;; amdgpu-corpus repo=ROCm/rocThrust kind=compiled arch=gfx1250 opt=O3
	.amdgcn_target "amdgcn-amd-amdhsa--gfx1250"
	.amdhsa_code_object_version 6
	.text
	.protected	_Z24InclusiveScanByKeyKerneliPiS_S_ ; -- Begin function _Z24InclusiveScanByKeyKerneliPiS_S_
	.globl	_Z24InclusiveScanByKeyKerneliPiS_S_
	.p2align	8
	.type	_Z24InclusiveScanByKeyKerneliPiS_S_,@function
_Z24InclusiveScanByKeyKerneliPiS_S_:    ; @_Z24InclusiveScanByKeyKerneliPiS_S_
; %bb.0:
	s_mov_b32 s2, exec_lo
	v_cmpx_eq_u32_e32 0, v0
	s_cbranch_execz .LBB0_5
; %bb.1:
	s_load_b32 s8, s[0:1], 0x0
	s_wait_kmcnt 0x0
	s_cmp_eq_u32 s8, 0
	s_cbranch_scc1 .LBB0_5
; %bb.2:
	s_clause 0x1
	s_load_b128 s[4:7], s[0:1], 0x8
	s_load_b64 s[2:3], s[0:1], 0x18
	s_cmp_eq_u32 s8, 1
	s_wait_kmcnt 0x0
	s_load_b32 s10, s[4:5], 0x0
	s_load_b32 s11, s[6:7], 0x0
	s_wait_kmcnt 0x0
	v_dual_mov_b32 v0, 0 :: v_dual_mov_b32 v1, s10
	global_store_b32 v0, v1, s[2:3]
	s_cbranch_scc1 .LBB0_5
; %bb.3:
	s_ashr_i32 s9, s8, 31
	s_wait_xcnt 0x0
	v_dual_mov_b32 v2, s11 :: v_dual_mov_b32 v1, s10
	s_add_nc_u64 s[0:1], s[6:7], 4
	s_lshl_b64 s[6:7], s[8:9], 2
	s_add_nc_u64 s[2:3], s[2:3], 4
	s_add_nc_u64 s[4:5], s[4:5], 4
	s_add_nc_u64 s[6:7], s[6:7], -4
.LBB0_4:                                ; =>This Inner Loop Header: Depth=1
	s_clause 0x1
	global_load_b32 v3, v0, s[0:1]
	global_load_b32 v4, v0, s[4:5]
	s_add_nc_u64 s[6:7], s[6:7], -4
	s_wait_xcnt 0x1
	s_add_nc_u64 s[0:1], s[0:1], 4
	s_wait_xcnt 0x0
	s_add_nc_u64 s[4:5], s[4:5], 4
	s_cmp_lg_u64 s[6:7], 0
	s_wait_loadcnt 0x1
	v_cmp_eq_u32_e32 vcc_lo, v2, v3
	v_dual_mov_b32 v2, v3 :: v_dual_cndmask_b32 v1, 0, v1
	s_wait_loadcnt 0x0
	s_delay_alu instid0(VALU_DEP_1)
	v_add_nc_u32_e32 v1, v1, v4
	global_store_b32 v0, v1, s[2:3]
	s_wait_xcnt 0x0
	s_add_nc_u64 s[2:3], s[2:3], 4
	s_cbranch_scc1 .LBB0_4
.LBB0_5:
	s_endpgm
	.section	.rodata,"a",@progbits
	.p2align	6, 0x0
	.amdhsa_kernel _Z24InclusiveScanByKeyKerneliPiS_S_
		.amdhsa_group_segment_fixed_size 0
		.amdhsa_private_segment_fixed_size 0
		.amdhsa_kernarg_size 32
		.amdhsa_user_sgpr_count 2
		.amdhsa_user_sgpr_dispatch_ptr 0
		.amdhsa_user_sgpr_queue_ptr 0
		.amdhsa_user_sgpr_kernarg_segment_ptr 1
		.amdhsa_user_sgpr_dispatch_id 0
		.amdhsa_user_sgpr_kernarg_preload_length 0
		.amdhsa_user_sgpr_kernarg_preload_offset 0
		.amdhsa_user_sgpr_private_segment_size 0
		.amdhsa_wavefront_size32 1
		.amdhsa_uses_dynamic_stack 0
		.amdhsa_enable_private_segment 0
		.amdhsa_system_sgpr_workgroup_id_x 1
		.amdhsa_system_sgpr_workgroup_id_y 0
		.amdhsa_system_sgpr_workgroup_id_z 0
		.amdhsa_system_sgpr_workgroup_info 0
		.amdhsa_system_vgpr_workitem_id 0
		.amdhsa_next_free_vgpr 5
		.amdhsa_next_free_sgpr 12
		.amdhsa_named_barrier_count 0
		.amdhsa_reserve_vcc 1
		.amdhsa_float_round_mode_32 0
		.amdhsa_float_round_mode_16_64 0
		.amdhsa_float_denorm_mode_32 3
		.amdhsa_float_denorm_mode_16_64 3
		.amdhsa_fp16_overflow 0
		.amdhsa_memory_ordered 1
		.amdhsa_forward_progress 1
		.amdhsa_inst_pref_size 2
		.amdhsa_round_robin_scheduling 0
		.amdhsa_exception_fp_ieee_invalid_op 0
		.amdhsa_exception_fp_denorm_src 0
		.amdhsa_exception_fp_ieee_div_zero 0
		.amdhsa_exception_fp_ieee_overflow 0
		.amdhsa_exception_fp_ieee_underflow 0
		.amdhsa_exception_fp_ieee_inexact 0
		.amdhsa_exception_int_div_zero 0
	.end_amdhsa_kernel
	.text
.Lfunc_end0:
	.size	_Z24InclusiveScanByKeyKerneliPiS_S_, .Lfunc_end0-_Z24InclusiveScanByKeyKerneliPiS_S_
                                        ; -- End function
	.set _Z24InclusiveScanByKeyKerneliPiS_S_.num_vgpr, 5
	.set _Z24InclusiveScanByKeyKerneliPiS_S_.num_agpr, 0
	.set _Z24InclusiveScanByKeyKerneliPiS_S_.numbered_sgpr, 12
	.set _Z24InclusiveScanByKeyKerneliPiS_S_.num_named_barrier, 0
	.set _Z24InclusiveScanByKeyKerneliPiS_S_.private_seg_size, 0
	.set _Z24InclusiveScanByKeyKerneliPiS_S_.uses_vcc, 1
	.set _Z24InclusiveScanByKeyKerneliPiS_S_.uses_flat_scratch, 0
	.set _Z24InclusiveScanByKeyKerneliPiS_S_.has_dyn_sized_stack, 0
	.set _Z24InclusiveScanByKeyKerneliPiS_S_.has_recursion, 0
	.set _Z24InclusiveScanByKeyKerneliPiS_S_.has_indirect_call, 0
	.section	.AMDGPU.csdata,"",@progbits
; Kernel info:
; codeLenInByte = 248
; TotalNumSgprs: 14
; NumVgprs: 5
; ScratchSize: 0
; MemoryBound: 0
; FloatMode: 240
; IeeeMode: 1
; LDSByteSize: 0 bytes/workgroup (compile time only)
; SGPRBlocks: 0
; VGPRBlocks: 0
; NumSGPRsForWavesPerEU: 14
; NumVGPRsForWavesPerEU: 5
; NamedBarCnt: 0
; Occupancy: 16
; WaveLimiterHint : 0
; COMPUTE_PGM_RSRC2:SCRATCH_EN: 0
; COMPUTE_PGM_RSRC2:USER_SGPR: 2
; COMPUTE_PGM_RSRC2:TRAP_HANDLER: 0
; COMPUTE_PGM_RSRC2:TGID_X_EN: 1
; COMPUTE_PGM_RSRC2:TGID_Y_EN: 0
; COMPUTE_PGM_RSRC2:TGID_Z_EN: 0
; COMPUTE_PGM_RSRC2:TIDIG_COMP_CNT: 0
	.text
	.protected	_Z24ExclusiveScanByKeyKerneliPiS_S_ ; -- Begin function _Z24ExclusiveScanByKeyKerneliPiS_S_
	.globl	_Z24ExclusiveScanByKeyKerneliPiS_S_
	.p2align	8
	.type	_Z24ExclusiveScanByKeyKerneliPiS_S_,@function
_Z24ExclusiveScanByKeyKerneliPiS_S_:    ; @_Z24ExclusiveScanByKeyKerneliPiS_S_
; %bb.0:
	s_mov_b32 s2, exec_lo
	v_cmpx_eq_u32_e32 0, v0
	s_cbranch_execz .LBB1_5
; %bb.1:
	s_load_b32 s8, s[0:1], 0x0
	s_wait_kmcnt 0x0
	s_cmp_eq_u32 s8, 0
	s_cbranch_scc1 .LBB1_5
; %bb.2:
	s_clause 0x1
	s_load_b128 s[4:7], s[0:1], 0x8
	s_load_b64 s[2:3], s[0:1], 0x18
	v_mov_b32_e32 v0, 0
	s_cmp_eq_u32 s8, 1
	s_wait_kmcnt 0x0
	s_load_b32 s10, s[6:7], 0x0
	s_load_b32 s11, s[4:5], 0x0
	global_store_b32 v0, v0, s[2:3]
	s_cbranch_scc1 .LBB1_5
; %bb.3:
	s_ashr_i32 s9, s8, 31
	s_wait_kmcnt 0x0
	v_dual_mov_b32 v1, s10 :: v_dual_mov_b32 v2, s11
	s_add_nc_u64 s[0:1], s[6:7], 4
	s_lshl_b64 s[6:7], s[8:9], 2
	s_wait_xcnt 0x0
	s_add_nc_u64 s[2:3], s[2:3], 4
	s_add_nc_u64 s[6:7], s[6:7], -4
	s_add_nc_u64 s[4:5], s[4:5], 4
.LBB1_4:                                ; =>This Inner Loop Header: Depth=1
	s_clause 0x1
	global_load_b32 v3, v0, s[0:1]
	global_load_b32 v4, v0, s[4:5]
	s_add_nc_u64 s[6:7], s[6:7], -4
	s_wait_xcnt 0x1
	s_add_nc_u64 s[0:1], s[0:1], 4
	s_wait_xcnt 0x0
	s_add_nc_u64 s[4:5], s[4:5], 4
	s_cmp_lg_u64 s[6:7], 0
	s_wait_loadcnt 0x1
	v_cmp_eq_u32_e32 vcc_lo, v1, v3
	v_dual_mov_b32 v1, v3 :: v_dual_cndmask_b32 v5, 0, v2, vcc_lo
	s_wait_loadcnt 0x0
	s_delay_alu instid0(VALU_DEP_1)
	v_add_nc_u32_e32 v2, v5, v4
	global_store_b32 v0, v5, s[2:3]
	s_wait_xcnt 0x0
	s_add_nc_u64 s[2:3], s[2:3], 4
	s_cbranch_scc1 .LBB1_4
.LBB1_5:
	s_endpgm
	.section	.rodata,"a",@progbits
	.p2align	6, 0x0
	.amdhsa_kernel _Z24ExclusiveScanByKeyKerneliPiS_S_
		.amdhsa_group_segment_fixed_size 0
		.amdhsa_private_segment_fixed_size 0
		.amdhsa_kernarg_size 32
		.amdhsa_user_sgpr_count 2
		.amdhsa_user_sgpr_dispatch_ptr 0
		.amdhsa_user_sgpr_queue_ptr 0
		.amdhsa_user_sgpr_kernarg_segment_ptr 1
		.amdhsa_user_sgpr_dispatch_id 0
		.amdhsa_user_sgpr_kernarg_preload_length 0
		.amdhsa_user_sgpr_kernarg_preload_offset 0
		.amdhsa_user_sgpr_private_segment_size 0
		.amdhsa_wavefront_size32 1
		.amdhsa_uses_dynamic_stack 0
		.amdhsa_enable_private_segment 0
		.amdhsa_system_sgpr_workgroup_id_x 1
		.amdhsa_system_sgpr_workgroup_id_y 0
		.amdhsa_system_sgpr_workgroup_id_z 0
		.amdhsa_system_sgpr_workgroup_info 0
		.amdhsa_system_vgpr_workitem_id 0
		.amdhsa_next_free_vgpr 6
		.amdhsa_next_free_sgpr 12
		.amdhsa_named_barrier_count 0
		.amdhsa_reserve_vcc 1
		.amdhsa_float_round_mode_32 0
		.amdhsa_float_round_mode_16_64 0
		.amdhsa_float_denorm_mode_32 3
		.amdhsa_float_denorm_mode_16_64 3
		.amdhsa_fp16_overflow 0
		.amdhsa_memory_ordered 1
		.amdhsa_forward_progress 1
		.amdhsa_inst_pref_size 2
		.amdhsa_round_robin_scheduling 0
		.amdhsa_exception_fp_ieee_invalid_op 0
		.amdhsa_exception_fp_denorm_src 0
		.amdhsa_exception_fp_ieee_div_zero 0
		.amdhsa_exception_fp_ieee_overflow 0
		.amdhsa_exception_fp_ieee_underflow 0
		.amdhsa_exception_fp_ieee_inexact 0
		.amdhsa_exception_int_div_zero 0
	.end_amdhsa_kernel
	.text
.Lfunc_end1:
	.size	_Z24ExclusiveScanByKeyKerneliPiS_S_, .Lfunc_end1-_Z24ExclusiveScanByKeyKerneliPiS_S_
                                        ; -- End function
	.set _Z24ExclusiveScanByKeyKerneliPiS_S_.num_vgpr, 6
	.set _Z24ExclusiveScanByKeyKerneliPiS_S_.num_agpr, 0
	.set _Z24ExclusiveScanByKeyKerneliPiS_S_.numbered_sgpr, 12
	.set _Z24ExclusiveScanByKeyKerneliPiS_S_.num_named_barrier, 0
	.set _Z24ExclusiveScanByKeyKerneliPiS_S_.private_seg_size, 0
	.set _Z24ExclusiveScanByKeyKerneliPiS_S_.uses_vcc, 1
	.set _Z24ExclusiveScanByKeyKerneliPiS_S_.uses_flat_scratch, 0
	.set _Z24ExclusiveScanByKeyKerneliPiS_S_.has_dyn_sized_stack, 0
	.set _Z24ExclusiveScanByKeyKerneliPiS_S_.has_recursion, 0
	.set _Z24ExclusiveScanByKeyKerneliPiS_S_.has_indirect_call, 0
	.section	.AMDGPU.csdata,"",@progbits
; Kernel info:
; codeLenInByte = 248
; TotalNumSgprs: 14
; NumVgprs: 6
; ScratchSize: 0
; MemoryBound: 0
; FloatMode: 240
; IeeeMode: 1
; LDSByteSize: 0 bytes/workgroup (compile time only)
; SGPRBlocks: 0
; VGPRBlocks: 0
; NumSGPRsForWavesPerEU: 14
; NumVGPRsForWavesPerEU: 6
; NamedBarCnt: 0
; Occupancy: 16
; WaveLimiterHint : 0
; COMPUTE_PGM_RSRC2:SCRATCH_EN: 0
; COMPUTE_PGM_RSRC2:USER_SGPR: 2
; COMPUTE_PGM_RSRC2:TRAP_HANDLER: 0
; COMPUTE_PGM_RSRC2:TGID_X_EN: 1
; COMPUTE_PGM_RSRC2:TGID_Y_EN: 0
; COMPUTE_PGM_RSRC2:TGID_Z_EN: 0
; COMPUTE_PGM_RSRC2:TIDIG_COMP_CNT: 0
	.section	.text._ZN6thrust23THRUST_200600_302600_NS11hip_rocprim14__parallel_for6kernelILj256ENS1_20__uninitialized_fill7functorINS0_10device_ptrIxEExEEmLj1EEEvT0_T1_SA_,"axG",@progbits,_ZN6thrust23THRUST_200600_302600_NS11hip_rocprim14__parallel_for6kernelILj256ENS1_20__uninitialized_fill7functorINS0_10device_ptrIxEExEEmLj1EEEvT0_T1_SA_,comdat
	.protected	_ZN6thrust23THRUST_200600_302600_NS11hip_rocprim14__parallel_for6kernelILj256ENS1_20__uninitialized_fill7functorINS0_10device_ptrIxEExEEmLj1EEEvT0_T1_SA_ ; -- Begin function _ZN6thrust23THRUST_200600_302600_NS11hip_rocprim14__parallel_for6kernelILj256ENS1_20__uninitialized_fill7functorINS0_10device_ptrIxEExEEmLj1EEEvT0_T1_SA_
	.globl	_ZN6thrust23THRUST_200600_302600_NS11hip_rocprim14__parallel_for6kernelILj256ENS1_20__uninitialized_fill7functorINS0_10device_ptrIxEExEEmLj1EEEvT0_T1_SA_
	.p2align	8
	.type	_ZN6thrust23THRUST_200600_302600_NS11hip_rocprim14__parallel_for6kernelILj256ENS1_20__uninitialized_fill7functorINS0_10device_ptrIxEExEEmLj1EEEvT0_T1_SA_,@function
_ZN6thrust23THRUST_200600_302600_NS11hip_rocprim14__parallel_for6kernelILj256ENS1_20__uninitialized_fill7functorINS0_10device_ptrIxEExEEmLj1EEEvT0_T1_SA_: ; @_ZN6thrust23THRUST_200600_302600_NS11hip_rocprim14__parallel_for6kernelILj256ENS1_20__uninitialized_fill7functorINS0_10device_ptrIxEExEEmLj1EEEvT0_T1_SA_
; %bb.0:
	s_load_b256 s[4:11], s[0:1], 0x0
	s_wait_xcnt 0x0
	s_bfe_u32 s0, ttmp6, 0x4000c
	s_and_b32 s1, ttmp6, 15
	s_add_co_i32 s0, s0, 1
	s_getreg_b32 s2, hwreg(HW_REG_IB_STS2, 6, 4)
	s_mul_i32 s0, ttmp9, s0
	s_delay_alu instid0(SALU_CYCLE_1)
	s_add_co_i32 s1, s1, s0
	s_cmp_eq_u32 s2, 0
	s_cselect_b32 s0, ttmp9, s1
	s_mov_b32 s1, 0
	s_lshl_b32 s0, s0, 8
	s_wait_kmcnt 0x0
	s_add_nc_u64 s[0:1], s[10:11], s[0:1]
	s_delay_alu instid0(SALU_CYCLE_1) | instskip(NEXT) | instid1(SALU_CYCLE_1)
	s_sub_nc_u64 s[2:3], s[8:9], s[0:1]
	v_cmp_lt_u64_e64 s3, 0xff, s[2:3]
	s_and_b32 vcc_lo, exec_lo, s3
	s_mov_b32 s3, -1
	s_cbranch_vccz .LBB2_3
; %bb.1:
	s_and_not1_b32 vcc_lo, exec_lo, s3
	s_cbranch_vccz .LBB2_6
.LBB2_2:
	s_endpgm
.LBB2_3:
	v_cmp_gt_u32_e32 vcc_lo, s2, v0
	s_and_saveexec_b32 s2, vcc_lo
	s_cbranch_execz .LBB2_5
; %bb.4:
	v_mov_b64_e32 v[2:3], s[6:7]
	s_lshl_b64 s[8:9], s[0:1], 3
	s_delay_alu instid0(SALU_CYCLE_1)
	s_add_nc_u64 s[8:9], s[4:5], s[8:9]
	flat_store_b64 v0, v[2:3], s[8:9] scale_offset
.LBB2_5:
	s_wait_xcnt 0x0
	s_or_b32 exec_lo, exec_lo, s2
	s_cbranch_execnz .LBB2_2
.LBB2_6:
	v_mov_b64_e32 v[2:3], s[6:7]
	s_lshl_b64 s[0:1], s[0:1], 3
	s_delay_alu instid0(SALU_CYCLE_1)
	s_add_nc_u64 s[0:1], s[4:5], s[0:1]
	flat_store_b64 v0, v[2:3], s[0:1] scale_offset
	s_endpgm
	.section	.rodata,"a",@progbits
	.p2align	6, 0x0
	.amdhsa_kernel _ZN6thrust23THRUST_200600_302600_NS11hip_rocprim14__parallel_for6kernelILj256ENS1_20__uninitialized_fill7functorINS0_10device_ptrIxEExEEmLj1EEEvT0_T1_SA_
		.amdhsa_group_segment_fixed_size 0
		.amdhsa_private_segment_fixed_size 0
		.amdhsa_kernarg_size 32
		.amdhsa_user_sgpr_count 2
		.amdhsa_user_sgpr_dispatch_ptr 0
		.amdhsa_user_sgpr_queue_ptr 0
		.amdhsa_user_sgpr_kernarg_segment_ptr 1
		.amdhsa_user_sgpr_dispatch_id 0
		.amdhsa_user_sgpr_kernarg_preload_length 0
		.amdhsa_user_sgpr_kernarg_preload_offset 0
		.amdhsa_user_sgpr_private_segment_size 0
		.amdhsa_wavefront_size32 1
		.amdhsa_uses_dynamic_stack 0
		.amdhsa_enable_private_segment 0
		.amdhsa_system_sgpr_workgroup_id_x 1
		.amdhsa_system_sgpr_workgroup_id_y 0
		.amdhsa_system_sgpr_workgroup_id_z 0
		.amdhsa_system_sgpr_workgroup_info 0
		.amdhsa_system_vgpr_workitem_id 0
		.amdhsa_next_free_vgpr 4
		.amdhsa_next_free_sgpr 12
		.amdhsa_named_barrier_count 0
		.amdhsa_reserve_vcc 1
		.amdhsa_float_round_mode_32 0
		.amdhsa_float_round_mode_16_64 0
		.amdhsa_float_denorm_mode_32 3
		.amdhsa_float_denorm_mode_16_64 3
		.amdhsa_fp16_overflow 0
		.amdhsa_memory_ordered 1
		.amdhsa_forward_progress 1
		.amdhsa_inst_pref_size 2
		.amdhsa_round_robin_scheduling 0
		.amdhsa_exception_fp_ieee_invalid_op 0
		.amdhsa_exception_fp_denorm_src 0
		.amdhsa_exception_fp_ieee_div_zero 0
		.amdhsa_exception_fp_ieee_overflow 0
		.amdhsa_exception_fp_ieee_underflow 0
		.amdhsa_exception_fp_ieee_inexact 0
		.amdhsa_exception_int_div_zero 0
	.end_amdhsa_kernel
	.section	.text._ZN6thrust23THRUST_200600_302600_NS11hip_rocprim14__parallel_for6kernelILj256ENS1_20__uninitialized_fill7functorINS0_10device_ptrIxEExEEmLj1EEEvT0_T1_SA_,"axG",@progbits,_ZN6thrust23THRUST_200600_302600_NS11hip_rocprim14__parallel_for6kernelILj256ENS1_20__uninitialized_fill7functorINS0_10device_ptrIxEExEEmLj1EEEvT0_T1_SA_,comdat
.Lfunc_end2:
	.size	_ZN6thrust23THRUST_200600_302600_NS11hip_rocprim14__parallel_for6kernelILj256ENS1_20__uninitialized_fill7functorINS0_10device_ptrIxEExEEmLj1EEEvT0_T1_SA_, .Lfunc_end2-_ZN6thrust23THRUST_200600_302600_NS11hip_rocprim14__parallel_for6kernelILj256ENS1_20__uninitialized_fill7functorINS0_10device_ptrIxEExEEmLj1EEEvT0_T1_SA_
                                        ; -- End function
	.set _ZN6thrust23THRUST_200600_302600_NS11hip_rocprim14__parallel_for6kernelILj256ENS1_20__uninitialized_fill7functorINS0_10device_ptrIxEExEEmLj1EEEvT0_T1_SA_.num_vgpr, 4
	.set _ZN6thrust23THRUST_200600_302600_NS11hip_rocprim14__parallel_for6kernelILj256ENS1_20__uninitialized_fill7functorINS0_10device_ptrIxEExEEmLj1EEEvT0_T1_SA_.num_agpr, 0
	.set _ZN6thrust23THRUST_200600_302600_NS11hip_rocprim14__parallel_for6kernelILj256ENS1_20__uninitialized_fill7functorINS0_10device_ptrIxEExEEmLj1EEEvT0_T1_SA_.numbered_sgpr, 12
	.set _ZN6thrust23THRUST_200600_302600_NS11hip_rocprim14__parallel_for6kernelILj256ENS1_20__uninitialized_fill7functorINS0_10device_ptrIxEExEEmLj1EEEvT0_T1_SA_.num_named_barrier, 0
	.set _ZN6thrust23THRUST_200600_302600_NS11hip_rocprim14__parallel_for6kernelILj256ENS1_20__uninitialized_fill7functorINS0_10device_ptrIxEExEEmLj1EEEvT0_T1_SA_.private_seg_size, 0
	.set _ZN6thrust23THRUST_200600_302600_NS11hip_rocprim14__parallel_for6kernelILj256ENS1_20__uninitialized_fill7functorINS0_10device_ptrIxEExEEmLj1EEEvT0_T1_SA_.uses_vcc, 1
	.set _ZN6thrust23THRUST_200600_302600_NS11hip_rocprim14__parallel_for6kernelILj256ENS1_20__uninitialized_fill7functorINS0_10device_ptrIxEExEEmLj1EEEvT0_T1_SA_.uses_flat_scratch, 0
	.set _ZN6thrust23THRUST_200600_302600_NS11hip_rocprim14__parallel_for6kernelILj256ENS1_20__uninitialized_fill7functorINS0_10device_ptrIxEExEEmLj1EEEvT0_T1_SA_.has_dyn_sized_stack, 0
	.set _ZN6thrust23THRUST_200600_302600_NS11hip_rocprim14__parallel_for6kernelILj256ENS1_20__uninitialized_fill7functorINS0_10device_ptrIxEExEEmLj1EEEvT0_T1_SA_.has_recursion, 0
	.set _ZN6thrust23THRUST_200600_302600_NS11hip_rocprim14__parallel_for6kernelILj256ENS1_20__uninitialized_fill7functorINS0_10device_ptrIxEExEEmLj1EEEvT0_T1_SA_.has_indirect_call, 0
	.section	.AMDGPU.csdata,"",@progbits
; Kernel info:
; codeLenInByte = 196
; TotalNumSgprs: 14
; NumVgprs: 4
; ScratchSize: 0
; MemoryBound: 0
; FloatMode: 240
; IeeeMode: 1
; LDSByteSize: 0 bytes/workgroup (compile time only)
; SGPRBlocks: 0
; VGPRBlocks: 0
; NumSGPRsForWavesPerEU: 14
; NumVGPRsForWavesPerEU: 4
; NamedBarCnt: 0
; Occupancy: 16
; WaveLimiterHint : 0
; COMPUTE_PGM_RSRC2:SCRATCH_EN: 0
; COMPUTE_PGM_RSRC2:USER_SGPR: 2
; COMPUTE_PGM_RSRC2:TRAP_HANDLER: 0
; COMPUTE_PGM_RSRC2:TGID_X_EN: 1
; COMPUTE_PGM_RSRC2:TGID_Y_EN: 0
; COMPUTE_PGM_RSRC2:TGID_Z_EN: 0
; COMPUTE_PGM_RSRC2:TIDIG_COMP_CNT: 0
	.section	.text._ZN7rocprim17ROCPRIM_400000_NS6detail30init_device_scan_by_key_kernelINS1_19lookback_scan_stateINS0_5tupleIJxbEEELb0ELb0EEEN6thrust23THRUST_200600_302600_NS6detail15normal_iteratorINS8_10device_ptrIxEEEEjNS1_16block_id_wrapperIjLb0EEEEEvT_jjPNSG_10value_typeET0_PNSt15iterator_traitsISJ_E10value_typeEmT1_T2_,"axG",@progbits,_ZN7rocprim17ROCPRIM_400000_NS6detail30init_device_scan_by_key_kernelINS1_19lookback_scan_stateINS0_5tupleIJxbEEELb0ELb0EEEN6thrust23THRUST_200600_302600_NS6detail15normal_iteratorINS8_10device_ptrIxEEEEjNS1_16block_id_wrapperIjLb0EEEEEvT_jjPNSG_10value_typeET0_PNSt15iterator_traitsISJ_E10value_typeEmT1_T2_,comdat
	.protected	_ZN7rocprim17ROCPRIM_400000_NS6detail30init_device_scan_by_key_kernelINS1_19lookback_scan_stateINS0_5tupleIJxbEEELb0ELb0EEEN6thrust23THRUST_200600_302600_NS6detail15normal_iteratorINS8_10device_ptrIxEEEEjNS1_16block_id_wrapperIjLb0EEEEEvT_jjPNSG_10value_typeET0_PNSt15iterator_traitsISJ_E10value_typeEmT1_T2_ ; -- Begin function _ZN7rocprim17ROCPRIM_400000_NS6detail30init_device_scan_by_key_kernelINS1_19lookback_scan_stateINS0_5tupleIJxbEEELb0ELb0EEEN6thrust23THRUST_200600_302600_NS6detail15normal_iteratorINS8_10device_ptrIxEEEEjNS1_16block_id_wrapperIjLb0EEEEEvT_jjPNSG_10value_typeET0_PNSt15iterator_traitsISJ_E10value_typeEmT1_T2_
	.globl	_ZN7rocprim17ROCPRIM_400000_NS6detail30init_device_scan_by_key_kernelINS1_19lookback_scan_stateINS0_5tupleIJxbEEELb0ELb0EEEN6thrust23THRUST_200600_302600_NS6detail15normal_iteratorINS8_10device_ptrIxEEEEjNS1_16block_id_wrapperIjLb0EEEEEvT_jjPNSG_10value_typeET0_PNSt15iterator_traitsISJ_E10value_typeEmT1_T2_
	.p2align	8
	.type	_ZN7rocprim17ROCPRIM_400000_NS6detail30init_device_scan_by_key_kernelINS1_19lookback_scan_stateINS0_5tupleIJxbEEELb0ELb0EEEN6thrust23THRUST_200600_302600_NS6detail15normal_iteratorINS8_10device_ptrIxEEEEjNS1_16block_id_wrapperIjLb0EEEEEvT_jjPNSG_10value_typeET0_PNSt15iterator_traitsISJ_E10value_typeEmT1_T2_,@function
_ZN7rocprim17ROCPRIM_400000_NS6detail30init_device_scan_by_key_kernelINS1_19lookback_scan_stateINS0_5tupleIJxbEEELb0ELb0EEEN6thrust23THRUST_200600_302600_NS6detail15normal_iteratorINS8_10device_ptrIxEEEEjNS1_16block_id_wrapperIjLb0EEEEEvT_jjPNSG_10value_typeET0_PNSt15iterator_traitsISJ_E10value_typeEmT1_T2_: ; @_ZN7rocprim17ROCPRIM_400000_NS6detail30init_device_scan_by_key_kernelINS1_19lookback_scan_stateINS0_5tupleIJxbEEELb0ELb0EEEN6thrust23THRUST_200600_302600_NS6detail15normal_iteratorINS8_10device_ptrIxEEEEjNS1_16block_id_wrapperIjLb0EEEEEvT_jjPNSG_10value_typeET0_PNSt15iterator_traitsISJ_E10value_typeEmT1_T2_
; %bb.0:
	s_clause 0x2
	s_load_b32 s2, s[0:1], 0x54
	s_load_b32 s18, s[0:1], 0x48
	s_load_b256 s[4:11], s[0:1], 0x10
	s_bfe_u32 s3, ttmp6, 0x4000c
	s_and_b32 s12, ttmp6, 15
	s_add_co_i32 s3, s3, 1
	s_getreg_b32 s13, hwreg(HW_REG_IB_STS2, 6, 4)
	s_mul_i32 s3, ttmp9, s3
	s_delay_alu instid0(SALU_CYCLE_1)
	s_add_co_i32 s12, s12, s3
	s_wait_kmcnt 0x0
	s_and_b32 s19, s2, 0xffff
	s_cmp_eq_u32 s13, 0
	s_cselect_b32 s2, ttmp9, s12
	s_cmp_eq_u64 s[8:9], 0
	v_mad_u32 v0, s2, s19, v0
	s_cbranch_scc1 .LBB3_7
; %bb.1:
	s_cmp_lt_u32 s7, s6
	s_mov_b32 s20, exec_lo
	s_cselect_b32 s2, s7, 0
	s_delay_alu instid0(VALU_DEP_1) | instid1(SALU_CYCLE_1)
	v_cmpx_eq_u32_e64 s2, v0
	s_cbranch_execz .LBB3_6
; %bb.2:
	s_add_co_i32 s2, s7, 32
	s_load_b128 s[12:15], s[0:1], 0x0
	v_mov_b32_e32 v1, s2
	s_mov_b32 s3, 0
	global_load_u8 v1, v1, s[4:5] scope:SCOPE_DEV
	s_wait_loadcnt 0x0
	v_and_b32_e32 v2, 0xffff, v1
	v_readfirstlane_b32 s7, v1
	s_delay_alu instid0(VALU_DEP_2)
	v_cmp_ne_u32_e32 vcc_lo, 0, v2
	s_cbranch_vccnz .LBB3_5
; %bb.3:
	v_mov_b32_e32 v1, 0
	s_add_nc_u64 s[16:17], s[4:5], s[2:3]
.LBB3_4:                                ; =>This Inner Loop Header: Depth=1
	global_load_u8 v2, v1, s[16:17] scope:SCOPE_DEV
	s_wait_loadcnt 0x0
	v_and_b32_e32 v3, 0xffff, v2
	v_readfirstlane_b32 s7, v2
	s_delay_alu instid0(VALU_DEP_2)
	v_cmp_eq_u32_e32 vcc_lo, 0, v3
	s_cbranch_vccnz .LBB3_4
.LBB3_5:
	s_and_b32 s7, 0xffff, s7
	v_mov_b32_e32 v1, 0
	s_cmp_eq_u32 s7, 1
	global_wb scope:SCOPE_DEV
	s_wait_storecnt 0x0
	global_inv scope:SCOPE_DEV
	s_wait_kmcnt 0x0
	s_cselect_b32 s13, s13, s15
	s_cselect_b32 s12, s12, s14
	s_lshl_b64 s[2:3], s[2:3], 4
	s_delay_alu instid0(SALU_CYCLE_1)
	s_add_nc_u64 s[2:3], s[12:13], s[2:3]
	s_clause 0x1
	global_load_b64 v[2:3], v1, s[2:3]
	global_load_u8 v4, v1, s[2:3] offset:8
	s_wait_loadcnt 0x1
	global_store_b64 v1, v[2:3], s[8:9]
	s_wait_loadcnt 0x0
	global_store_b8 v1, v4, s[8:9] offset:8
.LBB3_6:
	s_wait_xcnt 0x0
	s_or_b32 exec_lo, exec_lo, s20
.LBB3_7:
	s_delay_alu instid0(SALU_CYCLE_1) | instskip(NEXT) | instid1(VALU_DEP_1)
	s_mov_b32 s2, exec_lo
	v_cmpx_gt_u32_e64 s6, v0
	s_cbranch_execz .LBB3_9
; %bb.8:
	v_dual_mov_b32 v2, 0 :: v_dual_add_nc_u32 v1, 32, v0
	global_store_b8 v1, v2, s[4:5]
.LBB3_9:
	s_wait_xcnt 0x0
	s_or_b32 exec_lo, exec_lo, s2
	v_mov_b32_e32 v1, 0
	s_mov_b32 s2, exec_lo
	v_cmpx_gt_u32_e32 32, v0
	s_cbranch_execz .LBB3_11
; %bb.10:
	s_delay_alu instid0(VALU_DEP_2)
	v_add_nc_u64_e32 v[2:3], s[4:5], v[0:1]
	v_mov_b32_e32 v4, 0xff
	global_store_b8 v[2:3], v4, off
.LBB3_11:
	s_wait_xcnt 0x0
	s_or_b32 exec_lo, exec_lo, s2
	s_load_b64 s[2:3], s[0:1], 0x38
	s_mov_b32 s4, exec_lo
	s_wait_kmcnt 0x0
	v_cmpx_gt_u64_e64 s[2:3], v[0:1]
	s_cbranch_execz .LBB3_14
; %bb.12:
	s_clause 0x1
	s_load_b32 s4, s[0:1], 0x40
	s_load_b64 s[6:7], s[0:1], 0x30
	s_mov_b32 s5, 0
	s_wait_xcnt 0x0
	s_mul_i32 s0, s18, s19
	s_mov_b32 s9, s5
	s_mov_b32 s1, s5
	s_wait_kmcnt 0x0
	v_mul_u64_e32 v[2:3], s[4:5], v[0:1]
	s_add_co_i32 s8, s4, -1
	v_lshl_add_u64 v[4:5], v[0:1], 3, s[6:7]
	s_lshl_b64 s[8:9], s[8:9], 3
	s_delay_alu instid0(SALU_CYCLE_1) | instskip(SKIP_1) | instid1(SALU_CYCLE_1)
	s_add_nc_u64 s[8:9], s[10:11], s[8:9]
	s_mul_u64 s[10:11], s[4:5], s[0:1]
	s_lshl_b64 s[6:7], s[10:11], 3
	s_delay_alu instid0(VALU_DEP_2)
	v_lshl_add_u64 v[2:3], v[2:3], 3, s[8:9]
	s_lshl_b64 s[8:9], s[0:1], 3
.LBB3_13:                               ; =>This Inner Loop Header: Depth=1
	global_load_b64 v[6:7], v[2:3], off
	v_add_nc_u64_e32 v[0:1], s[0:1], v[0:1]
	s_wait_xcnt 0x0
	v_add_nc_u64_e32 v[2:3], s[6:7], v[2:3]
	s_delay_alu instid0(VALU_DEP_2)
	v_cmp_le_u64_e32 vcc_lo, s[2:3], v[0:1]
	s_or_b32 s5, vcc_lo, s5
	s_wait_loadcnt 0x0
	global_store_b64 v[4:5], v[6:7], off
	s_wait_xcnt 0x0
	v_add_nc_u64_e32 v[4:5], s[8:9], v[4:5]
	s_and_not1_b32 exec_lo, exec_lo, s5
	s_cbranch_execnz .LBB3_13
.LBB3_14:
	s_endpgm
	.section	.rodata,"a",@progbits
	.p2align	6, 0x0
	.amdhsa_kernel _ZN7rocprim17ROCPRIM_400000_NS6detail30init_device_scan_by_key_kernelINS1_19lookback_scan_stateINS0_5tupleIJxbEEELb0ELb0EEEN6thrust23THRUST_200600_302600_NS6detail15normal_iteratorINS8_10device_ptrIxEEEEjNS1_16block_id_wrapperIjLb0EEEEEvT_jjPNSG_10value_typeET0_PNSt15iterator_traitsISJ_E10value_typeEmT1_T2_
		.amdhsa_group_segment_fixed_size 0
		.amdhsa_private_segment_fixed_size 0
		.amdhsa_kernarg_size 328
		.amdhsa_user_sgpr_count 2
		.amdhsa_user_sgpr_dispatch_ptr 0
		.amdhsa_user_sgpr_queue_ptr 0
		.amdhsa_user_sgpr_kernarg_segment_ptr 1
		.amdhsa_user_sgpr_dispatch_id 0
		.amdhsa_user_sgpr_kernarg_preload_length 0
		.amdhsa_user_sgpr_kernarg_preload_offset 0
		.amdhsa_user_sgpr_private_segment_size 0
		.amdhsa_wavefront_size32 1
		.amdhsa_uses_dynamic_stack 0
		.amdhsa_enable_private_segment 0
		.amdhsa_system_sgpr_workgroup_id_x 1
		.amdhsa_system_sgpr_workgroup_id_y 0
		.amdhsa_system_sgpr_workgroup_id_z 0
		.amdhsa_system_sgpr_workgroup_info 0
		.amdhsa_system_vgpr_workitem_id 0
		.amdhsa_next_free_vgpr 8
		.amdhsa_next_free_sgpr 21
		.amdhsa_named_barrier_count 0
		.amdhsa_reserve_vcc 1
		.amdhsa_float_round_mode_32 0
		.amdhsa_float_round_mode_16_64 0
		.amdhsa_float_denorm_mode_32 3
		.amdhsa_float_denorm_mode_16_64 3
		.amdhsa_fp16_overflow 0
		.amdhsa_memory_ordered 1
		.amdhsa_forward_progress 1
		.amdhsa_inst_pref_size 6
		.amdhsa_round_robin_scheduling 0
		.amdhsa_exception_fp_ieee_invalid_op 0
		.amdhsa_exception_fp_denorm_src 0
		.amdhsa_exception_fp_ieee_div_zero 0
		.amdhsa_exception_fp_ieee_overflow 0
		.amdhsa_exception_fp_ieee_underflow 0
		.amdhsa_exception_fp_ieee_inexact 0
		.amdhsa_exception_int_div_zero 0
	.end_amdhsa_kernel
	.section	.text._ZN7rocprim17ROCPRIM_400000_NS6detail30init_device_scan_by_key_kernelINS1_19lookback_scan_stateINS0_5tupleIJxbEEELb0ELb0EEEN6thrust23THRUST_200600_302600_NS6detail15normal_iteratorINS8_10device_ptrIxEEEEjNS1_16block_id_wrapperIjLb0EEEEEvT_jjPNSG_10value_typeET0_PNSt15iterator_traitsISJ_E10value_typeEmT1_T2_,"axG",@progbits,_ZN7rocprim17ROCPRIM_400000_NS6detail30init_device_scan_by_key_kernelINS1_19lookback_scan_stateINS0_5tupleIJxbEEELb0ELb0EEEN6thrust23THRUST_200600_302600_NS6detail15normal_iteratorINS8_10device_ptrIxEEEEjNS1_16block_id_wrapperIjLb0EEEEEvT_jjPNSG_10value_typeET0_PNSt15iterator_traitsISJ_E10value_typeEmT1_T2_,comdat
.Lfunc_end3:
	.size	_ZN7rocprim17ROCPRIM_400000_NS6detail30init_device_scan_by_key_kernelINS1_19lookback_scan_stateINS0_5tupleIJxbEEELb0ELb0EEEN6thrust23THRUST_200600_302600_NS6detail15normal_iteratorINS8_10device_ptrIxEEEEjNS1_16block_id_wrapperIjLb0EEEEEvT_jjPNSG_10value_typeET0_PNSt15iterator_traitsISJ_E10value_typeEmT1_T2_, .Lfunc_end3-_ZN7rocprim17ROCPRIM_400000_NS6detail30init_device_scan_by_key_kernelINS1_19lookback_scan_stateINS0_5tupleIJxbEEELb0ELb0EEEN6thrust23THRUST_200600_302600_NS6detail15normal_iteratorINS8_10device_ptrIxEEEEjNS1_16block_id_wrapperIjLb0EEEEEvT_jjPNSG_10value_typeET0_PNSt15iterator_traitsISJ_E10value_typeEmT1_T2_
                                        ; -- End function
	.set _ZN7rocprim17ROCPRIM_400000_NS6detail30init_device_scan_by_key_kernelINS1_19lookback_scan_stateINS0_5tupleIJxbEEELb0ELb0EEEN6thrust23THRUST_200600_302600_NS6detail15normal_iteratorINS8_10device_ptrIxEEEEjNS1_16block_id_wrapperIjLb0EEEEEvT_jjPNSG_10value_typeET0_PNSt15iterator_traitsISJ_E10value_typeEmT1_T2_.num_vgpr, 8
	.set _ZN7rocprim17ROCPRIM_400000_NS6detail30init_device_scan_by_key_kernelINS1_19lookback_scan_stateINS0_5tupleIJxbEEELb0ELb0EEEN6thrust23THRUST_200600_302600_NS6detail15normal_iteratorINS8_10device_ptrIxEEEEjNS1_16block_id_wrapperIjLb0EEEEEvT_jjPNSG_10value_typeET0_PNSt15iterator_traitsISJ_E10value_typeEmT1_T2_.num_agpr, 0
	.set _ZN7rocprim17ROCPRIM_400000_NS6detail30init_device_scan_by_key_kernelINS1_19lookback_scan_stateINS0_5tupleIJxbEEELb0ELb0EEEN6thrust23THRUST_200600_302600_NS6detail15normal_iteratorINS8_10device_ptrIxEEEEjNS1_16block_id_wrapperIjLb0EEEEEvT_jjPNSG_10value_typeET0_PNSt15iterator_traitsISJ_E10value_typeEmT1_T2_.numbered_sgpr, 21
	.set _ZN7rocprim17ROCPRIM_400000_NS6detail30init_device_scan_by_key_kernelINS1_19lookback_scan_stateINS0_5tupleIJxbEEELb0ELb0EEEN6thrust23THRUST_200600_302600_NS6detail15normal_iteratorINS8_10device_ptrIxEEEEjNS1_16block_id_wrapperIjLb0EEEEEvT_jjPNSG_10value_typeET0_PNSt15iterator_traitsISJ_E10value_typeEmT1_T2_.num_named_barrier, 0
	.set _ZN7rocprim17ROCPRIM_400000_NS6detail30init_device_scan_by_key_kernelINS1_19lookback_scan_stateINS0_5tupleIJxbEEELb0ELb0EEEN6thrust23THRUST_200600_302600_NS6detail15normal_iteratorINS8_10device_ptrIxEEEEjNS1_16block_id_wrapperIjLb0EEEEEvT_jjPNSG_10value_typeET0_PNSt15iterator_traitsISJ_E10value_typeEmT1_T2_.private_seg_size, 0
	.set _ZN7rocprim17ROCPRIM_400000_NS6detail30init_device_scan_by_key_kernelINS1_19lookback_scan_stateINS0_5tupleIJxbEEELb0ELb0EEEN6thrust23THRUST_200600_302600_NS6detail15normal_iteratorINS8_10device_ptrIxEEEEjNS1_16block_id_wrapperIjLb0EEEEEvT_jjPNSG_10value_typeET0_PNSt15iterator_traitsISJ_E10value_typeEmT1_T2_.uses_vcc, 1
	.set _ZN7rocprim17ROCPRIM_400000_NS6detail30init_device_scan_by_key_kernelINS1_19lookback_scan_stateINS0_5tupleIJxbEEELb0ELb0EEEN6thrust23THRUST_200600_302600_NS6detail15normal_iteratorINS8_10device_ptrIxEEEEjNS1_16block_id_wrapperIjLb0EEEEEvT_jjPNSG_10value_typeET0_PNSt15iterator_traitsISJ_E10value_typeEmT1_T2_.uses_flat_scratch, 0
	.set _ZN7rocprim17ROCPRIM_400000_NS6detail30init_device_scan_by_key_kernelINS1_19lookback_scan_stateINS0_5tupleIJxbEEELb0ELb0EEEN6thrust23THRUST_200600_302600_NS6detail15normal_iteratorINS8_10device_ptrIxEEEEjNS1_16block_id_wrapperIjLb0EEEEEvT_jjPNSG_10value_typeET0_PNSt15iterator_traitsISJ_E10value_typeEmT1_T2_.has_dyn_sized_stack, 0
	.set _ZN7rocprim17ROCPRIM_400000_NS6detail30init_device_scan_by_key_kernelINS1_19lookback_scan_stateINS0_5tupleIJxbEEELb0ELb0EEEN6thrust23THRUST_200600_302600_NS6detail15normal_iteratorINS8_10device_ptrIxEEEEjNS1_16block_id_wrapperIjLb0EEEEEvT_jjPNSG_10value_typeET0_PNSt15iterator_traitsISJ_E10value_typeEmT1_T2_.has_recursion, 0
	.set _ZN7rocprim17ROCPRIM_400000_NS6detail30init_device_scan_by_key_kernelINS1_19lookback_scan_stateINS0_5tupleIJxbEEELb0ELb0EEEN6thrust23THRUST_200600_302600_NS6detail15normal_iteratorINS8_10device_ptrIxEEEEjNS1_16block_id_wrapperIjLb0EEEEEvT_jjPNSG_10value_typeET0_PNSt15iterator_traitsISJ_E10value_typeEmT1_T2_.has_indirect_call, 0
	.section	.AMDGPU.csdata,"",@progbits
; Kernel info:
; codeLenInByte = 664
; TotalNumSgprs: 23
; NumVgprs: 8
; ScratchSize: 0
; MemoryBound: 0
; FloatMode: 240
; IeeeMode: 1
; LDSByteSize: 0 bytes/workgroup (compile time only)
; SGPRBlocks: 0
; VGPRBlocks: 0
; NumSGPRsForWavesPerEU: 23
; NumVGPRsForWavesPerEU: 8
; NamedBarCnt: 0
; Occupancy: 16
; WaveLimiterHint : 0
; COMPUTE_PGM_RSRC2:SCRATCH_EN: 0
; COMPUTE_PGM_RSRC2:USER_SGPR: 2
; COMPUTE_PGM_RSRC2:TRAP_HANDLER: 0
; COMPUTE_PGM_RSRC2:TGID_X_EN: 1
; COMPUTE_PGM_RSRC2:TGID_Y_EN: 0
; COMPUTE_PGM_RSRC2:TGID_Z_EN: 0
; COMPUTE_PGM_RSRC2:TIDIG_COMP_CNT: 0
	.section	.text._ZN7rocprim17ROCPRIM_400000_NS6detail30init_device_scan_by_key_kernelINS1_19lookback_scan_stateINS0_5tupleIJxbEEELb0ELb0EEENS1_16block_id_wrapperIjLb0EEEEEvT_jjPNS9_10value_typeET0_,"axG",@progbits,_ZN7rocprim17ROCPRIM_400000_NS6detail30init_device_scan_by_key_kernelINS1_19lookback_scan_stateINS0_5tupleIJxbEEELb0ELb0EEENS1_16block_id_wrapperIjLb0EEEEEvT_jjPNS9_10value_typeET0_,comdat
	.protected	_ZN7rocprim17ROCPRIM_400000_NS6detail30init_device_scan_by_key_kernelINS1_19lookback_scan_stateINS0_5tupleIJxbEEELb0ELb0EEENS1_16block_id_wrapperIjLb0EEEEEvT_jjPNS9_10value_typeET0_ ; -- Begin function _ZN7rocprim17ROCPRIM_400000_NS6detail30init_device_scan_by_key_kernelINS1_19lookback_scan_stateINS0_5tupleIJxbEEELb0ELb0EEENS1_16block_id_wrapperIjLb0EEEEEvT_jjPNS9_10value_typeET0_
	.globl	_ZN7rocprim17ROCPRIM_400000_NS6detail30init_device_scan_by_key_kernelINS1_19lookback_scan_stateINS0_5tupleIJxbEEELb0ELb0EEENS1_16block_id_wrapperIjLb0EEEEEvT_jjPNS9_10value_typeET0_
	.p2align	8
	.type	_ZN7rocprim17ROCPRIM_400000_NS6detail30init_device_scan_by_key_kernelINS1_19lookback_scan_stateINS0_5tupleIJxbEEELb0ELb0EEENS1_16block_id_wrapperIjLb0EEEEEvT_jjPNS9_10value_typeET0_,@function
_ZN7rocprim17ROCPRIM_400000_NS6detail30init_device_scan_by_key_kernelINS1_19lookback_scan_stateINS0_5tupleIJxbEEELb0ELb0EEENS1_16block_id_wrapperIjLb0EEEEEvT_jjPNS9_10value_typeET0_: ; @_ZN7rocprim17ROCPRIM_400000_NS6detail30init_device_scan_by_key_kernelINS1_19lookback_scan_stateINS0_5tupleIJxbEEELb0ELb0EEENS1_16block_id_wrapperIjLb0EEEEEvT_jjPNS9_10value_typeET0_
; %bb.0:
	s_clause 0x2
	s_load_b32 s8, s[0:1], 0x3c
	s_load_b128 s[4:7], s[0:1], 0x10
	s_load_b64 s[2:3], s[0:1], 0x20
	s_bfe_u32 s9, ttmp6, 0x4000c
	s_and_b32 s10, ttmp6, 15
	s_add_co_i32 s9, s9, 1
	s_getreg_b32 s11, hwreg(HW_REG_IB_STS2, 6, 4)
	s_mul_i32 s9, ttmp9, s9
	s_delay_alu instid0(SALU_CYCLE_1)
	s_add_co_i32 s10, s10, s9
	s_wait_kmcnt 0x0
	s_and_b32 s8, s8, 0xffff
	s_cmp_eq_u32 s11, 0
	s_cselect_b32 s9, ttmp9, s10
	s_cmp_eq_u64 s[2:3], 0
	v_mad_u32 v0, s9, s8, v0
	s_cbranch_scc1 .LBB4_7
; %bb.1:
	s_cmp_lt_u32 s7, s6
	s_mov_b32 s14, exec_lo
	s_cselect_b32 s8, s7, 0
	s_delay_alu instid0(VALU_DEP_1) | instid1(SALU_CYCLE_1)
	v_cmpx_eq_u32_e64 s8, v0
	s_cbranch_execz .LBB4_6
; %bb.2:
	s_add_co_i32 s12, s7, 32
	s_load_b128 s[8:11], s[0:1], 0x0
	v_mov_b32_e32 v1, s12
	s_mov_b32 s13, 0
	global_load_u8 v1, v1, s[4:5] scope:SCOPE_DEV
	s_wait_loadcnt 0x0
	v_and_b32_e32 v2, 0xffff, v1
	v_readfirstlane_b32 s7, v1
	s_delay_alu instid0(VALU_DEP_2)
	v_cmp_ne_u32_e32 vcc_lo, 0, v2
	s_cbranch_vccnz .LBB4_5
; %bb.3:
	v_mov_b32_e32 v1, 0
	s_add_nc_u64 s[0:1], s[4:5], s[12:13]
.LBB4_4:                                ; =>This Inner Loop Header: Depth=1
	global_load_u8 v2, v1, s[0:1] scope:SCOPE_DEV
	s_wait_loadcnt 0x0
	v_and_b32_e32 v3, 0xffff, v2
	v_readfirstlane_b32 s7, v2
	s_delay_alu instid0(VALU_DEP_2)
	v_cmp_eq_u32_e32 vcc_lo, 0, v3
	s_cbranch_vccnz .LBB4_4
.LBB4_5:
	s_and_b32 s0, 0xffff, s7
	v_mov_b32_e32 v1, 0
	s_cmp_eq_u32 s0, 1
	global_wb scope:SCOPE_DEV
	s_wait_storecnt 0x0
	global_inv scope:SCOPE_DEV
	s_wait_kmcnt 0x0
	s_cselect_b32 s1, s9, s11
	s_cselect_b32 s0, s8, s10
	s_lshl_b64 s[8:9], s[12:13], 4
	s_delay_alu instid0(SALU_CYCLE_1)
	s_add_nc_u64 s[0:1], s[0:1], s[8:9]
	s_clause 0x1
	global_load_b64 v[2:3], v1, s[0:1]
	global_load_u8 v4, v1, s[0:1] offset:8
	s_wait_loadcnt 0x1
	global_store_b64 v1, v[2:3], s[2:3]
	s_wait_loadcnt 0x0
	global_store_b8 v1, v4, s[2:3] offset:8
.LBB4_6:
	s_wait_xcnt 0x0
	s_or_b32 exec_lo, exec_lo, s14
.LBB4_7:
	s_delay_alu instid0(SALU_CYCLE_1) | instskip(NEXT) | instid1(VALU_DEP_1)
	s_mov_b32 s0, exec_lo
	v_cmpx_gt_u32_e64 s6, v0
	s_cbranch_execz .LBB4_9
; %bb.8:
	v_dual_mov_b32 v2, 0 :: v_dual_add_nc_u32 v1, 32, v0
	global_store_b8 v1, v2, s[4:5]
.LBB4_9:
	s_wait_xcnt 0x0
	s_or_b32 exec_lo, exec_lo, s0
	s_delay_alu instid0(SALU_CYCLE_1)
	s_mov_b32 s0, exec_lo
	v_cmpx_gt_u32_e32 32, v0
	s_cbranch_execz .LBB4_11
; %bb.10:
	v_mov_b32_e32 v1, 0xff
	global_store_b8 v0, v1, s[4:5]
.LBB4_11:
	s_endpgm
	.section	.rodata,"a",@progbits
	.p2align	6, 0x0
	.amdhsa_kernel _ZN7rocprim17ROCPRIM_400000_NS6detail30init_device_scan_by_key_kernelINS1_19lookback_scan_stateINS0_5tupleIJxbEEELb0ELb0EEENS1_16block_id_wrapperIjLb0EEEEEvT_jjPNS9_10value_typeET0_
		.amdhsa_group_segment_fixed_size 0
		.amdhsa_private_segment_fixed_size 0
		.amdhsa_kernarg_size 304
		.amdhsa_user_sgpr_count 2
		.amdhsa_user_sgpr_dispatch_ptr 0
		.amdhsa_user_sgpr_queue_ptr 0
		.amdhsa_user_sgpr_kernarg_segment_ptr 1
		.amdhsa_user_sgpr_dispatch_id 0
		.amdhsa_user_sgpr_kernarg_preload_length 0
		.amdhsa_user_sgpr_kernarg_preload_offset 0
		.amdhsa_user_sgpr_private_segment_size 0
		.amdhsa_wavefront_size32 1
		.amdhsa_uses_dynamic_stack 0
		.amdhsa_enable_private_segment 0
		.amdhsa_system_sgpr_workgroup_id_x 1
		.amdhsa_system_sgpr_workgroup_id_y 0
		.amdhsa_system_sgpr_workgroup_id_z 0
		.amdhsa_system_sgpr_workgroup_info 0
		.amdhsa_system_vgpr_workitem_id 0
		.amdhsa_next_free_vgpr 5
		.amdhsa_next_free_sgpr 15
		.amdhsa_named_barrier_count 0
		.amdhsa_reserve_vcc 1
		.amdhsa_float_round_mode_32 0
		.amdhsa_float_round_mode_16_64 0
		.amdhsa_float_denorm_mode_32 3
		.amdhsa_float_denorm_mode_16_64 3
		.amdhsa_fp16_overflow 0
		.amdhsa_memory_ordered 1
		.amdhsa_forward_progress 1
		.amdhsa_inst_pref_size 4
		.amdhsa_round_robin_scheduling 0
		.amdhsa_exception_fp_ieee_invalid_op 0
		.amdhsa_exception_fp_denorm_src 0
		.amdhsa_exception_fp_ieee_div_zero 0
		.amdhsa_exception_fp_ieee_overflow 0
		.amdhsa_exception_fp_ieee_underflow 0
		.amdhsa_exception_fp_ieee_inexact 0
		.amdhsa_exception_int_div_zero 0
	.end_amdhsa_kernel
	.section	.text._ZN7rocprim17ROCPRIM_400000_NS6detail30init_device_scan_by_key_kernelINS1_19lookback_scan_stateINS0_5tupleIJxbEEELb0ELb0EEENS1_16block_id_wrapperIjLb0EEEEEvT_jjPNS9_10value_typeET0_,"axG",@progbits,_ZN7rocprim17ROCPRIM_400000_NS6detail30init_device_scan_by_key_kernelINS1_19lookback_scan_stateINS0_5tupleIJxbEEELb0ELb0EEENS1_16block_id_wrapperIjLb0EEEEEvT_jjPNS9_10value_typeET0_,comdat
.Lfunc_end4:
	.size	_ZN7rocprim17ROCPRIM_400000_NS6detail30init_device_scan_by_key_kernelINS1_19lookback_scan_stateINS0_5tupleIJxbEEELb0ELb0EEENS1_16block_id_wrapperIjLb0EEEEEvT_jjPNS9_10value_typeET0_, .Lfunc_end4-_ZN7rocprim17ROCPRIM_400000_NS6detail30init_device_scan_by_key_kernelINS1_19lookback_scan_stateINS0_5tupleIJxbEEELb0ELb0EEENS1_16block_id_wrapperIjLb0EEEEEvT_jjPNS9_10value_typeET0_
                                        ; -- End function
	.set _ZN7rocprim17ROCPRIM_400000_NS6detail30init_device_scan_by_key_kernelINS1_19lookback_scan_stateINS0_5tupleIJxbEEELb0ELb0EEENS1_16block_id_wrapperIjLb0EEEEEvT_jjPNS9_10value_typeET0_.num_vgpr, 5
	.set _ZN7rocprim17ROCPRIM_400000_NS6detail30init_device_scan_by_key_kernelINS1_19lookback_scan_stateINS0_5tupleIJxbEEELb0ELb0EEENS1_16block_id_wrapperIjLb0EEEEEvT_jjPNS9_10value_typeET0_.num_agpr, 0
	.set _ZN7rocprim17ROCPRIM_400000_NS6detail30init_device_scan_by_key_kernelINS1_19lookback_scan_stateINS0_5tupleIJxbEEELb0ELb0EEENS1_16block_id_wrapperIjLb0EEEEEvT_jjPNS9_10value_typeET0_.numbered_sgpr, 15
	.set _ZN7rocprim17ROCPRIM_400000_NS6detail30init_device_scan_by_key_kernelINS1_19lookback_scan_stateINS0_5tupleIJxbEEELb0ELb0EEENS1_16block_id_wrapperIjLb0EEEEEvT_jjPNS9_10value_typeET0_.num_named_barrier, 0
	.set _ZN7rocprim17ROCPRIM_400000_NS6detail30init_device_scan_by_key_kernelINS1_19lookback_scan_stateINS0_5tupleIJxbEEELb0ELb0EEENS1_16block_id_wrapperIjLb0EEEEEvT_jjPNS9_10value_typeET0_.private_seg_size, 0
	.set _ZN7rocprim17ROCPRIM_400000_NS6detail30init_device_scan_by_key_kernelINS1_19lookback_scan_stateINS0_5tupleIJxbEEELb0ELb0EEENS1_16block_id_wrapperIjLb0EEEEEvT_jjPNS9_10value_typeET0_.uses_vcc, 1
	.set _ZN7rocprim17ROCPRIM_400000_NS6detail30init_device_scan_by_key_kernelINS1_19lookback_scan_stateINS0_5tupleIJxbEEELb0ELb0EEENS1_16block_id_wrapperIjLb0EEEEEvT_jjPNS9_10value_typeET0_.uses_flat_scratch, 0
	.set _ZN7rocprim17ROCPRIM_400000_NS6detail30init_device_scan_by_key_kernelINS1_19lookback_scan_stateINS0_5tupleIJxbEEELb0ELb0EEENS1_16block_id_wrapperIjLb0EEEEEvT_jjPNS9_10value_typeET0_.has_dyn_sized_stack, 0
	.set _ZN7rocprim17ROCPRIM_400000_NS6detail30init_device_scan_by_key_kernelINS1_19lookback_scan_stateINS0_5tupleIJxbEEELb0ELb0EEENS1_16block_id_wrapperIjLb0EEEEEvT_jjPNS9_10value_typeET0_.has_recursion, 0
	.set _ZN7rocprim17ROCPRIM_400000_NS6detail30init_device_scan_by_key_kernelINS1_19lookback_scan_stateINS0_5tupleIJxbEEELb0ELb0EEENS1_16block_id_wrapperIjLb0EEEEEvT_jjPNS9_10value_typeET0_.has_indirect_call, 0
	.section	.AMDGPU.csdata,"",@progbits
; Kernel info:
; codeLenInByte = 456
; TotalNumSgprs: 17
; NumVgprs: 5
; ScratchSize: 0
; MemoryBound: 0
; FloatMode: 240
; IeeeMode: 1
; LDSByteSize: 0 bytes/workgroup (compile time only)
; SGPRBlocks: 0
; VGPRBlocks: 0
; NumSGPRsForWavesPerEU: 17
; NumVGPRsForWavesPerEU: 5
; NamedBarCnt: 0
; Occupancy: 16
; WaveLimiterHint : 0
; COMPUTE_PGM_RSRC2:SCRATCH_EN: 0
; COMPUTE_PGM_RSRC2:USER_SGPR: 2
; COMPUTE_PGM_RSRC2:TRAP_HANDLER: 0
; COMPUTE_PGM_RSRC2:TGID_X_EN: 1
; COMPUTE_PGM_RSRC2:TGID_Y_EN: 0
; COMPUTE_PGM_RSRC2:TGID_Z_EN: 0
; COMPUTE_PGM_RSRC2:TIDIG_COMP_CNT: 0
	.section	.text._ZN7rocprim17ROCPRIM_400000_NS6detail17trampoline_kernelINS0_14default_configENS1_27scan_by_key_config_selectorIxxEEZZNS1_16scan_by_key_implILNS1_25lookback_scan_determinismE0ELb0ES3_N6thrust23THRUST_200600_302600_NS6detail15normal_iteratorINS9_10device_ptrIxEEEESE_SE_xNS9_4plusIvEENS9_8equal_toIvEExEE10hipError_tPvRmT2_T3_T4_T5_mT6_T7_P12ihipStream_tbENKUlT_T0_E_clISt17integral_constantIbLb0EESZ_EEDaSU_SV_EUlSU_E_NS1_11comp_targetILNS1_3genE0ELNS1_11target_archE4294967295ELNS1_3gpuE0ELNS1_3repE0EEENS1_30default_config_static_selectorELNS0_4arch9wavefront6targetE0EEEvT1_,"axG",@progbits,_ZN7rocprim17ROCPRIM_400000_NS6detail17trampoline_kernelINS0_14default_configENS1_27scan_by_key_config_selectorIxxEEZZNS1_16scan_by_key_implILNS1_25lookback_scan_determinismE0ELb0ES3_N6thrust23THRUST_200600_302600_NS6detail15normal_iteratorINS9_10device_ptrIxEEEESE_SE_xNS9_4plusIvEENS9_8equal_toIvEExEE10hipError_tPvRmT2_T3_T4_T5_mT6_T7_P12ihipStream_tbENKUlT_T0_E_clISt17integral_constantIbLb0EESZ_EEDaSU_SV_EUlSU_E_NS1_11comp_targetILNS1_3genE0ELNS1_11target_archE4294967295ELNS1_3gpuE0ELNS1_3repE0EEENS1_30default_config_static_selectorELNS0_4arch9wavefront6targetE0EEEvT1_,comdat
	.protected	_ZN7rocprim17ROCPRIM_400000_NS6detail17trampoline_kernelINS0_14default_configENS1_27scan_by_key_config_selectorIxxEEZZNS1_16scan_by_key_implILNS1_25lookback_scan_determinismE0ELb0ES3_N6thrust23THRUST_200600_302600_NS6detail15normal_iteratorINS9_10device_ptrIxEEEESE_SE_xNS9_4plusIvEENS9_8equal_toIvEExEE10hipError_tPvRmT2_T3_T4_T5_mT6_T7_P12ihipStream_tbENKUlT_T0_E_clISt17integral_constantIbLb0EESZ_EEDaSU_SV_EUlSU_E_NS1_11comp_targetILNS1_3genE0ELNS1_11target_archE4294967295ELNS1_3gpuE0ELNS1_3repE0EEENS1_30default_config_static_selectorELNS0_4arch9wavefront6targetE0EEEvT1_ ; -- Begin function _ZN7rocprim17ROCPRIM_400000_NS6detail17trampoline_kernelINS0_14default_configENS1_27scan_by_key_config_selectorIxxEEZZNS1_16scan_by_key_implILNS1_25lookback_scan_determinismE0ELb0ES3_N6thrust23THRUST_200600_302600_NS6detail15normal_iteratorINS9_10device_ptrIxEEEESE_SE_xNS9_4plusIvEENS9_8equal_toIvEExEE10hipError_tPvRmT2_T3_T4_T5_mT6_T7_P12ihipStream_tbENKUlT_T0_E_clISt17integral_constantIbLb0EESZ_EEDaSU_SV_EUlSU_E_NS1_11comp_targetILNS1_3genE0ELNS1_11target_archE4294967295ELNS1_3gpuE0ELNS1_3repE0EEENS1_30default_config_static_selectorELNS0_4arch9wavefront6targetE0EEEvT1_
	.globl	_ZN7rocprim17ROCPRIM_400000_NS6detail17trampoline_kernelINS0_14default_configENS1_27scan_by_key_config_selectorIxxEEZZNS1_16scan_by_key_implILNS1_25lookback_scan_determinismE0ELb0ES3_N6thrust23THRUST_200600_302600_NS6detail15normal_iteratorINS9_10device_ptrIxEEEESE_SE_xNS9_4plusIvEENS9_8equal_toIvEExEE10hipError_tPvRmT2_T3_T4_T5_mT6_T7_P12ihipStream_tbENKUlT_T0_E_clISt17integral_constantIbLb0EESZ_EEDaSU_SV_EUlSU_E_NS1_11comp_targetILNS1_3genE0ELNS1_11target_archE4294967295ELNS1_3gpuE0ELNS1_3repE0EEENS1_30default_config_static_selectorELNS0_4arch9wavefront6targetE0EEEvT1_
	.p2align	8
	.type	_ZN7rocprim17ROCPRIM_400000_NS6detail17trampoline_kernelINS0_14default_configENS1_27scan_by_key_config_selectorIxxEEZZNS1_16scan_by_key_implILNS1_25lookback_scan_determinismE0ELb0ES3_N6thrust23THRUST_200600_302600_NS6detail15normal_iteratorINS9_10device_ptrIxEEEESE_SE_xNS9_4plusIvEENS9_8equal_toIvEExEE10hipError_tPvRmT2_T3_T4_T5_mT6_T7_P12ihipStream_tbENKUlT_T0_E_clISt17integral_constantIbLb0EESZ_EEDaSU_SV_EUlSU_E_NS1_11comp_targetILNS1_3genE0ELNS1_11target_archE4294967295ELNS1_3gpuE0ELNS1_3repE0EEENS1_30default_config_static_selectorELNS0_4arch9wavefront6targetE0EEEvT1_,@function
_ZN7rocprim17ROCPRIM_400000_NS6detail17trampoline_kernelINS0_14default_configENS1_27scan_by_key_config_selectorIxxEEZZNS1_16scan_by_key_implILNS1_25lookback_scan_determinismE0ELb0ES3_N6thrust23THRUST_200600_302600_NS6detail15normal_iteratorINS9_10device_ptrIxEEEESE_SE_xNS9_4plusIvEENS9_8equal_toIvEExEE10hipError_tPvRmT2_T3_T4_T5_mT6_T7_P12ihipStream_tbENKUlT_T0_E_clISt17integral_constantIbLb0EESZ_EEDaSU_SV_EUlSU_E_NS1_11comp_targetILNS1_3genE0ELNS1_11target_archE4294967295ELNS1_3gpuE0ELNS1_3repE0EEENS1_30default_config_static_selectorELNS0_4arch9wavefront6targetE0EEEvT1_: ; @_ZN7rocprim17ROCPRIM_400000_NS6detail17trampoline_kernelINS0_14default_configENS1_27scan_by_key_config_selectorIxxEEZZNS1_16scan_by_key_implILNS1_25lookback_scan_determinismE0ELb0ES3_N6thrust23THRUST_200600_302600_NS6detail15normal_iteratorINS9_10device_ptrIxEEEESE_SE_xNS9_4plusIvEENS9_8equal_toIvEExEE10hipError_tPvRmT2_T3_T4_T5_mT6_T7_P12ihipStream_tbENKUlT_T0_E_clISt17integral_constantIbLb0EESZ_EEDaSU_SV_EUlSU_E_NS1_11comp_targetILNS1_3genE0ELNS1_11target_archE4294967295ELNS1_3gpuE0ELNS1_3repE0EEENS1_30default_config_static_selectorELNS0_4arch9wavefront6targetE0EEEvT1_
; %bb.0:
	s_clause 0x3
	s_load_b256 s[20:27], s[0:1], 0x0
	s_load_b256 s[44:51], s[0:1], 0x60
	s_load_b96 s[28:30], s[0:1], 0x50
	s_load_b256 s[36:43], s[0:1], 0x30
	s_getreg_b32 s4, hwreg(HW_REG_IB_STS2, 6, 4)
	s_mov_b32 s3, 0
	s_barrier_signal -1
	s_barrier_wait -1
	s_wait_kmcnt 0x0
	s_lshl_b64 s[34:35], s[22:23], 3
	s_cmp_lg_u64 s[48:49], 0
	s_mov_b32 s2, s30
	s_cselect_b32 s31, -1, 0
	s_bfe_u32 s0, ttmp6, 0x4000c
	s_and_b32 s5, ttmp6, 15
	s_add_co_i32 s0, s0, 1
	s_mov_b32 s23, s3
	s_mul_i32 s6, ttmp9, s0
	s_add_nc_u64 s[0:1], s[20:21], s[34:35]
	s_add_co_i32 s6, s5, s6
	s_cmp_eq_u32 s4, 0
	s_mul_u64 s[4:5], s[28:29], s[2:3]
	s_cselect_b32 s22, ttmp9, s6
	s_add_nc_u64 s[6:7], s[24:25], s[34:35]
	s_add_nc_u64 s[18:19], s[4:5], s[22:23]
	s_add_nc_u64 s[4:5], s[44:45], -1
	s_mul_i32 s2, s22, 0xe00
	v_cmp_ge_u64_e64 s23, s[18:19], s[4:5]
	s_lshl_b64 s[24:25], s[2:3], 3
	s_mul_i32 s30, s4, 0xfffff200
	s_add_nc_u64 s[16:17], s[0:1], s[24:25]
	s_add_nc_u64 s[14:15], s[6:7], s[24:25]
	s_and_b32 vcc_lo, exec_lo, s23
	s_cbranch_vccz .LBB5_32
; %bb.1:
	v_mov_b32_e32 v1, 0
	s_add_co_i32 s33, s30, s42
	s_delay_alu instid0(SALU_CYCLE_1)
	v_cmp_gt_u32_e64 s0, s33, v0
	flat_load_b64 v[2:3], v1, s[16:17]
	s_wait_loadcnt_dscnt 0x0
	v_mov_b64_e32 v[4:5], v[2:3]
	s_and_saveexec_b32 s1, s0
	s_cbranch_execz .LBB5_3
; %bb.2:
	flat_load_b64 v[4:5], v0, s[16:17] scale_offset
.LBB5_3:
	s_wait_xcnt 0x0
	s_or_b32 exec_lo, exec_lo, s1
	v_or_b32_e32 v1, 0x100, v0
	v_mov_b64_e32 v[6:7], v[2:3]
	s_delay_alu instid0(VALU_DEP_2)
	v_cmp_gt_u32_e64 s1, s33, v1
	s_and_saveexec_b32 s2, s1
	s_cbranch_execz .LBB5_5
; %bb.4:
	flat_load_b64 v[6:7], v0, s[16:17] offset:2048 scale_offset
.LBB5_5:
	s_wait_xcnt 0x0
	s_or_b32 exec_lo, exec_lo, s2
	v_or_b32_e32 v1, 0x200, v0
	v_mov_b64_e32 v[8:9], v[2:3]
	s_delay_alu instid0(VALU_DEP_2)
	v_cmp_gt_u32_e64 s2, s33, v1
	s_and_saveexec_b32 s3, s2
	s_cbranch_execz .LBB5_7
; %bb.6:
	flat_load_b64 v[8:9], v0, s[16:17] offset:4096 scale_offset
.LBB5_7:
	;; [unrolled: 11-line block ×12, first 2 shown]
	s_wait_xcnt 0x0
	s_or_b32 exec_lo, exec_lo, s13
	v_or_b32_e32 v1, 0xd00, v0
	s_mov_b32 s20, exec_lo
	s_delay_alu instid0(VALU_DEP_1) | instskip(SKIP_2) | instid1(SALU_CYCLE_1)
	v_cmp_gt_u32_e64 s13, s33, v1
	v_cmpx_le_u32_e64 s33, v1
	s_xor_b32 s20, exec_lo, s20
	s_and_not1_saveexec_b32 s20, s20
	s_cbranch_execz .LBB5_29
; %bb.28:
	flat_load_b64 v[2:3], v0, s[16:17] offset:26624 scale_offset
.LBB5_29:
	s_wait_xcnt 0x0
	s_or_b32 exec_lo, exec_lo, s20
	v_lshlrev_b32_e32 v1, 3, v0
	s_cmp_eq_u64 s[18:19], 0
	s_mov_b64 s[20:21], s[16:17]
	s_wait_loadcnt_dscnt 0x0
	ds_store_2addr_stride64_b64 v1, v[4:5], v[6:7] offset1:4
	ds_store_2addr_stride64_b64 v1, v[8:9], v[10:11] offset0:8 offset1:12
	ds_store_2addr_stride64_b64 v1, v[12:13], v[14:15] offset0:16 offset1:20
	;; [unrolled: 1-line block ×6, first 2 shown]
	v_mad_u32_u24 v103, 0x68, v0, v1
	s_wait_dscnt 0x0
	s_barrier_signal -1
	s_barrier_wait -1
	ds_load_b128 v[76:79], v103 offset:16
	ds_load_2addr_b64 v[64:67], v103 offset0:3 offset1:4
	ds_load_b128 v[72:75], v103
	ds_load_2addr_b64 v[80:83], v103 offset0:1 offset1:2
	ds_load_2addr_b64 v[52:55], v103 offset0:7 offset1:8
	;; [unrolled: 1-line block ×5, first 2 shown]
	ds_load_b64 v[86:87], v103 offset:104
	s_cbranch_scc1 .LBB5_35
; %bb.30:
	s_and_not1_b32 vcc_lo, exec_lo, s31
	s_cbranch_vccnz .LBB5_33
; %bb.31:
	s_lshl_b64 s[20:21], s[18:19], 3
	s_mov_b32 s43, 0
	s_add_nc_u64 s[20:21], s[50:51], s[20:21]
	s_delay_alu instid0(SALU_CYCLE_1)
	s_add_nc_u64 s[20:21], s[20:21], -8
	s_branch .LBB5_34
.LBB5_32:
                                        ; implicit-def: $sgpr5
                                        ; implicit-def: $vgpr97
                                        ; implicit-def: $vgpr90
                                        ; implicit-def: $vgpr96
                                        ; implicit-def: $vgpr95
                                        ; implicit-def: $vgpr108
                                        ; implicit-def: $vgpr89
                                        ; implicit-def: $vgpr104
                                        ; implicit-def: $vgpr101
                                        ; implicit-def: $vgpr20_vgpr21
                                        ; implicit-def: $vgpr34_vgpr35
                                        ; implicit-def: $vgpr38_vgpr39
                                        ; implicit-def: $vgpr42_vgpr43
                                        ; implicit-def: $vgpr46_vgpr47
                                        ; implicit-def: $vgpr62_vgpr63
                                        ; implicit-def: $vgpr4_vgpr5
                                        ; implicit-def: $vgpr110
                                        ; implicit-def: $vgpr94
                                        ; implicit-def: $vgpr91
                                        ; implicit-def: $vgpr92
                                        ; implicit-def: $vgpr93
                                        ; implicit-def: $vgpr102
                                        ; implicit-def: $vgpr100
                                        ; implicit-def: $vgpr99
                                        ; implicit-def: $vgpr98
                                        ; implicit-def: $vgpr88
                                        ; implicit-def: $vgpr109
                                        ; implicit-def: $vgpr106
                                        ; implicit-def: $vgpr105
                                        ; implicit-def: $vgpr84_vgpr85
                                        ; implicit-def: $vgpr28_vgpr29
                                        ; implicit-def: $vgpr24_vgpr25
                                        ; implicit-def: $vgpr16_vgpr17
                                        ; implicit-def: $vgpr12_vgpr13
                                        ; implicit-def: $vgpr1
                                        ; implicit-def: $vgpr30_vgpr31
                                        ; implicit-def: $vgpr26_vgpr27
                                        ; implicit-def: $vgpr22_vgpr23
                                        ; implicit-def: $vgpr14_vgpr15
                                        ; implicit-def: $vgpr10_vgpr11
                                        ; implicit-def: $vgpr6_vgpr7
	v_lshlrev_b32_e32 v64, 3, v0
	s_cbranch_execnz .LBB5_79
	s_branch .LBB5_100
.LBB5_33:
	s_add_nc_u64 s[20:21], s[16:17], -8
	s_mov_b32 s43, -1
.LBB5_34:
	s_delay_alu instid0(SALU_CYCLE_1)
	s_and_not1_b32 vcc_lo, exec_lo, s43
.LBB5_35:
	v_mov_b32_e32 v2, 0
	flat_load_b64 v[8:9], v2, s[20:21]
	s_wait_xcnt 0x0
	v_mad_i32_i24 v2, 0xffffff98, v0, v103
	s_mov_b32 s20, exec_lo
	s_wait_dscnt 0x1
	ds_store_b64 v2, v[86:87] offset:28672
	s_wait_loadcnt_dscnt 0x0
	s_barrier_signal -1
	s_barrier_wait -1
	v_cmpx_ne_u32_e32 0, v0
; %bb.36:
	v_mul_i32_i24_e32 v2, 0xffffff98, v0
	s_delay_alu instid0(VALU_DEP_1)
	v_add_nc_u32_e32 v2, v103, v2
	ds_load_b64 v[8:9], v2 offset:28664
; %bb.37:
	s_or_b32 exec_lo, exec_lo, s20
	s_wait_dscnt 0x0
	s_barrier_signal -1
	s_barrier_wait -1
                                        ; implicit-def: $vgpr2_vgpr3
	s_and_saveexec_b32 s20, s0
	s_cbranch_execnz .LBB5_82
; %bb.38:
	s_or_b32 exec_lo, exec_lo, s20
                                        ; implicit-def: $vgpr4_vgpr5
	s_and_saveexec_b32 s0, s1
	s_cbranch_execnz .LBB5_83
.LBB5_39:
	s_or_b32 exec_lo, exec_lo, s0
                                        ; implicit-def: $vgpr6_vgpr7
	s_and_saveexec_b32 s0, s2
	s_cbranch_execnz .LBB5_84
.LBB5_40:
	s_or_b32 exec_lo, exec_lo, s0
                                        ; implicit-def: $vgpr10_vgpr11
	s_and_saveexec_b32 s0, s3
	s_cbranch_execnz .LBB5_85
.LBB5_41:
	s_or_b32 exec_lo, exec_lo, s0
                                        ; implicit-def: $vgpr12_vgpr13
	s_and_saveexec_b32 s0, s4
	s_cbranch_execnz .LBB5_86
.LBB5_42:
	s_or_b32 exec_lo, exec_lo, s0
                                        ; implicit-def: $vgpr14_vgpr15
	s_and_saveexec_b32 s0, s5
	s_cbranch_execnz .LBB5_87
.LBB5_43:
	s_or_b32 exec_lo, exec_lo, s0
                                        ; implicit-def: $vgpr16_vgpr17
	s_and_saveexec_b32 s0, s6
	s_cbranch_execnz .LBB5_88
.LBB5_44:
	s_or_b32 exec_lo, exec_lo, s0
                                        ; implicit-def: $vgpr18_vgpr19
	s_and_saveexec_b32 s0, s7
	s_cbranch_execnz .LBB5_89
.LBB5_45:
	s_or_b32 exec_lo, exec_lo, s0
                                        ; implicit-def: $vgpr20_vgpr21
	s_and_saveexec_b32 s0, s8
	s_cbranch_execnz .LBB5_90
.LBB5_46:
	s_or_b32 exec_lo, exec_lo, s0
                                        ; implicit-def: $vgpr22_vgpr23
	s_and_saveexec_b32 s0, s9
	s_cbranch_execnz .LBB5_91
.LBB5_47:
	s_or_b32 exec_lo, exec_lo, s0
                                        ; implicit-def: $vgpr24_vgpr25
	s_and_saveexec_b32 s0, s10
	s_cbranch_execnz .LBB5_92
.LBB5_48:
	s_or_b32 exec_lo, exec_lo, s0
                                        ; implicit-def: $vgpr26_vgpr27
	s_and_saveexec_b32 s0, s11
	s_cbranch_execnz .LBB5_93
.LBB5_49:
	s_or_b32 exec_lo, exec_lo, s0
                                        ; implicit-def: $vgpr28_vgpr29
	s_and_saveexec_b32 s0, s12
	s_cbranch_execnz .LBB5_94
.LBB5_50:
	s_or_b32 exec_lo, exec_lo, s0
                                        ; implicit-def: $vgpr30_vgpr31
	s_and_saveexec_b32 s0, s13
	s_cbranch_execz .LBB5_52
.LBB5_51:
	flat_load_b64 v[30:31], v0, s[14:15] offset:26624 scale_offset
.LBB5_52:
	s_wait_xcnt 0x0
	s_or_b32 exec_lo, exec_lo, s0
	v_mul_u32_u24_e32 v107, 14, v0
	s_wait_loadcnt_dscnt 0x0
	ds_store_2addr_stride64_b64 v1, v[2:3], v[4:5] offset1:4
	ds_store_2addr_stride64_b64 v1, v[6:7], v[10:11] offset0:8 offset1:12
	ds_store_2addr_stride64_b64 v1, v[12:13], v[14:15] offset0:16 offset1:20
	;; [unrolled: 1-line block ×6, first 2 shown]
	v_mov_b64_e32 v[34:35], 0
	v_mov_b64_e32 v[32:33], 0
	;; [unrolled: 1-line block ×24, first 2 shown]
	v_cmp_gt_u32_e32 vcc_lo, s33, v107
	v_dual_mov_b32 v97, 0 :: v_dual_mov_b32 v90, 0
	v_dual_mov_b32 v96, 0 :: v_dual_mov_b32 v95, 0
	;; [unrolled: 1-line block ×11, first 2 shown]
	s_mov_b32 s4, 0
	s_mov_b32 s3, 0
	s_wait_dscnt 0x0
	s_barrier_signal -1
	s_barrier_wait -1
                                        ; implicit-def: $sgpr5
	s_and_saveexec_b32 s6, vcc_lo
	s_cbranch_execz .LBB5_78
; %bb.53:
	ds_load_b64 v[2:3], v103
	v_dual_mov_b32 v97, 0 :: v_dual_bitop2_b32 v1, 1, v107 bitop3:0x54
	v_mov_b64_e32 v[34:35], 0
	v_mov_b64_e32 v[32:33], 0
	;; [unrolled: 1-line block ×23, first 2 shown]
	v_cmp_gt_u32_e64 s0, s33, v1
	v_dual_mov_b32 v90, 0 :: v_dual_mov_b32 v96, 0
	v_dual_mov_b32 v95, 0 :: v_dual_mov_b32 v108, 0
	;; [unrolled: 1-line block ×9, first 2 shown]
	v_mov_b32_e32 v105, 0
	s_mov_b32 s1, 0
	v_cmp_ne_u64_e32 vcc_lo, v[8:9], v[72:73]
                                        ; implicit-def: $sgpr5
	s_and_saveexec_b32 s3, s0
	s_cbranch_execz .LBB5_77
; %bb.54:
	ds_load_2addr_b64 v[6:9], v103 offset0:1 offset1:2
	v_cmp_ne_u64_e64 s0, v[74:75], v[82:83]
	v_cmp_ne_u64_e64 s2, v[72:73], v[80:81]
	v_dual_add_nc_u32 v5, 2, v107 :: v_dual_mov_b32 v97, 0
	v_cmp_ne_u64_e64 s1, v[78:79], v[66:67]
	v_mov_b64_e32 v[34:35], 0
	v_mov_b64_e32 v[32:33], 0
	v_cndmask_b32_e64 v1, 0, 1, s0
	v_cmp_ne_u64_e64 s0, v[76:77], v[64:65]
	v_mov_b64_e32 v[38:39], 0
	v_mov_b64_e32 v[36:37], 0
	;; [unrolled: 1-line block ×19, first 2 shown]
	v_lshlrev_b16 v1, 8, v1
	v_cndmask_b32_e64 v4, 0, 1, s2
	v_cmp_gt_u32_e64 s2, s33, v5
	v_dual_mov_b32 v90, 0 :: v_dual_mov_b32 v96, 0
	v_dual_mov_b32 v95, 0 :: v_dual_mov_b32 v89, 0
	;; [unrolled: 1-line block ×8, first 2 shown]
	v_mov_b32_e32 v105, 0
	s_mov_b32 s8, 0
                                        ; implicit-def: $sgpr5
	s_and_saveexec_b32 s7, s2
	s_cbranch_execz .LBB5_76
; %bb.55:
	v_cndmask_b32_e64 v5, 0, 1, s1
	v_cndmask_b32_e64 v10, 0, 1, s0
	v_and_b32_e32 v11, 0xffff, v1
	v_dual_mov_b32 v97, 0 :: v_dual_add_nc_u32 v12, 3, v107
	s_delay_alu instid0(VALU_DEP_4)
	v_lshlrev_b16 v5, 8, v5
	v_mov_b32_e32 v95, 0
	v_mov_b64_e32 v[34:35], 0
	v_mov_b64_e32 v[32:33], 0
	;; [unrolled: 1-line block ×3, first 2 shown]
	v_or_b32_e32 v5, v10, v5
	v_mov_b64_e32 v[36:37], 0
	v_mov_b64_e32 v[42:43], 0
	;; [unrolled: 1-line block ×4, first 2 shown]
	v_dual_lshlrev_b32 v60, 16, v5 :: v_dual_mov_b32 v94, 0
	v_mov_b64_e32 v[44:45], 0
	v_mov_b64_e32 v[62:63], 0
	v_mov_b64_e32 v[18:19], 0
	s_delay_alu instid0(VALU_DEP_4) | instskip(SKIP_3) | instid1(VALU_DEP_4)
	v_dual_mov_b32 v91, 0 :: v_dual_bitop2_b32 v10, v11, v60 bitop3:0x54
	v_mov_b64_e32 v[30:31], 0
	v_mov_b64_e32 v[84:85], 0
	;; [unrolled: 1-line block ×3, first 2 shown]
	v_dual_mov_b32 v92, 0 :: v_dual_lshrrev_b32 v89, 8, v10
	v_mov_b64_e32 v[28:29], 0
	v_mov_b64_e32 v[22:23], 0
	;; [unrolled: 1-line block ×6, first 2 shown]
	v_dual_mov_b32 v90, 0 :: v_dual_mov_b32 v96, 0
	v_dual_mov_b32 v104, 0 :: v_dual_mov_b32 v101, 0
	v_cmp_gt_u32_e64 s0, s33, v12
	v_dual_mov_b32 v93, 0 :: v_dual_mov_b32 v102, 0
	v_dual_mov_b32 v100, 0 :: v_dual_mov_b32 v99, 0
	v_dual_mov_b32 v98, 0 :: v_dual_mov_b32 v106, 0
	v_mov_b32_e32 v105, 0
	s_mov_b32 s1, 0
                                        ; implicit-def: $sgpr5
	s_and_saveexec_b32 s8, s0
	s_cbranch_execz .LBB5_75
; %bb.56:
	ds_load_2addr_b64 v[10:13], v103 offset0:3 offset1:4
	v_dual_mov_b32 v97, 0 :: v_dual_add_nc_u32 v14, 4, v107
	v_mov_b64_e32 v[34:35], 0
	v_mov_b64_e32 v[32:33], 0
	;; [unrolled: 1-line block ×3, first 2 shown]
	s_delay_alu instid0(VALU_DEP_4)
	v_cmp_gt_u32_e64 s0, s33, v14
	v_mov_b64_e32 v[36:37], 0
	v_mov_b64_e32 v[42:43], 0
	v_mov_b64_e32 v[40:41], 0
	v_mov_b64_e32 v[46:47], 0
	v_mov_b64_e32 v[44:45], 0
	v_mov_b64_e32 v[18:19], 0
	v_mov_b64_e32 v[30:31], 0
	v_mov_b64_e32 v[84:85], 0
	v_mov_b64_e32 v[26:27], 0
	v_mov_b64_e32 v[28:29], 0
	v_mov_b64_e32 v[22:23], 0
	v_mov_b64_e32 v[24:25], 0
	v_mov_b64_e32 v[14:15], 0
	v_mov_b64_e32 v[16:17], 0
	v_dual_mov_b32 v90, 0 :: v_dual_mov_b32 v96, 0
	v_dual_mov_b32 v95, 0 :: v_dual_mov_b32 v101, 0
	;; [unrolled: 1-line block ×6, first 2 shown]
	v_mov_b32_e32 v105, 0
                                        ; implicit-def: $sgpr5
	s_and_saveexec_b32 s9, s0
	s_cbranch_execz .LBB5_74
; %bb.57:
	v_dual_mov_b32 v97, 0 :: v_dual_add_nc_u32 v14, 5, v107
	v_mov_b64_e32 v[34:35], 0
	v_mov_b64_e32 v[32:33], 0
	;; [unrolled: 1-line block ×3, first 2 shown]
	s_delay_alu instid0(VALU_DEP_4)
	v_cmp_gt_u32_e64 s0, s33, v14
	v_mov_b64_e32 v[36:37], 0
	v_mov_b64_e32 v[42:43], 0
	;; [unrolled: 1-line block ×12, first 2 shown]
	v_dual_mov_b32 v90, 0 :: v_dual_mov_b32 v96, 0
	v_dual_mov_b32 v95, 0 :: v_dual_mov_b32 v94, 0
	;; [unrolled: 1-line block ×5, first 2 shown]
                                        ; implicit-def: $sgpr5
	s_and_saveexec_b32 s10, s0
	s_cbranch_execz .LBB5_73
; %bb.58:
	ds_load_2addr_b64 v[14:17], v103 offset0:5 offset1:6
	v_cmp_ne_u64_e64 s0, v[68:69], v[70:71]
	v_cmp_ne_u64_e64 s2, v[66:67], v[68:69]
	v_dual_mov_b32 v90, 0 :: v_dual_add_nc_u32 v19, 6, v107
	v_cmp_ne_u64_e64 s1, v[52:53], v[54:55]
	v_mov_b64_e32 v[34:35], 0
	v_mov_b64_e32 v[32:33], 0
	v_cndmask_b32_e64 v18, 0, 1, s0
	v_cmp_ne_u64_e64 s0, v[70:71], v[52:53]
	v_cndmask_b32_e64 v45, 0, 1, s2
	v_cmp_gt_u32_e64 s2, s33, v19
	v_mov_b64_e32 v[38:39], 0
	v_lshlrev_b16 v44, 8, v18
	v_mov_b64_e32 v[36:37], 0
	v_mov_b64_e32 v[42:43], 0
	;; [unrolled: 1-line block ×10, first 2 shown]
	v_dual_mov_b32 v96, 0 :: v_dual_mov_b32 v95, 0
	v_dual_mov_b32 v94, 0 :: v_dual_mov_b32 v91, 0
	;; [unrolled: 1-line block ×4, first 2 shown]
	v_mov_b32_e32 v98, 0
	s_mov_b32 s12, 0
                                        ; implicit-def: $sgpr5
	s_and_saveexec_b32 s11, s2
	s_cbranch_execz .LBB5_72
; %bb.59:
	v_cndmask_b32_e64 v18, 0, 1, s1
	v_cndmask_b32_e64 v19, 0, 1, s0
	v_and_b32_e32 v20, 0xffff, v44
	v_mov_b64_e32 v[34:35], 0
	v_mov_b64_e32 v[32:33], 0
	v_lshlrev_b16 v18, 8, v18
	v_mov_b32_e32 v95, 0
	v_mov_b64_e32 v[38:39], 0
	v_mov_b64_e32 v[36:37], 0
	;; [unrolled: 1-line block ×3, first 2 shown]
	v_or_b32_e32 v40, v19, v18
	v_mov_b64_e32 v[18:19], 0
	v_mov_b64_e32 v[30:31], 0
	v_mov_b64_e32 v[84:85], 0
	v_mov_b64_e32 v[26:27], 0
	v_dual_mov_b32 v92, 0 :: v_dual_lshlrev_b32 v41, 16, v40
	v_mov_b64_e32 v[28:29], 0
	v_mov_b64_e32 v[22:23], 0
	v_dual_mov_b32 v96, 0 :: v_dual_add_nc_u32 v21, 7, v107
	s_delay_alu instid0(VALU_DEP_4) | instskip(SKIP_1) | instid1(VALU_DEP_2)
	v_dual_mov_b32 v93, 0 :: v_dual_bitop2_b32 v20, v20, v41 bitop3:0x54
	v_dual_mov_b32 v94, 0 :: v_dual_mov_b32 v91, 0
	v_dual_mov_b32 v98, 0 :: v_dual_lshrrev_b32 v90, 8, v20
	s_mov_b32 s1, 0
	s_mov_b32 s12, exec_lo
                                        ; implicit-def: $sgpr5
	v_cmpx_gt_u32_e64 s33, v21
	s_cbranch_execz .LBB5_71
; %bb.60:
	ds_load_2addr_b64 v[22:25], v103 offset0:7 offset1:8
	v_dual_mov_b32 v95, 0 :: v_dual_add_nc_u32 v18, 8, v107
	v_mov_b64_e32 v[34:35], 0
	v_mov_b64_e32 v[32:33], 0
	;; [unrolled: 1-line block ×3, first 2 shown]
	s_delay_alu instid0(VALU_DEP_4)
	v_cmp_gt_u32_e64 s0, s33, v18
	v_mov_b64_e32 v[36:37], 0
	v_mov_b64_e32 v[18:19], 0
	;; [unrolled: 1-line block ×6, first 2 shown]
	v_dual_mov_b32 v94, 0 :: v_dual_mov_b32 v91, 0
	v_dual_mov_b32 v92, 0 :: v_dual_mov_b32 v93, 0
                                        ; implicit-def: $sgpr5
	s_and_saveexec_b32 s13, s0
	s_cbranch_execz .LBB5_70
; %bb.61:
	v_dual_add_nc_u32 v18, 9, v107 :: v_dual_mov_b32 v94, 0
	v_mov_b64_e32 v[34:35], 0
	v_mov_b64_e32 v[32:33], 0
	;; [unrolled: 1-line block ×3, first 2 shown]
	s_delay_alu instid0(VALU_DEP_4)
	v_cmp_gt_u32_e64 s0, s33, v18
	v_mov_b64_e32 v[18:19], 0
	v_mov_b64_e32 v[30:31], 0
	;; [unrolled: 1-line block ×4, first 2 shown]
	v_dual_mov_b32 v91, 0 :: v_dual_mov_b32 v92, 0
	v_mov_b32_e32 v93, 0
                                        ; implicit-def: $sgpr5
	s_and_saveexec_b32 s20, s0
	s_cbranch_execz .LBB5_69
; %bb.62:
	ds_load_2addr_b64 v[26:29], v103 offset0:9 offset1:10
	v_cmp_ne_u64_e64 s0, v[56:57], v[58:59]
	v_cmp_ne_u64_e64 s2, v[54:55], v[56:57]
	v_dual_add_nc_u32 v19, 10, v107 :: v_dual_mov_b32 v91, 0
	v_cmp_ne_u64_e64 s1, v[48:49], v[50:51]
	v_mov_b64_e32 v[34:35], 0
	v_mov_b64_e32 v[32:33], 0
	v_cndmask_b32_e64 v18, 0, 1, s0
	v_cmp_ne_u64_e64 s0, v[58:59], v[48:49]
	v_cndmask_b32_e64 v37, 0, 1, s2
	v_cmp_gt_u32_e64 s2, s33, v19
	v_mov_b64_e32 v[30:31], 0
	v_lshlrev_b16 v36, 8, v18
	v_mov_b64_e32 v[18:19], 0
	v_mov_b64_e32 v[84:85], 0
	v_dual_mov_b32 v92, 0 :: v_dual_mov_b32 v93, 0
	s_mov_b32 s43, 0
                                        ; implicit-def: $sgpr5
	s_and_saveexec_b32 s21, s2
	s_cbranch_execz .LBB5_68
; %bb.63:
	v_cndmask_b32_e64 v18, 0, 1, s1
	v_cndmask_b32_e64 v19, 0, 1, s0
	v_mov_b64_e32 v[30:31], 0
	s_mov_b32 s2, 0
	s_mov_b32 s1, exec_lo
	v_lshlrev_b16 v18, 8, v18
                                        ; implicit-def: $sgpr5
	v_dual_add_nc_u32 v20, 11, v107 :: v_dual_mov_b32 v92, 0
	s_delay_alu instid0(VALU_DEP_2) | instskip(SKIP_1) | instid1(VALU_DEP_2)
	v_dual_mov_b32 v93, 0 :: v_dual_bitop2_b32 v34, v19, v18 bitop3:0x54
	v_and_b32_e32 v18, 0xffff, v36
	v_lshlrev_b32_e32 v35, 16, v34
	s_delay_alu instid0(VALU_DEP_1) | instskip(SKIP_1) | instid1(VALU_DEP_2)
	v_or_b32_e32 v21, v18, v35
	v_mov_b64_e32 v[18:19], 0
	v_lshrrev_b32_e32 v91, 8, v21
	v_cmpx_gt_u32_e64 s33, v20
	s_cbranch_execz .LBB5_67
; %bb.64:
	ds_load_2addr_b64 v[30:33], v103 offset0:11 offset1:12
	v_mov_b64_e32 v[18:19], 0
	v_dual_mov_b32 v93, 0 :: v_dual_add_nc_u32 v20, 12, v107
	s_mov_b32 s43, exec_lo
                                        ; implicit-def: $sgpr5
	s_delay_alu instid0(VALU_DEP_1)
	v_cmpx_gt_u32_e64 s33, v20
	s_xor_b32 s43, exec_lo, s43
	s_cbranch_execz .LBB5_66
; %bb.65:
	ds_load_b64 v[20:21], v103 offset:104
	v_add_nc_u32_e32 v18, 13, v107
	v_cmp_ne_u64_e64 s5, v[50:51], v[86:87]
	v_lshrrev_b32_e32 v93, 24, v35
	s_delay_alu instid0(VALU_DEP_3)
	v_cmp_gt_u32_e64 s0, s33, v18
	s_wait_dscnt 0x1
	v_mov_b64_e32 v[18:19], v[32:33]
	s_and_b32 s2, s0, exec_lo
.LBB5_66:
	s_or_b32 exec_lo, exec_lo, s43
	v_mov_b32_e32 v92, v34
	s_and_b32 s2, s2, exec_lo
.LBB5_67:
	s_or_b32 exec_lo, exec_lo, s1
	s_wait_dscnt 0x0
	v_mov_b64_e32 v[34:35], v[30:31]
	v_mov_b64_e32 v[32:33], v[28:29]
	;; [unrolled: 1-line block ×3, first 2 shown]
	s_and_b32 s43, s2, exec_lo
.LBB5_68:
	s_or_b32 exec_lo, exec_lo, s21
	s_wait_dscnt 0x0
	v_mov_b64_e32 v[38:39], v[26:27]
	v_or_b32_e32 v94, v37, v36
	s_and_b32 s1, s43, exec_lo
.LBB5_69:
	s_or_b32 exec_lo, exec_lo, s20
	s_wait_dscnt 0x0
	v_mov_b64_e32 v[36:37], v[24:25]
	v_mov_b64_e32 v[28:29], v[24:25]
	v_lshrrev_b32_e32 v95, 24, v41
	s_and_b32 s1, s1, exec_lo
.LBB5_70:
	s_or_b32 exec_lo, exec_lo, s13
	s_wait_dscnt 0x0
	v_mov_b64_e32 v[42:43], v[22:23]
	v_dual_mov_b32 v96, v40 :: v_dual_mov_b32 v98, v95
	s_and_b32 s1, s1, exec_lo
.LBB5_71:
	s_or_b32 exec_lo, exec_lo, s12
	s_wait_dscnt 0x0
	v_mov_b64_e32 v[40:41], v[16:17]
	v_mov_b64_e32 v[24:25], v[16:17]
	v_dual_mov_b32 v100, v90 :: v_dual_mov_b32 v99, v96
	s_and_b32 s12, s1, exec_lo
.LBB5_72:
	s_or_b32 exec_lo, exec_lo, s11
	s_wait_dscnt 0x0
	v_mov_b64_e32 v[46:47], v[14:15]
	v_or_b32_e32 v97, v45, v44
	s_and_b32 s1, s12, exec_lo
.LBB5_73:
	s_or_b32 exec_lo, exec_lo, s10
	s_delay_alu instid0(VALU_DEP_1)
	v_dual_mov_b32 v102, v97 :: v_dual_lshrrev_b32 v101, 24, v60
	s_wait_dscnt 0x0
	v_mov_b64_e32 v[44:45], v[12:13]
	v_mov_b64_e32 v[16:17], v[12:13]
	s_and_b32 s1, s1, exec_lo
	v_mov_b32_e32 v105, v101
.LBB5_74:
	s_or_b32 exec_lo, exec_lo, s9
	s_wait_dscnt 0x0
	v_mov_b64_e32 v[62:63], v[10:11]
	v_dual_mov_b32 v104, v5 :: v_dual_mov_b32 v106, v5
	s_and_b32 s1, s1, exec_lo
.LBB5_75:
	s_or_b32 exec_lo, exec_lo, s8
	s_wait_dscnt 0x0
	v_mov_b64_e32 v[60:61], v[8:9]
	v_mov_b64_e32 v[12:13], v[8:9]
	v_mov_b32_e32 v109, v89
	s_and_b32 s8, s1, exec_lo
.LBB5_76:
	s_or_b32 exec_lo, exec_lo, s7
	v_or_b32_e32 v108, v4, v1
	s_wait_dscnt 0x0
	v_mov_b64_e32 v[4:5], v[6:7]
	s_and_b32 s1, s8, exec_lo
	s_delay_alu instid0(VALU_DEP_2)
	v_mov_b32_e32 v88, v108
.LBB5_77:
	s_or_b32 exec_lo, exec_lo, s3
	v_cndmask_b32_e64 v110, 0, 1, vcc_lo
	s_and_b32 s3, s1, exec_lo
	s_delay_alu instid0(VALU_DEP_1)
	v_mov_b32_e32 v1, v110
.LBB5_78:
	s_or_b32 exec_lo, exec_lo, s6
	v_lshlrev_b32_e32 v64, 3, v0
	s_and_b32 vcc_lo, exec_lo, s4
	s_cbranch_vccz .LBB5_100
.LBB5_79:
	s_wait_dscnt 0x0
	s_clause 0xd
	flat_load_b64 v[2:3], v0, s[16:17] scale_offset
	flat_load_b64 v[4:5], v0, s[16:17] offset:2048 scale_offset
	flat_load_b64 v[6:7], v0, s[16:17] offset:4096 scale_offset
	;; [unrolled: 1-line block ×13, first 2 shown]
	v_mad_u32_u24 v48, 0x68, v0, v64
	v_mov_b32_e32 v1, 0
	s_cmp_eq_u64 s[18:19], 0
	s_wait_loadcnt_dscnt 0xc0c
	ds_store_2addr_stride64_b64 v64, v[2:3], v[4:5] offset1:4
	s_wait_loadcnt_dscnt 0xa0b
	ds_store_2addr_stride64_b64 v64, v[6:7], v[8:9] offset0:8 offset1:12
	s_wait_loadcnt_dscnt 0x80a
	ds_store_2addr_stride64_b64 v64, v[10:11], v[12:13] offset0:16 offset1:20
	;; [unrolled: 2-line block ×6, first 2 shown]
	s_wait_dscnt 0x0
	s_barrier_signal -1
	s_barrier_wait -1
	ds_load_b128 v[6:9], v48 offset:16
	ds_load_2addr_b64 v[10:13], v48 offset0:3 offset1:4
	ds_load_b128 v[2:5], v48
	ds_load_2addr_b64 v[14:17], v48 offset0:1 offset1:2
	ds_load_2addr_b64 v[18:21], v48 offset0:7 offset1:8
	;; [unrolled: 1-line block ×5, first 2 shown]
	ds_load_b64 v[34:35], v48 offset:104
	s_cbranch_scc1 .LBB5_97
; %bb.80:
	s_and_not1_b32 vcc_lo, exec_lo, s31
	s_cbranch_vccnz .LBB5_95
; %bb.81:
	s_lshl_b64 s[0:1], s[18:19], 3
	s_delay_alu instid0(SALU_CYCLE_1) | instskip(NEXT) | instid1(SALU_CYCLE_1)
	s_add_nc_u64 s[0:1], s[50:51], s[0:1]
	s_add_nc_u64 s[16:17], s[0:1], -8
	s_mov_b32 s0, 0
	s_branch .LBB5_96
.LBB5_82:
	flat_load_b64 v[2:3], v0, s[14:15] scale_offset
	s_wait_xcnt 0x0
	s_or_b32 exec_lo, exec_lo, s20
                                        ; implicit-def: $vgpr4_vgpr5
	s_and_saveexec_b32 s0, s1
	s_cbranch_execz .LBB5_39
.LBB5_83:
	flat_load_b64 v[4:5], v0, s[14:15] offset:2048 scale_offset
	s_wait_xcnt 0x0
	s_or_b32 exec_lo, exec_lo, s0
                                        ; implicit-def: $vgpr6_vgpr7
	s_and_saveexec_b32 s0, s2
	s_cbranch_execz .LBB5_40
.LBB5_84:
	flat_load_b64 v[6:7], v0, s[14:15] offset:4096 scale_offset
	s_wait_xcnt 0x0
	s_or_b32 exec_lo, exec_lo, s0
                                        ; implicit-def: $vgpr10_vgpr11
	s_and_saveexec_b32 s0, s3
	s_cbranch_execz .LBB5_41
.LBB5_85:
	flat_load_b64 v[10:11], v0, s[14:15] offset:6144 scale_offset
	s_wait_xcnt 0x0
	s_or_b32 exec_lo, exec_lo, s0
                                        ; implicit-def: $vgpr12_vgpr13
	s_and_saveexec_b32 s0, s4
	s_cbranch_execz .LBB5_42
.LBB5_86:
	flat_load_b64 v[12:13], v0, s[14:15] offset:8192 scale_offset
	s_wait_xcnt 0x0
	s_or_b32 exec_lo, exec_lo, s0
                                        ; implicit-def: $vgpr14_vgpr15
	s_and_saveexec_b32 s0, s5
	s_cbranch_execz .LBB5_43
.LBB5_87:
	flat_load_b64 v[14:15], v0, s[14:15] offset:10240 scale_offset
	s_wait_xcnt 0x0
	s_or_b32 exec_lo, exec_lo, s0
                                        ; implicit-def: $vgpr16_vgpr17
	s_and_saveexec_b32 s0, s6
	s_cbranch_execz .LBB5_44
.LBB5_88:
	flat_load_b64 v[16:17], v0, s[14:15] offset:12288 scale_offset
	s_wait_xcnt 0x0
	s_or_b32 exec_lo, exec_lo, s0
                                        ; implicit-def: $vgpr18_vgpr19
	s_and_saveexec_b32 s0, s7
	s_cbranch_execz .LBB5_45
.LBB5_89:
	flat_load_b64 v[18:19], v0, s[14:15] offset:14336 scale_offset
	s_wait_xcnt 0x0
	s_or_b32 exec_lo, exec_lo, s0
                                        ; implicit-def: $vgpr20_vgpr21
	s_and_saveexec_b32 s0, s8
	s_cbranch_execz .LBB5_46
.LBB5_90:
	flat_load_b64 v[20:21], v0, s[14:15] offset:16384 scale_offset
	s_wait_xcnt 0x0
	s_or_b32 exec_lo, exec_lo, s0
                                        ; implicit-def: $vgpr22_vgpr23
	s_and_saveexec_b32 s0, s9
	s_cbranch_execz .LBB5_47
.LBB5_91:
	flat_load_b64 v[22:23], v0, s[14:15] offset:18432 scale_offset
	s_wait_xcnt 0x0
	s_or_b32 exec_lo, exec_lo, s0
                                        ; implicit-def: $vgpr24_vgpr25
	s_and_saveexec_b32 s0, s10
	s_cbranch_execz .LBB5_48
.LBB5_92:
	flat_load_b64 v[24:25], v0, s[14:15] offset:20480 scale_offset
	s_wait_xcnt 0x0
	s_or_b32 exec_lo, exec_lo, s0
                                        ; implicit-def: $vgpr26_vgpr27
	s_and_saveexec_b32 s0, s11
	s_cbranch_execz .LBB5_49
.LBB5_93:
	flat_load_b64 v[26:27], v0, s[14:15] offset:22528 scale_offset
	s_wait_xcnt 0x0
	s_or_b32 exec_lo, exec_lo, s0
                                        ; implicit-def: $vgpr28_vgpr29
	s_and_saveexec_b32 s0, s12
	s_cbranch_execz .LBB5_50
.LBB5_94:
	flat_load_b64 v[28:29], v0, s[14:15] offset:24576 scale_offset
	s_wait_xcnt 0x0
	s_or_b32 exec_lo, exec_lo, s0
                                        ; implicit-def: $vgpr30_vgpr31
	s_and_saveexec_b32 s0, s13
	s_cbranch_execnz .LBB5_51
	s_branch .LBB5_52
.LBB5_95:
	s_add_nc_u64 s[16:17], s[16:17], -8
	s_mov_b32 s0, -1
.LBB5_96:
	s_delay_alu instid0(SALU_CYCLE_1)
	s_and_not1_b32 vcc_lo, exec_lo, s0
.LBB5_97:
	flat_load_b64 v[36:37], v1, s[16:17]
	s_wait_xcnt 0x0
	v_mad_i32_i24 v1, 0xffffff98, v0, v48
	s_mov_b32 s0, exec_lo
	s_wait_dscnt 0x1
	ds_store_b64 v1, v[34:35] offset:28672
	s_wait_loadcnt_dscnt 0x0
	s_barrier_signal -1
	s_barrier_wait -1
	v_cmpx_ne_u32_e32 0, v0
; %bb.98:
	v_mul_i32_i24_e32 v1, 0xffffff98, v0
	s_delay_alu instid0(VALU_DEP_1)
	v_add_nc_u32_e32 v1, v48, v1
	ds_load_b64 v[36:37], v1 offset:28664
; %bb.99:
	s_or_b32 exec_lo, exec_lo, s0
	s_wait_dscnt 0x0
	s_barrier_signal -1
	s_barrier_wait -1
	s_clause 0xd
	flat_load_b64 v[38:39], v0, s[14:15] scale_offset
	flat_load_b64 v[40:41], v0, s[14:15] offset:2048 scale_offset
	flat_load_b64 v[42:43], v0, s[14:15] offset:4096 scale_offset
	;; [unrolled: 1-line block ×13, first 2 shown]
	v_cmp_ne_u64_e32 vcc_lo, v[30:31], v[32:33]
	v_cmp_ne_u64_e64 s5, v[28:29], v[34:35]
	s_mov_b32 s3, -1
	s_wait_loadcnt_dscnt 0xc0c
	ds_store_2addr_stride64_b64 v64, v[38:39], v[40:41] offset1:4
	s_wait_loadcnt_dscnt 0xa0b
	ds_store_2addr_stride64_b64 v64, v[42:43], v[44:45] offset0:8 offset1:12
	s_wait_loadcnt_dscnt 0x80a
	ds_store_2addr_stride64_b64 v64, v[46:47], v[50:51] offset0:16 offset1:20
	;; [unrolled: 2-line block ×6, first 2 shown]
	v_cndmask_b32_e64 v1, 0, 1, vcc_lo
	v_cmp_ne_u64_e32 vcc_lo, v[20:21], v[30:31]
	s_wait_dscnt 0x0
	s_barrier_signal -1
	s_barrier_wait -1
	v_cndmask_b32_e64 v30, 0, 1, vcc_lo
	v_cmp_ne_u64_e32 vcc_lo, v[26:27], v[28:29]
	v_cndmask_b32_e64 v28, 0, 1, vcc_lo
	v_cmp_ne_u64_e32 vcc_lo, v[32:33], v[26:27]
	;; [unrolled: 2-line block ×8, first 2 shown]
	s_delay_alu instid0(VALU_DEP_2) | instskip(SKIP_3) | instid1(VALU_DEP_3)
	v_lshlrev_b16 v4, 8, v4
	v_cndmask_b32_e64 v5, 0, 1, vcc_lo
	v_cmp_ne_u64_e32 vcc_lo, v[8:9], v[12:13]
	v_lshlrev_b16 v9, 8, v20
	v_or_b32_e32 v108, v5, v4
	v_cndmask_b32_e64 v8, 0, 1, vcc_lo
	v_cmp_ne_u64_e32 vcc_lo, v[6:7], v[10:11]
	v_lshlrev_b16 v7, 8, v27
	s_delay_alu instid0(VALU_DEP_3)
	v_lshlrev_b16 v8, 8, v8
	v_cndmask_b32_e64 v6, 0, 1, vcc_lo
	v_cmp_ne_u64_e32 vcc_lo, v[36:37], v[2:3]
	v_lshlrev_b16 v3, 8, v28
	v_lshlrev_b16 v2, 8, v1
	ds_load_b128 v[36:39], v48 offset:64
	ds_load_b128 v[32:35], v48 offset:80
	v_or_b32_e32 v104, v6, v8
	v_or_b32_e32 v97, v22, v7
	;; [unrolled: 1-line block ×3, first 2 shown]
	v_cndmask_b32_e64 v110, 0, 1, vcc_lo
	v_and_b32_e32 v6, 0xffff, v4
	s_delay_alu instid0(VALU_DEP_4) | instskip(NEXT) | instid1(VALU_DEP_4)
	v_dual_mov_b32 v102, v97 :: v_dual_lshlrev_b32 v9, 16, v104
	v_dual_lshlrev_b32 v8, 16, v96 :: v_dual_bitop2_b32 v92, v26, v3 bitop3:0x54
	v_or_b32_e32 v94, v30, v2
	v_and_b32_e32 v2, 0xffff, v2
	s_delay_alu instid0(VALU_DEP_3)
	v_dual_mov_b32 v1, v110 :: v_dual_lshlrev_b32 v3, 16, v92
	ds_load_b128 v[44:47], v48 offset:32
	ds_load_b128 v[40:43], v48 offset:48
	v_and_b32_e32 v7, 0xffff, v7
	v_dual_lshrrev_b32 v101, 24, v9 :: v_dual_bitop2_b32 v6, v6, v9 bitop3:0x54
	v_dual_lshrrev_b32 v93, 24, v3 :: v_dual_bitop2_b32 v10, v2, v3 bitop3:0x54
	ds_load_b128 v[2:5], v48
	ds_load_b128 v[60:63], v48 offset:16
	ds_load_b128 v[18:21], v48 offset:96
	v_dual_lshrrev_b32 v95, 24, v8 :: v_dual_bitop2_b32 v7, v7, v8 bitop3:0x54
	v_lshrrev_b32_e32 v91, 8, v10
	v_lshrrev_b32_e32 v89, 8, v6
	s_wait_dscnt 0x5
	v_mov_b64_e32 v[30:31], v[34:35]
	v_lshrrev_b32_e32 v90, 8, v7
	v_mov_b64_e32 v[84:85], v[32:33]
	v_mov_b64_e32 v[26:27], v[38:39]
	;; [unrolled: 1-line block ×3, first 2 shown]
	v_dual_mov_b32 v99, v96 :: v_dual_mov_b32 v88, v108
	v_mov_b32_e32 v106, v104
	s_wait_dscnt 0x3
	v_mov_b64_e32 v[22:23], v[42:43]
	v_mov_b64_e32 v[24:25], v[40:41]
	v_mov_b64_e32 v[16:17], v[44:45]
	v_mov_b64_e32 v[14:15], v[46:47]
	v_mov_b32_e32 v98, v95
	s_wait_dscnt 0x2
	v_mov_b64_e32 v[6:7], v[4:5]
	s_wait_dscnt 0x1
	v_mov_b64_e32 v[12:13], v[60:61]
	v_mov_b64_e32 v[10:11], v[62:63]
	v_dual_mov_b32 v105, v101 :: v_dual_mov_b32 v100, v90
	v_mov_b32_e32 v109, v89
.LBB5_100:
	v_mov_b64_e32 v[8:9], 0
	v_mov_b32_e32 v65, 0
	s_and_saveexec_b32 s0, s3
	s_cbranch_execz .LBB5_102
; %bb.101:
	v_mov_b64_e32 v[6:7], v[4:5]
	v_mov_b64_e32 v[12:13], v[60:61]
	;; [unrolled: 1-line block ×11, first 2 shown]
	s_wait_dscnt 0x0
	v_mov_b64_e32 v[8:9], v[20:21]
	v_cndmask_b32_e64 v65, 0, 1, s5
	v_dual_mov_b32 v1, v110 :: v_dual_mov_b32 v88, v108
	v_dual_mov_b32 v109, v89 :: v_dual_mov_b32 v106, v104
	;; [unrolled: 1-line block ×4, first 2 shown]
	v_mov_b32_e32 v98, v95
.LBB5_102:
	s_or_b32 exec_lo, exec_lo, s0
	v_dual_lshrrev_b32 v63, 1, v0 :: v_dual_bitop2_b32 v66, 1, v109 bitop3:0x40
	v_and_b32_e32 v62, 1, v102
	s_delay_alu instid0(VALU_DEP_3)
	v_and_b32_e32 v61, 1, v98
	v_and_b32_e32 v60, 1, v92
	;; [unrolled: 1-line block ×6, first 2 shown]
	v_cmp_eq_u32_e64 s13, 1, v66
	v_bitop3_b16 v68, v105, 0xff, v106 bitop3:0xc8
	v_and_b32_e32 v74, 0xff, v98
	v_and_b32_e32 v76, 0xff, v99
	;; [unrolled: 1-line block ×4, first 2 shown]
	v_cmp_eq_u32_e64 s14, 1, v62
	v_bitop3_b16 v69, v99, 0xff, v100 bitop3:0xc8
	v_cmp_eq_u32_e64 s15, 1, v61
	v_and_b32_e32 v71, 0xff, v93
	v_and_b32_e32 v72, 0xff, v92
	;; [unrolled: 1-line block ×4, first 2 shown]
	v_bitop3_b16 v70, v91, 0xff, v94 bitop3:0xc8
	v_cmp_eq_u32_e64 s16, 1, v60
	v_cmp_eq_u16_e64 s0, 0, v65
	v_bitop3_b16 v67, v65, 0xff, v93 bitop3:0xc8
	s_cmp_lg_u32 s22, 0
	s_wait_dscnt 0x0
	v_cmp_gt_u32_e32 vcc_lo, 32, v0
	s_barrier_signal -1
	s_barrier_wait -1
	s_cbranch_scc0 .LBB5_152
; %bb.103:
	v_cmp_eq_u16_e64 s1, 0, v82
	v_cmp_eq_u16_e64 s2, 0, v81
	;; [unrolled: 1-line block ×5, first 2 shown]
	v_dual_cndmask_b32 v5, 0, v3, s1 :: v_dual_cndmask_b32 v4, 0, v2, s1
	v_cmp_eq_u16_e64 s6, 0, v77
	v_cmp_eq_u16_e64 s7, 0, v76
	;; [unrolled: 1-line block ×4, first 2 shown]
	v_add_nc_u64_e32 v[4:5], v[4:5], v[6:7]
	v_cmp_eq_u16_e64 s10, 0, v73
	v_cmp_eq_u16_e64 s11, 0, v72
	;; [unrolled: 1-line block ×3, first 2 shown]
	v_cmp_ne_u16_e64 s19, 0, v70
	v_bitop3_b16 v20, v88, 0xff, v1 bitop3:0xc8
	v_cmp_ne_u16_e64 s18, 0, v69
	v_dual_cndmask_b32 v5, 0, v5, s2 :: v_dual_cndmask_b32 v4, 0, v4, s2
	v_cmp_ne_u16_e64 s20, 0, v67
	v_cmp_ne_u16_e64 s17, 0, v68
	s_or_b32 s16, s19, s16
	v_cmp_ne_u16_e64 s21, 0, v20
	v_add_nc_u64_e32 v[4:5], v[4:5], v[12:13]
	s_or_b32 s15, s18, s15
	s_or_b32 s16, s20, s16
	;; [unrolled: 1-line block ×4, first 2 shown]
	v_and_b32_e32 v21, 0x70, v63
	s_or_b32 s13, s21, s13
	v_dual_cndmask_b32 v5, 0, v5, s3 :: v_dual_cndmask_b32 v4, 0, v4, s3
	s_or_b32 s14, s15, s14
	s_delay_alu instid0(VALU_DEP_2) | instskip(SKIP_1) | instid1(VALU_DEP_2)
	v_lshl_add_u32 v20, v0, 4, v21
	s_or_b32 s18, s14, s13
	v_add_nc_u64_e32 v[4:5], v[4:5], v[10:11]
	v_cndmask_b32_e64 v35, 0, 1, s18
	s_delay_alu instid0(VALU_DEP_2) | instskip(NEXT) | instid1(VALU_DEP_1)
	v_dual_cndmask_b32 v5, 0, v5, s4 :: v_dual_cndmask_b32 v4, 0, v4, s4
	v_add_nc_u64_e32 v[4:5], v[4:5], v[16:17]
	s_delay_alu instid0(VALU_DEP_1) | instskip(NEXT) | instid1(VALU_DEP_1)
	v_dual_cndmask_b32 v5, 0, v5, s5 :: v_dual_cndmask_b32 v4, 0, v4, s5
	v_add_nc_u64_e32 v[4:5], v[4:5], v[14:15]
	s_delay_alu instid0(VALU_DEP_1) | instskip(NEXT) | instid1(VALU_DEP_1)
	;; [unrolled: 3-line block ×9, first 2 shown]
	v_dual_cndmask_b32 v5, 0, v5, s0 :: v_dual_cndmask_b32 v4, 0, v4, s0
	v_add_nc_u64_e32 v[4:5], v[4:5], v[8:9]
	ds_store_b64 v20, v[4:5]
	ds_store_b8 v20, v35 offset:8
	s_wait_dscnt 0x0
	s_barrier_signal -1
	s_barrier_wait -1
	s_and_saveexec_b32 s16, vcc_lo
	s_cbranch_execz .LBB5_115
; %bb.104:
	v_dual_lshlrev_b32 v20, 2, v0 :: v_dual_lshlrev_b32 v21, 7, v0
	s_delay_alu instid0(VALU_DEP_1) | instskip(NEXT) | instid1(VALU_DEP_1)
	v_and_b32_e32 v20, 0x3f0, v20
	v_add_nc_u32_e32 v34, v20, v21
	ds_load_u8 v37, v34 offset:24
	ds_load_b64 v[20:21], v34
	ds_load_2addr_b64 v[38:41], v34 offset0:2 offset1:4
	ds_load_u8 v46, v34 offset:40
	ds_load_b32 v36, v34 offset:8
	ds_load_u8 v47, v34 offset:56
	ds_load_u8 v48, v34 offset:72
	;; [unrolled: 1-line block ×4, first 2 shown]
	s_wait_dscnt 0x8
	v_cmp_eq_u16_e64 s13, 0, v37
	s_wait_dscnt 0x7
	s_delay_alu instid0(VALU_DEP_1)
	v_dual_cndmask_b32 v33, 0, v21, s13 :: v_dual_cndmask_b32 v32, 0, v20, s13
	s_wait_dscnt 0x5
	v_cmp_eq_u16_e64 s13, 0, v46
	ds_load_2addr_b64 v[42:45], v34 offset0:6 offset1:8
	s_wait_dscnt 0x4
	v_bitop3_b16 v37, v46, v47, v37 bitop3:0xfe
	v_add_nc_u64_e32 v[32:33], v[32:33], v[38:39]
	s_delay_alu instid0(VALU_DEP_1) | instskip(SKIP_1) | instid1(VALU_DEP_2)
	v_dual_cndmask_b32 v33, 0, v33, s13 :: v_dual_cndmask_b32 v32, 0, v32, s13
	v_cmp_eq_u16_e64 s13, 0, v47
	v_add_nc_u64_e32 v[32:33], v[32:33], v[40:41]
	ds_load_2addr_b64 v[38:41], v34 offset0:10 offset1:12
	ds_load_u8 v51, v34 offset:120
	v_dual_cndmask_b32 v33, 0, v33, s13 :: v_dual_cndmask_b32 v32, 0, v32, s13
	s_wait_dscnt 0x5
	v_cmp_eq_u16_e64 s13, 0, v48
	s_wait_dscnt 0x2
	s_delay_alu instid0(VALU_DEP_2) | instskip(SKIP_1) | instid1(VALU_DEP_2)
	v_add_nc_u64_e32 v[32:33], v[32:33], v[42:43]
	v_bitop3_b16 v42, v49, v50, v48 bitop3:0xfe
	v_dual_cndmask_b32 v33, 0, v33, s13 :: v_dual_cndmask_b32 v32, 0, v32, s13
	v_cmp_eq_u16_e64 s13, 0, v49
	s_wait_dscnt 0x0
	s_delay_alu instid0(VALU_DEP_3) | instskip(SKIP_3) | instid1(VALU_DEP_1)
	v_bitop3_b16 v37, v51, v37, v42 bitop3:0xfe
	ds_load_b64 v[42:43], v34 offset:112
	v_cmp_eq_u16_e64 s15, 0, v51
	v_add_nc_u64_e32 v[32:33], v[32:33], v[44:45]
	v_dual_cndmask_b32 v32, 0, v32, s13 :: v_dual_bitop2_b32 v37, 1, v37 bitop3:0x40
	s_delay_alu instid0(VALU_DEP_2) | instskip(SKIP_1) | instid1(VALU_DEP_3)
	v_cndmask_b32_e64 v33, 0, v33, s13
	v_cmp_eq_u16_e64 s13, 0, v50
	v_cmp_eq_u32_e64 s14, 1, v37
	v_and_b32_e32 v37, 0xffffff00, v36
	s_delay_alu instid0(VALU_DEP_4) | instskip(NEXT) | instid1(VALU_DEP_1)
	v_add_nc_u64_e32 v[32:33], v[32:33], v[38:39]
	v_dual_cndmask_b32 v33, 0, v33, s13 :: v_dual_bitop2_b32 v38, 1, v36 bitop3:0x40
	s_delay_alu instid0(VALU_DEP_2) | instskip(NEXT) | instid1(VALU_DEP_2)
	v_cndmask_b32_e64 v32, 0, v32, s13
	v_cmp_eq_u32_e64 s13, 1, v38
	v_mbcnt_lo_u32_b32 v38, -1, 0
	s_delay_alu instid0(VALU_DEP_3) | instskip(SKIP_1) | instid1(SALU_CYCLE_1)
	v_add_nc_u64_e32 v[32:33], v[32:33], v[40:41]
	s_or_b32 s14, s14, s13
	v_cndmask_b32_e64 v40, 0, 1, s14
	v_cndmask_b32_e64 v39, 0, 1, s14
	s_delay_alu instid0(VALU_DEP_3) | instskip(NEXT) | instid1(VALU_DEP_3)
	v_dual_cndmask_b32 v33, 0, v33, s15 :: v_dual_cndmask_b32 v32, 0, v32, s15
	v_or_b32_e32 v41, v37, v40
	v_and_b32_e32 v40, 15, v38
	s_mov_b32 s15, exec_lo
	s_wait_dscnt 0x0
	v_add_nc_u64_e32 v[32:33], v[32:33], v[42:43]
	v_mov_b32_dpp v43, v41 row_shr:1 row_mask:0xf bank_mask:0xf
	s_delay_alu instid0(VALU_DEP_2) | instskip(NEXT) | instid1(VALU_DEP_3)
	v_mov_b32_dpp v42, v32 row_shr:1 row_mask:0xf bank_mask:0xf
	v_mov_b32_dpp v44, v33 row_shr:1 row_mask:0xf bank_mask:0xf
	v_cmpx_ne_u32_e32 0, v40
; %bb.105:
	s_delay_alu instid0(VALU_DEP_4) | instskip(NEXT) | instid1(VALU_DEP_3)
	v_bitop3_b16 v39, v43, v39, 1 bitop3:0xec
	v_cndmask_b32_e64 v43, v44, 0, s14
	v_cndmask_b32_e64 v42, v42, 0, s14
	s_delay_alu instid0(VALU_DEP_3) | instskip(NEXT) | instid1(VALU_DEP_2)
	v_and_b32_e32 v41, 0xffff, v39
	v_add_nc_u64_e32 v[32:33], v[42:43], v[32:33]
	s_delay_alu instid0(VALU_DEP_2)
	v_or_b32_e32 v41, v37, v41
; %bb.106:
	s_or_b32 exec_lo, exec_lo, s15
	s_delay_alu instid0(VALU_DEP_2) | instskip(NEXT) | instid1(VALU_DEP_3)
	v_mov_b32_dpp v42, v32 row_shr:2 row_mask:0xf bank_mask:0xf
	v_mov_b32_dpp v43, v33 row_shr:2 row_mask:0xf bank_mask:0xf
	s_delay_alu instid0(VALU_DEP_3)
	v_mov_b32_dpp v44, v41 row_shr:2 row_mask:0xf bank_mask:0xf
	s_mov_b32 s17, exec_lo
	v_cmpx_lt_u32_e32 1, v40
	s_cbranch_execz .LBB5_108
; %bb.107:
	v_cmp_eq_u16_e64 s13, 0, v39
	v_and_b32_e32 v41, 1, v39
	s_delay_alu instid0(VALU_DEP_2) | instskip(SKIP_1) | instid1(VALU_DEP_3)
	v_dual_cndmask_b32 v43, 0, v43, s13 :: v_dual_bitop2_b32 v44, 1, v44 bitop3:0x40
	v_cndmask_b32_e64 v42, 0, v42, s13
	v_cmp_eq_u32_e64 s14, 1, v41
	s_delay_alu instid0(VALU_DEP_3) | instskip(NEXT) | instid1(VALU_DEP_3)
	v_cmp_eq_u32_e64 s15, 1, v44
	v_add_nc_u64_e32 v[32:33], v[42:43], v[32:33]
	s_or_b32 s13, s14, s15
	s_delay_alu instid0(SALU_CYCLE_1) | instskip(SKIP_1) | instid1(VALU_DEP_2)
	v_cndmask_b32_e64 v41, 0, 1, s13
	v_cndmask_b32_e64 v39, 0, 1, s13
	v_or_b32_e32 v41, v37, v41
.LBB5_108:
	s_or_b32 exec_lo, exec_lo, s17
	s_delay_alu instid0(VALU_DEP_4) | instskip(SKIP_1) | instid1(VALU_DEP_3)
	v_mov_b32_dpp v42, v32 row_shr:4 row_mask:0xf bank_mask:0xf
	v_mov_b32_dpp v43, v33 row_shr:4 row_mask:0xf bank_mask:0xf
	;; [unrolled: 1-line block ×3, first 2 shown]
	s_mov_b32 s17, exec_lo
	v_cmpx_lt_u32_e32 3, v40
	s_cbranch_execz .LBB5_110
; %bb.109:
	v_cmp_eq_u16_e64 s13, 0, v39
	v_and_b32_e32 v41, 1, v39
	s_delay_alu instid0(VALU_DEP_2) | instskip(SKIP_1) | instid1(VALU_DEP_3)
	v_dual_cndmask_b32 v43, 0, v43, s13 :: v_dual_bitop2_b32 v44, 1, v44 bitop3:0x40
	v_cndmask_b32_e64 v42, 0, v42, s13
	v_cmp_eq_u32_e64 s14, 1, v41
	s_delay_alu instid0(VALU_DEP_3) | instskip(NEXT) | instid1(VALU_DEP_3)
	v_cmp_eq_u32_e64 s15, 1, v44
	v_add_nc_u64_e32 v[32:33], v[42:43], v[32:33]
	s_or_b32 s13, s14, s15
	s_delay_alu instid0(SALU_CYCLE_1) | instskip(SKIP_1) | instid1(VALU_DEP_2)
	v_cndmask_b32_e64 v41, 0, 1, s13
	v_cndmask_b32_e64 v39, 0, 1, s13
	v_or_b32_e32 v41, v37, v41
.LBB5_110:
	s_or_b32 exec_lo, exec_lo, s17
	s_delay_alu instid0(VALU_DEP_4) | instskip(SKIP_1) | instid1(VALU_DEP_3)
	v_mov_b32_dpp v42, v32 row_shr:8 row_mask:0xf bank_mask:0xf
	v_mov_b32_dpp v43, v33 row_shr:8 row_mask:0xf bank_mask:0xf
	;; [unrolled: 1-line block ×3, first 2 shown]
	s_mov_b32 s17, exec_lo
	v_cmpx_lt_u32_e32 7, v40
	s_cbranch_execz .LBB5_112
; %bb.111:
	v_and_b32_e32 v40, 1, v39
	v_cmp_eq_u16_e64 s13, 0, v39
	v_and_b32_e32 v41, 1, v44
	s_delay_alu instid0(VALU_DEP_3) | instskip(NEXT) | instid1(VALU_DEP_3)
	v_cmp_eq_u32_e64 s14, 1, v40
	v_cndmask_b32_e64 v40, 0, v42, s13
	s_delay_alu instid0(VALU_DEP_3) | instskip(SKIP_2) | instid1(VALU_DEP_1)
	v_cmp_eq_u32_e64 s15, 1, v41
	v_cndmask_b32_e64 v41, 0, v43, s13
	s_or_b32 s13, s14, s15
	v_add_nc_u64_e32 v[32:33], v[40:41], v[32:33]
	v_cndmask_b32_e64 v42, 0, 1, s13
	v_cndmask_b32_e64 v39, 0, 1, s13
	s_delay_alu instid0(VALU_DEP_2)
	v_or_b32_e32 v41, v37, v42
.LBB5_112:
	s_or_b32 exec_lo, exec_lo, s17
	ds_swizzle_b32 v40, v32 offset:swizzle(BROADCAST,32,15)
	ds_swizzle_b32 v42, v33 offset:swizzle(BROADCAST,32,15)
	;; [unrolled: 1-line block ×3, first 2 shown]
	v_and_b32_e32 v43, 16, v38
	s_mov_b32 s15, exec_lo
	s_delay_alu instid0(VALU_DEP_1)
	v_cmpx_ne_u32_e32 0, v43
	s_cbranch_execz .LBB5_114
; %bb.113:
	v_cmp_eq_u16_e64 s13, 0, v39
	v_and_b32_e32 v39, 1, v39
	s_wait_dscnt 0x0
	s_delay_alu instid0(VALU_DEP_2) | instskip(SKIP_1) | instid1(VALU_DEP_3)
	v_dual_cndmask_b32 v40, 0, v40, s13 :: v_dual_bitop2_b32 v43, 1, v41 bitop3:0x40
	v_cndmask_b32_e64 v41, 0, v42, s13
	v_cmp_eq_u32_e64 s13, 1, v39
	s_delay_alu instid0(VALU_DEP_3) | instskip(NEXT) | instid1(VALU_DEP_3)
	v_cmp_eq_u32_e64 s14, 1, v43
	v_add_nc_u64_e32 v[32:33], v[40:41], v[32:33]
	s_or_b32 s13, s13, s14
	s_delay_alu instid0(SALU_CYCLE_1)
	v_cndmask_b32_e64 v39, 0, 1, s13
.LBB5_114:
	s_or_b32 exec_lo, exec_lo, s15
	s_wait_dscnt 0x2
	v_add_nc_u32_e32 v40, -1, v38
	s_delay_alu instid0(VALU_DEP_2) | instskip(NEXT) | instid1(VALU_DEP_2)
	v_and_b32_e32 v39, 0xffff, v39
	; wave barrier
	v_cmp_gt_i32_e64 s13, 0, v40
	s_delay_alu instid0(VALU_DEP_1) | instskip(NEXT) | instid1(VALU_DEP_1)
	v_dual_cndmask_b32 v38, v40, v38, s13 :: v_dual_bitop2_b32 v37, v37, v39 bitop3:0x54
	v_lshlrev_b32_e32 v38, 2, v38
	ds_bpermute_b32 v33, v38, v33
	ds_bpermute_b32 v32, v38, v32
	;; [unrolled: 1-line block ×3, first 2 shown]
	v_and_b32_e32 v38, 0xff, v36
	s_delay_alu instid0(VALU_DEP_1) | instskip(SKIP_1) | instid1(VALU_DEP_1)
	v_cmp_eq_u32_e64 s13, 0, v38
	s_wait_dscnt 0x1
	v_dual_cndmask_b32 v33, 0, v33, s13 :: v_dual_cndmask_b32 v32, 0, v32, s13
	v_cmp_eq_u32_e64 s13, 0, v0
	s_wait_dscnt 0x0
	v_or_b32_e32 v36, v37, v36
	s_delay_alu instid0(VALU_DEP_3) | instskip(NEXT) | instid1(VALU_DEP_1)
	v_add_nc_u64_e32 v[20:21], v[32:33], v[20:21]
	v_dual_cndmask_b32 v21, v21, v5, s13 :: v_dual_bitop2_b32 v32, 1, v36 bitop3:0x40
	s_delay_alu instid0(VALU_DEP_2) | instskip(NEXT) | instid1(VALU_DEP_2)
	v_cndmask_b32_e64 v20, v20, v4, s13
	v_cndmask_b32_e64 v35, v32, v35, s13
	ds_store_b64 v34, v[20:21]
	ds_store_b8 v34, v35 offset:8
	; wave barrier
	ds_load_u8 v48, v34 offset:24
	ds_load_2addr_b64 v[36:39], v34 offset0:2 offset1:4
	ds_load_u8 v49, v34 offset:40
	ds_load_u8 v50, v34 offset:56
	;; [unrolled: 1-line block ×5, first 2 shown]
	ds_load_b64 v[32:33], v34 offset:112
	ds_load_u8 v54, v34 offset:120
	s_wait_dscnt 0x8
	v_and_b32_e32 v40, 0xff, v48
	v_bitop3_b16 v56, v48, 1, v35 bitop3:0xc8
	s_wait_dscnt 0x5
	v_and_b32_e32 v46, 0xff, v50
	s_delay_alu instid0(VALU_DEP_3) | instskip(SKIP_3) | instid1(VALU_DEP_3)
	v_cmp_eq_u16_e64 s13, 0, v40
	v_and_b32_e32 v40, 0xff, v49
	s_wait_dscnt 0x3
	v_and_b32_e32 v55, 0xff, v52
	v_dual_cndmask_b32 v21, 0, v21, s13 :: v_dual_cndmask_b32 v20, 0, v20, s13
	s_delay_alu instid0(VALU_DEP_3) | instskip(SKIP_2) | instid1(VALU_DEP_1)
	v_cmp_eq_u16_e64 s13, 0, v40
	ds_load_2addr_b64 v[40:43], v34 offset0:6 offset1:8
	v_add_nc_u64_e32 v[20:21], v[20:21], v[36:37]
	v_dual_cndmask_b32 v37, 0, v21, s13 :: v_dual_cndmask_b32 v36, 0, v20, s13
	v_cmp_eq_u16_e64 s13, 0, v46
	s_delay_alu instid0(VALU_DEP_2) | instskip(SKIP_1) | instid1(VALU_DEP_2)
	v_add_nc_u64_e32 v[44:45], v[36:37], v[38:39]
	v_and_b32_e32 v38, 0xff, v51
	v_dual_cndmask_b32 v37, 0, v45, s13 :: v_dual_cndmask_b32 v36, 0, v44, s13
	s_delay_alu instid0(VALU_DEP_2) | instskip(SKIP_1) | instid1(VALU_DEP_2)
	v_cmp_eq_u16_e64 s13, 0, v38
	s_wait_dscnt 0x0
	v_add_nc_u64_e32 v[40:41], v[36:37], v[40:41]
	ds_load_2addr_b64 v[36:39], v34 offset0:10 offset1:12
	v_dual_cndmask_b32 v47, 0, v41, s13 :: v_dual_cndmask_b32 v46, 0, v40, s13
	v_cmp_eq_u16_e64 s13, 0, v55
	v_and_b32_e32 v55, 0xff, v53
	s_delay_alu instid0(VALU_DEP_3) | instskip(NEXT) | instid1(VALU_DEP_1)
	v_add_nc_u64_e32 v[42:43], v[46:47], v[42:43]
	v_dual_cndmask_b32 v47, 0, v43, s13 :: v_dual_cndmask_b32 v46, 0, v42, s13
	s_delay_alu instid0(VALU_DEP_3) | instskip(SKIP_4) | instid1(VALU_DEP_3)
	v_cmp_eq_u16_e64 s13, 0, v55
	v_or_b32_e32 v55, v48, v35
	v_bitop3_b16 v35, v49, v48, v35 bitop3:0xfe
	s_wait_dscnt 0x0
	v_add_nc_u64_e32 v[36:37], v[46:47], v[36:37]
	v_bitop3_b16 v48, v50, v49, v55 bitop3:0xfe
	v_bitop3_b16 v49, v49, 1, v55 bitop3:0xc8
	;; [unrolled: 1-line block ×4, first 2 shown]
	v_dual_cndmask_b32 v47, 0, v37, s13 :: v_dual_cndmask_b32 v46, 0, v36, s13
	v_cmp_eq_u16_e64 s13, 0, v54
	s_delay_alu instid0(VALU_DEP_3) | instskip(SKIP_1) | instid1(VALU_DEP_4)
	v_bitop3_b16 v50, v53, v52, v35 bitop3:0xfe
	v_bitop3_b16 v35, v52, 1, v35 bitop3:0xc8
	v_add_nc_u64_e32 v[38:39], v[46:47], v[38:39]
	v_bitop3_b16 v46, v52, v51, v48 bitop3:0xfe
	v_bitop3_b16 v48, v51, 1, v48 bitop3:0xc8
	ds_store_2addr_b64 v34, v[20:21], v[44:45] offset0:2 offset1:4
	ds_store_2addr_b64 v34, v[40:41], v[42:43] offset0:6 offset1:8
	;; [unrolled: 1-line block ×3, first 2 shown]
	v_bitop3_b16 v51, v53, 1, v46 bitop3:0xc8
	v_dual_cndmask_b32 v47, 0, v39, s13 :: v_dual_cndmask_b32 v46, 0, v38, s13
	v_bitop3_b16 v50, v54, 1, v50 bitop3:0xc8
	s_delay_alu instid0(VALU_DEP_2)
	v_add_nc_u64_e32 v[20:21], v[46:47], v[32:33]
	ds_store_b8 v34, v56 offset:24
	ds_store_b8 v34, v49 offset:40
	;; [unrolled: 1-line block ×6, first 2 shown]
	ds_store_b64 v34, v[20:21] offset:112
	ds_store_b8 v34, v50 offset:120
.LBB5_115:
	s_or_b32 exec_lo, exec_lo, s16
	v_cmp_eq_u32_e64 s13, 0, v0
	s_mov_b32 s15, exec_lo
	s_wait_dscnt 0x0
	s_barrier_signal -1
	s_barrier_wait -1
	v_cmpx_ne_u32_e32 0, v0
	s_cbranch_execz .LBB5_117
; %bb.116:
	v_add_nc_u32_e32 v4, -1, v0
	s_and_not1_b32 s16, s18, exec_lo
	s_delay_alu instid0(VALU_DEP_1) | instskip(NEXT) | instid1(VALU_DEP_1)
	v_lshrrev_b32_e32 v5, 1, v4
	v_and_b32_e32 v5, 0x7ffffff0, v5
	s_delay_alu instid0(VALU_DEP_1) | instskip(SKIP_4) | instid1(VALU_DEP_1)
	v_lshl_add_u32 v4, v4, 4, v5
	ds_load_u8 v20, v4 offset:8
	ds_load_b64 v[4:5], v4
	s_wait_dscnt 0x1
	v_and_b32_e32 v20, 1, v20
	v_cmp_eq_u32_e64 s14, 1, v20
	s_and_b32 s14, s14, exec_lo
	s_delay_alu instid0(SALU_CYCLE_1)
	s_or_b32 s18, s16, s14
.LBB5_117:
	s_or_b32 exec_lo, exec_lo, s15
	s_and_saveexec_b32 s19, vcc_lo
	s_cbranch_execz .LBB5_205
; %bb.118:
	v_mov_b32_e32 v35, 0
	v_mbcnt_lo_u32_b32 v39, -1, 0
	s_mov_b32 s17, 0
	ds_load_b64 v[20:21], v35 offset:4192
	ds_load_u8 v38, v35 offset:4200
	v_cmp_eq_u32_e64 s14, 0, v39
	s_and_saveexec_b32 s15, s14
	s_cbranch_execz .LBB5_120
; %bb.119:
	s_add_co_i32 s16, s22, 32
	s_delay_alu instid0(SALU_CYCLE_1) | instskip(SKIP_1) | instid1(SALU_CYCLE_1)
	v_dual_mov_b32 v32, 1 :: v_dual_mov_b32 v33, s16
	s_lshl_b64 s[20:21], s[16:17], 4
	s_add_nc_u64 s[16:17], s[36:37], s[20:21]
	s_wait_dscnt 0x1
	global_store_b64 v35, v[20:21], s[16:17]
	s_wait_dscnt 0x0
	global_store_b8 v35, v38, s[16:17] offset:8
	global_wb scope:SCOPE_DEV
	s_wait_storecnt 0x0
	global_inv scope:SCOPE_DEV
	s_wait_xcnt 0x0
	global_store_b8 v33, v32, s[40:41] scope:SCOPE_DEV
.LBB5_120:
	s_wait_xcnt 0x0
	s_or_b32 exec_lo, exec_lo, s15
	v_xad_u32 v32, v39, -1, s22
	s_mov_b32 s15, exec_lo
	s_delay_alu instid0(VALU_DEP_1)
	v_add_nc_u32_e32 v34, 32, v32
	global_load_u8 v40, v34, s[40:41] scope:SCOPE_DEV
	s_wait_loadcnt 0x0
	v_cmpx_eq_u16_e32 0, v40
	s_cbranch_execz .LBB5_124
; %bb.121:
	v_add_nc_u64_e32 v[36:37], s[40:41], v[34:35]
	s_mov_b32 s16, 0
.LBB5_122:                              ; =>This Inner Loop Header: Depth=1
	global_load_u8 v40, v[36:37], off scope:SCOPE_DEV
	s_wait_loadcnt 0x0
	v_cmp_ne_u16_e32 vcc_lo, 0, v40
	s_or_b32 s16, vcc_lo, s16
	s_wait_xcnt 0x0
	s_and_not1_b32 exec_lo, exec_lo, s16
	s_cbranch_execnz .LBB5_122
; %bb.123:
	s_or_b32 exec_lo, exec_lo, s16
.LBB5_124:
	s_delay_alu instid0(SALU_CYCLE_1)
	s_or_b32 exec_lo, exec_lo, s15
	v_dual_mov_b32 v33, s37 :: v_dual_mov_b32 v36, s36
	v_cmp_eq_u16_e32 vcc_lo, 1, v40
	global_wb scope:SCOPE_DEV
	s_wait_storecnt_dscnt 0x0
	global_inv scope:SCOPE_DEV
	v_lshlrev_b32_e64 v42, v39, -1
	s_mov_b32 s15, exec_lo
	v_cndmask_b32_e32 v37, s39, v33, vcc_lo
	v_cndmask_b32_e32 v36, s38, v36, vcc_lo
	v_cmp_ne_u32_e32 vcc_lo, 31, v39
	v_add_co_ci_u32_e64 v33, null, 0, v39, vcc_lo
	v_cmp_eq_u16_e32 vcc_lo, 2, v40
	s_delay_alu instid0(VALU_DEP_2)
	v_lshlrev_b32_e32 v41, 2, v33
	v_lshl_add_u64 v[34:35], v[34:35], 4, v[36:37]
	s_clause 0x1
	global_load_u8 v52, v[34:35], off offset:8
	global_load_b64 v[36:37], v[34:35], off
	v_and_or_b32 v33, vcc_lo, v42, 0x80000000
	s_delay_alu instid0(VALU_DEP_1)
	v_ctz_i32_b32_e32 v33, v33
	s_wait_loadcnt 0x1
	s_wait_xcnt 0x0
	v_and_b32_e32 v34, 1, v52
	s_wait_loadcnt 0x0
	ds_bpermute_b32 v43, v41, v36
	ds_bpermute_b32 v44, v41, v37
	;; [unrolled: 1-line block ×3, first 2 shown]
	v_cmpx_lt_u32_e64 v39, v33
	s_cbranch_execz .LBB5_126
; %bb.125:
	v_and_b32_e32 v34, 0xff, v52
	s_wait_dscnt 0x0
	v_bitop3_b16 v52, v35, v52, 1 bitop3:0xec
	s_delay_alu instid0(VALU_DEP_2) | instskip(NEXT) | instid1(VALU_DEP_2)
	v_cmp_eq_u16_e32 vcc_lo, 0, v34
	v_and_b32_e32 v34, 0xff, v52
	v_dual_cndmask_b32 v45, 0, v44 :: v_dual_cndmask_b32 v44, 0, v43
	s_delay_alu instid0(VALU_DEP_1)
	v_add_nc_u64_e32 v[36:37], v[44:45], v[36:37]
.LBB5_126:
	s_or_b32 exec_lo, exec_lo, s15
	v_cmp_gt_u32_e32 vcc_lo, 30, v39
	s_wait_dscnt 0x1
	v_add_nc_u32_e32 v44, 2, v39
	s_mov_b32 s16, exec_lo
	s_wait_dscnt 0x0
	v_cndmask_b32_e64 v35, 0, 2, vcc_lo
	s_delay_alu instid0(VALU_DEP_1)
	v_add_lshl_u32 v43, v35, v39, 2
	ds_bpermute_b32 v35, v43, v36
	ds_bpermute_b32 v45, v43, v37
	ds_bpermute_b32 v46, v43, v34
	v_cmpx_le_u32_e64 v44, v33
	s_cbranch_execz .LBB5_128
; %bb.127:
	v_and_b32_e32 v34, 0xff, v52
	s_delay_alu instid0(VALU_DEP_1) | instskip(SKIP_4) | instid1(VALU_DEP_3)
	v_cmp_eq_u16_e32 vcc_lo, 0, v34
	v_and_b32_e32 v48, 1, v52
	s_wait_dscnt 0x0
	v_dual_cndmask_b32 v46, 0, v35, vcc_lo :: v_dual_bitop2_b32 v34, 1, v46 bitop3:0x40
	v_cndmask_b32_e32 v47, 0, v45, vcc_lo
	v_cmp_eq_u32_e64 s15, 1, v48
	s_delay_alu instid0(VALU_DEP_3) | instskip(NEXT) | instid1(VALU_DEP_3)
	v_cmp_eq_u32_e32 vcc_lo, 1, v34
	v_add_nc_u64_e32 v[36:37], v[46:47], v[36:37]
	s_or_b32 s15, s15, vcc_lo
	s_delay_alu instid0(SALU_CYCLE_1)
	v_cndmask_b32_e64 v52, 0, 1, s15
	v_cndmask_b32_e64 v34, 0, 1, s15
.LBB5_128:
	s_or_b32 exec_lo, exec_lo, s16
	v_cmp_gt_u32_e32 vcc_lo, 28, v39
	s_wait_dscnt 0x0
	v_add_nc_u32_e32 v46, 4, v39
	s_mov_b32 s16, exec_lo
	v_cndmask_b32_e64 v35, 0, 4, vcc_lo
	s_delay_alu instid0(VALU_DEP_1)
	v_add_lshl_u32 v45, v35, v39, 2
	ds_bpermute_b32 v35, v45, v36
	ds_bpermute_b32 v47, v45, v37
	;; [unrolled: 1-line block ×3, first 2 shown]
	v_cmpx_le_u32_e64 v46, v33
	s_cbranch_execz .LBB5_130
; %bb.129:
	v_and_b32_e32 v34, 0xff, v52
	s_delay_alu instid0(VALU_DEP_1) | instskip(SKIP_4) | instid1(VALU_DEP_3)
	v_cmp_eq_u16_e32 vcc_lo, 0, v34
	v_and_b32_e32 v50, 1, v52
	s_wait_dscnt 0x0
	v_dual_cndmask_b32 v48, 0, v35, vcc_lo :: v_dual_bitop2_b32 v34, 1, v48 bitop3:0x40
	v_cndmask_b32_e32 v49, 0, v47, vcc_lo
	v_cmp_eq_u32_e64 s15, 1, v50
	s_delay_alu instid0(VALU_DEP_3) | instskip(NEXT) | instid1(VALU_DEP_3)
	v_cmp_eq_u32_e32 vcc_lo, 1, v34
	v_add_nc_u64_e32 v[36:37], v[48:49], v[36:37]
	s_or_b32 s15, s15, vcc_lo
	s_delay_alu instid0(SALU_CYCLE_1)
	v_cndmask_b32_e64 v52, 0, 1, s15
	v_cndmask_b32_e64 v34, 0, 1, s15
.LBB5_130:
	s_or_b32 exec_lo, exec_lo, s16
	v_cmp_gt_u32_e32 vcc_lo, 24, v39
	s_wait_dscnt 0x0
	v_add_nc_u32_e32 v48, 8, v39
	s_mov_b32 s16, exec_lo
	v_cndmask_b32_e64 v35, 0, 8, vcc_lo
	s_delay_alu instid0(VALU_DEP_1)
	v_add_lshl_u32 v47, v35, v39, 2
	ds_bpermute_b32 v35, v47, v36
	ds_bpermute_b32 v49, v47, v37
	;; [unrolled: 1-line block ×3, first 2 shown]
	v_cmpx_le_u32_e64 v48, v33
	s_cbranch_execz .LBB5_132
; %bb.131:
	v_and_b32_e32 v34, 0xff, v52
	s_delay_alu instid0(VALU_DEP_1) | instskip(SKIP_4) | instid1(VALU_DEP_3)
	v_cmp_eq_u16_e32 vcc_lo, 0, v34
	v_and_b32_e32 v52, 1, v52
	s_wait_dscnt 0x0
	v_dual_cndmask_b32 v50, 0, v35, vcc_lo :: v_dual_bitop2_b32 v34, 1, v50 bitop3:0x40
	v_cndmask_b32_e32 v51, 0, v49, vcc_lo
	v_cmp_eq_u32_e64 s15, 1, v52
	s_delay_alu instid0(VALU_DEP_3) | instskip(NEXT) | instid1(VALU_DEP_3)
	v_cmp_eq_u32_e32 vcc_lo, 1, v34
	v_add_nc_u64_e32 v[36:37], v[50:51], v[36:37]
	s_or_b32 s15, s15, vcc_lo
	s_delay_alu instid0(SALU_CYCLE_1)
	v_cndmask_b32_e64 v52, 0, 1, s15
	v_cndmask_b32_e64 v34, 0, 1, s15
.LBB5_132:
	s_or_b32 exec_lo, exec_lo, s16
	s_wait_dscnt 0x1
	v_lshl_or_b32 v49, v39, 2, 64
	v_add_nc_u32_e32 v51, 16, v39
	s_mov_b32 s16, exec_lo
	ds_bpermute_b32 v35, v49, v36
	s_wait_dscnt 0x1
	ds_bpermute_b32 v50, v49, v37
	ds_bpermute_b32 v34, v49, v34
	v_cmpx_le_u32_e64 v51, v33
	s_cbranch_execz .LBB5_134
; %bb.133:
	v_and_b32_e32 v33, 0xff, v52
	s_delay_alu instid0(VALU_DEP_1) | instskip(SKIP_4) | instid1(VALU_DEP_3)
	v_cmp_eq_u16_e32 vcc_lo, 0, v33
	v_and_b32_e32 v33, 1, v52
	s_wait_dscnt 0x0
	v_dual_cndmask_b32 v52, 0, v35, vcc_lo :: v_dual_bitop2_b32 v34, 1, v34 bitop3:0x40
	v_cndmask_b32_e32 v53, 0, v50, vcc_lo
	v_cmp_eq_u32_e32 vcc_lo, 1, v33
	s_delay_alu instid0(VALU_DEP_3) | instskip(NEXT) | instid1(VALU_DEP_3)
	v_cmp_eq_u32_e64 s15, 1, v34
	v_add_nc_u64_e32 v[36:37], v[52:53], v[36:37]
	s_or_b32 s15, vcc_lo, s15
	s_delay_alu instid0(SALU_CYCLE_1)
	v_cndmask_b32_e64 v52, 0, 1, s15
.LBB5_134:
	s_or_b32 exec_lo, exec_lo, s16
	v_mov_b32_e32 v33, 0
	s_branch .LBB5_137
.LBB5_135:                              ;   in Loop: Header=BB5_137 Depth=1
	s_or_b32 exec_lo, exec_lo, s17
	v_and_b32_e32 v52, 0xff, v50
	v_subrev_nc_u32_e32 v32, 32, v32
	s_delay_alu instid0(VALU_DEP_2) | instskip(SKIP_2) | instid1(VALU_DEP_2)
	v_cmp_eq_u16_e32 vcc_lo, 0, v52
	v_dual_cndmask_b32 v37, 0, v37, vcc_lo :: v_dual_bitop2_b32 v52, 1, v50 bitop3:0x40
	v_cndmask_b32_e32 v36, 0, v36, vcc_lo
	v_cmp_eq_u32_e32 vcc_lo, 1, v52
	s_delay_alu instid0(VALU_DEP_2) | instskip(SKIP_1) | instid1(SALU_CYCLE_1)
	v_add_nc_u64_e32 v[36:37], v[36:37], v[34:35]
	s_or_b32 s15, vcc_lo, s16
	v_cndmask_b32_e64 v52, 0, 1, s15
	s_mov_b32 s15, 0
.LBB5_136:                              ;   in Loop: Header=BB5_137 Depth=1
	s_delay_alu instid0(SALU_CYCLE_1)
	s_and_b32 vcc_lo, exec_lo, s15
	s_cbranch_vccnz .LBB5_201
.LBB5_137:                              ; =>This Loop Header: Depth=1
                                        ;     Child Loop BB5_140 Depth 2
	s_wait_dscnt 0x0
	v_and_b32_e32 v34, 0xff, v40
	v_mov_b32_e32 v50, v52
	s_mov_b32 s15, -1
                                        ; implicit-def: $vgpr52
                                        ; implicit-def: $vgpr40
	s_delay_alu instid0(VALU_DEP_2)
	v_cmp_ne_u16_e32 vcc_lo, 2, v34
	v_mov_b64_e32 v[34:35], v[36:37]
                                        ; implicit-def: $vgpr36_vgpr37
	s_cmp_lg_u32 vcc_lo, exec_lo
	s_cbranch_scc1 .LBB5_136
; %bb.138:                              ;   in Loop: Header=BB5_137 Depth=1
	global_load_u8 v40, v32, s[40:41] scope:SCOPE_DEV
	s_mov_b32 s15, exec_lo
	s_wait_loadcnt 0x0
	v_cmpx_eq_u16_e32 0, v40
	s_cbranch_execz .LBB5_142
; %bb.139:                              ;   in Loop: Header=BB5_137 Depth=1
	v_add_nc_u64_e32 v[36:37], s[40:41], v[32:33]
	s_mov_b32 s16, 0
.LBB5_140:                              ;   Parent Loop BB5_137 Depth=1
                                        ; =>  This Inner Loop Header: Depth=2
	global_load_u8 v40, v[36:37], off scope:SCOPE_DEV
	s_wait_loadcnt 0x0
	v_cmp_ne_u16_e32 vcc_lo, 0, v40
	s_or_b32 s16, vcc_lo, s16
	s_delay_alu instid0(SALU_CYCLE_1)
	s_and_not1_b32 exec_lo, exec_lo, s16
	s_cbranch_execnz .LBB5_140
; %bb.141:                              ;   in Loop: Header=BB5_137 Depth=1
	s_or_b32 exec_lo, exec_lo, s16
.LBB5_142:                              ;   in Loop: Header=BB5_137 Depth=1
	s_delay_alu instid0(SALU_CYCLE_1)
	s_or_b32 exec_lo, exec_lo, s15
	v_dual_mov_b32 v36, s37 :: v_dual_mov_b32 v52, s36
	v_cmp_eq_u16_e32 vcc_lo, 1, v40
	global_wb scope:SCOPE_DEV
	s_wait_storecnt 0x0
	global_inv scope:SCOPE_DEV
	s_mov_b32 s15, exec_lo
	v_cndmask_b32_e32 v37, s39, v36, vcc_lo
	v_cndmask_b32_e32 v36, s38, v52, vcc_lo
	v_cmp_eq_u16_e32 vcc_lo, 2, v40
	s_delay_alu instid0(VALU_DEP_2)
	v_lshl_add_u64 v[54:55], v[32:33], 4, v[36:37]
	v_and_or_b32 v52, vcc_lo, v42, 0x80000000
	s_clause 0x1
	global_load_u8 v53, v[54:55], off offset:8
	global_load_b64 v[36:37], v[54:55], off
	v_ctz_i32_b32_e32 v52, v52
	s_wait_loadcnt 0x1
	s_wait_xcnt 0x0
	v_and_b32_e32 v54, 1, v53
	s_wait_loadcnt 0x0
	ds_bpermute_b32 v56, v41, v36
	ds_bpermute_b32 v57, v41, v37
	;; [unrolled: 1-line block ×3, first 2 shown]
	v_cmpx_lt_u32_e64 v39, v52
	s_cbranch_execz .LBB5_144
; %bb.143:                              ;   in Loop: Header=BB5_137 Depth=1
	v_and_b32_e32 v54, 0xff, v53
	s_wait_dscnt 0x0
	v_bitop3_b16 v53, v55, v53, 1 bitop3:0xec
	s_delay_alu instid0(VALU_DEP_2) | instskip(NEXT) | instid1(VALU_DEP_2)
	v_cmp_eq_u16_e32 vcc_lo, 0, v54
	v_and_b32_e32 v54, 0xff, v53
	v_dual_cndmask_b32 v57, 0, v57 :: v_dual_cndmask_b32 v56, 0, v56
	s_delay_alu instid0(VALU_DEP_1)
	v_add_nc_u64_e32 v[36:37], v[56:57], v[36:37]
.LBB5_144:                              ;   in Loop: Header=BB5_137 Depth=1
	s_or_b32 exec_lo, exec_lo, s15
	s_wait_dscnt 0x0
	ds_bpermute_b32 v55, v43, v36
	ds_bpermute_b32 v56, v43, v37
	;; [unrolled: 1-line block ×3, first 2 shown]
	v_and_b32_e32 v58, 1, v53
	s_mov_b32 s15, exec_lo
	s_delay_alu instid0(VALU_DEP_1)
	v_cmp_eq_u32_e64 s16, 1, v58
	v_cmpx_le_u32_e64 v44, v52
	s_cbranch_execz .LBB5_146
; %bb.145:                              ;   in Loop: Header=BB5_137 Depth=1
	v_and_b32_e32 v53, 0xff, v53
	s_delay_alu instid0(VALU_DEP_1) | instskip(SKIP_3) | instid1(VALU_DEP_2)
	v_cmp_eq_u16_e32 vcc_lo, 0, v53
	s_wait_dscnt 0x0
	v_dual_cndmask_b32 v57, 0, v56, vcc_lo :: v_dual_bitop2_b32 v53, 1, v57 bitop3:0x40
	v_cndmask_b32_e32 v56, 0, v55, vcc_lo
	v_cmp_eq_u32_e32 vcc_lo, 1, v53
	s_delay_alu instid0(VALU_DEP_2)
	v_add_nc_u64_e32 v[36:37], v[56:57], v[36:37]
	s_or_b32 s17, s16, vcc_lo
	s_and_not1_b32 s16, s16, exec_lo
	v_cndmask_b32_e64 v53, 0, 1, s17
	v_cndmask_b32_e64 v54, 0, 1, s17
	s_and_b32 s17, s17, exec_lo
	s_delay_alu instid0(SALU_CYCLE_1)
	s_or_b32 s16, s16, s17
.LBB5_146:                              ;   in Loop: Header=BB5_137 Depth=1
	s_or_b32 exec_lo, exec_lo, s15
	s_wait_dscnt 0x2
	ds_bpermute_b32 v55, v45, v36
	s_wait_dscnt 0x2
	ds_bpermute_b32 v56, v45, v37
	;; [unrolled: 2-line block ×3, first 2 shown]
	s_mov_b32 s17, exec_lo
	v_cmpx_le_u32_e64 v46, v52
	s_cbranch_execz .LBB5_148
; %bb.147:                              ;   in Loop: Header=BB5_137 Depth=1
	v_and_b32_e32 v54, 0xff, v53
	s_and_not1_b32 s16, s16, exec_lo
	s_delay_alu instid0(VALU_DEP_1) | instskip(SKIP_3) | instid1(VALU_DEP_2)
	v_cmp_eq_u16_e32 vcc_lo, 0, v54
	v_and_b32_e32 v53, 1, v53
	s_wait_dscnt 0x0
	v_dual_cndmask_b32 v57, 0, v56, vcc_lo :: v_dual_bitop2_b32 v54, 1, v57 bitop3:0x40
	v_cmp_eq_u32_e64 s15, 1, v53
	v_cndmask_b32_e32 v56, 0, v55, vcc_lo
	s_delay_alu instid0(VALU_DEP_3) | instskip(NEXT) | instid1(VALU_DEP_2)
	v_cmp_eq_u32_e32 vcc_lo, 1, v54
	v_add_nc_u64_e32 v[36:37], v[56:57], v[36:37]
	s_or_b32 s15, s15, vcc_lo
	s_delay_alu instid0(SALU_CYCLE_1) | instskip(SKIP_2) | instid1(SALU_CYCLE_1)
	v_cndmask_b32_e64 v53, 0, 1, s15
	v_cndmask_b32_e64 v54, 0, 1, s15
	s_and_b32 s15, s15, exec_lo
	s_or_b32 s16, s16, s15
.LBB5_148:                              ;   in Loop: Header=BB5_137 Depth=1
	s_or_b32 exec_lo, exec_lo, s17
	s_wait_dscnt 0x2
	ds_bpermute_b32 v55, v47, v36
	s_wait_dscnt 0x2
	ds_bpermute_b32 v56, v47, v37
	;; [unrolled: 2-line block ×3, first 2 shown]
	s_mov_b32 s17, exec_lo
	v_cmpx_le_u32_e64 v48, v52
	s_cbranch_execz .LBB5_150
; %bb.149:                              ;   in Loop: Header=BB5_137 Depth=1
	v_and_b32_e32 v54, 0xff, v53
	s_and_not1_b32 s16, s16, exec_lo
	s_delay_alu instid0(VALU_DEP_1) | instskip(SKIP_3) | instid1(VALU_DEP_2)
	v_cmp_eq_u16_e32 vcc_lo, 0, v54
	v_and_b32_e32 v53, 1, v53
	s_wait_dscnt 0x0
	v_dual_cndmask_b32 v57, 0, v56, vcc_lo :: v_dual_bitop2_b32 v54, 1, v57 bitop3:0x40
	v_cmp_eq_u32_e64 s15, 1, v53
	v_cndmask_b32_e32 v56, 0, v55, vcc_lo
	s_delay_alu instid0(VALU_DEP_3) | instskip(NEXT) | instid1(VALU_DEP_2)
	v_cmp_eq_u32_e32 vcc_lo, 1, v54
	v_add_nc_u64_e32 v[36:37], v[56:57], v[36:37]
	s_or_b32 s15, s15, vcc_lo
	s_delay_alu instid0(SALU_CYCLE_1) | instskip(SKIP_2) | instid1(SALU_CYCLE_1)
	v_cndmask_b32_e64 v53, 0, 1, s15
	v_cndmask_b32_e64 v54, 0, 1, s15
	s_and_b32 s15, s15, exec_lo
	s_or_b32 s16, s16, s15
.LBB5_150:                              ;   in Loop: Header=BB5_137 Depth=1
	s_or_b32 exec_lo, exec_lo, s17
	s_wait_dscnt 0x2
	ds_bpermute_b32 v55, v49, v36
	s_wait_dscnt 0x2
	ds_bpermute_b32 v56, v49, v37
	ds_bpermute_b32 v54, v49, v54
	s_mov_b32 s17, exec_lo
	v_cmpx_le_u32_e64 v51, v52
	s_cbranch_execz .LBB5_135
; %bb.151:                              ;   in Loop: Header=BB5_137 Depth=1
	v_and_b32_e32 v52, 0xff, v53
	s_and_not1_b32 s16, s16, exec_lo
	s_delay_alu instid0(VALU_DEP_1)
	v_cmp_eq_u16_e32 vcc_lo, 0, v52
	s_wait_dscnt 0x3
	v_and_b32_e32 v57, 1, v53
	s_wait_dscnt 0x0
	v_dual_cndmask_b32 v52, 0, v55, vcc_lo :: v_dual_bitop2_b32 v54, 1, v54 bitop3:0x40
	v_cndmask_b32_e32 v53, 0, v56, vcc_lo
	s_delay_alu instid0(VALU_DEP_3) | instskip(NEXT) | instid1(VALU_DEP_3)
	v_cmp_eq_u32_e32 vcc_lo, 1, v57
	v_cmp_eq_u32_e64 s15, 1, v54
	s_delay_alu instid0(VALU_DEP_3) | instskip(SKIP_1) | instid1(SALU_CYCLE_1)
	v_add_nc_u64_e32 v[36:37], v[52:53], v[36:37]
	s_or_b32 s15, vcc_lo, s15
	s_and_b32 s15, s15, exec_lo
	s_delay_alu instid0(SALU_CYCLE_1)
	s_or_b32 s16, s16, s15
	s_branch .LBB5_135
.LBB5_152:
                                        ; implicit-def: $vgpr58_vgpr59
                                        ; implicit-def: $vgpr54_vgpr55
                                        ; implicit-def: $vgpr50_vgpr51
                                        ; implicit-def: $vgpr46_vgpr47
                                        ; implicit-def: $vgpr42_vgpr43
                                        ; implicit-def: $vgpr38_vgpr39
                                        ; implicit-def: $vgpr34_vgpr35
	s_cbranch_execnz .LBB5_206
.LBB5_153:
	s_add_nc_u64 s[0:1], s[26:27], s[34:35]
	s_and_b32 vcc_lo, exec_lo, s23
	s_add_nc_u64 s[0:1], s[0:1], s[24:25]
	s_cbranch_vccz .LBB5_225
.LBB5_154:
	v_mul_u32_u24_e32 v1, 14, v0
	s_add_co_i32 s30, s30, s42
	s_mov_b32 s2, exec_lo
	s_delay_alu instid0(VALU_DEP_1)
	v_cmpx_gt_u32_e64 s30, v1
	s_cbranch_execz .LBB5_174
; %bb.155:
	v_or_b32_e32 v2, 1, v1
	s_mov_b32 s3, exec_lo
	s_delay_alu instid0(VALU_DEP_1)
	v_cmpx_gt_u32_e64 s30, v2
	s_cbranch_execz .LBB5_173
; %bb.156:
	v_add_nc_u32_e32 v2, 2, v1
	s_mov_b32 s4, exec_lo
	s_delay_alu instid0(VALU_DEP_1)
	v_cmpx_gt_u32_e64 s30, v2
	s_cbranch_execz .LBB5_172
; %bb.157:
	v_add_nc_u32_e32 v2, 3, v1
	;; [unrolled: 6-line block ×8, first 2 shown]
	s_mov_b32 s11, exec_lo
	s_delay_alu instid0(VALU_DEP_1)
	v_cmpx_gt_u32_e64 s30, v2
; %bb.164:
	v_add_nc_u32_e32 v2, 10, v1
	s_mov_b32 s12, exec_lo
	s_delay_alu instid0(VALU_DEP_1)
	v_cmpx_gt_u32_e64 s30, v2
	s_or_b32 exec_lo, exec_lo, s12
; %bb.165:
	s_delay_alu instid0(SALU_CYCLE_1)
	s_or_b32 exec_lo, exec_lo, s11
.LBB5_166:
	s_delay_alu instid0(SALU_CYCLE_1)
	s_or_b32 exec_lo, exec_lo, s10
.LBB5_167:
	s_delay_alu instid0(SALU_CYCLE_1)
	s_or_b32 exec_lo, exec_lo, s9
.LBB5_168:
	s_delay_alu instid0(SALU_CYCLE_1)
	s_or_b32 exec_lo, exec_lo, s8
.LBB5_169:
	s_delay_alu instid0(SALU_CYCLE_1)
	s_or_b32 exec_lo, exec_lo, s7
.LBB5_170:
	s_delay_alu instid0(SALU_CYCLE_1)
	s_or_b32 exec_lo, exec_lo, s6
.LBB5_171:
	s_delay_alu instid0(SALU_CYCLE_1)
	s_or_b32 exec_lo, exec_lo, s5
.LBB5_172:
	s_delay_alu instid0(SALU_CYCLE_1)
	s_or_b32 exec_lo, exec_lo, s4
.LBB5_173:
	s_delay_alu instid0(SALU_CYCLE_1)
	s_or_b32 exec_lo, exec_lo, s3
.LBB5_174:
	s_delay_alu instid0(SALU_CYCLE_1)
	s_or_b32 exec_lo, exec_lo, s2
	v_dual_lshlrev_b32 v1, 3, v1 :: v_dual_mov_b32 v65, 0
	s_wait_loadcnt 0x0
	s_wait_storecnt 0x0
	s_barrier_signal -1
	s_barrier_wait -1
	v_mad_i32_i24 v2, 0xffffff98, v0, v1
	ds_store_b128 v1, v[32:35]
	ds_store_b128 v1, v[36:39] offset:16
	ds_store_b128 v1, v[40:43] offset:32
	;; [unrolled: 1-line block ×6, first 2 shown]
	s_wait_dscnt 0x0
	s_barrier_signal -1
	s_barrier_wait -1
	ds_load_2addr_stride64_b64 v[26:29], v2 offset0:4 offset1:8
	ds_load_2addr_stride64_b64 v[22:25], v2 offset0:12 offset1:16
	;; [unrolled: 1-line block ×6, first 2 shown]
	ds_load_b64 v[4:5], v2 offset:26624
	v_add_nc_u64_e32 v[2:3], s[0:1], v[64:65]
	s_mov_b32 s2, exec_lo
	v_cmpx_gt_u32_e64 s30, v0
	s_cbranch_execz .LBB5_176
; %bb.175:
	v_mul_i32_i24_e32 v30, 0xffffff98, v0
	s_delay_alu instid0(VALU_DEP_1)
	v_add_nc_u32_e32 v1, v1, v30
	ds_load_b64 v[30:31], v1
	s_wait_dscnt 0x0
	flat_store_b64 v[2:3], v[30:31]
.LBB5_176:
	s_wait_xcnt 0x0
	s_or_b32 exec_lo, exec_lo, s2
	v_or_b32_e32 v1, 0x100, v0
	s_mov_b32 s2, exec_lo
	s_delay_alu instid0(VALU_DEP_1)
	v_cmpx_gt_u32_e64 s30, v1
	s_cbranch_execz .LBB5_178
; %bb.177:
	s_wait_dscnt 0x6
	flat_store_b64 v[2:3], v[26:27] offset:2048
.LBB5_178:
	s_wait_xcnt 0x0
	s_or_b32 exec_lo, exec_lo, s2
	v_or_b32_e32 v1, 0x200, v0
	s_mov_b32 s2, exec_lo
	s_delay_alu instid0(VALU_DEP_1)
	v_cmpx_gt_u32_e64 s30, v1
	s_cbranch_execz .LBB5_180
; %bb.179:
	s_wait_dscnt 0x6
	flat_store_b64 v[2:3], v[28:29] offset:4096
.LBB5_180:
	s_wait_xcnt 0x0
	s_or_b32 exec_lo, exec_lo, s2
	v_or_b32_e32 v1, 0x300, v0
	s_mov_b32 s2, exec_lo
	s_delay_alu instid0(VALU_DEP_1)
	v_cmpx_gt_u32_e64 s30, v1
	s_cbranch_execz .LBB5_182
; %bb.181:
	s_wait_dscnt 0x5
	flat_store_b64 v[2:3], v[22:23] offset:6144
.LBB5_182:
	s_wait_xcnt 0x0
	s_or_b32 exec_lo, exec_lo, s2
	v_or_b32_e32 v1, 0x400, v0
	s_mov_b32 s2, exec_lo
	s_delay_alu instid0(VALU_DEP_1)
	v_cmpx_gt_u32_e64 s30, v1
	s_cbranch_execz .LBB5_184
; %bb.183:
	s_wait_dscnt 0x5
	flat_store_b64 v[2:3], v[24:25] offset:8192
.LBB5_184:
	s_wait_xcnt 0x0
	s_or_b32 exec_lo, exec_lo, s2
	v_or_b32_e32 v1, 0x500, v0
	s_mov_b32 s2, exec_lo
	s_delay_alu instid0(VALU_DEP_1)
	v_cmpx_gt_u32_e64 s30, v1
	s_cbranch_execz .LBB5_186
; %bb.185:
	s_wait_dscnt 0x4
	flat_store_b64 v[2:3], v[18:19] offset:10240
.LBB5_186:
	s_wait_xcnt 0x0
	s_or_b32 exec_lo, exec_lo, s2
	v_or_b32_e32 v1, 0x600, v0
	s_mov_b32 s2, exec_lo
	s_delay_alu instid0(VALU_DEP_1)
	v_cmpx_gt_u32_e64 s30, v1
	s_cbranch_execz .LBB5_188
; %bb.187:
	s_wait_dscnt 0x4
	flat_store_b64 v[2:3], v[20:21] offset:12288
.LBB5_188:
	s_wait_xcnt 0x0
	s_or_b32 exec_lo, exec_lo, s2
	v_or_b32_e32 v1, 0x700, v0
	s_mov_b32 s2, exec_lo
	s_delay_alu instid0(VALU_DEP_1)
	v_cmpx_gt_u32_e64 s30, v1
	s_cbranch_execz .LBB5_190
; %bb.189:
	s_wait_dscnt 0x3
	flat_store_b64 v[2:3], v[14:15] offset:14336
.LBB5_190:
	s_wait_xcnt 0x0
	s_or_b32 exec_lo, exec_lo, s2
	v_or_b32_e32 v1, 0x800, v0
	s_mov_b32 s2, exec_lo
	s_delay_alu instid0(VALU_DEP_1)
	v_cmpx_gt_u32_e64 s30, v1
	s_cbranch_execz .LBB5_192
; %bb.191:
	s_wait_dscnt 0x3
	flat_store_b64 v[2:3], v[16:17] offset:16384
.LBB5_192:
	s_wait_xcnt 0x0
	s_or_b32 exec_lo, exec_lo, s2
	v_or_b32_e32 v1, 0x900, v0
	s_mov_b32 s2, exec_lo
	s_delay_alu instid0(VALU_DEP_1)
	v_cmpx_gt_u32_e64 s30, v1
	s_cbranch_execz .LBB5_194
; %bb.193:
	s_wait_dscnt 0x2
	flat_store_b64 v[2:3], v[10:11] offset:18432
.LBB5_194:
	s_wait_xcnt 0x0
	s_or_b32 exec_lo, exec_lo, s2
	v_or_b32_e32 v1, 0xa00, v0
	s_mov_b32 s2, exec_lo
	s_delay_alu instid0(VALU_DEP_1)
	v_cmpx_gt_u32_e64 s30, v1
	s_cbranch_execz .LBB5_196
; %bb.195:
	s_wait_dscnt 0x2
	flat_store_b64 v[2:3], v[12:13] offset:20480
.LBB5_196:
	s_wait_xcnt 0x0
	s_or_b32 exec_lo, exec_lo, s2
	v_or_b32_e32 v1, 0xb00, v0
	s_mov_b32 s2, exec_lo
	s_delay_alu instid0(VALU_DEP_1)
	v_cmpx_gt_u32_e64 s30, v1
	s_cbranch_execz .LBB5_198
; %bb.197:
	s_wait_dscnt 0x1
	flat_store_b64 v[2:3], v[6:7] offset:22528
.LBB5_198:
	s_wait_xcnt 0x0
	s_or_b32 exec_lo, exec_lo, s2
	v_or_b32_e32 v1, 0xc00, v0
	s_mov_b32 s2, exec_lo
	s_delay_alu instid0(VALU_DEP_1)
	v_cmpx_gt_u32_e64 s30, v1
	s_cbranch_execz .LBB5_200
; %bb.199:
	s_wait_dscnt 0x1
	flat_store_b64 v[2:3], v[8:9] offset:24576
.LBB5_200:
	s_wait_xcnt 0x0
	s_or_b32 exec_lo, exec_lo, s2
	v_or_b32_e32 v1, 0xd00, v0
	s_delay_alu instid0(VALU_DEP_1)
	v_cmp_gt_u32_e64 s2, s30, v1
	s_branch .LBB5_227
.LBB5_201:
	s_and_saveexec_b32 s15, s14
	s_cbranch_execz .LBB5_203
; %bb.202:
	v_and_b32_e32 v32, 0xff, v38
	s_add_co_i32 s16, s22, 32
	s_mov_b32 s17, 0
	v_mov_b32_e32 v37, s16
	v_bitop3_b16 v36, v38, 1, v50 bitop3:0xc8
	v_cmp_eq_u32_e32 vcc_lo, 0, v32
	s_lshl_b64 s[20:21], s[16:17], 4
	s_delay_alu instid0(SALU_CYCLE_1) | instskip(SKIP_1) | instid1(VALU_DEP_1)
	s_add_nc_u64 s[16:17], s[38:39], s[20:21]
	v_dual_cndmask_b32 v33, 0, v35 :: v_dual_cndmask_b32 v32, 0, v34
	v_add_nc_u64_e32 v[20:21], v[32:33], v[20:21]
	v_dual_mov_b32 v32, 0 :: v_dual_mov_b32 v33, 2
	s_clause 0x1
	global_store_b64 v32, v[20:21], s[16:17]
	global_store_b8 v32, v36, s[16:17] offset:8
	global_wb scope:SCOPE_DEV
	s_wait_storecnt_dscnt 0x0
	global_inv scope:SCOPE_DEV
	s_wait_xcnt 0x0
	global_store_b8 v37, v33, s[40:41] scope:SCOPE_DEV
.LBB5_203:
	s_wait_xcnt 0x0
	s_or_b32 exec_lo, exec_lo, s15
	s_delay_alu instid0(SALU_CYCLE_1)
	s_and_b32 exec_lo, exec_lo, s13
	s_cbranch_execz .LBB5_205
; %bb.204:
	v_mov_b32_e32 v20, 0
	ds_store_b64 v20, v[34:35]
	ds_store_b8 v20, v50 offset:8
.LBB5_205:
	s_or_b32 exec_lo, exec_lo, s19
	v_dual_mov_b32 v21, 0 :: v_dual_bitop2_b32 v20, 1, v1 bitop3:0x40
	s_wait_storecnt 0x0
	s_wait_loadcnt_dscnt 0x0
	s_barrier_signal -1
	s_barrier_wait -1
	v_cmp_eq_u32_e32 vcc_lo, 1, v20
	v_and_b32_e32 v32, 0xff, v1
	ds_load_b64 v[20:21], v21
	s_or_b32 s14, vcc_lo, s18
	v_cmp_eq_u16_e32 vcc_lo, 0, v32
	v_cndmask_b32_e64 v33, 0, 1, s14
	v_cndmask_b32_e32 v5, 0, v5, vcc_lo
	s_delay_alu instid0(VALU_DEP_2) | instskip(NEXT) | instid1(VALU_DEP_1)
	v_dual_cndmask_b32 v32, v33, v1, s13 :: v_dual_cndmask_b32 v4, 0, v4, vcc_lo
	v_and_b32_e32 v32, 0xff, v32
	s_delay_alu instid0(VALU_DEP_2) | instskip(NEXT) | instid1(VALU_DEP_2)
	v_cndmask_b32_e64 v4, v4, 0, s13
	v_cmp_eq_u16_e32 vcc_lo, 0, v32
	s_wait_dscnt 0x0
	v_cndmask_b32_e32 v20, 0, v20, vcc_lo
	v_cndmask_b32_e64 v5, v5, 0, s13
	v_cndmask_b32_e32 v21, 0, v21, vcc_lo
	s_delay_alu instid0(VALU_DEP_2) | instskip(NEXT) | instid1(VALU_DEP_1)
	v_add_nc_u64_e32 v[4:5], v[4:5], v[2:3]
	v_add_nc_u64_e32 v[32:33], v[4:5], v[20:21]
	s_delay_alu instid0(VALU_DEP_1) | instskip(NEXT) | instid1(VALU_DEP_1)
	v_dual_cndmask_b32 v5, 0, v33, s1 :: v_dual_cndmask_b32 v4, 0, v32, s1
	v_add_nc_u64_e32 v[34:35], v[4:5], v[6:7]
	s_delay_alu instid0(VALU_DEP_1) | instskip(NEXT) | instid1(VALU_DEP_1)
	v_dual_cndmask_b32 v5, 0, v35, s2 :: v_dual_cndmask_b32 v4, 0, v34, s2
	;; [unrolled: 3-line block ×13, first 2 shown]
	v_add_nc_u64_e32 v[58:59], v[4:5], v[8:9]
	s_branch .LBB5_153
.LBB5_206:
	s_cmp_lg_u64 s[28:29], 0
	v_cmp_eq_u32_e32 vcc_lo, 0, v0
	s_cselect_b32 s1, -1, 0
	s_cmp_lg_u64 s[46:47], 0
	v_cmp_ne_u32_e64 s0, 0, v0
	s_cselect_b32 s2, -1, 0
	s_delay_alu instid0(SALU_CYCLE_1) | instskip(NEXT) | instid1(SALU_CYCLE_1)
	s_and_b32 s1, s1, s2
	s_and_b32 s1, vcc_lo, s1
	s_delay_alu instid0(SALU_CYCLE_1)
	s_and_saveexec_b32 s2, s1
	s_cbranch_execz .LBB5_208
; %bb.207:
	v_mov_b32_e32 v20, 0
	s_clause 0x1
	global_load_b64 v[4:5], v20, s[46:47]
	global_load_u8 v21, v20, s[46:47] offset:8
	s_wait_xcnt 0x0
	v_and_b32_e32 v20, 0xff, v1
	s_delay_alu instid0(VALU_DEP_1) | instskip(SKIP_1) | instid1(VALU_DEP_1)
	v_cmp_eq_u16_e64 s1, 0, v20
	s_wait_loadcnt 0x1
	v_dual_cndmask_b32 v5, 0, v5, s1 :: v_dual_cndmask_b32 v4, 0, v4, s1
	s_wait_loadcnt 0x0
	v_bitop3_b16 v1, v1, 1, v21 bitop3:0xc8
	s_delay_alu instid0(VALU_DEP_2)
	v_add_nc_u64_e32 v[2:3], v[4:5], v[2:3]
.LBB5_208:
	s_or_b32 exec_lo, exec_lo, s2
	v_cmp_eq_u16_e64 s1, 0, v82
	v_cmp_eq_u16_e64 s2, 0, v81
	;; [unrolled: 1-line block ×5, first 2 shown]
	v_dual_cndmask_b32 v5, 0, v3, s1 :: v_dual_cndmask_b32 v4, 0, v2, s1
	v_cmp_eq_u16_e64 s6, 0, v77
	v_cmp_eq_u16_e64 s7, 0, v76
	;; [unrolled: 1-line block ×4, first 2 shown]
	v_add_nc_u64_e32 v[34:35], v[4:5], v[6:7]
	v_cmp_eq_u16_e64 s10, 0, v73
	v_cmp_eq_u16_e64 s11, 0, v72
	;; [unrolled: 1-line block ×3, first 2 shown]
	v_cmp_ne_u16_e64 s19, 0, v70
	v_cmp_eq_u32_e64 s20, 1, v60
	v_bitop3_b16 v20, v1, 0xff, v88 bitop3:0xc8
	v_dual_cndmask_b32 v5, 0, v35, s2 :: v_dual_cndmask_b32 v4, 0, v34, s2
	v_cmp_ne_u16_e64 s17, 0, v69
	v_cmp_eq_u32_e64 s18, 1, v61
	v_cmp_ne_u16_e64 s21, 0, v67
	v_cmp_eq_u16_e64 s13, 0, v65
	v_add_nc_u64_e32 v[36:37], v[4:5], v[12:13]
	v_cmp_ne_u16_e64 s15, 0, v68
	v_cmp_eq_u32_e64 s16, 1, v62
	s_or_b32 s19, s19, s20
	v_cmp_eq_u32_e64 s14, 1, v66
	v_cmp_ne_u16_e64 s22, 0, v20
	s_or_b32 s17, s17, s18
	v_dual_cndmask_b32 v5, 0, v37, s3 :: v_dual_cndmask_b32 v4, 0, v36, s3
	s_or_b32 s18, s21, s19
	s_or_b32 s15, s15, s16
	;; [unrolled: 1-line block ×3, first 2 shown]
	v_and_b32_e32 v21, 0x70, v63
	v_add_nc_u64_e32 v[38:39], v[4:5], v[10:11]
	s_or_b32 s14, s22, s14
	s_or_b32 s15, s16, s15
	s_mov_b32 s17, exec_lo
	s_or_b32 s14, s15, s14
	s_delay_alu instid0(SALU_CYCLE_1) | instskip(NEXT) | instid1(VALU_DEP_2)
	v_cndmask_b32_e64 v33, 0, 1, s14
	v_dual_cndmask_b32 v5, 0, v39, s4 :: v_dual_cndmask_b32 v4, 0, v38, s4
	s_delay_alu instid0(VALU_DEP_1) | instskip(NEXT) | instid1(VALU_DEP_1)
	v_add_nc_u64_e32 v[40:41], v[4:5], v[16:17]
	v_dual_cndmask_b32 v5, 0, v41, s5 :: v_dual_cndmask_b32 v4, 0, v40, s5
	s_delay_alu instid0(VALU_DEP_1) | instskip(NEXT) | instid1(VALU_DEP_1)
	v_add_nc_u64_e32 v[42:43], v[4:5], v[14:15]
	;; [unrolled: 3-line block ×9, first 2 shown]
	v_dual_cndmask_b32 v5, 0, v57, s13 :: v_dual_cndmask_b32 v4, 0, v56, s13
	s_delay_alu instid0(VALU_DEP_1)
	v_add_nc_u64_e32 v[58:59], v[4:5], v[8:9]
	v_lshl_add_u32 v4, v0, 4, v21
	ds_store_b64 v4, v[58:59]
	ds_store_b8 v4, v33 offset:8
	s_wait_dscnt 0x0
	s_barrier_signal -1
	s_barrier_wait -1
	v_cmpx_gt_u32_e32 32, v0
	s_cbranch_execz .LBB5_220
; %bb.209:
	v_dual_lshlrev_b32 v4, 2, v0 :: v_dual_lshlrev_b32 v5, 7, v0
	s_delay_alu instid0(VALU_DEP_1) | instskip(NEXT) | instid1(VALU_DEP_1)
	v_and_b32_e32 v4, 0x3f0, v4
	v_add_nc_u32_e32 v32, v4, v5
	ds_load_u8 v61, v32 offset:24
	ds_load_b64 v[4:5], v32
	ds_load_2addr_b64 v[66:69], v32 offset0:2 offset1:4
	ds_load_u8 v62, v32 offset:40
	ds_load_b32 v60, v32 offset:8
	ds_load_u8 v63, v32 offset:56
	ds_load_u8 v65, v32 offset:72
	;; [unrolled: 1-line block ×4, first 2 shown]
	s_wait_dscnt 0x8
	v_cmp_eq_u16_e64 s14, 0, v61
	s_wait_dscnt 0x7
	s_delay_alu instid0(VALU_DEP_1)
	v_dual_cndmask_b32 v21, 0, v5, s14 :: v_dual_cndmask_b32 v20, 0, v4, s14
	s_wait_dscnt 0x5
	v_cmp_eq_u16_e64 s14, 0, v62
	ds_load_2addr_b64 v[70:73], v32 offset0:6 offset1:8
	s_wait_dscnt 0x4
	v_bitop3_b16 v61, v62, v63, v61 bitop3:0xfe
	s_wait_dscnt 0x1
	v_bitop3_b16 v62, v74, v75, v65 bitop3:0xfe
	v_add_nc_u64_e32 v[20:21], v[20:21], v[66:67]
	s_delay_alu instid0(VALU_DEP_1) | instskip(SKIP_1) | instid1(VALU_DEP_2)
	v_dual_cndmask_b32 v21, 0, v21, s14 :: v_dual_cndmask_b32 v20, 0, v20, s14
	v_cmp_eq_u16_e64 s14, 0, v63
	v_add_nc_u64_e32 v[20:21], v[20:21], v[68:69]
	s_delay_alu instid0(VALU_DEP_1) | instskip(SKIP_2) | instid1(VALU_DEP_2)
	v_dual_cndmask_b32 v21, 0, v21, s14 :: v_dual_cndmask_b32 v20, 0, v20, s14
	v_cmp_eq_u16_e64 s14, 0, v65
	s_wait_dscnt 0x0
	v_add_nc_u64_e32 v[20:21], v[20:21], v[70:71]
	ds_load_2addr_b64 v[66:69], v32 offset0:10 offset1:12
	ds_load_u8 v70, v32 offset:120
	v_dual_cndmask_b32 v21, 0, v21, s14 :: v_dual_cndmask_b32 v20, 0, v20, s14
	v_cmp_eq_u16_e64 s14, 0, v74
	s_delay_alu instid0(VALU_DEP_2) | instskip(NEXT) | instid1(VALU_DEP_1)
	v_add_nc_u64_e32 v[20:21], v[20:21], v[72:73]
	v_cndmask_b32_e64 v21, 0, v21, s14
	s_wait_dscnt 0x0
	v_bitop3_b16 v61, v70, v61, v62 bitop3:0xfe
	s_delay_alu instid0(VALU_DEP_3) | instskip(SKIP_2) | instid1(VALU_DEP_4)
	v_cndmask_b32_e64 v20, 0, v20, s14
	v_cmp_eq_u16_e64 s14, 0, v75
	v_cmp_eq_u16_e64 s16, 0, v70
	v_and_b32_e32 v61, 1, v61
	s_delay_alu instid0(VALU_DEP_4)
	v_add_nc_u64_e32 v[20:21], v[20:21], v[66:67]
	ds_load_b64 v[66:67], v32 offset:112
	v_and_b32_e32 v62, 1, v60
	v_cmp_eq_u32_e64 s15, 1, v61
	v_and_b32_e32 v61, 0xffffff00, v60
	v_dual_cndmask_b32 v21, 0, v21, s14 :: v_dual_cndmask_b32 v20, 0, v20, s14
	s_delay_alu instid0(VALU_DEP_4) | instskip(SKIP_1) | instid1(VALU_DEP_3)
	v_cmp_eq_u32_e64 s14, 1, v62
	v_mbcnt_lo_u32_b32 v62, -1, 0
	v_add_nc_u64_e32 v[20:21], v[20:21], v[68:69]
	s_or_b32 s15, s15, s14
	s_delay_alu instid0(SALU_CYCLE_1) | instskip(SKIP_1) | instid1(VALU_DEP_3)
	v_cndmask_b32_e64 v65, 0, 1, s15
	v_cndmask_b32_e64 v63, 0, 1, s15
	v_dual_cndmask_b32 v21, 0, v21, s16 :: v_dual_cndmask_b32 v20, 0, v20, s16
	s_mov_b32 s16, exec_lo
	s_wait_dscnt 0x0
	s_delay_alu instid0(VALU_DEP_1) | instskip(SKIP_2) | instid1(VALU_DEP_2)
	v_add_nc_u64_e32 v[20:21], v[20:21], v[66:67]
	v_or_b32_e32 v66, v61, v65
	v_and_b32_e32 v65, 15, v62
	v_mov_b32_dpp v68, v66 row_shr:1 row_mask:0xf bank_mask:0xf
	s_delay_alu instid0(VALU_DEP_4) | instskip(SKIP_1) | instid1(VALU_DEP_4)
	v_mov_b32_dpp v67, v20 row_shr:1 row_mask:0xf bank_mask:0xf
	v_mov_b32_dpp v69, v21 row_shr:1 row_mask:0xf bank_mask:0xf
	v_cmpx_ne_u32_e32 0, v65
; %bb.210:
	s_delay_alu instid0(VALU_DEP_4) | instskip(NEXT) | instid1(VALU_DEP_3)
	v_bitop3_b16 v63, v68, v63, 1 bitop3:0xec
	v_cndmask_b32_e64 v69, v69, 0, s15
	v_cndmask_b32_e64 v68, v67, 0, s15
	s_delay_alu instid0(VALU_DEP_3) | instskip(NEXT) | instid1(VALU_DEP_2)
	v_and_b32_e32 v66, 0xffff, v63
	v_add_nc_u64_e32 v[20:21], v[68:69], v[20:21]
	s_delay_alu instid0(VALU_DEP_2)
	v_or_b32_e32 v66, v61, v66
; %bb.211:
	s_or_b32 exec_lo, exec_lo, s16
	s_delay_alu instid0(VALU_DEP_2) | instskip(NEXT) | instid1(VALU_DEP_3)
	v_mov_b32_dpp v67, v20 row_shr:2 row_mask:0xf bank_mask:0xf
	v_mov_b32_dpp v68, v21 row_shr:2 row_mask:0xf bank_mask:0xf
	s_delay_alu instid0(VALU_DEP_3)
	v_mov_b32_dpp v69, v66 row_shr:2 row_mask:0xf bank_mask:0xf
	s_mov_b32 s18, exec_lo
	v_cmpx_lt_u32_e32 1, v65
	s_cbranch_execz .LBB5_213
; %bb.212:
	v_cmp_eq_u16_e64 s14, 0, v63
	v_and_b32_e32 v66, 1, v63
	v_and_b32_e32 v69, 1, v69
	s_delay_alu instid0(VALU_DEP_1) | instskip(NEXT) | instid1(VALU_DEP_4)
	v_cmp_eq_u32_e64 s16, 1, v69
	v_cndmask_b32_e64 v69, 0, v68, s14
	s_delay_alu instid0(VALU_DEP_4) | instskip(SKIP_2) | instid1(VALU_DEP_1)
	v_cmp_eq_u32_e64 s15, 1, v66
	v_cndmask_b32_e64 v68, 0, v67, s14
	s_or_b32 s14, s15, s16
	v_add_nc_u64_e32 v[20:21], v[68:69], v[20:21]
	v_cndmask_b32_e64 v66, 0, 1, s14
	v_cndmask_b32_e64 v63, 0, 1, s14
	s_delay_alu instid0(VALU_DEP_2)
	v_or_b32_e32 v66, v61, v66
.LBB5_213:
	s_or_b32 exec_lo, exec_lo, s18
	s_delay_alu instid0(VALU_DEP_4) | instskip(SKIP_1) | instid1(VALU_DEP_3)
	v_mov_b32_dpp v67, v20 row_shr:4 row_mask:0xf bank_mask:0xf
	v_mov_b32_dpp v68, v21 row_shr:4 row_mask:0xf bank_mask:0xf
	v_mov_b32_dpp v69, v66 row_shr:4 row_mask:0xf bank_mask:0xf
	s_mov_b32 s18, exec_lo
	v_cmpx_lt_u32_e32 3, v65
	s_cbranch_execz .LBB5_215
; %bb.214:
	v_cmp_eq_u16_e64 s14, 0, v63
	v_and_b32_e32 v66, 1, v63
	v_and_b32_e32 v69, 1, v69
	s_delay_alu instid0(VALU_DEP_1) | instskip(NEXT) | instid1(VALU_DEP_4)
	v_cmp_eq_u32_e64 s16, 1, v69
	v_cndmask_b32_e64 v69, 0, v68, s14
	s_delay_alu instid0(VALU_DEP_4) | instskip(SKIP_2) | instid1(VALU_DEP_1)
	v_cmp_eq_u32_e64 s15, 1, v66
	v_cndmask_b32_e64 v68, 0, v67, s14
	s_or_b32 s14, s15, s16
	v_add_nc_u64_e32 v[20:21], v[68:69], v[20:21]
	v_cndmask_b32_e64 v66, 0, 1, s14
	v_cndmask_b32_e64 v63, 0, 1, s14
	s_delay_alu instid0(VALU_DEP_2)
	v_or_b32_e32 v66, v61, v66
.LBB5_215:
	s_or_b32 exec_lo, exec_lo, s18
	s_delay_alu instid0(VALU_DEP_4) | instskip(SKIP_1) | instid1(VALU_DEP_3)
	v_mov_b32_dpp v67, v20 row_shr:8 row_mask:0xf bank_mask:0xf
	v_mov_b32_dpp v68, v21 row_shr:8 row_mask:0xf bank_mask:0xf
	;; [unrolled: 1-line block ×3, first 2 shown]
	s_mov_b32 s18, exec_lo
	v_cmpx_lt_u32_e32 7, v65
	s_cbranch_execz .LBB5_217
; %bb.216:
	v_cmp_eq_u16_e64 s14, 0, v63
	v_and_b32_e32 v65, 1, v63
	s_delay_alu instid0(VALU_DEP_2) | instskip(NEXT) | instid1(VALU_DEP_2)
	v_dual_cndmask_b32 v69, 0, v68, s14 :: v_dual_bitop2_b32 v66, 1, v69 bitop3:0x40
	v_cmp_eq_u32_e64 s15, 1, v65
	v_cndmask_b32_e64 v68, 0, v67, s14
	s_delay_alu instid0(VALU_DEP_3) | instskip(NEXT) | instid1(VALU_DEP_2)
	v_cmp_eq_u32_e64 s16, 1, v66
	v_add_nc_u64_e32 v[20:21], v[68:69], v[20:21]
	s_or_b32 s14, s15, s16
	s_delay_alu instid0(SALU_CYCLE_1) | instskip(SKIP_1) | instid1(VALU_DEP_2)
	v_cndmask_b32_e64 v65, 0, 1, s14
	v_cndmask_b32_e64 v63, 0, 1, s14
	v_or_b32_e32 v66, v61, v65
.LBB5_217:
	s_or_b32 exec_lo, exec_lo, s18
	ds_swizzle_b32 v65, v20 offset:swizzle(BROADCAST,32,15)
	ds_swizzle_b32 v67, v21 offset:swizzle(BROADCAST,32,15)
	ds_swizzle_b32 v66, v66 offset:swizzle(BROADCAST,32,15)
	v_and_b32_e32 v68, 16, v62
	s_mov_b32 s16, exec_lo
	s_delay_alu instid0(VALU_DEP_1)
	v_cmpx_ne_u32_e32 0, v68
	s_cbranch_execz .LBB5_219
; %bb.218:
	v_cmp_eq_u16_e64 s14, 0, v63
	v_and_b32_e32 v63, 1, v63
	s_wait_dscnt 0x0
	s_delay_alu instid0(VALU_DEP_2) | instskip(SKIP_1) | instid1(VALU_DEP_3)
	v_dual_cndmask_b32 v67, 0, v67, s14 :: v_dual_bitop2_b32 v68, 1, v66 bitop3:0x40
	v_cndmask_b32_e64 v66, 0, v65, s14
	v_cmp_eq_u32_e64 s14, 1, v63
	s_delay_alu instid0(VALU_DEP_3) | instskip(NEXT) | instid1(VALU_DEP_3)
	v_cmp_eq_u32_e64 s15, 1, v68
	v_add_nc_u64_e32 v[20:21], v[66:67], v[20:21]
	s_or_b32 s14, s14, s15
	s_delay_alu instid0(SALU_CYCLE_1)
	v_cndmask_b32_e64 v63, 0, 1, s14
.LBB5_219:
	s_or_b32 exec_lo, exec_lo, s16
	s_wait_dscnt 0x2
	v_add_nc_u32_e32 v65, -1, v62
	s_delay_alu instid0(VALU_DEP_2) | instskip(NEXT) | instid1(VALU_DEP_2)
	v_and_b32_e32 v63, 0xffff, v63
	; wave barrier
	v_cmp_gt_i32_e64 s14, 0, v65
	s_delay_alu instid0(VALU_DEP_1) | instskip(NEXT) | instid1(VALU_DEP_1)
	v_cndmask_b32_e64 v62, v65, v62, s14
	v_lshlrev_b32_e32 v62, 2, v62
	ds_bpermute_b32 v21, v62, v21
	ds_bpermute_b32 v20, v62, v20
	v_or_b32_e32 v61, v61, v63
	ds_bpermute_b32 v61, v62, v61
	v_and_b32_e32 v62, 0xff, v60
	s_delay_alu instid0(VALU_DEP_1) | instskip(SKIP_1) | instid1(VALU_DEP_1)
	v_cmp_eq_u32_e64 s14, 0, v62
	s_wait_dscnt 0x1
	v_dual_cndmask_b32 v21, 0, v21, s14 :: v_dual_cndmask_b32 v20, 0, v20, s14
	s_delay_alu instid0(VALU_DEP_1) | instskip(SKIP_1) | instid1(VALU_DEP_1)
	v_add_nc_u64_e32 v[4:5], v[20:21], v[4:5]
	s_wait_dscnt 0x0
	v_dual_cndmask_b32 v4, v4, v58, vcc_lo :: v_dual_bitop2_b32 v60, v61, v60 bitop3:0x54
	s_delay_alu instid0(VALU_DEP_1) | instskip(NEXT) | instid1(VALU_DEP_1)
	v_dual_cndmask_b32 v5, v5, v59, vcc_lo :: v_dual_bitop2_b32 v20, 1, v60 bitop3:0x40
	v_cndmask_b32_e32 v33, v20, v33, vcc_lo
	ds_store_b64 v32, v[4:5]
	ds_store_b8 v32, v33 offset:8
	; wave barrier
	ds_load_u8 v65, v32 offset:24
	ds_load_2addr_b64 v[60:63], v32 offset0:2 offset1:4
	ds_load_u8 v74, v32 offset:40
	ds_load_u8 v75, v32 offset:56
	;; [unrolled: 1-line block ×5, first 2 shown]
	ds_load_b64 v[20:21], v32 offset:112
	ds_load_u8 v79, v32 offset:120
	s_wait_dscnt 0x8
	v_and_b32_e32 v66, 0xff, v65
	s_wait_dscnt 0x5
	v_and_b32_e32 v72, 0xff, v75
	s_delay_alu instid0(VALU_DEP_2) | instskip(SKIP_3) | instid1(VALU_DEP_3)
	v_cmp_eq_u16_e64 s14, 0, v66
	v_and_b32_e32 v66, 0xff, v74
	s_wait_dscnt 0x3
	v_and_b32_e32 v80, 0xff, v77
	v_dual_cndmask_b32 v5, 0, v5, s14 :: v_dual_cndmask_b32 v4, 0, v4, s14
	s_delay_alu instid0(VALU_DEP_3) | instskip(SKIP_3) | instid1(VALU_DEP_1)
	v_cmp_eq_u16_e64 s14, 0, v66
	ds_load_2addr_b64 v[66:69], v32 offset0:6 offset1:8
	v_bitop3_b16 v81, v65, 1, v33 bitop3:0xc8
	v_add_nc_u64_e32 v[4:5], v[4:5], v[60:61]
	v_dual_cndmask_b32 v61, 0, v5, s14 :: v_dual_cndmask_b32 v60, 0, v4, s14
	v_cmp_eq_u16_e64 s14, 0, v72
	s_delay_alu instid0(VALU_DEP_2) | instskip(SKIP_1) | instid1(VALU_DEP_2)
	v_add_nc_u64_e32 v[70:71], v[60:61], v[62:63]
	v_and_b32_e32 v62, 0xff, v76
	v_dual_cndmask_b32 v61, 0, v71, s14 :: v_dual_cndmask_b32 v60, 0, v70, s14
	s_delay_alu instid0(VALU_DEP_2) | instskip(SKIP_1) | instid1(VALU_DEP_2)
	v_cmp_eq_u16_e64 s14, 0, v62
	s_wait_dscnt 0x0
	v_add_nc_u64_e32 v[66:67], v[60:61], v[66:67]
	ds_load_2addr_b64 v[60:63], v32 offset0:10 offset1:12
	v_dual_cndmask_b32 v73, 0, v67, s14 :: v_dual_cndmask_b32 v72, 0, v66, s14
	v_cmp_eq_u16_e64 s14, 0, v80
	v_and_b32_e32 v80, 0xff, v78
	s_delay_alu instid0(VALU_DEP_3) | instskip(NEXT) | instid1(VALU_DEP_1)
	v_add_nc_u64_e32 v[68:69], v[72:73], v[68:69]
	v_dual_cndmask_b32 v73, 0, v69, s14 :: v_dual_cndmask_b32 v72, 0, v68, s14
	s_delay_alu instid0(VALU_DEP_3) | instskip(SKIP_1) | instid1(VALU_DEP_2)
	v_cmp_eq_u16_e64 s14, 0, v80
	s_wait_dscnt 0x0
	v_add_nc_u64_e32 v[60:61], v[72:73], v[60:61]
	s_delay_alu instid0(VALU_DEP_1) | instskip(SKIP_1) | instid1(VALU_DEP_2)
	v_dual_cndmask_b32 v73, 0, v61, s14 :: v_dual_cndmask_b32 v72, 0, v60, s14
	v_cmp_eq_u16_e64 s14, 0, v79
	v_add_nc_u64_e32 v[62:63], v[72:73], v[62:63]
	v_or_b32_e32 v80, v65, v33
	v_bitop3_b16 v33, v74, v65, v33 bitop3:0xfe
	ds_store_2addr_b64 v32, v[4:5], v[70:71] offset0:2 offset1:4
	ds_store_2addr_b64 v32, v[66:67], v[68:69] offset0:6 offset1:8
	ds_store_2addr_b64 v32, v[60:61], v[62:63] offset0:10 offset1:12
	v_cndmask_b32_e64 v73, 0, v63, s14
	v_bitop3_b16 v65, v75, v74, v80 bitop3:0xfe
	v_bitop3_b16 v74, v74, 1, v80 bitop3:0xc8
	;; [unrolled: 1-line block ×4, first 2 shown]
	s_delay_alu instid0(VALU_DEP_4) | instskip(SKIP_1) | instid1(VALU_DEP_3)
	v_bitop3_b16 v72, v77, v76, v65 bitop3:0xfe
	v_bitop3_b16 v65, v76, 1, v65 bitop3:0xc8
	;; [unrolled: 1-line block ×4, first 2 shown]
	s_delay_alu instid0(VALU_DEP_4) | instskip(SKIP_1) | instid1(VALU_DEP_4)
	v_bitop3_b16 v76, v78, 1, v72 bitop3:0xc8
	v_cndmask_b32_e64 v72, 0, v62, s14
	v_bitop3_b16 v75, v79, 1, v75 bitop3:0xc8
	s_delay_alu instid0(VALU_DEP_2)
	v_add_nc_u64_e32 v[4:5], v[72:73], v[20:21]
	ds_store_b8 v32, v81 offset:24
	ds_store_b8 v32, v74 offset:40
	;; [unrolled: 1-line block ×6, first 2 shown]
	ds_store_b64 v32, v[4:5] offset:112
	ds_store_b8 v32, v75 offset:120
.LBB5_220:
	s_or_b32 exec_lo, exec_lo, s17
	s_wait_dscnt 0x0
	s_barrier_signal -1
	s_barrier_wait -1
	s_and_saveexec_b32 s14, s0
	s_cbranch_execz .LBB5_222
; %bb.221:
	v_and_b32_e32 v1, 0xff, v1
	s_delay_alu instid0(VALU_DEP_1) | instskip(SKIP_1) | instid1(VALU_DEP_1)
	v_cmp_eq_u16_e64 s0, 0, v1
	v_add_nc_u32_e32 v4, -1, v0
	v_lshrrev_b32_e32 v5, 1, v4
	s_delay_alu instid0(VALU_DEP_1) | instskip(NEXT) | instid1(VALU_DEP_1)
	v_and_b32_e32 v5, 0x7ffffff0, v5
	v_lshl_add_u32 v4, v4, 4, v5
	ds_load_b64 v[4:5], v4
	;;#ASMSTART
	;;#ASMEND
	s_wait_dscnt 0x0
	v_dual_cndmask_b32 v5, 0, v5, s0 :: v_dual_cndmask_b32 v4, 0, v4, s0
	s_delay_alu instid0(VALU_DEP_1) | instskip(NEXT) | instid1(VALU_DEP_1)
	v_add_nc_u64_e32 v[2:3], v[4:5], v[2:3]
	v_dual_cndmask_b32 v5, 0, v3, s1 :: v_dual_cndmask_b32 v4, 0, v2, s1
	s_delay_alu instid0(VALU_DEP_1) | instskip(NEXT) | instid1(VALU_DEP_1)
	v_add_nc_u64_e32 v[34:35], v[4:5], v[6:7]
	;; [unrolled: 3-line block ×13, first 2 shown]
	v_dual_cndmask_b32 v5, 0, v57, s13 :: v_dual_cndmask_b32 v4, 0, v56, s13
	s_delay_alu instid0(VALU_DEP_1)
	v_add_nc_u64_e32 v[58:59], v[4:5], v[8:9]
.LBB5_222:
	s_or_b32 exec_lo, exec_lo, s14
	s_and_saveexec_b32 s0, vcc_lo
	s_cbranch_execz .LBB5_224
; %bb.223:
	v_dual_mov_b32 v1, 0 :: v_dual_mov_b32 v7, 2
	ds_load_b64 v[4:5], v1 offset:4192
	ds_load_u8 v6, v1 offset:4200
	s_wait_dscnt 0x1
	global_store_b64 v1, v[4:5], s[38:39] offset:512
	s_wait_dscnt 0x0
	global_store_b8 v1, v6, s[38:39] offset:520
	global_wb scope:SCOPE_DEV
	s_wait_storecnt 0x0
	global_inv scope:SCOPE_DEV
	s_wait_xcnt 0x0
	global_store_b8 v1, v7, s[40:41] offset:32 scope:SCOPE_DEV
.LBB5_224:
	s_wait_xcnt 0x0
	s_or_b32 exec_lo, exec_lo, s0
	v_mov_b64_e32 v[32:33], v[2:3]
	s_add_nc_u64 s[0:1], s[26:27], s[34:35]
	s_and_b32 vcc_lo, exec_lo, s23
	s_add_nc_u64 s[0:1], s[0:1], s[24:25]
	s_cbranch_vccnz .LBB5_154
.LBB5_225:
	s_mov_b32 s2, 0
                                        ; implicit-def: $vgpr4_vgpr5
	s_cbranch_execz .LBB5_227
; %bb.226:
	v_mul_u32_u24_e32 v1, 0x70, v0
	v_mul_i32_i24_e32 v2, 0xffffff98, v0
	s_wait_storecnt 0x0
	s_wait_loadcnt_dscnt 0x0
	s_barrier_signal -1
	s_barrier_wait -1
	ds_store_b128 v1, v[32:35]
	ds_store_b128 v1, v[36:39] offset:16
	ds_store_b128 v1, v[40:43] offset:32
	;; [unrolled: 1-line block ×6, first 2 shown]
	v_mad_u32_u24 v1, 0x70, v0, v2
	s_wait_dscnt 0x0
	s_barrier_signal -1
	s_barrier_wait -1
	ds_load_2addr_stride64_b64 v[6:9], v1 offset1:4
	ds_load_2addr_stride64_b64 v[10:13], v1 offset0:8 offset1:12
	ds_load_2addr_stride64_b64 v[14:17], v1 offset0:16 offset1:20
	;; [unrolled: 1-line block ×6, first 2 shown]
	s_or_b32 s2, s2, exec_lo
	s_wait_dscnt 0x6
	s_clause 0x1
	flat_store_b64 v0, v[6:7], s[0:1] scale_offset
	flat_store_b64 v0, v[8:9], s[0:1] offset:2048 scale_offset
	s_wait_dscnt 0x7
	s_clause 0x1
	flat_store_b64 v0, v[10:11], s[0:1] offset:4096 scale_offset
	flat_store_b64 v0, v[12:13], s[0:1] offset:6144 scale_offset
	s_wait_dscnt 0x8
	s_clause 0x1
	flat_store_b64 v0, v[14:15], s[0:1] offset:8192 scale_offset
	;; [unrolled: 4-line block ×5, first 2 shown]
	flat_store_b64 v0, v[28:29], s[0:1] offset:22528 scale_offset
	s_wait_dscnt 0xc
	flat_store_b64 v0, v[2:3], s[0:1] offset:24576 scale_offset
.LBB5_227:
	s_wait_xcnt 0x0
	s_delay_alu instid0(VALU_DEP_1)
	s_and_saveexec_b32 s3, s2
	s_cbranch_execnz .LBB5_229
; %bb.228:
	s_sendmsg sendmsg(MSG_DEALLOC_VGPRS)
	s_endpgm
.LBB5_229:
	s_wait_dscnt 0x0
	flat_store_b64 v0, v[4:5], s[0:1] offset:26624 scale_offset
	s_sendmsg sendmsg(MSG_DEALLOC_VGPRS)
	s_endpgm
	.section	.rodata,"a",@progbits
	.p2align	6, 0x0
	.amdhsa_kernel _ZN7rocprim17ROCPRIM_400000_NS6detail17trampoline_kernelINS0_14default_configENS1_27scan_by_key_config_selectorIxxEEZZNS1_16scan_by_key_implILNS1_25lookback_scan_determinismE0ELb0ES3_N6thrust23THRUST_200600_302600_NS6detail15normal_iteratorINS9_10device_ptrIxEEEESE_SE_xNS9_4plusIvEENS9_8equal_toIvEExEE10hipError_tPvRmT2_T3_T4_T5_mT6_T7_P12ihipStream_tbENKUlT_T0_E_clISt17integral_constantIbLb0EESZ_EEDaSU_SV_EUlSU_E_NS1_11comp_targetILNS1_3genE0ELNS1_11target_archE4294967295ELNS1_3gpuE0ELNS1_3repE0EEENS1_30default_config_static_selectorELNS0_4arch9wavefront6targetE0EEEvT1_
		.amdhsa_group_segment_fixed_size 32768
		.amdhsa_private_segment_fixed_size 0
		.amdhsa_kernarg_size 136
		.amdhsa_user_sgpr_count 2
		.amdhsa_user_sgpr_dispatch_ptr 0
		.amdhsa_user_sgpr_queue_ptr 0
		.amdhsa_user_sgpr_kernarg_segment_ptr 1
		.amdhsa_user_sgpr_dispatch_id 0
		.amdhsa_user_sgpr_kernarg_preload_length 0
		.amdhsa_user_sgpr_kernarg_preload_offset 0
		.amdhsa_user_sgpr_private_segment_size 0
		.amdhsa_wavefront_size32 1
		.amdhsa_uses_dynamic_stack 0
		.amdhsa_enable_private_segment 0
		.amdhsa_system_sgpr_workgroup_id_x 1
		.amdhsa_system_sgpr_workgroup_id_y 0
		.amdhsa_system_sgpr_workgroup_id_z 0
		.amdhsa_system_sgpr_workgroup_info 0
		.amdhsa_system_vgpr_workitem_id 0
		.amdhsa_next_free_vgpr 111
		.amdhsa_next_free_sgpr 52
		.amdhsa_named_barrier_count 0
		.amdhsa_reserve_vcc 1
		.amdhsa_float_round_mode_32 0
		.amdhsa_float_round_mode_16_64 0
		.amdhsa_float_denorm_mode_32 3
		.amdhsa_float_denorm_mode_16_64 3
		.amdhsa_fp16_overflow 0
		.amdhsa_memory_ordered 1
		.amdhsa_forward_progress 1
		.amdhsa_inst_pref_size 124
		.amdhsa_round_robin_scheduling 0
		.amdhsa_exception_fp_ieee_invalid_op 0
		.amdhsa_exception_fp_denorm_src 0
		.amdhsa_exception_fp_ieee_div_zero 0
		.amdhsa_exception_fp_ieee_overflow 0
		.amdhsa_exception_fp_ieee_underflow 0
		.amdhsa_exception_fp_ieee_inexact 0
		.amdhsa_exception_int_div_zero 0
	.end_amdhsa_kernel
	.section	.text._ZN7rocprim17ROCPRIM_400000_NS6detail17trampoline_kernelINS0_14default_configENS1_27scan_by_key_config_selectorIxxEEZZNS1_16scan_by_key_implILNS1_25lookback_scan_determinismE0ELb0ES3_N6thrust23THRUST_200600_302600_NS6detail15normal_iteratorINS9_10device_ptrIxEEEESE_SE_xNS9_4plusIvEENS9_8equal_toIvEExEE10hipError_tPvRmT2_T3_T4_T5_mT6_T7_P12ihipStream_tbENKUlT_T0_E_clISt17integral_constantIbLb0EESZ_EEDaSU_SV_EUlSU_E_NS1_11comp_targetILNS1_3genE0ELNS1_11target_archE4294967295ELNS1_3gpuE0ELNS1_3repE0EEENS1_30default_config_static_selectorELNS0_4arch9wavefront6targetE0EEEvT1_,"axG",@progbits,_ZN7rocprim17ROCPRIM_400000_NS6detail17trampoline_kernelINS0_14default_configENS1_27scan_by_key_config_selectorIxxEEZZNS1_16scan_by_key_implILNS1_25lookback_scan_determinismE0ELb0ES3_N6thrust23THRUST_200600_302600_NS6detail15normal_iteratorINS9_10device_ptrIxEEEESE_SE_xNS9_4plusIvEENS9_8equal_toIvEExEE10hipError_tPvRmT2_T3_T4_T5_mT6_T7_P12ihipStream_tbENKUlT_T0_E_clISt17integral_constantIbLb0EESZ_EEDaSU_SV_EUlSU_E_NS1_11comp_targetILNS1_3genE0ELNS1_11target_archE4294967295ELNS1_3gpuE0ELNS1_3repE0EEENS1_30default_config_static_selectorELNS0_4arch9wavefront6targetE0EEEvT1_,comdat
.Lfunc_end5:
	.size	_ZN7rocprim17ROCPRIM_400000_NS6detail17trampoline_kernelINS0_14default_configENS1_27scan_by_key_config_selectorIxxEEZZNS1_16scan_by_key_implILNS1_25lookback_scan_determinismE0ELb0ES3_N6thrust23THRUST_200600_302600_NS6detail15normal_iteratorINS9_10device_ptrIxEEEESE_SE_xNS9_4plusIvEENS9_8equal_toIvEExEE10hipError_tPvRmT2_T3_T4_T5_mT6_T7_P12ihipStream_tbENKUlT_T0_E_clISt17integral_constantIbLb0EESZ_EEDaSU_SV_EUlSU_E_NS1_11comp_targetILNS1_3genE0ELNS1_11target_archE4294967295ELNS1_3gpuE0ELNS1_3repE0EEENS1_30default_config_static_selectorELNS0_4arch9wavefront6targetE0EEEvT1_, .Lfunc_end5-_ZN7rocprim17ROCPRIM_400000_NS6detail17trampoline_kernelINS0_14default_configENS1_27scan_by_key_config_selectorIxxEEZZNS1_16scan_by_key_implILNS1_25lookback_scan_determinismE0ELb0ES3_N6thrust23THRUST_200600_302600_NS6detail15normal_iteratorINS9_10device_ptrIxEEEESE_SE_xNS9_4plusIvEENS9_8equal_toIvEExEE10hipError_tPvRmT2_T3_T4_T5_mT6_T7_P12ihipStream_tbENKUlT_T0_E_clISt17integral_constantIbLb0EESZ_EEDaSU_SV_EUlSU_E_NS1_11comp_targetILNS1_3genE0ELNS1_11target_archE4294967295ELNS1_3gpuE0ELNS1_3repE0EEENS1_30default_config_static_selectorELNS0_4arch9wavefront6targetE0EEEvT1_
                                        ; -- End function
	.set _ZN7rocprim17ROCPRIM_400000_NS6detail17trampoline_kernelINS0_14default_configENS1_27scan_by_key_config_selectorIxxEEZZNS1_16scan_by_key_implILNS1_25lookback_scan_determinismE0ELb0ES3_N6thrust23THRUST_200600_302600_NS6detail15normal_iteratorINS9_10device_ptrIxEEEESE_SE_xNS9_4plusIvEENS9_8equal_toIvEExEE10hipError_tPvRmT2_T3_T4_T5_mT6_T7_P12ihipStream_tbENKUlT_T0_E_clISt17integral_constantIbLb0EESZ_EEDaSU_SV_EUlSU_E_NS1_11comp_targetILNS1_3genE0ELNS1_11target_archE4294967295ELNS1_3gpuE0ELNS1_3repE0EEENS1_30default_config_static_selectorELNS0_4arch9wavefront6targetE0EEEvT1_.num_vgpr, 111
	.set _ZN7rocprim17ROCPRIM_400000_NS6detail17trampoline_kernelINS0_14default_configENS1_27scan_by_key_config_selectorIxxEEZZNS1_16scan_by_key_implILNS1_25lookback_scan_determinismE0ELb0ES3_N6thrust23THRUST_200600_302600_NS6detail15normal_iteratorINS9_10device_ptrIxEEEESE_SE_xNS9_4plusIvEENS9_8equal_toIvEExEE10hipError_tPvRmT2_T3_T4_T5_mT6_T7_P12ihipStream_tbENKUlT_T0_E_clISt17integral_constantIbLb0EESZ_EEDaSU_SV_EUlSU_E_NS1_11comp_targetILNS1_3genE0ELNS1_11target_archE4294967295ELNS1_3gpuE0ELNS1_3repE0EEENS1_30default_config_static_selectorELNS0_4arch9wavefront6targetE0EEEvT1_.num_agpr, 0
	.set _ZN7rocprim17ROCPRIM_400000_NS6detail17trampoline_kernelINS0_14default_configENS1_27scan_by_key_config_selectorIxxEEZZNS1_16scan_by_key_implILNS1_25lookback_scan_determinismE0ELb0ES3_N6thrust23THRUST_200600_302600_NS6detail15normal_iteratorINS9_10device_ptrIxEEEESE_SE_xNS9_4plusIvEENS9_8equal_toIvEExEE10hipError_tPvRmT2_T3_T4_T5_mT6_T7_P12ihipStream_tbENKUlT_T0_E_clISt17integral_constantIbLb0EESZ_EEDaSU_SV_EUlSU_E_NS1_11comp_targetILNS1_3genE0ELNS1_11target_archE4294967295ELNS1_3gpuE0ELNS1_3repE0EEENS1_30default_config_static_selectorELNS0_4arch9wavefront6targetE0EEEvT1_.numbered_sgpr, 52
	.set _ZN7rocprim17ROCPRIM_400000_NS6detail17trampoline_kernelINS0_14default_configENS1_27scan_by_key_config_selectorIxxEEZZNS1_16scan_by_key_implILNS1_25lookback_scan_determinismE0ELb0ES3_N6thrust23THRUST_200600_302600_NS6detail15normal_iteratorINS9_10device_ptrIxEEEESE_SE_xNS9_4plusIvEENS9_8equal_toIvEExEE10hipError_tPvRmT2_T3_T4_T5_mT6_T7_P12ihipStream_tbENKUlT_T0_E_clISt17integral_constantIbLb0EESZ_EEDaSU_SV_EUlSU_E_NS1_11comp_targetILNS1_3genE0ELNS1_11target_archE4294967295ELNS1_3gpuE0ELNS1_3repE0EEENS1_30default_config_static_selectorELNS0_4arch9wavefront6targetE0EEEvT1_.num_named_barrier, 0
	.set _ZN7rocprim17ROCPRIM_400000_NS6detail17trampoline_kernelINS0_14default_configENS1_27scan_by_key_config_selectorIxxEEZZNS1_16scan_by_key_implILNS1_25lookback_scan_determinismE0ELb0ES3_N6thrust23THRUST_200600_302600_NS6detail15normal_iteratorINS9_10device_ptrIxEEEESE_SE_xNS9_4plusIvEENS9_8equal_toIvEExEE10hipError_tPvRmT2_T3_T4_T5_mT6_T7_P12ihipStream_tbENKUlT_T0_E_clISt17integral_constantIbLb0EESZ_EEDaSU_SV_EUlSU_E_NS1_11comp_targetILNS1_3genE0ELNS1_11target_archE4294967295ELNS1_3gpuE0ELNS1_3repE0EEENS1_30default_config_static_selectorELNS0_4arch9wavefront6targetE0EEEvT1_.private_seg_size, 0
	.set _ZN7rocprim17ROCPRIM_400000_NS6detail17trampoline_kernelINS0_14default_configENS1_27scan_by_key_config_selectorIxxEEZZNS1_16scan_by_key_implILNS1_25lookback_scan_determinismE0ELb0ES3_N6thrust23THRUST_200600_302600_NS6detail15normal_iteratorINS9_10device_ptrIxEEEESE_SE_xNS9_4plusIvEENS9_8equal_toIvEExEE10hipError_tPvRmT2_T3_T4_T5_mT6_T7_P12ihipStream_tbENKUlT_T0_E_clISt17integral_constantIbLb0EESZ_EEDaSU_SV_EUlSU_E_NS1_11comp_targetILNS1_3genE0ELNS1_11target_archE4294967295ELNS1_3gpuE0ELNS1_3repE0EEENS1_30default_config_static_selectorELNS0_4arch9wavefront6targetE0EEEvT1_.uses_vcc, 1
	.set _ZN7rocprim17ROCPRIM_400000_NS6detail17trampoline_kernelINS0_14default_configENS1_27scan_by_key_config_selectorIxxEEZZNS1_16scan_by_key_implILNS1_25lookback_scan_determinismE0ELb0ES3_N6thrust23THRUST_200600_302600_NS6detail15normal_iteratorINS9_10device_ptrIxEEEESE_SE_xNS9_4plusIvEENS9_8equal_toIvEExEE10hipError_tPvRmT2_T3_T4_T5_mT6_T7_P12ihipStream_tbENKUlT_T0_E_clISt17integral_constantIbLb0EESZ_EEDaSU_SV_EUlSU_E_NS1_11comp_targetILNS1_3genE0ELNS1_11target_archE4294967295ELNS1_3gpuE0ELNS1_3repE0EEENS1_30default_config_static_selectorELNS0_4arch9wavefront6targetE0EEEvT1_.uses_flat_scratch, 1
	.set _ZN7rocprim17ROCPRIM_400000_NS6detail17trampoline_kernelINS0_14default_configENS1_27scan_by_key_config_selectorIxxEEZZNS1_16scan_by_key_implILNS1_25lookback_scan_determinismE0ELb0ES3_N6thrust23THRUST_200600_302600_NS6detail15normal_iteratorINS9_10device_ptrIxEEEESE_SE_xNS9_4plusIvEENS9_8equal_toIvEExEE10hipError_tPvRmT2_T3_T4_T5_mT6_T7_P12ihipStream_tbENKUlT_T0_E_clISt17integral_constantIbLb0EESZ_EEDaSU_SV_EUlSU_E_NS1_11comp_targetILNS1_3genE0ELNS1_11target_archE4294967295ELNS1_3gpuE0ELNS1_3repE0EEENS1_30default_config_static_selectorELNS0_4arch9wavefront6targetE0EEEvT1_.has_dyn_sized_stack, 0
	.set _ZN7rocprim17ROCPRIM_400000_NS6detail17trampoline_kernelINS0_14default_configENS1_27scan_by_key_config_selectorIxxEEZZNS1_16scan_by_key_implILNS1_25lookback_scan_determinismE0ELb0ES3_N6thrust23THRUST_200600_302600_NS6detail15normal_iteratorINS9_10device_ptrIxEEEESE_SE_xNS9_4plusIvEENS9_8equal_toIvEExEE10hipError_tPvRmT2_T3_T4_T5_mT6_T7_P12ihipStream_tbENKUlT_T0_E_clISt17integral_constantIbLb0EESZ_EEDaSU_SV_EUlSU_E_NS1_11comp_targetILNS1_3genE0ELNS1_11target_archE4294967295ELNS1_3gpuE0ELNS1_3repE0EEENS1_30default_config_static_selectorELNS0_4arch9wavefront6targetE0EEEvT1_.has_recursion, 0
	.set _ZN7rocprim17ROCPRIM_400000_NS6detail17trampoline_kernelINS0_14default_configENS1_27scan_by_key_config_selectorIxxEEZZNS1_16scan_by_key_implILNS1_25lookback_scan_determinismE0ELb0ES3_N6thrust23THRUST_200600_302600_NS6detail15normal_iteratorINS9_10device_ptrIxEEEESE_SE_xNS9_4plusIvEENS9_8equal_toIvEExEE10hipError_tPvRmT2_T3_T4_T5_mT6_T7_P12ihipStream_tbENKUlT_T0_E_clISt17integral_constantIbLb0EESZ_EEDaSU_SV_EUlSU_E_NS1_11comp_targetILNS1_3genE0ELNS1_11target_archE4294967295ELNS1_3gpuE0ELNS1_3repE0EEENS1_30default_config_static_selectorELNS0_4arch9wavefront6targetE0EEEvT1_.has_indirect_call, 0
	.section	.AMDGPU.csdata,"",@progbits
; Kernel info:
; codeLenInByte = 15748
; TotalNumSgprs: 54
; NumVgprs: 111
; ScratchSize: 0
; MemoryBound: 0
; FloatMode: 240
; IeeeMode: 1
; LDSByteSize: 32768 bytes/workgroup (compile time only)
; SGPRBlocks: 0
; VGPRBlocks: 6
; NumSGPRsForWavesPerEU: 54
; NumVGPRsForWavesPerEU: 111
; NamedBarCnt: 0
; Occupancy: 9
; WaveLimiterHint : 1
; COMPUTE_PGM_RSRC2:SCRATCH_EN: 0
; COMPUTE_PGM_RSRC2:USER_SGPR: 2
; COMPUTE_PGM_RSRC2:TRAP_HANDLER: 0
; COMPUTE_PGM_RSRC2:TGID_X_EN: 1
; COMPUTE_PGM_RSRC2:TGID_Y_EN: 0
; COMPUTE_PGM_RSRC2:TGID_Z_EN: 0
; COMPUTE_PGM_RSRC2:TIDIG_COMP_CNT: 0
	.section	.text._ZN7rocprim17ROCPRIM_400000_NS6detail17trampoline_kernelINS0_14default_configENS1_27scan_by_key_config_selectorIxxEEZZNS1_16scan_by_key_implILNS1_25lookback_scan_determinismE0ELb0ES3_N6thrust23THRUST_200600_302600_NS6detail15normal_iteratorINS9_10device_ptrIxEEEESE_SE_xNS9_4plusIvEENS9_8equal_toIvEExEE10hipError_tPvRmT2_T3_T4_T5_mT6_T7_P12ihipStream_tbENKUlT_T0_E_clISt17integral_constantIbLb0EESZ_EEDaSU_SV_EUlSU_E_NS1_11comp_targetILNS1_3genE10ELNS1_11target_archE1201ELNS1_3gpuE5ELNS1_3repE0EEENS1_30default_config_static_selectorELNS0_4arch9wavefront6targetE0EEEvT1_,"axG",@progbits,_ZN7rocprim17ROCPRIM_400000_NS6detail17trampoline_kernelINS0_14default_configENS1_27scan_by_key_config_selectorIxxEEZZNS1_16scan_by_key_implILNS1_25lookback_scan_determinismE0ELb0ES3_N6thrust23THRUST_200600_302600_NS6detail15normal_iteratorINS9_10device_ptrIxEEEESE_SE_xNS9_4plusIvEENS9_8equal_toIvEExEE10hipError_tPvRmT2_T3_T4_T5_mT6_T7_P12ihipStream_tbENKUlT_T0_E_clISt17integral_constantIbLb0EESZ_EEDaSU_SV_EUlSU_E_NS1_11comp_targetILNS1_3genE10ELNS1_11target_archE1201ELNS1_3gpuE5ELNS1_3repE0EEENS1_30default_config_static_selectorELNS0_4arch9wavefront6targetE0EEEvT1_,comdat
	.protected	_ZN7rocprim17ROCPRIM_400000_NS6detail17trampoline_kernelINS0_14default_configENS1_27scan_by_key_config_selectorIxxEEZZNS1_16scan_by_key_implILNS1_25lookback_scan_determinismE0ELb0ES3_N6thrust23THRUST_200600_302600_NS6detail15normal_iteratorINS9_10device_ptrIxEEEESE_SE_xNS9_4plusIvEENS9_8equal_toIvEExEE10hipError_tPvRmT2_T3_T4_T5_mT6_T7_P12ihipStream_tbENKUlT_T0_E_clISt17integral_constantIbLb0EESZ_EEDaSU_SV_EUlSU_E_NS1_11comp_targetILNS1_3genE10ELNS1_11target_archE1201ELNS1_3gpuE5ELNS1_3repE0EEENS1_30default_config_static_selectorELNS0_4arch9wavefront6targetE0EEEvT1_ ; -- Begin function _ZN7rocprim17ROCPRIM_400000_NS6detail17trampoline_kernelINS0_14default_configENS1_27scan_by_key_config_selectorIxxEEZZNS1_16scan_by_key_implILNS1_25lookback_scan_determinismE0ELb0ES3_N6thrust23THRUST_200600_302600_NS6detail15normal_iteratorINS9_10device_ptrIxEEEESE_SE_xNS9_4plusIvEENS9_8equal_toIvEExEE10hipError_tPvRmT2_T3_T4_T5_mT6_T7_P12ihipStream_tbENKUlT_T0_E_clISt17integral_constantIbLb0EESZ_EEDaSU_SV_EUlSU_E_NS1_11comp_targetILNS1_3genE10ELNS1_11target_archE1201ELNS1_3gpuE5ELNS1_3repE0EEENS1_30default_config_static_selectorELNS0_4arch9wavefront6targetE0EEEvT1_
	.globl	_ZN7rocprim17ROCPRIM_400000_NS6detail17trampoline_kernelINS0_14default_configENS1_27scan_by_key_config_selectorIxxEEZZNS1_16scan_by_key_implILNS1_25lookback_scan_determinismE0ELb0ES3_N6thrust23THRUST_200600_302600_NS6detail15normal_iteratorINS9_10device_ptrIxEEEESE_SE_xNS9_4plusIvEENS9_8equal_toIvEExEE10hipError_tPvRmT2_T3_T4_T5_mT6_T7_P12ihipStream_tbENKUlT_T0_E_clISt17integral_constantIbLb0EESZ_EEDaSU_SV_EUlSU_E_NS1_11comp_targetILNS1_3genE10ELNS1_11target_archE1201ELNS1_3gpuE5ELNS1_3repE0EEENS1_30default_config_static_selectorELNS0_4arch9wavefront6targetE0EEEvT1_
	.p2align	8
	.type	_ZN7rocprim17ROCPRIM_400000_NS6detail17trampoline_kernelINS0_14default_configENS1_27scan_by_key_config_selectorIxxEEZZNS1_16scan_by_key_implILNS1_25lookback_scan_determinismE0ELb0ES3_N6thrust23THRUST_200600_302600_NS6detail15normal_iteratorINS9_10device_ptrIxEEEESE_SE_xNS9_4plusIvEENS9_8equal_toIvEExEE10hipError_tPvRmT2_T3_T4_T5_mT6_T7_P12ihipStream_tbENKUlT_T0_E_clISt17integral_constantIbLb0EESZ_EEDaSU_SV_EUlSU_E_NS1_11comp_targetILNS1_3genE10ELNS1_11target_archE1201ELNS1_3gpuE5ELNS1_3repE0EEENS1_30default_config_static_selectorELNS0_4arch9wavefront6targetE0EEEvT1_,@function
_ZN7rocprim17ROCPRIM_400000_NS6detail17trampoline_kernelINS0_14default_configENS1_27scan_by_key_config_selectorIxxEEZZNS1_16scan_by_key_implILNS1_25lookback_scan_determinismE0ELb0ES3_N6thrust23THRUST_200600_302600_NS6detail15normal_iteratorINS9_10device_ptrIxEEEESE_SE_xNS9_4plusIvEENS9_8equal_toIvEExEE10hipError_tPvRmT2_T3_T4_T5_mT6_T7_P12ihipStream_tbENKUlT_T0_E_clISt17integral_constantIbLb0EESZ_EEDaSU_SV_EUlSU_E_NS1_11comp_targetILNS1_3genE10ELNS1_11target_archE1201ELNS1_3gpuE5ELNS1_3repE0EEENS1_30default_config_static_selectorELNS0_4arch9wavefront6targetE0EEEvT1_: ; @_ZN7rocprim17ROCPRIM_400000_NS6detail17trampoline_kernelINS0_14default_configENS1_27scan_by_key_config_selectorIxxEEZZNS1_16scan_by_key_implILNS1_25lookback_scan_determinismE0ELb0ES3_N6thrust23THRUST_200600_302600_NS6detail15normal_iteratorINS9_10device_ptrIxEEEESE_SE_xNS9_4plusIvEENS9_8equal_toIvEExEE10hipError_tPvRmT2_T3_T4_T5_mT6_T7_P12ihipStream_tbENKUlT_T0_E_clISt17integral_constantIbLb0EESZ_EEDaSU_SV_EUlSU_E_NS1_11comp_targetILNS1_3genE10ELNS1_11target_archE1201ELNS1_3gpuE5ELNS1_3repE0EEENS1_30default_config_static_selectorELNS0_4arch9wavefront6targetE0EEEvT1_
; %bb.0:
	.section	.rodata,"a",@progbits
	.p2align	6, 0x0
	.amdhsa_kernel _ZN7rocprim17ROCPRIM_400000_NS6detail17trampoline_kernelINS0_14default_configENS1_27scan_by_key_config_selectorIxxEEZZNS1_16scan_by_key_implILNS1_25lookback_scan_determinismE0ELb0ES3_N6thrust23THRUST_200600_302600_NS6detail15normal_iteratorINS9_10device_ptrIxEEEESE_SE_xNS9_4plusIvEENS9_8equal_toIvEExEE10hipError_tPvRmT2_T3_T4_T5_mT6_T7_P12ihipStream_tbENKUlT_T0_E_clISt17integral_constantIbLb0EESZ_EEDaSU_SV_EUlSU_E_NS1_11comp_targetILNS1_3genE10ELNS1_11target_archE1201ELNS1_3gpuE5ELNS1_3repE0EEENS1_30default_config_static_selectorELNS0_4arch9wavefront6targetE0EEEvT1_
		.amdhsa_group_segment_fixed_size 0
		.amdhsa_private_segment_fixed_size 0
		.amdhsa_kernarg_size 136
		.amdhsa_user_sgpr_count 2
		.amdhsa_user_sgpr_dispatch_ptr 0
		.amdhsa_user_sgpr_queue_ptr 0
		.amdhsa_user_sgpr_kernarg_segment_ptr 1
		.amdhsa_user_sgpr_dispatch_id 0
		.amdhsa_user_sgpr_kernarg_preload_length 0
		.amdhsa_user_sgpr_kernarg_preload_offset 0
		.amdhsa_user_sgpr_private_segment_size 0
		.amdhsa_wavefront_size32 1
		.amdhsa_uses_dynamic_stack 0
		.amdhsa_enable_private_segment 0
		.amdhsa_system_sgpr_workgroup_id_x 1
		.amdhsa_system_sgpr_workgroup_id_y 0
		.amdhsa_system_sgpr_workgroup_id_z 0
		.amdhsa_system_sgpr_workgroup_info 0
		.amdhsa_system_vgpr_workitem_id 0
		.amdhsa_next_free_vgpr 1
		.amdhsa_next_free_sgpr 1
		.amdhsa_named_barrier_count 0
		.amdhsa_reserve_vcc 0
		.amdhsa_float_round_mode_32 0
		.amdhsa_float_round_mode_16_64 0
		.amdhsa_float_denorm_mode_32 3
		.amdhsa_float_denorm_mode_16_64 3
		.amdhsa_fp16_overflow 0
		.amdhsa_memory_ordered 1
		.amdhsa_forward_progress 1
		.amdhsa_inst_pref_size 0
		.amdhsa_round_robin_scheduling 0
		.amdhsa_exception_fp_ieee_invalid_op 0
		.amdhsa_exception_fp_denorm_src 0
		.amdhsa_exception_fp_ieee_div_zero 0
		.amdhsa_exception_fp_ieee_overflow 0
		.amdhsa_exception_fp_ieee_underflow 0
		.amdhsa_exception_fp_ieee_inexact 0
		.amdhsa_exception_int_div_zero 0
	.end_amdhsa_kernel
	.section	.text._ZN7rocprim17ROCPRIM_400000_NS6detail17trampoline_kernelINS0_14default_configENS1_27scan_by_key_config_selectorIxxEEZZNS1_16scan_by_key_implILNS1_25lookback_scan_determinismE0ELb0ES3_N6thrust23THRUST_200600_302600_NS6detail15normal_iteratorINS9_10device_ptrIxEEEESE_SE_xNS9_4plusIvEENS9_8equal_toIvEExEE10hipError_tPvRmT2_T3_T4_T5_mT6_T7_P12ihipStream_tbENKUlT_T0_E_clISt17integral_constantIbLb0EESZ_EEDaSU_SV_EUlSU_E_NS1_11comp_targetILNS1_3genE10ELNS1_11target_archE1201ELNS1_3gpuE5ELNS1_3repE0EEENS1_30default_config_static_selectorELNS0_4arch9wavefront6targetE0EEEvT1_,"axG",@progbits,_ZN7rocprim17ROCPRIM_400000_NS6detail17trampoline_kernelINS0_14default_configENS1_27scan_by_key_config_selectorIxxEEZZNS1_16scan_by_key_implILNS1_25lookback_scan_determinismE0ELb0ES3_N6thrust23THRUST_200600_302600_NS6detail15normal_iteratorINS9_10device_ptrIxEEEESE_SE_xNS9_4plusIvEENS9_8equal_toIvEExEE10hipError_tPvRmT2_T3_T4_T5_mT6_T7_P12ihipStream_tbENKUlT_T0_E_clISt17integral_constantIbLb0EESZ_EEDaSU_SV_EUlSU_E_NS1_11comp_targetILNS1_3genE10ELNS1_11target_archE1201ELNS1_3gpuE5ELNS1_3repE0EEENS1_30default_config_static_selectorELNS0_4arch9wavefront6targetE0EEEvT1_,comdat
.Lfunc_end6:
	.size	_ZN7rocprim17ROCPRIM_400000_NS6detail17trampoline_kernelINS0_14default_configENS1_27scan_by_key_config_selectorIxxEEZZNS1_16scan_by_key_implILNS1_25lookback_scan_determinismE0ELb0ES3_N6thrust23THRUST_200600_302600_NS6detail15normal_iteratorINS9_10device_ptrIxEEEESE_SE_xNS9_4plusIvEENS9_8equal_toIvEExEE10hipError_tPvRmT2_T3_T4_T5_mT6_T7_P12ihipStream_tbENKUlT_T0_E_clISt17integral_constantIbLb0EESZ_EEDaSU_SV_EUlSU_E_NS1_11comp_targetILNS1_3genE10ELNS1_11target_archE1201ELNS1_3gpuE5ELNS1_3repE0EEENS1_30default_config_static_selectorELNS0_4arch9wavefront6targetE0EEEvT1_, .Lfunc_end6-_ZN7rocprim17ROCPRIM_400000_NS6detail17trampoline_kernelINS0_14default_configENS1_27scan_by_key_config_selectorIxxEEZZNS1_16scan_by_key_implILNS1_25lookback_scan_determinismE0ELb0ES3_N6thrust23THRUST_200600_302600_NS6detail15normal_iteratorINS9_10device_ptrIxEEEESE_SE_xNS9_4plusIvEENS9_8equal_toIvEExEE10hipError_tPvRmT2_T3_T4_T5_mT6_T7_P12ihipStream_tbENKUlT_T0_E_clISt17integral_constantIbLb0EESZ_EEDaSU_SV_EUlSU_E_NS1_11comp_targetILNS1_3genE10ELNS1_11target_archE1201ELNS1_3gpuE5ELNS1_3repE0EEENS1_30default_config_static_selectorELNS0_4arch9wavefront6targetE0EEEvT1_
                                        ; -- End function
	.set _ZN7rocprim17ROCPRIM_400000_NS6detail17trampoline_kernelINS0_14default_configENS1_27scan_by_key_config_selectorIxxEEZZNS1_16scan_by_key_implILNS1_25lookback_scan_determinismE0ELb0ES3_N6thrust23THRUST_200600_302600_NS6detail15normal_iteratorINS9_10device_ptrIxEEEESE_SE_xNS9_4plusIvEENS9_8equal_toIvEExEE10hipError_tPvRmT2_T3_T4_T5_mT6_T7_P12ihipStream_tbENKUlT_T0_E_clISt17integral_constantIbLb0EESZ_EEDaSU_SV_EUlSU_E_NS1_11comp_targetILNS1_3genE10ELNS1_11target_archE1201ELNS1_3gpuE5ELNS1_3repE0EEENS1_30default_config_static_selectorELNS0_4arch9wavefront6targetE0EEEvT1_.num_vgpr, 0
	.set _ZN7rocprim17ROCPRIM_400000_NS6detail17trampoline_kernelINS0_14default_configENS1_27scan_by_key_config_selectorIxxEEZZNS1_16scan_by_key_implILNS1_25lookback_scan_determinismE0ELb0ES3_N6thrust23THRUST_200600_302600_NS6detail15normal_iteratorINS9_10device_ptrIxEEEESE_SE_xNS9_4plusIvEENS9_8equal_toIvEExEE10hipError_tPvRmT2_T3_T4_T5_mT6_T7_P12ihipStream_tbENKUlT_T0_E_clISt17integral_constantIbLb0EESZ_EEDaSU_SV_EUlSU_E_NS1_11comp_targetILNS1_3genE10ELNS1_11target_archE1201ELNS1_3gpuE5ELNS1_3repE0EEENS1_30default_config_static_selectorELNS0_4arch9wavefront6targetE0EEEvT1_.num_agpr, 0
	.set _ZN7rocprim17ROCPRIM_400000_NS6detail17trampoline_kernelINS0_14default_configENS1_27scan_by_key_config_selectorIxxEEZZNS1_16scan_by_key_implILNS1_25lookback_scan_determinismE0ELb0ES3_N6thrust23THRUST_200600_302600_NS6detail15normal_iteratorINS9_10device_ptrIxEEEESE_SE_xNS9_4plusIvEENS9_8equal_toIvEExEE10hipError_tPvRmT2_T3_T4_T5_mT6_T7_P12ihipStream_tbENKUlT_T0_E_clISt17integral_constantIbLb0EESZ_EEDaSU_SV_EUlSU_E_NS1_11comp_targetILNS1_3genE10ELNS1_11target_archE1201ELNS1_3gpuE5ELNS1_3repE0EEENS1_30default_config_static_selectorELNS0_4arch9wavefront6targetE0EEEvT1_.numbered_sgpr, 0
	.set _ZN7rocprim17ROCPRIM_400000_NS6detail17trampoline_kernelINS0_14default_configENS1_27scan_by_key_config_selectorIxxEEZZNS1_16scan_by_key_implILNS1_25lookback_scan_determinismE0ELb0ES3_N6thrust23THRUST_200600_302600_NS6detail15normal_iteratorINS9_10device_ptrIxEEEESE_SE_xNS9_4plusIvEENS9_8equal_toIvEExEE10hipError_tPvRmT2_T3_T4_T5_mT6_T7_P12ihipStream_tbENKUlT_T0_E_clISt17integral_constantIbLb0EESZ_EEDaSU_SV_EUlSU_E_NS1_11comp_targetILNS1_3genE10ELNS1_11target_archE1201ELNS1_3gpuE5ELNS1_3repE0EEENS1_30default_config_static_selectorELNS0_4arch9wavefront6targetE0EEEvT1_.num_named_barrier, 0
	.set _ZN7rocprim17ROCPRIM_400000_NS6detail17trampoline_kernelINS0_14default_configENS1_27scan_by_key_config_selectorIxxEEZZNS1_16scan_by_key_implILNS1_25lookback_scan_determinismE0ELb0ES3_N6thrust23THRUST_200600_302600_NS6detail15normal_iteratorINS9_10device_ptrIxEEEESE_SE_xNS9_4plusIvEENS9_8equal_toIvEExEE10hipError_tPvRmT2_T3_T4_T5_mT6_T7_P12ihipStream_tbENKUlT_T0_E_clISt17integral_constantIbLb0EESZ_EEDaSU_SV_EUlSU_E_NS1_11comp_targetILNS1_3genE10ELNS1_11target_archE1201ELNS1_3gpuE5ELNS1_3repE0EEENS1_30default_config_static_selectorELNS0_4arch9wavefront6targetE0EEEvT1_.private_seg_size, 0
	.set _ZN7rocprim17ROCPRIM_400000_NS6detail17trampoline_kernelINS0_14default_configENS1_27scan_by_key_config_selectorIxxEEZZNS1_16scan_by_key_implILNS1_25lookback_scan_determinismE0ELb0ES3_N6thrust23THRUST_200600_302600_NS6detail15normal_iteratorINS9_10device_ptrIxEEEESE_SE_xNS9_4plusIvEENS9_8equal_toIvEExEE10hipError_tPvRmT2_T3_T4_T5_mT6_T7_P12ihipStream_tbENKUlT_T0_E_clISt17integral_constantIbLb0EESZ_EEDaSU_SV_EUlSU_E_NS1_11comp_targetILNS1_3genE10ELNS1_11target_archE1201ELNS1_3gpuE5ELNS1_3repE0EEENS1_30default_config_static_selectorELNS0_4arch9wavefront6targetE0EEEvT1_.uses_vcc, 0
	.set _ZN7rocprim17ROCPRIM_400000_NS6detail17trampoline_kernelINS0_14default_configENS1_27scan_by_key_config_selectorIxxEEZZNS1_16scan_by_key_implILNS1_25lookback_scan_determinismE0ELb0ES3_N6thrust23THRUST_200600_302600_NS6detail15normal_iteratorINS9_10device_ptrIxEEEESE_SE_xNS9_4plusIvEENS9_8equal_toIvEExEE10hipError_tPvRmT2_T3_T4_T5_mT6_T7_P12ihipStream_tbENKUlT_T0_E_clISt17integral_constantIbLb0EESZ_EEDaSU_SV_EUlSU_E_NS1_11comp_targetILNS1_3genE10ELNS1_11target_archE1201ELNS1_3gpuE5ELNS1_3repE0EEENS1_30default_config_static_selectorELNS0_4arch9wavefront6targetE0EEEvT1_.uses_flat_scratch, 0
	.set _ZN7rocprim17ROCPRIM_400000_NS6detail17trampoline_kernelINS0_14default_configENS1_27scan_by_key_config_selectorIxxEEZZNS1_16scan_by_key_implILNS1_25lookback_scan_determinismE0ELb0ES3_N6thrust23THRUST_200600_302600_NS6detail15normal_iteratorINS9_10device_ptrIxEEEESE_SE_xNS9_4plusIvEENS9_8equal_toIvEExEE10hipError_tPvRmT2_T3_T4_T5_mT6_T7_P12ihipStream_tbENKUlT_T0_E_clISt17integral_constantIbLb0EESZ_EEDaSU_SV_EUlSU_E_NS1_11comp_targetILNS1_3genE10ELNS1_11target_archE1201ELNS1_3gpuE5ELNS1_3repE0EEENS1_30default_config_static_selectorELNS0_4arch9wavefront6targetE0EEEvT1_.has_dyn_sized_stack, 0
	.set _ZN7rocprim17ROCPRIM_400000_NS6detail17trampoline_kernelINS0_14default_configENS1_27scan_by_key_config_selectorIxxEEZZNS1_16scan_by_key_implILNS1_25lookback_scan_determinismE0ELb0ES3_N6thrust23THRUST_200600_302600_NS6detail15normal_iteratorINS9_10device_ptrIxEEEESE_SE_xNS9_4plusIvEENS9_8equal_toIvEExEE10hipError_tPvRmT2_T3_T4_T5_mT6_T7_P12ihipStream_tbENKUlT_T0_E_clISt17integral_constantIbLb0EESZ_EEDaSU_SV_EUlSU_E_NS1_11comp_targetILNS1_3genE10ELNS1_11target_archE1201ELNS1_3gpuE5ELNS1_3repE0EEENS1_30default_config_static_selectorELNS0_4arch9wavefront6targetE0EEEvT1_.has_recursion, 0
	.set _ZN7rocprim17ROCPRIM_400000_NS6detail17trampoline_kernelINS0_14default_configENS1_27scan_by_key_config_selectorIxxEEZZNS1_16scan_by_key_implILNS1_25lookback_scan_determinismE0ELb0ES3_N6thrust23THRUST_200600_302600_NS6detail15normal_iteratorINS9_10device_ptrIxEEEESE_SE_xNS9_4plusIvEENS9_8equal_toIvEExEE10hipError_tPvRmT2_T3_T4_T5_mT6_T7_P12ihipStream_tbENKUlT_T0_E_clISt17integral_constantIbLb0EESZ_EEDaSU_SV_EUlSU_E_NS1_11comp_targetILNS1_3genE10ELNS1_11target_archE1201ELNS1_3gpuE5ELNS1_3repE0EEENS1_30default_config_static_selectorELNS0_4arch9wavefront6targetE0EEEvT1_.has_indirect_call, 0
	.section	.AMDGPU.csdata,"",@progbits
; Kernel info:
; codeLenInByte = 0
; TotalNumSgprs: 0
; NumVgprs: 0
; ScratchSize: 0
; MemoryBound: 0
; FloatMode: 240
; IeeeMode: 1
; LDSByteSize: 0 bytes/workgroup (compile time only)
; SGPRBlocks: 0
; VGPRBlocks: 0
; NumSGPRsForWavesPerEU: 1
; NumVGPRsForWavesPerEU: 1
; NamedBarCnt: 0
; Occupancy: 16
; WaveLimiterHint : 0
; COMPUTE_PGM_RSRC2:SCRATCH_EN: 0
; COMPUTE_PGM_RSRC2:USER_SGPR: 2
; COMPUTE_PGM_RSRC2:TRAP_HANDLER: 0
; COMPUTE_PGM_RSRC2:TGID_X_EN: 1
; COMPUTE_PGM_RSRC2:TGID_Y_EN: 0
; COMPUTE_PGM_RSRC2:TGID_Z_EN: 0
; COMPUTE_PGM_RSRC2:TIDIG_COMP_CNT: 0
	.section	.text._ZN7rocprim17ROCPRIM_400000_NS6detail17trampoline_kernelINS0_14default_configENS1_27scan_by_key_config_selectorIxxEEZZNS1_16scan_by_key_implILNS1_25lookback_scan_determinismE0ELb0ES3_N6thrust23THRUST_200600_302600_NS6detail15normal_iteratorINS9_10device_ptrIxEEEESE_SE_xNS9_4plusIvEENS9_8equal_toIvEExEE10hipError_tPvRmT2_T3_T4_T5_mT6_T7_P12ihipStream_tbENKUlT_T0_E_clISt17integral_constantIbLb0EESZ_EEDaSU_SV_EUlSU_E_NS1_11comp_targetILNS1_3genE5ELNS1_11target_archE942ELNS1_3gpuE9ELNS1_3repE0EEENS1_30default_config_static_selectorELNS0_4arch9wavefront6targetE0EEEvT1_,"axG",@progbits,_ZN7rocprim17ROCPRIM_400000_NS6detail17trampoline_kernelINS0_14default_configENS1_27scan_by_key_config_selectorIxxEEZZNS1_16scan_by_key_implILNS1_25lookback_scan_determinismE0ELb0ES3_N6thrust23THRUST_200600_302600_NS6detail15normal_iteratorINS9_10device_ptrIxEEEESE_SE_xNS9_4plusIvEENS9_8equal_toIvEExEE10hipError_tPvRmT2_T3_T4_T5_mT6_T7_P12ihipStream_tbENKUlT_T0_E_clISt17integral_constantIbLb0EESZ_EEDaSU_SV_EUlSU_E_NS1_11comp_targetILNS1_3genE5ELNS1_11target_archE942ELNS1_3gpuE9ELNS1_3repE0EEENS1_30default_config_static_selectorELNS0_4arch9wavefront6targetE0EEEvT1_,comdat
	.protected	_ZN7rocprim17ROCPRIM_400000_NS6detail17trampoline_kernelINS0_14default_configENS1_27scan_by_key_config_selectorIxxEEZZNS1_16scan_by_key_implILNS1_25lookback_scan_determinismE0ELb0ES3_N6thrust23THRUST_200600_302600_NS6detail15normal_iteratorINS9_10device_ptrIxEEEESE_SE_xNS9_4plusIvEENS9_8equal_toIvEExEE10hipError_tPvRmT2_T3_T4_T5_mT6_T7_P12ihipStream_tbENKUlT_T0_E_clISt17integral_constantIbLb0EESZ_EEDaSU_SV_EUlSU_E_NS1_11comp_targetILNS1_3genE5ELNS1_11target_archE942ELNS1_3gpuE9ELNS1_3repE0EEENS1_30default_config_static_selectorELNS0_4arch9wavefront6targetE0EEEvT1_ ; -- Begin function _ZN7rocprim17ROCPRIM_400000_NS6detail17trampoline_kernelINS0_14default_configENS1_27scan_by_key_config_selectorIxxEEZZNS1_16scan_by_key_implILNS1_25lookback_scan_determinismE0ELb0ES3_N6thrust23THRUST_200600_302600_NS6detail15normal_iteratorINS9_10device_ptrIxEEEESE_SE_xNS9_4plusIvEENS9_8equal_toIvEExEE10hipError_tPvRmT2_T3_T4_T5_mT6_T7_P12ihipStream_tbENKUlT_T0_E_clISt17integral_constantIbLb0EESZ_EEDaSU_SV_EUlSU_E_NS1_11comp_targetILNS1_3genE5ELNS1_11target_archE942ELNS1_3gpuE9ELNS1_3repE0EEENS1_30default_config_static_selectorELNS0_4arch9wavefront6targetE0EEEvT1_
	.globl	_ZN7rocprim17ROCPRIM_400000_NS6detail17trampoline_kernelINS0_14default_configENS1_27scan_by_key_config_selectorIxxEEZZNS1_16scan_by_key_implILNS1_25lookback_scan_determinismE0ELb0ES3_N6thrust23THRUST_200600_302600_NS6detail15normal_iteratorINS9_10device_ptrIxEEEESE_SE_xNS9_4plusIvEENS9_8equal_toIvEExEE10hipError_tPvRmT2_T3_T4_T5_mT6_T7_P12ihipStream_tbENKUlT_T0_E_clISt17integral_constantIbLb0EESZ_EEDaSU_SV_EUlSU_E_NS1_11comp_targetILNS1_3genE5ELNS1_11target_archE942ELNS1_3gpuE9ELNS1_3repE0EEENS1_30default_config_static_selectorELNS0_4arch9wavefront6targetE0EEEvT1_
	.p2align	8
	.type	_ZN7rocprim17ROCPRIM_400000_NS6detail17trampoline_kernelINS0_14default_configENS1_27scan_by_key_config_selectorIxxEEZZNS1_16scan_by_key_implILNS1_25lookback_scan_determinismE0ELb0ES3_N6thrust23THRUST_200600_302600_NS6detail15normal_iteratorINS9_10device_ptrIxEEEESE_SE_xNS9_4plusIvEENS9_8equal_toIvEExEE10hipError_tPvRmT2_T3_T4_T5_mT6_T7_P12ihipStream_tbENKUlT_T0_E_clISt17integral_constantIbLb0EESZ_EEDaSU_SV_EUlSU_E_NS1_11comp_targetILNS1_3genE5ELNS1_11target_archE942ELNS1_3gpuE9ELNS1_3repE0EEENS1_30default_config_static_selectorELNS0_4arch9wavefront6targetE0EEEvT1_,@function
_ZN7rocprim17ROCPRIM_400000_NS6detail17trampoline_kernelINS0_14default_configENS1_27scan_by_key_config_selectorIxxEEZZNS1_16scan_by_key_implILNS1_25lookback_scan_determinismE0ELb0ES3_N6thrust23THRUST_200600_302600_NS6detail15normal_iteratorINS9_10device_ptrIxEEEESE_SE_xNS9_4plusIvEENS9_8equal_toIvEExEE10hipError_tPvRmT2_T3_T4_T5_mT6_T7_P12ihipStream_tbENKUlT_T0_E_clISt17integral_constantIbLb0EESZ_EEDaSU_SV_EUlSU_E_NS1_11comp_targetILNS1_3genE5ELNS1_11target_archE942ELNS1_3gpuE9ELNS1_3repE0EEENS1_30default_config_static_selectorELNS0_4arch9wavefront6targetE0EEEvT1_: ; @_ZN7rocprim17ROCPRIM_400000_NS6detail17trampoline_kernelINS0_14default_configENS1_27scan_by_key_config_selectorIxxEEZZNS1_16scan_by_key_implILNS1_25lookback_scan_determinismE0ELb0ES3_N6thrust23THRUST_200600_302600_NS6detail15normal_iteratorINS9_10device_ptrIxEEEESE_SE_xNS9_4plusIvEENS9_8equal_toIvEExEE10hipError_tPvRmT2_T3_T4_T5_mT6_T7_P12ihipStream_tbENKUlT_T0_E_clISt17integral_constantIbLb0EESZ_EEDaSU_SV_EUlSU_E_NS1_11comp_targetILNS1_3genE5ELNS1_11target_archE942ELNS1_3gpuE9ELNS1_3repE0EEENS1_30default_config_static_selectorELNS0_4arch9wavefront6targetE0EEEvT1_
; %bb.0:
	.section	.rodata,"a",@progbits
	.p2align	6, 0x0
	.amdhsa_kernel _ZN7rocprim17ROCPRIM_400000_NS6detail17trampoline_kernelINS0_14default_configENS1_27scan_by_key_config_selectorIxxEEZZNS1_16scan_by_key_implILNS1_25lookback_scan_determinismE0ELb0ES3_N6thrust23THRUST_200600_302600_NS6detail15normal_iteratorINS9_10device_ptrIxEEEESE_SE_xNS9_4plusIvEENS9_8equal_toIvEExEE10hipError_tPvRmT2_T3_T4_T5_mT6_T7_P12ihipStream_tbENKUlT_T0_E_clISt17integral_constantIbLb0EESZ_EEDaSU_SV_EUlSU_E_NS1_11comp_targetILNS1_3genE5ELNS1_11target_archE942ELNS1_3gpuE9ELNS1_3repE0EEENS1_30default_config_static_selectorELNS0_4arch9wavefront6targetE0EEEvT1_
		.amdhsa_group_segment_fixed_size 0
		.amdhsa_private_segment_fixed_size 0
		.amdhsa_kernarg_size 136
		.amdhsa_user_sgpr_count 2
		.amdhsa_user_sgpr_dispatch_ptr 0
		.amdhsa_user_sgpr_queue_ptr 0
		.amdhsa_user_sgpr_kernarg_segment_ptr 1
		.amdhsa_user_sgpr_dispatch_id 0
		.amdhsa_user_sgpr_kernarg_preload_length 0
		.amdhsa_user_sgpr_kernarg_preload_offset 0
		.amdhsa_user_sgpr_private_segment_size 0
		.amdhsa_wavefront_size32 1
		.amdhsa_uses_dynamic_stack 0
		.amdhsa_enable_private_segment 0
		.amdhsa_system_sgpr_workgroup_id_x 1
		.amdhsa_system_sgpr_workgroup_id_y 0
		.amdhsa_system_sgpr_workgroup_id_z 0
		.amdhsa_system_sgpr_workgroup_info 0
		.amdhsa_system_vgpr_workitem_id 0
		.amdhsa_next_free_vgpr 1
		.amdhsa_next_free_sgpr 1
		.amdhsa_named_barrier_count 0
		.amdhsa_reserve_vcc 0
		.amdhsa_float_round_mode_32 0
		.amdhsa_float_round_mode_16_64 0
		.amdhsa_float_denorm_mode_32 3
		.amdhsa_float_denorm_mode_16_64 3
		.amdhsa_fp16_overflow 0
		.amdhsa_memory_ordered 1
		.amdhsa_forward_progress 1
		.amdhsa_inst_pref_size 0
		.amdhsa_round_robin_scheduling 0
		.amdhsa_exception_fp_ieee_invalid_op 0
		.amdhsa_exception_fp_denorm_src 0
		.amdhsa_exception_fp_ieee_div_zero 0
		.amdhsa_exception_fp_ieee_overflow 0
		.amdhsa_exception_fp_ieee_underflow 0
		.amdhsa_exception_fp_ieee_inexact 0
		.amdhsa_exception_int_div_zero 0
	.end_amdhsa_kernel
	.section	.text._ZN7rocprim17ROCPRIM_400000_NS6detail17trampoline_kernelINS0_14default_configENS1_27scan_by_key_config_selectorIxxEEZZNS1_16scan_by_key_implILNS1_25lookback_scan_determinismE0ELb0ES3_N6thrust23THRUST_200600_302600_NS6detail15normal_iteratorINS9_10device_ptrIxEEEESE_SE_xNS9_4plusIvEENS9_8equal_toIvEExEE10hipError_tPvRmT2_T3_T4_T5_mT6_T7_P12ihipStream_tbENKUlT_T0_E_clISt17integral_constantIbLb0EESZ_EEDaSU_SV_EUlSU_E_NS1_11comp_targetILNS1_3genE5ELNS1_11target_archE942ELNS1_3gpuE9ELNS1_3repE0EEENS1_30default_config_static_selectorELNS0_4arch9wavefront6targetE0EEEvT1_,"axG",@progbits,_ZN7rocprim17ROCPRIM_400000_NS6detail17trampoline_kernelINS0_14default_configENS1_27scan_by_key_config_selectorIxxEEZZNS1_16scan_by_key_implILNS1_25lookback_scan_determinismE0ELb0ES3_N6thrust23THRUST_200600_302600_NS6detail15normal_iteratorINS9_10device_ptrIxEEEESE_SE_xNS9_4plusIvEENS9_8equal_toIvEExEE10hipError_tPvRmT2_T3_T4_T5_mT6_T7_P12ihipStream_tbENKUlT_T0_E_clISt17integral_constantIbLb0EESZ_EEDaSU_SV_EUlSU_E_NS1_11comp_targetILNS1_3genE5ELNS1_11target_archE942ELNS1_3gpuE9ELNS1_3repE0EEENS1_30default_config_static_selectorELNS0_4arch9wavefront6targetE0EEEvT1_,comdat
.Lfunc_end7:
	.size	_ZN7rocprim17ROCPRIM_400000_NS6detail17trampoline_kernelINS0_14default_configENS1_27scan_by_key_config_selectorIxxEEZZNS1_16scan_by_key_implILNS1_25lookback_scan_determinismE0ELb0ES3_N6thrust23THRUST_200600_302600_NS6detail15normal_iteratorINS9_10device_ptrIxEEEESE_SE_xNS9_4plusIvEENS9_8equal_toIvEExEE10hipError_tPvRmT2_T3_T4_T5_mT6_T7_P12ihipStream_tbENKUlT_T0_E_clISt17integral_constantIbLb0EESZ_EEDaSU_SV_EUlSU_E_NS1_11comp_targetILNS1_3genE5ELNS1_11target_archE942ELNS1_3gpuE9ELNS1_3repE0EEENS1_30default_config_static_selectorELNS0_4arch9wavefront6targetE0EEEvT1_, .Lfunc_end7-_ZN7rocprim17ROCPRIM_400000_NS6detail17trampoline_kernelINS0_14default_configENS1_27scan_by_key_config_selectorIxxEEZZNS1_16scan_by_key_implILNS1_25lookback_scan_determinismE0ELb0ES3_N6thrust23THRUST_200600_302600_NS6detail15normal_iteratorINS9_10device_ptrIxEEEESE_SE_xNS9_4plusIvEENS9_8equal_toIvEExEE10hipError_tPvRmT2_T3_T4_T5_mT6_T7_P12ihipStream_tbENKUlT_T0_E_clISt17integral_constantIbLb0EESZ_EEDaSU_SV_EUlSU_E_NS1_11comp_targetILNS1_3genE5ELNS1_11target_archE942ELNS1_3gpuE9ELNS1_3repE0EEENS1_30default_config_static_selectorELNS0_4arch9wavefront6targetE0EEEvT1_
                                        ; -- End function
	.set _ZN7rocprim17ROCPRIM_400000_NS6detail17trampoline_kernelINS0_14default_configENS1_27scan_by_key_config_selectorIxxEEZZNS1_16scan_by_key_implILNS1_25lookback_scan_determinismE0ELb0ES3_N6thrust23THRUST_200600_302600_NS6detail15normal_iteratorINS9_10device_ptrIxEEEESE_SE_xNS9_4plusIvEENS9_8equal_toIvEExEE10hipError_tPvRmT2_T3_T4_T5_mT6_T7_P12ihipStream_tbENKUlT_T0_E_clISt17integral_constantIbLb0EESZ_EEDaSU_SV_EUlSU_E_NS1_11comp_targetILNS1_3genE5ELNS1_11target_archE942ELNS1_3gpuE9ELNS1_3repE0EEENS1_30default_config_static_selectorELNS0_4arch9wavefront6targetE0EEEvT1_.num_vgpr, 0
	.set _ZN7rocprim17ROCPRIM_400000_NS6detail17trampoline_kernelINS0_14default_configENS1_27scan_by_key_config_selectorIxxEEZZNS1_16scan_by_key_implILNS1_25lookback_scan_determinismE0ELb0ES3_N6thrust23THRUST_200600_302600_NS6detail15normal_iteratorINS9_10device_ptrIxEEEESE_SE_xNS9_4plusIvEENS9_8equal_toIvEExEE10hipError_tPvRmT2_T3_T4_T5_mT6_T7_P12ihipStream_tbENKUlT_T0_E_clISt17integral_constantIbLb0EESZ_EEDaSU_SV_EUlSU_E_NS1_11comp_targetILNS1_3genE5ELNS1_11target_archE942ELNS1_3gpuE9ELNS1_3repE0EEENS1_30default_config_static_selectorELNS0_4arch9wavefront6targetE0EEEvT1_.num_agpr, 0
	.set _ZN7rocprim17ROCPRIM_400000_NS6detail17trampoline_kernelINS0_14default_configENS1_27scan_by_key_config_selectorIxxEEZZNS1_16scan_by_key_implILNS1_25lookback_scan_determinismE0ELb0ES3_N6thrust23THRUST_200600_302600_NS6detail15normal_iteratorINS9_10device_ptrIxEEEESE_SE_xNS9_4plusIvEENS9_8equal_toIvEExEE10hipError_tPvRmT2_T3_T4_T5_mT6_T7_P12ihipStream_tbENKUlT_T0_E_clISt17integral_constantIbLb0EESZ_EEDaSU_SV_EUlSU_E_NS1_11comp_targetILNS1_3genE5ELNS1_11target_archE942ELNS1_3gpuE9ELNS1_3repE0EEENS1_30default_config_static_selectorELNS0_4arch9wavefront6targetE0EEEvT1_.numbered_sgpr, 0
	.set _ZN7rocprim17ROCPRIM_400000_NS6detail17trampoline_kernelINS0_14default_configENS1_27scan_by_key_config_selectorIxxEEZZNS1_16scan_by_key_implILNS1_25lookback_scan_determinismE0ELb0ES3_N6thrust23THRUST_200600_302600_NS6detail15normal_iteratorINS9_10device_ptrIxEEEESE_SE_xNS9_4plusIvEENS9_8equal_toIvEExEE10hipError_tPvRmT2_T3_T4_T5_mT6_T7_P12ihipStream_tbENKUlT_T0_E_clISt17integral_constantIbLb0EESZ_EEDaSU_SV_EUlSU_E_NS1_11comp_targetILNS1_3genE5ELNS1_11target_archE942ELNS1_3gpuE9ELNS1_3repE0EEENS1_30default_config_static_selectorELNS0_4arch9wavefront6targetE0EEEvT1_.num_named_barrier, 0
	.set _ZN7rocprim17ROCPRIM_400000_NS6detail17trampoline_kernelINS0_14default_configENS1_27scan_by_key_config_selectorIxxEEZZNS1_16scan_by_key_implILNS1_25lookback_scan_determinismE0ELb0ES3_N6thrust23THRUST_200600_302600_NS6detail15normal_iteratorINS9_10device_ptrIxEEEESE_SE_xNS9_4plusIvEENS9_8equal_toIvEExEE10hipError_tPvRmT2_T3_T4_T5_mT6_T7_P12ihipStream_tbENKUlT_T0_E_clISt17integral_constantIbLb0EESZ_EEDaSU_SV_EUlSU_E_NS1_11comp_targetILNS1_3genE5ELNS1_11target_archE942ELNS1_3gpuE9ELNS1_3repE0EEENS1_30default_config_static_selectorELNS0_4arch9wavefront6targetE0EEEvT1_.private_seg_size, 0
	.set _ZN7rocprim17ROCPRIM_400000_NS6detail17trampoline_kernelINS0_14default_configENS1_27scan_by_key_config_selectorIxxEEZZNS1_16scan_by_key_implILNS1_25lookback_scan_determinismE0ELb0ES3_N6thrust23THRUST_200600_302600_NS6detail15normal_iteratorINS9_10device_ptrIxEEEESE_SE_xNS9_4plusIvEENS9_8equal_toIvEExEE10hipError_tPvRmT2_T3_T4_T5_mT6_T7_P12ihipStream_tbENKUlT_T0_E_clISt17integral_constantIbLb0EESZ_EEDaSU_SV_EUlSU_E_NS1_11comp_targetILNS1_3genE5ELNS1_11target_archE942ELNS1_3gpuE9ELNS1_3repE0EEENS1_30default_config_static_selectorELNS0_4arch9wavefront6targetE0EEEvT1_.uses_vcc, 0
	.set _ZN7rocprim17ROCPRIM_400000_NS6detail17trampoline_kernelINS0_14default_configENS1_27scan_by_key_config_selectorIxxEEZZNS1_16scan_by_key_implILNS1_25lookback_scan_determinismE0ELb0ES3_N6thrust23THRUST_200600_302600_NS6detail15normal_iteratorINS9_10device_ptrIxEEEESE_SE_xNS9_4plusIvEENS9_8equal_toIvEExEE10hipError_tPvRmT2_T3_T4_T5_mT6_T7_P12ihipStream_tbENKUlT_T0_E_clISt17integral_constantIbLb0EESZ_EEDaSU_SV_EUlSU_E_NS1_11comp_targetILNS1_3genE5ELNS1_11target_archE942ELNS1_3gpuE9ELNS1_3repE0EEENS1_30default_config_static_selectorELNS0_4arch9wavefront6targetE0EEEvT1_.uses_flat_scratch, 0
	.set _ZN7rocprim17ROCPRIM_400000_NS6detail17trampoline_kernelINS0_14default_configENS1_27scan_by_key_config_selectorIxxEEZZNS1_16scan_by_key_implILNS1_25lookback_scan_determinismE0ELb0ES3_N6thrust23THRUST_200600_302600_NS6detail15normal_iteratorINS9_10device_ptrIxEEEESE_SE_xNS9_4plusIvEENS9_8equal_toIvEExEE10hipError_tPvRmT2_T3_T4_T5_mT6_T7_P12ihipStream_tbENKUlT_T0_E_clISt17integral_constantIbLb0EESZ_EEDaSU_SV_EUlSU_E_NS1_11comp_targetILNS1_3genE5ELNS1_11target_archE942ELNS1_3gpuE9ELNS1_3repE0EEENS1_30default_config_static_selectorELNS0_4arch9wavefront6targetE0EEEvT1_.has_dyn_sized_stack, 0
	.set _ZN7rocprim17ROCPRIM_400000_NS6detail17trampoline_kernelINS0_14default_configENS1_27scan_by_key_config_selectorIxxEEZZNS1_16scan_by_key_implILNS1_25lookback_scan_determinismE0ELb0ES3_N6thrust23THRUST_200600_302600_NS6detail15normal_iteratorINS9_10device_ptrIxEEEESE_SE_xNS9_4plusIvEENS9_8equal_toIvEExEE10hipError_tPvRmT2_T3_T4_T5_mT6_T7_P12ihipStream_tbENKUlT_T0_E_clISt17integral_constantIbLb0EESZ_EEDaSU_SV_EUlSU_E_NS1_11comp_targetILNS1_3genE5ELNS1_11target_archE942ELNS1_3gpuE9ELNS1_3repE0EEENS1_30default_config_static_selectorELNS0_4arch9wavefront6targetE0EEEvT1_.has_recursion, 0
	.set _ZN7rocprim17ROCPRIM_400000_NS6detail17trampoline_kernelINS0_14default_configENS1_27scan_by_key_config_selectorIxxEEZZNS1_16scan_by_key_implILNS1_25lookback_scan_determinismE0ELb0ES3_N6thrust23THRUST_200600_302600_NS6detail15normal_iteratorINS9_10device_ptrIxEEEESE_SE_xNS9_4plusIvEENS9_8equal_toIvEExEE10hipError_tPvRmT2_T3_T4_T5_mT6_T7_P12ihipStream_tbENKUlT_T0_E_clISt17integral_constantIbLb0EESZ_EEDaSU_SV_EUlSU_E_NS1_11comp_targetILNS1_3genE5ELNS1_11target_archE942ELNS1_3gpuE9ELNS1_3repE0EEENS1_30default_config_static_selectorELNS0_4arch9wavefront6targetE0EEEvT1_.has_indirect_call, 0
	.section	.AMDGPU.csdata,"",@progbits
; Kernel info:
; codeLenInByte = 0
; TotalNumSgprs: 0
; NumVgprs: 0
; ScratchSize: 0
; MemoryBound: 0
; FloatMode: 240
; IeeeMode: 1
; LDSByteSize: 0 bytes/workgroup (compile time only)
; SGPRBlocks: 0
; VGPRBlocks: 0
; NumSGPRsForWavesPerEU: 1
; NumVGPRsForWavesPerEU: 1
; NamedBarCnt: 0
; Occupancy: 16
; WaveLimiterHint : 0
; COMPUTE_PGM_RSRC2:SCRATCH_EN: 0
; COMPUTE_PGM_RSRC2:USER_SGPR: 2
; COMPUTE_PGM_RSRC2:TRAP_HANDLER: 0
; COMPUTE_PGM_RSRC2:TGID_X_EN: 1
; COMPUTE_PGM_RSRC2:TGID_Y_EN: 0
; COMPUTE_PGM_RSRC2:TGID_Z_EN: 0
; COMPUTE_PGM_RSRC2:TIDIG_COMP_CNT: 0
	.section	.text._ZN7rocprim17ROCPRIM_400000_NS6detail17trampoline_kernelINS0_14default_configENS1_27scan_by_key_config_selectorIxxEEZZNS1_16scan_by_key_implILNS1_25lookback_scan_determinismE0ELb0ES3_N6thrust23THRUST_200600_302600_NS6detail15normal_iteratorINS9_10device_ptrIxEEEESE_SE_xNS9_4plusIvEENS9_8equal_toIvEExEE10hipError_tPvRmT2_T3_T4_T5_mT6_T7_P12ihipStream_tbENKUlT_T0_E_clISt17integral_constantIbLb0EESZ_EEDaSU_SV_EUlSU_E_NS1_11comp_targetILNS1_3genE4ELNS1_11target_archE910ELNS1_3gpuE8ELNS1_3repE0EEENS1_30default_config_static_selectorELNS0_4arch9wavefront6targetE0EEEvT1_,"axG",@progbits,_ZN7rocprim17ROCPRIM_400000_NS6detail17trampoline_kernelINS0_14default_configENS1_27scan_by_key_config_selectorIxxEEZZNS1_16scan_by_key_implILNS1_25lookback_scan_determinismE0ELb0ES3_N6thrust23THRUST_200600_302600_NS6detail15normal_iteratorINS9_10device_ptrIxEEEESE_SE_xNS9_4plusIvEENS9_8equal_toIvEExEE10hipError_tPvRmT2_T3_T4_T5_mT6_T7_P12ihipStream_tbENKUlT_T0_E_clISt17integral_constantIbLb0EESZ_EEDaSU_SV_EUlSU_E_NS1_11comp_targetILNS1_3genE4ELNS1_11target_archE910ELNS1_3gpuE8ELNS1_3repE0EEENS1_30default_config_static_selectorELNS0_4arch9wavefront6targetE0EEEvT1_,comdat
	.protected	_ZN7rocprim17ROCPRIM_400000_NS6detail17trampoline_kernelINS0_14default_configENS1_27scan_by_key_config_selectorIxxEEZZNS1_16scan_by_key_implILNS1_25lookback_scan_determinismE0ELb0ES3_N6thrust23THRUST_200600_302600_NS6detail15normal_iteratorINS9_10device_ptrIxEEEESE_SE_xNS9_4plusIvEENS9_8equal_toIvEExEE10hipError_tPvRmT2_T3_T4_T5_mT6_T7_P12ihipStream_tbENKUlT_T0_E_clISt17integral_constantIbLb0EESZ_EEDaSU_SV_EUlSU_E_NS1_11comp_targetILNS1_3genE4ELNS1_11target_archE910ELNS1_3gpuE8ELNS1_3repE0EEENS1_30default_config_static_selectorELNS0_4arch9wavefront6targetE0EEEvT1_ ; -- Begin function _ZN7rocprim17ROCPRIM_400000_NS6detail17trampoline_kernelINS0_14default_configENS1_27scan_by_key_config_selectorIxxEEZZNS1_16scan_by_key_implILNS1_25lookback_scan_determinismE0ELb0ES3_N6thrust23THRUST_200600_302600_NS6detail15normal_iteratorINS9_10device_ptrIxEEEESE_SE_xNS9_4plusIvEENS9_8equal_toIvEExEE10hipError_tPvRmT2_T3_T4_T5_mT6_T7_P12ihipStream_tbENKUlT_T0_E_clISt17integral_constantIbLb0EESZ_EEDaSU_SV_EUlSU_E_NS1_11comp_targetILNS1_3genE4ELNS1_11target_archE910ELNS1_3gpuE8ELNS1_3repE0EEENS1_30default_config_static_selectorELNS0_4arch9wavefront6targetE0EEEvT1_
	.globl	_ZN7rocprim17ROCPRIM_400000_NS6detail17trampoline_kernelINS0_14default_configENS1_27scan_by_key_config_selectorIxxEEZZNS1_16scan_by_key_implILNS1_25lookback_scan_determinismE0ELb0ES3_N6thrust23THRUST_200600_302600_NS6detail15normal_iteratorINS9_10device_ptrIxEEEESE_SE_xNS9_4plusIvEENS9_8equal_toIvEExEE10hipError_tPvRmT2_T3_T4_T5_mT6_T7_P12ihipStream_tbENKUlT_T0_E_clISt17integral_constantIbLb0EESZ_EEDaSU_SV_EUlSU_E_NS1_11comp_targetILNS1_3genE4ELNS1_11target_archE910ELNS1_3gpuE8ELNS1_3repE0EEENS1_30default_config_static_selectorELNS0_4arch9wavefront6targetE0EEEvT1_
	.p2align	8
	.type	_ZN7rocprim17ROCPRIM_400000_NS6detail17trampoline_kernelINS0_14default_configENS1_27scan_by_key_config_selectorIxxEEZZNS1_16scan_by_key_implILNS1_25lookback_scan_determinismE0ELb0ES3_N6thrust23THRUST_200600_302600_NS6detail15normal_iteratorINS9_10device_ptrIxEEEESE_SE_xNS9_4plusIvEENS9_8equal_toIvEExEE10hipError_tPvRmT2_T3_T4_T5_mT6_T7_P12ihipStream_tbENKUlT_T0_E_clISt17integral_constantIbLb0EESZ_EEDaSU_SV_EUlSU_E_NS1_11comp_targetILNS1_3genE4ELNS1_11target_archE910ELNS1_3gpuE8ELNS1_3repE0EEENS1_30default_config_static_selectorELNS0_4arch9wavefront6targetE0EEEvT1_,@function
_ZN7rocprim17ROCPRIM_400000_NS6detail17trampoline_kernelINS0_14default_configENS1_27scan_by_key_config_selectorIxxEEZZNS1_16scan_by_key_implILNS1_25lookback_scan_determinismE0ELb0ES3_N6thrust23THRUST_200600_302600_NS6detail15normal_iteratorINS9_10device_ptrIxEEEESE_SE_xNS9_4plusIvEENS9_8equal_toIvEExEE10hipError_tPvRmT2_T3_T4_T5_mT6_T7_P12ihipStream_tbENKUlT_T0_E_clISt17integral_constantIbLb0EESZ_EEDaSU_SV_EUlSU_E_NS1_11comp_targetILNS1_3genE4ELNS1_11target_archE910ELNS1_3gpuE8ELNS1_3repE0EEENS1_30default_config_static_selectorELNS0_4arch9wavefront6targetE0EEEvT1_: ; @_ZN7rocprim17ROCPRIM_400000_NS6detail17trampoline_kernelINS0_14default_configENS1_27scan_by_key_config_selectorIxxEEZZNS1_16scan_by_key_implILNS1_25lookback_scan_determinismE0ELb0ES3_N6thrust23THRUST_200600_302600_NS6detail15normal_iteratorINS9_10device_ptrIxEEEESE_SE_xNS9_4plusIvEENS9_8equal_toIvEExEE10hipError_tPvRmT2_T3_T4_T5_mT6_T7_P12ihipStream_tbENKUlT_T0_E_clISt17integral_constantIbLb0EESZ_EEDaSU_SV_EUlSU_E_NS1_11comp_targetILNS1_3genE4ELNS1_11target_archE910ELNS1_3gpuE8ELNS1_3repE0EEENS1_30default_config_static_selectorELNS0_4arch9wavefront6targetE0EEEvT1_
; %bb.0:
	.section	.rodata,"a",@progbits
	.p2align	6, 0x0
	.amdhsa_kernel _ZN7rocprim17ROCPRIM_400000_NS6detail17trampoline_kernelINS0_14default_configENS1_27scan_by_key_config_selectorIxxEEZZNS1_16scan_by_key_implILNS1_25lookback_scan_determinismE0ELb0ES3_N6thrust23THRUST_200600_302600_NS6detail15normal_iteratorINS9_10device_ptrIxEEEESE_SE_xNS9_4plusIvEENS9_8equal_toIvEExEE10hipError_tPvRmT2_T3_T4_T5_mT6_T7_P12ihipStream_tbENKUlT_T0_E_clISt17integral_constantIbLb0EESZ_EEDaSU_SV_EUlSU_E_NS1_11comp_targetILNS1_3genE4ELNS1_11target_archE910ELNS1_3gpuE8ELNS1_3repE0EEENS1_30default_config_static_selectorELNS0_4arch9wavefront6targetE0EEEvT1_
		.amdhsa_group_segment_fixed_size 0
		.amdhsa_private_segment_fixed_size 0
		.amdhsa_kernarg_size 136
		.amdhsa_user_sgpr_count 2
		.amdhsa_user_sgpr_dispatch_ptr 0
		.amdhsa_user_sgpr_queue_ptr 0
		.amdhsa_user_sgpr_kernarg_segment_ptr 1
		.amdhsa_user_sgpr_dispatch_id 0
		.amdhsa_user_sgpr_kernarg_preload_length 0
		.amdhsa_user_sgpr_kernarg_preload_offset 0
		.amdhsa_user_sgpr_private_segment_size 0
		.amdhsa_wavefront_size32 1
		.amdhsa_uses_dynamic_stack 0
		.amdhsa_enable_private_segment 0
		.amdhsa_system_sgpr_workgroup_id_x 1
		.amdhsa_system_sgpr_workgroup_id_y 0
		.amdhsa_system_sgpr_workgroup_id_z 0
		.amdhsa_system_sgpr_workgroup_info 0
		.amdhsa_system_vgpr_workitem_id 0
		.amdhsa_next_free_vgpr 1
		.amdhsa_next_free_sgpr 1
		.amdhsa_named_barrier_count 0
		.amdhsa_reserve_vcc 0
		.amdhsa_float_round_mode_32 0
		.amdhsa_float_round_mode_16_64 0
		.amdhsa_float_denorm_mode_32 3
		.amdhsa_float_denorm_mode_16_64 3
		.amdhsa_fp16_overflow 0
		.amdhsa_memory_ordered 1
		.amdhsa_forward_progress 1
		.amdhsa_inst_pref_size 0
		.amdhsa_round_robin_scheduling 0
		.amdhsa_exception_fp_ieee_invalid_op 0
		.amdhsa_exception_fp_denorm_src 0
		.amdhsa_exception_fp_ieee_div_zero 0
		.amdhsa_exception_fp_ieee_overflow 0
		.amdhsa_exception_fp_ieee_underflow 0
		.amdhsa_exception_fp_ieee_inexact 0
		.amdhsa_exception_int_div_zero 0
	.end_amdhsa_kernel
	.section	.text._ZN7rocprim17ROCPRIM_400000_NS6detail17trampoline_kernelINS0_14default_configENS1_27scan_by_key_config_selectorIxxEEZZNS1_16scan_by_key_implILNS1_25lookback_scan_determinismE0ELb0ES3_N6thrust23THRUST_200600_302600_NS6detail15normal_iteratorINS9_10device_ptrIxEEEESE_SE_xNS9_4plusIvEENS9_8equal_toIvEExEE10hipError_tPvRmT2_T3_T4_T5_mT6_T7_P12ihipStream_tbENKUlT_T0_E_clISt17integral_constantIbLb0EESZ_EEDaSU_SV_EUlSU_E_NS1_11comp_targetILNS1_3genE4ELNS1_11target_archE910ELNS1_3gpuE8ELNS1_3repE0EEENS1_30default_config_static_selectorELNS0_4arch9wavefront6targetE0EEEvT1_,"axG",@progbits,_ZN7rocprim17ROCPRIM_400000_NS6detail17trampoline_kernelINS0_14default_configENS1_27scan_by_key_config_selectorIxxEEZZNS1_16scan_by_key_implILNS1_25lookback_scan_determinismE0ELb0ES3_N6thrust23THRUST_200600_302600_NS6detail15normal_iteratorINS9_10device_ptrIxEEEESE_SE_xNS9_4plusIvEENS9_8equal_toIvEExEE10hipError_tPvRmT2_T3_T4_T5_mT6_T7_P12ihipStream_tbENKUlT_T0_E_clISt17integral_constantIbLb0EESZ_EEDaSU_SV_EUlSU_E_NS1_11comp_targetILNS1_3genE4ELNS1_11target_archE910ELNS1_3gpuE8ELNS1_3repE0EEENS1_30default_config_static_selectorELNS0_4arch9wavefront6targetE0EEEvT1_,comdat
.Lfunc_end8:
	.size	_ZN7rocprim17ROCPRIM_400000_NS6detail17trampoline_kernelINS0_14default_configENS1_27scan_by_key_config_selectorIxxEEZZNS1_16scan_by_key_implILNS1_25lookback_scan_determinismE0ELb0ES3_N6thrust23THRUST_200600_302600_NS6detail15normal_iteratorINS9_10device_ptrIxEEEESE_SE_xNS9_4plusIvEENS9_8equal_toIvEExEE10hipError_tPvRmT2_T3_T4_T5_mT6_T7_P12ihipStream_tbENKUlT_T0_E_clISt17integral_constantIbLb0EESZ_EEDaSU_SV_EUlSU_E_NS1_11comp_targetILNS1_3genE4ELNS1_11target_archE910ELNS1_3gpuE8ELNS1_3repE0EEENS1_30default_config_static_selectorELNS0_4arch9wavefront6targetE0EEEvT1_, .Lfunc_end8-_ZN7rocprim17ROCPRIM_400000_NS6detail17trampoline_kernelINS0_14default_configENS1_27scan_by_key_config_selectorIxxEEZZNS1_16scan_by_key_implILNS1_25lookback_scan_determinismE0ELb0ES3_N6thrust23THRUST_200600_302600_NS6detail15normal_iteratorINS9_10device_ptrIxEEEESE_SE_xNS9_4plusIvEENS9_8equal_toIvEExEE10hipError_tPvRmT2_T3_T4_T5_mT6_T7_P12ihipStream_tbENKUlT_T0_E_clISt17integral_constantIbLb0EESZ_EEDaSU_SV_EUlSU_E_NS1_11comp_targetILNS1_3genE4ELNS1_11target_archE910ELNS1_3gpuE8ELNS1_3repE0EEENS1_30default_config_static_selectorELNS0_4arch9wavefront6targetE0EEEvT1_
                                        ; -- End function
	.set _ZN7rocprim17ROCPRIM_400000_NS6detail17trampoline_kernelINS0_14default_configENS1_27scan_by_key_config_selectorIxxEEZZNS1_16scan_by_key_implILNS1_25lookback_scan_determinismE0ELb0ES3_N6thrust23THRUST_200600_302600_NS6detail15normal_iteratorINS9_10device_ptrIxEEEESE_SE_xNS9_4plusIvEENS9_8equal_toIvEExEE10hipError_tPvRmT2_T3_T4_T5_mT6_T7_P12ihipStream_tbENKUlT_T0_E_clISt17integral_constantIbLb0EESZ_EEDaSU_SV_EUlSU_E_NS1_11comp_targetILNS1_3genE4ELNS1_11target_archE910ELNS1_3gpuE8ELNS1_3repE0EEENS1_30default_config_static_selectorELNS0_4arch9wavefront6targetE0EEEvT1_.num_vgpr, 0
	.set _ZN7rocprim17ROCPRIM_400000_NS6detail17trampoline_kernelINS0_14default_configENS1_27scan_by_key_config_selectorIxxEEZZNS1_16scan_by_key_implILNS1_25lookback_scan_determinismE0ELb0ES3_N6thrust23THRUST_200600_302600_NS6detail15normal_iteratorINS9_10device_ptrIxEEEESE_SE_xNS9_4plusIvEENS9_8equal_toIvEExEE10hipError_tPvRmT2_T3_T4_T5_mT6_T7_P12ihipStream_tbENKUlT_T0_E_clISt17integral_constantIbLb0EESZ_EEDaSU_SV_EUlSU_E_NS1_11comp_targetILNS1_3genE4ELNS1_11target_archE910ELNS1_3gpuE8ELNS1_3repE0EEENS1_30default_config_static_selectorELNS0_4arch9wavefront6targetE0EEEvT1_.num_agpr, 0
	.set _ZN7rocprim17ROCPRIM_400000_NS6detail17trampoline_kernelINS0_14default_configENS1_27scan_by_key_config_selectorIxxEEZZNS1_16scan_by_key_implILNS1_25lookback_scan_determinismE0ELb0ES3_N6thrust23THRUST_200600_302600_NS6detail15normal_iteratorINS9_10device_ptrIxEEEESE_SE_xNS9_4plusIvEENS9_8equal_toIvEExEE10hipError_tPvRmT2_T3_T4_T5_mT6_T7_P12ihipStream_tbENKUlT_T0_E_clISt17integral_constantIbLb0EESZ_EEDaSU_SV_EUlSU_E_NS1_11comp_targetILNS1_3genE4ELNS1_11target_archE910ELNS1_3gpuE8ELNS1_3repE0EEENS1_30default_config_static_selectorELNS0_4arch9wavefront6targetE0EEEvT1_.numbered_sgpr, 0
	.set _ZN7rocprim17ROCPRIM_400000_NS6detail17trampoline_kernelINS0_14default_configENS1_27scan_by_key_config_selectorIxxEEZZNS1_16scan_by_key_implILNS1_25lookback_scan_determinismE0ELb0ES3_N6thrust23THRUST_200600_302600_NS6detail15normal_iteratorINS9_10device_ptrIxEEEESE_SE_xNS9_4plusIvEENS9_8equal_toIvEExEE10hipError_tPvRmT2_T3_T4_T5_mT6_T7_P12ihipStream_tbENKUlT_T0_E_clISt17integral_constantIbLb0EESZ_EEDaSU_SV_EUlSU_E_NS1_11comp_targetILNS1_3genE4ELNS1_11target_archE910ELNS1_3gpuE8ELNS1_3repE0EEENS1_30default_config_static_selectorELNS0_4arch9wavefront6targetE0EEEvT1_.num_named_barrier, 0
	.set _ZN7rocprim17ROCPRIM_400000_NS6detail17trampoline_kernelINS0_14default_configENS1_27scan_by_key_config_selectorIxxEEZZNS1_16scan_by_key_implILNS1_25lookback_scan_determinismE0ELb0ES3_N6thrust23THRUST_200600_302600_NS6detail15normal_iteratorINS9_10device_ptrIxEEEESE_SE_xNS9_4plusIvEENS9_8equal_toIvEExEE10hipError_tPvRmT2_T3_T4_T5_mT6_T7_P12ihipStream_tbENKUlT_T0_E_clISt17integral_constantIbLb0EESZ_EEDaSU_SV_EUlSU_E_NS1_11comp_targetILNS1_3genE4ELNS1_11target_archE910ELNS1_3gpuE8ELNS1_3repE0EEENS1_30default_config_static_selectorELNS0_4arch9wavefront6targetE0EEEvT1_.private_seg_size, 0
	.set _ZN7rocprim17ROCPRIM_400000_NS6detail17trampoline_kernelINS0_14default_configENS1_27scan_by_key_config_selectorIxxEEZZNS1_16scan_by_key_implILNS1_25lookback_scan_determinismE0ELb0ES3_N6thrust23THRUST_200600_302600_NS6detail15normal_iteratorINS9_10device_ptrIxEEEESE_SE_xNS9_4plusIvEENS9_8equal_toIvEExEE10hipError_tPvRmT2_T3_T4_T5_mT6_T7_P12ihipStream_tbENKUlT_T0_E_clISt17integral_constantIbLb0EESZ_EEDaSU_SV_EUlSU_E_NS1_11comp_targetILNS1_3genE4ELNS1_11target_archE910ELNS1_3gpuE8ELNS1_3repE0EEENS1_30default_config_static_selectorELNS0_4arch9wavefront6targetE0EEEvT1_.uses_vcc, 0
	.set _ZN7rocprim17ROCPRIM_400000_NS6detail17trampoline_kernelINS0_14default_configENS1_27scan_by_key_config_selectorIxxEEZZNS1_16scan_by_key_implILNS1_25lookback_scan_determinismE0ELb0ES3_N6thrust23THRUST_200600_302600_NS6detail15normal_iteratorINS9_10device_ptrIxEEEESE_SE_xNS9_4plusIvEENS9_8equal_toIvEExEE10hipError_tPvRmT2_T3_T4_T5_mT6_T7_P12ihipStream_tbENKUlT_T0_E_clISt17integral_constantIbLb0EESZ_EEDaSU_SV_EUlSU_E_NS1_11comp_targetILNS1_3genE4ELNS1_11target_archE910ELNS1_3gpuE8ELNS1_3repE0EEENS1_30default_config_static_selectorELNS0_4arch9wavefront6targetE0EEEvT1_.uses_flat_scratch, 0
	.set _ZN7rocprim17ROCPRIM_400000_NS6detail17trampoline_kernelINS0_14default_configENS1_27scan_by_key_config_selectorIxxEEZZNS1_16scan_by_key_implILNS1_25lookback_scan_determinismE0ELb0ES3_N6thrust23THRUST_200600_302600_NS6detail15normal_iteratorINS9_10device_ptrIxEEEESE_SE_xNS9_4plusIvEENS9_8equal_toIvEExEE10hipError_tPvRmT2_T3_T4_T5_mT6_T7_P12ihipStream_tbENKUlT_T0_E_clISt17integral_constantIbLb0EESZ_EEDaSU_SV_EUlSU_E_NS1_11comp_targetILNS1_3genE4ELNS1_11target_archE910ELNS1_3gpuE8ELNS1_3repE0EEENS1_30default_config_static_selectorELNS0_4arch9wavefront6targetE0EEEvT1_.has_dyn_sized_stack, 0
	.set _ZN7rocprim17ROCPRIM_400000_NS6detail17trampoline_kernelINS0_14default_configENS1_27scan_by_key_config_selectorIxxEEZZNS1_16scan_by_key_implILNS1_25lookback_scan_determinismE0ELb0ES3_N6thrust23THRUST_200600_302600_NS6detail15normal_iteratorINS9_10device_ptrIxEEEESE_SE_xNS9_4plusIvEENS9_8equal_toIvEExEE10hipError_tPvRmT2_T3_T4_T5_mT6_T7_P12ihipStream_tbENKUlT_T0_E_clISt17integral_constantIbLb0EESZ_EEDaSU_SV_EUlSU_E_NS1_11comp_targetILNS1_3genE4ELNS1_11target_archE910ELNS1_3gpuE8ELNS1_3repE0EEENS1_30default_config_static_selectorELNS0_4arch9wavefront6targetE0EEEvT1_.has_recursion, 0
	.set _ZN7rocprim17ROCPRIM_400000_NS6detail17trampoline_kernelINS0_14default_configENS1_27scan_by_key_config_selectorIxxEEZZNS1_16scan_by_key_implILNS1_25lookback_scan_determinismE0ELb0ES3_N6thrust23THRUST_200600_302600_NS6detail15normal_iteratorINS9_10device_ptrIxEEEESE_SE_xNS9_4plusIvEENS9_8equal_toIvEExEE10hipError_tPvRmT2_T3_T4_T5_mT6_T7_P12ihipStream_tbENKUlT_T0_E_clISt17integral_constantIbLb0EESZ_EEDaSU_SV_EUlSU_E_NS1_11comp_targetILNS1_3genE4ELNS1_11target_archE910ELNS1_3gpuE8ELNS1_3repE0EEENS1_30default_config_static_selectorELNS0_4arch9wavefront6targetE0EEEvT1_.has_indirect_call, 0
	.section	.AMDGPU.csdata,"",@progbits
; Kernel info:
; codeLenInByte = 0
; TotalNumSgprs: 0
; NumVgprs: 0
; ScratchSize: 0
; MemoryBound: 0
; FloatMode: 240
; IeeeMode: 1
; LDSByteSize: 0 bytes/workgroup (compile time only)
; SGPRBlocks: 0
; VGPRBlocks: 0
; NumSGPRsForWavesPerEU: 1
; NumVGPRsForWavesPerEU: 1
; NamedBarCnt: 0
; Occupancy: 16
; WaveLimiterHint : 0
; COMPUTE_PGM_RSRC2:SCRATCH_EN: 0
; COMPUTE_PGM_RSRC2:USER_SGPR: 2
; COMPUTE_PGM_RSRC2:TRAP_HANDLER: 0
; COMPUTE_PGM_RSRC2:TGID_X_EN: 1
; COMPUTE_PGM_RSRC2:TGID_Y_EN: 0
; COMPUTE_PGM_RSRC2:TGID_Z_EN: 0
; COMPUTE_PGM_RSRC2:TIDIG_COMP_CNT: 0
	.section	.text._ZN7rocprim17ROCPRIM_400000_NS6detail17trampoline_kernelINS0_14default_configENS1_27scan_by_key_config_selectorIxxEEZZNS1_16scan_by_key_implILNS1_25lookback_scan_determinismE0ELb0ES3_N6thrust23THRUST_200600_302600_NS6detail15normal_iteratorINS9_10device_ptrIxEEEESE_SE_xNS9_4plusIvEENS9_8equal_toIvEExEE10hipError_tPvRmT2_T3_T4_T5_mT6_T7_P12ihipStream_tbENKUlT_T0_E_clISt17integral_constantIbLb0EESZ_EEDaSU_SV_EUlSU_E_NS1_11comp_targetILNS1_3genE3ELNS1_11target_archE908ELNS1_3gpuE7ELNS1_3repE0EEENS1_30default_config_static_selectorELNS0_4arch9wavefront6targetE0EEEvT1_,"axG",@progbits,_ZN7rocprim17ROCPRIM_400000_NS6detail17trampoline_kernelINS0_14default_configENS1_27scan_by_key_config_selectorIxxEEZZNS1_16scan_by_key_implILNS1_25lookback_scan_determinismE0ELb0ES3_N6thrust23THRUST_200600_302600_NS6detail15normal_iteratorINS9_10device_ptrIxEEEESE_SE_xNS9_4plusIvEENS9_8equal_toIvEExEE10hipError_tPvRmT2_T3_T4_T5_mT6_T7_P12ihipStream_tbENKUlT_T0_E_clISt17integral_constantIbLb0EESZ_EEDaSU_SV_EUlSU_E_NS1_11comp_targetILNS1_3genE3ELNS1_11target_archE908ELNS1_3gpuE7ELNS1_3repE0EEENS1_30default_config_static_selectorELNS0_4arch9wavefront6targetE0EEEvT1_,comdat
	.protected	_ZN7rocprim17ROCPRIM_400000_NS6detail17trampoline_kernelINS0_14default_configENS1_27scan_by_key_config_selectorIxxEEZZNS1_16scan_by_key_implILNS1_25lookback_scan_determinismE0ELb0ES3_N6thrust23THRUST_200600_302600_NS6detail15normal_iteratorINS9_10device_ptrIxEEEESE_SE_xNS9_4plusIvEENS9_8equal_toIvEExEE10hipError_tPvRmT2_T3_T4_T5_mT6_T7_P12ihipStream_tbENKUlT_T0_E_clISt17integral_constantIbLb0EESZ_EEDaSU_SV_EUlSU_E_NS1_11comp_targetILNS1_3genE3ELNS1_11target_archE908ELNS1_3gpuE7ELNS1_3repE0EEENS1_30default_config_static_selectorELNS0_4arch9wavefront6targetE0EEEvT1_ ; -- Begin function _ZN7rocprim17ROCPRIM_400000_NS6detail17trampoline_kernelINS0_14default_configENS1_27scan_by_key_config_selectorIxxEEZZNS1_16scan_by_key_implILNS1_25lookback_scan_determinismE0ELb0ES3_N6thrust23THRUST_200600_302600_NS6detail15normal_iteratorINS9_10device_ptrIxEEEESE_SE_xNS9_4plusIvEENS9_8equal_toIvEExEE10hipError_tPvRmT2_T3_T4_T5_mT6_T7_P12ihipStream_tbENKUlT_T0_E_clISt17integral_constantIbLb0EESZ_EEDaSU_SV_EUlSU_E_NS1_11comp_targetILNS1_3genE3ELNS1_11target_archE908ELNS1_3gpuE7ELNS1_3repE0EEENS1_30default_config_static_selectorELNS0_4arch9wavefront6targetE0EEEvT1_
	.globl	_ZN7rocprim17ROCPRIM_400000_NS6detail17trampoline_kernelINS0_14default_configENS1_27scan_by_key_config_selectorIxxEEZZNS1_16scan_by_key_implILNS1_25lookback_scan_determinismE0ELb0ES3_N6thrust23THRUST_200600_302600_NS6detail15normal_iteratorINS9_10device_ptrIxEEEESE_SE_xNS9_4plusIvEENS9_8equal_toIvEExEE10hipError_tPvRmT2_T3_T4_T5_mT6_T7_P12ihipStream_tbENKUlT_T0_E_clISt17integral_constantIbLb0EESZ_EEDaSU_SV_EUlSU_E_NS1_11comp_targetILNS1_3genE3ELNS1_11target_archE908ELNS1_3gpuE7ELNS1_3repE0EEENS1_30default_config_static_selectorELNS0_4arch9wavefront6targetE0EEEvT1_
	.p2align	8
	.type	_ZN7rocprim17ROCPRIM_400000_NS6detail17trampoline_kernelINS0_14default_configENS1_27scan_by_key_config_selectorIxxEEZZNS1_16scan_by_key_implILNS1_25lookback_scan_determinismE0ELb0ES3_N6thrust23THRUST_200600_302600_NS6detail15normal_iteratorINS9_10device_ptrIxEEEESE_SE_xNS9_4plusIvEENS9_8equal_toIvEExEE10hipError_tPvRmT2_T3_T4_T5_mT6_T7_P12ihipStream_tbENKUlT_T0_E_clISt17integral_constantIbLb0EESZ_EEDaSU_SV_EUlSU_E_NS1_11comp_targetILNS1_3genE3ELNS1_11target_archE908ELNS1_3gpuE7ELNS1_3repE0EEENS1_30default_config_static_selectorELNS0_4arch9wavefront6targetE0EEEvT1_,@function
_ZN7rocprim17ROCPRIM_400000_NS6detail17trampoline_kernelINS0_14default_configENS1_27scan_by_key_config_selectorIxxEEZZNS1_16scan_by_key_implILNS1_25lookback_scan_determinismE0ELb0ES3_N6thrust23THRUST_200600_302600_NS6detail15normal_iteratorINS9_10device_ptrIxEEEESE_SE_xNS9_4plusIvEENS9_8equal_toIvEExEE10hipError_tPvRmT2_T3_T4_T5_mT6_T7_P12ihipStream_tbENKUlT_T0_E_clISt17integral_constantIbLb0EESZ_EEDaSU_SV_EUlSU_E_NS1_11comp_targetILNS1_3genE3ELNS1_11target_archE908ELNS1_3gpuE7ELNS1_3repE0EEENS1_30default_config_static_selectorELNS0_4arch9wavefront6targetE0EEEvT1_: ; @_ZN7rocprim17ROCPRIM_400000_NS6detail17trampoline_kernelINS0_14default_configENS1_27scan_by_key_config_selectorIxxEEZZNS1_16scan_by_key_implILNS1_25lookback_scan_determinismE0ELb0ES3_N6thrust23THRUST_200600_302600_NS6detail15normal_iteratorINS9_10device_ptrIxEEEESE_SE_xNS9_4plusIvEENS9_8equal_toIvEExEE10hipError_tPvRmT2_T3_T4_T5_mT6_T7_P12ihipStream_tbENKUlT_T0_E_clISt17integral_constantIbLb0EESZ_EEDaSU_SV_EUlSU_E_NS1_11comp_targetILNS1_3genE3ELNS1_11target_archE908ELNS1_3gpuE7ELNS1_3repE0EEENS1_30default_config_static_selectorELNS0_4arch9wavefront6targetE0EEEvT1_
; %bb.0:
	.section	.rodata,"a",@progbits
	.p2align	6, 0x0
	.amdhsa_kernel _ZN7rocprim17ROCPRIM_400000_NS6detail17trampoline_kernelINS0_14default_configENS1_27scan_by_key_config_selectorIxxEEZZNS1_16scan_by_key_implILNS1_25lookback_scan_determinismE0ELb0ES3_N6thrust23THRUST_200600_302600_NS6detail15normal_iteratorINS9_10device_ptrIxEEEESE_SE_xNS9_4plusIvEENS9_8equal_toIvEExEE10hipError_tPvRmT2_T3_T4_T5_mT6_T7_P12ihipStream_tbENKUlT_T0_E_clISt17integral_constantIbLb0EESZ_EEDaSU_SV_EUlSU_E_NS1_11comp_targetILNS1_3genE3ELNS1_11target_archE908ELNS1_3gpuE7ELNS1_3repE0EEENS1_30default_config_static_selectorELNS0_4arch9wavefront6targetE0EEEvT1_
		.amdhsa_group_segment_fixed_size 0
		.amdhsa_private_segment_fixed_size 0
		.amdhsa_kernarg_size 136
		.amdhsa_user_sgpr_count 2
		.amdhsa_user_sgpr_dispatch_ptr 0
		.amdhsa_user_sgpr_queue_ptr 0
		.amdhsa_user_sgpr_kernarg_segment_ptr 1
		.amdhsa_user_sgpr_dispatch_id 0
		.amdhsa_user_sgpr_kernarg_preload_length 0
		.amdhsa_user_sgpr_kernarg_preload_offset 0
		.amdhsa_user_sgpr_private_segment_size 0
		.amdhsa_wavefront_size32 1
		.amdhsa_uses_dynamic_stack 0
		.amdhsa_enable_private_segment 0
		.amdhsa_system_sgpr_workgroup_id_x 1
		.amdhsa_system_sgpr_workgroup_id_y 0
		.amdhsa_system_sgpr_workgroup_id_z 0
		.amdhsa_system_sgpr_workgroup_info 0
		.amdhsa_system_vgpr_workitem_id 0
		.amdhsa_next_free_vgpr 1
		.amdhsa_next_free_sgpr 1
		.amdhsa_named_barrier_count 0
		.amdhsa_reserve_vcc 0
		.amdhsa_float_round_mode_32 0
		.amdhsa_float_round_mode_16_64 0
		.amdhsa_float_denorm_mode_32 3
		.amdhsa_float_denorm_mode_16_64 3
		.amdhsa_fp16_overflow 0
		.amdhsa_memory_ordered 1
		.amdhsa_forward_progress 1
		.amdhsa_inst_pref_size 0
		.amdhsa_round_robin_scheduling 0
		.amdhsa_exception_fp_ieee_invalid_op 0
		.amdhsa_exception_fp_denorm_src 0
		.amdhsa_exception_fp_ieee_div_zero 0
		.amdhsa_exception_fp_ieee_overflow 0
		.amdhsa_exception_fp_ieee_underflow 0
		.amdhsa_exception_fp_ieee_inexact 0
		.amdhsa_exception_int_div_zero 0
	.end_amdhsa_kernel
	.section	.text._ZN7rocprim17ROCPRIM_400000_NS6detail17trampoline_kernelINS0_14default_configENS1_27scan_by_key_config_selectorIxxEEZZNS1_16scan_by_key_implILNS1_25lookback_scan_determinismE0ELb0ES3_N6thrust23THRUST_200600_302600_NS6detail15normal_iteratorINS9_10device_ptrIxEEEESE_SE_xNS9_4plusIvEENS9_8equal_toIvEExEE10hipError_tPvRmT2_T3_T4_T5_mT6_T7_P12ihipStream_tbENKUlT_T0_E_clISt17integral_constantIbLb0EESZ_EEDaSU_SV_EUlSU_E_NS1_11comp_targetILNS1_3genE3ELNS1_11target_archE908ELNS1_3gpuE7ELNS1_3repE0EEENS1_30default_config_static_selectorELNS0_4arch9wavefront6targetE0EEEvT1_,"axG",@progbits,_ZN7rocprim17ROCPRIM_400000_NS6detail17trampoline_kernelINS0_14default_configENS1_27scan_by_key_config_selectorIxxEEZZNS1_16scan_by_key_implILNS1_25lookback_scan_determinismE0ELb0ES3_N6thrust23THRUST_200600_302600_NS6detail15normal_iteratorINS9_10device_ptrIxEEEESE_SE_xNS9_4plusIvEENS9_8equal_toIvEExEE10hipError_tPvRmT2_T3_T4_T5_mT6_T7_P12ihipStream_tbENKUlT_T0_E_clISt17integral_constantIbLb0EESZ_EEDaSU_SV_EUlSU_E_NS1_11comp_targetILNS1_3genE3ELNS1_11target_archE908ELNS1_3gpuE7ELNS1_3repE0EEENS1_30default_config_static_selectorELNS0_4arch9wavefront6targetE0EEEvT1_,comdat
.Lfunc_end9:
	.size	_ZN7rocprim17ROCPRIM_400000_NS6detail17trampoline_kernelINS0_14default_configENS1_27scan_by_key_config_selectorIxxEEZZNS1_16scan_by_key_implILNS1_25lookback_scan_determinismE0ELb0ES3_N6thrust23THRUST_200600_302600_NS6detail15normal_iteratorINS9_10device_ptrIxEEEESE_SE_xNS9_4plusIvEENS9_8equal_toIvEExEE10hipError_tPvRmT2_T3_T4_T5_mT6_T7_P12ihipStream_tbENKUlT_T0_E_clISt17integral_constantIbLb0EESZ_EEDaSU_SV_EUlSU_E_NS1_11comp_targetILNS1_3genE3ELNS1_11target_archE908ELNS1_3gpuE7ELNS1_3repE0EEENS1_30default_config_static_selectorELNS0_4arch9wavefront6targetE0EEEvT1_, .Lfunc_end9-_ZN7rocprim17ROCPRIM_400000_NS6detail17trampoline_kernelINS0_14default_configENS1_27scan_by_key_config_selectorIxxEEZZNS1_16scan_by_key_implILNS1_25lookback_scan_determinismE0ELb0ES3_N6thrust23THRUST_200600_302600_NS6detail15normal_iteratorINS9_10device_ptrIxEEEESE_SE_xNS9_4plusIvEENS9_8equal_toIvEExEE10hipError_tPvRmT2_T3_T4_T5_mT6_T7_P12ihipStream_tbENKUlT_T0_E_clISt17integral_constantIbLb0EESZ_EEDaSU_SV_EUlSU_E_NS1_11comp_targetILNS1_3genE3ELNS1_11target_archE908ELNS1_3gpuE7ELNS1_3repE0EEENS1_30default_config_static_selectorELNS0_4arch9wavefront6targetE0EEEvT1_
                                        ; -- End function
	.set _ZN7rocprim17ROCPRIM_400000_NS6detail17trampoline_kernelINS0_14default_configENS1_27scan_by_key_config_selectorIxxEEZZNS1_16scan_by_key_implILNS1_25lookback_scan_determinismE0ELb0ES3_N6thrust23THRUST_200600_302600_NS6detail15normal_iteratorINS9_10device_ptrIxEEEESE_SE_xNS9_4plusIvEENS9_8equal_toIvEExEE10hipError_tPvRmT2_T3_T4_T5_mT6_T7_P12ihipStream_tbENKUlT_T0_E_clISt17integral_constantIbLb0EESZ_EEDaSU_SV_EUlSU_E_NS1_11comp_targetILNS1_3genE3ELNS1_11target_archE908ELNS1_3gpuE7ELNS1_3repE0EEENS1_30default_config_static_selectorELNS0_4arch9wavefront6targetE0EEEvT1_.num_vgpr, 0
	.set _ZN7rocprim17ROCPRIM_400000_NS6detail17trampoline_kernelINS0_14default_configENS1_27scan_by_key_config_selectorIxxEEZZNS1_16scan_by_key_implILNS1_25lookback_scan_determinismE0ELb0ES3_N6thrust23THRUST_200600_302600_NS6detail15normal_iteratorINS9_10device_ptrIxEEEESE_SE_xNS9_4plusIvEENS9_8equal_toIvEExEE10hipError_tPvRmT2_T3_T4_T5_mT6_T7_P12ihipStream_tbENKUlT_T0_E_clISt17integral_constantIbLb0EESZ_EEDaSU_SV_EUlSU_E_NS1_11comp_targetILNS1_3genE3ELNS1_11target_archE908ELNS1_3gpuE7ELNS1_3repE0EEENS1_30default_config_static_selectorELNS0_4arch9wavefront6targetE0EEEvT1_.num_agpr, 0
	.set _ZN7rocprim17ROCPRIM_400000_NS6detail17trampoline_kernelINS0_14default_configENS1_27scan_by_key_config_selectorIxxEEZZNS1_16scan_by_key_implILNS1_25lookback_scan_determinismE0ELb0ES3_N6thrust23THRUST_200600_302600_NS6detail15normal_iteratorINS9_10device_ptrIxEEEESE_SE_xNS9_4plusIvEENS9_8equal_toIvEExEE10hipError_tPvRmT2_T3_T4_T5_mT6_T7_P12ihipStream_tbENKUlT_T0_E_clISt17integral_constantIbLb0EESZ_EEDaSU_SV_EUlSU_E_NS1_11comp_targetILNS1_3genE3ELNS1_11target_archE908ELNS1_3gpuE7ELNS1_3repE0EEENS1_30default_config_static_selectorELNS0_4arch9wavefront6targetE0EEEvT1_.numbered_sgpr, 0
	.set _ZN7rocprim17ROCPRIM_400000_NS6detail17trampoline_kernelINS0_14default_configENS1_27scan_by_key_config_selectorIxxEEZZNS1_16scan_by_key_implILNS1_25lookback_scan_determinismE0ELb0ES3_N6thrust23THRUST_200600_302600_NS6detail15normal_iteratorINS9_10device_ptrIxEEEESE_SE_xNS9_4plusIvEENS9_8equal_toIvEExEE10hipError_tPvRmT2_T3_T4_T5_mT6_T7_P12ihipStream_tbENKUlT_T0_E_clISt17integral_constantIbLb0EESZ_EEDaSU_SV_EUlSU_E_NS1_11comp_targetILNS1_3genE3ELNS1_11target_archE908ELNS1_3gpuE7ELNS1_3repE0EEENS1_30default_config_static_selectorELNS0_4arch9wavefront6targetE0EEEvT1_.num_named_barrier, 0
	.set _ZN7rocprim17ROCPRIM_400000_NS6detail17trampoline_kernelINS0_14default_configENS1_27scan_by_key_config_selectorIxxEEZZNS1_16scan_by_key_implILNS1_25lookback_scan_determinismE0ELb0ES3_N6thrust23THRUST_200600_302600_NS6detail15normal_iteratorINS9_10device_ptrIxEEEESE_SE_xNS9_4plusIvEENS9_8equal_toIvEExEE10hipError_tPvRmT2_T3_T4_T5_mT6_T7_P12ihipStream_tbENKUlT_T0_E_clISt17integral_constantIbLb0EESZ_EEDaSU_SV_EUlSU_E_NS1_11comp_targetILNS1_3genE3ELNS1_11target_archE908ELNS1_3gpuE7ELNS1_3repE0EEENS1_30default_config_static_selectorELNS0_4arch9wavefront6targetE0EEEvT1_.private_seg_size, 0
	.set _ZN7rocprim17ROCPRIM_400000_NS6detail17trampoline_kernelINS0_14default_configENS1_27scan_by_key_config_selectorIxxEEZZNS1_16scan_by_key_implILNS1_25lookback_scan_determinismE0ELb0ES3_N6thrust23THRUST_200600_302600_NS6detail15normal_iteratorINS9_10device_ptrIxEEEESE_SE_xNS9_4plusIvEENS9_8equal_toIvEExEE10hipError_tPvRmT2_T3_T4_T5_mT6_T7_P12ihipStream_tbENKUlT_T0_E_clISt17integral_constantIbLb0EESZ_EEDaSU_SV_EUlSU_E_NS1_11comp_targetILNS1_3genE3ELNS1_11target_archE908ELNS1_3gpuE7ELNS1_3repE0EEENS1_30default_config_static_selectorELNS0_4arch9wavefront6targetE0EEEvT1_.uses_vcc, 0
	.set _ZN7rocprim17ROCPRIM_400000_NS6detail17trampoline_kernelINS0_14default_configENS1_27scan_by_key_config_selectorIxxEEZZNS1_16scan_by_key_implILNS1_25lookback_scan_determinismE0ELb0ES3_N6thrust23THRUST_200600_302600_NS6detail15normal_iteratorINS9_10device_ptrIxEEEESE_SE_xNS9_4plusIvEENS9_8equal_toIvEExEE10hipError_tPvRmT2_T3_T4_T5_mT6_T7_P12ihipStream_tbENKUlT_T0_E_clISt17integral_constantIbLb0EESZ_EEDaSU_SV_EUlSU_E_NS1_11comp_targetILNS1_3genE3ELNS1_11target_archE908ELNS1_3gpuE7ELNS1_3repE0EEENS1_30default_config_static_selectorELNS0_4arch9wavefront6targetE0EEEvT1_.uses_flat_scratch, 0
	.set _ZN7rocprim17ROCPRIM_400000_NS6detail17trampoline_kernelINS0_14default_configENS1_27scan_by_key_config_selectorIxxEEZZNS1_16scan_by_key_implILNS1_25lookback_scan_determinismE0ELb0ES3_N6thrust23THRUST_200600_302600_NS6detail15normal_iteratorINS9_10device_ptrIxEEEESE_SE_xNS9_4plusIvEENS9_8equal_toIvEExEE10hipError_tPvRmT2_T3_T4_T5_mT6_T7_P12ihipStream_tbENKUlT_T0_E_clISt17integral_constantIbLb0EESZ_EEDaSU_SV_EUlSU_E_NS1_11comp_targetILNS1_3genE3ELNS1_11target_archE908ELNS1_3gpuE7ELNS1_3repE0EEENS1_30default_config_static_selectorELNS0_4arch9wavefront6targetE0EEEvT1_.has_dyn_sized_stack, 0
	.set _ZN7rocprim17ROCPRIM_400000_NS6detail17trampoline_kernelINS0_14default_configENS1_27scan_by_key_config_selectorIxxEEZZNS1_16scan_by_key_implILNS1_25lookback_scan_determinismE0ELb0ES3_N6thrust23THRUST_200600_302600_NS6detail15normal_iteratorINS9_10device_ptrIxEEEESE_SE_xNS9_4plusIvEENS9_8equal_toIvEExEE10hipError_tPvRmT2_T3_T4_T5_mT6_T7_P12ihipStream_tbENKUlT_T0_E_clISt17integral_constantIbLb0EESZ_EEDaSU_SV_EUlSU_E_NS1_11comp_targetILNS1_3genE3ELNS1_11target_archE908ELNS1_3gpuE7ELNS1_3repE0EEENS1_30default_config_static_selectorELNS0_4arch9wavefront6targetE0EEEvT1_.has_recursion, 0
	.set _ZN7rocprim17ROCPRIM_400000_NS6detail17trampoline_kernelINS0_14default_configENS1_27scan_by_key_config_selectorIxxEEZZNS1_16scan_by_key_implILNS1_25lookback_scan_determinismE0ELb0ES3_N6thrust23THRUST_200600_302600_NS6detail15normal_iteratorINS9_10device_ptrIxEEEESE_SE_xNS9_4plusIvEENS9_8equal_toIvEExEE10hipError_tPvRmT2_T3_T4_T5_mT6_T7_P12ihipStream_tbENKUlT_T0_E_clISt17integral_constantIbLb0EESZ_EEDaSU_SV_EUlSU_E_NS1_11comp_targetILNS1_3genE3ELNS1_11target_archE908ELNS1_3gpuE7ELNS1_3repE0EEENS1_30default_config_static_selectorELNS0_4arch9wavefront6targetE0EEEvT1_.has_indirect_call, 0
	.section	.AMDGPU.csdata,"",@progbits
; Kernel info:
; codeLenInByte = 0
; TotalNumSgprs: 0
; NumVgprs: 0
; ScratchSize: 0
; MemoryBound: 0
; FloatMode: 240
; IeeeMode: 1
; LDSByteSize: 0 bytes/workgroup (compile time only)
; SGPRBlocks: 0
; VGPRBlocks: 0
; NumSGPRsForWavesPerEU: 1
; NumVGPRsForWavesPerEU: 1
; NamedBarCnt: 0
; Occupancy: 16
; WaveLimiterHint : 0
; COMPUTE_PGM_RSRC2:SCRATCH_EN: 0
; COMPUTE_PGM_RSRC2:USER_SGPR: 2
; COMPUTE_PGM_RSRC2:TRAP_HANDLER: 0
; COMPUTE_PGM_RSRC2:TGID_X_EN: 1
; COMPUTE_PGM_RSRC2:TGID_Y_EN: 0
; COMPUTE_PGM_RSRC2:TGID_Z_EN: 0
; COMPUTE_PGM_RSRC2:TIDIG_COMP_CNT: 0
	.section	.text._ZN7rocprim17ROCPRIM_400000_NS6detail17trampoline_kernelINS0_14default_configENS1_27scan_by_key_config_selectorIxxEEZZNS1_16scan_by_key_implILNS1_25lookback_scan_determinismE0ELb0ES3_N6thrust23THRUST_200600_302600_NS6detail15normal_iteratorINS9_10device_ptrIxEEEESE_SE_xNS9_4plusIvEENS9_8equal_toIvEExEE10hipError_tPvRmT2_T3_T4_T5_mT6_T7_P12ihipStream_tbENKUlT_T0_E_clISt17integral_constantIbLb0EESZ_EEDaSU_SV_EUlSU_E_NS1_11comp_targetILNS1_3genE2ELNS1_11target_archE906ELNS1_3gpuE6ELNS1_3repE0EEENS1_30default_config_static_selectorELNS0_4arch9wavefront6targetE0EEEvT1_,"axG",@progbits,_ZN7rocprim17ROCPRIM_400000_NS6detail17trampoline_kernelINS0_14default_configENS1_27scan_by_key_config_selectorIxxEEZZNS1_16scan_by_key_implILNS1_25lookback_scan_determinismE0ELb0ES3_N6thrust23THRUST_200600_302600_NS6detail15normal_iteratorINS9_10device_ptrIxEEEESE_SE_xNS9_4plusIvEENS9_8equal_toIvEExEE10hipError_tPvRmT2_T3_T4_T5_mT6_T7_P12ihipStream_tbENKUlT_T0_E_clISt17integral_constantIbLb0EESZ_EEDaSU_SV_EUlSU_E_NS1_11comp_targetILNS1_3genE2ELNS1_11target_archE906ELNS1_3gpuE6ELNS1_3repE0EEENS1_30default_config_static_selectorELNS0_4arch9wavefront6targetE0EEEvT1_,comdat
	.protected	_ZN7rocprim17ROCPRIM_400000_NS6detail17trampoline_kernelINS0_14default_configENS1_27scan_by_key_config_selectorIxxEEZZNS1_16scan_by_key_implILNS1_25lookback_scan_determinismE0ELb0ES3_N6thrust23THRUST_200600_302600_NS6detail15normal_iteratorINS9_10device_ptrIxEEEESE_SE_xNS9_4plusIvEENS9_8equal_toIvEExEE10hipError_tPvRmT2_T3_T4_T5_mT6_T7_P12ihipStream_tbENKUlT_T0_E_clISt17integral_constantIbLb0EESZ_EEDaSU_SV_EUlSU_E_NS1_11comp_targetILNS1_3genE2ELNS1_11target_archE906ELNS1_3gpuE6ELNS1_3repE0EEENS1_30default_config_static_selectorELNS0_4arch9wavefront6targetE0EEEvT1_ ; -- Begin function _ZN7rocprim17ROCPRIM_400000_NS6detail17trampoline_kernelINS0_14default_configENS1_27scan_by_key_config_selectorIxxEEZZNS1_16scan_by_key_implILNS1_25lookback_scan_determinismE0ELb0ES3_N6thrust23THRUST_200600_302600_NS6detail15normal_iteratorINS9_10device_ptrIxEEEESE_SE_xNS9_4plusIvEENS9_8equal_toIvEExEE10hipError_tPvRmT2_T3_T4_T5_mT6_T7_P12ihipStream_tbENKUlT_T0_E_clISt17integral_constantIbLb0EESZ_EEDaSU_SV_EUlSU_E_NS1_11comp_targetILNS1_3genE2ELNS1_11target_archE906ELNS1_3gpuE6ELNS1_3repE0EEENS1_30default_config_static_selectorELNS0_4arch9wavefront6targetE0EEEvT1_
	.globl	_ZN7rocprim17ROCPRIM_400000_NS6detail17trampoline_kernelINS0_14default_configENS1_27scan_by_key_config_selectorIxxEEZZNS1_16scan_by_key_implILNS1_25lookback_scan_determinismE0ELb0ES3_N6thrust23THRUST_200600_302600_NS6detail15normal_iteratorINS9_10device_ptrIxEEEESE_SE_xNS9_4plusIvEENS9_8equal_toIvEExEE10hipError_tPvRmT2_T3_T4_T5_mT6_T7_P12ihipStream_tbENKUlT_T0_E_clISt17integral_constantIbLb0EESZ_EEDaSU_SV_EUlSU_E_NS1_11comp_targetILNS1_3genE2ELNS1_11target_archE906ELNS1_3gpuE6ELNS1_3repE0EEENS1_30default_config_static_selectorELNS0_4arch9wavefront6targetE0EEEvT1_
	.p2align	8
	.type	_ZN7rocprim17ROCPRIM_400000_NS6detail17trampoline_kernelINS0_14default_configENS1_27scan_by_key_config_selectorIxxEEZZNS1_16scan_by_key_implILNS1_25lookback_scan_determinismE0ELb0ES3_N6thrust23THRUST_200600_302600_NS6detail15normal_iteratorINS9_10device_ptrIxEEEESE_SE_xNS9_4plusIvEENS9_8equal_toIvEExEE10hipError_tPvRmT2_T3_T4_T5_mT6_T7_P12ihipStream_tbENKUlT_T0_E_clISt17integral_constantIbLb0EESZ_EEDaSU_SV_EUlSU_E_NS1_11comp_targetILNS1_3genE2ELNS1_11target_archE906ELNS1_3gpuE6ELNS1_3repE0EEENS1_30default_config_static_selectorELNS0_4arch9wavefront6targetE0EEEvT1_,@function
_ZN7rocprim17ROCPRIM_400000_NS6detail17trampoline_kernelINS0_14default_configENS1_27scan_by_key_config_selectorIxxEEZZNS1_16scan_by_key_implILNS1_25lookback_scan_determinismE0ELb0ES3_N6thrust23THRUST_200600_302600_NS6detail15normal_iteratorINS9_10device_ptrIxEEEESE_SE_xNS9_4plusIvEENS9_8equal_toIvEExEE10hipError_tPvRmT2_T3_T4_T5_mT6_T7_P12ihipStream_tbENKUlT_T0_E_clISt17integral_constantIbLb0EESZ_EEDaSU_SV_EUlSU_E_NS1_11comp_targetILNS1_3genE2ELNS1_11target_archE906ELNS1_3gpuE6ELNS1_3repE0EEENS1_30default_config_static_selectorELNS0_4arch9wavefront6targetE0EEEvT1_: ; @_ZN7rocprim17ROCPRIM_400000_NS6detail17trampoline_kernelINS0_14default_configENS1_27scan_by_key_config_selectorIxxEEZZNS1_16scan_by_key_implILNS1_25lookback_scan_determinismE0ELb0ES3_N6thrust23THRUST_200600_302600_NS6detail15normal_iteratorINS9_10device_ptrIxEEEESE_SE_xNS9_4plusIvEENS9_8equal_toIvEExEE10hipError_tPvRmT2_T3_T4_T5_mT6_T7_P12ihipStream_tbENKUlT_T0_E_clISt17integral_constantIbLb0EESZ_EEDaSU_SV_EUlSU_E_NS1_11comp_targetILNS1_3genE2ELNS1_11target_archE906ELNS1_3gpuE6ELNS1_3repE0EEENS1_30default_config_static_selectorELNS0_4arch9wavefront6targetE0EEEvT1_
; %bb.0:
	.section	.rodata,"a",@progbits
	.p2align	6, 0x0
	.amdhsa_kernel _ZN7rocprim17ROCPRIM_400000_NS6detail17trampoline_kernelINS0_14default_configENS1_27scan_by_key_config_selectorIxxEEZZNS1_16scan_by_key_implILNS1_25lookback_scan_determinismE0ELb0ES3_N6thrust23THRUST_200600_302600_NS6detail15normal_iteratorINS9_10device_ptrIxEEEESE_SE_xNS9_4plusIvEENS9_8equal_toIvEExEE10hipError_tPvRmT2_T3_T4_T5_mT6_T7_P12ihipStream_tbENKUlT_T0_E_clISt17integral_constantIbLb0EESZ_EEDaSU_SV_EUlSU_E_NS1_11comp_targetILNS1_3genE2ELNS1_11target_archE906ELNS1_3gpuE6ELNS1_3repE0EEENS1_30default_config_static_selectorELNS0_4arch9wavefront6targetE0EEEvT1_
		.amdhsa_group_segment_fixed_size 0
		.amdhsa_private_segment_fixed_size 0
		.amdhsa_kernarg_size 136
		.amdhsa_user_sgpr_count 2
		.amdhsa_user_sgpr_dispatch_ptr 0
		.amdhsa_user_sgpr_queue_ptr 0
		.amdhsa_user_sgpr_kernarg_segment_ptr 1
		.amdhsa_user_sgpr_dispatch_id 0
		.amdhsa_user_sgpr_kernarg_preload_length 0
		.amdhsa_user_sgpr_kernarg_preload_offset 0
		.amdhsa_user_sgpr_private_segment_size 0
		.amdhsa_wavefront_size32 1
		.amdhsa_uses_dynamic_stack 0
		.amdhsa_enable_private_segment 0
		.amdhsa_system_sgpr_workgroup_id_x 1
		.amdhsa_system_sgpr_workgroup_id_y 0
		.amdhsa_system_sgpr_workgroup_id_z 0
		.amdhsa_system_sgpr_workgroup_info 0
		.amdhsa_system_vgpr_workitem_id 0
		.amdhsa_next_free_vgpr 1
		.amdhsa_next_free_sgpr 1
		.amdhsa_named_barrier_count 0
		.amdhsa_reserve_vcc 0
		.amdhsa_float_round_mode_32 0
		.amdhsa_float_round_mode_16_64 0
		.amdhsa_float_denorm_mode_32 3
		.amdhsa_float_denorm_mode_16_64 3
		.amdhsa_fp16_overflow 0
		.amdhsa_memory_ordered 1
		.amdhsa_forward_progress 1
		.amdhsa_inst_pref_size 0
		.amdhsa_round_robin_scheduling 0
		.amdhsa_exception_fp_ieee_invalid_op 0
		.amdhsa_exception_fp_denorm_src 0
		.amdhsa_exception_fp_ieee_div_zero 0
		.amdhsa_exception_fp_ieee_overflow 0
		.amdhsa_exception_fp_ieee_underflow 0
		.amdhsa_exception_fp_ieee_inexact 0
		.amdhsa_exception_int_div_zero 0
	.end_amdhsa_kernel
	.section	.text._ZN7rocprim17ROCPRIM_400000_NS6detail17trampoline_kernelINS0_14default_configENS1_27scan_by_key_config_selectorIxxEEZZNS1_16scan_by_key_implILNS1_25lookback_scan_determinismE0ELb0ES3_N6thrust23THRUST_200600_302600_NS6detail15normal_iteratorINS9_10device_ptrIxEEEESE_SE_xNS9_4plusIvEENS9_8equal_toIvEExEE10hipError_tPvRmT2_T3_T4_T5_mT6_T7_P12ihipStream_tbENKUlT_T0_E_clISt17integral_constantIbLb0EESZ_EEDaSU_SV_EUlSU_E_NS1_11comp_targetILNS1_3genE2ELNS1_11target_archE906ELNS1_3gpuE6ELNS1_3repE0EEENS1_30default_config_static_selectorELNS0_4arch9wavefront6targetE0EEEvT1_,"axG",@progbits,_ZN7rocprim17ROCPRIM_400000_NS6detail17trampoline_kernelINS0_14default_configENS1_27scan_by_key_config_selectorIxxEEZZNS1_16scan_by_key_implILNS1_25lookback_scan_determinismE0ELb0ES3_N6thrust23THRUST_200600_302600_NS6detail15normal_iteratorINS9_10device_ptrIxEEEESE_SE_xNS9_4plusIvEENS9_8equal_toIvEExEE10hipError_tPvRmT2_T3_T4_T5_mT6_T7_P12ihipStream_tbENKUlT_T0_E_clISt17integral_constantIbLb0EESZ_EEDaSU_SV_EUlSU_E_NS1_11comp_targetILNS1_3genE2ELNS1_11target_archE906ELNS1_3gpuE6ELNS1_3repE0EEENS1_30default_config_static_selectorELNS0_4arch9wavefront6targetE0EEEvT1_,comdat
.Lfunc_end10:
	.size	_ZN7rocprim17ROCPRIM_400000_NS6detail17trampoline_kernelINS0_14default_configENS1_27scan_by_key_config_selectorIxxEEZZNS1_16scan_by_key_implILNS1_25lookback_scan_determinismE0ELb0ES3_N6thrust23THRUST_200600_302600_NS6detail15normal_iteratorINS9_10device_ptrIxEEEESE_SE_xNS9_4plusIvEENS9_8equal_toIvEExEE10hipError_tPvRmT2_T3_T4_T5_mT6_T7_P12ihipStream_tbENKUlT_T0_E_clISt17integral_constantIbLb0EESZ_EEDaSU_SV_EUlSU_E_NS1_11comp_targetILNS1_3genE2ELNS1_11target_archE906ELNS1_3gpuE6ELNS1_3repE0EEENS1_30default_config_static_selectorELNS0_4arch9wavefront6targetE0EEEvT1_, .Lfunc_end10-_ZN7rocprim17ROCPRIM_400000_NS6detail17trampoline_kernelINS0_14default_configENS1_27scan_by_key_config_selectorIxxEEZZNS1_16scan_by_key_implILNS1_25lookback_scan_determinismE0ELb0ES3_N6thrust23THRUST_200600_302600_NS6detail15normal_iteratorINS9_10device_ptrIxEEEESE_SE_xNS9_4plusIvEENS9_8equal_toIvEExEE10hipError_tPvRmT2_T3_T4_T5_mT6_T7_P12ihipStream_tbENKUlT_T0_E_clISt17integral_constantIbLb0EESZ_EEDaSU_SV_EUlSU_E_NS1_11comp_targetILNS1_3genE2ELNS1_11target_archE906ELNS1_3gpuE6ELNS1_3repE0EEENS1_30default_config_static_selectorELNS0_4arch9wavefront6targetE0EEEvT1_
                                        ; -- End function
	.set _ZN7rocprim17ROCPRIM_400000_NS6detail17trampoline_kernelINS0_14default_configENS1_27scan_by_key_config_selectorIxxEEZZNS1_16scan_by_key_implILNS1_25lookback_scan_determinismE0ELb0ES3_N6thrust23THRUST_200600_302600_NS6detail15normal_iteratorINS9_10device_ptrIxEEEESE_SE_xNS9_4plusIvEENS9_8equal_toIvEExEE10hipError_tPvRmT2_T3_T4_T5_mT6_T7_P12ihipStream_tbENKUlT_T0_E_clISt17integral_constantIbLb0EESZ_EEDaSU_SV_EUlSU_E_NS1_11comp_targetILNS1_3genE2ELNS1_11target_archE906ELNS1_3gpuE6ELNS1_3repE0EEENS1_30default_config_static_selectorELNS0_4arch9wavefront6targetE0EEEvT1_.num_vgpr, 0
	.set _ZN7rocprim17ROCPRIM_400000_NS6detail17trampoline_kernelINS0_14default_configENS1_27scan_by_key_config_selectorIxxEEZZNS1_16scan_by_key_implILNS1_25lookback_scan_determinismE0ELb0ES3_N6thrust23THRUST_200600_302600_NS6detail15normal_iteratorINS9_10device_ptrIxEEEESE_SE_xNS9_4plusIvEENS9_8equal_toIvEExEE10hipError_tPvRmT2_T3_T4_T5_mT6_T7_P12ihipStream_tbENKUlT_T0_E_clISt17integral_constantIbLb0EESZ_EEDaSU_SV_EUlSU_E_NS1_11comp_targetILNS1_3genE2ELNS1_11target_archE906ELNS1_3gpuE6ELNS1_3repE0EEENS1_30default_config_static_selectorELNS0_4arch9wavefront6targetE0EEEvT1_.num_agpr, 0
	.set _ZN7rocprim17ROCPRIM_400000_NS6detail17trampoline_kernelINS0_14default_configENS1_27scan_by_key_config_selectorIxxEEZZNS1_16scan_by_key_implILNS1_25lookback_scan_determinismE0ELb0ES3_N6thrust23THRUST_200600_302600_NS6detail15normal_iteratorINS9_10device_ptrIxEEEESE_SE_xNS9_4plusIvEENS9_8equal_toIvEExEE10hipError_tPvRmT2_T3_T4_T5_mT6_T7_P12ihipStream_tbENKUlT_T0_E_clISt17integral_constantIbLb0EESZ_EEDaSU_SV_EUlSU_E_NS1_11comp_targetILNS1_3genE2ELNS1_11target_archE906ELNS1_3gpuE6ELNS1_3repE0EEENS1_30default_config_static_selectorELNS0_4arch9wavefront6targetE0EEEvT1_.numbered_sgpr, 0
	.set _ZN7rocprim17ROCPRIM_400000_NS6detail17trampoline_kernelINS0_14default_configENS1_27scan_by_key_config_selectorIxxEEZZNS1_16scan_by_key_implILNS1_25lookback_scan_determinismE0ELb0ES3_N6thrust23THRUST_200600_302600_NS6detail15normal_iteratorINS9_10device_ptrIxEEEESE_SE_xNS9_4plusIvEENS9_8equal_toIvEExEE10hipError_tPvRmT2_T3_T4_T5_mT6_T7_P12ihipStream_tbENKUlT_T0_E_clISt17integral_constantIbLb0EESZ_EEDaSU_SV_EUlSU_E_NS1_11comp_targetILNS1_3genE2ELNS1_11target_archE906ELNS1_3gpuE6ELNS1_3repE0EEENS1_30default_config_static_selectorELNS0_4arch9wavefront6targetE0EEEvT1_.num_named_barrier, 0
	.set _ZN7rocprim17ROCPRIM_400000_NS6detail17trampoline_kernelINS0_14default_configENS1_27scan_by_key_config_selectorIxxEEZZNS1_16scan_by_key_implILNS1_25lookback_scan_determinismE0ELb0ES3_N6thrust23THRUST_200600_302600_NS6detail15normal_iteratorINS9_10device_ptrIxEEEESE_SE_xNS9_4plusIvEENS9_8equal_toIvEExEE10hipError_tPvRmT2_T3_T4_T5_mT6_T7_P12ihipStream_tbENKUlT_T0_E_clISt17integral_constantIbLb0EESZ_EEDaSU_SV_EUlSU_E_NS1_11comp_targetILNS1_3genE2ELNS1_11target_archE906ELNS1_3gpuE6ELNS1_3repE0EEENS1_30default_config_static_selectorELNS0_4arch9wavefront6targetE0EEEvT1_.private_seg_size, 0
	.set _ZN7rocprim17ROCPRIM_400000_NS6detail17trampoline_kernelINS0_14default_configENS1_27scan_by_key_config_selectorIxxEEZZNS1_16scan_by_key_implILNS1_25lookback_scan_determinismE0ELb0ES3_N6thrust23THRUST_200600_302600_NS6detail15normal_iteratorINS9_10device_ptrIxEEEESE_SE_xNS9_4plusIvEENS9_8equal_toIvEExEE10hipError_tPvRmT2_T3_T4_T5_mT6_T7_P12ihipStream_tbENKUlT_T0_E_clISt17integral_constantIbLb0EESZ_EEDaSU_SV_EUlSU_E_NS1_11comp_targetILNS1_3genE2ELNS1_11target_archE906ELNS1_3gpuE6ELNS1_3repE0EEENS1_30default_config_static_selectorELNS0_4arch9wavefront6targetE0EEEvT1_.uses_vcc, 0
	.set _ZN7rocprim17ROCPRIM_400000_NS6detail17trampoline_kernelINS0_14default_configENS1_27scan_by_key_config_selectorIxxEEZZNS1_16scan_by_key_implILNS1_25lookback_scan_determinismE0ELb0ES3_N6thrust23THRUST_200600_302600_NS6detail15normal_iteratorINS9_10device_ptrIxEEEESE_SE_xNS9_4plusIvEENS9_8equal_toIvEExEE10hipError_tPvRmT2_T3_T4_T5_mT6_T7_P12ihipStream_tbENKUlT_T0_E_clISt17integral_constantIbLb0EESZ_EEDaSU_SV_EUlSU_E_NS1_11comp_targetILNS1_3genE2ELNS1_11target_archE906ELNS1_3gpuE6ELNS1_3repE0EEENS1_30default_config_static_selectorELNS0_4arch9wavefront6targetE0EEEvT1_.uses_flat_scratch, 0
	.set _ZN7rocprim17ROCPRIM_400000_NS6detail17trampoline_kernelINS0_14default_configENS1_27scan_by_key_config_selectorIxxEEZZNS1_16scan_by_key_implILNS1_25lookback_scan_determinismE0ELb0ES3_N6thrust23THRUST_200600_302600_NS6detail15normal_iteratorINS9_10device_ptrIxEEEESE_SE_xNS9_4plusIvEENS9_8equal_toIvEExEE10hipError_tPvRmT2_T3_T4_T5_mT6_T7_P12ihipStream_tbENKUlT_T0_E_clISt17integral_constantIbLb0EESZ_EEDaSU_SV_EUlSU_E_NS1_11comp_targetILNS1_3genE2ELNS1_11target_archE906ELNS1_3gpuE6ELNS1_3repE0EEENS1_30default_config_static_selectorELNS0_4arch9wavefront6targetE0EEEvT1_.has_dyn_sized_stack, 0
	.set _ZN7rocprim17ROCPRIM_400000_NS6detail17trampoline_kernelINS0_14default_configENS1_27scan_by_key_config_selectorIxxEEZZNS1_16scan_by_key_implILNS1_25lookback_scan_determinismE0ELb0ES3_N6thrust23THRUST_200600_302600_NS6detail15normal_iteratorINS9_10device_ptrIxEEEESE_SE_xNS9_4plusIvEENS9_8equal_toIvEExEE10hipError_tPvRmT2_T3_T4_T5_mT6_T7_P12ihipStream_tbENKUlT_T0_E_clISt17integral_constantIbLb0EESZ_EEDaSU_SV_EUlSU_E_NS1_11comp_targetILNS1_3genE2ELNS1_11target_archE906ELNS1_3gpuE6ELNS1_3repE0EEENS1_30default_config_static_selectorELNS0_4arch9wavefront6targetE0EEEvT1_.has_recursion, 0
	.set _ZN7rocprim17ROCPRIM_400000_NS6detail17trampoline_kernelINS0_14default_configENS1_27scan_by_key_config_selectorIxxEEZZNS1_16scan_by_key_implILNS1_25lookback_scan_determinismE0ELb0ES3_N6thrust23THRUST_200600_302600_NS6detail15normal_iteratorINS9_10device_ptrIxEEEESE_SE_xNS9_4plusIvEENS9_8equal_toIvEExEE10hipError_tPvRmT2_T3_T4_T5_mT6_T7_P12ihipStream_tbENKUlT_T0_E_clISt17integral_constantIbLb0EESZ_EEDaSU_SV_EUlSU_E_NS1_11comp_targetILNS1_3genE2ELNS1_11target_archE906ELNS1_3gpuE6ELNS1_3repE0EEENS1_30default_config_static_selectorELNS0_4arch9wavefront6targetE0EEEvT1_.has_indirect_call, 0
	.section	.AMDGPU.csdata,"",@progbits
; Kernel info:
; codeLenInByte = 0
; TotalNumSgprs: 0
; NumVgprs: 0
; ScratchSize: 0
; MemoryBound: 0
; FloatMode: 240
; IeeeMode: 1
; LDSByteSize: 0 bytes/workgroup (compile time only)
; SGPRBlocks: 0
; VGPRBlocks: 0
; NumSGPRsForWavesPerEU: 1
; NumVGPRsForWavesPerEU: 1
; NamedBarCnt: 0
; Occupancy: 16
; WaveLimiterHint : 0
; COMPUTE_PGM_RSRC2:SCRATCH_EN: 0
; COMPUTE_PGM_RSRC2:USER_SGPR: 2
; COMPUTE_PGM_RSRC2:TRAP_HANDLER: 0
; COMPUTE_PGM_RSRC2:TGID_X_EN: 1
; COMPUTE_PGM_RSRC2:TGID_Y_EN: 0
; COMPUTE_PGM_RSRC2:TGID_Z_EN: 0
; COMPUTE_PGM_RSRC2:TIDIG_COMP_CNT: 0
	.section	.text._ZN7rocprim17ROCPRIM_400000_NS6detail17trampoline_kernelINS0_14default_configENS1_27scan_by_key_config_selectorIxxEEZZNS1_16scan_by_key_implILNS1_25lookback_scan_determinismE0ELb0ES3_N6thrust23THRUST_200600_302600_NS6detail15normal_iteratorINS9_10device_ptrIxEEEESE_SE_xNS9_4plusIvEENS9_8equal_toIvEExEE10hipError_tPvRmT2_T3_T4_T5_mT6_T7_P12ihipStream_tbENKUlT_T0_E_clISt17integral_constantIbLb0EESZ_EEDaSU_SV_EUlSU_E_NS1_11comp_targetILNS1_3genE10ELNS1_11target_archE1200ELNS1_3gpuE4ELNS1_3repE0EEENS1_30default_config_static_selectorELNS0_4arch9wavefront6targetE0EEEvT1_,"axG",@progbits,_ZN7rocprim17ROCPRIM_400000_NS6detail17trampoline_kernelINS0_14default_configENS1_27scan_by_key_config_selectorIxxEEZZNS1_16scan_by_key_implILNS1_25lookback_scan_determinismE0ELb0ES3_N6thrust23THRUST_200600_302600_NS6detail15normal_iteratorINS9_10device_ptrIxEEEESE_SE_xNS9_4plusIvEENS9_8equal_toIvEExEE10hipError_tPvRmT2_T3_T4_T5_mT6_T7_P12ihipStream_tbENKUlT_T0_E_clISt17integral_constantIbLb0EESZ_EEDaSU_SV_EUlSU_E_NS1_11comp_targetILNS1_3genE10ELNS1_11target_archE1200ELNS1_3gpuE4ELNS1_3repE0EEENS1_30default_config_static_selectorELNS0_4arch9wavefront6targetE0EEEvT1_,comdat
	.protected	_ZN7rocprim17ROCPRIM_400000_NS6detail17trampoline_kernelINS0_14default_configENS1_27scan_by_key_config_selectorIxxEEZZNS1_16scan_by_key_implILNS1_25lookback_scan_determinismE0ELb0ES3_N6thrust23THRUST_200600_302600_NS6detail15normal_iteratorINS9_10device_ptrIxEEEESE_SE_xNS9_4plusIvEENS9_8equal_toIvEExEE10hipError_tPvRmT2_T3_T4_T5_mT6_T7_P12ihipStream_tbENKUlT_T0_E_clISt17integral_constantIbLb0EESZ_EEDaSU_SV_EUlSU_E_NS1_11comp_targetILNS1_3genE10ELNS1_11target_archE1200ELNS1_3gpuE4ELNS1_3repE0EEENS1_30default_config_static_selectorELNS0_4arch9wavefront6targetE0EEEvT1_ ; -- Begin function _ZN7rocprim17ROCPRIM_400000_NS6detail17trampoline_kernelINS0_14default_configENS1_27scan_by_key_config_selectorIxxEEZZNS1_16scan_by_key_implILNS1_25lookback_scan_determinismE0ELb0ES3_N6thrust23THRUST_200600_302600_NS6detail15normal_iteratorINS9_10device_ptrIxEEEESE_SE_xNS9_4plusIvEENS9_8equal_toIvEExEE10hipError_tPvRmT2_T3_T4_T5_mT6_T7_P12ihipStream_tbENKUlT_T0_E_clISt17integral_constantIbLb0EESZ_EEDaSU_SV_EUlSU_E_NS1_11comp_targetILNS1_3genE10ELNS1_11target_archE1200ELNS1_3gpuE4ELNS1_3repE0EEENS1_30default_config_static_selectorELNS0_4arch9wavefront6targetE0EEEvT1_
	.globl	_ZN7rocprim17ROCPRIM_400000_NS6detail17trampoline_kernelINS0_14default_configENS1_27scan_by_key_config_selectorIxxEEZZNS1_16scan_by_key_implILNS1_25lookback_scan_determinismE0ELb0ES3_N6thrust23THRUST_200600_302600_NS6detail15normal_iteratorINS9_10device_ptrIxEEEESE_SE_xNS9_4plusIvEENS9_8equal_toIvEExEE10hipError_tPvRmT2_T3_T4_T5_mT6_T7_P12ihipStream_tbENKUlT_T0_E_clISt17integral_constantIbLb0EESZ_EEDaSU_SV_EUlSU_E_NS1_11comp_targetILNS1_3genE10ELNS1_11target_archE1200ELNS1_3gpuE4ELNS1_3repE0EEENS1_30default_config_static_selectorELNS0_4arch9wavefront6targetE0EEEvT1_
	.p2align	8
	.type	_ZN7rocprim17ROCPRIM_400000_NS6detail17trampoline_kernelINS0_14default_configENS1_27scan_by_key_config_selectorIxxEEZZNS1_16scan_by_key_implILNS1_25lookback_scan_determinismE0ELb0ES3_N6thrust23THRUST_200600_302600_NS6detail15normal_iteratorINS9_10device_ptrIxEEEESE_SE_xNS9_4plusIvEENS9_8equal_toIvEExEE10hipError_tPvRmT2_T3_T4_T5_mT6_T7_P12ihipStream_tbENKUlT_T0_E_clISt17integral_constantIbLb0EESZ_EEDaSU_SV_EUlSU_E_NS1_11comp_targetILNS1_3genE10ELNS1_11target_archE1200ELNS1_3gpuE4ELNS1_3repE0EEENS1_30default_config_static_selectorELNS0_4arch9wavefront6targetE0EEEvT1_,@function
_ZN7rocprim17ROCPRIM_400000_NS6detail17trampoline_kernelINS0_14default_configENS1_27scan_by_key_config_selectorIxxEEZZNS1_16scan_by_key_implILNS1_25lookback_scan_determinismE0ELb0ES3_N6thrust23THRUST_200600_302600_NS6detail15normal_iteratorINS9_10device_ptrIxEEEESE_SE_xNS9_4plusIvEENS9_8equal_toIvEExEE10hipError_tPvRmT2_T3_T4_T5_mT6_T7_P12ihipStream_tbENKUlT_T0_E_clISt17integral_constantIbLb0EESZ_EEDaSU_SV_EUlSU_E_NS1_11comp_targetILNS1_3genE10ELNS1_11target_archE1200ELNS1_3gpuE4ELNS1_3repE0EEENS1_30default_config_static_selectorELNS0_4arch9wavefront6targetE0EEEvT1_: ; @_ZN7rocprim17ROCPRIM_400000_NS6detail17trampoline_kernelINS0_14default_configENS1_27scan_by_key_config_selectorIxxEEZZNS1_16scan_by_key_implILNS1_25lookback_scan_determinismE0ELb0ES3_N6thrust23THRUST_200600_302600_NS6detail15normal_iteratorINS9_10device_ptrIxEEEESE_SE_xNS9_4plusIvEENS9_8equal_toIvEExEE10hipError_tPvRmT2_T3_T4_T5_mT6_T7_P12ihipStream_tbENKUlT_T0_E_clISt17integral_constantIbLb0EESZ_EEDaSU_SV_EUlSU_E_NS1_11comp_targetILNS1_3genE10ELNS1_11target_archE1200ELNS1_3gpuE4ELNS1_3repE0EEENS1_30default_config_static_selectorELNS0_4arch9wavefront6targetE0EEEvT1_
; %bb.0:
	.section	.rodata,"a",@progbits
	.p2align	6, 0x0
	.amdhsa_kernel _ZN7rocprim17ROCPRIM_400000_NS6detail17trampoline_kernelINS0_14default_configENS1_27scan_by_key_config_selectorIxxEEZZNS1_16scan_by_key_implILNS1_25lookback_scan_determinismE0ELb0ES3_N6thrust23THRUST_200600_302600_NS6detail15normal_iteratorINS9_10device_ptrIxEEEESE_SE_xNS9_4plusIvEENS9_8equal_toIvEExEE10hipError_tPvRmT2_T3_T4_T5_mT6_T7_P12ihipStream_tbENKUlT_T0_E_clISt17integral_constantIbLb0EESZ_EEDaSU_SV_EUlSU_E_NS1_11comp_targetILNS1_3genE10ELNS1_11target_archE1200ELNS1_3gpuE4ELNS1_3repE0EEENS1_30default_config_static_selectorELNS0_4arch9wavefront6targetE0EEEvT1_
		.amdhsa_group_segment_fixed_size 0
		.amdhsa_private_segment_fixed_size 0
		.amdhsa_kernarg_size 136
		.amdhsa_user_sgpr_count 2
		.amdhsa_user_sgpr_dispatch_ptr 0
		.amdhsa_user_sgpr_queue_ptr 0
		.amdhsa_user_sgpr_kernarg_segment_ptr 1
		.amdhsa_user_sgpr_dispatch_id 0
		.amdhsa_user_sgpr_kernarg_preload_length 0
		.amdhsa_user_sgpr_kernarg_preload_offset 0
		.amdhsa_user_sgpr_private_segment_size 0
		.amdhsa_wavefront_size32 1
		.amdhsa_uses_dynamic_stack 0
		.amdhsa_enable_private_segment 0
		.amdhsa_system_sgpr_workgroup_id_x 1
		.amdhsa_system_sgpr_workgroup_id_y 0
		.amdhsa_system_sgpr_workgroup_id_z 0
		.amdhsa_system_sgpr_workgroup_info 0
		.amdhsa_system_vgpr_workitem_id 0
		.amdhsa_next_free_vgpr 1
		.amdhsa_next_free_sgpr 1
		.amdhsa_named_barrier_count 0
		.amdhsa_reserve_vcc 0
		.amdhsa_float_round_mode_32 0
		.amdhsa_float_round_mode_16_64 0
		.amdhsa_float_denorm_mode_32 3
		.amdhsa_float_denorm_mode_16_64 3
		.amdhsa_fp16_overflow 0
		.amdhsa_memory_ordered 1
		.amdhsa_forward_progress 1
		.amdhsa_inst_pref_size 0
		.amdhsa_round_robin_scheduling 0
		.amdhsa_exception_fp_ieee_invalid_op 0
		.amdhsa_exception_fp_denorm_src 0
		.amdhsa_exception_fp_ieee_div_zero 0
		.amdhsa_exception_fp_ieee_overflow 0
		.amdhsa_exception_fp_ieee_underflow 0
		.amdhsa_exception_fp_ieee_inexact 0
		.amdhsa_exception_int_div_zero 0
	.end_amdhsa_kernel
	.section	.text._ZN7rocprim17ROCPRIM_400000_NS6detail17trampoline_kernelINS0_14default_configENS1_27scan_by_key_config_selectorIxxEEZZNS1_16scan_by_key_implILNS1_25lookback_scan_determinismE0ELb0ES3_N6thrust23THRUST_200600_302600_NS6detail15normal_iteratorINS9_10device_ptrIxEEEESE_SE_xNS9_4plusIvEENS9_8equal_toIvEExEE10hipError_tPvRmT2_T3_T4_T5_mT6_T7_P12ihipStream_tbENKUlT_T0_E_clISt17integral_constantIbLb0EESZ_EEDaSU_SV_EUlSU_E_NS1_11comp_targetILNS1_3genE10ELNS1_11target_archE1200ELNS1_3gpuE4ELNS1_3repE0EEENS1_30default_config_static_selectorELNS0_4arch9wavefront6targetE0EEEvT1_,"axG",@progbits,_ZN7rocprim17ROCPRIM_400000_NS6detail17trampoline_kernelINS0_14default_configENS1_27scan_by_key_config_selectorIxxEEZZNS1_16scan_by_key_implILNS1_25lookback_scan_determinismE0ELb0ES3_N6thrust23THRUST_200600_302600_NS6detail15normal_iteratorINS9_10device_ptrIxEEEESE_SE_xNS9_4plusIvEENS9_8equal_toIvEExEE10hipError_tPvRmT2_T3_T4_T5_mT6_T7_P12ihipStream_tbENKUlT_T0_E_clISt17integral_constantIbLb0EESZ_EEDaSU_SV_EUlSU_E_NS1_11comp_targetILNS1_3genE10ELNS1_11target_archE1200ELNS1_3gpuE4ELNS1_3repE0EEENS1_30default_config_static_selectorELNS0_4arch9wavefront6targetE0EEEvT1_,comdat
.Lfunc_end11:
	.size	_ZN7rocprim17ROCPRIM_400000_NS6detail17trampoline_kernelINS0_14default_configENS1_27scan_by_key_config_selectorIxxEEZZNS1_16scan_by_key_implILNS1_25lookback_scan_determinismE0ELb0ES3_N6thrust23THRUST_200600_302600_NS6detail15normal_iteratorINS9_10device_ptrIxEEEESE_SE_xNS9_4plusIvEENS9_8equal_toIvEExEE10hipError_tPvRmT2_T3_T4_T5_mT6_T7_P12ihipStream_tbENKUlT_T0_E_clISt17integral_constantIbLb0EESZ_EEDaSU_SV_EUlSU_E_NS1_11comp_targetILNS1_3genE10ELNS1_11target_archE1200ELNS1_3gpuE4ELNS1_3repE0EEENS1_30default_config_static_selectorELNS0_4arch9wavefront6targetE0EEEvT1_, .Lfunc_end11-_ZN7rocprim17ROCPRIM_400000_NS6detail17trampoline_kernelINS0_14default_configENS1_27scan_by_key_config_selectorIxxEEZZNS1_16scan_by_key_implILNS1_25lookback_scan_determinismE0ELb0ES3_N6thrust23THRUST_200600_302600_NS6detail15normal_iteratorINS9_10device_ptrIxEEEESE_SE_xNS9_4plusIvEENS9_8equal_toIvEExEE10hipError_tPvRmT2_T3_T4_T5_mT6_T7_P12ihipStream_tbENKUlT_T0_E_clISt17integral_constantIbLb0EESZ_EEDaSU_SV_EUlSU_E_NS1_11comp_targetILNS1_3genE10ELNS1_11target_archE1200ELNS1_3gpuE4ELNS1_3repE0EEENS1_30default_config_static_selectorELNS0_4arch9wavefront6targetE0EEEvT1_
                                        ; -- End function
	.set _ZN7rocprim17ROCPRIM_400000_NS6detail17trampoline_kernelINS0_14default_configENS1_27scan_by_key_config_selectorIxxEEZZNS1_16scan_by_key_implILNS1_25lookback_scan_determinismE0ELb0ES3_N6thrust23THRUST_200600_302600_NS6detail15normal_iteratorINS9_10device_ptrIxEEEESE_SE_xNS9_4plusIvEENS9_8equal_toIvEExEE10hipError_tPvRmT2_T3_T4_T5_mT6_T7_P12ihipStream_tbENKUlT_T0_E_clISt17integral_constantIbLb0EESZ_EEDaSU_SV_EUlSU_E_NS1_11comp_targetILNS1_3genE10ELNS1_11target_archE1200ELNS1_3gpuE4ELNS1_3repE0EEENS1_30default_config_static_selectorELNS0_4arch9wavefront6targetE0EEEvT1_.num_vgpr, 0
	.set _ZN7rocprim17ROCPRIM_400000_NS6detail17trampoline_kernelINS0_14default_configENS1_27scan_by_key_config_selectorIxxEEZZNS1_16scan_by_key_implILNS1_25lookback_scan_determinismE0ELb0ES3_N6thrust23THRUST_200600_302600_NS6detail15normal_iteratorINS9_10device_ptrIxEEEESE_SE_xNS9_4plusIvEENS9_8equal_toIvEExEE10hipError_tPvRmT2_T3_T4_T5_mT6_T7_P12ihipStream_tbENKUlT_T0_E_clISt17integral_constantIbLb0EESZ_EEDaSU_SV_EUlSU_E_NS1_11comp_targetILNS1_3genE10ELNS1_11target_archE1200ELNS1_3gpuE4ELNS1_3repE0EEENS1_30default_config_static_selectorELNS0_4arch9wavefront6targetE0EEEvT1_.num_agpr, 0
	.set _ZN7rocprim17ROCPRIM_400000_NS6detail17trampoline_kernelINS0_14default_configENS1_27scan_by_key_config_selectorIxxEEZZNS1_16scan_by_key_implILNS1_25lookback_scan_determinismE0ELb0ES3_N6thrust23THRUST_200600_302600_NS6detail15normal_iteratorINS9_10device_ptrIxEEEESE_SE_xNS9_4plusIvEENS9_8equal_toIvEExEE10hipError_tPvRmT2_T3_T4_T5_mT6_T7_P12ihipStream_tbENKUlT_T0_E_clISt17integral_constantIbLb0EESZ_EEDaSU_SV_EUlSU_E_NS1_11comp_targetILNS1_3genE10ELNS1_11target_archE1200ELNS1_3gpuE4ELNS1_3repE0EEENS1_30default_config_static_selectorELNS0_4arch9wavefront6targetE0EEEvT1_.numbered_sgpr, 0
	.set _ZN7rocprim17ROCPRIM_400000_NS6detail17trampoline_kernelINS0_14default_configENS1_27scan_by_key_config_selectorIxxEEZZNS1_16scan_by_key_implILNS1_25lookback_scan_determinismE0ELb0ES3_N6thrust23THRUST_200600_302600_NS6detail15normal_iteratorINS9_10device_ptrIxEEEESE_SE_xNS9_4plusIvEENS9_8equal_toIvEExEE10hipError_tPvRmT2_T3_T4_T5_mT6_T7_P12ihipStream_tbENKUlT_T0_E_clISt17integral_constantIbLb0EESZ_EEDaSU_SV_EUlSU_E_NS1_11comp_targetILNS1_3genE10ELNS1_11target_archE1200ELNS1_3gpuE4ELNS1_3repE0EEENS1_30default_config_static_selectorELNS0_4arch9wavefront6targetE0EEEvT1_.num_named_barrier, 0
	.set _ZN7rocprim17ROCPRIM_400000_NS6detail17trampoline_kernelINS0_14default_configENS1_27scan_by_key_config_selectorIxxEEZZNS1_16scan_by_key_implILNS1_25lookback_scan_determinismE0ELb0ES3_N6thrust23THRUST_200600_302600_NS6detail15normal_iteratorINS9_10device_ptrIxEEEESE_SE_xNS9_4plusIvEENS9_8equal_toIvEExEE10hipError_tPvRmT2_T3_T4_T5_mT6_T7_P12ihipStream_tbENKUlT_T0_E_clISt17integral_constantIbLb0EESZ_EEDaSU_SV_EUlSU_E_NS1_11comp_targetILNS1_3genE10ELNS1_11target_archE1200ELNS1_3gpuE4ELNS1_3repE0EEENS1_30default_config_static_selectorELNS0_4arch9wavefront6targetE0EEEvT1_.private_seg_size, 0
	.set _ZN7rocprim17ROCPRIM_400000_NS6detail17trampoline_kernelINS0_14default_configENS1_27scan_by_key_config_selectorIxxEEZZNS1_16scan_by_key_implILNS1_25lookback_scan_determinismE0ELb0ES3_N6thrust23THRUST_200600_302600_NS6detail15normal_iteratorINS9_10device_ptrIxEEEESE_SE_xNS9_4plusIvEENS9_8equal_toIvEExEE10hipError_tPvRmT2_T3_T4_T5_mT6_T7_P12ihipStream_tbENKUlT_T0_E_clISt17integral_constantIbLb0EESZ_EEDaSU_SV_EUlSU_E_NS1_11comp_targetILNS1_3genE10ELNS1_11target_archE1200ELNS1_3gpuE4ELNS1_3repE0EEENS1_30default_config_static_selectorELNS0_4arch9wavefront6targetE0EEEvT1_.uses_vcc, 0
	.set _ZN7rocprim17ROCPRIM_400000_NS6detail17trampoline_kernelINS0_14default_configENS1_27scan_by_key_config_selectorIxxEEZZNS1_16scan_by_key_implILNS1_25lookback_scan_determinismE0ELb0ES3_N6thrust23THRUST_200600_302600_NS6detail15normal_iteratorINS9_10device_ptrIxEEEESE_SE_xNS9_4plusIvEENS9_8equal_toIvEExEE10hipError_tPvRmT2_T3_T4_T5_mT6_T7_P12ihipStream_tbENKUlT_T0_E_clISt17integral_constantIbLb0EESZ_EEDaSU_SV_EUlSU_E_NS1_11comp_targetILNS1_3genE10ELNS1_11target_archE1200ELNS1_3gpuE4ELNS1_3repE0EEENS1_30default_config_static_selectorELNS0_4arch9wavefront6targetE0EEEvT1_.uses_flat_scratch, 0
	.set _ZN7rocprim17ROCPRIM_400000_NS6detail17trampoline_kernelINS0_14default_configENS1_27scan_by_key_config_selectorIxxEEZZNS1_16scan_by_key_implILNS1_25lookback_scan_determinismE0ELb0ES3_N6thrust23THRUST_200600_302600_NS6detail15normal_iteratorINS9_10device_ptrIxEEEESE_SE_xNS9_4plusIvEENS9_8equal_toIvEExEE10hipError_tPvRmT2_T3_T4_T5_mT6_T7_P12ihipStream_tbENKUlT_T0_E_clISt17integral_constantIbLb0EESZ_EEDaSU_SV_EUlSU_E_NS1_11comp_targetILNS1_3genE10ELNS1_11target_archE1200ELNS1_3gpuE4ELNS1_3repE0EEENS1_30default_config_static_selectorELNS0_4arch9wavefront6targetE0EEEvT1_.has_dyn_sized_stack, 0
	.set _ZN7rocprim17ROCPRIM_400000_NS6detail17trampoline_kernelINS0_14default_configENS1_27scan_by_key_config_selectorIxxEEZZNS1_16scan_by_key_implILNS1_25lookback_scan_determinismE0ELb0ES3_N6thrust23THRUST_200600_302600_NS6detail15normal_iteratorINS9_10device_ptrIxEEEESE_SE_xNS9_4plusIvEENS9_8equal_toIvEExEE10hipError_tPvRmT2_T3_T4_T5_mT6_T7_P12ihipStream_tbENKUlT_T0_E_clISt17integral_constantIbLb0EESZ_EEDaSU_SV_EUlSU_E_NS1_11comp_targetILNS1_3genE10ELNS1_11target_archE1200ELNS1_3gpuE4ELNS1_3repE0EEENS1_30default_config_static_selectorELNS0_4arch9wavefront6targetE0EEEvT1_.has_recursion, 0
	.set _ZN7rocprim17ROCPRIM_400000_NS6detail17trampoline_kernelINS0_14default_configENS1_27scan_by_key_config_selectorIxxEEZZNS1_16scan_by_key_implILNS1_25lookback_scan_determinismE0ELb0ES3_N6thrust23THRUST_200600_302600_NS6detail15normal_iteratorINS9_10device_ptrIxEEEESE_SE_xNS9_4plusIvEENS9_8equal_toIvEExEE10hipError_tPvRmT2_T3_T4_T5_mT6_T7_P12ihipStream_tbENKUlT_T0_E_clISt17integral_constantIbLb0EESZ_EEDaSU_SV_EUlSU_E_NS1_11comp_targetILNS1_3genE10ELNS1_11target_archE1200ELNS1_3gpuE4ELNS1_3repE0EEENS1_30default_config_static_selectorELNS0_4arch9wavefront6targetE0EEEvT1_.has_indirect_call, 0
	.section	.AMDGPU.csdata,"",@progbits
; Kernel info:
; codeLenInByte = 0
; TotalNumSgprs: 0
; NumVgprs: 0
; ScratchSize: 0
; MemoryBound: 0
; FloatMode: 240
; IeeeMode: 1
; LDSByteSize: 0 bytes/workgroup (compile time only)
; SGPRBlocks: 0
; VGPRBlocks: 0
; NumSGPRsForWavesPerEU: 1
; NumVGPRsForWavesPerEU: 1
; NamedBarCnt: 0
; Occupancy: 16
; WaveLimiterHint : 0
; COMPUTE_PGM_RSRC2:SCRATCH_EN: 0
; COMPUTE_PGM_RSRC2:USER_SGPR: 2
; COMPUTE_PGM_RSRC2:TRAP_HANDLER: 0
; COMPUTE_PGM_RSRC2:TGID_X_EN: 1
; COMPUTE_PGM_RSRC2:TGID_Y_EN: 0
; COMPUTE_PGM_RSRC2:TGID_Z_EN: 0
; COMPUTE_PGM_RSRC2:TIDIG_COMP_CNT: 0
	.section	.text._ZN7rocprim17ROCPRIM_400000_NS6detail17trampoline_kernelINS0_14default_configENS1_27scan_by_key_config_selectorIxxEEZZNS1_16scan_by_key_implILNS1_25lookback_scan_determinismE0ELb0ES3_N6thrust23THRUST_200600_302600_NS6detail15normal_iteratorINS9_10device_ptrIxEEEESE_SE_xNS9_4plusIvEENS9_8equal_toIvEExEE10hipError_tPvRmT2_T3_T4_T5_mT6_T7_P12ihipStream_tbENKUlT_T0_E_clISt17integral_constantIbLb0EESZ_EEDaSU_SV_EUlSU_E_NS1_11comp_targetILNS1_3genE9ELNS1_11target_archE1100ELNS1_3gpuE3ELNS1_3repE0EEENS1_30default_config_static_selectorELNS0_4arch9wavefront6targetE0EEEvT1_,"axG",@progbits,_ZN7rocprim17ROCPRIM_400000_NS6detail17trampoline_kernelINS0_14default_configENS1_27scan_by_key_config_selectorIxxEEZZNS1_16scan_by_key_implILNS1_25lookback_scan_determinismE0ELb0ES3_N6thrust23THRUST_200600_302600_NS6detail15normal_iteratorINS9_10device_ptrIxEEEESE_SE_xNS9_4plusIvEENS9_8equal_toIvEExEE10hipError_tPvRmT2_T3_T4_T5_mT6_T7_P12ihipStream_tbENKUlT_T0_E_clISt17integral_constantIbLb0EESZ_EEDaSU_SV_EUlSU_E_NS1_11comp_targetILNS1_3genE9ELNS1_11target_archE1100ELNS1_3gpuE3ELNS1_3repE0EEENS1_30default_config_static_selectorELNS0_4arch9wavefront6targetE0EEEvT1_,comdat
	.protected	_ZN7rocprim17ROCPRIM_400000_NS6detail17trampoline_kernelINS0_14default_configENS1_27scan_by_key_config_selectorIxxEEZZNS1_16scan_by_key_implILNS1_25lookback_scan_determinismE0ELb0ES3_N6thrust23THRUST_200600_302600_NS6detail15normal_iteratorINS9_10device_ptrIxEEEESE_SE_xNS9_4plusIvEENS9_8equal_toIvEExEE10hipError_tPvRmT2_T3_T4_T5_mT6_T7_P12ihipStream_tbENKUlT_T0_E_clISt17integral_constantIbLb0EESZ_EEDaSU_SV_EUlSU_E_NS1_11comp_targetILNS1_3genE9ELNS1_11target_archE1100ELNS1_3gpuE3ELNS1_3repE0EEENS1_30default_config_static_selectorELNS0_4arch9wavefront6targetE0EEEvT1_ ; -- Begin function _ZN7rocprim17ROCPRIM_400000_NS6detail17trampoline_kernelINS0_14default_configENS1_27scan_by_key_config_selectorIxxEEZZNS1_16scan_by_key_implILNS1_25lookback_scan_determinismE0ELb0ES3_N6thrust23THRUST_200600_302600_NS6detail15normal_iteratorINS9_10device_ptrIxEEEESE_SE_xNS9_4plusIvEENS9_8equal_toIvEExEE10hipError_tPvRmT2_T3_T4_T5_mT6_T7_P12ihipStream_tbENKUlT_T0_E_clISt17integral_constantIbLb0EESZ_EEDaSU_SV_EUlSU_E_NS1_11comp_targetILNS1_3genE9ELNS1_11target_archE1100ELNS1_3gpuE3ELNS1_3repE0EEENS1_30default_config_static_selectorELNS0_4arch9wavefront6targetE0EEEvT1_
	.globl	_ZN7rocprim17ROCPRIM_400000_NS6detail17trampoline_kernelINS0_14default_configENS1_27scan_by_key_config_selectorIxxEEZZNS1_16scan_by_key_implILNS1_25lookback_scan_determinismE0ELb0ES3_N6thrust23THRUST_200600_302600_NS6detail15normal_iteratorINS9_10device_ptrIxEEEESE_SE_xNS9_4plusIvEENS9_8equal_toIvEExEE10hipError_tPvRmT2_T3_T4_T5_mT6_T7_P12ihipStream_tbENKUlT_T0_E_clISt17integral_constantIbLb0EESZ_EEDaSU_SV_EUlSU_E_NS1_11comp_targetILNS1_3genE9ELNS1_11target_archE1100ELNS1_3gpuE3ELNS1_3repE0EEENS1_30default_config_static_selectorELNS0_4arch9wavefront6targetE0EEEvT1_
	.p2align	8
	.type	_ZN7rocprim17ROCPRIM_400000_NS6detail17trampoline_kernelINS0_14default_configENS1_27scan_by_key_config_selectorIxxEEZZNS1_16scan_by_key_implILNS1_25lookback_scan_determinismE0ELb0ES3_N6thrust23THRUST_200600_302600_NS6detail15normal_iteratorINS9_10device_ptrIxEEEESE_SE_xNS9_4plusIvEENS9_8equal_toIvEExEE10hipError_tPvRmT2_T3_T4_T5_mT6_T7_P12ihipStream_tbENKUlT_T0_E_clISt17integral_constantIbLb0EESZ_EEDaSU_SV_EUlSU_E_NS1_11comp_targetILNS1_3genE9ELNS1_11target_archE1100ELNS1_3gpuE3ELNS1_3repE0EEENS1_30default_config_static_selectorELNS0_4arch9wavefront6targetE0EEEvT1_,@function
_ZN7rocprim17ROCPRIM_400000_NS6detail17trampoline_kernelINS0_14default_configENS1_27scan_by_key_config_selectorIxxEEZZNS1_16scan_by_key_implILNS1_25lookback_scan_determinismE0ELb0ES3_N6thrust23THRUST_200600_302600_NS6detail15normal_iteratorINS9_10device_ptrIxEEEESE_SE_xNS9_4plusIvEENS9_8equal_toIvEExEE10hipError_tPvRmT2_T3_T4_T5_mT6_T7_P12ihipStream_tbENKUlT_T0_E_clISt17integral_constantIbLb0EESZ_EEDaSU_SV_EUlSU_E_NS1_11comp_targetILNS1_3genE9ELNS1_11target_archE1100ELNS1_3gpuE3ELNS1_3repE0EEENS1_30default_config_static_selectorELNS0_4arch9wavefront6targetE0EEEvT1_: ; @_ZN7rocprim17ROCPRIM_400000_NS6detail17trampoline_kernelINS0_14default_configENS1_27scan_by_key_config_selectorIxxEEZZNS1_16scan_by_key_implILNS1_25lookback_scan_determinismE0ELb0ES3_N6thrust23THRUST_200600_302600_NS6detail15normal_iteratorINS9_10device_ptrIxEEEESE_SE_xNS9_4plusIvEENS9_8equal_toIvEExEE10hipError_tPvRmT2_T3_T4_T5_mT6_T7_P12ihipStream_tbENKUlT_T0_E_clISt17integral_constantIbLb0EESZ_EEDaSU_SV_EUlSU_E_NS1_11comp_targetILNS1_3genE9ELNS1_11target_archE1100ELNS1_3gpuE3ELNS1_3repE0EEENS1_30default_config_static_selectorELNS0_4arch9wavefront6targetE0EEEvT1_
; %bb.0:
	.section	.rodata,"a",@progbits
	.p2align	6, 0x0
	.amdhsa_kernel _ZN7rocprim17ROCPRIM_400000_NS6detail17trampoline_kernelINS0_14default_configENS1_27scan_by_key_config_selectorIxxEEZZNS1_16scan_by_key_implILNS1_25lookback_scan_determinismE0ELb0ES3_N6thrust23THRUST_200600_302600_NS6detail15normal_iteratorINS9_10device_ptrIxEEEESE_SE_xNS9_4plusIvEENS9_8equal_toIvEExEE10hipError_tPvRmT2_T3_T4_T5_mT6_T7_P12ihipStream_tbENKUlT_T0_E_clISt17integral_constantIbLb0EESZ_EEDaSU_SV_EUlSU_E_NS1_11comp_targetILNS1_3genE9ELNS1_11target_archE1100ELNS1_3gpuE3ELNS1_3repE0EEENS1_30default_config_static_selectorELNS0_4arch9wavefront6targetE0EEEvT1_
		.amdhsa_group_segment_fixed_size 0
		.amdhsa_private_segment_fixed_size 0
		.amdhsa_kernarg_size 136
		.amdhsa_user_sgpr_count 2
		.amdhsa_user_sgpr_dispatch_ptr 0
		.amdhsa_user_sgpr_queue_ptr 0
		.amdhsa_user_sgpr_kernarg_segment_ptr 1
		.amdhsa_user_sgpr_dispatch_id 0
		.amdhsa_user_sgpr_kernarg_preload_length 0
		.amdhsa_user_sgpr_kernarg_preload_offset 0
		.amdhsa_user_sgpr_private_segment_size 0
		.amdhsa_wavefront_size32 1
		.amdhsa_uses_dynamic_stack 0
		.amdhsa_enable_private_segment 0
		.amdhsa_system_sgpr_workgroup_id_x 1
		.amdhsa_system_sgpr_workgroup_id_y 0
		.amdhsa_system_sgpr_workgroup_id_z 0
		.amdhsa_system_sgpr_workgroup_info 0
		.amdhsa_system_vgpr_workitem_id 0
		.amdhsa_next_free_vgpr 1
		.amdhsa_next_free_sgpr 1
		.amdhsa_named_barrier_count 0
		.amdhsa_reserve_vcc 0
		.amdhsa_float_round_mode_32 0
		.amdhsa_float_round_mode_16_64 0
		.amdhsa_float_denorm_mode_32 3
		.amdhsa_float_denorm_mode_16_64 3
		.amdhsa_fp16_overflow 0
		.amdhsa_memory_ordered 1
		.amdhsa_forward_progress 1
		.amdhsa_inst_pref_size 0
		.amdhsa_round_robin_scheduling 0
		.amdhsa_exception_fp_ieee_invalid_op 0
		.amdhsa_exception_fp_denorm_src 0
		.amdhsa_exception_fp_ieee_div_zero 0
		.amdhsa_exception_fp_ieee_overflow 0
		.amdhsa_exception_fp_ieee_underflow 0
		.amdhsa_exception_fp_ieee_inexact 0
		.amdhsa_exception_int_div_zero 0
	.end_amdhsa_kernel
	.section	.text._ZN7rocprim17ROCPRIM_400000_NS6detail17trampoline_kernelINS0_14default_configENS1_27scan_by_key_config_selectorIxxEEZZNS1_16scan_by_key_implILNS1_25lookback_scan_determinismE0ELb0ES3_N6thrust23THRUST_200600_302600_NS6detail15normal_iteratorINS9_10device_ptrIxEEEESE_SE_xNS9_4plusIvEENS9_8equal_toIvEExEE10hipError_tPvRmT2_T3_T4_T5_mT6_T7_P12ihipStream_tbENKUlT_T0_E_clISt17integral_constantIbLb0EESZ_EEDaSU_SV_EUlSU_E_NS1_11comp_targetILNS1_3genE9ELNS1_11target_archE1100ELNS1_3gpuE3ELNS1_3repE0EEENS1_30default_config_static_selectorELNS0_4arch9wavefront6targetE0EEEvT1_,"axG",@progbits,_ZN7rocprim17ROCPRIM_400000_NS6detail17trampoline_kernelINS0_14default_configENS1_27scan_by_key_config_selectorIxxEEZZNS1_16scan_by_key_implILNS1_25lookback_scan_determinismE0ELb0ES3_N6thrust23THRUST_200600_302600_NS6detail15normal_iteratorINS9_10device_ptrIxEEEESE_SE_xNS9_4plusIvEENS9_8equal_toIvEExEE10hipError_tPvRmT2_T3_T4_T5_mT6_T7_P12ihipStream_tbENKUlT_T0_E_clISt17integral_constantIbLb0EESZ_EEDaSU_SV_EUlSU_E_NS1_11comp_targetILNS1_3genE9ELNS1_11target_archE1100ELNS1_3gpuE3ELNS1_3repE0EEENS1_30default_config_static_selectorELNS0_4arch9wavefront6targetE0EEEvT1_,comdat
.Lfunc_end12:
	.size	_ZN7rocprim17ROCPRIM_400000_NS6detail17trampoline_kernelINS0_14default_configENS1_27scan_by_key_config_selectorIxxEEZZNS1_16scan_by_key_implILNS1_25lookback_scan_determinismE0ELb0ES3_N6thrust23THRUST_200600_302600_NS6detail15normal_iteratorINS9_10device_ptrIxEEEESE_SE_xNS9_4plusIvEENS9_8equal_toIvEExEE10hipError_tPvRmT2_T3_T4_T5_mT6_T7_P12ihipStream_tbENKUlT_T0_E_clISt17integral_constantIbLb0EESZ_EEDaSU_SV_EUlSU_E_NS1_11comp_targetILNS1_3genE9ELNS1_11target_archE1100ELNS1_3gpuE3ELNS1_3repE0EEENS1_30default_config_static_selectorELNS0_4arch9wavefront6targetE0EEEvT1_, .Lfunc_end12-_ZN7rocprim17ROCPRIM_400000_NS6detail17trampoline_kernelINS0_14default_configENS1_27scan_by_key_config_selectorIxxEEZZNS1_16scan_by_key_implILNS1_25lookback_scan_determinismE0ELb0ES3_N6thrust23THRUST_200600_302600_NS6detail15normal_iteratorINS9_10device_ptrIxEEEESE_SE_xNS9_4plusIvEENS9_8equal_toIvEExEE10hipError_tPvRmT2_T3_T4_T5_mT6_T7_P12ihipStream_tbENKUlT_T0_E_clISt17integral_constantIbLb0EESZ_EEDaSU_SV_EUlSU_E_NS1_11comp_targetILNS1_3genE9ELNS1_11target_archE1100ELNS1_3gpuE3ELNS1_3repE0EEENS1_30default_config_static_selectorELNS0_4arch9wavefront6targetE0EEEvT1_
                                        ; -- End function
	.set _ZN7rocprim17ROCPRIM_400000_NS6detail17trampoline_kernelINS0_14default_configENS1_27scan_by_key_config_selectorIxxEEZZNS1_16scan_by_key_implILNS1_25lookback_scan_determinismE0ELb0ES3_N6thrust23THRUST_200600_302600_NS6detail15normal_iteratorINS9_10device_ptrIxEEEESE_SE_xNS9_4plusIvEENS9_8equal_toIvEExEE10hipError_tPvRmT2_T3_T4_T5_mT6_T7_P12ihipStream_tbENKUlT_T0_E_clISt17integral_constantIbLb0EESZ_EEDaSU_SV_EUlSU_E_NS1_11comp_targetILNS1_3genE9ELNS1_11target_archE1100ELNS1_3gpuE3ELNS1_3repE0EEENS1_30default_config_static_selectorELNS0_4arch9wavefront6targetE0EEEvT1_.num_vgpr, 0
	.set _ZN7rocprim17ROCPRIM_400000_NS6detail17trampoline_kernelINS0_14default_configENS1_27scan_by_key_config_selectorIxxEEZZNS1_16scan_by_key_implILNS1_25lookback_scan_determinismE0ELb0ES3_N6thrust23THRUST_200600_302600_NS6detail15normal_iteratorINS9_10device_ptrIxEEEESE_SE_xNS9_4plusIvEENS9_8equal_toIvEExEE10hipError_tPvRmT2_T3_T4_T5_mT6_T7_P12ihipStream_tbENKUlT_T0_E_clISt17integral_constantIbLb0EESZ_EEDaSU_SV_EUlSU_E_NS1_11comp_targetILNS1_3genE9ELNS1_11target_archE1100ELNS1_3gpuE3ELNS1_3repE0EEENS1_30default_config_static_selectorELNS0_4arch9wavefront6targetE0EEEvT1_.num_agpr, 0
	.set _ZN7rocprim17ROCPRIM_400000_NS6detail17trampoline_kernelINS0_14default_configENS1_27scan_by_key_config_selectorIxxEEZZNS1_16scan_by_key_implILNS1_25lookback_scan_determinismE0ELb0ES3_N6thrust23THRUST_200600_302600_NS6detail15normal_iteratorINS9_10device_ptrIxEEEESE_SE_xNS9_4plusIvEENS9_8equal_toIvEExEE10hipError_tPvRmT2_T3_T4_T5_mT6_T7_P12ihipStream_tbENKUlT_T0_E_clISt17integral_constantIbLb0EESZ_EEDaSU_SV_EUlSU_E_NS1_11comp_targetILNS1_3genE9ELNS1_11target_archE1100ELNS1_3gpuE3ELNS1_3repE0EEENS1_30default_config_static_selectorELNS0_4arch9wavefront6targetE0EEEvT1_.numbered_sgpr, 0
	.set _ZN7rocprim17ROCPRIM_400000_NS6detail17trampoline_kernelINS0_14default_configENS1_27scan_by_key_config_selectorIxxEEZZNS1_16scan_by_key_implILNS1_25lookback_scan_determinismE0ELb0ES3_N6thrust23THRUST_200600_302600_NS6detail15normal_iteratorINS9_10device_ptrIxEEEESE_SE_xNS9_4plusIvEENS9_8equal_toIvEExEE10hipError_tPvRmT2_T3_T4_T5_mT6_T7_P12ihipStream_tbENKUlT_T0_E_clISt17integral_constantIbLb0EESZ_EEDaSU_SV_EUlSU_E_NS1_11comp_targetILNS1_3genE9ELNS1_11target_archE1100ELNS1_3gpuE3ELNS1_3repE0EEENS1_30default_config_static_selectorELNS0_4arch9wavefront6targetE0EEEvT1_.num_named_barrier, 0
	.set _ZN7rocprim17ROCPRIM_400000_NS6detail17trampoline_kernelINS0_14default_configENS1_27scan_by_key_config_selectorIxxEEZZNS1_16scan_by_key_implILNS1_25lookback_scan_determinismE0ELb0ES3_N6thrust23THRUST_200600_302600_NS6detail15normal_iteratorINS9_10device_ptrIxEEEESE_SE_xNS9_4plusIvEENS9_8equal_toIvEExEE10hipError_tPvRmT2_T3_T4_T5_mT6_T7_P12ihipStream_tbENKUlT_T0_E_clISt17integral_constantIbLb0EESZ_EEDaSU_SV_EUlSU_E_NS1_11comp_targetILNS1_3genE9ELNS1_11target_archE1100ELNS1_3gpuE3ELNS1_3repE0EEENS1_30default_config_static_selectorELNS0_4arch9wavefront6targetE0EEEvT1_.private_seg_size, 0
	.set _ZN7rocprim17ROCPRIM_400000_NS6detail17trampoline_kernelINS0_14default_configENS1_27scan_by_key_config_selectorIxxEEZZNS1_16scan_by_key_implILNS1_25lookback_scan_determinismE0ELb0ES3_N6thrust23THRUST_200600_302600_NS6detail15normal_iteratorINS9_10device_ptrIxEEEESE_SE_xNS9_4plusIvEENS9_8equal_toIvEExEE10hipError_tPvRmT2_T3_T4_T5_mT6_T7_P12ihipStream_tbENKUlT_T0_E_clISt17integral_constantIbLb0EESZ_EEDaSU_SV_EUlSU_E_NS1_11comp_targetILNS1_3genE9ELNS1_11target_archE1100ELNS1_3gpuE3ELNS1_3repE0EEENS1_30default_config_static_selectorELNS0_4arch9wavefront6targetE0EEEvT1_.uses_vcc, 0
	.set _ZN7rocprim17ROCPRIM_400000_NS6detail17trampoline_kernelINS0_14default_configENS1_27scan_by_key_config_selectorIxxEEZZNS1_16scan_by_key_implILNS1_25lookback_scan_determinismE0ELb0ES3_N6thrust23THRUST_200600_302600_NS6detail15normal_iteratorINS9_10device_ptrIxEEEESE_SE_xNS9_4plusIvEENS9_8equal_toIvEExEE10hipError_tPvRmT2_T3_T4_T5_mT6_T7_P12ihipStream_tbENKUlT_T0_E_clISt17integral_constantIbLb0EESZ_EEDaSU_SV_EUlSU_E_NS1_11comp_targetILNS1_3genE9ELNS1_11target_archE1100ELNS1_3gpuE3ELNS1_3repE0EEENS1_30default_config_static_selectorELNS0_4arch9wavefront6targetE0EEEvT1_.uses_flat_scratch, 0
	.set _ZN7rocprim17ROCPRIM_400000_NS6detail17trampoline_kernelINS0_14default_configENS1_27scan_by_key_config_selectorIxxEEZZNS1_16scan_by_key_implILNS1_25lookback_scan_determinismE0ELb0ES3_N6thrust23THRUST_200600_302600_NS6detail15normal_iteratorINS9_10device_ptrIxEEEESE_SE_xNS9_4plusIvEENS9_8equal_toIvEExEE10hipError_tPvRmT2_T3_T4_T5_mT6_T7_P12ihipStream_tbENKUlT_T0_E_clISt17integral_constantIbLb0EESZ_EEDaSU_SV_EUlSU_E_NS1_11comp_targetILNS1_3genE9ELNS1_11target_archE1100ELNS1_3gpuE3ELNS1_3repE0EEENS1_30default_config_static_selectorELNS0_4arch9wavefront6targetE0EEEvT1_.has_dyn_sized_stack, 0
	.set _ZN7rocprim17ROCPRIM_400000_NS6detail17trampoline_kernelINS0_14default_configENS1_27scan_by_key_config_selectorIxxEEZZNS1_16scan_by_key_implILNS1_25lookback_scan_determinismE0ELb0ES3_N6thrust23THRUST_200600_302600_NS6detail15normal_iteratorINS9_10device_ptrIxEEEESE_SE_xNS9_4plusIvEENS9_8equal_toIvEExEE10hipError_tPvRmT2_T3_T4_T5_mT6_T7_P12ihipStream_tbENKUlT_T0_E_clISt17integral_constantIbLb0EESZ_EEDaSU_SV_EUlSU_E_NS1_11comp_targetILNS1_3genE9ELNS1_11target_archE1100ELNS1_3gpuE3ELNS1_3repE0EEENS1_30default_config_static_selectorELNS0_4arch9wavefront6targetE0EEEvT1_.has_recursion, 0
	.set _ZN7rocprim17ROCPRIM_400000_NS6detail17trampoline_kernelINS0_14default_configENS1_27scan_by_key_config_selectorIxxEEZZNS1_16scan_by_key_implILNS1_25lookback_scan_determinismE0ELb0ES3_N6thrust23THRUST_200600_302600_NS6detail15normal_iteratorINS9_10device_ptrIxEEEESE_SE_xNS9_4plusIvEENS9_8equal_toIvEExEE10hipError_tPvRmT2_T3_T4_T5_mT6_T7_P12ihipStream_tbENKUlT_T0_E_clISt17integral_constantIbLb0EESZ_EEDaSU_SV_EUlSU_E_NS1_11comp_targetILNS1_3genE9ELNS1_11target_archE1100ELNS1_3gpuE3ELNS1_3repE0EEENS1_30default_config_static_selectorELNS0_4arch9wavefront6targetE0EEEvT1_.has_indirect_call, 0
	.section	.AMDGPU.csdata,"",@progbits
; Kernel info:
; codeLenInByte = 0
; TotalNumSgprs: 0
; NumVgprs: 0
; ScratchSize: 0
; MemoryBound: 0
; FloatMode: 240
; IeeeMode: 1
; LDSByteSize: 0 bytes/workgroup (compile time only)
; SGPRBlocks: 0
; VGPRBlocks: 0
; NumSGPRsForWavesPerEU: 1
; NumVGPRsForWavesPerEU: 1
; NamedBarCnt: 0
; Occupancy: 16
; WaveLimiterHint : 0
; COMPUTE_PGM_RSRC2:SCRATCH_EN: 0
; COMPUTE_PGM_RSRC2:USER_SGPR: 2
; COMPUTE_PGM_RSRC2:TRAP_HANDLER: 0
; COMPUTE_PGM_RSRC2:TGID_X_EN: 1
; COMPUTE_PGM_RSRC2:TGID_Y_EN: 0
; COMPUTE_PGM_RSRC2:TGID_Z_EN: 0
; COMPUTE_PGM_RSRC2:TIDIG_COMP_CNT: 0
	.section	.text._ZN7rocprim17ROCPRIM_400000_NS6detail17trampoline_kernelINS0_14default_configENS1_27scan_by_key_config_selectorIxxEEZZNS1_16scan_by_key_implILNS1_25lookback_scan_determinismE0ELb0ES3_N6thrust23THRUST_200600_302600_NS6detail15normal_iteratorINS9_10device_ptrIxEEEESE_SE_xNS9_4plusIvEENS9_8equal_toIvEExEE10hipError_tPvRmT2_T3_T4_T5_mT6_T7_P12ihipStream_tbENKUlT_T0_E_clISt17integral_constantIbLb0EESZ_EEDaSU_SV_EUlSU_E_NS1_11comp_targetILNS1_3genE8ELNS1_11target_archE1030ELNS1_3gpuE2ELNS1_3repE0EEENS1_30default_config_static_selectorELNS0_4arch9wavefront6targetE0EEEvT1_,"axG",@progbits,_ZN7rocprim17ROCPRIM_400000_NS6detail17trampoline_kernelINS0_14default_configENS1_27scan_by_key_config_selectorIxxEEZZNS1_16scan_by_key_implILNS1_25lookback_scan_determinismE0ELb0ES3_N6thrust23THRUST_200600_302600_NS6detail15normal_iteratorINS9_10device_ptrIxEEEESE_SE_xNS9_4plusIvEENS9_8equal_toIvEExEE10hipError_tPvRmT2_T3_T4_T5_mT6_T7_P12ihipStream_tbENKUlT_T0_E_clISt17integral_constantIbLb0EESZ_EEDaSU_SV_EUlSU_E_NS1_11comp_targetILNS1_3genE8ELNS1_11target_archE1030ELNS1_3gpuE2ELNS1_3repE0EEENS1_30default_config_static_selectorELNS0_4arch9wavefront6targetE0EEEvT1_,comdat
	.protected	_ZN7rocprim17ROCPRIM_400000_NS6detail17trampoline_kernelINS0_14default_configENS1_27scan_by_key_config_selectorIxxEEZZNS1_16scan_by_key_implILNS1_25lookback_scan_determinismE0ELb0ES3_N6thrust23THRUST_200600_302600_NS6detail15normal_iteratorINS9_10device_ptrIxEEEESE_SE_xNS9_4plusIvEENS9_8equal_toIvEExEE10hipError_tPvRmT2_T3_T4_T5_mT6_T7_P12ihipStream_tbENKUlT_T0_E_clISt17integral_constantIbLb0EESZ_EEDaSU_SV_EUlSU_E_NS1_11comp_targetILNS1_3genE8ELNS1_11target_archE1030ELNS1_3gpuE2ELNS1_3repE0EEENS1_30default_config_static_selectorELNS0_4arch9wavefront6targetE0EEEvT1_ ; -- Begin function _ZN7rocprim17ROCPRIM_400000_NS6detail17trampoline_kernelINS0_14default_configENS1_27scan_by_key_config_selectorIxxEEZZNS1_16scan_by_key_implILNS1_25lookback_scan_determinismE0ELb0ES3_N6thrust23THRUST_200600_302600_NS6detail15normal_iteratorINS9_10device_ptrIxEEEESE_SE_xNS9_4plusIvEENS9_8equal_toIvEExEE10hipError_tPvRmT2_T3_T4_T5_mT6_T7_P12ihipStream_tbENKUlT_T0_E_clISt17integral_constantIbLb0EESZ_EEDaSU_SV_EUlSU_E_NS1_11comp_targetILNS1_3genE8ELNS1_11target_archE1030ELNS1_3gpuE2ELNS1_3repE0EEENS1_30default_config_static_selectorELNS0_4arch9wavefront6targetE0EEEvT1_
	.globl	_ZN7rocprim17ROCPRIM_400000_NS6detail17trampoline_kernelINS0_14default_configENS1_27scan_by_key_config_selectorIxxEEZZNS1_16scan_by_key_implILNS1_25lookback_scan_determinismE0ELb0ES3_N6thrust23THRUST_200600_302600_NS6detail15normal_iteratorINS9_10device_ptrIxEEEESE_SE_xNS9_4plusIvEENS9_8equal_toIvEExEE10hipError_tPvRmT2_T3_T4_T5_mT6_T7_P12ihipStream_tbENKUlT_T0_E_clISt17integral_constantIbLb0EESZ_EEDaSU_SV_EUlSU_E_NS1_11comp_targetILNS1_3genE8ELNS1_11target_archE1030ELNS1_3gpuE2ELNS1_3repE0EEENS1_30default_config_static_selectorELNS0_4arch9wavefront6targetE0EEEvT1_
	.p2align	8
	.type	_ZN7rocprim17ROCPRIM_400000_NS6detail17trampoline_kernelINS0_14default_configENS1_27scan_by_key_config_selectorIxxEEZZNS1_16scan_by_key_implILNS1_25lookback_scan_determinismE0ELb0ES3_N6thrust23THRUST_200600_302600_NS6detail15normal_iteratorINS9_10device_ptrIxEEEESE_SE_xNS9_4plusIvEENS9_8equal_toIvEExEE10hipError_tPvRmT2_T3_T4_T5_mT6_T7_P12ihipStream_tbENKUlT_T0_E_clISt17integral_constantIbLb0EESZ_EEDaSU_SV_EUlSU_E_NS1_11comp_targetILNS1_3genE8ELNS1_11target_archE1030ELNS1_3gpuE2ELNS1_3repE0EEENS1_30default_config_static_selectorELNS0_4arch9wavefront6targetE0EEEvT1_,@function
_ZN7rocprim17ROCPRIM_400000_NS6detail17trampoline_kernelINS0_14default_configENS1_27scan_by_key_config_selectorIxxEEZZNS1_16scan_by_key_implILNS1_25lookback_scan_determinismE0ELb0ES3_N6thrust23THRUST_200600_302600_NS6detail15normal_iteratorINS9_10device_ptrIxEEEESE_SE_xNS9_4plusIvEENS9_8equal_toIvEExEE10hipError_tPvRmT2_T3_T4_T5_mT6_T7_P12ihipStream_tbENKUlT_T0_E_clISt17integral_constantIbLb0EESZ_EEDaSU_SV_EUlSU_E_NS1_11comp_targetILNS1_3genE8ELNS1_11target_archE1030ELNS1_3gpuE2ELNS1_3repE0EEENS1_30default_config_static_selectorELNS0_4arch9wavefront6targetE0EEEvT1_: ; @_ZN7rocprim17ROCPRIM_400000_NS6detail17trampoline_kernelINS0_14default_configENS1_27scan_by_key_config_selectorIxxEEZZNS1_16scan_by_key_implILNS1_25lookback_scan_determinismE0ELb0ES3_N6thrust23THRUST_200600_302600_NS6detail15normal_iteratorINS9_10device_ptrIxEEEESE_SE_xNS9_4plusIvEENS9_8equal_toIvEExEE10hipError_tPvRmT2_T3_T4_T5_mT6_T7_P12ihipStream_tbENKUlT_T0_E_clISt17integral_constantIbLb0EESZ_EEDaSU_SV_EUlSU_E_NS1_11comp_targetILNS1_3genE8ELNS1_11target_archE1030ELNS1_3gpuE2ELNS1_3repE0EEENS1_30default_config_static_selectorELNS0_4arch9wavefront6targetE0EEEvT1_
; %bb.0:
	.section	.rodata,"a",@progbits
	.p2align	6, 0x0
	.amdhsa_kernel _ZN7rocprim17ROCPRIM_400000_NS6detail17trampoline_kernelINS0_14default_configENS1_27scan_by_key_config_selectorIxxEEZZNS1_16scan_by_key_implILNS1_25lookback_scan_determinismE0ELb0ES3_N6thrust23THRUST_200600_302600_NS6detail15normal_iteratorINS9_10device_ptrIxEEEESE_SE_xNS9_4plusIvEENS9_8equal_toIvEExEE10hipError_tPvRmT2_T3_T4_T5_mT6_T7_P12ihipStream_tbENKUlT_T0_E_clISt17integral_constantIbLb0EESZ_EEDaSU_SV_EUlSU_E_NS1_11comp_targetILNS1_3genE8ELNS1_11target_archE1030ELNS1_3gpuE2ELNS1_3repE0EEENS1_30default_config_static_selectorELNS0_4arch9wavefront6targetE0EEEvT1_
		.amdhsa_group_segment_fixed_size 0
		.amdhsa_private_segment_fixed_size 0
		.amdhsa_kernarg_size 136
		.amdhsa_user_sgpr_count 2
		.amdhsa_user_sgpr_dispatch_ptr 0
		.amdhsa_user_sgpr_queue_ptr 0
		.amdhsa_user_sgpr_kernarg_segment_ptr 1
		.amdhsa_user_sgpr_dispatch_id 0
		.amdhsa_user_sgpr_kernarg_preload_length 0
		.amdhsa_user_sgpr_kernarg_preload_offset 0
		.amdhsa_user_sgpr_private_segment_size 0
		.amdhsa_wavefront_size32 1
		.amdhsa_uses_dynamic_stack 0
		.amdhsa_enable_private_segment 0
		.amdhsa_system_sgpr_workgroup_id_x 1
		.amdhsa_system_sgpr_workgroup_id_y 0
		.amdhsa_system_sgpr_workgroup_id_z 0
		.amdhsa_system_sgpr_workgroup_info 0
		.amdhsa_system_vgpr_workitem_id 0
		.amdhsa_next_free_vgpr 1
		.amdhsa_next_free_sgpr 1
		.amdhsa_named_barrier_count 0
		.amdhsa_reserve_vcc 0
		.amdhsa_float_round_mode_32 0
		.amdhsa_float_round_mode_16_64 0
		.amdhsa_float_denorm_mode_32 3
		.amdhsa_float_denorm_mode_16_64 3
		.amdhsa_fp16_overflow 0
		.amdhsa_memory_ordered 1
		.amdhsa_forward_progress 1
		.amdhsa_inst_pref_size 0
		.amdhsa_round_robin_scheduling 0
		.amdhsa_exception_fp_ieee_invalid_op 0
		.amdhsa_exception_fp_denorm_src 0
		.amdhsa_exception_fp_ieee_div_zero 0
		.amdhsa_exception_fp_ieee_overflow 0
		.amdhsa_exception_fp_ieee_underflow 0
		.amdhsa_exception_fp_ieee_inexact 0
		.amdhsa_exception_int_div_zero 0
	.end_amdhsa_kernel
	.section	.text._ZN7rocprim17ROCPRIM_400000_NS6detail17trampoline_kernelINS0_14default_configENS1_27scan_by_key_config_selectorIxxEEZZNS1_16scan_by_key_implILNS1_25lookback_scan_determinismE0ELb0ES3_N6thrust23THRUST_200600_302600_NS6detail15normal_iteratorINS9_10device_ptrIxEEEESE_SE_xNS9_4plusIvEENS9_8equal_toIvEExEE10hipError_tPvRmT2_T3_T4_T5_mT6_T7_P12ihipStream_tbENKUlT_T0_E_clISt17integral_constantIbLb0EESZ_EEDaSU_SV_EUlSU_E_NS1_11comp_targetILNS1_3genE8ELNS1_11target_archE1030ELNS1_3gpuE2ELNS1_3repE0EEENS1_30default_config_static_selectorELNS0_4arch9wavefront6targetE0EEEvT1_,"axG",@progbits,_ZN7rocprim17ROCPRIM_400000_NS6detail17trampoline_kernelINS0_14default_configENS1_27scan_by_key_config_selectorIxxEEZZNS1_16scan_by_key_implILNS1_25lookback_scan_determinismE0ELb0ES3_N6thrust23THRUST_200600_302600_NS6detail15normal_iteratorINS9_10device_ptrIxEEEESE_SE_xNS9_4plusIvEENS9_8equal_toIvEExEE10hipError_tPvRmT2_T3_T4_T5_mT6_T7_P12ihipStream_tbENKUlT_T0_E_clISt17integral_constantIbLb0EESZ_EEDaSU_SV_EUlSU_E_NS1_11comp_targetILNS1_3genE8ELNS1_11target_archE1030ELNS1_3gpuE2ELNS1_3repE0EEENS1_30default_config_static_selectorELNS0_4arch9wavefront6targetE0EEEvT1_,comdat
.Lfunc_end13:
	.size	_ZN7rocprim17ROCPRIM_400000_NS6detail17trampoline_kernelINS0_14default_configENS1_27scan_by_key_config_selectorIxxEEZZNS1_16scan_by_key_implILNS1_25lookback_scan_determinismE0ELb0ES3_N6thrust23THRUST_200600_302600_NS6detail15normal_iteratorINS9_10device_ptrIxEEEESE_SE_xNS9_4plusIvEENS9_8equal_toIvEExEE10hipError_tPvRmT2_T3_T4_T5_mT6_T7_P12ihipStream_tbENKUlT_T0_E_clISt17integral_constantIbLb0EESZ_EEDaSU_SV_EUlSU_E_NS1_11comp_targetILNS1_3genE8ELNS1_11target_archE1030ELNS1_3gpuE2ELNS1_3repE0EEENS1_30default_config_static_selectorELNS0_4arch9wavefront6targetE0EEEvT1_, .Lfunc_end13-_ZN7rocprim17ROCPRIM_400000_NS6detail17trampoline_kernelINS0_14default_configENS1_27scan_by_key_config_selectorIxxEEZZNS1_16scan_by_key_implILNS1_25lookback_scan_determinismE0ELb0ES3_N6thrust23THRUST_200600_302600_NS6detail15normal_iteratorINS9_10device_ptrIxEEEESE_SE_xNS9_4plusIvEENS9_8equal_toIvEExEE10hipError_tPvRmT2_T3_T4_T5_mT6_T7_P12ihipStream_tbENKUlT_T0_E_clISt17integral_constantIbLb0EESZ_EEDaSU_SV_EUlSU_E_NS1_11comp_targetILNS1_3genE8ELNS1_11target_archE1030ELNS1_3gpuE2ELNS1_3repE0EEENS1_30default_config_static_selectorELNS0_4arch9wavefront6targetE0EEEvT1_
                                        ; -- End function
	.set _ZN7rocprim17ROCPRIM_400000_NS6detail17trampoline_kernelINS0_14default_configENS1_27scan_by_key_config_selectorIxxEEZZNS1_16scan_by_key_implILNS1_25lookback_scan_determinismE0ELb0ES3_N6thrust23THRUST_200600_302600_NS6detail15normal_iteratorINS9_10device_ptrIxEEEESE_SE_xNS9_4plusIvEENS9_8equal_toIvEExEE10hipError_tPvRmT2_T3_T4_T5_mT6_T7_P12ihipStream_tbENKUlT_T0_E_clISt17integral_constantIbLb0EESZ_EEDaSU_SV_EUlSU_E_NS1_11comp_targetILNS1_3genE8ELNS1_11target_archE1030ELNS1_3gpuE2ELNS1_3repE0EEENS1_30default_config_static_selectorELNS0_4arch9wavefront6targetE0EEEvT1_.num_vgpr, 0
	.set _ZN7rocprim17ROCPRIM_400000_NS6detail17trampoline_kernelINS0_14default_configENS1_27scan_by_key_config_selectorIxxEEZZNS1_16scan_by_key_implILNS1_25lookback_scan_determinismE0ELb0ES3_N6thrust23THRUST_200600_302600_NS6detail15normal_iteratorINS9_10device_ptrIxEEEESE_SE_xNS9_4plusIvEENS9_8equal_toIvEExEE10hipError_tPvRmT2_T3_T4_T5_mT6_T7_P12ihipStream_tbENKUlT_T0_E_clISt17integral_constantIbLb0EESZ_EEDaSU_SV_EUlSU_E_NS1_11comp_targetILNS1_3genE8ELNS1_11target_archE1030ELNS1_3gpuE2ELNS1_3repE0EEENS1_30default_config_static_selectorELNS0_4arch9wavefront6targetE0EEEvT1_.num_agpr, 0
	.set _ZN7rocprim17ROCPRIM_400000_NS6detail17trampoline_kernelINS0_14default_configENS1_27scan_by_key_config_selectorIxxEEZZNS1_16scan_by_key_implILNS1_25lookback_scan_determinismE0ELb0ES3_N6thrust23THRUST_200600_302600_NS6detail15normal_iteratorINS9_10device_ptrIxEEEESE_SE_xNS9_4plusIvEENS9_8equal_toIvEExEE10hipError_tPvRmT2_T3_T4_T5_mT6_T7_P12ihipStream_tbENKUlT_T0_E_clISt17integral_constantIbLb0EESZ_EEDaSU_SV_EUlSU_E_NS1_11comp_targetILNS1_3genE8ELNS1_11target_archE1030ELNS1_3gpuE2ELNS1_3repE0EEENS1_30default_config_static_selectorELNS0_4arch9wavefront6targetE0EEEvT1_.numbered_sgpr, 0
	.set _ZN7rocprim17ROCPRIM_400000_NS6detail17trampoline_kernelINS0_14default_configENS1_27scan_by_key_config_selectorIxxEEZZNS1_16scan_by_key_implILNS1_25lookback_scan_determinismE0ELb0ES3_N6thrust23THRUST_200600_302600_NS6detail15normal_iteratorINS9_10device_ptrIxEEEESE_SE_xNS9_4plusIvEENS9_8equal_toIvEExEE10hipError_tPvRmT2_T3_T4_T5_mT6_T7_P12ihipStream_tbENKUlT_T0_E_clISt17integral_constantIbLb0EESZ_EEDaSU_SV_EUlSU_E_NS1_11comp_targetILNS1_3genE8ELNS1_11target_archE1030ELNS1_3gpuE2ELNS1_3repE0EEENS1_30default_config_static_selectorELNS0_4arch9wavefront6targetE0EEEvT1_.num_named_barrier, 0
	.set _ZN7rocprim17ROCPRIM_400000_NS6detail17trampoline_kernelINS0_14default_configENS1_27scan_by_key_config_selectorIxxEEZZNS1_16scan_by_key_implILNS1_25lookback_scan_determinismE0ELb0ES3_N6thrust23THRUST_200600_302600_NS6detail15normal_iteratorINS9_10device_ptrIxEEEESE_SE_xNS9_4plusIvEENS9_8equal_toIvEExEE10hipError_tPvRmT2_T3_T4_T5_mT6_T7_P12ihipStream_tbENKUlT_T0_E_clISt17integral_constantIbLb0EESZ_EEDaSU_SV_EUlSU_E_NS1_11comp_targetILNS1_3genE8ELNS1_11target_archE1030ELNS1_3gpuE2ELNS1_3repE0EEENS1_30default_config_static_selectorELNS0_4arch9wavefront6targetE0EEEvT1_.private_seg_size, 0
	.set _ZN7rocprim17ROCPRIM_400000_NS6detail17trampoline_kernelINS0_14default_configENS1_27scan_by_key_config_selectorIxxEEZZNS1_16scan_by_key_implILNS1_25lookback_scan_determinismE0ELb0ES3_N6thrust23THRUST_200600_302600_NS6detail15normal_iteratorINS9_10device_ptrIxEEEESE_SE_xNS9_4plusIvEENS9_8equal_toIvEExEE10hipError_tPvRmT2_T3_T4_T5_mT6_T7_P12ihipStream_tbENKUlT_T0_E_clISt17integral_constantIbLb0EESZ_EEDaSU_SV_EUlSU_E_NS1_11comp_targetILNS1_3genE8ELNS1_11target_archE1030ELNS1_3gpuE2ELNS1_3repE0EEENS1_30default_config_static_selectorELNS0_4arch9wavefront6targetE0EEEvT1_.uses_vcc, 0
	.set _ZN7rocprim17ROCPRIM_400000_NS6detail17trampoline_kernelINS0_14default_configENS1_27scan_by_key_config_selectorIxxEEZZNS1_16scan_by_key_implILNS1_25lookback_scan_determinismE0ELb0ES3_N6thrust23THRUST_200600_302600_NS6detail15normal_iteratorINS9_10device_ptrIxEEEESE_SE_xNS9_4plusIvEENS9_8equal_toIvEExEE10hipError_tPvRmT2_T3_T4_T5_mT6_T7_P12ihipStream_tbENKUlT_T0_E_clISt17integral_constantIbLb0EESZ_EEDaSU_SV_EUlSU_E_NS1_11comp_targetILNS1_3genE8ELNS1_11target_archE1030ELNS1_3gpuE2ELNS1_3repE0EEENS1_30default_config_static_selectorELNS0_4arch9wavefront6targetE0EEEvT1_.uses_flat_scratch, 0
	.set _ZN7rocprim17ROCPRIM_400000_NS6detail17trampoline_kernelINS0_14default_configENS1_27scan_by_key_config_selectorIxxEEZZNS1_16scan_by_key_implILNS1_25lookback_scan_determinismE0ELb0ES3_N6thrust23THRUST_200600_302600_NS6detail15normal_iteratorINS9_10device_ptrIxEEEESE_SE_xNS9_4plusIvEENS9_8equal_toIvEExEE10hipError_tPvRmT2_T3_T4_T5_mT6_T7_P12ihipStream_tbENKUlT_T0_E_clISt17integral_constantIbLb0EESZ_EEDaSU_SV_EUlSU_E_NS1_11comp_targetILNS1_3genE8ELNS1_11target_archE1030ELNS1_3gpuE2ELNS1_3repE0EEENS1_30default_config_static_selectorELNS0_4arch9wavefront6targetE0EEEvT1_.has_dyn_sized_stack, 0
	.set _ZN7rocprim17ROCPRIM_400000_NS6detail17trampoline_kernelINS0_14default_configENS1_27scan_by_key_config_selectorIxxEEZZNS1_16scan_by_key_implILNS1_25lookback_scan_determinismE0ELb0ES3_N6thrust23THRUST_200600_302600_NS6detail15normal_iteratorINS9_10device_ptrIxEEEESE_SE_xNS9_4plusIvEENS9_8equal_toIvEExEE10hipError_tPvRmT2_T3_T4_T5_mT6_T7_P12ihipStream_tbENKUlT_T0_E_clISt17integral_constantIbLb0EESZ_EEDaSU_SV_EUlSU_E_NS1_11comp_targetILNS1_3genE8ELNS1_11target_archE1030ELNS1_3gpuE2ELNS1_3repE0EEENS1_30default_config_static_selectorELNS0_4arch9wavefront6targetE0EEEvT1_.has_recursion, 0
	.set _ZN7rocprim17ROCPRIM_400000_NS6detail17trampoline_kernelINS0_14default_configENS1_27scan_by_key_config_selectorIxxEEZZNS1_16scan_by_key_implILNS1_25lookback_scan_determinismE0ELb0ES3_N6thrust23THRUST_200600_302600_NS6detail15normal_iteratorINS9_10device_ptrIxEEEESE_SE_xNS9_4plusIvEENS9_8equal_toIvEExEE10hipError_tPvRmT2_T3_T4_T5_mT6_T7_P12ihipStream_tbENKUlT_T0_E_clISt17integral_constantIbLb0EESZ_EEDaSU_SV_EUlSU_E_NS1_11comp_targetILNS1_3genE8ELNS1_11target_archE1030ELNS1_3gpuE2ELNS1_3repE0EEENS1_30default_config_static_selectorELNS0_4arch9wavefront6targetE0EEEvT1_.has_indirect_call, 0
	.section	.AMDGPU.csdata,"",@progbits
; Kernel info:
; codeLenInByte = 0
; TotalNumSgprs: 0
; NumVgprs: 0
; ScratchSize: 0
; MemoryBound: 0
; FloatMode: 240
; IeeeMode: 1
; LDSByteSize: 0 bytes/workgroup (compile time only)
; SGPRBlocks: 0
; VGPRBlocks: 0
; NumSGPRsForWavesPerEU: 1
; NumVGPRsForWavesPerEU: 1
; NamedBarCnt: 0
; Occupancy: 16
; WaveLimiterHint : 0
; COMPUTE_PGM_RSRC2:SCRATCH_EN: 0
; COMPUTE_PGM_RSRC2:USER_SGPR: 2
; COMPUTE_PGM_RSRC2:TRAP_HANDLER: 0
; COMPUTE_PGM_RSRC2:TGID_X_EN: 1
; COMPUTE_PGM_RSRC2:TGID_Y_EN: 0
; COMPUTE_PGM_RSRC2:TGID_Z_EN: 0
; COMPUTE_PGM_RSRC2:TIDIG_COMP_CNT: 0
	.section	.text._ZN7rocprim17ROCPRIM_400000_NS6detail30init_device_scan_by_key_kernelINS1_19lookback_scan_stateINS0_5tupleIJxbEEELb1ELb0EEEN6thrust23THRUST_200600_302600_NS6detail15normal_iteratorINS8_10device_ptrIxEEEEjNS1_16block_id_wrapperIjLb1EEEEEvT_jjPNSG_10value_typeET0_PNSt15iterator_traitsISJ_E10value_typeEmT1_T2_,"axG",@progbits,_ZN7rocprim17ROCPRIM_400000_NS6detail30init_device_scan_by_key_kernelINS1_19lookback_scan_stateINS0_5tupleIJxbEEELb1ELb0EEEN6thrust23THRUST_200600_302600_NS6detail15normal_iteratorINS8_10device_ptrIxEEEEjNS1_16block_id_wrapperIjLb1EEEEEvT_jjPNSG_10value_typeET0_PNSt15iterator_traitsISJ_E10value_typeEmT1_T2_,comdat
	.protected	_ZN7rocprim17ROCPRIM_400000_NS6detail30init_device_scan_by_key_kernelINS1_19lookback_scan_stateINS0_5tupleIJxbEEELb1ELb0EEEN6thrust23THRUST_200600_302600_NS6detail15normal_iteratorINS8_10device_ptrIxEEEEjNS1_16block_id_wrapperIjLb1EEEEEvT_jjPNSG_10value_typeET0_PNSt15iterator_traitsISJ_E10value_typeEmT1_T2_ ; -- Begin function _ZN7rocprim17ROCPRIM_400000_NS6detail30init_device_scan_by_key_kernelINS1_19lookback_scan_stateINS0_5tupleIJxbEEELb1ELb0EEEN6thrust23THRUST_200600_302600_NS6detail15normal_iteratorINS8_10device_ptrIxEEEEjNS1_16block_id_wrapperIjLb1EEEEEvT_jjPNSG_10value_typeET0_PNSt15iterator_traitsISJ_E10value_typeEmT1_T2_
	.globl	_ZN7rocprim17ROCPRIM_400000_NS6detail30init_device_scan_by_key_kernelINS1_19lookback_scan_stateINS0_5tupleIJxbEEELb1ELb0EEEN6thrust23THRUST_200600_302600_NS6detail15normal_iteratorINS8_10device_ptrIxEEEEjNS1_16block_id_wrapperIjLb1EEEEEvT_jjPNSG_10value_typeET0_PNSt15iterator_traitsISJ_E10value_typeEmT1_T2_
	.p2align	8
	.type	_ZN7rocprim17ROCPRIM_400000_NS6detail30init_device_scan_by_key_kernelINS1_19lookback_scan_stateINS0_5tupleIJxbEEELb1ELb0EEEN6thrust23THRUST_200600_302600_NS6detail15normal_iteratorINS8_10device_ptrIxEEEEjNS1_16block_id_wrapperIjLb1EEEEEvT_jjPNSG_10value_typeET0_PNSt15iterator_traitsISJ_E10value_typeEmT1_T2_,@function
_ZN7rocprim17ROCPRIM_400000_NS6detail30init_device_scan_by_key_kernelINS1_19lookback_scan_stateINS0_5tupleIJxbEEELb1ELb0EEEN6thrust23THRUST_200600_302600_NS6detail15normal_iteratorINS8_10device_ptrIxEEEEjNS1_16block_id_wrapperIjLb1EEEEEvT_jjPNSG_10value_typeET0_PNSt15iterator_traitsISJ_E10value_typeEmT1_T2_: ; @_ZN7rocprim17ROCPRIM_400000_NS6detail30init_device_scan_by_key_kernelINS1_19lookback_scan_stateINS0_5tupleIJxbEEELb1ELb0EEEN6thrust23THRUST_200600_302600_NS6detail15normal_iteratorINS8_10device_ptrIxEEEEjNS1_16block_id_wrapperIjLb1EEEEEvT_jjPNSG_10value_typeET0_PNSt15iterator_traitsISJ_E10value_typeEmT1_T2_
; %bb.0:
	s_clause 0x2
	s_load_b32 s2, s[0:1], 0x5c
	s_load_b32 s18, s[0:1], 0x50
	s_load_b256 s[4:11], s[0:1], 0x10
	s_bfe_u32 s3, ttmp6, 0x4000c
	s_and_b32 s12, ttmp6, 15
	s_add_co_i32 s3, s3, 1
	s_getreg_b32 s13, hwreg(HW_REG_IB_STS2, 6, 4)
	s_mul_i32 s3, ttmp9, s3
	s_delay_alu instid0(SALU_CYCLE_1)
	s_add_co_i32 s12, s12, s3
	s_wait_kmcnt 0x0
	s_and_b32 s19, s2, 0xffff
	s_cmp_eq_u32 s13, 0
	s_cselect_b32 s2, ttmp9, s12
	s_cmp_eq_u64 s[8:9], 0
	v_mad_u32 v0, s2, s19, v0
	s_cbranch_scc1 .LBB14_9
; %bb.1:
	s_cmp_lt_u32 s7, s6
	s_mov_b32 s20, exec_lo
	s_cselect_b32 s2, s7, 0
	s_delay_alu instid0(VALU_DEP_1) | instid1(SALU_CYCLE_1)
	v_cmpx_eq_u32_e64 s2, v0
	s_cbranch_execz .LBB14_8
; %bb.2:
	s_add_co_i32 s2, s7, 32
	s_load_b128 s[12:15], s[0:1], 0x0
	v_mov_b32_e32 v1, s2
	s_mov_b32 s3, 0
	global_load_u8 v1, v1, s[4:5] scope:SCOPE_DEV
	s_wait_loadcnt 0x0
	v_and_b32_e32 v2, 0xffff, v1
	v_readfirstlane_b32 s21, v1
	s_delay_alu instid0(VALU_DEP_2)
	v_cmp_ne_u32_e32 vcc_lo, 0, v2
	s_cbranch_vccnz .LBB14_7
; %bb.3:
	v_mov_b32_e32 v1, 0
	s_add_nc_u64 s[16:17], s[4:5], s[2:3]
	s_mov_b32 s7, 1
.LBB14_4:                               ; =>This Loop Header: Depth=1
                                        ;     Child Loop BB14_5 Depth 2
	s_delay_alu instid0(SALU_CYCLE_1)
	s_mov_b32 s21, s7
.LBB14_5:                               ;   Parent Loop BB14_4 Depth=1
                                        ; =>  This Inner Loop Header: Depth=2
	s_delay_alu instid0(SALU_CYCLE_1)
	s_add_co_i32 s21, s21, -1
	s_sleep 1
	s_cmp_eq_u32 s21, 0
	s_cbranch_scc0 .LBB14_5
; %bb.6:                                ;   in Loop: Header=BB14_4 Depth=1
	global_load_u8 v2, v1, s[16:17] scope:SCOPE_DEV
	s_cmp_lt_u32 s7, 32
	s_cselect_b32 s21, -1, 0
	s_delay_alu instid0(SALU_CYCLE_1) | instskip(SKIP_4) | instid1(VALU_DEP_2)
	s_cmp_lg_u32 s21, 0
	s_add_co_ci_u32 s7, s7, 0
	s_wait_loadcnt 0x0
	v_and_b32_e32 v3, 0xffff, v2
	v_readfirstlane_b32 s21, v2
	v_cmp_ne_u32_e32 vcc_lo, 0, v3
	s_cbranch_vccz .LBB14_4
.LBB14_7:
	s_and_b32 s7, 0xffff, s21
	v_mov_b32_e32 v1, 0
	s_cmp_eq_u32 s7, 1
	global_wb scope:SCOPE_DEV
	s_wait_storecnt 0x0
	global_inv scope:SCOPE_DEV
	s_wait_kmcnt 0x0
	s_cselect_b32 s13, s13, s15
	s_cselect_b32 s12, s12, s14
	s_lshl_b64 s[2:3], s[2:3], 4
	s_delay_alu instid0(SALU_CYCLE_1)
	s_add_nc_u64 s[2:3], s[12:13], s[2:3]
	s_clause 0x1
	global_load_b64 v[2:3], v1, s[2:3]
	global_load_u8 v4, v1, s[2:3] offset:8
	s_wait_loadcnt 0x1
	global_store_b64 v1, v[2:3], s[8:9]
	s_wait_loadcnt 0x0
	global_store_b8 v1, v4, s[8:9] offset:8
.LBB14_8:
	s_wait_xcnt 0x0
	s_or_b32 exec_lo, exec_lo, s20
.LBB14_9:
	s_delay_alu instid0(SALU_CYCLE_1) | instskip(NEXT) | instid1(VALU_DEP_1)
	s_mov_b32 s2, exec_lo
	v_cmpx_eq_u32_e32 0, v0
	s_cbranch_execz .LBB14_11
; %bb.10:
	s_load_b64 s[8:9], s[0:1], 0x48
	v_mov_b32_e32 v1, 0
	s_wait_kmcnt 0x0
	global_store_b32 v1, v1, s[8:9]
.LBB14_11:
	s_wait_xcnt 0x0
	s_or_b32 exec_lo, exec_lo, s2
	s_delay_alu instid0(SALU_CYCLE_1)
	s_mov_b32 s2, exec_lo
	v_cmpx_gt_u32_e64 s6, v0
	s_cbranch_execz .LBB14_13
; %bb.12:
	v_dual_mov_b32 v2, 0 :: v_dual_add_nc_u32 v1, 32, v0
	global_store_b8 v1, v2, s[4:5]
.LBB14_13:
	s_wait_xcnt 0x0
	s_or_b32 exec_lo, exec_lo, s2
	v_mov_b32_e32 v1, 0
	s_mov_b32 s2, exec_lo
	v_cmpx_gt_u32_e32 32, v0
	s_cbranch_execz .LBB14_15
; %bb.14:
	s_delay_alu instid0(VALU_DEP_2)
	v_add_nc_u64_e32 v[2:3], s[4:5], v[0:1]
	v_mov_b32_e32 v4, 0xff
	global_store_b8 v[2:3], v4, off
.LBB14_15:
	s_wait_xcnt 0x0
	s_or_b32 exec_lo, exec_lo, s2
	s_load_b64 s[2:3], s[0:1], 0x38
	s_mov_b32 s4, exec_lo
	s_wait_kmcnt 0x0
	v_cmpx_gt_u64_e64 s[2:3], v[0:1]
	s_cbranch_execz .LBB14_18
; %bb.16:
	s_clause 0x1
	s_load_b32 s4, s[0:1], 0x40
	s_load_b64 s[6:7], s[0:1], 0x30
	s_mov_b32 s5, 0
	s_wait_xcnt 0x0
	s_mul_i32 s0, s18, s19
	s_mov_b32 s9, s5
	s_mov_b32 s1, s5
	s_wait_kmcnt 0x0
	v_mul_u64_e32 v[2:3], s[4:5], v[0:1]
	s_add_co_i32 s8, s4, -1
	v_lshl_add_u64 v[4:5], v[0:1], 3, s[6:7]
	s_lshl_b64 s[8:9], s[8:9], 3
	s_delay_alu instid0(SALU_CYCLE_1) | instskip(SKIP_1) | instid1(SALU_CYCLE_1)
	s_add_nc_u64 s[8:9], s[10:11], s[8:9]
	s_mul_u64 s[10:11], s[4:5], s[0:1]
	s_lshl_b64 s[6:7], s[10:11], 3
	s_delay_alu instid0(VALU_DEP_2)
	v_lshl_add_u64 v[2:3], v[2:3], 3, s[8:9]
	s_lshl_b64 s[8:9], s[0:1], 3
.LBB14_17:                              ; =>This Inner Loop Header: Depth=1
	global_load_b64 v[6:7], v[2:3], off
	v_add_nc_u64_e32 v[0:1], s[0:1], v[0:1]
	s_wait_xcnt 0x0
	v_add_nc_u64_e32 v[2:3], s[6:7], v[2:3]
	s_delay_alu instid0(VALU_DEP_2)
	v_cmp_le_u64_e32 vcc_lo, s[2:3], v[0:1]
	s_or_b32 s5, vcc_lo, s5
	s_wait_loadcnt 0x0
	global_store_b64 v[4:5], v[6:7], off
	s_wait_xcnt 0x0
	v_add_nc_u64_e32 v[4:5], s[8:9], v[4:5]
	s_and_not1_b32 exec_lo, exec_lo, s5
	s_cbranch_execnz .LBB14_17
.LBB14_18:
	s_endpgm
	.section	.rodata,"a",@progbits
	.p2align	6, 0x0
	.amdhsa_kernel _ZN7rocprim17ROCPRIM_400000_NS6detail30init_device_scan_by_key_kernelINS1_19lookback_scan_stateINS0_5tupleIJxbEEELb1ELb0EEEN6thrust23THRUST_200600_302600_NS6detail15normal_iteratorINS8_10device_ptrIxEEEEjNS1_16block_id_wrapperIjLb1EEEEEvT_jjPNSG_10value_typeET0_PNSt15iterator_traitsISJ_E10value_typeEmT1_T2_
		.amdhsa_group_segment_fixed_size 0
		.amdhsa_private_segment_fixed_size 0
		.amdhsa_kernarg_size 336
		.amdhsa_user_sgpr_count 2
		.amdhsa_user_sgpr_dispatch_ptr 0
		.amdhsa_user_sgpr_queue_ptr 0
		.amdhsa_user_sgpr_kernarg_segment_ptr 1
		.amdhsa_user_sgpr_dispatch_id 0
		.amdhsa_user_sgpr_kernarg_preload_length 0
		.amdhsa_user_sgpr_kernarg_preload_offset 0
		.amdhsa_user_sgpr_private_segment_size 0
		.amdhsa_wavefront_size32 1
		.amdhsa_uses_dynamic_stack 0
		.amdhsa_enable_private_segment 0
		.amdhsa_system_sgpr_workgroup_id_x 1
		.amdhsa_system_sgpr_workgroup_id_y 0
		.amdhsa_system_sgpr_workgroup_id_z 0
		.amdhsa_system_sgpr_workgroup_info 0
		.amdhsa_system_vgpr_workitem_id 0
		.amdhsa_next_free_vgpr 8
		.amdhsa_next_free_sgpr 22
		.amdhsa_named_barrier_count 0
		.amdhsa_reserve_vcc 1
		.amdhsa_float_round_mode_32 0
		.amdhsa_float_round_mode_16_64 0
		.amdhsa_float_denorm_mode_32 3
		.amdhsa_float_denorm_mode_16_64 3
		.amdhsa_fp16_overflow 0
		.amdhsa_memory_ordered 1
		.amdhsa_forward_progress 1
		.amdhsa_inst_pref_size 6
		.amdhsa_round_robin_scheduling 0
		.amdhsa_exception_fp_ieee_invalid_op 0
		.amdhsa_exception_fp_denorm_src 0
		.amdhsa_exception_fp_ieee_div_zero 0
		.amdhsa_exception_fp_ieee_overflow 0
		.amdhsa_exception_fp_ieee_underflow 0
		.amdhsa_exception_fp_ieee_inexact 0
		.amdhsa_exception_int_div_zero 0
	.end_amdhsa_kernel
	.section	.text._ZN7rocprim17ROCPRIM_400000_NS6detail30init_device_scan_by_key_kernelINS1_19lookback_scan_stateINS0_5tupleIJxbEEELb1ELb0EEEN6thrust23THRUST_200600_302600_NS6detail15normal_iteratorINS8_10device_ptrIxEEEEjNS1_16block_id_wrapperIjLb1EEEEEvT_jjPNSG_10value_typeET0_PNSt15iterator_traitsISJ_E10value_typeEmT1_T2_,"axG",@progbits,_ZN7rocprim17ROCPRIM_400000_NS6detail30init_device_scan_by_key_kernelINS1_19lookback_scan_stateINS0_5tupleIJxbEEELb1ELb0EEEN6thrust23THRUST_200600_302600_NS6detail15normal_iteratorINS8_10device_ptrIxEEEEjNS1_16block_id_wrapperIjLb1EEEEEvT_jjPNSG_10value_typeET0_PNSt15iterator_traitsISJ_E10value_typeEmT1_T2_,comdat
.Lfunc_end14:
	.size	_ZN7rocprim17ROCPRIM_400000_NS6detail30init_device_scan_by_key_kernelINS1_19lookback_scan_stateINS0_5tupleIJxbEEELb1ELb0EEEN6thrust23THRUST_200600_302600_NS6detail15normal_iteratorINS8_10device_ptrIxEEEEjNS1_16block_id_wrapperIjLb1EEEEEvT_jjPNSG_10value_typeET0_PNSt15iterator_traitsISJ_E10value_typeEmT1_T2_, .Lfunc_end14-_ZN7rocprim17ROCPRIM_400000_NS6detail30init_device_scan_by_key_kernelINS1_19lookback_scan_stateINS0_5tupleIJxbEEELb1ELb0EEEN6thrust23THRUST_200600_302600_NS6detail15normal_iteratorINS8_10device_ptrIxEEEEjNS1_16block_id_wrapperIjLb1EEEEEvT_jjPNSG_10value_typeET0_PNSt15iterator_traitsISJ_E10value_typeEmT1_T2_
                                        ; -- End function
	.set _ZN7rocprim17ROCPRIM_400000_NS6detail30init_device_scan_by_key_kernelINS1_19lookback_scan_stateINS0_5tupleIJxbEEELb1ELb0EEEN6thrust23THRUST_200600_302600_NS6detail15normal_iteratorINS8_10device_ptrIxEEEEjNS1_16block_id_wrapperIjLb1EEEEEvT_jjPNSG_10value_typeET0_PNSt15iterator_traitsISJ_E10value_typeEmT1_T2_.num_vgpr, 8
	.set _ZN7rocprim17ROCPRIM_400000_NS6detail30init_device_scan_by_key_kernelINS1_19lookback_scan_stateINS0_5tupleIJxbEEELb1ELb0EEEN6thrust23THRUST_200600_302600_NS6detail15normal_iteratorINS8_10device_ptrIxEEEEjNS1_16block_id_wrapperIjLb1EEEEEvT_jjPNSG_10value_typeET0_PNSt15iterator_traitsISJ_E10value_typeEmT1_T2_.num_agpr, 0
	.set _ZN7rocprim17ROCPRIM_400000_NS6detail30init_device_scan_by_key_kernelINS1_19lookback_scan_stateINS0_5tupleIJxbEEELb1ELb0EEEN6thrust23THRUST_200600_302600_NS6detail15normal_iteratorINS8_10device_ptrIxEEEEjNS1_16block_id_wrapperIjLb1EEEEEvT_jjPNSG_10value_typeET0_PNSt15iterator_traitsISJ_E10value_typeEmT1_T2_.numbered_sgpr, 22
	.set _ZN7rocprim17ROCPRIM_400000_NS6detail30init_device_scan_by_key_kernelINS1_19lookback_scan_stateINS0_5tupleIJxbEEELb1ELb0EEEN6thrust23THRUST_200600_302600_NS6detail15normal_iteratorINS8_10device_ptrIxEEEEjNS1_16block_id_wrapperIjLb1EEEEEvT_jjPNSG_10value_typeET0_PNSt15iterator_traitsISJ_E10value_typeEmT1_T2_.num_named_barrier, 0
	.set _ZN7rocprim17ROCPRIM_400000_NS6detail30init_device_scan_by_key_kernelINS1_19lookback_scan_stateINS0_5tupleIJxbEEELb1ELb0EEEN6thrust23THRUST_200600_302600_NS6detail15normal_iteratorINS8_10device_ptrIxEEEEjNS1_16block_id_wrapperIjLb1EEEEEvT_jjPNSG_10value_typeET0_PNSt15iterator_traitsISJ_E10value_typeEmT1_T2_.private_seg_size, 0
	.set _ZN7rocprim17ROCPRIM_400000_NS6detail30init_device_scan_by_key_kernelINS1_19lookback_scan_stateINS0_5tupleIJxbEEELb1ELb0EEEN6thrust23THRUST_200600_302600_NS6detail15normal_iteratorINS8_10device_ptrIxEEEEjNS1_16block_id_wrapperIjLb1EEEEEvT_jjPNSG_10value_typeET0_PNSt15iterator_traitsISJ_E10value_typeEmT1_T2_.uses_vcc, 1
	.set _ZN7rocprim17ROCPRIM_400000_NS6detail30init_device_scan_by_key_kernelINS1_19lookback_scan_stateINS0_5tupleIJxbEEELb1ELb0EEEN6thrust23THRUST_200600_302600_NS6detail15normal_iteratorINS8_10device_ptrIxEEEEjNS1_16block_id_wrapperIjLb1EEEEEvT_jjPNSG_10value_typeET0_PNSt15iterator_traitsISJ_E10value_typeEmT1_T2_.uses_flat_scratch, 0
	.set _ZN7rocprim17ROCPRIM_400000_NS6detail30init_device_scan_by_key_kernelINS1_19lookback_scan_stateINS0_5tupleIJxbEEELb1ELb0EEEN6thrust23THRUST_200600_302600_NS6detail15normal_iteratorINS8_10device_ptrIxEEEEjNS1_16block_id_wrapperIjLb1EEEEEvT_jjPNSG_10value_typeET0_PNSt15iterator_traitsISJ_E10value_typeEmT1_T2_.has_dyn_sized_stack, 0
	.set _ZN7rocprim17ROCPRIM_400000_NS6detail30init_device_scan_by_key_kernelINS1_19lookback_scan_stateINS0_5tupleIJxbEEELb1ELb0EEEN6thrust23THRUST_200600_302600_NS6detail15normal_iteratorINS8_10device_ptrIxEEEEjNS1_16block_id_wrapperIjLb1EEEEEvT_jjPNSG_10value_typeET0_PNSt15iterator_traitsISJ_E10value_typeEmT1_T2_.has_recursion, 0
	.set _ZN7rocprim17ROCPRIM_400000_NS6detail30init_device_scan_by_key_kernelINS1_19lookback_scan_stateINS0_5tupleIJxbEEELb1ELb0EEEN6thrust23THRUST_200600_302600_NS6detail15normal_iteratorINS8_10device_ptrIxEEEEjNS1_16block_id_wrapperIjLb1EEEEEvT_jjPNSG_10value_typeET0_PNSt15iterator_traitsISJ_E10value_typeEmT1_T2_.has_indirect_call, 0
	.section	.AMDGPU.csdata,"",@progbits
; Kernel info:
; codeLenInByte = 764
; TotalNumSgprs: 24
; NumVgprs: 8
; ScratchSize: 0
; MemoryBound: 0
; FloatMode: 240
; IeeeMode: 1
; LDSByteSize: 0 bytes/workgroup (compile time only)
; SGPRBlocks: 0
; VGPRBlocks: 0
; NumSGPRsForWavesPerEU: 24
; NumVGPRsForWavesPerEU: 8
; NamedBarCnt: 0
; Occupancy: 16
; WaveLimiterHint : 0
; COMPUTE_PGM_RSRC2:SCRATCH_EN: 0
; COMPUTE_PGM_RSRC2:USER_SGPR: 2
; COMPUTE_PGM_RSRC2:TRAP_HANDLER: 0
; COMPUTE_PGM_RSRC2:TGID_X_EN: 1
; COMPUTE_PGM_RSRC2:TGID_Y_EN: 0
; COMPUTE_PGM_RSRC2:TGID_Z_EN: 0
; COMPUTE_PGM_RSRC2:TIDIG_COMP_CNT: 0
	.section	.text._ZN7rocprim17ROCPRIM_400000_NS6detail30init_device_scan_by_key_kernelINS1_19lookback_scan_stateINS0_5tupleIJxbEEELb1ELb0EEENS1_16block_id_wrapperIjLb1EEEEEvT_jjPNS9_10value_typeET0_,"axG",@progbits,_ZN7rocprim17ROCPRIM_400000_NS6detail30init_device_scan_by_key_kernelINS1_19lookback_scan_stateINS0_5tupleIJxbEEELb1ELb0EEENS1_16block_id_wrapperIjLb1EEEEEvT_jjPNS9_10value_typeET0_,comdat
	.protected	_ZN7rocprim17ROCPRIM_400000_NS6detail30init_device_scan_by_key_kernelINS1_19lookback_scan_stateINS0_5tupleIJxbEEELb1ELb0EEENS1_16block_id_wrapperIjLb1EEEEEvT_jjPNS9_10value_typeET0_ ; -- Begin function _ZN7rocprim17ROCPRIM_400000_NS6detail30init_device_scan_by_key_kernelINS1_19lookback_scan_stateINS0_5tupleIJxbEEELb1ELb0EEENS1_16block_id_wrapperIjLb1EEEEEvT_jjPNS9_10value_typeET0_
	.globl	_ZN7rocprim17ROCPRIM_400000_NS6detail30init_device_scan_by_key_kernelINS1_19lookback_scan_stateINS0_5tupleIJxbEEELb1ELb0EEENS1_16block_id_wrapperIjLb1EEEEEvT_jjPNS9_10value_typeET0_
	.p2align	8
	.type	_ZN7rocprim17ROCPRIM_400000_NS6detail30init_device_scan_by_key_kernelINS1_19lookback_scan_stateINS0_5tupleIJxbEEELb1ELb0EEENS1_16block_id_wrapperIjLb1EEEEEvT_jjPNS9_10value_typeET0_,@function
_ZN7rocprim17ROCPRIM_400000_NS6detail30init_device_scan_by_key_kernelINS1_19lookback_scan_stateINS0_5tupleIJxbEEELb1ELb0EEENS1_16block_id_wrapperIjLb1EEEEEvT_jjPNS9_10value_typeET0_: ; @_ZN7rocprim17ROCPRIM_400000_NS6detail30init_device_scan_by_key_kernelINS1_19lookback_scan_stateINS0_5tupleIJxbEEELb1ELb0EEENS1_16block_id_wrapperIjLb1EEEEEvT_jjPNS9_10value_typeET0_
; %bb.0:
	s_clause 0x1
	s_load_b32 s2, s[0:1], 0x3c
	s_load_b256 s[4:11], s[0:1], 0x10
	s_bfe_u32 s3, ttmp6, 0x4000c
	s_and_b32 s12, ttmp6, 15
	s_add_co_i32 s3, s3, 1
	s_getreg_b32 s13, hwreg(HW_REG_IB_STS2, 6, 4)
	s_mul_i32 s3, ttmp9, s3
	s_delay_alu instid0(SALU_CYCLE_1)
	s_add_co_i32 s12, s12, s3
	s_wait_kmcnt 0x0
	s_and_b32 s2, s2, 0xffff
	s_cmp_eq_u32 s13, 0
	s_cselect_b32 s3, ttmp9, s12
	s_cmp_eq_u64 s[8:9], 0
	v_mad_u32 v0, s3, s2, v0
	s_cbranch_scc1 .LBB15_9
; %bb.1:
	s_cmp_lt_u32 s7, s6
	s_mov_b32 s16, exec_lo
	s_cselect_b32 s2, s7, 0
	s_delay_alu instid0(VALU_DEP_1) | instid1(SALU_CYCLE_1)
	v_cmpx_eq_u32_e64 s2, v0
	s_cbranch_execz .LBB15_8
; %bb.2:
	s_add_co_i32 s2, s7, 32
	s_load_b128 s[12:15], s[0:1], 0x0
	v_mov_b32_e32 v1, s2
	s_mov_b32 s3, 0
	global_load_u8 v1, v1, s[4:5] scope:SCOPE_DEV
	s_wait_loadcnt 0x0
	v_and_b32_e32 v2, 0xffff, v1
	v_readfirstlane_b32 s17, v1
	s_delay_alu instid0(VALU_DEP_2)
	v_cmp_ne_u32_e32 vcc_lo, 0, v2
	s_cbranch_vccnz .LBB15_7
; %bb.3:
	v_mov_b32_e32 v1, 0
	s_add_nc_u64 s[0:1], s[4:5], s[2:3]
	s_mov_b32 s7, 1
.LBB15_4:                               ; =>This Loop Header: Depth=1
                                        ;     Child Loop BB15_5 Depth 2
	s_delay_alu instid0(SALU_CYCLE_1)
	s_mov_b32 s17, s7
.LBB15_5:                               ;   Parent Loop BB15_4 Depth=1
                                        ; =>  This Inner Loop Header: Depth=2
	s_delay_alu instid0(SALU_CYCLE_1)
	s_add_co_i32 s17, s17, -1
	s_sleep 1
	s_cmp_eq_u32 s17, 0
	s_cbranch_scc0 .LBB15_5
; %bb.6:                                ;   in Loop: Header=BB15_4 Depth=1
	global_load_u8 v2, v1, s[0:1] scope:SCOPE_DEV
	s_cmp_lt_u32 s7, 32
	s_cselect_b32 s17, -1, 0
	s_delay_alu instid0(SALU_CYCLE_1) | instskip(SKIP_4) | instid1(VALU_DEP_2)
	s_cmp_lg_u32 s17, 0
	s_add_co_ci_u32 s7, s7, 0
	s_wait_loadcnt 0x0
	v_and_b32_e32 v3, 0xffff, v2
	v_readfirstlane_b32 s17, v2
	v_cmp_ne_u32_e32 vcc_lo, 0, v3
	s_cbranch_vccz .LBB15_4
.LBB15_7:
	s_and_b32 s0, 0xffff, s17
	v_mov_b32_e32 v1, 0
	s_cmp_eq_u32 s0, 1
	global_wb scope:SCOPE_DEV
	s_wait_storecnt 0x0
	global_inv scope:SCOPE_DEV
	s_wait_kmcnt 0x0
	s_cselect_b32 s1, s13, s15
	s_cselect_b32 s0, s12, s14
	s_lshl_b64 s[2:3], s[2:3], 4
	s_delay_alu instid0(SALU_CYCLE_1)
	s_add_nc_u64 s[0:1], s[0:1], s[2:3]
	s_clause 0x1
	global_load_b64 v[2:3], v1, s[0:1]
	global_load_u8 v4, v1, s[0:1] offset:8
	s_wait_loadcnt 0x1
	global_store_b64 v1, v[2:3], s[8:9]
	s_wait_loadcnt 0x0
	global_store_b8 v1, v4, s[8:9] offset:8
.LBB15_8:
	s_wait_xcnt 0x0
	s_or_b32 exec_lo, exec_lo, s16
.LBB15_9:
	s_delay_alu instid0(SALU_CYCLE_1) | instskip(NEXT) | instid1(VALU_DEP_1)
	s_mov_b32 s0, exec_lo
	v_cmpx_eq_u32_e32 0, v0
	s_cbranch_execz .LBB15_11
; %bb.10:
	v_mov_b32_e32 v1, 0
	global_store_b32 v1, v1, s[10:11]
.LBB15_11:
	s_wait_xcnt 0x0
	s_or_b32 exec_lo, exec_lo, s0
	s_delay_alu instid0(SALU_CYCLE_1)
	s_mov_b32 s0, exec_lo
	v_cmpx_gt_u32_e64 s6, v0
	s_cbranch_execz .LBB15_13
; %bb.12:
	v_dual_mov_b32 v2, 0 :: v_dual_add_nc_u32 v1, 32, v0
	global_store_b8 v1, v2, s[4:5]
.LBB15_13:
	s_wait_xcnt 0x0
	s_or_b32 exec_lo, exec_lo, s0
	s_delay_alu instid0(SALU_CYCLE_1)
	s_mov_b32 s0, exec_lo
	v_cmpx_gt_u32_e32 32, v0
	s_cbranch_execz .LBB15_15
; %bb.14:
	v_mov_b32_e32 v1, 0xff
	global_store_b8 v0, v1, s[4:5]
.LBB15_15:
	s_endpgm
	.section	.rodata,"a",@progbits
	.p2align	6, 0x0
	.amdhsa_kernel _ZN7rocprim17ROCPRIM_400000_NS6detail30init_device_scan_by_key_kernelINS1_19lookback_scan_stateINS0_5tupleIJxbEEELb1ELb0EEENS1_16block_id_wrapperIjLb1EEEEEvT_jjPNS9_10value_typeET0_
		.amdhsa_group_segment_fixed_size 0
		.amdhsa_private_segment_fixed_size 0
		.amdhsa_kernarg_size 304
		.amdhsa_user_sgpr_count 2
		.amdhsa_user_sgpr_dispatch_ptr 0
		.amdhsa_user_sgpr_queue_ptr 0
		.amdhsa_user_sgpr_kernarg_segment_ptr 1
		.amdhsa_user_sgpr_dispatch_id 0
		.amdhsa_user_sgpr_kernarg_preload_length 0
		.amdhsa_user_sgpr_kernarg_preload_offset 0
		.amdhsa_user_sgpr_private_segment_size 0
		.amdhsa_wavefront_size32 1
		.amdhsa_uses_dynamic_stack 0
		.amdhsa_enable_private_segment 0
		.amdhsa_system_sgpr_workgroup_id_x 1
		.amdhsa_system_sgpr_workgroup_id_y 0
		.amdhsa_system_sgpr_workgroup_id_z 0
		.amdhsa_system_sgpr_workgroup_info 0
		.amdhsa_system_vgpr_workitem_id 0
		.amdhsa_next_free_vgpr 5
		.amdhsa_next_free_sgpr 18
		.amdhsa_named_barrier_count 0
		.amdhsa_reserve_vcc 1
		.amdhsa_float_round_mode_32 0
		.amdhsa_float_round_mode_16_64 0
		.amdhsa_float_denorm_mode_32 3
		.amdhsa_float_denorm_mode_16_64 3
		.amdhsa_fp16_overflow 0
		.amdhsa_memory_ordered 1
		.amdhsa_forward_progress 1
		.amdhsa_inst_pref_size 5
		.amdhsa_round_robin_scheduling 0
		.amdhsa_exception_fp_ieee_invalid_op 0
		.amdhsa_exception_fp_denorm_src 0
		.amdhsa_exception_fp_ieee_div_zero 0
		.amdhsa_exception_fp_ieee_overflow 0
		.amdhsa_exception_fp_ieee_underflow 0
		.amdhsa_exception_fp_ieee_inexact 0
		.amdhsa_exception_int_div_zero 0
	.end_amdhsa_kernel
	.section	.text._ZN7rocprim17ROCPRIM_400000_NS6detail30init_device_scan_by_key_kernelINS1_19lookback_scan_stateINS0_5tupleIJxbEEELb1ELb0EEENS1_16block_id_wrapperIjLb1EEEEEvT_jjPNS9_10value_typeET0_,"axG",@progbits,_ZN7rocprim17ROCPRIM_400000_NS6detail30init_device_scan_by_key_kernelINS1_19lookback_scan_stateINS0_5tupleIJxbEEELb1ELb0EEENS1_16block_id_wrapperIjLb1EEEEEvT_jjPNS9_10value_typeET0_,comdat
.Lfunc_end15:
	.size	_ZN7rocprim17ROCPRIM_400000_NS6detail30init_device_scan_by_key_kernelINS1_19lookback_scan_stateINS0_5tupleIJxbEEELb1ELb0EEENS1_16block_id_wrapperIjLb1EEEEEvT_jjPNS9_10value_typeET0_, .Lfunc_end15-_ZN7rocprim17ROCPRIM_400000_NS6detail30init_device_scan_by_key_kernelINS1_19lookback_scan_stateINS0_5tupleIJxbEEELb1ELb0EEENS1_16block_id_wrapperIjLb1EEEEEvT_jjPNS9_10value_typeET0_
                                        ; -- End function
	.set _ZN7rocprim17ROCPRIM_400000_NS6detail30init_device_scan_by_key_kernelINS1_19lookback_scan_stateINS0_5tupleIJxbEEELb1ELb0EEENS1_16block_id_wrapperIjLb1EEEEEvT_jjPNS9_10value_typeET0_.num_vgpr, 5
	.set _ZN7rocprim17ROCPRIM_400000_NS6detail30init_device_scan_by_key_kernelINS1_19lookback_scan_stateINS0_5tupleIJxbEEELb1ELb0EEENS1_16block_id_wrapperIjLb1EEEEEvT_jjPNS9_10value_typeET0_.num_agpr, 0
	.set _ZN7rocprim17ROCPRIM_400000_NS6detail30init_device_scan_by_key_kernelINS1_19lookback_scan_stateINS0_5tupleIJxbEEELb1ELb0EEENS1_16block_id_wrapperIjLb1EEEEEvT_jjPNS9_10value_typeET0_.numbered_sgpr, 18
	.set _ZN7rocprim17ROCPRIM_400000_NS6detail30init_device_scan_by_key_kernelINS1_19lookback_scan_stateINS0_5tupleIJxbEEELb1ELb0EEENS1_16block_id_wrapperIjLb1EEEEEvT_jjPNS9_10value_typeET0_.num_named_barrier, 0
	.set _ZN7rocprim17ROCPRIM_400000_NS6detail30init_device_scan_by_key_kernelINS1_19lookback_scan_stateINS0_5tupleIJxbEEELb1ELb0EEENS1_16block_id_wrapperIjLb1EEEEEvT_jjPNS9_10value_typeET0_.private_seg_size, 0
	.set _ZN7rocprim17ROCPRIM_400000_NS6detail30init_device_scan_by_key_kernelINS1_19lookback_scan_stateINS0_5tupleIJxbEEELb1ELb0EEENS1_16block_id_wrapperIjLb1EEEEEvT_jjPNS9_10value_typeET0_.uses_vcc, 1
	.set _ZN7rocprim17ROCPRIM_400000_NS6detail30init_device_scan_by_key_kernelINS1_19lookback_scan_stateINS0_5tupleIJxbEEELb1ELb0EEENS1_16block_id_wrapperIjLb1EEEEEvT_jjPNS9_10value_typeET0_.uses_flat_scratch, 0
	.set _ZN7rocprim17ROCPRIM_400000_NS6detail30init_device_scan_by_key_kernelINS1_19lookback_scan_stateINS0_5tupleIJxbEEELb1ELb0EEENS1_16block_id_wrapperIjLb1EEEEEvT_jjPNS9_10value_typeET0_.has_dyn_sized_stack, 0
	.set _ZN7rocprim17ROCPRIM_400000_NS6detail30init_device_scan_by_key_kernelINS1_19lookback_scan_stateINS0_5tupleIJxbEEELb1ELb0EEENS1_16block_id_wrapperIjLb1EEEEEvT_jjPNS9_10value_typeET0_.has_recursion, 0
	.set _ZN7rocprim17ROCPRIM_400000_NS6detail30init_device_scan_by_key_kernelINS1_19lookback_scan_stateINS0_5tupleIJxbEEELb1ELb0EEENS1_16block_id_wrapperIjLb1EEEEEvT_jjPNS9_10value_typeET0_.has_indirect_call, 0
	.section	.AMDGPU.csdata,"",@progbits
; Kernel info:
; codeLenInByte = 536
; TotalNumSgprs: 20
; NumVgprs: 5
; ScratchSize: 0
; MemoryBound: 0
; FloatMode: 240
; IeeeMode: 1
; LDSByteSize: 0 bytes/workgroup (compile time only)
; SGPRBlocks: 0
; VGPRBlocks: 0
; NumSGPRsForWavesPerEU: 20
; NumVGPRsForWavesPerEU: 5
; NamedBarCnt: 0
; Occupancy: 16
; WaveLimiterHint : 0
; COMPUTE_PGM_RSRC2:SCRATCH_EN: 0
; COMPUTE_PGM_RSRC2:USER_SGPR: 2
; COMPUTE_PGM_RSRC2:TRAP_HANDLER: 0
; COMPUTE_PGM_RSRC2:TGID_X_EN: 1
; COMPUTE_PGM_RSRC2:TGID_Y_EN: 0
; COMPUTE_PGM_RSRC2:TGID_Z_EN: 0
; COMPUTE_PGM_RSRC2:TIDIG_COMP_CNT: 0
	.section	.text._ZN7rocprim17ROCPRIM_400000_NS6detail17trampoline_kernelINS0_14default_configENS1_27scan_by_key_config_selectorIxxEEZZNS1_16scan_by_key_implILNS1_25lookback_scan_determinismE0ELb0ES3_N6thrust23THRUST_200600_302600_NS6detail15normal_iteratorINS9_10device_ptrIxEEEESE_SE_xNS9_4plusIvEENS9_8equal_toIvEExEE10hipError_tPvRmT2_T3_T4_T5_mT6_T7_P12ihipStream_tbENKUlT_T0_E_clISt17integral_constantIbLb1EESZ_EEDaSU_SV_EUlSU_E_NS1_11comp_targetILNS1_3genE0ELNS1_11target_archE4294967295ELNS1_3gpuE0ELNS1_3repE0EEENS1_30default_config_static_selectorELNS0_4arch9wavefront6targetE0EEEvT1_,"axG",@progbits,_ZN7rocprim17ROCPRIM_400000_NS6detail17trampoline_kernelINS0_14default_configENS1_27scan_by_key_config_selectorIxxEEZZNS1_16scan_by_key_implILNS1_25lookback_scan_determinismE0ELb0ES3_N6thrust23THRUST_200600_302600_NS6detail15normal_iteratorINS9_10device_ptrIxEEEESE_SE_xNS9_4plusIvEENS9_8equal_toIvEExEE10hipError_tPvRmT2_T3_T4_T5_mT6_T7_P12ihipStream_tbENKUlT_T0_E_clISt17integral_constantIbLb1EESZ_EEDaSU_SV_EUlSU_E_NS1_11comp_targetILNS1_3genE0ELNS1_11target_archE4294967295ELNS1_3gpuE0ELNS1_3repE0EEENS1_30default_config_static_selectorELNS0_4arch9wavefront6targetE0EEEvT1_,comdat
	.protected	_ZN7rocprim17ROCPRIM_400000_NS6detail17trampoline_kernelINS0_14default_configENS1_27scan_by_key_config_selectorIxxEEZZNS1_16scan_by_key_implILNS1_25lookback_scan_determinismE0ELb0ES3_N6thrust23THRUST_200600_302600_NS6detail15normal_iteratorINS9_10device_ptrIxEEEESE_SE_xNS9_4plusIvEENS9_8equal_toIvEExEE10hipError_tPvRmT2_T3_T4_T5_mT6_T7_P12ihipStream_tbENKUlT_T0_E_clISt17integral_constantIbLb1EESZ_EEDaSU_SV_EUlSU_E_NS1_11comp_targetILNS1_3genE0ELNS1_11target_archE4294967295ELNS1_3gpuE0ELNS1_3repE0EEENS1_30default_config_static_selectorELNS0_4arch9wavefront6targetE0EEEvT1_ ; -- Begin function _ZN7rocprim17ROCPRIM_400000_NS6detail17trampoline_kernelINS0_14default_configENS1_27scan_by_key_config_selectorIxxEEZZNS1_16scan_by_key_implILNS1_25lookback_scan_determinismE0ELb0ES3_N6thrust23THRUST_200600_302600_NS6detail15normal_iteratorINS9_10device_ptrIxEEEESE_SE_xNS9_4plusIvEENS9_8equal_toIvEExEE10hipError_tPvRmT2_T3_T4_T5_mT6_T7_P12ihipStream_tbENKUlT_T0_E_clISt17integral_constantIbLb1EESZ_EEDaSU_SV_EUlSU_E_NS1_11comp_targetILNS1_3genE0ELNS1_11target_archE4294967295ELNS1_3gpuE0ELNS1_3repE0EEENS1_30default_config_static_selectorELNS0_4arch9wavefront6targetE0EEEvT1_
	.globl	_ZN7rocprim17ROCPRIM_400000_NS6detail17trampoline_kernelINS0_14default_configENS1_27scan_by_key_config_selectorIxxEEZZNS1_16scan_by_key_implILNS1_25lookback_scan_determinismE0ELb0ES3_N6thrust23THRUST_200600_302600_NS6detail15normal_iteratorINS9_10device_ptrIxEEEESE_SE_xNS9_4plusIvEENS9_8equal_toIvEExEE10hipError_tPvRmT2_T3_T4_T5_mT6_T7_P12ihipStream_tbENKUlT_T0_E_clISt17integral_constantIbLb1EESZ_EEDaSU_SV_EUlSU_E_NS1_11comp_targetILNS1_3genE0ELNS1_11target_archE4294967295ELNS1_3gpuE0ELNS1_3repE0EEENS1_30default_config_static_selectorELNS0_4arch9wavefront6targetE0EEEvT1_
	.p2align	8
	.type	_ZN7rocprim17ROCPRIM_400000_NS6detail17trampoline_kernelINS0_14default_configENS1_27scan_by_key_config_selectorIxxEEZZNS1_16scan_by_key_implILNS1_25lookback_scan_determinismE0ELb0ES3_N6thrust23THRUST_200600_302600_NS6detail15normal_iteratorINS9_10device_ptrIxEEEESE_SE_xNS9_4plusIvEENS9_8equal_toIvEExEE10hipError_tPvRmT2_T3_T4_T5_mT6_T7_P12ihipStream_tbENKUlT_T0_E_clISt17integral_constantIbLb1EESZ_EEDaSU_SV_EUlSU_E_NS1_11comp_targetILNS1_3genE0ELNS1_11target_archE4294967295ELNS1_3gpuE0ELNS1_3repE0EEENS1_30default_config_static_selectorELNS0_4arch9wavefront6targetE0EEEvT1_,@function
_ZN7rocprim17ROCPRIM_400000_NS6detail17trampoline_kernelINS0_14default_configENS1_27scan_by_key_config_selectorIxxEEZZNS1_16scan_by_key_implILNS1_25lookback_scan_determinismE0ELb0ES3_N6thrust23THRUST_200600_302600_NS6detail15normal_iteratorINS9_10device_ptrIxEEEESE_SE_xNS9_4plusIvEENS9_8equal_toIvEExEE10hipError_tPvRmT2_T3_T4_T5_mT6_T7_P12ihipStream_tbENKUlT_T0_E_clISt17integral_constantIbLb1EESZ_EEDaSU_SV_EUlSU_E_NS1_11comp_targetILNS1_3genE0ELNS1_11target_archE4294967295ELNS1_3gpuE0ELNS1_3repE0EEENS1_30default_config_static_selectorELNS0_4arch9wavefront6targetE0EEEvT1_: ; @_ZN7rocprim17ROCPRIM_400000_NS6detail17trampoline_kernelINS0_14default_configENS1_27scan_by_key_config_selectorIxxEEZZNS1_16scan_by_key_implILNS1_25lookback_scan_determinismE0ELb0ES3_N6thrust23THRUST_200600_302600_NS6detail15normal_iteratorINS9_10device_ptrIxEEEESE_SE_xNS9_4plusIvEENS9_8equal_toIvEExEE10hipError_tPvRmT2_T3_T4_T5_mT6_T7_P12ihipStream_tbENKUlT_T0_E_clISt17integral_constantIbLb1EESZ_EEDaSU_SV_EUlSU_E_NS1_11comp_targetILNS1_3genE0ELNS1_11target_archE4294967295ELNS1_3gpuE0ELNS1_3repE0EEENS1_30default_config_static_selectorELNS0_4arch9wavefront6targetE0EEEvT1_
; %bb.0:
	s_endpgm
	.section	.rodata,"a",@progbits
	.p2align	6, 0x0
	.amdhsa_kernel _ZN7rocprim17ROCPRIM_400000_NS6detail17trampoline_kernelINS0_14default_configENS1_27scan_by_key_config_selectorIxxEEZZNS1_16scan_by_key_implILNS1_25lookback_scan_determinismE0ELb0ES3_N6thrust23THRUST_200600_302600_NS6detail15normal_iteratorINS9_10device_ptrIxEEEESE_SE_xNS9_4plusIvEENS9_8equal_toIvEExEE10hipError_tPvRmT2_T3_T4_T5_mT6_T7_P12ihipStream_tbENKUlT_T0_E_clISt17integral_constantIbLb1EESZ_EEDaSU_SV_EUlSU_E_NS1_11comp_targetILNS1_3genE0ELNS1_11target_archE4294967295ELNS1_3gpuE0ELNS1_3repE0EEENS1_30default_config_static_selectorELNS0_4arch9wavefront6targetE0EEEvT1_
		.amdhsa_group_segment_fixed_size 0
		.amdhsa_private_segment_fixed_size 0
		.amdhsa_kernarg_size 136
		.amdhsa_user_sgpr_count 2
		.amdhsa_user_sgpr_dispatch_ptr 0
		.amdhsa_user_sgpr_queue_ptr 0
		.amdhsa_user_sgpr_kernarg_segment_ptr 1
		.amdhsa_user_sgpr_dispatch_id 0
		.amdhsa_user_sgpr_kernarg_preload_length 0
		.amdhsa_user_sgpr_kernarg_preload_offset 0
		.amdhsa_user_sgpr_private_segment_size 0
		.amdhsa_wavefront_size32 1
		.amdhsa_uses_dynamic_stack 0
		.amdhsa_enable_private_segment 0
		.amdhsa_system_sgpr_workgroup_id_x 1
		.amdhsa_system_sgpr_workgroup_id_y 0
		.amdhsa_system_sgpr_workgroup_id_z 0
		.amdhsa_system_sgpr_workgroup_info 0
		.amdhsa_system_vgpr_workitem_id 0
		.amdhsa_next_free_vgpr 1
		.amdhsa_next_free_sgpr 1
		.amdhsa_named_barrier_count 0
		.amdhsa_reserve_vcc 0
		.amdhsa_float_round_mode_32 0
		.amdhsa_float_round_mode_16_64 0
		.amdhsa_float_denorm_mode_32 3
		.amdhsa_float_denorm_mode_16_64 3
		.amdhsa_fp16_overflow 0
		.amdhsa_memory_ordered 1
		.amdhsa_forward_progress 1
		.amdhsa_inst_pref_size 1
		.amdhsa_round_robin_scheduling 0
		.amdhsa_exception_fp_ieee_invalid_op 0
		.amdhsa_exception_fp_denorm_src 0
		.amdhsa_exception_fp_ieee_div_zero 0
		.amdhsa_exception_fp_ieee_overflow 0
		.amdhsa_exception_fp_ieee_underflow 0
		.amdhsa_exception_fp_ieee_inexact 0
		.amdhsa_exception_int_div_zero 0
	.end_amdhsa_kernel
	.section	.text._ZN7rocprim17ROCPRIM_400000_NS6detail17trampoline_kernelINS0_14default_configENS1_27scan_by_key_config_selectorIxxEEZZNS1_16scan_by_key_implILNS1_25lookback_scan_determinismE0ELb0ES3_N6thrust23THRUST_200600_302600_NS6detail15normal_iteratorINS9_10device_ptrIxEEEESE_SE_xNS9_4plusIvEENS9_8equal_toIvEExEE10hipError_tPvRmT2_T3_T4_T5_mT6_T7_P12ihipStream_tbENKUlT_T0_E_clISt17integral_constantIbLb1EESZ_EEDaSU_SV_EUlSU_E_NS1_11comp_targetILNS1_3genE0ELNS1_11target_archE4294967295ELNS1_3gpuE0ELNS1_3repE0EEENS1_30default_config_static_selectorELNS0_4arch9wavefront6targetE0EEEvT1_,"axG",@progbits,_ZN7rocprim17ROCPRIM_400000_NS6detail17trampoline_kernelINS0_14default_configENS1_27scan_by_key_config_selectorIxxEEZZNS1_16scan_by_key_implILNS1_25lookback_scan_determinismE0ELb0ES3_N6thrust23THRUST_200600_302600_NS6detail15normal_iteratorINS9_10device_ptrIxEEEESE_SE_xNS9_4plusIvEENS9_8equal_toIvEExEE10hipError_tPvRmT2_T3_T4_T5_mT6_T7_P12ihipStream_tbENKUlT_T0_E_clISt17integral_constantIbLb1EESZ_EEDaSU_SV_EUlSU_E_NS1_11comp_targetILNS1_3genE0ELNS1_11target_archE4294967295ELNS1_3gpuE0ELNS1_3repE0EEENS1_30default_config_static_selectorELNS0_4arch9wavefront6targetE0EEEvT1_,comdat
.Lfunc_end16:
	.size	_ZN7rocprim17ROCPRIM_400000_NS6detail17trampoline_kernelINS0_14default_configENS1_27scan_by_key_config_selectorIxxEEZZNS1_16scan_by_key_implILNS1_25lookback_scan_determinismE0ELb0ES3_N6thrust23THRUST_200600_302600_NS6detail15normal_iteratorINS9_10device_ptrIxEEEESE_SE_xNS9_4plusIvEENS9_8equal_toIvEExEE10hipError_tPvRmT2_T3_T4_T5_mT6_T7_P12ihipStream_tbENKUlT_T0_E_clISt17integral_constantIbLb1EESZ_EEDaSU_SV_EUlSU_E_NS1_11comp_targetILNS1_3genE0ELNS1_11target_archE4294967295ELNS1_3gpuE0ELNS1_3repE0EEENS1_30default_config_static_selectorELNS0_4arch9wavefront6targetE0EEEvT1_, .Lfunc_end16-_ZN7rocprim17ROCPRIM_400000_NS6detail17trampoline_kernelINS0_14default_configENS1_27scan_by_key_config_selectorIxxEEZZNS1_16scan_by_key_implILNS1_25lookback_scan_determinismE0ELb0ES3_N6thrust23THRUST_200600_302600_NS6detail15normal_iteratorINS9_10device_ptrIxEEEESE_SE_xNS9_4plusIvEENS9_8equal_toIvEExEE10hipError_tPvRmT2_T3_T4_T5_mT6_T7_P12ihipStream_tbENKUlT_T0_E_clISt17integral_constantIbLb1EESZ_EEDaSU_SV_EUlSU_E_NS1_11comp_targetILNS1_3genE0ELNS1_11target_archE4294967295ELNS1_3gpuE0ELNS1_3repE0EEENS1_30default_config_static_selectorELNS0_4arch9wavefront6targetE0EEEvT1_
                                        ; -- End function
	.set _ZN7rocprim17ROCPRIM_400000_NS6detail17trampoline_kernelINS0_14default_configENS1_27scan_by_key_config_selectorIxxEEZZNS1_16scan_by_key_implILNS1_25lookback_scan_determinismE0ELb0ES3_N6thrust23THRUST_200600_302600_NS6detail15normal_iteratorINS9_10device_ptrIxEEEESE_SE_xNS9_4plusIvEENS9_8equal_toIvEExEE10hipError_tPvRmT2_T3_T4_T5_mT6_T7_P12ihipStream_tbENKUlT_T0_E_clISt17integral_constantIbLb1EESZ_EEDaSU_SV_EUlSU_E_NS1_11comp_targetILNS1_3genE0ELNS1_11target_archE4294967295ELNS1_3gpuE0ELNS1_3repE0EEENS1_30default_config_static_selectorELNS0_4arch9wavefront6targetE0EEEvT1_.num_vgpr, 0
	.set _ZN7rocprim17ROCPRIM_400000_NS6detail17trampoline_kernelINS0_14default_configENS1_27scan_by_key_config_selectorIxxEEZZNS1_16scan_by_key_implILNS1_25lookback_scan_determinismE0ELb0ES3_N6thrust23THRUST_200600_302600_NS6detail15normal_iteratorINS9_10device_ptrIxEEEESE_SE_xNS9_4plusIvEENS9_8equal_toIvEExEE10hipError_tPvRmT2_T3_T4_T5_mT6_T7_P12ihipStream_tbENKUlT_T0_E_clISt17integral_constantIbLb1EESZ_EEDaSU_SV_EUlSU_E_NS1_11comp_targetILNS1_3genE0ELNS1_11target_archE4294967295ELNS1_3gpuE0ELNS1_3repE0EEENS1_30default_config_static_selectorELNS0_4arch9wavefront6targetE0EEEvT1_.num_agpr, 0
	.set _ZN7rocprim17ROCPRIM_400000_NS6detail17trampoline_kernelINS0_14default_configENS1_27scan_by_key_config_selectorIxxEEZZNS1_16scan_by_key_implILNS1_25lookback_scan_determinismE0ELb0ES3_N6thrust23THRUST_200600_302600_NS6detail15normal_iteratorINS9_10device_ptrIxEEEESE_SE_xNS9_4plusIvEENS9_8equal_toIvEExEE10hipError_tPvRmT2_T3_T4_T5_mT6_T7_P12ihipStream_tbENKUlT_T0_E_clISt17integral_constantIbLb1EESZ_EEDaSU_SV_EUlSU_E_NS1_11comp_targetILNS1_3genE0ELNS1_11target_archE4294967295ELNS1_3gpuE0ELNS1_3repE0EEENS1_30default_config_static_selectorELNS0_4arch9wavefront6targetE0EEEvT1_.numbered_sgpr, 0
	.set _ZN7rocprim17ROCPRIM_400000_NS6detail17trampoline_kernelINS0_14default_configENS1_27scan_by_key_config_selectorIxxEEZZNS1_16scan_by_key_implILNS1_25lookback_scan_determinismE0ELb0ES3_N6thrust23THRUST_200600_302600_NS6detail15normal_iteratorINS9_10device_ptrIxEEEESE_SE_xNS9_4plusIvEENS9_8equal_toIvEExEE10hipError_tPvRmT2_T3_T4_T5_mT6_T7_P12ihipStream_tbENKUlT_T0_E_clISt17integral_constantIbLb1EESZ_EEDaSU_SV_EUlSU_E_NS1_11comp_targetILNS1_3genE0ELNS1_11target_archE4294967295ELNS1_3gpuE0ELNS1_3repE0EEENS1_30default_config_static_selectorELNS0_4arch9wavefront6targetE0EEEvT1_.num_named_barrier, 0
	.set _ZN7rocprim17ROCPRIM_400000_NS6detail17trampoline_kernelINS0_14default_configENS1_27scan_by_key_config_selectorIxxEEZZNS1_16scan_by_key_implILNS1_25lookback_scan_determinismE0ELb0ES3_N6thrust23THRUST_200600_302600_NS6detail15normal_iteratorINS9_10device_ptrIxEEEESE_SE_xNS9_4plusIvEENS9_8equal_toIvEExEE10hipError_tPvRmT2_T3_T4_T5_mT6_T7_P12ihipStream_tbENKUlT_T0_E_clISt17integral_constantIbLb1EESZ_EEDaSU_SV_EUlSU_E_NS1_11comp_targetILNS1_3genE0ELNS1_11target_archE4294967295ELNS1_3gpuE0ELNS1_3repE0EEENS1_30default_config_static_selectorELNS0_4arch9wavefront6targetE0EEEvT1_.private_seg_size, 0
	.set _ZN7rocprim17ROCPRIM_400000_NS6detail17trampoline_kernelINS0_14default_configENS1_27scan_by_key_config_selectorIxxEEZZNS1_16scan_by_key_implILNS1_25lookback_scan_determinismE0ELb0ES3_N6thrust23THRUST_200600_302600_NS6detail15normal_iteratorINS9_10device_ptrIxEEEESE_SE_xNS9_4plusIvEENS9_8equal_toIvEExEE10hipError_tPvRmT2_T3_T4_T5_mT6_T7_P12ihipStream_tbENKUlT_T0_E_clISt17integral_constantIbLb1EESZ_EEDaSU_SV_EUlSU_E_NS1_11comp_targetILNS1_3genE0ELNS1_11target_archE4294967295ELNS1_3gpuE0ELNS1_3repE0EEENS1_30default_config_static_selectorELNS0_4arch9wavefront6targetE0EEEvT1_.uses_vcc, 0
	.set _ZN7rocprim17ROCPRIM_400000_NS6detail17trampoline_kernelINS0_14default_configENS1_27scan_by_key_config_selectorIxxEEZZNS1_16scan_by_key_implILNS1_25lookback_scan_determinismE0ELb0ES3_N6thrust23THRUST_200600_302600_NS6detail15normal_iteratorINS9_10device_ptrIxEEEESE_SE_xNS9_4plusIvEENS9_8equal_toIvEExEE10hipError_tPvRmT2_T3_T4_T5_mT6_T7_P12ihipStream_tbENKUlT_T0_E_clISt17integral_constantIbLb1EESZ_EEDaSU_SV_EUlSU_E_NS1_11comp_targetILNS1_3genE0ELNS1_11target_archE4294967295ELNS1_3gpuE0ELNS1_3repE0EEENS1_30default_config_static_selectorELNS0_4arch9wavefront6targetE0EEEvT1_.uses_flat_scratch, 0
	.set _ZN7rocprim17ROCPRIM_400000_NS6detail17trampoline_kernelINS0_14default_configENS1_27scan_by_key_config_selectorIxxEEZZNS1_16scan_by_key_implILNS1_25lookback_scan_determinismE0ELb0ES3_N6thrust23THRUST_200600_302600_NS6detail15normal_iteratorINS9_10device_ptrIxEEEESE_SE_xNS9_4plusIvEENS9_8equal_toIvEExEE10hipError_tPvRmT2_T3_T4_T5_mT6_T7_P12ihipStream_tbENKUlT_T0_E_clISt17integral_constantIbLb1EESZ_EEDaSU_SV_EUlSU_E_NS1_11comp_targetILNS1_3genE0ELNS1_11target_archE4294967295ELNS1_3gpuE0ELNS1_3repE0EEENS1_30default_config_static_selectorELNS0_4arch9wavefront6targetE0EEEvT1_.has_dyn_sized_stack, 0
	.set _ZN7rocprim17ROCPRIM_400000_NS6detail17trampoline_kernelINS0_14default_configENS1_27scan_by_key_config_selectorIxxEEZZNS1_16scan_by_key_implILNS1_25lookback_scan_determinismE0ELb0ES3_N6thrust23THRUST_200600_302600_NS6detail15normal_iteratorINS9_10device_ptrIxEEEESE_SE_xNS9_4plusIvEENS9_8equal_toIvEExEE10hipError_tPvRmT2_T3_T4_T5_mT6_T7_P12ihipStream_tbENKUlT_T0_E_clISt17integral_constantIbLb1EESZ_EEDaSU_SV_EUlSU_E_NS1_11comp_targetILNS1_3genE0ELNS1_11target_archE4294967295ELNS1_3gpuE0ELNS1_3repE0EEENS1_30default_config_static_selectorELNS0_4arch9wavefront6targetE0EEEvT1_.has_recursion, 0
	.set _ZN7rocprim17ROCPRIM_400000_NS6detail17trampoline_kernelINS0_14default_configENS1_27scan_by_key_config_selectorIxxEEZZNS1_16scan_by_key_implILNS1_25lookback_scan_determinismE0ELb0ES3_N6thrust23THRUST_200600_302600_NS6detail15normal_iteratorINS9_10device_ptrIxEEEESE_SE_xNS9_4plusIvEENS9_8equal_toIvEExEE10hipError_tPvRmT2_T3_T4_T5_mT6_T7_P12ihipStream_tbENKUlT_T0_E_clISt17integral_constantIbLb1EESZ_EEDaSU_SV_EUlSU_E_NS1_11comp_targetILNS1_3genE0ELNS1_11target_archE4294967295ELNS1_3gpuE0ELNS1_3repE0EEENS1_30default_config_static_selectorELNS0_4arch9wavefront6targetE0EEEvT1_.has_indirect_call, 0
	.section	.AMDGPU.csdata,"",@progbits
; Kernel info:
; codeLenInByte = 4
; TotalNumSgprs: 0
; NumVgprs: 0
; ScratchSize: 0
; MemoryBound: 0
; FloatMode: 240
; IeeeMode: 1
; LDSByteSize: 0 bytes/workgroup (compile time only)
; SGPRBlocks: 0
; VGPRBlocks: 0
; NumSGPRsForWavesPerEU: 1
; NumVGPRsForWavesPerEU: 1
; NamedBarCnt: 0
; Occupancy: 16
; WaveLimiterHint : 0
; COMPUTE_PGM_RSRC2:SCRATCH_EN: 0
; COMPUTE_PGM_RSRC2:USER_SGPR: 2
; COMPUTE_PGM_RSRC2:TRAP_HANDLER: 0
; COMPUTE_PGM_RSRC2:TGID_X_EN: 1
; COMPUTE_PGM_RSRC2:TGID_Y_EN: 0
; COMPUTE_PGM_RSRC2:TGID_Z_EN: 0
; COMPUTE_PGM_RSRC2:TIDIG_COMP_CNT: 0
	.section	.text._ZN7rocprim17ROCPRIM_400000_NS6detail17trampoline_kernelINS0_14default_configENS1_27scan_by_key_config_selectorIxxEEZZNS1_16scan_by_key_implILNS1_25lookback_scan_determinismE0ELb0ES3_N6thrust23THRUST_200600_302600_NS6detail15normal_iteratorINS9_10device_ptrIxEEEESE_SE_xNS9_4plusIvEENS9_8equal_toIvEExEE10hipError_tPvRmT2_T3_T4_T5_mT6_T7_P12ihipStream_tbENKUlT_T0_E_clISt17integral_constantIbLb1EESZ_EEDaSU_SV_EUlSU_E_NS1_11comp_targetILNS1_3genE10ELNS1_11target_archE1201ELNS1_3gpuE5ELNS1_3repE0EEENS1_30default_config_static_selectorELNS0_4arch9wavefront6targetE0EEEvT1_,"axG",@progbits,_ZN7rocprim17ROCPRIM_400000_NS6detail17trampoline_kernelINS0_14default_configENS1_27scan_by_key_config_selectorIxxEEZZNS1_16scan_by_key_implILNS1_25lookback_scan_determinismE0ELb0ES3_N6thrust23THRUST_200600_302600_NS6detail15normal_iteratorINS9_10device_ptrIxEEEESE_SE_xNS9_4plusIvEENS9_8equal_toIvEExEE10hipError_tPvRmT2_T3_T4_T5_mT6_T7_P12ihipStream_tbENKUlT_T0_E_clISt17integral_constantIbLb1EESZ_EEDaSU_SV_EUlSU_E_NS1_11comp_targetILNS1_3genE10ELNS1_11target_archE1201ELNS1_3gpuE5ELNS1_3repE0EEENS1_30default_config_static_selectorELNS0_4arch9wavefront6targetE0EEEvT1_,comdat
	.protected	_ZN7rocprim17ROCPRIM_400000_NS6detail17trampoline_kernelINS0_14default_configENS1_27scan_by_key_config_selectorIxxEEZZNS1_16scan_by_key_implILNS1_25lookback_scan_determinismE0ELb0ES3_N6thrust23THRUST_200600_302600_NS6detail15normal_iteratorINS9_10device_ptrIxEEEESE_SE_xNS9_4plusIvEENS9_8equal_toIvEExEE10hipError_tPvRmT2_T3_T4_T5_mT6_T7_P12ihipStream_tbENKUlT_T0_E_clISt17integral_constantIbLb1EESZ_EEDaSU_SV_EUlSU_E_NS1_11comp_targetILNS1_3genE10ELNS1_11target_archE1201ELNS1_3gpuE5ELNS1_3repE0EEENS1_30default_config_static_selectorELNS0_4arch9wavefront6targetE0EEEvT1_ ; -- Begin function _ZN7rocprim17ROCPRIM_400000_NS6detail17trampoline_kernelINS0_14default_configENS1_27scan_by_key_config_selectorIxxEEZZNS1_16scan_by_key_implILNS1_25lookback_scan_determinismE0ELb0ES3_N6thrust23THRUST_200600_302600_NS6detail15normal_iteratorINS9_10device_ptrIxEEEESE_SE_xNS9_4plusIvEENS9_8equal_toIvEExEE10hipError_tPvRmT2_T3_T4_T5_mT6_T7_P12ihipStream_tbENKUlT_T0_E_clISt17integral_constantIbLb1EESZ_EEDaSU_SV_EUlSU_E_NS1_11comp_targetILNS1_3genE10ELNS1_11target_archE1201ELNS1_3gpuE5ELNS1_3repE0EEENS1_30default_config_static_selectorELNS0_4arch9wavefront6targetE0EEEvT1_
	.globl	_ZN7rocprim17ROCPRIM_400000_NS6detail17trampoline_kernelINS0_14default_configENS1_27scan_by_key_config_selectorIxxEEZZNS1_16scan_by_key_implILNS1_25lookback_scan_determinismE0ELb0ES3_N6thrust23THRUST_200600_302600_NS6detail15normal_iteratorINS9_10device_ptrIxEEEESE_SE_xNS9_4plusIvEENS9_8equal_toIvEExEE10hipError_tPvRmT2_T3_T4_T5_mT6_T7_P12ihipStream_tbENKUlT_T0_E_clISt17integral_constantIbLb1EESZ_EEDaSU_SV_EUlSU_E_NS1_11comp_targetILNS1_3genE10ELNS1_11target_archE1201ELNS1_3gpuE5ELNS1_3repE0EEENS1_30default_config_static_selectorELNS0_4arch9wavefront6targetE0EEEvT1_
	.p2align	8
	.type	_ZN7rocprim17ROCPRIM_400000_NS6detail17trampoline_kernelINS0_14default_configENS1_27scan_by_key_config_selectorIxxEEZZNS1_16scan_by_key_implILNS1_25lookback_scan_determinismE0ELb0ES3_N6thrust23THRUST_200600_302600_NS6detail15normal_iteratorINS9_10device_ptrIxEEEESE_SE_xNS9_4plusIvEENS9_8equal_toIvEExEE10hipError_tPvRmT2_T3_T4_T5_mT6_T7_P12ihipStream_tbENKUlT_T0_E_clISt17integral_constantIbLb1EESZ_EEDaSU_SV_EUlSU_E_NS1_11comp_targetILNS1_3genE10ELNS1_11target_archE1201ELNS1_3gpuE5ELNS1_3repE0EEENS1_30default_config_static_selectorELNS0_4arch9wavefront6targetE0EEEvT1_,@function
_ZN7rocprim17ROCPRIM_400000_NS6detail17trampoline_kernelINS0_14default_configENS1_27scan_by_key_config_selectorIxxEEZZNS1_16scan_by_key_implILNS1_25lookback_scan_determinismE0ELb0ES3_N6thrust23THRUST_200600_302600_NS6detail15normal_iteratorINS9_10device_ptrIxEEEESE_SE_xNS9_4plusIvEENS9_8equal_toIvEExEE10hipError_tPvRmT2_T3_T4_T5_mT6_T7_P12ihipStream_tbENKUlT_T0_E_clISt17integral_constantIbLb1EESZ_EEDaSU_SV_EUlSU_E_NS1_11comp_targetILNS1_3genE10ELNS1_11target_archE1201ELNS1_3gpuE5ELNS1_3repE0EEENS1_30default_config_static_selectorELNS0_4arch9wavefront6targetE0EEEvT1_: ; @_ZN7rocprim17ROCPRIM_400000_NS6detail17trampoline_kernelINS0_14default_configENS1_27scan_by_key_config_selectorIxxEEZZNS1_16scan_by_key_implILNS1_25lookback_scan_determinismE0ELb0ES3_N6thrust23THRUST_200600_302600_NS6detail15normal_iteratorINS9_10device_ptrIxEEEESE_SE_xNS9_4plusIvEENS9_8equal_toIvEExEE10hipError_tPvRmT2_T3_T4_T5_mT6_T7_P12ihipStream_tbENKUlT_T0_E_clISt17integral_constantIbLb1EESZ_EEDaSU_SV_EUlSU_E_NS1_11comp_targetILNS1_3genE10ELNS1_11target_archE1201ELNS1_3gpuE5ELNS1_3repE0EEENS1_30default_config_static_selectorELNS0_4arch9wavefront6targetE0EEEvT1_
; %bb.0:
	.section	.rodata,"a",@progbits
	.p2align	6, 0x0
	.amdhsa_kernel _ZN7rocprim17ROCPRIM_400000_NS6detail17trampoline_kernelINS0_14default_configENS1_27scan_by_key_config_selectorIxxEEZZNS1_16scan_by_key_implILNS1_25lookback_scan_determinismE0ELb0ES3_N6thrust23THRUST_200600_302600_NS6detail15normal_iteratorINS9_10device_ptrIxEEEESE_SE_xNS9_4plusIvEENS9_8equal_toIvEExEE10hipError_tPvRmT2_T3_T4_T5_mT6_T7_P12ihipStream_tbENKUlT_T0_E_clISt17integral_constantIbLb1EESZ_EEDaSU_SV_EUlSU_E_NS1_11comp_targetILNS1_3genE10ELNS1_11target_archE1201ELNS1_3gpuE5ELNS1_3repE0EEENS1_30default_config_static_selectorELNS0_4arch9wavefront6targetE0EEEvT1_
		.amdhsa_group_segment_fixed_size 0
		.amdhsa_private_segment_fixed_size 0
		.amdhsa_kernarg_size 136
		.amdhsa_user_sgpr_count 2
		.amdhsa_user_sgpr_dispatch_ptr 0
		.amdhsa_user_sgpr_queue_ptr 0
		.amdhsa_user_sgpr_kernarg_segment_ptr 1
		.amdhsa_user_sgpr_dispatch_id 0
		.amdhsa_user_sgpr_kernarg_preload_length 0
		.amdhsa_user_sgpr_kernarg_preload_offset 0
		.amdhsa_user_sgpr_private_segment_size 0
		.amdhsa_wavefront_size32 1
		.amdhsa_uses_dynamic_stack 0
		.amdhsa_enable_private_segment 0
		.amdhsa_system_sgpr_workgroup_id_x 1
		.amdhsa_system_sgpr_workgroup_id_y 0
		.amdhsa_system_sgpr_workgroup_id_z 0
		.amdhsa_system_sgpr_workgroup_info 0
		.amdhsa_system_vgpr_workitem_id 0
		.amdhsa_next_free_vgpr 1
		.amdhsa_next_free_sgpr 1
		.amdhsa_named_barrier_count 0
		.amdhsa_reserve_vcc 0
		.amdhsa_float_round_mode_32 0
		.amdhsa_float_round_mode_16_64 0
		.amdhsa_float_denorm_mode_32 3
		.amdhsa_float_denorm_mode_16_64 3
		.amdhsa_fp16_overflow 0
		.amdhsa_memory_ordered 1
		.amdhsa_forward_progress 1
		.amdhsa_inst_pref_size 0
		.amdhsa_round_robin_scheduling 0
		.amdhsa_exception_fp_ieee_invalid_op 0
		.amdhsa_exception_fp_denorm_src 0
		.amdhsa_exception_fp_ieee_div_zero 0
		.amdhsa_exception_fp_ieee_overflow 0
		.amdhsa_exception_fp_ieee_underflow 0
		.amdhsa_exception_fp_ieee_inexact 0
		.amdhsa_exception_int_div_zero 0
	.end_amdhsa_kernel
	.section	.text._ZN7rocprim17ROCPRIM_400000_NS6detail17trampoline_kernelINS0_14default_configENS1_27scan_by_key_config_selectorIxxEEZZNS1_16scan_by_key_implILNS1_25lookback_scan_determinismE0ELb0ES3_N6thrust23THRUST_200600_302600_NS6detail15normal_iteratorINS9_10device_ptrIxEEEESE_SE_xNS9_4plusIvEENS9_8equal_toIvEExEE10hipError_tPvRmT2_T3_T4_T5_mT6_T7_P12ihipStream_tbENKUlT_T0_E_clISt17integral_constantIbLb1EESZ_EEDaSU_SV_EUlSU_E_NS1_11comp_targetILNS1_3genE10ELNS1_11target_archE1201ELNS1_3gpuE5ELNS1_3repE0EEENS1_30default_config_static_selectorELNS0_4arch9wavefront6targetE0EEEvT1_,"axG",@progbits,_ZN7rocprim17ROCPRIM_400000_NS6detail17trampoline_kernelINS0_14default_configENS1_27scan_by_key_config_selectorIxxEEZZNS1_16scan_by_key_implILNS1_25lookback_scan_determinismE0ELb0ES3_N6thrust23THRUST_200600_302600_NS6detail15normal_iteratorINS9_10device_ptrIxEEEESE_SE_xNS9_4plusIvEENS9_8equal_toIvEExEE10hipError_tPvRmT2_T3_T4_T5_mT6_T7_P12ihipStream_tbENKUlT_T0_E_clISt17integral_constantIbLb1EESZ_EEDaSU_SV_EUlSU_E_NS1_11comp_targetILNS1_3genE10ELNS1_11target_archE1201ELNS1_3gpuE5ELNS1_3repE0EEENS1_30default_config_static_selectorELNS0_4arch9wavefront6targetE0EEEvT1_,comdat
.Lfunc_end17:
	.size	_ZN7rocprim17ROCPRIM_400000_NS6detail17trampoline_kernelINS0_14default_configENS1_27scan_by_key_config_selectorIxxEEZZNS1_16scan_by_key_implILNS1_25lookback_scan_determinismE0ELb0ES3_N6thrust23THRUST_200600_302600_NS6detail15normal_iteratorINS9_10device_ptrIxEEEESE_SE_xNS9_4plusIvEENS9_8equal_toIvEExEE10hipError_tPvRmT2_T3_T4_T5_mT6_T7_P12ihipStream_tbENKUlT_T0_E_clISt17integral_constantIbLb1EESZ_EEDaSU_SV_EUlSU_E_NS1_11comp_targetILNS1_3genE10ELNS1_11target_archE1201ELNS1_3gpuE5ELNS1_3repE0EEENS1_30default_config_static_selectorELNS0_4arch9wavefront6targetE0EEEvT1_, .Lfunc_end17-_ZN7rocprim17ROCPRIM_400000_NS6detail17trampoline_kernelINS0_14default_configENS1_27scan_by_key_config_selectorIxxEEZZNS1_16scan_by_key_implILNS1_25lookback_scan_determinismE0ELb0ES3_N6thrust23THRUST_200600_302600_NS6detail15normal_iteratorINS9_10device_ptrIxEEEESE_SE_xNS9_4plusIvEENS9_8equal_toIvEExEE10hipError_tPvRmT2_T3_T4_T5_mT6_T7_P12ihipStream_tbENKUlT_T0_E_clISt17integral_constantIbLb1EESZ_EEDaSU_SV_EUlSU_E_NS1_11comp_targetILNS1_3genE10ELNS1_11target_archE1201ELNS1_3gpuE5ELNS1_3repE0EEENS1_30default_config_static_selectorELNS0_4arch9wavefront6targetE0EEEvT1_
                                        ; -- End function
	.set _ZN7rocprim17ROCPRIM_400000_NS6detail17trampoline_kernelINS0_14default_configENS1_27scan_by_key_config_selectorIxxEEZZNS1_16scan_by_key_implILNS1_25lookback_scan_determinismE0ELb0ES3_N6thrust23THRUST_200600_302600_NS6detail15normal_iteratorINS9_10device_ptrIxEEEESE_SE_xNS9_4plusIvEENS9_8equal_toIvEExEE10hipError_tPvRmT2_T3_T4_T5_mT6_T7_P12ihipStream_tbENKUlT_T0_E_clISt17integral_constantIbLb1EESZ_EEDaSU_SV_EUlSU_E_NS1_11comp_targetILNS1_3genE10ELNS1_11target_archE1201ELNS1_3gpuE5ELNS1_3repE0EEENS1_30default_config_static_selectorELNS0_4arch9wavefront6targetE0EEEvT1_.num_vgpr, 0
	.set _ZN7rocprim17ROCPRIM_400000_NS6detail17trampoline_kernelINS0_14default_configENS1_27scan_by_key_config_selectorIxxEEZZNS1_16scan_by_key_implILNS1_25lookback_scan_determinismE0ELb0ES3_N6thrust23THRUST_200600_302600_NS6detail15normal_iteratorINS9_10device_ptrIxEEEESE_SE_xNS9_4plusIvEENS9_8equal_toIvEExEE10hipError_tPvRmT2_T3_T4_T5_mT6_T7_P12ihipStream_tbENKUlT_T0_E_clISt17integral_constantIbLb1EESZ_EEDaSU_SV_EUlSU_E_NS1_11comp_targetILNS1_3genE10ELNS1_11target_archE1201ELNS1_3gpuE5ELNS1_3repE0EEENS1_30default_config_static_selectorELNS0_4arch9wavefront6targetE0EEEvT1_.num_agpr, 0
	.set _ZN7rocprim17ROCPRIM_400000_NS6detail17trampoline_kernelINS0_14default_configENS1_27scan_by_key_config_selectorIxxEEZZNS1_16scan_by_key_implILNS1_25lookback_scan_determinismE0ELb0ES3_N6thrust23THRUST_200600_302600_NS6detail15normal_iteratorINS9_10device_ptrIxEEEESE_SE_xNS9_4plusIvEENS9_8equal_toIvEExEE10hipError_tPvRmT2_T3_T4_T5_mT6_T7_P12ihipStream_tbENKUlT_T0_E_clISt17integral_constantIbLb1EESZ_EEDaSU_SV_EUlSU_E_NS1_11comp_targetILNS1_3genE10ELNS1_11target_archE1201ELNS1_3gpuE5ELNS1_3repE0EEENS1_30default_config_static_selectorELNS0_4arch9wavefront6targetE0EEEvT1_.numbered_sgpr, 0
	.set _ZN7rocprim17ROCPRIM_400000_NS6detail17trampoline_kernelINS0_14default_configENS1_27scan_by_key_config_selectorIxxEEZZNS1_16scan_by_key_implILNS1_25lookback_scan_determinismE0ELb0ES3_N6thrust23THRUST_200600_302600_NS6detail15normal_iteratorINS9_10device_ptrIxEEEESE_SE_xNS9_4plusIvEENS9_8equal_toIvEExEE10hipError_tPvRmT2_T3_T4_T5_mT6_T7_P12ihipStream_tbENKUlT_T0_E_clISt17integral_constantIbLb1EESZ_EEDaSU_SV_EUlSU_E_NS1_11comp_targetILNS1_3genE10ELNS1_11target_archE1201ELNS1_3gpuE5ELNS1_3repE0EEENS1_30default_config_static_selectorELNS0_4arch9wavefront6targetE0EEEvT1_.num_named_barrier, 0
	.set _ZN7rocprim17ROCPRIM_400000_NS6detail17trampoline_kernelINS0_14default_configENS1_27scan_by_key_config_selectorIxxEEZZNS1_16scan_by_key_implILNS1_25lookback_scan_determinismE0ELb0ES3_N6thrust23THRUST_200600_302600_NS6detail15normal_iteratorINS9_10device_ptrIxEEEESE_SE_xNS9_4plusIvEENS9_8equal_toIvEExEE10hipError_tPvRmT2_T3_T4_T5_mT6_T7_P12ihipStream_tbENKUlT_T0_E_clISt17integral_constantIbLb1EESZ_EEDaSU_SV_EUlSU_E_NS1_11comp_targetILNS1_3genE10ELNS1_11target_archE1201ELNS1_3gpuE5ELNS1_3repE0EEENS1_30default_config_static_selectorELNS0_4arch9wavefront6targetE0EEEvT1_.private_seg_size, 0
	.set _ZN7rocprim17ROCPRIM_400000_NS6detail17trampoline_kernelINS0_14default_configENS1_27scan_by_key_config_selectorIxxEEZZNS1_16scan_by_key_implILNS1_25lookback_scan_determinismE0ELb0ES3_N6thrust23THRUST_200600_302600_NS6detail15normal_iteratorINS9_10device_ptrIxEEEESE_SE_xNS9_4plusIvEENS9_8equal_toIvEExEE10hipError_tPvRmT2_T3_T4_T5_mT6_T7_P12ihipStream_tbENKUlT_T0_E_clISt17integral_constantIbLb1EESZ_EEDaSU_SV_EUlSU_E_NS1_11comp_targetILNS1_3genE10ELNS1_11target_archE1201ELNS1_3gpuE5ELNS1_3repE0EEENS1_30default_config_static_selectorELNS0_4arch9wavefront6targetE0EEEvT1_.uses_vcc, 0
	.set _ZN7rocprim17ROCPRIM_400000_NS6detail17trampoline_kernelINS0_14default_configENS1_27scan_by_key_config_selectorIxxEEZZNS1_16scan_by_key_implILNS1_25lookback_scan_determinismE0ELb0ES3_N6thrust23THRUST_200600_302600_NS6detail15normal_iteratorINS9_10device_ptrIxEEEESE_SE_xNS9_4plusIvEENS9_8equal_toIvEExEE10hipError_tPvRmT2_T3_T4_T5_mT6_T7_P12ihipStream_tbENKUlT_T0_E_clISt17integral_constantIbLb1EESZ_EEDaSU_SV_EUlSU_E_NS1_11comp_targetILNS1_3genE10ELNS1_11target_archE1201ELNS1_3gpuE5ELNS1_3repE0EEENS1_30default_config_static_selectorELNS0_4arch9wavefront6targetE0EEEvT1_.uses_flat_scratch, 0
	.set _ZN7rocprim17ROCPRIM_400000_NS6detail17trampoline_kernelINS0_14default_configENS1_27scan_by_key_config_selectorIxxEEZZNS1_16scan_by_key_implILNS1_25lookback_scan_determinismE0ELb0ES3_N6thrust23THRUST_200600_302600_NS6detail15normal_iteratorINS9_10device_ptrIxEEEESE_SE_xNS9_4plusIvEENS9_8equal_toIvEExEE10hipError_tPvRmT2_T3_T4_T5_mT6_T7_P12ihipStream_tbENKUlT_T0_E_clISt17integral_constantIbLb1EESZ_EEDaSU_SV_EUlSU_E_NS1_11comp_targetILNS1_3genE10ELNS1_11target_archE1201ELNS1_3gpuE5ELNS1_3repE0EEENS1_30default_config_static_selectorELNS0_4arch9wavefront6targetE0EEEvT1_.has_dyn_sized_stack, 0
	.set _ZN7rocprim17ROCPRIM_400000_NS6detail17trampoline_kernelINS0_14default_configENS1_27scan_by_key_config_selectorIxxEEZZNS1_16scan_by_key_implILNS1_25lookback_scan_determinismE0ELb0ES3_N6thrust23THRUST_200600_302600_NS6detail15normal_iteratorINS9_10device_ptrIxEEEESE_SE_xNS9_4plusIvEENS9_8equal_toIvEExEE10hipError_tPvRmT2_T3_T4_T5_mT6_T7_P12ihipStream_tbENKUlT_T0_E_clISt17integral_constantIbLb1EESZ_EEDaSU_SV_EUlSU_E_NS1_11comp_targetILNS1_3genE10ELNS1_11target_archE1201ELNS1_3gpuE5ELNS1_3repE0EEENS1_30default_config_static_selectorELNS0_4arch9wavefront6targetE0EEEvT1_.has_recursion, 0
	.set _ZN7rocprim17ROCPRIM_400000_NS6detail17trampoline_kernelINS0_14default_configENS1_27scan_by_key_config_selectorIxxEEZZNS1_16scan_by_key_implILNS1_25lookback_scan_determinismE0ELb0ES3_N6thrust23THRUST_200600_302600_NS6detail15normal_iteratorINS9_10device_ptrIxEEEESE_SE_xNS9_4plusIvEENS9_8equal_toIvEExEE10hipError_tPvRmT2_T3_T4_T5_mT6_T7_P12ihipStream_tbENKUlT_T0_E_clISt17integral_constantIbLb1EESZ_EEDaSU_SV_EUlSU_E_NS1_11comp_targetILNS1_3genE10ELNS1_11target_archE1201ELNS1_3gpuE5ELNS1_3repE0EEENS1_30default_config_static_selectorELNS0_4arch9wavefront6targetE0EEEvT1_.has_indirect_call, 0
	.section	.AMDGPU.csdata,"",@progbits
; Kernel info:
; codeLenInByte = 0
; TotalNumSgprs: 0
; NumVgprs: 0
; ScratchSize: 0
; MemoryBound: 0
; FloatMode: 240
; IeeeMode: 1
; LDSByteSize: 0 bytes/workgroup (compile time only)
; SGPRBlocks: 0
; VGPRBlocks: 0
; NumSGPRsForWavesPerEU: 1
; NumVGPRsForWavesPerEU: 1
; NamedBarCnt: 0
; Occupancy: 16
; WaveLimiterHint : 0
; COMPUTE_PGM_RSRC2:SCRATCH_EN: 0
; COMPUTE_PGM_RSRC2:USER_SGPR: 2
; COMPUTE_PGM_RSRC2:TRAP_HANDLER: 0
; COMPUTE_PGM_RSRC2:TGID_X_EN: 1
; COMPUTE_PGM_RSRC2:TGID_Y_EN: 0
; COMPUTE_PGM_RSRC2:TGID_Z_EN: 0
; COMPUTE_PGM_RSRC2:TIDIG_COMP_CNT: 0
	.section	.text._ZN7rocprim17ROCPRIM_400000_NS6detail17trampoline_kernelINS0_14default_configENS1_27scan_by_key_config_selectorIxxEEZZNS1_16scan_by_key_implILNS1_25lookback_scan_determinismE0ELb0ES3_N6thrust23THRUST_200600_302600_NS6detail15normal_iteratorINS9_10device_ptrIxEEEESE_SE_xNS9_4plusIvEENS9_8equal_toIvEExEE10hipError_tPvRmT2_T3_T4_T5_mT6_T7_P12ihipStream_tbENKUlT_T0_E_clISt17integral_constantIbLb1EESZ_EEDaSU_SV_EUlSU_E_NS1_11comp_targetILNS1_3genE5ELNS1_11target_archE942ELNS1_3gpuE9ELNS1_3repE0EEENS1_30default_config_static_selectorELNS0_4arch9wavefront6targetE0EEEvT1_,"axG",@progbits,_ZN7rocprim17ROCPRIM_400000_NS6detail17trampoline_kernelINS0_14default_configENS1_27scan_by_key_config_selectorIxxEEZZNS1_16scan_by_key_implILNS1_25lookback_scan_determinismE0ELb0ES3_N6thrust23THRUST_200600_302600_NS6detail15normal_iteratorINS9_10device_ptrIxEEEESE_SE_xNS9_4plusIvEENS9_8equal_toIvEExEE10hipError_tPvRmT2_T3_T4_T5_mT6_T7_P12ihipStream_tbENKUlT_T0_E_clISt17integral_constantIbLb1EESZ_EEDaSU_SV_EUlSU_E_NS1_11comp_targetILNS1_3genE5ELNS1_11target_archE942ELNS1_3gpuE9ELNS1_3repE0EEENS1_30default_config_static_selectorELNS0_4arch9wavefront6targetE0EEEvT1_,comdat
	.protected	_ZN7rocprim17ROCPRIM_400000_NS6detail17trampoline_kernelINS0_14default_configENS1_27scan_by_key_config_selectorIxxEEZZNS1_16scan_by_key_implILNS1_25lookback_scan_determinismE0ELb0ES3_N6thrust23THRUST_200600_302600_NS6detail15normal_iteratorINS9_10device_ptrIxEEEESE_SE_xNS9_4plusIvEENS9_8equal_toIvEExEE10hipError_tPvRmT2_T3_T4_T5_mT6_T7_P12ihipStream_tbENKUlT_T0_E_clISt17integral_constantIbLb1EESZ_EEDaSU_SV_EUlSU_E_NS1_11comp_targetILNS1_3genE5ELNS1_11target_archE942ELNS1_3gpuE9ELNS1_3repE0EEENS1_30default_config_static_selectorELNS0_4arch9wavefront6targetE0EEEvT1_ ; -- Begin function _ZN7rocprim17ROCPRIM_400000_NS6detail17trampoline_kernelINS0_14default_configENS1_27scan_by_key_config_selectorIxxEEZZNS1_16scan_by_key_implILNS1_25lookback_scan_determinismE0ELb0ES3_N6thrust23THRUST_200600_302600_NS6detail15normal_iteratorINS9_10device_ptrIxEEEESE_SE_xNS9_4plusIvEENS9_8equal_toIvEExEE10hipError_tPvRmT2_T3_T4_T5_mT6_T7_P12ihipStream_tbENKUlT_T0_E_clISt17integral_constantIbLb1EESZ_EEDaSU_SV_EUlSU_E_NS1_11comp_targetILNS1_3genE5ELNS1_11target_archE942ELNS1_3gpuE9ELNS1_3repE0EEENS1_30default_config_static_selectorELNS0_4arch9wavefront6targetE0EEEvT1_
	.globl	_ZN7rocprim17ROCPRIM_400000_NS6detail17trampoline_kernelINS0_14default_configENS1_27scan_by_key_config_selectorIxxEEZZNS1_16scan_by_key_implILNS1_25lookback_scan_determinismE0ELb0ES3_N6thrust23THRUST_200600_302600_NS6detail15normal_iteratorINS9_10device_ptrIxEEEESE_SE_xNS9_4plusIvEENS9_8equal_toIvEExEE10hipError_tPvRmT2_T3_T4_T5_mT6_T7_P12ihipStream_tbENKUlT_T0_E_clISt17integral_constantIbLb1EESZ_EEDaSU_SV_EUlSU_E_NS1_11comp_targetILNS1_3genE5ELNS1_11target_archE942ELNS1_3gpuE9ELNS1_3repE0EEENS1_30default_config_static_selectorELNS0_4arch9wavefront6targetE0EEEvT1_
	.p2align	8
	.type	_ZN7rocprim17ROCPRIM_400000_NS6detail17trampoline_kernelINS0_14default_configENS1_27scan_by_key_config_selectorIxxEEZZNS1_16scan_by_key_implILNS1_25lookback_scan_determinismE0ELb0ES3_N6thrust23THRUST_200600_302600_NS6detail15normal_iteratorINS9_10device_ptrIxEEEESE_SE_xNS9_4plusIvEENS9_8equal_toIvEExEE10hipError_tPvRmT2_T3_T4_T5_mT6_T7_P12ihipStream_tbENKUlT_T0_E_clISt17integral_constantIbLb1EESZ_EEDaSU_SV_EUlSU_E_NS1_11comp_targetILNS1_3genE5ELNS1_11target_archE942ELNS1_3gpuE9ELNS1_3repE0EEENS1_30default_config_static_selectorELNS0_4arch9wavefront6targetE0EEEvT1_,@function
_ZN7rocprim17ROCPRIM_400000_NS6detail17trampoline_kernelINS0_14default_configENS1_27scan_by_key_config_selectorIxxEEZZNS1_16scan_by_key_implILNS1_25lookback_scan_determinismE0ELb0ES3_N6thrust23THRUST_200600_302600_NS6detail15normal_iteratorINS9_10device_ptrIxEEEESE_SE_xNS9_4plusIvEENS9_8equal_toIvEExEE10hipError_tPvRmT2_T3_T4_T5_mT6_T7_P12ihipStream_tbENKUlT_T0_E_clISt17integral_constantIbLb1EESZ_EEDaSU_SV_EUlSU_E_NS1_11comp_targetILNS1_3genE5ELNS1_11target_archE942ELNS1_3gpuE9ELNS1_3repE0EEENS1_30default_config_static_selectorELNS0_4arch9wavefront6targetE0EEEvT1_: ; @_ZN7rocprim17ROCPRIM_400000_NS6detail17trampoline_kernelINS0_14default_configENS1_27scan_by_key_config_selectorIxxEEZZNS1_16scan_by_key_implILNS1_25lookback_scan_determinismE0ELb0ES3_N6thrust23THRUST_200600_302600_NS6detail15normal_iteratorINS9_10device_ptrIxEEEESE_SE_xNS9_4plusIvEENS9_8equal_toIvEExEE10hipError_tPvRmT2_T3_T4_T5_mT6_T7_P12ihipStream_tbENKUlT_T0_E_clISt17integral_constantIbLb1EESZ_EEDaSU_SV_EUlSU_E_NS1_11comp_targetILNS1_3genE5ELNS1_11target_archE942ELNS1_3gpuE9ELNS1_3repE0EEENS1_30default_config_static_selectorELNS0_4arch9wavefront6targetE0EEEvT1_
; %bb.0:
	.section	.rodata,"a",@progbits
	.p2align	6, 0x0
	.amdhsa_kernel _ZN7rocprim17ROCPRIM_400000_NS6detail17trampoline_kernelINS0_14default_configENS1_27scan_by_key_config_selectorIxxEEZZNS1_16scan_by_key_implILNS1_25lookback_scan_determinismE0ELb0ES3_N6thrust23THRUST_200600_302600_NS6detail15normal_iteratorINS9_10device_ptrIxEEEESE_SE_xNS9_4plusIvEENS9_8equal_toIvEExEE10hipError_tPvRmT2_T3_T4_T5_mT6_T7_P12ihipStream_tbENKUlT_T0_E_clISt17integral_constantIbLb1EESZ_EEDaSU_SV_EUlSU_E_NS1_11comp_targetILNS1_3genE5ELNS1_11target_archE942ELNS1_3gpuE9ELNS1_3repE0EEENS1_30default_config_static_selectorELNS0_4arch9wavefront6targetE0EEEvT1_
		.amdhsa_group_segment_fixed_size 0
		.amdhsa_private_segment_fixed_size 0
		.amdhsa_kernarg_size 136
		.amdhsa_user_sgpr_count 2
		.amdhsa_user_sgpr_dispatch_ptr 0
		.amdhsa_user_sgpr_queue_ptr 0
		.amdhsa_user_sgpr_kernarg_segment_ptr 1
		.amdhsa_user_sgpr_dispatch_id 0
		.amdhsa_user_sgpr_kernarg_preload_length 0
		.amdhsa_user_sgpr_kernarg_preload_offset 0
		.amdhsa_user_sgpr_private_segment_size 0
		.amdhsa_wavefront_size32 1
		.amdhsa_uses_dynamic_stack 0
		.amdhsa_enable_private_segment 0
		.amdhsa_system_sgpr_workgroup_id_x 1
		.amdhsa_system_sgpr_workgroup_id_y 0
		.amdhsa_system_sgpr_workgroup_id_z 0
		.amdhsa_system_sgpr_workgroup_info 0
		.amdhsa_system_vgpr_workitem_id 0
		.amdhsa_next_free_vgpr 1
		.amdhsa_next_free_sgpr 1
		.amdhsa_named_barrier_count 0
		.amdhsa_reserve_vcc 0
		.amdhsa_float_round_mode_32 0
		.amdhsa_float_round_mode_16_64 0
		.amdhsa_float_denorm_mode_32 3
		.amdhsa_float_denorm_mode_16_64 3
		.amdhsa_fp16_overflow 0
		.amdhsa_memory_ordered 1
		.amdhsa_forward_progress 1
		.amdhsa_inst_pref_size 0
		.amdhsa_round_robin_scheduling 0
		.amdhsa_exception_fp_ieee_invalid_op 0
		.amdhsa_exception_fp_denorm_src 0
		.amdhsa_exception_fp_ieee_div_zero 0
		.amdhsa_exception_fp_ieee_overflow 0
		.amdhsa_exception_fp_ieee_underflow 0
		.amdhsa_exception_fp_ieee_inexact 0
		.amdhsa_exception_int_div_zero 0
	.end_amdhsa_kernel
	.section	.text._ZN7rocprim17ROCPRIM_400000_NS6detail17trampoline_kernelINS0_14default_configENS1_27scan_by_key_config_selectorIxxEEZZNS1_16scan_by_key_implILNS1_25lookback_scan_determinismE0ELb0ES3_N6thrust23THRUST_200600_302600_NS6detail15normal_iteratorINS9_10device_ptrIxEEEESE_SE_xNS9_4plusIvEENS9_8equal_toIvEExEE10hipError_tPvRmT2_T3_T4_T5_mT6_T7_P12ihipStream_tbENKUlT_T0_E_clISt17integral_constantIbLb1EESZ_EEDaSU_SV_EUlSU_E_NS1_11comp_targetILNS1_3genE5ELNS1_11target_archE942ELNS1_3gpuE9ELNS1_3repE0EEENS1_30default_config_static_selectorELNS0_4arch9wavefront6targetE0EEEvT1_,"axG",@progbits,_ZN7rocprim17ROCPRIM_400000_NS6detail17trampoline_kernelINS0_14default_configENS1_27scan_by_key_config_selectorIxxEEZZNS1_16scan_by_key_implILNS1_25lookback_scan_determinismE0ELb0ES3_N6thrust23THRUST_200600_302600_NS6detail15normal_iteratorINS9_10device_ptrIxEEEESE_SE_xNS9_4plusIvEENS9_8equal_toIvEExEE10hipError_tPvRmT2_T3_T4_T5_mT6_T7_P12ihipStream_tbENKUlT_T0_E_clISt17integral_constantIbLb1EESZ_EEDaSU_SV_EUlSU_E_NS1_11comp_targetILNS1_3genE5ELNS1_11target_archE942ELNS1_3gpuE9ELNS1_3repE0EEENS1_30default_config_static_selectorELNS0_4arch9wavefront6targetE0EEEvT1_,comdat
.Lfunc_end18:
	.size	_ZN7rocprim17ROCPRIM_400000_NS6detail17trampoline_kernelINS0_14default_configENS1_27scan_by_key_config_selectorIxxEEZZNS1_16scan_by_key_implILNS1_25lookback_scan_determinismE0ELb0ES3_N6thrust23THRUST_200600_302600_NS6detail15normal_iteratorINS9_10device_ptrIxEEEESE_SE_xNS9_4plusIvEENS9_8equal_toIvEExEE10hipError_tPvRmT2_T3_T4_T5_mT6_T7_P12ihipStream_tbENKUlT_T0_E_clISt17integral_constantIbLb1EESZ_EEDaSU_SV_EUlSU_E_NS1_11comp_targetILNS1_3genE5ELNS1_11target_archE942ELNS1_3gpuE9ELNS1_3repE0EEENS1_30default_config_static_selectorELNS0_4arch9wavefront6targetE0EEEvT1_, .Lfunc_end18-_ZN7rocprim17ROCPRIM_400000_NS6detail17trampoline_kernelINS0_14default_configENS1_27scan_by_key_config_selectorIxxEEZZNS1_16scan_by_key_implILNS1_25lookback_scan_determinismE0ELb0ES3_N6thrust23THRUST_200600_302600_NS6detail15normal_iteratorINS9_10device_ptrIxEEEESE_SE_xNS9_4plusIvEENS9_8equal_toIvEExEE10hipError_tPvRmT2_T3_T4_T5_mT6_T7_P12ihipStream_tbENKUlT_T0_E_clISt17integral_constantIbLb1EESZ_EEDaSU_SV_EUlSU_E_NS1_11comp_targetILNS1_3genE5ELNS1_11target_archE942ELNS1_3gpuE9ELNS1_3repE0EEENS1_30default_config_static_selectorELNS0_4arch9wavefront6targetE0EEEvT1_
                                        ; -- End function
	.set _ZN7rocprim17ROCPRIM_400000_NS6detail17trampoline_kernelINS0_14default_configENS1_27scan_by_key_config_selectorIxxEEZZNS1_16scan_by_key_implILNS1_25lookback_scan_determinismE0ELb0ES3_N6thrust23THRUST_200600_302600_NS6detail15normal_iteratorINS9_10device_ptrIxEEEESE_SE_xNS9_4plusIvEENS9_8equal_toIvEExEE10hipError_tPvRmT2_T3_T4_T5_mT6_T7_P12ihipStream_tbENKUlT_T0_E_clISt17integral_constantIbLb1EESZ_EEDaSU_SV_EUlSU_E_NS1_11comp_targetILNS1_3genE5ELNS1_11target_archE942ELNS1_3gpuE9ELNS1_3repE0EEENS1_30default_config_static_selectorELNS0_4arch9wavefront6targetE0EEEvT1_.num_vgpr, 0
	.set _ZN7rocprim17ROCPRIM_400000_NS6detail17trampoline_kernelINS0_14default_configENS1_27scan_by_key_config_selectorIxxEEZZNS1_16scan_by_key_implILNS1_25lookback_scan_determinismE0ELb0ES3_N6thrust23THRUST_200600_302600_NS6detail15normal_iteratorINS9_10device_ptrIxEEEESE_SE_xNS9_4plusIvEENS9_8equal_toIvEExEE10hipError_tPvRmT2_T3_T4_T5_mT6_T7_P12ihipStream_tbENKUlT_T0_E_clISt17integral_constantIbLb1EESZ_EEDaSU_SV_EUlSU_E_NS1_11comp_targetILNS1_3genE5ELNS1_11target_archE942ELNS1_3gpuE9ELNS1_3repE0EEENS1_30default_config_static_selectorELNS0_4arch9wavefront6targetE0EEEvT1_.num_agpr, 0
	.set _ZN7rocprim17ROCPRIM_400000_NS6detail17trampoline_kernelINS0_14default_configENS1_27scan_by_key_config_selectorIxxEEZZNS1_16scan_by_key_implILNS1_25lookback_scan_determinismE0ELb0ES3_N6thrust23THRUST_200600_302600_NS6detail15normal_iteratorINS9_10device_ptrIxEEEESE_SE_xNS9_4plusIvEENS9_8equal_toIvEExEE10hipError_tPvRmT2_T3_T4_T5_mT6_T7_P12ihipStream_tbENKUlT_T0_E_clISt17integral_constantIbLb1EESZ_EEDaSU_SV_EUlSU_E_NS1_11comp_targetILNS1_3genE5ELNS1_11target_archE942ELNS1_3gpuE9ELNS1_3repE0EEENS1_30default_config_static_selectorELNS0_4arch9wavefront6targetE0EEEvT1_.numbered_sgpr, 0
	.set _ZN7rocprim17ROCPRIM_400000_NS6detail17trampoline_kernelINS0_14default_configENS1_27scan_by_key_config_selectorIxxEEZZNS1_16scan_by_key_implILNS1_25lookback_scan_determinismE0ELb0ES3_N6thrust23THRUST_200600_302600_NS6detail15normal_iteratorINS9_10device_ptrIxEEEESE_SE_xNS9_4plusIvEENS9_8equal_toIvEExEE10hipError_tPvRmT2_T3_T4_T5_mT6_T7_P12ihipStream_tbENKUlT_T0_E_clISt17integral_constantIbLb1EESZ_EEDaSU_SV_EUlSU_E_NS1_11comp_targetILNS1_3genE5ELNS1_11target_archE942ELNS1_3gpuE9ELNS1_3repE0EEENS1_30default_config_static_selectorELNS0_4arch9wavefront6targetE0EEEvT1_.num_named_barrier, 0
	.set _ZN7rocprim17ROCPRIM_400000_NS6detail17trampoline_kernelINS0_14default_configENS1_27scan_by_key_config_selectorIxxEEZZNS1_16scan_by_key_implILNS1_25lookback_scan_determinismE0ELb0ES3_N6thrust23THRUST_200600_302600_NS6detail15normal_iteratorINS9_10device_ptrIxEEEESE_SE_xNS9_4plusIvEENS9_8equal_toIvEExEE10hipError_tPvRmT2_T3_T4_T5_mT6_T7_P12ihipStream_tbENKUlT_T0_E_clISt17integral_constantIbLb1EESZ_EEDaSU_SV_EUlSU_E_NS1_11comp_targetILNS1_3genE5ELNS1_11target_archE942ELNS1_3gpuE9ELNS1_3repE0EEENS1_30default_config_static_selectorELNS0_4arch9wavefront6targetE0EEEvT1_.private_seg_size, 0
	.set _ZN7rocprim17ROCPRIM_400000_NS6detail17trampoline_kernelINS0_14default_configENS1_27scan_by_key_config_selectorIxxEEZZNS1_16scan_by_key_implILNS1_25lookback_scan_determinismE0ELb0ES3_N6thrust23THRUST_200600_302600_NS6detail15normal_iteratorINS9_10device_ptrIxEEEESE_SE_xNS9_4plusIvEENS9_8equal_toIvEExEE10hipError_tPvRmT2_T3_T4_T5_mT6_T7_P12ihipStream_tbENKUlT_T0_E_clISt17integral_constantIbLb1EESZ_EEDaSU_SV_EUlSU_E_NS1_11comp_targetILNS1_3genE5ELNS1_11target_archE942ELNS1_3gpuE9ELNS1_3repE0EEENS1_30default_config_static_selectorELNS0_4arch9wavefront6targetE0EEEvT1_.uses_vcc, 0
	.set _ZN7rocprim17ROCPRIM_400000_NS6detail17trampoline_kernelINS0_14default_configENS1_27scan_by_key_config_selectorIxxEEZZNS1_16scan_by_key_implILNS1_25lookback_scan_determinismE0ELb0ES3_N6thrust23THRUST_200600_302600_NS6detail15normal_iteratorINS9_10device_ptrIxEEEESE_SE_xNS9_4plusIvEENS9_8equal_toIvEExEE10hipError_tPvRmT2_T3_T4_T5_mT6_T7_P12ihipStream_tbENKUlT_T0_E_clISt17integral_constantIbLb1EESZ_EEDaSU_SV_EUlSU_E_NS1_11comp_targetILNS1_3genE5ELNS1_11target_archE942ELNS1_3gpuE9ELNS1_3repE0EEENS1_30default_config_static_selectorELNS0_4arch9wavefront6targetE0EEEvT1_.uses_flat_scratch, 0
	.set _ZN7rocprim17ROCPRIM_400000_NS6detail17trampoline_kernelINS0_14default_configENS1_27scan_by_key_config_selectorIxxEEZZNS1_16scan_by_key_implILNS1_25lookback_scan_determinismE0ELb0ES3_N6thrust23THRUST_200600_302600_NS6detail15normal_iteratorINS9_10device_ptrIxEEEESE_SE_xNS9_4plusIvEENS9_8equal_toIvEExEE10hipError_tPvRmT2_T3_T4_T5_mT6_T7_P12ihipStream_tbENKUlT_T0_E_clISt17integral_constantIbLb1EESZ_EEDaSU_SV_EUlSU_E_NS1_11comp_targetILNS1_3genE5ELNS1_11target_archE942ELNS1_3gpuE9ELNS1_3repE0EEENS1_30default_config_static_selectorELNS0_4arch9wavefront6targetE0EEEvT1_.has_dyn_sized_stack, 0
	.set _ZN7rocprim17ROCPRIM_400000_NS6detail17trampoline_kernelINS0_14default_configENS1_27scan_by_key_config_selectorIxxEEZZNS1_16scan_by_key_implILNS1_25lookback_scan_determinismE0ELb0ES3_N6thrust23THRUST_200600_302600_NS6detail15normal_iteratorINS9_10device_ptrIxEEEESE_SE_xNS9_4plusIvEENS9_8equal_toIvEExEE10hipError_tPvRmT2_T3_T4_T5_mT6_T7_P12ihipStream_tbENKUlT_T0_E_clISt17integral_constantIbLb1EESZ_EEDaSU_SV_EUlSU_E_NS1_11comp_targetILNS1_3genE5ELNS1_11target_archE942ELNS1_3gpuE9ELNS1_3repE0EEENS1_30default_config_static_selectorELNS0_4arch9wavefront6targetE0EEEvT1_.has_recursion, 0
	.set _ZN7rocprim17ROCPRIM_400000_NS6detail17trampoline_kernelINS0_14default_configENS1_27scan_by_key_config_selectorIxxEEZZNS1_16scan_by_key_implILNS1_25lookback_scan_determinismE0ELb0ES3_N6thrust23THRUST_200600_302600_NS6detail15normal_iteratorINS9_10device_ptrIxEEEESE_SE_xNS9_4plusIvEENS9_8equal_toIvEExEE10hipError_tPvRmT2_T3_T4_T5_mT6_T7_P12ihipStream_tbENKUlT_T0_E_clISt17integral_constantIbLb1EESZ_EEDaSU_SV_EUlSU_E_NS1_11comp_targetILNS1_3genE5ELNS1_11target_archE942ELNS1_3gpuE9ELNS1_3repE0EEENS1_30default_config_static_selectorELNS0_4arch9wavefront6targetE0EEEvT1_.has_indirect_call, 0
	.section	.AMDGPU.csdata,"",@progbits
; Kernel info:
; codeLenInByte = 0
; TotalNumSgprs: 0
; NumVgprs: 0
; ScratchSize: 0
; MemoryBound: 0
; FloatMode: 240
; IeeeMode: 1
; LDSByteSize: 0 bytes/workgroup (compile time only)
; SGPRBlocks: 0
; VGPRBlocks: 0
; NumSGPRsForWavesPerEU: 1
; NumVGPRsForWavesPerEU: 1
; NamedBarCnt: 0
; Occupancy: 16
; WaveLimiterHint : 0
; COMPUTE_PGM_RSRC2:SCRATCH_EN: 0
; COMPUTE_PGM_RSRC2:USER_SGPR: 2
; COMPUTE_PGM_RSRC2:TRAP_HANDLER: 0
; COMPUTE_PGM_RSRC2:TGID_X_EN: 1
; COMPUTE_PGM_RSRC2:TGID_Y_EN: 0
; COMPUTE_PGM_RSRC2:TGID_Z_EN: 0
; COMPUTE_PGM_RSRC2:TIDIG_COMP_CNT: 0
	.section	.text._ZN7rocprim17ROCPRIM_400000_NS6detail17trampoline_kernelINS0_14default_configENS1_27scan_by_key_config_selectorIxxEEZZNS1_16scan_by_key_implILNS1_25lookback_scan_determinismE0ELb0ES3_N6thrust23THRUST_200600_302600_NS6detail15normal_iteratorINS9_10device_ptrIxEEEESE_SE_xNS9_4plusIvEENS9_8equal_toIvEExEE10hipError_tPvRmT2_T3_T4_T5_mT6_T7_P12ihipStream_tbENKUlT_T0_E_clISt17integral_constantIbLb1EESZ_EEDaSU_SV_EUlSU_E_NS1_11comp_targetILNS1_3genE4ELNS1_11target_archE910ELNS1_3gpuE8ELNS1_3repE0EEENS1_30default_config_static_selectorELNS0_4arch9wavefront6targetE0EEEvT1_,"axG",@progbits,_ZN7rocprim17ROCPRIM_400000_NS6detail17trampoline_kernelINS0_14default_configENS1_27scan_by_key_config_selectorIxxEEZZNS1_16scan_by_key_implILNS1_25lookback_scan_determinismE0ELb0ES3_N6thrust23THRUST_200600_302600_NS6detail15normal_iteratorINS9_10device_ptrIxEEEESE_SE_xNS9_4plusIvEENS9_8equal_toIvEExEE10hipError_tPvRmT2_T3_T4_T5_mT6_T7_P12ihipStream_tbENKUlT_T0_E_clISt17integral_constantIbLb1EESZ_EEDaSU_SV_EUlSU_E_NS1_11comp_targetILNS1_3genE4ELNS1_11target_archE910ELNS1_3gpuE8ELNS1_3repE0EEENS1_30default_config_static_selectorELNS0_4arch9wavefront6targetE0EEEvT1_,comdat
	.protected	_ZN7rocprim17ROCPRIM_400000_NS6detail17trampoline_kernelINS0_14default_configENS1_27scan_by_key_config_selectorIxxEEZZNS1_16scan_by_key_implILNS1_25lookback_scan_determinismE0ELb0ES3_N6thrust23THRUST_200600_302600_NS6detail15normal_iteratorINS9_10device_ptrIxEEEESE_SE_xNS9_4plusIvEENS9_8equal_toIvEExEE10hipError_tPvRmT2_T3_T4_T5_mT6_T7_P12ihipStream_tbENKUlT_T0_E_clISt17integral_constantIbLb1EESZ_EEDaSU_SV_EUlSU_E_NS1_11comp_targetILNS1_3genE4ELNS1_11target_archE910ELNS1_3gpuE8ELNS1_3repE0EEENS1_30default_config_static_selectorELNS0_4arch9wavefront6targetE0EEEvT1_ ; -- Begin function _ZN7rocprim17ROCPRIM_400000_NS6detail17trampoline_kernelINS0_14default_configENS1_27scan_by_key_config_selectorIxxEEZZNS1_16scan_by_key_implILNS1_25lookback_scan_determinismE0ELb0ES3_N6thrust23THRUST_200600_302600_NS6detail15normal_iteratorINS9_10device_ptrIxEEEESE_SE_xNS9_4plusIvEENS9_8equal_toIvEExEE10hipError_tPvRmT2_T3_T4_T5_mT6_T7_P12ihipStream_tbENKUlT_T0_E_clISt17integral_constantIbLb1EESZ_EEDaSU_SV_EUlSU_E_NS1_11comp_targetILNS1_3genE4ELNS1_11target_archE910ELNS1_3gpuE8ELNS1_3repE0EEENS1_30default_config_static_selectorELNS0_4arch9wavefront6targetE0EEEvT1_
	.globl	_ZN7rocprim17ROCPRIM_400000_NS6detail17trampoline_kernelINS0_14default_configENS1_27scan_by_key_config_selectorIxxEEZZNS1_16scan_by_key_implILNS1_25lookback_scan_determinismE0ELb0ES3_N6thrust23THRUST_200600_302600_NS6detail15normal_iteratorINS9_10device_ptrIxEEEESE_SE_xNS9_4plusIvEENS9_8equal_toIvEExEE10hipError_tPvRmT2_T3_T4_T5_mT6_T7_P12ihipStream_tbENKUlT_T0_E_clISt17integral_constantIbLb1EESZ_EEDaSU_SV_EUlSU_E_NS1_11comp_targetILNS1_3genE4ELNS1_11target_archE910ELNS1_3gpuE8ELNS1_3repE0EEENS1_30default_config_static_selectorELNS0_4arch9wavefront6targetE0EEEvT1_
	.p2align	8
	.type	_ZN7rocprim17ROCPRIM_400000_NS6detail17trampoline_kernelINS0_14default_configENS1_27scan_by_key_config_selectorIxxEEZZNS1_16scan_by_key_implILNS1_25lookback_scan_determinismE0ELb0ES3_N6thrust23THRUST_200600_302600_NS6detail15normal_iteratorINS9_10device_ptrIxEEEESE_SE_xNS9_4plusIvEENS9_8equal_toIvEExEE10hipError_tPvRmT2_T3_T4_T5_mT6_T7_P12ihipStream_tbENKUlT_T0_E_clISt17integral_constantIbLb1EESZ_EEDaSU_SV_EUlSU_E_NS1_11comp_targetILNS1_3genE4ELNS1_11target_archE910ELNS1_3gpuE8ELNS1_3repE0EEENS1_30default_config_static_selectorELNS0_4arch9wavefront6targetE0EEEvT1_,@function
_ZN7rocprim17ROCPRIM_400000_NS6detail17trampoline_kernelINS0_14default_configENS1_27scan_by_key_config_selectorIxxEEZZNS1_16scan_by_key_implILNS1_25lookback_scan_determinismE0ELb0ES3_N6thrust23THRUST_200600_302600_NS6detail15normal_iteratorINS9_10device_ptrIxEEEESE_SE_xNS9_4plusIvEENS9_8equal_toIvEExEE10hipError_tPvRmT2_T3_T4_T5_mT6_T7_P12ihipStream_tbENKUlT_T0_E_clISt17integral_constantIbLb1EESZ_EEDaSU_SV_EUlSU_E_NS1_11comp_targetILNS1_3genE4ELNS1_11target_archE910ELNS1_3gpuE8ELNS1_3repE0EEENS1_30default_config_static_selectorELNS0_4arch9wavefront6targetE0EEEvT1_: ; @_ZN7rocprim17ROCPRIM_400000_NS6detail17trampoline_kernelINS0_14default_configENS1_27scan_by_key_config_selectorIxxEEZZNS1_16scan_by_key_implILNS1_25lookback_scan_determinismE0ELb0ES3_N6thrust23THRUST_200600_302600_NS6detail15normal_iteratorINS9_10device_ptrIxEEEESE_SE_xNS9_4plusIvEENS9_8equal_toIvEExEE10hipError_tPvRmT2_T3_T4_T5_mT6_T7_P12ihipStream_tbENKUlT_T0_E_clISt17integral_constantIbLb1EESZ_EEDaSU_SV_EUlSU_E_NS1_11comp_targetILNS1_3genE4ELNS1_11target_archE910ELNS1_3gpuE8ELNS1_3repE0EEENS1_30default_config_static_selectorELNS0_4arch9wavefront6targetE0EEEvT1_
; %bb.0:
	.section	.rodata,"a",@progbits
	.p2align	6, 0x0
	.amdhsa_kernel _ZN7rocprim17ROCPRIM_400000_NS6detail17trampoline_kernelINS0_14default_configENS1_27scan_by_key_config_selectorIxxEEZZNS1_16scan_by_key_implILNS1_25lookback_scan_determinismE0ELb0ES3_N6thrust23THRUST_200600_302600_NS6detail15normal_iteratorINS9_10device_ptrIxEEEESE_SE_xNS9_4plusIvEENS9_8equal_toIvEExEE10hipError_tPvRmT2_T3_T4_T5_mT6_T7_P12ihipStream_tbENKUlT_T0_E_clISt17integral_constantIbLb1EESZ_EEDaSU_SV_EUlSU_E_NS1_11comp_targetILNS1_3genE4ELNS1_11target_archE910ELNS1_3gpuE8ELNS1_3repE0EEENS1_30default_config_static_selectorELNS0_4arch9wavefront6targetE0EEEvT1_
		.amdhsa_group_segment_fixed_size 0
		.amdhsa_private_segment_fixed_size 0
		.amdhsa_kernarg_size 136
		.amdhsa_user_sgpr_count 2
		.amdhsa_user_sgpr_dispatch_ptr 0
		.amdhsa_user_sgpr_queue_ptr 0
		.amdhsa_user_sgpr_kernarg_segment_ptr 1
		.amdhsa_user_sgpr_dispatch_id 0
		.amdhsa_user_sgpr_kernarg_preload_length 0
		.amdhsa_user_sgpr_kernarg_preload_offset 0
		.amdhsa_user_sgpr_private_segment_size 0
		.amdhsa_wavefront_size32 1
		.amdhsa_uses_dynamic_stack 0
		.amdhsa_enable_private_segment 0
		.amdhsa_system_sgpr_workgroup_id_x 1
		.amdhsa_system_sgpr_workgroup_id_y 0
		.amdhsa_system_sgpr_workgroup_id_z 0
		.amdhsa_system_sgpr_workgroup_info 0
		.amdhsa_system_vgpr_workitem_id 0
		.amdhsa_next_free_vgpr 1
		.amdhsa_next_free_sgpr 1
		.amdhsa_named_barrier_count 0
		.amdhsa_reserve_vcc 0
		.amdhsa_float_round_mode_32 0
		.amdhsa_float_round_mode_16_64 0
		.amdhsa_float_denorm_mode_32 3
		.amdhsa_float_denorm_mode_16_64 3
		.amdhsa_fp16_overflow 0
		.amdhsa_memory_ordered 1
		.amdhsa_forward_progress 1
		.amdhsa_inst_pref_size 0
		.amdhsa_round_robin_scheduling 0
		.amdhsa_exception_fp_ieee_invalid_op 0
		.amdhsa_exception_fp_denorm_src 0
		.amdhsa_exception_fp_ieee_div_zero 0
		.amdhsa_exception_fp_ieee_overflow 0
		.amdhsa_exception_fp_ieee_underflow 0
		.amdhsa_exception_fp_ieee_inexact 0
		.amdhsa_exception_int_div_zero 0
	.end_amdhsa_kernel
	.section	.text._ZN7rocprim17ROCPRIM_400000_NS6detail17trampoline_kernelINS0_14default_configENS1_27scan_by_key_config_selectorIxxEEZZNS1_16scan_by_key_implILNS1_25lookback_scan_determinismE0ELb0ES3_N6thrust23THRUST_200600_302600_NS6detail15normal_iteratorINS9_10device_ptrIxEEEESE_SE_xNS9_4plusIvEENS9_8equal_toIvEExEE10hipError_tPvRmT2_T3_T4_T5_mT6_T7_P12ihipStream_tbENKUlT_T0_E_clISt17integral_constantIbLb1EESZ_EEDaSU_SV_EUlSU_E_NS1_11comp_targetILNS1_3genE4ELNS1_11target_archE910ELNS1_3gpuE8ELNS1_3repE0EEENS1_30default_config_static_selectorELNS0_4arch9wavefront6targetE0EEEvT1_,"axG",@progbits,_ZN7rocprim17ROCPRIM_400000_NS6detail17trampoline_kernelINS0_14default_configENS1_27scan_by_key_config_selectorIxxEEZZNS1_16scan_by_key_implILNS1_25lookback_scan_determinismE0ELb0ES3_N6thrust23THRUST_200600_302600_NS6detail15normal_iteratorINS9_10device_ptrIxEEEESE_SE_xNS9_4plusIvEENS9_8equal_toIvEExEE10hipError_tPvRmT2_T3_T4_T5_mT6_T7_P12ihipStream_tbENKUlT_T0_E_clISt17integral_constantIbLb1EESZ_EEDaSU_SV_EUlSU_E_NS1_11comp_targetILNS1_3genE4ELNS1_11target_archE910ELNS1_3gpuE8ELNS1_3repE0EEENS1_30default_config_static_selectorELNS0_4arch9wavefront6targetE0EEEvT1_,comdat
.Lfunc_end19:
	.size	_ZN7rocprim17ROCPRIM_400000_NS6detail17trampoline_kernelINS0_14default_configENS1_27scan_by_key_config_selectorIxxEEZZNS1_16scan_by_key_implILNS1_25lookback_scan_determinismE0ELb0ES3_N6thrust23THRUST_200600_302600_NS6detail15normal_iteratorINS9_10device_ptrIxEEEESE_SE_xNS9_4plusIvEENS9_8equal_toIvEExEE10hipError_tPvRmT2_T3_T4_T5_mT6_T7_P12ihipStream_tbENKUlT_T0_E_clISt17integral_constantIbLb1EESZ_EEDaSU_SV_EUlSU_E_NS1_11comp_targetILNS1_3genE4ELNS1_11target_archE910ELNS1_3gpuE8ELNS1_3repE0EEENS1_30default_config_static_selectorELNS0_4arch9wavefront6targetE0EEEvT1_, .Lfunc_end19-_ZN7rocprim17ROCPRIM_400000_NS6detail17trampoline_kernelINS0_14default_configENS1_27scan_by_key_config_selectorIxxEEZZNS1_16scan_by_key_implILNS1_25lookback_scan_determinismE0ELb0ES3_N6thrust23THRUST_200600_302600_NS6detail15normal_iteratorINS9_10device_ptrIxEEEESE_SE_xNS9_4plusIvEENS9_8equal_toIvEExEE10hipError_tPvRmT2_T3_T4_T5_mT6_T7_P12ihipStream_tbENKUlT_T0_E_clISt17integral_constantIbLb1EESZ_EEDaSU_SV_EUlSU_E_NS1_11comp_targetILNS1_3genE4ELNS1_11target_archE910ELNS1_3gpuE8ELNS1_3repE0EEENS1_30default_config_static_selectorELNS0_4arch9wavefront6targetE0EEEvT1_
                                        ; -- End function
	.set _ZN7rocprim17ROCPRIM_400000_NS6detail17trampoline_kernelINS0_14default_configENS1_27scan_by_key_config_selectorIxxEEZZNS1_16scan_by_key_implILNS1_25lookback_scan_determinismE0ELb0ES3_N6thrust23THRUST_200600_302600_NS6detail15normal_iteratorINS9_10device_ptrIxEEEESE_SE_xNS9_4plusIvEENS9_8equal_toIvEExEE10hipError_tPvRmT2_T3_T4_T5_mT6_T7_P12ihipStream_tbENKUlT_T0_E_clISt17integral_constantIbLb1EESZ_EEDaSU_SV_EUlSU_E_NS1_11comp_targetILNS1_3genE4ELNS1_11target_archE910ELNS1_3gpuE8ELNS1_3repE0EEENS1_30default_config_static_selectorELNS0_4arch9wavefront6targetE0EEEvT1_.num_vgpr, 0
	.set _ZN7rocprim17ROCPRIM_400000_NS6detail17trampoline_kernelINS0_14default_configENS1_27scan_by_key_config_selectorIxxEEZZNS1_16scan_by_key_implILNS1_25lookback_scan_determinismE0ELb0ES3_N6thrust23THRUST_200600_302600_NS6detail15normal_iteratorINS9_10device_ptrIxEEEESE_SE_xNS9_4plusIvEENS9_8equal_toIvEExEE10hipError_tPvRmT2_T3_T4_T5_mT6_T7_P12ihipStream_tbENKUlT_T0_E_clISt17integral_constantIbLb1EESZ_EEDaSU_SV_EUlSU_E_NS1_11comp_targetILNS1_3genE4ELNS1_11target_archE910ELNS1_3gpuE8ELNS1_3repE0EEENS1_30default_config_static_selectorELNS0_4arch9wavefront6targetE0EEEvT1_.num_agpr, 0
	.set _ZN7rocprim17ROCPRIM_400000_NS6detail17trampoline_kernelINS0_14default_configENS1_27scan_by_key_config_selectorIxxEEZZNS1_16scan_by_key_implILNS1_25lookback_scan_determinismE0ELb0ES3_N6thrust23THRUST_200600_302600_NS6detail15normal_iteratorINS9_10device_ptrIxEEEESE_SE_xNS9_4plusIvEENS9_8equal_toIvEExEE10hipError_tPvRmT2_T3_T4_T5_mT6_T7_P12ihipStream_tbENKUlT_T0_E_clISt17integral_constantIbLb1EESZ_EEDaSU_SV_EUlSU_E_NS1_11comp_targetILNS1_3genE4ELNS1_11target_archE910ELNS1_3gpuE8ELNS1_3repE0EEENS1_30default_config_static_selectorELNS0_4arch9wavefront6targetE0EEEvT1_.numbered_sgpr, 0
	.set _ZN7rocprim17ROCPRIM_400000_NS6detail17trampoline_kernelINS0_14default_configENS1_27scan_by_key_config_selectorIxxEEZZNS1_16scan_by_key_implILNS1_25lookback_scan_determinismE0ELb0ES3_N6thrust23THRUST_200600_302600_NS6detail15normal_iteratorINS9_10device_ptrIxEEEESE_SE_xNS9_4plusIvEENS9_8equal_toIvEExEE10hipError_tPvRmT2_T3_T4_T5_mT6_T7_P12ihipStream_tbENKUlT_T0_E_clISt17integral_constantIbLb1EESZ_EEDaSU_SV_EUlSU_E_NS1_11comp_targetILNS1_3genE4ELNS1_11target_archE910ELNS1_3gpuE8ELNS1_3repE0EEENS1_30default_config_static_selectorELNS0_4arch9wavefront6targetE0EEEvT1_.num_named_barrier, 0
	.set _ZN7rocprim17ROCPRIM_400000_NS6detail17trampoline_kernelINS0_14default_configENS1_27scan_by_key_config_selectorIxxEEZZNS1_16scan_by_key_implILNS1_25lookback_scan_determinismE0ELb0ES3_N6thrust23THRUST_200600_302600_NS6detail15normal_iteratorINS9_10device_ptrIxEEEESE_SE_xNS9_4plusIvEENS9_8equal_toIvEExEE10hipError_tPvRmT2_T3_T4_T5_mT6_T7_P12ihipStream_tbENKUlT_T0_E_clISt17integral_constantIbLb1EESZ_EEDaSU_SV_EUlSU_E_NS1_11comp_targetILNS1_3genE4ELNS1_11target_archE910ELNS1_3gpuE8ELNS1_3repE0EEENS1_30default_config_static_selectorELNS0_4arch9wavefront6targetE0EEEvT1_.private_seg_size, 0
	.set _ZN7rocprim17ROCPRIM_400000_NS6detail17trampoline_kernelINS0_14default_configENS1_27scan_by_key_config_selectorIxxEEZZNS1_16scan_by_key_implILNS1_25lookback_scan_determinismE0ELb0ES3_N6thrust23THRUST_200600_302600_NS6detail15normal_iteratorINS9_10device_ptrIxEEEESE_SE_xNS9_4plusIvEENS9_8equal_toIvEExEE10hipError_tPvRmT2_T3_T4_T5_mT6_T7_P12ihipStream_tbENKUlT_T0_E_clISt17integral_constantIbLb1EESZ_EEDaSU_SV_EUlSU_E_NS1_11comp_targetILNS1_3genE4ELNS1_11target_archE910ELNS1_3gpuE8ELNS1_3repE0EEENS1_30default_config_static_selectorELNS0_4arch9wavefront6targetE0EEEvT1_.uses_vcc, 0
	.set _ZN7rocprim17ROCPRIM_400000_NS6detail17trampoline_kernelINS0_14default_configENS1_27scan_by_key_config_selectorIxxEEZZNS1_16scan_by_key_implILNS1_25lookback_scan_determinismE0ELb0ES3_N6thrust23THRUST_200600_302600_NS6detail15normal_iteratorINS9_10device_ptrIxEEEESE_SE_xNS9_4plusIvEENS9_8equal_toIvEExEE10hipError_tPvRmT2_T3_T4_T5_mT6_T7_P12ihipStream_tbENKUlT_T0_E_clISt17integral_constantIbLb1EESZ_EEDaSU_SV_EUlSU_E_NS1_11comp_targetILNS1_3genE4ELNS1_11target_archE910ELNS1_3gpuE8ELNS1_3repE0EEENS1_30default_config_static_selectorELNS0_4arch9wavefront6targetE0EEEvT1_.uses_flat_scratch, 0
	.set _ZN7rocprim17ROCPRIM_400000_NS6detail17trampoline_kernelINS0_14default_configENS1_27scan_by_key_config_selectorIxxEEZZNS1_16scan_by_key_implILNS1_25lookback_scan_determinismE0ELb0ES3_N6thrust23THRUST_200600_302600_NS6detail15normal_iteratorINS9_10device_ptrIxEEEESE_SE_xNS9_4plusIvEENS9_8equal_toIvEExEE10hipError_tPvRmT2_T3_T4_T5_mT6_T7_P12ihipStream_tbENKUlT_T0_E_clISt17integral_constantIbLb1EESZ_EEDaSU_SV_EUlSU_E_NS1_11comp_targetILNS1_3genE4ELNS1_11target_archE910ELNS1_3gpuE8ELNS1_3repE0EEENS1_30default_config_static_selectorELNS0_4arch9wavefront6targetE0EEEvT1_.has_dyn_sized_stack, 0
	.set _ZN7rocprim17ROCPRIM_400000_NS6detail17trampoline_kernelINS0_14default_configENS1_27scan_by_key_config_selectorIxxEEZZNS1_16scan_by_key_implILNS1_25lookback_scan_determinismE0ELb0ES3_N6thrust23THRUST_200600_302600_NS6detail15normal_iteratorINS9_10device_ptrIxEEEESE_SE_xNS9_4plusIvEENS9_8equal_toIvEExEE10hipError_tPvRmT2_T3_T4_T5_mT6_T7_P12ihipStream_tbENKUlT_T0_E_clISt17integral_constantIbLb1EESZ_EEDaSU_SV_EUlSU_E_NS1_11comp_targetILNS1_3genE4ELNS1_11target_archE910ELNS1_3gpuE8ELNS1_3repE0EEENS1_30default_config_static_selectorELNS0_4arch9wavefront6targetE0EEEvT1_.has_recursion, 0
	.set _ZN7rocprim17ROCPRIM_400000_NS6detail17trampoline_kernelINS0_14default_configENS1_27scan_by_key_config_selectorIxxEEZZNS1_16scan_by_key_implILNS1_25lookback_scan_determinismE0ELb0ES3_N6thrust23THRUST_200600_302600_NS6detail15normal_iteratorINS9_10device_ptrIxEEEESE_SE_xNS9_4plusIvEENS9_8equal_toIvEExEE10hipError_tPvRmT2_T3_T4_T5_mT6_T7_P12ihipStream_tbENKUlT_T0_E_clISt17integral_constantIbLb1EESZ_EEDaSU_SV_EUlSU_E_NS1_11comp_targetILNS1_3genE4ELNS1_11target_archE910ELNS1_3gpuE8ELNS1_3repE0EEENS1_30default_config_static_selectorELNS0_4arch9wavefront6targetE0EEEvT1_.has_indirect_call, 0
	.section	.AMDGPU.csdata,"",@progbits
; Kernel info:
; codeLenInByte = 0
; TotalNumSgprs: 0
; NumVgprs: 0
; ScratchSize: 0
; MemoryBound: 0
; FloatMode: 240
; IeeeMode: 1
; LDSByteSize: 0 bytes/workgroup (compile time only)
; SGPRBlocks: 0
; VGPRBlocks: 0
; NumSGPRsForWavesPerEU: 1
; NumVGPRsForWavesPerEU: 1
; NamedBarCnt: 0
; Occupancy: 16
; WaveLimiterHint : 0
; COMPUTE_PGM_RSRC2:SCRATCH_EN: 0
; COMPUTE_PGM_RSRC2:USER_SGPR: 2
; COMPUTE_PGM_RSRC2:TRAP_HANDLER: 0
; COMPUTE_PGM_RSRC2:TGID_X_EN: 1
; COMPUTE_PGM_RSRC2:TGID_Y_EN: 0
; COMPUTE_PGM_RSRC2:TGID_Z_EN: 0
; COMPUTE_PGM_RSRC2:TIDIG_COMP_CNT: 0
	.section	.text._ZN7rocprim17ROCPRIM_400000_NS6detail17trampoline_kernelINS0_14default_configENS1_27scan_by_key_config_selectorIxxEEZZNS1_16scan_by_key_implILNS1_25lookback_scan_determinismE0ELb0ES3_N6thrust23THRUST_200600_302600_NS6detail15normal_iteratorINS9_10device_ptrIxEEEESE_SE_xNS9_4plusIvEENS9_8equal_toIvEExEE10hipError_tPvRmT2_T3_T4_T5_mT6_T7_P12ihipStream_tbENKUlT_T0_E_clISt17integral_constantIbLb1EESZ_EEDaSU_SV_EUlSU_E_NS1_11comp_targetILNS1_3genE3ELNS1_11target_archE908ELNS1_3gpuE7ELNS1_3repE0EEENS1_30default_config_static_selectorELNS0_4arch9wavefront6targetE0EEEvT1_,"axG",@progbits,_ZN7rocprim17ROCPRIM_400000_NS6detail17trampoline_kernelINS0_14default_configENS1_27scan_by_key_config_selectorIxxEEZZNS1_16scan_by_key_implILNS1_25lookback_scan_determinismE0ELb0ES3_N6thrust23THRUST_200600_302600_NS6detail15normal_iteratorINS9_10device_ptrIxEEEESE_SE_xNS9_4plusIvEENS9_8equal_toIvEExEE10hipError_tPvRmT2_T3_T4_T5_mT6_T7_P12ihipStream_tbENKUlT_T0_E_clISt17integral_constantIbLb1EESZ_EEDaSU_SV_EUlSU_E_NS1_11comp_targetILNS1_3genE3ELNS1_11target_archE908ELNS1_3gpuE7ELNS1_3repE0EEENS1_30default_config_static_selectorELNS0_4arch9wavefront6targetE0EEEvT1_,comdat
	.protected	_ZN7rocprim17ROCPRIM_400000_NS6detail17trampoline_kernelINS0_14default_configENS1_27scan_by_key_config_selectorIxxEEZZNS1_16scan_by_key_implILNS1_25lookback_scan_determinismE0ELb0ES3_N6thrust23THRUST_200600_302600_NS6detail15normal_iteratorINS9_10device_ptrIxEEEESE_SE_xNS9_4plusIvEENS9_8equal_toIvEExEE10hipError_tPvRmT2_T3_T4_T5_mT6_T7_P12ihipStream_tbENKUlT_T0_E_clISt17integral_constantIbLb1EESZ_EEDaSU_SV_EUlSU_E_NS1_11comp_targetILNS1_3genE3ELNS1_11target_archE908ELNS1_3gpuE7ELNS1_3repE0EEENS1_30default_config_static_selectorELNS0_4arch9wavefront6targetE0EEEvT1_ ; -- Begin function _ZN7rocprim17ROCPRIM_400000_NS6detail17trampoline_kernelINS0_14default_configENS1_27scan_by_key_config_selectorIxxEEZZNS1_16scan_by_key_implILNS1_25lookback_scan_determinismE0ELb0ES3_N6thrust23THRUST_200600_302600_NS6detail15normal_iteratorINS9_10device_ptrIxEEEESE_SE_xNS9_4plusIvEENS9_8equal_toIvEExEE10hipError_tPvRmT2_T3_T4_T5_mT6_T7_P12ihipStream_tbENKUlT_T0_E_clISt17integral_constantIbLb1EESZ_EEDaSU_SV_EUlSU_E_NS1_11comp_targetILNS1_3genE3ELNS1_11target_archE908ELNS1_3gpuE7ELNS1_3repE0EEENS1_30default_config_static_selectorELNS0_4arch9wavefront6targetE0EEEvT1_
	.globl	_ZN7rocprim17ROCPRIM_400000_NS6detail17trampoline_kernelINS0_14default_configENS1_27scan_by_key_config_selectorIxxEEZZNS1_16scan_by_key_implILNS1_25lookback_scan_determinismE0ELb0ES3_N6thrust23THRUST_200600_302600_NS6detail15normal_iteratorINS9_10device_ptrIxEEEESE_SE_xNS9_4plusIvEENS9_8equal_toIvEExEE10hipError_tPvRmT2_T3_T4_T5_mT6_T7_P12ihipStream_tbENKUlT_T0_E_clISt17integral_constantIbLb1EESZ_EEDaSU_SV_EUlSU_E_NS1_11comp_targetILNS1_3genE3ELNS1_11target_archE908ELNS1_3gpuE7ELNS1_3repE0EEENS1_30default_config_static_selectorELNS0_4arch9wavefront6targetE0EEEvT1_
	.p2align	8
	.type	_ZN7rocprim17ROCPRIM_400000_NS6detail17trampoline_kernelINS0_14default_configENS1_27scan_by_key_config_selectorIxxEEZZNS1_16scan_by_key_implILNS1_25lookback_scan_determinismE0ELb0ES3_N6thrust23THRUST_200600_302600_NS6detail15normal_iteratorINS9_10device_ptrIxEEEESE_SE_xNS9_4plusIvEENS9_8equal_toIvEExEE10hipError_tPvRmT2_T3_T4_T5_mT6_T7_P12ihipStream_tbENKUlT_T0_E_clISt17integral_constantIbLb1EESZ_EEDaSU_SV_EUlSU_E_NS1_11comp_targetILNS1_3genE3ELNS1_11target_archE908ELNS1_3gpuE7ELNS1_3repE0EEENS1_30default_config_static_selectorELNS0_4arch9wavefront6targetE0EEEvT1_,@function
_ZN7rocprim17ROCPRIM_400000_NS6detail17trampoline_kernelINS0_14default_configENS1_27scan_by_key_config_selectorIxxEEZZNS1_16scan_by_key_implILNS1_25lookback_scan_determinismE0ELb0ES3_N6thrust23THRUST_200600_302600_NS6detail15normal_iteratorINS9_10device_ptrIxEEEESE_SE_xNS9_4plusIvEENS9_8equal_toIvEExEE10hipError_tPvRmT2_T3_T4_T5_mT6_T7_P12ihipStream_tbENKUlT_T0_E_clISt17integral_constantIbLb1EESZ_EEDaSU_SV_EUlSU_E_NS1_11comp_targetILNS1_3genE3ELNS1_11target_archE908ELNS1_3gpuE7ELNS1_3repE0EEENS1_30default_config_static_selectorELNS0_4arch9wavefront6targetE0EEEvT1_: ; @_ZN7rocprim17ROCPRIM_400000_NS6detail17trampoline_kernelINS0_14default_configENS1_27scan_by_key_config_selectorIxxEEZZNS1_16scan_by_key_implILNS1_25lookback_scan_determinismE0ELb0ES3_N6thrust23THRUST_200600_302600_NS6detail15normal_iteratorINS9_10device_ptrIxEEEESE_SE_xNS9_4plusIvEENS9_8equal_toIvEExEE10hipError_tPvRmT2_T3_T4_T5_mT6_T7_P12ihipStream_tbENKUlT_T0_E_clISt17integral_constantIbLb1EESZ_EEDaSU_SV_EUlSU_E_NS1_11comp_targetILNS1_3genE3ELNS1_11target_archE908ELNS1_3gpuE7ELNS1_3repE0EEENS1_30default_config_static_selectorELNS0_4arch9wavefront6targetE0EEEvT1_
; %bb.0:
	.section	.rodata,"a",@progbits
	.p2align	6, 0x0
	.amdhsa_kernel _ZN7rocprim17ROCPRIM_400000_NS6detail17trampoline_kernelINS0_14default_configENS1_27scan_by_key_config_selectorIxxEEZZNS1_16scan_by_key_implILNS1_25lookback_scan_determinismE0ELb0ES3_N6thrust23THRUST_200600_302600_NS6detail15normal_iteratorINS9_10device_ptrIxEEEESE_SE_xNS9_4plusIvEENS9_8equal_toIvEExEE10hipError_tPvRmT2_T3_T4_T5_mT6_T7_P12ihipStream_tbENKUlT_T0_E_clISt17integral_constantIbLb1EESZ_EEDaSU_SV_EUlSU_E_NS1_11comp_targetILNS1_3genE3ELNS1_11target_archE908ELNS1_3gpuE7ELNS1_3repE0EEENS1_30default_config_static_selectorELNS0_4arch9wavefront6targetE0EEEvT1_
		.amdhsa_group_segment_fixed_size 0
		.amdhsa_private_segment_fixed_size 0
		.amdhsa_kernarg_size 136
		.amdhsa_user_sgpr_count 2
		.amdhsa_user_sgpr_dispatch_ptr 0
		.amdhsa_user_sgpr_queue_ptr 0
		.amdhsa_user_sgpr_kernarg_segment_ptr 1
		.amdhsa_user_sgpr_dispatch_id 0
		.amdhsa_user_sgpr_kernarg_preload_length 0
		.amdhsa_user_sgpr_kernarg_preload_offset 0
		.amdhsa_user_sgpr_private_segment_size 0
		.amdhsa_wavefront_size32 1
		.amdhsa_uses_dynamic_stack 0
		.amdhsa_enable_private_segment 0
		.amdhsa_system_sgpr_workgroup_id_x 1
		.amdhsa_system_sgpr_workgroup_id_y 0
		.amdhsa_system_sgpr_workgroup_id_z 0
		.amdhsa_system_sgpr_workgroup_info 0
		.amdhsa_system_vgpr_workitem_id 0
		.amdhsa_next_free_vgpr 1
		.amdhsa_next_free_sgpr 1
		.amdhsa_named_barrier_count 0
		.amdhsa_reserve_vcc 0
		.amdhsa_float_round_mode_32 0
		.amdhsa_float_round_mode_16_64 0
		.amdhsa_float_denorm_mode_32 3
		.amdhsa_float_denorm_mode_16_64 3
		.amdhsa_fp16_overflow 0
		.amdhsa_memory_ordered 1
		.amdhsa_forward_progress 1
		.amdhsa_inst_pref_size 0
		.amdhsa_round_robin_scheduling 0
		.amdhsa_exception_fp_ieee_invalid_op 0
		.amdhsa_exception_fp_denorm_src 0
		.amdhsa_exception_fp_ieee_div_zero 0
		.amdhsa_exception_fp_ieee_overflow 0
		.amdhsa_exception_fp_ieee_underflow 0
		.amdhsa_exception_fp_ieee_inexact 0
		.amdhsa_exception_int_div_zero 0
	.end_amdhsa_kernel
	.section	.text._ZN7rocprim17ROCPRIM_400000_NS6detail17trampoline_kernelINS0_14default_configENS1_27scan_by_key_config_selectorIxxEEZZNS1_16scan_by_key_implILNS1_25lookback_scan_determinismE0ELb0ES3_N6thrust23THRUST_200600_302600_NS6detail15normal_iteratorINS9_10device_ptrIxEEEESE_SE_xNS9_4plusIvEENS9_8equal_toIvEExEE10hipError_tPvRmT2_T3_T4_T5_mT6_T7_P12ihipStream_tbENKUlT_T0_E_clISt17integral_constantIbLb1EESZ_EEDaSU_SV_EUlSU_E_NS1_11comp_targetILNS1_3genE3ELNS1_11target_archE908ELNS1_3gpuE7ELNS1_3repE0EEENS1_30default_config_static_selectorELNS0_4arch9wavefront6targetE0EEEvT1_,"axG",@progbits,_ZN7rocprim17ROCPRIM_400000_NS6detail17trampoline_kernelINS0_14default_configENS1_27scan_by_key_config_selectorIxxEEZZNS1_16scan_by_key_implILNS1_25lookback_scan_determinismE0ELb0ES3_N6thrust23THRUST_200600_302600_NS6detail15normal_iteratorINS9_10device_ptrIxEEEESE_SE_xNS9_4plusIvEENS9_8equal_toIvEExEE10hipError_tPvRmT2_T3_T4_T5_mT6_T7_P12ihipStream_tbENKUlT_T0_E_clISt17integral_constantIbLb1EESZ_EEDaSU_SV_EUlSU_E_NS1_11comp_targetILNS1_3genE3ELNS1_11target_archE908ELNS1_3gpuE7ELNS1_3repE0EEENS1_30default_config_static_selectorELNS0_4arch9wavefront6targetE0EEEvT1_,comdat
.Lfunc_end20:
	.size	_ZN7rocprim17ROCPRIM_400000_NS6detail17trampoline_kernelINS0_14default_configENS1_27scan_by_key_config_selectorIxxEEZZNS1_16scan_by_key_implILNS1_25lookback_scan_determinismE0ELb0ES3_N6thrust23THRUST_200600_302600_NS6detail15normal_iteratorINS9_10device_ptrIxEEEESE_SE_xNS9_4plusIvEENS9_8equal_toIvEExEE10hipError_tPvRmT2_T3_T4_T5_mT6_T7_P12ihipStream_tbENKUlT_T0_E_clISt17integral_constantIbLb1EESZ_EEDaSU_SV_EUlSU_E_NS1_11comp_targetILNS1_3genE3ELNS1_11target_archE908ELNS1_3gpuE7ELNS1_3repE0EEENS1_30default_config_static_selectorELNS0_4arch9wavefront6targetE0EEEvT1_, .Lfunc_end20-_ZN7rocprim17ROCPRIM_400000_NS6detail17trampoline_kernelINS0_14default_configENS1_27scan_by_key_config_selectorIxxEEZZNS1_16scan_by_key_implILNS1_25lookback_scan_determinismE0ELb0ES3_N6thrust23THRUST_200600_302600_NS6detail15normal_iteratorINS9_10device_ptrIxEEEESE_SE_xNS9_4plusIvEENS9_8equal_toIvEExEE10hipError_tPvRmT2_T3_T4_T5_mT6_T7_P12ihipStream_tbENKUlT_T0_E_clISt17integral_constantIbLb1EESZ_EEDaSU_SV_EUlSU_E_NS1_11comp_targetILNS1_3genE3ELNS1_11target_archE908ELNS1_3gpuE7ELNS1_3repE0EEENS1_30default_config_static_selectorELNS0_4arch9wavefront6targetE0EEEvT1_
                                        ; -- End function
	.set _ZN7rocprim17ROCPRIM_400000_NS6detail17trampoline_kernelINS0_14default_configENS1_27scan_by_key_config_selectorIxxEEZZNS1_16scan_by_key_implILNS1_25lookback_scan_determinismE0ELb0ES3_N6thrust23THRUST_200600_302600_NS6detail15normal_iteratorINS9_10device_ptrIxEEEESE_SE_xNS9_4plusIvEENS9_8equal_toIvEExEE10hipError_tPvRmT2_T3_T4_T5_mT6_T7_P12ihipStream_tbENKUlT_T0_E_clISt17integral_constantIbLb1EESZ_EEDaSU_SV_EUlSU_E_NS1_11comp_targetILNS1_3genE3ELNS1_11target_archE908ELNS1_3gpuE7ELNS1_3repE0EEENS1_30default_config_static_selectorELNS0_4arch9wavefront6targetE0EEEvT1_.num_vgpr, 0
	.set _ZN7rocprim17ROCPRIM_400000_NS6detail17trampoline_kernelINS0_14default_configENS1_27scan_by_key_config_selectorIxxEEZZNS1_16scan_by_key_implILNS1_25lookback_scan_determinismE0ELb0ES3_N6thrust23THRUST_200600_302600_NS6detail15normal_iteratorINS9_10device_ptrIxEEEESE_SE_xNS9_4plusIvEENS9_8equal_toIvEExEE10hipError_tPvRmT2_T3_T4_T5_mT6_T7_P12ihipStream_tbENKUlT_T0_E_clISt17integral_constantIbLb1EESZ_EEDaSU_SV_EUlSU_E_NS1_11comp_targetILNS1_3genE3ELNS1_11target_archE908ELNS1_3gpuE7ELNS1_3repE0EEENS1_30default_config_static_selectorELNS0_4arch9wavefront6targetE0EEEvT1_.num_agpr, 0
	.set _ZN7rocprim17ROCPRIM_400000_NS6detail17trampoline_kernelINS0_14default_configENS1_27scan_by_key_config_selectorIxxEEZZNS1_16scan_by_key_implILNS1_25lookback_scan_determinismE0ELb0ES3_N6thrust23THRUST_200600_302600_NS6detail15normal_iteratorINS9_10device_ptrIxEEEESE_SE_xNS9_4plusIvEENS9_8equal_toIvEExEE10hipError_tPvRmT2_T3_T4_T5_mT6_T7_P12ihipStream_tbENKUlT_T0_E_clISt17integral_constantIbLb1EESZ_EEDaSU_SV_EUlSU_E_NS1_11comp_targetILNS1_3genE3ELNS1_11target_archE908ELNS1_3gpuE7ELNS1_3repE0EEENS1_30default_config_static_selectorELNS0_4arch9wavefront6targetE0EEEvT1_.numbered_sgpr, 0
	.set _ZN7rocprim17ROCPRIM_400000_NS6detail17trampoline_kernelINS0_14default_configENS1_27scan_by_key_config_selectorIxxEEZZNS1_16scan_by_key_implILNS1_25lookback_scan_determinismE0ELb0ES3_N6thrust23THRUST_200600_302600_NS6detail15normal_iteratorINS9_10device_ptrIxEEEESE_SE_xNS9_4plusIvEENS9_8equal_toIvEExEE10hipError_tPvRmT2_T3_T4_T5_mT6_T7_P12ihipStream_tbENKUlT_T0_E_clISt17integral_constantIbLb1EESZ_EEDaSU_SV_EUlSU_E_NS1_11comp_targetILNS1_3genE3ELNS1_11target_archE908ELNS1_3gpuE7ELNS1_3repE0EEENS1_30default_config_static_selectorELNS0_4arch9wavefront6targetE0EEEvT1_.num_named_barrier, 0
	.set _ZN7rocprim17ROCPRIM_400000_NS6detail17trampoline_kernelINS0_14default_configENS1_27scan_by_key_config_selectorIxxEEZZNS1_16scan_by_key_implILNS1_25lookback_scan_determinismE0ELb0ES3_N6thrust23THRUST_200600_302600_NS6detail15normal_iteratorINS9_10device_ptrIxEEEESE_SE_xNS9_4plusIvEENS9_8equal_toIvEExEE10hipError_tPvRmT2_T3_T4_T5_mT6_T7_P12ihipStream_tbENKUlT_T0_E_clISt17integral_constantIbLb1EESZ_EEDaSU_SV_EUlSU_E_NS1_11comp_targetILNS1_3genE3ELNS1_11target_archE908ELNS1_3gpuE7ELNS1_3repE0EEENS1_30default_config_static_selectorELNS0_4arch9wavefront6targetE0EEEvT1_.private_seg_size, 0
	.set _ZN7rocprim17ROCPRIM_400000_NS6detail17trampoline_kernelINS0_14default_configENS1_27scan_by_key_config_selectorIxxEEZZNS1_16scan_by_key_implILNS1_25lookback_scan_determinismE0ELb0ES3_N6thrust23THRUST_200600_302600_NS6detail15normal_iteratorINS9_10device_ptrIxEEEESE_SE_xNS9_4plusIvEENS9_8equal_toIvEExEE10hipError_tPvRmT2_T3_T4_T5_mT6_T7_P12ihipStream_tbENKUlT_T0_E_clISt17integral_constantIbLb1EESZ_EEDaSU_SV_EUlSU_E_NS1_11comp_targetILNS1_3genE3ELNS1_11target_archE908ELNS1_3gpuE7ELNS1_3repE0EEENS1_30default_config_static_selectorELNS0_4arch9wavefront6targetE0EEEvT1_.uses_vcc, 0
	.set _ZN7rocprim17ROCPRIM_400000_NS6detail17trampoline_kernelINS0_14default_configENS1_27scan_by_key_config_selectorIxxEEZZNS1_16scan_by_key_implILNS1_25lookback_scan_determinismE0ELb0ES3_N6thrust23THRUST_200600_302600_NS6detail15normal_iteratorINS9_10device_ptrIxEEEESE_SE_xNS9_4plusIvEENS9_8equal_toIvEExEE10hipError_tPvRmT2_T3_T4_T5_mT6_T7_P12ihipStream_tbENKUlT_T0_E_clISt17integral_constantIbLb1EESZ_EEDaSU_SV_EUlSU_E_NS1_11comp_targetILNS1_3genE3ELNS1_11target_archE908ELNS1_3gpuE7ELNS1_3repE0EEENS1_30default_config_static_selectorELNS0_4arch9wavefront6targetE0EEEvT1_.uses_flat_scratch, 0
	.set _ZN7rocprim17ROCPRIM_400000_NS6detail17trampoline_kernelINS0_14default_configENS1_27scan_by_key_config_selectorIxxEEZZNS1_16scan_by_key_implILNS1_25lookback_scan_determinismE0ELb0ES3_N6thrust23THRUST_200600_302600_NS6detail15normal_iteratorINS9_10device_ptrIxEEEESE_SE_xNS9_4plusIvEENS9_8equal_toIvEExEE10hipError_tPvRmT2_T3_T4_T5_mT6_T7_P12ihipStream_tbENKUlT_T0_E_clISt17integral_constantIbLb1EESZ_EEDaSU_SV_EUlSU_E_NS1_11comp_targetILNS1_3genE3ELNS1_11target_archE908ELNS1_3gpuE7ELNS1_3repE0EEENS1_30default_config_static_selectorELNS0_4arch9wavefront6targetE0EEEvT1_.has_dyn_sized_stack, 0
	.set _ZN7rocprim17ROCPRIM_400000_NS6detail17trampoline_kernelINS0_14default_configENS1_27scan_by_key_config_selectorIxxEEZZNS1_16scan_by_key_implILNS1_25lookback_scan_determinismE0ELb0ES3_N6thrust23THRUST_200600_302600_NS6detail15normal_iteratorINS9_10device_ptrIxEEEESE_SE_xNS9_4plusIvEENS9_8equal_toIvEExEE10hipError_tPvRmT2_T3_T4_T5_mT6_T7_P12ihipStream_tbENKUlT_T0_E_clISt17integral_constantIbLb1EESZ_EEDaSU_SV_EUlSU_E_NS1_11comp_targetILNS1_3genE3ELNS1_11target_archE908ELNS1_3gpuE7ELNS1_3repE0EEENS1_30default_config_static_selectorELNS0_4arch9wavefront6targetE0EEEvT1_.has_recursion, 0
	.set _ZN7rocprim17ROCPRIM_400000_NS6detail17trampoline_kernelINS0_14default_configENS1_27scan_by_key_config_selectorIxxEEZZNS1_16scan_by_key_implILNS1_25lookback_scan_determinismE0ELb0ES3_N6thrust23THRUST_200600_302600_NS6detail15normal_iteratorINS9_10device_ptrIxEEEESE_SE_xNS9_4plusIvEENS9_8equal_toIvEExEE10hipError_tPvRmT2_T3_T4_T5_mT6_T7_P12ihipStream_tbENKUlT_T0_E_clISt17integral_constantIbLb1EESZ_EEDaSU_SV_EUlSU_E_NS1_11comp_targetILNS1_3genE3ELNS1_11target_archE908ELNS1_3gpuE7ELNS1_3repE0EEENS1_30default_config_static_selectorELNS0_4arch9wavefront6targetE0EEEvT1_.has_indirect_call, 0
	.section	.AMDGPU.csdata,"",@progbits
; Kernel info:
; codeLenInByte = 0
; TotalNumSgprs: 0
; NumVgprs: 0
; ScratchSize: 0
; MemoryBound: 0
; FloatMode: 240
; IeeeMode: 1
; LDSByteSize: 0 bytes/workgroup (compile time only)
; SGPRBlocks: 0
; VGPRBlocks: 0
; NumSGPRsForWavesPerEU: 1
; NumVGPRsForWavesPerEU: 1
; NamedBarCnt: 0
; Occupancy: 16
; WaveLimiterHint : 0
; COMPUTE_PGM_RSRC2:SCRATCH_EN: 0
; COMPUTE_PGM_RSRC2:USER_SGPR: 2
; COMPUTE_PGM_RSRC2:TRAP_HANDLER: 0
; COMPUTE_PGM_RSRC2:TGID_X_EN: 1
; COMPUTE_PGM_RSRC2:TGID_Y_EN: 0
; COMPUTE_PGM_RSRC2:TGID_Z_EN: 0
; COMPUTE_PGM_RSRC2:TIDIG_COMP_CNT: 0
	.section	.text._ZN7rocprim17ROCPRIM_400000_NS6detail17trampoline_kernelINS0_14default_configENS1_27scan_by_key_config_selectorIxxEEZZNS1_16scan_by_key_implILNS1_25lookback_scan_determinismE0ELb0ES3_N6thrust23THRUST_200600_302600_NS6detail15normal_iteratorINS9_10device_ptrIxEEEESE_SE_xNS9_4plusIvEENS9_8equal_toIvEExEE10hipError_tPvRmT2_T3_T4_T5_mT6_T7_P12ihipStream_tbENKUlT_T0_E_clISt17integral_constantIbLb1EESZ_EEDaSU_SV_EUlSU_E_NS1_11comp_targetILNS1_3genE2ELNS1_11target_archE906ELNS1_3gpuE6ELNS1_3repE0EEENS1_30default_config_static_selectorELNS0_4arch9wavefront6targetE0EEEvT1_,"axG",@progbits,_ZN7rocprim17ROCPRIM_400000_NS6detail17trampoline_kernelINS0_14default_configENS1_27scan_by_key_config_selectorIxxEEZZNS1_16scan_by_key_implILNS1_25lookback_scan_determinismE0ELb0ES3_N6thrust23THRUST_200600_302600_NS6detail15normal_iteratorINS9_10device_ptrIxEEEESE_SE_xNS9_4plusIvEENS9_8equal_toIvEExEE10hipError_tPvRmT2_T3_T4_T5_mT6_T7_P12ihipStream_tbENKUlT_T0_E_clISt17integral_constantIbLb1EESZ_EEDaSU_SV_EUlSU_E_NS1_11comp_targetILNS1_3genE2ELNS1_11target_archE906ELNS1_3gpuE6ELNS1_3repE0EEENS1_30default_config_static_selectorELNS0_4arch9wavefront6targetE0EEEvT1_,comdat
	.protected	_ZN7rocprim17ROCPRIM_400000_NS6detail17trampoline_kernelINS0_14default_configENS1_27scan_by_key_config_selectorIxxEEZZNS1_16scan_by_key_implILNS1_25lookback_scan_determinismE0ELb0ES3_N6thrust23THRUST_200600_302600_NS6detail15normal_iteratorINS9_10device_ptrIxEEEESE_SE_xNS9_4plusIvEENS9_8equal_toIvEExEE10hipError_tPvRmT2_T3_T4_T5_mT6_T7_P12ihipStream_tbENKUlT_T0_E_clISt17integral_constantIbLb1EESZ_EEDaSU_SV_EUlSU_E_NS1_11comp_targetILNS1_3genE2ELNS1_11target_archE906ELNS1_3gpuE6ELNS1_3repE0EEENS1_30default_config_static_selectorELNS0_4arch9wavefront6targetE0EEEvT1_ ; -- Begin function _ZN7rocprim17ROCPRIM_400000_NS6detail17trampoline_kernelINS0_14default_configENS1_27scan_by_key_config_selectorIxxEEZZNS1_16scan_by_key_implILNS1_25lookback_scan_determinismE0ELb0ES3_N6thrust23THRUST_200600_302600_NS6detail15normal_iteratorINS9_10device_ptrIxEEEESE_SE_xNS9_4plusIvEENS9_8equal_toIvEExEE10hipError_tPvRmT2_T3_T4_T5_mT6_T7_P12ihipStream_tbENKUlT_T0_E_clISt17integral_constantIbLb1EESZ_EEDaSU_SV_EUlSU_E_NS1_11comp_targetILNS1_3genE2ELNS1_11target_archE906ELNS1_3gpuE6ELNS1_3repE0EEENS1_30default_config_static_selectorELNS0_4arch9wavefront6targetE0EEEvT1_
	.globl	_ZN7rocprim17ROCPRIM_400000_NS6detail17trampoline_kernelINS0_14default_configENS1_27scan_by_key_config_selectorIxxEEZZNS1_16scan_by_key_implILNS1_25lookback_scan_determinismE0ELb0ES3_N6thrust23THRUST_200600_302600_NS6detail15normal_iteratorINS9_10device_ptrIxEEEESE_SE_xNS9_4plusIvEENS9_8equal_toIvEExEE10hipError_tPvRmT2_T3_T4_T5_mT6_T7_P12ihipStream_tbENKUlT_T0_E_clISt17integral_constantIbLb1EESZ_EEDaSU_SV_EUlSU_E_NS1_11comp_targetILNS1_3genE2ELNS1_11target_archE906ELNS1_3gpuE6ELNS1_3repE0EEENS1_30default_config_static_selectorELNS0_4arch9wavefront6targetE0EEEvT1_
	.p2align	8
	.type	_ZN7rocprim17ROCPRIM_400000_NS6detail17trampoline_kernelINS0_14default_configENS1_27scan_by_key_config_selectorIxxEEZZNS1_16scan_by_key_implILNS1_25lookback_scan_determinismE0ELb0ES3_N6thrust23THRUST_200600_302600_NS6detail15normal_iteratorINS9_10device_ptrIxEEEESE_SE_xNS9_4plusIvEENS9_8equal_toIvEExEE10hipError_tPvRmT2_T3_T4_T5_mT6_T7_P12ihipStream_tbENKUlT_T0_E_clISt17integral_constantIbLb1EESZ_EEDaSU_SV_EUlSU_E_NS1_11comp_targetILNS1_3genE2ELNS1_11target_archE906ELNS1_3gpuE6ELNS1_3repE0EEENS1_30default_config_static_selectorELNS0_4arch9wavefront6targetE0EEEvT1_,@function
_ZN7rocprim17ROCPRIM_400000_NS6detail17trampoline_kernelINS0_14default_configENS1_27scan_by_key_config_selectorIxxEEZZNS1_16scan_by_key_implILNS1_25lookback_scan_determinismE0ELb0ES3_N6thrust23THRUST_200600_302600_NS6detail15normal_iteratorINS9_10device_ptrIxEEEESE_SE_xNS9_4plusIvEENS9_8equal_toIvEExEE10hipError_tPvRmT2_T3_T4_T5_mT6_T7_P12ihipStream_tbENKUlT_T0_E_clISt17integral_constantIbLb1EESZ_EEDaSU_SV_EUlSU_E_NS1_11comp_targetILNS1_3genE2ELNS1_11target_archE906ELNS1_3gpuE6ELNS1_3repE0EEENS1_30default_config_static_selectorELNS0_4arch9wavefront6targetE0EEEvT1_: ; @_ZN7rocprim17ROCPRIM_400000_NS6detail17trampoline_kernelINS0_14default_configENS1_27scan_by_key_config_selectorIxxEEZZNS1_16scan_by_key_implILNS1_25lookback_scan_determinismE0ELb0ES3_N6thrust23THRUST_200600_302600_NS6detail15normal_iteratorINS9_10device_ptrIxEEEESE_SE_xNS9_4plusIvEENS9_8equal_toIvEExEE10hipError_tPvRmT2_T3_T4_T5_mT6_T7_P12ihipStream_tbENKUlT_T0_E_clISt17integral_constantIbLb1EESZ_EEDaSU_SV_EUlSU_E_NS1_11comp_targetILNS1_3genE2ELNS1_11target_archE906ELNS1_3gpuE6ELNS1_3repE0EEENS1_30default_config_static_selectorELNS0_4arch9wavefront6targetE0EEEvT1_
; %bb.0:
	.section	.rodata,"a",@progbits
	.p2align	6, 0x0
	.amdhsa_kernel _ZN7rocprim17ROCPRIM_400000_NS6detail17trampoline_kernelINS0_14default_configENS1_27scan_by_key_config_selectorIxxEEZZNS1_16scan_by_key_implILNS1_25lookback_scan_determinismE0ELb0ES3_N6thrust23THRUST_200600_302600_NS6detail15normal_iteratorINS9_10device_ptrIxEEEESE_SE_xNS9_4plusIvEENS9_8equal_toIvEExEE10hipError_tPvRmT2_T3_T4_T5_mT6_T7_P12ihipStream_tbENKUlT_T0_E_clISt17integral_constantIbLb1EESZ_EEDaSU_SV_EUlSU_E_NS1_11comp_targetILNS1_3genE2ELNS1_11target_archE906ELNS1_3gpuE6ELNS1_3repE0EEENS1_30default_config_static_selectorELNS0_4arch9wavefront6targetE0EEEvT1_
		.amdhsa_group_segment_fixed_size 0
		.amdhsa_private_segment_fixed_size 0
		.amdhsa_kernarg_size 136
		.amdhsa_user_sgpr_count 2
		.amdhsa_user_sgpr_dispatch_ptr 0
		.amdhsa_user_sgpr_queue_ptr 0
		.amdhsa_user_sgpr_kernarg_segment_ptr 1
		.amdhsa_user_sgpr_dispatch_id 0
		.amdhsa_user_sgpr_kernarg_preload_length 0
		.amdhsa_user_sgpr_kernarg_preload_offset 0
		.amdhsa_user_sgpr_private_segment_size 0
		.amdhsa_wavefront_size32 1
		.amdhsa_uses_dynamic_stack 0
		.amdhsa_enable_private_segment 0
		.amdhsa_system_sgpr_workgroup_id_x 1
		.amdhsa_system_sgpr_workgroup_id_y 0
		.amdhsa_system_sgpr_workgroup_id_z 0
		.amdhsa_system_sgpr_workgroup_info 0
		.amdhsa_system_vgpr_workitem_id 0
		.amdhsa_next_free_vgpr 1
		.amdhsa_next_free_sgpr 1
		.amdhsa_named_barrier_count 0
		.amdhsa_reserve_vcc 0
		.amdhsa_float_round_mode_32 0
		.amdhsa_float_round_mode_16_64 0
		.amdhsa_float_denorm_mode_32 3
		.amdhsa_float_denorm_mode_16_64 3
		.amdhsa_fp16_overflow 0
		.amdhsa_memory_ordered 1
		.amdhsa_forward_progress 1
		.amdhsa_inst_pref_size 0
		.amdhsa_round_robin_scheduling 0
		.amdhsa_exception_fp_ieee_invalid_op 0
		.amdhsa_exception_fp_denorm_src 0
		.amdhsa_exception_fp_ieee_div_zero 0
		.amdhsa_exception_fp_ieee_overflow 0
		.amdhsa_exception_fp_ieee_underflow 0
		.amdhsa_exception_fp_ieee_inexact 0
		.amdhsa_exception_int_div_zero 0
	.end_amdhsa_kernel
	.section	.text._ZN7rocprim17ROCPRIM_400000_NS6detail17trampoline_kernelINS0_14default_configENS1_27scan_by_key_config_selectorIxxEEZZNS1_16scan_by_key_implILNS1_25lookback_scan_determinismE0ELb0ES3_N6thrust23THRUST_200600_302600_NS6detail15normal_iteratorINS9_10device_ptrIxEEEESE_SE_xNS9_4plusIvEENS9_8equal_toIvEExEE10hipError_tPvRmT2_T3_T4_T5_mT6_T7_P12ihipStream_tbENKUlT_T0_E_clISt17integral_constantIbLb1EESZ_EEDaSU_SV_EUlSU_E_NS1_11comp_targetILNS1_3genE2ELNS1_11target_archE906ELNS1_3gpuE6ELNS1_3repE0EEENS1_30default_config_static_selectorELNS0_4arch9wavefront6targetE0EEEvT1_,"axG",@progbits,_ZN7rocprim17ROCPRIM_400000_NS6detail17trampoline_kernelINS0_14default_configENS1_27scan_by_key_config_selectorIxxEEZZNS1_16scan_by_key_implILNS1_25lookback_scan_determinismE0ELb0ES3_N6thrust23THRUST_200600_302600_NS6detail15normal_iteratorINS9_10device_ptrIxEEEESE_SE_xNS9_4plusIvEENS9_8equal_toIvEExEE10hipError_tPvRmT2_T3_T4_T5_mT6_T7_P12ihipStream_tbENKUlT_T0_E_clISt17integral_constantIbLb1EESZ_EEDaSU_SV_EUlSU_E_NS1_11comp_targetILNS1_3genE2ELNS1_11target_archE906ELNS1_3gpuE6ELNS1_3repE0EEENS1_30default_config_static_selectorELNS0_4arch9wavefront6targetE0EEEvT1_,comdat
.Lfunc_end21:
	.size	_ZN7rocprim17ROCPRIM_400000_NS6detail17trampoline_kernelINS0_14default_configENS1_27scan_by_key_config_selectorIxxEEZZNS1_16scan_by_key_implILNS1_25lookback_scan_determinismE0ELb0ES3_N6thrust23THRUST_200600_302600_NS6detail15normal_iteratorINS9_10device_ptrIxEEEESE_SE_xNS9_4plusIvEENS9_8equal_toIvEExEE10hipError_tPvRmT2_T3_T4_T5_mT6_T7_P12ihipStream_tbENKUlT_T0_E_clISt17integral_constantIbLb1EESZ_EEDaSU_SV_EUlSU_E_NS1_11comp_targetILNS1_3genE2ELNS1_11target_archE906ELNS1_3gpuE6ELNS1_3repE0EEENS1_30default_config_static_selectorELNS0_4arch9wavefront6targetE0EEEvT1_, .Lfunc_end21-_ZN7rocprim17ROCPRIM_400000_NS6detail17trampoline_kernelINS0_14default_configENS1_27scan_by_key_config_selectorIxxEEZZNS1_16scan_by_key_implILNS1_25lookback_scan_determinismE0ELb0ES3_N6thrust23THRUST_200600_302600_NS6detail15normal_iteratorINS9_10device_ptrIxEEEESE_SE_xNS9_4plusIvEENS9_8equal_toIvEExEE10hipError_tPvRmT2_T3_T4_T5_mT6_T7_P12ihipStream_tbENKUlT_T0_E_clISt17integral_constantIbLb1EESZ_EEDaSU_SV_EUlSU_E_NS1_11comp_targetILNS1_3genE2ELNS1_11target_archE906ELNS1_3gpuE6ELNS1_3repE0EEENS1_30default_config_static_selectorELNS0_4arch9wavefront6targetE0EEEvT1_
                                        ; -- End function
	.set _ZN7rocprim17ROCPRIM_400000_NS6detail17trampoline_kernelINS0_14default_configENS1_27scan_by_key_config_selectorIxxEEZZNS1_16scan_by_key_implILNS1_25lookback_scan_determinismE0ELb0ES3_N6thrust23THRUST_200600_302600_NS6detail15normal_iteratorINS9_10device_ptrIxEEEESE_SE_xNS9_4plusIvEENS9_8equal_toIvEExEE10hipError_tPvRmT2_T3_T4_T5_mT6_T7_P12ihipStream_tbENKUlT_T0_E_clISt17integral_constantIbLb1EESZ_EEDaSU_SV_EUlSU_E_NS1_11comp_targetILNS1_3genE2ELNS1_11target_archE906ELNS1_3gpuE6ELNS1_3repE0EEENS1_30default_config_static_selectorELNS0_4arch9wavefront6targetE0EEEvT1_.num_vgpr, 0
	.set _ZN7rocprim17ROCPRIM_400000_NS6detail17trampoline_kernelINS0_14default_configENS1_27scan_by_key_config_selectorIxxEEZZNS1_16scan_by_key_implILNS1_25lookback_scan_determinismE0ELb0ES3_N6thrust23THRUST_200600_302600_NS6detail15normal_iteratorINS9_10device_ptrIxEEEESE_SE_xNS9_4plusIvEENS9_8equal_toIvEExEE10hipError_tPvRmT2_T3_T4_T5_mT6_T7_P12ihipStream_tbENKUlT_T0_E_clISt17integral_constantIbLb1EESZ_EEDaSU_SV_EUlSU_E_NS1_11comp_targetILNS1_3genE2ELNS1_11target_archE906ELNS1_3gpuE6ELNS1_3repE0EEENS1_30default_config_static_selectorELNS0_4arch9wavefront6targetE0EEEvT1_.num_agpr, 0
	.set _ZN7rocprim17ROCPRIM_400000_NS6detail17trampoline_kernelINS0_14default_configENS1_27scan_by_key_config_selectorIxxEEZZNS1_16scan_by_key_implILNS1_25lookback_scan_determinismE0ELb0ES3_N6thrust23THRUST_200600_302600_NS6detail15normal_iteratorINS9_10device_ptrIxEEEESE_SE_xNS9_4plusIvEENS9_8equal_toIvEExEE10hipError_tPvRmT2_T3_T4_T5_mT6_T7_P12ihipStream_tbENKUlT_T0_E_clISt17integral_constantIbLb1EESZ_EEDaSU_SV_EUlSU_E_NS1_11comp_targetILNS1_3genE2ELNS1_11target_archE906ELNS1_3gpuE6ELNS1_3repE0EEENS1_30default_config_static_selectorELNS0_4arch9wavefront6targetE0EEEvT1_.numbered_sgpr, 0
	.set _ZN7rocprim17ROCPRIM_400000_NS6detail17trampoline_kernelINS0_14default_configENS1_27scan_by_key_config_selectorIxxEEZZNS1_16scan_by_key_implILNS1_25lookback_scan_determinismE0ELb0ES3_N6thrust23THRUST_200600_302600_NS6detail15normal_iteratorINS9_10device_ptrIxEEEESE_SE_xNS9_4plusIvEENS9_8equal_toIvEExEE10hipError_tPvRmT2_T3_T4_T5_mT6_T7_P12ihipStream_tbENKUlT_T0_E_clISt17integral_constantIbLb1EESZ_EEDaSU_SV_EUlSU_E_NS1_11comp_targetILNS1_3genE2ELNS1_11target_archE906ELNS1_3gpuE6ELNS1_3repE0EEENS1_30default_config_static_selectorELNS0_4arch9wavefront6targetE0EEEvT1_.num_named_barrier, 0
	.set _ZN7rocprim17ROCPRIM_400000_NS6detail17trampoline_kernelINS0_14default_configENS1_27scan_by_key_config_selectorIxxEEZZNS1_16scan_by_key_implILNS1_25lookback_scan_determinismE0ELb0ES3_N6thrust23THRUST_200600_302600_NS6detail15normal_iteratorINS9_10device_ptrIxEEEESE_SE_xNS9_4plusIvEENS9_8equal_toIvEExEE10hipError_tPvRmT2_T3_T4_T5_mT6_T7_P12ihipStream_tbENKUlT_T0_E_clISt17integral_constantIbLb1EESZ_EEDaSU_SV_EUlSU_E_NS1_11comp_targetILNS1_3genE2ELNS1_11target_archE906ELNS1_3gpuE6ELNS1_3repE0EEENS1_30default_config_static_selectorELNS0_4arch9wavefront6targetE0EEEvT1_.private_seg_size, 0
	.set _ZN7rocprim17ROCPRIM_400000_NS6detail17trampoline_kernelINS0_14default_configENS1_27scan_by_key_config_selectorIxxEEZZNS1_16scan_by_key_implILNS1_25lookback_scan_determinismE0ELb0ES3_N6thrust23THRUST_200600_302600_NS6detail15normal_iteratorINS9_10device_ptrIxEEEESE_SE_xNS9_4plusIvEENS9_8equal_toIvEExEE10hipError_tPvRmT2_T3_T4_T5_mT6_T7_P12ihipStream_tbENKUlT_T0_E_clISt17integral_constantIbLb1EESZ_EEDaSU_SV_EUlSU_E_NS1_11comp_targetILNS1_3genE2ELNS1_11target_archE906ELNS1_3gpuE6ELNS1_3repE0EEENS1_30default_config_static_selectorELNS0_4arch9wavefront6targetE0EEEvT1_.uses_vcc, 0
	.set _ZN7rocprim17ROCPRIM_400000_NS6detail17trampoline_kernelINS0_14default_configENS1_27scan_by_key_config_selectorIxxEEZZNS1_16scan_by_key_implILNS1_25lookback_scan_determinismE0ELb0ES3_N6thrust23THRUST_200600_302600_NS6detail15normal_iteratorINS9_10device_ptrIxEEEESE_SE_xNS9_4plusIvEENS9_8equal_toIvEExEE10hipError_tPvRmT2_T3_T4_T5_mT6_T7_P12ihipStream_tbENKUlT_T0_E_clISt17integral_constantIbLb1EESZ_EEDaSU_SV_EUlSU_E_NS1_11comp_targetILNS1_3genE2ELNS1_11target_archE906ELNS1_3gpuE6ELNS1_3repE0EEENS1_30default_config_static_selectorELNS0_4arch9wavefront6targetE0EEEvT1_.uses_flat_scratch, 0
	.set _ZN7rocprim17ROCPRIM_400000_NS6detail17trampoline_kernelINS0_14default_configENS1_27scan_by_key_config_selectorIxxEEZZNS1_16scan_by_key_implILNS1_25lookback_scan_determinismE0ELb0ES3_N6thrust23THRUST_200600_302600_NS6detail15normal_iteratorINS9_10device_ptrIxEEEESE_SE_xNS9_4plusIvEENS9_8equal_toIvEExEE10hipError_tPvRmT2_T3_T4_T5_mT6_T7_P12ihipStream_tbENKUlT_T0_E_clISt17integral_constantIbLb1EESZ_EEDaSU_SV_EUlSU_E_NS1_11comp_targetILNS1_3genE2ELNS1_11target_archE906ELNS1_3gpuE6ELNS1_3repE0EEENS1_30default_config_static_selectorELNS0_4arch9wavefront6targetE0EEEvT1_.has_dyn_sized_stack, 0
	.set _ZN7rocprim17ROCPRIM_400000_NS6detail17trampoline_kernelINS0_14default_configENS1_27scan_by_key_config_selectorIxxEEZZNS1_16scan_by_key_implILNS1_25lookback_scan_determinismE0ELb0ES3_N6thrust23THRUST_200600_302600_NS6detail15normal_iteratorINS9_10device_ptrIxEEEESE_SE_xNS9_4plusIvEENS9_8equal_toIvEExEE10hipError_tPvRmT2_T3_T4_T5_mT6_T7_P12ihipStream_tbENKUlT_T0_E_clISt17integral_constantIbLb1EESZ_EEDaSU_SV_EUlSU_E_NS1_11comp_targetILNS1_3genE2ELNS1_11target_archE906ELNS1_3gpuE6ELNS1_3repE0EEENS1_30default_config_static_selectorELNS0_4arch9wavefront6targetE0EEEvT1_.has_recursion, 0
	.set _ZN7rocprim17ROCPRIM_400000_NS6detail17trampoline_kernelINS0_14default_configENS1_27scan_by_key_config_selectorIxxEEZZNS1_16scan_by_key_implILNS1_25lookback_scan_determinismE0ELb0ES3_N6thrust23THRUST_200600_302600_NS6detail15normal_iteratorINS9_10device_ptrIxEEEESE_SE_xNS9_4plusIvEENS9_8equal_toIvEExEE10hipError_tPvRmT2_T3_T4_T5_mT6_T7_P12ihipStream_tbENKUlT_T0_E_clISt17integral_constantIbLb1EESZ_EEDaSU_SV_EUlSU_E_NS1_11comp_targetILNS1_3genE2ELNS1_11target_archE906ELNS1_3gpuE6ELNS1_3repE0EEENS1_30default_config_static_selectorELNS0_4arch9wavefront6targetE0EEEvT1_.has_indirect_call, 0
	.section	.AMDGPU.csdata,"",@progbits
; Kernel info:
; codeLenInByte = 0
; TotalNumSgprs: 0
; NumVgprs: 0
; ScratchSize: 0
; MemoryBound: 0
; FloatMode: 240
; IeeeMode: 1
; LDSByteSize: 0 bytes/workgroup (compile time only)
; SGPRBlocks: 0
; VGPRBlocks: 0
; NumSGPRsForWavesPerEU: 1
; NumVGPRsForWavesPerEU: 1
; NamedBarCnt: 0
; Occupancy: 16
; WaveLimiterHint : 0
; COMPUTE_PGM_RSRC2:SCRATCH_EN: 0
; COMPUTE_PGM_RSRC2:USER_SGPR: 2
; COMPUTE_PGM_RSRC2:TRAP_HANDLER: 0
; COMPUTE_PGM_RSRC2:TGID_X_EN: 1
; COMPUTE_PGM_RSRC2:TGID_Y_EN: 0
; COMPUTE_PGM_RSRC2:TGID_Z_EN: 0
; COMPUTE_PGM_RSRC2:TIDIG_COMP_CNT: 0
	.section	.text._ZN7rocprim17ROCPRIM_400000_NS6detail17trampoline_kernelINS0_14default_configENS1_27scan_by_key_config_selectorIxxEEZZNS1_16scan_by_key_implILNS1_25lookback_scan_determinismE0ELb0ES3_N6thrust23THRUST_200600_302600_NS6detail15normal_iteratorINS9_10device_ptrIxEEEESE_SE_xNS9_4plusIvEENS9_8equal_toIvEExEE10hipError_tPvRmT2_T3_T4_T5_mT6_T7_P12ihipStream_tbENKUlT_T0_E_clISt17integral_constantIbLb1EESZ_EEDaSU_SV_EUlSU_E_NS1_11comp_targetILNS1_3genE10ELNS1_11target_archE1200ELNS1_3gpuE4ELNS1_3repE0EEENS1_30default_config_static_selectorELNS0_4arch9wavefront6targetE0EEEvT1_,"axG",@progbits,_ZN7rocprim17ROCPRIM_400000_NS6detail17trampoline_kernelINS0_14default_configENS1_27scan_by_key_config_selectorIxxEEZZNS1_16scan_by_key_implILNS1_25lookback_scan_determinismE0ELb0ES3_N6thrust23THRUST_200600_302600_NS6detail15normal_iteratorINS9_10device_ptrIxEEEESE_SE_xNS9_4plusIvEENS9_8equal_toIvEExEE10hipError_tPvRmT2_T3_T4_T5_mT6_T7_P12ihipStream_tbENKUlT_T0_E_clISt17integral_constantIbLb1EESZ_EEDaSU_SV_EUlSU_E_NS1_11comp_targetILNS1_3genE10ELNS1_11target_archE1200ELNS1_3gpuE4ELNS1_3repE0EEENS1_30default_config_static_selectorELNS0_4arch9wavefront6targetE0EEEvT1_,comdat
	.protected	_ZN7rocprim17ROCPRIM_400000_NS6detail17trampoline_kernelINS0_14default_configENS1_27scan_by_key_config_selectorIxxEEZZNS1_16scan_by_key_implILNS1_25lookback_scan_determinismE0ELb0ES3_N6thrust23THRUST_200600_302600_NS6detail15normal_iteratorINS9_10device_ptrIxEEEESE_SE_xNS9_4plusIvEENS9_8equal_toIvEExEE10hipError_tPvRmT2_T3_T4_T5_mT6_T7_P12ihipStream_tbENKUlT_T0_E_clISt17integral_constantIbLb1EESZ_EEDaSU_SV_EUlSU_E_NS1_11comp_targetILNS1_3genE10ELNS1_11target_archE1200ELNS1_3gpuE4ELNS1_3repE0EEENS1_30default_config_static_selectorELNS0_4arch9wavefront6targetE0EEEvT1_ ; -- Begin function _ZN7rocprim17ROCPRIM_400000_NS6detail17trampoline_kernelINS0_14default_configENS1_27scan_by_key_config_selectorIxxEEZZNS1_16scan_by_key_implILNS1_25lookback_scan_determinismE0ELb0ES3_N6thrust23THRUST_200600_302600_NS6detail15normal_iteratorINS9_10device_ptrIxEEEESE_SE_xNS9_4plusIvEENS9_8equal_toIvEExEE10hipError_tPvRmT2_T3_T4_T5_mT6_T7_P12ihipStream_tbENKUlT_T0_E_clISt17integral_constantIbLb1EESZ_EEDaSU_SV_EUlSU_E_NS1_11comp_targetILNS1_3genE10ELNS1_11target_archE1200ELNS1_3gpuE4ELNS1_3repE0EEENS1_30default_config_static_selectorELNS0_4arch9wavefront6targetE0EEEvT1_
	.globl	_ZN7rocprim17ROCPRIM_400000_NS6detail17trampoline_kernelINS0_14default_configENS1_27scan_by_key_config_selectorIxxEEZZNS1_16scan_by_key_implILNS1_25lookback_scan_determinismE0ELb0ES3_N6thrust23THRUST_200600_302600_NS6detail15normal_iteratorINS9_10device_ptrIxEEEESE_SE_xNS9_4plusIvEENS9_8equal_toIvEExEE10hipError_tPvRmT2_T3_T4_T5_mT6_T7_P12ihipStream_tbENKUlT_T0_E_clISt17integral_constantIbLb1EESZ_EEDaSU_SV_EUlSU_E_NS1_11comp_targetILNS1_3genE10ELNS1_11target_archE1200ELNS1_3gpuE4ELNS1_3repE0EEENS1_30default_config_static_selectorELNS0_4arch9wavefront6targetE0EEEvT1_
	.p2align	8
	.type	_ZN7rocprim17ROCPRIM_400000_NS6detail17trampoline_kernelINS0_14default_configENS1_27scan_by_key_config_selectorIxxEEZZNS1_16scan_by_key_implILNS1_25lookback_scan_determinismE0ELb0ES3_N6thrust23THRUST_200600_302600_NS6detail15normal_iteratorINS9_10device_ptrIxEEEESE_SE_xNS9_4plusIvEENS9_8equal_toIvEExEE10hipError_tPvRmT2_T3_T4_T5_mT6_T7_P12ihipStream_tbENKUlT_T0_E_clISt17integral_constantIbLb1EESZ_EEDaSU_SV_EUlSU_E_NS1_11comp_targetILNS1_3genE10ELNS1_11target_archE1200ELNS1_3gpuE4ELNS1_3repE0EEENS1_30default_config_static_selectorELNS0_4arch9wavefront6targetE0EEEvT1_,@function
_ZN7rocprim17ROCPRIM_400000_NS6detail17trampoline_kernelINS0_14default_configENS1_27scan_by_key_config_selectorIxxEEZZNS1_16scan_by_key_implILNS1_25lookback_scan_determinismE0ELb0ES3_N6thrust23THRUST_200600_302600_NS6detail15normal_iteratorINS9_10device_ptrIxEEEESE_SE_xNS9_4plusIvEENS9_8equal_toIvEExEE10hipError_tPvRmT2_T3_T4_T5_mT6_T7_P12ihipStream_tbENKUlT_T0_E_clISt17integral_constantIbLb1EESZ_EEDaSU_SV_EUlSU_E_NS1_11comp_targetILNS1_3genE10ELNS1_11target_archE1200ELNS1_3gpuE4ELNS1_3repE0EEENS1_30default_config_static_selectorELNS0_4arch9wavefront6targetE0EEEvT1_: ; @_ZN7rocprim17ROCPRIM_400000_NS6detail17trampoline_kernelINS0_14default_configENS1_27scan_by_key_config_selectorIxxEEZZNS1_16scan_by_key_implILNS1_25lookback_scan_determinismE0ELb0ES3_N6thrust23THRUST_200600_302600_NS6detail15normal_iteratorINS9_10device_ptrIxEEEESE_SE_xNS9_4plusIvEENS9_8equal_toIvEExEE10hipError_tPvRmT2_T3_T4_T5_mT6_T7_P12ihipStream_tbENKUlT_T0_E_clISt17integral_constantIbLb1EESZ_EEDaSU_SV_EUlSU_E_NS1_11comp_targetILNS1_3genE10ELNS1_11target_archE1200ELNS1_3gpuE4ELNS1_3repE0EEENS1_30default_config_static_selectorELNS0_4arch9wavefront6targetE0EEEvT1_
; %bb.0:
	.section	.rodata,"a",@progbits
	.p2align	6, 0x0
	.amdhsa_kernel _ZN7rocprim17ROCPRIM_400000_NS6detail17trampoline_kernelINS0_14default_configENS1_27scan_by_key_config_selectorIxxEEZZNS1_16scan_by_key_implILNS1_25lookback_scan_determinismE0ELb0ES3_N6thrust23THRUST_200600_302600_NS6detail15normal_iteratorINS9_10device_ptrIxEEEESE_SE_xNS9_4plusIvEENS9_8equal_toIvEExEE10hipError_tPvRmT2_T3_T4_T5_mT6_T7_P12ihipStream_tbENKUlT_T0_E_clISt17integral_constantIbLb1EESZ_EEDaSU_SV_EUlSU_E_NS1_11comp_targetILNS1_3genE10ELNS1_11target_archE1200ELNS1_3gpuE4ELNS1_3repE0EEENS1_30default_config_static_selectorELNS0_4arch9wavefront6targetE0EEEvT1_
		.amdhsa_group_segment_fixed_size 0
		.amdhsa_private_segment_fixed_size 0
		.amdhsa_kernarg_size 136
		.amdhsa_user_sgpr_count 2
		.amdhsa_user_sgpr_dispatch_ptr 0
		.amdhsa_user_sgpr_queue_ptr 0
		.amdhsa_user_sgpr_kernarg_segment_ptr 1
		.amdhsa_user_sgpr_dispatch_id 0
		.amdhsa_user_sgpr_kernarg_preload_length 0
		.amdhsa_user_sgpr_kernarg_preload_offset 0
		.amdhsa_user_sgpr_private_segment_size 0
		.amdhsa_wavefront_size32 1
		.amdhsa_uses_dynamic_stack 0
		.amdhsa_enable_private_segment 0
		.amdhsa_system_sgpr_workgroup_id_x 1
		.amdhsa_system_sgpr_workgroup_id_y 0
		.amdhsa_system_sgpr_workgroup_id_z 0
		.amdhsa_system_sgpr_workgroup_info 0
		.amdhsa_system_vgpr_workitem_id 0
		.amdhsa_next_free_vgpr 1
		.amdhsa_next_free_sgpr 1
		.amdhsa_named_barrier_count 0
		.amdhsa_reserve_vcc 0
		.amdhsa_float_round_mode_32 0
		.amdhsa_float_round_mode_16_64 0
		.amdhsa_float_denorm_mode_32 3
		.amdhsa_float_denorm_mode_16_64 3
		.amdhsa_fp16_overflow 0
		.amdhsa_memory_ordered 1
		.amdhsa_forward_progress 1
		.amdhsa_inst_pref_size 0
		.amdhsa_round_robin_scheduling 0
		.amdhsa_exception_fp_ieee_invalid_op 0
		.amdhsa_exception_fp_denorm_src 0
		.amdhsa_exception_fp_ieee_div_zero 0
		.amdhsa_exception_fp_ieee_overflow 0
		.amdhsa_exception_fp_ieee_underflow 0
		.amdhsa_exception_fp_ieee_inexact 0
		.amdhsa_exception_int_div_zero 0
	.end_amdhsa_kernel
	.section	.text._ZN7rocprim17ROCPRIM_400000_NS6detail17trampoline_kernelINS0_14default_configENS1_27scan_by_key_config_selectorIxxEEZZNS1_16scan_by_key_implILNS1_25lookback_scan_determinismE0ELb0ES3_N6thrust23THRUST_200600_302600_NS6detail15normal_iteratorINS9_10device_ptrIxEEEESE_SE_xNS9_4plusIvEENS9_8equal_toIvEExEE10hipError_tPvRmT2_T3_T4_T5_mT6_T7_P12ihipStream_tbENKUlT_T0_E_clISt17integral_constantIbLb1EESZ_EEDaSU_SV_EUlSU_E_NS1_11comp_targetILNS1_3genE10ELNS1_11target_archE1200ELNS1_3gpuE4ELNS1_3repE0EEENS1_30default_config_static_selectorELNS0_4arch9wavefront6targetE0EEEvT1_,"axG",@progbits,_ZN7rocprim17ROCPRIM_400000_NS6detail17trampoline_kernelINS0_14default_configENS1_27scan_by_key_config_selectorIxxEEZZNS1_16scan_by_key_implILNS1_25lookback_scan_determinismE0ELb0ES3_N6thrust23THRUST_200600_302600_NS6detail15normal_iteratorINS9_10device_ptrIxEEEESE_SE_xNS9_4plusIvEENS9_8equal_toIvEExEE10hipError_tPvRmT2_T3_T4_T5_mT6_T7_P12ihipStream_tbENKUlT_T0_E_clISt17integral_constantIbLb1EESZ_EEDaSU_SV_EUlSU_E_NS1_11comp_targetILNS1_3genE10ELNS1_11target_archE1200ELNS1_3gpuE4ELNS1_3repE0EEENS1_30default_config_static_selectorELNS0_4arch9wavefront6targetE0EEEvT1_,comdat
.Lfunc_end22:
	.size	_ZN7rocprim17ROCPRIM_400000_NS6detail17trampoline_kernelINS0_14default_configENS1_27scan_by_key_config_selectorIxxEEZZNS1_16scan_by_key_implILNS1_25lookback_scan_determinismE0ELb0ES3_N6thrust23THRUST_200600_302600_NS6detail15normal_iteratorINS9_10device_ptrIxEEEESE_SE_xNS9_4plusIvEENS9_8equal_toIvEExEE10hipError_tPvRmT2_T3_T4_T5_mT6_T7_P12ihipStream_tbENKUlT_T0_E_clISt17integral_constantIbLb1EESZ_EEDaSU_SV_EUlSU_E_NS1_11comp_targetILNS1_3genE10ELNS1_11target_archE1200ELNS1_3gpuE4ELNS1_3repE0EEENS1_30default_config_static_selectorELNS0_4arch9wavefront6targetE0EEEvT1_, .Lfunc_end22-_ZN7rocprim17ROCPRIM_400000_NS6detail17trampoline_kernelINS0_14default_configENS1_27scan_by_key_config_selectorIxxEEZZNS1_16scan_by_key_implILNS1_25lookback_scan_determinismE0ELb0ES3_N6thrust23THRUST_200600_302600_NS6detail15normal_iteratorINS9_10device_ptrIxEEEESE_SE_xNS9_4plusIvEENS9_8equal_toIvEExEE10hipError_tPvRmT2_T3_T4_T5_mT6_T7_P12ihipStream_tbENKUlT_T0_E_clISt17integral_constantIbLb1EESZ_EEDaSU_SV_EUlSU_E_NS1_11comp_targetILNS1_3genE10ELNS1_11target_archE1200ELNS1_3gpuE4ELNS1_3repE0EEENS1_30default_config_static_selectorELNS0_4arch9wavefront6targetE0EEEvT1_
                                        ; -- End function
	.set _ZN7rocprim17ROCPRIM_400000_NS6detail17trampoline_kernelINS0_14default_configENS1_27scan_by_key_config_selectorIxxEEZZNS1_16scan_by_key_implILNS1_25lookback_scan_determinismE0ELb0ES3_N6thrust23THRUST_200600_302600_NS6detail15normal_iteratorINS9_10device_ptrIxEEEESE_SE_xNS9_4plusIvEENS9_8equal_toIvEExEE10hipError_tPvRmT2_T3_T4_T5_mT6_T7_P12ihipStream_tbENKUlT_T0_E_clISt17integral_constantIbLb1EESZ_EEDaSU_SV_EUlSU_E_NS1_11comp_targetILNS1_3genE10ELNS1_11target_archE1200ELNS1_3gpuE4ELNS1_3repE0EEENS1_30default_config_static_selectorELNS0_4arch9wavefront6targetE0EEEvT1_.num_vgpr, 0
	.set _ZN7rocprim17ROCPRIM_400000_NS6detail17trampoline_kernelINS0_14default_configENS1_27scan_by_key_config_selectorIxxEEZZNS1_16scan_by_key_implILNS1_25lookback_scan_determinismE0ELb0ES3_N6thrust23THRUST_200600_302600_NS6detail15normal_iteratorINS9_10device_ptrIxEEEESE_SE_xNS9_4plusIvEENS9_8equal_toIvEExEE10hipError_tPvRmT2_T3_T4_T5_mT6_T7_P12ihipStream_tbENKUlT_T0_E_clISt17integral_constantIbLb1EESZ_EEDaSU_SV_EUlSU_E_NS1_11comp_targetILNS1_3genE10ELNS1_11target_archE1200ELNS1_3gpuE4ELNS1_3repE0EEENS1_30default_config_static_selectorELNS0_4arch9wavefront6targetE0EEEvT1_.num_agpr, 0
	.set _ZN7rocprim17ROCPRIM_400000_NS6detail17trampoline_kernelINS0_14default_configENS1_27scan_by_key_config_selectorIxxEEZZNS1_16scan_by_key_implILNS1_25lookback_scan_determinismE0ELb0ES3_N6thrust23THRUST_200600_302600_NS6detail15normal_iteratorINS9_10device_ptrIxEEEESE_SE_xNS9_4plusIvEENS9_8equal_toIvEExEE10hipError_tPvRmT2_T3_T4_T5_mT6_T7_P12ihipStream_tbENKUlT_T0_E_clISt17integral_constantIbLb1EESZ_EEDaSU_SV_EUlSU_E_NS1_11comp_targetILNS1_3genE10ELNS1_11target_archE1200ELNS1_3gpuE4ELNS1_3repE0EEENS1_30default_config_static_selectorELNS0_4arch9wavefront6targetE0EEEvT1_.numbered_sgpr, 0
	.set _ZN7rocprim17ROCPRIM_400000_NS6detail17trampoline_kernelINS0_14default_configENS1_27scan_by_key_config_selectorIxxEEZZNS1_16scan_by_key_implILNS1_25lookback_scan_determinismE0ELb0ES3_N6thrust23THRUST_200600_302600_NS6detail15normal_iteratorINS9_10device_ptrIxEEEESE_SE_xNS9_4plusIvEENS9_8equal_toIvEExEE10hipError_tPvRmT2_T3_T4_T5_mT6_T7_P12ihipStream_tbENKUlT_T0_E_clISt17integral_constantIbLb1EESZ_EEDaSU_SV_EUlSU_E_NS1_11comp_targetILNS1_3genE10ELNS1_11target_archE1200ELNS1_3gpuE4ELNS1_3repE0EEENS1_30default_config_static_selectorELNS0_4arch9wavefront6targetE0EEEvT1_.num_named_barrier, 0
	.set _ZN7rocprim17ROCPRIM_400000_NS6detail17trampoline_kernelINS0_14default_configENS1_27scan_by_key_config_selectorIxxEEZZNS1_16scan_by_key_implILNS1_25lookback_scan_determinismE0ELb0ES3_N6thrust23THRUST_200600_302600_NS6detail15normal_iteratorINS9_10device_ptrIxEEEESE_SE_xNS9_4plusIvEENS9_8equal_toIvEExEE10hipError_tPvRmT2_T3_T4_T5_mT6_T7_P12ihipStream_tbENKUlT_T0_E_clISt17integral_constantIbLb1EESZ_EEDaSU_SV_EUlSU_E_NS1_11comp_targetILNS1_3genE10ELNS1_11target_archE1200ELNS1_3gpuE4ELNS1_3repE0EEENS1_30default_config_static_selectorELNS0_4arch9wavefront6targetE0EEEvT1_.private_seg_size, 0
	.set _ZN7rocprim17ROCPRIM_400000_NS6detail17trampoline_kernelINS0_14default_configENS1_27scan_by_key_config_selectorIxxEEZZNS1_16scan_by_key_implILNS1_25lookback_scan_determinismE0ELb0ES3_N6thrust23THRUST_200600_302600_NS6detail15normal_iteratorINS9_10device_ptrIxEEEESE_SE_xNS9_4plusIvEENS9_8equal_toIvEExEE10hipError_tPvRmT2_T3_T4_T5_mT6_T7_P12ihipStream_tbENKUlT_T0_E_clISt17integral_constantIbLb1EESZ_EEDaSU_SV_EUlSU_E_NS1_11comp_targetILNS1_3genE10ELNS1_11target_archE1200ELNS1_3gpuE4ELNS1_3repE0EEENS1_30default_config_static_selectorELNS0_4arch9wavefront6targetE0EEEvT1_.uses_vcc, 0
	.set _ZN7rocprim17ROCPRIM_400000_NS6detail17trampoline_kernelINS0_14default_configENS1_27scan_by_key_config_selectorIxxEEZZNS1_16scan_by_key_implILNS1_25lookback_scan_determinismE0ELb0ES3_N6thrust23THRUST_200600_302600_NS6detail15normal_iteratorINS9_10device_ptrIxEEEESE_SE_xNS9_4plusIvEENS9_8equal_toIvEExEE10hipError_tPvRmT2_T3_T4_T5_mT6_T7_P12ihipStream_tbENKUlT_T0_E_clISt17integral_constantIbLb1EESZ_EEDaSU_SV_EUlSU_E_NS1_11comp_targetILNS1_3genE10ELNS1_11target_archE1200ELNS1_3gpuE4ELNS1_3repE0EEENS1_30default_config_static_selectorELNS0_4arch9wavefront6targetE0EEEvT1_.uses_flat_scratch, 0
	.set _ZN7rocprim17ROCPRIM_400000_NS6detail17trampoline_kernelINS0_14default_configENS1_27scan_by_key_config_selectorIxxEEZZNS1_16scan_by_key_implILNS1_25lookback_scan_determinismE0ELb0ES3_N6thrust23THRUST_200600_302600_NS6detail15normal_iteratorINS9_10device_ptrIxEEEESE_SE_xNS9_4plusIvEENS9_8equal_toIvEExEE10hipError_tPvRmT2_T3_T4_T5_mT6_T7_P12ihipStream_tbENKUlT_T0_E_clISt17integral_constantIbLb1EESZ_EEDaSU_SV_EUlSU_E_NS1_11comp_targetILNS1_3genE10ELNS1_11target_archE1200ELNS1_3gpuE4ELNS1_3repE0EEENS1_30default_config_static_selectorELNS0_4arch9wavefront6targetE0EEEvT1_.has_dyn_sized_stack, 0
	.set _ZN7rocprim17ROCPRIM_400000_NS6detail17trampoline_kernelINS0_14default_configENS1_27scan_by_key_config_selectorIxxEEZZNS1_16scan_by_key_implILNS1_25lookback_scan_determinismE0ELb0ES3_N6thrust23THRUST_200600_302600_NS6detail15normal_iteratorINS9_10device_ptrIxEEEESE_SE_xNS9_4plusIvEENS9_8equal_toIvEExEE10hipError_tPvRmT2_T3_T4_T5_mT6_T7_P12ihipStream_tbENKUlT_T0_E_clISt17integral_constantIbLb1EESZ_EEDaSU_SV_EUlSU_E_NS1_11comp_targetILNS1_3genE10ELNS1_11target_archE1200ELNS1_3gpuE4ELNS1_3repE0EEENS1_30default_config_static_selectorELNS0_4arch9wavefront6targetE0EEEvT1_.has_recursion, 0
	.set _ZN7rocprim17ROCPRIM_400000_NS6detail17trampoline_kernelINS0_14default_configENS1_27scan_by_key_config_selectorIxxEEZZNS1_16scan_by_key_implILNS1_25lookback_scan_determinismE0ELb0ES3_N6thrust23THRUST_200600_302600_NS6detail15normal_iteratorINS9_10device_ptrIxEEEESE_SE_xNS9_4plusIvEENS9_8equal_toIvEExEE10hipError_tPvRmT2_T3_T4_T5_mT6_T7_P12ihipStream_tbENKUlT_T0_E_clISt17integral_constantIbLb1EESZ_EEDaSU_SV_EUlSU_E_NS1_11comp_targetILNS1_3genE10ELNS1_11target_archE1200ELNS1_3gpuE4ELNS1_3repE0EEENS1_30default_config_static_selectorELNS0_4arch9wavefront6targetE0EEEvT1_.has_indirect_call, 0
	.section	.AMDGPU.csdata,"",@progbits
; Kernel info:
; codeLenInByte = 0
; TotalNumSgprs: 0
; NumVgprs: 0
; ScratchSize: 0
; MemoryBound: 0
; FloatMode: 240
; IeeeMode: 1
; LDSByteSize: 0 bytes/workgroup (compile time only)
; SGPRBlocks: 0
; VGPRBlocks: 0
; NumSGPRsForWavesPerEU: 1
; NumVGPRsForWavesPerEU: 1
; NamedBarCnt: 0
; Occupancy: 16
; WaveLimiterHint : 0
; COMPUTE_PGM_RSRC2:SCRATCH_EN: 0
; COMPUTE_PGM_RSRC2:USER_SGPR: 2
; COMPUTE_PGM_RSRC2:TRAP_HANDLER: 0
; COMPUTE_PGM_RSRC2:TGID_X_EN: 1
; COMPUTE_PGM_RSRC2:TGID_Y_EN: 0
; COMPUTE_PGM_RSRC2:TGID_Z_EN: 0
; COMPUTE_PGM_RSRC2:TIDIG_COMP_CNT: 0
	.section	.text._ZN7rocprim17ROCPRIM_400000_NS6detail17trampoline_kernelINS0_14default_configENS1_27scan_by_key_config_selectorIxxEEZZNS1_16scan_by_key_implILNS1_25lookback_scan_determinismE0ELb0ES3_N6thrust23THRUST_200600_302600_NS6detail15normal_iteratorINS9_10device_ptrIxEEEESE_SE_xNS9_4plusIvEENS9_8equal_toIvEExEE10hipError_tPvRmT2_T3_T4_T5_mT6_T7_P12ihipStream_tbENKUlT_T0_E_clISt17integral_constantIbLb1EESZ_EEDaSU_SV_EUlSU_E_NS1_11comp_targetILNS1_3genE9ELNS1_11target_archE1100ELNS1_3gpuE3ELNS1_3repE0EEENS1_30default_config_static_selectorELNS0_4arch9wavefront6targetE0EEEvT1_,"axG",@progbits,_ZN7rocprim17ROCPRIM_400000_NS6detail17trampoline_kernelINS0_14default_configENS1_27scan_by_key_config_selectorIxxEEZZNS1_16scan_by_key_implILNS1_25lookback_scan_determinismE0ELb0ES3_N6thrust23THRUST_200600_302600_NS6detail15normal_iteratorINS9_10device_ptrIxEEEESE_SE_xNS9_4plusIvEENS9_8equal_toIvEExEE10hipError_tPvRmT2_T3_T4_T5_mT6_T7_P12ihipStream_tbENKUlT_T0_E_clISt17integral_constantIbLb1EESZ_EEDaSU_SV_EUlSU_E_NS1_11comp_targetILNS1_3genE9ELNS1_11target_archE1100ELNS1_3gpuE3ELNS1_3repE0EEENS1_30default_config_static_selectorELNS0_4arch9wavefront6targetE0EEEvT1_,comdat
	.protected	_ZN7rocprim17ROCPRIM_400000_NS6detail17trampoline_kernelINS0_14default_configENS1_27scan_by_key_config_selectorIxxEEZZNS1_16scan_by_key_implILNS1_25lookback_scan_determinismE0ELb0ES3_N6thrust23THRUST_200600_302600_NS6detail15normal_iteratorINS9_10device_ptrIxEEEESE_SE_xNS9_4plusIvEENS9_8equal_toIvEExEE10hipError_tPvRmT2_T3_T4_T5_mT6_T7_P12ihipStream_tbENKUlT_T0_E_clISt17integral_constantIbLb1EESZ_EEDaSU_SV_EUlSU_E_NS1_11comp_targetILNS1_3genE9ELNS1_11target_archE1100ELNS1_3gpuE3ELNS1_3repE0EEENS1_30default_config_static_selectorELNS0_4arch9wavefront6targetE0EEEvT1_ ; -- Begin function _ZN7rocprim17ROCPRIM_400000_NS6detail17trampoline_kernelINS0_14default_configENS1_27scan_by_key_config_selectorIxxEEZZNS1_16scan_by_key_implILNS1_25lookback_scan_determinismE0ELb0ES3_N6thrust23THRUST_200600_302600_NS6detail15normal_iteratorINS9_10device_ptrIxEEEESE_SE_xNS9_4plusIvEENS9_8equal_toIvEExEE10hipError_tPvRmT2_T3_T4_T5_mT6_T7_P12ihipStream_tbENKUlT_T0_E_clISt17integral_constantIbLb1EESZ_EEDaSU_SV_EUlSU_E_NS1_11comp_targetILNS1_3genE9ELNS1_11target_archE1100ELNS1_3gpuE3ELNS1_3repE0EEENS1_30default_config_static_selectorELNS0_4arch9wavefront6targetE0EEEvT1_
	.globl	_ZN7rocprim17ROCPRIM_400000_NS6detail17trampoline_kernelINS0_14default_configENS1_27scan_by_key_config_selectorIxxEEZZNS1_16scan_by_key_implILNS1_25lookback_scan_determinismE0ELb0ES3_N6thrust23THRUST_200600_302600_NS6detail15normal_iteratorINS9_10device_ptrIxEEEESE_SE_xNS9_4plusIvEENS9_8equal_toIvEExEE10hipError_tPvRmT2_T3_T4_T5_mT6_T7_P12ihipStream_tbENKUlT_T0_E_clISt17integral_constantIbLb1EESZ_EEDaSU_SV_EUlSU_E_NS1_11comp_targetILNS1_3genE9ELNS1_11target_archE1100ELNS1_3gpuE3ELNS1_3repE0EEENS1_30default_config_static_selectorELNS0_4arch9wavefront6targetE0EEEvT1_
	.p2align	8
	.type	_ZN7rocprim17ROCPRIM_400000_NS6detail17trampoline_kernelINS0_14default_configENS1_27scan_by_key_config_selectorIxxEEZZNS1_16scan_by_key_implILNS1_25lookback_scan_determinismE0ELb0ES3_N6thrust23THRUST_200600_302600_NS6detail15normal_iteratorINS9_10device_ptrIxEEEESE_SE_xNS9_4plusIvEENS9_8equal_toIvEExEE10hipError_tPvRmT2_T3_T4_T5_mT6_T7_P12ihipStream_tbENKUlT_T0_E_clISt17integral_constantIbLb1EESZ_EEDaSU_SV_EUlSU_E_NS1_11comp_targetILNS1_3genE9ELNS1_11target_archE1100ELNS1_3gpuE3ELNS1_3repE0EEENS1_30default_config_static_selectorELNS0_4arch9wavefront6targetE0EEEvT1_,@function
_ZN7rocprim17ROCPRIM_400000_NS6detail17trampoline_kernelINS0_14default_configENS1_27scan_by_key_config_selectorIxxEEZZNS1_16scan_by_key_implILNS1_25lookback_scan_determinismE0ELb0ES3_N6thrust23THRUST_200600_302600_NS6detail15normal_iteratorINS9_10device_ptrIxEEEESE_SE_xNS9_4plusIvEENS9_8equal_toIvEExEE10hipError_tPvRmT2_T3_T4_T5_mT6_T7_P12ihipStream_tbENKUlT_T0_E_clISt17integral_constantIbLb1EESZ_EEDaSU_SV_EUlSU_E_NS1_11comp_targetILNS1_3genE9ELNS1_11target_archE1100ELNS1_3gpuE3ELNS1_3repE0EEENS1_30default_config_static_selectorELNS0_4arch9wavefront6targetE0EEEvT1_: ; @_ZN7rocprim17ROCPRIM_400000_NS6detail17trampoline_kernelINS0_14default_configENS1_27scan_by_key_config_selectorIxxEEZZNS1_16scan_by_key_implILNS1_25lookback_scan_determinismE0ELb0ES3_N6thrust23THRUST_200600_302600_NS6detail15normal_iteratorINS9_10device_ptrIxEEEESE_SE_xNS9_4plusIvEENS9_8equal_toIvEExEE10hipError_tPvRmT2_T3_T4_T5_mT6_T7_P12ihipStream_tbENKUlT_T0_E_clISt17integral_constantIbLb1EESZ_EEDaSU_SV_EUlSU_E_NS1_11comp_targetILNS1_3genE9ELNS1_11target_archE1100ELNS1_3gpuE3ELNS1_3repE0EEENS1_30default_config_static_selectorELNS0_4arch9wavefront6targetE0EEEvT1_
; %bb.0:
	.section	.rodata,"a",@progbits
	.p2align	6, 0x0
	.amdhsa_kernel _ZN7rocprim17ROCPRIM_400000_NS6detail17trampoline_kernelINS0_14default_configENS1_27scan_by_key_config_selectorIxxEEZZNS1_16scan_by_key_implILNS1_25lookback_scan_determinismE0ELb0ES3_N6thrust23THRUST_200600_302600_NS6detail15normal_iteratorINS9_10device_ptrIxEEEESE_SE_xNS9_4plusIvEENS9_8equal_toIvEExEE10hipError_tPvRmT2_T3_T4_T5_mT6_T7_P12ihipStream_tbENKUlT_T0_E_clISt17integral_constantIbLb1EESZ_EEDaSU_SV_EUlSU_E_NS1_11comp_targetILNS1_3genE9ELNS1_11target_archE1100ELNS1_3gpuE3ELNS1_3repE0EEENS1_30default_config_static_selectorELNS0_4arch9wavefront6targetE0EEEvT1_
		.amdhsa_group_segment_fixed_size 0
		.amdhsa_private_segment_fixed_size 0
		.amdhsa_kernarg_size 136
		.amdhsa_user_sgpr_count 2
		.amdhsa_user_sgpr_dispatch_ptr 0
		.amdhsa_user_sgpr_queue_ptr 0
		.amdhsa_user_sgpr_kernarg_segment_ptr 1
		.amdhsa_user_sgpr_dispatch_id 0
		.amdhsa_user_sgpr_kernarg_preload_length 0
		.amdhsa_user_sgpr_kernarg_preload_offset 0
		.amdhsa_user_sgpr_private_segment_size 0
		.amdhsa_wavefront_size32 1
		.amdhsa_uses_dynamic_stack 0
		.amdhsa_enable_private_segment 0
		.amdhsa_system_sgpr_workgroup_id_x 1
		.amdhsa_system_sgpr_workgroup_id_y 0
		.amdhsa_system_sgpr_workgroup_id_z 0
		.amdhsa_system_sgpr_workgroup_info 0
		.amdhsa_system_vgpr_workitem_id 0
		.amdhsa_next_free_vgpr 1
		.amdhsa_next_free_sgpr 1
		.amdhsa_named_barrier_count 0
		.amdhsa_reserve_vcc 0
		.amdhsa_float_round_mode_32 0
		.amdhsa_float_round_mode_16_64 0
		.amdhsa_float_denorm_mode_32 3
		.amdhsa_float_denorm_mode_16_64 3
		.amdhsa_fp16_overflow 0
		.amdhsa_memory_ordered 1
		.amdhsa_forward_progress 1
		.amdhsa_inst_pref_size 0
		.amdhsa_round_robin_scheduling 0
		.amdhsa_exception_fp_ieee_invalid_op 0
		.amdhsa_exception_fp_denorm_src 0
		.amdhsa_exception_fp_ieee_div_zero 0
		.amdhsa_exception_fp_ieee_overflow 0
		.amdhsa_exception_fp_ieee_underflow 0
		.amdhsa_exception_fp_ieee_inexact 0
		.amdhsa_exception_int_div_zero 0
	.end_amdhsa_kernel
	.section	.text._ZN7rocprim17ROCPRIM_400000_NS6detail17trampoline_kernelINS0_14default_configENS1_27scan_by_key_config_selectorIxxEEZZNS1_16scan_by_key_implILNS1_25lookback_scan_determinismE0ELb0ES3_N6thrust23THRUST_200600_302600_NS6detail15normal_iteratorINS9_10device_ptrIxEEEESE_SE_xNS9_4plusIvEENS9_8equal_toIvEExEE10hipError_tPvRmT2_T3_T4_T5_mT6_T7_P12ihipStream_tbENKUlT_T0_E_clISt17integral_constantIbLb1EESZ_EEDaSU_SV_EUlSU_E_NS1_11comp_targetILNS1_3genE9ELNS1_11target_archE1100ELNS1_3gpuE3ELNS1_3repE0EEENS1_30default_config_static_selectorELNS0_4arch9wavefront6targetE0EEEvT1_,"axG",@progbits,_ZN7rocprim17ROCPRIM_400000_NS6detail17trampoline_kernelINS0_14default_configENS1_27scan_by_key_config_selectorIxxEEZZNS1_16scan_by_key_implILNS1_25lookback_scan_determinismE0ELb0ES3_N6thrust23THRUST_200600_302600_NS6detail15normal_iteratorINS9_10device_ptrIxEEEESE_SE_xNS9_4plusIvEENS9_8equal_toIvEExEE10hipError_tPvRmT2_T3_T4_T5_mT6_T7_P12ihipStream_tbENKUlT_T0_E_clISt17integral_constantIbLb1EESZ_EEDaSU_SV_EUlSU_E_NS1_11comp_targetILNS1_3genE9ELNS1_11target_archE1100ELNS1_3gpuE3ELNS1_3repE0EEENS1_30default_config_static_selectorELNS0_4arch9wavefront6targetE0EEEvT1_,comdat
.Lfunc_end23:
	.size	_ZN7rocprim17ROCPRIM_400000_NS6detail17trampoline_kernelINS0_14default_configENS1_27scan_by_key_config_selectorIxxEEZZNS1_16scan_by_key_implILNS1_25lookback_scan_determinismE0ELb0ES3_N6thrust23THRUST_200600_302600_NS6detail15normal_iteratorINS9_10device_ptrIxEEEESE_SE_xNS9_4plusIvEENS9_8equal_toIvEExEE10hipError_tPvRmT2_T3_T4_T5_mT6_T7_P12ihipStream_tbENKUlT_T0_E_clISt17integral_constantIbLb1EESZ_EEDaSU_SV_EUlSU_E_NS1_11comp_targetILNS1_3genE9ELNS1_11target_archE1100ELNS1_3gpuE3ELNS1_3repE0EEENS1_30default_config_static_selectorELNS0_4arch9wavefront6targetE0EEEvT1_, .Lfunc_end23-_ZN7rocprim17ROCPRIM_400000_NS6detail17trampoline_kernelINS0_14default_configENS1_27scan_by_key_config_selectorIxxEEZZNS1_16scan_by_key_implILNS1_25lookback_scan_determinismE0ELb0ES3_N6thrust23THRUST_200600_302600_NS6detail15normal_iteratorINS9_10device_ptrIxEEEESE_SE_xNS9_4plusIvEENS9_8equal_toIvEExEE10hipError_tPvRmT2_T3_T4_T5_mT6_T7_P12ihipStream_tbENKUlT_T0_E_clISt17integral_constantIbLb1EESZ_EEDaSU_SV_EUlSU_E_NS1_11comp_targetILNS1_3genE9ELNS1_11target_archE1100ELNS1_3gpuE3ELNS1_3repE0EEENS1_30default_config_static_selectorELNS0_4arch9wavefront6targetE0EEEvT1_
                                        ; -- End function
	.set _ZN7rocprim17ROCPRIM_400000_NS6detail17trampoline_kernelINS0_14default_configENS1_27scan_by_key_config_selectorIxxEEZZNS1_16scan_by_key_implILNS1_25lookback_scan_determinismE0ELb0ES3_N6thrust23THRUST_200600_302600_NS6detail15normal_iteratorINS9_10device_ptrIxEEEESE_SE_xNS9_4plusIvEENS9_8equal_toIvEExEE10hipError_tPvRmT2_T3_T4_T5_mT6_T7_P12ihipStream_tbENKUlT_T0_E_clISt17integral_constantIbLb1EESZ_EEDaSU_SV_EUlSU_E_NS1_11comp_targetILNS1_3genE9ELNS1_11target_archE1100ELNS1_3gpuE3ELNS1_3repE0EEENS1_30default_config_static_selectorELNS0_4arch9wavefront6targetE0EEEvT1_.num_vgpr, 0
	.set _ZN7rocprim17ROCPRIM_400000_NS6detail17trampoline_kernelINS0_14default_configENS1_27scan_by_key_config_selectorIxxEEZZNS1_16scan_by_key_implILNS1_25lookback_scan_determinismE0ELb0ES3_N6thrust23THRUST_200600_302600_NS6detail15normal_iteratorINS9_10device_ptrIxEEEESE_SE_xNS9_4plusIvEENS9_8equal_toIvEExEE10hipError_tPvRmT2_T3_T4_T5_mT6_T7_P12ihipStream_tbENKUlT_T0_E_clISt17integral_constantIbLb1EESZ_EEDaSU_SV_EUlSU_E_NS1_11comp_targetILNS1_3genE9ELNS1_11target_archE1100ELNS1_3gpuE3ELNS1_3repE0EEENS1_30default_config_static_selectorELNS0_4arch9wavefront6targetE0EEEvT1_.num_agpr, 0
	.set _ZN7rocprim17ROCPRIM_400000_NS6detail17trampoline_kernelINS0_14default_configENS1_27scan_by_key_config_selectorIxxEEZZNS1_16scan_by_key_implILNS1_25lookback_scan_determinismE0ELb0ES3_N6thrust23THRUST_200600_302600_NS6detail15normal_iteratorINS9_10device_ptrIxEEEESE_SE_xNS9_4plusIvEENS9_8equal_toIvEExEE10hipError_tPvRmT2_T3_T4_T5_mT6_T7_P12ihipStream_tbENKUlT_T0_E_clISt17integral_constantIbLb1EESZ_EEDaSU_SV_EUlSU_E_NS1_11comp_targetILNS1_3genE9ELNS1_11target_archE1100ELNS1_3gpuE3ELNS1_3repE0EEENS1_30default_config_static_selectorELNS0_4arch9wavefront6targetE0EEEvT1_.numbered_sgpr, 0
	.set _ZN7rocprim17ROCPRIM_400000_NS6detail17trampoline_kernelINS0_14default_configENS1_27scan_by_key_config_selectorIxxEEZZNS1_16scan_by_key_implILNS1_25lookback_scan_determinismE0ELb0ES3_N6thrust23THRUST_200600_302600_NS6detail15normal_iteratorINS9_10device_ptrIxEEEESE_SE_xNS9_4plusIvEENS9_8equal_toIvEExEE10hipError_tPvRmT2_T3_T4_T5_mT6_T7_P12ihipStream_tbENKUlT_T0_E_clISt17integral_constantIbLb1EESZ_EEDaSU_SV_EUlSU_E_NS1_11comp_targetILNS1_3genE9ELNS1_11target_archE1100ELNS1_3gpuE3ELNS1_3repE0EEENS1_30default_config_static_selectorELNS0_4arch9wavefront6targetE0EEEvT1_.num_named_barrier, 0
	.set _ZN7rocprim17ROCPRIM_400000_NS6detail17trampoline_kernelINS0_14default_configENS1_27scan_by_key_config_selectorIxxEEZZNS1_16scan_by_key_implILNS1_25lookback_scan_determinismE0ELb0ES3_N6thrust23THRUST_200600_302600_NS6detail15normal_iteratorINS9_10device_ptrIxEEEESE_SE_xNS9_4plusIvEENS9_8equal_toIvEExEE10hipError_tPvRmT2_T3_T4_T5_mT6_T7_P12ihipStream_tbENKUlT_T0_E_clISt17integral_constantIbLb1EESZ_EEDaSU_SV_EUlSU_E_NS1_11comp_targetILNS1_3genE9ELNS1_11target_archE1100ELNS1_3gpuE3ELNS1_3repE0EEENS1_30default_config_static_selectorELNS0_4arch9wavefront6targetE0EEEvT1_.private_seg_size, 0
	.set _ZN7rocprim17ROCPRIM_400000_NS6detail17trampoline_kernelINS0_14default_configENS1_27scan_by_key_config_selectorIxxEEZZNS1_16scan_by_key_implILNS1_25lookback_scan_determinismE0ELb0ES3_N6thrust23THRUST_200600_302600_NS6detail15normal_iteratorINS9_10device_ptrIxEEEESE_SE_xNS9_4plusIvEENS9_8equal_toIvEExEE10hipError_tPvRmT2_T3_T4_T5_mT6_T7_P12ihipStream_tbENKUlT_T0_E_clISt17integral_constantIbLb1EESZ_EEDaSU_SV_EUlSU_E_NS1_11comp_targetILNS1_3genE9ELNS1_11target_archE1100ELNS1_3gpuE3ELNS1_3repE0EEENS1_30default_config_static_selectorELNS0_4arch9wavefront6targetE0EEEvT1_.uses_vcc, 0
	.set _ZN7rocprim17ROCPRIM_400000_NS6detail17trampoline_kernelINS0_14default_configENS1_27scan_by_key_config_selectorIxxEEZZNS1_16scan_by_key_implILNS1_25lookback_scan_determinismE0ELb0ES3_N6thrust23THRUST_200600_302600_NS6detail15normal_iteratorINS9_10device_ptrIxEEEESE_SE_xNS9_4plusIvEENS9_8equal_toIvEExEE10hipError_tPvRmT2_T3_T4_T5_mT6_T7_P12ihipStream_tbENKUlT_T0_E_clISt17integral_constantIbLb1EESZ_EEDaSU_SV_EUlSU_E_NS1_11comp_targetILNS1_3genE9ELNS1_11target_archE1100ELNS1_3gpuE3ELNS1_3repE0EEENS1_30default_config_static_selectorELNS0_4arch9wavefront6targetE0EEEvT1_.uses_flat_scratch, 0
	.set _ZN7rocprim17ROCPRIM_400000_NS6detail17trampoline_kernelINS0_14default_configENS1_27scan_by_key_config_selectorIxxEEZZNS1_16scan_by_key_implILNS1_25lookback_scan_determinismE0ELb0ES3_N6thrust23THRUST_200600_302600_NS6detail15normal_iteratorINS9_10device_ptrIxEEEESE_SE_xNS9_4plusIvEENS9_8equal_toIvEExEE10hipError_tPvRmT2_T3_T4_T5_mT6_T7_P12ihipStream_tbENKUlT_T0_E_clISt17integral_constantIbLb1EESZ_EEDaSU_SV_EUlSU_E_NS1_11comp_targetILNS1_3genE9ELNS1_11target_archE1100ELNS1_3gpuE3ELNS1_3repE0EEENS1_30default_config_static_selectorELNS0_4arch9wavefront6targetE0EEEvT1_.has_dyn_sized_stack, 0
	.set _ZN7rocprim17ROCPRIM_400000_NS6detail17trampoline_kernelINS0_14default_configENS1_27scan_by_key_config_selectorIxxEEZZNS1_16scan_by_key_implILNS1_25lookback_scan_determinismE0ELb0ES3_N6thrust23THRUST_200600_302600_NS6detail15normal_iteratorINS9_10device_ptrIxEEEESE_SE_xNS9_4plusIvEENS9_8equal_toIvEExEE10hipError_tPvRmT2_T3_T4_T5_mT6_T7_P12ihipStream_tbENKUlT_T0_E_clISt17integral_constantIbLb1EESZ_EEDaSU_SV_EUlSU_E_NS1_11comp_targetILNS1_3genE9ELNS1_11target_archE1100ELNS1_3gpuE3ELNS1_3repE0EEENS1_30default_config_static_selectorELNS0_4arch9wavefront6targetE0EEEvT1_.has_recursion, 0
	.set _ZN7rocprim17ROCPRIM_400000_NS6detail17trampoline_kernelINS0_14default_configENS1_27scan_by_key_config_selectorIxxEEZZNS1_16scan_by_key_implILNS1_25lookback_scan_determinismE0ELb0ES3_N6thrust23THRUST_200600_302600_NS6detail15normal_iteratorINS9_10device_ptrIxEEEESE_SE_xNS9_4plusIvEENS9_8equal_toIvEExEE10hipError_tPvRmT2_T3_T4_T5_mT6_T7_P12ihipStream_tbENKUlT_T0_E_clISt17integral_constantIbLb1EESZ_EEDaSU_SV_EUlSU_E_NS1_11comp_targetILNS1_3genE9ELNS1_11target_archE1100ELNS1_3gpuE3ELNS1_3repE0EEENS1_30default_config_static_selectorELNS0_4arch9wavefront6targetE0EEEvT1_.has_indirect_call, 0
	.section	.AMDGPU.csdata,"",@progbits
; Kernel info:
; codeLenInByte = 0
; TotalNumSgprs: 0
; NumVgprs: 0
; ScratchSize: 0
; MemoryBound: 0
; FloatMode: 240
; IeeeMode: 1
; LDSByteSize: 0 bytes/workgroup (compile time only)
; SGPRBlocks: 0
; VGPRBlocks: 0
; NumSGPRsForWavesPerEU: 1
; NumVGPRsForWavesPerEU: 1
; NamedBarCnt: 0
; Occupancy: 16
; WaveLimiterHint : 0
; COMPUTE_PGM_RSRC2:SCRATCH_EN: 0
; COMPUTE_PGM_RSRC2:USER_SGPR: 2
; COMPUTE_PGM_RSRC2:TRAP_HANDLER: 0
; COMPUTE_PGM_RSRC2:TGID_X_EN: 1
; COMPUTE_PGM_RSRC2:TGID_Y_EN: 0
; COMPUTE_PGM_RSRC2:TGID_Z_EN: 0
; COMPUTE_PGM_RSRC2:TIDIG_COMP_CNT: 0
	.section	.text._ZN7rocprim17ROCPRIM_400000_NS6detail17trampoline_kernelINS0_14default_configENS1_27scan_by_key_config_selectorIxxEEZZNS1_16scan_by_key_implILNS1_25lookback_scan_determinismE0ELb0ES3_N6thrust23THRUST_200600_302600_NS6detail15normal_iteratorINS9_10device_ptrIxEEEESE_SE_xNS9_4plusIvEENS9_8equal_toIvEExEE10hipError_tPvRmT2_T3_T4_T5_mT6_T7_P12ihipStream_tbENKUlT_T0_E_clISt17integral_constantIbLb1EESZ_EEDaSU_SV_EUlSU_E_NS1_11comp_targetILNS1_3genE8ELNS1_11target_archE1030ELNS1_3gpuE2ELNS1_3repE0EEENS1_30default_config_static_selectorELNS0_4arch9wavefront6targetE0EEEvT1_,"axG",@progbits,_ZN7rocprim17ROCPRIM_400000_NS6detail17trampoline_kernelINS0_14default_configENS1_27scan_by_key_config_selectorIxxEEZZNS1_16scan_by_key_implILNS1_25lookback_scan_determinismE0ELb0ES3_N6thrust23THRUST_200600_302600_NS6detail15normal_iteratorINS9_10device_ptrIxEEEESE_SE_xNS9_4plusIvEENS9_8equal_toIvEExEE10hipError_tPvRmT2_T3_T4_T5_mT6_T7_P12ihipStream_tbENKUlT_T0_E_clISt17integral_constantIbLb1EESZ_EEDaSU_SV_EUlSU_E_NS1_11comp_targetILNS1_3genE8ELNS1_11target_archE1030ELNS1_3gpuE2ELNS1_3repE0EEENS1_30default_config_static_selectorELNS0_4arch9wavefront6targetE0EEEvT1_,comdat
	.protected	_ZN7rocprim17ROCPRIM_400000_NS6detail17trampoline_kernelINS0_14default_configENS1_27scan_by_key_config_selectorIxxEEZZNS1_16scan_by_key_implILNS1_25lookback_scan_determinismE0ELb0ES3_N6thrust23THRUST_200600_302600_NS6detail15normal_iteratorINS9_10device_ptrIxEEEESE_SE_xNS9_4plusIvEENS9_8equal_toIvEExEE10hipError_tPvRmT2_T3_T4_T5_mT6_T7_P12ihipStream_tbENKUlT_T0_E_clISt17integral_constantIbLb1EESZ_EEDaSU_SV_EUlSU_E_NS1_11comp_targetILNS1_3genE8ELNS1_11target_archE1030ELNS1_3gpuE2ELNS1_3repE0EEENS1_30default_config_static_selectorELNS0_4arch9wavefront6targetE0EEEvT1_ ; -- Begin function _ZN7rocprim17ROCPRIM_400000_NS6detail17trampoline_kernelINS0_14default_configENS1_27scan_by_key_config_selectorIxxEEZZNS1_16scan_by_key_implILNS1_25lookback_scan_determinismE0ELb0ES3_N6thrust23THRUST_200600_302600_NS6detail15normal_iteratorINS9_10device_ptrIxEEEESE_SE_xNS9_4plusIvEENS9_8equal_toIvEExEE10hipError_tPvRmT2_T3_T4_T5_mT6_T7_P12ihipStream_tbENKUlT_T0_E_clISt17integral_constantIbLb1EESZ_EEDaSU_SV_EUlSU_E_NS1_11comp_targetILNS1_3genE8ELNS1_11target_archE1030ELNS1_3gpuE2ELNS1_3repE0EEENS1_30default_config_static_selectorELNS0_4arch9wavefront6targetE0EEEvT1_
	.globl	_ZN7rocprim17ROCPRIM_400000_NS6detail17trampoline_kernelINS0_14default_configENS1_27scan_by_key_config_selectorIxxEEZZNS1_16scan_by_key_implILNS1_25lookback_scan_determinismE0ELb0ES3_N6thrust23THRUST_200600_302600_NS6detail15normal_iteratorINS9_10device_ptrIxEEEESE_SE_xNS9_4plusIvEENS9_8equal_toIvEExEE10hipError_tPvRmT2_T3_T4_T5_mT6_T7_P12ihipStream_tbENKUlT_T0_E_clISt17integral_constantIbLb1EESZ_EEDaSU_SV_EUlSU_E_NS1_11comp_targetILNS1_3genE8ELNS1_11target_archE1030ELNS1_3gpuE2ELNS1_3repE0EEENS1_30default_config_static_selectorELNS0_4arch9wavefront6targetE0EEEvT1_
	.p2align	8
	.type	_ZN7rocprim17ROCPRIM_400000_NS6detail17trampoline_kernelINS0_14default_configENS1_27scan_by_key_config_selectorIxxEEZZNS1_16scan_by_key_implILNS1_25lookback_scan_determinismE0ELb0ES3_N6thrust23THRUST_200600_302600_NS6detail15normal_iteratorINS9_10device_ptrIxEEEESE_SE_xNS9_4plusIvEENS9_8equal_toIvEExEE10hipError_tPvRmT2_T3_T4_T5_mT6_T7_P12ihipStream_tbENKUlT_T0_E_clISt17integral_constantIbLb1EESZ_EEDaSU_SV_EUlSU_E_NS1_11comp_targetILNS1_3genE8ELNS1_11target_archE1030ELNS1_3gpuE2ELNS1_3repE0EEENS1_30default_config_static_selectorELNS0_4arch9wavefront6targetE0EEEvT1_,@function
_ZN7rocprim17ROCPRIM_400000_NS6detail17trampoline_kernelINS0_14default_configENS1_27scan_by_key_config_selectorIxxEEZZNS1_16scan_by_key_implILNS1_25lookback_scan_determinismE0ELb0ES3_N6thrust23THRUST_200600_302600_NS6detail15normal_iteratorINS9_10device_ptrIxEEEESE_SE_xNS9_4plusIvEENS9_8equal_toIvEExEE10hipError_tPvRmT2_T3_T4_T5_mT6_T7_P12ihipStream_tbENKUlT_T0_E_clISt17integral_constantIbLb1EESZ_EEDaSU_SV_EUlSU_E_NS1_11comp_targetILNS1_3genE8ELNS1_11target_archE1030ELNS1_3gpuE2ELNS1_3repE0EEENS1_30default_config_static_selectorELNS0_4arch9wavefront6targetE0EEEvT1_: ; @_ZN7rocprim17ROCPRIM_400000_NS6detail17trampoline_kernelINS0_14default_configENS1_27scan_by_key_config_selectorIxxEEZZNS1_16scan_by_key_implILNS1_25lookback_scan_determinismE0ELb0ES3_N6thrust23THRUST_200600_302600_NS6detail15normal_iteratorINS9_10device_ptrIxEEEESE_SE_xNS9_4plusIvEENS9_8equal_toIvEExEE10hipError_tPvRmT2_T3_T4_T5_mT6_T7_P12ihipStream_tbENKUlT_T0_E_clISt17integral_constantIbLb1EESZ_EEDaSU_SV_EUlSU_E_NS1_11comp_targetILNS1_3genE8ELNS1_11target_archE1030ELNS1_3gpuE2ELNS1_3repE0EEENS1_30default_config_static_selectorELNS0_4arch9wavefront6targetE0EEEvT1_
; %bb.0:
	.section	.rodata,"a",@progbits
	.p2align	6, 0x0
	.amdhsa_kernel _ZN7rocprim17ROCPRIM_400000_NS6detail17trampoline_kernelINS0_14default_configENS1_27scan_by_key_config_selectorIxxEEZZNS1_16scan_by_key_implILNS1_25lookback_scan_determinismE0ELb0ES3_N6thrust23THRUST_200600_302600_NS6detail15normal_iteratorINS9_10device_ptrIxEEEESE_SE_xNS9_4plusIvEENS9_8equal_toIvEExEE10hipError_tPvRmT2_T3_T4_T5_mT6_T7_P12ihipStream_tbENKUlT_T0_E_clISt17integral_constantIbLb1EESZ_EEDaSU_SV_EUlSU_E_NS1_11comp_targetILNS1_3genE8ELNS1_11target_archE1030ELNS1_3gpuE2ELNS1_3repE0EEENS1_30default_config_static_selectorELNS0_4arch9wavefront6targetE0EEEvT1_
		.amdhsa_group_segment_fixed_size 0
		.amdhsa_private_segment_fixed_size 0
		.amdhsa_kernarg_size 136
		.amdhsa_user_sgpr_count 2
		.amdhsa_user_sgpr_dispatch_ptr 0
		.amdhsa_user_sgpr_queue_ptr 0
		.amdhsa_user_sgpr_kernarg_segment_ptr 1
		.amdhsa_user_sgpr_dispatch_id 0
		.amdhsa_user_sgpr_kernarg_preload_length 0
		.amdhsa_user_sgpr_kernarg_preload_offset 0
		.amdhsa_user_sgpr_private_segment_size 0
		.amdhsa_wavefront_size32 1
		.amdhsa_uses_dynamic_stack 0
		.amdhsa_enable_private_segment 0
		.amdhsa_system_sgpr_workgroup_id_x 1
		.amdhsa_system_sgpr_workgroup_id_y 0
		.amdhsa_system_sgpr_workgroup_id_z 0
		.amdhsa_system_sgpr_workgroup_info 0
		.amdhsa_system_vgpr_workitem_id 0
		.amdhsa_next_free_vgpr 1
		.amdhsa_next_free_sgpr 1
		.amdhsa_named_barrier_count 0
		.amdhsa_reserve_vcc 0
		.amdhsa_float_round_mode_32 0
		.amdhsa_float_round_mode_16_64 0
		.amdhsa_float_denorm_mode_32 3
		.amdhsa_float_denorm_mode_16_64 3
		.amdhsa_fp16_overflow 0
		.amdhsa_memory_ordered 1
		.amdhsa_forward_progress 1
		.amdhsa_inst_pref_size 0
		.amdhsa_round_robin_scheduling 0
		.amdhsa_exception_fp_ieee_invalid_op 0
		.amdhsa_exception_fp_denorm_src 0
		.amdhsa_exception_fp_ieee_div_zero 0
		.amdhsa_exception_fp_ieee_overflow 0
		.amdhsa_exception_fp_ieee_underflow 0
		.amdhsa_exception_fp_ieee_inexact 0
		.amdhsa_exception_int_div_zero 0
	.end_amdhsa_kernel
	.section	.text._ZN7rocprim17ROCPRIM_400000_NS6detail17trampoline_kernelINS0_14default_configENS1_27scan_by_key_config_selectorIxxEEZZNS1_16scan_by_key_implILNS1_25lookback_scan_determinismE0ELb0ES3_N6thrust23THRUST_200600_302600_NS6detail15normal_iteratorINS9_10device_ptrIxEEEESE_SE_xNS9_4plusIvEENS9_8equal_toIvEExEE10hipError_tPvRmT2_T3_T4_T5_mT6_T7_P12ihipStream_tbENKUlT_T0_E_clISt17integral_constantIbLb1EESZ_EEDaSU_SV_EUlSU_E_NS1_11comp_targetILNS1_3genE8ELNS1_11target_archE1030ELNS1_3gpuE2ELNS1_3repE0EEENS1_30default_config_static_selectorELNS0_4arch9wavefront6targetE0EEEvT1_,"axG",@progbits,_ZN7rocprim17ROCPRIM_400000_NS6detail17trampoline_kernelINS0_14default_configENS1_27scan_by_key_config_selectorIxxEEZZNS1_16scan_by_key_implILNS1_25lookback_scan_determinismE0ELb0ES3_N6thrust23THRUST_200600_302600_NS6detail15normal_iteratorINS9_10device_ptrIxEEEESE_SE_xNS9_4plusIvEENS9_8equal_toIvEExEE10hipError_tPvRmT2_T3_T4_T5_mT6_T7_P12ihipStream_tbENKUlT_T0_E_clISt17integral_constantIbLb1EESZ_EEDaSU_SV_EUlSU_E_NS1_11comp_targetILNS1_3genE8ELNS1_11target_archE1030ELNS1_3gpuE2ELNS1_3repE0EEENS1_30default_config_static_selectorELNS0_4arch9wavefront6targetE0EEEvT1_,comdat
.Lfunc_end24:
	.size	_ZN7rocprim17ROCPRIM_400000_NS6detail17trampoline_kernelINS0_14default_configENS1_27scan_by_key_config_selectorIxxEEZZNS1_16scan_by_key_implILNS1_25lookback_scan_determinismE0ELb0ES3_N6thrust23THRUST_200600_302600_NS6detail15normal_iteratorINS9_10device_ptrIxEEEESE_SE_xNS9_4plusIvEENS9_8equal_toIvEExEE10hipError_tPvRmT2_T3_T4_T5_mT6_T7_P12ihipStream_tbENKUlT_T0_E_clISt17integral_constantIbLb1EESZ_EEDaSU_SV_EUlSU_E_NS1_11comp_targetILNS1_3genE8ELNS1_11target_archE1030ELNS1_3gpuE2ELNS1_3repE0EEENS1_30default_config_static_selectorELNS0_4arch9wavefront6targetE0EEEvT1_, .Lfunc_end24-_ZN7rocprim17ROCPRIM_400000_NS6detail17trampoline_kernelINS0_14default_configENS1_27scan_by_key_config_selectorIxxEEZZNS1_16scan_by_key_implILNS1_25lookback_scan_determinismE0ELb0ES3_N6thrust23THRUST_200600_302600_NS6detail15normal_iteratorINS9_10device_ptrIxEEEESE_SE_xNS9_4plusIvEENS9_8equal_toIvEExEE10hipError_tPvRmT2_T3_T4_T5_mT6_T7_P12ihipStream_tbENKUlT_T0_E_clISt17integral_constantIbLb1EESZ_EEDaSU_SV_EUlSU_E_NS1_11comp_targetILNS1_3genE8ELNS1_11target_archE1030ELNS1_3gpuE2ELNS1_3repE0EEENS1_30default_config_static_selectorELNS0_4arch9wavefront6targetE0EEEvT1_
                                        ; -- End function
	.set _ZN7rocprim17ROCPRIM_400000_NS6detail17trampoline_kernelINS0_14default_configENS1_27scan_by_key_config_selectorIxxEEZZNS1_16scan_by_key_implILNS1_25lookback_scan_determinismE0ELb0ES3_N6thrust23THRUST_200600_302600_NS6detail15normal_iteratorINS9_10device_ptrIxEEEESE_SE_xNS9_4plusIvEENS9_8equal_toIvEExEE10hipError_tPvRmT2_T3_T4_T5_mT6_T7_P12ihipStream_tbENKUlT_T0_E_clISt17integral_constantIbLb1EESZ_EEDaSU_SV_EUlSU_E_NS1_11comp_targetILNS1_3genE8ELNS1_11target_archE1030ELNS1_3gpuE2ELNS1_3repE0EEENS1_30default_config_static_selectorELNS0_4arch9wavefront6targetE0EEEvT1_.num_vgpr, 0
	.set _ZN7rocprim17ROCPRIM_400000_NS6detail17trampoline_kernelINS0_14default_configENS1_27scan_by_key_config_selectorIxxEEZZNS1_16scan_by_key_implILNS1_25lookback_scan_determinismE0ELb0ES3_N6thrust23THRUST_200600_302600_NS6detail15normal_iteratorINS9_10device_ptrIxEEEESE_SE_xNS9_4plusIvEENS9_8equal_toIvEExEE10hipError_tPvRmT2_T3_T4_T5_mT6_T7_P12ihipStream_tbENKUlT_T0_E_clISt17integral_constantIbLb1EESZ_EEDaSU_SV_EUlSU_E_NS1_11comp_targetILNS1_3genE8ELNS1_11target_archE1030ELNS1_3gpuE2ELNS1_3repE0EEENS1_30default_config_static_selectorELNS0_4arch9wavefront6targetE0EEEvT1_.num_agpr, 0
	.set _ZN7rocprim17ROCPRIM_400000_NS6detail17trampoline_kernelINS0_14default_configENS1_27scan_by_key_config_selectorIxxEEZZNS1_16scan_by_key_implILNS1_25lookback_scan_determinismE0ELb0ES3_N6thrust23THRUST_200600_302600_NS6detail15normal_iteratorINS9_10device_ptrIxEEEESE_SE_xNS9_4plusIvEENS9_8equal_toIvEExEE10hipError_tPvRmT2_T3_T4_T5_mT6_T7_P12ihipStream_tbENKUlT_T0_E_clISt17integral_constantIbLb1EESZ_EEDaSU_SV_EUlSU_E_NS1_11comp_targetILNS1_3genE8ELNS1_11target_archE1030ELNS1_3gpuE2ELNS1_3repE0EEENS1_30default_config_static_selectorELNS0_4arch9wavefront6targetE0EEEvT1_.numbered_sgpr, 0
	.set _ZN7rocprim17ROCPRIM_400000_NS6detail17trampoline_kernelINS0_14default_configENS1_27scan_by_key_config_selectorIxxEEZZNS1_16scan_by_key_implILNS1_25lookback_scan_determinismE0ELb0ES3_N6thrust23THRUST_200600_302600_NS6detail15normal_iteratorINS9_10device_ptrIxEEEESE_SE_xNS9_4plusIvEENS9_8equal_toIvEExEE10hipError_tPvRmT2_T3_T4_T5_mT6_T7_P12ihipStream_tbENKUlT_T0_E_clISt17integral_constantIbLb1EESZ_EEDaSU_SV_EUlSU_E_NS1_11comp_targetILNS1_3genE8ELNS1_11target_archE1030ELNS1_3gpuE2ELNS1_3repE0EEENS1_30default_config_static_selectorELNS0_4arch9wavefront6targetE0EEEvT1_.num_named_barrier, 0
	.set _ZN7rocprim17ROCPRIM_400000_NS6detail17trampoline_kernelINS0_14default_configENS1_27scan_by_key_config_selectorIxxEEZZNS1_16scan_by_key_implILNS1_25lookback_scan_determinismE0ELb0ES3_N6thrust23THRUST_200600_302600_NS6detail15normal_iteratorINS9_10device_ptrIxEEEESE_SE_xNS9_4plusIvEENS9_8equal_toIvEExEE10hipError_tPvRmT2_T3_T4_T5_mT6_T7_P12ihipStream_tbENKUlT_T0_E_clISt17integral_constantIbLb1EESZ_EEDaSU_SV_EUlSU_E_NS1_11comp_targetILNS1_3genE8ELNS1_11target_archE1030ELNS1_3gpuE2ELNS1_3repE0EEENS1_30default_config_static_selectorELNS0_4arch9wavefront6targetE0EEEvT1_.private_seg_size, 0
	.set _ZN7rocprim17ROCPRIM_400000_NS6detail17trampoline_kernelINS0_14default_configENS1_27scan_by_key_config_selectorIxxEEZZNS1_16scan_by_key_implILNS1_25lookback_scan_determinismE0ELb0ES3_N6thrust23THRUST_200600_302600_NS6detail15normal_iteratorINS9_10device_ptrIxEEEESE_SE_xNS9_4plusIvEENS9_8equal_toIvEExEE10hipError_tPvRmT2_T3_T4_T5_mT6_T7_P12ihipStream_tbENKUlT_T0_E_clISt17integral_constantIbLb1EESZ_EEDaSU_SV_EUlSU_E_NS1_11comp_targetILNS1_3genE8ELNS1_11target_archE1030ELNS1_3gpuE2ELNS1_3repE0EEENS1_30default_config_static_selectorELNS0_4arch9wavefront6targetE0EEEvT1_.uses_vcc, 0
	.set _ZN7rocprim17ROCPRIM_400000_NS6detail17trampoline_kernelINS0_14default_configENS1_27scan_by_key_config_selectorIxxEEZZNS1_16scan_by_key_implILNS1_25lookback_scan_determinismE0ELb0ES3_N6thrust23THRUST_200600_302600_NS6detail15normal_iteratorINS9_10device_ptrIxEEEESE_SE_xNS9_4plusIvEENS9_8equal_toIvEExEE10hipError_tPvRmT2_T3_T4_T5_mT6_T7_P12ihipStream_tbENKUlT_T0_E_clISt17integral_constantIbLb1EESZ_EEDaSU_SV_EUlSU_E_NS1_11comp_targetILNS1_3genE8ELNS1_11target_archE1030ELNS1_3gpuE2ELNS1_3repE0EEENS1_30default_config_static_selectorELNS0_4arch9wavefront6targetE0EEEvT1_.uses_flat_scratch, 0
	.set _ZN7rocprim17ROCPRIM_400000_NS6detail17trampoline_kernelINS0_14default_configENS1_27scan_by_key_config_selectorIxxEEZZNS1_16scan_by_key_implILNS1_25lookback_scan_determinismE0ELb0ES3_N6thrust23THRUST_200600_302600_NS6detail15normal_iteratorINS9_10device_ptrIxEEEESE_SE_xNS9_4plusIvEENS9_8equal_toIvEExEE10hipError_tPvRmT2_T3_T4_T5_mT6_T7_P12ihipStream_tbENKUlT_T0_E_clISt17integral_constantIbLb1EESZ_EEDaSU_SV_EUlSU_E_NS1_11comp_targetILNS1_3genE8ELNS1_11target_archE1030ELNS1_3gpuE2ELNS1_3repE0EEENS1_30default_config_static_selectorELNS0_4arch9wavefront6targetE0EEEvT1_.has_dyn_sized_stack, 0
	.set _ZN7rocprim17ROCPRIM_400000_NS6detail17trampoline_kernelINS0_14default_configENS1_27scan_by_key_config_selectorIxxEEZZNS1_16scan_by_key_implILNS1_25lookback_scan_determinismE0ELb0ES3_N6thrust23THRUST_200600_302600_NS6detail15normal_iteratorINS9_10device_ptrIxEEEESE_SE_xNS9_4plusIvEENS9_8equal_toIvEExEE10hipError_tPvRmT2_T3_T4_T5_mT6_T7_P12ihipStream_tbENKUlT_T0_E_clISt17integral_constantIbLb1EESZ_EEDaSU_SV_EUlSU_E_NS1_11comp_targetILNS1_3genE8ELNS1_11target_archE1030ELNS1_3gpuE2ELNS1_3repE0EEENS1_30default_config_static_selectorELNS0_4arch9wavefront6targetE0EEEvT1_.has_recursion, 0
	.set _ZN7rocprim17ROCPRIM_400000_NS6detail17trampoline_kernelINS0_14default_configENS1_27scan_by_key_config_selectorIxxEEZZNS1_16scan_by_key_implILNS1_25lookback_scan_determinismE0ELb0ES3_N6thrust23THRUST_200600_302600_NS6detail15normal_iteratorINS9_10device_ptrIxEEEESE_SE_xNS9_4plusIvEENS9_8equal_toIvEExEE10hipError_tPvRmT2_T3_T4_T5_mT6_T7_P12ihipStream_tbENKUlT_T0_E_clISt17integral_constantIbLb1EESZ_EEDaSU_SV_EUlSU_E_NS1_11comp_targetILNS1_3genE8ELNS1_11target_archE1030ELNS1_3gpuE2ELNS1_3repE0EEENS1_30default_config_static_selectorELNS0_4arch9wavefront6targetE0EEEvT1_.has_indirect_call, 0
	.section	.AMDGPU.csdata,"",@progbits
; Kernel info:
; codeLenInByte = 0
; TotalNumSgprs: 0
; NumVgprs: 0
; ScratchSize: 0
; MemoryBound: 0
; FloatMode: 240
; IeeeMode: 1
; LDSByteSize: 0 bytes/workgroup (compile time only)
; SGPRBlocks: 0
; VGPRBlocks: 0
; NumSGPRsForWavesPerEU: 1
; NumVGPRsForWavesPerEU: 1
; NamedBarCnt: 0
; Occupancy: 16
; WaveLimiterHint : 0
; COMPUTE_PGM_RSRC2:SCRATCH_EN: 0
; COMPUTE_PGM_RSRC2:USER_SGPR: 2
; COMPUTE_PGM_RSRC2:TRAP_HANDLER: 0
; COMPUTE_PGM_RSRC2:TGID_X_EN: 1
; COMPUTE_PGM_RSRC2:TGID_Y_EN: 0
; COMPUTE_PGM_RSRC2:TGID_Z_EN: 0
; COMPUTE_PGM_RSRC2:TIDIG_COMP_CNT: 0
	.section	.text._ZN7rocprim17ROCPRIM_400000_NS6detail30init_device_scan_by_key_kernelINS1_19lookback_scan_stateINS0_5tupleIJxbEEELb1ELb0EEEN6thrust23THRUST_200600_302600_NS6detail15normal_iteratorINS8_10device_ptrIxEEEEjNS1_16block_id_wrapperIjLb0EEEEEvT_jjPNSG_10value_typeET0_PNSt15iterator_traitsISJ_E10value_typeEmT1_T2_,"axG",@progbits,_ZN7rocprim17ROCPRIM_400000_NS6detail30init_device_scan_by_key_kernelINS1_19lookback_scan_stateINS0_5tupleIJxbEEELb1ELb0EEEN6thrust23THRUST_200600_302600_NS6detail15normal_iteratorINS8_10device_ptrIxEEEEjNS1_16block_id_wrapperIjLb0EEEEEvT_jjPNSG_10value_typeET0_PNSt15iterator_traitsISJ_E10value_typeEmT1_T2_,comdat
	.protected	_ZN7rocprim17ROCPRIM_400000_NS6detail30init_device_scan_by_key_kernelINS1_19lookback_scan_stateINS0_5tupleIJxbEEELb1ELb0EEEN6thrust23THRUST_200600_302600_NS6detail15normal_iteratorINS8_10device_ptrIxEEEEjNS1_16block_id_wrapperIjLb0EEEEEvT_jjPNSG_10value_typeET0_PNSt15iterator_traitsISJ_E10value_typeEmT1_T2_ ; -- Begin function _ZN7rocprim17ROCPRIM_400000_NS6detail30init_device_scan_by_key_kernelINS1_19lookback_scan_stateINS0_5tupleIJxbEEELb1ELb0EEEN6thrust23THRUST_200600_302600_NS6detail15normal_iteratorINS8_10device_ptrIxEEEEjNS1_16block_id_wrapperIjLb0EEEEEvT_jjPNSG_10value_typeET0_PNSt15iterator_traitsISJ_E10value_typeEmT1_T2_
	.globl	_ZN7rocprim17ROCPRIM_400000_NS6detail30init_device_scan_by_key_kernelINS1_19lookback_scan_stateINS0_5tupleIJxbEEELb1ELb0EEEN6thrust23THRUST_200600_302600_NS6detail15normal_iteratorINS8_10device_ptrIxEEEEjNS1_16block_id_wrapperIjLb0EEEEEvT_jjPNSG_10value_typeET0_PNSt15iterator_traitsISJ_E10value_typeEmT1_T2_
	.p2align	8
	.type	_ZN7rocprim17ROCPRIM_400000_NS6detail30init_device_scan_by_key_kernelINS1_19lookback_scan_stateINS0_5tupleIJxbEEELb1ELb0EEEN6thrust23THRUST_200600_302600_NS6detail15normal_iteratorINS8_10device_ptrIxEEEEjNS1_16block_id_wrapperIjLb0EEEEEvT_jjPNSG_10value_typeET0_PNSt15iterator_traitsISJ_E10value_typeEmT1_T2_,@function
_ZN7rocprim17ROCPRIM_400000_NS6detail30init_device_scan_by_key_kernelINS1_19lookback_scan_stateINS0_5tupleIJxbEEELb1ELb0EEEN6thrust23THRUST_200600_302600_NS6detail15normal_iteratorINS8_10device_ptrIxEEEEjNS1_16block_id_wrapperIjLb0EEEEEvT_jjPNSG_10value_typeET0_PNSt15iterator_traitsISJ_E10value_typeEmT1_T2_: ; @_ZN7rocprim17ROCPRIM_400000_NS6detail30init_device_scan_by_key_kernelINS1_19lookback_scan_stateINS0_5tupleIJxbEEELb1ELb0EEEN6thrust23THRUST_200600_302600_NS6detail15normal_iteratorINS8_10device_ptrIxEEEEjNS1_16block_id_wrapperIjLb0EEEEEvT_jjPNSG_10value_typeET0_PNSt15iterator_traitsISJ_E10value_typeEmT1_T2_
; %bb.0:
	s_clause 0x2
	s_load_b32 s2, s[0:1], 0x54
	s_load_b32 s18, s[0:1], 0x48
	s_load_b256 s[4:11], s[0:1], 0x10
	s_bfe_u32 s3, ttmp6, 0x4000c
	s_and_b32 s12, ttmp6, 15
	s_add_co_i32 s3, s3, 1
	s_getreg_b32 s13, hwreg(HW_REG_IB_STS2, 6, 4)
	s_mul_i32 s3, ttmp9, s3
	s_delay_alu instid0(SALU_CYCLE_1)
	s_add_co_i32 s12, s12, s3
	s_wait_kmcnt 0x0
	s_and_b32 s19, s2, 0xffff
	s_cmp_eq_u32 s13, 0
	s_cselect_b32 s2, ttmp9, s12
	s_cmp_eq_u64 s[8:9], 0
	v_mad_u32 v0, s2, s19, v0
	s_cbranch_scc1 .LBB25_9
; %bb.1:
	s_cmp_lt_u32 s7, s6
	s_mov_b32 s20, exec_lo
	s_cselect_b32 s2, s7, 0
	s_delay_alu instid0(VALU_DEP_1) | instid1(SALU_CYCLE_1)
	v_cmpx_eq_u32_e64 s2, v0
	s_cbranch_execz .LBB25_8
; %bb.2:
	s_add_co_i32 s2, s7, 32
	s_load_b128 s[12:15], s[0:1], 0x0
	v_mov_b32_e32 v1, s2
	s_mov_b32 s3, 0
	global_load_u8 v1, v1, s[4:5] scope:SCOPE_DEV
	s_wait_loadcnt 0x0
	v_and_b32_e32 v2, 0xffff, v1
	v_readfirstlane_b32 s21, v1
	s_delay_alu instid0(VALU_DEP_2)
	v_cmp_ne_u32_e32 vcc_lo, 0, v2
	s_cbranch_vccnz .LBB25_7
; %bb.3:
	v_mov_b32_e32 v1, 0
	s_add_nc_u64 s[16:17], s[4:5], s[2:3]
	s_mov_b32 s7, 1
.LBB25_4:                               ; =>This Loop Header: Depth=1
                                        ;     Child Loop BB25_5 Depth 2
	s_delay_alu instid0(SALU_CYCLE_1)
	s_mov_b32 s21, s7
.LBB25_5:                               ;   Parent Loop BB25_4 Depth=1
                                        ; =>  This Inner Loop Header: Depth=2
	s_delay_alu instid0(SALU_CYCLE_1)
	s_add_co_i32 s21, s21, -1
	s_sleep 1
	s_cmp_eq_u32 s21, 0
	s_cbranch_scc0 .LBB25_5
; %bb.6:                                ;   in Loop: Header=BB25_4 Depth=1
	global_load_u8 v2, v1, s[16:17] scope:SCOPE_DEV
	s_cmp_lt_u32 s7, 32
	s_cselect_b32 s21, -1, 0
	s_delay_alu instid0(SALU_CYCLE_1) | instskip(SKIP_4) | instid1(VALU_DEP_2)
	s_cmp_lg_u32 s21, 0
	s_add_co_ci_u32 s7, s7, 0
	s_wait_loadcnt 0x0
	v_and_b32_e32 v3, 0xffff, v2
	v_readfirstlane_b32 s21, v2
	v_cmp_ne_u32_e32 vcc_lo, 0, v3
	s_cbranch_vccz .LBB25_4
.LBB25_7:
	s_and_b32 s7, 0xffff, s21
	v_mov_b32_e32 v1, 0
	s_cmp_eq_u32 s7, 1
	global_wb scope:SCOPE_DEV
	s_wait_storecnt 0x0
	global_inv scope:SCOPE_DEV
	s_wait_kmcnt 0x0
	s_cselect_b32 s13, s13, s15
	s_cselect_b32 s12, s12, s14
	s_lshl_b64 s[2:3], s[2:3], 4
	s_delay_alu instid0(SALU_CYCLE_1)
	s_add_nc_u64 s[2:3], s[12:13], s[2:3]
	s_clause 0x1
	global_load_b64 v[2:3], v1, s[2:3]
	global_load_u8 v4, v1, s[2:3] offset:8
	s_wait_loadcnt 0x1
	global_store_b64 v1, v[2:3], s[8:9]
	s_wait_loadcnt 0x0
	global_store_b8 v1, v4, s[8:9] offset:8
.LBB25_8:
	s_wait_xcnt 0x0
	s_or_b32 exec_lo, exec_lo, s20
.LBB25_9:
	s_delay_alu instid0(SALU_CYCLE_1) | instskip(NEXT) | instid1(VALU_DEP_1)
	s_mov_b32 s2, exec_lo
	v_cmpx_gt_u32_e64 s6, v0
	s_cbranch_execz .LBB25_11
; %bb.10:
	v_dual_mov_b32 v2, 0 :: v_dual_add_nc_u32 v1, 32, v0
	global_store_b8 v1, v2, s[4:5]
.LBB25_11:
	s_wait_xcnt 0x0
	s_or_b32 exec_lo, exec_lo, s2
	v_mov_b32_e32 v1, 0
	s_mov_b32 s2, exec_lo
	v_cmpx_gt_u32_e32 32, v0
	s_cbranch_execz .LBB25_13
; %bb.12:
	s_delay_alu instid0(VALU_DEP_2)
	v_add_nc_u64_e32 v[2:3], s[4:5], v[0:1]
	v_mov_b32_e32 v4, 0xff
	global_store_b8 v[2:3], v4, off
.LBB25_13:
	s_wait_xcnt 0x0
	s_or_b32 exec_lo, exec_lo, s2
	s_load_b64 s[2:3], s[0:1], 0x38
	s_mov_b32 s4, exec_lo
	s_wait_kmcnt 0x0
	v_cmpx_gt_u64_e64 s[2:3], v[0:1]
	s_cbranch_execz .LBB25_16
; %bb.14:
	s_clause 0x1
	s_load_b32 s4, s[0:1], 0x40
	s_load_b64 s[6:7], s[0:1], 0x30
	s_mov_b32 s5, 0
	s_wait_xcnt 0x0
	s_mul_i32 s0, s18, s19
	s_mov_b32 s9, s5
	s_mov_b32 s1, s5
	s_wait_kmcnt 0x0
	v_mul_u64_e32 v[2:3], s[4:5], v[0:1]
	s_add_co_i32 s8, s4, -1
	v_lshl_add_u64 v[4:5], v[0:1], 3, s[6:7]
	s_lshl_b64 s[8:9], s[8:9], 3
	s_delay_alu instid0(SALU_CYCLE_1) | instskip(SKIP_1) | instid1(SALU_CYCLE_1)
	s_add_nc_u64 s[8:9], s[10:11], s[8:9]
	s_mul_u64 s[10:11], s[4:5], s[0:1]
	s_lshl_b64 s[6:7], s[10:11], 3
	s_delay_alu instid0(VALU_DEP_2)
	v_lshl_add_u64 v[2:3], v[2:3], 3, s[8:9]
	s_lshl_b64 s[8:9], s[0:1], 3
.LBB25_15:                              ; =>This Inner Loop Header: Depth=1
	global_load_b64 v[6:7], v[2:3], off
	v_add_nc_u64_e32 v[0:1], s[0:1], v[0:1]
	s_wait_xcnt 0x0
	v_add_nc_u64_e32 v[2:3], s[6:7], v[2:3]
	s_delay_alu instid0(VALU_DEP_2)
	v_cmp_le_u64_e32 vcc_lo, s[2:3], v[0:1]
	s_or_b32 s5, vcc_lo, s5
	s_wait_loadcnt 0x0
	global_store_b64 v[4:5], v[6:7], off
	s_wait_xcnt 0x0
	v_add_nc_u64_e32 v[4:5], s[8:9], v[4:5]
	s_and_not1_b32 exec_lo, exec_lo, s5
	s_cbranch_execnz .LBB25_15
.LBB25_16:
	s_endpgm
	.section	.rodata,"a",@progbits
	.p2align	6, 0x0
	.amdhsa_kernel _ZN7rocprim17ROCPRIM_400000_NS6detail30init_device_scan_by_key_kernelINS1_19lookback_scan_stateINS0_5tupleIJxbEEELb1ELb0EEEN6thrust23THRUST_200600_302600_NS6detail15normal_iteratorINS8_10device_ptrIxEEEEjNS1_16block_id_wrapperIjLb0EEEEEvT_jjPNSG_10value_typeET0_PNSt15iterator_traitsISJ_E10value_typeEmT1_T2_
		.amdhsa_group_segment_fixed_size 0
		.amdhsa_private_segment_fixed_size 0
		.amdhsa_kernarg_size 328
		.amdhsa_user_sgpr_count 2
		.amdhsa_user_sgpr_dispatch_ptr 0
		.amdhsa_user_sgpr_queue_ptr 0
		.amdhsa_user_sgpr_kernarg_segment_ptr 1
		.amdhsa_user_sgpr_dispatch_id 0
		.amdhsa_user_sgpr_kernarg_preload_length 0
		.amdhsa_user_sgpr_kernarg_preload_offset 0
		.amdhsa_user_sgpr_private_segment_size 0
		.amdhsa_wavefront_size32 1
		.amdhsa_uses_dynamic_stack 0
		.amdhsa_enable_private_segment 0
		.amdhsa_system_sgpr_workgroup_id_x 1
		.amdhsa_system_sgpr_workgroup_id_y 0
		.amdhsa_system_sgpr_workgroup_id_z 0
		.amdhsa_system_sgpr_workgroup_info 0
		.amdhsa_system_vgpr_workitem_id 0
		.amdhsa_next_free_vgpr 8
		.amdhsa_next_free_sgpr 22
		.amdhsa_named_barrier_count 0
		.amdhsa_reserve_vcc 1
		.amdhsa_float_round_mode_32 0
		.amdhsa_float_round_mode_16_64 0
		.amdhsa_float_denorm_mode_32 3
		.amdhsa_float_denorm_mode_16_64 3
		.amdhsa_fp16_overflow 0
		.amdhsa_memory_ordered 1
		.amdhsa_forward_progress 1
		.amdhsa_inst_pref_size 6
		.amdhsa_round_robin_scheduling 0
		.amdhsa_exception_fp_ieee_invalid_op 0
		.amdhsa_exception_fp_denorm_src 0
		.amdhsa_exception_fp_ieee_div_zero 0
		.amdhsa_exception_fp_ieee_overflow 0
		.amdhsa_exception_fp_ieee_underflow 0
		.amdhsa_exception_fp_ieee_inexact 0
		.amdhsa_exception_int_div_zero 0
	.end_amdhsa_kernel
	.section	.text._ZN7rocprim17ROCPRIM_400000_NS6detail30init_device_scan_by_key_kernelINS1_19lookback_scan_stateINS0_5tupleIJxbEEELb1ELb0EEEN6thrust23THRUST_200600_302600_NS6detail15normal_iteratorINS8_10device_ptrIxEEEEjNS1_16block_id_wrapperIjLb0EEEEEvT_jjPNSG_10value_typeET0_PNSt15iterator_traitsISJ_E10value_typeEmT1_T2_,"axG",@progbits,_ZN7rocprim17ROCPRIM_400000_NS6detail30init_device_scan_by_key_kernelINS1_19lookback_scan_stateINS0_5tupleIJxbEEELb1ELb0EEEN6thrust23THRUST_200600_302600_NS6detail15normal_iteratorINS8_10device_ptrIxEEEEjNS1_16block_id_wrapperIjLb0EEEEEvT_jjPNSG_10value_typeET0_PNSt15iterator_traitsISJ_E10value_typeEmT1_T2_,comdat
.Lfunc_end25:
	.size	_ZN7rocprim17ROCPRIM_400000_NS6detail30init_device_scan_by_key_kernelINS1_19lookback_scan_stateINS0_5tupleIJxbEEELb1ELb0EEEN6thrust23THRUST_200600_302600_NS6detail15normal_iteratorINS8_10device_ptrIxEEEEjNS1_16block_id_wrapperIjLb0EEEEEvT_jjPNSG_10value_typeET0_PNSt15iterator_traitsISJ_E10value_typeEmT1_T2_, .Lfunc_end25-_ZN7rocprim17ROCPRIM_400000_NS6detail30init_device_scan_by_key_kernelINS1_19lookback_scan_stateINS0_5tupleIJxbEEELb1ELb0EEEN6thrust23THRUST_200600_302600_NS6detail15normal_iteratorINS8_10device_ptrIxEEEEjNS1_16block_id_wrapperIjLb0EEEEEvT_jjPNSG_10value_typeET0_PNSt15iterator_traitsISJ_E10value_typeEmT1_T2_
                                        ; -- End function
	.set _ZN7rocprim17ROCPRIM_400000_NS6detail30init_device_scan_by_key_kernelINS1_19lookback_scan_stateINS0_5tupleIJxbEEELb1ELb0EEEN6thrust23THRUST_200600_302600_NS6detail15normal_iteratorINS8_10device_ptrIxEEEEjNS1_16block_id_wrapperIjLb0EEEEEvT_jjPNSG_10value_typeET0_PNSt15iterator_traitsISJ_E10value_typeEmT1_T2_.num_vgpr, 8
	.set _ZN7rocprim17ROCPRIM_400000_NS6detail30init_device_scan_by_key_kernelINS1_19lookback_scan_stateINS0_5tupleIJxbEEELb1ELb0EEEN6thrust23THRUST_200600_302600_NS6detail15normal_iteratorINS8_10device_ptrIxEEEEjNS1_16block_id_wrapperIjLb0EEEEEvT_jjPNSG_10value_typeET0_PNSt15iterator_traitsISJ_E10value_typeEmT1_T2_.num_agpr, 0
	.set _ZN7rocprim17ROCPRIM_400000_NS6detail30init_device_scan_by_key_kernelINS1_19lookback_scan_stateINS0_5tupleIJxbEEELb1ELb0EEEN6thrust23THRUST_200600_302600_NS6detail15normal_iteratorINS8_10device_ptrIxEEEEjNS1_16block_id_wrapperIjLb0EEEEEvT_jjPNSG_10value_typeET0_PNSt15iterator_traitsISJ_E10value_typeEmT1_T2_.numbered_sgpr, 22
	.set _ZN7rocprim17ROCPRIM_400000_NS6detail30init_device_scan_by_key_kernelINS1_19lookback_scan_stateINS0_5tupleIJxbEEELb1ELb0EEEN6thrust23THRUST_200600_302600_NS6detail15normal_iteratorINS8_10device_ptrIxEEEEjNS1_16block_id_wrapperIjLb0EEEEEvT_jjPNSG_10value_typeET0_PNSt15iterator_traitsISJ_E10value_typeEmT1_T2_.num_named_barrier, 0
	.set _ZN7rocprim17ROCPRIM_400000_NS6detail30init_device_scan_by_key_kernelINS1_19lookback_scan_stateINS0_5tupleIJxbEEELb1ELb0EEEN6thrust23THRUST_200600_302600_NS6detail15normal_iteratorINS8_10device_ptrIxEEEEjNS1_16block_id_wrapperIjLb0EEEEEvT_jjPNSG_10value_typeET0_PNSt15iterator_traitsISJ_E10value_typeEmT1_T2_.private_seg_size, 0
	.set _ZN7rocprim17ROCPRIM_400000_NS6detail30init_device_scan_by_key_kernelINS1_19lookback_scan_stateINS0_5tupleIJxbEEELb1ELb0EEEN6thrust23THRUST_200600_302600_NS6detail15normal_iteratorINS8_10device_ptrIxEEEEjNS1_16block_id_wrapperIjLb0EEEEEvT_jjPNSG_10value_typeET0_PNSt15iterator_traitsISJ_E10value_typeEmT1_T2_.uses_vcc, 1
	.set _ZN7rocprim17ROCPRIM_400000_NS6detail30init_device_scan_by_key_kernelINS1_19lookback_scan_stateINS0_5tupleIJxbEEELb1ELb0EEEN6thrust23THRUST_200600_302600_NS6detail15normal_iteratorINS8_10device_ptrIxEEEEjNS1_16block_id_wrapperIjLb0EEEEEvT_jjPNSG_10value_typeET0_PNSt15iterator_traitsISJ_E10value_typeEmT1_T2_.uses_flat_scratch, 0
	.set _ZN7rocprim17ROCPRIM_400000_NS6detail30init_device_scan_by_key_kernelINS1_19lookback_scan_stateINS0_5tupleIJxbEEELb1ELb0EEEN6thrust23THRUST_200600_302600_NS6detail15normal_iteratorINS8_10device_ptrIxEEEEjNS1_16block_id_wrapperIjLb0EEEEEvT_jjPNSG_10value_typeET0_PNSt15iterator_traitsISJ_E10value_typeEmT1_T2_.has_dyn_sized_stack, 0
	.set _ZN7rocprim17ROCPRIM_400000_NS6detail30init_device_scan_by_key_kernelINS1_19lookback_scan_stateINS0_5tupleIJxbEEELb1ELb0EEEN6thrust23THRUST_200600_302600_NS6detail15normal_iteratorINS8_10device_ptrIxEEEEjNS1_16block_id_wrapperIjLb0EEEEEvT_jjPNSG_10value_typeET0_PNSt15iterator_traitsISJ_E10value_typeEmT1_T2_.has_recursion, 0
	.set _ZN7rocprim17ROCPRIM_400000_NS6detail30init_device_scan_by_key_kernelINS1_19lookback_scan_stateINS0_5tupleIJxbEEELb1ELb0EEEN6thrust23THRUST_200600_302600_NS6detail15normal_iteratorINS8_10device_ptrIxEEEEjNS1_16block_id_wrapperIjLb0EEEEEvT_jjPNSG_10value_typeET0_PNSt15iterator_traitsISJ_E10value_typeEmT1_T2_.has_indirect_call, 0
	.section	.AMDGPU.csdata,"",@progbits
; Kernel info:
; codeLenInByte = 712
; TotalNumSgprs: 24
; NumVgprs: 8
; ScratchSize: 0
; MemoryBound: 0
; FloatMode: 240
; IeeeMode: 1
; LDSByteSize: 0 bytes/workgroup (compile time only)
; SGPRBlocks: 0
; VGPRBlocks: 0
; NumSGPRsForWavesPerEU: 24
; NumVGPRsForWavesPerEU: 8
; NamedBarCnt: 0
; Occupancy: 16
; WaveLimiterHint : 0
; COMPUTE_PGM_RSRC2:SCRATCH_EN: 0
; COMPUTE_PGM_RSRC2:USER_SGPR: 2
; COMPUTE_PGM_RSRC2:TRAP_HANDLER: 0
; COMPUTE_PGM_RSRC2:TGID_X_EN: 1
; COMPUTE_PGM_RSRC2:TGID_Y_EN: 0
; COMPUTE_PGM_RSRC2:TGID_Z_EN: 0
; COMPUTE_PGM_RSRC2:TIDIG_COMP_CNT: 0
	.section	.text._ZN7rocprim17ROCPRIM_400000_NS6detail30init_device_scan_by_key_kernelINS1_19lookback_scan_stateINS0_5tupleIJxbEEELb1ELb0EEENS1_16block_id_wrapperIjLb0EEEEEvT_jjPNS9_10value_typeET0_,"axG",@progbits,_ZN7rocprim17ROCPRIM_400000_NS6detail30init_device_scan_by_key_kernelINS1_19lookback_scan_stateINS0_5tupleIJxbEEELb1ELb0EEENS1_16block_id_wrapperIjLb0EEEEEvT_jjPNS9_10value_typeET0_,comdat
	.protected	_ZN7rocprim17ROCPRIM_400000_NS6detail30init_device_scan_by_key_kernelINS1_19lookback_scan_stateINS0_5tupleIJxbEEELb1ELb0EEENS1_16block_id_wrapperIjLb0EEEEEvT_jjPNS9_10value_typeET0_ ; -- Begin function _ZN7rocprim17ROCPRIM_400000_NS6detail30init_device_scan_by_key_kernelINS1_19lookback_scan_stateINS0_5tupleIJxbEEELb1ELb0EEENS1_16block_id_wrapperIjLb0EEEEEvT_jjPNS9_10value_typeET0_
	.globl	_ZN7rocprim17ROCPRIM_400000_NS6detail30init_device_scan_by_key_kernelINS1_19lookback_scan_stateINS0_5tupleIJxbEEELb1ELb0EEENS1_16block_id_wrapperIjLb0EEEEEvT_jjPNS9_10value_typeET0_
	.p2align	8
	.type	_ZN7rocprim17ROCPRIM_400000_NS6detail30init_device_scan_by_key_kernelINS1_19lookback_scan_stateINS0_5tupleIJxbEEELb1ELb0EEENS1_16block_id_wrapperIjLb0EEEEEvT_jjPNS9_10value_typeET0_,@function
_ZN7rocprim17ROCPRIM_400000_NS6detail30init_device_scan_by_key_kernelINS1_19lookback_scan_stateINS0_5tupleIJxbEEELb1ELb0EEENS1_16block_id_wrapperIjLb0EEEEEvT_jjPNS9_10value_typeET0_: ; @_ZN7rocprim17ROCPRIM_400000_NS6detail30init_device_scan_by_key_kernelINS1_19lookback_scan_stateINS0_5tupleIJxbEEELb1ELb0EEENS1_16block_id_wrapperIjLb0EEEEEvT_jjPNS9_10value_typeET0_
; %bb.0:
	s_clause 0x2
	s_load_b32 s8, s[0:1], 0x3c
	s_load_b128 s[4:7], s[0:1], 0x10
	s_load_b64 s[2:3], s[0:1], 0x20
	s_bfe_u32 s9, ttmp6, 0x4000c
	s_and_b32 s10, ttmp6, 15
	s_add_co_i32 s9, s9, 1
	s_getreg_b32 s11, hwreg(HW_REG_IB_STS2, 6, 4)
	s_mul_i32 s9, ttmp9, s9
	s_delay_alu instid0(SALU_CYCLE_1)
	s_add_co_i32 s10, s10, s9
	s_wait_kmcnt 0x0
	s_and_b32 s8, s8, 0xffff
	s_cmp_eq_u32 s11, 0
	s_cselect_b32 s9, ttmp9, s10
	s_cmp_eq_u64 s[2:3], 0
	v_mad_u32 v0, s9, s8, v0
	s_cbranch_scc1 .LBB26_9
; %bb.1:
	s_cmp_lt_u32 s7, s6
	s_mov_b32 s14, exec_lo
	s_cselect_b32 s8, s7, 0
	s_delay_alu instid0(VALU_DEP_1) | instid1(SALU_CYCLE_1)
	v_cmpx_eq_u32_e64 s8, v0
	s_cbranch_execz .LBB26_8
; %bb.2:
	s_add_co_i32 s12, s7, 32
	s_load_b128 s[8:11], s[0:1], 0x0
	v_mov_b32_e32 v1, s12
	s_mov_b32 s13, 0
	global_load_u8 v1, v1, s[4:5] scope:SCOPE_DEV
	s_wait_loadcnt 0x0
	v_and_b32_e32 v2, 0xffff, v1
	v_readfirstlane_b32 s15, v1
	s_delay_alu instid0(VALU_DEP_2)
	v_cmp_ne_u32_e32 vcc_lo, 0, v2
	s_cbranch_vccnz .LBB26_7
; %bb.3:
	v_mov_b32_e32 v1, 0
	s_add_nc_u64 s[0:1], s[4:5], s[12:13]
	s_mov_b32 s7, 1
.LBB26_4:                               ; =>This Loop Header: Depth=1
                                        ;     Child Loop BB26_5 Depth 2
	s_delay_alu instid0(SALU_CYCLE_1)
	s_mov_b32 s15, s7
.LBB26_5:                               ;   Parent Loop BB26_4 Depth=1
                                        ; =>  This Inner Loop Header: Depth=2
	s_delay_alu instid0(SALU_CYCLE_1)
	s_add_co_i32 s15, s15, -1
	s_sleep 1
	s_cmp_eq_u32 s15, 0
	s_cbranch_scc0 .LBB26_5
; %bb.6:                                ;   in Loop: Header=BB26_4 Depth=1
	global_load_u8 v2, v1, s[0:1] scope:SCOPE_DEV
	s_cmp_lt_u32 s7, 32
	s_cselect_b32 s15, -1, 0
	s_delay_alu instid0(SALU_CYCLE_1) | instskip(SKIP_4) | instid1(VALU_DEP_2)
	s_cmp_lg_u32 s15, 0
	s_add_co_ci_u32 s7, s7, 0
	s_wait_loadcnt 0x0
	v_and_b32_e32 v3, 0xffff, v2
	v_readfirstlane_b32 s15, v2
	v_cmp_ne_u32_e32 vcc_lo, 0, v3
	s_cbranch_vccz .LBB26_4
.LBB26_7:
	s_and_b32 s0, 0xffff, s15
	v_mov_b32_e32 v1, 0
	s_cmp_eq_u32 s0, 1
	global_wb scope:SCOPE_DEV
	s_wait_storecnt 0x0
	global_inv scope:SCOPE_DEV
	s_wait_kmcnt 0x0
	s_cselect_b32 s1, s9, s11
	s_cselect_b32 s0, s8, s10
	s_lshl_b64 s[8:9], s[12:13], 4
	s_delay_alu instid0(SALU_CYCLE_1)
	s_add_nc_u64 s[0:1], s[0:1], s[8:9]
	s_clause 0x1
	global_load_b64 v[2:3], v1, s[0:1]
	global_load_u8 v4, v1, s[0:1] offset:8
	s_wait_loadcnt 0x1
	global_store_b64 v1, v[2:3], s[2:3]
	s_wait_loadcnt 0x0
	global_store_b8 v1, v4, s[2:3] offset:8
.LBB26_8:
	s_wait_xcnt 0x0
	s_or_b32 exec_lo, exec_lo, s14
.LBB26_9:
	s_delay_alu instid0(SALU_CYCLE_1) | instskip(NEXT) | instid1(VALU_DEP_1)
	s_mov_b32 s0, exec_lo
	v_cmpx_gt_u32_e64 s6, v0
	s_cbranch_execz .LBB26_11
; %bb.10:
	v_dual_mov_b32 v2, 0 :: v_dual_add_nc_u32 v1, 32, v0
	global_store_b8 v1, v2, s[4:5]
.LBB26_11:
	s_wait_xcnt 0x0
	s_or_b32 exec_lo, exec_lo, s0
	s_delay_alu instid0(SALU_CYCLE_1)
	s_mov_b32 s0, exec_lo
	v_cmpx_gt_u32_e32 32, v0
	s_cbranch_execz .LBB26_13
; %bb.12:
	v_mov_b32_e32 v1, 0xff
	global_store_b8 v0, v1, s[4:5]
.LBB26_13:
	s_endpgm
	.section	.rodata,"a",@progbits
	.p2align	6, 0x0
	.amdhsa_kernel _ZN7rocprim17ROCPRIM_400000_NS6detail30init_device_scan_by_key_kernelINS1_19lookback_scan_stateINS0_5tupleIJxbEEELb1ELb0EEENS1_16block_id_wrapperIjLb0EEEEEvT_jjPNS9_10value_typeET0_
		.amdhsa_group_segment_fixed_size 0
		.amdhsa_private_segment_fixed_size 0
		.amdhsa_kernarg_size 304
		.amdhsa_user_sgpr_count 2
		.amdhsa_user_sgpr_dispatch_ptr 0
		.amdhsa_user_sgpr_queue_ptr 0
		.amdhsa_user_sgpr_kernarg_segment_ptr 1
		.amdhsa_user_sgpr_dispatch_id 0
		.amdhsa_user_sgpr_kernarg_preload_length 0
		.amdhsa_user_sgpr_kernarg_preload_offset 0
		.amdhsa_user_sgpr_private_segment_size 0
		.amdhsa_wavefront_size32 1
		.amdhsa_uses_dynamic_stack 0
		.amdhsa_enable_private_segment 0
		.amdhsa_system_sgpr_workgroup_id_x 1
		.amdhsa_system_sgpr_workgroup_id_y 0
		.amdhsa_system_sgpr_workgroup_id_z 0
		.amdhsa_system_sgpr_workgroup_info 0
		.amdhsa_system_vgpr_workitem_id 0
		.amdhsa_next_free_vgpr 5
		.amdhsa_next_free_sgpr 16
		.amdhsa_named_barrier_count 0
		.amdhsa_reserve_vcc 1
		.amdhsa_float_round_mode_32 0
		.amdhsa_float_round_mode_16_64 0
		.amdhsa_float_denorm_mode_32 3
		.amdhsa_float_denorm_mode_16_64 3
		.amdhsa_fp16_overflow 0
		.amdhsa_memory_ordered 1
		.amdhsa_forward_progress 1
		.amdhsa_inst_pref_size 4
		.amdhsa_round_robin_scheduling 0
		.amdhsa_exception_fp_ieee_invalid_op 0
		.amdhsa_exception_fp_denorm_src 0
		.amdhsa_exception_fp_ieee_div_zero 0
		.amdhsa_exception_fp_ieee_overflow 0
		.amdhsa_exception_fp_ieee_underflow 0
		.amdhsa_exception_fp_ieee_inexact 0
		.amdhsa_exception_int_div_zero 0
	.end_amdhsa_kernel
	.section	.text._ZN7rocprim17ROCPRIM_400000_NS6detail30init_device_scan_by_key_kernelINS1_19lookback_scan_stateINS0_5tupleIJxbEEELb1ELb0EEENS1_16block_id_wrapperIjLb0EEEEEvT_jjPNS9_10value_typeET0_,"axG",@progbits,_ZN7rocprim17ROCPRIM_400000_NS6detail30init_device_scan_by_key_kernelINS1_19lookback_scan_stateINS0_5tupleIJxbEEELb1ELb0EEENS1_16block_id_wrapperIjLb0EEEEEvT_jjPNS9_10value_typeET0_,comdat
.Lfunc_end26:
	.size	_ZN7rocprim17ROCPRIM_400000_NS6detail30init_device_scan_by_key_kernelINS1_19lookback_scan_stateINS0_5tupleIJxbEEELb1ELb0EEENS1_16block_id_wrapperIjLb0EEEEEvT_jjPNS9_10value_typeET0_, .Lfunc_end26-_ZN7rocprim17ROCPRIM_400000_NS6detail30init_device_scan_by_key_kernelINS1_19lookback_scan_stateINS0_5tupleIJxbEEELb1ELb0EEENS1_16block_id_wrapperIjLb0EEEEEvT_jjPNS9_10value_typeET0_
                                        ; -- End function
	.set _ZN7rocprim17ROCPRIM_400000_NS6detail30init_device_scan_by_key_kernelINS1_19lookback_scan_stateINS0_5tupleIJxbEEELb1ELb0EEENS1_16block_id_wrapperIjLb0EEEEEvT_jjPNS9_10value_typeET0_.num_vgpr, 5
	.set _ZN7rocprim17ROCPRIM_400000_NS6detail30init_device_scan_by_key_kernelINS1_19lookback_scan_stateINS0_5tupleIJxbEEELb1ELb0EEENS1_16block_id_wrapperIjLb0EEEEEvT_jjPNS9_10value_typeET0_.num_agpr, 0
	.set _ZN7rocprim17ROCPRIM_400000_NS6detail30init_device_scan_by_key_kernelINS1_19lookback_scan_stateINS0_5tupleIJxbEEELb1ELb0EEENS1_16block_id_wrapperIjLb0EEEEEvT_jjPNS9_10value_typeET0_.numbered_sgpr, 16
	.set _ZN7rocprim17ROCPRIM_400000_NS6detail30init_device_scan_by_key_kernelINS1_19lookback_scan_stateINS0_5tupleIJxbEEELb1ELb0EEENS1_16block_id_wrapperIjLb0EEEEEvT_jjPNS9_10value_typeET0_.num_named_barrier, 0
	.set _ZN7rocprim17ROCPRIM_400000_NS6detail30init_device_scan_by_key_kernelINS1_19lookback_scan_stateINS0_5tupleIJxbEEELb1ELb0EEENS1_16block_id_wrapperIjLb0EEEEEvT_jjPNS9_10value_typeET0_.private_seg_size, 0
	.set _ZN7rocprim17ROCPRIM_400000_NS6detail30init_device_scan_by_key_kernelINS1_19lookback_scan_stateINS0_5tupleIJxbEEELb1ELb0EEENS1_16block_id_wrapperIjLb0EEEEEvT_jjPNS9_10value_typeET0_.uses_vcc, 1
	.set _ZN7rocprim17ROCPRIM_400000_NS6detail30init_device_scan_by_key_kernelINS1_19lookback_scan_stateINS0_5tupleIJxbEEELb1ELb0EEENS1_16block_id_wrapperIjLb0EEEEEvT_jjPNS9_10value_typeET0_.uses_flat_scratch, 0
	.set _ZN7rocprim17ROCPRIM_400000_NS6detail30init_device_scan_by_key_kernelINS1_19lookback_scan_stateINS0_5tupleIJxbEEELb1ELb0EEENS1_16block_id_wrapperIjLb0EEEEEvT_jjPNS9_10value_typeET0_.has_dyn_sized_stack, 0
	.set _ZN7rocprim17ROCPRIM_400000_NS6detail30init_device_scan_by_key_kernelINS1_19lookback_scan_stateINS0_5tupleIJxbEEELb1ELb0EEENS1_16block_id_wrapperIjLb0EEEEEvT_jjPNS9_10value_typeET0_.has_recursion, 0
	.set _ZN7rocprim17ROCPRIM_400000_NS6detail30init_device_scan_by_key_kernelINS1_19lookback_scan_stateINS0_5tupleIJxbEEELb1ELb0EEENS1_16block_id_wrapperIjLb0EEEEEvT_jjPNS9_10value_typeET0_.has_indirect_call, 0
	.section	.AMDGPU.csdata,"",@progbits
; Kernel info:
; codeLenInByte = 504
; TotalNumSgprs: 18
; NumVgprs: 5
; ScratchSize: 0
; MemoryBound: 0
; FloatMode: 240
; IeeeMode: 1
; LDSByteSize: 0 bytes/workgroup (compile time only)
; SGPRBlocks: 0
; VGPRBlocks: 0
; NumSGPRsForWavesPerEU: 18
; NumVGPRsForWavesPerEU: 5
; NamedBarCnt: 0
; Occupancy: 16
; WaveLimiterHint : 0
; COMPUTE_PGM_RSRC2:SCRATCH_EN: 0
; COMPUTE_PGM_RSRC2:USER_SGPR: 2
; COMPUTE_PGM_RSRC2:TRAP_HANDLER: 0
; COMPUTE_PGM_RSRC2:TGID_X_EN: 1
; COMPUTE_PGM_RSRC2:TGID_Y_EN: 0
; COMPUTE_PGM_RSRC2:TGID_Z_EN: 0
; COMPUTE_PGM_RSRC2:TIDIG_COMP_CNT: 0
	.section	.text._ZN7rocprim17ROCPRIM_400000_NS6detail17trampoline_kernelINS0_14default_configENS1_27scan_by_key_config_selectorIxxEEZZNS1_16scan_by_key_implILNS1_25lookback_scan_determinismE0ELb0ES3_N6thrust23THRUST_200600_302600_NS6detail15normal_iteratorINS9_10device_ptrIxEEEESE_SE_xNS9_4plusIvEENS9_8equal_toIvEExEE10hipError_tPvRmT2_T3_T4_T5_mT6_T7_P12ihipStream_tbENKUlT_T0_E_clISt17integral_constantIbLb1EESY_IbLb0EEEEDaSU_SV_EUlSU_E_NS1_11comp_targetILNS1_3genE0ELNS1_11target_archE4294967295ELNS1_3gpuE0ELNS1_3repE0EEENS1_30default_config_static_selectorELNS0_4arch9wavefront6targetE0EEEvT1_,"axG",@progbits,_ZN7rocprim17ROCPRIM_400000_NS6detail17trampoline_kernelINS0_14default_configENS1_27scan_by_key_config_selectorIxxEEZZNS1_16scan_by_key_implILNS1_25lookback_scan_determinismE0ELb0ES3_N6thrust23THRUST_200600_302600_NS6detail15normal_iteratorINS9_10device_ptrIxEEEESE_SE_xNS9_4plusIvEENS9_8equal_toIvEExEE10hipError_tPvRmT2_T3_T4_T5_mT6_T7_P12ihipStream_tbENKUlT_T0_E_clISt17integral_constantIbLb1EESY_IbLb0EEEEDaSU_SV_EUlSU_E_NS1_11comp_targetILNS1_3genE0ELNS1_11target_archE4294967295ELNS1_3gpuE0ELNS1_3repE0EEENS1_30default_config_static_selectorELNS0_4arch9wavefront6targetE0EEEvT1_,comdat
	.protected	_ZN7rocprim17ROCPRIM_400000_NS6detail17trampoline_kernelINS0_14default_configENS1_27scan_by_key_config_selectorIxxEEZZNS1_16scan_by_key_implILNS1_25lookback_scan_determinismE0ELb0ES3_N6thrust23THRUST_200600_302600_NS6detail15normal_iteratorINS9_10device_ptrIxEEEESE_SE_xNS9_4plusIvEENS9_8equal_toIvEExEE10hipError_tPvRmT2_T3_T4_T5_mT6_T7_P12ihipStream_tbENKUlT_T0_E_clISt17integral_constantIbLb1EESY_IbLb0EEEEDaSU_SV_EUlSU_E_NS1_11comp_targetILNS1_3genE0ELNS1_11target_archE4294967295ELNS1_3gpuE0ELNS1_3repE0EEENS1_30default_config_static_selectorELNS0_4arch9wavefront6targetE0EEEvT1_ ; -- Begin function _ZN7rocprim17ROCPRIM_400000_NS6detail17trampoline_kernelINS0_14default_configENS1_27scan_by_key_config_selectorIxxEEZZNS1_16scan_by_key_implILNS1_25lookback_scan_determinismE0ELb0ES3_N6thrust23THRUST_200600_302600_NS6detail15normal_iteratorINS9_10device_ptrIxEEEESE_SE_xNS9_4plusIvEENS9_8equal_toIvEExEE10hipError_tPvRmT2_T3_T4_T5_mT6_T7_P12ihipStream_tbENKUlT_T0_E_clISt17integral_constantIbLb1EESY_IbLb0EEEEDaSU_SV_EUlSU_E_NS1_11comp_targetILNS1_3genE0ELNS1_11target_archE4294967295ELNS1_3gpuE0ELNS1_3repE0EEENS1_30default_config_static_selectorELNS0_4arch9wavefront6targetE0EEEvT1_
	.globl	_ZN7rocprim17ROCPRIM_400000_NS6detail17trampoline_kernelINS0_14default_configENS1_27scan_by_key_config_selectorIxxEEZZNS1_16scan_by_key_implILNS1_25lookback_scan_determinismE0ELb0ES3_N6thrust23THRUST_200600_302600_NS6detail15normal_iteratorINS9_10device_ptrIxEEEESE_SE_xNS9_4plusIvEENS9_8equal_toIvEExEE10hipError_tPvRmT2_T3_T4_T5_mT6_T7_P12ihipStream_tbENKUlT_T0_E_clISt17integral_constantIbLb1EESY_IbLb0EEEEDaSU_SV_EUlSU_E_NS1_11comp_targetILNS1_3genE0ELNS1_11target_archE4294967295ELNS1_3gpuE0ELNS1_3repE0EEENS1_30default_config_static_selectorELNS0_4arch9wavefront6targetE0EEEvT1_
	.p2align	8
	.type	_ZN7rocprim17ROCPRIM_400000_NS6detail17trampoline_kernelINS0_14default_configENS1_27scan_by_key_config_selectorIxxEEZZNS1_16scan_by_key_implILNS1_25lookback_scan_determinismE0ELb0ES3_N6thrust23THRUST_200600_302600_NS6detail15normal_iteratorINS9_10device_ptrIxEEEESE_SE_xNS9_4plusIvEENS9_8equal_toIvEExEE10hipError_tPvRmT2_T3_T4_T5_mT6_T7_P12ihipStream_tbENKUlT_T0_E_clISt17integral_constantIbLb1EESY_IbLb0EEEEDaSU_SV_EUlSU_E_NS1_11comp_targetILNS1_3genE0ELNS1_11target_archE4294967295ELNS1_3gpuE0ELNS1_3repE0EEENS1_30default_config_static_selectorELNS0_4arch9wavefront6targetE0EEEvT1_,@function
_ZN7rocprim17ROCPRIM_400000_NS6detail17trampoline_kernelINS0_14default_configENS1_27scan_by_key_config_selectorIxxEEZZNS1_16scan_by_key_implILNS1_25lookback_scan_determinismE0ELb0ES3_N6thrust23THRUST_200600_302600_NS6detail15normal_iteratorINS9_10device_ptrIxEEEESE_SE_xNS9_4plusIvEENS9_8equal_toIvEExEE10hipError_tPvRmT2_T3_T4_T5_mT6_T7_P12ihipStream_tbENKUlT_T0_E_clISt17integral_constantIbLb1EESY_IbLb0EEEEDaSU_SV_EUlSU_E_NS1_11comp_targetILNS1_3genE0ELNS1_11target_archE4294967295ELNS1_3gpuE0ELNS1_3repE0EEENS1_30default_config_static_selectorELNS0_4arch9wavefront6targetE0EEEvT1_: ; @_ZN7rocprim17ROCPRIM_400000_NS6detail17trampoline_kernelINS0_14default_configENS1_27scan_by_key_config_selectorIxxEEZZNS1_16scan_by_key_implILNS1_25lookback_scan_determinismE0ELb0ES3_N6thrust23THRUST_200600_302600_NS6detail15normal_iteratorINS9_10device_ptrIxEEEESE_SE_xNS9_4plusIvEENS9_8equal_toIvEExEE10hipError_tPvRmT2_T3_T4_T5_mT6_T7_P12ihipStream_tbENKUlT_T0_E_clISt17integral_constantIbLb1EESY_IbLb0EEEEDaSU_SV_EUlSU_E_NS1_11comp_targetILNS1_3genE0ELNS1_11target_archE4294967295ELNS1_3gpuE0ELNS1_3repE0EEENS1_30default_config_static_selectorELNS0_4arch9wavefront6targetE0EEEvT1_
; %bb.0:
	s_endpgm
	.section	.rodata,"a",@progbits
	.p2align	6, 0x0
	.amdhsa_kernel _ZN7rocprim17ROCPRIM_400000_NS6detail17trampoline_kernelINS0_14default_configENS1_27scan_by_key_config_selectorIxxEEZZNS1_16scan_by_key_implILNS1_25lookback_scan_determinismE0ELb0ES3_N6thrust23THRUST_200600_302600_NS6detail15normal_iteratorINS9_10device_ptrIxEEEESE_SE_xNS9_4plusIvEENS9_8equal_toIvEExEE10hipError_tPvRmT2_T3_T4_T5_mT6_T7_P12ihipStream_tbENKUlT_T0_E_clISt17integral_constantIbLb1EESY_IbLb0EEEEDaSU_SV_EUlSU_E_NS1_11comp_targetILNS1_3genE0ELNS1_11target_archE4294967295ELNS1_3gpuE0ELNS1_3repE0EEENS1_30default_config_static_selectorELNS0_4arch9wavefront6targetE0EEEvT1_
		.amdhsa_group_segment_fixed_size 0
		.amdhsa_private_segment_fixed_size 0
		.amdhsa_kernarg_size 136
		.amdhsa_user_sgpr_count 2
		.amdhsa_user_sgpr_dispatch_ptr 0
		.amdhsa_user_sgpr_queue_ptr 0
		.amdhsa_user_sgpr_kernarg_segment_ptr 1
		.amdhsa_user_sgpr_dispatch_id 0
		.amdhsa_user_sgpr_kernarg_preload_length 0
		.amdhsa_user_sgpr_kernarg_preload_offset 0
		.amdhsa_user_sgpr_private_segment_size 0
		.amdhsa_wavefront_size32 1
		.amdhsa_uses_dynamic_stack 0
		.amdhsa_enable_private_segment 0
		.amdhsa_system_sgpr_workgroup_id_x 1
		.amdhsa_system_sgpr_workgroup_id_y 0
		.amdhsa_system_sgpr_workgroup_id_z 0
		.amdhsa_system_sgpr_workgroup_info 0
		.amdhsa_system_vgpr_workitem_id 0
		.amdhsa_next_free_vgpr 1
		.amdhsa_next_free_sgpr 1
		.amdhsa_named_barrier_count 0
		.amdhsa_reserve_vcc 0
		.amdhsa_float_round_mode_32 0
		.amdhsa_float_round_mode_16_64 0
		.amdhsa_float_denorm_mode_32 3
		.amdhsa_float_denorm_mode_16_64 3
		.amdhsa_fp16_overflow 0
		.amdhsa_memory_ordered 1
		.amdhsa_forward_progress 1
		.amdhsa_inst_pref_size 1
		.amdhsa_round_robin_scheduling 0
		.amdhsa_exception_fp_ieee_invalid_op 0
		.amdhsa_exception_fp_denorm_src 0
		.amdhsa_exception_fp_ieee_div_zero 0
		.amdhsa_exception_fp_ieee_overflow 0
		.amdhsa_exception_fp_ieee_underflow 0
		.amdhsa_exception_fp_ieee_inexact 0
		.amdhsa_exception_int_div_zero 0
	.end_amdhsa_kernel
	.section	.text._ZN7rocprim17ROCPRIM_400000_NS6detail17trampoline_kernelINS0_14default_configENS1_27scan_by_key_config_selectorIxxEEZZNS1_16scan_by_key_implILNS1_25lookback_scan_determinismE0ELb0ES3_N6thrust23THRUST_200600_302600_NS6detail15normal_iteratorINS9_10device_ptrIxEEEESE_SE_xNS9_4plusIvEENS9_8equal_toIvEExEE10hipError_tPvRmT2_T3_T4_T5_mT6_T7_P12ihipStream_tbENKUlT_T0_E_clISt17integral_constantIbLb1EESY_IbLb0EEEEDaSU_SV_EUlSU_E_NS1_11comp_targetILNS1_3genE0ELNS1_11target_archE4294967295ELNS1_3gpuE0ELNS1_3repE0EEENS1_30default_config_static_selectorELNS0_4arch9wavefront6targetE0EEEvT1_,"axG",@progbits,_ZN7rocprim17ROCPRIM_400000_NS6detail17trampoline_kernelINS0_14default_configENS1_27scan_by_key_config_selectorIxxEEZZNS1_16scan_by_key_implILNS1_25lookback_scan_determinismE0ELb0ES3_N6thrust23THRUST_200600_302600_NS6detail15normal_iteratorINS9_10device_ptrIxEEEESE_SE_xNS9_4plusIvEENS9_8equal_toIvEExEE10hipError_tPvRmT2_T3_T4_T5_mT6_T7_P12ihipStream_tbENKUlT_T0_E_clISt17integral_constantIbLb1EESY_IbLb0EEEEDaSU_SV_EUlSU_E_NS1_11comp_targetILNS1_3genE0ELNS1_11target_archE4294967295ELNS1_3gpuE0ELNS1_3repE0EEENS1_30default_config_static_selectorELNS0_4arch9wavefront6targetE0EEEvT1_,comdat
.Lfunc_end27:
	.size	_ZN7rocprim17ROCPRIM_400000_NS6detail17trampoline_kernelINS0_14default_configENS1_27scan_by_key_config_selectorIxxEEZZNS1_16scan_by_key_implILNS1_25lookback_scan_determinismE0ELb0ES3_N6thrust23THRUST_200600_302600_NS6detail15normal_iteratorINS9_10device_ptrIxEEEESE_SE_xNS9_4plusIvEENS9_8equal_toIvEExEE10hipError_tPvRmT2_T3_T4_T5_mT6_T7_P12ihipStream_tbENKUlT_T0_E_clISt17integral_constantIbLb1EESY_IbLb0EEEEDaSU_SV_EUlSU_E_NS1_11comp_targetILNS1_3genE0ELNS1_11target_archE4294967295ELNS1_3gpuE0ELNS1_3repE0EEENS1_30default_config_static_selectorELNS0_4arch9wavefront6targetE0EEEvT1_, .Lfunc_end27-_ZN7rocprim17ROCPRIM_400000_NS6detail17trampoline_kernelINS0_14default_configENS1_27scan_by_key_config_selectorIxxEEZZNS1_16scan_by_key_implILNS1_25lookback_scan_determinismE0ELb0ES3_N6thrust23THRUST_200600_302600_NS6detail15normal_iteratorINS9_10device_ptrIxEEEESE_SE_xNS9_4plusIvEENS9_8equal_toIvEExEE10hipError_tPvRmT2_T3_T4_T5_mT6_T7_P12ihipStream_tbENKUlT_T0_E_clISt17integral_constantIbLb1EESY_IbLb0EEEEDaSU_SV_EUlSU_E_NS1_11comp_targetILNS1_3genE0ELNS1_11target_archE4294967295ELNS1_3gpuE0ELNS1_3repE0EEENS1_30default_config_static_selectorELNS0_4arch9wavefront6targetE0EEEvT1_
                                        ; -- End function
	.set _ZN7rocprim17ROCPRIM_400000_NS6detail17trampoline_kernelINS0_14default_configENS1_27scan_by_key_config_selectorIxxEEZZNS1_16scan_by_key_implILNS1_25lookback_scan_determinismE0ELb0ES3_N6thrust23THRUST_200600_302600_NS6detail15normal_iteratorINS9_10device_ptrIxEEEESE_SE_xNS9_4plusIvEENS9_8equal_toIvEExEE10hipError_tPvRmT2_T3_T4_T5_mT6_T7_P12ihipStream_tbENKUlT_T0_E_clISt17integral_constantIbLb1EESY_IbLb0EEEEDaSU_SV_EUlSU_E_NS1_11comp_targetILNS1_3genE0ELNS1_11target_archE4294967295ELNS1_3gpuE0ELNS1_3repE0EEENS1_30default_config_static_selectorELNS0_4arch9wavefront6targetE0EEEvT1_.num_vgpr, 0
	.set _ZN7rocprim17ROCPRIM_400000_NS6detail17trampoline_kernelINS0_14default_configENS1_27scan_by_key_config_selectorIxxEEZZNS1_16scan_by_key_implILNS1_25lookback_scan_determinismE0ELb0ES3_N6thrust23THRUST_200600_302600_NS6detail15normal_iteratorINS9_10device_ptrIxEEEESE_SE_xNS9_4plusIvEENS9_8equal_toIvEExEE10hipError_tPvRmT2_T3_T4_T5_mT6_T7_P12ihipStream_tbENKUlT_T0_E_clISt17integral_constantIbLb1EESY_IbLb0EEEEDaSU_SV_EUlSU_E_NS1_11comp_targetILNS1_3genE0ELNS1_11target_archE4294967295ELNS1_3gpuE0ELNS1_3repE0EEENS1_30default_config_static_selectorELNS0_4arch9wavefront6targetE0EEEvT1_.num_agpr, 0
	.set _ZN7rocprim17ROCPRIM_400000_NS6detail17trampoline_kernelINS0_14default_configENS1_27scan_by_key_config_selectorIxxEEZZNS1_16scan_by_key_implILNS1_25lookback_scan_determinismE0ELb0ES3_N6thrust23THRUST_200600_302600_NS6detail15normal_iteratorINS9_10device_ptrIxEEEESE_SE_xNS9_4plusIvEENS9_8equal_toIvEExEE10hipError_tPvRmT2_T3_T4_T5_mT6_T7_P12ihipStream_tbENKUlT_T0_E_clISt17integral_constantIbLb1EESY_IbLb0EEEEDaSU_SV_EUlSU_E_NS1_11comp_targetILNS1_3genE0ELNS1_11target_archE4294967295ELNS1_3gpuE0ELNS1_3repE0EEENS1_30default_config_static_selectorELNS0_4arch9wavefront6targetE0EEEvT1_.numbered_sgpr, 0
	.set _ZN7rocprim17ROCPRIM_400000_NS6detail17trampoline_kernelINS0_14default_configENS1_27scan_by_key_config_selectorIxxEEZZNS1_16scan_by_key_implILNS1_25lookback_scan_determinismE0ELb0ES3_N6thrust23THRUST_200600_302600_NS6detail15normal_iteratorINS9_10device_ptrIxEEEESE_SE_xNS9_4plusIvEENS9_8equal_toIvEExEE10hipError_tPvRmT2_T3_T4_T5_mT6_T7_P12ihipStream_tbENKUlT_T0_E_clISt17integral_constantIbLb1EESY_IbLb0EEEEDaSU_SV_EUlSU_E_NS1_11comp_targetILNS1_3genE0ELNS1_11target_archE4294967295ELNS1_3gpuE0ELNS1_3repE0EEENS1_30default_config_static_selectorELNS0_4arch9wavefront6targetE0EEEvT1_.num_named_barrier, 0
	.set _ZN7rocprim17ROCPRIM_400000_NS6detail17trampoline_kernelINS0_14default_configENS1_27scan_by_key_config_selectorIxxEEZZNS1_16scan_by_key_implILNS1_25lookback_scan_determinismE0ELb0ES3_N6thrust23THRUST_200600_302600_NS6detail15normal_iteratorINS9_10device_ptrIxEEEESE_SE_xNS9_4plusIvEENS9_8equal_toIvEExEE10hipError_tPvRmT2_T3_T4_T5_mT6_T7_P12ihipStream_tbENKUlT_T0_E_clISt17integral_constantIbLb1EESY_IbLb0EEEEDaSU_SV_EUlSU_E_NS1_11comp_targetILNS1_3genE0ELNS1_11target_archE4294967295ELNS1_3gpuE0ELNS1_3repE0EEENS1_30default_config_static_selectorELNS0_4arch9wavefront6targetE0EEEvT1_.private_seg_size, 0
	.set _ZN7rocprim17ROCPRIM_400000_NS6detail17trampoline_kernelINS0_14default_configENS1_27scan_by_key_config_selectorIxxEEZZNS1_16scan_by_key_implILNS1_25lookback_scan_determinismE0ELb0ES3_N6thrust23THRUST_200600_302600_NS6detail15normal_iteratorINS9_10device_ptrIxEEEESE_SE_xNS9_4plusIvEENS9_8equal_toIvEExEE10hipError_tPvRmT2_T3_T4_T5_mT6_T7_P12ihipStream_tbENKUlT_T0_E_clISt17integral_constantIbLb1EESY_IbLb0EEEEDaSU_SV_EUlSU_E_NS1_11comp_targetILNS1_3genE0ELNS1_11target_archE4294967295ELNS1_3gpuE0ELNS1_3repE0EEENS1_30default_config_static_selectorELNS0_4arch9wavefront6targetE0EEEvT1_.uses_vcc, 0
	.set _ZN7rocprim17ROCPRIM_400000_NS6detail17trampoline_kernelINS0_14default_configENS1_27scan_by_key_config_selectorIxxEEZZNS1_16scan_by_key_implILNS1_25lookback_scan_determinismE0ELb0ES3_N6thrust23THRUST_200600_302600_NS6detail15normal_iteratorINS9_10device_ptrIxEEEESE_SE_xNS9_4plusIvEENS9_8equal_toIvEExEE10hipError_tPvRmT2_T3_T4_T5_mT6_T7_P12ihipStream_tbENKUlT_T0_E_clISt17integral_constantIbLb1EESY_IbLb0EEEEDaSU_SV_EUlSU_E_NS1_11comp_targetILNS1_3genE0ELNS1_11target_archE4294967295ELNS1_3gpuE0ELNS1_3repE0EEENS1_30default_config_static_selectorELNS0_4arch9wavefront6targetE0EEEvT1_.uses_flat_scratch, 0
	.set _ZN7rocprim17ROCPRIM_400000_NS6detail17trampoline_kernelINS0_14default_configENS1_27scan_by_key_config_selectorIxxEEZZNS1_16scan_by_key_implILNS1_25lookback_scan_determinismE0ELb0ES3_N6thrust23THRUST_200600_302600_NS6detail15normal_iteratorINS9_10device_ptrIxEEEESE_SE_xNS9_4plusIvEENS9_8equal_toIvEExEE10hipError_tPvRmT2_T3_T4_T5_mT6_T7_P12ihipStream_tbENKUlT_T0_E_clISt17integral_constantIbLb1EESY_IbLb0EEEEDaSU_SV_EUlSU_E_NS1_11comp_targetILNS1_3genE0ELNS1_11target_archE4294967295ELNS1_3gpuE0ELNS1_3repE0EEENS1_30default_config_static_selectorELNS0_4arch9wavefront6targetE0EEEvT1_.has_dyn_sized_stack, 0
	.set _ZN7rocprim17ROCPRIM_400000_NS6detail17trampoline_kernelINS0_14default_configENS1_27scan_by_key_config_selectorIxxEEZZNS1_16scan_by_key_implILNS1_25lookback_scan_determinismE0ELb0ES3_N6thrust23THRUST_200600_302600_NS6detail15normal_iteratorINS9_10device_ptrIxEEEESE_SE_xNS9_4plusIvEENS9_8equal_toIvEExEE10hipError_tPvRmT2_T3_T4_T5_mT6_T7_P12ihipStream_tbENKUlT_T0_E_clISt17integral_constantIbLb1EESY_IbLb0EEEEDaSU_SV_EUlSU_E_NS1_11comp_targetILNS1_3genE0ELNS1_11target_archE4294967295ELNS1_3gpuE0ELNS1_3repE0EEENS1_30default_config_static_selectorELNS0_4arch9wavefront6targetE0EEEvT1_.has_recursion, 0
	.set _ZN7rocprim17ROCPRIM_400000_NS6detail17trampoline_kernelINS0_14default_configENS1_27scan_by_key_config_selectorIxxEEZZNS1_16scan_by_key_implILNS1_25lookback_scan_determinismE0ELb0ES3_N6thrust23THRUST_200600_302600_NS6detail15normal_iteratorINS9_10device_ptrIxEEEESE_SE_xNS9_4plusIvEENS9_8equal_toIvEExEE10hipError_tPvRmT2_T3_T4_T5_mT6_T7_P12ihipStream_tbENKUlT_T0_E_clISt17integral_constantIbLb1EESY_IbLb0EEEEDaSU_SV_EUlSU_E_NS1_11comp_targetILNS1_3genE0ELNS1_11target_archE4294967295ELNS1_3gpuE0ELNS1_3repE0EEENS1_30default_config_static_selectorELNS0_4arch9wavefront6targetE0EEEvT1_.has_indirect_call, 0
	.section	.AMDGPU.csdata,"",@progbits
; Kernel info:
; codeLenInByte = 4
; TotalNumSgprs: 0
; NumVgprs: 0
; ScratchSize: 0
; MemoryBound: 0
; FloatMode: 240
; IeeeMode: 1
; LDSByteSize: 0 bytes/workgroup (compile time only)
; SGPRBlocks: 0
; VGPRBlocks: 0
; NumSGPRsForWavesPerEU: 1
; NumVGPRsForWavesPerEU: 1
; NamedBarCnt: 0
; Occupancy: 16
; WaveLimiterHint : 0
; COMPUTE_PGM_RSRC2:SCRATCH_EN: 0
; COMPUTE_PGM_RSRC2:USER_SGPR: 2
; COMPUTE_PGM_RSRC2:TRAP_HANDLER: 0
; COMPUTE_PGM_RSRC2:TGID_X_EN: 1
; COMPUTE_PGM_RSRC2:TGID_Y_EN: 0
; COMPUTE_PGM_RSRC2:TGID_Z_EN: 0
; COMPUTE_PGM_RSRC2:TIDIG_COMP_CNT: 0
	.section	.text._ZN7rocprim17ROCPRIM_400000_NS6detail17trampoline_kernelINS0_14default_configENS1_27scan_by_key_config_selectorIxxEEZZNS1_16scan_by_key_implILNS1_25lookback_scan_determinismE0ELb0ES3_N6thrust23THRUST_200600_302600_NS6detail15normal_iteratorINS9_10device_ptrIxEEEESE_SE_xNS9_4plusIvEENS9_8equal_toIvEExEE10hipError_tPvRmT2_T3_T4_T5_mT6_T7_P12ihipStream_tbENKUlT_T0_E_clISt17integral_constantIbLb1EESY_IbLb0EEEEDaSU_SV_EUlSU_E_NS1_11comp_targetILNS1_3genE10ELNS1_11target_archE1201ELNS1_3gpuE5ELNS1_3repE0EEENS1_30default_config_static_selectorELNS0_4arch9wavefront6targetE0EEEvT1_,"axG",@progbits,_ZN7rocprim17ROCPRIM_400000_NS6detail17trampoline_kernelINS0_14default_configENS1_27scan_by_key_config_selectorIxxEEZZNS1_16scan_by_key_implILNS1_25lookback_scan_determinismE0ELb0ES3_N6thrust23THRUST_200600_302600_NS6detail15normal_iteratorINS9_10device_ptrIxEEEESE_SE_xNS9_4plusIvEENS9_8equal_toIvEExEE10hipError_tPvRmT2_T3_T4_T5_mT6_T7_P12ihipStream_tbENKUlT_T0_E_clISt17integral_constantIbLb1EESY_IbLb0EEEEDaSU_SV_EUlSU_E_NS1_11comp_targetILNS1_3genE10ELNS1_11target_archE1201ELNS1_3gpuE5ELNS1_3repE0EEENS1_30default_config_static_selectorELNS0_4arch9wavefront6targetE0EEEvT1_,comdat
	.protected	_ZN7rocprim17ROCPRIM_400000_NS6detail17trampoline_kernelINS0_14default_configENS1_27scan_by_key_config_selectorIxxEEZZNS1_16scan_by_key_implILNS1_25lookback_scan_determinismE0ELb0ES3_N6thrust23THRUST_200600_302600_NS6detail15normal_iteratorINS9_10device_ptrIxEEEESE_SE_xNS9_4plusIvEENS9_8equal_toIvEExEE10hipError_tPvRmT2_T3_T4_T5_mT6_T7_P12ihipStream_tbENKUlT_T0_E_clISt17integral_constantIbLb1EESY_IbLb0EEEEDaSU_SV_EUlSU_E_NS1_11comp_targetILNS1_3genE10ELNS1_11target_archE1201ELNS1_3gpuE5ELNS1_3repE0EEENS1_30default_config_static_selectorELNS0_4arch9wavefront6targetE0EEEvT1_ ; -- Begin function _ZN7rocprim17ROCPRIM_400000_NS6detail17trampoline_kernelINS0_14default_configENS1_27scan_by_key_config_selectorIxxEEZZNS1_16scan_by_key_implILNS1_25lookback_scan_determinismE0ELb0ES3_N6thrust23THRUST_200600_302600_NS6detail15normal_iteratorINS9_10device_ptrIxEEEESE_SE_xNS9_4plusIvEENS9_8equal_toIvEExEE10hipError_tPvRmT2_T3_T4_T5_mT6_T7_P12ihipStream_tbENKUlT_T0_E_clISt17integral_constantIbLb1EESY_IbLb0EEEEDaSU_SV_EUlSU_E_NS1_11comp_targetILNS1_3genE10ELNS1_11target_archE1201ELNS1_3gpuE5ELNS1_3repE0EEENS1_30default_config_static_selectorELNS0_4arch9wavefront6targetE0EEEvT1_
	.globl	_ZN7rocprim17ROCPRIM_400000_NS6detail17trampoline_kernelINS0_14default_configENS1_27scan_by_key_config_selectorIxxEEZZNS1_16scan_by_key_implILNS1_25lookback_scan_determinismE0ELb0ES3_N6thrust23THRUST_200600_302600_NS6detail15normal_iteratorINS9_10device_ptrIxEEEESE_SE_xNS9_4plusIvEENS9_8equal_toIvEExEE10hipError_tPvRmT2_T3_T4_T5_mT6_T7_P12ihipStream_tbENKUlT_T0_E_clISt17integral_constantIbLb1EESY_IbLb0EEEEDaSU_SV_EUlSU_E_NS1_11comp_targetILNS1_3genE10ELNS1_11target_archE1201ELNS1_3gpuE5ELNS1_3repE0EEENS1_30default_config_static_selectorELNS0_4arch9wavefront6targetE0EEEvT1_
	.p2align	8
	.type	_ZN7rocprim17ROCPRIM_400000_NS6detail17trampoline_kernelINS0_14default_configENS1_27scan_by_key_config_selectorIxxEEZZNS1_16scan_by_key_implILNS1_25lookback_scan_determinismE0ELb0ES3_N6thrust23THRUST_200600_302600_NS6detail15normal_iteratorINS9_10device_ptrIxEEEESE_SE_xNS9_4plusIvEENS9_8equal_toIvEExEE10hipError_tPvRmT2_T3_T4_T5_mT6_T7_P12ihipStream_tbENKUlT_T0_E_clISt17integral_constantIbLb1EESY_IbLb0EEEEDaSU_SV_EUlSU_E_NS1_11comp_targetILNS1_3genE10ELNS1_11target_archE1201ELNS1_3gpuE5ELNS1_3repE0EEENS1_30default_config_static_selectorELNS0_4arch9wavefront6targetE0EEEvT1_,@function
_ZN7rocprim17ROCPRIM_400000_NS6detail17trampoline_kernelINS0_14default_configENS1_27scan_by_key_config_selectorIxxEEZZNS1_16scan_by_key_implILNS1_25lookback_scan_determinismE0ELb0ES3_N6thrust23THRUST_200600_302600_NS6detail15normal_iteratorINS9_10device_ptrIxEEEESE_SE_xNS9_4plusIvEENS9_8equal_toIvEExEE10hipError_tPvRmT2_T3_T4_T5_mT6_T7_P12ihipStream_tbENKUlT_T0_E_clISt17integral_constantIbLb1EESY_IbLb0EEEEDaSU_SV_EUlSU_E_NS1_11comp_targetILNS1_3genE10ELNS1_11target_archE1201ELNS1_3gpuE5ELNS1_3repE0EEENS1_30default_config_static_selectorELNS0_4arch9wavefront6targetE0EEEvT1_: ; @_ZN7rocprim17ROCPRIM_400000_NS6detail17trampoline_kernelINS0_14default_configENS1_27scan_by_key_config_selectorIxxEEZZNS1_16scan_by_key_implILNS1_25lookback_scan_determinismE0ELb0ES3_N6thrust23THRUST_200600_302600_NS6detail15normal_iteratorINS9_10device_ptrIxEEEESE_SE_xNS9_4plusIvEENS9_8equal_toIvEExEE10hipError_tPvRmT2_T3_T4_T5_mT6_T7_P12ihipStream_tbENKUlT_T0_E_clISt17integral_constantIbLb1EESY_IbLb0EEEEDaSU_SV_EUlSU_E_NS1_11comp_targetILNS1_3genE10ELNS1_11target_archE1201ELNS1_3gpuE5ELNS1_3repE0EEENS1_30default_config_static_selectorELNS0_4arch9wavefront6targetE0EEEvT1_
; %bb.0:
	.section	.rodata,"a",@progbits
	.p2align	6, 0x0
	.amdhsa_kernel _ZN7rocprim17ROCPRIM_400000_NS6detail17trampoline_kernelINS0_14default_configENS1_27scan_by_key_config_selectorIxxEEZZNS1_16scan_by_key_implILNS1_25lookback_scan_determinismE0ELb0ES3_N6thrust23THRUST_200600_302600_NS6detail15normal_iteratorINS9_10device_ptrIxEEEESE_SE_xNS9_4plusIvEENS9_8equal_toIvEExEE10hipError_tPvRmT2_T3_T4_T5_mT6_T7_P12ihipStream_tbENKUlT_T0_E_clISt17integral_constantIbLb1EESY_IbLb0EEEEDaSU_SV_EUlSU_E_NS1_11comp_targetILNS1_3genE10ELNS1_11target_archE1201ELNS1_3gpuE5ELNS1_3repE0EEENS1_30default_config_static_selectorELNS0_4arch9wavefront6targetE0EEEvT1_
		.amdhsa_group_segment_fixed_size 0
		.amdhsa_private_segment_fixed_size 0
		.amdhsa_kernarg_size 136
		.amdhsa_user_sgpr_count 2
		.amdhsa_user_sgpr_dispatch_ptr 0
		.amdhsa_user_sgpr_queue_ptr 0
		.amdhsa_user_sgpr_kernarg_segment_ptr 1
		.amdhsa_user_sgpr_dispatch_id 0
		.amdhsa_user_sgpr_kernarg_preload_length 0
		.amdhsa_user_sgpr_kernarg_preload_offset 0
		.amdhsa_user_sgpr_private_segment_size 0
		.amdhsa_wavefront_size32 1
		.amdhsa_uses_dynamic_stack 0
		.amdhsa_enable_private_segment 0
		.amdhsa_system_sgpr_workgroup_id_x 1
		.amdhsa_system_sgpr_workgroup_id_y 0
		.amdhsa_system_sgpr_workgroup_id_z 0
		.amdhsa_system_sgpr_workgroup_info 0
		.amdhsa_system_vgpr_workitem_id 0
		.amdhsa_next_free_vgpr 1
		.amdhsa_next_free_sgpr 1
		.amdhsa_named_barrier_count 0
		.amdhsa_reserve_vcc 0
		.amdhsa_float_round_mode_32 0
		.amdhsa_float_round_mode_16_64 0
		.amdhsa_float_denorm_mode_32 3
		.amdhsa_float_denorm_mode_16_64 3
		.amdhsa_fp16_overflow 0
		.amdhsa_memory_ordered 1
		.amdhsa_forward_progress 1
		.amdhsa_inst_pref_size 0
		.amdhsa_round_robin_scheduling 0
		.amdhsa_exception_fp_ieee_invalid_op 0
		.amdhsa_exception_fp_denorm_src 0
		.amdhsa_exception_fp_ieee_div_zero 0
		.amdhsa_exception_fp_ieee_overflow 0
		.amdhsa_exception_fp_ieee_underflow 0
		.amdhsa_exception_fp_ieee_inexact 0
		.amdhsa_exception_int_div_zero 0
	.end_amdhsa_kernel
	.section	.text._ZN7rocprim17ROCPRIM_400000_NS6detail17trampoline_kernelINS0_14default_configENS1_27scan_by_key_config_selectorIxxEEZZNS1_16scan_by_key_implILNS1_25lookback_scan_determinismE0ELb0ES3_N6thrust23THRUST_200600_302600_NS6detail15normal_iteratorINS9_10device_ptrIxEEEESE_SE_xNS9_4plusIvEENS9_8equal_toIvEExEE10hipError_tPvRmT2_T3_T4_T5_mT6_T7_P12ihipStream_tbENKUlT_T0_E_clISt17integral_constantIbLb1EESY_IbLb0EEEEDaSU_SV_EUlSU_E_NS1_11comp_targetILNS1_3genE10ELNS1_11target_archE1201ELNS1_3gpuE5ELNS1_3repE0EEENS1_30default_config_static_selectorELNS0_4arch9wavefront6targetE0EEEvT1_,"axG",@progbits,_ZN7rocprim17ROCPRIM_400000_NS6detail17trampoline_kernelINS0_14default_configENS1_27scan_by_key_config_selectorIxxEEZZNS1_16scan_by_key_implILNS1_25lookback_scan_determinismE0ELb0ES3_N6thrust23THRUST_200600_302600_NS6detail15normal_iteratorINS9_10device_ptrIxEEEESE_SE_xNS9_4plusIvEENS9_8equal_toIvEExEE10hipError_tPvRmT2_T3_T4_T5_mT6_T7_P12ihipStream_tbENKUlT_T0_E_clISt17integral_constantIbLb1EESY_IbLb0EEEEDaSU_SV_EUlSU_E_NS1_11comp_targetILNS1_3genE10ELNS1_11target_archE1201ELNS1_3gpuE5ELNS1_3repE0EEENS1_30default_config_static_selectorELNS0_4arch9wavefront6targetE0EEEvT1_,comdat
.Lfunc_end28:
	.size	_ZN7rocprim17ROCPRIM_400000_NS6detail17trampoline_kernelINS0_14default_configENS1_27scan_by_key_config_selectorIxxEEZZNS1_16scan_by_key_implILNS1_25lookback_scan_determinismE0ELb0ES3_N6thrust23THRUST_200600_302600_NS6detail15normal_iteratorINS9_10device_ptrIxEEEESE_SE_xNS9_4plusIvEENS9_8equal_toIvEExEE10hipError_tPvRmT2_T3_T4_T5_mT6_T7_P12ihipStream_tbENKUlT_T0_E_clISt17integral_constantIbLb1EESY_IbLb0EEEEDaSU_SV_EUlSU_E_NS1_11comp_targetILNS1_3genE10ELNS1_11target_archE1201ELNS1_3gpuE5ELNS1_3repE0EEENS1_30default_config_static_selectorELNS0_4arch9wavefront6targetE0EEEvT1_, .Lfunc_end28-_ZN7rocprim17ROCPRIM_400000_NS6detail17trampoline_kernelINS0_14default_configENS1_27scan_by_key_config_selectorIxxEEZZNS1_16scan_by_key_implILNS1_25lookback_scan_determinismE0ELb0ES3_N6thrust23THRUST_200600_302600_NS6detail15normal_iteratorINS9_10device_ptrIxEEEESE_SE_xNS9_4plusIvEENS9_8equal_toIvEExEE10hipError_tPvRmT2_T3_T4_T5_mT6_T7_P12ihipStream_tbENKUlT_T0_E_clISt17integral_constantIbLb1EESY_IbLb0EEEEDaSU_SV_EUlSU_E_NS1_11comp_targetILNS1_3genE10ELNS1_11target_archE1201ELNS1_3gpuE5ELNS1_3repE0EEENS1_30default_config_static_selectorELNS0_4arch9wavefront6targetE0EEEvT1_
                                        ; -- End function
	.set _ZN7rocprim17ROCPRIM_400000_NS6detail17trampoline_kernelINS0_14default_configENS1_27scan_by_key_config_selectorIxxEEZZNS1_16scan_by_key_implILNS1_25lookback_scan_determinismE0ELb0ES3_N6thrust23THRUST_200600_302600_NS6detail15normal_iteratorINS9_10device_ptrIxEEEESE_SE_xNS9_4plusIvEENS9_8equal_toIvEExEE10hipError_tPvRmT2_T3_T4_T5_mT6_T7_P12ihipStream_tbENKUlT_T0_E_clISt17integral_constantIbLb1EESY_IbLb0EEEEDaSU_SV_EUlSU_E_NS1_11comp_targetILNS1_3genE10ELNS1_11target_archE1201ELNS1_3gpuE5ELNS1_3repE0EEENS1_30default_config_static_selectorELNS0_4arch9wavefront6targetE0EEEvT1_.num_vgpr, 0
	.set _ZN7rocprim17ROCPRIM_400000_NS6detail17trampoline_kernelINS0_14default_configENS1_27scan_by_key_config_selectorIxxEEZZNS1_16scan_by_key_implILNS1_25lookback_scan_determinismE0ELb0ES3_N6thrust23THRUST_200600_302600_NS6detail15normal_iteratorINS9_10device_ptrIxEEEESE_SE_xNS9_4plusIvEENS9_8equal_toIvEExEE10hipError_tPvRmT2_T3_T4_T5_mT6_T7_P12ihipStream_tbENKUlT_T0_E_clISt17integral_constantIbLb1EESY_IbLb0EEEEDaSU_SV_EUlSU_E_NS1_11comp_targetILNS1_3genE10ELNS1_11target_archE1201ELNS1_3gpuE5ELNS1_3repE0EEENS1_30default_config_static_selectorELNS0_4arch9wavefront6targetE0EEEvT1_.num_agpr, 0
	.set _ZN7rocprim17ROCPRIM_400000_NS6detail17trampoline_kernelINS0_14default_configENS1_27scan_by_key_config_selectorIxxEEZZNS1_16scan_by_key_implILNS1_25lookback_scan_determinismE0ELb0ES3_N6thrust23THRUST_200600_302600_NS6detail15normal_iteratorINS9_10device_ptrIxEEEESE_SE_xNS9_4plusIvEENS9_8equal_toIvEExEE10hipError_tPvRmT2_T3_T4_T5_mT6_T7_P12ihipStream_tbENKUlT_T0_E_clISt17integral_constantIbLb1EESY_IbLb0EEEEDaSU_SV_EUlSU_E_NS1_11comp_targetILNS1_3genE10ELNS1_11target_archE1201ELNS1_3gpuE5ELNS1_3repE0EEENS1_30default_config_static_selectorELNS0_4arch9wavefront6targetE0EEEvT1_.numbered_sgpr, 0
	.set _ZN7rocprim17ROCPRIM_400000_NS6detail17trampoline_kernelINS0_14default_configENS1_27scan_by_key_config_selectorIxxEEZZNS1_16scan_by_key_implILNS1_25lookback_scan_determinismE0ELb0ES3_N6thrust23THRUST_200600_302600_NS6detail15normal_iteratorINS9_10device_ptrIxEEEESE_SE_xNS9_4plusIvEENS9_8equal_toIvEExEE10hipError_tPvRmT2_T3_T4_T5_mT6_T7_P12ihipStream_tbENKUlT_T0_E_clISt17integral_constantIbLb1EESY_IbLb0EEEEDaSU_SV_EUlSU_E_NS1_11comp_targetILNS1_3genE10ELNS1_11target_archE1201ELNS1_3gpuE5ELNS1_3repE0EEENS1_30default_config_static_selectorELNS0_4arch9wavefront6targetE0EEEvT1_.num_named_barrier, 0
	.set _ZN7rocprim17ROCPRIM_400000_NS6detail17trampoline_kernelINS0_14default_configENS1_27scan_by_key_config_selectorIxxEEZZNS1_16scan_by_key_implILNS1_25lookback_scan_determinismE0ELb0ES3_N6thrust23THRUST_200600_302600_NS6detail15normal_iteratorINS9_10device_ptrIxEEEESE_SE_xNS9_4plusIvEENS9_8equal_toIvEExEE10hipError_tPvRmT2_T3_T4_T5_mT6_T7_P12ihipStream_tbENKUlT_T0_E_clISt17integral_constantIbLb1EESY_IbLb0EEEEDaSU_SV_EUlSU_E_NS1_11comp_targetILNS1_3genE10ELNS1_11target_archE1201ELNS1_3gpuE5ELNS1_3repE0EEENS1_30default_config_static_selectorELNS0_4arch9wavefront6targetE0EEEvT1_.private_seg_size, 0
	.set _ZN7rocprim17ROCPRIM_400000_NS6detail17trampoline_kernelINS0_14default_configENS1_27scan_by_key_config_selectorIxxEEZZNS1_16scan_by_key_implILNS1_25lookback_scan_determinismE0ELb0ES3_N6thrust23THRUST_200600_302600_NS6detail15normal_iteratorINS9_10device_ptrIxEEEESE_SE_xNS9_4plusIvEENS9_8equal_toIvEExEE10hipError_tPvRmT2_T3_T4_T5_mT6_T7_P12ihipStream_tbENKUlT_T0_E_clISt17integral_constantIbLb1EESY_IbLb0EEEEDaSU_SV_EUlSU_E_NS1_11comp_targetILNS1_3genE10ELNS1_11target_archE1201ELNS1_3gpuE5ELNS1_3repE0EEENS1_30default_config_static_selectorELNS0_4arch9wavefront6targetE0EEEvT1_.uses_vcc, 0
	.set _ZN7rocprim17ROCPRIM_400000_NS6detail17trampoline_kernelINS0_14default_configENS1_27scan_by_key_config_selectorIxxEEZZNS1_16scan_by_key_implILNS1_25lookback_scan_determinismE0ELb0ES3_N6thrust23THRUST_200600_302600_NS6detail15normal_iteratorINS9_10device_ptrIxEEEESE_SE_xNS9_4plusIvEENS9_8equal_toIvEExEE10hipError_tPvRmT2_T3_T4_T5_mT6_T7_P12ihipStream_tbENKUlT_T0_E_clISt17integral_constantIbLb1EESY_IbLb0EEEEDaSU_SV_EUlSU_E_NS1_11comp_targetILNS1_3genE10ELNS1_11target_archE1201ELNS1_3gpuE5ELNS1_3repE0EEENS1_30default_config_static_selectorELNS0_4arch9wavefront6targetE0EEEvT1_.uses_flat_scratch, 0
	.set _ZN7rocprim17ROCPRIM_400000_NS6detail17trampoline_kernelINS0_14default_configENS1_27scan_by_key_config_selectorIxxEEZZNS1_16scan_by_key_implILNS1_25lookback_scan_determinismE0ELb0ES3_N6thrust23THRUST_200600_302600_NS6detail15normal_iteratorINS9_10device_ptrIxEEEESE_SE_xNS9_4plusIvEENS9_8equal_toIvEExEE10hipError_tPvRmT2_T3_T4_T5_mT6_T7_P12ihipStream_tbENKUlT_T0_E_clISt17integral_constantIbLb1EESY_IbLb0EEEEDaSU_SV_EUlSU_E_NS1_11comp_targetILNS1_3genE10ELNS1_11target_archE1201ELNS1_3gpuE5ELNS1_3repE0EEENS1_30default_config_static_selectorELNS0_4arch9wavefront6targetE0EEEvT1_.has_dyn_sized_stack, 0
	.set _ZN7rocprim17ROCPRIM_400000_NS6detail17trampoline_kernelINS0_14default_configENS1_27scan_by_key_config_selectorIxxEEZZNS1_16scan_by_key_implILNS1_25lookback_scan_determinismE0ELb0ES3_N6thrust23THRUST_200600_302600_NS6detail15normal_iteratorINS9_10device_ptrIxEEEESE_SE_xNS9_4plusIvEENS9_8equal_toIvEExEE10hipError_tPvRmT2_T3_T4_T5_mT6_T7_P12ihipStream_tbENKUlT_T0_E_clISt17integral_constantIbLb1EESY_IbLb0EEEEDaSU_SV_EUlSU_E_NS1_11comp_targetILNS1_3genE10ELNS1_11target_archE1201ELNS1_3gpuE5ELNS1_3repE0EEENS1_30default_config_static_selectorELNS0_4arch9wavefront6targetE0EEEvT1_.has_recursion, 0
	.set _ZN7rocprim17ROCPRIM_400000_NS6detail17trampoline_kernelINS0_14default_configENS1_27scan_by_key_config_selectorIxxEEZZNS1_16scan_by_key_implILNS1_25lookback_scan_determinismE0ELb0ES3_N6thrust23THRUST_200600_302600_NS6detail15normal_iteratorINS9_10device_ptrIxEEEESE_SE_xNS9_4plusIvEENS9_8equal_toIvEExEE10hipError_tPvRmT2_T3_T4_T5_mT6_T7_P12ihipStream_tbENKUlT_T0_E_clISt17integral_constantIbLb1EESY_IbLb0EEEEDaSU_SV_EUlSU_E_NS1_11comp_targetILNS1_3genE10ELNS1_11target_archE1201ELNS1_3gpuE5ELNS1_3repE0EEENS1_30default_config_static_selectorELNS0_4arch9wavefront6targetE0EEEvT1_.has_indirect_call, 0
	.section	.AMDGPU.csdata,"",@progbits
; Kernel info:
; codeLenInByte = 0
; TotalNumSgprs: 0
; NumVgprs: 0
; ScratchSize: 0
; MemoryBound: 0
; FloatMode: 240
; IeeeMode: 1
; LDSByteSize: 0 bytes/workgroup (compile time only)
; SGPRBlocks: 0
; VGPRBlocks: 0
; NumSGPRsForWavesPerEU: 1
; NumVGPRsForWavesPerEU: 1
; NamedBarCnt: 0
; Occupancy: 16
; WaveLimiterHint : 0
; COMPUTE_PGM_RSRC2:SCRATCH_EN: 0
; COMPUTE_PGM_RSRC2:USER_SGPR: 2
; COMPUTE_PGM_RSRC2:TRAP_HANDLER: 0
; COMPUTE_PGM_RSRC2:TGID_X_EN: 1
; COMPUTE_PGM_RSRC2:TGID_Y_EN: 0
; COMPUTE_PGM_RSRC2:TGID_Z_EN: 0
; COMPUTE_PGM_RSRC2:TIDIG_COMP_CNT: 0
	.section	.text._ZN7rocprim17ROCPRIM_400000_NS6detail17trampoline_kernelINS0_14default_configENS1_27scan_by_key_config_selectorIxxEEZZNS1_16scan_by_key_implILNS1_25lookback_scan_determinismE0ELb0ES3_N6thrust23THRUST_200600_302600_NS6detail15normal_iteratorINS9_10device_ptrIxEEEESE_SE_xNS9_4plusIvEENS9_8equal_toIvEExEE10hipError_tPvRmT2_T3_T4_T5_mT6_T7_P12ihipStream_tbENKUlT_T0_E_clISt17integral_constantIbLb1EESY_IbLb0EEEEDaSU_SV_EUlSU_E_NS1_11comp_targetILNS1_3genE5ELNS1_11target_archE942ELNS1_3gpuE9ELNS1_3repE0EEENS1_30default_config_static_selectorELNS0_4arch9wavefront6targetE0EEEvT1_,"axG",@progbits,_ZN7rocprim17ROCPRIM_400000_NS6detail17trampoline_kernelINS0_14default_configENS1_27scan_by_key_config_selectorIxxEEZZNS1_16scan_by_key_implILNS1_25lookback_scan_determinismE0ELb0ES3_N6thrust23THRUST_200600_302600_NS6detail15normal_iteratorINS9_10device_ptrIxEEEESE_SE_xNS9_4plusIvEENS9_8equal_toIvEExEE10hipError_tPvRmT2_T3_T4_T5_mT6_T7_P12ihipStream_tbENKUlT_T0_E_clISt17integral_constantIbLb1EESY_IbLb0EEEEDaSU_SV_EUlSU_E_NS1_11comp_targetILNS1_3genE5ELNS1_11target_archE942ELNS1_3gpuE9ELNS1_3repE0EEENS1_30default_config_static_selectorELNS0_4arch9wavefront6targetE0EEEvT1_,comdat
	.protected	_ZN7rocprim17ROCPRIM_400000_NS6detail17trampoline_kernelINS0_14default_configENS1_27scan_by_key_config_selectorIxxEEZZNS1_16scan_by_key_implILNS1_25lookback_scan_determinismE0ELb0ES3_N6thrust23THRUST_200600_302600_NS6detail15normal_iteratorINS9_10device_ptrIxEEEESE_SE_xNS9_4plusIvEENS9_8equal_toIvEExEE10hipError_tPvRmT2_T3_T4_T5_mT6_T7_P12ihipStream_tbENKUlT_T0_E_clISt17integral_constantIbLb1EESY_IbLb0EEEEDaSU_SV_EUlSU_E_NS1_11comp_targetILNS1_3genE5ELNS1_11target_archE942ELNS1_3gpuE9ELNS1_3repE0EEENS1_30default_config_static_selectorELNS0_4arch9wavefront6targetE0EEEvT1_ ; -- Begin function _ZN7rocprim17ROCPRIM_400000_NS6detail17trampoline_kernelINS0_14default_configENS1_27scan_by_key_config_selectorIxxEEZZNS1_16scan_by_key_implILNS1_25lookback_scan_determinismE0ELb0ES3_N6thrust23THRUST_200600_302600_NS6detail15normal_iteratorINS9_10device_ptrIxEEEESE_SE_xNS9_4plusIvEENS9_8equal_toIvEExEE10hipError_tPvRmT2_T3_T4_T5_mT6_T7_P12ihipStream_tbENKUlT_T0_E_clISt17integral_constantIbLb1EESY_IbLb0EEEEDaSU_SV_EUlSU_E_NS1_11comp_targetILNS1_3genE5ELNS1_11target_archE942ELNS1_3gpuE9ELNS1_3repE0EEENS1_30default_config_static_selectorELNS0_4arch9wavefront6targetE0EEEvT1_
	.globl	_ZN7rocprim17ROCPRIM_400000_NS6detail17trampoline_kernelINS0_14default_configENS1_27scan_by_key_config_selectorIxxEEZZNS1_16scan_by_key_implILNS1_25lookback_scan_determinismE0ELb0ES3_N6thrust23THRUST_200600_302600_NS6detail15normal_iteratorINS9_10device_ptrIxEEEESE_SE_xNS9_4plusIvEENS9_8equal_toIvEExEE10hipError_tPvRmT2_T3_T4_T5_mT6_T7_P12ihipStream_tbENKUlT_T0_E_clISt17integral_constantIbLb1EESY_IbLb0EEEEDaSU_SV_EUlSU_E_NS1_11comp_targetILNS1_3genE5ELNS1_11target_archE942ELNS1_3gpuE9ELNS1_3repE0EEENS1_30default_config_static_selectorELNS0_4arch9wavefront6targetE0EEEvT1_
	.p2align	8
	.type	_ZN7rocprim17ROCPRIM_400000_NS6detail17trampoline_kernelINS0_14default_configENS1_27scan_by_key_config_selectorIxxEEZZNS1_16scan_by_key_implILNS1_25lookback_scan_determinismE0ELb0ES3_N6thrust23THRUST_200600_302600_NS6detail15normal_iteratorINS9_10device_ptrIxEEEESE_SE_xNS9_4plusIvEENS9_8equal_toIvEExEE10hipError_tPvRmT2_T3_T4_T5_mT6_T7_P12ihipStream_tbENKUlT_T0_E_clISt17integral_constantIbLb1EESY_IbLb0EEEEDaSU_SV_EUlSU_E_NS1_11comp_targetILNS1_3genE5ELNS1_11target_archE942ELNS1_3gpuE9ELNS1_3repE0EEENS1_30default_config_static_selectorELNS0_4arch9wavefront6targetE0EEEvT1_,@function
_ZN7rocprim17ROCPRIM_400000_NS6detail17trampoline_kernelINS0_14default_configENS1_27scan_by_key_config_selectorIxxEEZZNS1_16scan_by_key_implILNS1_25lookback_scan_determinismE0ELb0ES3_N6thrust23THRUST_200600_302600_NS6detail15normal_iteratorINS9_10device_ptrIxEEEESE_SE_xNS9_4plusIvEENS9_8equal_toIvEExEE10hipError_tPvRmT2_T3_T4_T5_mT6_T7_P12ihipStream_tbENKUlT_T0_E_clISt17integral_constantIbLb1EESY_IbLb0EEEEDaSU_SV_EUlSU_E_NS1_11comp_targetILNS1_3genE5ELNS1_11target_archE942ELNS1_3gpuE9ELNS1_3repE0EEENS1_30default_config_static_selectorELNS0_4arch9wavefront6targetE0EEEvT1_: ; @_ZN7rocprim17ROCPRIM_400000_NS6detail17trampoline_kernelINS0_14default_configENS1_27scan_by_key_config_selectorIxxEEZZNS1_16scan_by_key_implILNS1_25lookback_scan_determinismE0ELb0ES3_N6thrust23THRUST_200600_302600_NS6detail15normal_iteratorINS9_10device_ptrIxEEEESE_SE_xNS9_4plusIvEENS9_8equal_toIvEExEE10hipError_tPvRmT2_T3_T4_T5_mT6_T7_P12ihipStream_tbENKUlT_T0_E_clISt17integral_constantIbLb1EESY_IbLb0EEEEDaSU_SV_EUlSU_E_NS1_11comp_targetILNS1_3genE5ELNS1_11target_archE942ELNS1_3gpuE9ELNS1_3repE0EEENS1_30default_config_static_selectorELNS0_4arch9wavefront6targetE0EEEvT1_
; %bb.0:
	.section	.rodata,"a",@progbits
	.p2align	6, 0x0
	.amdhsa_kernel _ZN7rocprim17ROCPRIM_400000_NS6detail17trampoline_kernelINS0_14default_configENS1_27scan_by_key_config_selectorIxxEEZZNS1_16scan_by_key_implILNS1_25lookback_scan_determinismE0ELb0ES3_N6thrust23THRUST_200600_302600_NS6detail15normal_iteratorINS9_10device_ptrIxEEEESE_SE_xNS9_4plusIvEENS9_8equal_toIvEExEE10hipError_tPvRmT2_T3_T4_T5_mT6_T7_P12ihipStream_tbENKUlT_T0_E_clISt17integral_constantIbLb1EESY_IbLb0EEEEDaSU_SV_EUlSU_E_NS1_11comp_targetILNS1_3genE5ELNS1_11target_archE942ELNS1_3gpuE9ELNS1_3repE0EEENS1_30default_config_static_selectorELNS0_4arch9wavefront6targetE0EEEvT1_
		.amdhsa_group_segment_fixed_size 0
		.amdhsa_private_segment_fixed_size 0
		.amdhsa_kernarg_size 136
		.amdhsa_user_sgpr_count 2
		.amdhsa_user_sgpr_dispatch_ptr 0
		.amdhsa_user_sgpr_queue_ptr 0
		.amdhsa_user_sgpr_kernarg_segment_ptr 1
		.amdhsa_user_sgpr_dispatch_id 0
		.amdhsa_user_sgpr_kernarg_preload_length 0
		.amdhsa_user_sgpr_kernarg_preload_offset 0
		.amdhsa_user_sgpr_private_segment_size 0
		.amdhsa_wavefront_size32 1
		.amdhsa_uses_dynamic_stack 0
		.amdhsa_enable_private_segment 0
		.amdhsa_system_sgpr_workgroup_id_x 1
		.amdhsa_system_sgpr_workgroup_id_y 0
		.amdhsa_system_sgpr_workgroup_id_z 0
		.amdhsa_system_sgpr_workgroup_info 0
		.amdhsa_system_vgpr_workitem_id 0
		.amdhsa_next_free_vgpr 1
		.amdhsa_next_free_sgpr 1
		.amdhsa_named_barrier_count 0
		.amdhsa_reserve_vcc 0
		.amdhsa_float_round_mode_32 0
		.amdhsa_float_round_mode_16_64 0
		.amdhsa_float_denorm_mode_32 3
		.amdhsa_float_denorm_mode_16_64 3
		.amdhsa_fp16_overflow 0
		.amdhsa_memory_ordered 1
		.amdhsa_forward_progress 1
		.amdhsa_inst_pref_size 0
		.amdhsa_round_robin_scheduling 0
		.amdhsa_exception_fp_ieee_invalid_op 0
		.amdhsa_exception_fp_denorm_src 0
		.amdhsa_exception_fp_ieee_div_zero 0
		.amdhsa_exception_fp_ieee_overflow 0
		.amdhsa_exception_fp_ieee_underflow 0
		.amdhsa_exception_fp_ieee_inexact 0
		.amdhsa_exception_int_div_zero 0
	.end_amdhsa_kernel
	.section	.text._ZN7rocprim17ROCPRIM_400000_NS6detail17trampoline_kernelINS0_14default_configENS1_27scan_by_key_config_selectorIxxEEZZNS1_16scan_by_key_implILNS1_25lookback_scan_determinismE0ELb0ES3_N6thrust23THRUST_200600_302600_NS6detail15normal_iteratorINS9_10device_ptrIxEEEESE_SE_xNS9_4plusIvEENS9_8equal_toIvEExEE10hipError_tPvRmT2_T3_T4_T5_mT6_T7_P12ihipStream_tbENKUlT_T0_E_clISt17integral_constantIbLb1EESY_IbLb0EEEEDaSU_SV_EUlSU_E_NS1_11comp_targetILNS1_3genE5ELNS1_11target_archE942ELNS1_3gpuE9ELNS1_3repE0EEENS1_30default_config_static_selectorELNS0_4arch9wavefront6targetE0EEEvT1_,"axG",@progbits,_ZN7rocprim17ROCPRIM_400000_NS6detail17trampoline_kernelINS0_14default_configENS1_27scan_by_key_config_selectorIxxEEZZNS1_16scan_by_key_implILNS1_25lookback_scan_determinismE0ELb0ES3_N6thrust23THRUST_200600_302600_NS6detail15normal_iteratorINS9_10device_ptrIxEEEESE_SE_xNS9_4plusIvEENS9_8equal_toIvEExEE10hipError_tPvRmT2_T3_T4_T5_mT6_T7_P12ihipStream_tbENKUlT_T0_E_clISt17integral_constantIbLb1EESY_IbLb0EEEEDaSU_SV_EUlSU_E_NS1_11comp_targetILNS1_3genE5ELNS1_11target_archE942ELNS1_3gpuE9ELNS1_3repE0EEENS1_30default_config_static_selectorELNS0_4arch9wavefront6targetE0EEEvT1_,comdat
.Lfunc_end29:
	.size	_ZN7rocprim17ROCPRIM_400000_NS6detail17trampoline_kernelINS0_14default_configENS1_27scan_by_key_config_selectorIxxEEZZNS1_16scan_by_key_implILNS1_25lookback_scan_determinismE0ELb0ES3_N6thrust23THRUST_200600_302600_NS6detail15normal_iteratorINS9_10device_ptrIxEEEESE_SE_xNS9_4plusIvEENS9_8equal_toIvEExEE10hipError_tPvRmT2_T3_T4_T5_mT6_T7_P12ihipStream_tbENKUlT_T0_E_clISt17integral_constantIbLb1EESY_IbLb0EEEEDaSU_SV_EUlSU_E_NS1_11comp_targetILNS1_3genE5ELNS1_11target_archE942ELNS1_3gpuE9ELNS1_3repE0EEENS1_30default_config_static_selectorELNS0_4arch9wavefront6targetE0EEEvT1_, .Lfunc_end29-_ZN7rocprim17ROCPRIM_400000_NS6detail17trampoline_kernelINS0_14default_configENS1_27scan_by_key_config_selectorIxxEEZZNS1_16scan_by_key_implILNS1_25lookback_scan_determinismE0ELb0ES3_N6thrust23THRUST_200600_302600_NS6detail15normal_iteratorINS9_10device_ptrIxEEEESE_SE_xNS9_4plusIvEENS9_8equal_toIvEExEE10hipError_tPvRmT2_T3_T4_T5_mT6_T7_P12ihipStream_tbENKUlT_T0_E_clISt17integral_constantIbLb1EESY_IbLb0EEEEDaSU_SV_EUlSU_E_NS1_11comp_targetILNS1_3genE5ELNS1_11target_archE942ELNS1_3gpuE9ELNS1_3repE0EEENS1_30default_config_static_selectorELNS0_4arch9wavefront6targetE0EEEvT1_
                                        ; -- End function
	.set _ZN7rocprim17ROCPRIM_400000_NS6detail17trampoline_kernelINS0_14default_configENS1_27scan_by_key_config_selectorIxxEEZZNS1_16scan_by_key_implILNS1_25lookback_scan_determinismE0ELb0ES3_N6thrust23THRUST_200600_302600_NS6detail15normal_iteratorINS9_10device_ptrIxEEEESE_SE_xNS9_4plusIvEENS9_8equal_toIvEExEE10hipError_tPvRmT2_T3_T4_T5_mT6_T7_P12ihipStream_tbENKUlT_T0_E_clISt17integral_constantIbLb1EESY_IbLb0EEEEDaSU_SV_EUlSU_E_NS1_11comp_targetILNS1_3genE5ELNS1_11target_archE942ELNS1_3gpuE9ELNS1_3repE0EEENS1_30default_config_static_selectorELNS0_4arch9wavefront6targetE0EEEvT1_.num_vgpr, 0
	.set _ZN7rocprim17ROCPRIM_400000_NS6detail17trampoline_kernelINS0_14default_configENS1_27scan_by_key_config_selectorIxxEEZZNS1_16scan_by_key_implILNS1_25lookback_scan_determinismE0ELb0ES3_N6thrust23THRUST_200600_302600_NS6detail15normal_iteratorINS9_10device_ptrIxEEEESE_SE_xNS9_4plusIvEENS9_8equal_toIvEExEE10hipError_tPvRmT2_T3_T4_T5_mT6_T7_P12ihipStream_tbENKUlT_T0_E_clISt17integral_constantIbLb1EESY_IbLb0EEEEDaSU_SV_EUlSU_E_NS1_11comp_targetILNS1_3genE5ELNS1_11target_archE942ELNS1_3gpuE9ELNS1_3repE0EEENS1_30default_config_static_selectorELNS0_4arch9wavefront6targetE0EEEvT1_.num_agpr, 0
	.set _ZN7rocprim17ROCPRIM_400000_NS6detail17trampoline_kernelINS0_14default_configENS1_27scan_by_key_config_selectorIxxEEZZNS1_16scan_by_key_implILNS1_25lookback_scan_determinismE0ELb0ES3_N6thrust23THRUST_200600_302600_NS6detail15normal_iteratorINS9_10device_ptrIxEEEESE_SE_xNS9_4plusIvEENS9_8equal_toIvEExEE10hipError_tPvRmT2_T3_T4_T5_mT6_T7_P12ihipStream_tbENKUlT_T0_E_clISt17integral_constantIbLb1EESY_IbLb0EEEEDaSU_SV_EUlSU_E_NS1_11comp_targetILNS1_3genE5ELNS1_11target_archE942ELNS1_3gpuE9ELNS1_3repE0EEENS1_30default_config_static_selectorELNS0_4arch9wavefront6targetE0EEEvT1_.numbered_sgpr, 0
	.set _ZN7rocprim17ROCPRIM_400000_NS6detail17trampoline_kernelINS0_14default_configENS1_27scan_by_key_config_selectorIxxEEZZNS1_16scan_by_key_implILNS1_25lookback_scan_determinismE0ELb0ES3_N6thrust23THRUST_200600_302600_NS6detail15normal_iteratorINS9_10device_ptrIxEEEESE_SE_xNS9_4plusIvEENS9_8equal_toIvEExEE10hipError_tPvRmT2_T3_T4_T5_mT6_T7_P12ihipStream_tbENKUlT_T0_E_clISt17integral_constantIbLb1EESY_IbLb0EEEEDaSU_SV_EUlSU_E_NS1_11comp_targetILNS1_3genE5ELNS1_11target_archE942ELNS1_3gpuE9ELNS1_3repE0EEENS1_30default_config_static_selectorELNS0_4arch9wavefront6targetE0EEEvT1_.num_named_barrier, 0
	.set _ZN7rocprim17ROCPRIM_400000_NS6detail17trampoline_kernelINS0_14default_configENS1_27scan_by_key_config_selectorIxxEEZZNS1_16scan_by_key_implILNS1_25lookback_scan_determinismE0ELb0ES3_N6thrust23THRUST_200600_302600_NS6detail15normal_iteratorINS9_10device_ptrIxEEEESE_SE_xNS9_4plusIvEENS9_8equal_toIvEExEE10hipError_tPvRmT2_T3_T4_T5_mT6_T7_P12ihipStream_tbENKUlT_T0_E_clISt17integral_constantIbLb1EESY_IbLb0EEEEDaSU_SV_EUlSU_E_NS1_11comp_targetILNS1_3genE5ELNS1_11target_archE942ELNS1_3gpuE9ELNS1_3repE0EEENS1_30default_config_static_selectorELNS0_4arch9wavefront6targetE0EEEvT1_.private_seg_size, 0
	.set _ZN7rocprim17ROCPRIM_400000_NS6detail17trampoline_kernelINS0_14default_configENS1_27scan_by_key_config_selectorIxxEEZZNS1_16scan_by_key_implILNS1_25lookback_scan_determinismE0ELb0ES3_N6thrust23THRUST_200600_302600_NS6detail15normal_iteratorINS9_10device_ptrIxEEEESE_SE_xNS9_4plusIvEENS9_8equal_toIvEExEE10hipError_tPvRmT2_T3_T4_T5_mT6_T7_P12ihipStream_tbENKUlT_T0_E_clISt17integral_constantIbLb1EESY_IbLb0EEEEDaSU_SV_EUlSU_E_NS1_11comp_targetILNS1_3genE5ELNS1_11target_archE942ELNS1_3gpuE9ELNS1_3repE0EEENS1_30default_config_static_selectorELNS0_4arch9wavefront6targetE0EEEvT1_.uses_vcc, 0
	.set _ZN7rocprim17ROCPRIM_400000_NS6detail17trampoline_kernelINS0_14default_configENS1_27scan_by_key_config_selectorIxxEEZZNS1_16scan_by_key_implILNS1_25lookback_scan_determinismE0ELb0ES3_N6thrust23THRUST_200600_302600_NS6detail15normal_iteratorINS9_10device_ptrIxEEEESE_SE_xNS9_4plusIvEENS9_8equal_toIvEExEE10hipError_tPvRmT2_T3_T4_T5_mT6_T7_P12ihipStream_tbENKUlT_T0_E_clISt17integral_constantIbLb1EESY_IbLb0EEEEDaSU_SV_EUlSU_E_NS1_11comp_targetILNS1_3genE5ELNS1_11target_archE942ELNS1_3gpuE9ELNS1_3repE0EEENS1_30default_config_static_selectorELNS0_4arch9wavefront6targetE0EEEvT1_.uses_flat_scratch, 0
	.set _ZN7rocprim17ROCPRIM_400000_NS6detail17trampoline_kernelINS0_14default_configENS1_27scan_by_key_config_selectorIxxEEZZNS1_16scan_by_key_implILNS1_25lookback_scan_determinismE0ELb0ES3_N6thrust23THRUST_200600_302600_NS6detail15normal_iteratorINS9_10device_ptrIxEEEESE_SE_xNS9_4plusIvEENS9_8equal_toIvEExEE10hipError_tPvRmT2_T3_T4_T5_mT6_T7_P12ihipStream_tbENKUlT_T0_E_clISt17integral_constantIbLb1EESY_IbLb0EEEEDaSU_SV_EUlSU_E_NS1_11comp_targetILNS1_3genE5ELNS1_11target_archE942ELNS1_3gpuE9ELNS1_3repE0EEENS1_30default_config_static_selectorELNS0_4arch9wavefront6targetE0EEEvT1_.has_dyn_sized_stack, 0
	.set _ZN7rocprim17ROCPRIM_400000_NS6detail17trampoline_kernelINS0_14default_configENS1_27scan_by_key_config_selectorIxxEEZZNS1_16scan_by_key_implILNS1_25lookback_scan_determinismE0ELb0ES3_N6thrust23THRUST_200600_302600_NS6detail15normal_iteratorINS9_10device_ptrIxEEEESE_SE_xNS9_4plusIvEENS9_8equal_toIvEExEE10hipError_tPvRmT2_T3_T4_T5_mT6_T7_P12ihipStream_tbENKUlT_T0_E_clISt17integral_constantIbLb1EESY_IbLb0EEEEDaSU_SV_EUlSU_E_NS1_11comp_targetILNS1_3genE5ELNS1_11target_archE942ELNS1_3gpuE9ELNS1_3repE0EEENS1_30default_config_static_selectorELNS0_4arch9wavefront6targetE0EEEvT1_.has_recursion, 0
	.set _ZN7rocprim17ROCPRIM_400000_NS6detail17trampoline_kernelINS0_14default_configENS1_27scan_by_key_config_selectorIxxEEZZNS1_16scan_by_key_implILNS1_25lookback_scan_determinismE0ELb0ES3_N6thrust23THRUST_200600_302600_NS6detail15normal_iteratorINS9_10device_ptrIxEEEESE_SE_xNS9_4plusIvEENS9_8equal_toIvEExEE10hipError_tPvRmT2_T3_T4_T5_mT6_T7_P12ihipStream_tbENKUlT_T0_E_clISt17integral_constantIbLb1EESY_IbLb0EEEEDaSU_SV_EUlSU_E_NS1_11comp_targetILNS1_3genE5ELNS1_11target_archE942ELNS1_3gpuE9ELNS1_3repE0EEENS1_30default_config_static_selectorELNS0_4arch9wavefront6targetE0EEEvT1_.has_indirect_call, 0
	.section	.AMDGPU.csdata,"",@progbits
; Kernel info:
; codeLenInByte = 0
; TotalNumSgprs: 0
; NumVgprs: 0
; ScratchSize: 0
; MemoryBound: 0
; FloatMode: 240
; IeeeMode: 1
; LDSByteSize: 0 bytes/workgroup (compile time only)
; SGPRBlocks: 0
; VGPRBlocks: 0
; NumSGPRsForWavesPerEU: 1
; NumVGPRsForWavesPerEU: 1
; NamedBarCnt: 0
; Occupancy: 16
; WaveLimiterHint : 0
; COMPUTE_PGM_RSRC2:SCRATCH_EN: 0
; COMPUTE_PGM_RSRC2:USER_SGPR: 2
; COMPUTE_PGM_RSRC2:TRAP_HANDLER: 0
; COMPUTE_PGM_RSRC2:TGID_X_EN: 1
; COMPUTE_PGM_RSRC2:TGID_Y_EN: 0
; COMPUTE_PGM_RSRC2:TGID_Z_EN: 0
; COMPUTE_PGM_RSRC2:TIDIG_COMP_CNT: 0
	.section	.text._ZN7rocprim17ROCPRIM_400000_NS6detail17trampoline_kernelINS0_14default_configENS1_27scan_by_key_config_selectorIxxEEZZNS1_16scan_by_key_implILNS1_25lookback_scan_determinismE0ELb0ES3_N6thrust23THRUST_200600_302600_NS6detail15normal_iteratorINS9_10device_ptrIxEEEESE_SE_xNS9_4plusIvEENS9_8equal_toIvEExEE10hipError_tPvRmT2_T3_T4_T5_mT6_T7_P12ihipStream_tbENKUlT_T0_E_clISt17integral_constantIbLb1EESY_IbLb0EEEEDaSU_SV_EUlSU_E_NS1_11comp_targetILNS1_3genE4ELNS1_11target_archE910ELNS1_3gpuE8ELNS1_3repE0EEENS1_30default_config_static_selectorELNS0_4arch9wavefront6targetE0EEEvT1_,"axG",@progbits,_ZN7rocprim17ROCPRIM_400000_NS6detail17trampoline_kernelINS0_14default_configENS1_27scan_by_key_config_selectorIxxEEZZNS1_16scan_by_key_implILNS1_25lookback_scan_determinismE0ELb0ES3_N6thrust23THRUST_200600_302600_NS6detail15normal_iteratorINS9_10device_ptrIxEEEESE_SE_xNS9_4plusIvEENS9_8equal_toIvEExEE10hipError_tPvRmT2_T3_T4_T5_mT6_T7_P12ihipStream_tbENKUlT_T0_E_clISt17integral_constantIbLb1EESY_IbLb0EEEEDaSU_SV_EUlSU_E_NS1_11comp_targetILNS1_3genE4ELNS1_11target_archE910ELNS1_3gpuE8ELNS1_3repE0EEENS1_30default_config_static_selectorELNS0_4arch9wavefront6targetE0EEEvT1_,comdat
	.protected	_ZN7rocprim17ROCPRIM_400000_NS6detail17trampoline_kernelINS0_14default_configENS1_27scan_by_key_config_selectorIxxEEZZNS1_16scan_by_key_implILNS1_25lookback_scan_determinismE0ELb0ES3_N6thrust23THRUST_200600_302600_NS6detail15normal_iteratorINS9_10device_ptrIxEEEESE_SE_xNS9_4plusIvEENS9_8equal_toIvEExEE10hipError_tPvRmT2_T3_T4_T5_mT6_T7_P12ihipStream_tbENKUlT_T0_E_clISt17integral_constantIbLb1EESY_IbLb0EEEEDaSU_SV_EUlSU_E_NS1_11comp_targetILNS1_3genE4ELNS1_11target_archE910ELNS1_3gpuE8ELNS1_3repE0EEENS1_30default_config_static_selectorELNS0_4arch9wavefront6targetE0EEEvT1_ ; -- Begin function _ZN7rocprim17ROCPRIM_400000_NS6detail17trampoline_kernelINS0_14default_configENS1_27scan_by_key_config_selectorIxxEEZZNS1_16scan_by_key_implILNS1_25lookback_scan_determinismE0ELb0ES3_N6thrust23THRUST_200600_302600_NS6detail15normal_iteratorINS9_10device_ptrIxEEEESE_SE_xNS9_4plusIvEENS9_8equal_toIvEExEE10hipError_tPvRmT2_T3_T4_T5_mT6_T7_P12ihipStream_tbENKUlT_T0_E_clISt17integral_constantIbLb1EESY_IbLb0EEEEDaSU_SV_EUlSU_E_NS1_11comp_targetILNS1_3genE4ELNS1_11target_archE910ELNS1_3gpuE8ELNS1_3repE0EEENS1_30default_config_static_selectorELNS0_4arch9wavefront6targetE0EEEvT1_
	.globl	_ZN7rocprim17ROCPRIM_400000_NS6detail17trampoline_kernelINS0_14default_configENS1_27scan_by_key_config_selectorIxxEEZZNS1_16scan_by_key_implILNS1_25lookback_scan_determinismE0ELb0ES3_N6thrust23THRUST_200600_302600_NS6detail15normal_iteratorINS9_10device_ptrIxEEEESE_SE_xNS9_4plusIvEENS9_8equal_toIvEExEE10hipError_tPvRmT2_T3_T4_T5_mT6_T7_P12ihipStream_tbENKUlT_T0_E_clISt17integral_constantIbLb1EESY_IbLb0EEEEDaSU_SV_EUlSU_E_NS1_11comp_targetILNS1_3genE4ELNS1_11target_archE910ELNS1_3gpuE8ELNS1_3repE0EEENS1_30default_config_static_selectorELNS0_4arch9wavefront6targetE0EEEvT1_
	.p2align	8
	.type	_ZN7rocprim17ROCPRIM_400000_NS6detail17trampoline_kernelINS0_14default_configENS1_27scan_by_key_config_selectorIxxEEZZNS1_16scan_by_key_implILNS1_25lookback_scan_determinismE0ELb0ES3_N6thrust23THRUST_200600_302600_NS6detail15normal_iteratorINS9_10device_ptrIxEEEESE_SE_xNS9_4plusIvEENS9_8equal_toIvEExEE10hipError_tPvRmT2_T3_T4_T5_mT6_T7_P12ihipStream_tbENKUlT_T0_E_clISt17integral_constantIbLb1EESY_IbLb0EEEEDaSU_SV_EUlSU_E_NS1_11comp_targetILNS1_3genE4ELNS1_11target_archE910ELNS1_3gpuE8ELNS1_3repE0EEENS1_30default_config_static_selectorELNS0_4arch9wavefront6targetE0EEEvT1_,@function
_ZN7rocprim17ROCPRIM_400000_NS6detail17trampoline_kernelINS0_14default_configENS1_27scan_by_key_config_selectorIxxEEZZNS1_16scan_by_key_implILNS1_25lookback_scan_determinismE0ELb0ES3_N6thrust23THRUST_200600_302600_NS6detail15normal_iteratorINS9_10device_ptrIxEEEESE_SE_xNS9_4plusIvEENS9_8equal_toIvEExEE10hipError_tPvRmT2_T3_T4_T5_mT6_T7_P12ihipStream_tbENKUlT_T0_E_clISt17integral_constantIbLb1EESY_IbLb0EEEEDaSU_SV_EUlSU_E_NS1_11comp_targetILNS1_3genE4ELNS1_11target_archE910ELNS1_3gpuE8ELNS1_3repE0EEENS1_30default_config_static_selectorELNS0_4arch9wavefront6targetE0EEEvT1_: ; @_ZN7rocprim17ROCPRIM_400000_NS6detail17trampoline_kernelINS0_14default_configENS1_27scan_by_key_config_selectorIxxEEZZNS1_16scan_by_key_implILNS1_25lookback_scan_determinismE0ELb0ES3_N6thrust23THRUST_200600_302600_NS6detail15normal_iteratorINS9_10device_ptrIxEEEESE_SE_xNS9_4plusIvEENS9_8equal_toIvEExEE10hipError_tPvRmT2_T3_T4_T5_mT6_T7_P12ihipStream_tbENKUlT_T0_E_clISt17integral_constantIbLb1EESY_IbLb0EEEEDaSU_SV_EUlSU_E_NS1_11comp_targetILNS1_3genE4ELNS1_11target_archE910ELNS1_3gpuE8ELNS1_3repE0EEENS1_30default_config_static_selectorELNS0_4arch9wavefront6targetE0EEEvT1_
; %bb.0:
	.section	.rodata,"a",@progbits
	.p2align	6, 0x0
	.amdhsa_kernel _ZN7rocprim17ROCPRIM_400000_NS6detail17trampoline_kernelINS0_14default_configENS1_27scan_by_key_config_selectorIxxEEZZNS1_16scan_by_key_implILNS1_25lookback_scan_determinismE0ELb0ES3_N6thrust23THRUST_200600_302600_NS6detail15normal_iteratorINS9_10device_ptrIxEEEESE_SE_xNS9_4plusIvEENS9_8equal_toIvEExEE10hipError_tPvRmT2_T3_T4_T5_mT6_T7_P12ihipStream_tbENKUlT_T0_E_clISt17integral_constantIbLb1EESY_IbLb0EEEEDaSU_SV_EUlSU_E_NS1_11comp_targetILNS1_3genE4ELNS1_11target_archE910ELNS1_3gpuE8ELNS1_3repE0EEENS1_30default_config_static_selectorELNS0_4arch9wavefront6targetE0EEEvT1_
		.amdhsa_group_segment_fixed_size 0
		.amdhsa_private_segment_fixed_size 0
		.amdhsa_kernarg_size 136
		.amdhsa_user_sgpr_count 2
		.amdhsa_user_sgpr_dispatch_ptr 0
		.amdhsa_user_sgpr_queue_ptr 0
		.amdhsa_user_sgpr_kernarg_segment_ptr 1
		.amdhsa_user_sgpr_dispatch_id 0
		.amdhsa_user_sgpr_kernarg_preload_length 0
		.amdhsa_user_sgpr_kernarg_preload_offset 0
		.amdhsa_user_sgpr_private_segment_size 0
		.amdhsa_wavefront_size32 1
		.amdhsa_uses_dynamic_stack 0
		.amdhsa_enable_private_segment 0
		.amdhsa_system_sgpr_workgroup_id_x 1
		.amdhsa_system_sgpr_workgroup_id_y 0
		.amdhsa_system_sgpr_workgroup_id_z 0
		.amdhsa_system_sgpr_workgroup_info 0
		.amdhsa_system_vgpr_workitem_id 0
		.amdhsa_next_free_vgpr 1
		.amdhsa_next_free_sgpr 1
		.amdhsa_named_barrier_count 0
		.amdhsa_reserve_vcc 0
		.amdhsa_float_round_mode_32 0
		.amdhsa_float_round_mode_16_64 0
		.amdhsa_float_denorm_mode_32 3
		.amdhsa_float_denorm_mode_16_64 3
		.amdhsa_fp16_overflow 0
		.amdhsa_memory_ordered 1
		.amdhsa_forward_progress 1
		.amdhsa_inst_pref_size 0
		.amdhsa_round_robin_scheduling 0
		.amdhsa_exception_fp_ieee_invalid_op 0
		.amdhsa_exception_fp_denorm_src 0
		.amdhsa_exception_fp_ieee_div_zero 0
		.amdhsa_exception_fp_ieee_overflow 0
		.amdhsa_exception_fp_ieee_underflow 0
		.amdhsa_exception_fp_ieee_inexact 0
		.amdhsa_exception_int_div_zero 0
	.end_amdhsa_kernel
	.section	.text._ZN7rocprim17ROCPRIM_400000_NS6detail17trampoline_kernelINS0_14default_configENS1_27scan_by_key_config_selectorIxxEEZZNS1_16scan_by_key_implILNS1_25lookback_scan_determinismE0ELb0ES3_N6thrust23THRUST_200600_302600_NS6detail15normal_iteratorINS9_10device_ptrIxEEEESE_SE_xNS9_4plusIvEENS9_8equal_toIvEExEE10hipError_tPvRmT2_T3_T4_T5_mT6_T7_P12ihipStream_tbENKUlT_T0_E_clISt17integral_constantIbLb1EESY_IbLb0EEEEDaSU_SV_EUlSU_E_NS1_11comp_targetILNS1_3genE4ELNS1_11target_archE910ELNS1_3gpuE8ELNS1_3repE0EEENS1_30default_config_static_selectorELNS0_4arch9wavefront6targetE0EEEvT1_,"axG",@progbits,_ZN7rocprim17ROCPRIM_400000_NS6detail17trampoline_kernelINS0_14default_configENS1_27scan_by_key_config_selectorIxxEEZZNS1_16scan_by_key_implILNS1_25lookback_scan_determinismE0ELb0ES3_N6thrust23THRUST_200600_302600_NS6detail15normal_iteratorINS9_10device_ptrIxEEEESE_SE_xNS9_4plusIvEENS9_8equal_toIvEExEE10hipError_tPvRmT2_T3_T4_T5_mT6_T7_P12ihipStream_tbENKUlT_T0_E_clISt17integral_constantIbLb1EESY_IbLb0EEEEDaSU_SV_EUlSU_E_NS1_11comp_targetILNS1_3genE4ELNS1_11target_archE910ELNS1_3gpuE8ELNS1_3repE0EEENS1_30default_config_static_selectorELNS0_4arch9wavefront6targetE0EEEvT1_,comdat
.Lfunc_end30:
	.size	_ZN7rocprim17ROCPRIM_400000_NS6detail17trampoline_kernelINS0_14default_configENS1_27scan_by_key_config_selectorIxxEEZZNS1_16scan_by_key_implILNS1_25lookback_scan_determinismE0ELb0ES3_N6thrust23THRUST_200600_302600_NS6detail15normal_iteratorINS9_10device_ptrIxEEEESE_SE_xNS9_4plusIvEENS9_8equal_toIvEExEE10hipError_tPvRmT2_T3_T4_T5_mT6_T7_P12ihipStream_tbENKUlT_T0_E_clISt17integral_constantIbLb1EESY_IbLb0EEEEDaSU_SV_EUlSU_E_NS1_11comp_targetILNS1_3genE4ELNS1_11target_archE910ELNS1_3gpuE8ELNS1_3repE0EEENS1_30default_config_static_selectorELNS0_4arch9wavefront6targetE0EEEvT1_, .Lfunc_end30-_ZN7rocprim17ROCPRIM_400000_NS6detail17trampoline_kernelINS0_14default_configENS1_27scan_by_key_config_selectorIxxEEZZNS1_16scan_by_key_implILNS1_25lookback_scan_determinismE0ELb0ES3_N6thrust23THRUST_200600_302600_NS6detail15normal_iteratorINS9_10device_ptrIxEEEESE_SE_xNS9_4plusIvEENS9_8equal_toIvEExEE10hipError_tPvRmT2_T3_T4_T5_mT6_T7_P12ihipStream_tbENKUlT_T0_E_clISt17integral_constantIbLb1EESY_IbLb0EEEEDaSU_SV_EUlSU_E_NS1_11comp_targetILNS1_3genE4ELNS1_11target_archE910ELNS1_3gpuE8ELNS1_3repE0EEENS1_30default_config_static_selectorELNS0_4arch9wavefront6targetE0EEEvT1_
                                        ; -- End function
	.set _ZN7rocprim17ROCPRIM_400000_NS6detail17trampoline_kernelINS0_14default_configENS1_27scan_by_key_config_selectorIxxEEZZNS1_16scan_by_key_implILNS1_25lookback_scan_determinismE0ELb0ES3_N6thrust23THRUST_200600_302600_NS6detail15normal_iteratorINS9_10device_ptrIxEEEESE_SE_xNS9_4plusIvEENS9_8equal_toIvEExEE10hipError_tPvRmT2_T3_T4_T5_mT6_T7_P12ihipStream_tbENKUlT_T0_E_clISt17integral_constantIbLb1EESY_IbLb0EEEEDaSU_SV_EUlSU_E_NS1_11comp_targetILNS1_3genE4ELNS1_11target_archE910ELNS1_3gpuE8ELNS1_3repE0EEENS1_30default_config_static_selectorELNS0_4arch9wavefront6targetE0EEEvT1_.num_vgpr, 0
	.set _ZN7rocprim17ROCPRIM_400000_NS6detail17trampoline_kernelINS0_14default_configENS1_27scan_by_key_config_selectorIxxEEZZNS1_16scan_by_key_implILNS1_25lookback_scan_determinismE0ELb0ES3_N6thrust23THRUST_200600_302600_NS6detail15normal_iteratorINS9_10device_ptrIxEEEESE_SE_xNS9_4plusIvEENS9_8equal_toIvEExEE10hipError_tPvRmT2_T3_T4_T5_mT6_T7_P12ihipStream_tbENKUlT_T0_E_clISt17integral_constantIbLb1EESY_IbLb0EEEEDaSU_SV_EUlSU_E_NS1_11comp_targetILNS1_3genE4ELNS1_11target_archE910ELNS1_3gpuE8ELNS1_3repE0EEENS1_30default_config_static_selectorELNS0_4arch9wavefront6targetE0EEEvT1_.num_agpr, 0
	.set _ZN7rocprim17ROCPRIM_400000_NS6detail17trampoline_kernelINS0_14default_configENS1_27scan_by_key_config_selectorIxxEEZZNS1_16scan_by_key_implILNS1_25lookback_scan_determinismE0ELb0ES3_N6thrust23THRUST_200600_302600_NS6detail15normal_iteratorINS9_10device_ptrIxEEEESE_SE_xNS9_4plusIvEENS9_8equal_toIvEExEE10hipError_tPvRmT2_T3_T4_T5_mT6_T7_P12ihipStream_tbENKUlT_T0_E_clISt17integral_constantIbLb1EESY_IbLb0EEEEDaSU_SV_EUlSU_E_NS1_11comp_targetILNS1_3genE4ELNS1_11target_archE910ELNS1_3gpuE8ELNS1_3repE0EEENS1_30default_config_static_selectorELNS0_4arch9wavefront6targetE0EEEvT1_.numbered_sgpr, 0
	.set _ZN7rocprim17ROCPRIM_400000_NS6detail17trampoline_kernelINS0_14default_configENS1_27scan_by_key_config_selectorIxxEEZZNS1_16scan_by_key_implILNS1_25lookback_scan_determinismE0ELb0ES3_N6thrust23THRUST_200600_302600_NS6detail15normal_iteratorINS9_10device_ptrIxEEEESE_SE_xNS9_4plusIvEENS9_8equal_toIvEExEE10hipError_tPvRmT2_T3_T4_T5_mT6_T7_P12ihipStream_tbENKUlT_T0_E_clISt17integral_constantIbLb1EESY_IbLb0EEEEDaSU_SV_EUlSU_E_NS1_11comp_targetILNS1_3genE4ELNS1_11target_archE910ELNS1_3gpuE8ELNS1_3repE0EEENS1_30default_config_static_selectorELNS0_4arch9wavefront6targetE0EEEvT1_.num_named_barrier, 0
	.set _ZN7rocprim17ROCPRIM_400000_NS6detail17trampoline_kernelINS0_14default_configENS1_27scan_by_key_config_selectorIxxEEZZNS1_16scan_by_key_implILNS1_25lookback_scan_determinismE0ELb0ES3_N6thrust23THRUST_200600_302600_NS6detail15normal_iteratorINS9_10device_ptrIxEEEESE_SE_xNS9_4plusIvEENS9_8equal_toIvEExEE10hipError_tPvRmT2_T3_T4_T5_mT6_T7_P12ihipStream_tbENKUlT_T0_E_clISt17integral_constantIbLb1EESY_IbLb0EEEEDaSU_SV_EUlSU_E_NS1_11comp_targetILNS1_3genE4ELNS1_11target_archE910ELNS1_3gpuE8ELNS1_3repE0EEENS1_30default_config_static_selectorELNS0_4arch9wavefront6targetE0EEEvT1_.private_seg_size, 0
	.set _ZN7rocprim17ROCPRIM_400000_NS6detail17trampoline_kernelINS0_14default_configENS1_27scan_by_key_config_selectorIxxEEZZNS1_16scan_by_key_implILNS1_25lookback_scan_determinismE0ELb0ES3_N6thrust23THRUST_200600_302600_NS6detail15normal_iteratorINS9_10device_ptrIxEEEESE_SE_xNS9_4plusIvEENS9_8equal_toIvEExEE10hipError_tPvRmT2_T3_T4_T5_mT6_T7_P12ihipStream_tbENKUlT_T0_E_clISt17integral_constantIbLb1EESY_IbLb0EEEEDaSU_SV_EUlSU_E_NS1_11comp_targetILNS1_3genE4ELNS1_11target_archE910ELNS1_3gpuE8ELNS1_3repE0EEENS1_30default_config_static_selectorELNS0_4arch9wavefront6targetE0EEEvT1_.uses_vcc, 0
	.set _ZN7rocprim17ROCPRIM_400000_NS6detail17trampoline_kernelINS0_14default_configENS1_27scan_by_key_config_selectorIxxEEZZNS1_16scan_by_key_implILNS1_25lookback_scan_determinismE0ELb0ES3_N6thrust23THRUST_200600_302600_NS6detail15normal_iteratorINS9_10device_ptrIxEEEESE_SE_xNS9_4plusIvEENS9_8equal_toIvEExEE10hipError_tPvRmT2_T3_T4_T5_mT6_T7_P12ihipStream_tbENKUlT_T0_E_clISt17integral_constantIbLb1EESY_IbLb0EEEEDaSU_SV_EUlSU_E_NS1_11comp_targetILNS1_3genE4ELNS1_11target_archE910ELNS1_3gpuE8ELNS1_3repE0EEENS1_30default_config_static_selectorELNS0_4arch9wavefront6targetE0EEEvT1_.uses_flat_scratch, 0
	.set _ZN7rocprim17ROCPRIM_400000_NS6detail17trampoline_kernelINS0_14default_configENS1_27scan_by_key_config_selectorIxxEEZZNS1_16scan_by_key_implILNS1_25lookback_scan_determinismE0ELb0ES3_N6thrust23THRUST_200600_302600_NS6detail15normal_iteratorINS9_10device_ptrIxEEEESE_SE_xNS9_4plusIvEENS9_8equal_toIvEExEE10hipError_tPvRmT2_T3_T4_T5_mT6_T7_P12ihipStream_tbENKUlT_T0_E_clISt17integral_constantIbLb1EESY_IbLb0EEEEDaSU_SV_EUlSU_E_NS1_11comp_targetILNS1_3genE4ELNS1_11target_archE910ELNS1_3gpuE8ELNS1_3repE0EEENS1_30default_config_static_selectorELNS0_4arch9wavefront6targetE0EEEvT1_.has_dyn_sized_stack, 0
	.set _ZN7rocprim17ROCPRIM_400000_NS6detail17trampoline_kernelINS0_14default_configENS1_27scan_by_key_config_selectorIxxEEZZNS1_16scan_by_key_implILNS1_25lookback_scan_determinismE0ELb0ES3_N6thrust23THRUST_200600_302600_NS6detail15normal_iteratorINS9_10device_ptrIxEEEESE_SE_xNS9_4plusIvEENS9_8equal_toIvEExEE10hipError_tPvRmT2_T3_T4_T5_mT6_T7_P12ihipStream_tbENKUlT_T0_E_clISt17integral_constantIbLb1EESY_IbLb0EEEEDaSU_SV_EUlSU_E_NS1_11comp_targetILNS1_3genE4ELNS1_11target_archE910ELNS1_3gpuE8ELNS1_3repE0EEENS1_30default_config_static_selectorELNS0_4arch9wavefront6targetE0EEEvT1_.has_recursion, 0
	.set _ZN7rocprim17ROCPRIM_400000_NS6detail17trampoline_kernelINS0_14default_configENS1_27scan_by_key_config_selectorIxxEEZZNS1_16scan_by_key_implILNS1_25lookback_scan_determinismE0ELb0ES3_N6thrust23THRUST_200600_302600_NS6detail15normal_iteratorINS9_10device_ptrIxEEEESE_SE_xNS9_4plusIvEENS9_8equal_toIvEExEE10hipError_tPvRmT2_T3_T4_T5_mT6_T7_P12ihipStream_tbENKUlT_T0_E_clISt17integral_constantIbLb1EESY_IbLb0EEEEDaSU_SV_EUlSU_E_NS1_11comp_targetILNS1_3genE4ELNS1_11target_archE910ELNS1_3gpuE8ELNS1_3repE0EEENS1_30default_config_static_selectorELNS0_4arch9wavefront6targetE0EEEvT1_.has_indirect_call, 0
	.section	.AMDGPU.csdata,"",@progbits
; Kernel info:
; codeLenInByte = 0
; TotalNumSgprs: 0
; NumVgprs: 0
; ScratchSize: 0
; MemoryBound: 0
; FloatMode: 240
; IeeeMode: 1
; LDSByteSize: 0 bytes/workgroup (compile time only)
; SGPRBlocks: 0
; VGPRBlocks: 0
; NumSGPRsForWavesPerEU: 1
; NumVGPRsForWavesPerEU: 1
; NamedBarCnt: 0
; Occupancy: 16
; WaveLimiterHint : 0
; COMPUTE_PGM_RSRC2:SCRATCH_EN: 0
; COMPUTE_PGM_RSRC2:USER_SGPR: 2
; COMPUTE_PGM_RSRC2:TRAP_HANDLER: 0
; COMPUTE_PGM_RSRC2:TGID_X_EN: 1
; COMPUTE_PGM_RSRC2:TGID_Y_EN: 0
; COMPUTE_PGM_RSRC2:TGID_Z_EN: 0
; COMPUTE_PGM_RSRC2:TIDIG_COMP_CNT: 0
	.section	.text._ZN7rocprim17ROCPRIM_400000_NS6detail17trampoline_kernelINS0_14default_configENS1_27scan_by_key_config_selectorIxxEEZZNS1_16scan_by_key_implILNS1_25lookback_scan_determinismE0ELb0ES3_N6thrust23THRUST_200600_302600_NS6detail15normal_iteratorINS9_10device_ptrIxEEEESE_SE_xNS9_4plusIvEENS9_8equal_toIvEExEE10hipError_tPvRmT2_T3_T4_T5_mT6_T7_P12ihipStream_tbENKUlT_T0_E_clISt17integral_constantIbLb1EESY_IbLb0EEEEDaSU_SV_EUlSU_E_NS1_11comp_targetILNS1_3genE3ELNS1_11target_archE908ELNS1_3gpuE7ELNS1_3repE0EEENS1_30default_config_static_selectorELNS0_4arch9wavefront6targetE0EEEvT1_,"axG",@progbits,_ZN7rocprim17ROCPRIM_400000_NS6detail17trampoline_kernelINS0_14default_configENS1_27scan_by_key_config_selectorIxxEEZZNS1_16scan_by_key_implILNS1_25lookback_scan_determinismE0ELb0ES3_N6thrust23THRUST_200600_302600_NS6detail15normal_iteratorINS9_10device_ptrIxEEEESE_SE_xNS9_4plusIvEENS9_8equal_toIvEExEE10hipError_tPvRmT2_T3_T4_T5_mT6_T7_P12ihipStream_tbENKUlT_T0_E_clISt17integral_constantIbLb1EESY_IbLb0EEEEDaSU_SV_EUlSU_E_NS1_11comp_targetILNS1_3genE3ELNS1_11target_archE908ELNS1_3gpuE7ELNS1_3repE0EEENS1_30default_config_static_selectorELNS0_4arch9wavefront6targetE0EEEvT1_,comdat
	.protected	_ZN7rocprim17ROCPRIM_400000_NS6detail17trampoline_kernelINS0_14default_configENS1_27scan_by_key_config_selectorIxxEEZZNS1_16scan_by_key_implILNS1_25lookback_scan_determinismE0ELb0ES3_N6thrust23THRUST_200600_302600_NS6detail15normal_iteratorINS9_10device_ptrIxEEEESE_SE_xNS9_4plusIvEENS9_8equal_toIvEExEE10hipError_tPvRmT2_T3_T4_T5_mT6_T7_P12ihipStream_tbENKUlT_T0_E_clISt17integral_constantIbLb1EESY_IbLb0EEEEDaSU_SV_EUlSU_E_NS1_11comp_targetILNS1_3genE3ELNS1_11target_archE908ELNS1_3gpuE7ELNS1_3repE0EEENS1_30default_config_static_selectorELNS0_4arch9wavefront6targetE0EEEvT1_ ; -- Begin function _ZN7rocprim17ROCPRIM_400000_NS6detail17trampoline_kernelINS0_14default_configENS1_27scan_by_key_config_selectorIxxEEZZNS1_16scan_by_key_implILNS1_25lookback_scan_determinismE0ELb0ES3_N6thrust23THRUST_200600_302600_NS6detail15normal_iteratorINS9_10device_ptrIxEEEESE_SE_xNS9_4plusIvEENS9_8equal_toIvEExEE10hipError_tPvRmT2_T3_T4_T5_mT6_T7_P12ihipStream_tbENKUlT_T0_E_clISt17integral_constantIbLb1EESY_IbLb0EEEEDaSU_SV_EUlSU_E_NS1_11comp_targetILNS1_3genE3ELNS1_11target_archE908ELNS1_3gpuE7ELNS1_3repE0EEENS1_30default_config_static_selectorELNS0_4arch9wavefront6targetE0EEEvT1_
	.globl	_ZN7rocprim17ROCPRIM_400000_NS6detail17trampoline_kernelINS0_14default_configENS1_27scan_by_key_config_selectorIxxEEZZNS1_16scan_by_key_implILNS1_25lookback_scan_determinismE0ELb0ES3_N6thrust23THRUST_200600_302600_NS6detail15normal_iteratorINS9_10device_ptrIxEEEESE_SE_xNS9_4plusIvEENS9_8equal_toIvEExEE10hipError_tPvRmT2_T3_T4_T5_mT6_T7_P12ihipStream_tbENKUlT_T0_E_clISt17integral_constantIbLb1EESY_IbLb0EEEEDaSU_SV_EUlSU_E_NS1_11comp_targetILNS1_3genE3ELNS1_11target_archE908ELNS1_3gpuE7ELNS1_3repE0EEENS1_30default_config_static_selectorELNS0_4arch9wavefront6targetE0EEEvT1_
	.p2align	8
	.type	_ZN7rocprim17ROCPRIM_400000_NS6detail17trampoline_kernelINS0_14default_configENS1_27scan_by_key_config_selectorIxxEEZZNS1_16scan_by_key_implILNS1_25lookback_scan_determinismE0ELb0ES3_N6thrust23THRUST_200600_302600_NS6detail15normal_iteratorINS9_10device_ptrIxEEEESE_SE_xNS9_4plusIvEENS9_8equal_toIvEExEE10hipError_tPvRmT2_T3_T4_T5_mT6_T7_P12ihipStream_tbENKUlT_T0_E_clISt17integral_constantIbLb1EESY_IbLb0EEEEDaSU_SV_EUlSU_E_NS1_11comp_targetILNS1_3genE3ELNS1_11target_archE908ELNS1_3gpuE7ELNS1_3repE0EEENS1_30default_config_static_selectorELNS0_4arch9wavefront6targetE0EEEvT1_,@function
_ZN7rocprim17ROCPRIM_400000_NS6detail17trampoline_kernelINS0_14default_configENS1_27scan_by_key_config_selectorIxxEEZZNS1_16scan_by_key_implILNS1_25lookback_scan_determinismE0ELb0ES3_N6thrust23THRUST_200600_302600_NS6detail15normal_iteratorINS9_10device_ptrIxEEEESE_SE_xNS9_4plusIvEENS9_8equal_toIvEExEE10hipError_tPvRmT2_T3_T4_T5_mT6_T7_P12ihipStream_tbENKUlT_T0_E_clISt17integral_constantIbLb1EESY_IbLb0EEEEDaSU_SV_EUlSU_E_NS1_11comp_targetILNS1_3genE3ELNS1_11target_archE908ELNS1_3gpuE7ELNS1_3repE0EEENS1_30default_config_static_selectorELNS0_4arch9wavefront6targetE0EEEvT1_: ; @_ZN7rocprim17ROCPRIM_400000_NS6detail17trampoline_kernelINS0_14default_configENS1_27scan_by_key_config_selectorIxxEEZZNS1_16scan_by_key_implILNS1_25lookback_scan_determinismE0ELb0ES3_N6thrust23THRUST_200600_302600_NS6detail15normal_iteratorINS9_10device_ptrIxEEEESE_SE_xNS9_4plusIvEENS9_8equal_toIvEExEE10hipError_tPvRmT2_T3_T4_T5_mT6_T7_P12ihipStream_tbENKUlT_T0_E_clISt17integral_constantIbLb1EESY_IbLb0EEEEDaSU_SV_EUlSU_E_NS1_11comp_targetILNS1_3genE3ELNS1_11target_archE908ELNS1_3gpuE7ELNS1_3repE0EEENS1_30default_config_static_selectorELNS0_4arch9wavefront6targetE0EEEvT1_
; %bb.0:
	.section	.rodata,"a",@progbits
	.p2align	6, 0x0
	.amdhsa_kernel _ZN7rocprim17ROCPRIM_400000_NS6detail17trampoline_kernelINS0_14default_configENS1_27scan_by_key_config_selectorIxxEEZZNS1_16scan_by_key_implILNS1_25lookback_scan_determinismE0ELb0ES3_N6thrust23THRUST_200600_302600_NS6detail15normal_iteratorINS9_10device_ptrIxEEEESE_SE_xNS9_4plusIvEENS9_8equal_toIvEExEE10hipError_tPvRmT2_T3_T4_T5_mT6_T7_P12ihipStream_tbENKUlT_T0_E_clISt17integral_constantIbLb1EESY_IbLb0EEEEDaSU_SV_EUlSU_E_NS1_11comp_targetILNS1_3genE3ELNS1_11target_archE908ELNS1_3gpuE7ELNS1_3repE0EEENS1_30default_config_static_selectorELNS0_4arch9wavefront6targetE0EEEvT1_
		.amdhsa_group_segment_fixed_size 0
		.amdhsa_private_segment_fixed_size 0
		.amdhsa_kernarg_size 136
		.amdhsa_user_sgpr_count 2
		.amdhsa_user_sgpr_dispatch_ptr 0
		.amdhsa_user_sgpr_queue_ptr 0
		.amdhsa_user_sgpr_kernarg_segment_ptr 1
		.amdhsa_user_sgpr_dispatch_id 0
		.amdhsa_user_sgpr_kernarg_preload_length 0
		.amdhsa_user_sgpr_kernarg_preload_offset 0
		.amdhsa_user_sgpr_private_segment_size 0
		.amdhsa_wavefront_size32 1
		.amdhsa_uses_dynamic_stack 0
		.amdhsa_enable_private_segment 0
		.amdhsa_system_sgpr_workgroup_id_x 1
		.amdhsa_system_sgpr_workgroup_id_y 0
		.amdhsa_system_sgpr_workgroup_id_z 0
		.amdhsa_system_sgpr_workgroup_info 0
		.amdhsa_system_vgpr_workitem_id 0
		.amdhsa_next_free_vgpr 1
		.amdhsa_next_free_sgpr 1
		.amdhsa_named_barrier_count 0
		.amdhsa_reserve_vcc 0
		.amdhsa_float_round_mode_32 0
		.amdhsa_float_round_mode_16_64 0
		.amdhsa_float_denorm_mode_32 3
		.amdhsa_float_denorm_mode_16_64 3
		.amdhsa_fp16_overflow 0
		.amdhsa_memory_ordered 1
		.amdhsa_forward_progress 1
		.amdhsa_inst_pref_size 0
		.amdhsa_round_robin_scheduling 0
		.amdhsa_exception_fp_ieee_invalid_op 0
		.amdhsa_exception_fp_denorm_src 0
		.amdhsa_exception_fp_ieee_div_zero 0
		.amdhsa_exception_fp_ieee_overflow 0
		.amdhsa_exception_fp_ieee_underflow 0
		.amdhsa_exception_fp_ieee_inexact 0
		.amdhsa_exception_int_div_zero 0
	.end_amdhsa_kernel
	.section	.text._ZN7rocprim17ROCPRIM_400000_NS6detail17trampoline_kernelINS0_14default_configENS1_27scan_by_key_config_selectorIxxEEZZNS1_16scan_by_key_implILNS1_25lookback_scan_determinismE0ELb0ES3_N6thrust23THRUST_200600_302600_NS6detail15normal_iteratorINS9_10device_ptrIxEEEESE_SE_xNS9_4plusIvEENS9_8equal_toIvEExEE10hipError_tPvRmT2_T3_T4_T5_mT6_T7_P12ihipStream_tbENKUlT_T0_E_clISt17integral_constantIbLb1EESY_IbLb0EEEEDaSU_SV_EUlSU_E_NS1_11comp_targetILNS1_3genE3ELNS1_11target_archE908ELNS1_3gpuE7ELNS1_3repE0EEENS1_30default_config_static_selectorELNS0_4arch9wavefront6targetE0EEEvT1_,"axG",@progbits,_ZN7rocprim17ROCPRIM_400000_NS6detail17trampoline_kernelINS0_14default_configENS1_27scan_by_key_config_selectorIxxEEZZNS1_16scan_by_key_implILNS1_25lookback_scan_determinismE0ELb0ES3_N6thrust23THRUST_200600_302600_NS6detail15normal_iteratorINS9_10device_ptrIxEEEESE_SE_xNS9_4plusIvEENS9_8equal_toIvEExEE10hipError_tPvRmT2_T3_T4_T5_mT6_T7_P12ihipStream_tbENKUlT_T0_E_clISt17integral_constantIbLb1EESY_IbLb0EEEEDaSU_SV_EUlSU_E_NS1_11comp_targetILNS1_3genE3ELNS1_11target_archE908ELNS1_3gpuE7ELNS1_3repE0EEENS1_30default_config_static_selectorELNS0_4arch9wavefront6targetE0EEEvT1_,comdat
.Lfunc_end31:
	.size	_ZN7rocprim17ROCPRIM_400000_NS6detail17trampoline_kernelINS0_14default_configENS1_27scan_by_key_config_selectorIxxEEZZNS1_16scan_by_key_implILNS1_25lookback_scan_determinismE0ELb0ES3_N6thrust23THRUST_200600_302600_NS6detail15normal_iteratorINS9_10device_ptrIxEEEESE_SE_xNS9_4plusIvEENS9_8equal_toIvEExEE10hipError_tPvRmT2_T3_T4_T5_mT6_T7_P12ihipStream_tbENKUlT_T0_E_clISt17integral_constantIbLb1EESY_IbLb0EEEEDaSU_SV_EUlSU_E_NS1_11comp_targetILNS1_3genE3ELNS1_11target_archE908ELNS1_3gpuE7ELNS1_3repE0EEENS1_30default_config_static_selectorELNS0_4arch9wavefront6targetE0EEEvT1_, .Lfunc_end31-_ZN7rocprim17ROCPRIM_400000_NS6detail17trampoline_kernelINS0_14default_configENS1_27scan_by_key_config_selectorIxxEEZZNS1_16scan_by_key_implILNS1_25lookback_scan_determinismE0ELb0ES3_N6thrust23THRUST_200600_302600_NS6detail15normal_iteratorINS9_10device_ptrIxEEEESE_SE_xNS9_4plusIvEENS9_8equal_toIvEExEE10hipError_tPvRmT2_T3_T4_T5_mT6_T7_P12ihipStream_tbENKUlT_T0_E_clISt17integral_constantIbLb1EESY_IbLb0EEEEDaSU_SV_EUlSU_E_NS1_11comp_targetILNS1_3genE3ELNS1_11target_archE908ELNS1_3gpuE7ELNS1_3repE0EEENS1_30default_config_static_selectorELNS0_4arch9wavefront6targetE0EEEvT1_
                                        ; -- End function
	.set _ZN7rocprim17ROCPRIM_400000_NS6detail17trampoline_kernelINS0_14default_configENS1_27scan_by_key_config_selectorIxxEEZZNS1_16scan_by_key_implILNS1_25lookback_scan_determinismE0ELb0ES3_N6thrust23THRUST_200600_302600_NS6detail15normal_iteratorINS9_10device_ptrIxEEEESE_SE_xNS9_4plusIvEENS9_8equal_toIvEExEE10hipError_tPvRmT2_T3_T4_T5_mT6_T7_P12ihipStream_tbENKUlT_T0_E_clISt17integral_constantIbLb1EESY_IbLb0EEEEDaSU_SV_EUlSU_E_NS1_11comp_targetILNS1_3genE3ELNS1_11target_archE908ELNS1_3gpuE7ELNS1_3repE0EEENS1_30default_config_static_selectorELNS0_4arch9wavefront6targetE0EEEvT1_.num_vgpr, 0
	.set _ZN7rocprim17ROCPRIM_400000_NS6detail17trampoline_kernelINS0_14default_configENS1_27scan_by_key_config_selectorIxxEEZZNS1_16scan_by_key_implILNS1_25lookback_scan_determinismE0ELb0ES3_N6thrust23THRUST_200600_302600_NS6detail15normal_iteratorINS9_10device_ptrIxEEEESE_SE_xNS9_4plusIvEENS9_8equal_toIvEExEE10hipError_tPvRmT2_T3_T4_T5_mT6_T7_P12ihipStream_tbENKUlT_T0_E_clISt17integral_constantIbLb1EESY_IbLb0EEEEDaSU_SV_EUlSU_E_NS1_11comp_targetILNS1_3genE3ELNS1_11target_archE908ELNS1_3gpuE7ELNS1_3repE0EEENS1_30default_config_static_selectorELNS0_4arch9wavefront6targetE0EEEvT1_.num_agpr, 0
	.set _ZN7rocprim17ROCPRIM_400000_NS6detail17trampoline_kernelINS0_14default_configENS1_27scan_by_key_config_selectorIxxEEZZNS1_16scan_by_key_implILNS1_25lookback_scan_determinismE0ELb0ES3_N6thrust23THRUST_200600_302600_NS6detail15normal_iteratorINS9_10device_ptrIxEEEESE_SE_xNS9_4plusIvEENS9_8equal_toIvEExEE10hipError_tPvRmT2_T3_T4_T5_mT6_T7_P12ihipStream_tbENKUlT_T0_E_clISt17integral_constantIbLb1EESY_IbLb0EEEEDaSU_SV_EUlSU_E_NS1_11comp_targetILNS1_3genE3ELNS1_11target_archE908ELNS1_3gpuE7ELNS1_3repE0EEENS1_30default_config_static_selectorELNS0_4arch9wavefront6targetE0EEEvT1_.numbered_sgpr, 0
	.set _ZN7rocprim17ROCPRIM_400000_NS6detail17trampoline_kernelINS0_14default_configENS1_27scan_by_key_config_selectorIxxEEZZNS1_16scan_by_key_implILNS1_25lookback_scan_determinismE0ELb0ES3_N6thrust23THRUST_200600_302600_NS6detail15normal_iteratorINS9_10device_ptrIxEEEESE_SE_xNS9_4plusIvEENS9_8equal_toIvEExEE10hipError_tPvRmT2_T3_T4_T5_mT6_T7_P12ihipStream_tbENKUlT_T0_E_clISt17integral_constantIbLb1EESY_IbLb0EEEEDaSU_SV_EUlSU_E_NS1_11comp_targetILNS1_3genE3ELNS1_11target_archE908ELNS1_3gpuE7ELNS1_3repE0EEENS1_30default_config_static_selectorELNS0_4arch9wavefront6targetE0EEEvT1_.num_named_barrier, 0
	.set _ZN7rocprim17ROCPRIM_400000_NS6detail17trampoline_kernelINS0_14default_configENS1_27scan_by_key_config_selectorIxxEEZZNS1_16scan_by_key_implILNS1_25lookback_scan_determinismE0ELb0ES3_N6thrust23THRUST_200600_302600_NS6detail15normal_iteratorINS9_10device_ptrIxEEEESE_SE_xNS9_4plusIvEENS9_8equal_toIvEExEE10hipError_tPvRmT2_T3_T4_T5_mT6_T7_P12ihipStream_tbENKUlT_T0_E_clISt17integral_constantIbLb1EESY_IbLb0EEEEDaSU_SV_EUlSU_E_NS1_11comp_targetILNS1_3genE3ELNS1_11target_archE908ELNS1_3gpuE7ELNS1_3repE0EEENS1_30default_config_static_selectorELNS0_4arch9wavefront6targetE0EEEvT1_.private_seg_size, 0
	.set _ZN7rocprim17ROCPRIM_400000_NS6detail17trampoline_kernelINS0_14default_configENS1_27scan_by_key_config_selectorIxxEEZZNS1_16scan_by_key_implILNS1_25lookback_scan_determinismE0ELb0ES3_N6thrust23THRUST_200600_302600_NS6detail15normal_iteratorINS9_10device_ptrIxEEEESE_SE_xNS9_4plusIvEENS9_8equal_toIvEExEE10hipError_tPvRmT2_T3_T4_T5_mT6_T7_P12ihipStream_tbENKUlT_T0_E_clISt17integral_constantIbLb1EESY_IbLb0EEEEDaSU_SV_EUlSU_E_NS1_11comp_targetILNS1_3genE3ELNS1_11target_archE908ELNS1_3gpuE7ELNS1_3repE0EEENS1_30default_config_static_selectorELNS0_4arch9wavefront6targetE0EEEvT1_.uses_vcc, 0
	.set _ZN7rocprim17ROCPRIM_400000_NS6detail17trampoline_kernelINS0_14default_configENS1_27scan_by_key_config_selectorIxxEEZZNS1_16scan_by_key_implILNS1_25lookback_scan_determinismE0ELb0ES3_N6thrust23THRUST_200600_302600_NS6detail15normal_iteratorINS9_10device_ptrIxEEEESE_SE_xNS9_4plusIvEENS9_8equal_toIvEExEE10hipError_tPvRmT2_T3_T4_T5_mT6_T7_P12ihipStream_tbENKUlT_T0_E_clISt17integral_constantIbLb1EESY_IbLb0EEEEDaSU_SV_EUlSU_E_NS1_11comp_targetILNS1_3genE3ELNS1_11target_archE908ELNS1_3gpuE7ELNS1_3repE0EEENS1_30default_config_static_selectorELNS0_4arch9wavefront6targetE0EEEvT1_.uses_flat_scratch, 0
	.set _ZN7rocprim17ROCPRIM_400000_NS6detail17trampoline_kernelINS0_14default_configENS1_27scan_by_key_config_selectorIxxEEZZNS1_16scan_by_key_implILNS1_25lookback_scan_determinismE0ELb0ES3_N6thrust23THRUST_200600_302600_NS6detail15normal_iteratorINS9_10device_ptrIxEEEESE_SE_xNS9_4plusIvEENS9_8equal_toIvEExEE10hipError_tPvRmT2_T3_T4_T5_mT6_T7_P12ihipStream_tbENKUlT_T0_E_clISt17integral_constantIbLb1EESY_IbLb0EEEEDaSU_SV_EUlSU_E_NS1_11comp_targetILNS1_3genE3ELNS1_11target_archE908ELNS1_3gpuE7ELNS1_3repE0EEENS1_30default_config_static_selectorELNS0_4arch9wavefront6targetE0EEEvT1_.has_dyn_sized_stack, 0
	.set _ZN7rocprim17ROCPRIM_400000_NS6detail17trampoline_kernelINS0_14default_configENS1_27scan_by_key_config_selectorIxxEEZZNS1_16scan_by_key_implILNS1_25lookback_scan_determinismE0ELb0ES3_N6thrust23THRUST_200600_302600_NS6detail15normal_iteratorINS9_10device_ptrIxEEEESE_SE_xNS9_4plusIvEENS9_8equal_toIvEExEE10hipError_tPvRmT2_T3_T4_T5_mT6_T7_P12ihipStream_tbENKUlT_T0_E_clISt17integral_constantIbLb1EESY_IbLb0EEEEDaSU_SV_EUlSU_E_NS1_11comp_targetILNS1_3genE3ELNS1_11target_archE908ELNS1_3gpuE7ELNS1_3repE0EEENS1_30default_config_static_selectorELNS0_4arch9wavefront6targetE0EEEvT1_.has_recursion, 0
	.set _ZN7rocprim17ROCPRIM_400000_NS6detail17trampoline_kernelINS0_14default_configENS1_27scan_by_key_config_selectorIxxEEZZNS1_16scan_by_key_implILNS1_25lookback_scan_determinismE0ELb0ES3_N6thrust23THRUST_200600_302600_NS6detail15normal_iteratorINS9_10device_ptrIxEEEESE_SE_xNS9_4plusIvEENS9_8equal_toIvEExEE10hipError_tPvRmT2_T3_T4_T5_mT6_T7_P12ihipStream_tbENKUlT_T0_E_clISt17integral_constantIbLb1EESY_IbLb0EEEEDaSU_SV_EUlSU_E_NS1_11comp_targetILNS1_3genE3ELNS1_11target_archE908ELNS1_3gpuE7ELNS1_3repE0EEENS1_30default_config_static_selectorELNS0_4arch9wavefront6targetE0EEEvT1_.has_indirect_call, 0
	.section	.AMDGPU.csdata,"",@progbits
; Kernel info:
; codeLenInByte = 0
; TotalNumSgprs: 0
; NumVgprs: 0
; ScratchSize: 0
; MemoryBound: 0
; FloatMode: 240
; IeeeMode: 1
; LDSByteSize: 0 bytes/workgroup (compile time only)
; SGPRBlocks: 0
; VGPRBlocks: 0
; NumSGPRsForWavesPerEU: 1
; NumVGPRsForWavesPerEU: 1
; NamedBarCnt: 0
; Occupancy: 16
; WaveLimiterHint : 0
; COMPUTE_PGM_RSRC2:SCRATCH_EN: 0
; COMPUTE_PGM_RSRC2:USER_SGPR: 2
; COMPUTE_PGM_RSRC2:TRAP_HANDLER: 0
; COMPUTE_PGM_RSRC2:TGID_X_EN: 1
; COMPUTE_PGM_RSRC2:TGID_Y_EN: 0
; COMPUTE_PGM_RSRC2:TGID_Z_EN: 0
; COMPUTE_PGM_RSRC2:TIDIG_COMP_CNT: 0
	.section	.text._ZN7rocprim17ROCPRIM_400000_NS6detail17trampoline_kernelINS0_14default_configENS1_27scan_by_key_config_selectorIxxEEZZNS1_16scan_by_key_implILNS1_25lookback_scan_determinismE0ELb0ES3_N6thrust23THRUST_200600_302600_NS6detail15normal_iteratorINS9_10device_ptrIxEEEESE_SE_xNS9_4plusIvEENS9_8equal_toIvEExEE10hipError_tPvRmT2_T3_T4_T5_mT6_T7_P12ihipStream_tbENKUlT_T0_E_clISt17integral_constantIbLb1EESY_IbLb0EEEEDaSU_SV_EUlSU_E_NS1_11comp_targetILNS1_3genE2ELNS1_11target_archE906ELNS1_3gpuE6ELNS1_3repE0EEENS1_30default_config_static_selectorELNS0_4arch9wavefront6targetE0EEEvT1_,"axG",@progbits,_ZN7rocprim17ROCPRIM_400000_NS6detail17trampoline_kernelINS0_14default_configENS1_27scan_by_key_config_selectorIxxEEZZNS1_16scan_by_key_implILNS1_25lookback_scan_determinismE0ELb0ES3_N6thrust23THRUST_200600_302600_NS6detail15normal_iteratorINS9_10device_ptrIxEEEESE_SE_xNS9_4plusIvEENS9_8equal_toIvEExEE10hipError_tPvRmT2_T3_T4_T5_mT6_T7_P12ihipStream_tbENKUlT_T0_E_clISt17integral_constantIbLb1EESY_IbLb0EEEEDaSU_SV_EUlSU_E_NS1_11comp_targetILNS1_3genE2ELNS1_11target_archE906ELNS1_3gpuE6ELNS1_3repE0EEENS1_30default_config_static_selectorELNS0_4arch9wavefront6targetE0EEEvT1_,comdat
	.protected	_ZN7rocprim17ROCPRIM_400000_NS6detail17trampoline_kernelINS0_14default_configENS1_27scan_by_key_config_selectorIxxEEZZNS1_16scan_by_key_implILNS1_25lookback_scan_determinismE0ELb0ES3_N6thrust23THRUST_200600_302600_NS6detail15normal_iteratorINS9_10device_ptrIxEEEESE_SE_xNS9_4plusIvEENS9_8equal_toIvEExEE10hipError_tPvRmT2_T3_T4_T5_mT6_T7_P12ihipStream_tbENKUlT_T0_E_clISt17integral_constantIbLb1EESY_IbLb0EEEEDaSU_SV_EUlSU_E_NS1_11comp_targetILNS1_3genE2ELNS1_11target_archE906ELNS1_3gpuE6ELNS1_3repE0EEENS1_30default_config_static_selectorELNS0_4arch9wavefront6targetE0EEEvT1_ ; -- Begin function _ZN7rocprim17ROCPRIM_400000_NS6detail17trampoline_kernelINS0_14default_configENS1_27scan_by_key_config_selectorIxxEEZZNS1_16scan_by_key_implILNS1_25lookback_scan_determinismE0ELb0ES3_N6thrust23THRUST_200600_302600_NS6detail15normal_iteratorINS9_10device_ptrIxEEEESE_SE_xNS9_4plusIvEENS9_8equal_toIvEExEE10hipError_tPvRmT2_T3_T4_T5_mT6_T7_P12ihipStream_tbENKUlT_T0_E_clISt17integral_constantIbLb1EESY_IbLb0EEEEDaSU_SV_EUlSU_E_NS1_11comp_targetILNS1_3genE2ELNS1_11target_archE906ELNS1_3gpuE6ELNS1_3repE0EEENS1_30default_config_static_selectorELNS0_4arch9wavefront6targetE0EEEvT1_
	.globl	_ZN7rocprim17ROCPRIM_400000_NS6detail17trampoline_kernelINS0_14default_configENS1_27scan_by_key_config_selectorIxxEEZZNS1_16scan_by_key_implILNS1_25lookback_scan_determinismE0ELb0ES3_N6thrust23THRUST_200600_302600_NS6detail15normal_iteratorINS9_10device_ptrIxEEEESE_SE_xNS9_4plusIvEENS9_8equal_toIvEExEE10hipError_tPvRmT2_T3_T4_T5_mT6_T7_P12ihipStream_tbENKUlT_T0_E_clISt17integral_constantIbLb1EESY_IbLb0EEEEDaSU_SV_EUlSU_E_NS1_11comp_targetILNS1_3genE2ELNS1_11target_archE906ELNS1_3gpuE6ELNS1_3repE0EEENS1_30default_config_static_selectorELNS0_4arch9wavefront6targetE0EEEvT1_
	.p2align	8
	.type	_ZN7rocprim17ROCPRIM_400000_NS6detail17trampoline_kernelINS0_14default_configENS1_27scan_by_key_config_selectorIxxEEZZNS1_16scan_by_key_implILNS1_25lookback_scan_determinismE0ELb0ES3_N6thrust23THRUST_200600_302600_NS6detail15normal_iteratorINS9_10device_ptrIxEEEESE_SE_xNS9_4plusIvEENS9_8equal_toIvEExEE10hipError_tPvRmT2_T3_T4_T5_mT6_T7_P12ihipStream_tbENKUlT_T0_E_clISt17integral_constantIbLb1EESY_IbLb0EEEEDaSU_SV_EUlSU_E_NS1_11comp_targetILNS1_3genE2ELNS1_11target_archE906ELNS1_3gpuE6ELNS1_3repE0EEENS1_30default_config_static_selectorELNS0_4arch9wavefront6targetE0EEEvT1_,@function
_ZN7rocprim17ROCPRIM_400000_NS6detail17trampoline_kernelINS0_14default_configENS1_27scan_by_key_config_selectorIxxEEZZNS1_16scan_by_key_implILNS1_25lookback_scan_determinismE0ELb0ES3_N6thrust23THRUST_200600_302600_NS6detail15normal_iteratorINS9_10device_ptrIxEEEESE_SE_xNS9_4plusIvEENS9_8equal_toIvEExEE10hipError_tPvRmT2_T3_T4_T5_mT6_T7_P12ihipStream_tbENKUlT_T0_E_clISt17integral_constantIbLb1EESY_IbLb0EEEEDaSU_SV_EUlSU_E_NS1_11comp_targetILNS1_3genE2ELNS1_11target_archE906ELNS1_3gpuE6ELNS1_3repE0EEENS1_30default_config_static_selectorELNS0_4arch9wavefront6targetE0EEEvT1_: ; @_ZN7rocprim17ROCPRIM_400000_NS6detail17trampoline_kernelINS0_14default_configENS1_27scan_by_key_config_selectorIxxEEZZNS1_16scan_by_key_implILNS1_25lookback_scan_determinismE0ELb0ES3_N6thrust23THRUST_200600_302600_NS6detail15normal_iteratorINS9_10device_ptrIxEEEESE_SE_xNS9_4plusIvEENS9_8equal_toIvEExEE10hipError_tPvRmT2_T3_T4_T5_mT6_T7_P12ihipStream_tbENKUlT_T0_E_clISt17integral_constantIbLb1EESY_IbLb0EEEEDaSU_SV_EUlSU_E_NS1_11comp_targetILNS1_3genE2ELNS1_11target_archE906ELNS1_3gpuE6ELNS1_3repE0EEENS1_30default_config_static_selectorELNS0_4arch9wavefront6targetE0EEEvT1_
; %bb.0:
	.section	.rodata,"a",@progbits
	.p2align	6, 0x0
	.amdhsa_kernel _ZN7rocprim17ROCPRIM_400000_NS6detail17trampoline_kernelINS0_14default_configENS1_27scan_by_key_config_selectorIxxEEZZNS1_16scan_by_key_implILNS1_25lookback_scan_determinismE0ELb0ES3_N6thrust23THRUST_200600_302600_NS6detail15normal_iteratorINS9_10device_ptrIxEEEESE_SE_xNS9_4plusIvEENS9_8equal_toIvEExEE10hipError_tPvRmT2_T3_T4_T5_mT6_T7_P12ihipStream_tbENKUlT_T0_E_clISt17integral_constantIbLb1EESY_IbLb0EEEEDaSU_SV_EUlSU_E_NS1_11comp_targetILNS1_3genE2ELNS1_11target_archE906ELNS1_3gpuE6ELNS1_3repE0EEENS1_30default_config_static_selectorELNS0_4arch9wavefront6targetE0EEEvT1_
		.amdhsa_group_segment_fixed_size 0
		.amdhsa_private_segment_fixed_size 0
		.amdhsa_kernarg_size 136
		.amdhsa_user_sgpr_count 2
		.amdhsa_user_sgpr_dispatch_ptr 0
		.amdhsa_user_sgpr_queue_ptr 0
		.amdhsa_user_sgpr_kernarg_segment_ptr 1
		.amdhsa_user_sgpr_dispatch_id 0
		.amdhsa_user_sgpr_kernarg_preload_length 0
		.amdhsa_user_sgpr_kernarg_preload_offset 0
		.amdhsa_user_sgpr_private_segment_size 0
		.amdhsa_wavefront_size32 1
		.amdhsa_uses_dynamic_stack 0
		.amdhsa_enable_private_segment 0
		.amdhsa_system_sgpr_workgroup_id_x 1
		.amdhsa_system_sgpr_workgroup_id_y 0
		.amdhsa_system_sgpr_workgroup_id_z 0
		.amdhsa_system_sgpr_workgroup_info 0
		.amdhsa_system_vgpr_workitem_id 0
		.amdhsa_next_free_vgpr 1
		.amdhsa_next_free_sgpr 1
		.amdhsa_named_barrier_count 0
		.amdhsa_reserve_vcc 0
		.amdhsa_float_round_mode_32 0
		.amdhsa_float_round_mode_16_64 0
		.amdhsa_float_denorm_mode_32 3
		.amdhsa_float_denorm_mode_16_64 3
		.amdhsa_fp16_overflow 0
		.amdhsa_memory_ordered 1
		.amdhsa_forward_progress 1
		.amdhsa_inst_pref_size 0
		.amdhsa_round_robin_scheduling 0
		.amdhsa_exception_fp_ieee_invalid_op 0
		.amdhsa_exception_fp_denorm_src 0
		.amdhsa_exception_fp_ieee_div_zero 0
		.amdhsa_exception_fp_ieee_overflow 0
		.amdhsa_exception_fp_ieee_underflow 0
		.amdhsa_exception_fp_ieee_inexact 0
		.amdhsa_exception_int_div_zero 0
	.end_amdhsa_kernel
	.section	.text._ZN7rocprim17ROCPRIM_400000_NS6detail17trampoline_kernelINS0_14default_configENS1_27scan_by_key_config_selectorIxxEEZZNS1_16scan_by_key_implILNS1_25lookback_scan_determinismE0ELb0ES3_N6thrust23THRUST_200600_302600_NS6detail15normal_iteratorINS9_10device_ptrIxEEEESE_SE_xNS9_4plusIvEENS9_8equal_toIvEExEE10hipError_tPvRmT2_T3_T4_T5_mT6_T7_P12ihipStream_tbENKUlT_T0_E_clISt17integral_constantIbLb1EESY_IbLb0EEEEDaSU_SV_EUlSU_E_NS1_11comp_targetILNS1_3genE2ELNS1_11target_archE906ELNS1_3gpuE6ELNS1_3repE0EEENS1_30default_config_static_selectorELNS0_4arch9wavefront6targetE0EEEvT1_,"axG",@progbits,_ZN7rocprim17ROCPRIM_400000_NS6detail17trampoline_kernelINS0_14default_configENS1_27scan_by_key_config_selectorIxxEEZZNS1_16scan_by_key_implILNS1_25lookback_scan_determinismE0ELb0ES3_N6thrust23THRUST_200600_302600_NS6detail15normal_iteratorINS9_10device_ptrIxEEEESE_SE_xNS9_4plusIvEENS9_8equal_toIvEExEE10hipError_tPvRmT2_T3_T4_T5_mT6_T7_P12ihipStream_tbENKUlT_T0_E_clISt17integral_constantIbLb1EESY_IbLb0EEEEDaSU_SV_EUlSU_E_NS1_11comp_targetILNS1_3genE2ELNS1_11target_archE906ELNS1_3gpuE6ELNS1_3repE0EEENS1_30default_config_static_selectorELNS0_4arch9wavefront6targetE0EEEvT1_,comdat
.Lfunc_end32:
	.size	_ZN7rocprim17ROCPRIM_400000_NS6detail17trampoline_kernelINS0_14default_configENS1_27scan_by_key_config_selectorIxxEEZZNS1_16scan_by_key_implILNS1_25lookback_scan_determinismE0ELb0ES3_N6thrust23THRUST_200600_302600_NS6detail15normal_iteratorINS9_10device_ptrIxEEEESE_SE_xNS9_4plusIvEENS9_8equal_toIvEExEE10hipError_tPvRmT2_T3_T4_T5_mT6_T7_P12ihipStream_tbENKUlT_T0_E_clISt17integral_constantIbLb1EESY_IbLb0EEEEDaSU_SV_EUlSU_E_NS1_11comp_targetILNS1_3genE2ELNS1_11target_archE906ELNS1_3gpuE6ELNS1_3repE0EEENS1_30default_config_static_selectorELNS0_4arch9wavefront6targetE0EEEvT1_, .Lfunc_end32-_ZN7rocprim17ROCPRIM_400000_NS6detail17trampoline_kernelINS0_14default_configENS1_27scan_by_key_config_selectorIxxEEZZNS1_16scan_by_key_implILNS1_25lookback_scan_determinismE0ELb0ES3_N6thrust23THRUST_200600_302600_NS6detail15normal_iteratorINS9_10device_ptrIxEEEESE_SE_xNS9_4plusIvEENS9_8equal_toIvEExEE10hipError_tPvRmT2_T3_T4_T5_mT6_T7_P12ihipStream_tbENKUlT_T0_E_clISt17integral_constantIbLb1EESY_IbLb0EEEEDaSU_SV_EUlSU_E_NS1_11comp_targetILNS1_3genE2ELNS1_11target_archE906ELNS1_3gpuE6ELNS1_3repE0EEENS1_30default_config_static_selectorELNS0_4arch9wavefront6targetE0EEEvT1_
                                        ; -- End function
	.set _ZN7rocprim17ROCPRIM_400000_NS6detail17trampoline_kernelINS0_14default_configENS1_27scan_by_key_config_selectorIxxEEZZNS1_16scan_by_key_implILNS1_25lookback_scan_determinismE0ELb0ES3_N6thrust23THRUST_200600_302600_NS6detail15normal_iteratorINS9_10device_ptrIxEEEESE_SE_xNS9_4plusIvEENS9_8equal_toIvEExEE10hipError_tPvRmT2_T3_T4_T5_mT6_T7_P12ihipStream_tbENKUlT_T0_E_clISt17integral_constantIbLb1EESY_IbLb0EEEEDaSU_SV_EUlSU_E_NS1_11comp_targetILNS1_3genE2ELNS1_11target_archE906ELNS1_3gpuE6ELNS1_3repE0EEENS1_30default_config_static_selectorELNS0_4arch9wavefront6targetE0EEEvT1_.num_vgpr, 0
	.set _ZN7rocprim17ROCPRIM_400000_NS6detail17trampoline_kernelINS0_14default_configENS1_27scan_by_key_config_selectorIxxEEZZNS1_16scan_by_key_implILNS1_25lookback_scan_determinismE0ELb0ES3_N6thrust23THRUST_200600_302600_NS6detail15normal_iteratorINS9_10device_ptrIxEEEESE_SE_xNS9_4plusIvEENS9_8equal_toIvEExEE10hipError_tPvRmT2_T3_T4_T5_mT6_T7_P12ihipStream_tbENKUlT_T0_E_clISt17integral_constantIbLb1EESY_IbLb0EEEEDaSU_SV_EUlSU_E_NS1_11comp_targetILNS1_3genE2ELNS1_11target_archE906ELNS1_3gpuE6ELNS1_3repE0EEENS1_30default_config_static_selectorELNS0_4arch9wavefront6targetE0EEEvT1_.num_agpr, 0
	.set _ZN7rocprim17ROCPRIM_400000_NS6detail17trampoline_kernelINS0_14default_configENS1_27scan_by_key_config_selectorIxxEEZZNS1_16scan_by_key_implILNS1_25lookback_scan_determinismE0ELb0ES3_N6thrust23THRUST_200600_302600_NS6detail15normal_iteratorINS9_10device_ptrIxEEEESE_SE_xNS9_4plusIvEENS9_8equal_toIvEExEE10hipError_tPvRmT2_T3_T4_T5_mT6_T7_P12ihipStream_tbENKUlT_T0_E_clISt17integral_constantIbLb1EESY_IbLb0EEEEDaSU_SV_EUlSU_E_NS1_11comp_targetILNS1_3genE2ELNS1_11target_archE906ELNS1_3gpuE6ELNS1_3repE0EEENS1_30default_config_static_selectorELNS0_4arch9wavefront6targetE0EEEvT1_.numbered_sgpr, 0
	.set _ZN7rocprim17ROCPRIM_400000_NS6detail17trampoline_kernelINS0_14default_configENS1_27scan_by_key_config_selectorIxxEEZZNS1_16scan_by_key_implILNS1_25lookback_scan_determinismE0ELb0ES3_N6thrust23THRUST_200600_302600_NS6detail15normal_iteratorINS9_10device_ptrIxEEEESE_SE_xNS9_4plusIvEENS9_8equal_toIvEExEE10hipError_tPvRmT2_T3_T4_T5_mT6_T7_P12ihipStream_tbENKUlT_T0_E_clISt17integral_constantIbLb1EESY_IbLb0EEEEDaSU_SV_EUlSU_E_NS1_11comp_targetILNS1_3genE2ELNS1_11target_archE906ELNS1_3gpuE6ELNS1_3repE0EEENS1_30default_config_static_selectorELNS0_4arch9wavefront6targetE0EEEvT1_.num_named_barrier, 0
	.set _ZN7rocprim17ROCPRIM_400000_NS6detail17trampoline_kernelINS0_14default_configENS1_27scan_by_key_config_selectorIxxEEZZNS1_16scan_by_key_implILNS1_25lookback_scan_determinismE0ELb0ES3_N6thrust23THRUST_200600_302600_NS6detail15normal_iteratorINS9_10device_ptrIxEEEESE_SE_xNS9_4plusIvEENS9_8equal_toIvEExEE10hipError_tPvRmT2_T3_T4_T5_mT6_T7_P12ihipStream_tbENKUlT_T0_E_clISt17integral_constantIbLb1EESY_IbLb0EEEEDaSU_SV_EUlSU_E_NS1_11comp_targetILNS1_3genE2ELNS1_11target_archE906ELNS1_3gpuE6ELNS1_3repE0EEENS1_30default_config_static_selectorELNS0_4arch9wavefront6targetE0EEEvT1_.private_seg_size, 0
	.set _ZN7rocprim17ROCPRIM_400000_NS6detail17trampoline_kernelINS0_14default_configENS1_27scan_by_key_config_selectorIxxEEZZNS1_16scan_by_key_implILNS1_25lookback_scan_determinismE0ELb0ES3_N6thrust23THRUST_200600_302600_NS6detail15normal_iteratorINS9_10device_ptrIxEEEESE_SE_xNS9_4plusIvEENS9_8equal_toIvEExEE10hipError_tPvRmT2_T3_T4_T5_mT6_T7_P12ihipStream_tbENKUlT_T0_E_clISt17integral_constantIbLb1EESY_IbLb0EEEEDaSU_SV_EUlSU_E_NS1_11comp_targetILNS1_3genE2ELNS1_11target_archE906ELNS1_3gpuE6ELNS1_3repE0EEENS1_30default_config_static_selectorELNS0_4arch9wavefront6targetE0EEEvT1_.uses_vcc, 0
	.set _ZN7rocprim17ROCPRIM_400000_NS6detail17trampoline_kernelINS0_14default_configENS1_27scan_by_key_config_selectorIxxEEZZNS1_16scan_by_key_implILNS1_25lookback_scan_determinismE0ELb0ES3_N6thrust23THRUST_200600_302600_NS6detail15normal_iteratorINS9_10device_ptrIxEEEESE_SE_xNS9_4plusIvEENS9_8equal_toIvEExEE10hipError_tPvRmT2_T3_T4_T5_mT6_T7_P12ihipStream_tbENKUlT_T0_E_clISt17integral_constantIbLb1EESY_IbLb0EEEEDaSU_SV_EUlSU_E_NS1_11comp_targetILNS1_3genE2ELNS1_11target_archE906ELNS1_3gpuE6ELNS1_3repE0EEENS1_30default_config_static_selectorELNS0_4arch9wavefront6targetE0EEEvT1_.uses_flat_scratch, 0
	.set _ZN7rocprim17ROCPRIM_400000_NS6detail17trampoline_kernelINS0_14default_configENS1_27scan_by_key_config_selectorIxxEEZZNS1_16scan_by_key_implILNS1_25lookback_scan_determinismE0ELb0ES3_N6thrust23THRUST_200600_302600_NS6detail15normal_iteratorINS9_10device_ptrIxEEEESE_SE_xNS9_4plusIvEENS9_8equal_toIvEExEE10hipError_tPvRmT2_T3_T4_T5_mT6_T7_P12ihipStream_tbENKUlT_T0_E_clISt17integral_constantIbLb1EESY_IbLb0EEEEDaSU_SV_EUlSU_E_NS1_11comp_targetILNS1_3genE2ELNS1_11target_archE906ELNS1_3gpuE6ELNS1_3repE0EEENS1_30default_config_static_selectorELNS0_4arch9wavefront6targetE0EEEvT1_.has_dyn_sized_stack, 0
	.set _ZN7rocprim17ROCPRIM_400000_NS6detail17trampoline_kernelINS0_14default_configENS1_27scan_by_key_config_selectorIxxEEZZNS1_16scan_by_key_implILNS1_25lookback_scan_determinismE0ELb0ES3_N6thrust23THRUST_200600_302600_NS6detail15normal_iteratorINS9_10device_ptrIxEEEESE_SE_xNS9_4plusIvEENS9_8equal_toIvEExEE10hipError_tPvRmT2_T3_T4_T5_mT6_T7_P12ihipStream_tbENKUlT_T0_E_clISt17integral_constantIbLb1EESY_IbLb0EEEEDaSU_SV_EUlSU_E_NS1_11comp_targetILNS1_3genE2ELNS1_11target_archE906ELNS1_3gpuE6ELNS1_3repE0EEENS1_30default_config_static_selectorELNS0_4arch9wavefront6targetE0EEEvT1_.has_recursion, 0
	.set _ZN7rocprim17ROCPRIM_400000_NS6detail17trampoline_kernelINS0_14default_configENS1_27scan_by_key_config_selectorIxxEEZZNS1_16scan_by_key_implILNS1_25lookback_scan_determinismE0ELb0ES3_N6thrust23THRUST_200600_302600_NS6detail15normal_iteratorINS9_10device_ptrIxEEEESE_SE_xNS9_4plusIvEENS9_8equal_toIvEExEE10hipError_tPvRmT2_T3_T4_T5_mT6_T7_P12ihipStream_tbENKUlT_T0_E_clISt17integral_constantIbLb1EESY_IbLb0EEEEDaSU_SV_EUlSU_E_NS1_11comp_targetILNS1_3genE2ELNS1_11target_archE906ELNS1_3gpuE6ELNS1_3repE0EEENS1_30default_config_static_selectorELNS0_4arch9wavefront6targetE0EEEvT1_.has_indirect_call, 0
	.section	.AMDGPU.csdata,"",@progbits
; Kernel info:
; codeLenInByte = 0
; TotalNumSgprs: 0
; NumVgprs: 0
; ScratchSize: 0
; MemoryBound: 0
; FloatMode: 240
; IeeeMode: 1
; LDSByteSize: 0 bytes/workgroup (compile time only)
; SGPRBlocks: 0
; VGPRBlocks: 0
; NumSGPRsForWavesPerEU: 1
; NumVGPRsForWavesPerEU: 1
; NamedBarCnt: 0
; Occupancy: 16
; WaveLimiterHint : 0
; COMPUTE_PGM_RSRC2:SCRATCH_EN: 0
; COMPUTE_PGM_RSRC2:USER_SGPR: 2
; COMPUTE_PGM_RSRC2:TRAP_HANDLER: 0
; COMPUTE_PGM_RSRC2:TGID_X_EN: 1
; COMPUTE_PGM_RSRC2:TGID_Y_EN: 0
; COMPUTE_PGM_RSRC2:TGID_Z_EN: 0
; COMPUTE_PGM_RSRC2:TIDIG_COMP_CNT: 0
	.section	.text._ZN7rocprim17ROCPRIM_400000_NS6detail17trampoline_kernelINS0_14default_configENS1_27scan_by_key_config_selectorIxxEEZZNS1_16scan_by_key_implILNS1_25lookback_scan_determinismE0ELb0ES3_N6thrust23THRUST_200600_302600_NS6detail15normal_iteratorINS9_10device_ptrIxEEEESE_SE_xNS9_4plusIvEENS9_8equal_toIvEExEE10hipError_tPvRmT2_T3_T4_T5_mT6_T7_P12ihipStream_tbENKUlT_T0_E_clISt17integral_constantIbLb1EESY_IbLb0EEEEDaSU_SV_EUlSU_E_NS1_11comp_targetILNS1_3genE10ELNS1_11target_archE1200ELNS1_3gpuE4ELNS1_3repE0EEENS1_30default_config_static_selectorELNS0_4arch9wavefront6targetE0EEEvT1_,"axG",@progbits,_ZN7rocprim17ROCPRIM_400000_NS6detail17trampoline_kernelINS0_14default_configENS1_27scan_by_key_config_selectorIxxEEZZNS1_16scan_by_key_implILNS1_25lookback_scan_determinismE0ELb0ES3_N6thrust23THRUST_200600_302600_NS6detail15normal_iteratorINS9_10device_ptrIxEEEESE_SE_xNS9_4plusIvEENS9_8equal_toIvEExEE10hipError_tPvRmT2_T3_T4_T5_mT6_T7_P12ihipStream_tbENKUlT_T0_E_clISt17integral_constantIbLb1EESY_IbLb0EEEEDaSU_SV_EUlSU_E_NS1_11comp_targetILNS1_3genE10ELNS1_11target_archE1200ELNS1_3gpuE4ELNS1_3repE0EEENS1_30default_config_static_selectorELNS0_4arch9wavefront6targetE0EEEvT1_,comdat
	.protected	_ZN7rocprim17ROCPRIM_400000_NS6detail17trampoline_kernelINS0_14default_configENS1_27scan_by_key_config_selectorIxxEEZZNS1_16scan_by_key_implILNS1_25lookback_scan_determinismE0ELb0ES3_N6thrust23THRUST_200600_302600_NS6detail15normal_iteratorINS9_10device_ptrIxEEEESE_SE_xNS9_4plusIvEENS9_8equal_toIvEExEE10hipError_tPvRmT2_T3_T4_T5_mT6_T7_P12ihipStream_tbENKUlT_T0_E_clISt17integral_constantIbLb1EESY_IbLb0EEEEDaSU_SV_EUlSU_E_NS1_11comp_targetILNS1_3genE10ELNS1_11target_archE1200ELNS1_3gpuE4ELNS1_3repE0EEENS1_30default_config_static_selectorELNS0_4arch9wavefront6targetE0EEEvT1_ ; -- Begin function _ZN7rocprim17ROCPRIM_400000_NS6detail17trampoline_kernelINS0_14default_configENS1_27scan_by_key_config_selectorIxxEEZZNS1_16scan_by_key_implILNS1_25lookback_scan_determinismE0ELb0ES3_N6thrust23THRUST_200600_302600_NS6detail15normal_iteratorINS9_10device_ptrIxEEEESE_SE_xNS9_4plusIvEENS9_8equal_toIvEExEE10hipError_tPvRmT2_T3_T4_T5_mT6_T7_P12ihipStream_tbENKUlT_T0_E_clISt17integral_constantIbLb1EESY_IbLb0EEEEDaSU_SV_EUlSU_E_NS1_11comp_targetILNS1_3genE10ELNS1_11target_archE1200ELNS1_3gpuE4ELNS1_3repE0EEENS1_30default_config_static_selectorELNS0_4arch9wavefront6targetE0EEEvT1_
	.globl	_ZN7rocprim17ROCPRIM_400000_NS6detail17trampoline_kernelINS0_14default_configENS1_27scan_by_key_config_selectorIxxEEZZNS1_16scan_by_key_implILNS1_25lookback_scan_determinismE0ELb0ES3_N6thrust23THRUST_200600_302600_NS6detail15normal_iteratorINS9_10device_ptrIxEEEESE_SE_xNS9_4plusIvEENS9_8equal_toIvEExEE10hipError_tPvRmT2_T3_T4_T5_mT6_T7_P12ihipStream_tbENKUlT_T0_E_clISt17integral_constantIbLb1EESY_IbLb0EEEEDaSU_SV_EUlSU_E_NS1_11comp_targetILNS1_3genE10ELNS1_11target_archE1200ELNS1_3gpuE4ELNS1_3repE0EEENS1_30default_config_static_selectorELNS0_4arch9wavefront6targetE0EEEvT1_
	.p2align	8
	.type	_ZN7rocprim17ROCPRIM_400000_NS6detail17trampoline_kernelINS0_14default_configENS1_27scan_by_key_config_selectorIxxEEZZNS1_16scan_by_key_implILNS1_25lookback_scan_determinismE0ELb0ES3_N6thrust23THRUST_200600_302600_NS6detail15normal_iteratorINS9_10device_ptrIxEEEESE_SE_xNS9_4plusIvEENS9_8equal_toIvEExEE10hipError_tPvRmT2_T3_T4_T5_mT6_T7_P12ihipStream_tbENKUlT_T0_E_clISt17integral_constantIbLb1EESY_IbLb0EEEEDaSU_SV_EUlSU_E_NS1_11comp_targetILNS1_3genE10ELNS1_11target_archE1200ELNS1_3gpuE4ELNS1_3repE0EEENS1_30default_config_static_selectorELNS0_4arch9wavefront6targetE0EEEvT1_,@function
_ZN7rocprim17ROCPRIM_400000_NS6detail17trampoline_kernelINS0_14default_configENS1_27scan_by_key_config_selectorIxxEEZZNS1_16scan_by_key_implILNS1_25lookback_scan_determinismE0ELb0ES3_N6thrust23THRUST_200600_302600_NS6detail15normal_iteratorINS9_10device_ptrIxEEEESE_SE_xNS9_4plusIvEENS9_8equal_toIvEExEE10hipError_tPvRmT2_T3_T4_T5_mT6_T7_P12ihipStream_tbENKUlT_T0_E_clISt17integral_constantIbLb1EESY_IbLb0EEEEDaSU_SV_EUlSU_E_NS1_11comp_targetILNS1_3genE10ELNS1_11target_archE1200ELNS1_3gpuE4ELNS1_3repE0EEENS1_30default_config_static_selectorELNS0_4arch9wavefront6targetE0EEEvT1_: ; @_ZN7rocprim17ROCPRIM_400000_NS6detail17trampoline_kernelINS0_14default_configENS1_27scan_by_key_config_selectorIxxEEZZNS1_16scan_by_key_implILNS1_25lookback_scan_determinismE0ELb0ES3_N6thrust23THRUST_200600_302600_NS6detail15normal_iteratorINS9_10device_ptrIxEEEESE_SE_xNS9_4plusIvEENS9_8equal_toIvEExEE10hipError_tPvRmT2_T3_T4_T5_mT6_T7_P12ihipStream_tbENKUlT_T0_E_clISt17integral_constantIbLb1EESY_IbLb0EEEEDaSU_SV_EUlSU_E_NS1_11comp_targetILNS1_3genE10ELNS1_11target_archE1200ELNS1_3gpuE4ELNS1_3repE0EEENS1_30default_config_static_selectorELNS0_4arch9wavefront6targetE0EEEvT1_
; %bb.0:
	.section	.rodata,"a",@progbits
	.p2align	6, 0x0
	.amdhsa_kernel _ZN7rocprim17ROCPRIM_400000_NS6detail17trampoline_kernelINS0_14default_configENS1_27scan_by_key_config_selectorIxxEEZZNS1_16scan_by_key_implILNS1_25lookback_scan_determinismE0ELb0ES3_N6thrust23THRUST_200600_302600_NS6detail15normal_iteratorINS9_10device_ptrIxEEEESE_SE_xNS9_4plusIvEENS9_8equal_toIvEExEE10hipError_tPvRmT2_T3_T4_T5_mT6_T7_P12ihipStream_tbENKUlT_T0_E_clISt17integral_constantIbLb1EESY_IbLb0EEEEDaSU_SV_EUlSU_E_NS1_11comp_targetILNS1_3genE10ELNS1_11target_archE1200ELNS1_3gpuE4ELNS1_3repE0EEENS1_30default_config_static_selectorELNS0_4arch9wavefront6targetE0EEEvT1_
		.amdhsa_group_segment_fixed_size 0
		.amdhsa_private_segment_fixed_size 0
		.amdhsa_kernarg_size 136
		.amdhsa_user_sgpr_count 2
		.amdhsa_user_sgpr_dispatch_ptr 0
		.amdhsa_user_sgpr_queue_ptr 0
		.amdhsa_user_sgpr_kernarg_segment_ptr 1
		.amdhsa_user_sgpr_dispatch_id 0
		.amdhsa_user_sgpr_kernarg_preload_length 0
		.amdhsa_user_sgpr_kernarg_preload_offset 0
		.amdhsa_user_sgpr_private_segment_size 0
		.amdhsa_wavefront_size32 1
		.amdhsa_uses_dynamic_stack 0
		.amdhsa_enable_private_segment 0
		.amdhsa_system_sgpr_workgroup_id_x 1
		.amdhsa_system_sgpr_workgroup_id_y 0
		.amdhsa_system_sgpr_workgroup_id_z 0
		.amdhsa_system_sgpr_workgroup_info 0
		.amdhsa_system_vgpr_workitem_id 0
		.amdhsa_next_free_vgpr 1
		.amdhsa_next_free_sgpr 1
		.amdhsa_named_barrier_count 0
		.amdhsa_reserve_vcc 0
		.amdhsa_float_round_mode_32 0
		.amdhsa_float_round_mode_16_64 0
		.amdhsa_float_denorm_mode_32 3
		.amdhsa_float_denorm_mode_16_64 3
		.amdhsa_fp16_overflow 0
		.amdhsa_memory_ordered 1
		.amdhsa_forward_progress 1
		.amdhsa_inst_pref_size 0
		.amdhsa_round_robin_scheduling 0
		.amdhsa_exception_fp_ieee_invalid_op 0
		.amdhsa_exception_fp_denorm_src 0
		.amdhsa_exception_fp_ieee_div_zero 0
		.amdhsa_exception_fp_ieee_overflow 0
		.amdhsa_exception_fp_ieee_underflow 0
		.amdhsa_exception_fp_ieee_inexact 0
		.amdhsa_exception_int_div_zero 0
	.end_amdhsa_kernel
	.section	.text._ZN7rocprim17ROCPRIM_400000_NS6detail17trampoline_kernelINS0_14default_configENS1_27scan_by_key_config_selectorIxxEEZZNS1_16scan_by_key_implILNS1_25lookback_scan_determinismE0ELb0ES3_N6thrust23THRUST_200600_302600_NS6detail15normal_iteratorINS9_10device_ptrIxEEEESE_SE_xNS9_4plusIvEENS9_8equal_toIvEExEE10hipError_tPvRmT2_T3_T4_T5_mT6_T7_P12ihipStream_tbENKUlT_T0_E_clISt17integral_constantIbLb1EESY_IbLb0EEEEDaSU_SV_EUlSU_E_NS1_11comp_targetILNS1_3genE10ELNS1_11target_archE1200ELNS1_3gpuE4ELNS1_3repE0EEENS1_30default_config_static_selectorELNS0_4arch9wavefront6targetE0EEEvT1_,"axG",@progbits,_ZN7rocprim17ROCPRIM_400000_NS6detail17trampoline_kernelINS0_14default_configENS1_27scan_by_key_config_selectorIxxEEZZNS1_16scan_by_key_implILNS1_25lookback_scan_determinismE0ELb0ES3_N6thrust23THRUST_200600_302600_NS6detail15normal_iteratorINS9_10device_ptrIxEEEESE_SE_xNS9_4plusIvEENS9_8equal_toIvEExEE10hipError_tPvRmT2_T3_T4_T5_mT6_T7_P12ihipStream_tbENKUlT_T0_E_clISt17integral_constantIbLb1EESY_IbLb0EEEEDaSU_SV_EUlSU_E_NS1_11comp_targetILNS1_3genE10ELNS1_11target_archE1200ELNS1_3gpuE4ELNS1_3repE0EEENS1_30default_config_static_selectorELNS0_4arch9wavefront6targetE0EEEvT1_,comdat
.Lfunc_end33:
	.size	_ZN7rocprim17ROCPRIM_400000_NS6detail17trampoline_kernelINS0_14default_configENS1_27scan_by_key_config_selectorIxxEEZZNS1_16scan_by_key_implILNS1_25lookback_scan_determinismE0ELb0ES3_N6thrust23THRUST_200600_302600_NS6detail15normal_iteratorINS9_10device_ptrIxEEEESE_SE_xNS9_4plusIvEENS9_8equal_toIvEExEE10hipError_tPvRmT2_T3_T4_T5_mT6_T7_P12ihipStream_tbENKUlT_T0_E_clISt17integral_constantIbLb1EESY_IbLb0EEEEDaSU_SV_EUlSU_E_NS1_11comp_targetILNS1_3genE10ELNS1_11target_archE1200ELNS1_3gpuE4ELNS1_3repE0EEENS1_30default_config_static_selectorELNS0_4arch9wavefront6targetE0EEEvT1_, .Lfunc_end33-_ZN7rocprim17ROCPRIM_400000_NS6detail17trampoline_kernelINS0_14default_configENS1_27scan_by_key_config_selectorIxxEEZZNS1_16scan_by_key_implILNS1_25lookback_scan_determinismE0ELb0ES3_N6thrust23THRUST_200600_302600_NS6detail15normal_iteratorINS9_10device_ptrIxEEEESE_SE_xNS9_4plusIvEENS9_8equal_toIvEExEE10hipError_tPvRmT2_T3_T4_T5_mT6_T7_P12ihipStream_tbENKUlT_T0_E_clISt17integral_constantIbLb1EESY_IbLb0EEEEDaSU_SV_EUlSU_E_NS1_11comp_targetILNS1_3genE10ELNS1_11target_archE1200ELNS1_3gpuE4ELNS1_3repE0EEENS1_30default_config_static_selectorELNS0_4arch9wavefront6targetE0EEEvT1_
                                        ; -- End function
	.set _ZN7rocprim17ROCPRIM_400000_NS6detail17trampoline_kernelINS0_14default_configENS1_27scan_by_key_config_selectorIxxEEZZNS1_16scan_by_key_implILNS1_25lookback_scan_determinismE0ELb0ES3_N6thrust23THRUST_200600_302600_NS6detail15normal_iteratorINS9_10device_ptrIxEEEESE_SE_xNS9_4plusIvEENS9_8equal_toIvEExEE10hipError_tPvRmT2_T3_T4_T5_mT6_T7_P12ihipStream_tbENKUlT_T0_E_clISt17integral_constantIbLb1EESY_IbLb0EEEEDaSU_SV_EUlSU_E_NS1_11comp_targetILNS1_3genE10ELNS1_11target_archE1200ELNS1_3gpuE4ELNS1_3repE0EEENS1_30default_config_static_selectorELNS0_4arch9wavefront6targetE0EEEvT1_.num_vgpr, 0
	.set _ZN7rocprim17ROCPRIM_400000_NS6detail17trampoline_kernelINS0_14default_configENS1_27scan_by_key_config_selectorIxxEEZZNS1_16scan_by_key_implILNS1_25lookback_scan_determinismE0ELb0ES3_N6thrust23THRUST_200600_302600_NS6detail15normal_iteratorINS9_10device_ptrIxEEEESE_SE_xNS9_4plusIvEENS9_8equal_toIvEExEE10hipError_tPvRmT2_T3_T4_T5_mT6_T7_P12ihipStream_tbENKUlT_T0_E_clISt17integral_constantIbLb1EESY_IbLb0EEEEDaSU_SV_EUlSU_E_NS1_11comp_targetILNS1_3genE10ELNS1_11target_archE1200ELNS1_3gpuE4ELNS1_3repE0EEENS1_30default_config_static_selectorELNS0_4arch9wavefront6targetE0EEEvT1_.num_agpr, 0
	.set _ZN7rocprim17ROCPRIM_400000_NS6detail17trampoline_kernelINS0_14default_configENS1_27scan_by_key_config_selectorIxxEEZZNS1_16scan_by_key_implILNS1_25lookback_scan_determinismE0ELb0ES3_N6thrust23THRUST_200600_302600_NS6detail15normal_iteratorINS9_10device_ptrIxEEEESE_SE_xNS9_4plusIvEENS9_8equal_toIvEExEE10hipError_tPvRmT2_T3_T4_T5_mT6_T7_P12ihipStream_tbENKUlT_T0_E_clISt17integral_constantIbLb1EESY_IbLb0EEEEDaSU_SV_EUlSU_E_NS1_11comp_targetILNS1_3genE10ELNS1_11target_archE1200ELNS1_3gpuE4ELNS1_3repE0EEENS1_30default_config_static_selectorELNS0_4arch9wavefront6targetE0EEEvT1_.numbered_sgpr, 0
	.set _ZN7rocprim17ROCPRIM_400000_NS6detail17trampoline_kernelINS0_14default_configENS1_27scan_by_key_config_selectorIxxEEZZNS1_16scan_by_key_implILNS1_25lookback_scan_determinismE0ELb0ES3_N6thrust23THRUST_200600_302600_NS6detail15normal_iteratorINS9_10device_ptrIxEEEESE_SE_xNS9_4plusIvEENS9_8equal_toIvEExEE10hipError_tPvRmT2_T3_T4_T5_mT6_T7_P12ihipStream_tbENKUlT_T0_E_clISt17integral_constantIbLb1EESY_IbLb0EEEEDaSU_SV_EUlSU_E_NS1_11comp_targetILNS1_3genE10ELNS1_11target_archE1200ELNS1_3gpuE4ELNS1_3repE0EEENS1_30default_config_static_selectorELNS0_4arch9wavefront6targetE0EEEvT1_.num_named_barrier, 0
	.set _ZN7rocprim17ROCPRIM_400000_NS6detail17trampoline_kernelINS0_14default_configENS1_27scan_by_key_config_selectorIxxEEZZNS1_16scan_by_key_implILNS1_25lookback_scan_determinismE0ELb0ES3_N6thrust23THRUST_200600_302600_NS6detail15normal_iteratorINS9_10device_ptrIxEEEESE_SE_xNS9_4plusIvEENS9_8equal_toIvEExEE10hipError_tPvRmT2_T3_T4_T5_mT6_T7_P12ihipStream_tbENKUlT_T0_E_clISt17integral_constantIbLb1EESY_IbLb0EEEEDaSU_SV_EUlSU_E_NS1_11comp_targetILNS1_3genE10ELNS1_11target_archE1200ELNS1_3gpuE4ELNS1_3repE0EEENS1_30default_config_static_selectorELNS0_4arch9wavefront6targetE0EEEvT1_.private_seg_size, 0
	.set _ZN7rocprim17ROCPRIM_400000_NS6detail17trampoline_kernelINS0_14default_configENS1_27scan_by_key_config_selectorIxxEEZZNS1_16scan_by_key_implILNS1_25lookback_scan_determinismE0ELb0ES3_N6thrust23THRUST_200600_302600_NS6detail15normal_iteratorINS9_10device_ptrIxEEEESE_SE_xNS9_4plusIvEENS9_8equal_toIvEExEE10hipError_tPvRmT2_T3_T4_T5_mT6_T7_P12ihipStream_tbENKUlT_T0_E_clISt17integral_constantIbLb1EESY_IbLb0EEEEDaSU_SV_EUlSU_E_NS1_11comp_targetILNS1_3genE10ELNS1_11target_archE1200ELNS1_3gpuE4ELNS1_3repE0EEENS1_30default_config_static_selectorELNS0_4arch9wavefront6targetE0EEEvT1_.uses_vcc, 0
	.set _ZN7rocprim17ROCPRIM_400000_NS6detail17trampoline_kernelINS0_14default_configENS1_27scan_by_key_config_selectorIxxEEZZNS1_16scan_by_key_implILNS1_25lookback_scan_determinismE0ELb0ES3_N6thrust23THRUST_200600_302600_NS6detail15normal_iteratorINS9_10device_ptrIxEEEESE_SE_xNS9_4plusIvEENS9_8equal_toIvEExEE10hipError_tPvRmT2_T3_T4_T5_mT6_T7_P12ihipStream_tbENKUlT_T0_E_clISt17integral_constantIbLb1EESY_IbLb0EEEEDaSU_SV_EUlSU_E_NS1_11comp_targetILNS1_3genE10ELNS1_11target_archE1200ELNS1_3gpuE4ELNS1_3repE0EEENS1_30default_config_static_selectorELNS0_4arch9wavefront6targetE0EEEvT1_.uses_flat_scratch, 0
	.set _ZN7rocprim17ROCPRIM_400000_NS6detail17trampoline_kernelINS0_14default_configENS1_27scan_by_key_config_selectorIxxEEZZNS1_16scan_by_key_implILNS1_25lookback_scan_determinismE0ELb0ES3_N6thrust23THRUST_200600_302600_NS6detail15normal_iteratorINS9_10device_ptrIxEEEESE_SE_xNS9_4plusIvEENS9_8equal_toIvEExEE10hipError_tPvRmT2_T3_T4_T5_mT6_T7_P12ihipStream_tbENKUlT_T0_E_clISt17integral_constantIbLb1EESY_IbLb0EEEEDaSU_SV_EUlSU_E_NS1_11comp_targetILNS1_3genE10ELNS1_11target_archE1200ELNS1_3gpuE4ELNS1_3repE0EEENS1_30default_config_static_selectorELNS0_4arch9wavefront6targetE0EEEvT1_.has_dyn_sized_stack, 0
	.set _ZN7rocprim17ROCPRIM_400000_NS6detail17trampoline_kernelINS0_14default_configENS1_27scan_by_key_config_selectorIxxEEZZNS1_16scan_by_key_implILNS1_25lookback_scan_determinismE0ELb0ES3_N6thrust23THRUST_200600_302600_NS6detail15normal_iteratorINS9_10device_ptrIxEEEESE_SE_xNS9_4plusIvEENS9_8equal_toIvEExEE10hipError_tPvRmT2_T3_T4_T5_mT6_T7_P12ihipStream_tbENKUlT_T0_E_clISt17integral_constantIbLb1EESY_IbLb0EEEEDaSU_SV_EUlSU_E_NS1_11comp_targetILNS1_3genE10ELNS1_11target_archE1200ELNS1_3gpuE4ELNS1_3repE0EEENS1_30default_config_static_selectorELNS0_4arch9wavefront6targetE0EEEvT1_.has_recursion, 0
	.set _ZN7rocprim17ROCPRIM_400000_NS6detail17trampoline_kernelINS0_14default_configENS1_27scan_by_key_config_selectorIxxEEZZNS1_16scan_by_key_implILNS1_25lookback_scan_determinismE0ELb0ES3_N6thrust23THRUST_200600_302600_NS6detail15normal_iteratorINS9_10device_ptrIxEEEESE_SE_xNS9_4plusIvEENS9_8equal_toIvEExEE10hipError_tPvRmT2_T3_T4_T5_mT6_T7_P12ihipStream_tbENKUlT_T0_E_clISt17integral_constantIbLb1EESY_IbLb0EEEEDaSU_SV_EUlSU_E_NS1_11comp_targetILNS1_3genE10ELNS1_11target_archE1200ELNS1_3gpuE4ELNS1_3repE0EEENS1_30default_config_static_selectorELNS0_4arch9wavefront6targetE0EEEvT1_.has_indirect_call, 0
	.section	.AMDGPU.csdata,"",@progbits
; Kernel info:
; codeLenInByte = 0
; TotalNumSgprs: 0
; NumVgprs: 0
; ScratchSize: 0
; MemoryBound: 0
; FloatMode: 240
; IeeeMode: 1
; LDSByteSize: 0 bytes/workgroup (compile time only)
; SGPRBlocks: 0
; VGPRBlocks: 0
; NumSGPRsForWavesPerEU: 1
; NumVGPRsForWavesPerEU: 1
; NamedBarCnt: 0
; Occupancy: 16
; WaveLimiterHint : 0
; COMPUTE_PGM_RSRC2:SCRATCH_EN: 0
; COMPUTE_PGM_RSRC2:USER_SGPR: 2
; COMPUTE_PGM_RSRC2:TRAP_HANDLER: 0
; COMPUTE_PGM_RSRC2:TGID_X_EN: 1
; COMPUTE_PGM_RSRC2:TGID_Y_EN: 0
; COMPUTE_PGM_RSRC2:TGID_Z_EN: 0
; COMPUTE_PGM_RSRC2:TIDIG_COMP_CNT: 0
	.section	.text._ZN7rocprim17ROCPRIM_400000_NS6detail17trampoline_kernelINS0_14default_configENS1_27scan_by_key_config_selectorIxxEEZZNS1_16scan_by_key_implILNS1_25lookback_scan_determinismE0ELb0ES3_N6thrust23THRUST_200600_302600_NS6detail15normal_iteratorINS9_10device_ptrIxEEEESE_SE_xNS9_4plusIvEENS9_8equal_toIvEExEE10hipError_tPvRmT2_T3_T4_T5_mT6_T7_P12ihipStream_tbENKUlT_T0_E_clISt17integral_constantIbLb1EESY_IbLb0EEEEDaSU_SV_EUlSU_E_NS1_11comp_targetILNS1_3genE9ELNS1_11target_archE1100ELNS1_3gpuE3ELNS1_3repE0EEENS1_30default_config_static_selectorELNS0_4arch9wavefront6targetE0EEEvT1_,"axG",@progbits,_ZN7rocprim17ROCPRIM_400000_NS6detail17trampoline_kernelINS0_14default_configENS1_27scan_by_key_config_selectorIxxEEZZNS1_16scan_by_key_implILNS1_25lookback_scan_determinismE0ELb0ES3_N6thrust23THRUST_200600_302600_NS6detail15normal_iteratorINS9_10device_ptrIxEEEESE_SE_xNS9_4plusIvEENS9_8equal_toIvEExEE10hipError_tPvRmT2_T3_T4_T5_mT6_T7_P12ihipStream_tbENKUlT_T0_E_clISt17integral_constantIbLb1EESY_IbLb0EEEEDaSU_SV_EUlSU_E_NS1_11comp_targetILNS1_3genE9ELNS1_11target_archE1100ELNS1_3gpuE3ELNS1_3repE0EEENS1_30default_config_static_selectorELNS0_4arch9wavefront6targetE0EEEvT1_,comdat
	.protected	_ZN7rocprim17ROCPRIM_400000_NS6detail17trampoline_kernelINS0_14default_configENS1_27scan_by_key_config_selectorIxxEEZZNS1_16scan_by_key_implILNS1_25lookback_scan_determinismE0ELb0ES3_N6thrust23THRUST_200600_302600_NS6detail15normal_iteratorINS9_10device_ptrIxEEEESE_SE_xNS9_4plusIvEENS9_8equal_toIvEExEE10hipError_tPvRmT2_T3_T4_T5_mT6_T7_P12ihipStream_tbENKUlT_T0_E_clISt17integral_constantIbLb1EESY_IbLb0EEEEDaSU_SV_EUlSU_E_NS1_11comp_targetILNS1_3genE9ELNS1_11target_archE1100ELNS1_3gpuE3ELNS1_3repE0EEENS1_30default_config_static_selectorELNS0_4arch9wavefront6targetE0EEEvT1_ ; -- Begin function _ZN7rocprim17ROCPRIM_400000_NS6detail17trampoline_kernelINS0_14default_configENS1_27scan_by_key_config_selectorIxxEEZZNS1_16scan_by_key_implILNS1_25lookback_scan_determinismE0ELb0ES3_N6thrust23THRUST_200600_302600_NS6detail15normal_iteratorINS9_10device_ptrIxEEEESE_SE_xNS9_4plusIvEENS9_8equal_toIvEExEE10hipError_tPvRmT2_T3_T4_T5_mT6_T7_P12ihipStream_tbENKUlT_T0_E_clISt17integral_constantIbLb1EESY_IbLb0EEEEDaSU_SV_EUlSU_E_NS1_11comp_targetILNS1_3genE9ELNS1_11target_archE1100ELNS1_3gpuE3ELNS1_3repE0EEENS1_30default_config_static_selectorELNS0_4arch9wavefront6targetE0EEEvT1_
	.globl	_ZN7rocprim17ROCPRIM_400000_NS6detail17trampoline_kernelINS0_14default_configENS1_27scan_by_key_config_selectorIxxEEZZNS1_16scan_by_key_implILNS1_25lookback_scan_determinismE0ELb0ES3_N6thrust23THRUST_200600_302600_NS6detail15normal_iteratorINS9_10device_ptrIxEEEESE_SE_xNS9_4plusIvEENS9_8equal_toIvEExEE10hipError_tPvRmT2_T3_T4_T5_mT6_T7_P12ihipStream_tbENKUlT_T0_E_clISt17integral_constantIbLb1EESY_IbLb0EEEEDaSU_SV_EUlSU_E_NS1_11comp_targetILNS1_3genE9ELNS1_11target_archE1100ELNS1_3gpuE3ELNS1_3repE0EEENS1_30default_config_static_selectorELNS0_4arch9wavefront6targetE0EEEvT1_
	.p2align	8
	.type	_ZN7rocprim17ROCPRIM_400000_NS6detail17trampoline_kernelINS0_14default_configENS1_27scan_by_key_config_selectorIxxEEZZNS1_16scan_by_key_implILNS1_25lookback_scan_determinismE0ELb0ES3_N6thrust23THRUST_200600_302600_NS6detail15normal_iteratorINS9_10device_ptrIxEEEESE_SE_xNS9_4plusIvEENS9_8equal_toIvEExEE10hipError_tPvRmT2_T3_T4_T5_mT6_T7_P12ihipStream_tbENKUlT_T0_E_clISt17integral_constantIbLb1EESY_IbLb0EEEEDaSU_SV_EUlSU_E_NS1_11comp_targetILNS1_3genE9ELNS1_11target_archE1100ELNS1_3gpuE3ELNS1_3repE0EEENS1_30default_config_static_selectorELNS0_4arch9wavefront6targetE0EEEvT1_,@function
_ZN7rocprim17ROCPRIM_400000_NS6detail17trampoline_kernelINS0_14default_configENS1_27scan_by_key_config_selectorIxxEEZZNS1_16scan_by_key_implILNS1_25lookback_scan_determinismE0ELb0ES3_N6thrust23THRUST_200600_302600_NS6detail15normal_iteratorINS9_10device_ptrIxEEEESE_SE_xNS9_4plusIvEENS9_8equal_toIvEExEE10hipError_tPvRmT2_T3_T4_T5_mT6_T7_P12ihipStream_tbENKUlT_T0_E_clISt17integral_constantIbLb1EESY_IbLb0EEEEDaSU_SV_EUlSU_E_NS1_11comp_targetILNS1_3genE9ELNS1_11target_archE1100ELNS1_3gpuE3ELNS1_3repE0EEENS1_30default_config_static_selectorELNS0_4arch9wavefront6targetE0EEEvT1_: ; @_ZN7rocprim17ROCPRIM_400000_NS6detail17trampoline_kernelINS0_14default_configENS1_27scan_by_key_config_selectorIxxEEZZNS1_16scan_by_key_implILNS1_25lookback_scan_determinismE0ELb0ES3_N6thrust23THRUST_200600_302600_NS6detail15normal_iteratorINS9_10device_ptrIxEEEESE_SE_xNS9_4plusIvEENS9_8equal_toIvEExEE10hipError_tPvRmT2_T3_T4_T5_mT6_T7_P12ihipStream_tbENKUlT_T0_E_clISt17integral_constantIbLb1EESY_IbLb0EEEEDaSU_SV_EUlSU_E_NS1_11comp_targetILNS1_3genE9ELNS1_11target_archE1100ELNS1_3gpuE3ELNS1_3repE0EEENS1_30default_config_static_selectorELNS0_4arch9wavefront6targetE0EEEvT1_
; %bb.0:
	.section	.rodata,"a",@progbits
	.p2align	6, 0x0
	.amdhsa_kernel _ZN7rocprim17ROCPRIM_400000_NS6detail17trampoline_kernelINS0_14default_configENS1_27scan_by_key_config_selectorIxxEEZZNS1_16scan_by_key_implILNS1_25lookback_scan_determinismE0ELb0ES3_N6thrust23THRUST_200600_302600_NS6detail15normal_iteratorINS9_10device_ptrIxEEEESE_SE_xNS9_4plusIvEENS9_8equal_toIvEExEE10hipError_tPvRmT2_T3_T4_T5_mT6_T7_P12ihipStream_tbENKUlT_T0_E_clISt17integral_constantIbLb1EESY_IbLb0EEEEDaSU_SV_EUlSU_E_NS1_11comp_targetILNS1_3genE9ELNS1_11target_archE1100ELNS1_3gpuE3ELNS1_3repE0EEENS1_30default_config_static_selectorELNS0_4arch9wavefront6targetE0EEEvT1_
		.amdhsa_group_segment_fixed_size 0
		.amdhsa_private_segment_fixed_size 0
		.amdhsa_kernarg_size 136
		.amdhsa_user_sgpr_count 2
		.amdhsa_user_sgpr_dispatch_ptr 0
		.amdhsa_user_sgpr_queue_ptr 0
		.amdhsa_user_sgpr_kernarg_segment_ptr 1
		.amdhsa_user_sgpr_dispatch_id 0
		.amdhsa_user_sgpr_kernarg_preload_length 0
		.amdhsa_user_sgpr_kernarg_preload_offset 0
		.amdhsa_user_sgpr_private_segment_size 0
		.amdhsa_wavefront_size32 1
		.amdhsa_uses_dynamic_stack 0
		.amdhsa_enable_private_segment 0
		.amdhsa_system_sgpr_workgroup_id_x 1
		.amdhsa_system_sgpr_workgroup_id_y 0
		.amdhsa_system_sgpr_workgroup_id_z 0
		.amdhsa_system_sgpr_workgroup_info 0
		.amdhsa_system_vgpr_workitem_id 0
		.amdhsa_next_free_vgpr 1
		.amdhsa_next_free_sgpr 1
		.amdhsa_named_barrier_count 0
		.amdhsa_reserve_vcc 0
		.amdhsa_float_round_mode_32 0
		.amdhsa_float_round_mode_16_64 0
		.amdhsa_float_denorm_mode_32 3
		.amdhsa_float_denorm_mode_16_64 3
		.amdhsa_fp16_overflow 0
		.amdhsa_memory_ordered 1
		.amdhsa_forward_progress 1
		.amdhsa_inst_pref_size 0
		.amdhsa_round_robin_scheduling 0
		.amdhsa_exception_fp_ieee_invalid_op 0
		.amdhsa_exception_fp_denorm_src 0
		.amdhsa_exception_fp_ieee_div_zero 0
		.amdhsa_exception_fp_ieee_overflow 0
		.amdhsa_exception_fp_ieee_underflow 0
		.amdhsa_exception_fp_ieee_inexact 0
		.amdhsa_exception_int_div_zero 0
	.end_amdhsa_kernel
	.section	.text._ZN7rocprim17ROCPRIM_400000_NS6detail17trampoline_kernelINS0_14default_configENS1_27scan_by_key_config_selectorIxxEEZZNS1_16scan_by_key_implILNS1_25lookback_scan_determinismE0ELb0ES3_N6thrust23THRUST_200600_302600_NS6detail15normal_iteratorINS9_10device_ptrIxEEEESE_SE_xNS9_4plusIvEENS9_8equal_toIvEExEE10hipError_tPvRmT2_T3_T4_T5_mT6_T7_P12ihipStream_tbENKUlT_T0_E_clISt17integral_constantIbLb1EESY_IbLb0EEEEDaSU_SV_EUlSU_E_NS1_11comp_targetILNS1_3genE9ELNS1_11target_archE1100ELNS1_3gpuE3ELNS1_3repE0EEENS1_30default_config_static_selectorELNS0_4arch9wavefront6targetE0EEEvT1_,"axG",@progbits,_ZN7rocprim17ROCPRIM_400000_NS6detail17trampoline_kernelINS0_14default_configENS1_27scan_by_key_config_selectorIxxEEZZNS1_16scan_by_key_implILNS1_25lookback_scan_determinismE0ELb0ES3_N6thrust23THRUST_200600_302600_NS6detail15normal_iteratorINS9_10device_ptrIxEEEESE_SE_xNS9_4plusIvEENS9_8equal_toIvEExEE10hipError_tPvRmT2_T3_T4_T5_mT6_T7_P12ihipStream_tbENKUlT_T0_E_clISt17integral_constantIbLb1EESY_IbLb0EEEEDaSU_SV_EUlSU_E_NS1_11comp_targetILNS1_3genE9ELNS1_11target_archE1100ELNS1_3gpuE3ELNS1_3repE0EEENS1_30default_config_static_selectorELNS0_4arch9wavefront6targetE0EEEvT1_,comdat
.Lfunc_end34:
	.size	_ZN7rocprim17ROCPRIM_400000_NS6detail17trampoline_kernelINS0_14default_configENS1_27scan_by_key_config_selectorIxxEEZZNS1_16scan_by_key_implILNS1_25lookback_scan_determinismE0ELb0ES3_N6thrust23THRUST_200600_302600_NS6detail15normal_iteratorINS9_10device_ptrIxEEEESE_SE_xNS9_4plusIvEENS9_8equal_toIvEExEE10hipError_tPvRmT2_T3_T4_T5_mT6_T7_P12ihipStream_tbENKUlT_T0_E_clISt17integral_constantIbLb1EESY_IbLb0EEEEDaSU_SV_EUlSU_E_NS1_11comp_targetILNS1_3genE9ELNS1_11target_archE1100ELNS1_3gpuE3ELNS1_3repE0EEENS1_30default_config_static_selectorELNS0_4arch9wavefront6targetE0EEEvT1_, .Lfunc_end34-_ZN7rocprim17ROCPRIM_400000_NS6detail17trampoline_kernelINS0_14default_configENS1_27scan_by_key_config_selectorIxxEEZZNS1_16scan_by_key_implILNS1_25lookback_scan_determinismE0ELb0ES3_N6thrust23THRUST_200600_302600_NS6detail15normal_iteratorINS9_10device_ptrIxEEEESE_SE_xNS9_4plusIvEENS9_8equal_toIvEExEE10hipError_tPvRmT2_T3_T4_T5_mT6_T7_P12ihipStream_tbENKUlT_T0_E_clISt17integral_constantIbLb1EESY_IbLb0EEEEDaSU_SV_EUlSU_E_NS1_11comp_targetILNS1_3genE9ELNS1_11target_archE1100ELNS1_3gpuE3ELNS1_3repE0EEENS1_30default_config_static_selectorELNS0_4arch9wavefront6targetE0EEEvT1_
                                        ; -- End function
	.set _ZN7rocprim17ROCPRIM_400000_NS6detail17trampoline_kernelINS0_14default_configENS1_27scan_by_key_config_selectorIxxEEZZNS1_16scan_by_key_implILNS1_25lookback_scan_determinismE0ELb0ES3_N6thrust23THRUST_200600_302600_NS6detail15normal_iteratorINS9_10device_ptrIxEEEESE_SE_xNS9_4plusIvEENS9_8equal_toIvEExEE10hipError_tPvRmT2_T3_T4_T5_mT6_T7_P12ihipStream_tbENKUlT_T0_E_clISt17integral_constantIbLb1EESY_IbLb0EEEEDaSU_SV_EUlSU_E_NS1_11comp_targetILNS1_3genE9ELNS1_11target_archE1100ELNS1_3gpuE3ELNS1_3repE0EEENS1_30default_config_static_selectorELNS0_4arch9wavefront6targetE0EEEvT1_.num_vgpr, 0
	.set _ZN7rocprim17ROCPRIM_400000_NS6detail17trampoline_kernelINS0_14default_configENS1_27scan_by_key_config_selectorIxxEEZZNS1_16scan_by_key_implILNS1_25lookback_scan_determinismE0ELb0ES3_N6thrust23THRUST_200600_302600_NS6detail15normal_iteratorINS9_10device_ptrIxEEEESE_SE_xNS9_4plusIvEENS9_8equal_toIvEExEE10hipError_tPvRmT2_T3_T4_T5_mT6_T7_P12ihipStream_tbENKUlT_T0_E_clISt17integral_constantIbLb1EESY_IbLb0EEEEDaSU_SV_EUlSU_E_NS1_11comp_targetILNS1_3genE9ELNS1_11target_archE1100ELNS1_3gpuE3ELNS1_3repE0EEENS1_30default_config_static_selectorELNS0_4arch9wavefront6targetE0EEEvT1_.num_agpr, 0
	.set _ZN7rocprim17ROCPRIM_400000_NS6detail17trampoline_kernelINS0_14default_configENS1_27scan_by_key_config_selectorIxxEEZZNS1_16scan_by_key_implILNS1_25lookback_scan_determinismE0ELb0ES3_N6thrust23THRUST_200600_302600_NS6detail15normal_iteratorINS9_10device_ptrIxEEEESE_SE_xNS9_4plusIvEENS9_8equal_toIvEExEE10hipError_tPvRmT2_T3_T4_T5_mT6_T7_P12ihipStream_tbENKUlT_T0_E_clISt17integral_constantIbLb1EESY_IbLb0EEEEDaSU_SV_EUlSU_E_NS1_11comp_targetILNS1_3genE9ELNS1_11target_archE1100ELNS1_3gpuE3ELNS1_3repE0EEENS1_30default_config_static_selectorELNS0_4arch9wavefront6targetE0EEEvT1_.numbered_sgpr, 0
	.set _ZN7rocprim17ROCPRIM_400000_NS6detail17trampoline_kernelINS0_14default_configENS1_27scan_by_key_config_selectorIxxEEZZNS1_16scan_by_key_implILNS1_25lookback_scan_determinismE0ELb0ES3_N6thrust23THRUST_200600_302600_NS6detail15normal_iteratorINS9_10device_ptrIxEEEESE_SE_xNS9_4plusIvEENS9_8equal_toIvEExEE10hipError_tPvRmT2_T3_T4_T5_mT6_T7_P12ihipStream_tbENKUlT_T0_E_clISt17integral_constantIbLb1EESY_IbLb0EEEEDaSU_SV_EUlSU_E_NS1_11comp_targetILNS1_3genE9ELNS1_11target_archE1100ELNS1_3gpuE3ELNS1_3repE0EEENS1_30default_config_static_selectorELNS0_4arch9wavefront6targetE0EEEvT1_.num_named_barrier, 0
	.set _ZN7rocprim17ROCPRIM_400000_NS6detail17trampoline_kernelINS0_14default_configENS1_27scan_by_key_config_selectorIxxEEZZNS1_16scan_by_key_implILNS1_25lookback_scan_determinismE0ELb0ES3_N6thrust23THRUST_200600_302600_NS6detail15normal_iteratorINS9_10device_ptrIxEEEESE_SE_xNS9_4plusIvEENS9_8equal_toIvEExEE10hipError_tPvRmT2_T3_T4_T5_mT6_T7_P12ihipStream_tbENKUlT_T0_E_clISt17integral_constantIbLb1EESY_IbLb0EEEEDaSU_SV_EUlSU_E_NS1_11comp_targetILNS1_3genE9ELNS1_11target_archE1100ELNS1_3gpuE3ELNS1_3repE0EEENS1_30default_config_static_selectorELNS0_4arch9wavefront6targetE0EEEvT1_.private_seg_size, 0
	.set _ZN7rocprim17ROCPRIM_400000_NS6detail17trampoline_kernelINS0_14default_configENS1_27scan_by_key_config_selectorIxxEEZZNS1_16scan_by_key_implILNS1_25lookback_scan_determinismE0ELb0ES3_N6thrust23THRUST_200600_302600_NS6detail15normal_iteratorINS9_10device_ptrIxEEEESE_SE_xNS9_4plusIvEENS9_8equal_toIvEExEE10hipError_tPvRmT2_T3_T4_T5_mT6_T7_P12ihipStream_tbENKUlT_T0_E_clISt17integral_constantIbLb1EESY_IbLb0EEEEDaSU_SV_EUlSU_E_NS1_11comp_targetILNS1_3genE9ELNS1_11target_archE1100ELNS1_3gpuE3ELNS1_3repE0EEENS1_30default_config_static_selectorELNS0_4arch9wavefront6targetE0EEEvT1_.uses_vcc, 0
	.set _ZN7rocprim17ROCPRIM_400000_NS6detail17trampoline_kernelINS0_14default_configENS1_27scan_by_key_config_selectorIxxEEZZNS1_16scan_by_key_implILNS1_25lookback_scan_determinismE0ELb0ES3_N6thrust23THRUST_200600_302600_NS6detail15normal_iteratorINS9_10device_ptrIxEEEESE_SE_xNS9_4plusIvEENS9_8equal_toIvEExEE10hipError_tPvRmT2_T3_T4_T5_mT6_T7_P12ihipStream_tbENKUlT_T0_E_clISt17integral_constantIbLb1EESY_IbLb0EEEEDaSU_SV_EUlSU_E_NS1_11comp_targetILNS1_3genE9ELNS1_11target_archE1100ELNS1_3gpuE3ELNS1_3repE0EEENS1_30default_config_static_selectorELNS0_4arch9wavefront6targetE0EEEvT1_.uses_flat_scratch, 0
	.set _ZN7rocprim17ROCPRIM_400000_NS6detail17trampoline_kernelINS0_14default_configENS1_27scan_by_key_config_selectorIxxEEZZNS1_16scan_by_key_implILNS1_25lookback_scan_determinismE0ELb0ES3_N6thrust23THRUST_200600_302600_NS6detail15normal_iteratorINS9_10device_ptrIxEEEESE_SE_xNS9_4plusIvEENS9_8equal_toIvEExEE10hipError_tPvRmT2_T3_T4_T5_mT6_T7_P12ihipStream_tbENKUlT_T0_E_clISt17integral_constantIbLb1EESY_IbLb0EEEEDaSU_SV_EUlSU_E_NS1_11comp_targetILNS1_3genE9ELNS1_11target_archE1100ELNS1_3gpuE3ELNS1_3repE0EEENS1_30default_config_static_selectorELNS0_4arch9wavefront6targetE0EEEvT1_.has_dyn_sized_stack, 0
	.set _ZN7rocprim17ROCPRIM_400000_NS6detail17trampoline_kernelINS0_14default_configENS1_27scan_by_key_config_selectorIxxEEZZNS1_16scan_by_key_implILNS1_25lookback_scan_determinismE0ELb0ES3_N6thrust23THRUST_200600_302600_NS6detail15normal_iteratorINS9_10device_ptrIxEEEESE_SE_xNS9_4plusIvEENS9_8equal_toIvEExEE10hipError_tPvRmT2_T3_T4_T5_mT6_T7_P12ihipStream_tbENKUlT_T0_E_clISt17integral_constantIbLb1EESY_IbLb0EEEEDaSU_SV_EUlSU_E_NS1_11comp_targetILNS1_3genE9ELNS1_11target_archE1100ELNS1_3gpuE3ELNS1_3repE0EEENS1_30default_config_static_selectorELNS0_4arch9wavefront6targetE0EEEvT1_.has_recursion, 0
	.set _ZN7rocprim17ROCPRIM_400000_NS6detail17trampoline_kernelINS0_14default_configENS1_27scan_by_key_config_selectorIxxEEZZNS1_16scan_by_key_implILNS1_25lookback_scan_determinismE0ELb0ES3_N6thrust23THRUST_200600_302600_NS6detail15normal_iteratorINS9_10device_ptrIxEEEESE_SE_xNS9_4plusIvEENS9_8equal_toIvEExEE10hipError_tPvRmT2_T3_T4_T5_mT6_T7_P12ihipStream_tbENKUlT_T0_E_clISt17integral_constantIbLb1EESY_IbLb0EEEEDaSU_SV_EUlSU_E_NS1_11comp_targetILNS1_3genE9ELNS1_11target_archE1100ELNS1_3gpuE3ELNS1_3repE0EEENS1_30default_config_static_selectorELNS0_4arch9wavefront6targetE0EEEvT1_.has_indirect_call, 0
	.section	.AMDGPU.csdata,"",@progbits
; Kernel info:
; codeLenInByte = 0
; TotalNumSgprs: 0
; NumVgprs: 0
; ScratchSize: 0
; MemoryBound: 0
; FloatMode: 240
; IeeeMode: 1
; LDSByteSize: 0 bytes/workgroup (compile time only)
; SGPRBlocks: 0
; VGPRBlocks: 0
; NumSGPRsForWavesPerEU: 1
; NumVGPRsForWavesPerEU: 1
; NamedBarCnt: 0
; Occupancy: 16
; WaveLimiterHint : 0
; COMPUTE_PGM_RSRC2:SCRATCH_EN: 0
; COMPUTE_PGM_RSRC2:USER_SGPR: 2
; COMPUTE_PGM_RSRC2:TRAP_HANDLER: 0
; COMPUTE_PGM_RSRC2:TGID_X_EN: 1
; COMPUTE_PGM_RSRC2:TGID_Y_EN: 0
; COMPUTE_PGM_RSRC2:TGID_Z_EN: 0
; COMPUTE_PGM_RSRC2:TIDIG_COMP_CNT: 0
	.section	.text._ZN7rocprim17ROCPRIM_400000_NS6detail17trampoline_kernelINS0_14default_configENS1_27scan_by_key_config_selectorIxxEEZZNS1_16scan_by_key_implILNS1_25lookback_scan_determinismE0ELb0ES3_N6thrust23THRUST_200600_302600_NS6detail15normal_iteratorINS9_10device_ptrIxEEEESE_SE_xNS9_4plusIvEENS9_8equal_toIvEExEE10hipError_tPvRmT2_T3_T4_T5_mT6_T7_P12ihipStream_tbENKUlT_T0_E_clISt17integral_constantIbLb1EESY_IbLb0EEEEDaSU_SV_EUlSU_E_NS1_11comp_targetILNS1_3genE8ELNS1_11target_archE1030ELNS1_3gpuE2ELNS1_3repE0EEENS1_30default_config_static_selectorELNS0_4arch9wavefront6targetE0EEEvT1_,"axG",@progbits,_ZN7rocprim17ROCPRIM_400000_NS6detail17trampoline_kernelINS0_14default_configENS1_27scan_by_key_config_selectorIxxEEZZNS1_16scan_by_key_implILNS1_25lookback_scan_determinismE0ELb0ES3_N6thrust23THRUST_200600_302600_NS6detail15normal_iteratorINS9_10device_ptrIxEEEESE_SE_xNS9_4plusIvEENS9_8equal_toIvEExEE10hipError_tPvRmT2_T3_T4_T5_mT6_T7_P12ihipStream_tbENKUlT_T0_E_clISt17integral_constantIbLb1EESY_IbLb0EEEEDaSU_SV_EUlSU_E_NS1_11comp_targetILNS1_3genE8ELNS1_11target_archE1030ELNS1_3gpuE2ELNS1_3repE0EEENS1_30default_config_static_selectorELNS0_4arch9wavefront6targetE0EEEvT1_,comdat
	.protected	_ZN7rocprim17ROCPRIM_400000_NS6detail17trampoline_kernelINS0_14default_configENS1_27scan_by_key_config_selectorIxxEEZZNS1_16scan_by_key_implILNS1_25lookback_scan_determinismE0ELb0ES3_N6thrust23THRUST_200600_302600_NS6detail15normal_iteratorINS9_10device_ptrIxEEEESE_SE_xNS9_4plusIvEENS9_8equal_toIvEExEE10hipError_tPvRmT2_T3_T4_T5_mT6_T7_P12ihipStream_tbENKUlT_T0_E_clISt17integral_constantIbLb1EESY_IbLb0EEEEDaSU_SV_EUlSU_E_NS1_11comp_targetILNS1_3genE8ELNS1_11target_archE1030ELNS1_3gpuE2ELNS1_3repE0EEENS1_30default_config_static_selectorELNS0_4arch9wavefront6targetE0EEEvT1_ ; -- Begin function _ZN7rocprim17ROCPRIM_400000_NS6detail17trampoline_kernelINS0_14default_configENS1_27scan_by_key_config_selectorIxxEEZZNS1_16scan_by_key_implILNS1_25lookback_scan_determinismE0ELb0ES3_N6thrust23THRUST_200600_302600_NS6detail15normal_iteratorINS9_10device_ptrIxEEEESE_SE_xNS9_4plusIvEENS9_8equal_toIvEExEE10hipError_tPvRmT2_T3_T4_T5_mT6_T7_P12ihipStream_tbENKUlT_T0_E_clISt17integral_constantIbLb1EESY_IbLb0EEEEDaSU_SV_EUlSU_E_NS1_11comp_targetILNS1_3genE8ELNS1_11target_archE1030ELNS1_3gpuE2ELNS1_3repE0EEENS1_30default_config_static_selectorELNS0_4arch9wavefront6targetE0EEEvT1_
	.globl	_ZN7rocprim17ROCPRIM_400000_NS6detail17trampoline_kernelINS0_14default_configENS1_27scan_by_key_config_selectorIxxEEZZNS1_16scan_by_key_implILNS1_25lookback_scan_determinismE0ELb0ES3_N6thrust23THRUST_200600_302600_NS6detail15normal_iteratorINS9_10device_ptrIxEEEESE_SE_xNS9_4plusIvEENS9_8equal_toIvEExEE10hipError_tPvRmT2_T3_T4_T5_mT6_T7_P12ihipStream_tbENKUlT_T0_E_clISt17integral_constantIbLb1EESY_IbLb0EEEEDaSU_SV_EUlSU_E_NS1_11comp_targetILNS1_3genE8ELNS1_11target_archE1030ELNS1_3gpuE2ELNS1_3repE0EEENS1_30default_config_static_selectorELNS0_4arch9wavefront6targetE0EEEvT1_
	.p2align	8
	.type	_ZN7rocprim17ROCPRIM_400000_NS6detail17trampoline_kernelINS0_14default_configENS1_27scan_by_key_config_selectorIxxEEZZNS1_16scan_by_key_implILNS1_25lookback_scan_determinismE0ELb0ES3_N6thrust23THRUST_200600_302600_NS6detail15normal_iteratorINS9_10device_ptrIxEEEESE_SE_xNS9_4plusIvEENS9_8equal_toIvEExEE10hipError_tPvRmT2_T3_T4_T5_mT6_T7_P12ihipStream_tbENKUlT_T0_E_clISt17integral_constantIbLb1EESY_IbLb0EEEEDaSU_SV_EUlSU_E_NS1_11comp_targetILNS1_3genE8ELNS1_11target_archE1030ELNS1_3gpuE2ELNS1_3repE0EEENS1_30default_config_static_selectorELNS0_4arch9wavefront6targetE0EEEvT1_,@function
_ZN7rocprim17ROCPRIM_400000_NS6detail17trampoline_kernelINS0_14default_configENS1_27scan_by_key_config_selectorIxxEEZZNS1_16scan_by_key_implILNS1_25lookback_scan_determinismE0ELb0ES3_N6thrust23THRUST_200600_302600_NS6detail15normal_iteratorINS9_10device_ptrIxEEEESE_SE_xNS9_4plusIvEENS9_8equal_toIvEExEE10hipError_tPvRmT2_T3_T4_T5_mT6_T7_P12ihipStream_tbENKUlT_T0_E_clISt17integral_constantIbLb1EESY_IbLb0EEEEDaSU_SV_EUlSU_E_NS1_11comp_targetILNS1_3genE8ELNS1_11target_archE1030ELNS1_3gpuE2ELNS1_3repE0EEENS1_30default_config_static_selectorELNS0_4arch9wavefront6targetE0EEEvT1_: ; @_ZN7rocprim17ROCPRIM_400000_NS6detail17trampoline_kernelINS0_14default_configENS1_27scan_by_key_config_selectorIxxEEZZNS1_16scan_by_key_implILNS1_25lookback_scan_determinismE0ELb0ES3_N6thrust23THRUST_200600_302600_NS6detail15normal_iteratorINS9_10device_ptrIxEEEESE_SE_xNS9_4plusIvEENS9_8equal_toIvEExEE10hipError_tPvRmT2_T3_T4_T5_mT6_T7_P12ihipStream_tbENKUlT_T0_E_clISt17integral_constantIbLb1EESY_IbLb0EEEEDaSU_SV_EUlSU_E_NS1_11comp_targetILNS1_3genE8ELNS1_11target_archE1030ELNS1_3gpuE2ELNS1_3repE0EEENS1_30default_config_static_selectorELNS0_4arch9wavefront6targetE0EEEvT1_
; %bb.0:
	.section	.rodata,"a",@progbits
	.p2align	6, 0x0
	.amdhsa_kernel _ZN7rocprim17ROCPRIM_400000_NS6detail17trampoline_kernelINS0_14default_configENS1_27scan_by_key_config_selectorIxxEEZZNS1_16scan_by_key_implILNS1_25lookback_scan_determinismE0ELb0ES3_N6thrust23THRUST_200600_302600_NS6detail15normal_iteratorINS9_10device_ptrIxEEEESE_SE_xNS9_4plusIvEENS9_8equal_toIvEExEE10hipError_tPvRmT2_T3_T4_T5_mT6_T7_P12ihipStream_tbENKUlT_T0_E_clISt17integral_constantIbLb1EESY_IbLb0EEEEDaSU_SV_EUlSU_E_NS1_11comp_targetILNS1_3genE8ELNS1_11target_archE1030ELNS1_3gpuE2ELNS1_3repE0EEENS1_30default_config_static_selectorELNS0_4arch9wavefront6targetE0EEEvT1_
		.amdhsa_group_segment_fixed_size 0
		.amdhsa_private_segment_fixed_size 0
		.amdhsa_kernarg_size 136
		.amdhsa_user_sgpr_count 2
		.amdhsa_user_sgpr_dispatch_ptr 0
		.amdhsa_user_sgpr_queue_ptr 0
		.amdhsa_user_sgpr_kernarg_segment_ptr 1
		.amdhsa_user_sgpr_dispatch_id 0
		.amdhsa_user_sgpr_kernarg_preload_length 0
		.amdhsa_user_sgpr_kernarg_preload_offset 0
		.amdhsa_user_sgpr_private_segment_size 0
		.amdhsa_wavefront_size32 1
		.amdhsa_uses_dynamic_stack 0
		.amdhsa_enable_private_segment 0
		.amdhsa_system_sgpr_workgroup_id_x 1
		.amdhsa_system_sgpr_workgroup_id_y 0
		.amdhsa_system_sgpr_workgroup_id_z 0
		.amdhsa_system_sgpr_workgroup_info 0
		.amdhsa_system_vgpr_workitem_id 0
		.amdhsa_next_free_vgpr 1
		.amdhsa_next_free_sgpr 1
		.amdhsa_named_barrier_count 0
		.amdhsa_reserve_vcc 0
		.amdhsa_float_round_mode_32 0
		.amdhsa_float_round_mode_16_64 0
		.amdhsa_float_denorm_mode_32 3
		.amdhsa_float_denorm_mode_16_64 3
		.amdhsa_fp16_overflow 0
		.amdhsa_memory_ordered 1
		.amdhsa_forward_progress 1
		.amdhsa_inst_pref_size 0
		.amdhsa_round_robin_scheduling 0
		.amdhsa_exception_fp_ieee_invalid_op 0
		.amdhsa_exception_fp_denorm_src 0
		.amdhsa_exception_fp_ieee_div_zero 0
		.amdhsa_exception_fp_ieee_overflow 0
		.amdhsa_exception_fp_ieee_underflow 0
		.amdhsa_exception_fp_ieee_inexact 0
		.amdhsa_exception_int_div_zero 0
	.end_amdhsa_kernel
	.section	.text._ZN7rocprim17ROCPRIM_400000_NS6detail17trampoline_kernelINS0_14default_configENS1_27scan_by_key_config_selectorIxxEEZZNS1_16scan_by_key_implILNS1_25lookback_scan_determinismE0ELb0ES3_N6thrust23THRUST_200600_302600_NS6detail15normal_iteratorINS9_10device_ptrIxEEEESE_SE_xNS9_4plusIvEENS9_8equal_toIvEExEE10hipError_tPvRmT2_T3_T4_T5_mT6_T7_P12ihipStream_tbENKUlT_T0_E_clISt17integral_constantIbLb1EESY_IbLb0EEEEDaSU_SV_EUlSU_E_NS1_11comp_targetILNS1_3genE8ELNS1_11target_archE1030ELNS1_3gpuE2ELNS1_3repE0EEENS1_30default_config_static_selectorELNS0_4arch9wavefront6targetE0EEEvT1_,"axG",@progbits,_ZN7rocprim17ROCPRIM_400000_NS6detail17trampoline_kernelINS0_14default_configENS1_27scan_by_key_config_selectorIxxEEZZNS1_16scan_by_key_implILNS1_25lookback_scan_determinismE0ELb0ES3_N6thrust23THRUST_200600_302600_NS6detail15normal_iteratorINS9_10device_ptrIxEEEESE_SE_xNS9_4plusIvEENS9_8equal_toIvEExEE10hipError_tPvRmT2_T3_T4_T5_mT6_T7_P12ihipStream_tbENKUlT_T0_E_clISt17integral_constantIbLb1EESY_IbLb0EEEEDaSU_SV_EUlSU_E_NS1_11comp_targetILNS1_3genE8ELNS1_11target_archE1030ELNS1_3gpuE2ELNS1_3repE0EEENS1_30default_config_static_selectorELNS0_4arch9wavefront6targetE0EEEvT1_,comdat
.Lfunc_end35:
	.size	_ZN7rocprim17ROCPRIM_400000_NS6detail17trampoline_kernelINS0_14default_configENS1_27scan_by_key_config_selectorIxxEEZZNS1_16scan_by_key_implILNS1_25lookback_scan_determinismE0ELb0ES3_N6thrust23THRUST_200600_302600_NS6detail15normal_iteratorINS9_10device_ptrIxEEEESE_SE_xNS9_4plusIvEENS9_8equal_toIvEExEE10hipError_tPvRmT2_T3_T4_T5_mT6_T7_P12ihipStream_tbENKUlT_T0_E_clISt17integral_constantIbLb1EESY_IbLb0EEEEDaSU_SV_EUlSU_E_NS1_11comp_targetILNS1_3genE8ELNS1_11target_archE1030ELNS1_3gpuE2ELNS1_3repE0EEENS1_30default_config_static_selectorELNS0_4arch9wavefront6targetE0EEEvT1_, .Lfunc_end35-_ZN7rocprim17ROCPRIM_400000_NS6detail17trampoline_kernelINS0_14default_configENS1_27scan_by_key_config_selectorIxxEEZZNS1_16scan_by_key_implILNS1_25lookback_scan_determinismE0ELb0ES3_N6thrust23THRUST_200600_302600_NS6detail15normal_iteratorINS9_10device_ptrIxEEEESE_SE_xNS9_4plusIvEENS9_8equal_toIvEExEE10hipError_tPvRmT2_T3_T4_T5_mT6_T7_P12ihipStream_tbENKUlT_T0_E_clISt17integral_constantIbLb1EESY_IbLb0EEEEDaSU_SV_EUlSU_E_NS1_11comp_targetILNS1_3genE8ELNS1_11target_archE1030ELNS1_3gpuE2ELNS1_3repE0EEENS1_30default_config_static_selectorELNS0_4arch9wavefront6targetE0EEEvT1_
                                        ; -- End function
	.set _ZN7rocprim17ROCPRIM_400000_NS6detail17trampoline_kernelINS0_14default_configENS1_27scan_by_key_config_selectorIxxEEZZNS1_16scan_by_key_implILNS1_25lookback_scan_determinismE0ELb0ES3_N6thrust23THRUST_200600_302600_NS6detail15normal_iteratorINS9_10device_ptrIxEEEESE_SE_xNS9_4plusIvEENS9_8equal_toIvEExEE10hipError_tPvRmT2_T3_T4_T5_mT6_T7_P12ihipStream_tbENKUlT_T0_E_clISt17integral_constantIbLb1EESY_IbLb0EEEEDaSU_SV_EUlSU_E_NS1_11comp_targetILNS1_3genE8ELNS1_11target_archE1030ELNS1_3gpuE2ELNS1_3repE0EEENS1_30default_config_static_selectorELNS0_4arch9wavefront6targetE0EEEvT1_.num_vgpr, 0
	.set _ZN7rocprim17ROCPRIM_400000_NS6detail17trampoline_kernelINS0_14default_configENS1_27scan_by_key_config_selectorIxxEEZZNS1_16scan_by_key_implILNS1_25lookback_scan_determinismE0ELb0ES3_N6thrust23THRUST_200600_302600_NS6detail15normal_iteratorINS9_10device_ptrIxEEEESE_SE_xNS9_4plusIvEENS9_8equal_toIvEExEE10hipError_tPvRmT2_T3_T4_T5_mT6_T7_P12ihipStream_tbENKUlT_T0_E_clISt17integral_constantIbLb1EESY_IbLb0EEEEDaSU_SV_EUlSU_E_NS1_11comp_targetILNS1_3genE8ELNS1_11target_archE1030ELNS1_3gpuE2ELNS1_3repE0EEENS1_30default_config_static_selectorELNS0_4arch9wavefront6targetE0EEEvT1_.num_agpr, 0
	.set _ZN7rocprim17ROCPRIM_400000_NS6detail17trampoline_kernelINS0_14default_configENS1_27scan_by_key_config_selectorIxxEEZZNS1_16scan_by_key_implILNS1_25lookback_scan_determinismE0ELb0ES3_N6thrust23THRUST_200600_302600_NS6detail15normal_iteratorINS9_10device_ptrIxEEEESE_SE_xNS9_4plusIvEENS9_8equal_toIvEExEE10hipError_tPvRmT2_T3_T4_T5_mT6_T7_P12ihipStream_tbENKUlT_T0_E_clISt17integral_constantIbLb1EESY_IbLb0EEEEDaSU_SV_EUlSU_E_NS1_11comp_targetILNS1_3genE8ELNS1_11target_archE1030ELNS1_3gpuE2ELNS1_3repE0EEENS1_30default_config_static_selectorELNS0_4arch9wavefront6targetE0EEEvT1_.numbered_sgpr, 0
	.set _ZN7rocprim17ROCPRIM_400000_NS6detail17trampoline_kernelINS0_14default_configENS1_27scan_by_key_config_selectorIxxEEZZNS1_16scan_by_key_implILNS1_25lookback_scan_determinismE0ELb0ES3_N6thrust23THRUST_200600_302600_NS6detail15normal_iteratorINS9_10device_ptrIxEEEESE_SE_xNS9_4plusIvEENS9_8equal_toIvEExEE10hipError_tPvRmT2_T3_T4_T5_mT6_T7_P12ihipStream_tbENKUlT_T0_E_clISt17integral_constantIbLb1EESY_IbLb0EEEEDaSU_SV_EUlSU_E_NS1_11comp_targetILNS1_3genE8ELNS1_11target_archE1030ELNS1_3gpuE2ELNS1_3repE0EEENS1_30default_config_static_selectorELNS0_4arch9wavefront6targetE0EEEvT1_.num_named_barrier, 0
	.set _ZN7rocprim17ROCPRIM_400000_NS6detail17trampoline_kernelINS0_14default_configENS1_27scan_by_key_config_selectorIxxEEZZNS1_16scan_by_key_implILNS1_25lookback_scan_determinismE0ELb0ES3_N6thrust23THRUST_200600_302600_NS6detail15normal_iteratorINS9_10device_ptrIxEEEESE_SE_xNS9_4plusIvEENS9_8equal_toIvEExEE10hipError_tPvRmT2_T3_T4_T5_mT6_T7_P12ihipStream_tbENKUlT_T0_E_clISt17integral_constantIbLb1EESY_IbLb0EEEEDaSU_SV_EUlSU_E_NS1_11comp_targetILNS1_3genE8ELNS1_11target_archE1030ELNS1_3gpuE2ELNS1_3repE0EEENS1_30default_config_static_selectorELNS0_4arch9wavefront6targetE0EEEvT1_.private_seg_size, 0
	.set _ZN7rocprim17ROCPRIM_400000_NS6detail17trampoline_kernelINS0_14default_configENS1_27scan_by_key_config_selectorIxxEEZZNS1_16scan_by_key_implILNS1_25lookback_scan_determinismE0ELb0ES3_N6thrust23THRUST_200600_302600_NS6detail15normal_iteratorINS9_10device_ptrIxEEEESE_SE_xNS9_4plusIvEENS9_8equal_toIvEExEE10hipError_tPvRmT2_T3_T4_T5_mT6_T7_P12ihipStream_tbENKUlT_T0_E_clISt17integral_constantIbLb1EESY_IbLb0EEEEDaSU_SV_EUlSU_E_NS1_11comp_targetILNS1_3genE8ELNS1_11target_archE1030ELNS1_3gpuE2ELNS1_3repE0EEENS1_30default_config_static_selectorELNS0_4arch9wavefront6targetE0EEEvT1_.uses_vcc, 0
	.set _ZN7rocprim17ROCPRIM_400000_NS6detail17trampoline_kernelINS0_14default_configENS1_27scan_by_key_config_selectorIxxEEZZNS1_16scan_by_key_implILNS1_25lookback_scan_determinismE0ELb0ES3_N6thrust23THRUST_200600_302600_NS6detail15normal_iteratorINS9_10device_ptrIxEEEESE_SE_xNS9_4plusIvEENS9_8equal_toIvEExEE10hipError_tPvRmT2_T3_T4_T5_mT6_T7_P12ihipStream_tbENKUlT_T0_E_clISt17integral_constantIbLb1EESY_IbLb0EEEEDaSU_SV_EUlSU_E_NS1_11comp_targetILNS1_3genE8ELNS1_11target_archE1030ELNS1_3gpuE2ELNS1_3repE0EEENS1_30default_config_static_selectorELNS0_4arch9wavefront6targetE0EEEvT1_.uses_flat_scratch, 0
	.set _ZN7rocprim17ROCPRIM_400000_NS6detail17trampoline_kernelINS0_14default_configENS1_27scan_by_key_config_selectorIxxEEZZNS1_16scan_by_key_implILNS1_25lookback_scan_determinismE0ELb0ES3_N6thrust23THRUST_200600_302600_NS6detail15normal_iteratorINS9_10device_ptrIxEEEESE_SE_xNS9_4plusIvEENS9_8equal_toIvEExEE10hipError_tPvRmT2_T3_T4_T5_mT6_T7_P12ihipStream_tbENKUlT_T0_E_clISt17integral_constantIbLb1EESY_IbLb0EEEEDaSU_SV_EUlSU_E_NS1_11comp_targetILNS1_3genE8ELNS1_11target_archE1030ELNS1_3gpuE2ELNS1_3repE0EEENS1_30default_config_static_selectorELNS0_4arch9wavefront6targetE0EEEvT1_.has_dyn_sized_stack, 0
	.set _ZN7rocprim17ROCPRIM_400000_NS6detail17trampoline_kernelINS0_14default_configENS1_27scan_by_key_config_selectorIxxEEZZNS1_16scan_by_key_implILNS1_25lookback_scan_determinismE0ELb0ES3_N6thrust23THRUST_200600_302600_NS6detail15normal_iteratorINS9_10device_ptrIxEEEESE_SE_xNS9_4plusIvEENS9_8equal_toIvEExEE10hipError_tPvRmT2_T3_T4_T5_mT6_T7_P12ihipStream_tbENKUlT_T0_E_clISt17integral_constantIbLb1EESY_IbLb0EEEEDaSU_SV_EUlSU_E_NS1_11comp_targetILNS1_3genE8ELNS1_11target_archE1030ELNS1_3gpuE2ELNS1_3repE0EEENS1_30default_config_static_selectorELNS0_4arch9wavefront6targetE0EEEvT1_.has_recursion, 0
	.set _ZN7rocprim17ROCPRIM_400000_NS6detail17trampoline_kernelINS0_14default_configENS1_27scan_by_key_config_selectorIxxEEZZNS1_16scan_by_key_implILNS1_25lookback_scan_determinismE0ELb0ES3_N6thrust23THRUST_200600_302600_NS6detail15normal_iteratorINS9_10device_ptrIxEEEESE_SE_xNS9_4plusIvEENS9_8equal_toIvEExEE10hipError_tPvRmT2_T3_T4_T5_mT6_T7_P12ihipStream_tbENKUlT_T0_E_clISt17integral_constantIbLb1EESY_IbLb0EEEEDaSU_SV_EUlSU_E_NS1_11comp_targetILNS1_3genE8ELNS1_11target_archE1030ELNS1_3gpuE2ELNS1_3repE0EEENS1_30default_config_static_selectorELNS0_4arch9wavefront6targetE0EEEvT1_.has_indirect_call, 0
	.section	.AMDGPU.csdata,"",@progbits
; Kernel info:
; codeLenInByte = 0
; TotalNumSgprs: 0
; NumVgprs: 0
; ScratchSize: 0
; MemoryBound: 0
; FloatMode: 240
; IeeeMode: 1
; LDSByteSize: 0 bytes/workgroup (compile time only)
; SGPRBlocks: 0
; VGPRBlocks: 0
; NumSGPRsForWavesPerEU: 1
; NumVGPRsForWavesPerEU: 1
; NamedBarCnt: 0
; Occupancy: 16
; WaveLimiterHint : 0
; COMPUTE_PGM_RSRC2:SCRATCH_EN: 0
; COMPUTE_PGM_RSRC2:USER_SGPR: 2
; COMPUTE_PGM_RSRC2:TRAP_HANDLER: 0
; COMPUTE_PGM_RSRC2:TGID_X_EN: 1
; COMPUTE_PGM_RSRC2:TGID_Y_EN: 0
; COMPUTE_PGM_RSRC2:TGID_Z_EN: 0
; COMPUTE_PGM_RSRC2:TIDIG_COMP_CNT: 0
	.section	.text._ZN7rocprim17ROCPRIM_400000_NS6detail30init_device_scan_by_key_kernelINS1_19lookback_scan_stateINS0_5tupleIJxbEEELb0ELb0EEEN6thrust23THRUST_200600_302600_NS6detail15normal_iteratorINS8_10device_ptrIxEEEEjNS1_16block_id_wrapperIjLb1EEEEEvT_jjPNSG_10value_typeET0_PNSt15iterator_traitsISJ_E10value_typeEmT1_T2_,"axG",@progbits,_ZN7rocprim17ROCPRIM_400000_NS6detail30init_device_scan_by_key_kernelINS1_19lookback_scan_stateINS0_5tupleIJxbEEELb0ELb0EEEN6thrust23THRUST_200600_302600_NS6detail15normal_iteratorINS8_10device_ptrIxEEEEjNS1_16block_id_wrapperIjLb1EEEEEvT_jjPNSG_10value_typeET0_PNSt15iterator_traitsISJ_E10value_typeEmT1_T2_,comdat
	.protected	_ZN7rocprim17ROCPRIM_400000_NS6detail30init_device_scan_by_key_kernelINS1_19lookback_scan_stateINS0_5tupleIJxbEEELb0ELb0EEEN6thrust23THRUST_200600_302600_NS6detail15normal_iteratorINS8_10device_ptrIxEEEEjNS1_16block_id_wrapperIjLb1EEEEEvT_jjPNSG_10value_typeET0_PNSt15iterator_traitsISJ_E10value_typeEmT1_T2_ ; -- Begin function _ZN7rocprim17ROCPRIM_400000_NS6detail30init_device_scan_by_key_kernelINS1_19lookback_scan_stateINS0_5tupleIJxbEEELb0ELb0EEEN6thrust23THRUST_200600_302600_NS6detail15normal_iteratorINS8_10device_ptrIxEEEEjNS1_16block_id_wrapperIjLb1EEEEEvT_jjPNSG_10value_typeET0_PNSt15iterator_traitsISJ_E10value_typeEmT1_T2_
	.globl	_ZN7rocprim17ROCPRIM_400000_NS6detail30init_device_scan_by_key_kernelINS1_19lookback_scan_stateINS0_5tupleIJxbEEELb0ELb0EEEN6thrust23THRUST_200600_302600_NS6detail15normal_iteratorINS8_10device_ptrIxEEEEjNS1_16block_id_wrapperIjLb1EEEEEvT_jjPNSG_10value_typeET0_PNSt15iterator_traitsISJ_E10value_typeEmT1_T2_
	.p2align	8
	.type	_ZN7rocprim17ROCPRIM_400000_NS6detail30init_device_scan_by_key_kernelINS1_19lookback_scan_stateINS0_5tupleIJxbEEELb0ELb0EEEN6thrust23THRUST_200600_302600_NS6detail15normal_iteratorINS8_10device_ptrIxEEEEjNS1_16block_id_wrapperIjLb1EEEEEvT_jjPNSG_10value_typeET0_PNSt15iterator_traitsISJ_E10value_typeEmT1_T2_,@function
_ZN7rocprim17ROCPRIM_400000_NS6detail30init_device_scan_by_key_kernelINS1_19lookback_scan_stateINS0_5tupleIJxbEEELb0ELb0EEEN6thrust23THRUST_200600_302600_NS6detail15normal_iteratorINS8_10device_ptrIxEEEEjNS1_16block_id_wrapperIjLb1EEEEEvT_jjPNSG_10value_typeET0_PNSt15iterator_traitsISJ_E10value_typeEmT1_T2_: ; @_ZN7rocprim17ROCPRIM_400000_NS6detail30init_device_scan_by_key_kernelINS1_19lookback_scan_stateINS0_5tupleIJxbEEELb0ELb0EEEN6thrust23THRUST_200600_302600_NS6detail15normal_iteratorINS8_10device_ptrIxEEEEjNS1_16block_id_wrapperIjLb1EEEEEvT_jjPNSG_10value_typeET0_PNSt15iterator_traitsISJ_E10value_typeEmT1_T2_
; %bb.0:
	s_clause 0x2
	s_load_b32 s2, s[0:1], 0x5c
	s_load_b32 s18, s[0:1], 0x50
	s_load_b256 s[4:11], s[0:1], 0x10
	s_bfe_u32 s3, ttmp6, 0x4000c
	s_and_b32 s12, ttmp6, 15
	s_add_co_i32 s3, s3, 1
	s_getreg_b32 s13, hwreg(HW_REG_IB_STS2, 6, 4)
	s_mul_i32 s3, ttmp9, s3
	s_delay_alu instid0(SALU_CYCLE_1)
	s_add_co_i32 s12, s12, s3
	s_wait_kmcnt 0x0
	s_and_b32 s19, s2, 0xffff
	s_cmp_eq_u32 s13, 0
	s_cselect_b32 s2, ttmp9, s12
	s_cmp_eq_u64 s[8:9], 0
	v_mad_u32 v0, s2, s19, v0
	s_cbranch_scc1 .LBB36_7
; %bb.1:
	s_cmp_lt_u32 s7, s6
	s_mov_b32 s20, exec_lo
	s_cselect_b32 s2, s7, 0
	s_delay_alu instid0(VALU_DEP_1) | instid1(SALU_CYCLE_1)
	v_cmpx_eq_u32_e64 s2, v0
	s_cbranch_execz .LBB36_6
; %bb.2:
	s_add_co_i32 s2, s7, 32
	s_load_b128 s[12:15], s[0:1], 0x0
	v_mov_b32_e32 v1, s2
	s_mov_b32 s3, 0
	global_load_u8 v1, v1, s[4:5] scope:SCOPE_DEV
	s_wait_loadcnt 0x0
	v_and_b32_e32 v2, 0xffff, v1
	v_readfirstlane_b32 s7, v1
	s_delay_alu instid0(VALU_DEP_2)
	v_cmp_ne_u32_e32 vcc_lo, 0, v2
	s_cbranch_vccnz .LBB36_5
; %bb.3:
	v_mov_b32_e32 v1, 0
	s_add_nc_u64 s[16:17], s[4:5], s[2:3]
.LBB36_4:                               ; =>This Inner Loop Header: Depth=1
	global_load_u8 v2, v1, s[16:17] scope:SCOPE_DEV
	s_wait_loadcnt 0x0
	v_and_b32_e32 v3, 0xffff, v2
	v_readfirstlane_b32 s7, v2
	s_delay_alu instid0(VALU_DEP_2)
	v_cmp_eq_u32_e32 vcc_lo, 0, v3
	s_cbranch_vccnz .LBB36_4
.LBB36_5:
	s_and_b32 s7, 0xffff, s7
	v_mov_b32_e32 v1, 0
	s_cmp_eq_u32 s7, 1
	global_wb scope:SCOPE_DEV
	s_wait_storecnt 0x0
	global_inv scope:SCOPE_DEV
	s_wait_kmcnt 0x0
	s_cselect_b32 s13, s13, s15
	s_cselect_b32 s12, s12, s14
	s_lshl_b64 s[2:3], s[2:3], 4
	s_delay_alu instid0(SALU_CYCLE_1)
	s_add_nc_u64 s[2:3], s[12:13], s[2:3]
	s_clause 0x1
	global_load_b64 v[2:3], v1, s[2:3]
	global_load_u8 v4, v1, s[2:3] offset:8
	s_wait_loadcnt 0x1
	global_store_b64 v1, v[2:3], s[8:9]
	s_wait_loadcnt 0x0
	global_store_b8 v1, v4, s[8:9] offset:8
.LBB36_6:
	s_wait_xcnt 0x0
	s_or_b32 exec_lo, exec_lo, s20
.LBB36_7:
	s_delay_alu instid0(SALU_CYCLE_1) | instskip(NEXT) | instid1(VALU_DEP_1)
	s_mov_b32 s2, exec_lo
	v_cmpx_eq_u32_e32 0, v0
	s_cbranch_execz .LBB36_9
; %bb.8:
	s_load_b64 s[8:9], s[0:1], 0x48
	v_mov_b32_e32 v1, 0
	s_wait_kmcnt 0x0
	global_store_b32 v1, v1, s[8:9]
.LBB36_9:
	s_wait_xcnt 0x0
	s_or_b32 exec_lo, exec_lo, s2
	s_delay_alu instid0(SALU_CYCLE_1)
	s_mov_b32 s2, exec_lo
	v_cmpx_gt_u32_e64 s6, v0
	s_cbranch_execz .LBB36_11
; %bb.10:
	v_dual_mov_b32 v2, 0 :: v_dual_add_nc_u32 v1, 32, v0
	global_store_b8 v1, v2, s[4:5]
.LBB36_11:
	s_wait_xcnt 0x0
	s_or_b32 exec_lo, exec_lo, s2
	v_mov_b32_e32 v1, 0
	s_mov_b32 s2, exec_lo
	v_cmpx_gt_u32_e32 32, v0
	s_cbranch_execz .LBB36_13
; %bb.12:
	s_delay_alu instid0(VALU_DEP_2)
	v_add_nc_u64_e32 v[2:3], s[4:5], v[0:1]
	v_mov_b32_e32 v4, 0xff
	global_store_b8 v[2:3], v4, off
.LBB36_13:
	s_wait_xcnt 0x0
	s_or_b32 exec_lo, exec_lo, s2
	s_load_b64 s[2:3], s[0:1], 0x38
	s_mov_b32 s4, exec_lo
	s_wait_kmcnt 0x0
	v_cmpx_gt_u64_e64 s[2:3], v[0:1]
	s_cbranch_execz .LBB36_16
; %bb.14:
	s_clause 0x1
	s_load_b32 s4, s[0:1], 0x40
	s_load_b64 s[6:7], s[0:1], 0x30
	s_mov_b32 s5, 0
	s_wait_xcnt 0x0
	s_mul_i32 s0, s18, s19
	s_mov_b32 s9, s5
	s_mov_b32 s1, s5
	s_wait_kmcnt 0x0
	v_mul_u64_e32 v[2:3], s[4:5], v[0:1]
	s_add_co_i32 s8, s4, -1
	v_lshl_add_u64 v[4:5], v[0:1], 3, s[6:7]
	s_lshl_b64 s[8:9], s[8:9], 3
	s_delay_alu instid0(SALU_CYCLE_1) | instskip(SKIP_1) | instid1(SALU_CYCLE_1)
	s_add_nc_u64 s[8:9], s[10:11], s[8:9]
	s_mul_u64 s[10:11], s[4:5], s[0:1]
	s_lshl_b64 s[6:7], s[10:11], 3
	s_delay_alu instid0(VALU_DEP_2)
	v_lshl_add_u64 v[2:3], v[2:3], 3, s[8:9]
	s_lshl_b64 s[8:9], s[0:1], 3
.LBB36_15:                              ; =>This Inner Loop Header: Depth=1
	global_load_b64 v[6:7], v[2:3], off
	v_add_nc_u64_e32 v[0:1], s[0:1], v[0:1]
	s_wait_xcnt 0x0
	v_add_nc_u64_e32 v[2:3], s[6:7], v[2:3]
	s_delay_alu instid0(VALU_DEP_2)
	v_cmp_le_u64_e32 vcc_lo, s[2:3], v[0:1]
	s_or_b32 s5, vcc_lo, s5
	s_wait_loadcnt 0x0
	global_store_b64 v[4:5], v[6:7], off
	s_wait_xcnt 0x0
	v_add_nc_u64_e32 v[4:5], s[8:9], v[4:5]
	s_and_not1_b32 exec_lo, exec_lo, s5
	s_cbranch_execnz .LBB36_15
.LBB36_16:
	s_endpgm
	.section	.rodata,"a",@progbits
	.p2align	6, 0x0
	.amdhsa_kernel _ZN7rocprim17ROCPRIM_400000_NS6detail30init_device_scan_by_key_kernelINS1_19lookback_scan_stateINS0_5tupleIJxbEEELb0ELb0EEEN6thrust23THRUST_200600_302600_NS6detail15normal_iteratorINS8_10device_ptrIxEEEEjNS1_16block_id_wrapperIjLb1EEEEEvT_jjPNSG_10value_typeET0_PNSt15iterator_traitsISJ_E10value_typeEmT1_T2_
		.amdhsa_group_segment_fixed_size 0
		.amdhsa_private_segment_fixed_size 0
		.amdhsa_kernarg_size 336
		.amdhsa_user_sgpr_count 2
		.amdhsa_user_sgpr_dispatch_ptr 0
		.amdhsa_user_sgpr_queue_ptr 0
		.amdhsa_user_sgpr_kernarg_segment_ptr 1
		.amdhsa_user_sgpr_dispatch_id 0
		.amdhsa_user_sgpr_kernarg_preload_length 0
		.amdhsa_user_sgpr_kernarg_preload_offset 0
		.amdhsa_user_sgpr_private_segment_size 0
		.amdhsa_wavefront_size32 1
		.amdhsa_uses_dynamic_stack 0
		.amdhsa_enable_private_segment 0
		.amdhsa_system_sgpr_workgroup_id_x 1
		.amdhsa_system_sgpr_workgroup_id_y 0
		.amdhsa_system_sgpr_workgroup_id_z 0
		.amdhsa_system_sgpr_workgroup_info 0
		.amdhsa_system_vgpr_workitem_id 0
		.amdhsa_next_free_vgpr 8
		.amdhsa_next_free_sgpr 21
		.amdhsa_named_barrier_count 0
		.amdhsa_reserve_vcc 1
		.amdhsa_float_round_mode_32 0
		.amdhsa_float_round_mode_16_64 0
		.amdhsa_float_denorm_mode_32 3
		.amdhsa_float_denorm_mode_16_64 3
		.amdhsa_fp16_overflow 0
		.amdhsa_memory_ordered 1
		.amdhsa_forward_progress 1
		.amdhsa_inst_pref_size 6
		.amdhsa_round_robin_scheduling 0
		.amdhsa_exception_fp_ieee_invalid_op 0
		.amdhsa_exception_fp_denorm_src 0
		.amdhsa_exception_fp_ieee_div_zero 0
		.amdhsa_exception_fp_ieee_overflow 0
		.amdhsa_exception_fp_ieee_underflow 0
		.amdhsa_exception_fp_ieee_inexact 0
		.amdhsa_exception_int_div_zero 0
	.end_amdhsa_kernel
	.section	.text._ZN7rocprim17ROCPRIM_400000_NS6detail30init_device_scan_by_key_kernelINS1_19lookback_scan_stateINS0_5tupleIJxbEEELb0ELb0EEEN6thrust23THRUST_200600_302600_NS6detail15normal_iteratorINS8_10device_ptrIxEEEEjNS1_16block_id_wrapperIjLb1EEEEEvT_jjPNSG_10value_typeET0_PNSt15iterator_traitsISJ_E10value_typeEmT1_T2_,"axG",@progbits,_ZN7rocprim17ROCPRIM_400000_NS6detail30init_device_scan_by_key_kernelINS1_19lookback_scan_stateINS0_5tupleIJxbEEELb0ELb0EEEN6thrust23THRUST_200600_302600_NS6detail15normal_iteratorINS8_10device_ptrIxEEEEjNS1_16block_id_wrapperIjLb1EEEEEvT_jjPNSG_10value_typeET0_PNSt15iterator_traitsISJ_E10value_typeEmT1_T2_,comdat
.Lfunc_end36:
	.size	_ZN7rocprim17ROCPRIM_400000_NS6detail30init_device_scan_by_key_kernelINS1_19lookback_scan_stateINS0_5tupleIJxbEEELb0ELb0EEEN6thrust23THRUST_200600_302600_NS6detail15normal_iteratorINS8_10device_ptrIxEEEEjNS1_16block_id_wrapperIjLb1EEEEEvT_jjPNSG_10value_typeET0_PNSt15iterator_traitsISJ_E10value_typeEmT1_T2_, .Lfunc_end36-_ZN7rocprim17ROCPRIM_400000_NS6detail30init_device_scan_by_key_kernelINS1_19lookback_scan_stateINS0_5tupleIJxbEEELb0ELb0EEEN6thrust23THRUST_200600_302600_NS6detail15normal_iteratorINS8_10device_ptrIxEEEEjNS1_16block_id_wrapperIjLb1EEEEEvT_jjPNSG_10value_typeET0_PNSt15iterator_traitsISJ_E10value_typeEmT1_T2_
                                        ; -- End function
	.set _ZN7rocprim17ROCPRIM_400000_NS6detail30init_device_scan_by_key_kernelINS1_19lookback_scan_stateINS0_5tupleIJxbEEELb0ELb0EEEN6thrust23THRUST_200600_302600_NS6detail15normal_iteratorINS8_10device_ptrIxEEEEjNS1_16block_id_wrapperIjLb1EEEEEvT_jjPNSG_10value_typeET0_PNSt15iterator_traitsISJ_E10value_typeEmT1_T2_.num_vgpr, 8
	.set _ZN7rocprim17ROCPRIM_400000_NS6detail30init_device_scan_by_key_kernelINS1_19lookback_scan_stateINS0_5tupleIJxbEEELb0ELb0EEEN6thrust23THRUST_200600_302600_NS6detail15normal_iteratorINS8_10device_ptrIxEEEEjNS1_16block_id_wrapperIjLb1EEEEEvT_jjPNSG_10value_typeET0_PNSt15iterator_traitsISJ_E10value_typeEmT1_T2_.num_agpr, 0
	.set _ZN7rocprim17ROCPRIM_400000_NS6detail30init_device_scan_by_key_kernelINS1_19lookback_scan_stateINS0_5tupleIJxbEEELb0ELb0EEEN6thrust23THRUST_200600_302600_NS6detail15normal_iteratorINS8_10device_ptrIxEEEEjNS1_16block_id_wrapperIjLb1EEEEEvT_jjPNSG_10value_typeET0_PNSt15iterator_traitsISJ_E10value_typeEmT1_T2_.numbered_sgpr, 21
	.set _ZN7rocprim17ROCPRIM_400000_NS6detail30init_device_scan_by_key_kernelINS1_19lookback_scan_stateINS0_5tupleIJxbEEELb0ELb0EEEN6thrust23THRUST_200600_302600_NS6detail15normal_iteratorINS8_10device_ptrIxEEEEjNS1_16block_id_wrapperIjLb1EEEEEvT_jjPNSG_10value_typeET0_PNSt15iterator_traitsISJ_E10value_typeEmT1_T2_.num_named_barrier, 0
	.set _ZN7rocprim17ROCPRIM_400000_NS6detail30init_device_scan_by_key_kernelINS1_19lookback_scan_stateINS0_5tupleIJxbEEELb0ELb0EEEN6thrust23THRUST_200600_302600_NS6detail15normal_iteratorINS8_10device_ptrIxEEEEjNS1_16block_id_wrapperIjLb1EEEEEvT_jjPNSG_10value_typeET0_PNSt15iterator_traitsISJ_E10value_typeEmT1_T2_.private_seg_size, 0
	.set _ZN7rocprim17ROCPRIM_400000_NS6detail30init_device_scan_by_key_kernelINS1_19lookback_scan_stateINS0_5tupleIJxbEEELb0ELb0EEEN6thrust23THRUST_200600_302600_NS6detail15normal_iteratorINS8_10device_ptrIxEEEEjNS1_16block_id_wrapperIjLb1EEEEEvT_jjPNSG_10value_typeET0_PNSt15iterator_traitsISJ_E10value_typeEmT1_T2_.uses_vcc, 1
	.set _ZN7rocprim17ROCPRIM_400000_NS6detail30init_device_scan_by_key_kernelINS1_19lookback_scan_stateINS0_5tupleIJxbEEELb0ELb0EEEN6thrust23THRUST_200600_302600_NS6detail15normal_iteratorINS8_10device_ptrIxEEEEjNS1_16block_id_wrapperIjLb1EEEEEvT_jjPNSG_10value_typeET0_PNSt15iterator_traitsISJ_E10value_typeEmT1_T2_.uses_flat_scratch, 0
	.set _ZN7rocprim17ROCPRIM_400000_NS6detail30init_device_scan_by_key_kernelINS1_19lookback_scan_stateINS0_5tupleIJxbEEELb0ELb0EEEN6thrust23THRUST_200600_302600_NS6detail15normal_iteratorINS8_10device_ptrIxEEEEjNS1_16block_id_wrapperIjLb1EEEEEvT_jjPNSG_10value_typeET0_PNSt15iterator_traitsISJ_E10value_typeEmT1_T2_.has_dyn_sized_stack, 0
	.set _ZN7rocprim17ROCPRIM_400000_NS6detail30init_device_scan_by_key_kernelINS1_19lookback_scan_stateINS0_5tupleIJxbEEELb0ELb0EEEN6thrust23THRUST_200600_302600_NS6detail15normal_iteratorINS8_10device_ptrIxEEEEjNS1_16block_id_wrapperIjLb1EEEEEvT_jjPNSG_10value_typeET0_PNSt15iterator_traitsISJ_E10value_typeEmT1_T2_.has_recursion, 0
	.set _ZN7rocprim17ROCPRIM_400000_NS6detail30init_device_scan_by_key_kernelINS1_19lookback_scan_stateINS0_5tupleIJxbEEELb0ELb0EEEN6thrust23THRUST_200600_302600_NS6detail15normal_iteratorINS8_10device_ptrIxEEEEjNS1_16block_id_wrapperIjLb1EEEEEvT_jjPNSG_10value_typeET0_PNSt15iterator_traitsISJ_E10value_typeEmT1_T2_.has_indirect_call, 0
	.section	.AMDGPU.csdata,"",@progbits
; Kernel info:
; codeLenInByte = 716
; TotalNumSgprs: 23
; NumVgprs: 8
; ScratchSize: 0
; MemoryBound: 0
; FloatMode: 240
; IeeeMode: 1
; LDSByteSize: 0 bytes/workgroup (compile time only)
; SGPRBlocks: 0
; VGPRBlocks: 0
; NumSGPRsForWavesPerEU: 23
; NumVGPRsForWavesPerEU: 8
; NamedBarCnt: 0
; Occupancy: 16
; WaveLimiterHint : 0
; COMPUTE_PGM_RSRC2:SCRATCH_EN: 0
; COMPUTE_PGM_RSRC2:USER_SGPR: 2
; COMPUTE_PGM_RSRC2:TRAP_HANDLER: 0
; COMPUTE_PGM_RSRC2:TGID_X_EN: 1
; COMPUTE_PGM_RSRC2:TGID_Y_EN: 0
; COMPUTE_PGM_RSRC2:TGID_Z_EN: 0
; COMPUTE_PGM_RSRC2:TIDIG_COMP_CNT: 0
	.section	.text._ZN7rocprim17ROCPRIM_400000_NS6detail30init_device_scan_by_key_kernelINS1_19lookback_scan_stateINS0_5tupleIJxbEEELb0ELb0EEENS1_16block_id_wrapperIjLb1EEEEEvT_jjPNS9_10value_typeET0_,"axG",@progbits,_ZN7rocprim17ROCPRIM_400000_NS6detail30init_device_scan_by_key_kernelINS1_19lookback_scan_stateINS0_5tupleIJxbEEELb0ELb0EEENS1_16block_id_wrapperIjLb1EEEEEvT_jjPNS9_10value_typeET0_,comdat
	.protected	_ZN7rocprim17ROCPRIM_400000_NS6detail30init_device_scan_by_key_kernelINS1_19lookback_scan_stateINS0_5tupleIJxbEEELb0ELb0EEENS1_16block_id_wrapperIjLb1EEEEEvT_jjPNS9_10value_typeET0_ ; -- Begin function _ZN7rocprim17ROCPRIM_400000_NS6detail30init_device_scan_by_key_kernelINS1_19lookback_scan_stateINS0_5tupleIJxbEEELb0ELb0EEENS1_16block_id_wrapperIjLb1EEEEEvT_jjPNS9_10value_typeET0_
	.globl	_ZN7rocprim17ROCPRIM_400000_NS6detail30init_device_scan_by_key_kernelINS1_19lookback_scan_stateINS0_5tupleIJxbEEELb0ELb0EEENS1_16block_id_wrapperIjLb1EEEEEvT_jjPNS9_10value_typeET0_
	.p2align	8
	.type	_ZN7rocprim17ROCPRIM_400000_NS6detail30init_device_scan_by_key_kernelINS1_19lookback_scan_stateINS0_5tupleIJxbEEELb0ELb0EEENS1_16block_id_wrapperIjLb1EEEEEvT_jjPNS9_10value_typeET0_,@function
_ZN7rocprim17ROCPRIM_400000_NS6detail30init_device_scan_by_key_kernelINS1_19lookback_scan_stateINS0_5tupleIJxbEEELb0ELb0EEENS1_16block_id_wrapperIjLb1EEEEEvT_jjPNS9_10value_typeET0_: ; @_ZN7rocprim17ROCPRIM_400000_NS6detail30init_device_scan_by_key_kernelINS1_19lookback_scan_stateINS0_5tupleIJxbEEELb0ELb0EEENS1_16block_id_wrapperIjLb1EEEEEvT_jjPNS9_10value_typeET0_
; %bb.0:
	s_clause 0x1
	s_load_b32 s2, s[0:1], 0x3c
	s_load_b256 s[4:11], s[0:1], 0x10
	s_bfe_u32 s3, ttmp6, 0x4000c
	s_and_b32 s12, ttmp6, 15
	s_add_co_i32 s3, s3, 1
	s_getreg_b32 s13, hwreg(HW_REG_IB_STS2, 6, 4)
	s_mul_i32 s3, ttmp9, s3
	s_delay_alu instid0(SALU_CYCLE_1)
	s_add_co_i32 s12, s12, s3
	s_wait_kmcnt 0x0
	s_and_b32 s2, s2, 0xffff
	s_cmp_eq_u32 s13, 0
	s_cselect_b32 s3, ttmp9, s12
	s_cmp_eq_u64 s[8:9], 0
	v_mad_u32 v0, s3, s2, v0
	s_cbranch_scc1 .LBB37_7
; %bb.1:
	s_cmp_lt_u32 s7, s6
	s_mov_b32 s16, exec_lo
	s_cselect_b32 s2, s7, 0
	s_delay_alu instid0(VALU_DEP_1) | instid1(SALU_CYCLE_1)
	v_cmpx_eq_u32_e64 s2, v0
	s_cbranch_execz .LBB37_6
; %bb.2:
	s_add_co_i32 s2, s7, 32
	s_load_b128 s[12:15], s[0:1], 0x0
	v_mov_b32_e32 v1, s2
	s_mov_b32 s3, 0
	global_load_u8 v1, v1, s[4:5] scope:SCOPE_DEV
	s_wait_loadcnt 0x0
	v_and_b32_e32 v2, 0xffff, v1
	v_readfirstlane_b32 s7, v1
	s_delay_alu instid0(VALU_DEP_2)
	v_cmp_ne_u32_e32 vcc_lo, 0, v2
	s_cbranch_vccnz .LBB37_5
; %bb.3:
	v_mov_b32_e32 v1, 0
	s_add_nc_u64 s[0:1], s[4:5], s[2:3]
.LBB37_4:                               ; =>This Inner Loop Header: Depth=1
	global_load_u8 v2, v1, s[0:1] scope:SCOPE_DEV
	s_wait_loadcnt 0x0
	v_and_b32_e32 v3, 0xffff, v2
	v_readfirstlane_b32 s7, v2
	s_delay_alu instid0(VALU_DEP_2)
	v_cmp_eq_u32_e32 vcc_lo, 0, v3
	s_cbranch_vccnz .LBB37_4
.LBB37_5:
	s_and_b32 s0, 0xffff, s7
	v_mov_b32_e32 v1, 0
	s_cmp_eq_u32 s0, 1
	global_wb scope:SCOPE_DEV
	s_wait_storecnt 0x0
	global_inv scope:SCOPE_DEV
	s_wait_kmcnt 0x0
	s_cselect_b32 s1, s13, s15
	s_cselect_b32 s0, s12, s14
	s_lshl_b64 s[2:3], s[2:3], 4
	s_delay_alu instid0(SALU_CYCLE_1)
	s_add_nc_u64 s[0:1], s[0:1], s[2:3]
	s_clause 0x1
	global_load_b64 v[2:3], v1, s[0:1]
	global_load_u8 v4, v1, s[0:1] offset:8
	s_wait_loadcnt 0x1
	global_store_b64 v1, v[2:3], s[8:9]
	s_wait_loadcnt 0x0
	global_store_b8 v1, v4, s[8:9] offset:8
.LBB37_6:
	s_wait_xcnt 0x0
	s_or_b32 exec_lo, exec_lo, s16
.LBB37_7:
	s_delay_alu instid0(SALU_CYCLE_1) | instskip(NEXT) | instid1(VALU_DEP_1)
	s_mov_b32 s0, exec_lo
	v_cmpx_eq_u32_e32 0, v0
	s_cbranch_execz .LBB37_9
; %bb.8:
	v_mov_b32_e32 v1, 0
	global_store_b32 v1, v1, s[10:11]
.LBB37_9:
	s_wait_xcnt 0x0
	s_or_b32 exec_lo, exec_lo, s0
	s_delay_alu instid0(SALU_CYCLE_1)
	s_mov_b32 s0, exec_lo
	v_cmpx_gt_u32_e64 s6, v0
	s_cbranch_execz .LBB37_11
; %bb.10:
	v_dual_mov_b32 v2, 0 :: v_dual_add_nc_u32 v1, 32, v0
	global_store_b8 v1, v2, s[4:5]
.LBB37_11:
	s_wait_xcnt 0x0
	s_or_b32 exec_lo, exec_lo, s0
	s_delay_alu instid0(SALU_CYCLE_1)
	s_mov_b32 s0, exec_lo
	v_cmpx_gt_u32_e32 32, v0
	s_cbranch_execz .LBB37_13
; %bb.12:
	v_mov_b32_e32 v1, 0xff
	global_store_b8 v0, v1, s[4:5]
.LBB37_13:
	s_endpgm
	.section	.rodata,"a",@progbits
	.p2align	6, 0x0
	.amdhsa_kernel _ZN7rocprim17ROCPRIM_400000_NS6detail30init_device_scan_by_key_kernelINS1_19lookback_scan_stateINS0_5tupleIJxbEEELb0ELb0EEENS1_16block_id_wrapperIjLb1EEEEEvT_jjPNS9_10value_typeET0_
		.amdhsa_group_segment_fixed_size 0
		.amdhsa_private_segment_fixed_size 0
		.amdhsa_kernarg_size 304
		.amdhsa_user_sgpr_count 2
		.amdhsa_user_sgpr_dispatch_ptr 0
		.amdhsa_user_sgpr_queue_ptr 0
		.amdhsa_user_sgpr_kernarg_segment_ptr 1
		.amdhsa_user_sgpr_dispatch_id 0
		.amdhsa_user_sgpr_kernarg_preload_length 0
		.amdhsa_user_sgpr_kernarg_preload_offset 0
		.amdhsa_user_sgpr_private_segment_size 0
		.amdhsa_wavefront_size32 1
		.amdhsa_uses_dynamic_stack 0
		.amdhsa_enable_private_segment 0
		.amdhsa_system_sgpr_workgroup_id_x 1
		.amdhsa_system_sgpr_workgroup_id_y 0
		.amdhsa_system_sgpr_workgroup_id_z 0
		.amdhsa_system_sgpr_workgroup_info 0
		.amdhsa_system_vgpr_workitem_id 0
		.amdhsa_next_free_vgpr 5
		.amdhsa_next_free_sgpr 17
		.amdhsa_named_barrier_count 0
		.amdhsa_reserve_vcc 1
		.amdhsa_float_round_mode_32 0
		.amdhsa_float_round_mode_16_64 0
		.amdhsa_float_denorm_mode_32 3
		.amdhsa_float_denorm_mode_16_64 3
		.amdhsa_fp16_overflow 0
		.amdhsa_memory_ordered 1
		.amdhsa_forward_progress 1
		.amdhsa_inst_pref_size 4
		.amdhsa_round_robin_scheduling 0
		.amdhsa_exception_fp_ieee_invalid_op 0
		.amdhsa_exception_fp_denorm_src 0
		.amdhsa_exception_fp_ieee_div_zero 0
		.amdhsa_exception_fp_ieee_overflow 0
		.amdhsa_exception_fp_ieee_underflow 0
		.amdhsa_exception_fp_ieee_inexact 0
		.amdhsa_exception_int_div_zero 0
	.end_amdhsa_kernel
	.section	.text._ZN7rocprim17ROCPRIM_400000_NS6detail30init_device_scan_by_key_kernelINS1_19lookback_scan_stateINS0_5tupleIJxbEEELb0ELb0EEENS1_16block_id_wrapperIjLb1EEEEEvT_jjPNS9_10value_typeET0_,"axG",@progbits,_ZN7rocprim17ROCPRIM_400000_NS6detail30init_device_scan_by_key_kernelINS1_19lookback_scan_stateINS0_5tupleIJxbEEELb0ELb0EEENS1_16block_id_wrapperIjLb1EEEEEvT_jjPNS9_10value_typeET0_,comdat
.Lfunc_end37:
	.size	_ZN7rocprim17ROCPRIM_400000_NS6detail30init_device_scan_by_key_kernelINS1_19lookback_scan_stateINS0_5tupleIJxbEEELb0ELb0EEENS1_16block_id_wrapperIjLb1EEEEEvT_jjPNS9_10value_typeET0_, .Lfunc_end37-_ZN7rocprim17ROCPRIM_400000_NS6detail30init_device_scan_by_key_kernelINS1_19lookback_scan_stateINS0_5tupleIJxbEEELb0ELb0EEENS1_16block_id_wrapperIjLb1EEEEEvT_jjPNS9_10value_typeET0_
                                        ; -- End function
	.set _ZN7rocprim17ROCPRIM_400000_NS6detail30init_device_scan_by_key_kernelINS1_19lookback_scan_stateINS0_5tupleIJxbEEELb0ELb0EEENS1_16block_id_wrapperIjLb1EEEEEvT_jjPNS9_10value_typeET0_.num_vgpr, 5
	.set _ZN7rocprim17ROCPRIM_400000_NS6detail30init_device_scan_by_key_kernelINS1_19lookback_scan_stateINS0_5tupleIJxbEEELb0ELb0EEENS1_16block_id_wrapperIjLb1EEEEEvT_jjPNS9_10value_typeET0_.num_agpr, 0
	.set _ZN7rocprim17ROCPRIM_400000_NS6detail30init_device_scan_by_key_kernelINS1_19lookback_scan_stateINS0_5tupleIJxbEEELb0ELb0EEENS1_16block_id_wrapperIjLb1EEEEEvT_jjPNS9_10value_typeET0_.numbered_sgpr, 17
	.set _ZN7rocprim17ROCPRIM_400000_NS6detail30init_device_scan_by_key_kernelINS1_19lookback_scan_stateINS0_5tupleIJxbEEELb0ELb0EEENS1_16block_id_wrapperIjLb1EEEEEvT_jjPNS9_10value_typeET0_.num_named_barrier, 0
	.set _ZN7rocprim17ROCPRIM_400000_NS6detail30init_device_scan_by_key_kernelINS1_19lookback_scan_stateINS0_5tupleIJxbEEELb0ELb0EEENS1_16block_id_wrapperIjLb1EEEEEvT_jjPNS9_10value_typeET0_.private_seg_size, 0
	.set _ZN7rocprim17ROCPRIM_400000_NS6detail30init_device_scan_by_key_kernelINS1_19lookback_scan_stateINS0_5tupleIJxbEEELb0ELb0EEENS1_16block_id_wrapperIjLb1EEEEEvT_jjPNS9_10value_typeET0_.uses_vcc, 1
	.set _ZN7rocprim17ROCPRIM_400000_NS6detail30init_device_scan_by_key_kernelINS1_19lookback_scan_stateINS0_5tupleIJxbEEELb0ELb0EEENS1_16block_id_wrapperIjLb1EEEEEvT_jjPNS9_10value_typeET0_.uses_flat_scratch, 0
	.set _ZN7rocprim17ROCPRIM_400000_NS6detail30init_device_scan_by_key_kernelINS1_19lookback_scan_stateINS0_5tupleIJxbEEELb0ELb0EEENS1_16block_id_wrapperIjLb1EEEEEvT_jjPNS9_10value_typeET0_.has_dyn_sized_stack, 0
	.set _ZN7rocprim17ROCPRIM_400000_NS6detail30init_device_scan_by_key_kernelINS1_19lookback_scan_stateINS0_5tupleIJxbEEELb0ELb0EEENS1_16block_id_wrapperIjLb1EEEEEvT_jjPNS9_10value_typeET0_.has_recursion, 0
	.set _ZN7rocprim17ROCPRIM_400000_NS6detail30init_device_scan_by_key_kernelINS1_19lookback_scan_stateINS0_5tupleIJxbEEELb0ELb0EEENS1_16block_id_wrapperIjLb1EEEEEvT_jjPNS9_10value_typeET0_.has_indirect_call, 0
	.section	.AMDGPU.csdata,"",@progbits
; Kernel info:
; codeLenInByte = 488
; TotalNumSgprs: 19
; NumVgprs: 5
; ScratchSize: 0
; MemoryBound: 0
; FloatMode: 240
; IeeeMode: 1
; LDSByteSize: 0 bytes/workgroup (compile time only)
; SGPRBlocks: 0
; VGPRBlocks: 0
; NumSGPRsForWavesPerEU: 19
; NumVGPRsForWavesPerEU: 5
; NamedBarCnt: 0
; Occupancy: 16
; WaveLimiterHint : 0
; COMPUTE_PGM_RSRC2:SCRATCH_EN: 0
; COMPUTE_PGM_RSRC2:USER_SGPR: 2
; COMPUTE_PGM_RSRC2:TRAP_HANDLER: 0
; COMPUTE_PGM_RSRC2:TGID_X_EN: 1
; COMPUTE_PGM_RSRC2:TGID_Y_EN: 0
; COMPUTE_PGM_RSRC2:TGID_Z_EN: 0
; COMPUTE_PGM_RSRC2:TIDIG_COMP_CNT: 0
	.section	.text._ZN7rocprim17ROCPRIM_400000_NS6detail17trampoline_kernelINS0_14default_configENS1_27scan_by_key_config_selectorIxxEEZZNS1_16scan_by_key_implILNS1_25lookback_scan_determinismE0ELb0ES3_N6thrust23THRUST_200600_302600_NS6detail15normal_iteratorINS9_10device_ptrIxEEEESE_SE_xNS9_4plusIvEENS9_8equal_toIvEExEE10hipError_tPvRmT2_T3_T4_T5_mT6_T7_P12ihipStream_tbENKUlT_T0_E_clISt17integral_constantIbLb0EESY_IbLb1EEEEDaSU_SV_EUlSU_E_NS1_11comp_targetILNS1_3genE0ELNS1_11target_archE4294967295ELNS1_3gpuE0ELNS1_3repE0EEENS1_30default_config_static_selectorELNS0_4arch9wavefront6targetE0EEEvT1_,"axG",@progbits,_ZN7rocprim17ROCPRIM_400000_NS6detail17trampoline_kernelINS0_14default_configENS1_27scan_by_key_config_selectorIxxEEZZNS1_16scan_by_key_implILNS1_25lookback_scan_determinismE0ELb0ES3_N6thrust23THRUST_200600_302600_NS6detail15normal_iteratorINS9_10device_ptrIxEEEESE_SE_xNS9_4plusIvEENS9_8equal_toIvEExEE10hipError_tPvRmT2_T3_T4_T5_mT6_T7_P12ihipStream_tbENKUlT_T0_E_clISt17integral_constantIbLb0EESY_IbLb1EEEEDaSU_SV_EUlSU_E_NS1_11comp_targetILNS1_3genE0ELNS1_11target_archE4294967295ELNS1_3gpuE0ELNS1_3repE0EEENS1_30default_config_static_selectorELNS0_4arch9wavefront6targetE0EEEvT1_,comdat
	.protected	_ZN7rocprim17ROCPRIM_400000_NS6detail17trampoline_kernelINS0_14default_configENS1_27scan_by_key_config_selectorIxxEEZZNS1_16scan_by_key_implILNS1_25lookback_scan_determinismE0ELb0ES3_N6thrust23THRUST_200600_302600_NS6detail15normal_iteratorINS9_10device_ptrIxEEEESE_SE_xNS9_4plusIvEENS9_8equal_toIvEExEE10hipError_tPvRmT2_T3_T4_T5_mT6_T7_P12ihipStream_tbENKUlT_T0_E_clISt17integral_constantIbLb0EESY_IbLb1EEEEDaSU_SV_EUlSU_E_NS1_11comp_targetILNS1_3genE0ELNS1_11target_archE4294967295ELNS1_3gpuE0ELNS1_3repE0EEENS1_30default_config_static_selectorELNS0_4arch9wavefront6targetE0EEEvT1_ ; -- Begin function _ZN7rocprim17ROCPRIM_400000_NS6detail17trampoline_kernelINS0_14default_configENS1_27scan_by_key_config_selectorIxxEEZZNS1_16scan_by_key_implILNS1_25lookback_scan_determinismE0ELb0ES3_N6thrust23THRUST_200600_302600_NS6detail15normal_iteratorINS9_10device_ptrIxEEEESE_SE_xNS9_4plusIvEENS9_8equal_toIvEExEE10hipError_tPvRmT2_T3_T4_T5_mT6_T7_P12ihipStream_tbENKUlT_T0_E_clISt17integral_constantIbLb0EESY_IbLb1EEEEDaSU_SV_EUlSU_E_NS1_11comp_targetILNS1_3genE0ELNS1_11target_archE4294967295ELNS1_3gpuE0ELNS1_3repE0EEENS1_30default_config_static_selectorELNS0_4arch9wavefront6targetE0EEEvT1_
	.globl	_ZN7rocprim17ROCPRIM_400000_NS6detail17trampoline_kernelINS0_14default_configENS1_27scan_by_key_config_selectorIxxEEZZNS1_16scan_by_key_implILNS1_25lookback_scan_determinismE0ELb0ES3_N6thrust23THRUST_200600_302600_NS6detail15normal_iteratorINS9_10device_ptrIxEEEESE_SE_xNS9_4plusIvEENS9_8equal_toIvEExEE10hipError_tPvRmT2_T3_T4_T5_mT6_T7_P12ihipStream_tbENKUlT_T0_E_clISt17integral_constantIbLb0EESY_IbLb1EEEEDaSU_SV_EUlSU_E_NS1_11comp_targetILNS1_3genE0ELNS1_11target_archE4294967295ELNS1_3gpuE0ELNS1_3repE0EEENS1_30default_config_static_selectorELNS0_4arch9wavefront6targetE0EEEvT1_
	.p2align	8
	.type	_ZN7rocprim17ROCPRIM_400000_NS6detail17trampoline_kernelINS0_14default_configENS1_27scan_by_key_config_selectorIxxEEZZNS1_16scan_by_key_implILNS1_25lookback_scan_determinismE0ELb0ES3_N6thrust23THRUST_200600_302600_NS6detail15normal_iteratorINS9_10device_ptrIxEEEESE_SE_xNS9_4plusIvEENS9_8equal_toIvEExEE10hipError_tPvRmT2_T3_T4_T5_mT6_T7_P12ihipStream_tbENKUlT_T0_E_clISt17integral_constantIbLb0EESY_IbLb1EEEEDaSU_SV_EUlSU_E_NS1_11comp_targetILNS1_3genE0ELNS1_11target_archE4294967295ELNS1_3gpuE0ELNS1_3repE0EEENS1_30default_config_static_selectorELNS0_4arch9wavefront6targetE0EEEvT1_,@function
_ZN7rocprim17ROCPRIM_400000_NS6detail17trampoline_kernelINS0_14default_configENS1_27scan_by_key_config_selectorIxxEEZZNS1_16scan_by_key_implILNS1_25lookback_scan_determinismE0ELb0ES3_N6thrust23THRUST_200600_302600_NS6detail15normal_iteratorINS9_10device_ptrIxEEEESE_SE_xNS9_4plusIvEENS9_8equal_toIvEExEE10hipError_tPvRmT2_T3_T4_T5_mT6_T7_P12ihipStream_tbENKUlT_T0_E_clISt17integral_constantIbLb0EESY_IbLb1EEEEDaSU_SV_EUlSU_E_NS1_11comp_targetILNS1_3genE0ELNS1_11target_archE4294967295ELNS1_3gpuE0ELNS1_3repE0EEENS1_30default_config_static_selectorELNS0_4arch9wavefront6targetE0EEEvT1_: ; @_ZN7rocprim17ROCPRIM_400000_NS6detail17trampoline_kernelINS0_14default_configENS1_27scan_by_key_config_selectorIxxEEZZNS1_16scan_by_key_implILNS1_25lookback_scan_determinismE0ELb0ES3_N6thrust23THRUST_200600_302600_NS6detail15normal_iteratorINS9_10device_ptrIxEEEESE_SE_xNS9_4plusIvEENS9_8equal_toIvEExEE10hipError_tPvRmT2_T3_T4_T5_mT6_T7_P12ihipStream_tbENKUlT_T0_E_clISt17integral_constantIbLb0EESY_IbLb1EEEEDaSU_SV_EUlSU_E_NS1_11comp_targetILNS1_3genE0ELNS1_11target_archE4294967295ELNS1_3gpuE0ELNS1_3repE0EEENS1_30default_config_static_selectorELNS0_4arch9wavefront6targetE0EEEvT1_
; %bb.0:
	s_clause 0x1
	s_load_b256 s[24:31], s[0:1], 0x30
	s_load_b64 s[52:53], s[0:1], 0x50
	v_cmp_ne_u32_e64 s3, 0, v0
	v_cmp_eq_u32_e64 s2, 0, v0
	s_and_saveexec_b32 s4, s2
	s_cbranch_execz .LBB38_4
; %bb.1:
	s_mov_b32 s6, exec_lo
	s_mov_b32 s5, exec_lo
	v_mbcnt_lo_u32_b32 v1, s6, 0
                                        ; implicit-def: $vgpr2
	s_delay_alu instid0(VALU_DEP_1)
	v_cmpx_eq_u32_e32 0, v1
	s_cbranch_execz .LBB38_3
; %bb.2:
	s_load_b64 s[8:9], s[0:1], 0x80
	s_bcnt1_i32_b32 s6, s6
	s_delay_alu instid0(SALU_CYCLE_1)
	v_dual_mov_b32 v2, 0 :: v_dual_mov_b32 v3, s6
	s_wait_xcnt 0x0
	s_wait_kmcnt 0x0
	global_atomic_add_u32 v2, v2, v3, s[8:9] th:TH_ATOMIC_RETURN scope:SCOPE_DEV
.LBB38_3:
	s_wait_xcnt 0x0
	s_or_b32 exec_lo, exec_lo, s5
	s_wait_loadcnt 0x0
	v_readfirstlane_b32 s5, v2
	s_delay_alu instid0(VALU_DEP_1)
	v_dual_mov_b32 v2, 0 :: v_dual_add_nc_u32 v1, s5, v1
	ds_store_b32 v2, v1
.LBB38_4:
	s_or_b32 exec_lo, exec_lo, s4
	v_mov_b32_e32 v1, 0
	s_clause 0x2
	s_load_b256 s[36:43], s[0:1], 0x0
	s_load_b32 s54, s[0:1], 0x58
	s_load_b256 s[44:51], s[0:1], 0x60
	s_wait_dscnt 0x0
	s_barrier_signal -1
	s_barrier_wait -1
	ds_load_b32 v2, v1
	s_mov_b32 s55, 0
	s_wait_dscnt 0x0
	s_mov_b32 s9, s55
	s_barrier_signal -1
	s_barrier_wait -1
	s_barrier_signal -1
	s_barrier_wait -1
	s_wait_kmcnt 0x0
	s_lshl_b64 s[34:35], s[38:39], 3
	s_mul_u64 s[6:7], s[52:53], s[54:55]
	s_cmp_lg_u64 s[48:49], 0
	s_add_nc_u64 s[0:1], s[36:37], s[34:35]
	s_add_nc_u64 s[4:5], s[40:41], s[34:35]
	s_cselect_b32 s38, -1, 0
	v_readfirstlane_b32 s54, v2
	s_add_nc_u64 s[20:21], s[6:7], s[54:55]
	s_add_nc_u64 s[6:7], s[44:45], -1
	s_mul_i32 s8, s54, 0xe00
	v_cmp_ge_u64_e64 s31, s[20:21], s[6:7]
	s_lshl_b64 s[36:37], s[8:9], 3
	s_mul_i32 s33, s6, 0xfffff200
	s_add_nc_u64 s[18:19], s[0:1], s[36:37]
	s_add_nc_u64 s[16:17], s[4:5], s[36:37]
	s_and_b32 vcc_lo, exec_lo, s31
	s_cbranch_vccz .LBB38_36
; %bb.5:
	flat_load_b64 v[2:3], v1, s[18:19]
	s_add_co_i32 s39, s33, s30
	s_delay_alu instid0(SALU_CYCLE_1)
	v_cmp_gt_u32_e64 s0, s39, v0
	s_wait_loadcnt_dscnt 0x0
	v_mov_b64_e32 v[4:5], v[2:3]
	s_and_saveexec_b32 s1, s0
	s_cbranch_execz .LBB38_7
; %bb.6:
	flat_load_b64 v[4:5], v0, s[18:19] scale_offset
.LBB38_7:
	s_wait_xcnt 0x0
	s_or_b32 exec_lo, exec_lo, s1
	v_or_b32_e32 v1, 0x100, v0
	v_mov_b64_e32 v[6:7], v[2:3]
	s_delay_alu instid0(VALU_DEP_2)
	v_cmp_gt_u32_e64 s1, s39, v1
	s_and_saveexec_b32 s4, s1
	s_cbranch_execz .LBB38_9
; %bb.8:
	flat_load_b64 v[6:7], v0, s[18:19] offset:2048 scale_offset
.LBB38_9:
	s_wait_xcnt 0x0
	s_or_b32 exec_lo, exec_lo, s4
	v_or_b32_e32 v1, 0x200, v0
	v_mov_b64_e32 v[8:9], v[2:3]
	s_delay_alu instid0(VALU_DEP_2)
	v_cmp_gt_u32_e64 s4, s39, v1
	s_and_saveexec_b32 s5, s4
	s_cbranch_execz .LBB38_11
; %bb.10:
	flat_load_b64 v[8:9], v0, s[18:19] offset:4096 scale_offset
.LBB38_11:
	s_wait_xcnt 0x0
	s_or_b32 exec_lo, exec_lo, s5
	v_or_b32_e32 v1, 0x300, v0
	v_mov_b64_e32 v[10:11], v[2:3]
	s_delay_alu instid0(VALU_DEP_2)
	v_cmp_gt_u32_e64 s5, s39, v1
	s_and_saveexec_b32 s6, s5
	s_cbranch_execz .LBB38_13
; %bb.12:
	flat_load_b64 v[10:11], v0, s[18:19] offset:6144 scale_offset
.LBB38_13:
	s_wait_xcnt 0x0
	s_or_b32 exec_lo, exec_lo, s6
	v_or_b32_e32 v1, 0x400, v0
	v_mov_b64_e32 v[12:13], v[2:3]
	s_delay_alu instid0(VALU_DEP_2)
	v_cmp_gt_u32_e64 s6, s39, v1
	s_and_saveexec_b32 s7, s6
	s_cbranch_execz .LBB38_15
; %bb.14:
	flat_load_b64 v[12:13], v0, s[18:19] offset:8192 scale_offset
.LBB38_15:
	s_wait_xcnt 0x0
	s_or_b32 exec_lo, exec_lo, s7
	v_or_b32_e32 v1, 0x500, v0
	v_mov_b64_e32 v[14:15], v[2:3]
	s_delay_alu instid0(VALU_DEP_2)
	v_cmp_gt_u32_e64 s7, s39, v1
	s_and_saveexec_b32 s8, s7
	s_cbranch_execz .LBB38_17
; %bb.16:
	flat_load_b64 v[14:15], v0, s[18:19] offset:10240 scale_offset
.LBB38_17:
	s_wait_xcnt 0x0
	s_or_b32 exec_lo, exec_lo, s8
	v_or_b32_e32 v1, 0x600, v0
	v_mov_b64_e32 v[16:17], v[2:3]
	s_delay_alu instid0(VALU_DEP_2)
	v_cmp_gt_u32_e64 s8, s39, v1
	s_and_saveexec_b32 s9, s8
	s_cbranch_execz .LBB38_19
; %bb.18:
	flat_load_b64 v[16:17], v0, s[18:19] offset:12288 scale_offset
.LBB38_19:
	s_wait_xcnt 0x0
	s_or_b32 exec_lo, exec_lo, s9
	v_or_b32_e32 v1, 0x700, v0
	v_mov_b64_e32 v[18:19], v[2:3]
	s_delay_alu instid0(VALU_DEP_2)
	v_cmp_gt_u32_e64 s9, s39, v1
	s_and_saveexec_b32 s10, s9
	s_cbranch_execz .LBB38_21
; %bb.20:
	flat_load_b64 v[18:19], v0, s[18:19] offset:14336 scale_offset
.LBB38_21:
	s_wait_xcnt 0x0
	s_or_b32 exec_lo, exec_lo, s10
	v_or_b32_e32 v1, 0x800, v0
	v_mov_b64_e32 v[20:21], v[2:3]
	s_delay_alu instid0(VALU_DEP_2)
	v_cmp_gt_u32_e64 s10, s39, v1
	s_and_saveexec_b32 s11, s10
	s_cbranch_execz .LBB38_23
; %bb.22:
	flat_load_b64 v[20:21], v0, s[18:19] offset:16384 scale_offset
.LBB38_23:
	s_wait_xcnt 0x0
	s_or_b32 exec_lo, exec_lo, s11
	v_or_b32_e32 v1, 0x900, v0
	v_mov_b64_e32 v[22:23], v[2:3]
	s_delay_alu instid0(VALU_DEP_2)
	v_cmp_gt_u32_e64 s11, s39, v1
	s_and_saveexec_b32 s12, s11
	s_cbranch_execz .LBB38_25
; %bb.24:
	flat_load_b64 v[22:23], v0, s[18:19] offset:18432 scale_offset
.LBB38_25:
	s_wait_xcnt 0x0
	s_or_b32 exec_lo, exec_lo, s12
	v_or_b32_e32 v1, 0xa00, v0
	v_mov_b64_e32 v[24:25], v[2:3]
	s_delay_alu instid0(VALU_DEP_2)
	v_cmp_gt_u32_e64 s12, s39, v1
	s_and_saveexec_b32 s13, s12
	s_cbranch_execz .LBB38_27
; %bb.26:
	flat_load_b64 v[24:25], v0, s[18:19] offset:20480 scale_offset
.LBB38_27:
	s_wait_xcnt 0x0
	s_or_b32 exec_lo, exec_lo, s13
	v_or_b32_e32 v1, 0xb00, v0
	v_mov_b64_e32 v[26:27], v[2:3]
	s_delay_alu instid0(VALU_DEP_2)
	v_cmp_gt_u32_e64 s13, s39, v1
	s_and_saveexec_b32 s14, s13
	s_cbranch_execz .LBB38_29
; %bb.28:
	flat_load_b64 v[26:27], v0, s[18:19] offset:22528 scale_offset
.LBB38_29:
	s_wait_xcnt 0x0
	s_or_b32 exec_lo, exec_lo, s14
	v_or_b32_e32 v1, 0xc00, v0
	v_mov_b64_e32 v[28:29], v[2:3]
	s_delay_alu instid0(VALU_DEP_2)
	v_cmp_gt_u32_e64 s14, s39, v1
	s_and_saveexec_b32 s15, s14
	s_cbranch_execz .LBB38_31
; %bb.30:
	flat_load_b64 v[28:29], v0, s[18:19] offset:24576 scale_offset
.LBB38_31:
	s_wait_xcnt 0x0
	s_or_b32 exec_lo, exec_lo, s15
	v_or_b32_e32 v1, 0xd00, v0
	s_mov_b32 s22, exec_lo
	s_delay_alu instid0(VALU_DEP_1) | instskip(SKIP_2) | instid1(SALU_CYCLE_1)
	v_cmp_gt_u32_e64 s15, s39, v1
	v_cmpx_le_u32_e64 s39, v1
	s_xor_b32 s22, exec_lo, s22
	s_and_not1_saveexec_b32 s22, s22
	s_cbranch_execz .LBB38_33
; %bb.32:
	flat_load_b64 v[2:3], v0, s[18:19] offset:26624 scale_offset
.LBB38_33:
	s_wait_xcnt 0x0
	s_or_b32 exec_lo, exec_lo, s22
	v_lshlrev_b32_e32 v1, 3, v0
	s_cmp_eq_u64 s[20:21], 0
	s_mov_b64 s[22:23], s[18:19]
	s_wait_loadcnt_dscnt 0x0
	ds_store_2addr_stride64_b64 v1, v[4:5], v[6:7] offset1:4
	ds_store_2addr_stride64_b64 v1, v[8:9], v[10:11] offset0:8 offset1:12
	ds_store_2addr_stride64_b64 v1, v[12:13], v[14:15] offset0:16 offset1:20
	;; [unrolled: 1-line block ×6, first 2 shown]
	v_mad_u32_u24 v103, 0x68, v0, v1
	s_wait_dscnt 0x0
	s_barrier_signal -1
	s_barrier_wait -1
	ds_load_b128 v[76:79], v103 offset:16
	ds_load_2addr_b64 v[64:67], v103 offset0:3 offset1:4
	ds_load_b128 v[72:75], v103
	ds_load_2addr_b64 v[80:83], v103 offset0:1 offset1:2
	ds_load_2addr_b64 v[52:55], v103 offset0:7 offset1:8
	;; [unrolled: 1-line block ×5, first 2 shown]
	ds_load_b64 v[86:87], v103 offset:104
	s_cbranch_scc1 .LBB38_39
; %bb.34:
	s_and_not1_b32 vcc_lo, exec_lo, s38
	s_cbranch_vccnz .LBB38_37
; %bb.35:
	s_lshl_b64 s[22:23], s[20:21], 3
	s_mov_b32 s40, 0
	s_add_nc_u64 s[22:23], s[50:51], s[22:23]
	s_delay_alu instid0(SALU_CYCLE_1)
	s_add_nc_u64 s[22:23], s[22:23], -8
	s_branch .LBB38_38
.LBB38_36:
                                        ; implicit-def: $sgpr6
                                        ; implicit-def: $vgpr97
                                        ; implicit-def: $vgpr90
                                        ; implicit-def: $vgpr96
                                        ; implicit-def: $vgpr95
                                        ; implicit-def: $vgpr108
                                        ; implicit-def: $vgpr89
                                        ; implicit-def: $vgpr104
                                        ; implicit-def: $vgpr101
                                        ; implicit-def: $vgpr20_vgpr21
                                        ; implicit-def: $vgpr34_vgpr35
                                        ; implicit-def: $vgpr38_vgpr39
                                        ; implicit-def: $vgpr42_vgpr43
                                        ; implicit-def: $vgpr46_vgpr47
                                        ; implicit-def: $vgpr62_vgpr63
                                        ; implicit-def: $vgpr4_vgpr5
                                        ; implicit-def: $vgpr110
                                        ; implicit-def: $vgpr94
                                        ; implicit-def: $vgpr91
                                        ; implicit-def: $vgpr92
                                        ; implicit-def: $vgpr93
                                        ; implicit-def: $vgpr102
                                        ; implicit-def: $vgpr100
                                        ; implicit-def: $vgpr99
                                        ; implicit-def: $vgpr98
                                        ; implicit-def: $vgpr88
                                        ; implicit-def: $vgpr109
                                        ; implicit-def: $vgpr106
                                        ; implicit-def: $vgpr105
                                        ; implicit-def: $vgpr84_vgpr85
                                        ; implicit-def: $vgpr28_vgpr29
                                        ; implicit-def: $vgpr24_vgpr25
                                        ; implicit-def: $vgpr16_vgpr17
                                        ; implicit-def: $vgpr12_vgpr13
                                        ; implicit-def: $vgpr1
                                        ; implicit-def: $vgpr30_vgpr31
                                        ; implicit-def: $vgpr26_vgpr27
                                        ; implicit-def: $vgpr22_vgpr23
                                        ; implicit-def: $vgpr14_vgpr15
                                        ; implicit-def: $vgpr10_vgpr11
                                        ; implicit-def: $vgpr6_vgpr7
	v_lshlrev_b32_e32 v64, 3, v0
	s_cbranch_execnz .LBB38_83
	s_branch .LBB38_104
.LBB38_37:
	s_add_nc_u64 s[22:23], s[18:19], -8
	s_mov_b32 s40, -1
.LBB38_38:
	s_delay_alu instid0(SALU_CYCLE_1)
	s_and_not1_b32 vcc_lo, exec_lo, s40
.LBB38_39:
	v_mov_b32_e32 v2, 0
	flat_load_b64 v[8:9], v2, s[22:23]
	s_wait_xcnt 0x0
	v_mad_i32_i24 v2, 0xffffff98, v0, v103
	s_wait_dscnt 0x1
	ds_store_b64 v2, v[86:87] offset:28672
	s_wait_loadcnt_dscnt 0x0
	s_barrier_signal -1
	s_barrier_wait -1
	s_and_saveexec_b32 s22, s3
; %bb.40:
	v_mul_i32_i24_e32 v2, 0xffffff98, v0
	s_delay_alu instid0(VALU_DEP_1)
	v_add_nc_u32_e32 v2, v103, v2
	ds_load_b64 v[8:9], v2 offset:28664
; %bb.41:
	s_or_b32 exec_lo, exec_lo, s22
	s_wait_dscnt 0x0
	s_barrier_signal -1
	s_barrier_wait -1
                                        ; implicit-def: $vgpr2_vgpr3
	s_and_saveexec_b32 s22, s0
	s_cbranch_execnz .LBB38_86
; %bb.42:
	s_or_b32 exec_lo, exec_lo, s22
                                        ; implicit-def: $vgpr4_vgpr5
	s_and_saveexec_b32 s0, s1
	s_cbranch_execnz .LBB38_87
.LBB38_43:
	s_or_b32 exec_lo, exec_lo, s0
                                        ; implicit-def: $vgpr6_vgpr7
	s_and_saveexec_b32 s0, s4
	s_cbranch_execnz .LBB38_88
.LBB38_44:
	s_or_b32 exec_lo, exec_lo, s0
                                        ; implicit-def: $vgpr10_vgpr11
	s_and_saveexec_b32 s0, s5
	s_cbranch_execnz .LBB38_89
.LBB38_45:
	s_or_b32 exec_lo, exec_lo, s0
                                        ; implicit-def: $vgpr12_vgpr13
	s_and_saveexec_b32 s0, s6
	s_cbranch_execnz .LBB38_90
.LBB38_46:
	s_or_b32 exec_lo, exec_lo, s0
                                        ; implicit-def: $vgpr14_vgpr15
	s_and_saveexec_b32 s0, s7
	s_cbranch_execnz .LBB38_91
.LBB38_47:
	s_or_b32 exec_lo, exec_lo, s0
                                        ; implicit-def: $vgpr16_vgpr17
	s_and_saveexec_b32 s0, s8
	s_cbranch_execnz .LBB38_92
.LBB38_48:
	s_or_b32 exec_lo, exec_lo, s0
                                        ; implicit-def: $vgpr18_vgpr19
	s_and_saveexec_b32 s0, s9
	s_cbranch_execnz .LBB38_93
.LBB38_49:
	s_or_b32 exec_lo, exec_lo, s0
                                        ; implicit-def: $vgpr20_vgpr21
	s_and_saveexec_b32 s0, s10
	s_cbranch_execnz .LBB38_94
.LBB38_50:
	s_or_b32 exec_lo, exec_lo, s0
                                        ; implicit-def: $vgpr22_vgpr23
	s_and_saveexec_b32 s0, s11
	s_cbranch_execnz .LBB38_95
.LBB38_51:
	s_or_b32 exec_lo, exec_lo, s0
                                        ; implicit-def: $vgpr24_vgpr25
	s_and_saveexec_b32 s0, s12
	s_cbranch_execnz .LBB38_96
.LBB38_52:
	s_or_b32 exec_lo, exec_lo, s0
                                        ; implicit-def: $vgpr26_vgpr27
	s_and_saveexec_b32 s0, s13
	s_cbranch_execnz .LBB38_97
.LBB38_53:
	s_or_b32 exec_lo, exec_lo, s0
                                        ; implicit-def: $vgpr28_vgpr29
	s_and_saveexec_b32 s0, s14
	s_cbranch_execnz .LBB38_98
.LBB38_54:
	s_or_b32 exec_lo, exec_lo, s0
                                        ; implicit-def: $vgpr30_vgpr31
	s_and_saveexec_b32 s0, s15
	s_cbranch_execz .LBB38_56
.LBB38_55:
	flat_load_b64 v[30:31], v0, s[16:17] offset:26624 scale_offset
.LBB38_56:
	s_wait_xcnt 0x0
	s_or_b32 exec_lo, exec_lo, s0
	v_mul_u32_u24_e32 v107, 14, v0
	s_wait_loadcnt_dscnt 0x0
	ds_store_2addr_stride64_b64 v1, v[2:3], v[4:5] offset1:4
	ds_store_2addr_stride64_b64 v1, v[6:7], v[10:11] offset0:8 offset1:12
	ds_store_2addr_stride64_b64 v1, v[12:13], v[14:15] offset0:16 offset1:20
	;; [unrolled: 1-line block ×6, first 2 shown]
	v_mov_b64_e32 v[34:35], 0
	v_mov_b64_e32 v[32:33], 0
	;; [unrolled: 1-line block ×24, first 2 shown]
	v_cmp_gt_u32_e32 vcc_lo, s39, v107
	v_dual_mov_b32 v97, 0 :: v_dual_mov_b32 v90, 0
	v_dual_mov_b32 v96, 0 :: v_dual_mov_b32 v95, 0
	;; [unrolled: 1-line block ×11, first 2 shown]
	s_mov_b32 s5, 0
	s_wait_dscnt 0x0
	s_barrier_signal -1
	s_barrier_wait -1
                                        ; implicit-def: $sgpr6
	s_and_saveexec_b32 s7, vcc_lo
	s_cbranch_execz .LBB38_82
; %bb.57:
	ds_load_b64 v[2:3], v103
	v_dual_mov_b32 v97, 0 :: v_dual_bitop2_b32 v1, 1, v107 bitop3:0x54
	v_mov_b64_e32 v[34:35], 0
	v_mov_b64_e32 v[32:33], 0
	;; [unrolled: 1-line block ×23, first 2 shown]
	v_cmp_gt_u32_e64 s0, s39, v1
	v_dual_mov_b32 v90, 0 :: v_dual_mov_b32 v96, 0
	v_dual_mov_b32 v95, 0 :: v_dual_mov_b32 v108, 0
	;; [unrolled: 1-line block ×9, first 2 shown]
	v_mov_b32_e32 v105, 0
	s_mov_b32 s1, 0
	v_cmp_ne_u64_e32 vcc_lo, v[8:9], v[72:73]
                                        ; implicit-def: $sgpr6
	s_and_saveexec_b32 s8, s0
	s_cbranch_execz .LBB38_81
; %bb.58:
	ds_load_2addr_b64 v[6:9], v103 offset0:1 offset1:2
	v_cmp_ne_u64_e64 s0, v[74:75], v[82:83]
	v_cmp_ne_u64_e64 s4, v[72:73], v[80:81]
	v_dual_add_nc_u32 v5, 2, v107 :: v_dual_mov_b32 v97, 0
	v_cmp_ne_u64_e64 s1, v[78:79], v[66:67]
	v_mov_b64_e32 v[34:35], 0
	v_mov_b64_e32 v[32:33], 0
	v_cndmask_b32_e64 v1, 0, 1, s0
	v_cmp_ne_u64_e64 s0, v[76:77], v[64:65]
	v_mov_b64_e32 v[38:39], 0
	v_mov_b64_e32 v[36:37], 0
	;; [unrolled: 1-line block ×19, first 2 shown]
	v_lshlrev_b16 v1, 8, v1
	v_cndmask_b32_e64 v4, 0, 1, s4
	v_cmp_gt_u32_e64 s4, s39, v5
	v_dual_mov_b32 v90, 0 :: v_dual_mov_b32 v96, 0
	v_dual_mov_b32 v95, 0 :: v_dual_mov_b32 v89, 0
	;; [unrolled: 1-line block ×8, first 2 shown]
	v_mov_b32_e32 v105, 0
	s_mov_b32 s10, 0
                                        ; implicit-def: $sgpr6
	s_and_saveexec_b32 s9, s4
	s_cbranch_execz .LBB38_80
; %bb.59:
	v_cndmask_b32_e64 v5, 0, 1, s1
	v_cndmask_b32_e64 v10, 0, 1, s0
	v_and_b32_e32 v11, 0xffff, v1
	v_dual_mov_b32 v97, 0 :: v_dual_add_nc_u32 v12, 3, v107
	s_delay_alu instid0(VALU_DEP_4)
	v_lshlrev_b16 v5, 8, v5
	v_mov_b32_e32 v95, 0
	v_mov_b64_e32 v[34:35], 0
	v_mov_b64_e32 v[32:33], 0
	;; [unrolled: 1-line block ×3, first 2 shown]
	v_or_b32_e32 v5, v10, v5
	v_mov_b64_e32 v[36:37], 0
	v_mov_b64_e32 v[42:43], 0
	;; [unrolled: 1-line block ×4, first 2 shown]
	v_dual_lshlrev_b32 v60, 16, v5 :: v_dual_mov_b32 v94, 0
	v_mov_b64_e32 v[44:45], 0
	v_mov_b64_e32 v[62:63], 0
	;; [unrolled: 1-line block ×3, first 2 shown]
	s_delay_alu instid0(VALU_DEP_4) | instskip(SKIP_3) | instid1(VALU_DEP_4)
	v_dual_mov_b32 v91, 0 :: v_dual_bitop2_b32 v10, v11, v60 bitop3:0x54
	v_mov_b64_e32 v[30:31], 0
	v_mov_b64_e32 v[84:85], 0
	;; [unrolled: 1-line block ×3, first 2 shown]
	v_dual_mov_b32 v92, 0 :: v_dual_lshrrev_b32 v89, 8, v10
	v_mov_b64_e32 v[28:29], 0
	v_mov_b64_e32 v[22:23], 0
	;; [unrolled: 1-line block ×6, first 2 shown]
	v_dual_mov_b32 v90, 0 :: v_dual_mov_b32 v96, 0
	v_dual_mov_b32 v104, 0 :: v_dual_mov_b32 v101, 0
	v_cmp_gt_u32_e64 s0, s39, v12
	v_dual_mov_b32 v93, 0 :: v_dual_mov_b32 v102, 0
	v_dual_mov_b32 v100, 0 :: v_dual_mov_b32 v99, 0
	;; [unrolled: 1-line block ×3, first 2 shown]
	v_mov_b32_e32 v105, 0
	s_mov_b32 s1, 0
                                        ; implicit-def: $sgpr6
	s_and_saveexec_b32 s10, s0
	s_cbranch_execz .LBB38_79
; %bb.60:
	ds_load_2addr_b64 v[10:13], v103 offset0:3 offset1:4
	v_dual_mov_b32 v97, 0 :: v_dual_add_nc_u32 v14, 4, v107
	v_mov_b64_e32 v[34:35], 0
	v_mov_b64_e32 v[32:33], 0
	;; [unrolled: 1-line block ×3, first 2 shown]
	s_delay_alu instid0(VALU_DEP_4)
	v_cmp_gt_u32_e64 s0, s39, v14
	v_mov_b64_e32 v[36:37], 0
	v_mov_b64_e32 v[42:43], 0
	v_mov_b64_e32 v[40:41], 0
	v_mov_b64_e32 v[46:47], 0
	v_mov_b64_e32 v[44:45], 0
	v_mov_b64_e32 v[18:19], 0
	v_mov_b64_e32 v[30:31], 0
	v_mov_b64_e32 v[84:85], 0
	v_mov_b64_e32 v[26:27], 0
	v_mov_b64_e32 v[28:29], 0
	v_mov_b64_e32 v[22:23], 0
	v_mov_b64_e32 v[24:25], 0
	v_mov_b64_e32 v[14:15], 0
	v_mov_b64_e32 v[16:17], 0
	v_dual_mov_b32 v90, 0 :: v_dual_mov_b32 v96, 0
	v_dual_mov_b32 v95, 0 :: v_dual_mov_b32 v101, 0
	;; [unrolled: 1-line block ×6, first 2 shown]
	v_mov_b32_e32 v105, 0
                                        ; implicit-def: $sgpr6
	s_and_saveexec_b32 s11, s0
	s_cbranch_execz .LBB38_78
; %bb.61:
	v_dual_mov_b32 v97, 0 :: v_dual_add_nc_u32 v14, 5, v107
	v_mov_b64_e32 v[34:35], 0
	v_mov_b64_e32 v[32:33], 0
	;; [unrolled: 1-line block ×3, first 2 shown]
	s_delay_alu instid0(VALU_DEP_4)
	v_cmp_gt_u32_e64 s0, s39, v14
	v_mov_b64_e32 v[36:37], 0
	v_mov_b64_e32 v[42:43], 0
	;; [unrolled: 1-line block ×12, first 2 shown]
	v_dual_mov_b32 v90, 0 :: v_dual_mov_b32 v96, 0
	v_dual_mov_b32 v95, 0 :: v_dual_mov_b32 v94, 0
	;; [unrolled: 1-line block ×5, first 2 shown]
                                        ; implicit-def: $sgpr6
	s_and_saveexec_b32 s12, s0
	s_cbranch_execz .LBB38_77
; %bb.62:
	ds_load_2addr_b64 v[14:17], v103 offset0:5 offset1:6
	v_cmp_ne_u64_e64 s0, v[68:69], v[70:71]
	v_cmp_ne_u64_e64 s4, v[66:67], v[68:69]
	v_dual_mov_b32 v90, 0 :: v_dual_add_nc_u32 v19, 6, v107
	v_cmp_ne_u64_e64 s1, v[52:53], v[54:55]
	v_mov_b64_e32 v[34:35], 0
	v_mov_b64_e32 v[32:33], 0
	v_cndmask_b32_e64 v18, 0, 1, s0
	v_cmp_ne_u64_e64 s0, v[70:71], v[52:53]
	v_cndmask_b32_e64 v45, 0, 1, s4
	v_cmp_gt_u32_e64 s4, s39, v19
	v_mov_b64_e32 v[38:39], 0
	v_lshlrev_b16 v44, 8, v18
	v_mov_b64_e32 v[36:37], 0
	v_mov_b64_e32 v[42:43], 0
	;; [unrolled: 1-line block ×10, first 2 shown]
	v_dual_mov_b32 v96, 0 :: v_dual_mov_b32 v95, 0
	v_dual_mov_b32 v94, 0 :: v_dual_mov_b32 v91, 0
	;; [unrolled: 1-line block ×4, first 2 shown]
	v_mov_b32_e32 v98, 0
	s_mov_b32 s14, 0
                                        ; implicit-def: $sgpr6
	s_and_saveexec_b32 s13, s4
	s_cbranch_execz .LBB38_76
; %bb.63:
	v_cndmask_b32_e64 v18, 0, 1, s1
	v_cndmask_b32_e64 v19, 0, 1, s0
	v_and_b32_e32 v20, 0xffff, v44
	v_mov_b64_e32 v[34:35], 0
	v_mov_b64_e32 v[32:33], 0
	v_lshlrev_b16 v18, 8, v18
	v_mov_b32_e32 v95, 0
	v_mov_b64_e32 v[38:39], 0
	v_mov_b64_e32 v[36:37], 0
	;; [unrolled: 1-line block ×3, first 2 shown]
	v_or_b32_e32 v40, v19, v18
	v_mov_b64_e32 v[18:19], 0
	v_mov_b64_e32 v[30:31], 0
	;; [unrolled: 1-line block ×4, first 2 shown]
	v_dual_mov_b32 v92, 0 :: v_dual_lshlrev_b32 v41, 16, v40
	v_mov_b64_e32 v[28:29], 0
	v_mov_b64_e32 v[22:23], 0
	v_dual_mov_b32 v96, 0 :: v_dual_add_nc_u32 v21, 7, v107
	s_delay_alu instid0(VALU_DEP_4) | instskip(SKIP_1) | instid1(VALU_DEP_2)
	v_dual_mov_b32 v93, 0 :: v_dual_bitop2_b32 v20, v20, v41 bitop3:0x54
	v_dual_mov_b32 v94, 0 :: v_dual_mov_b32 v91, 0
	v_dual_mov_b32 v98, 0 :: v_dual_lshrrev_b32 v90, 8, v20
	s_mov_b32 s1, 0
	s_mov_b32 s14, exec_lo
                                        ; implicit-def: $sgpr6
	v_cmpx_gt_u32_e64 s39, v21
	s_cbranch_execz .LBB38_75
; %bb.64:
	ds_load_2addr_b64 v[22:25], v103 offset0:7 offset1:8
	v_dual_mov_b32 v95, 0 :: v_dual_add_nc_u32 v18, 8, v107
	v_mov_b64_e32 v[34:35], 0
	v_mov_b64_e32 v[32:33], 0
	;; [unrolled: 1-line block ×3, first 2 shown]
	s_delay_alu instid0(VALU_DEP_4)
	v_cmp_gt_u32_e64 s0, s39, v18
	v_mov_b64_e32 v[36:37], 0
	v_mov_b64_e32 v[18:19], 0
	;; [unrolled: 1-line block ×6, first 2 shown]
	v_dual_mov_b32 v94, 0 :: v_dual_mov_b32 v91, 0
	v_dual_mov_b32 v92, 0 :: v_dual_mov_b32 v93, 0
                                        ; implicit-def: $sgpr6
	s_and_saveexec_b32 s15, s0
	s_cbranch_execz .LBB38_74
; %bb.65:
	v_dual_add_nc_u32 v18, 9, v107 :: v_dual_mov_b32 v94, 0
	v_mov_b64_e32 v[34:35], 0
	v_mov_b64_e32 v[32:33], 0
	v_mov_b64_e32 v[38:39], 0
	s_delay_alu instid0(VALU_DEP_4)
	v_cmp_gt_u32_e64 s0, s39, v18
	v_mov_b64_e32 v[18:19], 0
	v_mov_b64_e32 v[30:31], 0
	;; [unrolled: 1-line block ×4, first 2 shown]
	v_dual_mov_b32 v91, 0 :: v_dual_mov_b32 v92, 0
	v_mov_b32_e32 v93, 0
                                        ; implicit-def: $sgpr6
	s_and_saveexec_b32 s22, s0
	s_cbranch_execz .LBB38_73
; %bb.66:
	ds_load_2addr_b64 v[26:29], v103 offset0:9 offset1:10
	v_cmp_ne_u64_e64 s0, v[56:57], v[58:59]
	v_cmp_ne_u64_e64 s4, v[54:55], v[56:57]
	v_dual_add_nc_u32 v19, 10, v107 :: v_dual_mov_b32 v91, 0
	v_cmp_ne_u64_e64 s1, v[48:49], v[50:51]
	v_mov_b64_e32 v[34:35], 0
	v_mov_b64_e32 v[32:33], 0
	v_cndmask_b32_e64 v18, 0, 1, s0
	v_cmp_ne_u64_e64 s0, v[58:59], v[48:49]
	v_cndmask_b32_e64 v37, 0, 1, s4
	v_cmp_gt_u32_e64 s4, s39, v19
	v_mov_b64_e32 v[30:31], 0
	v_lshlrev_b16 v36, 8, v18
	v_mov_b64_e32 v[18:19], 0
	v_mov_b64_e32 v[84:85], 0
	v_dual_mov_b32 v92, 0 :: v_dual_mov_b32 v93, 0
	s_mov_b32 s40, 0
                                        ; implicit-def: $sgpr6
	s_and_saveexec_b32 s23, s4
	s_cbranch_execz .LBB38_72
; %bb.67:
	v_cndmask_b32_e64 v18, 0, 1, s1
	v_cndmask_b32_e64 v19, 0, 1, s0
	v_mov_b64_e32 v[30:31], 0
	s_mov_b32 s4, 0
	s_mov_b32 s1, exec_lo
	v_lshlrev_b16 v18, 8, v18
                                        ; implicit-def: $sgpr6
	v_dual_add_nc_u32 v20, 11, v107 :: v_dual_mov_b32 v92, 0
	s_delay_alu instid0(VALU_DEP_2) | instskip(SKIP_1) | instid1(VALU_DEP_2)
	v_dual_mov_b32 v93, 0 :: v_dual_bitop2_b32 v34, v19, v18 bitop3:0x54
	v_and_b32_e32 v18, 0xffff, v36
	v_lshlrev_b32_e32 v35, 16, v34
	s_delay_alu instid0(VALU_DEP_1) | instskip(SKIP_1) | instid1(VALU_DEP_2)
	v_or_b32_e32 v21, v18, v35
	v_mov_b64_e32 v[18:19], 0
	v_lshrrev_b32_e32 v91, 8, v21
	v_cmpx_gt_u32_e64 s39, v20
	s_cbranch_execz .LBB38_71
; %bb.68:
	ds_load_2addr_b64 v[30:33], v103 offset0:11 offset1:12
	v_mov_b64_e32 v[18:19], 0
	v_dual_mov_b32 v93, 0 :: v_dual_add_nc_u32 v20, 12, v107
	s_mov_b32 s40, exec_lo
                                        ; implicit-def: $sgpr6
	s_delay_alu instid0(VALU_DEP_1)
	v_cmpx_gt_u32_e64 s39, v20
	s_xor_b32 s40, exec_lo, s40
	s_cbranch_execz .LBB38_70
; %bb.69:
	ds_load_b64 v[20:21], v103 offset:104
	v_add_nc_u32_e32 v18, 13, v107
	v_cmp_ne_u64_e64 s6, v[50:51], v[86:87]
	v_lshrrev_b32_e32 v93, 24, v35
	s_delay_alu instid0(VALU_DEP_3)
	v_cmp_gt_u32_e64 s0, s39, v18
	s_wait_dscnt 0x1
	v_mov_b64_e32 v[18:19], v[32:33]
	s_and_b32 s4, s0, exec_lo
.LBB38_70:
	s_or_b32 exec_lo, exec_lo, s40
	v_mov_b32_e32 v92, v34
	s_and_b32 s4, s4, exec_lo
.LBB38_71:
	s_or_b32 exec_lo, exec_lo, s1
	s_wait_dscnt 0x0
	v_mov_b64_e32 v[34:35], v[30:31]
	v_mov_b64_e32 v[32:33], v[28:29]
	;; [unrolled: 1-line block ×3, first 2 shown]
	s_and_b32 s40, s4, exec_lo
.LBB38_72:
	s_or_b32 exec_lo, exec_lo, s23
	s_wait_dscnt 0x0
	v_mov_b64_e32 v[38:39], v[26:27]
	v_or_b32_e32 v94, v37, v36
	s_and_b32 s1, s40, exec_lo
.LBB38_73:
	s_or_b32 exec_lo, exec_lo, s22
	s_wait_dscnt 0x0
	v_mov_b64_e32 v[36:37], v[24:25]
	v_mov_b64_e32 v[28:29], v[24:25]
	v_lshrrev_b32_e32 v95, 24, v41
	s_and_b32 s1, s1, exec_lo
.LBB38_74:
	s_or_b32 exec_lo, exec_lo, s15
	s_wait_dscnt 0x0
	v_mov_b64_e32 v[42:43], v[22:23]
	v_dual_mov_b32 v96, v40 :: v_dual_mov_b32 v98, v95
	s_and_b32 s1, s1, exec_lo
.LBB38_75:
	s_or_b32 exec_lo, exec_lo, s14
	s_wait_dscnt 0x0
	v_mov_b64_e32 v[40:41], v[16:17]
	v_mov_b64_e32 v[24:25], v[16:17]
	v_dual_mov_b32 v100, v90 :: v_dual_mov_b32 v99, v96
	s_and_b32 s14, s1, exec_lo
.LBB38_76:
	s_or_b32 exec_lo, exec_lo, s13
	s_wait_dscnt 0x0
	v_mov_b64_e32 v[46:47], v[14:15]
	v_or_b32_e32 v97, v45, v44
	s_and_b32 s1, s14, exec_lo
.LBB38_77:
	s_or_b32 exec_lo, exec_lo, s12
	s_delay_alu instid0(VALU_DEP_1)
	v_dual_mov_b32 v102, v97 :: v_dual_lshrrev_b32 v101, 24, v60
	s_wait_dscnt 0x0
	v_mov_b64_e32 v[44:45], v[12:13]
	v_mov_b64_e32 v[16:17], v[12:13]
	s_and_b32 s1, s1, exec_lo
	v_mov_b32_e32 v105, v101
.LBB38_78:
	s_or_b32 exec_lo, exec_lo, s11
	s_wait_dscnt 0x0
	v_mov_b64_e32 v[62:63], v[10:11]
	v_dual_mov_b32 v104, v5 :: v_dual_mov_b32 v106, v5
	s_and_b32 s1, s1, exec_lo
.LBB38_79:
	s_or_b32 exec_lo, exec_lo, s10
	s_wait_dscnt 0x0
	v_mov_b64_e32 v[60:61], v[8:9]
	v_mov_b64_e32 v[12:13], v[8:9]
	v_mov_b32_e32 v109, v89
	s_and_b32 s10, s1, exec_lo
.LBB38_80:
	s_or_b32 exec_lo, exec_lo, s9
	v_or_b32_e32 v108, v4, v1
	s_wait_dscnt 0x0
	v_mov_b64_e32 v[4:5], v[6:7]
	s_and_b32 s1, s10, exec_lo
	s_delay_alu instid0(VALU_DEP_2)
	v_mov_b32_e32 v88, v108
.LBB38_81:
	s_or_b32 exec_lo, exec_lo, s8
	v_cndmask_b32_e64 v110, 0, 1, vcc_lo
	s_and_b32 s55, s1, exec_lo
	s_delay_alu instid0(VALU_DEP_1)
	v_mov_b32_e32 v1, v110
.LBB38_82:
	s_or_b32 exec_lo, exec_lo, s7
	v_lshlrev_b32_e32 v64, 3, v0
	s_and_b32 vcc_lo, exec_lo, s5
	s_cbranch_vccz .LBB38_104
.LBB38_83:
	s_wait_dscnt 0x0
	s_clause 0xd
	flat_load_b64 v[2:3], v0, s[18:19] scale_offset
	flat_load_b64 v[4:5], v0, s[18:19] offset:2048 scale_offset
	flat_load_b64 v[6:7], v0, s[18:19] offset:4096 scale_offset
	;; [unrolled: 1-line block ×13, first 2 shown]
	v_mad_u32_u24 v48, 0x68, v0, v64
	v_mov_b32_e32 v1, 0
	s_cmp_eq_u64 s[20:21], 0
	s_wait_loadcnt_dscnt 0xc0c
	ds_store_2addr_stride64_b64 v64, v[2:3], v[4:5] offset1:4
	s_wait_loadcnt_dscnt 0xa0b
	ds_store_2addr_stride64_b64 v64, v[6:7], v[8:9] offset0:8 offset1:12
	s_wait_loadcnt_dscnt 0x80a
	ds_store_2addr_stride64_b64 v64, v[10:11], v[12:13] offset0:16 offset1:20
	;; [unrolled: 2-line block ×6, first 2 shown]
	s_wait_dscnt 0x0
	s_barrier_signal -1
	s_barrier_wait -1
	ds_load_b128 v[6:9], v48 offset:16
	ds_load_2addr_b64 v[10:13], v48 offset0:3 offset1:4
	ds_load_b128 v[2:5], v48
	ds_load_2addr_b64 v[14:17], v48 offset0:1 offset1:2
	ds_load_2addr_b64 v[18:21], v48 offset0:7 offset1:8
	;; [unrolled: 1-line block ×5, first 2 shown]
	ds_load_b64 v[34:35], v48 offset:104
	s_cbranch_scc1 .LBB38_101
; %bb.84:
	s_and_not1_b32 vcc_lo, exec_lo, s38
	s_cbranch_vccnz .LBB38_99
; %bb.85:
	s_lshl_b64 s[0:1], s[20:21], 3
	s_delay_alu instid0(SALU_CYCLE_1) | instskip(NEXT) | instid1(SALU_CYCLE_1)
	s_add_nc_u64 s[0:1], s[50:51], s[0:1]
	s_add_nc_u64 s[18:19], s[0:1], -8
	s_mov_b32 s0, 0
	s_branch .LBB38_100
.LBB38_86:
	flat_load_b64 v[2:3], v0, s[16:17] scale_offset
	s_wait_xcnt 0x0
	s_or_b32 exec_lo, exec_lo, s22
                                        ; implicit-def: $vgpr4_vgpr5
	s_and_saveexec_b32 s0, s1
	s_cbranch_execz .LBB38_43
.LBB38_87:
	flat_load_b64 v[4:5], v0, s[16:17] offset:2048 scale_offset
	s_wait_xcnt 0x0
	s_or_b32 exec_lo, exec_lo, s0
                                        ; implicit-def: $vgpr6_vgpr7
	s_and_saveexec_b32 s0, s4
	s_cbranch_execz .LBB38_44
.LBB38_88:
	flat_load_b64 v[6:7], v0, s[16:17] offset:4096 scale_offset
	s_wait_xcnt 0x0
	s_or_b32 exec_lo, exec_lo, s0
                                        ; implicit-def: $vgpr10_vgpr11
	s_and_saveexec_b32 s0, s5
	s_cbranch_execz .LBB38_45
.LBB38_89:
	flat_load_b64 v[10:11], v0, s[16:17] offset:6144 scale_offset
	s_wait_xcnt 0x0
	s_or_b32 exec_lo, exec_lo, s0
                                        ; implicit-def: $vgpr12_vgpr13
	s_and_saveexec_b32 s0, s6
	s_cbranch_execz .LBB38_46
.LBB38_90:
	flat_load_b64 v[12:13], v0, s[16:17] offset:8192 scale_offset
	s_wait_xcnt 0x0
	s_or_b32 exec_lo, exec_lo, s0
                                        ; implicit-def: $vgpr14_vgpr15
	s_and_saveexec_b32 s0, s7
	s_cbranch_execz .LBB38_47
.LBB38_91:
	flat_load_b64 v[14:15], v0, s[16:17] offset:10240 scale_offset
	s_wait_xcnt 0x0
	s_or_b32 exec_lo, exec_lo, s0
                                        ; implicit-def: $vgpr16_vgpr17
	s_and_saveexec_b32 s0, s8
	s_cbranch_execz .LBB38_48
.LBB38_92:
	flat_load_b64 v[16:17], v0, s[16:17] offset:12288 scale_offset
	s_wait_xcnt 0x0
	s_or_b32 exec_lo, exec_lo, s0
                                        ; implicit-def: $vgpr18_vgpr19
	s_and_saveexec_b32 s0, s9
	s_cbranch_execz .LBB38_49
.LBB38_93:
	flat_load_b64 v[18:19], v0, s[16:17] offset:14336 scale_offset
	s_wait_xcnt 0x0
	s_or_b32 exec_lo, exec_lo, s0
                                        ; implicit-def: $vgpr20_vgpr21
	s_and_saveexec_b32 s0, s10
	s_cbranch_execz .LBB38_50
.LBB38_94:
	flat_load_b64 v[20:21], v0, s[16:17] offset:16384 scale_offset
	s_wait_xcnt 0x0
	s_or_b32 exec_lo, exec_lo, s0
                                        ; implicit-def: $vgpr22_vgpr23
	s_and_saveexec_b32 s0, s11
	s_cbranch_execz .LBB38_51
.LBB38_95:
	flat_load_b64 v[22:23], v0, s[16:17] offset:18432 scale_offset
	s_wait_xcnt 0x0
	s_or_b32 exec_lo, exec_lo, s0
                                        ; implicit-def: $vgpr24_vgpr25
	s_and_saveexec_b32 s0, s12
	s_cbranch_execz .LBB38_52
.LBB38_96:
	flat_load_b64 v[24:25], v0, s[16:17] offset:20480 scale_offset
	s_wait_xcnt 0x0
	s_or_b32 exec_lo, exec_lo, s0
                                        ; implicit-def: $vgpr26_vgpr27
	s_and_saveexec_b32 s0, s13
	s_cbranch_execz .LBB38_53
.LBB38_97:
	flat_load_b64 v[26:27], v0, s[16:17] offset:22528 scale_offset
	s_wait_xcnt 0x0
	s_or_b32 exec_lo, exec_lo, s0
                                        ; implicit-def: $vgpr28_vgpr29
	s_and_saveexec_b32 s0, s14
	s_cbranch_execz .LBB38_54
.LBB38_98:
	flat_load_b64 v[28:29], v0, s[16:17] offset:24576 scale_offset
	s_wait_xcnt 0x0
	s_or_b32 exec_lo, exec_lo, s0
                                        ; implicit-def: $vgpr30_vgpr31
	s_and_saveexec_b32 s0, s15
	s_cbranch_execnz .LBB38_55
	s_branch .LBB38_56
.LBB38_99:
	s_add_nc_u64 s[18:19], s[18:19], -8
	s_mov_b32 s0, -1
.LBB38_100:
	s_delay_alu instid0(SALU_CYCLE_1)
	s_and_not1_b32 vcc_lo, exec_lo, s0
.LBB38_101:
	flat_load_b64 v[36:37], v1, s[18:19]
	s_wait_xcnt 0x0
	v_mad_i32_i24 v1, 0xffffff98, v0, v48
	s_wait_dscnt 0x1
	ds_store_b64 v1, v[34:35] offset:28672
	s_wait_loadcnt_dscnt 0x0
	s_barrier_signal -1
	s_barrier_wait -1
	s_and_saveexec_b32 s0, s3
; %bb.102:
	v_mul_i32_i24_e32 v1, 0xffffff98, v0
	s_delay_alu instid0(VALU_DEP_1)
	v_add_nc_u32_e32 v1, v48, v1
	ds_load_b64 v[36:37], v1 offset:28664
; %bb.103:
	s_or_b32 exec_lo, exec_lo, s0
	s_wait_dscnt 0x0
	s_barrier_signal -1
	s_barrier_wait -1
	s_clause 0xd
	flat_load_b64 v[38:39], v0, s[16:17] scale_offset
	flat_load_b64 v[40:41], v0, s[16:17] offset:2048 scale_offset
	flat_load_b64 v[42:43], v0, s[16:17] offset:4096 scale_offset
	flat_load_b64 v[44:45], v0, s[16:17] offset:6144 scale_offset
	flat_load_b64 v[46:47], v0, s[16:17] offset:8192 scale_offset
	flat_load_b64 v[50:51], v0, s[16:17] offset:10240 scale_offset
	flat_load_b64 v[52:53], v0, s[16:17] offset:12288 scale_offset
	flat_load_b64 v[54:55], v0, s[16:17] offset:14336 scale_offset
	flat_load_b64 v[56:57], v0, s[16:17] offset:16384 scale_offset
	flat_load_b64 v[58:59], v0, s[16:17] offset:18432 scale_offset
	flat_load_b64 v[60:61], v0, s[16:17] offset:20480 scale_offset
	flat_load_b64 v[62:63], v0, s[16:17] offset:22528 scale_offset
	flat_load_b64 v[66:67], v0, s[16:17] offset:24576 scale_offset
	flat_load_b64 v[68:69], v0, s[16:17] offset:26624 scale_offset
	v_cmp_ne_u64_e32 vcc_lo, v[30:31], v[32:33]
	v_cmp_ne_u64_e64 s6, v[28:29], v[34:35]
	s_mov_b32 s55, -1
	s_wait_loadcnt_dscnt 0xc0c
	ds_store_2addr_stride64_b64 v64, v[38:39], v[40:41] offset1:4
	s_wait_loadcnt_dscnt 0xa0b
	ds_store_2addr_stride64_b64 v64, v[42:43], v[44:45] offset0:8 offset1:12
	s_wait_loadcnt_dscnt 0x80a
	ds_store_2addr_stride64_b64 v64, v[46:47], v[50:51] offset0:16 offset1:20
	;; [unrolled: 2-line block ×6, first 2 shown]
	v_cndmask_b32_e64 v1, 0, 1, vcc_lo
	v_cmp_ne_u64_e32 vcc_lo, v[20:21], v[30:31]
	s_wait_dscnt 0x0
	s_barrier_signal -1
	s_barrier_wait -1
	v_cndmask_b32_e64 v30, 0, 1, vcc_lo
	v_cmp_ne_u64_e32 vcc_lo, v[26:27], v[28:29]
	v_cndmask_b32_e64 v28, 0, 1, vcc_lo
	v_cmp_ne_u64_e32 vcc_lo, v[32:33], v[26:27]
	;; [unrolled: 2-line block ×8, first 2 shown]
	s_delay_alu instid0(VALU_DEP_2) | instskip(SKIP_3) | instid1(VALU_DEP_3)
	v_lshlrev_b16 v4, 8, v4
	v_cndmask_b32_e64 v5, 0, 1, vcc_lo
	v_cmp_ne_u64_e32 vcc_lo, v[8:9], v[12:13]
	v_lshlrev_b16 v9, 8, v20
	v_or_b32_e32 v108, v5, v4
	v_cndmask_b32_e64 v8, 0, 1, vcc_lo
	v_cmp_ne_u64_e32 vcc_lo, v[6:7], v[10:11]
	v_lshlrev_b16 v7, 8, v27
	s_delay_alu instid0(VALU_DEP_3)
	v_lshlrev_b16 v8, 8, v8
	v_cndmask_b32_e64 v6, 0, 1, vcc_lo
	v_cmp_ne_u64_e32 vcc_lo, v[36:37], v[2:3]
	v_lshlrev_b16 v3, 8, v28
	v_lshlrev_b16 v2, 8, v1
	ds_load_b128 v[36:39], v48 offset:64
	ds_load_b128 v[32:35], v48 offset:80
	v_or_b32_e32 v104, v6, v8
	v_or_b32_e32 v97, v22, v7
	v_or_b32_e32 v96, v18, v9
	v_cndmask_b32_e64 v110, 0, 1, vcc_lo
	v_and_b32_e32 v6, 0xffff, v4
	s_delay_alu instid0(VALU_DEP_4) | instskip(NEXT) | instid1(VALU_DEP_4)
	v_dual_mov_b32 v102, v97 :: v_dual_lshlrev_b32 v9, 16, v104
	v_dual_lshlrev_b32 v8, 16, v96 :: v_dual_bitop2_b32 v92, v26, v3 bitop3:0x54
	v_or_b32_e32 v94, v30, v2
	v_and_b32_e32 v2, 0xffff, v2
	s_delay_alu instid0(VALU_DEP_3)
	v_dual_mov_b32 v1, v110 :: v_dual_lshlrev_b32 v3, 16, v92
	ds_load_b128 v[44:47], v48 offset:32
	ds_load_b128 v[40:43], v48 offset:48
	v_and_b32_e32 v7, 0xffff, v7
	v_dual_lshrrev_b32 v101, 24, v9 :: v_dual_bitop2_b32 v6, v6, v9 bitop3:0x54
	v_dual_lshrrev_b32 v93, 24, v3 :: v_dual_bitop2_b32 v10, v2, v3 bitop3:0x54
	ds_load_b128 v[2:5], v48
	ds_load_b128 v[60:63], v48 offset:16
	ds_load_b128 v[18:21], v48 offset:96
	v_dual_lshrrev_b32 v95, 24, v8 :: v_dual_bitop2_b32 v7, v7, v8 bitop3:0x54
	v_lshrrev_b32_e32 v91, 8, v10
	v_lshrrev_b32_e32 v89, 8, v6
	s_wait_dscnt 0x5
	v_mov_b64_e32 v[30:31], v[34:35]
	v_lshrrev_b32_e32 v90, 8, v7
	v_mov_b64_e32 v[84:85], v[32:33]
	v_mov_b64_e32 v[26:27], v[38:39]
	;; [unrolled: 1-line block ×3, first 2 shown]
	v_dual_mov_b32 v99, v96 :: v_dual_mov_b32 v88, v108
	v_mov_b32_e32 v106, v104
	s_wait_dscnt 0x3
	v_mov_b64_e32 v[22:23], v[42:43]
	v_mov_b64_e32 v[24:25], v[40:41]
	;; [unrolled: 1-line block ×4, first 2 shown]
	v_mov_b32_e32 v98, v95
	s_wait_dscnt 0x2
	v_mov_b64_e32 v[6:7], v[4:5]
	s_wait_dscnt 0x1
	v_mov_b64_e32 v[12:13], v[60:61]
	v_mov_b64_e32 v[10:11], v[62:63]
	v_dual_mov_b32 v105, v101 :: v_dual_mov_b32 v100, v90
	v_mov_b32_e32 v109, v89
.LBB38_104:
	v_mov_b64_e32 v[8:9], 0
	v_mov_b32_e32 v65, 0
	s_and_saveexec_b32 s0, s55
	s_cbranch_execz .LBB38_106
; %bb.105:
	v_mov_b64_e32 v[6:7], v[4:5]
	v_mov_b64_e32 v[12:13], v[60:61]
	;; [unrolled: 1-line block ×11, first 2 shown]
	s_wait_dscnt 0x0
	v_mov_b64_e32 v[8:9], v[20:21]
	v_cndmask_b32_e64 v65, 0, 1, s6
	v_dual_mov_b32 v1, v110 :: v_dual_mov_b32 v88, v108
	v_dual_mov_b32 v109, v89 :: v_dual_mov_b32 v106, v104
	;; [unrolled: 1-line block ×4, first 2 shown]
	v_mov_b32_e32 v98, v95
.LBB38_106:
	s_or_b32 exec_lo, exec_lo, s0
	v_dual_lshrrev_b32 v63, 1, v0 :: v_dual_bitop2_b32 v66, 1, v109 bitop3:0x40
	v_and_b32_e32 v62, 1, v102
	s_delay_alu instid0(VALU_DEP_3)
	v_and_b32_e32 v61, 1, v98
	v_and_b32_e32 v60, 1, v92
	;; [unrolled: 1-line block ×6, first 2 shown]
	v_cmp_eq_u32_e64 s15, 1, v66
	v_bitop3_b16 v68, v105, 0xff, v106 bitop3:0xc8
	v_and_b32_e32 v74, 0xff, v98
	v_and_b32_e32 v76, 0xff, v99
	;; [unrolled: 1-line block ×4, first 2 shown]
	v_cmp_eq_u32_e64 s16, 1, v62
	v_bitop3_b16 v69, v99, 0xff, v100 bitop3:0xc8
	v_cmp_eq_u32_e64 s17, 1, v61
	v_and_b32_e32 v71, 0xff, v93
	v_and_b32_e32 v72, 0xff, v92
	;; [unrolled: 1-line block ×4, first 2 shown]
	v_bitop3_b16 v70, v91, 0xff, v94 bitop3:0xc8
	v_cmp_eq_u32_e64 s18, 1, v60
	v_cmp_eq_u16_e64 s0, 0, v65
	v_bitop3_b16 v67, v65, 0xff, v93 bitop3:0xc8
	s_cmp_lg_u32 s54, 0
	s_wait_dscnt 0x0
	v_cmp_gt_u32_e32 vcc_lo, 32, v0
	s_barrier_signal -1
	s_barrier_wait -1
	s_cbranch_scc0 .LBB38_156
; %bb.107:
	v_cmp_eq_u16_e64 s1, 0, v82
	v_cmp_eq_u16_e64 s4, 0, v81
	v_cmp_eq_u16_e64 s5, 0, v80
	v_cmp_eq_u16_e64 s6, 0, v78
	v_cmp_eq_u16_e64 s7, 0, v79
	v_dual_cndmask_b32 v5, 0, v3, s1 :: v_dual_cndmask_b32 v4, 0, v2, s1
	v_cmp_eq_u16_e64 s8, 0, v77
	v_cmp_eq_u16_e64 s9, 0, v76
	;; [unrolled: 1-line block ×4, first 2 shown]
	v_add_nc_u64_e32 v[4:5], v[4:5], v[6:7]
	v_cmp_eq_u16_e64 s12, 0, v73
	v_cmp_eq_u16_e64 s13, 0, v72
	v_cmp_eq_u16_e64 s14, 0, v71
	v_cmp_ne_u16_e64 s21, 0, v70
	v_bitop3_b16 v20, v88, 0xff, v1 bitop3:0xc8
	v_cmp_ne_u16_e64 s20, 0, v69
	v_dual_cndmask_b32 v5, 0, v5, s4 :: v_dual_cndmask_b32 v4, 0, v4, s4
	v_cmp_ne_u16_e64 s22, 0, v67
	v_cmp_ne_u16_e64 s19, 0, v68
	s_or_b32 s18, s21, s18
	v_cmp_ne_u16_e64 s23, 0, v20
	v_add_nc_u64_e32 v[4:5], v[4:5], v[12:13]
	s_or_b32 s17, s20, s17
	s_or_b32 s18, s22, s18
	;; [unrolled: 1-line block ×4, first 2 shown]
	v_and_b32_e32 v21, 0x70, v63
	s_or_b32 s15, s23, s15
	v_dual_cndmask_b32 v5, 0, v5, s5 :: v_dual_cndmask_b32 v4, 0, v4, s5
	s_or_b32 s16, s17, s16
	s_delay_alu instid0(VALU_DEP_2) | instskip(SKIP_1) | instid1(VALU_DEP_2)
	v_lshl_add_u32 v20, v0, 4, v21
	s_or_b32 s18, s16, s15
	v_add_nc_u64_e32 v[4:5], v[4:5], v[10:11]
	v_cndmask_b32_e64 v35, 0, 1, s18
	s_delay_alu instid0(VALU_DEP_2) | instskip(NEXT) | instid1(VALU_DEP_1)
	v_dual_cndmask_b32 v5, 0, v5, s6 :: v_dual_cndmask_b32 v4, 0, v4, s6
	v_add_nc_u64_e32 v[4:5], v[4:5], v[16:17]
	s_delay_alu instid0(VALU_DEP_1) | instskip(NEXT) | instid1(VALU_DEP_1)
	v_dual_cndmask_b32 v5, 0, v5, s7 :: v_dual_cndmask_b32 v4, 0, v4, s7
	v_add_nc_u64_e32 v[4:5], v[4:5], v[14:15]
	s_delay_alu instid0(VALU_DEP_1) | instskip(NEXT) | instid1(VALU_DEP_1)
	;; [unrolled: 3-line block ×9, first 2 shown]
	v_dual_cndmask_b32 v5, 0, v5, s0 :: v_dual_cndmask_b32 v4, 0, v4, s0
	v_add_nc_u64_e32 v[4:5], v[4:5], v[8:9]
	ds_store_b64 v20, v[4:5]
	ds_store_b8 v20, v35 offset:8
	s_wait_dscnt 0x0
	s_barrier_signal -1
	s_barrier_wait -1
	s_and_saveexec_b32 s19, vcc_lo
	s_cbranch_execz .LBB38_119
; %bb.108:
	v_dual_lshlrev_b32 v20, 2, v0 :: v_dual_lshlrev_b32 v21, 7, v0
	s_delay_alu instid0(VALU_DEP_1) | instskip(NEXT) | instid1(VALU_DEP_1)
	v_and_b32_e32 v20, 0x3f0, v20
	v_add_nc_u32_e32 v34, v20, v21
	ds_load_u8 v37, v34 offset:24
	ds_load_b64 v[20:21], v34
	ds_load_2addr_b64 v[38:41], v34 offset0:2 offset1:4
	ds_load_u8 v46, v34 offset:40
	ds_load_b32 v36, v34 offset:8
	ds_load_u8 v47, v34 offset:56
	ds_load_u8 v48, v34 offset:72
	;; [unrolled: 1-line block ×4, first 2 shown]
	s_wait_dscnt 0x8
	v_cmp_eq_u16_e64 s15, 0, v37
	s_wait_dscnt 0x7
	s_delay_alu instid0(VALU_DEP_1)
	v_dual_cndmask_b32 v33, 0, v21, s15 :: v_dual_cndmask_b32 v32, 0, v20, s15
	s_wait_dscnt 0x5
	v_cmp_eq_u16_e64 s15, 0, v46
	ds_load_2addr_b64 v[42:45], v34 offset0:6 offset1:8
	s_wait_dscnt 0x4
	v_bitop3_b16 v37, v46, v47, v37 bitop3:0xfe
	v_add_nc_u64_e32 v[32:33], v[32:33], v[38:39]
	s_delay_alu instid0(VALU_DEP_1) | instskip(SKIP_1) | instid1(VALU_DEP_2)
	v_dual_cndmask_b32 v33, 0, v33, s15 :: v_dual_cndmask_b32 v32, 0, v32, s15
	v_cmp_eq_u16_e64 s15, 0, v47
	v_add_nc_u64_e32 v[32:33], v[32:33], v[40:41]
	ds_load_2addr_b64 v[38:41], v34 offset0:10 offset1:12
	ds_load_u8 v51, v34 offset:120
	v_dual_cndmask_b32 v33, 0, v33, s15 :: v_dual_cndmask_b32 v32, 0, v32, s15
	s_wait_dscnt 0x5
	v_cmp_eq_u16_e64 s15, 0, v48
	s_wait_dscnt 0x2
	s_delay_alu instid0(VALU_DEP_2) | instskip(SKIP_1) | instid1(VALU_DEP_2)
	v_add_nc_u64_e32 v[32:33], v[32:33], v[42:43]
	v_bitop3_b16 v42, v49, v50, v48 bitop3:0xfe
	v_dual_cndmask_b32 v33, 0, v33, s15 :: v_dual_cndmask_b32 v32, 0, v32, s15
	v_cmp_eq_u16_e64 s15, 0, v49
	s_wait_dscnt 0x0
	s_delay_alu instid0(VALU_DEP_3) | instskip(SKIP_3) | instid1(VALU_DEP_1)
	v_bitop3_b16 v37, v51, v37, v42 bitop3:0xfe
	ds_load_b64 v[42:43], v34 offset:112
	v_cmp_eq_u16_e64 s17, 0, v51
	v_add_nc_u64_e32 v[32:33], v[32:33], v[44:45]
	v_dual_cndmask_b32 v32, 0, v32, s15 :: v_dual_bitop2_b32 v37, 1, v37 bitop3:0x40
	s_delay_alu instid0(VALU_DEP_2) | instskip(SKIP_1) | instid1(VALU_DEP_3)
	v_cndmask_b32_e64 v33, 0, v33, s15
	v_cmp_eq_u16_e64 s15, 0, v50
	v_cmp_eq_u32_e64 s16, 1, v37
	v_and_b32_e32 v37, 0xffffff00, v36
	s_delay_alu instid0(VALU_DEP_4) | instskip(NEXT) | instid1(VALU_DEP_1)
	v_add_nc_u64_e32 v[32:33], v[32:33], v[38:39]
	v_dual_cndmask_b32 v33, 0, v33, s15 :: v_dual_bitop2_b32 v38, 1, v36 bitop3:0x40
	s_delay_alu instid0(VALU_DEP_2) | instskip(NEXT) | instid1(VALU_DEP_2)
	v_cndmask_b32_e64 v32, 0, v32, s15
	v_cmp_eq_u32_e64 s15, 1, v38
	v_mbcnt_lo_u32_b32 v38, -1, 0
	s_delay_alu instid0(VALU_DEP_3) | instskip(SKIP_1) | instid1(SALU_CYCLE_1)
	v_add_nc_u64_e32 v[32:33], v[32:33], v[40:41]
	s_or_b32 s16, s16, s15
	v_cndmask_b32_e64 v40, 0, 1, s16
	v_cndmask_b32_e64 v39, 0, 1, s16
	s_delay_alu instid0(VALU_DEP_3) | instskip(NEXT) | instid1(VALU_DEP_3)
	v_dual_cndmask_b32 v33, 0, v33, s17 :: v_dual_cndmask_b32 v32, 0, v32, s17
	v_or_b32_e32 v41, v37, v40
	v_and_b32_e32 v40, 15, v38
	s_mov_b32 s17, exec_lo
	s_wait_dscnt 0x0
	v_add_nc_u64_e32 v[32:33], v[32:33], v[42:43]
	v_mov_b32_dpp v43, v41 row_shr:1 row_mask:0xf bank_mask:0xf
	s_delay_alu instid0(VALU_DEP_2) | instskip(NEXT) | instid1(VALU_DEP_3)
	v_mov_b32_dpp v42, v32 row_shr:1 row_mask:0xf bank_mask:0xf
	v_mov_b32_dpp v44, v33 row_shr:1 row_mask:0xf bank_mask:0xf
	v_cmpx_ne_u32_e32 0, v40
; %bb.109:
	s_delay_alu instid0(VALU_DEP_4) | instskip(NEXT) | instid1(VALU_DEP_3)
	v_bitop3_b16 v39, v43, v39, 1 bitop3:0xec
	v_cndmask_b32_e64 v43, v44, 0, s16
	v_cndmask_b32_e64 v42, v42, 0, s16
	s_delay_alu instid0(VALU_DEP_3) | instskip(NEXT) | instid1(VALU_DEP_2)
	v_and_b32_e32 v41, 0xffff, v39
	v_add_nc_u64_e32 v[32:33], v[42:43], v[32:33]
	s_delay_alu instid0(VALU_DEP_2)
	v_or_b32_e32 v41, v37, v41
; %bb.110:
	s_or_b32 exec_lo, exec_lo, s17
	s_delay_alu instid0(VALU_DEP_2) | instskip(NEXT) | instid1(VALU_DEP_3)
	v_mov_b32_dpp v42, v32 row_shr:2 row_mask:0xf bank_mask:0xf
	v_mov_b32_dpp v43, v33 row_shr:2 row_mask:0xf bank_mask:0xf
	s_delay_alu instid0(VALU_DEP_3)
	v_mov_b32_dpp v44, v41 row_shr:2 row_mask:0xf bank_mask:0xf
	s_mov_b32 s20, exec_lo
	v_cmpx_lt_u32_e32 1, v40
	s_cbranch_execz .LBB38_112
; %bb.111:
	v_cmp_eq_u16_e64 s15, 0, v39
	v_and_b32_e32 v41, 1, v39
	s_delay_alu instid0(VALU_DEP_2) | instskip(SKIP_1) | instid1(VALU_DEP_3)
	v_dual_cndmask_b32 v43, 0, v43, s15 :: v_dual_bitop2_b32 v44, 1, v44 bitop3:0x40
	v_cndmask_b32_e64 v42, 0, v42, s15
	v_cmp_eq_u32_e64 s16, 1, v41
	s_delay_alu instid0(VALU_DEP_3) | instskip(NEXT) | instid1(VALU_DEP_3)
	v_cmp_eq_u32_e64 s17, 1, v44
	v_add_nc_u64_e32 v[32:33], v[42:43], v[32:33]
	s_or_b32 s15, s16, s17
	s_delay_alu instid0(SALU_CYCLE_1) | instskip(SKIP_1) | instid1(VALU_DEP_2)
	v_cndmask_b32_e64 v41, 0, 1, s15
	v_cndmask_b32_e64 v39, 0, 1, s15
	v_or_b32_e32 v41, v37, v41
.LBB38_112:
	s_or_b32 exec_lo, exec_lo, s20
	s_delay_alu instid0(VALU_DEP_4) | instskip(SKIP_1) | instid1(VALU_DEP_3)
	v_mov_b32_dpp v42, v32 row_shr:4 row_mask:0xf bank_mask:0xf
	v_mov_b32_dpp v43, v33 row_shr:4 row_mask:0xf bank_mask:0xf
	;; [unrolled: 1-line block ×3, first 2 shown]
	s_mov_b32 s20, exec_lo
	v_cmpx_lt_u32_e32 3, v40
	s_cbranch_execz .LBB38_114
; %bb.113:
	v_cmp_eq_u16_e64 s15, 0, v39
	v_and_b32_e32 v41, 1, v39
	s_delay_alu instid0(VALU_DEP_2) | instskip(SKIP_1) | instid1(VALU_DEP_3)
	v_dual_cndmask_b32 v43, 0, v43, s15 :: v_dual_bitop2_b32 v44, 1, v44 bitop3:0x40
	v_cndmask_b32_e64 v42, 0, v42, s15
	v_cmp_eq_u32_e64 s16, 1, v41
	s_delay_alu instid0(VALU_DEP_3) | instskip(NEXT) | instid1(VALU_DEP_3)
	v_cmp_eq_u32_e64 s17, 1, v44
	v_add_nc_u64_e32 v[32:33], v[42:43], v[32:33]
	s_or_b32 s15, s16, s17
	s_delay_alu instid0(SALU_CYCLE_1) | instskip(SKIP_1) | instid1(VALU_DEP_2)
	v_cndmask_b32_e64 v41, 0, 1, s15
	v_cndmask_b32_e64 v39, 0, 1, s15
	v_or_b32_e32 v41, v37, v41
.LBB38_114:
	s_or_b32 exec_lo, exec_lo, s20
	s_delay_alu instid0(VALU_DEP_4) | instskip(SKIP_1) | instid1(VALU_DEP_3)
	v_mov_b32_dpp v42, v32 row_shr:8 row_mask:0xf bank_mask:0xf
	v_mov_b32_dpp v43, v33 row_shr:8 row_mask:0xf bank_mask:0xf
	;; [unrolled: 1-line block ×3, first 2 shown]
	s_mov_b32 s20, exec_lo
	v_cmpx_lt_u32_e32 7, v40
	s_cbranch_execz .LBB38_116
; %bb.115:
	v_and_b32_e32 v40, 1, v39
	v_cmp_eq_u16_e64 s15, 0, v39
	v_and_b32_e32 v41, 1, v44
	s_delay_alu instid0(VALU_DEP_3) | instskip(NEXT) | instid1(VALU_DEP_3)
	v_cmp_eq_u32_e64 s16, 1, v40
	v_cndmask_b32_e64 v40, 0, v42, s15
	s_delay_alu instid0(VALU_DEP_3) | instskip(SKIP_2) | instid1(VALU_DEP_1)
	v_cmp_eq_u32_e64 s17, 1, v41
	v_cndmask_b32_e64 v41, 0, v43, s15
	s_or_b32 s15, s16, s17
	v_add_nc_u64_e32 v[32:33], v[40:41], v[32:33]
	v_cndmask_b32_e64 v42, 0, 1, s15
	v_cndmask_b32_e64 v39, 0, 1, s15
	s_delay_alu instid0(VALU_DEP_2)
	v_or_b32_e32 v41, v37, v42
.LBB38_116:
	s_or_b32 exec_lo, exec_lo, s20
	ds_swizzle_b32 v40, v32 offset:swizzle(BROADCAST,32,15)
	ds_swizzle_b32 v42, v33 offset:swizzle(BROADCAST,32,15)
	;; [unrolled: 1-line block ×3, first 2 shown]
	v_and_b32_e32 v43, 16, v38
	s_mov_b32 s17, exec_lo
	s_delay_alu instid0(VALU_DEP_1)
	v_cmpx_ne_u32_e32 0, v43
	s_cbranch_execz .LBB38_118
; %bb.117:
	v_cmp_eq_u16_e64 s15, 0, v39
	v_and_b32_e32 v39, 1, v39
	s_wait_dscnt 0x0
	s_delay_alu instid0(VALU_DEP_2) | instskip(SKIP_1) | instid1(VALU_DEP_3)
	v_dual_cndmask_b32 v40, 0, v40, s15 :: v_dual_bitop2_b32 v43, 1, v41 bitop3:0x40
	v_cndmask_b32_e64 v41, 0, v42, s15
	v_cmp_eq_u32_e64 s15, 1, v39
	s_delay_alu instid0(VALU_DEP_3) | instskip(NEXT) | instid1(VALU_DEP_3)
	v_cmp_eq_u32_e64 s16, 1, v43
	v_add_nc_u64_e32 v[32:33], v[40:41], v[32:33]
	s_or_b32 s15, s15, s16
	s_delay_alu instid0(SALU_CYCLE_1)
	v_cndmask_b32_e64 v39, 0, 1, s15
.LBB38_118:
	s_or_b32 exec_lo, exec_lo, s17
	s_wait_dscnt 0x2
	v_add_nc_u32_e32 v40, -1, v38
	s_delay_alu instid0(VALU_DEP_2) | instskip(NEXT) | instid1(VALU_DEP_2)
	v_and_b32_e32 v39, 0xffff, v39
	; wave barrier
	v_cmp_gt_i32_e64 s15, 0, v40
	s_delay_alu instid0(VALU_DEP_1) | instskip(NEXT) | instid1(VALU_DEP_1)
	v_dual_cndmask_b32 v38, v40, v38, s15 :: v_dual_bitop2_b32 v37, v37, v39 bitop3:0x54
	v_lshlrev_b32_e32 v38, 2, v38
	ds_bpermute_b32 v33, v38, v33
	ds_bpermute_b32 v32, v38, v32
	;; [unrolled: 1-line block ×3, first 2 shown]
	v_and_b32_e32 v38, 0xff, v36
	s_delay_alu instid0(VALU_DEP_1) | instskip(SKIP_1) | instid1(VALU_DEP_1)
	v_cmp_eq_u32_e64 s15, 0, v38
	s_wait_dscnt 0x1
	v_dual_cndmask_b32 v33, 0, v33, s15 :: v_dual_cndmask_b32 v32, 0, v32, s15
	s_wait_dscnt 0x0
	v_or_b32_e32 v36, v37, v36
	s_delay_alu instid0(VALU_DEP_2) | instskip(NEXT) | instid1(VALU_DEP_1)
	v_add_nc_u64_e32 v[20:21], v[32:33], v[20:21]
	v_dual_cndmask_b32 v21, v21, v5, s2 :: v_dual_bitop2_b32 v32, 1, v36 bitop3:0x40
	s_delay_alu instid0(VALU_DEP_2) | instskip(NEXT) | instid1(VALU_DEP_2)
	v_cndmask_b32_e64 v20, v20, v4, s2
	v_cndmask_b32_e64 v35, v32, v35, s2
	ds_store_b64 v34, v[20:21]
	ds_store_b8 v34, v35 offset:8
	; wave barrier
	ds_load_u8 v48, v34 offset:24
	ds_load_2addr_b64 v[36:39], v34 offset0:2 offset1:4
	ds_load_u8 v49, v34 offset:40
	ds_load_u8 v50, v34 offset:56
	;; [unrolled: 1-line block ×5, first 2 shown]
	ds_load_b64 v[32:33], v34 offset:112
	ds_load_u8 v54, v34 offset:120
	s_wait_dscnt 0x8
	v_and_b32_e32 v40, 0xff, v48
	v_bitop3_b16 v56, v48, 1, v35 bitop3:0xc8
	s_wait_dscnt 0x5
	v_and_b32_e32 v46, 0xff, v50
	s_delay_alu instid0(VALU_DEP_3) | instskip(SKIP_3) | instid1(VALU_DEP_3)
	v_cmp_eq_u16_e64 s15, 0, v40
	v_and_b32_e32 v40, 0xff, v49
	s_wait_dscnt 0x3
	v_and_b32_e32 v55, 0xff, v52
	v_dual_cndmask_b32 v21, 0, v21, s15 :: v_dual_cndmask_b32 v20, 0, v20, s15
	s_delay_alu instid0(VALU_DEP_3) | instskip(SKIP_2) | instid1(VALU_DEP_1)
	v_cmp_eq_u16_e64 s15, 0, v40
	ds_load_2addr_b64 v[40:43], v34 offset0:6 offset1:8
	v_add_nc_u64_e32 v[20:21], v[20:21], v[36:37]
	v_dual_cndmask_b32 v37, 0, v21, s15 :: v_dual_cndmask_b32 v36, 0, v20, s15
	v_cmp_eq_u16_e64 s15, 0, v46
	s_delay_alu instid0(VALU_DEP_2) | instskip(SKIP_1) | instid1(VALU_DEP_2)
	v_add_nc_u64_e32 v[44:45], v[36:37], v[38:39]
	v_and_b32_e32 v38, 0xff, v51
	v_dual_cndmask_b32 v37, 0, v45, s15 :: v_dual_cndmask_b32 v36, 0, v44, s15
	s_delay_alu instid0(VALU_DEP_2) | instskip(SKIP_1) | instid1(VALU_DEP_2)
	v_cmp_eq_u16_e64 s15, 0, v38
	s_wait_dscnt 0x0
	v_add_nc_u64_e32 v[40:41], v[36:37], v[40:41]
	ds_load_2addr_b64 v[36:39], v34 offset0:10 offset1:12
	v_dual_cndmask_b32 v47, 0, v41, s15 :: v_dual_cndmask_b32 v46, 0, v40, s15
	v_cmp_eq_u16_e64 s15, 0, v55
	v_and_b32_e32 v55, 0xff, v53
	s_delay_alu instid0(VALU_DEP_3) | instskip(NEXT) | instid1(VALU_DEP_1)
	v_add_nc_u64_e32 v[42:43], v[46:47], v[42:43]
	v_dual_cndmask_b32 v47, 0, v43, s15 :: v_dual_cndmask_b32 v46, 0, v42, s15
	s_delay_alu instid0(VALU_DEP_3) | instskip(SKIP_4) | instid1(VALU_DEP_3)
	v_cmp_eq_u16_e64 s15, 0, v55
	v_or_b32_e32 v55, v48, v35
	v_bitop3_b16 v35, v49, v48, v35 bitop3:0xfe
	s_wait_dscnt 0x0
	v_add_nc_u64_e32 v[36:37], v[46:47], v[36:37]
	v_bitop3_b16 v48, v50, v49, v55 bitop3:0xfe
	v_bitop3_b16 v49, v49, 1, v55 bitop3:0xc8
	;; [unrolled: 1-line block ×4, first 2 shown]
	v_dual_cndmask_b32 v47, 0, v37, s15 :: v_dual_cndmask_b32 v46, 0, v36, s15
	v_cmp_eq_u16_e64 s15, 0, v54
	s_delay_alu instid0(VALU_DEP_3) | instskip(SKIP_1) | instid1(VALU_DEP_4)
	v_bitop3_b16 v50, v53, v52, v35 bitop3:0xfe
	v_bitop3_b16 v35, v52, 1, v35 bitop3:0xc8
	v_add_nc_u64_e32 v[38:39], v[46:47], v[38:39]
	v_bitop3_b16 v46, v52, v51, v48 bitop3:0xfe
	v_bitop3_b16 v48, v51, 1, v48 bitop3:0xc8
	ds_store_2addr_b64 v34, v[20:21], v[44:45] offset0:2 offset1:4
	ds_store_2addr_b64 v34, v[40:41], v[42:43] offset0:6 offset1:8
	;; [unrolled: 1-line block ×3, first 2 shown]
	v_bitop3_b16 v51, v53, 1, v46 bitop3:0xc8
	v_dual_cndmask_b32 v47, 0, v39, s15 :: v_dual_cndmask_b32 v46, 0, v38, s15
	v_bitop3_b16 v50, v54, 1, v50 bitop3:0xc8
	s_delay_alu instid0(VALU_DEP_2)
	v_add_nc_u64_e32 v[20:21], v[46:47], v[32:33]
	ds_store_b8 v34, v56 offset:24
	ds_store_b8 v34, v49 offset:40
	;; [unrolled: 1-line block ×6, first 2 shown]
	ds_store_b64 v34, v[20:21] offset:112
	ds_store_b8 v34, v50 offset:120
.LBB38_119:
	s_or_b32 exec_lo, exec_lo, s19
	s_wait_dscnt 0x0
	s_barrier_signal -1
	s_barrier_wait -1
	s_and_saveexec_b32 s16, s3
	s_cbranch_execz .LBB38_121
; %bb.120:
	v_add_nc_u32_e32 v4, -1, v0
	s_and_not1_b32 s17, s18, exec_lo
	s_delay_alu instid0(VALU_DEP_1) | instskip(NEXT) | instid1(VALU_DEP_1)
	v_lshrrev_b32_e32 v5, 1, v4
	v_and_b32_e32 v5, 0x7ffffff0, v5
	s_delay_alu instid0(VALU_DEP_1) | instskip(SKIP_4) | instid1(VALU_DEP_1)
	v_lshl_add_u32 v4, v4, 4, v5
	ds_load_u8 v20, v4 offset:8
	ds_load_b64 v[4:5], v4
	s_wait_dscnt 0x1
	v_and_b32_e32 v20, 1, v20
	v_cmp_eq_u32_e64 s15, 1, v20
	s_and_b32 s15, s15, exec_lo
	s_delay_alu instid0(SALU_CYCLE_1)
	s_or_b32 s18, s17, s15
.LBB38_121:
	s_or_b32 exec_lo, exec_lo, s16
	s_and_saveexec_b32 s19, vcc_lo
	s_cbranch_execz .LBB38_209
; %bb.122:
	v_mov_b32_e32 v35, 0
	v_mbcnt_lo_u32_b32 v39, -1, 0
	s_mov_b32 s17, 0
	ds_load_b64 v[20:21], v35 offset:4192
	ds_load_u8 v38, v35 offset:4200
	v_cmp_eq_u32_e64 s15, 0, v39
	s_and_saveexec_b32 s20, s15
	s_cbranch_execz .LBB38_124
; %bb.123:
	s_add_co_i32 s16, s54, 32
	s_delay_alu instid0(SALU_CYCLE_1) | instskip(SKIP_1) | instid1(SALU_CYCLE_1)
	v_dual_mov_b32 v32, 1 :: v_dual_mov_b32 v33, s16
	s_lshl_b64 s[22:23], s[16:17], 4
	s_add_nc_u64 s[16:17], s[24:25], s[22:23]
	s_wait_dscnt 0x1
	global_store_b64 v35, v[20:21], s[16:17]
	s_wait_dscnt 0x0
	global_store_b8 v35, v38, s[16:17] offset:8
	global_wb scope:SCOPE_DEV
	s_wait_storecnt 0x0
	global_inv scope:SCOPE_DEV
	s_wait_xcnt 0x0
	global_store_b8 v33, v32, s[28:29] scope:SCOPE_DEV
.LBB38_124:
	s_wait_xcnt 0x0
	s_or_b32 exec_lo, exec_lo, s20
	v_xad_u32 v32, v39, -1, s54
	s_mov_b32 s16, exec_lo
	s_delay_alu instid0(VALU_DEP_1)
	v_add_nc_u32_e32 v34, 32, v32
	global_load_u8 v40, v34, s[28:29] scope:SCOPE_DEV
	s_wait_loadcnt 0x0
	v_cmpx_eq_u16_e32 0, v40
	s_cbranch_execz .LBB38_128
; %bb.125:
	v_add_nc_u64_e32 v[36:37], s[28:29], v[34:35]
	s_mov_b32 s17, 0
.LBB38_126:                             ; =>This Inner Loop Header: Depth=1
	global_load_u8 v40, v[36:37], off scope:SCOPE_DEV
	s_wait_loadcnt 0x0
	v_cmp_ne_u16_e32 vcc_lo, 0, v40
	s_or_b32 s17, vcc_lo, s17
	s_wait_xcnt 0x0
	s_and_not1_b32 exec_lo, exec_lo, s17
	s_cbranch_execnz .LBB38_126
; %bb.127:
	s_or_b32 exec_lo, exec_lo, s17
.LBB38_128:
	s_delay_alu instid0(SALU_CYCLE_1)
	s_or_b32 exec_lo, exec_lo, s16
	v_dual_mov_b32 v33, s25 :: v_dual_mov_b32 v36, s24
	v_cmp_eq_u16_e32 vcc_lo, 1, v40
	global_wb scope:SCOPE_DEV
	s_wait_storecnt_dscnt 0x0
	global_inv scope:SCOPE_DEV
	v_lshlrev_b32_e64 v42, v39, -1
	s_mov_b32 s16, exec_lo
	v_cndmask_b32_e32 v37, s27, v33, vcc_lo
	v_cndmask_b32_e32 v36, s26, v36, vcc_lo
	v_cmp_ne_u32_e32 vcc_lo, 31, v39
	v_add_co_ci_u32_e64 v33, null, 0, v39, vcc_lo
	v_cmp_eq_u16_e32 vcc_lo, 2, v40
	s_delay_alu instid0(VALU_DEP_2)
	v_lshlrev_b32_e32 v41, 2, v33
	v_lshl_add_u64 v[34:35], v[34:35], 4, v[36:37]
	s_clause 0x1
	global_load_u8 v52, v[34:35], off offset:8
	global_load_b64 v[36:37], v[34:35], off
	v_and_or_b32 v33, vcc_lo, v42, 0x80000000
	s_delay_alu instid0(VALU_DEP_1)
	v_ctz_i32_b32_e32 v33, v33
	s_wait_loadcnt 0x1
	s_wait_xcnt 0x0
	v_and_b32_e32 v34, 1, v52
	s_wait_loadcnt 0x0
	ds_bpermute_b32 v43, v41, v36
	ds_bpermute_b32 v44, v41, v37
	;; [unrolled: 1-line block ×3, first 2 shown]
	v_cmpx_lt_u32_e64 v39, v33
	s_cbranch_execz .LBB38_130
; %bb.129:
	v_and_b32_e32 v34, 0xff, v52
	s_wait_dscnt 0x0
	v_bitop3_b16 v52, v35, v52, 1 bitop3:0xec
	s_delay_alu instid0(VALU_DEP_2) | instskip(NEXT) | instid1(VALU_DEP_2)
	v_cmp_eq_u16_e32 vcc_lo, 0, v34
	v_and_b32_e32 v34, 0xff, v52
	v_dual_cndmask_b32 v45, 0, v44 :: v_dual_cndmask_b32 v44, 0, v43
	s_delay_alu instid0(VALU_DEP_1)
	v_add_nc_u64_e32 v[36:37], v[44:45], v[36:37]
.LBB38_130:
	s_or_b32 exec_lo, exec_lo, s16
	v_cmp_gt_u32_e32 vcc_lo, 30, v39
	s_wait_dscnt 0x1
	v_add_nc_u32_e32 v44, 2, v39
	s_mov_b32 s17, exec_lo
	s_wait_dscnt 0x0
	v_cndmask_b32_e64 v35, 0, 2, vcc_lo
	s_delay_alu instid0(VALU_DEP_1)
	v_add_lshl_u32 v43, v35, v39, 2
	ds_bpermute_b32 v35, v43, v36
	ds_bpermute_b32 v45, v43, v37
	ds_bpermute_b32 v46, v43, v34
	v_cmpx_le_u32_e64 v44, v33
	s_cbranch_execz .LBB38_132
; %bb.131:
	v_and_b32_e32 v34, 0xff, v52
	s_delay_alu instid0(VALU_DEP_1) | instskip(SKIP_4) | instid1(VALU_DEP_3)
	v_cmp_eq_u16_e32 vcc_lo, 0, v34
	v_and_b32_e32 v48, 1, v52
	s_wait_dscnt 0x0
	v_dual_cndmask_b32 v46, 0, v35, vcc_lo :: v_dual_bitop2_b32 v34, 1, v46 bitop3:0x40
	v_cndmask_b32_e32 v47, 0, v45, vcc_lo
	v_cmp_eq_u32_e64 s16, 1, v48
	s_delay_alu instid0(VALU_DEP_3) | instskip(NEXT) | instid1(VALU_DEP_3)
	v_cmp_eq_u32_e32 vcc_lo, 1, v34
	v_add_nc_u64_e32 v[36:37], v[46:47], v[36:37]
	s_or_b32 s16, s16, vcc_lo
	s_delay_alu instid0(SALU_CYCLE_1)
	v_cndmask_b32_e64 v52, 0, 1, s16
	v_cndmask_b32_e64 v34, 0, 1, s16
.LBB38_132:
	s_or_b32 exec_lo, exec_lo, s17
	v_cmp_gt_u32_e32 vcc_lo, 28, v39
	s_wait_dscnt 0x0
	v_add_nc_u32_e32 v46, 4, v39
	s_mov_b32 s17, exec_lo
	v_cndmask_b32_e64 v35, 0, 4, vcc_lo
	s_delay_alu instid0(VALU_DEP_1)
	v_add_lshl_u32 v45, v35, v39, 2
	ds_bpermute_b32 v35, v45, v36
	ds_bpermute_b32 v47, v45, v37
	;; [unrolled: 1-line block ×3, first 2 shown]
	v_cmpx_le_u32_e64 v46, v33
	s_cbranch_execz .LBB38_134
; %bb.133:
	v_and_b32_e32 v34, 0xff, v52
	s_delay_alu instid0(VALU_DEP_1) | instskip(SKIP_4) | instid1(VALU_DEP_3)
	v_cmp_eq_u16_e32 vcc_lo, 0, v34
	v_and_b32_e32 v50, 1, v52
	s_wait_dscnt 0x0
	v_dual_cndmask_b32 v48, 0, v35, vcc_lo :: v_dual_bitop2_b32 v34, 1, v48 bitop3:0x40
	v_cndmask_b32_e32 v49, 0, v47, vcc_lo
	v_cmp_eq_u32_e64 s16, 1, v50
	s_delay_alu instid0(VALU_DEP_3) | instskip(NEXT) | instid1(VALU_DEP_3)
	v_cmp_eq_u32_e32 vcc_lo, 1, v34
	v_add_nc_u64_e32 v[36:37], v[48:49], v[36:37]
	s_or_b32 s16, s16, vcc_lo
	s_delay_alu instid0(SALU_CYCLE_1)
	v_cndmask_b32_e64 v52, 0, 1, s16
	v_cndmask_b32_e64 v34, 0, 1, s16
.LBB38_134:
	s_or_b32 exec_lo, exec_lo, s17
	v_cmp_gt_u32_e32 vcc_lo, 24, v39
	s_wait_dscnt 0x0
	v_add_nc_u32_e32 v48, 8, v39
	s_mov_b32 s17, exec_lo
	v_cndmask_b32_e64 v35, 0, 8, vcc_lo
	s_delay_alu instid0(VALU_DEP_1)
	v_add_lshl_u32 v47, v35, v39, 2
	ds_bpermute_b32 v35, v47, v36
	ds_bpermute_b32 v49, v47, v37
	ds_bpermute_b32 v50, v47, v34
	v_cmpx_le_u32_e64 v48, v33
	s_cbranch_execz .LBB38_136
; %bb.135:
	v_and_b32_e32 v34, 0xff, v52
	s_delay_alu instid0(VALU_DEP_1) | instskip(SKIP_4) | instid1(VALU_DEP_3)
	v_cmp_eq_u16_e32 vcc_lo, 0, v34
	v_and_b32_e32 v52, 1, v52
	s_wait_dscnt 0x0
	v_dual_cndmask_b32 v50, 0, v35, vcc_lo :: v_dual_bitop2_b32 v34, 1, v50 bitop3:0x40
	v_cndmask_b32_e32 v51, 0, v49, vcc_lo
	v_cmp_eq_u32_e64 s16, 1, v52
	s_delay_alu instid0(VALU_DEP_3) | instskip(NEXT) | instid1(VALU_DEP_3)
	v_cmp_eq_u32_e32 vcc_lo, 1, v34
	v_add_nc_u64_e32 v[36:37], v[50:51], v[36:37]
	s_or_b32 s16, s16, vcc_lo
	s_delay_alu instid0(SALU_CYCLE_1)
	v_cndmask_b32_e64 v52, 0, 1, s16
	v_cndmask_b32_e64 v34, 0, 1, s16
.LBB38_136:
	s_or_b32 exec_lo, exec_lo, s17
	s_wait_dscnt 0x1
	v_lshl_or_b32 v49, v39, 2, 64
	v_add_nc_u32_e32 v51, 16, v39
	s_mov_b32 s17, exec_lo
	ds_bpermute_b32 v35, v49, v36
	s_wait_dscnt 0x1
	ds_bpermute_b32 v50, v49, v37
	ds_bpermute_b32 v34, v49, v34
	v_cmpx_le_u32_e64 v51, v33
	s_cbranch_execz .LBB38_138
; %bb.137:
	v_and_b32_e32 v33, 0xff, v52
	s_delay_alu instid0(VALU_DEP_1) | instskip(SKIP_4) | instid1(VALU_DEP_3)
	v_cmp_eq_u16_e32 vcc_lo, 0, v33
	v_and_b32_e32 v33, 1, v52
	s_wait_dscnt 0x0
	v_dual_cndmask_b32 v52, 0, v35, vcc_lo :: v_dual_bitop2_b32 v34, 1, v34 bitop3:0x40
	v_cndmask_b32_e32 v53, 0, v50, vcc_lo
	v_cmp_eq_u32_e32 vcc_lo, 1, v33
	s_delay_alu instid0(VALU_DEP_3) | instskip(NEXT) | instid1(VALU_DEP_3)
	v_cmp_eq_u32_e64 s16, 1, v34
	v_add_nc_u64_e32 v[36:37], v[52:53], v[36:37]
	s_or_b32 s16, vcc_lo, s16
	s_delay_alu instid0(SALU_CYCLE_1)
	v_cndmask_b32_e64 v52, 0, 1, s16
.LBB38_138:
	s_or_b32 exec_lo, exec_lo, s17
	v_mov_b32_e32 v33, 0
	s_branch .LBB38_141
.LBB38_139:                             ;   in Loop: Header=BB38_141 Depth=1
	s_or_b32 exec_lo, exec_lo, s20
	v_and_b32_e32 v52, 0xff, v50
	v_subrev_nc_u32_e32 v32, 32, v32
	s_delay_alu instid0(VALU_DEP_2) | instskip(SKIP_2) | instid1(VALU_DEP_2)
	v_cmp_eq_u16_e32 vcc_lo, 0, v52
	v_dual_cndmask_b32 v37, 0, v37, vcc_lo :: v_dual_bitop2_b32 v52, 1, v50 bitop3:0x40
	v_cndmask_b32_e32 v36, 0, v36, vcc_lo
	v_cmp_eq_u32_e32 vcc_lo, 1, v52
	s_delay_alu instid0(VALU_DEP_2) | instskip(SKIP_1) | instid1(SALU_CYCLE_1)
	v_add_nc_u64_e32 v[36:37], v[36:37], v[34:35]
	s_or_b32 s16, vcc_lo, s17
	v_cndmask_b32_e64 v52, 0, 1, s16
	s_mov_b32 s16, 0
.LBB38_140:                             ;   in Loop: Header=BB38_141 Depth=1
	s_delay_alu instid0(SALU_CYCLE_1)
	s_and_b32 vcc_lo, exec_lo, s16
	s_cbranch_vccnz .LBB38_205
.LBB38_141:                             ; =>This Loop Header: Depth=1
                                        ;     Child Loop BB38_144 Depth 2
	s_wait_dscnt 0x0
	v_and_b32_e32 v34, 0xff, v40
	v_mov_b32_e32 v50, v52
	s_mov_b32 s16, -1
                                        ; implicit-def: $vgpr52
                                        ; implicit-def: $vgpr40
	s_delay_alu instid0(VALU_DEP_2)
	v_cmp_ne_u16_e32 vcc_lo, 2, v34
	v_mov_b64_e32 v[34:35], v[36:37]
                                        ; implicit-def: $vgpr36_vgpr37
	s_cmp_lg_u32 vcc_lo, exec_lo
	s_cbranch_scc1 .LBB38_140
; %bb.142:                              ;   in Loop: Header=BB38_141 Depth=1
	global_load_u8 v40, v32, s[28:29] scope:SCOPE_DEV
	s_mov_b32 s16, exec_lo
	s_wait_loadcnt 0x0
	v_cmpx_eq_u16_e32 0, v40
	s_cbranch_execz .LBB38_146
; %bb.143:                              ;   in Loop: Header=BB38_141 Depth=1
	v_add_nc_u64_e32 v[36:37], s[28:29], v[32:33]
	s_mov_b32 s17, 0
.LBB38_144:                             ;   Parent Loop BB38_141 Depth=1
                                        ; =>  This Inner Loop Header: Depth=2
	global_load_u8 v40, v[36:37], off scope:SCOPE_DEV
	s_wait_loadcnt 0x0
	v_cmp_ne_u16_e32 vcc_lo, 0, v40
	s_or_b32 s17, vcc_lo, s17
	s_delay_alu instid0(SALU_CYCLE_1)
	s_and_not1_b32 exec_lo, exec_lo, s17
	s_cbranch_execnz .LBB38_144
; %bb.145:                              ;   in Loop: Header=BB38_141 Depth=1
	s_or_b32 exec_lo, exec_lo, s17
.LBB38_146:                             ;   in Loop: Header=BB38_141 Depth=1
	s_delay_alu instid0(SALU_CYCLE_1)
	s_or_b32 exec_lo, exec_lo, s16
	v_dual_mov_b32 v36, s25 :: v_dual_mov_b32 v52, s24
	v_cmp_eq_u16_e32 vcc_lo, 1, v40
	global_wb scope:SCOPE_DEV
	s_wait_storecnt 0x0
	global_inv scope:SCOPE_DEV
	s_mov_b32 s16, exec_lo
	v_cndmask_b32_e32 v37, s27, v36, vcc_lo
	v_cndmask_b32_e32 v36, s26, v52, vcc_lo
	v_cmp_eq_u16_e32 vcc_lo, 2, v40
	s_delay_alu instid0(VALU_DEP_2)
	v_lshl_add_u64 v[54:55], v[32:33], 4, v[36:37]
	v_and_or_b32 v52, vcc_lo, v42, 0x80000000
	s_clause 0x1
	global_load_u8 v53, v[54:55], off offset:8
	global_load_b64 v[36:37], v[54:55], off
	v_ctz_i32_b32_e32 v52, v52
	s_wait_loadcnt 0x1
	s_wait_xcnt 0x0
	v_and_b32_e32 v54, 1, v53
	s_wait_loadcnt 0x0
	ds_bpermute_b32 v56, v41, v36
	ds_bpermute_b32 v57, v41, v37
	;; [unrolled: 1-line block ×3, first 2 shown]
	v_cmpx_lt_u32_e64 v39, v52
	s_cbranch_execz .LBB38_148
; %bb.147:                              ;   in Loop: Header=BB38_141 Depth=1
	v_and_b32_e32 v54, 0xff, v53
	s_wait_dscnt 0x0
	v_bitop3_b16 v53, v55, v53, 1 bitop3:0xec
	s_delay_alu instid0(VALU_DEP_2) | instskip(NEXT) | instid1(VALU_DEP_2)
	v_cmp_eq_u16_e32 vcc_lo, 0, v54
	v_and_b32_e32 v54, 0xff, v53
	v_dual_cndmask_b32 v57, 0, v57 :: v_dual_cndmask_b32 v56, 0, v56
	s_delay_alu instid0(VALU_DEP_1)
	v_add_nc_u64_e32 v[36:37], v[56:57], v[36:37]
.LBB38_148:                             ;   in Loop: Header=BB38_141 Depth=1
	s_or_b32 exec_lo, exec_lo, s16
	s_wait_dscnt 0x0
	ds_bpermute_b32 v55, v43, v36
	ds_bpermute_b32 v56, v43, v37
	;; [unrolled: 1-line block ×3, first 2 shown]
	v_and_b32_e32 v58, 1, v53
	s_mov_b32 s16, exec_lo
	s_delay_alu instid0(VALU_DEP_1)
	v_cmp_eq_u32_e64 s17, 1, v58
	v_cmpx_le_u32_e64 v44, v52
	s_cbranch_execz .LBB38_150
; %bb.149:                              ;   in Loop: Header=BB38_141 Depth=1
	v_and_b32_e32 v53, 0xff, v53
	s_delay_alu instid0(VALU_DEP_1) | instskip(SKIP_3) | instid1(VALU_DEP_2)
	v_cmp_eq_u16_e32 vcc_lo, 0, v53
	s_wait_dscnt 0x0
	v_dual_cndmask_b32 v57, 0, v56, vcc_lo :: v_dual_bitop2_b32 v53, 1, v57 bitop3:0x40
	v_cndmask_b32_e32 v56, 0, v55, vcc_lo
	v_cmp_eq_u32_e32 vcc_lo, 1, v53
	s_delay_alu instid0(VALU_DEP_2)
	v_add_nc_u64_e32 v[36:37], v[56:57], v[36:37]
	s_or_b32 s20, s17, vcc_lo
	s_and_not1_b32 s17, s17, exec_lo
	v_cndmask_b32_e64 v53, 0, 1, s20
	v_cndmask_b32_e64 v54, 0, 1, s20
	s_and_b32 s20, s20, exec_lo
	s_delay_alu instid0(SALU_CYCLE_1)
	s_or_b32 s17, s17, s20
.LBB38_150:                             ;   in Loop: Header=BB38_141 Depth=1
	s_or_b32 exec_lo, exec_lo, s16
	s_wait_dscnt 0x2
	ds_bpermute_b32 v55, v45, v36
	s_wait_dscnt 0x2
	ds_bpermute_b32 v56, v45, v37
	;; [unrolled: 2-line block ×3, first 2 shown]
	s_mov_b32 s20, exec_lo
	v_cmpx_le_u32_e64 v46, v52
	s_cbranch_execz .LBB38_152
; %bb.151:                              ;   in Loop: Header=BB38_141 Depth=1
	v_and_b32_e32 v54, 0xff, v53
	s_and_not1_b32 s17, s17, exec_lo
	s_delay_alu instid0(VALU_DEP_1) | instskip(SKIP_3) | instid1(VALU_DEP_2)
	v_cmp_eq_u16_e32 vcc_lo, 0, v54
	v_and_b32_e32 v53, 1, v53
	s_wait_dscnt 0x0
	v_dual_cndmask_b32 v57, 0, v56, vcc_lo :: v_dual_bitop2_b32 v54, 1, v57 bitop3:0x40
	v_cmp_eq_u32_e64 s16, 1, v53
	v_cndmask_b32_e32 v56, 0, v55, vcc_lo
	s_delay_alu instid0(VALU_DEP_3) | instskip(NEXT) | instid1(VALU_DEP_2)
	v_cmp_eq_u32_e32 vcc_lo, 1, v54
	v_add_nc_u64_e32 v[36:37], v[56:57], v[36:37]
	s_or_b32 s16, s16, vcc_lo
	s_delay_alu instid0(SALU_CYCLE_1) | instskip(SKIP_2) | instid1(SALU_CYCLE_1)
	v_cndmask_b32_e64 v53, 0, 1, s16
	v_cndmask_b32_e64 v54, 0, 1, s16
	s_and_b32 s16, s16, exec_lo
	s_or_b32 s17, s17, s16
.LBB38_152:                             ;   in Loop: Header=BB38_141 Depth=1
	s_or_b32 exec_lo, exec_lo, s20
	s_wait_dscnt 0x2
	ds_bpermute_b32 v55, v47, v36
	s_wait_dscnt 0x2
	ds_bpermute_b32 v56, v47, v37
	;; [unrolled: 2-line block ×3, first 2 shown]
	s_mov_b32 s20, exec_lo
	v_cmpx_le_u32_e64 v48, v52
	s_cbranch_execz .LBB38_154
; %bb.153:                              ;   in Loop: Header=BB38_141 Depth=1
	v_and_b32_e32 v54, 0xff, v53
	s_and_not1_b32 s17, s17, exec_lo
	s_delay_alu instid0(VALU_DEP_1) | instskip(SKIP_3) | instid1(VALU_DEP_2)
	v_cmp_eq_u16_e32 vcc_lo, 0, v54
	v_and_b32_e32 v53, 1, v53
	s_wait_dscnt 0x0
	v_dual_cndmask_b32 v57, 0, v56, vcc_lo :: v_dual_bitop2_b32 v54, 1, v57 bitop3:0x40
	v_cmp_eq_u32_e64 s16, 1, v53
	v_cndmask_b32_e32 v56, 0, v55, vcc_lo
	s_delay_alu instid0(VALU_DEP_3) | instskip(NEXT) | instid1(VALU_DEP_2)
	v_cmp_eq_u32_e32 vcc_lo, 1, v54
	v_add_nc_u64_e32 v[36:37], v[56:57], v[36:37]
	s_or_b32 s16, s16, vcc_lo
	s_delay_alu instid0(SALU_CYCLE_1) | instskip(SKIP_2) | instid1(SALU_CYCLE_1)
	v_cndmask_b32_e64 v53, 0, 1, s16
	v_cndmask_b32_e64 v54, 0, 1, s16
	s_and_b32 s16, s16, exec_lo
	s_or_b32 s17, s17, s16
.LBB38_154:                             ;   in Loop: Header=BB38_141 Depth=1
	s_or_b32 exec_lo, exec_lo, s20
	s_wait_dscnt 0x2
	ds_bpermute_b32 v55, v49, v36
	s_wait_dscnt 0x2
	ds_bpermute_b32 v56, v49, v37
	ds_bpermute_b32 v54, v49, v54
	s_mov_b32 s20, exec_lo
	v_cmpx_le_u32_e64 v51, v52
	s_cbranch_execz .LBB38_139
; %bb.155:                              ;   in Loop: Header=BB38_141 Depth=1
	v_and_b32_e32 v52, 0xff, v53
	s_and_not1_b32 s17, s17, exec_lo
	s_delay_alu instid0(VALU_DEP_1)
	v_cmp_eq_u16_e32 vcc_lo, 0, v52
	s_wait_dscnt 0x3
	v_and_b32_e32 v57, 1, v53
	s_wait_dscnt 0x0
	v_dual_cndmask_b32 v52, 0, v55, vcc_lo :: v_dual_bitop2_b32 v54, 1, v54 bitop3:0x40
	v_cndmask_b32_e32 v53, 0, v56, vcc_lo
	s_delay_alu instid0(VALU_DEP_3) | instskip(NEXT) | instid1(VALU_DEP_3)
	v_cmp_eq_u32_e32 vcc_lo, 1, v57
	v_cmp_eq_u32_e64 s16, 1, v54
	s_delay_alu instid0(VALU_DEP_3) | instskip(SKIP_1) | instid1(SALU_CYCLE_1)
	v_add_nc_u64_e32 v[36:37], v[52:53], v[36:37]
	s_or_b32 s16, vcc_lo, s16
	s_and_b32 s16, s16, exec_lo
	s_delay_alu instid0(SALU_CYCLE_1)
	s_or_b32 s17, s17, s16
	s_branch .LBB38_139
.LBB38_156:
                                        ; implicit-def: $vgpr58_vgpr59
                                        ; implicit-def: $vgpr54_vgpr55
                                        ; implicit-def: $vgpr50_vgpr51
                                        ; implicit-def: $vgpr46_vgpr47
                                        ; implicit-def: $vgpr42_vgpr43
                                        ; implicit-def: $vgpr38_vgpr39
                                        ; implicit-def: $vgpr34_vgpr35
	s_cbranch_execnz .LBB38_210
.LBB38_157:
	s_add_nc_u64 s[0:1], s[42:43], s[34:35]
	s_and_b32 vcc_lo, exec_lo, s31
	s_add_nc_u64 s[0:1], s[0:1], s[36:37]
	s_cbranch_vccz .LBB38_229
.LBB38_158:
	v_mul_u32_u24_e32 v1, 14, v0
	s_add_co_i32 s33, s33, s30
	s_mov_b32 s2, exec_lo
	s_delay_alu instid0(VALU_DEP_1)
	v_cmpx_gt_u32_e64 s33, v1
	s_cbranch_execz .LBB38_178
; %bb.159:
	v_or_b32_e32 v2, 1, v1
	s_mov_b32 s3, exec_lo
	s_delay_alu instid0(VALU_DEP_1)
	v_cmpx_gt_u32_e64 s33, v2
	s_cbranch_execz .LBB38_177
; %bb.160:
	v_add_nc_u32_e32 v2, 2, v1
	s_mov_b32 s4, exec_lo
	s_delay_alu instid0(VALU_DEP_1)
	v_cmpx_gt_u32_e64 s33, v2
	s_cbranch_execz .LBB38_176
; %bb.161:
	v_add_nc_u32_e32 v2, 3, v1
	;; [unrolled: 6-line block ×8, first 2 shown]
	s_mov_b32 s11, exec_lo
	s_delay_alu instid0(VALU_DEP_1)
	v_cmpx_gt_u32_e64 s33, v2
; %bb.168:
	v_add_nc_u32_e32 v2, 10, v1
	s_mov_b32 s12, exec_lo
	s_delay_alu instid0(VALU_DEP_1)
	v_cmpx_gt_u32_e64 s33, v2
	s_or_b32 exec_lo, exec_lo, s12
; %bb.169:
	s_delay_alu instid0(SALU_CYCLE_1)
	s_or_b32 exec_lo, exec_lo, s11
.LBB38_170:
	s_delay_alu instid0(SALU_CYCLE_1)
	s_or_b32 exec_lo, exec_lo, s10
.LBB38_171:
	s_delay_alu instid0(SALU_CYCLE_1)
	s_or_b32 exec_lo, exec_lo, s9
.LBB38_172:
	s_delay_alu instid0(SALU_CYCLE_1)
	s_or_b32 exec_lo, exec_lo, s8
.LBB38_173:
	s_delay_alu instid0(SALU_CYCLE_1)
	s_or_b32 exec_lo, exec_lo, s7
.LBB38_174:
	s_delay_alu instid0(SALU_CYCLE_1)
	s_or_b32 exec_lo, exec_lo, s6
.LBB38_175:
	s_delay_alu instid0(SALU_CYCLE_1)
	s_or_b32 exec_lo, exec_lo, s5
.LBB38_176:
	s_delay_alu instid0(SALU_CYCLE_1)
	s_or_b32 exec_lo, exec_lo, s4
.LBB38_177:
	s_delay_alu instid0(SALU_CYCLE_1)
	s_or_b32 exec_lo, exec_lo, s3
.LBB38_178:
	s_delay_alu instid0(SALU_CYCLE_1)
	s_or_b32 exec_lo, exec_lo, s2
	v_dual_lshlrev_b32 v1, 3, v1 :: v_dual_mov_b32 v65, 0
	s_wait_loadcnt 0x0
	s_wait_storecnt 0x0
	s_barrier_signal -1
	s_barrier_wait -1
	v_mad_i32_i24 v2, 0xffffff98, v0, v1
	ds_store_b128 v1, v[32:35]
	ds_store_b128 v1, v[36:39] offset:16
	ds_store_b128 v1, v[40:43] offset:32
	;; [unrolled: 1-line block ×6, first 2 shown]
	s_wait_dscnt 0x0
	s_barrier_signal -1
	s_barrier_wait -1
	ds_load_2addr_stride64_b64 v[26:29], v2 offset0:4 offset1:8
	ds_load_2addr_stride64_b64 v[22:25], v2 offset0:12 offset1:16
	;; [unrolled: 1-line block ×6, first 2 shown]
	ds_load_b64 v[4:5], v2 offset:26624
	v_add_nc_u64_e32 v[2:3], s[0:1], v[64:65]
	s_mov_b32 s2, exec_lo
	v_cmpx_gt_u32_e64 s33, v0
	s_cbranch_execz .LBB38_180
; %bb.179:
	v_mul_i32_i24_e32 v30, 0xffffff98, v0
	s_delay_alu instid0(VALU_DEP_1)
	v_add_nc_u32_e32 v1, v1, v30
	ds_load_b64 v[30:31], v1
	s_wait_dscnt 0x0
	flat_store_b64 v[2:3], v[30:31]
.LBB38_180:
	s_wait_xcnt 0x0
	s_or_b32 exec_lo, exec_lo, s2
	v_or_b32_e32 v1, 0x100, v0
	s_mov_b32 s2, exec_lo
	s_delay_alu instid0(VALU_DEP_1)
	v_cmpx_gt_u32_e64 s33, v1
	s_cbranch_execz .LBB38_182
; %bb.181:
	s_wait_dscnt 0x6
	flat_store_b64 v[2:3], v[26:27] offset:2048
.LBB38_182:
	s_wait_xcnt 0x0
	s_or_b32 exec_lo, exec_lo, s2
	v_or_b32_e32 v1, 0x200, v0
	s_mov_b32 s2, exec_lo
	s_delay_alu instid0(VALU_DEP_1)
	v_cmpx_gt_u32_e64 s33, v1
	s_cbranch_execz .LBB38_184
; %bb.183:
	s_wait_dscnt 0x6
	flat_store_b64 v[2:3], v[28:29] offset:4096
.LBB38_184:
	;; [unrolled: 11-line block ×12, first 2 shown]
	s_wait_xcnt 0x0
	s_or_b32 exec_lo, exec_lo, s2
	v_or_b32_e32 v1, 0xd00, v0
	s_delay_alu instid0(VALU_DEP_1)
	v_cmp_gt_u32_e64 s2, s33, v1
	s_branch .LBB38_231
.LBB38_205:
	s_and_saveexec_b32 s16, s15
	s_cbranch_execz .LBB38_207
; %bb.206:
	v_and_b32_e32 v32, 0xff, v38
	s_add_co_i32 s20, s54, 32
	s_mov_b32 s21, 0
	v_mov_b32_e32 v37, s20
	v_bitop3_b16 v36, v38, 1, v50 bitop3:0xc8
	v_cmp_eq_u32_e32 vcc_lo, 0, v32
	s_lshl_b64 s[22:23], s[20:21], 4
	s_delay_alu instid0(SALU_CYCLE_1) | instskip(SKIP_1) | instid1(VALU_DEP_1)
	s_add_nc_u64 s[20:21], s[26:27], s[22:23]
	v_dual_cndmask_b32 v33, 0, v35 :: v_dual_cndmask_b32 v32, 0, v34
	v_add_nc_u64_e32 v[20:21], v[32:33], v[20:21]
	v_dual_mov_b32 v32, 0 :: v_dual_mov_b32 v33, 2
	s_clause 0x1
	global_store_b64 v32, v[20:21], s[20:21]
	global_store_b8 v32, v36, s[20:21] offset:8
	global_wb scope:SCOPE_DEV
	s_wait_storecnt_dscnt 0x0
	global_inv scope:SCOPE_DEV
	s_wait_xcnt 0x0
	global_store_b8 v37, v33, s[28:29] scope:SCOPE_DEV
.LBB38_207:
	s_wait_xcnt 0x0
	s_or_b32 exec_lo, exec_lo, s16
	s_delay_alu instid0(SALU_CYCLE_1)
	s_and_b32 exec_lo, exec_lo, s2
	s_cbranch_execz .LBB38_209
; %bb.208:
	v_mov_b32_e32 v20, 0
	ds_store_b64 v20, v[34:35]
	ds_store_b8 v20, v50 offset:8
.LBB38_209:
	s_or_b32 exec_lo, exec_lo, s19
	v_dual_mov_b32 v21, 0 :: v_dual_bitop2_b32 v20, 1, v1 bitop3:0x40
	s_wait_storecnt 0x0
	s_wait_loadcnt_dscnt 0x0
	s_barrier_signal -1
	s_barrier_wait -1
	v_cmp_eq_u32_e32 vcc_lo, 1, v20
	v_and_b32_e32 v32, 0xff, v1
	ds_load_b64 v[20:21], v21
	s_or_b32 s15, vcc_lo, s18
	v_cmp_eq_u16_e32 vcc_lo, 0, v32
	v_cndmask_b32_e64 v33, 0, 1, s15
	v_cndmask_b32_e32 v5, 0, v5, vcc_lo
	s_delay_alu instid0(VALU_DEP_2) | instskip(NEXT) | instid1(VALU_DEP_1)
	v_dual_cndmask_b32 v32, v33, v1, s2 :: v_dual_cndmask_b32 v4, 0, v4, vcc_lo
	v_and_b32_e32 v32, 0xff, v32
	s_delay_alu instid0(VALU_DEP_2) | instskip(NEXT) | instid1(VALU_DEP_2)
	v_cndmask_b32_e64 v4, v4, 0, s2
	v_cmp_eq_u16_e32 vcc_lo, 0, v32
	s_wait_dscnt 0x0
	v_cndmask_b32_e32 v20, 0, v20, vcc_lo
	v_cndmask_b32_e64 v5, v5, 0, s2
	v_cndmask_b32_e32 v21, 0, v21, vcc_lo
	s_delay_alu instid0(VALU_DEP_2) | instskip(NEXT) | instid1(VALU_DEP_1)
	v_add_nc_u64_e32 v[4:5], v[4:5], v[2:3]
	v_add_nc_u64_e32 v[32:33], v[4:5], v[20:21]
	s_delay_alu instid0(VALU_DEP_1) | instskip(NEXT) | instid1(VALU_DEP_1)
	v_dual_cndmask_b32 v5, 0, v33, s1 :: v_dual_cndmask_b32 v4, 0, v32, s1
	v_add_nc_u64_e32 v[34:35], v[4:5], v[6:7]
	s_delay_alu instid0(VALU_DEP_1) | instskip(NEXT) | instid1(VALU_DEP_1)
	v_dual_cndmask_b32 v5, 0, v35, s4 :: v_dual_cndmask_b32 v4, 0, v34, s4
	v_add_nc_u64_e32 v[36:37], v[4:5], v[12:13]
	s_delay_alu instid0(VALU_DEP_1) | instskip(NEXT) | instid1(VALU_DEP_1)
	v_dual_cndmask_b32 v5, 0, v37, s5 :: v_dual_cndmask_b32 v4, 0, v36, s5
	v_add_nc_u64_e32 v[38:39], v[4:5], v[10:11]
	s_delay_alu instid0(VALU_DEP_1) | instskip(NEXT) | instid1(VALU_DEP_1)
	v_dual_cndmask_b32 v5, 0, v39, s6 :: v_dual_cndmask_b32 v4, 0, v38, s6
	v_add_nc_u64_e32 v[40:41], v[4:5], v[16:17]
	s_delay_alu instid0(VALU_DEP_1) | instskip(NEXT) | instid1(VALU_DEP_1)
	v_dual_cndmask_b32 v5, 0, v41, s7 :: v_dual_cndmask_b32 v4, 0, v40, s7
	v_add_nc_u64_e32 v[42:43], v[4:5], v[14:15]
	s_delay_alu instid0(VALU_DEP_1) | instskip(NEXT) | instid1(VALU_DEP_1)
	v_dual_cndmask_b32 v5, 0, v43, s8 :: v_dual_cndmask_b32 v4, 0, v42, s8
	v_add_nc_u64_e32 v[44:45], v[4:5], v[24:25]
	s_delay_alu instid0(VALU_DEP_1) | instskip(NEXT) | instid1(VALU_DEP_1)
	v_dual_cndmask_b32 v5, 0, v45, s9 :: v_dual_cndmask_b32 v4, 0, v44, s9
	v_add_nc_u64_e32 v[46:47], v[4:5], v[22:23]
	s_delay_alu instid0(VALU_DEP_1) | instskip(NEXT) | instid1(VALU_DEP_1)
	v_dual_cndmask_b32 v5, 0, v47, s10 :: v_dual_cndmask_b32 v4, 0, v46, s10
	v_add_nc_u64_e32 v[48:49], v[4:5], v[28:29]
	s_delay_alu instid0(VALU_DEP_1) | instskip(NEXT) | instid1(VALU_DEP_1)
	v_dual_cndmask_b32 v5, 0, v49, s11 :: v_dual_cndmask_b32 v4, 0, v48, s11
	v_add_nc_u64_e32 v[50:51], v[4:5], v[26:27]
	s_delay_alu instid0(VALU_DEP_1) | instskip(NEXT) | instid1(VALU_DEP_1)
	v_dual_cndmask_b32 v5, 0, v51, s12 :: v_dual_cndmask_b32 v4, 0, v50, s12
	v_add_nc_u64_e32 v[52:53], v[4:5], v[84:85]
	s_delay_alu instid0(VALU_DEP_1) | instskip(NEXT) | instid1(VALU_DEP_1)
	v_dual_cndmask_b32 v5, 0, v53, s13 :: v_dual_cndmask_b32 v4, 0, v52, s13
	v_add_nc_u64_e32 v[54:55], v[4:5], v[30:31]
	s_delay_alu instid0(VALU_DEP_1) | instskip(NEXT) | instid1(VALU_DEP_1)
	v_dual_cndmask_b32 v5, 0, v55, s14 :: v_dual_cndmask_b32 v4, 0, v54, s14
	v_add_nc_u64_e32 v[56:57], v[4:5], v[18:19]
	s_delay_alu instid0(VALU_DEP_1) | instskip(NEXT) | instid1(VALU_DEP_1)
	v_dual_cndmask_b32 v5, 0, v57, s0 :: v_dual_cndmask_b32 v4, 0, v56, s0
	v_add_nc_u64_e32 v[58:59], v[4:5], v[8:9]
	s_branch .LBB38_157
.LBB38_210:
	s_cmp_lg_u64 s[52:53], 0
	s_cselect_b32 s0, -1, 0
	s_cmp_lg_u64 s[46:47], 0
	s_cselect_b32 s1, -1, 0
	s_delay_alu instid0(SALU_CYCLE_1) | instskip(NEXT) | instid1(SALU_CYCLE_1)
	s_and_b32 s0, s0, s1
	s_and_b32 s1, s2, s0
	s_delay_alu instid0(SALU_CYCLE_1)
	s_and_saveexec_b32 s0, s1
	s_cbranch_execz .LBB38_212
; %bb.211:
	v_mov_b32_e32 v20, 0
	s_clause 0x1
	global_load_b64 v[4:5], v20, s[46:47]
	global_load_u8 v21, v20, s[46:47] offset:8
	s_wait_xcnt 0x0
	v_and_b32_e32 v20, 0xff, v1
	s_delay_alu instid0(VALU_DEP_1) | instskip(SKIP_4) | instid1(VALU_DEP_2)
	v_cmp_eq_u16_e32 vcc_lo, 0, v20
	s_wait_loadcnt 0x1
	v_dual_cndmask_b32 v5, 0, v5 :: v_dual_cndmask_b32 v4, 0, v4
	s_wait_loadcnt 0x0
	v_bitop3_b16 v1, v1, 1, v21 bitop3:0xc8
	v_add_nc_u64_e32 v[2:3], v[4:5], v[2:3]
.LBB38_212:
	s_or_b32 exec_lo, exec_lo, s0
	v_cmp_eq_u16_e32 vcc_lo, 0, v82
	v_cmp_eq_u16_e64 s0, 0, v81
	v_cmp_eq_u16_e64 s1, 0, v80
	;; [unrolled: 1-line block ×4, first 2 shown]
	v_dual_cndmask_b32 v5, 0, v3 :: v_dual_cndmask_b32 v4, 0, v2
	v_cmp_eq_u16_e64 s6, 0, v77
	v_cmp_eq_u16_e64 s7, 0, v76
	;; [unrolled: 1-line block ×4, first 2 shown]
	v_add_nc_u64_e32 v[34:35], v[4:5], v[6:7]
	v_cmp_eq_u16_e64 s10, 0, v73
	v_cmp_eq_u16_e64 s11, 0, v72
	;; [unrolled: 1-line block ×3, first 2 shown]
	v_cmp_ne_u16_e64 s19, 0, v70
	v_cmp_eq_u32_e64 s20, 1, v60
	v_bitop3_b16 v20, v1, 0xff, v88 bitop3:0xc8
	v_dual_cndmask_b32 v5, 0, v35, s0 :: v_dual_cndmask_b32 v4, 0, v34, s0
	v_cmp_ne_u16_e64 s17, 0, v69
	v_cmp_eq_u32_e64 s18, 1, v61
	v_cmp_ne_u16_e64 s21, 0, v67
	v_cmp_eq_u16_e64 s13, 0, v65
	v_add_nc_u64_e32 v[36:37], v[4:5], v[12:13]
	v_cmp_ne_u16_e64 s15, 0, v68
	v_cmp_eq_u32_e64 s16, 1, v62
	s_or_b32 s19, s19, s20
	v_cmp_eq_u32_e64 s14, 1, v66
	v_cmp_ne_u16_e64 s22, 0, v20
	s_or_b32 s17, s17, s18
	v_dual_cndmask_b32 v5, 0, v37, s1 :: v_dual_cndmask_b32 v4, 0, v36, s1
	s_or_b32 s18, s21, s19
	s_or_b32 s15, s15, s16
	;; [unrolled: 1-line block ×3, first 2 shown]
	v_and_b32_e32 v21, 0x70, v63
	v_add_nc_u64_e32 v[38:39], v[4:5], v[10:11]
	s_or_b32 s14, s22, s14
	s_or_b32 s15, s16, s15
	s_mov_b32 s17, exec_lo
	s_or_b32 s14, s15, s14
	s_delay_alu instid0(SALU_CYCLE_1) | instskip(NEXT) | instid1(VALU_DEP_2)
	v_cndmask_b32_e64 v33, 0, 1, s14
	v_dual_cndmask_b32 v5, 0, v39, s4 :: v_dual_cndmask_b32 v4, 0, v38, s4
	s_delay_alu instid0(VALU_DEP_1) | instskip(NEXT) | instid1(VALU_DEP_1)
	v_add_nc_u64_e32 v[40:41], v[4:5], v[16:17]
	v_dual_cndmask_b32 v5, 0, v41, s5 :: v_dual_cndmask_b32 v4, 0, v40, s5
	s_delay_alu instid0(VALU_DEP_1) | instskip(NEXT) | instid1(VALU_DEP_1)
	v_add_nc_u64_e32 v[42:43], v[4:5], v[14:15]
	;; [unrolled: 3-line block ×9, first 2 shown]
	v_dual_cndmask_b32 v5, 0, v57, s13 :: v_dual_cndmask_b32 v4, 0, v56, s13
	s_delay_alu instid0(VALU_DEP_1)
	v_add_nc_u64_e32 v[58:59], v[4:5], v[8:9]
	v_lshl_add_u32 v4, v0, 4, v21
	ds_store_b64 v4, v[58:59]
	ds_store_b8 v4, v33 offset:8
	s_wait_dscnt 0x0
	s_barrier_signal -1
	s_barrier_wait -1
	v_cmpx_gt_u32_e32 32, v0
	s_cbranch_execz .LBB38_224
; %bb.213:
	v_dual_lshlrev_b32 v4, 2, v0 :: v_dual_lshlrev_b32 v5, 7, v0
	s_delay_alu instid0(VALU_DEP_1) | instskip(NEXT) | instid1(VALU_DEP_1)
	v_and_b32_e32 v4, 0x3f0, v4
	v_add_nc_u32_e32 v32, v4, v5
	ds_load_u8 v61, v32 offset:24
	ds_load_b64 v[4:5], v32
	ds_load_2addr_b64 v[66:69], v32 offset0:2 offset1:4
	ds_load_u8 v62, v32 offset:40
	ds_load_b32 v60, v32 offset:8
	ds_load_u8 v63, v32 offset:56
	ds_load_u8 v65, v32 offset:72
	;; [unrolled: 1-line block ×4, first 2 shown]
	s_wait_dscnt 0x8
	v_cmp_eq_u16_e64 s14, 0, v61
	s_wait_dscnt 0x7
	s_delay_alu instid0(VALU_DEP_1)
	v_dual_cndmask_b32 v21, 0, v5, s14 :: v_dual_cndmask_b32 v20, 0, v4, s14
	s_wait_dscnt 0x5
	v_cmp_eq_u16_e64 s14, 0, v62
	ds_load_2addr_b64 v[70:73], v32 offset0:6 offset1:8
	s_wait_dscnt 0x4
	v_bitop3_b16 v61, v62, v63, v61 bitop3:0xfe
	s_wait_dscnt 0x1
	v_bitop3_b16 v62, v74, v75, v65 bitop3:0xfe
	v_add_nc_u64_e32 v[20:21], v[20:21], v[66:67]
	s_delay_alu instid0(VALU_DEP_1) | instskip(SKIP_1) | instid1(VALU_DEP_2)
	v_dual_cndmask_b32 v21, 0, v21, s14 :: v_dual_cndmask_b32 v20, 0, v20, s14
	v_cmp_eq_u16_e64 s14, 0, v63
	v_add_nc_u64_e32 v[20:21], v[20:21], v[68:69]
	s_delay_alu instid0(VALU_DEP_1) | instskip(SKIP_2) | instid1(VALU_DEP_2)
	v_dual_cndmask_b32 v21, 0, v21, s14 :: v_dual_cndmask_b32 v20, 0, v20, s14
	v_cmp_eq_u16_e64 s14, 0, v65
	s_wait_dscnt 0x0
	v_add_nc_u64_e32 v[20:21], v[20:21], v[70:71]
	ds_load_2addr_b64 v[66:69], v32 offset0:10 offset1:12
	ds_load_u8 v70, v32 offset:120
	v_dual_cndmask_b32 v21, 0, v21, s14 :: v_dual_cndmask_b32 v20, 0, v20, s14
	v_cmp_eq_u16_e64 s14, 0, v74
	s_delay_alu instid0(VALU_DEP_2) | instskip(NEXT) | instid1(VALU_DEP_1)
	v_add_nc_u64_e32 v[20:21], v[20:21], v[72:73]
	v_cndmask_b32_e64 v21, 0, v21, s14
	s_wait_dscnt 0x0
	v_bitop3_b16 v61, v70, v61, v62 bitop3:0xfe
	s_delay_alu instid0(VALU_DEP_3) | instskip(SKIP_2) | instid1(VALU_DEP_4)
	v_cndmask_b32_e64 v20, 0, v20, s14
	v_cmp_eq_u16_e64 s14, 0, v75
	v_cmp_eq_u16_e64 s16, 0, v70
	v_and_b32_e32 v61, 1, v61
	s_delay_alu instid0(VALU_DEP_4)
	v_add_nc_u64_e32 v[20:21], v[20:21], v[66:67]
	ds_load_b64 v[66:67], v32 offset:112
	v_and_b32_e32 v62, 1, v60
	v_cmp_eq_u32_e64 s15, 1, v61
	v_and_b32_e32 v61, 0xffffff00, v60
	v_dual_cndmask_b32 v21, 0, v21, s14 :: v_dual_cndmask_b32 v20, 0, v20, s14
	s_delay_alu instid0(VALU_DEP_4) | instskip(SKIP_1) | instid1(VALU_DEP_3)
	v_cmp_eq_u32_e64 s14, 1, v62
	v_mbcnt_lo_u32_b32 v62, -1, 0
	v_add_nc_u64_e32 v[20:21], v[20:21], v[68:69]
	s_or_b32 s15, s15, s14
	s_delay_alu instid0(SALU_CYCLE_1) | instskip(SKIP_1) | instid1(VALU_DEP_3)
	v_cndmask_b32_e64 v65, 0, 1, s15
	v_cndmask_b32_e64 v63, 0, 1, s15
	v_dual_cndmask_b32 v21, 0, v21, s16 :: v_dual_cndmask_b32 v20, 0, v20, s16
	s_mov_b32 s16, exec_lo
	s_wait_dscnt 0x0
	s_delay_alu instid0(VALU_DEP_1) | instskip(SKIP_2) | instid1(VALU_DEP_2)
	v_add_nc_u64_e32 v[20:21], v[20:21], v[66:67]
	v_or_b32_e32 v66, v61, v65
	v_and_b32_e32 v65, 15, v62
	v_mov_b32_dpp v68, v66 row_shr:1 row_mask:0xf bank_mask:0xf
	s_delay_alu instid0(VALU_DEP_4) | instskip(SKIP_1) | instid1(VALU_DEP_4)
	v_mov_b32_dpp v67, v20 row_shr:1 row_mask:0xf bank_mask:0xf
	v_mov_b32_dpp v69, v21 row_shr:1 row_mask:0xf bank_mask:0xf
	v_cmpx_ne_u32_e32 0, v65
; %bb.214:
	s_delay_alu instid0(VALU_DEP_4) | instskip(NEXT) | instid1(VALU_DEP_3)
	v_bitop3_b16 v63, v68, v63, 1 bitop3:0xec
	v_cndmask_b32_e64 v69, v69, 0, s15
	v_cndmask_b32_e64 v68, v67, 0, s15
	s_delay_alu instid0(VALU_DEP_3) | instskip(NEXT) | instid1(VALU_DEP_2)
	v_and_b32_e32 v66, 0xffff, v63
	v_add_nc_u64_e32 v[20:21], v[68:69], v[20:21]
	s_delay_alu instid0(VALU_DEP_2)
	v_or_b32_e32 v66, v61, v66
; %bb.215:
	s_or_b32 exec_lo, exec_lo, s16
	s_delay_alu instid0(VALU_DEP_2) | instskip(NEXT) | instid1(VALU_DEP_3)
	v_mov_b32_dpp v67, v20 row_shr:2 row_mask:0xf bank_mask:0xf
	v_mov_b32_dpp v68, v21 row_shr:2 row_mask:0xf bank_mask:0xf
	s_delay_alu instid0(VALU_DEP_3)
	v_mov_b32_dpp v69, v66 row_shr:2 row_mask:0xf bank_mask:0xf
	s_mov_b32 s18, exec_lo
	v_cmpx_lt_u32_e32 1, v65
	s_cbranch_execz .LBB38_217
; %bb.216:
	v_cmp_eq_u16_e64 s14, 0, v63
	v_and_b32_e32 v66, 1, v63
	v_and_b32_e32 v69, 1, v69
	s_delay_alu instid0(VALU_DEP_1) | instskip(NEXT) | instid1(VALU_DEP_4)
	v_cmp_eq_u32_e64 s16, 1, v69
	v_cndmask_b32_e64 v69, 0, v68, s14
	s_delay_alu instid0(VALU_DEP_4) | instskip(SKIP_2) | instid1(VALU_DEP_1)
	v_cmp_eq_u32_e64 s15, 1, v66
	v_cndmask_b32_e64 v68, 0, v67, s14
	s_or_b32 s14, s15, s16
	v_add_nc_u64_e32 v[20:21], v[68:69], v[20:21]
	v_cndmask_b32_e64 v66, 0, 1, s14
	v_cndmask_b32_e64 v63, 0, 1, s14
	s_delay_alu instid0(VALU_DEP_2)
	v_or_b32_e32 v66, v61, v66
.LBB38_217:
	s_or_b32 exec_lo, exec_lo, s18
	s_delay_alu instid0(VALU_DEP_4) | instskip(SKIP_1) | instid1(VALU_DEP_3)
	v_mov_b32_dpp v67, v20 row_shr:4 row_mask:0xf bank_mask:0xf
	v_mov_b32_dpp v68, v21 row_shr:4 row_mask:0xf bank_mask:0xf
	;; [unrolled: 1-line block ×3, first 2 shown]
	s_mov_b32 s18, exec_lo
	v_cmpx_lt_u32_e32 3, v65
	s_cbranch_execz .LBB38_219
; %bb.218:
	v_cmp_eq_u16_e64 s14, 0, v63
	v_and_b32_e32 v66, 1, v63
	v_and_b32_e32 v69, 1, v69
	s_delay_alu instid0(VALU_DEP_1) | instskip(NEXT) | instid1(VALU_DEP_4)
	v_cmp_eq_u32_e64 s16, 1, v69
	v_cndmask_b32_e64 v69, 0, v68, s14
	s_delay_alu instid0(VALU_DEP_4) | instskip(SKIP_2) | instid1(VALU_DEP_1)
	v_cmp_eq_u32_e64 s15, 1, v66
	v_cndmask_b32_e64 v68, 0, v67, s14
	s_or_b32 s14, s15, s16
	v_add_nc_u64_e32 v[20:21], v[68:69], v[20:21]
	v_cndmask_b32_e64 v66, 0, 1, s14
	v_cndmask_b32_e64 v63, 0, 1, s14
	s_delay_alu instid0(VALU_DEP_2)
	v_or_b32_e32 v66, v61, v66
.LBB38_219:
	s_or_b32 exec_lo, exec_lo, s18
	s_delay_alu instid0(VALU_DEP_4) | instskip(SKIP_1) | instid1(VALU_DEP_3)
	v_mov_b32_dpp v67, v20 row_shr:8 row_mask:0xf bank_mask:0xf
	v_mov_b32_dpp v68, v21 row_shr:8 row_mask:0xf bank_mask:0xf
	;; [unrolled: 1-line block ×3, first 2 shown]
	s_mov_b32 s18, exec_lo
	v_cmpx_lt_u32_e32 7, v65
	s_cbranch_execz .LBB38_221
; %bb.220:
	v_cmp_eq_u16_e64 s14, 0, v63
	v_and_b32_e32 v65, 1, v63
	s_delay_alu instid0(VALU_DEP_2) | instskip(NEXT) | instid1(VALU_DEP_2)
	v_dual_cndmask_b32 v69, 0, v68, s14 :: v_dual_bitop2_b32 v66, 1, v69 bitop3:0x40
	v_cmp_eq_u32_e64 s15, 1, v65
	v_cndmask_b32_e64 v68, 0, v67, s14
	s_delay_alu instid0(VALU_DEP_3) | instskip(NEXT) | instid1(VALU_DEP_2)
	v_cmp_eq_u32_e64 s16, 1, v66
	v_add_nc_u64_e32 v[20:21], v[68:69], v[20:21]
	s_or_b32 s14, s15, s16
	s_delay_alu instid0(SALU_CYCLE_1) | instskip(SKIP_1) | instid1(VALU_DEP_2)
	v_cndmask_b32_e64 v65, 0, 1, s14
	v_cndmask_b32_e64 v63, 0, 1, s14
	v_or_b32_e32 v66, v61, v65
.LBB38_221:
	s_or_b32 exec_lo, exec_lo, s18
	ds_swizzle_b32 v65, v20 offset:swizzle(BROADCAST,32,15)
	ds_swizzle_b32 v67, v21 offset:swizzle(BROADCAST,32,15)
	;; [unrolled: 1-line block ×3, first 2 shown]
	v_and_b32_e32 v68, 16, v62
	s_mov_b32 s16, exec_lo
	s_delay_alu instid0(VALU_DEP_1)
	v_cmpx_ne_u32_e32 0, v68
	s_cbranch_execz .LBB38_223
; %bb.222:
	v_cmp_eq_u16_e64 s14, 0, v63
	v_and_b32_e32 v63, 1, v63
	s_wait_dscnt 0x0
	s_delay_alu instid0(VALU_DEP_2) | instskip(SKIP_1) | instid1(VALU_DEP_3)
	v_dual_cndmask_b32 v67, 0, v67, s14 :: v_dual_bitop2_b32 v68, 1, v66 bitop3:0x40
	v_cndmask_b32_e64 v66, 0, v65, s14
	v_cmp_eq_u32_e64 s14, 1, v63
	s_delay_alu instid0(VALU_DEP_3) | instskip(NEXT) | instid1(VALU_DEP_3)
	v_cmp_eq_u32_e64 s15, 1, v68
	v_add_nc_u64_e32 v[20:21], v[66:67], v[20:21]
	s_or_b32 s14, s14, s15
	s_delay_alu instid0(SALU_CYCLE_1)
	v_cndmask_b32_e64 v63, 0, 1, s14
.LBB38_223:
	s_or_b32 exec_lo, exec_lo, s16
	s_wait_dscnt 0x2
	v_add_nc_u32_e32 v65, -1, v62
	s_delay_alu instid0(VALU_DEP_2) | instskip(NEXT) | instid1(VALU_DEP_2)
	v_and_b32_e32 v63, 0xffff, v63
	; wave barrier
	v_cmp_gt_i32_e64 s14, 0, v65
	s_delay_alu instid0(VALU_DEP_1) | instskip(NEXT) | instid1(VALU_DEP_1)
	v_cndmask_b32_e64 v62, v65, v62, s14
	v_lshlrev_b32_e32 v62, 2, v62
	ds_bpermute_b32 v21, v62, v21
	ds_bpermute_b32 v20, v62, v20
	v_or_b32_e32 v61, v61, v63
	ds_bpermute_b32 v61, v62, v61
	v_and_b32_e32 v62, 0xff, v60
	s_delay_alu instid0(VALU_DEP_1) | instskip(SKIP_1) | instid1(VALU_DEP_1)
	v_cmp_eq_u32_e64 s14, 0, v62
	s_wait_dscnt 0x1
	v_dual_cndmask_b32 v21, 0, v21, s14 :: v_dual_cndmask_b32 v20, 0, v20, s14
	s_delay_alu instid0(VALU_DEP_1) | instskip(SKIP_1) | instid1(VALU_DEP_1)
	v_add_nc_u64_e32 v[4:5], v[20:21], v[4:5]
	s_wait_dscnt 0x0
	v_dual_cndmask_b32 v4, v4, v58, s2 :: v_dual_bitop2_b32 v60, v61, v60 bitop3:0x54
	s_delay_alu instid0(VALU_DEP_1) | instskip(NEXT) | instid1(VALU_DEP_1)
	v_dual_cndmask_b32 v5, v5, v59, s2 :: v_dual_bitop2_b32 v20, 1, v60 bitop3:0x40
	v_cndmask_b32_e64 v33, v20, v33, s2
	ds_store_b64 v32, v[4:5]
	ds_store_b8 v32, v33 offset:8
	; wave barrier
	ds_load_u8 v65, v32 offset:24
	ds_load_2addr_b64 v[60:63], v32 offset0:2 offset1:4
	ds_load_u8 v74, v32 offset:40
	ds_load_u8 v75, v32 offset:56
	;; [unrolled: 1-line block ×5, first 2 shown]
	ds_load_b64 v[20:21], v32 offset:112
	ds_load_u8 v79, v32 offset:120
	s_wait_dscnt 0x8
	v_and_b32_e32 v66, 0xff, v65
	s_wait_dscnt 0x5
	v_and_b32_e32 v72, 0xff, v75
	s_delay_alu instid0(VALU_DEP_2) | instskip(SKIP_3) | instid1(VALU_DEP_3)
	v_cmp_eq_u16_e64 s14, 0, v66
	v_and_b32_e32 v66, 0xff, v74
	s_wait_dscnt 0x3
	v_and_b32_e32 v80, 0xff, v77
	v_dual_cndmask_b32 v5, 0, v5, s14 :: v_dual_cndmask_b32 v4, 0, v4, s14
	s_delay_alu instid0(VALU_DEP_3) | instskip(SKIP_3) | instid1(VALU_DEP_1)
	v_cmp_eq_u16_e64 s14, 0, v66
	ds_load_2addr_b64 v[66:69], v32 offset0:6 offset1:8
	v_bitop3_b16 v81, v65, 1, v33 bitop3:0xc8
	v_add_nc_u64_e32 v[4:5], v[4:5], v[60:61]
	v_dual_cndmask_b32 v61, 0, v5, s14 :: v_dual_cndmask_b32 v60, 0, v4, s14
	v_cmp_eq_u16_e64 s14, 0, v72
	s_delay_alu instid0(VALU_DEP_2) | instskip(SKIP_1) | instid1(VALU_DEP_2)
	v_add_nc_u64_e32 v[70:71], v[60:61], v[62:63]
	v_and_b32_e32 v62, 0xff, v76
	v_dual_cndmask_b32 v61, 0, v71, s14 :: v_dual_cndmask_b32 v60, 0, v70, s14
	s_delay_alu instid0(VALU_DEP_2) | instskip(SKIP_1) | instid1(VALU_DEP_2)
	v_cmp_eq_u16_e64 s14, 0, v62
	s_wait_dscnt 0x0
	v_add_nc_u64_e32 v[66:67], v[60:61], v[66:67]
	ds_load_2addr_b64 v[60:63], v32 offset0:10 offset1:12
	v_dual_cndmask_b32 v73, 0, v67, s14 :: v_dual_cndmask_b32 v72, 0, v66, s14
	v_cmp_eq_u16_e64 s14, 0, v80
	v_and_b32_e32 v80, 0xff, v78
	s_delay_alu instid0(VALU_DEP_3) | instskip(NEXT) | instid1(VALU_DEP_1)
	v_add_nc_u64_e32 v[68:69], v[72:73], v[68:69]
	v_dual_cndmask_b32 v73, 0, v69, s14 :: v_dual_cndmask_b32 v72, 0, v68, s14
	s_delay_alu instid0(VALU_DEP_3) | instskip(SKIP_1) | instid1(VALU_DEP_2)
	v_cmp_eq_u16_e64 s14, 0, v80
	s_wait_dscnt 0x0
	v_add_nc_u64_e32 v[60:61], v[72:73], v[60:61]
	s_delay_alu instid0(VALU_DEP_1) | instskip(SKIP_1) | instid1(VALU_DEP_2)
	v_dual_cndmask_b32 v73, 0, v61, s14 :: v_dual_cndmask_b32 v72, 0, v60, s14
	v_cmp_eq_u16_e64 s14, 0, v79
	v_add_nc_u64_e32 v[62:63], v[72:73], v[62:63]
	v_or_b32_e32 v80, v65, v33
	v_bitop3_b16 v33, v74, v65, v33 bitop3:0xfe
	ds_store_2addr_b64 v32, v[4:5], v[70:71] offset0:2 offset1:4
	ds_store_2addr_b64 v32, v[66:67], v[68:69] offset0:6 offset1:8
	;; [unrolled: 1-line block ×3, first 2 shown]
	v_cndmask_b32_e64 v73, 0, v63, s14
	v_bitop3_b16 v65, v75, v74, v80 bitop3:0xfe
	v_bitop3_b16 v74, v74, 1, v80 bitop3:0xc8
	;; [unrolled: 1-line block ×4, first 2 shown]
	s_delay_alu instid0(VALU_DEP_4) | instskip(SKIP_1) | instid1(VALU_DEP_3)
	v_bitop3_b16 v72, v77, v76, v65 bitop3:0xfe
	v_bitop3_b16 v65, v76, 1, v65 bitop3:0xc8
	;; [unrolled: 1-line block ×4, first 2 shown]
	s_delay_alu instid0(VALU_DEP_4) | instskip(SKIP_1) | instid1(VALU_DEP_4)
	v_bitop3_b16 v76, v78, 1, v72 bitop3:0xc8
	v_cndmask_b32_e64 v72, 0, v62, s14
	v_bitop3_b16 v75, v79, 1, v75 bitop3:0xc8
	s_delay_alu instid0(VALU_DEP_2)
	v_add_nc_u64_e32 v[4:5], v[72:73], v[20:21]
	ds_store_b8 v32, v81 offset:24
	ds_store_b8 v32, v74 offset:40
	;; [unrolled: 1-line block ×6, first 2 shown]
	ds_store_b64 v32, v[4:5] offset:112
	ds_store_b8 v32, v75 offset:120
.LBB38_224:
	s_or_b32 exec_lo, exec_lo, s17
	s_wait_dscnt 0x0
	s_barrier_signal -1
	s_barrier_wait -1
	s_and_saveexec_b32 s14, s3
	s_cbranch_execz .LBB38_226
; %bb.225:
	v_and_b32_e32 v1, 0xff, v1
	s_delay_alu instid0(VALU_DEP_1) | instskip(SKIP_1) | instid1(VALU_DEP_1)
	v_cmp_eq_u16_e64 s3, 0, v1
	v_add_nc_u32_e32 v4, -1, v0
	v_lshrrev_b32_e32 v5, 1, v4
	s_delay_alu instid0(VALU_DEP_1) | instskip(NEXT) | instid1(VALU_DEP_1)
	v_and_b32_e32 v5, 0x7ffffff0, v5
	v_lshl_add_u32 v4, v4, 4, v5
	ds_load_b64 v[4:5], v4
	;;#ASMSTART
	;;#ASMEND
	s_wait_dscnt 0x0
	v_dual_cndmask_b32 v5, 0, v5, s3 :: v_dual_cndmask_b32 v4, 0, v4, s3
	s_delay_alu instid0(VALU_DEP_1) | instskip(NEXT) | instid1(VALU_DEP_1)
	v_add_nc_u64_e32 v[2:3], v[4:5], v[2:3]
	v_dual_cndmask_b32 v5, 0, v3 :: v_dual_cndmask_b32 v4, 0, v2
	s_delay_alu instid0(VALU_DEP_1) | instskip(NEXT) | instid1(VALU_DEP_1)
	v_add_nc_u64_e32 v[34:35], v[4:5], v[6:7]
	v_dual_cndmask_b32 v5, 0, v35, s0 :: v_dual_cndmask_b32 v4, 0, v34, s0
	s_delay_alu instid0(VALU_DEP_1) | instskip(NEXT) | instid1(VALU_DEP_1)
	v_add_nc_u64_e32 v[36:37], v[4:5], v[12:13]
	v_dual_cndmask_b32 v5, 0, v37, s1 :: v_dual_cndmask_b32 v4, 0, v36, s1
	;; [unrolled: 3-line block ×12, first 2 shown]
	s_delay_alu instid0(VALU_DEP_1)
	v_add_nc_u64_e32 v[58:59], v[4:5], v[8:9]
.LBB38_226:
	s_or_b32 exec_lo, exec_lo, s14
	s_and_saveexec_b32 s0, s2
	s_cbranch_execz .LBB38_228
; %bb.227:
	v_dual_mov_b32 v1, 0 :: v_dual_mov_b32 v7, 2
	ds_load_b64 v[4:5], v1 offset:4192
	ds_load_u8 v6, v1 offset:4200
	s_wait_dscnt 0x1
	global_store_b64 v1, v[4:5], s[26:27] offset:512
	s_wait_dscnt 0x0
	global_store_b8 v1, v6, s[26:27] offset:520
	global_wb scope:SCOPE_DEV
	s_wait_storecnt 0x0
	global_inv scope:SCOPE_DEV
	s_wait_xcnt 0x0
	global_store_b8 v1, v7, s[28:29] offset:32 scope:SCOPE_DEV
.LBB38_228:
	s_wait_xcnt 0x0
	s_or_b32 exec_lo, exec_lo, s0
	v_mov_b64_e32 v[32:33], v[2:3]
	s_add_nc_u64 s[0:1], s[42:43], s[34:35]
	s_and_b32 vcc_lo, exec_lo, s31
	s_add_nc_u64 s[0:1], s[0:1], s[36:37]
	s_cbranch_vccnz .LBB38_158
.LBB38_229:
	s_mov_b32 s2, 0
                                        ; implicit-def: $vgpr4_vgpr5
	s_cbranch_execz .LBB38_231
; %bb.230:
	v_mul_u32_u24_e32 v1, 0x70, v0
	v_mul_i32_i24_e32 v2, 0xffffff98, v0
	s_wait_storecnt 0x0
	s_wait_loadcnt_dscnt 0x0
	s_barrier_signal -1
	s_barrier_wait -1
	ds_store_b128 v1, v[32:35]
	ds_store_b128 v1, v[36:39] offset:16
	ds_store_b128 v1, v[40:43] offset:32
	;; [unrolled: 1-line block ×6, first 2 shown]
	v_mad_u32_u24 v1, 0x70, v0, v2
	s_wait_dscnt 0x0
	s_barrier_signal -1
	s_barrier_wait -1
	ds_load_2addr_stride64_b64 v[6:9], v1 offset1:4
	ds_load_2addr_stride64_b64 v[10:13], v1 offset0:8 offset1:12
	ds_load_2addr_stride64_b64 v[14:17], v1 offset0:16 offset1:20
	;; [unrolled: 1-line block ×6, first 2 shown]
	s_or_b32 s2, s2, exec_lo
	s_wait_dscnt 0x6
	s_clause 0x1
	flat_store_b64 v0, v[6:7], s[0:1] scale_offset
	flat_store_b64 v0, v[8:9], s[0:1] offset:2048 scale_offset
	s_wait_dscnt 0x7
	s_clause 0x1
	flat_store_b64 v0, v[10:11], s[0:1] offset:4096 scale_offset
	flat_store_b64 v0, v[12:13], s[0:1] offset:6144 scale_offset
	s_wait_dscnt 0x8
	s_clause 0x1
	flat_store_b64 v0, v[14:15], s[0:1] offset:8192 scale_offset
	;; [unrolled: 4-line block ×5, first 2 shown]
	flat_store_b64 v0, v[28:29], s[0:1] offset:22528 scale_offset
	s_wait_dscnt 0xc
	flat_store_b64 v0, v[2:3], s[0:1] offset:24576 scale_offset
.LBB38_231:
	s_wait_xcnt 0x0
	s_delay_alu instid0(VALU_DEP_1)
	s_and_saveexec_b32 s3, s2
	s_cbranch_execnz .LBB38_233
; %bb.232:
	s_sendmsg sendmsg(MSG_DEALLOC_VGPRS)
	s_endpgm
.LBB38_233:
	s_wait_dscnt 0x0
	flat_store_b64 v0, v[4:5], s[0:1] offset:26624 scale_offset
	s_sendmsg sendmsg(MSG_DEALLOC_VGPRS)
	s_endpgm
	.section	.rodata,"a",@progbits
	.p2align	6, 0x0
	.amdhsa_kernel _ZN7rocprim17ROCPRIM_400000_NS6detail17trampoline_kernelINS0_14default_configENS1_27scan_by_key_config_selectorIxxEEZZNS1_16scan_by_key_implILNS1_25lookback_scan_determinismE0ELb0ES3_N6thrust23THRUST_200600_302600_NS6detail15normal_iteratorINS9_10device_ptrIxEEEESE_SE_xNS9_4plusIvEENS9_8equal_toIvEExEE10hipError_tPvRmT2_T3_T4_T5_mT6_T7_P12ihipStream_tbENKUlT_T0_E_clISt17integral_constantIbLb0EESY_IbLb1EEEEDaSU_SV_EUlSU_E_NS1_11comp_targetILNS1_3genE0ELNS1_11target_archE4294967295ELNS1_3gpuE0ELNS1_3repE0EEENS1_30default_config_static_selectorELNS0_4arch9wavefront6targetE0EEEvT1_
		.amdhsa_group_segment_fixed_size 32768
		.amdhsa_private_segment_fixed_size 0
		.amdhsa_kernarg_size 136
		.amdhsa_user_sgpr_count 2
		.amdhsa_user_sgpr_dispatch_ptr 0
		.amdhsa_user_sgpr_queue_ptr 0
		.amdhsa_user_sgpr_kernarg_segment_ptr 1
		.amdhsa_user_sgpr_dispatch_id 0
		.amdhsa_user_sgpr_kernarg_preload_length 0
		.amdhsa_user_sgpr_kernarg_preload_offset 0
		.amdhsa_user_sgpr_private_segment_size 0
		.amdhsa_wavefront_size32 1
		.amdhsa_uses_dynamic_stack 0
		.amdhsa_enable_private_segment 0
		.amdhsa_system_sgpr_workgroup_id_x 1
		.amdhsa_system_sgpr_workgroup_id_y 0
		.amdhsa_system_sgpr_workgroup_id_z 0
		.amdhsa_system_sgpr_workgroup_info 0
		.amdhsa_system_vgpr_workitem_id 0
		.amdhsa_next_free_vgpr 111
		.amdhsa_next_free_sgpr 56
		.amdhsa_named_barrier_count 0
		.amdhsa_reserve_vcc 1
		.amdhsa_float_round_mode_32 0
		.amdhsa_float_round_mode_16_64 0
		.amdhsa_float_denorm_mode_32 3
		.amdhsa_float_denorm_mode_16_64 3
		.amdhsa_fp16_overflow 0
		.amdhsa_memory_ordered 1
		.amdhsa_forward_progress 1
		.amdhsa_inst_pref_size 124
		.amdhsa_round_robin_scheduling 0
		.amdhsa_exception_fp_ieee_invalid_op 0
		.amdhsa_exception_fp_denorm_src 0
		.amdhsa_exception_fp_ieee_div_zero 0
		.amdhsa_exception_fp_ieee_overflow 0
		.amdhsa_exception_fp_ieee_underflow 0
		.amdhsa_exception_fp_ieee_inexact 0
		.amdhsa_exception_int_div_zero 0
	.end_amdhsa_kernel
	.section	.text._ZN7rocprim17ROCPRIM_400000_NS6detail17trampoline_kernelINS0_14default_configENS1_27scan_by_key_config_selectorIxxEEZZNS1_16scan_by_key_implILNS1_25lookback_scan_determinismE0ELb0ES3_N6thrust23THRUST_200600_302600_NS6detail15normal_iteratorINS9_10device_ptrIxEEEESE_SE_xNS9_4plusIvEENS9_8equal_toIvEExEE10hipError_tPvRmT2_T3_T4_T5_mT6_T7_P12ihipStream_tbENKUlT_T0_E_clISt17integral_constantIbLb0EESY_IbLb1EEEEDaSU_SV_EUlSU_E_NS1_11comp_targetILNS1_3genE0ELNS1_11target_archE4294967295ELNS1_3gpuE0ELNS1_3repE0EEENS1_30default_config_static_selectorELNS0_4arch9wavefront6targetE0EEEvT1_,"axG",@progbits,_ZN7rocprim17ROCPRIM_400000_NS6detail17trampoline_kernelINS0_14default_configENS1_27scan_by_key_config_selectorIxxEEZZNS1_16scan_by_key_implILNS1_25lookback_scan_determinismE0ELb0ES3_N6thrust23THRUST_200600_302600_NS6detail15normal_iteratorINS9_10device_ptrIxEEEESE_SE_xNS9_4plusIvEENS9_8equal_toIvEExEE10hipError_tPvRmT2_T3_T4_T5_mT6_T7_P12ihipStream_tbENKUlT_T0_E_clISt17integral_constantIbLb0EESY_IbLb1EEEEDaSU_SV_EUlSU_E_NS1_11comp_targetILNS1_3genE0ELNS1_11target_archE4294967295ELNS1_3gpuE0ELNS1_3repE0EEENS1_30default_config_static_selectorELNS0_4arch9wavefront6targetE0EEEvT1_,comdat
.Lfunc_end38:
	.size	_ZN7rocprim17ROCPRIM_400000_NS6detail17trampoline_kernelINS0_14default_configENS1_27scan_by_key_config_selectorIxxEEZZNS1_16scan_by_key_implILNS1_25lookback_scan_determinismE0ELb0ES3_N6thrust23THRUST_200600_302600_NS6detail15normal_iteratorINS9_10device_ptrIxEEEESE_SE_xNS9_4plusIvEENS9_8equal_toIvEExEE10hipError_tPvRmT2_T3_T4_T5_mT6_T7_P12ihipStream_tbENKUlT_T0_E_clISt17integral_constantIbLb0EESY_IbLb1EEEEDaSU_SV_EUlSU_E_NS1_11comp_targetILNS1_3genE0ELNS1_11target_archE4294967295ELNS1_3gpuE0ELNS1_3repE0EEENS1_30default_config_static_selectorELNS0_4arch9wavefront6targetE0EEEvT1_, .Lfunc_end38-_ZN7rocprim17ROCPRIM_400000_NS6detail17trampoline_kernelINS0_14default_configENS1_27scan_by_key_config_selectorIxxEEZZNS1_16scan_by_key_implILNS1_25lookback_scan_determinismE0ELb0ES3_N6thrust23THRUST_200600_302600_NS6detail15normal_iteratorINS9_10device_ptrIxEEEESE_SE_xNS9_4plusIvEENS9_8equal_toIvEExEE10hipError_tPvRmT2_T3_T4_T5_mT6_T7_P12ihipStream_tbENKUlT_T0_E_clISt17integral_constantIbLb0EESY_IbLb1EEEEDaSU_SV_EUlSU_E_NS1_11comp_targetILNS1_3genE0ELNS1_11target_archE4294967295ELNS1_3gpuE0ELNS1_3repE0EEENS1_30default_config_static_selectorELNS0_4arch9wavefront6targetE0EEEvT1_
                                        ; -- End function
	.set _ZN7rocprim17ROCPRIM_400000_NS6detail17trampoline_kernelINS0_14default_configENS1_27scan_by_key_config_selectorIxxEEZZNS1_16scan_by_key_implILNS1_25lookback_scan_determinismE0ELb0ES3_N6thrust23THRUST_200600_302600_NS6detail15normal_iteratorINS9_10device_ptrIxEEEESE_SE_xNS9_4plusIvEENS9_8equal_toIvEExEE10hipError_tPvRmT2_T3_T4_T5_mT6_T7_P12ihipStream_tbENKUlT_T0_E_clISt17integral_constantIbLb0EESY_IbLb1EEEEDaSU_SV_EUlSU_E_NS1_11comp_targetILNS1_3genE0ELNS1_11target_archE4294967295ELNS1_3gpuE0ELNS1_3repE0EEENS1_30default_config_static_selectorELNS0_4arch9wavefront6targetE0EEEvT1_.num_vgpr, 111
	.set _ZN7rocprim17ROCPRIM_400000_NS6detail17trampoline_kernelINS0_14default_configENS1_27scan_by_key_config_selectorIxxEEZZNS1_16scan_by_key_implILNS1_25lookback_scan_determinismE0ELb0ES3_N6thrust23THRUST_200600_302600_NS6detail15normal_iteratorINS9_10device_ptrIxEEEESE_SE_xNS9_4plusIvEENS9_8equal_toIvEExEE10hipError_tPvRmT2_T3_T4_T5_mT6_T7_P12ihipStream_tbENKUlT_T0_E_clISt17integral_constantIbLb0EESY_IbLb1EEEEDaSU_SV_EUlSU_E_NS1_11comp_targetILNS1_3genE0ELNS1_11target_archE4294967295ELNS1_3gpuE0ELNS1_3repE0EEENS1_30default_config_static_selectorELNS0_4arch9wavefront6targetE0EEEvT1_.num_agpr, 0
	.set _ZN7rocprim17ROCPRIM_400000_NS6detail17trampoline_kernelINS0_14default_configENS1_27scan_by_key_config_selectorIxxEEZZNS1_16scan_by_key_implILNS1_25lookback_scan_determinismE0ELb0ES3_N6thrust23THRUST_200600_302600_NS6detail15normal_iteratorINS9_10device_ptrIxEEEESE_SE_xNS9_4plusIvEENS9_8equal_toIvEExEE10hipError_tPvRmT2_T3_T4_T5_mT6_T7_P12ihipStream_tbENKUlT_T0_E_clISt17integral_constantIbLb0EESY_IbLb1EEEEDaSU_SV_EUlSU_E_NS1_11comp_targetILNS1_3genE0ELNS1_11target_archE4294967295ELNS1_3gpuE0ELNS1_3repE0EEENS1_30default_config_static_selectorELNS0_4arch9wavefront6targetE0EEEvT1_.numbered_sgpr, 56
	.set _ZN7rocprim17ROCPRIM_400000_NS6detail17trampoline_kernelINS0_14default_configENS1_27scan_by_key_config_selectorIxxEEZZNS1_16scan_by_key_implILNS1_25lookback_scan_determinismE0ELb0ES3_N6thrust23THRUST_200600_302600_NS6detail15normal_iteratorINS9_10device_ptrIxEEEESE_SE_xNS9_4plusIvEENS9_8equal_toIvEExEE10hipError_tPvRmT2_T3_T4_T5_mT6_T7_P12ihipStream_tbENKUlT_T0_E_clISt17integral_constantIbLb0EESY_IbLb1EEEEDaSU_SV_EUlSU_E_NS1_11comp_targetILNS1_3genE0ELNS1_11target_archE4294967295ELNS1_3gpuE0ELNS1_3repE0EEENS1_30default_config_static_selectorELNS0_4arch9wavefront6targetE0EEEvT1_.num_named_barrier, 0
	.set _ZN7rocprim17ROCPRIM_400000_NS6detail17trampoline_kernelINS0_14default_configENS1_27scan_by_key_config_selectorIxxEEZZNS1_16scan_by_key_implILNS1_25lookback_scan_determinismE0ELb0ES3_N6thrust23THRUST_200600_302600_NS6detail15normal_iteratorINS9_10device_ptrIxEEEESE_SE_xNS9_4plusIvEENS9_8equal_toIvEExEE10hipError_tPvRmT2_T3_T4_T5_mT6_T7_P12ihipStream_tbENKUlT_T0_E_clISt17integral_constantIbLb0EESY_IbLb1EEEEDaSU_SV_EUlSU_E_NS1_11comp_targetILNS1_3genE0ELNS1_11target_archE4294967295ELNS1_3gpuE0ELNS1_3repE0EEENS1_30default_config_static_selectorELNS0_4arch9wavefront6targetE0EEEvT1_.private_seg_size, 0
	.set _ZN7rocprim17ROCPRIM_400000_NS6detail17trampoline_kernelINS0_14default_configENS1_27scan_by_key_config_selectorIxxEEZZNS1_16scan_by_key_implILNS1_25lookback_scan_determinismE0ELb0ES3_N6thrust23THRUST_200600_302600_NS6detail15normal_iteratorINS9_10device_ptrIxEEEESE_SE_xNS9_4plusIvEENS9_8equal_toIvEExEE10hipError_tPvRmT2_T3_T4_T5_mT6_T7_P12ihipStream_tbENKUlT_T0_E_clISt17integral_constantIbLb0EESY_IbLb1EEEEDaSU_SV_EUlSU_E_NS1_11comp_targetILNS1_3genE0ELNS1_11target_archE4294967295ELNS1_3gpuE0ELNS1_3repE0EEENS1_30default_config_static_selectorELNS0_4arch9wavefront6targetE0EEEvT1_.uses_vcc, 1
	.set _ZN7rocprim17ROCPRIM_400000_NS6detail17trampoline_kernelINS0_14default_configENS1_27scan_by_key_config_selectorIxxEEZZNS1_16scan_by_key_implILNS1_25lookback_scan_determinismE0ELb0ES3_N6thrust23THRUST_200600_302600_NS6detail15normal_iteratorINS9_10device_ptrIxEEEESE_SE_xNS9_4plusIvEENS9_8equal_toIvEExEE10hipError_tPvRmT2_T3_T4_T5_mT6_T7_P12ihipStream_tbENKUlT_T0_E_clISt17integral_constantIbLb0EESY_IbLb1EEEEDaSU_SV_EUlSU_E_NS1_11comp_targetILNS1_3genE0ELNS1_11target_archE4294967295ELNS1_3gpuE0ELNS1_3repE0EEENS1_30default_config_static_selectorELNS0_4arch9wavefront6targetE0EEEvT1_.uses_flat_scratch, 1
	.set _ZN7rocprim17ROCPRIM_400000_NS6detail17trampoline_kernelINS0_14default_configENS1_27scan_by_key_config_selectorIxxEEZZNS1_16scan_by_key_implILNS1_25lookback_scan_determinismE0ELb0ES3_N6thrust23THRUST_200600_302600_NS6detail15normal_iteratorINS9_10device_ptrIxEEEESE_SE_xNS9_4plusIvEENS9_8equal_toIvEExEE10hipError_tPvRmT2_T3_T4_T5_mT6_T7_P12ihipStream_tbENKUlT_T0_E_clISt17integral_constantIbLb0EESY_IbLb1EEEEDaSU_SV_EUlSU_E_NS1_11comp_targetILNS1_3genE0ELNS1_11target_archE4294967295ELNS1_3gpuE0ELNS1_3repE0EEENS1_30default_config_static_selectorELNS0_4arch9wavefront6targetE0EEEvT1_.has_dyn_sized_stack, 0
	.set _ZN7rocprim17ROCPRIM_400000_NS6detail17trampoline_kernelINS0_14default_configENS1_27scan_by_key_config_selectorIxxEEZZNS1_16scan_by_key_implILNS1_25lookback_scan_determinismE0ELb0ES3_N6thrust23THRUST_200600_302600_NS6detail15normal_iteratorINS9_10device_ptrIxEEEESE_SE_xNS9_4plusIvEENS9_8equal_toIvEExEE10hipError_tPvRmT2_T3_T4_T5_mT6_T7_P12ihipStream_tbENKUlT_T0_E_clISt17integral_constantIbLb0EESY_IbLb1EEEEDaSU_SV_EUlSU_E_NS1_11comp_targetILNS1_3genE0ELNS1_11target_archE4294967295ELNS1_3gpuE0ELNS1_3repE0EEENS1_30default_config_static_selectorELNS0_4arch9wavefront6targetE0EEEvT1_.has_recursion, 0
	.set _ZN7rocprim17ROCPRIM_400000_NS6detail17trampoline_kernelINS0_14default_configENS1_27scan_by_key_config_selectorIxxEEZZNS1_16scan_by_key_implILNS1_25lookback_scan_determinismE0ELb0ES3_N6thrust23THRUST_200600_302600_NS6detail15normal_iteratorINS9_10device_ptrIxEEEESE_SE_xNS9_4plusIvEENS9_8equal_toIvEExEE10hipError_tPvRmT2_T3_T4_T5_mT6_T7_P12ihipStream_tbENKUlT_T0_E_clISt17integral_constantIbLb0EESY_IbLb1EEEEDaSU_SV_EUlSU_E_NS1_11comp_targetILNS1_3genE0ELNS1_11target_archE4294967295ELNS1_3gpuE0ELNS1_3repE0EEENS1_30default_config_static_selectorELNS0_4arch9wavefront6targetE0EEEvT1_.has_indirect_call, 0
	.section	.AMDGPU.csdata,"",@progbits
; Kernel info:
; codeLenInByte = 15828
; TotalNumSgprs: 58
; NumVgprs: 111
; ScratchSize: 0
; MemoryBound: 0
; FloatMode: 240
; IeeeMode: 1
; LDSByteSize: 32768 bytes/workgroup (compile time only)
; SGPRBlocks: 0
; VGPRBlocks: 6
; NumSGPRsForWavesPerEU: 58
; NumVGPRsForWavesPerEU: 111
; NamedBarCnt: 0
; Occupancy: 9
; WaveLimiterHint : 1
; COMPUTE_PGM_RSRC2:SCRATCH_EN: 0
; COMPUTE_PGM_RSRC2:USER_SGPR: 2
; COMPUTE_PGM_RSRC2:TRAP_HANDLER: 0
; COMPUTE_PGM_RSRC2:TGID_X_EN: 1
; COMPUTE_PGM_RSRC2:TGID_Y_EN: 0
; COMPUTE_PGM_RSRC2:TGID_Z_EN: 0
; COMPUTE_PGM_RSRC2:TIDIG_COMP_CNT: 0
	.section	.text._ZN7rocprim17ROCPRIM_400000_NS6detail17trampoline_kernelINS0_14default_configENS1_27scan_by_key_config_selectorIxxEEZZNS1_16scan_by_key_implILNS1_25lookback_scan_determinismE0ELb0ES3_N6thrust23THRUST_200600_302600_NS6detail15normal_iteratorINS9_10device_ptrIxEEEESE_SE_xNS9_4plusIvEENS9_8equal_toIvEExEE10hipError_tPvRmT2_T3_T4_T5_mT6_T7_P12ihipStream_tbENKUlT_T0_E_clISt17integral_constantIbLb0EESY_IbLb1EEEEDaSU_SV_EUlSU_E_NS1_11comp_targetILNS1_3genE10ELNS1_11target_archE1201ELNS1_3gpuE5ELNS1_3repE0EEENS1_30default_config_static_selectorELNS0_4arch9wavefront6targetE0EEEvT1_,"axG",@progbits,_ZN7rocprim17ROCPRIM_400000_NS6detail17trampoline_kernelINS0_14default_configENS1_27scan_by_key_config_selectorIxxEEZZNS1_16scan_by_key_implILNS1_25lookback_scan_determinismE0ELb0ES3_N6thrust23THRUST_200600_302600_NS6detail15normal_iteratorINS9_10device_ptrIxEEEESE_SE_xNS9_4plusIvEENS9_8equal_toIvEExEE10hipError_tPvRmT2_T3_T4_T5_mT6_T7_P12ihipStream_tbENKUlT_T0_E_clISt17integral_constantIbLb0EESY_IbLb1EEEEDaSU_SV_EUlSU_E_NS1_11comp_targetILNS1_3genE10ELNS1_11target_archE1201ELNS1_3gpuE5ELNS1_3repE0EEENS1_30default_config_static_selectorELNS0_4arch9wavefront6targetE0EEEvT1_,comdat
	.protected	_ZN7rocprim17ROCPRIM_400000_NS6detail17trampoline_kernelINS0_14default_configENS1_27scan_by_key_config_selectorIxxEEZZNS1_16scan_by_key_implILNS1_25lookback_scan_determinismE0ELb0ES3_N6thrust23THRUST_200600_302600_NS6detail15normal_iteratorINS9_10device_ptrIxEEEESE_SE_xNS9_4plusIvEENS9_8equal_toIvEExEE10hipError_tPvRmT2_T3_T4_T5_mT6_T7_P12ihipStream_tbENKUlT_T0_E_clISt17integral_constantIbLb0EESY_IbLb1EEEEDaSU_SV_EUlSU_E_NS1_11comp_targetILNS1_3genE10ELNS1_11target_archE1201ELNS1_3gpuE5ELNS1_3repE0EEENS1_30default_config_static_selectorELNS0_4arch9wavefront6targetE0EEEvT1_ ; -- Begin function _ZN7rocprim17ROCPRIM_400000_NS6detail17trampoline_kernelINS0_14default_configENS1_27scan_by_key_config_selectorIxxEEZZNS1_16scan_by_key_implILNS1_25lookback_scan_determinismE0ELb0ES3_N6thrust23THRUST_200600_302600_NS6detail15normal_iteratorINS9_10device_ptrIxEEEESE_SE_xNS9_4plusIvEENS9_8equal_toIvEExEE10hipError_tPvRmT2_T3_T4_T5_mT6_T7_P12ihipStream_tbENKUlT_T0_E_clISt17integral_constantIbLb0EESY_IbLb1EEEEDaSU_SV_EUlSU_E_NS1_11comp_targetILNS1_3genE10ELNS1_11target_archE1201ELNS1_3gpuE5ELNS1_3repE0EEENS1_30default_config_static_selectorELNS0_4arch9wavefront6targetE0EEEvT1_
	.globl	_ZN7rocprim17ROCPRIM_400000_NS6detail17trampoline_kernelINS0_14default_configENS1_27scan_by_key_config_selectorIxxEEZZNS1_16scan_by_key_implILNS1_25lookback_scan_determinismE0ELb0ES3_N6thrust23THRUST_200600_302600_NS6detail15normal_iteratorINS9_10device_ptrIxEEEESE_SE_xNS9_4plusIvEENS9_8equal_toIvEExEE10hipError_tPvRmT2_T3_T4_T5_mT6_T7_P12ihipStream_tbENKUlT_T0_E_clISt17integral_constantIbLb0EESY_IbLb1EEEEDaSU_SV_EUlSU_E_NS1_11comp_targetILNS1_3genE10ELNS1_11target_archE1201ELNS1_3gpuE5ELNS1_3repE0EEENS1_30default_config_static_selectorELNS0_4arch9wavefront6targetE0EEEvT1_
	.p2align	8
	.type	_ZN7rocprim17ROCPRIM_400000_NS6detail17trampoline_kernelINS0_14default_configENS1_27scan_by_key_config_selectorIxxEEZZNS1_16scan_by_key_implILNS1_25lookback_scan_determinismE0ELb0ES3_N6thrust23THRUST_200600_302600_NS6detail15normal_iteratorINS9_10device_ptrIxEEEESE_SE_xNS9_4plusIvEENS9_8equal_toIvEExEE10hipError_tPvRmT2_T3_T4_T5_mT6_T7_P12ihipStream_tbENKUlT_T0_E_clISt17integral_constantIbLb0EESY_IbLb1EEEEDaSU_SV_EUlSU_E_NS1_11comp_targetILNS1_3genE10ELNS1_11target_archE1201ELNS1_3gpuE5ELNS1_3repE0EEENS1_30default_config_static_selectorELNS0_4arch9wavefront6targetE0EEEvT1_,@function
_ZN7rocprim17ROCPRIM_400000_NS6detail17trampoline_kernelINS0_14default_configENS1_27scan_by_key_config_selectorIxxEEZZNS1_16scan_by_key_implILNS1_25lookback_scan_determinismE0ELb0ES3_N6thrust23THRUST_200600_302600_NS6detail15normal_iteratorINS9_10device_ptrIxEEEESE_SE_xNS9_4plusIvEENS9_8equal_toIvEExEE10hipError_tPvRmT2_T3_T4_T5_mT6_T7_P12ihipStream_tbENKUlT_T0_E_clISt17integral_constantIbLb0EESY_IbLb1EEEEDaSU_SV_EUlSU_E_NS1_11comp_targetILNS1_3genE10ELNS1_11target_archE1201ELNS1_3gpuE5ELNS1_3repE0EEENS1_30default_config_static_selectorELNS0_4arch9wavefront6targetE0EEEvT1_: ; @_ZN7rocprim17ROCPRIM_400000_NS6detail17trampoline_kernelINS0_14default_configENS1_27scan_by_key_config_selectorIxxEEZZNS1_16scan_by_key_implILNS1_25lookback_scan_determinismE0ELb0ES3_N6thrust23THRUST_200600_302600_NS6detail15normal_iteratorINS9_10device_ptrIxEEEESE_SE_xNS9_4plusIvEENS9_8equal_toIvEExEE10hipError_tPvRmT2_T3_T4_T5_mT6_T7_P12ihipStream_tbENKUlT_T0_E_clISt17integral_constantIbLb0EESY_IbLb1EEEEDaSU_SV_EUlSU_E_NS1_11comp_targetILNS1_3genE10ELNS1_11target_archE1201ELNS1_3gpuE5ELNS1_3repE0EEENS1_30default_config_static_selectorELNS0_4arch9wavefront6targetE0EEEvT1_
; %bb.0:
	.section	.rodata,"a",@progbits
	.p2align	6, 0x0
	.amdhsa_kernel _ZN7rocprim17ROCPRIM_400000_NS6detail17trampoline_kernelINS0_14default_configENS1_27scan_by_key_config_selectorIxxEEZZNS1_16scan_by_key_implILNS1_25lookback_scan_determinismE0ELb0ES3_N6thrust23THRUST_200600_302600_NS6detail15normal_iteratorINS9_10device_ptrIxEEEESE_SE_xNS9_4plusIvEENS9_8equal_toIvEExEE10hipError_tPvRmT2_T3_T4_T5_mT6_T7_P12ihipStream_tbENKUlT_T0_E_clISt17integral_constantIbLb0EESY_IbLb1EEEEDaSU_SV_EUlSU_E_NS1_11comp_targetILNS1_3genE10ELNS1_11target_archE1201ELNS1_3gpuE5ELNS1_3repE0EEENS1_30default_config_static_selectorELNS0_4arch9wavefront6targetE0EEEvT1_
		.amdhsa_group_segment_fixed_size 0
		.amdhsa_private_segment_fixed_size 0
		.amdhsa_kernarg_size 136
		.amdhsa_user_sgpr_count 2
		.amdhsa_user_sgpr_dispatch_ptr 0
		.amdhsa_user_sgpr_queue_ptr 0
		.amdhsa_user_sgpr_kernarg_segment_ptr 1
		.amdhsa_user_sgpr_dispatch_id 0
		.amdhsa_user_sgpr_kernarg_preload_length 0
		.amdhsa_user_sgpr_kernarg_preload_offset 0
		.amdhsa_user_sgpr_private_segment_size 0
		.amdhsa_wavefront_size32 1
		.amdhsa_uses_dynamic_stack 0
		.amdhsa_enable_private_segment 0
		.amdhsa_system_sgpr_workgroup_id_x 1
		.amdhsa_system_sgpr_workgroup_id_y 0
		.amdhsa_system_sgpr_workgroup_id_z 0
		.amdhsa_system_sgpr_workgroup_info 0
		.amdhsa_system_vgpr_workitem_id 0
		.amdhsa_next_free_vgpr 1
		.amdhsa_next_free_sgpr 1
		.amdhsa_named_barrier_count 0
		.amdhsa_reserve_vcc 0
		.amdhsa_float_round_mode_32 0
		.amdhsa_float_round_mode_16_64 0
		.amdhsa_float_denorm_mode_32 3
		.amdhsa_float_denorm_mode_16_64 3
		.amdhsa_fp16_overflow 0
		.amdhsa_memory_ordered 1
		.amdhsa_forward_progress 1
		.amdhsa_inst_pref_size 0
		.amdhsa_round_robin_scheduling 0
		.amdhsa_exception_fp_ieee_invalid_op 0
		.amdhsa_exception_fp_denorm_src 0
		.amdhsa_exception_fp_ieee_div_zero 0
		.amdhsa_exception_fp_ieee_overflow 0
		.amdhsa_exception_fp_ieee_underflow 0
		.amdhsa_exception_fp_ieee_inexact 0
		.amdhsa_exception_int_div_zero 0
	.end_amdhsa_kernel
	.section	.text._ZN7rocprim17ROCPRIM_400000_NS6detail17trampoline_kernelINS0_14default_configENS1_27scan_by_key_config_selectorIxxEEZZNS1_16scan_by_key_implILNS1_25lookback_scan_determinismE0ELb0ES3_N6thrust23THRUST_200600_302600_NS6detail15normal_iteratorINS9_10device_ptrIxEEEESE_SE_xNS9_4plusIvEENS9_8equal_toIvEExEE10hipError_tPvRmT2_T3_T4_T5_mT6_T7_P12ihipStream_tbENKUlT_T0_E_clISt17integral_constantIbLb0EESY_IbLb1EEEEDaSU_SV_EUlSU_E_NS1_11comp_targetILNS1_3genE10ELNS1_11target_archE1201ELNS1_3gpuE5ELNS1_3repE0EEENS1_30default_config_static_selectorELNS0_4arch9wavefront6targetE0EEEvT1_,"axG",@progbits,_ZN7rocprim17ROCPRIM_400000_NS6detail17trampoline_kernelINS0_14default_configENS1_27scan_by_key_config_selectorIxxEEZZNS1_16scan_by_key_implILNS1_25lookback_scan_determinismE0ELb0ES3_N6thrust23THRUST_200600_302600_NS6detail15normal_iteratorINS9_10device_ptrIxEEEESE_SE_xNS9_4plusIvEENS9_8equal_toIvEExEE10hipError_tPvRmT2_T3_T4_T5_mT6_T7_P12ihipStream_tbENKUlT_T0_E_clISt17integral_constantIbLb0EESY_IbLb1EEEEDaSU_SV_EUlSU_E_NS1_11comp_targetILNS1_3genE10ELNS1_11target_archE1201ELNS1_3gpuE5ELNS1_3repE0EEENS1_30default_config_static_selectorELNS0_4arch9wavefront6targetE0EEEvT1_,comdat
.Lfunc_end39:
	.size	_ZN7rocprim17ROCPRIM_400000_NS6detail17trampoline_kernelINS0_14default_configENS1_27scan_by_key_config_selectorIxxEEZZNS1_16scan_by_key_implILNS1_25lookback_scan_determinismE0ELb0ES3_N6thrust23THRUST_200600_302600_NS6detail15normal_iteratorINS9_10device_ptrIxEEEESE_SE_xNS9_4plusIvEENS9_8equal_toIvEExEE10hipError_tPvRmT2_T3_T4_T5_mT6_T7_P12ihipStream_tbENKUlT_T0_E_clISt17integral_constantIbLb0EESY_IbLb1EEEEDaSU_SV_EUlSU_E_NS1_11comp_targetILNS1_3genE10ELNS1_11target_archE1201ELNS1_3gpuE5ELNS1_3repE0EEENS1_30default_config_static_selectorELNS0_4arch9wavefront6targetE0EEEvT1_, .Lfunc_end39-_ZN7rocprim17ROCPRIM_400000_NS6detail17trampoline_kernelINS0_14default_configENS1_27scan_by_key_config_selectorIxxEEZZNS1_16scan_by_key_implILNS1_25lookback_scan_determinismE0ELb0ES3_N6thrust23THRUST_200600_302600_NS6detail15normal_iteratorINS9_10device_ptrIxEEEESE_SE_xNS9_4plusIvEENS9_8equal_toIvEExEE10hipError_tPvRmT2_T3_T4_T5_mT6_T7_P12ihipStream_tbENKUlT_T0_E_clISt17integral_constantIbLb0EESY_IbLb1EEEEDaSU_SV_EUlSU_E_NS1_11comp_targetILNS1_3genE10ELNS1_11target_archE1201ELNS1_3gpuE5ELNS1_3repE0EEENS1_30default_config_static_selectorELNS0_4arch9wavefront6targetE0EEEvT1_
                                        ; -- End function
	.set _ZN7rocprim17ROCPRIM_400000_NS6detail17trampoline_kernelINS0_14default_configENS1_27scan_by_key_config_selectorIxxEEZZNS1_16scan_by_key_implILNS1_25lookback_scan_determinismE0ELb0ES3_N6thrust23THRUST_200600_302600_NS6detail15normal_iteratorINS9_10device_ptrIxEEEESE_SE_xNS9_4plusIvEENS9_8equal_toIvEExEE10hipError_tPvRmT2_T3_T4_T5_mT6_T7_P12ihipStream_tbENKUlT_T0_E_clISt17integral_constantIbLb0EESY_IbLb1EEEEDaSU_SV_EUlSU_E_NS1_11comp_targetILNS1_3genE10ELNS1_11target_archE1201ELNS1_3gpuE5ELNS1_3repE0EEENS1_30default_config_static_selectorELNS0_4arch9wavefront6targetE0EEEvT1_.num_vgpr, 0
	.set _ZN7rocprim17ROCPRIM_400000_NS6detail17trampoline_kernelINS0_14default_configENS1_27scan_by_key_config_selectorIxxEEZZNS1_16scan_by_key_implILNS1_25lookback_scan_determinismE0ELb0ES3_N6thrust23THRUST_200600_302600_NS6detail15normal_iteratorINS9_10device_ptrIxEEEESE_SE_xNS9_4plusIvEENS9_8equal_toIvEExEE10hipError_tPvRmT2_T3_T4_T5_mT6_T7_P12ihipStream_tbENKUlT_T0_E_clISt17integral_constantIbLb0EESY_IbLb1EEEEDaSU_SV_EUlSU_E_NS1_11comp_targetILNS1_3genE10ELNS1_11target_archE1201ELNS1_3gpuE5ELNS1_3repE0EEENS1_30default_config_static_selectorELNS0_4arch9wavefront6targetE0EEEvT1_.num_agpr, 0
	.set _ZN7rocprim17ROCPRIM_400000_NS6detail17trampoline_kernelINS0_14default_configENS1_27scan_by_key_config_selectorIxxEEZZNS1_16scan_by_key_implILNS1_25lookback_scan_determinismE0ELb0ES3_N6thrust23THRUST_200600_302600_NS6detail15normal_iteratorINS9_10device_ptrIxEEEESE_SE_xNS9_4plusIvEENS9_8equal_toIvEExEE10hipError_tPvRmT2_T3_T4_T5_mT6_T7_P12ihipStream_tbENKUlT_T0_E_clISt17integral_constantIbLb0EESY_IbLb1EEEEDaSU_SV_EUlSU_E_NS1_11comp_targetILNS1_3genE10ELNS1_11target_archE1201ELNS1_3gpuE5ELNS1_3repE0EEENS1_30default_config_static_selectorELNS0_4arch9wavefront6targetE0EEEvT1_.numbered_sgpr, 0
	.set _ZN7rocprim17ROCPRIM_400000_NS6detail17trampoline_kernelINS0_14default_configENS1_27scan_by_key_config_selectorIxxEEZZNS1_16scan_by_key_implILNS1_25lookback_scan_determinismE0ELb0ES3_N6thrust23THRUST_200600_302600_NS6detail15normal_iteratorINS9_10device_ptrIxEEEESE_SE_xNS9_4plusIvEENS9_8equal_toIvEExEE10hipError_tPvRmT2_T3_T4_T5_mT6_T7_P12ihipStream_tbENKUlT_T0_E_clISt17integral_constantIbLb0EESY_IbLb1EEEEDaSU_SV_EUlSU_E_NS1_11comp_targetILNS1_3genE10ELNS1_11target_archE1201ELNS1_3gpuE5ELNS1_3repE0EEENS1_30default_config_static_selectorELNS0_4arch9wavefront6targetE0EEEvT1_.num_named_barrier, 0
	.set _ZN7rocprim17ROCPRIM_400000_NS6detail17trampoline_kernelINS0_14default_configENS1_27scan_by_key_config_selectorIxxEEZZNS1_16scan_by_key_implILNS1_25lookback_scan_determinismE0ELb0ES3_N6thrust23THRUST_200600_302600_NS6detail15normal_iteratorINS9_10device_ptrIxEEEESE_SE_xNS9_4plusIvEENS9_8equal_toIvEExEE10hipError_tPvRmT2_T3_T4_T5_mT6_T7_P12ihipStream_tbENKUlT_T0_E_clISt17integral_constantIbLb0EESY_IbLb1EEEEDaSU_SV_EUlSU_E_NS1_11comp_targetILNS1_3genE10ELNS1_11target_archE1201ELNS1_3gpuE5ELNS1_3repE0EEENS1_30default_config_static_selectorELNS0_4arch9wavefront6targetE0EEEvT1_.private_seg_size, 0
	.set _ZN7rocprim17ROCPRIM_400000_NS6detail17trampoline_kernelINS0_14default_configENS1_27scan_by_key_config_selectorIxxEEZZNS1_16scan_by_key_implILNS1_25lookback_scan_determinismE0ELb0ES3_N6thrust23THRUST_200600_302600_NS6detail15normal_iteratorINS9_10device_ptrIxEEEESE_SE_xNS9_4plusIvEENS9_8equal_toIvEExEE10hipError_tPvRmT2_T3_T4_T5_mT6_T7_P12ihipStream_tbENKUlT_T0_E_clISt17integral_constantIbLb0EESY_IbLb1EEEEDaSU_SV_EUlSU_E_NS1_11comp_targetILNS1_3genE10ELNS1_11target_archE1201ELNS1_3gpuE5ELNS1_3repE0EEENS1_30default_config_static_selectorELNS0_4arch9wavefront6targetE0EEEvT1_.uses_vcc, 0
	.set _ZN7rocprim17ROCPRIM_400000_NS6detail17trampoline_kernelINS0_14default_configENS1_27scan_by_key_config_selectorIxxEEZZNS1_16scan_by_key_implILNS1_25lookback_scan_determinismE0ELb0ES3_N6thrust23THRUST_200600_302600_NS6detail15normal_iteratorINS9_10device_ptrIxEEEESE_SE_xNS9_4plusIvEENS9_8equal_toIvEExEE10hipError_tPvRmT2_T3_T4_T5_mT6_T7_P12ihipStream_tbENKUlT_T0_E_clISt17integral_constantIbLb0EESY_IbLb1EEEEDaSU_SV_EUlSU_E_NS1_11comp_targetILNS1_3genE10ELNS1_11target_archE1201ELNS1_3gpuE5ELNS1_3repE0EEENS1_30default_config_static_selectorELNS0_4arch9wavefront6targetE0EEEvT1_.uses_flat_scratch, 0
	.set _ZN7rocprim17ROCPRIM_400000_NS6detail17trampoline_kernelINS0_14default_configENS1_27scan_by_key_config_selectorIxxEEZZNS1_16scan_by_key_implILNS1_25lookback_scan_determinismE0ELb0ES3_N6thrust23THRUST_200600_302600_NS6detail15normal_iteratorINS9_10device_ptrIxEEEESE_SE_xNS9_4plusIvEENS9_8equal_toIvEExEE10hipError_tPvRmT2_T3_T4_T5_mT6_T7_P12ihipStream_tbENKUlT_T0_E_clISt17integral_constantIbLb0EESY_IbLb1EEEEDaSU_SV_EUlSU_E_NS1_11comp_targetILNS1_3genE10ELNS1_11target_archE1201ELNS1_3gpuE5ELNS1_3repE0EEENS1_30default_config_static_selectorELNS0_4arch9wavefront6targetE0EEEvT1_.has_dyn_sized_stack, 0
	.set _ZN7rocprim17ROCPRIM_400000_NS6detail17trampoline_kernelINS0_14default_configENS1_27scan_by_key_config_selectorIxxEEZZNS1_16scan_by_key_implILNS1_25lookback_scan_determinismE0ELb0ES3_N6thrust23THRUST_200600_302600_NS6detail15normal_iteratorINS9_10device_ptrIxEEEESE_SE_xNS9_4plusIvEENS9_8equal_toIvEExEE10hipError_tPvRmT2_T3_T4_T5_mT6_T7_P12ihipStream_tbENKUlT_T0_E_clISt17integral_constantIbLb0EESY_IbLb1EEEEDaSU_SV_EUlSU_E_NS1_11comp_targetILNS1_3genE10ELNS1_11target_archE1201ELNS1_3gpuE5ELNS1_3repE0EEENS1_30default_config_static_selectorELNS0_4arch9wavefront6targetE0EEEvT1_.has_recursion, 0
	.set _ZN7rocprim17ROCPRIM_400000_NS6detail17trampoline_kernelINS0_14default_configENS1_27scan_by_key_config_selectorIxxEEZZNS1_16scan_by_key_implILNS1_25lookback_scan_determinismE0ELb0ES3_N6thrust23THRUST_200600_302600_NS6detail15normal_iteratorINS9_10device_ptrIxEEEESE_SE_xNS9_4plusIvEENS9_8equal_toIvEExEE10hipError_tPvRmT2_T3_T4_T5_mT6_T7_P12ihipStream_tbENKUlT_T0_E_clISt17integral_constantIbLb0EESY_IbLb1EEEEDaSU_SV_EUlSU_E_NS1_11comp_targetILNS1_3genE10ELNS1_11target_archE1201ELNS1_3gpuE5ELNS1_3repE0EEENS1_30default_config_static_selectorELNS0_4arch9wavefront6targetE0EEEvT1_.has_indirect_call, 0
	.section	.AMDGPU.csdata,"",@progbits
; Kernel info:
; codeLenInByte = 0
; TotalNumSgprs: 0
; NumVgprs: 0
; ScratchSize: 0
; MemoryBound: 0
; FloatMode: 240
; IeeeMode: 1
; LDSByteSize: 0 bytes/workgroup (compile time only)
; SGPRBlocks: 0
; VGPRBlocks: 0
; NumSGPRsForWavesPerEU: 1
; NumVGPRsForWavesPerEU: 1
; NamedBarCnt: 0
; Occupancy: 16
; WaveLimiterHint : 0
; COMPUTE_PGM_RSRC2:SCRATCH_EN: 0
; COMPUTE_PGM_RSRC2:USER_SGPR: 2
; COMPUTE_PGM_RSRC2:TRAP_HANDLER: 0
; COMPUTE_PGM_RSRC2:TGID_X_EN: 1
; COMPUTE_PGM_RSRC2:TGID_Y_EN: 0
; COMPUTE_PGM_RSRC2:TGID_Z_EN: 0
; COMPUTE_PGM_RSRC2:TIDIG_COMP_CNT: 0
	.section	.text._ZN7rocprim17ROCPRIM_400000_NS6detail17trampoline_kernelINS0_14default_configENS1_27scan_by_key_config_selectorIxxEEZZNS1_16scan_by_key_implILNS1_25lookback_scan_determinismE0ELb0ES3_N6thrust23THRUST_200600_302600_NS6detail15normal_iteratorINS9_10device_ptrIxEEEESE_SE_xNS9_4plusIvEENS9_8equal_toIvEExEE10hipError_tPvRmT2_T3_T4_T5_mT6_T7_P12ihipStream_tbENKUlT_T0_E_clISt17integral_constantIbLb0EESY_IbLb1EEEEDaSU_SV_EUlSU_E_NS1_11comp_targetILNS1_3genE5ELNS1_11target_archE942ELNS1_3gpuE9ELNS1_3repE0EEENS1_30default_config_static_selectorELNS0_4arch9wavefront6targetE0EEEvT1_,"axG",@progbits,_ZN7rocprim17ROCPRIM_400000_NS6detail17trampoline_kernelINS0_14default_configENS1_27scan_by_key_config_selectorIxxEEZZNS1_16scan_by_key_implILNS1_25lookback_scan_determinismE0ELb0ES3_N6thrust23THRUST_200600_302600_NS6detail15normal_iteratorINS9_10device_ptrIxEEEESE_SE_xNS9_4plusIvEENS9_8equal_toIvEExEE10hipError_tPvRmT2_T3_T4_T5_mT6_T7_P12ihipStream_tbENKUlT_T0_E_clISt17integral_constantIbLb0EESY_IbLb1EEEEDaSU_SV_EUlSU_E_NS1_11comp_targetILNS1_3genE5ELNS1_11target_archE942ELNS1_3gpuE9ELNS1_3repE0EEENS1_30default_config_static_selectorELNS0_4arch9wavefront6targetE0EEEvT1_,comdat
	.protected	_ZN7rocprim17ROCPRIM_400000_NS6detail17trampoline_kernelINS0_14default_configENS1_27scan_by_key_config_selectorIxxEEZZNS1_16scan_by_key_implILNS1_25lookback_scan_determinismE0ELb0ES3_N6thrust23THRUST_200600_302600_NS6detail15normal_iteratorINS9_10device_ptrIxEEEESE_SE_xNS9_4plusIvEENS9_8equal_toIvEExEE10hipError_tPvRmT2_T3_T4_T5_mT6_T7_P12ihipStream_tbENKUlT_T0_E_clISt17integral_constantIbLb0EESY_IbLb1EEEEDaSU_SV_EUlSU_E_NS1_11comp_targetILNS1_3genE5ELNS1_11target_archE942ELNS1_3gpuE9ELNS1_3repE0EEENS1_30default_config_static_selectorELNS0_4arch9wavefront6targetE0EEEvT1_ ; -- Begin function _ZN7rocprim17ROCPRIM_400000_NS6detail17trampoline_kernelINS0_14default_configENS1_27scan_by_key_config_selectorIxxEEZZNS1_16scan_by_key_implILNS1_25lookback_scan_determinismE0ELb0ES3_N6thrust23THRUST_200600_302600_NS6detail15normal_iteratorINS9_10device_ptrIxEEEESE_SE_xNS9_4plusIvEENS9_8equal_toIvEExEE10hipError_tPvRmT2_T3_T4_T5_mT6_T7_P12ihipStream_tbENKUlT_T0_E_clISt17integral_constantIbLb0EESY_IbLb1EEEEDaSU_SV_EUlSU_E_NS1_11comp_targetILNS1_3genE5ELNS1_11target_archE942ELNS1_3gpuE9ELNS1_3repE0EEENS1_30default_config_static_selectorELNS0_4arch9wavefront6targetE0EEEvT1_
	.globl	_ZN7rocprim17ROCPRIM_400000_NS6detail17trampoline_kernelINS0_14default_configENS1_27scan_by_key_config_selectorIxxEEZZNS1_16scan_by_key_implILNS1_25lookback_scan_determinismE0ELb0ES3_N6thrust23THRUST_200600_302600_NS6detail15normal_iteratorINS9_10device_ptrIxEEEESE_SE_xNS9_4plusIvEENS9_8equal_toIvEExEE10hipError_tPvRmT2_T3_T4_T5_mT6_T7_P12ihipStream_tbENKUlT_T0_E_clISt17integral_constantIbLb0EESY_IbLb1EEEEDaSU_SV_EUlSU_E_NS1_11comp_targetILNS1_3genE5ELNS1_11target_archE942ELNS1_3gpuE9ELNS1_3repE0EEENS1_30default_config_static_selectorELNS0_4arch9wavefront6targetE0EEEvT1_
	.p2align	8
	.type	_ZN7rocprim17ROCPRIM_400000_NS6detail17trampoline_kernelINS0_14default_configENS1_27scan_by_key_config_selectorIxxEEZZNS1_16scan_by_key_implILNS1_25lookback_scan_determinismE0ELb0ES3_N6thrust23THRUST_200600_302600_NS6detail15normal_iteratorINS9_10device_ptrIxEEEESE_SE_xNS9_4plusIvEENS9_8equal_toIvEExEE10hipError_tPvRmT2_T3_T4_T5_mT6_T7_P12ihipStream_tbENKUlT_T0_E_clISt17integral_constantIbLb0EESY_IbLb1EEEEDaSU_SV_EUlSU_E_NS1_11comp_targetILNS1_3genE5ELNS1_11target_archE942ELNS1_3gpuE9ELNS1_3repE0EEENS1_30default_config_static_selectorELNS0_4arch9wavefront6targetE0EEEvT1_,@function
_ZN7rocprim17ROCPRIM_400000_NS6detail17trampoline_kernelINS0_14default_configENS1_27scan_by_key_config_selectorIxxEEZZNS1_16scan_by_key_implILNS1_25lookback_scan_determinismE0ELb0ES3_N6thrust23THRUST_200600_302600_NS6detail15normal_iteratorINS9_10device_ptrIxEEEESE_SE_xNS9_4plusIvEENS9_8equal_toIvEExEE10hipError_tPvRmT2_T3_T4_T5_mT6_T7_P12ihipStream_tbENKUlT_T0_E_clISt17integral_constantIbLb0EESY_IbLb1EEEEDaSU_SV_EUlSU_E_NS1_11comp_targetILNS1_3genE5ELNS1_11target_archE942ELNS1_3gpuE9ELNS1_3repE0EEENS1_30default_config_static_selectorELNS0_4arch9wavefront6targetE0EEEvT1_: ; @_ZN7rocprim17ROCPRIM_400000_NS6detail17trampoline_kernelINS0_14default_configENS1_27scan_by_key_config_selectorIxxEEZZNS1_16scan_by_key_implILNS1_25lookback_scan_determinismE0ELb0ES3_N6thrust23THRUST_200600_302600_NS6detail15normal_iteratorINS9_10device_ptrIxEEEESE_SE_xNS9_4plusIvEENS9_8equal_toIvEExEE10hipError_tPvRmT2_T3_T4_T5_mT6_T7_P12ihipStream_tbENKUlT_T0_E_clISt17integral_constantIbLb0EESY_IbLb1EEEEDaSU_SV_EUlSU_E_NS1_11comp_targetILNS1_3genE5ELNS1_11target_archE942ELNS1_3gpuE9ELNS1_3repE0EEENS1_30default_config_static_selectorELNS0_4arch9wavefront6targetE0EEEvT1_
; %bb.0:
	.section	.rodata,"a",@progbits
	.p2align	6, 0x0
	.amdhsa_kernel _ZN7rocprim17ROCPRIM_400000_NS6detail17trampoline_kernelINS0_14default_configENS1_27scan_by_key_config_selectorIxxEEZZNS1_16scan_by_key_implILNS1_25lookback_scan_determinismE0ELb0ES3_N6thrust23THRUST_200600_302600_NS6detail15normal_iteratorINS9_10device_ptrIxEEEESE_SE_xNS9_4plusIvEENS9_8equal_toIvEExEE10hipError_tPvRmT2_T3_T4_T5_mT6_T7_P12ihipStream_tbENKUlT_T0_E_clISt17integral_constantIbLb0EESY_IbLb1EEEEDaSU_SV_EUlSU_E_NS1_11comp_targetILNS1_3genE5ELNS1_11target_archE942ELNS1_3gpuE9ELNS1_3repE0EEENS1_30default_config_static_selectorELNS0_4arch9wavefront6targetE0EEEvT1_
		.amdhsa_group_segment_fixed_size 0
		.amdhsa_private_segment_fixed_size 0
		.amdhsa_kernarg_size 136
		.amdhsa_user_sgpr_count 2
		.amdhsa_user_sgpr_dispatch_ptr 0
		.amdhsa_user_sgpr_queue_ptr 0
		.amdhsa_user_sgpr_kernarg_segment_ptr 1
		.amdhsa_user_sgpr_dispatch_id 0
		.amdhsa_user_sgpr_kernarg_preload_length 0
		.amdhsa_user_sgpr_kernarg_preload_offset 0
		.amdhsa_user_sgpr_private_segment_size 0
		.amdhsa_wavefront_size32 1
		.amdhsa_uses_dynamic_stack 0
		.amdhsa_enable_private_segment 0
		.amdhsa_system_sgpr_workgroup_id_x 1
		.amdhsa_system_sgpr_workgroup_id_y 0
		.amdhsa_system_sgpr_workgroup_id_z 0
		.amdhsa_system_sgpr_workgroup_info 0
		.amdhsa_system_vgpr_workitem_id 0
		.amdhsa_next_free_vgpr 1
		.amdhsa_next_free_sgpr 1
		.amdhsa_named_barrier_count 0
		.amdhsa_reserve_vcc 0
		.amdhsa_float_round_mode_32 0
		.amdhsa_float_round_mode_16_64 0
		.amdhsa_float_denorm_mode_32 3
		.amdhsa_float_denorm_mode_16_64 3
		.amdhsa_fp16_overflow 0
		.amdhsa_memory_ordered 1
		.amdhsa_forward_progress 1
		.amdhsa_inst_pref_size 0
		.amdhsa_round_robin_scheduling 0
		.amdhsa_exception_fp_ieee_invalid_op 0
		.amdhsa_exception_fp_denorm_src 0
		.amdhsa_exception_fp_ieee_div_zero 0
		.amdhsa_exception_fp_ieee_overflow 0
		.amdhsa_exception_fp_ieee_underflow 0
		.amdhsa_exception_fp_ieee_inexact 0
		.amdhsa_exception_int_div_zero 0
	.end_amdhsa_kernel
	.section	.text._ZN7rocprim17ROCPRIM_400000_NS6detail17trampoline_kernelINS0_14default_configENS1_27scan_by_key_config_selectorIxxEEZZNS1_16scan_by_key_implILNS1_25lookback_scan_determinismE0ELb0ES3_N6thrust23THRUST_200600_302600_NS6detail15normal_iteratorINS9_10device_ptrIxEEEESE_SE_xNS9_4plusIvEENS9_8equal_toIvEExEE10hipError_tPvRmT2_T3_T4_T5_mT6_T7_P12ihipStream_tbENKUlT_T0_E_clISt17integral_constantIbLb0EESY_IbLb1EEEEDaSU_SV_EUlSU_E_NS1_11comp_targetILNS1_3genE5ELNS1_11target_archE942ELNS1_3gpuE9ELNS1_3repE0EEENS1_30default_config_static_selectorELNS0_4arch9wavefront6targetE0EEEvT1_,"axG",@progbits,_ZN7rocprim17ROCPRIM_400000_NS6detail17trampoline_kernelINS0_14default_configENS1_27scan_by_key_config_selectorIxxEEZZNS1_16scan_by_key_implILNS1_25lookback_scan_determinismE0ELb0ES3_N6thrust23THRUST_200600_302600_NS6detail15normal_iteratorINS9_10device_ptrIxEEEESE_SE_xNS9_4plusIvEENS9_8equal_toIvEExEE10hipError_tPvRmT2_T3_T4_T5_mT6_T7_P12ihipStream_tbENKUlT_T0_E_clISt17integral_constantIbLb0EESY_IbLb1EEEEDaSU_SV_EUlSU_E_NS1_11comp_targetILNS1_3genE5ELNS1_11target_archE942ELNS1_3gpuE9ELNS1_3repE0EEENS1_30default_config_static_selectorELNS0_4arch9wavefront6targetE0EEEvT1_,comdat
.Lfunc_end40:
	.size	_ZN7rocprim17ROCPRIM_400000_NS6detail17trampoline_kernelINS0_14default_configENS1_27scan_by_key_config_selectorIxxEEZZNS1_16scan_by_key_implILNS1_25lookback_scan_determinismE0ELb0ES3_N6thrust23THRUST_200600_302600_NS6detail15normal_iteratorINS9_10device_ptrIxEEEESE_SE_xNS9_4plusIvEENS9_8equal_toIvEExEE10hipError_tPvRmT2_T3_T4_T5_mT6_T7_P12ihipStream_tbENKUlT_T0_E_clISt17integral_constantIbLb0EESY_IbLb1EEEEDaSU_SV_EUlSU_E_NS1_11comp_targetILNS1_3genE5ELNS1_11target_archE942ELNS1_3gpuE9ELNS1_3repE0EEENS1_30default_config_static_selectorELNS0_4arch9wavefront6targetE0EEEvT1_, .Lfunc_end40-_ZN7rocprim17ROCPRIM_400000_NS6detail17trampoline_kernelINS0_14default_configENS1_27scan_by_key_config_selectorIxxEEZZNS1_16scan_by_key_implILNS1_25lookback_scan_determinismE0ELb0ES3_N6thrust23THRUST_200600_302600_NS6detail15normal_iteratorINS9_10device_ptrIxEEEESE_SE_xNS9_4plusIvEENS9_8equal_toIvEExEE10hipError_tPvRmT2_T3_T4_T5_mT6_T7_P12ihipStream_tbENKUlT_T0_E_clISt17integral_constantIbLb0EESY_IbLb1EEEEDaSU_SV_EUlSU_E_NS1_11comp_targetILNS1_3genE5ELNS1_11target_archE942ELNS1_3gpuE9ELNS1_3repE0EEENS1_30default_config_static_selectorELNS0_4arch9wavefront6targetE0EEEvT1_
                                        ; -- End function
	.set _ZN7rocprim17ROCPRIM_400000_NS6detail17trampoline_kernelINS0_14default_configENS1_27scan_by_key_config_selectorIxxEEZZNS1_16scan_by_key_implILNS1_25lookback_scan_determinismE0ELb0ES3_N6thrust23THRUST_200600_302600_NS6detail15normal_iteratorINS9_10device_ptrIxEEEESE_SE_xNS9_4plusIvEENS9_8equal_toIvEExEE10hipError_tPvRmT2_T3_T4_T5_mT6_T7_P12ihipStream_tbENKUlT_T0_E_clISt17integral_constantIbLb0EESY_IbLb1EEEEDaSU_SV_EUlSU_E_NS1_11comp_targetILNS1_3genE5ELNS1_11target_archE942ELNS1_3gpuE9ELNS1_3repE0EEENS1_30default_config_static_selectorELNS0_4arch9wavefront6targetE0EEEvT1_.num_vgpr, 0
	.set _ZN7rocprim17ROCPRIM_400000_NS6detail17trampoline_kernelINS0_14default_configENS1_27scan_by_key_config_selectorIxxEEZZNS1_16scan_by_key_implILNS1_25lookback_scan_determinismE0ELb0ES3_N6thrust23THRUST_200600_302600_NS6detail15normal_iteratorINS9_10device_ptrIxEEEESE_SE_xNS9_4plusIvEENS9_8equal_toIvEExEE10hipError_tPvRmT2_T3_T4_T5_mT6_T7_P12ihipStream_tbENKUlT_T0_E_clISt17integral_constantIbLb0EESY_IbLb1EEEEDaSU_SV_EUlSU_E_NS1_11comp_targetILNS1_3genE5ELNS1_11target_archE942ELNS1_3gpuE9ELNS1_3repE0EEENS1_30default_config_static_selectorELNS0_4arch9wavefront6targetE0EEEvT1_.num_agpr, 0
	.set _ZN7rocprim17ROCPRIM_400000_NS6detail17trampoline_kernelINS0_14default_configENS1_27scan_by_key_config_selectorIxxEEZZNS1_16scan_by_key_implILNS1_25lookback_scan_determinismE0ELb0ES3_N6thrust23THRUST_200600_302600_NS6detail15normal_iteratorINS9_10device_ptrIxEEEESE_SE_xNS9_4plusIvEENS9_8equal_toIvEExEE10hipError_tPvRmT2_T3_T4_T5_mT6_T7_P12ihipStream_tbENKUlT_T0_E_clISt17integral_constantIbLb0EESY_IbLb1EEEEDaSU_SV_EUlSU_E_NS1_11comp_targetILNS1_3genE5ELNS1_11target_archE942ELNS1_3gpuE9ELNS1_3repE0EEENS1_30default_config_static_selectorELNS0_4arch9wavefront6targetE0EEEvT1_.numbered_sgpr, 0
	.set _ZN7rocprim17ROCPRIM_400000_NS6detail17trampoline_kernelINS0_14default_configENS1_27scan_by_key_config_selectorIxxEEZZNS1_16scan_by_key_implILNS1_25lookback_scan_determinismE0ELb0ES3_N6thrust23THRUST_200600_302600_NS6detail15normal_iteratorINS9_10device_ptrIxEEEESE_SE_xNS9_4plusIvEENS9_8equal_toIvEExEE10hipError_tPvRmT2_T3_T4_T5_mT6_T7_P12ihipStream_tbENKUlT_T0_E_clISt17integral_constantIbLb0EESY_IbLb1EEEEDaSU_SV_EUlSU_E_NS1_11comp_targetILNS1_3genE5ELNS1_11target_archE942ELNS1_3gpuE9ELNS1_3repE0EEENS1_30default_config_static_selectorELNS0_4arch9wavefront6targetE0EEEvT1_.num_named_barrier, 0
	.set _ZN7rocprim17ROCPRIM_400000_NS6detail17trampoline_kernelINS0_14default_configENS1_27scan_by_key_config_selectorIxxEEZZNS1_16scan_by_key_implILNS1_25lookback_scan_determinismE0ELb0ES3_N6thrust23THRUST_200600_302600_NS6detail15normal_iteratorINS9_10device_ptrIxEEEESE_SE_xNS9_4plusIvEENS9_8equal_toIvEExEE10hipError_tPvRmT2_T3_T4_T5_mT6_T7_P12ihipStream_tbENKUlT_T0_E_clISt17integral_constantIbLb0EESY_IbLb1EEEEDaSU_SV_EUlSU_E_NS1_11comp_targetILNS1_3genE5ELNS1_11target_archE942ELNS1_3gpuE9ELNS1_3repE0EEENS1_30default_config_static_selectorELNS0_4arch9wavefront6targetE0EEEvT1_.private_seg_size, 0
	.set _ZN7rocprim17ROCPRIM_400000_NS6detail17trampoline_kernelINS0_14default_configENS1_27scan_by_key_config_selectorIxxEEZZNS1_16scan_by_key_implILNS1_25lookback_scan_determinismE0ELb0ES3_N6thrust23THRUST_200600_302600_NS6detail15normal_iteratorINS9_10device_ptrIxEEEESE_SE_xNS9_4plusIvEENS9_8equal_toIvEExEE10hipError_tPvRmT2_T3_T4_T5_mT6_T7_P12ihipStream_tbENKUlT_T0_E_clISt17integral_constantIbLb0EESY_IbLb1EEEEDaSU_SV_EUlSU_E_NS1_11comp_targetILNS1_3genE5ELNS1_11target_archE942ELNS1_3gpuE9ELNS1_3repE0EEENS1_30default_config_static_selectorELNS0_4arch9wavefront6targetE0EEEvT1_.uses_vcc, 0
	.set _ZN7rocprim17ROCPRIM_400000_NS6detail17trampoline_kernelINS0_14default_configENS1_27scan_by_key_config_selectorIxxEEZZNS1_16scan_by_key_implILNS1_25lookback_scan_determinismE0ELb0ES3_N6thrust23THRUST_200600_302600_NS6detail15normal_iteratorINS9_10device_ptrIxEEEESE_SE_xNS9_4plusIvEENS9_8equal_toIvEExEE10hipError_tPvRmT2_T3_T4_T5_mT6_T7_P12ihipStream_tbENKUlT_T0_E_clISt17integral_constantIbLb0EESY_IbLb1EEEEDaSU_SV_EUlSU_E_NS1_11comp_targetILNS1_3genE5ELNS1_11target_archE942ELNS1_3gpuE9ELNS1_3repE0EEENS1_30default_config_static_selectorELNS0_4arch9wavefront6targetE0EEEvT1_.uses_flat_scratch, 0
	.set _ZN7rocprim17ROCPRIM_400000_NS6detail17trampoline_kernelINS0_14default_configENS1_27scan_by_key_config_selectorIxxEEZZNS1_16scan_by_key_implILNS1_25lookback_scan_determinismE0ELb0ES3_N6thrust23THRUST_200600_302600_NS6detail15normal_iteratorINS9_10device_ptrIxEEEESE_SE_xNS9_4plusIvEENS9_8equal_toIvEExEE10hipError_tPvRmT2_T3_T4_T5_mT6_T7_P12ihipStream_tbENKUlT_T0_E_clISt17integral_constantIbLb0EESY_IbLb1EEEEDaSU_SV_EUlSU_E_NS1_11comp_targetILNS1_3genE5ELNS1_11target_archE942ELNS1_3gpuE9ELNS1_3repE0EEENS1_30default_config_static_selectorELNS0_4arch9wavefront6targetE0EEEvT1_.has_dyn_sized_stack, 0
	.set _ZN7rocprim17ROCPRIM_400000_NS6detail17trampoline_kernelINS0_14default_configENS1_27scan_by_key_config_selectorIxxEEZZNS1_16scan_by_key_implILNS1_25lookback_scan_determinismE0ELb0ES3_N6thrust23THRUST_200600_302600_NS6detail15normal_iteratorINS9_10device_ptrIxEEEESE_SE_xNS9_4plusIvEENS9_8equal_toIvEExEE10hipError_tPvRmT2_T3_T4_T5_mT6_T7_P12ihipStream_tbENKUlT_T0_E_clISt17integral_constantIbLb0EESY_IbLb1EEEEDaSU_SV_EUlSU_E_NS1_11comp_targetILNS1_3genE5ELNS1_11target_archE942ELNS1_3gpuE9ELNS1_3repE0EEENS1_30default_config_static_selectorELNS0_4arch9wavefront6targetE0EEEvT1_.has_recursion, 0
	.set _ZN7rocprim17ROCPRIM_400000_NS6detail17trampoline_kernelINS0_14default_configENS1_27scan_by_key_config_selectorIxxEEZZNS1_16scan_by_key_implILNS1_25lookback_scan_determinismE0ELb0ES3_N6thrust23THRUST_200600_302600_NS6detail15normal_iteratorINS9_10device_ptrIxEEEESE_SE_xNS9_4plusIvEENS9_8equal_toIvEExEE10hipError_tPvRmT2_T3_T4_T5_mT6_T7_P12ihipStream_tbENKUlT_T0_E_clISt17integral_constantIbLb0EESY_IbLb1EEEEDaSU_SV_EUlSU_E_NS1_11comp_targetILNS1_3genE5ELNS1_11target_archE942ELNS1_3gpuE9ELNS1_3repE0EEENS1_30default_config_static_selectorELNS0_4arch9wavefront6targetE0EEEvT1_.has_indirect_call, 0
	.section	.AMDGPU.csdata,"",@progbits
; Kernel info:
; codeLenInByte = 0
; TotalNumSgprs: 0
; NumVgprs: 0
; ScratchSize: 0
; MemoryBound: 0
; FloatMode: 240
; IeeeMode: 1
; LDSByteSize: 0 bytes/workgroup (compile time only)
; SGPRBlocks: 0
; VGPRBlocks: 0
; NumSGPRsForWavesPerEU: 1
; NumVGPRsForWavesPerEU: 1
; NamedBarCnt: 0
; Occupancy: 16
; WaveLimiterHint : 0
; COMPUTE_PGM_RSRC2:SCRATCH_EN: 0
; COMPUTE_PGM_RSRC2:USER_SGPR: 2
; COMPUTE_PGM_RSRC2:TRAP_HANDLER: 0
; COMPUTE_PGM_RSRC2:TGID_X_EN: 1
; COMPUTE_PGM_RSRC2:TGID_Y_EN: 0
; COMPUTE_PGM_RSRC2:TGID_Z_EN: 0
; COMPUTE_PGM_RSRC2:TIDIG_COMP_CNT: 0
	.section	.text._ZN7rocprim17ROCPRIM_400000_NS6detail17trampoline_kernelINS0_14default_configENS1_27scan_by_key_config_selectorIxxEEZZNS1_16scan_by_key_implILNS1_25lookback_scan_determinismE0ELb0ES3_N6thrust23THRUST_200600_302600_NS6detail15normal_iteratorINS9_10device_ptrIxEEEESE_SE_xNS9_4plusIvEENS9_8equal_toIvEExEE10hipError_tPvRmT2_T3_T4_T5_mT6_T7_P12ihipStream_tbENKUlT_T0_E_clISt17integral_constantIbLb0EESY_IbLb1EEEEDaSU_SV_EUlSU_E_NS1_11comp_targetILNS1_3genE4ELNS1_11target_archE910ELNS1_3gpuE8ELNS1_3repE0EEENS1_30default_config_static_selectorELNS0_4arch9wavefront6targetE0EEEvT1_,"axG",@progbits,_ZN7rocprim17ROCPRIM_400000_NS6detail17trampoline_kernelINS0_14default_configENS1_27scan_by_key_config_selectorIxxEEZZNS1_16scan_by_key_implILNS1_25lookback_scan_determinismE0ELb0ES3_N6thrust23THRUST_200600_302600_NS6detail15normal_iteratorINS9_10device_ptrIxEEEESE_SE_xNS9_4plusIvEENS9_8equal_toIvEExEE10hipError_tPvRmT2_T3_T4_T5_mT6_T7_P12ihipStream_tbENKUlT_T0_E_clISt17integral_constantIbLb0EESY_IbLb1EEEEDaSU_SV_EUlSU_E_NS1_11comp_targetILNS1_3genE4ELNS1_11target_archE910ELNS1_3gpuE8ELNS1_3repE0EEENS1_30default_config_static_selectorELNS0_4arch9wavefront6targetE0EEEvT1_,comdat
	.protected	_ZN7rocprim17ROCPRIM_400000_NS6detail17trampoline_kernelINS0_14default_configENS1_27scan_by_key_config_selectorIxxEEZZNS1_16scan_by_key_implILNS1_25lookback_scan_determinismE0ELb0ES3_N6thrust23THRUST_200600_302600_NS6detail15normal_iteratorINS9_10device_ptrIxEEEESE_SE_xNS9_4plusIvEENS9_8equal_toIvEExEE10hipError_tPvRmT2_T3_T4_T5_mT6_T7_P12ihipStream_tbENKUlT_T0_E_clISt17integral_constantIbLb0EESY_IbLb1EEEEDaSU_SV_EUlSU_E_NS1_11comp_targetILNS1_3genE4ELNS1_11target_archE910ELNS1_3gpuE8ELNS1_3repE0EEENS1_30default_config_static_selectorELNS0_4arch9wavefront6targetE0EEEvT1_ ; -- Begin function _ZN7rocprim17ROCPRIM_400000_NS6detail17trampoline_kernelINS0_14default_configENS1_27scan_by_key_config_selectorIxxEEZZNS1_16scan_by_key_implILNS1_25lookback_scan_determinismE0ELb0ES3_N6thrust23THRUST_200600_302600_NS6detail15normal_iteratorINS9_10device_ptrIxEEEESE_SE_xNS9_4plusIvEENS9_8equal_toIvEExEE10hipError_tPvRmT2_T3_T4_T5_mT6_T7_P12ihipStream_tbENKUlT_T0_E_clISt17integral_constantIbLb0EESY_IbLb1EEEEDaSU_SV_EUlSU_E_NS1_11comp_targetILNS1_3genE4ELNS1_11target_archE910ELNS1_3gpuE8ELNS1_3repE0EEENS1_30default_config_static_selectorELNS0_4arch9wavefront6targetE0EEEvT1_
	.globl	_ZN7rocprim17ROCPRIM_400000_NS6detail17trampoline_kernelINS0_14default_configENS1_27scan_by_key_config_selectorIxxEEZZNS1_16scan_by_key_implILNS1_25lookback_scan_determinismE0ELb0ES3_N6thrust23THRUST_200600_302600_NS6detail15normal_iteratorINS9_10device_ptrIxEEEESE_SE_xNS9_4plusIvEENS9_8equal_toIvEExEE10hipError_tPvRmT2_T3_T4_T5_mT6_T7_P12ihipStream_tbENKUlT_T0_E_clISt17integral_constantIbLb0EESY_IbLb1EEEEDaSU_SV_EUlSU_E_NS1_11comp_targetILNS1_3genE4ELNS1_11target_archE910ELNS1_3gpuE8ELNS1_3repE0EEENS1_30default_config_static_selectorELNS0_4arch9wavefront6targetE0EEEvT1_
	.p2align	8
	.type	_ZN7rocprim17ROCPRIM_400000_NS6detail17trampoline_kernelINS0_14default_configENS1_27scan_by_key_config_selectorIxxEEZZNS1_16scan_by_key_implILNS1_25lookback_scan_determinismE0ELb0ES3_N6thrust23THRUST_200600_302600_NS6detail15normal_iteratorINS9_10device_ptrIxEEEESE_SE_xNS9_4plusIvEENS9_8equal_toIvEExEE10hipError_tPvRmT2_T3_T4_T5_mT6_T7_P12ihipStream_tbENKUlT_T0_E_clISt17integral_constantIbLb0EESY_IbLb1EEEEDaSU_SV_EUlSU_E_NS1_11comp_targetILNS1_3genE4ELNS1_11target_archE910ELNS1_3gpuE8ELNS1_3repE0EEENS1_30default_config_static_selectorELNS0_4arch9wavefront6targetE0EEEvT1_,@function
_ZN7rocprim17ROCPRIM_400000_NS6detail17trampoline_kernelINS0_14default_configENS1_27scan_by_key_config_selectorIxxEEZZNS1_16scan_by_key_implILNS1_25lookback_scan_determinismE0ELb0ES3_N6thrust23THRUST_200600_302600_NS6detail15normal_iteratorINS9_10device_ptrIxEEEESE_SE_xNS9_4plusIvEENS9_8equal_toIvEExEE10hipError_tPvRmT2_T3_T4_T5_mT6_T7_P12ihipStream_tbENKUlT_T0_E_clISt17integral_constantIbLb0EESY_IbLb1EEEEDaSU_SV_EUlSU_E_NS1_11comp_targetILNS1_3genE4ELNS1_11target_archE910ELNS1_3gpuE8ELNS1_3repE0EEENS1_30default_config_static_selectorELNS0_4arch9wavefront6targetE0EEEvT1_: ; @_ZN7rocprim17ROCPRIM_400000_NS6detail17trampoline_kernelINS0_14default_configENS1_27scan_by_key_config_selectorIxxEEZZNS1_16scan_by_key_implILNS1_25lookback_scan_determinismE0ELb0ES3_N6thrust23THRUST_200600_302600_NS6detail15normal_iteratorINS9_10device_ptrIxEEEESE_SE_xNS9_4plusIvEENS9_8equal_toIvEExEE10hipError_tPvRmT2_T3_T4_T5_mT6_T7_P12ihipStream_tbENKUlT_T0_E_clISt17integral_constantIbLb0EESY_IbLb1EEEEDaSU_SV_EUlSU_E_NS1_11comp_targetILNS1_3genE4ELNS1_11target_archE910ELNS1_3gpuE8ELNS1_3repE0EEENS1_30default_config_static_selectorELNS0_4arch9wavefront6targetE0EEEvT1_
; %bb.0:
	.section	.rodata,"a",@progbits
	.p2align	6, 0x0
	.amdhsa_kernel _ZN7rocprim17ROCPRIM_400000_NS6detail17trampoline_kernelINS0_14default_configENS1_27scan_by_key_config_selectorIxxEEZZNS1_16scan_by_key_implILNS1_25lookback_scan_determinismE0ELb0ES3_N6thrust23THRUST_200600_302600_NS6detail15normal_iteratorINS9_10device_ptrIxEEEESE_SE_xNS9_4plusIvEENS9_8equal_toIvEExEE10hipError_tPvRmT2_T3_T4_T5_mT6_T7_P12ihipStream_tbENKUlT_T0_E_clISt17integral_constantIbLb0EESY_IbLb1EEEEDaSU_SV_EUlSU_E_NS1_11comp_targetILNS1_3genE4ELNS1_11target_archE910ELNS1_3gpuE8ELNS1_3repE0EEENS1_30default_config_static_selectorELNS0_4arch9wavefront6targetE0EEEvT1_
		.amdhsa_group_segment_fixed_size 0
		.amdhsa_private_segment_fixed_size 0
		.amdhsa_kernarg_size 136
		.amdhsa_user_sgpr_count 2
		.amdhsa_user_sgpr_dispatch_ptr 0
		.amdhsa_user_sgpr_queue_ptr 0
		.amdhsa_user_sgpr_kernarg_segment_ptr 1
		.amdhsa_user_sgpr_dispatch_id 0
		.amdhsa_user_sgpr_kernarg_preload_length 0
		.amdhsa_user_sgpr_kernarg_preload_offset 0
		.amdhsa_user_sgpr_private_segment_size 0
		.amdhsa_wavefront_size32 1
		.amdhsa_uses_dynamic_stack 0
		.amdhsa_enable_private_segment 0
		.amdhsa_system_sgpr_workgroup_id_x 1
		.amdhsa_system_sgpr_workgroup_id_y 0
		.amdhsa_system_sgpr_workgroup_id_z 0
		.amdhsa_system_sgpr_workgroup_info 0
		.amdhsa_system_vgpr_workitem_id 0
		.amdhsa_next_free_vgpr 1
		.amdhsa_next_free_sgpr 1
		.amdhsa_named_barrier_count 0
		.amdhsa_reserve_vcc 0
		.amdhsa_float_round_mode_32 0
		.amdhsa_float_round_mode_16_64 0
		.amdhsa_float_denorm_mode_32 3
		.amdhsa_float_denorm_mode_16_64 3
		.amdhsa_fp16_overflow 0
		.amdhsa_memory_ordered 1
		.amdhsa_forward_progress 1
		.amdhsa_inst_pref_size 0
		.amdhsa_round_robin_scheduling 0
		.amdhsa_exception_fp_ieee_invalid_op 0
		.amdhsa_exception_fp_denorm_src 0
		.amdhsa_exception_fp_ieee_div_zero 0
		.amdhsa_exception_fp_ieee_overflow 0
		.amdhsa_exception_fp_ieee_underflow 0
		.amdhsa_exception_fp_ieee_inexact 0
		.amdhsa_exception_int_div_zero 0
	.end_amdhsa_kernel
	.section	.text._ZN7rocprim17ROCPRIM_400000_NS6detail17trampoline_kernelINS0_14default_configENS1_27scan_by_key_config_selectorIxxEEZZNS1_16scan_by_key_implILNS1_25lookback_scan_determinismE0ELb0ES3_N6thrust23THRUST_200600_302600_NS6detail15normal_iteratorINS9_10device_ptrIxEEEESE_SE_xNS9_4plusIvEENS9_8equal_toIvEExEE10hipError_tPvRmT2_T3_T4_T5_mT6_T7_P12ihipStream_tbENKUlT_T0_E_clISt17integral_constantIbLb0EESY_IbLb1EEEEDaSU_SV_EUlSU_E_NS1_11comp_targetILNS1_3genE4ELNS1_11target_archE910ELNS1_3gpuE8ELNS1_3repE0EEENS1_30default_config_static_selectorELNS0_4arch9wavefront6targetE0EEEvT1_,"axG",@progbits,_ZN7rocprim17ROCPRIM_400000_NS6detail17trampoline_kernelINS0_14default_configENS1_27scan_by_key_config_selectorIxxEEZZNS1_16scan_by_key_implILNS1_25lookback_scan_determinismE0ELb0ES3_N6thrust23THRUST_200600_302600_NS6detail15normal_iteratorINS9_10device_ptrIxEEEESE_SE_xNS9_4plusIvEENS9_8equal_toIvEExEE10hipError_tPvRmT2_T3_T4_T5_mT6_T7_P12ihipStream_tbENKUlT_T0_E_clISt17integral_constantIbLb0EESY_IbLb1EEEEDaSU_SV_EUlSU_E_NS1_11comp_targetILNS1_3genE4ELNS1_11target_archE910ELNS1_3gpuE8ELNS1_3repE0EEENS1_30default_config_static_selectorELNS0_4arch9wavefront6targetE0EEEvT1_,comdat
.Lfunc_end41:
	.size	_ZN7rocprim17ROCPRIM_400000_NS6detail17trampoline_kernelINS0_14default_configENS1_27scan_by_key_config_selectorIxxEEZZNS1_16scan_by_key_implILNS1_25lookback_scan_determinismE0ELb0ES3_N6thrust23THRUST_200600_302600_NS6detail15normal_iteratorINS9_10device_ptrIxEEEESE_SE_xNS9_4plusIvEENS9_8equal_toIvEExEE10hipError_tPvRmT2_T3_T4_T5_mT6_T7_P12ihipStream_tbENKUlT_T0_E_clISt17integral_constantIbLb0EESY_IbLb1EEEEDaSU_SV_EUlSU_E_NS1_11comp_targetILNS1_3genE4ELNS1_11target_archE910ELNS1_3gpuE8ELNS1_3repE0EEENS1_30default_config_static_selectorELNS0_4arch9wavefront6targetE0EEEvT1_, .Lfunc_end41-_ZN7rocprim17ROCPRIM_400000_NS6detail17trampoline_kernelINS0_14default_configENS1_27scan_by_key_config_selectorIxxEEZZNS1_16scan_by_key_implILNS1_25lookback_scan_determinismE0ELb0ES3_N6thrust23THRUST_200600_302600_NS6detail15normal_iteratorINS9_10device_ptrIxEEEESE_SE_xNS9_4plusIvEENS9_8equal_toIvEExEE10hipError_tPvRmT2_T3_T4_T5_mT6_T7_P12ihipStream_tbENKUlT_T0_E_clISt17integral_constantIbLb0EESY_IbLb1EEEEDaSU_SV_EUlSU_E_NS1_11comp_targetILNS1_3genE4ELNS1_11target_archE910ELNS1_3gpuE8ELNS1_3repE0EEENS1_30default_config_static_selectorELNS0_4arch9wavefront6targetE0EEEvT1_
                                        ; -- End function
	.set _ZN7rocprim17ROCPRIM_400000_NS6detail17trampoline_kernelINS0_14default_configENS1_27scan_by_key_config_selectorIxxEEZZNS1_16scan_by_key_implILNS1_25lookback_scan_determinismE0ELb0ES3_N6thrust23THRUST_200600_302600_NS6detail15normal_iteratorINS9_10device_ptrIxEEEESE_SE_xNS9_4plusIvEENS9_8equal_toIvEExEE10hipError_tPvRmT2_T3_T4_T5_mT6_T7_P12ihipStream_tbENKUlT_T0_E_clISt17integral_constantIbLb0EESY_IbLb1EEEEDaSU_SV_EUlSU_E_NS1_11comp_targetILNS1_3genE4ELNS1_11target_archE910ELNS1_3gpuE8ELNS1_3repE0EEENS1_30default_config_static_selectorELNS0_4arch9wavefront6targetE0EEEvT1_.num_vgpr, 0
	.set _ZN7rocprim17ROCPRIM_400000_NS6detail17trampoline_kernelINS0_14default_configENS1_27scan_by_key_config_selectorIxxEEZZNS1_16scan_by_key_implILNS1_25lookback_scan_determinismE0ELb0ES3_N6thrust23THRUST_200600_302600_NS6detail15normal_iteratorINS9_10device_ptrIxEEEESE_SE_xNS9_4plusIvEENS9_8equal_toIvEExEE10hipError_tPvRmT2_T3_T4_T5_mT6_T7_P12ihipStream_tbENKUlT_T0_E_clISt17integral_constantIbLb0EESY_IbLb1EEEEDaSU_SV_EUlSU_E_NS1_11comp_targetILNS1_3genE4ELNS1_11target_archE910ELNS1_3gpuE8ELNS1_3repE0EEENS1_30default_config_static_selectorELNS0_4arch9wavefront6targetE0EEEvT1_.num_agpr, 0
	.set _ZN7rocprim17ROCPRIM_400000_NS6detail17trampoline_kernelINS0_14default_configENS1_27scan_by_key_config_selectorIxxEEZZNS1_16scan_by_key_implILNS1_25lookback_scan_determinismE0ELb0ES3_N6thrust23THRUST_200600_302600_NS6detail15normal_iteratorINS9_10device_ptrIxEEEESE_SE_xNS9_4plusIvEENS9_8equal_toIvEExEE10hipError_tPvRmT2_T3_T4_T5_mT6_T7_P12ihipStream_tbENKUlT_T0_E_clISt17integral_constantIbLb0EESY_IbLb1EEEEDaSU_SV_EUlSU_E_NS1_11comp_targetILNS1_3genE4ELNS1_11target_archE910ELNS1_3gpuE8ELNS1_3repE0EEENS1_30default_config_static_selectorELNS0_4arch9wavefront6targetE0EEEvT1_.numbered_sgpr, 0
	.set _ZN7rocprim17ROCPRIM_400000_NS6detail17trampoline_kernelINS0_14default_configENS1_27scan_by_key_config_selectorIxxEEZZNS1_16scan_by_key_implILNS1_25lookback_scan_determinismE0ELb0ES3_N6thrust23THRUST_200600_302600_NS6detail15normal_iteratorINS9_10device_ptrIxEEEESE_SE_xNS9_4plusIvEENS9_8equal_toIvEExEE10hipError_tPvRmT2_T3_T4_T5_mT6_T7_P12ihipStream_tbENKUlT_T0_E_clISt17integral_constantIbLb0EESY_IbLb1EEEEDaSU_SV_EUlSU_E_NS1_11comp_targetILNS1_3genE4ELNS1_11target_archE910ELNS1_3gpuE8ELNS1_3repE0EEENS1_30default_config_static_selectorELNS0_4arch9wavefront6targetE0EEEvT1_.num_named_barrier, 0
	.set _ZN7rocprim17ROCPRIM_400000_NS6detail17trampoline_kernelINS0_14default_configENS1_27scan_by_key_config_selectorIxxEEZZNS1_16scan_by_key_implILNS1_25lookback_scan_determinismE0ELb0ES3_N6thrust23THRUST_200600_302600_NS6detail15normal_iteratorINS9_10device_ptrIxEEEESE_SE_xNS9_4plusIvEENS9_8equal_toIvEExEE10hipError_tPvRmT2_T3_T4_T5_mT6_T7_P12ihipStream_tbENKUlT_T0_E_clISt17integral_constantIbLb0EESY_IbLb1EEEEDaSU_SV_EUlSU_E_NS1_11comp_targetILNS1_3genE4ELNS1_11target_archE910ELNS1_3gpuE8ELNS1_3repE0EEENS1_30default_config_static_selectorELNS0_4arch9wavefront6targetE0EEEvT1_.private_seg_size, 0
	.set _ZN7rocprim17ROCPRIM_400000_NS6detail17trampoline_kernelINS0_14default_configENS1_27scan_by_key_config_selectorIxxEEZZNS1_16scan_by_key_implILNS1_25lookback_scan_determinismE0ELb0ES3_N6thrust23THRUST_200600_302600_NS6detail15normal_iteratorINS9_10device_ptrIxEEEESE_SE_xNS9_4plusIvEENS9_8equal_toIvEExEE10hipError_tPvRmT2_T3_T4_T5_mT6_T7_P12ihipStream_tbENKUlT_T0_E_clISt17integral_constantIbLb0EESY_IbLb1EEEEDaSU_SV_EUlSU_E_NS1_11comp_targetILNS1_3genE4ELNS1_11target_archE910ELNS1_3gpuE8ELNS1_3repE0EEENS1_30default_config_static_selectorELNS0_4arch9wavefront6targetE0EEEvT1_.uses_vcc, 0
	.set _ZN7rocprim17ROCPRIM_400000_NS6detail17trampoline_kernelINS0_14default_configENS1_27scan_by_key_config_selectorIxxEEZZNS1_16scan_by_key_implILNS1_25lookback_scan_determinismE0ELb0ES3_N6thrust23THRUST_200600_302600_NS6detail15normal_iteratorINS9_10device_ptrIxEEEESE_SE_xNS9_4plusIvEENS9_8equal_toIvEExEE10hipError_tPvRmT2_T3_T4_T5_mT6_T7_P12ihipStream_tbENKUlT_T0_E_clISt17integral_constantIbLb0EESY_IbLb1EEEEDaSU_SV_EUlSU_E_NS1_11comp_targetILNS1_3genE4ELNS1_11target_archE910ELNS1_3gpuE8ELNS1_3repE0EEENS1_30default_config_static_selectorELNS0_4arch9wavefront6targetE0EEEvT1_.uses_flat_scratch, 0
	.set _ZN7rocprim17ROCPRIM_400000_NS6detail17trampoline_kernelINS0_14default_configENS1_27scan_by_key_config_selectorIxxEEZZNS1_16scan_by_key_implILNS1_25lookback_scan_determinismE0ELb0ES3_N6thrust23THRUST_200600_302600_NS6detail15normal_iteratorINS9_10device_ptrIxEEEESE_SE_xNS9_4plusIvEENS9_8equal_toIvEExEE10hipError_tPvRmT2_T3_T4_T5_mT6_T7_P12ihipStream_tbENKUlT_T0_E_clISt17integral_constantIbLb0EESY_IbLb1EEEEDaSU_SV_EUlSU_E_NS1_11comp_targetILNS1_3genE4ELNS1_11target_archE910ELNS1_3gpuE8ELNS1_3repE0EEENS1_30default_config_static_selectorELNS0_4arch9wavefront6targetE0EEEvT1_.has_dyn_sized_stack, 0
	.set _ZN7rocprim17ROCPRIM_400000_NS6detail17trampoline_kernelINS0_14default_configENS1_27scan_by_key_config_selectorIxxEEZZNS1_16scan_by_key_implILNS1_25lookback_scan_determinismE0ELb0ES3_N6thrust23THRUST_200600_302600_NS6detail15normal_iteratorINS9_10device_ptrIxEEEESE_SE_xNS9_4plusIvEENS9_8equal_toIvEExEE10hipError_tPvRmT2_T3_T4_T5_mT6_T7_P12ihipStream_tbENKUlT_T0_E_clISt17integral_constantIbLb0EESY_IbLb1EEEEDaSU_SV_EUlSU_E_NS1_11comp_targetILNS1_3genE4ELNS1_11target_archE910ELNS1_3gpuE8ELNS1_3repE0EEENS1_30default_config_static_selectorELNS0_4arch9wavefront6targetE0EEEvT1_.has_recursion, 0
	.set _ZN7rocprim17ROCPRIM_400000_NS6detail17trampoline_kernelINS0_14default_configENS1_27scan_by_key_config_selectorIxxEEZZNS1_16scan_by_key_implILNS1_25lookback_scan_determinismE0ELb0ES3_N6thrust23THRUST_200600_302600_NS6detail15normal_iteratorINS9_10device_ptrIxEEEESE_SE_xNS9_4plusIvEENS9_8equal_toIvEExEE10hipError_tPvRmT2_T3_T4_T5_mT6_T7_P12ihipStream_tbENKUlT_T0_E_clISt17integral_constantIbLb0EESY_IbLb1EEEEDaSU_SV_EUlSU_E_NS1_11comp_targetILNS1_3genE4ELNS1_11target_archE910ELNS1_3gpuE8ELNS1_3repE0EEENS1_30default_config_static_selectorELNS0_4arch9wavefront6targetE0EEEvT1_.has_indirect_call, 0
	.section	.AMDGPU.csdata,"",@progbits
; Kernel info:
; codeLenInByte = 0
; TotalNumSgprs: 0
; NumVgprs: 0
; ScratchSize: 0
; MemoryBound: 0
; FloatMode: 240
; IeeeMode: 1
; LDSByteSize: 0 bytes/workgroup (compile time only)
; SGPRBlocks: 0
; VGPRBlocks: 0
; NumSGPRsForWavesPerEU: 1
; NumVGPRsForWavesPerEU: 1
; NamedBarCnt: 0
; Occupancy: 16
; WaveLimiterHint : 0
; COMPUTE_PGM_RSRC2:SCRATCH_EN: 0
; COMPUTE_PGM_RSRC2:USER_SGPR: 2
; COMPUTE_PGM_RSRC2:TRAP_HANDLER: 0
; COMPUTE_PGM_RSRC2:TGID_X_EN: 1
; COMPUTE_PGM_RSRC2:TGID_Y_EN: 0
; COMPUTE_PGM_RSRC2:TGID_Z_EN: 0
; COMPUTE_PGM_RSRC2:TIDIG_COMP_CNT: 0
	.section	.text._ZN7rocprim17ROCPRIM_400000_NS6detail17trampoline_kernelINS0_14default_configENS1_27scan_by_key_config_selectorIxxEEZZNS1_16scan_by_key_implILNS1_25lookback_scan_determinismE0ELb0ES3_N6thrust23THRUST_200600_302600_NS6detail15normal_iteratorINS9_10device_ptrIxEEEESE_SE_xNS9_4plusIvEENS9_8equal_toIvEExEE10hipError_tPvRmT2_T3_T4_T5_mT6_T7_P12ihipStream_tbENKUlT_T0_E_clISt17integral_constantIbLb0EESY_IbLb1EEEEDaSU_SV_EUlSU_E_NS1_11comp_targetILNS1_3genE3ELNS1_11target_archE908ELNS1_3gpuE7ELNS1_3repE0EEENS1_30default_config_static_selectorELNS0_4arch9wavefront6targetE0EEEvT1_,"axG",@progbits,_ZN7rocprim17ROCPRIM_400000_NS6detail17trampoline_kernelINS0_14default_configENS1_27scan_by_key_config_selectorIxxEEZZNS1_16scan_by_key_implILNS1_25lookback_scan_determinismE0ELb0ES3_N6thrust23THRUST_200600_302600_NS6detail15normal_iteratorINS9_10device_ptrIxEEEESE_SE_xNS9_4plusIvEENS9_8equal_toIvEExEE10hipError_tPvRmT2_T3_T4_T5_mT6_T7_P12ihipStream_tbENKUlT_T0_E_clISt17integral_constantIbLb0EESY_IbLb1EEEEDaSU_SV_EUlSU_E_NS1_11comp_targetILNS1_3genE3ELNS1_11target_archE908ELNS1_3gpuE7ELNS1_3repE0EEENS1_30default_config_static_selectorELNS0_4arch9wavefront6targetE0EEEvT1_,comdat
	.protected	_ZN7rocprim17ROCPRIM_400000_NS6detail17trampoline_kernelINS0_14default_configENS1_27scan_by_key_config_selectorIxxEEZZNS1_16scan_by_key_implILNS1_25lookback_scan_determinismE0ELb0ES3_N6thrust23THRUST_200600_302600_NS6detail15normal_iteratorINS9_10device_ptrIxEEEESE_SE_xNS9_4plusIvEENS9_8equal_toIvEExEE10hipError_tPvRmT2_T3_T4_T5_mT6_T7_P12ihipStream_tbENKUlT_T0_E_clISt17integral_constantIbLb0EESY_IbLb1EEEEDaSU_SV_EUlSU_E_NS1_11comp_targetILNS1_3genE3ELNS1_11target_archE908ELNS1_3gpuE7ELNS1_3repE0EEENS1_30default_config_static_selectorELNS0_4arch9wavefront6targetE0EEEvT1_ ; -- Begin function _ZN7rocprim17ROCPRIM_400000_NS6detail17trampoline_kernelINS0_14default_configENS1_27scan_by_key_config_selectorIxxEEZZNS1_16scan_by_key_implILNS1_25lookback_scan_determinismE0ELb0ES3_N6thrust23THRUST_200600_302600_NS6detail15normal_iteratorINS9_10device_ptrIxEEEESE_SE_xNS9_4plusIvEENS9_8equal_toIvEExEE10hipError_tPvRmT2_T3_T4_T5_mT6_T7_P12ihipStream_tbENKUlT_T0_E_clISt17integral_constantIbLb0EESY_IbLb1EEEEDaSU_SV_EUlSU_E_NS1_11comp_targetILNS1_3genE3ELNS1_11target_archE908ELNS1_3gpuE7ELNS1_3repE0EEENS1_30default_config_static_selectorELNS0_4arch9wavefront6targetE0EEEvT1_
	.globl	_ZN7rocprim17ROCPRIM_400000_NS6detail17trampoline_kernelINS0_14default_configENS1_27scan_by_key_config_selectorIxxEEZZNS1_16scan_by_key_implILNS1_25lookback_scan_determinismE0ELb0ES3_N6thrust23THRUST_200600_302600_NS6detail15normal_iteratorINS9_10device_ptrIxEEEESE_SE_xNS9_4plusIvEENS9_8equal_toIvEExEE10hipError_tPvRmT2_T3_T4_T5_mT6_T7_P12ihipStream_tbENKUlT_T0_E_clISt17integral_constantIbLb0EESY_IbLb1EEEEDaSU_SV_EUlSU_E_NS1_11comp_targetILNS1_3genE3ELNS1_11target_archE908ELNS1_3gpuE7ELNS1_3repE0EEENS1_30default_config_static_selectorELNS0_4arch9wavefront6targetE0EEEvT1_
	.p2align	8
	.type	_ZN7rocprim17ROCPRIM_400000_NS6detail17trampoline_kernelINS0_14default_configENS1_27scan_by_key_config_selectorIxxEEZZNS1_16scan_by_key_implILNS1_25lookback_scan_determinismE0ELb0ES3_N6thrust23THRUST_200600_302600_NS6detail15normal_iteratorINS9_10device_ptrIxEEEESE_SE_xNS9_4plusIvEENS9_8equal_toIvEExEE10hipError_tPvRmT2_T3_T4_T5_mT6_T7_P12ihipStream_tbENKUlT_T0_E_clISt17integral_constantIbLb0EESY_IbLb1EEEEDaSU_SV_EUlSU_E_NS1_11comp_targetILNS1_3genE3ELNS1_11target_archE908ELNS1_3gpuE7ELNS1_3repE0EEENS1_30default_config_static_selectorELNS0_4arch9wavefront6targetE0EEEvT1_,@function
_ZN7rocprim17ROCPRIM_400000_NS6detail17trampoline_kernelINS0_14default_configENS1_27scan_by_key_config_selectorIxxEEZZNS1_16scan_by_key_implILNS1_25lookback_scan_determinismE0ELb0ES3_N6thrust23THRUST_200600_302600_NS6detail15normal_iteratorINS9_10device_ptrIxEEEESE_SE_xNS9_4plusIvEENS9_8equal_toIvEExEE10hipError_tPvRmT2_T3_T4_T5_mT6_T7_P12ihipStream_tbENKUlT_T0_E_clISt17integral_constantIbLb0EESY_IbLb1EEEEDaSU_SV_EUlSU_E_NS1_11comp_targetILNS1_3genE3ELNS1_11target_archE908ELNS1_3gpuE7ELNS1_3repE0EEENS1_30default_config_static_selectorELNS0_4arch9wavefront6targetE0EEEvT1_: ; @_ZN7rocprim17ROCPRIM_400000_NS6detail17trampoline_kernelINS0_14default_configENS1_27scan_by_key_config_selectorIxxEEZZNS1_16scan_by_key_implILNS1_25lookback_scan_determinismE0ELb0ES3_N6thrust23THRUST_200600_302600_NS6detail15normal_iteratorINS9_10device_ptrIxEEEESE_SE_xNS9_4plusIvEENS9_8equal_toIvEExEE10hipError_tPvRmT2_T3_T4_T5_mT6_T7_P12ihipStream_tbENKUlT_T0_E_clISt17integral_constantIbLb0EESY_IbLb1EEEEDaSU_SV_EUlSU_E_NS1_11comp_targetILNS1_3genE3ELNS1_11target_archE908ELNS1_3gpuE7ELNS1_3repE0EEENS1_30default_config_static_selectorELNS0_4arch9wavefront6targetE0EEEvT1_
; %bb.0:
	.section	.rodata,"a",@progbits
	.p2align	6, 0x0
	.amdhsa_kernel _ZN7rocprim17ROCPRIM_400000_NS6detail17trampoline_kernelINS0_14default_configENS1_27scan_by_key_config_selectorIxxEEZZNS1_16scan_by_key_implILNS1_25lookback_scan_determinismE0ELb0ES3_N6thrust23THRUST_200600_302600_NS6detail15normal_iteratorINS9_10device_ptrIxEEEESE_SE_xNS9_4plusIvEENS9_8equal_toIvEExEE10hipError_tPvRmT2_T3_T4_T5_mT6_T7_P12ihipStream_tbENKUlT_T0_E_clISt17integral_constantIbLb0EESY_IbLb1EEEEDaSU_SV_EUlSU_E_NS1_11comp_targetILNS1_3genE3ELNS1_11target_archE908ELNS1_3gpuE7ELNS1_3repE0EEENS1_30default_config_static_selectorELNS0_4arch9wavefront6targetE0EEEvT1_
		.amdhsa_group_segment_fixed_size 0
		.amdhsa_private_segment_fixed_size 0
		.amdhsa_kernarg_size 136
		.amdhsa_user_sgpr_count 2
		.amdhsa_user_sgpr_dispatch_ptr 0
		.amdhsa_user_sgpr_queue_ptr 0
		.amdhsa_user_sgpr_kernarg_segment_ptr 1
		.amdhsa_user_sgpr_dispatch_id 0
		.amdhsa_user_sgpr_kernarg_preload_length 0
		.amdhsa_user_sgpr_kernarg_preload_offset 0
		.amdhsa_user_sgpr_private_segment_size 0
		.amdhsa_wavefront_size32 1
		.amdhsa_uses_dynamic_stack 0
		.amdhsa_enable_private_segment 0
		.amdhsa_system_sgpr_workgroup_id_x 1
		.amdhsa_system_sgpr_workgroup_id_y 0
		.amdhsa_system_sgpr_workgroup_id_z 0
		.amdhsa_system_sgpr_workgroup_info 0
		.amdhsa_system_vgpr_workitem_id 0
		.amdhsa_next_free_vgpr 1
		.amdhsa_next_free_sgpr 1
		.amdhsa_named_barrier_count 0
		.amdhsa_reserve_vcc 0
		.amdhsa_float_round_mode_32 0
		.amdhsa_float_round_mode_16_64 0
		.amdhsa_float_denorm_mode_32 3
		.amdhsa_float_denorm_mode_16_64 3
		.amdhsa_fp16_overflow 0
		.amdhsa_memory_ordered 1
		.amdhsa_forward_progress 1
		.amdhsa_inst_pref_size 0
		.amdhsa_round_robin_scheduling 0
		.amdhsa_exception_fp_ieee_invalid_op 0
		.amdhsa_exception_fp_denorm_src 0
		.amdhsa_exception_fp_ieee_div_zero 0
		.amdhsa_exception_fp_ieee_overflow 0
		.amdhsa_exception_fp_ieee_underflow 0
		.amdhsa_exception_fp_ieee_inexact 0
		.amdhsa_exception_int_div_zero 0
	.end_amdhsa_kernel
	.section	.text._ZN7rocprim17ROCPRIM_400000_NS6detail17trampoline_kernelINS0_14default_configENS1_27scan_by_key_config_selectorIxxEEZZNS1_16scan_by_key_implILNS1_25lookback_scan_determinismE0ELb0ES3_N6thrust23THRUST_200600_302600_NS6detail15normal_iteratorINS9_10device_ptrIxEEEESE_SE_xNS9_4plusIvEENS9_8equal_toIvEExEE10hipError_tPvRmT2_T3_T4_T5_mT6_T7_P12ihipStream_tbENKUlT_T0_E_clISt17integral_constantIbLb0EESY_IbLb1EEEEDaSU_SV_EUlSU_E_NS1_11comp_targetILNS1_3genE3ELNS1_11target_archE908ELNS1_3gpuE7ELNS1_3repE0EEENS1_30default_config_static_selectorELNS0_4arch9wavefront6targetE0EEEvT1_,"axG",@progbits,_ZN7rocprim17ROCPRIM_400000_NS6detail17trampoline_kernelINS0_14default_configENS1_27scan_by_key_config_selectorIxxEEZZNS1_16scan_by_key_implILNS1_25lookback_scan_determinismE0ELb0ES3_N6thrust23THRUST_200600_302600_NS6detail15normal_iteratorINS9_10device_ptrIxEEEESE_SE_xNS9_4plusIvEENS9_8equal_toIvEExEE10hipError_tPvRmT2_T3_T4_T5_mT6_T7_P12ihipStream_tbENKUlT_T0_E_clISt17integral_constantIbLb0EESY_IbLb1EEEEDaSU_SV_EUlSU_E_NS1_11comp_targetILNS1_3genE3ELNS1_11target_archE908ELNS1_3gpuE7ELNS1_3repE0EEENS1_30default_config_static_selectorELNS0_4arch9wavefront6targetE0EEEvT1_,comdat
.Lfunc_end42:
	.size	_ZN7rocprim17ROCPRIM_400000_NS6detail17trampoline_kernelINS0_14default_configENS1_27scan_by_key_config_selectorIxxEEZZNS1_16scan_by_key_implILNS1_25lookback_scan_determinismE0ELb0ES3_N6thrust23THRUST_200600_302600_NS6detail15normal_iteratorINS9_10device_ptrIxEEEESE_SE_xNS9_4plusIvEENS9_8equal_toIvEExEE10hipError_tPvRmT2_T3_T4_T5_mT6_T7_P12ihipStream_tbENKUlT_T0_E_clISt17integral_constantIbLb0EESY_IbLb1EEEEDaSU_SV_EUlSU_E_NS1_11comp_targetILNS1_3genE3ELNS1_11target_archE908ELNS1_3gpuE7ELNS1_3repE0EEENS1_30default_config_static_selectorELNS0_4arch9wavefront6targetE0EEEvT1_, .Lfunc_end42-_ZN7rocprim17ROCPRIM_400000_NS6detail17trampoline_kernelINS0_14default_configENS1_27scan_by_key_config_selectorIxxEEZZNS1_16scan_by_key_implILNS1_25lookback_scan_determinismE0ELb0ES3_N6thrust23THRUST_200600_302600_NS6detail15normal_iteratorINS9_10device_ptrIxEEEESE_SE_xNS9_4plusIvEENS9_8equal_toIvEExEE10hipError_tPvRmT2_T3_T4_T5_mT6_T7_P12ihipStream_tbENKUlT_T0_E_clISt17integral_constantIbLb0EESY_IbLb1EEEEDaSU_SV_EUlSU_E_NS1_11comp_targetILNS1_3genE3ELNS1_11target_archE908ELNS1_3gpuE7ELNS1_3repE0EEENS1_30default_config_static_selectorELNS0_4arch9wavefront6targetE0EEEvT1_
                                        ; -- End function
	.set _ZN7rocprim17ROCPRIM_400000_NS6detail17trampoline_kernelINS0_14default_configENS1_27scan_by_key_config_selectorIxxEEZZNS1_16scan_by_key_implILNS1_25lookback_scan_determinismE0ELb0ES3_N6thrust23THRUST_200600_302600_NS6detail15normal_iteratorINS9_10device_ptrIxEEEESE_SE_xNS9_4plusIvEENS9_8equal_toIvEExEE10hipError_tPvRmT2_T3_T4_T5_mT6_T7_P12ihipStream_tbENKUlT_T0_E_clISt17integral_constantIbLb0EESY_IbLb1EEEEDaSU_SV_EUlSU_E_NS1_11comp_targetILNS1_3genE3ELNS1_11target_archE908ELNS1_3gpuE7ELNS1_3repE0EEENS1_30default_config_static_selectorELNS0_4arch9wavefront6targetE0EEEvT1_.num_vgpr, 0
	.set _ZN7rocprim17ROCPRIM_400000_NS6detail17trampoline_kernelINS0_14default_configENS1_27scan_by_key_config_selectorIxxEEZZNS1_16scan_by_key_implILNS1_25lookback_scan_determinismE0ELb0ES3_N6thrust23THRUST_200600_302600_NS6detail15normal_iteratorINS9_10device_ptrIxEEEESE_SE_xNS9_4plusIvEENS9_8equal_toIvEExEE10hipError_tPvRmT2_T3_T4_T5_mT6_T7_P12ihipStream_tbENKUlT_T0_E_clISt17integral_constantIbLb0EESY_IbLb1EEEEDaSU_SV_EUlSU_E_NS1_11comp_targetILNS1_3genE3ELNS1_11target_archE908ELNS1_3gpuE7ELNS1_3repE0EEENS1_30default_config_static_selectorELNS0_4arch9wavefront6targetE0EEEvT1_.num_agpr, 0
	.set _ZN7rocprim17ROCPRIM_400000_NS6detail17trampoline_kernelINS0_14default_configENS1_27scan_by_key_config_selectorIxxEEZZNS1_16scan_by_key_implILNS1_25lookback_scan_determinismE0ELb0ES3_N6thrust23THRUST_200600_302600_NS6detail15normal_iteratorINS9_10device_ptrIxEEEESE_SE_xNS9_4plusIvEENS9_8equal_toIvEExEE10hipError_tPvRmT2_T3_T4_T5_mT6_T7_P12ihipStream_tbENKUlT_T0_E_clISt17integral_constantIbLb0EESY_IbLb1EEEEDaSU_SV_EUlSU_E_NS1_11comp_targetILNS1_3genE3ELNS1_11target_archE908ELNS1_3gpuE7ELNS1_3repE0EEENS1_30default_config_static_selectorELNS0_4arch9wavefront6targetE0EEEvT1_.numbered_sgpr, 0
	.set _ZN7rocprim17ROCPRIM_400000_NS6detail17trampoline_kernelINS0_14default_configENS1_27scan_by_key_config_selectorIxxEEZZNS1_16scan_by_key_implILNS1_25lookback_scan_determinismE0ELb0ES3_N6thrust23THRUST_200600_302600_NS6detail15normal_iteratorINS9_10device_ptrIxEEEESE_SE_xNS9_4plusIvEENS9_8equal_toIvEExEE10hipError_tPvRmT2_T3_T4_T5_mT6_T7_P12ihipStream_tbENKUlT_T0_E_clISt17integral_constantIbLb0EESY_IbLb1EEEEDaSU_SV_EUlSU_E_NS1_11comp_targetILNS1_3genE3ELNS1_11target_archE908ELNS1_3gpuE7ELNS1_3repE0EEENS1_30default_config_static_selectorELNS0_4arch9wavefront6targetE0EEEvT1_.num_named_barrier, 0
	.set _ZN7rocprim17ROCPRIM_400000_NS6detail17trampoline_kernelINS0_14default_configENS1_27scan_by_key_config_selectorIxxEEZZNS1_16scan_by_key_implILNS1_25lookback_scan_determinismE0ELb0ES3_N6thrust23THRUST_200600_302600_NS6detail15normal_iteratorINS9_10device_ptrIxEEEESE_SE_xNS9_4plusIvEENS9_8equal_toIvEExEE10hipError_tPvRmT2_T3_T4_T5_mT6_T7_P12ihipStream_tbENKUlT_T0_E_clISt17integral_constantIbLb0EESY_IbLb1EEEEDaSU_SV_EUlSU_E_NS1_11comp_targetILNS1_3genE3ELNS1_11target_archE908ELNS1_3gpuE7ELNS1_3repE0EEENS1_30default_config_static_selectorELNS0_4arch9wavefront6targetE0EEEvT1_.private_seg_size, 0
	.set _ZN7rocprim17ROCPRIM_400000_NS6detail17trampoline_kernelINS0_14default_configENS1_27scan_by_key_config_selectorIxxEEZZNS1_16scan_by_key_implILNS1_25lookback_scan_determinismE0ELb0ES3_N6thrust23THRUST_200600_302600_NS6detail15normal_iteratorINS9_10device_ptrIxEEEESE_SE_xNS9_4plusIvEENS9_8equal_toIvEExEE10hipError_tPvRmT2_T3_T4_T5_mT6_T7_P12ihipStream_tbENKUlT_T0_E_clISt17integral_constantIbLb0EESY_IbLb1EEEEDaSU_SV_EUlSU_E_NS1_11comp_targetILNS1_3genE3ELNS1_11target_archE908ELNS1_3gpuE7ELNS1_3repE0EEENS1_30default_config_static_selectorELNS0_4arch9wavefront6targetE0EEEvT1_.uses_vcc, 0
	.set _ZN7rocprim17ROCPRIM_400000_NS6detail17trampoline_kernelINS0_14default_configENS1_27scan_by_key_config_selectorIxxEEZZNS1_16scan_by_key_implILNS1_25lookback_scan_determinismE0ELb0ES3_N6thrust23THRUST_200600_302600_NS6detail15normal_iteratorINS9_10device_ptrIxEEEESE_SE_xNS9_4plusIvEENS9_8equal_toIvEExEE10hipError_tPvRmT2_T3_T4_T5_mT6_T7_P12ihipStream_tbENKUlT_T0_E_clISt17integral_constantIbLb0EESY_IbLb1EEEEDaSU_SV_EUlSU_E_NS1_11comp_targetILNS1_3genE3ELNS1_11target_archE908ELNS1_3gpuE7ELNS1_3repE0EEENS1_30default_config_static_selectorELNS0_4arch9wavefront6targetE0EEEvT1_.uses_flat_scratch, 0
	.set _ZN7rocprim17ROCPRIM_400000_NS6detail17trampoline_kernelINS0_14default_configENS1_27scan_by_key_config_selectorIxxEEZZNS1_16scan_by_key_implILNS1_25lookback_scan_determinismE0ELb0ES3_N6thrust23THRUST_200600_302600_NS6detail15normal_iteratorINS9_10device_ptrIxEEEESE_SE_xNS9_4plusIvEENS9_8equal_toIvEExEE10hipError_tPvRmT2_T3_T4_T5_mT6_T7_P12ihipStream_tbENKUlT_T0_E_clISt17integral_constantIbLb0EESY_IbLb1EEEEDaSU_SV_EUlSU_E_NS1_11comp_targetILNS1_3genE3ELNS1_11target_archE908ELNS1_3gpuE7ELNS1_3repE0EEENS1_30default_config_static_selectorELNS0_4arch9wavefront6targetE0EEEvT1_.has_dyn_sized_stack, 0
	.set _ZN7rocprim17ROCPRIM_400000_NS6detail17trampoline_kernelINS0_14default_configENS1_27scan_by_key_config_selectorIxxEEZZNS1_16scan_by_key_implILNS1_25lookback_scan_determinismE0ELb0ES3_N6thrust23THRUST_200600_302600_NS6detail15normal_iteratorINS9_10device_ptrIxEEEESE_SE_xNS9_4plusIvEENS9_8equal_toIvEExEE10hipError_tPvRmT2_T3_T4_T5_mT6_T7_P12ihipStream_tbENKUlT_T0_E_clISt17integral_constantIbLb0EESY_IbLb1EEEEDaSU_SV_EUlSU_E_NS1_11comp_targetILNS1_3genE3ELNS1_11target_archE908ELNS1_3gpuE7ELNS1_3repE0EEENS1_30default_config_static_selectorELNS0_4arch9wavefront6targetE0EEEvT1_.has_recursion, 0
	.set _ZN7rocprim17ROCPRIM_400000_NS6detail17trampoline_kernelINS0_14default_configENS1_27scan_by_key_config_selectorIxxEEZZNS1_16scan_by_key_implILNS1_25lookback_scan_determinismE0ELb0ES3_N6thrust23THRUST_200600_302600_NS6detail15normal_iteratorINS9_10device_ptrIxEEEESE_SE_xNS9_4plusIvEENS9_8equal_toIvEExEE10hipError_tPvRmT2_T3_T4_T5_mT6_T7_P12ihipStream_tbENKUlT_T0_E_clISt17integral_constantIbLb0EESY_IbLb1EEEEDaSU_SV_EUlSU_E_NS1_11comp_targetILNS1_3genE3ELNS1_11target_archE908ELNS1_3gpuE7ELNS1_3repE0EEENS1_30default_config_static_selectorELNS0_4arch9wavefront6targetE0EEEvT1_.has_indirect_call, 0
	.section	.AMDGPU.csdata,"",@progbits
; Kernel info:
; codeLenInByte = 0
; TotalNumSgprs: 0
; NumVgprs: 0
; ScratchSize: 0
; MemoryBound: 0
; FloatMode: 240
; IeeeMode: 1
; LDSByteSize: 0 bytes/workgroup (compile time only)
; SGPRBlocks: 0
; VGPRBlocks: 0
; NumSGPRsForWavesPerEU: 1
; NumVGPRsForWavesPerEU: 1
; NamedBarCnt: 0
; Occupancy: 16
; WaveLimiterHint : 0
; COMPUTE_PGM_RSRC2:SCRATCH_EN: 0
; COMPUTE_PGM_RSRC2:USER_SGPR: 2
; COMPUTE_PGM_RSRC2:TRAP_HANDLER: 0
; COMPUTE_PGM_RSRC2:TGID_X_EN: 1
; COMPUTE_PGM_RSRC2:TGID_Y_EN: 0
; COMPUTE_PGM_RSRC2:TGID_Z_EN: 0
; COMPUTE_PGM_RSRC2:TIDIG_COMP_CNT: 0
	.section	.text._ZN7rocprim17ROCPRIM_400000_NS6detail17trampoline_kernelINS0_14default_configENS1_27scan_by_key_config_selectorIxxEEZZNS1_16scan_by_key_implILNS1_25lookback_scan_determinismE0ELb0ES3_N6thrust23THRUST_200600_302600_NS6detail15normal_iteratorINS9_10device_ptrIxEEEESE_SE_xNS9_4plusIvEENS9_8equal_toIvEExEE10hipError_tPvRmT2_T3_T4_T5_mT6_T7_P12ihipStream_tbENKUlT_T0_E_clISt17integral_constantIbLb0EESY_IbLb1EEEEDaSU_SV_EUlSU_E_NS1_11comp_targetILNS1_3genE2ELNS1_11target_archE906ELNS1_3gpuE6ELNS1_3repE0EEENS1_30default_config_static_selectorELNS0_4arch9wavefront6targetE0EEEvT1_,"axG",@progbits,_ZN7rocprim17ROCPRIM_400000_NS6detail17trampoline_kernelINS0_14default_configENS1_27scan_by_key_config_selectorIxxEEZZNS1_16scan_by_key_implILNS1_25lookback_scan_determinismE0ELb0ES3_N6thrust23THRUST_200600_302600_NS6detail15normal_iteratorINS9_10device_ptrIxEEEESE_SE_xNS9_4plusIvEENS9_8equal_toIvEExEE10hipError_tPvRmT2_T3_T4_T5_mT6_T7_P12ihipStream_tbENKUlT_T0_E_clISt17integral_constantIbLb0EESY_IbLb1EEEEDaSU_SV_EUlSU_E_NS1_11comp_targetILNS1_3genE2ELNS1_11target_archE906ELNS1_3gpuE6ELNS1_3repE0EEENS1_30default_config_static_selectorELNS0_4arch9wavefront6targetE0EEEvT1_,comdat
	.protected	_ZN7rocprim17ROCPRIM_400000_NS6detail17trampoline_kernelINS0_14default_configENS1_27scan_by_key_config_selectorIxxEEZZNS1_16scan_by_key_implILNS1_25lookback_scan_determinismE0ELb0ES3_N6thrust23THRUST_200600_302600_NS6detail15normal_iteratorINS9_10device_ptrIxEEEESE_SE_xNS9_4plusIvEENS9_8equal_toIvEExEE10hipError_tPvRmT2_T3_T4_T5_mT6_T7_P12ihipStream_tbENKUlT_T0_E_clISt17integral_constantIbLb0EESY_IbLb1EEEEDaSU_SV_EUlSU_E_NS1_11comp_targetILNS1_3genE2ELNS1_11target_archE906ELNS1_3gpuE6ELNS1_3repE0EEENS1_30default_config_static_selectorELNS0_4arch9wavefront6targetE0EEEvT1_ ; -- Begin function _ZN7rocprim17ROCPRIM_400000_NS6detail17trampoline_kernelINS0_14default_configENS1_27scan_by_key_config_selectorIxxEEZZNS1_16scan_by_key_implILNS1_25lookback_scan_determinismE0ELb0ES3_N6thrust23THRUST_200600_302600_NS6detail15normal_iteratorINS9_10device_ptrIxEEEESE_SE_xNS9_4plusIvEENS9_8equal_toIvEExEE10hipError_tPvRmT2_T3_T4_T5_mT6_T7_P12ihipStream_tbENKUlT_T0_E_clISt17integral_constantIbLb0EESY_IbLb1EEEEDaSU_SV_EUlSU_E_NS1_11comp_targetILNS1_3genE2ELNS1_11target_archE906ELNS1_3gpuE6ELNS1_3repE0EEENS1_30default_config_static_selectorELNS0_4arch9wavefront6targetE0EEEvT1_
	.globl	_ZN7rocprim17ROCPRIM_400000_NS6detail17trampoline_kernelINS0_14default_configENS1_27scan_by_key_config_selectorIxxEEZZNS1_16scan_by_key_implILNS1_25lookback_scan_determinismE0ELb0ES3_N6thrust23THRUST_200600_302600_NS6detail15normal_iteratorINS9_10device_ptrIxEEEESE_SE_xNS9_4plusIvEENS9_8equal_toIvEExEE10hipError_tPvRmT2_T3_T4_T5_mT6_T7_P12ihipStream_tbENKUlT_T0_E_clISt17integral_constantIbLb0EESY_IbLb1EEEEDaSU_SV_EUlSU_E_NS1_11comp_targetILNS1_3genE2ELNS1_11target_archE906ELNS1_3gpuE6ELNS1_3repE0EEENS1_30default_config_static_selectorELNS0_4arch9wavefront6targetE0EEEvT1_
	.p2align	8
	.type	_ZN7rocprim17ROCPRIM_400000_NS6detail17trampoline_kernelINS0_14default_configENS1_27scan_by_key_config_selectorIxxEEZZNS1_16scan_by_key_implILNS1_25lookback_scan_determinismE0ELb0ES3_N6thrust23THRUST_200600_302600_NS6detail15normal_iteratorINS9_10device_ptrIxEEEESE_SE_xNS9_4plusIvEENS9_8equal_toIvEExEE10hipError_tPvRmT2_T3_T4_T5_mT6_T7_P12ihipStream_tbENKUlT_T0_E_clISt17integral_constantIbLb0EESY_IbLb1EEEEDaSU_SV_EUlSU_E_NS1_11comp_targetILNS1_3genE2ELNS1_11target_archE906ELNS1_3gpuE6ELNS1_3repE0EEENS1_30default_config_static_selectorELNS0_4arch9wavefront6targetE0EEEvT1_,@function
_ZN7rocprim17ROCPRIM_400000_NS6detail17trampoline_kernelINS0_14default_configENS1_27scan_by_key_config_selectorIxxEEZZNS1_16scan_by_key_implILNS1_25lookback_scan_determinismE0ELb0ES3_N6thrust23THRUST_200600_302600_NS6detail15normal_iteratorINS9_10device_ptrIxEEEESE_SE_xNS9_4plusIvEENS9_8equal_toIvEExEE10hipError_tPvRmT2_T3_T4_T5_mT6_T7_P12ihipStream_tbENKUlT_T0_E_clISt17integral_constantIbLb0EESY_IbLb1EEEEDaSU_SV_EUlSU_E_NS1_11comp_targetILNS1_3genE2ELNS1_11target_archE906ELNS1_3gpuE6ELNS1_3repE0EEENS1_30default_config_static_selectorELNS0_4arch9wavefront6targetE0EEEvT1_: ; @_ZN7rocprim17ROCPRIM_400000_NS6detail17trampoline_kernelINS0_14default_configENS1_27scan_by_key_config_selectorIxxEEZZNS1_16scan_by_key_implILNS1_25lookback_scan_determinismE0ELb0ES3_N6thrust23THRUST_200600_302600_NS6detail15normal_iteratorINS9_10device_ptrIxEEEESE_SE_xNS9_4plusIvEENS9_8equal_toIvEExEE10hipError_tPvRmT2_T3_T4_T5_mT6_T7_P12ihipStream_tbENKUlT_T0_E_clISt17integral_constantIbLb0EESY_IbLb1EEEEDaSU_SV_EUlSU_E_NS1_11comp_targetILNS1_3genE2ELNS1_11target_archE906ELNS1_3gpuE6ELNS1_3repE0EEENS1_30default_config_static_selectorELNS0_4arch9wavefront6targetE0EEEvT1_
; %bb.0:
	.section	.rodata,"a",@progbits
	.p2align	6, 0x0
	.amdhsa_kernel _ZN7rocprim17ROCPRIM_400000_NS6detail17trampoline_kernelINS0_14default_configENS1_27scan_by_key_config_selectorIxxEEZZNS1_16scan_by_key_implILNS1_25lookback_scan_determinismE0ELb0ES3_N6thrust23THRUST_200600_302600_NS6detail15normal_iteratorINS9_10device_ptrIxEEEESE_SE_xNS9_4plusIvEENS9_8equal_toIvEExEE10hipError_tPvRmT2_T3_T4_T5_mT6_T7_P12ihipStream_tbENKUlT_T0_E_clISt17integral_constantIbLb0EESY_IbLb1EEEEDaSU_SV_EUlSU_E_NS1_11comp_targetILNS1_3genE2ELNS1_11target_archE906ELNS1_3gpuE6ELNS1_3repE0EEENS1_30default_config_static_selectorELNS0_4arch9wavefront6targetE0EEEvT1_
		.amdhsa_group_segment_fixed_size 0
		.amdhsa_private_segment_fixed_size 0
		.amdhsa_kernarg_size 136
		.amdhsa_user_sgpr_count 2
		.amdhsa_user_sgpr_dispatch_ptr 0
		.amdhsa_user_sgpr_queue_ptr 0
		.amdhsa_user_sgpr_kernarg_segment_ptr 1
		.amdhsa_user_sgpr_dispatch_id 0
		.amdhsa_user_sgpr_kernarg_preload_length 0
		.amdhsa_user_sgpr_kernarg_preload_offset 0
		.amdhsa_user_sgpr_private_segment_size 0
		.amdhsa_wavefront_size32 1
		.amdhsa_uses_dynamic_stack 0
		.amdhsa_enable_private_segment 0
		.amdhsa_system_sgpr_workgroup_id_x 1
		.amdhsa_system_sgpr_workgroup_id_y 0
		.amdhsa_system_sgpr_workgroup_id_z 0
		.amdhsa_system_sgpr_workgroup_info 0
		.amdhsa_system_vgpr_workitem_id 0
		.amdhsa_next_free_vgpr 1
		.amdhsa_next_free_sgpr 1
		.amdhsa_named_barrier_count 0
		.amdhsa_reserve_vcc 0
		.amdhsa_float_round_mode_32 0
		.amdhsa_float_round_mode_16_64 0
		.amdhsa_float_denorm_mode_32 3
		.amdhsa_float_denorm_mode_16_64 3
		.amdhsa_fp16_overflow 0
		.amdhsa_memory_ordered 1
		.amdhsa_forward_progress 1
		.amdhsa_inst_pref_size 0
		.amdhsa_round_robin_scheduling 0
		.amdhsa_exception_fp_ieee_invalid_op 0
		.amdhsa_exception_fp_denorm_src 0
		.amdhsa_exception_fp_ieee_div_zero 0
		.amdhsa_exception_fp_ieee_overflow 0
		.amdhsa_exception_fp_ieee_underflow 0
		.amdhsa_exception_fp_ieee_inexact 0
		.amdhsa_exception_int_div_zero 0
	.end_amdhsa_kernel
	.section	.text._ZN7rocprim17ROCPRIM_400000_NS6detail17trampoline_kernelINS0_14default_configENS1_27scan_by_key_config_selectorIxxEEZZNS1_16scan_by_key_implILNS1_25lookback_scan_determinismE0ELb0ES3_N6thrust23THRUST_200600_302600_NS6detail15normal_iteratorINS9_10device_ptrIxEEEESE_SE_xNS9_4plusIvEENS9_8equal_toIvEExEE10hipError_tPvRmT2_T3_T4_T5_mT6_T7_P12ihipStream_tbENKUlT_T0_E_clISt17integral_constantIbLb0EESY_IbLb1EEEEDaSU_SV_EUlSU_E_NS1_11comp_targetILNS1_3genE2ELNS1_11target_archE906ELNS1_3gpuE6ELNS1_3repE0EEENS1_30default_config_static_selectorELNS0_4arch9wavefront6targetE0EEEvT1_,"axG",@progbits,_ZN7rocprim17ROCPRIM_400000_NS6detail17trampoline_kernelINS0_14default_configENS1_27scan_by_key_config_selectorIxxEEZZNS1_16scan_by_key_implILNS1_25lookback_scan_determinismE0ELb0ES3_N6thrust23THRUST_200600_302600_NS6detail15normal_iteratorINS9_10device_ptrIxEEEESE_SE_xNS9_4plusIvEENS9_8equal_toIvEExEE10hipError_tPvRmT2_T3_T4_T5_mT6_T7_P12ihipStream_tbENKUlT_T0_E_clISt17integral_constantIbLb0EESY_IbLb1EEEEDaSU_SV_EUlSU_E_NS1_11comp_targetILNS1_3genE2ELNS1_11target_archE906ELNS1_3gpuE6ELNS1_3repE0EEENS1_30default_config_static_selectorELNS0_4arch9wavefront6targetE0EEEvT1_,comdat
.Lfunc_end43:
	.size	_ZN7rocprim17ROCPRIM_400000_NS6detail17trampoline_kernelINS0_14default_configENS1_27scan_by_key_config_selectorIxxEEZZNS1_16scan_by_key_implILNS1_25lookback_scan_determinismE0ELb0ES3_N6thrust23THRUST_200600_302600_NS6detail15normal_iteratorINS9_10device_ptrIxEEEESE_SE_xNS9_4plusIvEENS9_8equal_toIvEExEE10hipError_tPvRmT2_T3_T4_T5_mT6_T7_P12ihipStream_tbENKUlT_T0_E_clISt17integral_constantIbLb0EESY_IbLb1EEEEDaSU_SV_EUlSU_E_NS1_11comp_targetILNS1_3genE2ELNS1_11target_archE906ELNS1_3gpuE6ELNS1_3repE0EEENS1_30default_config_static_selectorELNS0_4arch9wavefront6targetE0EEEvT1_, .Lfunc_end43-_ZN7rocprim17ROCPRIM_400000_NS6detail17trampoline_kernelINS0_14default_configENS1_27scan_by_key_config_selectorIxxEEZZNS1_16scan_by_key_implILNS1_25lookback_scan_determinismE0ELb0ES3_N6thrust23THRUST_200600_302600_NS6detail15normal_iteratorINS9_10device_ptrIxEEEESE_SE_xNS9_4plusIvEENS9_8equal_toIvEExEE10hipError_tPvRmT2_T3_T4_T5_mT6_T7_P12ihipStream_tbENKUlT_T0_E_clISt17integral_constantIbLb0EESY_IbLb1EEEEDaSU_SV_EUlSU_E_NS1_11comp_targetILNS1_3genE2ELNS1_11target_archE906ELNS1_3gpuE6ELNS1_3repE0EEENS1_30default_config_static_selectorELNS0_4arch9wavefront6targetE0EEEvT1_
                                        ; -- End function
	.set _ZN7rocprim17ROCPRIM_400000_NS6detail17trampoline_kernelINS0_14default_configENS1_27scan_by_key_config_selectorIxxEEZZNS1_16scan_by_key_implILNS1_25lookback_scan_determinismE0ELb0ES3_N6thrust23THRUST_200600_302600_NS6detail15normal_iteratorINS9_10device_ptrIxEEEESE_SE_xNS9_4plusIvEENS9_8equal_toIvEExEE10hipError_tPvRmT2_T3_T4_T5_mT6_T7_P12ihipStream_tbENKUlT_T0_E_clISt17integral_constantIbLb0EESY_IbLb1EEEEDaSU_SV_EUlSU_E_NS1_11comp_targetILNS1_3genE2ELNS1_11target_archE906ELNS1_3gpuE6ELNS1_3repE0EEENS1_30default_config_static_selectorELNS0_4arch9wavefront6targetE0EEEvT1_.num_vgpr, 0
	.set _ZN7rocprim17ROCPRIM_400000_NS6detail17trampoline_kernelINS0_14default_configENS1_27scan_by_key_config_selectorIxxEEZZNS1_16scan_by_key_implILNS1_25lookback_scan_determinismE0ELb0ES3_N6thrust23THRUST_200600_302600_NS6detail15normal_iteratorINS9_10device_ptrIxEEEESE_SE_xNS9_4plusIvEENS9_8equal_toIvEExEE10hipError_tPvRmT2_T3_T4_T5_mT6_T7_P12ihipStream_tbENKUlT_T0_E_clISt17integral_constantIbLb0EESY_IbLb1EEEEDaSU_SV_EUlSU_E_NS1_11comp_targetILNS1_3genE2ELNS1_11target_archE906ELNS1_3gpuE6ELNS1_3repE0EEENS1_30default_config_static_selectorELNS0_4arch9wavefront6targetE0EEEvT1_.num_agpr, 0
	.set _ZN7rocprim17ROCPRIM_400000_NS6detail17trampoline_kernelINS0_14default_configENS1_27scan_by_key_config_selectorIxxEEZZNS1_16scan_by_key_implILNS1_25lookback_scan_determinismE0ELb0ES3_N6thrust23THRUST_200600_302600_NS6detail15normal_iteratorINS9_10device_ptrIxEEEESE_SE_xNS9_4plusIvEENS9_8equal_toIvEExEE10hipError_tPvRmT2_T3_T4_T5_mT6_T7_P12ihipStream_tbENKUlT_T0_E_clISt17integral_constantIbLb0EESY_IbLb1EEEEDaSU_SV_EUlSU_E_NS1_11comp_targetILNS1_3genE2ELNS1_11target_archE906ELNS1_3gpuE6ELNS1_3repE0EEENS1_30default_config_static_selectorELNS0_4arch9wavefront6targetE0EEEvT1_.numbered_sgpr, 0
	.set _ZN7rocprim17ROCPRIM_400000_NS6detail17trampoline_kernelINS0_14default_configENS1_27scan_by_key_config_selectorIxxEEZZNS1_16scan_by_key_implILNS1_25lookback_scan_determinismE0ELb0ES3_N6thrust23THRUST_200600_302600_NS6detail15normal_iteratorINS9_10device_ptrIxEEEESE_SE_xNS9_4plusIvEENS9_8equal_toIvEExEE10hipError_tPvRmT2_T3_T4_T5_mT6_T7_P12ihipStream_tbENKUlT_T0_E_clISt17integral_constantIbLb0EESY_IbLb1EEEEDaSU_SV_EUlSU_E_NS1_11comp_targetILNS1_3genE2ELNS1_11target_archE906ELNS1_3gpuE6ELNS1_3repE0EEENS1_30default_config_static_selectorELNS0_4arch9wavefront6targetE0EEEvT1_.num_named_barrier, 0
	.set _ZN7rocprim17ROCPRIM_400000_NS6detail17trampoline_kernelINS0_14default_configENS1_27scan_by_key_config_selectorIxxEEZZNS1_16scan_by_key_implILNS1_25lookback_scan_determinismE0ELb0ES3_N6thrust23THRUST_200600_302600_NS6detail15normal_iteratorINS9_10device_ptrIxEEEESE_SE_xNS9_4plusIvEENS9_8equal_toIvEExEE10hipError_tPvRmT2_T3_T4_T5_mT6_T7_P12ihipStream_tbENKUlT_T0_E_clISt17integral_constantIbLb0EESY_IbLb1EEEEDaSU_SV_EUlSU_E_NS1_11comp_targetILNS1_3genE2ELNS1_11target_archE906ELNS1_3gpuE6ELNS1_3repE0EEENS1_30default_config_static_selectorELNS0_4arch9wavefront6targetE0EEEvT1_.private_seg_size, 0
	.set _ZN7rocprim17ROCPRIM_400000_NS6detail17trampoline_kernelINS0_14default_configENS1_27scan_by_key_config_selectorIxxEEZZNS1_16scan_by_key_implILNS1_25lookback_scan_determinismE0ELb0ES3_N6thrust23THRUST_200600_302600_NS6detail15normal_iteratorINS9_10device_ptrIxEEEESE_SE_xNS9_4plusIvEENS9_8equal_toIvEExEE10hipError_tPvRmT2_T3_T4_T5_mT6_T7_P12ihipStream_tbENKUlT_T0_E_clISt17integral_constantIbLb0EESY_IbLb1EEEEDaSU_SV_EUlSU_E_NS1_11comp_targetILNS1_3genE2ELNS1_11target_archE906ELNS1_3gpuE6ELNS1_3repE0EEENS1_30default_config_static_selectorELNS0_4arch9wavefront6targetE0EEEvT1_.uses_vcc, 0
	.set _ZN7rocprim17ROCPRIM_400000_NS6detail17trampoline_kernelINS0_14default_configENS1_27scan_by_key_config_selectorIxxEEZZNS1_16scan_by_key_implILNS1_25lookback_scan_determinismE0ELb0ES3_N6thrust23THRUST_200600_302600_NS6detail15normal_iteratorINS9_10device_ptrIxEEEESE_SE_xNS9_4plusIvEENS9_8equal_toIvEExEE10hipError_tPvRmT2_T3_T4_T5_mT6_T7_P12ihipStream_tbENKUlT_T0_E_clISt17integral_constantIbLb0EESY_IbLb1EEEEDaSU_SV_EUlSU_E_NS1_11comp_targetILNS1_3genE2ELNS1_11target_archE906ELNS1_3gpuE6ELNS1_3repE0EEENS1_30default_config_static_selectorELNS0_4arch9wavefront6targetE0EEEvT1_.uses_flat_scratch, 0
	.set _ZN7rocprim17ROCPRIM_400000_NS6detail17trampoline_kernelINS0_14default_configENS1_27scan_by_key_config_selectorIxxEEZZNS1_16scan_by_key_implILNS1_25lookback_scan_determinismE0ELb0ES3_N6thrust23THRUST_200600_302600_NS6detail15normal_iteratorINS9_10device_ptrIxEEEESE_SE_xNS9_4plusIvEENS9_8equal_toIvEExEE10hipError_tPvRmT2_T3_T4_T5_mT6_T7_P12ihipStream_tbENKUlT_T0_E_clISt17integral_constantIbLb0EESY_IbLb1EEEEDaSU_SV_EUlSU_E_NS1_11comp_targetILNS1_3genE2ELNS1_11target_archE906ELNS1_3gpuE6ELNS1_3repE0EEENS1_30default_config_static_selectorELNS0_4arch9wavefront6targetE0EEEvT1_.has_dyn_sized_stack, 0
	.set _ZN7rocprim17ROCPRIM_400000_NS6detail17trampoline_kernelINS0_14default_configENS1_27scan_by_key_config_selectorIxxEEZZNS1_16scan_by_key_implILNS1_25lookback_scan_determinismE0ELb0ES3_N6thrust23THRUST_200600_302600_NS6detail15normal_iteratorINS9_10device_ptrIxEEEESE_SE_xNS9_4plusIvEENS9_8equal_toIvEExEE10hipError_tPvRmT2_T3_T4_T5_mT6_T7_P12ihipStream_tbENKUlT_T0_E_clISt17integral_constantIbLb0EESY_IbLb1EEEEDaSU_SV_EUlSU_E_NS1_11comp_targetILNS1_3genE2ELNS1_11target_archE906ELNS1_3gpuE6ELNS1_3repE0EEENS1_30default_config_static_selectorELNS0_4arch9wavefront6targetE0EEEvT1_.has_recursion, 0
	.set _ZN7rocprim17ROCPRIM_400000_NS6detail17trampoline_kernelINS0_14default_configENS1_27scan_by_key_config_selectorIxxEEZZNS1_16scan_by_key_implILNS1_25lookback_scan_determinismE0ELb0ES3_N6thrust23THRUST_200600_302600_NS6detail15normal_iteratorINS9_10device_ptrIxEEEESE_SE_xNS9_4plusIvEENS9_8equal_toIvEExEE10hipError_tPvRmT2_T3_T4_T5_mT6_T7_P12ihipStream_tbENKUlT_T0_E_clISt17integral_constantIbLb0EESY_IbLb1EEEEDaSU_SV_EUlSU_E_NS1_11comp_targetILNS1_3genE2ELNS1_11target_archE906ELNS1_3gpuE6ELNS1_3repE0EEENS1_30default_config_static_selectorELNS0_4arch9wavefront6targetE0EEEvT1_.has_indirect_call, 0
	.section	.AMDGPU.csdata,"",@progbits
; Kernel info:
; codeLenInByte = 0
; TotalNumSgprs: 0
; NumVgprs: 0
; ScratchSize: 0
; MemoryBound: 0
; FloatMode: 240
; IeeeMode: 1
; LDSByteSize: 0 bytes/workgroup (compile time only)
; SGPRBlocks: 0
; VGPRBlocks: 0
; NumSGPRsForWavesPerEU: 1
; NumVGPRsForWavesPerEU: 1
; NamedBarCnt: 0
; Occupancy: 16
; WaveLimiterHint : 0
; COMPUTE_PGM_RSRC2:SCRATCH_EN: 0
; COMPUTE_PGM_RSRC2:USER_SGPR: 2
; COMPUTE_PGM_RSRC2:TRAP_HANDLER: 0
; COMPUTE_PGM_RSRC2:TGID_X_EN: 1
; COMPUTE_PGM_RSRC2:TGID_Y_EN: 0
; COMPUTE_PGM_RSRC2:TGID_Z_EN: 0
; COMPUTE_PGM_RSRC2:TIDIG_COMP_CNT: 0
	.section	.text._ZN7rocprim17ROCPRIM_400000_NS6detail17trampoline_kernelINS0_14default_configENS1_27scan_by_key_config_selectorIxxEEZZNS1_16scan_by_key_implILNS1_25lookback_scan_determinismE0ELb0ES3_N6thrust23THRUST_200600_302600_NS6detail15normal_iteratorINS9_10device_ptrIxEEEESE_SE_xNS9_4plusIvEENS9_8equal_toIvEExEE10hipError_tPvRmT2_T3_T4_T5_mT6_T7_P12ihipStream_tbENKUlT_T0_E_clISt17integral_constantIbLb0EESY_IbLb1EEEEDaSU_SV_EUlSU_E_NS1_11comp_targetILNS1_3genE10ELNS1_11target_archE1200ELNS1_3gpuE4ELNS1_3repE0EEENS1_30default_config_static_selectorELNS0_4arch9wavefront6targetE0EEEvT1_,"axG",@progbits,_ZN7rocprim17ROCPRIM_400000_NS6detail17trampoline_kernelINS0_14default_configENS1_27scan_by_key_config_selectorIxxEEZZNS1_16scan_by_key_implILNS1_25lookback_scan_determinismE0ELb0ES3_N6thrust23THRUST_200600_302600_NS6detail15normal_iteratorINS9_10device_ptrIxEEEESE_SE_xNS9_4plusIvEENS9_8equal_toIvEExEE10hipError_tPvRmT2_T3_T4_T5_mT6_T7_P12ihipStream_tbENKUlT_T0_E_clISt17integral_constantIbLb0EESY_IbLb1EEEEDaSU_SV_EUlSU_E_NS1_11comp_targetILNS1_3genE10ELNS1_11target_archE1200ELNS1_3gpuE4ELNS1_3repE0EEENS1_30default_config_static_selectorELNS0_4arch9wavefront6targetE0EEEvT1_,comdat
	.protected	_ZN7rocprim17ROCPRIM_400000_NS6detail17trampoline_kernelINS0_14default_configENS1_27scan_by_key_config_selectorIxxEEZZNS1_16scan_by_key_implILNS1_25lookback_scan_determinismE0ELb0ES3_N6thrust23THRUST_200600_302600_NS6detail15normal_iteratorINS9_10device_ptrIxEEEESE_SE_xNS9_4plusIvEENS9_8equal_toIvEExEE10hipError_tPvRmT2_T3_T4_T5_mT6_T7_P12ihipStream_tbENKUlT_T0_E_clISt17integral_constantIbLb0EESY_IbLb1EEEEDaSU_SV_EUlSU_E_NS1_11comp_targetILNS1_3genE10ELNS1_11target_archE1200ELNS1_3gpuE4ELNS1_3repE0EEENS1_30default_config_static_selectorELNS0_4arch9wavefront6targetE0EEEvT1_ ; -- Begin function _ZN7rocprim17ROCPRIM_400000_NS6detail17trampoline_kernelINS0_14default_configENS1_27scan_by_key_config_selectorIxxEEZZNS1_16scan_by_key_implILNS1_25lookback_scan_determinismE0ELb0ES3_N6thrust23THRUST_200600_302600_NS6detail15normal_iteratorINS9_10device_ptrIxEEEESE_SE_xNS9_4plusIvEENS9_8equal_toIvEExEE10hipError_tPvRmT2_T3_T4_T5_mT6_T7_P12ihipStream_tbENKUlT_T0_E_clISt17integral_constantIbLb0EESY_IbLb1EEEEDaSU_SV_EUlSU_E_NS1_11comp_targetILNS1_3genE10ELNS1_11target_archE1200ELNS1_3gpuE4ELNS1_3repE0EEENS1_30default_config_static_selectorELNS0_4arch9wavefront6targetE0EEEvT1_
	.globl	_ZN7rocprim17ROCPRIM_400000_NS6detail17trampoline_kernelINS0_14default_configENS1_27scan_by_key_config_selectorIxxEEZZNS1_16scan_by_key_implILNS1_25lookback_scan_determinismE0ELb0ES3_N6thrust23THRUST_200600_302600_NS6detail15normal_iteratorINS9_10device_ptrIxEEEESE_SE_xNS9_4plusIvEENS9_8equal_toIvEExEE10hipError_tPvRmT2_T3_T4_T5_mT6_T7_P12ihipStream_tbENKUlT_T0_E_clISt17integral_constantIbLb0EESY_IbLb1EEEEDaSU_SV_EUlSU_E_NS1_11comp_targetILNS1_3genE10ELNS1_11target_archE1200ELNS1_3gpuE4ELNS1_3repE0EEENS1_30default_config_static_selectorELNS0_4arch9wavefront6targetE0EEEvT1_
	.p2align	8
	.type	_ZN7rocprim17ROCPRIM_400000_NS6detail17trampoline_kernelINS0_14default_configENS1_27scan_by_key_config_selectorIxxEEZZNS1_16scan_by_key_implILNS1_25lookback_scan_determinismE0ELb0ES3_N6thrust23THRUST_200600_302600_NS6detail15normal_iteratorINS9_10device_ptrIxEEEESE_SE_xNS9_4plusIvEENS9_8equal_toIvEExEE10hipError_tPvRmT2_T3_T4_T5_mT6_T7_P12ihipStream_tbENKUlT_T0_E_clISt17integral_constantIbLb0EESY_IbLb1EEEEDaSU_SV_EUlSU_E_NS1_11comp_targetILNS1_3genE10ELNS1_11target_archE1200ELNS1_3gpuE4ELNS1_3repE0EEENS1_30default_config_static_selectorELNS0_4arch9wavefront6targetE0EEEvT1_,@function
_ZN7rocprim17ROCPRIM_400000_NS6detail17trampoline_kernelINS0_14default_configENS1_27scan_by_key_config_selectorIxxEEZZNS1_16scan_by_key_implILNS1_25lookback_scan_determinismE0ELb0ES3_N6thrust23THRUST_200600_302600_NS6detail15normal_iteratorINS9_10device_ptrIxEEEESE_SE_xNS9_4plusIvEENS9_8equal_toIvEExEE10hipError_tPvRmT2_T3_T4_T5_mT6_T7_P12ihipStream_tbENKUlT_T0_E_clISt17integral_constantIbLb0EESY_IbLb1EEEEDaSU_SV_EUlSU_E_NS1_11comp_targetILNS1_3genE10ELNS1_11target_archE1200ELNS1_3gpuE4ELNS1_3repE0EEENS1_30default_config_static_selectorELNS0_4arch9wavefront6targetE0EEEvT1_: ; @_ZN7rocprim17ROCPRIM_400000_NS6detail17trampoline_kernelINS0_14default_configENS1_27scan_by_key_config_selectorIxxEEZZNS1_16scan_by_key_implILNS1_25lookback_scan_determinismE0ELb0ES3_N6thrust23THRUST_200600_302600_NS6detail15normal_iteratorINS9_10device_ptrIxEEEESE_SE_xNS9_4plusIvEENS9_8equal_toIvEExEE10hipError_tPvRmT2_T3_T4_T5_mT6_T7_P12ihipStream_tbENKUlT_T0_E_clISt17integral_constantIbLb0EESY_IbLb1EEEEDaSU_SV_EUlSU_E_NS1_11comp_targetILNS1_3genE10ELNS1_11target_archE1200ELNS1_3gpuE4ELNS1_3repE0EEENS1_30default_config_static_selectorELNS0_4arch9wavefront6targetE0EEEvT1_
; %bb.0:
	.section	.rodata,"a",@progbits
	.p2align	6, 0x0
	.amdhsa_kernel _ZN7rocprim17ROCPRIM_400000_NS6detail17trampoline_kernelINS0_14default_configENS1_27scan_by_key_config_selectorIxxEEZZNS1_16scan_by_key_implILNS1_25lookback_scan_determinismE0ELb0ES3_N6thrust23THRUST_200600_302600_NS6detail15normal_iteratorINS9_10device_ptrIxEEEESE_SE_xNS9_4plusIvEENS9_8equal_toIvEExEE10hipError_tPvRmT2_T3_T4_T5_mT6_T7_P12ihipStream_tbENKUlT_T0_E_clISt17integral_constantIbLb0EESY_IbLb1EEEEDaSU_SV_EUlSU_E_NS1_11comp_targetILNS1_3genE10ELNS1_11target_archE1200ELNS1_3gpuE4ELNS1_3repE0EEENS1_30default_config_static_selectorELNS0_4arch9wavefront6targetE0EEEvT1_
		.amdhsa_group_segment_fixed_size 0
		.amdhsa_private_segment_fixed_size 0
		.amdhsa_kernarg_size 136
		.amdhsa_user_sgpr_count 2
		.amdhsa_user_sgpr_dispatch_ptr 0
		.amdhsa_user_sgpr_queue_ptr 0
		.amdhsa_user_sgpr_kernarg_segment_ptr 1
		.amdhsa_user_sgpr_dispatch_id 0
		.amdhsa_user_sgpr_kernarg_preload_length 0
		.amdhsa_user_sgpr_kernarg_preload_offset 0
		.amdhsa_user_sgpr_private_segment_size 0
		.amdhsa_wavefront_size32 1
		.amdhsa_uses_dynamic_stack 0
		.amdhsa_enable_private_segment 0
		.amdhsa_system_sgpr_workgroup_id_x 1
		.amdhsa_system_sgpr_workgroup_id_y 0
		.amdhsa_system_sgpr_workgroup_id_z 0
		.amdhsa_system_sgpr_workgroup_info 0
		.amdhsa_system_vgpr_workitem_id 0
		.amdhsa_next_free_vgpr 1
		.amdhsa_next_free_sgpr 1
		.amdhsa_named_barrier_count 0
		.amdhsa_reserve_vcc 0
		.amdhsa_float_round_mode_32 0
		.amdhsa_float_round_mode_16_64 0
		.amdhsa_float_denorm_mode_32 3
		.amdhsa_float_denorm_mode_16_64 3
		.amdhsa_fp16_overflow 0
		.amdhsa_memory_ordered 1
		.amdhsa_forward_progress 1
		.amdhsa_inst_pref_size 0
		.amdhsa_round_robin_scheduling 0
		.amdhsa_exception_fp_ieee_invalid_op 0
		.amdhsa_exception_fp_denorm_src 0
		.amdhsa_exception_fp_ieee_div_zero 0
		.amdhsa_exception_fp_ieee_overflow 0
		.amdhsa_exception_fp_ieee_underflow 0
		.amdhsa_exception_fp_ieee_inexact 0
		.amdhsa_exception_int_div_zero 0
	.end_amdhsa_kernel
	.section	.text._ZN7rocprim17ROCPRIM_400000_NS6detail17trampoline_kernelINS0_14default_configENS1_27scan_by_key_config_selectorIxxEEZZNS1_16scan_by_key_implILNS1_25lookback_scan_determinismE0ELb0ES3_N6thrust23THRUST_200600_302600_NS6detail15normal_iteratorINS9_10device_ptrIxEEEESE_SE_xNS9_4plusIvEENS9_8equal_toIvEExEE10hipError_tPvRmT2_T3_T4_T5_mT6_T7_P12ihipStream_tbENKUlT_T0_E_clISt17integral_constantIbLb0EESY_IbLb1EEEEDaSU_SV_EUlSU_E_NS1_11comp_targetILNS1_3genE10ELNS1_11target_archE1200ELNS1_3gpuE4ELNS1_3repE0EEENS1_30default_config_static_selectorELNS0_4arch9wavefront6targetE0EEEvT1_,"axG",@progbits,_ZN7rocprim17ROCPRIM_400000_NS6detail17trampoline_kernelINS0_14default_configENS1_27scan_by_key_config_selectorIxxEEZZNS1_16scan_by_key_implILNS1_25lookback_scan_determinismE0ELb0ES3_N6thrust23THRUST_200600_302600_NS6detail15normal_iteratorINS9_10device_ptrIxEEEESE_SE_xNS9_4plusIvEENS9_8equal_toIvEExEE10hipError_tPvRmT2_T3_T4_T5_mT6_T7_P12ihipStream_tbENKUlT_T0_E_clISt17integral_constantIbLb0EESY_IbLb1EEEEDaSU_SV_EUlSU_E_NS1_11comp_targetILNS1_3genE10ELNS1_11target_archE1200ELNS1_3gpuE4ELNS1_3repE0EEENS1_30default_config_static_selectorELNS0_4arch9wavefront6targetE0EEEvT1_,comdat
.Lfunc_end44:
	.size	_ZN7rocprim17ROCPRIM_400000_NS6detail17trampoline_kernelINS0_14default_configENS1_27scan_by_key_config_selectorIxxEEZZNS1_16scan_by_key_implILNS1_25lookback_scan_determinismE0ELb0ES3_N6thrust23THRUST_200600_302600_NS6detail15normal_iteratorINS9_10device_ptrIxEEEESE_SE_xNS9_4plusIvEENS9_8equal_toIvEExEE10hipError_tPvRmT2_T3_T4_T5_mT6_T7_P12ihipStream_tbENKUlT_T0_E_clISt17integral_constantIbLb0EESY_IbLb1EEEEDaSU_SV_EUlSU_E_NS1_11comp_targetILNS1_3genE10ELNS1_11target_archE1200ELNS1_3gpuE4ELNS1_3repE0EEENS1_30default_config_static_selectorELNS0_4arch9wavefront6targetE0EEEvT1_, .Lfunc_end44-_ZN7rocprim17ROCPRIM_400000_NS6detail17trampoline_kernelINS0_14default_configENS1_27scan_by_key_config_selectorIxxEEZZNS1_16scan_by_key_implILNS1_25lookback_scan_determinismE0ELb0ES3_N6thrust23THRUST_200600_302600_NS6detail15normal_iteratorINS9_10device_ptrIxEEEESE_SE_xNS9_4plusIvEENS9_8equal_toIvEExEE10hipError_tPvRmT2_T3_T4_T5_mT6_T7_P12ihipStream_tbENKUlT_T0_E_clISt17integral_constantIbLb0EESY_IbLb1EEEEDaSU_SV_EUlSU_E_NS1_11comp_targetILNS1_3genE10ELNS1_11target_archE1200ELNS1_3gpuE4ELNS1_3repE0EEENS1_30default_config_static_selectorELNS0_4arch9wavefront6targetE0EEEvT1_
                                        ; -- End function
	.set _ZN7rocprim17ROCPRIM_400000_NS6detail17trampoline_kernelINS0_14default_configENS1_27scan_by_key_config_selectorIxxEEZZNS1_16scan_by_key_implILNS1_25lookback_scan_determinismE0ELb0ES3_N6thrust23THRUST_200600_302600_NS6detail15normal_iteratorINS9_10device_ptrIxEEEESE_SE_xNS9_4plusIvEENS9_8equal_toIvEExEE10hipError_tPvRmT2_T3_T4_T5_mT6_T7_P12ihipStream_tbENKUlT_T0_E_clISt17integral_constantIbLb0EESY_IbLb1EEEEDaSU_SV_EUlSU_E_NS1_11comp_targetILNS1_3genE10ELNS1_11target_archE1200ELNS1_3gpuE4ELNS1_3repE0EEENS1_30default_config_static_selectorELNS0_4arch9wavefront6targetE0EEEvT1_.num_vgpr, 0
	.set _ZN7rocprim17ROCPRIM_400000_NS6detail17trampoline_kernelINS0_14default_configENS1_27scan_by_key_config_selectorIxxEEZZNS1_16scan_by_key_implILNS1_25lookback_scan_determinismE0ELb0ES3_N6thrust23THRUST_200600_302600_NS6detail15normal_iteratorINS9_10device_ptrIxEEEESE_SE_xNS9_4plusIvEENS9_8equal_toIvEExEE10hipError_tPvRmT2_T3_T4_T5_mT6_T7_P12ihipStream_tbENKUlT_T0_E_clISt17integral_constantIbLb0EESY_IbLb1EEEEDaSU_SV_EUlSU_E_NS1_11comp_targetILNS1_3genE10ELNS1_11target_archE1200ELNS1_3gpuE4ELNS1_3repE0EEENS1_30default_config_static_selectorELNS0_4arch9wavefront6targetE0EEEvT1_.num_agpr, 0
	.set _ZN7rocprim17ROCPRIM_400000_NS6detail17trampoline_kernelINS0_14default_configENS1_27scan_by_key_config_selectorIxxEEZZNS1_16scan_by_key_implILNS1_25lookback_scan_determinismE0ELb0ES3_N6thrust23THRUST_200600_302600_NS6detail15normal_iteratorINS9_10device_ptrIxEEEESE_SE_xNS9_4plusIvEENS9_8equal_toIvEExEE10hipError_tPvRmT2_T3_T4_T5_mT6_T7_P12ihipStream_tbENKUlT_T0_E_clISt17integral_constantIbLb0EESY_IbLb1EEEEDaSU_SV_EUlSU_E_NS1_11comp_targetILNS1_3genE10ELNS1_11target_archE1200ELNS1_3gpuE4ELNS1_3repE0EEENS1_30default_config_static_selectorELNS0_4arch9wavefront6targetE0EEEvT1_.numbered_sgpr, 0
	.set _ZN7rocprim17ROCPRIM_400000_NS6detail17trampoline_kernelINS0_14default_configENS1_27scan_by_key_config_selectorIxxEEZZNS1_16scan_by_key_implILNS1_25lookback_scan_determinismE0ELb0ES3_N6thrust23THRUST_200600_302600_NS6detail15normal_iteratorINS9_10device_ptrIxEEEESE_SE_xNS9_4plusIvEENS9_8equal_toIvEExEE10hipError_tPvRmT2_T3_T4_T5_mT6_T7_P12ihipStream_tbENKUlT_T0_E_clISt17integral_constantIbLb0EESY_IbLb1EEEEDaSU_SV_EUlSU_E_NS1_11comp_targetILNS1_3genE10ELNS1_11target_archE1200ELNS1_3gpuE4ELNS1_3repE0EEENS1_30default_config_static_selectorELNS0_4arch9wavefront6targetE0EEEvT1_.num_named_barrier, 0
	.set _ZN7rocprim17ROCPRIM_400000_NS6detail17trampoline_kernelINS0_14default_configENS1_27scan_by_key_config_selectorIxxEEZZNS1_16scan_by_key_implILNS1_25lookback_scan_determinismE0ELb0ES3_N6thrust23THRUST_200600_302600_NS6detail15normal_iteratorINS9_10device_ptrIxEEEESE_SE_xNS9_4plusIvEENS9_8equal_toIvEExEE10hipError_tPvRmT2_T3_T4_T5_mT6_T7_P12ihipStream_tbENKUlT_T0_E_clISt17integral_constantIbLb0EESY_IbLb1EEEEDaSU_SV_EUlSU_E_NS1_11comp_targetILNS1_3genE10ELNS1_11target_archE1200ELNS1_3gpuE4ELNS1_3repE0EEENS1_30default_config_static_selectorELNS0_4arch9wavefront6targetE0EEEvT1_.private_seg_size, 0
	.set _ZN7rocprim17ROCPRIM_400000_NS6detail17trampoline_kernelINS0_14default_configENS1_27scan_by_key_config_selectorIxxEEZZNS1_16scan_by_key_implILNS1_25lookback_scan_determinismE0ELb0ES3_N6thrust23THRUST_200600_302600_NS6detail15normal_iteratorINS9_10device_ptrIxEEEESE_SE_xNS9_4plusIvEENS9_8equal_toIvEExEE10hipError_tPvRmT2_T3_T4_T5_mT6_T7_P12ihipStream_tbENKUlT_T0_E_clISt17integral_constantIbLb0EESY_IbLb1EEEEDaSU_SV_EUlSU_E_NS1_11comp_targetILNS1_3genE10ELNS1_11target_archE1200ELNS1_3gpuE4ELNS1_3repE0EEENS1_30default_config_static_selectorELNS0_4arch9wavefront6targetE0EEEvT1_.uses_vcc, 0
	.set _ZN7rocprim17ROCPRIM_400000_NS6detail17trampoline_kernelINS0_14default_configENS1_27scan_by_key_config_selectorIxxEEZZNS1_16scan_by_key_implILNS1_25lookback_scan_determinismE0ELb0ES3_N6thrust23THRUST_200600_302600_NS6detail15normal_iteratorINS9_10device_ptrIxEEEESE_SE_xNS9_4plusIvEENS9_8equal_toIvEExEE10hipError_tPvRmT2_T3_T4_T5_mT6_T7_P12ihipStream_tbENKUlT_T0_E_clISt17integral_constantIbLb0EESY_IbLb1EEEEDaSU_SV_EUlSU_E_NS1_11comp_targetILNS1_3genE10ELNS1_11target_archE1200ELNS1_3gpuE4ELNS1_3repE0EEENS1_30default_config_static_selectorELNS0_4arch9wavefront6targetE0EEEvT1_.uses_flat_scratch, 0
	.set _ZN7rocprim17ROCPRIM_400000_NS6detail17trampoline_kernelINS0_14default_configENS1_27scan_by_key_config_selectorIxxEEZZNS1_16scan_by_key_implILNS1_25lookback_scan_determinismE0ELb0ES3_N6thrust23THRUST_200600_302600_NS6detail15normal_iteratorINS9_10device_ptrIxEEEESE_SE_xNS9_4plusIvEENS9_8equal_toIvEExEE10hipError_tPvRmT2_T3_T4_T5_mT6_T7_P12ihipStream_tbENKUlT_T0_E_clISt17integral_constantIbLb0EESY_IbLb1EEEEDaSU_SV_EUlSU_E_NS1_11comp_targetILNS1_3genE10ELNS1_11target_archE1200ELNS1_3gpuE4ELNS1_3repE0EEENS1_30default_config_static_selectorELNS0_4arch9wavefront6targetE0EEEvT1_.has_dyn_sized_stack, 0
	.set _ZN7rocprim17ROCPRIM_400000_NS6detail17trampoline_kernelINS0_14default_configENS1_27scan_by_key_config_selectorIxxEEZZNS1_16scan_by_key_implILNS1_25lookback_scan_determinismE0ELb0ES3_N6thrust23THRUST_200600_302600_NS6detail15normal_iteratorINS9_10device_ptrIxEEEESE_SE_xNS9_4plusIvEENS9_8equal_toIvEExEE10hipError_tPvRmT2_T3_T4_T5_mT6_T7_P12ihipStream_tbENKUlT_T0_E_clISt17integral_constantIbLb0EESY_IbLb1EEEEDaSU_SV_EUlSU_E_NS1_11comp_targetILNS1_3genE10ELNS1_11target_archE1200ELNS1_3gpuE4ELNS1_3repE0EEENS1_30default_config_static_selectorELNS0_4arch9wavefront6targetE0EEEvT1_.has_recursion, 0
	.set _ZN7rocprim17ROCPRIM_400000_NS6detail17trampoline_kernelINS0_14default_configENS1_27scan_by_key_config_selectorIxxEEZZNS1_16scan_by_key_implILNS1_25lookback_scan_determinismE0ELb0ES3_N6thrust23THRUST_200600_302600_NS6detail15normal_iteratorINS9_10device_ptrIxEEEESE_SE_xNS9_4plusIvEENS9_8equal_toIvEExEE10hipError_tPvRmT2_T3_T4_T5_mT6_T7_P12ihipStream_tbENKUlT_T0_E_clISt17integral_constantIbLb0EESY_IbLb1EEEEDaSU_SV_EUlSU_E_NS1_11comp_targetILNS1_3genE10ELNS1_11target_archE1200ELNS1_3gpuE4ELNS1_3repE0EEENS1_30default_config_static_selectorELNS0_4arch9wavefront6targetE0EEEvT1_.has_indirect_call, 0
	.section	.AMDGPU.csdata,"",@progbits
; Kernel info:
; codeLenInByte = 0
; TotalNumSgprs: 0
; NumVgprs: 0
; ScratchSize: 0
; MemoryBound: 0
; FloatMode: 240
; IeeeMode: 1
; LDSByteSize: 0 bytes/workgroup (compile time only)
; SGPRBlocks: 0
; VGPRBlocks: 0
; NumSGPRsForWavesPerEU: 1
; NumVGPRsForWavesPerEU: 1
; NamedBarCnt: 0
; Occupancy: 16
; WaveLimiterHint : 0
; COMPUTE_PGM_RSRC2:SCRATCH_EN: 0
; COMPUTE_PGM_RSRC2:USER_SGPR: 2
; COMPUTE_PGM_RSRC2:TRAP_HANDLER: 0
; COMPUTE_PGM_RSRC2:TGID_X_EN: 1
; COMPUTE_PGM_RSRC2:TGID_Y_EN: 0
; COMPUTE_PGM_RSRC2:TGID_Z_EN: 0
; COMPUTE_PGM_RSRC2:TIDIG_COMP_CNT: 0
	.section	.text._ZN7rocprim17ROCPRIM_400000_NS6detail17trampoline_kernelINS0_14default_configENS1_27scan_by_key_config_selectorIxxEEZZNS1_16scan_by_key_implILNS1_25lookback_scan_determinismE0ELb0ES3_N6thrust23THRUST_200600_302600_NS6detail15normal_iteratorINS9_10device_ptrIxEEEESE_SE_xNS9_4plusIvEENS9_8equal_toIvEExEE10hipError_tPvRmT2_T3_T4_T5_mT6_T7_P12ihipStream_tbENKUlT_T0_E_clISt17integral_constantIbLb0EESY_IbLb1EEEEDaSU_SV_EUlSU_E_NS1_11comp_targetILNS1_3genE9ELNS1_11target_archE1100ELNS1_3gpuE3ELNS1_3repE0EEENS1_30default_config_static_selectorELNS0_4arch9wavefront6targetE0EEEvT1_,"axG",@progbits,_ZN7rocprim17ROCPRIM_400000_NS6detail17trampoline_kernelINS0_14default_configENS1_27scan_by_key_config_selectorIxxEEZZNS1_16scan_by_key_implILNS1_25lookback_scan_determinismE0ELb0ES3_N6thrust23THRUST_200600_302600_NS6detail15normal_iteratorINS9_10device_ptrIxEEEESE_SE_xNS9_4plusIvEENS9_8equal_toIvEExEE10hipError_tPvRmT2_T3_T4_T5_mT6_T7_P12ihipStream_tbENKUlT_T0_E_clISt17integral_constantIbLb0EESY_IbLb1EEEEDaSU_SV_EUlSU_E_NS1_11comp_targetILNS1_3genE9ELNS1_11target_archE1100ELNS1_3gpuE3ELNS1_3repE0EEENS1_30default_config_static_selectorELNS0_4arch9wavefront6targetE0EEEvT1_,comdat
	.protected	_ZN7rocprim17ROCPRIM_400000_NS6detail17trampoline_kernelINS0_14default_configENS1_27scan_by_key_config_selectorIxxEEZZNS1_16scan_by_key_implILNS1_25lookback_scan_determinismE0ELb0ES3_N6thrust23THRUST_200600_302600_NS6detail15normal_iteratorINS9_10device_ptrIxEEEESE_SE_xNS9_4plusIvEENS9_8equal_toIvEExEE10hipError_tPvRmT2_T3_T4_T5_mT6_T7_P12ihipStream_tbENKUlT_T0_E_clISt17integral_constantIbLb0EESY_IbLb1EEEEDaSU_SV_EUlSU_E_NS1_11comp_targetILNS1_3genE9ELNS1_11target_archE1100ELNS1_3gpuE3ELNS1_3repE0EEENS1_30default_config_static_selectorELNS0_4arch9wavefront6targetE0EEEvT1_ ; -- Begin function _ZN7rocprim17ROCPRIM_400000_NS6detail17trampoline_kernelINS0_14default_configENS1_27scan_by_key_config_selectorIxxEEZZNS1_16scan_by_key_implILNS1_25lookback_scan_determinismE0ELb0ES3_N6thrust23THRUST_200600_302600_NS6detail15normal_iteratorINS9_10device_ptrIxEEEESE_SE_xNS9_4plusIvEENS9_8equal_toIvEExEE10hipError_tPvRmT2_T3_T4_T5_mT6_T7_P12ihipStream_tbENKUlT_T0_E_clISt17integral_constantIbLb0EESY_IbLb1EEEEDaSU_SV_EUlSU_E_NS1_11comp_targetILNS1_3genE9ELNS1_11target_archE1100ELNS1_3gpuE3ELNS1_3repE0EEENS1_30default_config_static_selectorELNS0_4arch9wavefront6targetE0EEEvT1_
	.globl	_ZN7rocprim17ROCPRIM_400000_NS6detail17trampoline_kernelINS0_14default_configENS1_27scan_by_key_config_selectorIxxEEZZNS1_16scan_by_key_implILNS1_25lookback_scan_determinismE0ELb0ES3_N6thrust23THRUST_200600_302600_NS6detail15normal_iteratorINS9_10device_ptrIxEEEESE_SE_xNS9_4plusIvEENS9_8equal_toIvEExEE10hipError_tPvRmT2_T3_T4_T5_mT6_T7_P12ihipStream_tbENKUlT_T0_E_clISt17integral_constantIbLb0EESY_IbLb1EEEEDaSU_SV_EUlSU_E_NS1_11comp_targetILNS1_3genE9ELNS1_11target_archE1100ELNS1_3gpuE3ELNS1_3repE0EEENS1_30default_config_static_selectorELNS0_4arch9wavefront6targetE0EEEvT1_
	.p2align	8
	.type	_ZN7rocprim17ROCPRIM_400000_NS6detail17trampoline_kernelINS0_14default_configENS1_27scan_by_key_config_selectorIxxEEZZNS1_16scan_by_key_implILNS1_25lookback_scan_determinismE0ELb0ES3_N6thrust23THRUST_200600_302600_NS6detail15normal_iteratorINS9_10device_ptrIxEEEESE_SE_xNS9_4plusIvEENS9_8equal_toIvEExEE10hipError_tPvRmT2_T3_T4_T5_mT6_T7_P12ihipStream_tbENKUlT_T0_E_clISt17integral_constantIbLb0EESY_IbLb1EEEEDaSU_SV_EUlSU_E_NS1_11comp_targetILNS1_3genE9ELNS1_11target_archE1100ELNS1_3gpuE3ELNS1_3repE0EEENS1_30default_config_static_selectorELNS0_4arch9wavefront6targetE0EEEvT1_,@function
_ZN7rocprim17ROCPRIM_400000_NS6detail17trampoline_kernelINS0_14default_configENS1_27scan_by_key_config_selectorIxxEEZZNS1_16scan_by_key_implILNS1_25lookback_scan_determinismE0ELb0ES3_N6thrust23THRUST_200600_302600_NS6detail15normal_iteratorINS9_10device_ptrIxEEEESE_SE_xNS9_4plusIvEENS9_8equal_toIvEExEE10hipError_tPvRmT2_T3_T4_T5_mT6_T7_P12ihipStream_tbENKUlT_T0_E_clISt17integral_constantIbLb0EESY_IbLb1EEEEDaSU_SV_EUlSU_E_NS1_11comp_targetILNS1_3genE9ELNS1_11target_archE1100ELNS1_3gpuE3ELNS1_3repE0EEENS1_30default_config_static_selectorELNS0_4arch9wavefront6targetE0EEEvT1_: ; @_ZN7rocprim17ROCPRIM_400000_NS6detail17trampoline_kernelINS0_14default_configENS1_27scan_by_key_config_selectorIxxEEZZNS1_16scan_by_key_implILNS1_25lookback_scan_determinismE0ELb0ES3_N6thrust23THRUST_200600_302600_NS6detail15normal_iteratorINS9_10device_ptrIxEEEESE_SE_xNS9_4plusIvEENS9_8equal_toIvEExEE10hipError_tPvRmT2_T3_T4_T5_mT6_T7_P12ihipStream_tbENKUlT_T0_E_clISt17integral_constantIbLb0EESY_IbLb1EEEEDaSU_SV_EUlSU_E_NS1_11comp_targetILNS1_3genE9ELNS1_11target_archE1100ELNS1_3gpuE3ELNS1_3repE0EEENS1_30default_config_static_selectorELNS0_4arch9wavefront6targetE0EEEvT1_
; %bb.0:
	.section	.rodata,"a",@progbits
	.p2align	6, 0x0
	.amdhsa_kernel _ZN7rocprim17ROCPRIM_400000_NS6detail17trampoline_kernelINS0_14default_configENS1_27scan_by_key_config_selectorIxxEEZZNS1_16scan_by_key_implILNS1_25lookback_scan_determinismE0ELb0ES3_N6thrust23THRUST_200600_302600_NS6detail15normal_iteratorINS9_10device_ptrIxEEEESE_SE_xNS9_4plusIvEENS9_8equal_toIvEExEE10hipError_tPvRmT2_T3_T4_T5_mT6_T7_P12ihipStream_tbENKUlT_T0_E_clISt17integral_constantIbLb0EESY_IbLb1EEEEDaSU_SV_EUlSU_E_NS1_11comp_targetILNS1_3genE9ELNS1_11target_archE1100ELNS1_3gpuE3ELNS1_3repE0EEENS1_30default_config_static_selectorELNS0_4arch9wavefront6targetE0EEEvT1_
		.amdhsa_group_segment_fixed_size 0
		.amdhsa_private_segment_fixed_size 0
		.amdhsa_kernarg_size 136
		.amdhsa_user_sgpr_count 2
		.amdhsa_user_sgpr_dispatch_ptr 0
		.amdhsa_user_sgpr_queue_ptr 0
		.amdhsa_user_sgpr_kernarg_segment_ptr 1
		.amdhsa_user_sgpr_dispatch_id 0
		.amdhsa_user_sgpr_kernarg_preload_length 0
		.amdhsa_user_sgpr_kernarg_preload_offset 0
		.amdhsa_user_sgpr_private_segment_size 0
		.amdhsa_wavefront_size32 1
		.amdhsa_uses_dynamic_stack 0
		.amdhsa_enable_private_segment 0
		.amdhsa_system_sgpr_workgroup_id_x 1
		.amdhsa_system_sgpr_workgroup_id_y 0
		.amdhsa_system_sgpr_workgroup_id_z 0
		.amdhsa_system_sgpr_workgroup_info 0
		.amdhsa_system_vgpr_workitem_id 0
		.amdhsa_next_free_vgpr 1
		.amdhsa_next_free_sgpr 1
		.amdhsa_named_barrier_count 0
		.amdhsa_reserve_vcc 0
		.amdhsa_float_round_mode_32 0
		.amdhsa_float_round_mode_16_64 0
		.amdhsa_float_denorm_mode_32 3
		.amdhsa_float_denorm_mode_16_64 3
		.amdhsa_fp16_overflow 0
		.amdhsa_memory_ordered 1
		.amdhsa_forward_progress 1
		.amdhsa_inst_pref_size 0
		.amdhsa_round_robin_scheduling 0
		.amdhsa_exception_fp_ieee_invalid_op 0
		.amdhsa_exception_fp_denorm_src 0
		.amdhsa_exception_fp_ieee_div_zero 0
		.amdhsa_exception_fp_ieee_overflow 0
		.amdhsa_exception_fp_ieee_underflow 0
		.amdhsa_exception_fp_ieee_inexact 0
		.amdhsa_exception_int_div_zero 0
	.end_amdhsa_kernel
	.section	.text._ZN7rocprim17ROCPRIM_400000_NS6detail17trampoline_kernelINS0_14default_configENS1_27scan_by_key_config_selectorIxxEEZZNS1_16scan_by_key_implILNS1_25lookback_scan_determinismE0ELb0ES3_N6thrust23THRUST_200600_302600_NS6detail15normal_iteratorINS9_10device_ptrIxEEEESE_SE_xNS9_4plusIvEENS9_8equal_toIvEExEE10hipError_tPvRmT2_T3_T4_T5_mT6_T7_P12ihipStream_tbENKUlT_T0_E_clISt17integral_constantIbLb0EESY_IbLb1EEEEDaSU_SV_EUlSU_E_NS1_11comp_targetILNS1_3genE9ELNS1_11target_archE1100ELNS1_3gpuE3ELNS1_3repE0EEENS1_30default_config_static_selectorELNS0_4arch9wavefront6targetE0EEEvT1_,"axG",@progbits,_ZN7rocprim17ROCPRIM_400000_NS6detail17trampoline_kernelINS0_14default_configENS1_27scan_by_key_config_selectorIxxEEZZNS1_16scan_by_key_implILNS1_25lookback_scan_determinismE0ELb0ES3_N6thrust23THRUST_200600_302600_NS6detail15normal_iteratorINS9_10device_ptrIxEEEESE_SE_xNS9_4plusIvEENS9_8equal_toIvEExEE10hipError_tPvRmT2_T3_T4_T5_mT6_T7_P12ihipStream_tbENKUlT_T0_E_clISt17integral_constantIbLb0EESY_IbLb1EEEEDaSU_SV_EUlSU_E_NS1_11comp_targetILNS1_3genE9ELNS1_11target_archE1100ELNS1_3gpuE3ELNS1_3repE0EEENS1_30default_config_static_selectorELNS0_4arch9wavefront6targetE0EEEvT1_,comdat
.Lfunc_end45:
	.size	_ZN7rocprim17ROCPRIM_400000_NS6detail17trampoline_kernelINS0_14default_configENS1_27scan_by_key_config_selectorIxxEEZZNS1_16scan_by_key_implILNS1_25lookback_scan_determinismE0ELb0ES3_N6thrust23THRUST_200600_302600_NS6detail15normal_iteratorINS9_10device_ptrIxEEEESE_SE_xNS9_4plusIvEENS9_8equal_toIvEExEE10hipError_tPvRmT2_T3_T4_T5_mT6_T7_P12ihipStream_tbENKUlT_T0_E_clISt17integral_constantIbLb0EESY_IbLb1EEEEDaSU_SV_EUlSU_E_NS1_11comp_targetILNS1_3genE9ELNS1_11target_archE1100ELNS1_3gpuE3ELNS1_3repE0EEENS1_30default_config_static_selectorELNS0_4arch9wavefront6targetE0EEEvT1_, .Lfunc_end45-_ZN7rocprim17ROCPRIM_400000_NS6detail17trampoline_kernelINS0_14default_configENS1_27scan_by_key_config_selectorIxxEEZZNS1_16scan_by_key_implILNS1_25lookback_scan_determinismE0ELb0ES3_N6thrust23THRUST_200600_302600_NS6detail15normal_iteratorINS9_10device_ptrIxEEEESE_SE_xNS9_4plusIvEENS9_8equal_toIvEExEE10hipError_tPvRmT2_T3_T4_T5_mT6_T7_P12ihipStream_tbENKUlT_T0_E_clISt17integral_constantIbLb0EESY_IbLb1EEEEDaSU_SV_EUlSU_E_NS1_11comp_targetILNS1_3genE9ELNS1_11target_archE1100ELNS1_3gpuE3ELNS1_3repE0EEENS1_30default_config_static_selectorELNS0_4arch9wavefront6targetE0EEEvT1_
                                        ; -- End function
	.set _ZN7rocprim17ROCPRIM_400000_NS6detail17trampoline_kernelINS0_14default_configENS1_27scan_by_key_config_selectorIxxEEZZNS1_16scan_by_key_implILNS1_25lookback_scan_determinismE0ELb0ES3_N6thrust23THRUST_200600_302600_NS6detail15normal_iteratorINS9_10device_ptrIxEEEESE_SE_xNS9_4plusIvEENS9_8equal_toIvEExEE10hipError_tPvRmT2_T3_T4_T5_mT6_T7_P12ihipStream_tbENKUlT_T0_E_clISt17integral_constantIbLb0EESY_IbLb1EEEEDaSU_SV_EUlSU_E_NS1_11comp_targetILNS1_3genE9ELNS1_11target_archE1100ELNS1_3gpuE3ELNS1_3repE0EEENS1_30default_config_static_selectorELNS0_4arch9wavefront6targetE0EEEvT1_.num_vgpr, 0
	.set _ZN7rocprim17ROCPRIM_400000_NS6detail17trampoline_kernelINS0_14default_configENS1_27scan_by_key_config_selectorIxxEEZZNS1_16scan_by_key_implILNS1_25lookback_scan_determinismE0ELb0ES3_N6thrust23THRUST_200600_302600_NS6detail15normal_iteratorINS9_10device_ptrIxEEEESE_SE_xNS9_4plusIvEENS9_8equal_toIvEExEE10hipError_tPvRmT2_T3_T4_T5_mT6_T7_P12ihipStream_tbENKUlT_T0_E_clISt17integral_constantIbLb0EESY_IbLb1EEEEDaSU_SV_EUlSU_E_NS1_11comp_targetILNS1_3genE9ELNS1_11target_archE1100ELNS1_3gpuE3ELNS1_3repE0EEENS1_30default_config_static_selectorELNS0_4arch9wavefront6targetE0EEEvT1_.num_agpr, 0
	.set _ZN7rocprim17ROCPRIM_400000_NS6detail17trampoline_kernelINS0_14default_configENS1_27scan_by_key_config_selectorIxxEEZZNS1_16scan_by_key_implILNS1_25lookback_scan_determinismE0ELb0ES3_N6thrust23THRUST_200600_302600_NS6detail15normal_iteratorINS9_10device_ptrIxEEEESE_SE_xNS9_4plusIvEENS9_8equal_toIvEExEE10hipError_tPvRmT2_T3_T4_T5_mT6_T7_P12ihipStream_tbENKUlT_T0_E_clISt17integral_constantIbLb0EESY_IbLb1EEEEDaSU_SV_EUlSU_E_NS1_11comp_targetILNS1_3genE9ELNS1_11target_archE1100ELNS1_3gpuE3ELNS1_3repE0EEENS1_30default_config_static_selectorELNS0_4arch9wavefront6targetE0EEEvT1_.numbered_sgpr, 0
	.set _ZN7rocprim17ROCPRIM_400000_NS6detail17trampoline_kernelINS0_14default_configENS1_27scan_by_key_config_selectorIxxEEZZNS1_16scan_by_key_implILNS1_25lookback_scan_determinismE0ELb0ES3_N6thrust23THRUST_200600_302600_NS6detail15normal_iteratorINS9_10device_ptrIxEEEESE_SE_xNS9_4plusIvEENS9_8equal_toIvEExEE10hipError_tPvRmT2_T3_T4_T5_mT6_T7_P12ihipStream_tbENKUlT_T0_E_clISt17integral_constantIbLb0EESY_IbLb1EEEEDaSU_SV_EUlSU_E_NS1_11comp_targetILNS1_3genE9ELNS1_11target_archE1100ELNS1_3gpuE3ELNS1_3repE0EEENS1_30default_config_static_selectorELNS0_4arch9wavefront6targetE0EEEvT1_.num_named_barrier, 0
	.set _ZN7rocprim17ROCPRIM_400000_NS6detail17trampoline_kernelINS0_14default_configENS1_27scan_by_key_config_selectorIxxEEZZNS1_16scan_by_key_implILNS1_25lookback_scan_determinismE0ELb0ES3_N6thrust23THRUST_200600_302600_NS6detail15normal_iteratorINS9_10device_ptrIxEEEESE_SE_xNS9_4plusIvEENS9_8equal_toIvEExEE10hipError_tPvRmT2_T3_T4_T5_mT6_T7_P12ihipStream_tbENKUlT_T0_E_clISt17integral_constantIbLb0EESY_IbLb1EEEEDaSU_SV_EUlSU_E_NS1_11comp_targetILNS1_3genE9ELNS1_11target_archE1100ELNS1_3gpuE3ELNS1_3repE0EEENS1_30default_config_static_selectorELNS0_4arch9wavefront6targetE0EEEvT1_.private_seg_size, 0
	.set _ZN7rocprim17ROCPRIM_400000_NS6detail17trampoline_kernelINS0_14default_configENS1_27scan_by_key_config_selectorIxxEEZZNS1_16scan_by_key_implILNS1_25lookback_scan_determinismE0ELb0ES3_N6thrust23THRUST_200600_302600_NS6detail15normal_iteratorINS9_10device_ptrIxEEEESE_SE_xNS9_4plusIvEENS9_8equal_toIvEExEE10hipError_tPvRmT2_T3_T4_T5_mT6_T7_P12ihipStream_tbENKUlT_T0_E_clISt17integral_constantIbLb0EESY_IbLb1EEEEDaSU_SV_EUlSU_E_NS1_11comp_targetILNS1_3genE9ELNS1_11target_archE1100ELNS1_3gpuE3ELNS1_3repE0EEENS1_30default_config_static_selectorELNS0_4arch9wavefront6targetE0EEEvT1_.uses_vcc, 0
	.set _ZN7rocprim17ROCPRIM_400000_NS6detail17trampoline_kernelINS0_14default_configENS1_27scan_by_key_config_selectorIxxEEZZNS1_16scan_by_key_implILNS1_25lookback_scan_determinismE0ELb0ES3_N6thrust23THRUST_200600_302600_NS6detail15normal_iteratorINS9_10device_ptrIxEEEESE_SE_xNS9_4plusIvEENS9_8equal_toIvEExEE10hipError_tPvRmT2_T3_T4_T5_mT6_T7_P12ihipStream_tbENKUlT_T0_E_clISt17integral_constantIbLb0EESY_IbLb1EEEEDaSU_SV_EUlSU_E_NS1_11comp_targetILNS1_3genE9ELNS1_11target_archE1100ELNS1_3gpuE3ELNS1_3repE0EEENS1_30default_config_static_selectorELNS0_4arch9wavefront6targetE0EEEvT1_.uses_flat_scratch, 0
	.set _ZN7rocprim17ROCPRIM_400000_NS6detail17trampoline_kernelINS0_14default_configENS1_27scan_by_key_config_selectorIxxEEZZNS1_16scan_by_key_implILNS1_25lookback_scan_determinismE0ELb0ES3_N6thrust23THRUST_200600_302600_NS6detail15normal_iteratorINS9_10device_ptrIxEEEESE_SE_xNS9_4plusIvEENS9_8equal_toIvEExEE10hipError_tPvRmT2_T3_T4_T5_mT6_T7_P12ihipStream_tbENKUlT_T0_E_clISt17integral_constantIbLb0EESY_IbLb1EEEEDaSU_SV_EUlSU_E_NS1_11comp_targetILNS1_3genE9ELNS1_11target_archE1100ELNS1_3gpuE3ELNS1_3repE0EEENS1_30default_config_static_selectorELNS0_4arch9wavefront6targetE0EEEvT1_.has_dyn_sized_stack, 0
	.set _ZN7rocprim17ROCPRIM_400000_NS6detail17trampoline_kernelINS0_14default_configENS1_27scan_by_key_config_selectorIxxEEZZNS1_16scan_by_key_implILNS1_25lookback_scan_determinismE0ELb0ES3_N6thrust23THRUST_200600_302600_NS6detail15normal_iteratorINS9_10device_ptrIxEEEESE_SE_xNS9_4plusIvEENS9_8equal_toIvEExEE10hipError_tPvRmT2_T3_T4_T5_mT6_T7_P12ihipStream_tbENKUlT_T0_E_clISt17integral_constantIbLb0EESY_IbLb1EEEEDaSU_SV_EUlSU_E_NS1_11comp_targetILNS1_3genE9ELNS1_11target_archE1100ELNS1_3gpuE3ELNS1_3repE0EEENS1_30default_config_static_selectorELNS0_4arch9wavefront6targetE0EEEvT1_.has_recursion, 0
	.set _ZN7rocprim17ROCPRIM_400000_NS6detail17trampoline_kernelINS0_14default_configENS1_27scan_by_key_config_selectorIxxEEZZNS1_16scan_by_key_implILNS1_25lookback_scan_determinismE0ELb0ES3_N6thrust23THRUST_200600_302600_NS6detail15normal_iteratorINS9_10device_ptrIxEEEESE_SE_xNS9_4plusIvEENS9_8equal_toIvEExEE10hipError_tPvRmT2_T3_T4_T5_mT6_T7_P12ihipStream_tbENKUlT_T0_E_clISt17integral_constantIbLb0EESY_IbLb1EEEEDaSU_SV_EUlSU_E_NS1_11comp_targetILNS1_3genE9ELNS1_11target_archE1100ELNS1_3gpuE3ELNS1_3repE0EEENS1_30default_config_static_selectorELNS0_4arch9wavefront6targetE0EEEvT1_.has_indirect_call, 0
	.section	.AMDGPU.csdata,"",@progbits
; Kernel info:
; codeLenInByte = 0
; TotalNumSgprs: 0
; NumVgprs: 0
; ScratchSize: 0
; MemoryBound: 0
; FloatMode: 240
; IeeeMode: 1
; LDSByteSize: 0 bytes/workgroup (compile time only)
; SGPRBlocks: 0
; VGPRBlocks: 0
; NumSGPRsForWavesPerEU: 1
; NumVGPRsForWavesPerEU: 1
; NamedBarCnt: 0
; Occupancy: 16
; WaveLimiterHint : 0
; COMPUTE_PGM_RSRC2:SCRATCH_EN: 0
; COMPUTE_PGM_RSRC2:USER_SGPR: 2
; COMPUTE_PGM_RSRC2:TRAP_HANDLER: 0
; COMPUTE_PGM_RSRC2:TGID_X_EN: 1
; COMPUTE_PGM_RSRC2:TGID_Y_EN: 0
; COMPUTE_PGM_RSRC2:TGID_Z_EN: 0
; COMPUTE_PGM_RSRC2:TIDIG_COMP_CNT: 0
	.section	.text._ZN7rocprim17ROCPRIM_400000_NS6detail17trampoline_kernelINS0_14default_configENS1_27scan_by_key_config_selectorIxxEEZZNS1_16scan_by_key_implILNS1_25lookback_scan_determinismE0ELb0ES3_N6thrust23THRUST_200600_302600_NS6detail15normal_iteratorINS9_10device_ptrIxEEEESE_SE_xNS9_4plusIvEENS9_8equal_toIvEExEE10hipError_tPvRmT2_T3_T4_T5_mT6_T7_P12ihipStream_tbENKUlT_T0_E_clISt17integral_constantIbLb0EESY_IbLb1EEEEDaSU_SV_EUlSU_E_NS1_11comp_targetILNS1_3genE8ELNS1_11target_archE1030ELNS1_3gpuE2ELNS1_3repE0EEENS1_30default_config_static_selectorELNS0_4arch9wavefront6targetE0EEEvT1_,"axG",@progbits,_ZN7rocprim17ROCPRIM_400000_NS6detail17trampoline_kernelINS0_14default_configENS1_27scan_by_key_config_selectorIxxEEZZNS1_16scan_by_key_implILNS1_25lookback_scan_determinismE0ELb0ES3_N6thrust23THRUST_200600_302600_NS6detail15normal_iteratorINS9_10device_ptrIxEEEESE_SE_xNS9_4plusIvEENS9_8equal_toIvEExEE10hipError_tPvRmT2_T3_T4_T5_mT6_T7_P12ihipStream_tbENKUlT_T0_E_clISt17integral_constantIbLb0EESY_IbLb1EEEEDaSU_SV_EUlSU_E_NS1_11comp_targetILNS1_3genE8ELNS1_11target_archE1030ELNS1_3gpuE2ELNS1_3repE0EEENS1_30default_config_static_selectorELNS0_4arch9wavefront6targetE0EEEvT1_,comdat
	.protected	_ZN7rocprim17ROCPRIM_400000_NS6detail17trampoline_kernelINS0_14default_configENS1_27scan_by_key_config_selectorIxxEEZZNS1_16scan_by_key_implILNS1_25lookback_scan_determinismE0ELb0ES3_N6thrust23THRUST_200600_302600_NS6detail15normal_iteratorINS9_10device_ptrIxEEEESE_SE_xNS9_4plusIvEENS9_8equal_toIvEExEE10hipError_tPvRmT2_T3_T4_T5_mT6_T7_P12ihipStream_tbENKUlT_T0_E_clISt17integral_constantIbLb0EESY_IbLb1EEEEDaSU_SV_EUlSU_E_NS1_11comp_targetILNS1_3genE8ELNS1_11target_archE1030ELNS1_3gpuE2ELNS1_3repE0EEENS1_30default_config_static_selectorELNS0_4arch9wavefront6targetE0EEEvT1_ ; -- Begin function _ZN7rocprim17ROCPRIM_400000_NS6detail17trampoline_kernelINS0_14default_configENS1_27scan_by_key_config_selectorIxxEEZZNS1_16scan_by_key_implILNS1_25lookback_scan_determinismE0ELb0ES3_N6thrust23THRUST_200600_302600_NS6detail15normal_iteratorINS9_10device_ptrIxEEEESE_SE_xNS9_4plusIvEENS9_8equal_toIvEExEE10hipError_tPvRmT2_T3_T4_T5_mT6_T7_P12ihipStream_tbENKUlT_T0_E_clISt17integral_constantIbLb0EESY_IbLb1EEEEDaSU_SV_EUlSU_E_NS1_11comp_targetILNS1_3genE8ELNS1_11target_archE1030ELNS1_3gpuE2ELNS1_3repE0EEENS1_30default_config_static_selectorELNS0_4arch9wavefront6targetE0EEEvT1_
	.globl	_ZN7rocprim17ROCPRIM_400000_NS6detail17trampoline_kernelINS0_14default_configENS1_27scan_by_key_config_selectorIxxEEZZNS1_16scan_by_key_implILNS1_25lookback_scan_determinismE0ELb0ES3_N6thrust23THRUST_200600_302600_NS6detail15normal_iteratorINS9_10device_ptrIxEEEESE_SE_xNS9_4plusIvEENS9_8equal_toIvEExEE10hipError_tPvRmT2_T3_T4_T5_mT6_T7_P12ihipStream_tbENKUlT_T0_E_clISt17integral_constantIbLb0EESY_IbLb1EEEEDaSU_SV_EUlSU_E_NS1_11comp_targetILNS1_3genE8ELNS1_11target_archE1030ELNS1_3gpuE2ELNS1_3repE0EEENS1_30default_config_static_selectorELNS0_4arch9wavefront6targetE0EEEvT1_
	.p2align	8
	.type	_ZN7rocprim17ROCPRIM_400000_NS6detail17trampoline_kernelINS0_14default_configENS1_27scan_by_key_config_selectorIxxEEZZNS1_16scan_by_key_implILNS1_25lookback_scan_determinismE0ELb0ES3_N6thrust23THRUST_200600_302600_NS6detail15normal_iteratorINS9_10device_ptrIxEEEESE_SE_xNS9_4plusIvEENS9_8equal_toIvEExEE10hipError_tPvRmT2_T3_T4_T5_mT6_T7_P12ihipStream_tbENKUlT_T0_E_clISt17integral_constantIbLb0EESY_IbLb1EEEEDaSU_SV_EUlSU_E_NS1_11comp_targetILNS1_3genE8ELNS1_11target_archE1030ELNS1_3gpuE2ELNS1_3repE0EEENS1_30default_config_static_selectorELNS0_4arch9wavefront6targetE0EEEvT1_,@function
_ZN7rocprim17ROCPRIM_400000_NS6detail17trampoline_kernelINS0_14default_configENS1_27scan_by_key_config_selectorIxxEEZZNS1_16scan_by_key_implILNS1_25lookback_scan_determinismE0ELb0ES3_N6thrust23THRUST_200600_302600_NS6detail15normal_iteratorINS9_10device_ptrIxEEEESE_SE_xNS9_4plusIvEENS9_8equal_toIvEExEE10hipError_tPvRmT2_T3_T4_T5_mT6_T7_P12ihipStream_tbENKUlT_T0_E_clISt17integral_constantIbLb0EESY_IbLb1EEEEDaSU_SV_EUlSU_E_NS1_11comp_targetILNS1_3genE8ELNS1_11target_archE1030ELNS1_3gpuE2ELNS1_3repE0EEENS1_30default_config_static_selectorELNS0_4arch9wavefront6targetE0EEEvT1_: ; @_ZN7rocprim17ROCPRIM_400000_NS6detail17trampoline_kernelINS0_14default_configENS1_27scan_by_key_config_selectorIxxEEZZNS1_16scan_by_key_implILNS1_25lookback_scan_determinismE0ELb0ES3_N6thrust23THRUST_200600_302600_NS6detail15normal_iteratorINS9_10device_ptrIxEEEESE_SE_xNS9_4plusIvEENS9_8equal_toIvEExEE10hipError_tPvRmT2_T3_T4_T5_mT6_T7_P12ihipStream_tbENKUlT_T0_E_clISt17integral_constantIbLb0EESY_IbLb1EEEEDaSU_SV_EUlSU_E_NS1_11comp_targetILNS1_3genE8ELNS1_11target_archE1030ELNS1_3gpuE2ELNS1_3repE0EEENS1_30default_config_static_selectorELNS0_4arch9wavefront6targetE0EEEvT1_
; %bb.0:
	.section	.rodata,"a",@progbits
	.p2align	6, 0x0
	.amdhsa_kernel _ZN7rocprim17ROCPRIM_400000_NS6detail17trampoline_kernelINS0_14default_configENS1_27scan_by_key_config_selectorIxxEEZZNS1_16scan_by_key_implILNS1_25lookback_scan_determinismE0ELb0ES3_N6thrust23THRUST_200600_302600_NS6detail15normal_iteratorINS9_10device_ptrIxEEEESE_SE_xNS9_4plusIvEENS9_8equal_toIvEExEE10hipError_tPvRmT2_T3_T4_T5_mT6_T7_P12ihipStream_tbENKUlT_T0_E_clISt17integral_constantIbLb0EESY_IbLb1EEEEDaSU_SV_EUlSU_E_NS1_11comp_targetILNS1_3genE8ELNS1_11target_archE1030ELNS1_3gpuE2ELNS1_3repE0EEENS1_30default_config_static_selectorELNS0_4arch9wavefront6targetE0EEEvT1_
		.amdhsa_group_segment_fixed_size 0
		.amdhsa_private_segment_fixed_size 0
		.amdhsa_kernarg_size 136
		.amdhsa_user_sgpr_count 2
		.amdhsa_user_sgpr_dispatch_ptr 0
		.amdhsa_user_sgpr_queue_ptr 0
		.amdhsa_user_sgpr_kernarg_segment_ptr 1
		.amdhsa_user_sgpr_dispatch_id 0
		.amdhsa_user_sgpr_kernarg_preload_length 0
		.amdhsa_user_sgpr_kernarg_preload_offset 0
		.amdhsa_user_sgpr_private_segment_size 0
		.amdhsa_wavefront_size32 1
		.amdhsa_uses_dynamic_stack 0
		.amdhsa_enable_private_segment 0
		.amdhsa_system_sgpr_workgroup_id_x 1
		.amdhsa_system_sgpr_workgroup_id_y 0
		.amdhsa_system_sgpr_workgroup_id_z 0
		.amdhsa_system_sgpr_workgroup_info 0
		.amdhsa_system_vgpr_workitem_id 0
		.amdhsa_next_free_vgpr 1
		.amdhsa_next_free_sgpr 1
		.amdhsa_named_barrier_count 0
		.amdhsa_reserve_vcc 0
		.amdhsa_float_round_mode_32 0
		.amdhsa_float_round_mode_16_64 0
		.amdhsa_float_denorm_mode_32 3
		.amdhsa_float_denorm_mode_16_64 3
		.amdhsa_fp16_overflow 0
		.amdhsa_memory_ordered 1
		.amdhsa_forward_progress 1
		.amdhsa_inst_pref_size 0
		.amdhsa_round_robin_scheduling 0
		.amdhsa_exception_fp_ieee_invalid_op 0
		.amdhsa_exception_fp_denorm_src 0
		.amdhsa_exception_fp_ieee_div_zero 0
		.amdhsa_exception_fp_ieee_overflow 0
		.amdhsa_exception_fp_ieee_underflow 0
		.amdhsa_exception_fp_ieee_inexact 0
		.amdhsa_exception_int_div_zero 0
	.end_amdhsa_kernel
	.section	.text._ZN7rocprim17ROCPRIM_400000_NS6detail17trampoline_kernelINS0_14default_configENS1_27scan_by_key_config_selectorIxxEEZZNS1_16scan_by_key_implILNS1_25lookback_scan_determinismE0ELb0ES3_N6thrust23THRUST_200600_302600_NS6detail15normal_iteratorINS9_10device_ptrIxEEEESE_SE_xNS9_4plusIvEENS9_8equal_toIvEExEE10hipError_tPvRmT2_T3_T4_T5_mT6_T7_P12ihipStream_tbENKUlT_T0_E_clISt17integral_constantIbLb0EESY_IbLb1EEEEDaSU_SV_EUlSU_E_NS1_11comp_targetILNS1_3genE8ELNS1_11target_archE1030ELNS1_3gpuE2ELNS1_3repE0EEENS1_30default_config_static_selectorELNS0_4arch9wavefront6targetE0EEEvT1_,"axG",@progbits,_ZN7rocprim17ROCPRIM_400000_NS6detail17trampoline_kernelINS0_14default_configENS1_27scan_by_key_config_selectorIxxEEZZNS1_16scan_by_key_implILNS1_25lookback_scan_determinismE0ELb0ES3_N6thrust23THRUST_200600_302600_NS6detail15normal_iteratorINS9_10device_ptrIxEEEESE_SE_xNS9_4plusIvEENS9_8equal_toIvEExEE10hipError_tPvRmT2_T3_T4_T5_mT6_T7_P12ihipStream_tbENKUlT_T0_E_clISt17integral_constantIbLb0EESY_IbLb1EEEEDaSU_SV_EUlSU_E_NS1_11comp_targetILNS1_3genE8ELNS1_11target_archE1030ELNS1_3gpuE2ELNS1_3repE0EEENS1_30default_config_static_selectorELNS0_4arch9wavefront6targetE0EEEvT1_,comdat
.Lfunc_end46:
	.size	_ZN7rocprim17ROCPRIM_400000_NS6detail17trampoline_kernelINS0_14default_configENS1_27scan_by_key_config_selectorIxxEEZZNS1_16scan_by_key_implILNS1_25lookback_scan_determinismE0ELb0ES3_N6thrust23THRUST_200600_302600_NS6detail15normal_iteratorINS9_10device_ptrIxEEEESE_SE_xNS9_4plusIvEENS9_8equal_toIvEExEE10hipError_tPvRmT2_T3_T4_T5_mT6_T7_P12ihipStream_tbENKUlT_T0_E_clISt17integral_constantIbLb0EESY_IbLb1EEEEDaSU_SV_EUlSU_E_NS1_11comp_targetILNS1_3genE8ELNS1_11target_archE1030ELNS1_3gpuE2ELNS1_3repE0EEENS1_30default_config_static_selectorELNS0_4arch9wavefront6targetE0EEEvT1_, .Lfunc_end46-_ZN7rocprim17ROCPRIM_400000_NS6detail17trampoline_kernelINS0_14default_configENS1_27scan_by_key_config_selectorIxxEEZZNS1_16scan_by_key_implILNS1_25lookback_scan_determinismE0ELb0ES3_N6thrust23THRUST_200600_302600_NS6detail15normal_iteratorINS9_10device_ptrIxEEEESE_SE_xNS9_4plusIvEENS9_8equal_toIvEExEE10hipError_tPvRmT2_T3_T4_T5_mT6_T7_P12ihipStream_tbENKUlT_T0_E_clISt17integral_constantIbLb0EESY_IbLb1EEEEDaSU_SV_EUlSU_E_NS1_11comp_targetILNS1_3genE8ELNS1_11target_archE1030ELNS1_3gpuE2ELNS1_3repE0EEENS1_30default_config_static_selectorELNS0_4arch9wavefront6targetE0EEEvT1_
                                        ; -- End function
	.set _ZN7rocprim17ROCPRIM_400000_NS6detail17trampoline_kernelINS0_14default_configENS1_27scan_by_key_config_selectorIxxEEZZNS1_16scan_by_key_implILNS1_25lookback_scan_determinismE0ELb0ES3_N6thrust23THRUST_200600_302600_NS6detail15normal_iteratorINS9_10device_ptrIxEEEESE_SE_xNS9_4plusIvEENS9_8equal_toIvEExEE10hipError_tPvRmT2_T3_T4_T5_mT6_T7_P12ihipStream_tbENKUlT_T0_E_clISt17integral_constantIbLb0EESY_IbLb1EEEEDaSU_SV_EUlSU_E_NS1_11comp_targetILNS1_3genE8ELNS1_11target_archE1030ELNS1_3gpuE2ELNS1_3repE0EEENS1_30default_config_static_selectorELNS0_4arch9wavefront6targetE0EEEvT1_.num_vgpr, 0
	.set _ZN7rocprim17ROCPRIM_400000_NS6detail17trampoline_kernelINS0_14default_configENS1_27scan_by_key_config_selectorIxxEEZZNS1_16scan_by_key_implILNS1_25lookback_scan_determinismE0ELb0ES3_N6thrust23THRUST_200600_302600_NS6detail15normal_iteratorINS9_10device_ptrIxEEEESE_SE_xNS9_4plusIvEENS9_8equal_toIvEExEE10hipError_tPvRmT2_T3_T4_T5_mT6_T7_P12ihipStream_tbENKUlT_T0_E_clISt17integral_constantIbLb0EESY_IbLb1EEEEDaSU_SV_EUlSU_E_NS1_11comp_targetILNS1_3genE8ELNS1_11target_archE1030ELNS1_3gpuE2ELNS1_3repE0EEENS1_30default_config_static_selectorELNS0_4arch9wavefront6targetE0EEEvT1_.num_agpr, 0
	.set _ZN7rocprim17ROCPRIM_400000_NS6detail17trampoline_kernelINS0_14default_configENS1_27scan_by_key_config_selectorIxxEEZZNS1_16scan_by_key_implILNS1_25lookback_scan_determinismE0ELb0ES3_N6thrust23THRUST_200600_302600_NS6detail15normal_iteratorINS9_10device_ptrIxEEEESE_SE_xNS9_4plusIvEENS9_8equal_toIvEExEE10hipError_tPvRmT2_T3_T4_T5_mT6_T7_P12ihipStream_tbENKUlT_T0_E_clISt17integral_constantIbLb0EESY_IbLb1EEEEDaSU_SV_EUlSU_E_NS1_11comp_targetILNS1_3genE8ELNS1_11target_archE1030ELNS1_3gpuE2ELNS1_3repE0EEENS1_30default_config_static_selectorELNS0_4arch9wavefront6targetE0EEEvT1_.numbered_sgpr, 0
	.set _ZN7rocprim17ROCPRIM_400000_NS6detail17trampoline_kernelINS0_14default_configENS1_27scan_by_key_config_selectorIxxEEZZNS1_16scan_by_key_implILNS1_25lookback_scan_determinismE0ELb0ES3_N6thrust23THRUST_200600_302600_NS6detail15normal_iteratorINS9_10device_ptrIxEEEESE_SE_xNS9_4plusIvEENS9_8equal_toIvEExEE10hipError_tPvRmT2_T3_T4_T5_mT6_T7_P12ihipStream_tbENKUlT_T0_E_clISt17integral_constantIbLb0EESY_IbLb1EEEEDaSU_SV_EUlSU_E_NS1_11comp_targetILNS1_3genE8ELNS1_11target_archE1030ELNS1_3gpuE2ELNS1_3repE0EEENS1_30default_config_static_selectorELNS0_4arch9wavefront6targetE0EEEvT1_.num_named_barrier, 0
	.set _ZN7rocprim17ROCPRIM_400000_NS6detail17trampoline_kernelINS0_14default_configENS1_27scan_by_key_config_selectorIxxEEZZNS1_16scan_by_key_implILNS1_25lookback_scan_determinismE0ELb0ES3_N6thrust23THRUST_200600_302600_NS6detail15normal_iteratorINS9_10device_ptrIxEEEESE_SE_xNS9_4plusIvEENS9_8equal_toIvEExEE10hipError_tPvRmT2_T3_T4_T5_mT6_T7_P12ihipStream_tbENKUlT_T0_E_clISt17integral_constantIbLb0EESY_IbLb1EEEEDaSU_SV_EUlSU_E_NS1_11comp_targetILNS1_3genE8ELNS1_11target_archE1030ELNS1_3gpuE2ELNS1_3repE0EEENS1_30default_config_static_selectorELNS0_4arch9wavefront6targetE0EEEvT1_.private_seg_size, 0
	.set _ZN7rocprim17ROCPRIM_400000_NS6detail17trampoline_kernelINS0_14default_configENS1_27scan_by_key_config_selectorIxxEEZZNS1_16scan_by_key_implILNS1_25lookback_scan_determinismE0ELb0ES3_N6thrust23THRUST_200600_302600_NS6detail15normal_iteratorINS9_10device_ptrIxEEEESE_SE_xNS9_4plusIvEENS9_8equal_toIvEExEE10hipError_tPvRmT2_T3_T4_T5_mT6_T7_P12ihipStream_tbENKUlT_T0_E_clISt17integral_constantIbLb0EESY_IbLb1EEEEDaSU_SV_EUlSU_E_NS1_11comp_targetILNS1_3genE8ELNS1_11target_archE1030ELNS1_3gpuE2ELNS1_3repE0EEENS1_30default_config_static_selectorELNS0_4arch9wavefront6targetE0EEEvT1_.uses_vcc, 0
	.set _ZN7rocprim17ROCPRIM_400000_NS6detail17trampoline_kernelINS0_14default_configENS1_27scan_by_key_config_selectorIxxEEZZNS1_16scan_by_key_implILNS1_25lookback_scan_determinismE0ELb0ES3_N6thrust23THRUST_200600_302600_NS6detail15normal_iteratorINS9_10device_ptrIxEEEESE_SE_xNS9_4plusIvEENS9_8equal_toIvEExEE10hipError_tPvRmT2_T3_T4_T5_mT6_T7_P12ihipStream_tbENKUlT_T0_E_clISt17integral_constantIbLb0EESY_IbLb1EEEEDaSU_SV_EUlSU_E_NS1_11comp_targetILNS1_3genE8ELNS1_11target_archE1030ELNS1_3gpuE2ELNS1_3repE0EEENS1_30default_config_static_selectorELNS0_4arch9wavefront6targetE0EEEvT1_.uses_flat_scratch, 0
	.set _ZN7rocprim17ROCPRIM_400000_NS6detail17trampoline_kernelINS0_14default_configENS1_27scan_by_key_config_selectorIxxEEZZNS1_16scan_by_key_implILNS1_25lookback_scan_determinismE0ELb0ES3_N6thrust23THRUST_200600_302600_NS6detail15normal_iteratorINS9_10device_ptrIxEEEESE_SE_xNS9_4plusIvEENS9_8equal_toIvEExEE10hipError_tPvRmT2_T3_T4_T5_mT6_T7_P12ihipStream_tbENKUlT_T0_E_clISt17integral_constantIbLb0EESY_IbLb1EEEEDaSU_SV_EUlSU_E_NS1_11comp_targetILNS1_3genE8ELNS1_11target_archE1030ELNS1_3gpuE2ELNS1_3repE0EEENS1_30default_config_static_selectorELNS0_4arch9wavefront6targetE0EEEvT1_.has_dyn_sized_stack, 0
	.set _ZN7rocprim17ROCPRIM_400000_NS6detail17trampoline_kernelINS0_14default_configENS1_27scan_by_key_config_selectorIxxEEZZNS1_16scan_by_key_implILNS1_25lookback_scan_determinismE0ELb0ES3_N6thrust23THRUST_200600_302600_NS6detail15normal_iteratorINS9_10device_ptrIxEEEESE_SE_xNS9_4plusIvEENS9_8equal_toIvEExEE10hipError_tPvRmT2_T3_T4_T5_mT6_T7_P12ihipStream_tbENKUlT_T0_E_clISt17integral_constantIbLb0EESY_IbLb1EEEEDaSU_SV_EUlSU_E_NS1_11comp_targetILNS1_3genE8ELNS1_11target_archE1030ELNS1_3gpuE2ELNS1_3repE0EEENS1_30default_config_static_selectorELNS0_4arch9wavefront6targetE0EEEvT1_.has_recursion, 0
	.set _ZN7rocprim17ROCPRIM_400000_NS6detail17trampoline_kernelINS0_14default_configENS1_27scan_by_key_config_selectorIxxEEZZNS1_16scan_by_key_implILNS1_25lookback_scan_determinismE0ELb0ES3_N6thrust23THRUST_200600_302600_NS6detail15normal_iteratorINS9_10device_ptrIxEEEESE_SE_xNS9_4plusIvEENS9_8equal_toIvEExEE10hipError_tPvRmT2_T3_T4_T5_mT6_T7_P12ihipStream_tbENKUlT_T0_E_clISt17integral_constantIbLb0EESY_IbLb1EEEEDaSU_SV_EUlSU_E_NS1_11comp_targetILNS1_3genE8ELNS1_11target_archE1030ELNS1_3gpuE2ELNS1_3repE0EEENS1_30default_config_static_selectorELNS0_4arch9wavefront6targetE0EEEvT1_.has_indirect_call, 0
	.section	.AMDGPU.csdata,"",@progbits
; Kernel info:
; codeLenInByte = 0
; TotalNumSgprs: 0
; NumVgprs: 0
; ScratchSize: 0
; MemoryBound: 0
; FloatMode: 240
; IeeeMode: 1
; LDSByteSize: 0 bytes/workgroup (compile time only)
; SGPRBlocks: 0
; VGPRBlocks: 0
; NumSGPRsForWavesPerEU: 1
; NumVGPRsForWavesPerEU: 1
; NamedBarCnt: 0
; Occupancy: 16
; WaveLimiterHint : 0
; COMPUTE_PGM_RSRC2:SCRATCH_EN: 0
; COMPUTE_PGM_RSRC2:USER_SGPR: 2
; COMPUTE_PGM_RSRC2:TRAP_HANDLER: 0
; COMPUTE_PGM_RSRC2:TGID_X_EN: 1
; COMPUTE_PGM_RSRC2:TGID_Y_EN: 0
; COMPUTE_PGM_RSRC2:TGID_Z_EN: 0
; COMPUTE_PGM_RSRC2:TIDIG_COMP_CNT: 0
	.section	.text._ZN7rocprim17ROCPRIM_400000_NS6detail17trampoline_kernelINS0_14default_configENS1_27scan_by_key_config_selectorIxxEEZZNS1_16scan_by_key_implILNS1_25lookback_scan_determinismE0ELb0ES3_N6thrust23THRUST_200600_302600_NS6detail15normal_iteratorINS9_10device_ptrIxEEEESE_SE_xNS9_10multipliesIxEENS9_8equal_toIxEExEE10hipError_tPvRmT2_T3_T4_T5_mT6_T7_P12ihipStream_tbENKUlT_T0_E_clISt17integral_constantIbLb0EESZ_EEDaSU_SV_EUlSU_E_NS1_11comp_targetILNS1_3genE0ELNS1_11target_archE4294967295ELNS1_3gpuE0ELNS1_3repE0EEENS1_30default_config_static_selectorELNS0_4arch9wavefront6targetE0EEEvT1_,"axG",@progbits,_ZN7rocprim17ROCPRIM_400000_NS6detail17trampoline_kernelINS0_14default_configENS1_27scan_by_key_config_selectorIxxEEZZNS1_16scan_by_key_implILNS1_25lookback_scan_determinismE0ELb0ES3_N6thrust23THRUST_200600_302600_NS6detail15normal_iteratorINS9_10device_ptrIxEEEESE_SE_xNS9_10multipliesIxEENS9_8equal_toIxEExEE10hipError_tPvRmT2_T3_T4_T5_mT6_T7_P12ihipStream_tbENKUlT_T0_E_clISt17integral_constantIbLb0EESZ_EEDaSU_SV_EUlSU_E_NS1_11comp_targetILNS1_3genE0ELNS1_11target_archE4294967295ELNS1_3gpuE0ELNS1_3repE0EEENS1_30default_config_static_selectorELNS0_4arch9wavefront6targetE0EEEvT1_,comdat
	.protected	_ZN7rocprim17ROCPRIM_400000_NS6detail17trampoline_kernelINS0_14default_configENS1_27scan_by_key_config_selectorIxxEEZZNS1_16scan_by_key_implILNS1_25lookback_scan_determinismE0ELb0ES3_N6thrust23THRUST_200600_302600_NS6detail15normal_iteratorINS9_10device_ptrIxEEEESE_SE_xNS9_10multipliesIxEENS9_8equal_toIxEExEE10hipError_tPvRmT2_T3_T4_T5_mT6_T7_P12ihipStream_tbENKUlT_T0_E_clISt17integral_constantIbLb0EESZ_EEDaSU_SV_EUlSU_E_NS1_11comp_targetILNS1_3genE0ELNS1_11target_archE4294967295ELNS1_3gpuE0ELNS1_3repE0EEENS1_30default_config_static_selectorELNS0_4arch9wavefront6targetE0EEEvT1_ ; -- Begin function _ZN7rocprim17ROCPRIM_400000_NS6detail17trampoline_kernelINS0_14default_configENS1_27scan_by_key_config_selectorIxxEEZZNS1_16scan_by_key_implILNS1_25lookback_scan_determinismE0ELb0ES3_N6thrust23THRUST_200600_302600_NS6detail15normal_iteratorINS9_10device_ptrIxEEEESE_SE_xNS9_10multipliesIxEENS9_8equal_toIxEExEE10hipError_tPvRmT2_T3_T4_T5_mT6_T7_P12ihipStream_tbENKUlT_T0_E_clISt17integral_constantIbLb0EESZ_EEDaSU_SV_EUlSU_E_NS1_11comp_targetILNS1_3genE0ELNS1_11target_archE4294967295ELNS1_3gpuE0ELNS1_3repE0EEENS1_30default_config_static_selectorELNS0_4arch9wavefront6targetE0EEEvT1_
	.globl	_ZN7rocprim17ROCPRIM_400000_NS6detail17trampoline_kernelINS0_14default_configENS1_27scan_by_key_config_selectorIxxEEZZNS1_16scan_by_key_implILNS1_25lookback_scan_determinismE0ELb0ES3_N6thrust23THRUST_200600_302600_NS6detail15normal_iteratorINS9_10device_ptrIxEEEESE_SE_xNS9_10multipliesIxEENS9_8equal_toIxEExEE10hipError_tPvRmT2_T3_T4_T5_mT6_T7_P12ihipStream_tbENKUlT_T0_E_clISt17integral_constantIbLb0EESZ_EEDaSU_SV_EUlSU_E_NS1_11comp_targetILNS1_3genE0ELNS1_11target_archE4294967295ELNS1_3gpuE0ELNS1_3repE0EEENS1_30default_config_static_selectorELNS0_4arch9wavefront6targetE0EEEvT1_
	.p2align	8
	.type	_ZN7rocprim17ROCPRIM_400000_NS6detail17trampoline_kernelINS0_14default_configENS1_27scan_by_key_config_selectorIxxEEZZNS1_16scan_by_key_implILNS1_25lookback_scan_determinismE0ELb0ES3_N6thrust23THRUST_200600_302600_NS6detail15normal_iteratorINS9_10device_ptrIxEEEESE_SE_xNS9_10multipliesIxEENS9_8equal_toIxEExEE10hipError_tPvRmT2_T3_T4_T5_mT6_T7_P12ihipStream_tbENKUlT_T0_E_clISt17integral_constantIbLb0EESZ_EEDaSU_SV_EUlSU_E_NS1_11comp_targetILNS1_3genE0ELNS1_11target_archE4294967295ELNS1_3gpuE0ELNS1_3repE0EEENS1_30default_config_static_selectorELNS0_4arch9wavefront6targetE0EEEvT1_,@function
_ZN7rocprim17ROCPRIM_400000_NS6detail17trampoline_kernelINS0_14default_configENS1_27scan_by_key_config_selectorIxxEEZZNS1_16scan_by_key_implILNS1_25lookback_scan_determinismE0ELb0ES3_N6thrust23THRUST_200600_302600_NS6detail15normal_iteratorINS9_10device_ptrIxEEEESE_SE_xNS9_10multipliesIxEENS9_8equal_toIxEExEE10hipError_tPvRmT2_T3_T4_T5_mT6_T7_P12ihipStream_tbENKUlT_T0_E_clISt17integral_constantIbLb0EESZ_EEDaSU_SV_EUlSU_E_NS1_11comp_targetILNS1_3genE0ELNS1_11target_archE4294967295ELNS1_3gpuE0ELNS1_3repE0EEENS1_30default_config_static_selectorELNS0_4arch9wavefront6targetE0EEEvT1_: ; @_ZN7rocprim17ROCPRIM_400000_NS6detail17trampoline_kernelINS0_14default_configENS1_27scan_by_key_config_selectorIxxEEZZNS1_16scan_by_key_implILNS1_25lookback_scan_determinismE0ELb0ES3_N6thrust23THRUST_200600_302600_NS6detail15normal_iteratorINS9_10device_ptrIxEEEESE_SE_xNS9_10multipliesIxEENS9_8equal_toIxEExEE10hipError_tPvRmT2_T3_T4_T5_mT6_T7_P12ihipStream_tbENKUlT_T0_E_clISt17integral_constantIbLb0EESZ_EEDaSU_SV_EUlSU_E_NS1_11comp_targetILNS1_3genE0ELNS1_11target_archE4294967295ELNS1_3gpuE0ELNS1_3repE0EEENS1_30default_config_static_selectorELNS0_4arch9wavefront6targetE0EEEvT1_
; %bb.0:
	s_clause 0x3
	s_load_b256 s[20:27], s[0:1], 0x0
	s_load_b256 s[44:51], s[0:1], 0x60
	s_load_b96 s[28:30], s[0:1], 0x50
	s_load_b256 s[36:43], s[0:1], 0x30
	s_getreg_b32 s4, hwreg(HW_REG_IB_STS2, 6, 4)
	s_mov_b32 s3, 0
	s_barrier_signal -1
	s_barrier_wait -1
	s_wait_kmcnt 0x0
	s_lshl_b64 s[34:35], s[22:23], 3
	s_cmp_lg_u64 s[48:49], 0
	s_mov_b32 s2, s30
	s_cselect_b32 s31, -1, 0
	s_bfe_u32 s0, ttmp6, 0x4000c
	s_and_b32 s5, ttmp6, 15
	s_add_co_i32 s0, s0, 1
	s_mov_b32 s23, s3
	s_mul_i32 s6, ttmp9, s0
	s_add_nc_u64 s[0:1], s[20:21], s[34:35]
	s_add_co_i32 s6, s5, s6
	s_cmp_eq_u32 s4, 0
	s_mul_u64 s[4:5], s[28:29], s[2:3]
	s_cselect_b32 s22, ttmp9, s6
	s_add_nc_u64 s[6:7], s[24:25], s[34:35]
	s_add_nc_u64 s[18:19], s[4:5], s[22:23]
	s_add_nc_u64 s[4:5], s[44:45], -1
	s_mul_i32 s2, s22, 0xe00
	v_cmp_ge_u64_e64 s23, s[18:19], s[4:5]
	s_lshl_b64 s[24:25], s[2:3], 3
	s_mul_i32 s30, s4, 0xfffff200
	s_add_nc_u64 s[16:17], s[0:1], s[24:25]
	s_add_nc_u64 s[14:15], s[6:7], s[24:25]
	s_and_b32 vcc_lo, exec_lo, s23
	s_cbranch_vccz .LBB47_32
; %bb.1:
	v_mov_b32_e32 v1, 0
	s_add_co_i32 s33, s30, s42
	s_delay_alu instid0(SALU_CYCLE_1)
	v_cmp_gt_u32_e64 s0, s33, v0
	flat_load_b64 v[2:3], v1, s[16:17]
	s_wait_loadcnt_dscnt 0x0
	v_mov_b64_e32 v[4:5], v[2:3]
	s_and_saveexec_b32 s1, s0
	s_cbranch_execz .LBB47_3
; %bb.2:
	flat_load_b64 v[4:5], v0, s[16:17] scale_offset
.LBB47_3:
	s_wait_xcnt 0x0
	s_or_b32 exec_lo, exec_lo, s1
	v_or_b32_e32 v1, 0x100, v0
	v_mov_b64_e32 v[6:7], v[2:3]
	s_delay_alu instid0(VALU_DEP_2)
	v_cmp_gt_u32_e64 s1, s33, v1
	s_and_saveexec_b32 s2, s1
	s_cbranch_execz .LBB47_5
; %bb.4:
	flat_load_b64 v[6:7], v0, s[16:17] offset:2048 scale_offset
.LBB47_5:
	s_wait_xcnt 0x0
	s_or_b32 exec_lo, exec_lo, s2
	v_or_b32_e32 v1, 0x200, v0
	v_mov_b64_e32 v[8:9], v[2:3]
	s_delay_alu instid0(VALU_DEP_2)
	v_cmp_gt_u32_e64 s2, s33, v1
	s_and_saveexec_b32 s3, s2
	s_cbranch_execz .LBB47_7
; %bb.6:
	flat_load_b64 v[8:9], v0, s[16:17] offset:4096 scale_offset
.LBB47_7:
	;; [unrolled: 11-line block ×12, first 2 shown]
	s_wait_xcnt 0x0
	s_or_b32 exec_lo, exec_lo, s13
	v_or_b32_e32 v1, 0xd00, v0
	s_mov_b32 s20, exec_lo
	s_delay_alu instid0(VALU_DEP_1) | instskip(SKIP_2) | instid1(SALU_CYCLE_1)
	v_cmp_gt_u32_e64 s13, s33, v1
	v_cmpx_le_u32_e64 s33, v1
	s_xor_b32 s20, exec_lo, s20
	s_and_not1_saveexec_b32 s20, s20
	s_cbranch_execz .LBB47_29
; %bb.28:
	flat_load_b64 v[2:3], v0, s[16:17] offset:26624 scale_offset
.LBB47_29:
	s_wait_xcnt 0x0
	s_or_b32 exec_lo, exec_lo, s20
	v_lshlrev_b32_e32 v1, 3, v0
	s_cmp_eq_u64 s[18:19], 0
	s_mov_b64 s[20:21], s[16:17]
	s_wait_loadcnt_dscnt 0x0
	ds_store_2addr_stride64_b64 v1, v[4:5], v[6:7] offset1:4
	ds_store_2addr_stride64_b64 v1, v[8:9], v[10:11] offset0:8 offset1:12
	ds_store_2addr_stride64_b64 v1, v[12:13], v[14:15] offset0:16 offset1:20
	;; [unrolled: 1-line block ×6, first 2 shown]
	v_mad_u32_u24 v103, 0x68, v0, v1
	s_wait_dscnt 0x0
	s_barrier_signal -1
	s_barrier_wait -1
	ds_load_b128 v[76:79], v103 offset:16
	ds_load_2addr_b64 v[64:67], v103 offset0:3 offset1:4
	ds_load_b128 v[72:75], v103
	ds_load_2addr_b64 v[80:83], v103 offset0:1 offset1:2
	ds_load_2addr_b64 v[52:55], v103 offset0:7 offset1:8
	;; [unrolled: 1-line block ×5, first 2 shown]
	ds_load_b64 v[86:87], v103 offset:104
	s_cbranch_scc1 .LBB47_35
; %bb.30:
	s_and_not1_b32 vcc_lo, exec_lo, s31
	s_cbranch_vccnz .LBB47_33
; %bb.31:
	s_lshl_b64 s[20:21], s[18:19], 3
	s_mov_b32 s43, 0
	s_add_nc_u64 s[20:21], s[50:51], s[20:21]
	s_delay_alu instid0(SALU_CYCLE_1)
	s_add_nc_u64 s[20:21], s[20:21], -8
	s_branch .LBB47_34
.LBB47_32:
                                        ; implicit-def: $sgpr5
                                        ; implicit-def: $vgpr97
                                        ; implicit-def: $vgpr90
                                        ; implicit-def: $vgpr96
                                        ; implicit-def: $vgpr95
                                        ; implicit-def: $vgpr108
                                        ; implicit-def: $vgpr89
                                        ; implicit-def: $vgpr104
                                        ; implicit-def: $vgpr101
                                        ; implicit-def: $vgpr20_vgpr21
                                        ; implicit-def: $vgpr34_vgpr35
                                        ; implicit-def: $vgpr38_vgpr39
                                        ; implicit-def: $vgpr42_vgpr43
                                        ; implicit-def: $vgpr46_vgpr47
                                        ; implicit-def: $vgpr62_vgpr63
                                        ; implicit-def: $vgpr4_vgpr5
                                        ; implicit-def: $vgpr110
                                        ; implicit-def: $vgpr94
                                        ; implicit-def: $vgpr91
                                        ; implicit-def: $vgpr92
                                        ; implicit-def: $vgpr93
                                        ; implicit-def: $vgpr102
                                        ; implicit-def: $vgpr100
                                        ; implicit-def: $vgpr99
                                        ; implicit-def: $vgpr98
                                        ; implicit-def: $vgpr88
                                        ; implicit-def: $vgpr109
                                        ; implicit-def: $vgpr106
                                        ; implicit-def: $vgpr105
                                        ; implicit-def: $vgpr84_vgpr85
                                        ; implicit-def: $vgpr28_vgpr29
                                        ; implicit-def: $vgpr24_vgpr25
                                        ; implicit-def: $vgpr16_vgpr17
                                        ; implicit-def: $vgpr12_vgpr13
                                        ; implicit-def: $vgpr1
                                        ; implicit-def: $vgpr30_vgpr31
                                        ; implicit-def: $vgpr26_vgpr27
                                        ; implicit-def: $vgpr22_vgpr23
                                        ; implicit-def: $vgpr14_vgpr15
                                        ; implicit-def: $vgpr10_vgpr11
                                        ; implicit-def: $vgpr6_vgpr7
	v_lshlrev_b32_e32 v64, 3, v0
	s_cbranch_execnz .LBB47_79
	s_branch .LBB47_100
.LBB47_33:
	s_add_nc_u64 s[20:21], s[16:17], -8
	s_mov_b32 s43, -1
.LBB47_34:
	s_delay_alu instid0(SALU_CYCLE_1)
	s_and_not1_b32 vcc_lo, exec_lo, s43
.LBB47_35:
	v_mov_b32_e32 v2, 0
	flat_load_b64 v[8:9], v2, s[20:21]
	s_wait_xcnt 0x0
	v_mad_i32_i24 v2, 0xffffff98, v0, v103
	s_mov_b32 s20, exec_lo
	s_wait_dscnt 0x1
	ds_store_b64 v2, v[86:87] offset:28672
	s_wait_loadcnt_dscnt 0x0
	s_barrier_signal -1
	s_barrier_wait -1
	v_cmpx_ne_u32_e32 0, v0
; %bb.36:
	v_mul_i32_i24_e32 v2, 0xffffff98, v0
	s_delay_alu instid0(VALU_DEP_1)
	v_add_nc_u32_e32 v2, v103, v2
	ds_load_b64 v[8:9], v2 offset:28664
; %bb.37:
	s_or_b32 exec_lo, exec_lo, s20
	s_wait_dscnt 0x0
	s_barrier_signal -1
	s_barrier_wait -1
                                        ; implicit-def: $vgpr2_vgpr3
	s_and_saveexec_b32 s20, s0
	s_cbranch_execnz .LBB47_82
; %bb.38:
	s_or_b32 exec_lo, exec_lo, s20
                                        ; implicit-def: $vgpr4_vgpr5
	s_and_saveexec_b32 s0, s1
	s_cbranch_execnz .LBB47_83
.LBB47_39:
	s_or_b32 exec_lo, exec_lo, s0
                                        ; implicit-def: $vgpr6_vgpr7
	s_and_saveexec_b32 s0, s2
	s_cbranch_execnz .LBB47_84
.LBB47_40:
	s_or_b32 exec_lo, exec_lo, s0
                                        ; implicit-def: $vgpr10_vgpr11
	s_and_saveexec_b32 s0, s3
	s_cbranch_execnz .LBB47_85
.LBB47_41:
	s_or_b32 exec_lo, exec_lo, s0
                                        ; implicit-def: $vgpr12_vgpr13
	s_and_saveexec_b32 s0, s4
	s_cbranch_execnz .LBB47_86
.LBB47_42:
	s_or_b32 exec_lo, exec_lo, s0
                                        ; implicit-def: $vgpr14_vgpr15
	s_and_saveexec_b32 s0, s5
	s_cbranch_execnz .LBB47_87
.LBB47_43:
	s_or_b32 exec_lo, exec_lo, s0
                                        ; implicit-def: $vgpr16_vgpr17
	s_and_saveexec_b32 s0, s6
	s_cbranch_execnz .LBB47_88
.LBB47_44:
	s_or_b32 exec_lo, exec_lo, s0
                                        ; implicit-def: $vgpr18_vgpr19
	s_and_saveexec_b32 s0, s7
	s_cbranch_execnz .LBB47_89
.LBB47_45:
	s_or_b32 exec_lo, exec_lo, s0
                                        ; implicit-def: $vgpr20_vgpr21
	s_and_saveexec_b32 s0, s8
	s_cbranch_execnz .LBB47_90
.LBB47_46:
	s_or_b32 exec_lo, exec_lo, s0
                                        ; implicit-def: $vgpr22_vgpr23
	s_and_saveexec_b32 s0, s9
	s_cbranch_execnz .LBB47_91
.LBB47_47:
	s_or_b32 exec_lo, exec_lo, s0
                                        ; implicit-def: $vgpr24_vgpr25
	s_and_saveexec_b32 s0, s10
	s_cbranch_execnz .LBB47_92
.LBB47_48:
	s_or_b32 exec_lo, exec_lo, s0
                                        ; implicit-def: $vgpr26_vgpr27
	s_and_saveexec_b32 s0, s11
	s_cbranch_execnz .LBB47_93
.LBB47_49:
	s_or_b32 exec_lo, exec_lo, s0
                                        ; implicit-def: $vgpr28_vgpr29
	s_and_saveexec_b32 s0, s12
	s_cbranch_execnz .LBB47_94
.LBB47_50:
	s_or_b32 exec_lo, exec_lo, s0
                                        ; implicit-def: $vgpr30_vgpr31
	s_and_saveexec_b32 s0, s13
	s_cbranch_execz .LBB47_52
.LBB47_51:
	flat_load_b64 v[30:31], v0, s[14:15] offset:26624 scale_offset
.LBB47_52:
	s_wait_xcnt 0x0
	s_or_b32 exec_lo, exec_lo, s0
	v_mul_u32_u24_e32 v107, 14, v0
	s_wait_loadcnt_dscnt 0x0
	ds_store_2addr_stride64_b64 v1, v[2:3], v[4:5] offset1:4
	ds_store_2addr_stride64_b64 v1, v[6:7], v[10:11] offset0:8 offset1:12
	ds_store_2addr_stride64_b64 v1, v[12:13], v[14:15] offset0:16 offset1:20
	;; [unrolled: 1-line block ×6, first 2 shown]
	v_mov_b64_e32 v[34:35], 0
	v_mov_b64_e32 v[32:33], 0
	;; [unrolled: 1-line block ×24, first 2 shown]
	v_cmp_gt_u32_e32 vcc_lo, s33, v107
	v_dual_mov_b32 v97, 0 :: v_dual_mov_b32 v90, 0
	v_dual_mov_b32 v96, 0 :: v_dual_mov_b32 v95, 0
	;; [unrolled: 1-line block ×11, first 2 shown]
	s_mov_b32 s4, 0
	s_mov_b32 s3, 0
	s_wait_dscnt 0x0
	s_barrier_signal -1
	s_barrier_wait -1
                                        ; implicit-def: $sgpr5
	s_and_saveexec_b32 s6, vcc_lo
	s_cbranch_execz .LBB47_78
; %bb.53:
	ds_load_b64 v[2:3], v103
	v_dual_mov_b32 v97, 0 :: v_dual_bitop2_b32 v1, 1, v107 bitop3:0x54
	v_mov_b64_e32 v[34:35], 0
	v_mov_b64_e32 v[32:33], 0
	;; [unrolled: 1-line block ×23, first 2 shown]
	v_cmp_gt_u32_e64 s0, s33, v1
	v_dual_mov_b32 v90, 0 :: v_dual_mov_b32 v96, 0
	v_dual_mov_b32 v95, 0 :: v_dual_mov_b32 v108, 0
	;; [unrolled: 1-line block ×9, first 2 shown]
	v_mov_b32_e32 v105, 0
	s_mov_b32 s1, 0
	v_cmp_ne_u64_e32 vcc_lo, v[8:9], v[72:73]
                                        ; implicit-def: $sgpr5
	s_and_saveexec_b32 s3, s0
	s_cbranch_execz .LBB47_77
; %bb.54:
	ds_load_2addr_b64 v[6:9], v103 offset0:1 offset1:2
	v_cmp_ne_u64_e64 s0, v[74:75], v[82:83]
	v_cmp_ne_u64_e64 s2, v[72:73], v[80:81]
	v_dual_add_nc_u32 v5, 2, v107 :: v_dual_mov_b32 v97, 0
	v_cmp_ne_u64_e64 s1, v[78:79], v[66:67]
	v_mov_b64_e32 v[34:35], 0
	v_mov_b64_e32 v[32:33], 0
	v_cndmask_b32_e64 v1, 0, 1, s0
	v_cmp_ne_u64_e64 s0, v[76:77], v[64:65]
	v_mov_b64_e32 v[38:39], 0
	v_mov_b64_e32 v[36:37], 0
	;; [unrolled: 1-line block ×19, first 2 shown]
	v_lshlrev_b16 v1, 8, v1
	v_cndmask_b32_e64 v4, 0, 1, s2
	v_cmp_gt_u32_e64 s2, s33, v5
	v_dual_mov_b32 v90, 0 :: v_dual_mov_b32 v96, 0
	v_dual_mov_b32 v95, 0 :: v_dual_mov_b32 v89, 0
	;; [unrolled: 1-line block ×8, first 2 shown]
	v_mov_b32_e32 v105, 0
	s_mov_b32 s8, 0
                                        ; implicit-def: $sgpr5
	s_and_saveexec_b32 s7, s2
	s_cbranch_execz .LBB47_76
; %bb.55:
	v_cndmask_b32_e64 v5, 0, 1, s1
	v_cndmask_b32_e64 v10, 0, 1, s0
	v_and_b32_e32 v11, 0xffff, v1
	v_dual_mov_b32 v97, 0 :: v_dual_add_nc_u32 v12, 3, v107
	s_delay_alu instid0(VALU_DEP_4)
	v_lshlrev_b16 v5, 8, v5
	v_mov_b32_e32 v95, 0
	v_mov_b64_e32 v[34:35], 0
	v_mov_b64_e32 v[32:33], 0
	;; [unrolled: 1-line block ×3, first 2 shown]
	v_or_b32_e32 v5, v10, v5
	v_mov_b64_e32 v[36:37], 0
	v_mov_b64_e32 v[42:43], 0
	;; [unrolled: 1-line block ×4, first 2 shown]
	v_dual_lshlrev_b32 v60, 16, v5 :: v_dual_mov_b32 v94, 0
	v_mov_b64_e32 v[44:45], 0
	v_mov_b64_e32 v[62:63], 0
	;; [unrolled: 1-line block ×3, first 2 shown]
	s_delay_alu instid0(VALU_DEP_4) | instskip(SKIP_3) | instid1(VALU_DEP_4)
	v_dual_mov_b32 v91, 0 :: v_dual_bitop2_b32 v10, v11, v60 bitop3:0x54
	v_mov_b64_e32 v[30:31], 0
	v_mov_b64_e32 v[84:85], 0
	;; [unrolled: 1-line block ×3, first 2 shown]
	v_dual_mov_b32 v92, 0 :: v_dual_lshrrev_b32 v89, 8, v10
	v_mov_b64_e32 v[28:29], 0
	v_mov_b64_e32 v[22:23], 0
	;; [unrolled: 1-line block ×6, first 2 shown]
	v_dual_mov_b32 v90, 0 :: v_dual_mov_b32 v96, 0
	v_dual_mov_b32 v104, 0 :: v_dual_mov_b32 v101, 0
	v_cmp_gt_u32_e64 s0, s33, v12
	v_dual_mov_b32 v93, 0 :: v_dual_mov_b32 v102, 0
	v_dual_mov_b32 v100, 0 :: v_dual_mov_b32 v99, 0
	;; [unrolled: 1-line block ×3, first 2 shown]
	v_mov_b32_e32 v105, 0
	s_mov_b32 s1, 0
                                        ; implicit-def: $sgpr5
	s_and_saveexec_b32 s8, s0
	s_cbranch_execz .LBB47_75
; %bb.56:
	ds_load_2addr_b64 v[10:13], v103 offset0:3 offset1:4
	v_dual_mov_b32 v97, 0 :: v_dual_add_nc_u32 v14, 4, v107
	v_mov_b64_e32 v[34:35], 0
	v_mov_b64_e32 v[32:33], 0
	;; [unrolled: 1-line block ×3, first 2 shown]
	s_delay_alu instid0(VALU_DEP_4)
	v_cmp_gt_u32_e64 s0, s33, v14
	v_mov_b64_e32 v[36:37], 0
	v_mov_b64_e32 v[42:43], 0
	v_mov_b64_e32 v[40:41], 0
	v_mov_b64_e32 v[46:47], 0
	v_mov_b64_e32 v[44:45], 0
	v_mov_b64_e32 v[18:19], 0
	v_mov_b64_e32 v[30:31], 0
	v_mov_b64_e32 v[84:85], 0
	v_mov_b64_e32 v[26:27], 0
	v_mov_b64_e32 v[28:29], 0
	v_mov_b64_e32 v[22:23], 0
	v_mov_b64_e32 v[24:25], 0
	v_mov_b64_e32 v[14:15], 0
	v_mov_b64_e32 v[16:17], 0
	v_dual_mov_b32 v90, 0 :: v_dual_mov_b32 v96, 0
	v_dual_mov_b32 v95, 0 :: v_dual_mov_b32 v101, 0
	;; [unrolled: 1-line block ×6, first 2 shown]
	v_mov_b32_e32 v105, 0
                                        ; implicit-def: $sgpr5
	s_and_saveexec_b32 s9, s0
	s_cbranch_execz .LBB47_74
; %bb.57:
	v_dual_mov_b32 v97, 0 :: v_dual_add_nc_u32 v14, 5, v107
	v_mov_b64_e32 v[34:35], 0
	v_mov_b64_e32 v[32:33], 0
	;; [unrolled: 1-line block ×3, first 2 shown]
	s_delay_alu instid0(VALU_DEP_4)
	v_cmp_gt_u32_e64 s0, s33, v14
	v_mov_b64_e32 v[36:37], 0
	v_mov_b64_e32 v[42:43], 0
	;; [unrolled: 1-line block ×12, first 2 shown]
	v_dual_mov_b32 v90, 0 :: v_dual_mov_b32 v96, 0
	v_dual_mov_b32 v95, 0 :: v_dual_mov_b32 v94, 0
	;; [unrolled: 1-line block ×5, first 2 shown]
                                        ; implicit-def: $sgpr5
	s_and_saveexec_b32 s10, s0
	s_cbranch_execz .LBB47_73
; %bb.58:
	ds_load_2addr_b64 v[14:17], v103 offset0:5 offset1:6
	v_cmp_ne_u64_e64 s0, v[68:69], v[70:71]
	v_cmp_ne_u64_e64 s2, v[66:67], v[68:69]
	v_dual_mov_b32 v90, 0 :: v_dual_add_nc_u32 v19, 6, v107
	v_cmp_ne_u64_e64 s1, v[52:53], v[54:55]
	v_mov_b64_e32 v[34:35], 0
	v_mov_b64_e32 v[32:33], 0
	v_cndmask_b32_e64 v18, 0, 1, s0
	v_cmp_ne_u64_e64 s0, v[70:71], v[52:53]
	v_cndmask_b32_e64 v45, 0, 1, s2
	v_cmp_gt_u32_e64 s2, s33, v19
	v_mov_b64_e32 v[38:39], 0
	v_lshlrev_b16 v44, 8, v18
	v_mov_b64_e32 v[36:37], 0
	v_mov_b64_e32 v[42:43], 0
	;; [unrolled: 1-line block ×10, first 2 shown]
	v_dual_mov_b32 v96, 0 :: v_dual_mov_b32 v95, 0
	v_dual_mov_b32 v94, 0 :: v_dual_mov_b32 v91, 0
	;; [unrolled: 1-line block ×4, first 2 shown]
	v_mov_b32_e32 v98, 0
	s_mov_b32 s12, 0
                                        ; implicit-def: $sgpr5
	s_and_saveexec_b32 s11, s2
	s_cbranch_execz .LBB47_72
; %bb.59:
	v_cndmask_b32_e64 v18, 0, 1, s1
	v_cndmask_b32_e64 v19, 0, 1, s0
	v_and_b32_e32 v20, 0xffff, v44
	v_mov_b64_e32 v[34:35], 0
	v_mov_b64_e32 v[32:33], 0
	v_lshlrev_b16 v18, 8, v18
	v_mov_b32_e32 v95, 0
	v_mov_b64_e32 v[38:39], 0
	v_mov_b64_e32 v[36:37], 0
	;; [unrolled: 1-line block ×3, first 2 shown]
	v_or_b32_e32 v40, v19, v18
	v_mov_b64_e32 v[18:19], 0
	v_mov_b64_e32 v[30:31], 0
	;; [unrolled: 1-line block ×4, first 2 shown]
	v_dual_mov_b32 v92, 0 :: v_dual_lshlrev_b32 v41, 16, v40
	v_mov_b64_e32 v[28:29], 0
	v_mov_b64_e32 v[22:23], 0
	v_dual_mov_b32 v96, 0 :: v_dual_add_nc_u32 v21, 7, v107
	s_delay_alu instid0(VALU_DEP_4) | instskip(SKIP_1) | instid1(VALU_DEP_2)
	v_dual_mov_b32 v93, 0 :: v_dual_bitop2_b32 v20, v20, v41 bitop3:0x54
	v_dual_mov_b32 v94, 0 :: v_dual_mov_b32 v91, 0
	v_dual_mov_b32 v98, 0 :: v_dual_lshrrev_b32 v90, 8, v20
	s_mov_b32 s1, 0
	s_mov_b32 s12, exec_lo
                                        ; implicit-def: $sgpr5
	v_cmpx_gt_u32_e64 s33, v21
	s_cbranch_execz .LBB47_71
; %bb.60:
	ds_load_2addr_b64 v[22:25], v103 offset0:7 offset1:8
	v_dual_mov_b32 v95, 0 :: v_dual_add_nc_u32 v18, 8, v107
	v_mov_b64_e32 v[34:35], 0
	v_mov_b64_e32 v[32:33], 0
	v_mov_b64_e32 v[38:39], 0
	s_delay_alu instid0(VALU_DEP_4)
	v_cmp_gt_u32_e64 s0, s33, v18
	v_mov_b64_e32 v[36:37], 0
	v_mov_b64_e32 v[18:19], 0
	;; [unrolled: 1-line block ×6, first 2 shown]
	v_dual_mov_b32 v94, 0 :: v_dual_mov_b32 v91, 0
	v_dual_mov_b32 v92, 0 :: v_dual_mov_b32 v93, 0
                                        ; implicit-def: $sgpr5
	s_and_saveexec_b32 s13, s0
	s_cbranch_execz .LBB47_70
; %bb.61:
	v_dual_add_nc_u32 v18, 9, v107 :: v_dual_mov_b32 v94, 0
	v_mov_b64_e32 v[34:35], 0
	v_mov_b64_e32 v[32:33], 0
	;; [unrolled: 1-line block ×3, first 2 shown]
	s_delay_alu instid0(VALU_DEP_4)
	v_cmp_gt_u32_e64 s0, s33, v18
	v_mov_b64_e32 v[18:19], 0
	v_mov_b64_e32 v[30:31], 0
	;; [unrolled: 1-line block ×4, first 2 shown]
	v_dual_mov_b32 v91, 0 :: v_dual_mov_b32 v92, 0
	v_mov_b32_e32 v93, 0
                                        ; implicit-def: $sgpr5
	s_and_saveexec_b32 s20, s0
	s_cbranch_execz .LBB47_69
; %bb.62:
	ds_load_2addr_b64 v[26:29], v103 offset0:9 offset1:10
	v_cmp_ne_u64_e64 s0, v[56:57], v[58:59]
	v_cmp_ne_u64_e64 s2, v[54:55], v[56:57]
	v_dual_add_nc_u32 v19, 10, v107 :: v_dual_mov_b32 v91, 0
	v_cmp_ne_u64_e64 s1, v[48:49], v[50:51]
	v_mov_b64_e32 v[34:35], 0
	v_mov_b64_e32 v[32:33], 0
	v_cndmask_b32_e64 v18, 0, 1, s0
	v_cmp_ne_u64_e64 s0, v[58:59], v[48:49]
	v_cndmask_b32_e64 v37, 0, 1, s2
	v_cmp_gt_u32_e64 s2, s33, v19
	v_mov_b64_e32 v[30:31], 0
	v_lshlrev_b16 v36, 8, v18
	v_mov_b64_e32 v[18:19], 0
	v_mov_b64_e32 v[84:85], 0
	v_dual_mov_b32 v92, 0 :: v_dual_mov_b32 v93, 0
	s_mov_b32 s43, 0
                                        ; implicit-def: $sgpr5
	s_and_saveexec_b32 s21, s2
	s_cbranch_execz .LBB47_68
; %bb.63:
	v_cndmask_b32_e64 v18, 0, 1, s1
	v_cndmask_b32_e64 v19, 0, 1, s0
	v_mov_b64_e32 v[30:31], 0
	s_mov_b32 s2, 0
	s_mov_b32 s1, exec_lo
	v_lshlrev_b16 v18, 8, v18
                                        ; implicit-def: $sgpr5
	v_dual_add_nc_u32 v20, 11, v107 :: v_dual_mov_b32 v92, 0
	s_delay_alu instid0(VALU_DEP_2) | instskip(SKIP_1) | instid1(VALU_DEP_2)
	v_dual_mov_b32 v93, 0 :: v_dual_bitop2_b32 v34, v19, v18 bitop3:0x54
	v_and_b32_e32 v18, 0xffff, v36
	v_lshlrev_b32_e32 v35, 16, v34
	s_delay_alu instid0(VALU_DEP_1) | instskip(SKIP_1) | instid1(VALU_DEP_2)
	v_or_b32_e32 v21, v18, v35
	v_mov_b64_e32 v[18:19], 0
	v_lshrrev_b32_e32 v91, 8, v21
	v_cmpx_gt_u32_e64 s33, v20
	s_cbranch_execz .LBB47_67
; %bb.64:
	ds_load_2addr_b64 v[30:33], v103 offset0:11 offset1:12
	v_mov_b64_e32 v[18:19], 0
	v_dual_mov_b32 v93, 0 :: v_dual_add_nc_u32 v20, 12, v107
	s_mov_b32 s43, exec_lo
                                        ; implicit-def: $sgpr5
	s_delay_alu instid0(VALU_DEP_1)
	v_cmpx_gt_u32_e64 s33, v20
	s_xor_b32 s43, exec_lo, s43
	s_cbranch_execz .LBB47_66
; %bb.65:
	ds_load_b64 v[20:21], v103 offset:104
	v_add_nc_u32_e32 v18, 13, v107
	v_cmp_ne_u64_e64 s5, v[50:51], v[86:87]
	v_lshrrev_b32_e32 v93, 24, v35
	s_delay_alu instid0(VALU_DEP_3)
	v_cmp_gt_u32_e64 s0, s33, v18
	s_wait_dscnt 0x1
	v_mov_b64_e32 v[18:19], v[32:33]
	s_and_b32 s2, s0, exec_lo
.LBB47_66:
	s_or_b32 exec_lo, exec_lo, s43
	v_mov_b32_e32 v92, v34
	s_and_b32 s2, s2, exec_lo
.LBB47_67:
	s_or_b32 exec_lo, exec_lo, s1
	s_wait_dscnt 0x0
	v_mov_b64_e32 v[34:35], v[30:31]
	v_mov_b64_e32 v[32:33], v[28:29]
	;; [unrolled: 1-line block ×3, first 2 shown]
	s_and_b32 s43, s2, exec_lo
.LBB47_68:
	s_or_b32 exec_lo, exec_lo, s21
	s_wait_dscnt 0x0
	v_mov_b64_e32 v[38:39], v[26:27]
	v_or_b32_e32 v94, v37, v36
	s_and_b32 s1, s43, exec_lo
.LBB47_69:
	s_or_b32 exec_lo, exec_lo, s20
	s_wait_dscnt 0x0
	v_mov_b64_e32 v[36:37], v[24:25]
	v_mov_b64_e32 v[28:29], v[24:25]
	v_lshrrev_b32_e32 v95, 24, v41
	s_and_b32 s1, s1, exec_lo
.LBB47_70:
	s_or_b32 exec_lo, exec_lo, s13
	s_wait_dscnt 0x0
	v_mov_b64_e32 v[42:43], v[22:23]
	v_dual_mov_b32 v96, v40 :: v_dual_mov_b32 v98, v95
	s_and_b32 s1, s1, exec_lo
.LBB47_71:
	s_or_b32 exec_lo, exec_lo, s12
	s_wait_dscnt 0x0
	v_mov_b64_e32 v[40:41], v[16:17]
	v_mov_b64_e32 v[24:25], v[16:17]
	v_dual_mov_b32 v100, v90 :: v_dual_mov_b32 v99, v96
	s_and_b32 s12, s1, exec_lo
.LBB47_72:
	s_or_b32 exec_lo, exec_lo, s11
	s_wait_dscnt 0x0
	v_mov_b64_e32 v[46:47], v[14:15]
	v_or_b32_e32 v97, v45, v44
	s_and_b32 s1, s12, exec_lo
.LBB47_73:
	s_or_b32 exec_lo, exec_lo, s10
	s_delay_alu instid0(VALU_DEP_1)
	v_dual_mov_b32 v102, v97 :: v_dual_lshrrev_b32 v101, 24, v60
	s_wait_dscnt 0x0
	v_mov_b64_e32 v[44:45], v[12:13]
	v_mov_b64_e32 v[16:17], v[12:13]
	s_and_b32 s1, s1, exec_lo
	v_mov_b32_e32 v105, v101
.LBB47_74:
	s_or_b32 exec_lo, exec_lo, s9
	s_wait_dscnt 0x0
	v_mov_b64_e32 v[62:63], v[10:11]
	v_dual_mov_b32 v104, v5 :: v_dual_mov_b32 v106, v5
	s_and_b32 s1, s1, exec_lo
.LBB47_75:
	s_or_b32 exec_lo, exec_lo, s8
	s_wait_dscnt 0x0
	v_mov_b64_e32 v[60:61], v[8:9]
	v_mov_b64_e32 v[12:13], v[8:9]
	v_mov_b32_e32 v109, v89
	s_and_b32 s8, s1, exec_lo
.LBB47_76:
	s_or_b32 exec_lo, exec_lo, s7
	v_or_b32_e32 v108, v4, v1
	s_wait_dscnt 0x0
	v_mov_b64_e32 v[4:5], v[6:7]
	s_and_b32 s1, s8, exec_lo
	s_delay_alu instid0(VALU_DEP_2)
	v_mov_b32_e32 v88, v108
.LBB47_77:
	s_or_b32 exec_lo, exec_lo, s3
	v_cndmask_b32_e64 v110, 0, 1, vcc_lo
	s_and_b32 s3, s1, exec_lo
	s_delay_alu instid0(VALU_DEP_1)
	v_mov_b32_e32 v1, v110
.LBB47_78:
	s_or_b32 exec_lo, exec_lo, s6
	v_lshlrev_b32_e32 v64, 3, v0
	s_and_b32 vcc_lo, exec_lo, s4
	s_cbranch_vccz .LBB47_100
.LBB47_79:
	s_wait_dscnt 0x0
	s_clause 0xd
	flat_load_b64 v[2:3], v0, s[16:17] scale_offset
	flat_load_b64 v[4:5], v0, s[16:17] offset:2048 scale_offset
	flat_load_b64 v[6:7], v0, s[16:17] offset:4096 scale_offset
	;; [unrolled: 1-line block ×13, first 2 shown]
	v_mad_u32_u24 v48, 0x68, v0, v64
	v_mov_b32_e32 v1, 0
	s_cmp_eq_u64 s[18:19], 0
	s_wait_loadcnt_dscnt 0xc0c
	ds_store_2addr_stride64_b64 v64, v[2:3], v[4:5] offset1:4
	s_wait_loadcnt_dscnt 0xa0b
	ds_store_2addr_stride64_b64 v64, v[6:7], v[8:9] offset0:8 offset1:12
	s_wait_loadcnt_dscnt 0x80a
	ds_store_2addr_stride64_b64 v64, v[10:11], v[12:13] offset0:16 offset1:20
	;; [unrolled: 2-line block ×6, first 2 shown]
	s_wait_dscnt 0x0
	s_barrier_signal -1
	s_barrier_wait -1
	ds_load_b128 v[6:9], v48 offset:16
	ds_load_2addr_b64 v[10:13], v48 offset0:3 offset1:4
	ds_load_b128 v[2:5], v48
	ds_load_2addr_b64 v[14:17], v48 offset0:1 offset1:2
	ds_load_2addr_b64 v[18:21], v48 offset0:7 offset1:8
	ds_load_2addr_b64 v[22:25], v48 offset0:5 offset1:6
	ds_load_2addr_b64 v[26:29], v48 offset0:11 offset1:12
	ds_load_2addr_b64 v[30:33], v48 offset0:9 offset1:10
	ds_load_b64 v[34:35], v48 offset:104
	s_cbranch_scc1 .LBB47_97
; %bb.80:
	s_and_not1_b32 vcc_lo, exec_lo, s31
	s_cbranch_vccnz .LBB47_95
; %bb.81:
	s_lshl_b64 s[0:1], s[18:19], 3
	s_delay_alu instid0(SALU_CYCLE_1) | instskip(NEXT) | instid1(SALU_CYCLE_1)
	s_add_nc_u64 s[0:1], s[50:51], s[0:1]
	s_add_nc_u64 s[16:17], s[0:1], -8
	s_mov_b32 s0, 0
	s_branch .LBB47_96
.LBB47_82:
	flat_load_b64 v[2:3], v0, s[14:15] scale_offset
	s_wait_xcnt 0x0
	s_or_b32 exec_lo, exec_lo, s20
                                        ; implicit-def: $vgpr4_vgpr5
	s_and_saveexec_b32 s0, s1
	s_cbranch_execz .LBB47_39
.LBB47_83:
	flat_load_b64 v[4:5], v0, s[14:15] offset:2048 scale_offset
	s_wait_xcnt 0x0
	s_or_b32 exec_lo, exec_lo, s0
                                        ; implicit-def: $vgpr6_vgpr7
	s_and_saveexec_b32 s0, s2
	s_cbranch_execz .LBB47_40
.LBB47_84:
	flat_load_b64 v[6:7], v0, s[14:15] offset:4096 scale_offset
	s_wait_xcnt 0x0
	s_or_b32 exec_lo, exec_lo, s0
                                        ; implicit-def: $vgpr10_vgpr11
	s_and_saveexec_b32 s0, s3
	s_cbranch_execz .LBB47_41
.LBB47_85:
	flat_load_b64 v[10:11], v0, s[14:15] offset:6144 scale_offset
	s_wait_xcnt 0x0
	s_or_b32 exec_lo, exec_lo, s0
                                        ; implicit-def: $vgpr12_vgpr13
	s_and_saveexec_b32 s0, s4
	s_cbranch_execz .LBB47_42
.LBB47_86:
	flat_load_b64 v[12:13], v0, s[14:15] offset:8192 scale_offset
	s_wait_xcnt 0x0
	s_or_b32 exec_lo, exec_lo, s0
                                        ; implicit-def: $vgpr14_vgpr15
	s_and_saveexec_b32 s0, s5
	s_cbranch_execz .LBB47_43
.LBB47_87:
	flat_load_b64 v[14:15], v0, s[14:15] offset:10240 scale_offset
	s_wait_xcnt 0x0
	s_or_b32 exec_lo, exec_lo, s0
                                        ; implicit-def: $vgpr16_vgpr17
	s_and_saveexec_b32 s0, s6
	s_cbranch_execz .LBB47_44
.LBB47_88:
	flat_load_b64 v[16:17], v0, s[14:15] offset:12288 scale_offset
	s_wait_xcnt 0x0
	s_or_b32 exec_lo, exec_lo, s0
                                        ; implicit-def: $vgpr18_vgpr19
	s_and_saveexec_b32 s0, s7
	s_cbranch_execz .LBB47_45
.LBB47_89:
	flat_load_b64 v[18:19], v0, s[14:15] offset:14336 scale_offset
	s_wait_xcnt 0x0
	s_or_b32 exec_lo, exec_lo, s0
                                        ; implicit-def: $vgpr20_vgpr21
	s_and_saveexec_b32 s0, s8
	s_cbranch_execz .LBB47_46
.LBB47_90:
	flat_load_b64 v[20:21], v0, s[14:15] offset:16384 scale_offset
	s_wait_xcnt 0x0
	s_or_b32 exec_lo, exec_lo, s0
                                        ; implicit-def: $vgpr22_vgpr23
	s_and_saveexec_b32 s0, s9
	s_cbranch_execz .LBB47_47
.LBB47_91:
	flat_load_b64 v[22:23], v0, s[14:15] offset:18432 scale_offset
	s_wait_xcnt 0x0
	s_or_b32 exec_lo, exec_lo, s0
                                        ; implicit-def: $vgpr24_vgpr25
	s_and_saveexec_b32 s0, s10
	s_cbranch_execz .LBB47_48
.LBB47_92:
	flat_load_b64 v[24:25], v0, s[14:15] offset:20480 scale_offset
	s_wait_xcnt 0x0
	s_or_b32 exec_lo, exec_lo, s0
                                        ; implicit-def: $vgpr26_vgpr27
	s_and_saveexec_b32 s0, s11
	s_cbranch_execz .LBB47_49
.LBB47_93:
	flat_load_b64 v[26:27], v0, s[14:15] offset:22528 scale_offset
	s_wait_xcnt 0x0
	s_or_b32 exec_lo, exec_lo, s0
                                        ; implicit-def: $vgpr28_vgpr29
	s_and_saveexec_b32 s0, s12
	s_cbranch_execz .LBB47_50
.LBB47_94:
	flat_load_b64 v[28:29], v0, s[14:15] offset:24576 scale_offset
	s_wait_xcnt 0x0
	s_or_b32 exec_lo, exec_lo, s0
                                        ; implicit-def: $vgpr30_vgpr31
	s_and_saveexec_b32 s0, s13
	s_cbranch_execnz .LBB47_51
	s_branch .LBB47_52
.LBB47_95:
	s_add_nc_u64 s[16:17], s[16:17], -8
	s_mov_b32 s0, -1
.LBB47_96:
	s_delay_alu instid0(SALU_CYCLE_1)
	s_and_not1_b32 vcc_lo, exec_lo, s0
.LBB47_97:
	flat_load_b64 v[36:37], v1, s[16:17]
	s_wait_xcnt 0x0
	v_mad_i32_i24 v1, 0xffffff98, v0, v48
	s_mov_b32 s0, exec_lo
	s_wait_dscnt 0x1
	ds_store_b64 v1, v[34:35] offset:28672
	s_wait_loadcnt_dscnt 0x0
	s_barrier_signal -1
	s_barrier_wait -1
	v_cmpx_ne_u32_e32 0, v0
; %bb.98:
	v_mul_i32_i24_e32 v1, 0xffffff98, v0
	s_delay_alu instid0(VALU_DEP_1)
	v_add_nc_u32_e32 v1, v48, v1
	ds_load_b64 v[36:37], v1 offset:28664
; %bb.99:
	s_or_b32 exec_lo, exec_lo, s0
	s_wait_dscnt 0x0
	s_barrier_signal -1
	s_barrier_wait -1
	s_clause 0xd
	flat_load_b64 v[38:39], v0, s[14:15] scale_offset
	flat_load_b64 v[40:41], v0, s[14:15] offset:2048 scale_offset
	flat_load_b64 v[42:43], v0, s[14:15] offset:4096 scale_offset
	;; [unrolled: 1-line block ×13, first 2 shown]
	v_cmp_ne_u64_e32 vcc_lo, v[30:31], v[32:33]
	v_cmp_ne_u64_e64 s5, v[28:29], v[34:35]
	s_mov_b32 s3, -1
	s_wait_loadcnt_dscnt 0xc0c
	ds_store_2addr_stride64_b64 v64, v[38:39], v[40:41] offset1:4
	s_wait_loadcnt_dscnt 0xa0b
	ds_store_2addr_stride64_b64 v64, v[42:43], v[44:45] offset0:8 offset1:12
	s_wait_loadcnt_dscnt 0x80a
	ds_store_2addr_stride64_b64 v64, v[46:47], v[50:51] offset0:16 offset1:20
	;; [unrolled: 2-line block ×6, first 2 shown]
	v_cndmask_b32_e64 v1, 0, 1, vcc_lo
	v_cmp_ne_u64_e32 vcc_lo, v[20:21], v[30:31]
	s_wait_dscnt 0x0
	s_barrier_signal -1
	s_barrier_wait -1
	v_cndmask_b32_e64 v30, 0, 1, vcc_lo
	v_cmp_ne_u64_e32 vcc_lo, v[26:27], v[28:29]
	v_cndmask_b32_e64 v28, 0, 1, vcc_lo
	v_cmp_ne_u64_e32 vcc_lo, v[32:33], v[26:27]
	;; [unrolled: 2-line block ×8, first 2 shown]
	s_delay_alu instid0(VALU_DEP_2) | instskip(SKIP_3) | instid1(VALU_DEP_3)
	v_lshlrev_b16 v4, 8, v4
	v_cndmask_b32_e64 v5, 0, 1, vcc_lo
	v_cmp_ne_u64_e32 vcc_lo, v[8:9], v[12:13]
	v_lshlrev_b16 v9, 8, v20
	v_or_b32_e32 v108, v5, v4
	v_cndmask_b32_e64 v8, 0, 1, vcc_lo
	v_cmp_ne_u64_e32 vcc_lo, v[6:7], v[10:11]
	v_lshlrev_b16 v7, 8, v27
	s_delay_alu instid0(VALU_DEP_3)
	v_lshlrev_b16 v8, 8, v8
	v_cndmask_b32_e64 v6, 0, 1, vcc_lo
	v_cmp_ne_u64_e32 vcc_lo, v[36:37], v[2:3]
	v_lshlrev_b16 v3, 8, v28
	v_lshlrev_b16 v2, 8, v1
	ds_load_b128 v[36:39], v48 offset:64
	ds_load_b128 v[32:35], v48 offset:80
	v_or_b32_e32 v104, v6, v8
	v_or_b32_e32 v97, v22, v7
	;; [unrolled: 1-line block ×3, first 2 shown]
	v_cndmask_b32_e64 v110, 0, 1, vcc_lo
	v_and_b32_e32 v6, 0xffff, v4
	s_delay_alu instid0(VALU_DEP_4) | instskip(NEXT) | instid1(VALU_DEP_4)
	v_dual_mov_b32 v102, v97 :: v_dual_lshlrev_b32 v9, 16, v104
	v_dual_lshlrev_b32 v8, 16, v96 :: v_dual_bitop2_b32 v92, v26, v3 bitop3:0x54
	v_or_b32_e32 v94, v30, v2
	v_and_b32_e32 v2, 0xffff, v2
	s_delay_alu instid0(VALU_DEP_3)
	v_dual_mov_b32 v1, v110 :: v_dual_lshlrev_b32 v3, 16, v92
	ds_load_b128 v[44:47], v48 offset:32
	ds_load_b128 v[40:43], v48 offset:48
	v_and_b32_e32 v7, 0xffff, v7
	v_dual_lshrrev_b32 v101, 24, v9 :: v_dual_bitop2_b32 v6, v6, v9 bitop3:0x54
	v_dual_lshrrev_b32 v93, 24, v3 :: v_dual_bitop2_b32 v10, v2, v3 bitop3:0x54
	ds_load_b128 v[2:5], v48
	ds_load_b128 v[60:63], v48 offset:16
	ds_load_b128 v[18:21], v48 offset:96
	v_dual_lshrrev_b32 v95, 24, v8 :: v_dual_bitop2_b32 v7, v7, v8 bitop3:0x54
	v_lshrrev_b32_e32 v91, 8, v10
	v_lshrrev_b32_e32 v89, 8, v6
	s_wait_dscnt 0x5
	v_mov_b64_e32 v[30:31], v[34:35]
	v_lshrrev_b32_e32 v90, 8, v7
	v_mov_b64_e32 v[84:85], v[32:33]
	v_mov_b64_e32 v[26:27], v[38:39]
	;; [unrolled: 1-line block ×3, first 2 shown]
	v_dual_mov_b32 v99, v96 :: v_dual_mov_b32 v88, v108
	v_mov_b32_e32 v106, v104
	s_wait_dscnt 0x3
	v_mov_b64_e32 v[22:23], v[42:43]
	v_mov_b64_e32 v[24:25], v[40:41]
	;; [unrolled: 1-line block ×4, first 2 shown]
	v_mov_b32_e32 v98, v95
	s_wait_dscnt 0x2
	v_mov_b64_e32 v[6:7], v[4:5]
	s_wait_dscnt 0x1
	v_mov_b64_e32 v[12:13], v[60:61]
	v_mov_b64_e32 v[10:11], v[62:63]
	v_dual_mov_b32 v105, v101 :: v_dual_mov_b32 v100, v90
	v_mov_b32_e32 v109, v89
.LBB47_100:
	v_mov_b64_e32 v[8:9], 0
	v_mov_b32_e32 v65, 0
	s_and_saveexec_b32 s0, s3
	s_cbranch_execz .LBB47_102
; %bb.101:
	v_mov_b64_e32 v[6:7], v[4:5]
	v_mov_b64_e32 v[12:13], v[60:61]
	;; [unrolled: 1-line block ×11, first 2 shown]
	s_wait_dscnt 0x0
	v_mov_b64_e32 v[8:9], v[20:21]
	v_cndmask_b32_e64 v65, 0, 1, s5
	v_dual_mov_b32 v1, v110 :: v_dual_mov_b32 v88, v108
	v_dual_mov_b32 v109, v89 :: v_dual_mov_b32 v106, v104
	;; [unrolled: 1-line block ×4, first 2 shown]
	v_mov_b32_e32 v98, v95
.LBB47_102:
	s_or_b32 exec_lo, exec_lo, s0
	v_dual_lshrrev_b32 v68, 1, v0 :: v_dual_bitop2_b32 v63, 1, v109 bitop3:0x40
	v_and_b32_e32 v62, 1, v102
	s_delay_alu instid0(VALU_DEP_3)
	v_and_b32_e32 v60, 1, v98
	v_and_b32_e32 v61, 1, v92
	v_and_b32_e32 v78, 0xff, v105
	v_and_b32_e32 v80, 0xff, v106
	v_and_b32_e32 v81, 0xff, v109
	v_and_b32_e32 v82, 0xff, v88
	v_cmp_eq_u32_e64 s13, 1, v63
	v_bitop3_b16 v66, v105, 0xff, v106 bitop3:0xc8
	v_and_b32_e32 v74, 0xff, v98
	v_and_b32_e32 v76, 0xff, v99
	;; [unrolled: 1-line block ×4, first 2 shown]
	v_cmp_eq_u32_e64 s14, 1, v62
	v_bitop3_b16 v67, v99, 0xff, v100 bitop3:0xc8
	v_cmp_eq_u32_e64 s15, 1, v60
	v_and_b32_e32 v71, 0xff, v93
	v_and_b32_e32 v72, 0xff, v92
	;; [unrolled: 1-line block ×4, first 2 shown]
	v_bitop3_b16 v69, v91, 0xff, v94 bitop3:0xc8
	v_cmp_eq_u32_e64 s16, 1, v61
	v_cmp_eq_u16_e64 s0, 0, v65
	v_bitop3_b16 v70, v65, 0xff, v93 bitop3:0xc8
	s_cmp_lg_u32 s22, 0
	s_wait_dscnt 0x0
	v_cmp_gt_u32_e32 vcc_lo, 32, v0
	s_barrier_signal -1
	s_barrier_wait -1
	s_cbranch_scc0 .LBB47_152
; %bb.103:
	v_cmp_eq_u16_e64 s1, 0, v82
	v_cmp_eq_u16_e64 s2, 0, v81
	;; [unrolled: 1-line block ×5, first 2 shown]
	v_dual_cndmask_b32 v5, 0, v3, s1 :: v_dual_cndmask_b32 v4, 1, v2, s1
	v_cmp_eq_u16_e64 s6, 0, v77
	v_cmp_eq_u16_e64 s7, 0, v76
	;; [unrolled: 1-line block ×4, first 2 shown]
	v_mul_u64_e32 v[4:5], v[4:5], v[6:7]
	v_cmp_eq_u16_e64 s10, 0, v73
	v_cmp_eq_u16_e64 s11, 0, v72
	;; [unrolled: 1-line block ×3, first 2 shown]
	v_cmp_ne_u16_e64 s18, 0, v69
	v_bitop3_b16 v20, v88, 0xff, v1 bitop3:0xc8
	v_cmp_ne_u16_e64 s19, 0, v67
	v_cmp_ne_u16_e64 s20, 0, v70
	;; [unrolled: 1-line block ×3, first 2 shown]
	s_or_b32 s16, s18, s16
	v_cmp_ne_u16_e64 s21, 0, v20
	s_or_b32 s15, s19, s15
	s_or_b32 s16, s20, s16
	;; [unrolled: 1-line block ×4, first 2 shown]
	v_and_b32_e32 v21, 0x70, v68
	s_or_b32 s13, s21, s13
	s_or_b32 s14, s15, s14
	s_delay_alu instid0(SALU_CYCLE_1) | instskip(NEXT) | instid1(VALU_DEP_1)
	s_or_b32 s18, s14, s13
	v_lshl_add_u32 v20, v0, 4, v21
	v_cndmask_b32_e64 v35, 0, 1, s18
	v_dual_cndmask_b32 v5, 0, v5, s2 :: v_dual_cndmask_b32 v4, 1, v4, s2
	s_delay_alu instid0(VALU_DEP_1) | instskip(NEXT) | instid1(VALU_DEP_1)
	v_mul_u64_e32 v[4:5], v[4:5], v[12:13]
	v_dual_cndmask_b32 v5, 0, v5, s3 :: v_dual_cndmask_b32 v4, 1, v4, s3
	s_delay_alu instid0(VALU_DEP_1) | instskip(NEXT) | instid1(VALU_DEP_1)
	v_mul_u64_e32 v[4:5], v[4:5], v[10:11]
	;; [unrolled: 3-line block ×11, first 2 shown]
	v_dual_cndmask_b32 v5, 0, v5, s0 :: v_dual_cndmask_b32 v4, 1, v4, s0
	s_delay_alu instid0(VALU_DEP_1)
	v_mul_u64_e32 v[4:5], v[4:5], v[8:9]
	ds_store_b64 v20, v[4:5]
	ds_store_b8 v20, v35 offset:8
	s_wait_dscnt 0x0
	s_barrier_signal -1
	s_barrier_wait -1
	s_and_saveexec_b32 s15, vcc_lo
	s_cbranch_execz .LBB47_115
; %bb.104:
	v_dual_lshlrev_b32 v20, 2, v0 :: v_dual_lshlrev_b32 v21, 7, v0
	s_delay_alu instid0(VALU_DEP_1) | instskip(NEXT) | instid1(VALU_DEP_1)
	v_and_b32_e32 v20, 0x3f0, v20
	v_add_nc_u32_e32 v34, v20, v21
	ds_load_u8 v37, v34 offset:24
	ds_load_b64 v[20:21], v34
	ds_load_2addr_b64 v[38:41], v34 offset0:2 offset1:4
	ds_load_b32 v36, v34 offset:8
	ds_load_u8 v42, v34 offset:40
	ds_load_u8 v43, v34 offset:56
	;; [unrolled: 1-line block ×5, first 2 shown]
	s_wait_dscnt 0x8
	v_cmp_eq_u16_e64 s13, 0, v37
	s_wait_dscnt 0x7
	s_delay_alu instid0(VALU_DEP_1)
	v_dual_cndmask_b32 v33, 0, v21, s13 :: v_dual_cndmask_b32 v32, 1, v20, s13
	s_wait_dscnt 0x4
	v_cmp_eq_u16_e64 s13, 0, v42
	s_wait_dscnt 0x3
	v_bitop3_b16 v37, v42, v43, v37 bitop3:0xfe
	v_mul_u64_e32 v[32:33], v[32:33], v[38:39]
	s_delay_alu instid0(VALU_DEP_1) | instskip(SKIP_1) | instid1(VALU_DEP_2)
	v_dual_cndmask_b32 v33, 0, v33, s13 :: v_dual_cndmask_b32 v32, 1, v32, s13
	v_cmp_eq_u16_e64 s13, 0, v43
	v_mul_u64_e32 v[32:33], v[32:33], v[40:41]
	ds_load_2addr_b64 v[38:41], v34 offset0:6 offset1:8
	v_dual_cndmask_b32 v33, 0, v33, s13 :: v_dual_cndmask_b32 v32, 1, v32, s13
	s_wait_dscnt 0x3
	v_cmp_eq_u16_e64 s13, 0, v44
	s_wait_dscnt 0x0
	s_delay_alu instid0(VALU_DEP_2) | instskip(NEXT) | instid1(VALU_DEP_1)
	v_mul_u64_e32 v[32:33], v[32:33], v[38:39]
	v_dual_cndmask_b32 v33, 0, v33, s13 :: v_dual_cndmask_b32 v32, 1, v32, s13
	v_cmp_eq_u16_e64 s13, 0, v45
	s_delay_alu instid0(VALU_DEP_2) | instskip(SKIP_4) | instid1(VALU_DEP_2)
	v_mul_u64_e32 v[32:33], v[32:33], v[40:41]
	ds_load_2addr_b64 v[38:41], v34 offset0:10 offset1:12
	v_dual_cndmask_b32 v33, 0, v33, s13 :: v_dual_cndmask_b32 v32, 1, v32, s13
	v_cmp_eq_u16_e64 s13, 0, v46
	s_wait_dscnt 0x0
	v_mul_u64_e32 v[32:33], v[32:33], v[38:39]
	s_delay_alu instid0(VALU_DEP_1) | instskip(NEXT) | instid1(VALU_DEP_1)
	v_dual_cndmask_b32 v33, 0, v33, s13 :: v_dual_cndmask_b32 v32, 1, v32, s13
	v_mul_u64_e32 v[32:33], v[32:33], v[40:41]
	ds_load_u8 v40, v34 offset:120
	ds_load_b64 v[38:39], v34 offset:112
	v_bitop3_b16 v41, v45, v46, v44 bitop3:0xfe
	s_wait_dscnt 0x1
	v_cmp_eq_u16_e64 s13, 0, v40
	s_delay_alu instid0(VALU_DEP_2) | instskip(NEXT) | instid1(VALU_DEP_1)
	v_bitop3_b16 v37, v40, v37, v41 bitop3:0xfe
	v_and_b32_e32 v37, 1, v37
	s_delay_alu instid0(VALU_DEP_1) | instskip(NEXT) | instid1(VALU_DEP_4)
	v_cmp_eq_u32_e64 s14, 1, v37
	v_dual_cndmask_b32 v33, 0, v33, s13 :: v_dual_cndmask_b32 v32, 1, v32, s13
	v_and_b32_e32 v37, 0xffffff00, v36
	s_wait_dscnt 0x0
	s_delay_alu instid0(VALU_DEP_2) | instskip(SKIP_1) | instid1(VALU_DEP_1)
	v_mul_u64_e32 v[32:33], v[32:33], v[38:39]
	v_and_b32_e32 v38, 1, v36
	v_cmp_eq_u32_e64 s13, 1, v38
	v_mbcnt_lo_u32_b32 v38, -1, 0
	s_or_b32 s16, s14, s13
	s_mov_b32 s14, exec_lo
	v_cndmask_b32_e64 v40, 0, 1, s16
	v_cndmask_b32_e64 v39, 0, 1, s16
	s_delay_alu instid0(VALU_DEP_2) | instskip(SKIP_1) | instid1(VALU_DEP_2)
	v_or_b32_e32 v41, v37, v40
	v_and_b32_e32 v40, 15, v38
	v_mov_b32_dpp v42, v41 row_shr:1 row_mask:0xf bank_mask:0xf
	v_mov_b32_dpp v43, v32 row_shr:1 row_mask:0xf bank_mask:0xf
	;; [unrolled: 1-line block ×3, first 2 shown]
	s_delay_alu instid0(VALU_DEP_4)
	v_cmpx_ne_u32_e32 0, v40
	s_cbranch_execz .LBB47_106
; %bb.105:
	s_delay_alu instid0(VALU_DEP_2) | instskip(SKIP_2) | instid1(VALU_DEP_2)
	v_cndmask_b32_e64 v45, v44, 0, s16
	v_cndmask_b32_e64 v44, v43, 1, s16
	v_bitop3_b16 v39, v42, v39, 1 bitop3:0xec
	v_mul_u64_e32 v[32:33], v[44:45], v[32:33]
	s_delay_alu instid0(VALU_DEP_2) | instskip(NEXT) | instid1(VALU_DEP_1)
	v_and_b32_e32 v41, 0xffff, v39
	v_or_b32_e32 v41, v37, v41
.LBB47_106:
	s_or_b32 exec_lo, exec_lo, s14
	s_delay_alu instid0(VALU_DEP_3) | instskip(NEXT) | instid1(VALU_DEP_4)
	v_mov_b32_dpp v43, v32 row_shr:2 row_mask:0xf bank_mask:0xf
	v_mov_b32_dpp v44, v33 row_shr:2 row_mask:0xf bank_mask:0xf
	s_delay_alu instid0(VALU_DEP_3)
	v_mov_b32_dpp v42, v41 row_shr:2 row_mask:0xf bank_mask:0xf
	s_mov_b32 s16, exec_lo
	v_cmpx_lt_u32_e32 1, v40
	s_cbranch_execz .LBB47_108
; %bb.107:
	v_cmp_eq_u16_e64 s13, 0, v39
	v_and_b32_e32 v39, 1, v39
	s_delay_alu instid0(VALU_DEP_2) | instskip(SKIP_1) | instid1(VALU_DEP_3)
	v_dual_cndmask_b32 v45, 0, v44, s13 :: v_dual_bitop2_b32 v41, 1, v42 bitop3:0x40
	v_cndmask_b32_e64 v44, 1, v43, s13
	v_cmp_eq_u32_e64 s13, 1, v39
	s_delay_alu instid0(VALU_DEP_3) | instskip(NEXT) | instid1(VALU_DEP_3)
	v_cmp_eq_u32_e64 s14, 1, v41
	v_mul_u64_e32 v[32:33], v[44:45], v[32:33]
	s_or_b32 s13, s13, s14
	s_delay_alu instid0(SALU_CYCLE_1) | instskip(SKIP_1) | instid1(VALU_DEP_2)
	v_cndmask_b32_e64 v41, 0, 1, s13
	v_cndmask_b32_e64 v39, 0, 1, s13
	v_or_b32_e32 v41, v37, v41
.LBB47_108:
	s_or_b32 exec_lo, exec_lo, s16
	s_delay_alu instid0(VALU_DEP_4) | instskip(SKIP_1) | instid1(VALU_DEP_3)
	v_mov_b32_dpp v43, v32 row_shr:4 row_mask:0xf bank_mask:0xf
	v_mov_b32_dpp v44, v33 row_shr:4 row_mask:0xf bank_mask:0xf
	;; [unrolled: 1-line block ×3, first 2 shown]
	s_mov_b32 s16, exec_lo
	v_cmpx_lt_u32_e32 3, v40
	s_cbranch_execz .LBB47_110
; %bb.109:
	v_cmp_eq_u16_e64 s13, 0, v39
	v_and_b32_e32 v39, 1, v39
	s_delay_alu instid0(VALU_DEP_2) | instskip(SKIP_1) | instid1(VALU_DEP_3)
	v_dual_cndmask_b32 v45, 0, v44, s13 :: v_dual_bitop2_b32 v41, 1, v42 bitop3:0x40
	v_cndmask_b32_e64 v44, 1, v43, s13
	v_cmp_eq_u32_e64 s13, 1, v39
	s_delay_alu instid0(VALU_DEP_3) | instskip(NEXT) | instid1(VALU_DEP_3)
	v_cmp_eq_u32_e64 s14, 1, v41
	v_mul_u64_e32 v[32:33], v[44:45], v[32:33]
	s_or_b32 s13, s13, s14
	s_delay_alu instid0(SALU_CYCLE_1) | instskip(SKIP_1) | instid1(VALU_DEP_2)
	v_cndmask_b32_e64 v41, 0, 1, s13
	v_cndmask_b32_e64 v39, 0, 1, s13
	v_or_b32_e32 v41, v37, v41
.LBB47_110:
	s_or_b32 exec_lo, exec_lo, s16
	s_delay_alu instid0(VALU_DEP_4) | instskip(SKIP_1) | instid1(VALU_DEP_3)
	v_mov_b32_dpp v43, v32 row_shr:8 row_mask:0xf bank_mask:0xf
	v_mov_b32_dpp v44, v33 row_shr:8 row_mask:0xf bank_mask:0xf
	;; [unrolled: 1-line block ×3, first 2 shown]
	s_mov_b32 s16, exec_lo
	v_cmpx_lt_u32_e32 7, v40
	s_cbranch_execz .LBB47_112
; %bb.111:
	v_cmp_eq_u16_e64 s13, 0, v39
	s_delay_alu instid0(VALU_DEP_1) | instskip(SKIP_1) | instid1(VALU_DEP_2)
	v_dual_cndmask_b32 v41, 0, v44, s13 :: v_dual_bitop2_b32 v39, 1, v39 bitop3:0x40
	v_cndmask_b32_e64 v40, 1, v43, s13
	v_cmp_eq_u32_e64 s13, 1, v39
	s_delay_alu instid0(VALU_DEP_2) | instskip(SKIP_1) | instid1(VALU_DEP_1)
	v_mul_u64_e32 v[32:33], v[40:41], v[32:33]
	v_and_b32_e32 v40, 1, v42
	v_cmp_eq_u32_e64 s14, 1, v40
	s_or_b32 s13, s13, s14
	s_delay_alu instid0(SALU_CYCLE_1) | instskip(SKIP_1) | instid1(VALU_DEP_2)
	v_cndmask_b32_e64 v40, 0, 1, s13
	v_cndmask_b32_e64 v39, 0, 1, s13
	v_or_b32_e32 v41, v37, v40
.LBB47_112:
	s_or_b32 exec_lo, exec_lo, s16
	ds_swizzle_b32 v42, v32 offset:swizzle(BROADCAST,32,15)
	ds_swizzle_b32 v43, v33 offset:swizzle(BROADCAST,32,15)
	ds_swizzle_b32 v40, v41 offset:swizzle(BROADCAST,32,15)
	v_and_b32_e32 v41, 16, v38
	s_mov_b32 s16, exec_lo
	s_delay_alu instid0(VALU_DEP_1)
	v_cmpx_ne_u32_e32 0, v41
	s_cbranch_execz .LBB47_114
; %bb.113:
	v_cmp_eq_u16_e64 s13, 0, v39
	v_and_b32_e32 v39, 1, v39
	s_wait_dscnt 0x0
	s_delay_alu instid0(VALU_DEP_2) | instskip(SKIP_1) | instid1(VALU_DEP_3)
	v_dual_cndmask_b32 v43, 0, v43, s13 :: v_dual_bitop2_b32 v40, 1, v40 bitop3:0x40
	v_cndmask_b32_e64 v42, 1, v42, s13
	v_cmp_eq_u32_e64 s13, 1, v39
	s_delay_alu instid0(VALU_DEP_3) | instskip(NEXT) | instid1(VALU_DEP_3)
	v_cmp_eq_u32_e64 s14, 1, v40
	v_mul_u64_e32 v[32:33], v[42:43], v[32:33]
	s_or_b32 s13, s13, s14
	s_delay_alu instid0(SALU_CYCLE_1)
	v_cndmask_b32_e64 v39, 0, 1, s13
.LBB47_114:
	s_or_b32 exec_lo, exec_lo, s16
	s_wait_dscnt 0x0
	v_add_nc_u32_e32 v40, -1, v38
	s_delay_alu instid0(VALU_DEP_2) | instskip(NEXT) | instid1(VALU_DEP_2)
	v_and_b32_e32 v39, 0xffff, v39
	; wave barrier
	v_cmp_gt_i32_e64 s13, 0, v40
	s_delay_alu instid0(VALU_DEP_1) | instskip(SKIP_1) | instid1(VALU_DEP_2)
	v_dual_cndmask_b32 v38, v40, v38, s13 :: v_dual_bitop2_b32 v37, v37, v39 bitop3:0x54
	v_and_b32_e32 v40, 0xff, v36
	v_lshlrev_b32_e32 v38, 2, v38
	s_delay_alu instid0(VALU_DEP_2)
	v_cmp_eq_u32_e64 s13, 0, v40
	ds_bpermute_b32 v33, v38, v33
	ds_bpermute_b32 v32, v38, v32
	s_wait_dscnt 0x0
	v_dual_cndmask_b32 v33, 0, v33, s13 :: v_dual_cndmask_b32 v32, 1, v32, s13
	v_cmp_eq_u32_e64 s13, 0, v0
	s_delay_alu instid0(VALU_DEP_2) | instskip(SKIP_3) | instid1(VALU_DEP_1)
	v_mul_u64_e32 v[20:21], v[32:33], v[20:21]
	ds_bpermute_b32 v32, v38, v37
	s_wait_dscnt 0x0
	v_dual_cndmask_b32 v21, v21, v5, s13 :: v_dual_bitop2_b32 v32, v32, v36 bitop3:0x54
	v_and_b32_e32 v32, 1, v32
	v_cndmask_b32_e64 v20, v20, v4, s13
	s_delay_alu instid0(VALU_DEP_2)
	v_cndmask_b32_e64 v35, v32, v35, s13
	ds_store_b64 v34, v[20:21]
	ds_store_b8 v34, v35 offset:8
	; wave barrier
	ds_load_u8 v48, v34 offset:24
	ds_load_2addr_b64 v[36:39], v34 offset0:2 offset1:4
	ds_load_u8 v49, v34 offset:40
	ds_load_u8 v50, v34 offset:56
	;; [unrolled: 1-line block ×5, first 2 shown]
	ds_load_b64 v[32:33], v34 offset:112
	ds_load_u8 v54, v34 offset:120
	s_wait_dscnt 0x8
	v_and_b32_e32 v40, 0xff, v48
	s_wait_dscnt 0x5
	v_and_b32_e32 v42, 0xff, v50
	s_delay_alu instid0(VALU_DEP_2) | instskip(SKIP_2) | instid1(VALU_DEP_2)
	v_cmp_eq_u16_e64 s13, 0, v40
	s_wait_dscnt 0x3
	v_and_b32_e32 v46, 0xff, v52
	v_dual_cndmask_b32 v21, 0, v21, s13 :: v_dual_cndmask_b32 v20, 1, v20, s13
	s_delay_alu instid0(VALU_DEP_1) | instskip(SKIP_1) | instid1(VALU_DEP_1)
	v_mul_u64_e32 v[20:21], v[20:21], v[36:37]
	v_and_b32_e32 v36, 0xff, v49
	v_cmp_eq_u16_e64 s13, 0, v36
	s_delay_alu instid0(VALU_DEP_1) | instskip(SKIP_1) | instid1(VALU_DEP_2)
	v_dual_cndmask_b32 v37, 0, v21, s13 :: v_dual_cndmask_b32 v36, 1, v20, s13
	v_cmp_eq_u16_e64 s13, 0, v42
	v_mul_u64_e32 v[40:41], v[36:37], v[38:39]
	ds_load_2addr_b64 v[36:39], v34 offset0:6 offset1:8
	v_dual_cndmask_b32 v43, 0, v41, s13 :: v_dual_cndmask_b32 v42, 1, v40, s13
	s_wait_dscnt 0x0
	s_delay_alu instid0(VALU_DEP_1) | instskip(SKIP_1) | instid1(VALU_DEP_1)
	v_mul_u64_e32 v[42:43], v[42:43], v[36:37]
	v_and_b32_e32 v36, 0xff, v51
	v_cmp_eq_u16_e64 s13, 0, v36
	s_delay_alu instid0(VALU_DEP_1) | instskip(SKIP_1) | instid1(VALU_DEP_2)
	v_dual_cndmask_b32 v37, 0, v43, s13 :: v_dual_cndmask_b32 v36, 1, v42, s13
	v_cmp_eq_u16_e64 s13, 0, v46
	v_mul_u64_e32 v[44:45], v[36:37], v[38:39]
	ds_load_2addr_b64 v[36:39], v34 offset0:10 offset1:12
	v_dual_cndmask_b32 v47, 0, v45, s13 :: v_dual_cndmask_b32 v46, 1, v44, s13
	s_wait_dscnt 0x0
	s_delay_alu instid0(VALU_DEP_1) | instskip(SKIP_1) | instid1(VALU_DEP_1)
	v_mul_u64_e32 v[36:37], v[46:47], v[36:37]
	v_and_b32_e32 v46, 0xff, v53
	v_cmp_eq_u16_e64 s13, 0, v46
	s_delay_alu instid0(VALU_DEP_1) | instskip(SKIP_1) | instid1(VALU_DEP_2)
	v_dual_cndmask_b32 v47, 0, v37, s13 :: v_dual_cndmask_b32 v46, 1, v36, s13
	v_cmp_eq_u16_e64 s13, 0, v54
	v_mul_u64_e32 v[38:39], v[46:47], v[38:39]
	s_delay_alu instid0(VALU_DEP_1) | instskip(NEXT) | instid1(VALU_DEP_1)
	v_dual_cndmask_b32 v47, 0, v39, s13 :: v_dual_cndmask_b32 v46, 1, v38, s13
	v_mul_u64_e32 v[32:33], v[46:47], v[32:33]
	v_or_b32_e32 v46, v48, v35
	v_bitop3_b16 v47, v49, v48, v35 bitop3:0xfe
	v_bitop3_b16 v35, v48, 1, v35 bitop3:0xc8
	s_delay_alu instid0(VALU_DEP_3) | instskip(NEXT) | instid1(VALU_DEP_3)
	v_bitop3_b16 v55, v50, v49, v46 bitop3:0xfe
	v_bitop3_b16 v56, v51, v50, v47 bitop3:0xfe
	;; [unrolled: 1-line block ×4, first 2 shown]
	s_delay_alu instid0(VALU_DEP_4) | instskip(NEXT) | instid1(VALU_DEP_4)
	v_bitop3_b16 v48, v52, v51, v55 bitop3:0xfe
	v_bitop3_b16 v49, v53, v52, v56 bitop3:0xfe
	;; [unrolled: 1-line block ×4, first 2 shown]
	s_delay_alu instid0(VALU_DEP_4) | instskip(NEXT) | instid1(VALU_DEP_4)
	v_bitop3_b16 v48, v53, 1, v48 bitop3:0xc8
	v_bitop3_b16 v49, v54, 1, v49 bitop3:0xc8
	ds_store_2addr_b64 v34, v[20:21], v[40:41] offset0:2 offset1:4
	ds_store_2addr_b64 v34, v[42:43], v[44:45] offset0:6 offset1:8
	;; [unrolled: 1-line block ×3, first 2 shown]
	ds_store_b8 v34, v35 offset:24
	ds_store_b8 v34, v46 offset:40
	;; [unrolled: 1-line block ×6, first 2 shown]
	ds_store_b64 v34, v[32:33] offset:112
	ds_store_b8 v34, v49 offset:120
.LBB47_115:
	s_or_b32 exec_lo, exec_lo, s15
	v_cmp_eq_u32_e64 s14, 0, v0
	v_cmp_ne_u32_e64 s13, 0, v0
	s_wait_dscnt 0x0
	s_barrier_signal -1
	s_barrier_wait -1
	s_and_saveexec_b32 s16, s13
	s_cbranch_execz .LBB47_117
; %bb.116:
	v_add_nc_u32_e32 v4, -1, v0
	s_and_not1_b32 s17, s18, exec_lo
	s_delay_alu instid0(VALU_DEP_1) | instskip(NEXT) | instid1(VALU_DEP_1)
	v_lshrrev_b32_e32 v5, 1, v4
	v_and_b32_e32 v5, 0x7ffffff0, v5
	s_delay_alu instid0(VALU_DEP_1) | instskip(SKIP_4) | instid1(VALU_DEP_1)
	v_lshl_add_u32 v4, v4, 4, v5
	ds_load_u8 v20, v4 offset:8
	ds_load_b64 v[4:5], v4
	s_wait_dscnt 0x1
	v_and_b32_e32 v20, 1, v20
	v_cmp_eq_u32_e64 s15, 1, v20
	s_and_b32 s15, s15, exec_lo
	s_delay_alu instid0(SALU_CYCLE_1)
	s_or_b32 s18, s17, s15
.LBB47_117:
	s_or_b32 exec_lo, exec_lo, s16
	s_and_saveexec_b32 s19, vcc_lo
	s_cbranch_execz .LBB47_205
; %bb.118:
	v_mov_b32_e32 v35, 0
	v_mbcnt_lo_u32_b32 v39, -1, 0
	s_mov_b32 s17, 0
	ds_load_b64 v[20:21], v35 offset:4192
	ds_load_u8 v38, v35 offset:4200
	v_cmp_eq_u32_e64 s15, 0, v39
	s_and_saveexec_b32 s20, s15
	s_cbranch_execz .LBB47_120
; %bb.119:
	s_add_co_i32 s16, s22, 32
	s_delay_alu instid0(SALU_CYCLE_1) | instskip(SKIP_1) | instid1(SALU_CYCLE_1)
	v_dual_mov_b32 v32, 1 :: v_dual_mov_b32 v33, s16
	s_lshl_b64 s[44:45], s[16:17], 4
	s_add_nc_u64 s[16:17], s[36:37], s[44:45]
	s_wait_dscnt 0x1
	global_store_b64 v35, v[20:21], s[16:17]
	s_wait_dscnt 0x0
	global_store_b8 v35, v38, s[16:17] offset:8
	global_wb scope:SCOPE_DEV
	s_wait_storecnt 0x0
	global_inv scope:SCOPE_DEV
	s_wait_xcnt 0x0
	global_store_b8 v33, v32, s[40:41] scope:SCOPE_DEV
.LBB47_120:
	s_wait_xcnt 0x0
	s_or_b32 exec_lo, exec_lo, s20
	v_xad_u32 v32, v39, -1, s22
	s_mov_b32 s16, exec_lo
	s_delay_alu instid0(VALU_DEP_1)
	v_add_nc_u32_e32 v34, 32, v32
	global_load_u8 v40, v34, s[40:41] scope:SCOPE_DEV
	s_wait_loadcnt 0x0
	v_cmpx_eq_u16_e32 0, v40
	s_cbranch_execz .LBB47_124
; %bb.121:
	v_add_nc_u64_e32 v[36:37], s[40:41], v[34:35]
	s_mov_b32 s17, 0
.LBB47_122:                             ; =>This Inner Loop Header: Depth=1
	global_load_u8 v40, v[36:37], off scope:SCOPE_DEV
	s_wait_loadcnt 0x0
	v_cmp_ne_u16_e32 vcc_lo, 0, v40
	s_or_b32 s17, vcc_lo, s17
	s_wait_xcnt 0x0
	s_and_not1_b32 exec_lo, exec_lo, s17
	s_cbranch_execnz .LBB47_122
; %bb.123:
	s_or_b32 exec_lo, exec_lo, s17
.LBB47_124:
	s_delay_alu instid0(SALU_CYCLE_1)
	s_or_b32 exec_lo, exec_lo, s16
	v_dual_mov_b32 v33, s37 :: v_dual_mov_b32 v36, s36
	v_cmp_eq_u16_e32 vcc_lo, 1, v40
	global_wb scope:SCOPE_DEV
	s_wait_storecnt_dscnt 0x0
	global_inv scope:SCOPE_DEV
	v_lshlrev_b32_e64 v42, v39, -1
	s_mov_b32 s16, exec_lo
	v_cndmask_b32_e32 v37, s39, v33, vcc_lo
	v_cndmask_b32_e32 v36, s38, v36, vcc_lo
	v_cmp_ne_u32_e32 vcc_lo, 31, v39
	v_add_co_ci_u32_e64 v33, null, 0, v39, vcc_lo
	v_cmp_eq_u16_e32 vcc_lo, 2, v40
	s_delay_alu instid0(VALU_DEP_2)
	v_lshlrev_b32_e32 v41, 2, v33
	v_lshl_add_u64 v[34:35], v[34:35], 4, v[36:37]
	s_clause 0x1
	global_load_u8 v52, v[34:35], off offset:8
	global_load_b64 v[36:37], v[34:35], off
	v_and_or_b32 v33, vcc_lo, v42, 0x80000000
	s_delay_alu instid0(VALU_DEP_1)
	v_ctz_i32_b32_e32 v33, v33
	s_wait_loadcnt 0x1
	s_wait_xcnt 0x0
	v_and_b32_e32 v34, 1, v52
	s_wait_loadcnt 0x0
	ds_bpermute_b32 v43, v41, v36
	ds_bpermute_b32 v44, v41, v37
	ds_bpermute_b32 v35, v41, v34
	v_cmpx_lt_u32_e64 v39, v33
	s_cbranch_execz .LBB47_126
; %bb.125:
	v_and_b32_e32 v34, 0xff, v52
	s_wait_dscnt 0x0
	v_bitop3_b16 v52, v35, v52, 1 bitop3:0xec
	s_delay_alu instid0(VALU_DEP_2) | instskip(NEXT) | instid1(VALU_DEP_2)
	v_cmp_eq_u16_e32 vcc_lo, 0, v34
	v_and_b32_e32 v34, 0xff, v52
	v_dual_cndmask_b32 v45, 0, v44 :: v_dual_cndmask_b32 v44, 1, v43
	s_delay_alu instid0(VALU_DEP_1)
	v_mul_u64_e32 v[36:37], v[44:45], v[36:37]
.LBB47_126:
	s_or_b32 exec_lo, exec_lo, s16
	v_cmp_gt_u32_e32 vcc_lo, 30, v39
	s_wait_dscnt 0x1
	v_add_nc_u32_e32 v44, 2, v39
	s_mov_b32 s17, exec_lo
	s_wait_dscnt 0x0
	v_cndmask_b32_e64 v35, 0, 2, vcc_lo
	s_delay_alu instid0(VALU_DEP_1)
	v_add_lshl_u32 v43, v35, v39, 2
	ds_bpermute_b32 v45, v43, v36
	ds_bpermute_b32 v46, v43, v37
	ds_bpermute_b32 v35, v43, v34
	v_cmpx_le_u32_e64 v44, v33
	s_cbranch_execz .LBB47_128
; %bb.127:
	v_and_b32_e32 v34, 0xff, v52
	s_wait_dscnt 0x0
	v_and_b32_e32 v35, 1, v35
	s_delay_alu instid0(VALU_DEP_2) | instskip(SKIP_1) | instid1(VALU_DEP_3)
	v_cmp_eq_u16_e32 vcc_lo, 0, v34
	v_and_b32_e32 v34, 1, v52
	v_cmp_eq_u32_e64 s16, 1, v35
	v_dual_cndmask_b32 v47, 0, v46 :: v_dual_cndmask_b32 v46, 1, v45
	s_delay_alu instid0(VALU_DEP_3) | instskip(NEXT) | instid1(VALU_DEP_2)
	v_cmp_eq_u32_e32 vcc_lo, 1, v34
	v_mul_u64_e32 v[36:37], v[46:47], v[36:37]
	s_or_b32 s16, vcc_lo, s16
	s_delay_alu instid0(SALU_CYCLE_1)
	v_cndmask_b32_e64 v52, 0, 1, s16
	v_cndmask_b32_e64 v34, 0, 1, s16
.LBB47_128:
	s_or_b32 exec_lo, exec_lo, s17
	v_cmp_gt_u32_e32 vcc_lo, 28, v39
	s_wait_dscnt 0x1
	v_add_nc_u32_e32 v46, 4, v39
	s_mov_b32 s17, exec_lo
	s_wait_dscnt 0x0
	v_cndmask_b32_e64 v35, 0, 4, vcc_lo
	s_delay_alu instid0(VALU_DEP_1)
	v_add_lshl_u32 v45, v35, v39, 2
	ds_bpermute_b32 v47, v45, v36
	ds_bpermute_b32 v48, v45, v37
	ds_bpermute_b32 v35, v45, v34
	v_cmpx_le_u32_e64 v46, v33
	s_cbranch_execz .LBB47_130
; %bb.129:
	v_and_b32_e32 v34, 0xff, v52
	s_wait_dscnt 0x0
	v_and_b32_e32 v35, 1, v35
	s_delay_alu instid0(VALU_DEP_2) | instskip(SKIP_1) | instid1(VALU_DEP_3)
	v_cmp_eq_u16_e32 vcc_lo, 0, v34
	v_and_b32_e32 v34, 1, v52
	v_cmp_eq_u32_e64 s16, 1, v35
	v_dual_cndmask_b32 v49, 0, v48 :: v_dual_cndmask_b32 v48, 1, v47
	s_delay_alu instid0(VALU_DEP_3) | instskip(NEXT) | instid1(VALU_DEP_2)
	v_cmp_eq_u32_e32 vcc_lo, 1, v34
	v_mul_u64_e32 v[36:37], v[48:49], v[36:37]
	s_or_b32 s16, vcc_lo, s16
	s_delay_alu instid0(SALU_CYCLE_1)
	v_cndmask_b32_e64 v52, 0, 1, s16
	v_cndmask_b32_e64 v34, 0, 1, s16
.LBB47_130:
	;; [unrolled: 31-line block ×3, first 2 shown]
	s_or_b32 exec_lo, exec_lo, s17
	s_wait_dscnt 0x2
	v_lshl_or_b32 v49, v39, 2, 64
	v_add_nc_u32_e32 v51, 16, v39
	s_mov_b32 s17, exec_lo
	s_wait_dscnt 0x0
	ds_bpermute_b32 v35, v49, v36
	ds_bpermute_b32 v50, v49, v37
	;; [unrolled: 1-line block ×3, first 2 shown]
	v_cmpx_le_u32_e64 v51, v33
	s_cbranch_execz .LBB47_134
; %bb.133:
	v_and_b32_e32 v33, 0xff, v52
	s_wait_dscnt 0x0
	v_and_b32_e32 v34, 1, v34
	s_delay_alu instid0(VALU_DEP_2) | instskip(SKIP_1) | instid1(VALU_DEP_3)
	v_cmp_eq_u16_e32 vcc_lo, 0, v33
	v_and_b32_e32 v33, 1, v52
	v_cmp_eq_u32_e64 s16, 1, v34
	v_dual_cndmask_b32 v55, 0, v50 :: v_dual_cndmask_b32 v54, 1, v35
	s_delay_alu instid0(VALU_DEP_3) | instskip(NEXT) | instid1(VALU_DEP_2)
	v_cmp_eq_u32_e32 vcc_lo, 1, v33
	v_mul_u64_e32 v[36:37], v[54:55], v[36:37]
	s_or_b32 s16, vcc_lo, s16
	s_delay_alu instid0(SALU_CYCLE_1)
	v_cndmask_b32_e64 v52, 0, 1, s16
.LBB47_134:
	s_or_b32 exec_lo, exec_lo, s17
	v_mov_b32_e32 v33, 0
	s_branch .LBB47_137
.LBB47_135:                             ;   in Loop: Header=BB47_137 Depth=1
	s_or_b32 exec_lo, exec_lo, s20
	v_and_b32_e32 v52, 0xff, v50
	v_subrev_nc_u32_e32 v32, 32, v32
	s_delay_alu instid0(VALU_DEP_2) | instskip(NEXT) | instid1(VALU_DEP_4)
	v_cmp_eq_u16_e32 vcc_lo, 0, v52
	v_dual_cndmask_b32 v37, 0, v37, vcc_lo :: v_dual_bitop2_b32 v52, 1, v50 bitop3:0x40
	v_cndmask_b32_e32 v36, 1, v36, vcc_lo
	s_delay_alu instid0(VALU_DEP_2) | instskip(NEXT) | instid1(VALU_DEP_2)
	v_cmp_eq_u32_e32 vcc_lo, 1, v52
	v_mul_u64_e32 v[36:37], v[36:37], v[34:35]
	s_or_b32 s16, vcc_lo, s17
	s_delay_alu instid0(SALU_CYCLE_1)
	v_cndmask_b32_e64 v52, 0, 1, s16
	s_mov_b32 s16, 0
.LBB47_136:                             ;   in Loop: Header=BB47_137 Depth=1
	s_delay_alu instid0(SALU_CYCLE_1)
	s_and_b32 vcc_lo, exec_lo, s16
	s_cbranch_vccnz .LBB47_201
.LBB47_137:                             ; =>This Loop Header: Depth=1
                                        ;     Child Loop BB47_140 Depth 2
	s_wait_dscnt 0x0
	v_and_b32_e32 v34, 0xff, v40
	v_mov_b32_e32 v50, v52
	s_mov_b32 s16, -1
                                        ; implicit-def: $vgpr52
                                        ; implicit-def: $vgpr40
	s_delay_alu instid0(VALU_DEP_2)
	v_cmp_ne_u16_e32 vcc_lo, 2, v34
	v_mov_b64_e32 v[34:35], v[36:37]
                                        ; implicit-def: $vgpr36_vgpr37
	s_cmp_lg_u32 vcc_lo, exec_lo
	s_cbranch_scc1 .LBB47_136
; %bb.138:                              ;   in Loop: Header=BB47_137 Depth=1
	global_load_u8 v40, v32, s[40:41] scope:SCOPE_DEV
	s_mov_b32 s16, exec_lo
	s_wait_loadcnt 0x0
	v_cmpx_eq_u16_e32 0, v40
	s_cbranch_execz .LBB47_142
; %bb.139:                              ;   in Loop: Header=BB47_137 Depth=1
	v_add_nc_u64_e32 v[36:37], s[40:41], v[32:33]
	s_mov_b32 s17, 0
.LBB47_140:                             ;   Parent Loop BB47_137 Depth=1
                                        ; =>  This Inner Loop Header: Depth=2
	global_load_u8 v40, v[36:37], off scope:SCOPE_DEV
	s_wait_loadcnt 0x0
	v_cmp_ne_u16_e32 vcc_lo, 0, v40
	s_or_b32 s17, vcc_lo, s17
	s_delay_alu instid0(SALU_CYCLE_1)
	s_and_not1_b32 exec_lo, exec_lo, s17
	s_cbranch_execnz .LBB47_140
; %bb.141:                              ;   in Loop: Header=BB47_137 Depth=1
	s_or_b32 exec_lo, exec_lo, s17
.LBB47_142:                             ;   in Loop: Header=BB47_137 Depth=1
	s_delay_alu instid0(SALU_CYCLE_1)
	s_or_b32 exec_lo, exec_lo, s16
	v_dual_mov_b32 v36, s37 :: v_dual_mov_b32 v52, s36
	v_cmp_eq_u16_e32 vcc_lo, 1, v40
	global_wb scope:SCOPE_DEV
	s_wait_storecnt 0x0
	global_inv scope:SCOPE_DEV
	s_mov_b32 s16, exec_lo
	v_cndmask_b32_e32 v37, s39, v36, vcc_lo
	v_cndmask_b32_e32 v36, s38, v52, vcc_lo
	v_cmp_eq_u16_e32 vcc_lo, 2, v40
	s_delay_alu instid0(VALU_DEP_2)
	v_lshl_add_u64 v[54:55], v[32:33], 4, v[36:37]
	v_and_or_b32 v53, vcc_lo, v42, 0x80000000
	s_clause 0x1
	global_load_u8 v52, v[54:55], off offset:8
	global_load_b64 v[36:37], v[54:55], off
	v_ctz_i32_b32_e32 v53, v53
	s_wait_loadcnt 0x1
	s_wait_xcnt 0x0
	v_and_b32_e32 v54, 1, v52
	s_wait_loadcnt 0x0
	ds_bpermute_b32 v56, v41, v36
	ds_bpermute_b32 v57, v41, v37
	;; [unrolled: 1-line block ×3, first 2 shown]
	v_cmpx_lt_u32_e64 v39, v53
	s_cbranch_execz .LBB47_144
; %bb.143:                              ;   in Loop: Header=BB47_137 Depth=1
	v_and_b32_e32 v54, 0xff, v52
	s_wait_dscnt 0x0
	v_bitop3_b16 v52, v55, v52, 1 bitop3:0xec
	s_delay_alu instid0(VALU_DEP_2) | instskip(NEXT) | instid1(VALU_DEP_2)
	v_cmp_eq_u16_e32 vcc_lo, 0, v54
	v_and_b32_e32 v54, 0xff, v52
	v_dual_cndmask_b32 v57, 0, v57 :: v_dual_cndmask_b32 v56, 1, v56
	s_delay_alu instid0(VALU_DEP_1)
	v_mul_u64_e32 v[36:37], v[56:57], v[36:37]
.LBB47_144:                             ;   in Loop: Header=BB47_137 Depth=1
	s_or_b32 exec_lo, exec_lo, s16
	s_wait_dscnt 0x2
	ds_bpermute_b32 v56, v43, v36
	s_wait_dscnt 0x2
	ds_bpermute_b32 v57, v43, v37
	;; [unrolled: 2-line block ×3, first 2 shown]
	v_and_b32_e32 v58, 1, v52
	s_mov_b32 s16, exec_lo
	s_delay_alu instid0(VALU_DEP_1)
	v_cmp_eq_u32_e64 s17, 1, v58
	v_cmpx_le_u32_e64 v44, v53
	s_cbranch_execz .LBB47_146
; %bb.145:                              ;   in Loop: Header=BB47_137 Depth=1
	v_and_b32_e32 v52, 0xff, v52
	s_delay_alu instid0(VALU_DEP_1) | instskip(SKIP_3) | instid1(VALU_DEP_2)
	v_cmp_eq_u16_e32 vcc_lo, 0, v52
	s_wait_dscnt 0x0
	v_dual_cndmask_b32 v57, 0, v57, vcc_lo :: v_dual_bitop2_b32 v52, 1, v55 bitop3:0x40
	v_cndmask_b32_e32 v56, 1, v56, vcc_lo
	v_cmp_eq_u32_e32 vcc_lo, 1, v52
	s_delay_alu instid0(VALU_DEP_2)
	v_mul_u64_e32 v[36:37], v[56:57], v[36:37]
	s_or_b32 s20, s17, vcc_lo
	s_and_not1_b32 s17, s17, exec_lo
	v_cndmask_b32_e64 v52, 0, 1, s20
	v_cndmask_b32_e64 v54, 0, 1, s20
	s_and_b32 s20, s20, exec_lo
	s_delay_alu instid0(SALU_CYCLE_1)
	s_or_b32 s17, s17, s20
.LBB47_146:                             ;   in Loop: Header=BB47_137 Depth=1
	s_or_b32 exec_lo, exec_lo, s16
	s_wait_dscnt 0x2
	ds_bpermute_b32 v56, v45, v36
	s_wait_dscnt 0x2
	ds_bpermute_b32 v57, v45, v37
	;; [unrolled: 2-line block ×3, first 2 shown]
	s_mov_b32 s20, exec_lo
	v_cmpx_le_u32_e64 v46, v53
	s_cbranch_execz .LBB47_148
; %bb.147:                              ;   in Loop: Header=BB47_137 Depth=1
	v_and_b32_e32 v54, 0xff, v52
	v_and_b32_e32 v52, 1, v52
	s_and_not1_b32 s17, s17, exec_lo
	s_delay_alu instid0(VALU_DEP_2) | instskip(SKIP_4) | instid1(VALU_DEP_3)
	v_cmp_eq_u16_e32 vcc_lo, 0, v54
	s_wait_dscnt 0x0
	v_dual_cndmask_b32 v57, 0, v57, vcc_lo :: v_dual_bitop2_b32 v54, 1, v55 bitop3:0x40
	v_cndmask_b32_e32 v56, 1, v56, vcc_lo
	v_cmp_eq_u32_e32 vcc_lo, 1, v52
	v_cmp_eq_u32_e64 s16, 1, v54
	s_delay_alu instid0(VALU_DEP_3) | instskip(SKIP_1) | instid1(SALU_CYCLE_1)
	v_mul_u64_e32 v[36:37], v[56:57], v[36:37]
	s_or_b32 s16, vcc_lo, s16
	v_cndmask_b32_e64 v52, 0, 1, s16
	v_cndmask_b32_e64 v54, 0, 1, s16
	s_and_b32 s16, s16, exec_lo
	s_delay_alu instid0(SALU_CYCLE_1)
	s_or_b32 s17, s17, s16
.LBB47_148:                             ;   in Loop: Header=BB47_137 Depth=1
	s_or_b32 exec_lo, exec_lo, s20
	s_wait_dscnt 0x2
	ds_bpermute_b32 v56, v47, v36
	s_wait_dscnt 0x2
	ds_bpermute_b32 v57, v47, v37
	;; [unrolled: 2-line block ×3, first 2 shown]
	s_mov_b32 s20, exec_lo
	v_cmpx_le_u32_e64 v48, v53
	s_cbranch_execz .LBB47_150
; %bb.149:                              ;   in Loop: Header=BB47_137 Depth=1
	v_and_b32_e32 v54, 0xff, v52
	v_and_b32_e32 v52, 1, v52
	s_and_not1_b32 s17, s17, exec_lo
	s_delay_alu instid0(VALU_DEP_2) | instskip(SKIP_4) | instid1(VALU_DEP_3)
	v_cmp_eq_u16_e32 vcc_lo, 0, v54
	s_wait_dscnt 0x0
	v_dual_cndmask_b32 v57, 0, v57, vcc_lo :: v_dual_bitop2_b32 v54, 1, v55 bitop3:0x40
	v_cndmask_b32_e32 v56, 1, v56, vcc_lo
	v_cmp_eq_u32_e32 vcc_lo, 1, v52
	v_cmp_eq_u32_e64 s16, 1, v54
	s_delay_alu instid0(VALU_DEP_3) | instskip(SKIP_1) | instid1(SALU_CYCLE_1)
	v_mul_u64_e32 v[36:37], v[56:57], v[36:37]
	s_or_b32 s16, vcc_lo, s16
	v_cndmask_b32_e64 v52, 0, 1, s16
	v_cndmask_b32_e64 v54, 0, 1, s16
	s_and_b32 s16, s16, exec_lo
	s_delay_alu instid0(SALU_CYCLE_1)
	s_or_b32 s17, s17, s16
.LBB47_150:                             ;   in Loop: Header=BB47_137 Depth=1
	s_or_b32 exec_lo, exec_lo, s20
	s_wait_dscnt 0x0
	ds_bpermute_b32 v55, v49, v36
	ds_bpermute_b32 v56, v49, v37
	;; [unrolled: 1-line block ×3, first 2 shown]
	s_mov_b32 s20, exec_lo
	v_cmpx_le_u32_e64 v51, v53
	s_cbranch_execz .LBB47_135
; %bb.151:                              ;   in Loop: Header=BB47_137 Depth=1
	v_and_b32_e32 v53, 0xff, v52
	v_and_b32_e32 v52, 1, v52
	s_and_not1_b32 s17, s17, exec_lo
	s_delay_alu instid0(VALU_DEP_2) | instskip(SKIP_4) | instid1(VALU_DEP_3)
	v_cmp_eq_u16_e32 vcc_lo, 0, v53
	s_wait_dscnt 0x0
	v_dual_cndmask_b32 v57, 0, v56, vcc_lo :: v_dual_bitop2_b32 v53, 1, v54 bitop3:0x40
	v_cndmask_b32_e32 v56, 1, v55, vcc_lo
	v_cmp_eq_u32_e32 vcc_lo, 1, v52
	v_cmp_eq_u32_e64 s16, 1, v53
	s_delay_alu instid0(VALU_DEP_3) | instskip(SKIP_1) | instid1(SALU_CYCLE_1)
	v_mul_u64_e32 v[36:37], v[56:57], v[36:37]
	s_or_b32 s16, vcc_lo, s16
	s_and_b32 s16, s16, exec_lo
	s_delay_alu instid0(SALU_CYCLE_1)
	s_or_b32 s17, s17, s16
	s_branch .LBB47_135
.LBB47_152:
                                        ; implicit-def: $vgpr58_vgpr59
                                        ; implicit-def: $vgpr54_vgpr55
                                        ; implicit-def: $vgpr50_vgpr51
                                        ; implicit-def: $vgpr46_vgpr47
                                        ; implicit-def: $vgpr42_vgpr43
                                        ; implicit-def: $vgpr38_vgpr39
                                        ; implicit-def: $vgpr34_vgpr35
	s_cbranch_execnz .LBB47_208
.LBB47_153:
	s_add_nc_u64 s[0:1], s[26:27], s[34:35]
	s_and_b32 vcc_lo, exec_lo, s23
	s_add_nc_u64 s[0:1], s[0:1], s[24:25]
	s_cbranch_vccz .LBB47_227
.LBB47_154:
	v_mul_u32_u24_e32 v1, 14, v0
	s_add_co_i32 s30, s30, s42
	s_mov_b32 s2, exec_lo
	s_delay_alu instid0(VALU_DEP_1)
	v_cmpx_gt_u32_e64 s30, v1
	s_cbranch_execz .LBB47_174
; %bb.155:
	v_or_b32_e32 v2, 1, v1
	s_mov_b32 s3, exec_lo
	s_delay_alu instid0(VALU_DEP_1)
	v_cmpx_gt_u32_e64 s30, v2
	s_cbranch_execz .LBB47_173
; %bb.156:
	v_add_nc_u32_e32 v2, 2, v1
	s_mov_b32 s4, exec_lo
	s_delay_alu instid0(VALU_DEP_1)
	v_cmpx_gt_u32_e64 s30, v2
	s_cbranch_execz .LBB47_172
; %bb.157:
	v_add_nc_u32_e32 v2, 3, v1
	;; [unrolled: 6-line block ×8, first 2 shown]
	s_mov_b32 s11, exec_lo
	s_delay_alu instid0(VALU_DEP_1)
	v_cmpx_gt_u32_e64 s30, v2
; %bb.164:
	v_add_nc_u32_e32 v2, 10, v1
	s_mov_b32 s12, exec_lo
	s_delay_alu instid0(VALU_DEP_1)
	v_cmpx_gt_u32_e64 s30, v2
	s_or_b32 exec_lo, exec_lo, s12
; %bb.165:
	s_delay_alu instid0(SALU_CYCLE_1)
	s_or_b32 exec_lo, exec_lo, s11
.LBB47_166:
	s_delay_alu instid0(SALU_CYCLE_1)
	s_or_b32 exec_lo, exec_lo, s10
.LBB47_167:
	s_delay_alu instid0(SALU_CYCLE_1)
	s_or_b32 exec_lo, exec_lo, s9
.LBB47_168:
	s_delay_alu instid0(SALU_CYCLE_1)
	s_or_b32 exec_lo, exec_lo, s8
.LBB47_169:
	s_delay_alu instid0(SALU_CYCLE_1)
	s_or_b32 exec_lo, exec_lo, s7
.LBB47_170:
	s_delay_alu instid0(SALU_CYCLE_1)
	s_or_b32 exec_lo, exec_lo, s6
.LBB47_171:
	s_delay_alu instid0(SALU_CYCLE_1)
	s_or_b32 exec_lo, exec_lo, s5
.LBB47_172:
	s_delay_alu instid0(SALU_CYCLE_1)
	s_or_b32 exec_lo, exec_lo, s4
.LBB47_173:
	s_delay_alu instid0(SALU_CYCLE_1)
	s_or_b32 exec_lo, exec_lo, s3
.LBB47_174:
	s_delay_alu instid0(SALU_CYCLE_1)
	s_or_b32 exec_lo, exec_lo, s2
	v_dual_lshlrev_b32 v1, 3, v1 :: v_dual_mov_b32 v65, 0
	s_wait_loadcnt 0x0
	s_wait_storecnt 0x0
	s_barrier_signal -1
	s_barrier_wait -1
	v_mad_i32_i24 v2, 0xffffff98, v0, v1
	ds_store_b128 v1, v[32:35]
	ds_store_b128 v1, v[36:39] offset:16
	ds_store_b128 v1, v[40:43] offset:32
	;; [unrolled: 1-line block ×6, first 2 shown]
	s_wait_dscnt 0x0
	s_barrier_signal -1
	s_barrier_wait -1
	ds_load_2addr_stride64_b64 v[26:29], v2 offset0:4 offset1:8
	ds_load_2addr_stride64_b64 v[22:25], v2 offset0:12 offset1:16
	;; [unrolled: 1-line block ×6, first 2 shown]
	ds_load_b64 v[4:5], v2 offset:26624
	v_add_nc_u64_e32 v[2:3], s[0:1], v[64:65]
	s_mov_b32 s2, exec_lo
	v_cmpx_gt_u32_e64 s30, v0
	s_cbranch_execz .LBB47_176
; %bb.175:
	v_mul_i32_i24_e32 v30, 0xffffff98, v0
	s_delay_alu instid0(VALU_DEP_1)
	v_add_nc_u32_e32 v1, v1, v30
	ds_load_b64 v[30:31], v1
	s_wait_dscnt 0x0
	flat_store_b64 v[2:3], v[30:31]
.LBB47_176:
	s_wait_xcnt 0x0
	s_or_b32 exec_lo, exec_lo, s2
	v_or_b32_e32 v1, 0x100, v0
	s_mov_b32 s2, exec_lo
	s_delay_alu instid0(VALU_DEP_1)
	v_cmpx_gt_u32_e64 s30, v1
	s_cbranch_execz .LBB47_178
; %bb.177:
	s_wait_dscnt 0x6
	flat_store_b64 v[2:3], v[26:27] offset:2048
.LBB47_178:
	s_wait_xcnt 0x0
	s_or_b32 exec_lo, exec_lo, s2
	v_or_b32_e32 v1, 0x200, v0
	s_mov_b32 s2, exec_lo
	s_delay_alu instid0(VALU_DEP_1)
	v_cmpx_gt_u32_e64 s30, v1
	s_cbranch_execz .LBB47_180
; %bb.179:
	s_wait_dscnt 0x6
	flat_store_b64 v[2:3], v[28:29] offset:4096
.LBB47_180:
	;; [unrolled: 11-line block ×12, first 2 shown]
	s_wait_xcnt 0x0
	s_or_b32 exec_lo, exec_lo, s2
	v_or_b32_e32 v1, 0xd00, v0
	s_delay_alu instid0(VALU_DEP_1)
	v_cmp_gt_u32_e64 s2, s30, v1
	s_branch .LBB47_229
.LBB47_201:
	s_and_saveexec_b32 s16, s15
	s_cbranch_execz .LBB47_203
; %bb.202:
	v_and_b32_e32 v32, 0xff, v38
	s_add_co_i32 s20, s22, 32
	s_mov_b32 s21, 0
	v_mov_b32_e32 v37, s20
	s_lshl_b64 s[36:37], s[20:21], 4
	v_cmp_eq_u32_e32 vcc_lo, 0, v32
	s_add_nc_u64 s[20:21], s[38:39], s[36:37]
	v_dual_mov_b32 v36, 2 :: v_dual_cndmask_b32 v33, 0, v35
	v_cndmask_b32_e32 v32, 1, v34, vcc_lo
	s_delay_alu instid0(VALU_DEP_1)
	v_mul_u64_e32 v[20:21], v[32:33], v[20:21]
	v_mov_b32_e32 v33, 0
	v_bitop3_b16 v32, v38, 1, v50 bitop3:0xc8
	s_clause 0x1
	global_store_b64 v33, v[20:21], s[20:21]
	global_store_b8 v33, v32, s[20:21] offset:8
	global_wb scope:SCOPE_DEV
	s_wait_storecnt_dscnt 0x0
	global_inv scope:SCOPE_DEV
	s_wait_xcnt 0x0
	global_store_b8 v37, v36, s[40:41] scope:SCOPE_DEV
.LBB47_203:
	s_wait_xcnt 0x0
	s_or_b32 exec_lo, exec_lo, s16
	s_delay_alu instid0(SALU_CYCLE_1)
	s_and_b32 exec_lo, exec_lo, s14
	s_cbranch_execz .LBB47_205
; %bb.204:
	v_mov_b32_e32 v20, 0
	ds_store_b64 v20, v[34:35]
	ds_store_b8 v20, v50 offset:8
.LBB47_205:
	s_or_b32 exec_lo, exec_lo, s19
	v_dual_mov_b32 v20, 0 :: v_dual_mov_b32 v34, v1
	s_wait_storecnt 0x0
	s_wait_loadcnt_dscnt 0x0
	s_barrier_signal -1
	s_barrier_wait -1
	ds_load_b64 v[20:21], v20
	v_mov_b64_e32 v[32:33], v[2:3]
	s_and_saveexec_b32 s14, s13
	s_cbranch_execz .LBB47_207
; %bb.206:
	v_and_b32_e32 v32, 0xff, v1
	s_delay_alu instid0(VALU_DEP_1) | instskip(SKIP_1) | instid1(VALU_DEP_1)
	v_cmp_eq_u16_e32 vcc_lo, 0, v32
	v_dual_cndmask_b32 v5, 0, v5 :: v_dual_cndmask_b32 v4, 1, v4
	v_mul_u64_e32 v[32:33], v[4:5], v[2:3]
	v_and_b32_e32 v4, 1, v1
	s_delay_alu instid0(VALU_DEP_1) | instskip(SKIP_1) | instid1(SALU_CYCLE_1)
	v_cmp_eq_u32_e32 vcc_lo, 1, v4
	s_or_b32 s13, vcc_lo, s18
	v_cndmask_b32_e64 v34, 0, 1, s13
.LBB47_207:
	s_or_b32 exec_lo, exec_lo, s14
	s_delay_alu instid0(VALU_DEP_1) | instskip(NEXT) | instid1(VALU_DEP_1)
	v_and_b32_e32 v4, 0xff, v34
	v_cmp_eq_u16_e32 vcc_lo, 0, v4
	s_wait_dscnt 0x0
	v_dual_cndmask_b32 v5, 0, v21 :: v_dual_cndmask_b32 v4, 1, v20
	s_delay_alu instid0(VALU_DEP_1) | instskip(NEXT) | instid1(VALU_DEP_1)
	v_mul_u64_e32 v[32:33], v[4:5], v[32:33]
	v_dual_cndmask_b32 v5, 0, v33, s1 :: v_dual_cndmask_b32 v4, 1, v32, s1
	s_delay_alu instid0(VALU_DEP_1) | instskip(NEXT) | instid1(VALU_DEP_1)
	v_mul_u64_e32 v[34:35], v[4:5], v[6:7]
	v_dual_cndmask_b32 v5, 0, v35, s2 :: v_dual_cndmask_b32 v4, 1, v34, s2
	;; [unrolled: 3-line block ×13, first 2 shown]
	s_delay_alu instid0(VALU_DEP_1)
	v_mul_u64_e32 v[58:59], v[4:5], v[8:9]
	s_branch .LBB47_153
.LBB47_208:
	s_cmp_lg_u64 s[28:29], 0
	v_cmp_eq_u32_e32 vcc_lo, 0, v0
	s_cselect_b32 s1, -1, 0
	s_cmp_lg_u64 s[46:47], 0
	v_cmp_ne_u32_e64 s0, 0, v0
	s_cselect_b32 s2, -1, 0
	s_delay_alu instid0(SALU_CYCLE_1) | instskip(NEXT) | instid1(SALU_CYCLE_1)
	s_and_b32 s1, s1, s2
	s_and_b32 s1, vcc_lo, s1
	s_delay_alu instid0(SALU_CYCLE_1)
	s_and_saveexec_b32 s2, s1
	s_cbranch_execz .LBB47_210
; %bb.209:
	v_mov_b32_e32 v20, 0
	s_clause 0x1
	global_load_b64 v[4:5], v20, s[46:47]
	global_load_u8 v21, v20, s[46:47] offset:8
	s_wait_xcnt 0x0
	v_and_b32_e32 v20, 0xff, v1
	s_delay_alu instid0(VALU_DEP_1) | instskip(SKIP_1) | instid1(VALU_DEP_1)
	v_cmp_eq_u16_e64 s1, 0, v20
	s_wait_loadcnt 0x1
	v_dual_cndmask_b32 v5, 0, v5, s1 :: v_dual_cndmask_b32 v4, 1, v4, s1
	s_wait_loadcnt 0x0
	v_bitop3_b16 v1, v1, 1, v21 bitop3:0xc8
	s_delay_alu instid0(VALU_DEP_2)
	v_mul_u64_e32 v[2:3], v[4:5], v[2:3]
.LBB47_210:
	s_or_b32 exec_lo, exec_lo, s2
	v_cmp_eq_u16_e64 s1, 0, v82
	v_cmp_eq_u16_e64 s2, 0, v81
	v_cmp_eq_u16_e64 s3, 0, v80
	v_cmp_eq_u16_e64 s4, 0, v78
	v_cmp_eq_u16_e64 s5, 0, v79
	v_dual_cndmask_b32 v5, 0, v3, s1 :: v_dual_cndmask_b32 v4, 1, v2, s1
	v_cmp_eq_u16_e64 s6, 0, v77
	v_cmp_eq_u16_e64 s7, 0, v76
	v_cmp_eq_u16_e64 s8, 0, v74
	v_cmp_eq_u16_e64 s9, 0, v75
	v_mul_u64_e32 v[34:35], v[4:5], v[6:7]
	v_cmp_eq_u16_e64 s10, 0, v73
	v_cmp_eq_u16_e64 s11, 0, v72
	;; [unrolled: 1-line block ×4, first 2 shown]
	v_cmp_ne_u16_e64 s18, 0, v69
	v_cmp_eq_u32_e64 s19, 1, v61
	v_cmp_ne_u16_e64 s17, 0, v67
	v_cmp_eq_u32_e64 s20, 1, v60
	v_cmp_ne_u16_e64 s21, 0, v70
	v_cmp_ne_u16_e64 s15, 0, v66
	v_cmp_eq_u32_e64 s16, 1, v62
	s_or_b32 s18, s18, s19
	v_cmp_eq_u32_e64 s14, 1, v63
	s_or_b32 s17, s17, s20
	s_or_b32 s18, s21, s18
	;; [unrolled: 1-line block ×4, first 2 shown]
	s_delay_alu instid0(SALU_CYCLE_1) | instskip(SKIP_2) | instid1(VALU_DEP_1)
	s_or_b32 s15, s16, s15
	s_mov_b32 s16, exec_lo
	v_dual_cndmask_b32 v5, 0, v35, s2 :: v_dual_cndmask_b32 v4, 1, v34, s2
	v_mul_u64_e32 v[36:37], v[4:5], v[12:13]
	s_delay_alu instid0(VALU_DEP_1) | instskip(NEXT) | instid1(VALU_DEP_1)
	v_dual_cndmask_b32 v5, 0, v37, s3 :: v_dual_cndmask_b32 v4, 1, v36, s3
	v_mul_u64_e32 v[38:39], v[4:5], v[10:11]
	s_delay_alu instid0(VALU_DEP_1) | instskip(NEXT) | instid1(VALU_DEP_1)
	;; [unrolled: 3-line block ×11, first 2 shown]
	v_dual_cndmask_b32 v5, 0, v57, s13 :: v_dual_cndmask_b32 v4, 1, v56, s13
	v_mul_u64_e32 v[58:59], v[4:5], v[8:9]
	v_bitop3_b16 v4, v1, 0xff, v88 bitop3:0xc8
	v_and_b32_e32 v5, 0x70, v68
	s_delay_alu instid0(VALU_DEP_2) | instskip(NEXT) | instid1(VALU_DEP_2)
	v_cmp_ne_u16_e64 s22, 0, v4
	v_lshl_add_u32 v4, v0, 4, v5
	s_or_b32 s14, s22, s14
	s_delay_alu instid0(SALU_CYCLE_1) | instskip(NEXT) | instid1(SALU_CYCLE_1)
	s_or_b32 s14, s15, s14
	v_cndmask_b32_e64 v33, 0, 1, s14
	ds_store_b64 v4, v[58:59]
	ds_store_b8 v4, v33 offset:8
	s_wait_dscnt 0x0
	s_barrier_signal -1
	s_barrier_wait -1
	v_cmpx_gt_u32_e32 32, v0
	s_cbranch_execz .LBB47_222
; %bb.211:
	v_dual_lshlrev_b32 v4, 2, v0 :: v_dual_lshlrev_b32 v5, 7, v0
	s_delay_alu instid0(VALU_DEP_1) | instskip(NEXT) | instid1(VALU_DEP_1)
	v_and_b32_e32 v4, 0x3f0, v4
	v_add_nc_u32_e32 v32, v4, v5
	ds_load_u8 v61, v32 offset:24
	ds_load_b64 v[4:5], v32
	ds_load_2addr_b64 v[66:69], v32 offset0:2 offset1:4
	ds_load_b32 v60, v32 offset:8
	ds_load_u8 v65, v32 offset:40
	ds_load_u8 v70, v32 offset:56
	;; [unrolled: 1-line block ×5, first 2 shown]
	s_wait_dscnt 0x8
	v_cmp_eq_u16_e64 s14, 0, v61
	s_wait_dscnt 0x7
	s_delay_alu instid0(VALU_DEP_1)
	v_dual_cndmask_b32 v21, 0, v5, s14 :: v_dual_cndmask_b32 v20, 1, v4, s14
	s_wait_dscnt 0x4
	v_cmp_eq_u16_e64 s14, 0, v65
	s_wait_dscnt 0x3
	v_bitop3_b16 v61, v65, v70, v61 bitop3:0xfe
	s_wait_dscnt 0x0
	v_bitop3_b16 v65, v72, v73, v71 bitop3:0xfe
	v_mul_u64_e32 v[20:21], v[20:21], v[66:67]
	s_delay_alu instid0(VALU_DEP_1) | instskip(SKIP_1) | instid1(VALU_DEP_2)
	v_dual_cndmask_b32 v21, 0, v21, s14 :: v_dual_cndmask_b32 v20, 1, v20, s14
	v_cmp_eq_u16_e64 s14, 0, v70
	v_mul_u64_e32 v[20:21], v[20:21], v[68:69]
	ds_load_2addr_b64 v[66:69], v32 offset0:6 offset1:8
	v_dual_cndmask_b32 v21, 0, v21, s14 :: v_dual_cndmask_b32 v20, 1, v20, s14
	v_cmp_eq_u16_e64 s14, 0, v71
	s_wait_dscnt 0x0
	s_delay_alu instid0(VALU_DEP_2) | instskip(NEXT) | instid1(VALU_DEP_1)
	v_mul_u64_e32 v[20:21], v[20:21], v[66:67]
	v_dual_cndmask_b32 v21, 0, v21, s14 :: v_dual_cndmask_b32 v20, 1, v20, s14
	v_cmp_eq_u16_e64 s14, 0, v72
	s_delay_alu instid0(VALU_DEP_2) | instskip(SKIP_4) | instid1(VALU_DEP_2)
	v_mul_u64_e32 v[20:21], v[20:21], v[68:69]
	ds_load_2addr_b64 v[66:69], v32 offset0:10 offset1:12
	v_dual_cndmask_b32 v21, 0, v21, s14 :: v_dual_cndmask_b32 v20, 1, v20, s14
	v_cmp_eq_u16_e64 s14, 0, v73
	s_wait_dscnt 0x0
	v_mul_u64_e32 v[20:21], v[20:21], v[66:67]
	ds_load_u8 v66, v32 offset:120
	ds_load_b64 v[62:63], v32 offset:112
	s_wait_dscnt 0x1
	v_bitop3_b16 v61, v66, v61, v65 bitop3:0xfe
	s_delay_alu instid0(VALU_DEP_1) | instskip(NEXT) | instid1(VALU_DEP_1)
	v_and_b32_e32 v61, 1, v61
	v_cmp_eq_u32_e64 s15, 1, v61
	v_and_b32_e32 v61, 0xffffff00, v60
	v_dual_cndmask_b32 v21, 0, v21, s14 :: v_dual_cndmask_b32 v20, 1, v20, s14
	v_cmp_eq_u16_e64 s14, 0, v66
	s_delay_alu instid0(VALU_DEP_2) | instskip(NEXT) | instid1(VALU_DEP_1)
	v_mul_u64_e32 v[20:21], v[20:21], v[68:69]
	v_dual_cndmask_b32 v21, 0, v21, s14 :: v_dual_cndmask_b32 v20, 1, v20, s14
	s_wait_dscnt 0x0
	s_delay_alu instid0(VALU_DEP_1) | instskip(SKIP_1) | instid1(VALU_DEP_1)
	v_mul_u64_e32 v[20:21], v[20:21], v[62:63]
	v_and_b32_e32 v62, 1, v60
	v_cmp_eq_u32_e64 s14, 1, v62
	v_mbcnt_lo_u32_b32 v62, -1, 0
	s_or_b32 s17, s15, s14
	s_mov_b32 s15, exec_lo
	v_cndmask_b32_e64 v65, 0, 1, s17
	v_cndmask_b32_e64 v63, 0, 1, s17
	s_delay_alu instid0(VALU_DEP_2) | instskip(SKIP_1) | instid1(VALU_DEP_2)
	v_or_b32_e32 v66, v61, v65
	v_and_b32_e32 v65, 15, v62
	v_mov_b32_dpp v67, v66 row_shr:1 row_mask:0xf bank_mask:0xf
	v_mov_b32_dpp v68, v20 row_shr:1 row_mask:0xf bank_mask:0xf
	;; [unrolled: 1-line block ×3, first 2 shown]
	s_delay_alu instid0(VALU_DEP_4)
	v_cmpx_ne_u32_e32 0, v65
	s_cbranch_execz .LBB47_213
; %bb.212:
	s_delay_alu instid0(VALU_DEP_2) | instskip(SKIP_2) | instid1(VALU_DEP_2)
	v_cndmask_b32_e64 v69, v69, 0, s17
	v_cndmask_b32_e64 v68, v68, 1, s17
	v_bitop3_b16 v63, v67, v63, 1 bitop3:0xec
	v_mul_u64_e32 v[20:21], v[68:69], v[20:21]
	s_delay_alu instid0(VALU_DEP_2) | instskip(NEXT) | instid1(VALU_DEP_1)
	v_and_b32_e32 v66, 0xffff, v63
	v_or_b32_e32 v66, v61, v66
.LBB47_213:
	s_or_b32 exec_lo, exec_lo, s15
	s_delay_alu instid0(VALU_DEP_3) | instskip(NEXT) | instid1(VALU_DEP_4)
	v_mov_b32_dpp v68, v20 row_shr:2 row_mask:0xf bank_mask:0xf
	v_mov_b32_dpp v69, v21 row_shr:2 row_mask:0xf bank_mask:0xf
	s_delay_alu instid0(VALU_DEP_3)
	v_mov_b32_dpp v67, v66 row_shr:2 row_mask:0xf bank_mask:0xf
	s_mov_b32 s17, exec_lo
	v_cmpx_lt_u32_e32 1, v65
	s_cbranch_execz .LBB47_215
; %bb.214:
	v_cmp_eq_u16_e64 s14, 0, v63
	v_and_b32_e32 v63, 1, v63
	s_delay_alu instid0(VALU_DEP_2) | instskip(SKIP_1) | instid1(VALU_DEP_3)
	v_dual_cndmask_b32 v69, 0, v69, s14 :: v_dual_bitop2_b32 v66, 1, v67 bitop3:0x40
	v_cndmask_b32_e64 v68, 1, v68, s14
	v_cmp_eq_u32_e64 s14, 1, v63
	s_delay_alu instid0(VALU_DEP_3) | instskip(NEXT) | instid1(VALU_DEP_3)
	v_cmp_eq_u32_e64 s15, 1, v66
	v_mul_u64_e32 v[20:21], v[68:69], v[20:21]
	s_or_b32 s14, s14, s15
	s_delay_alu instid0(SALU_CYCLE_1) | instskip(SKIP_1) | instid1(VALU_DEP_2)
	v_cndmask_b32_e64 v66, 0, 1, s14
	v_cndmask_b32_e64 v63, 0, 1, s14
	v_or_b32_e32 v66, v61, v66
.LBB47_215:
	s_or_b32 exec_lo, exec_lo, s17
	s_delay_alu instid0(VALU_DEP_4) | instskip(SKIP_1) | instid1(VALU_DEP_3)
	v_mov_b32_dpp v68, v20 row_shr:4 row_mask:0xf bank_mask:0xf
	v_mov_b32_dpp v69, v21 row_shr:4 row_mask:0xf bank_mask:0xf
	;; [unrolled: 1-line block ×3, first 2 shown]
	s_mov_b32 s17, exec_lo
	v_cmpx_lt_u32_e32 3, v65
	s_cbranch_execz .LBB47_217
; %bb.216:
	v_cmp_eq_u16_e64 s14, 0, v63
	v_and_b32_e32 v63, 1, v63
	s_delay_alu instid0(VALU_DEP_2) | instskip(SKIP_1) | instid1(VALU_DEP_3)
	v_dual_cndmask_b32 v69, 0, v69, s14 :: v_dual_bitop2_b32 v66, 1, v67 bitop3:0x40
	v_cndmask_b32_e64 v68, 1, v68, s14
	v_cmp_eq_u32_e64 s14, 1, v63
	s_delay_alu instid0(VALU_DEP_3) | instskip(NEXT) | instid1(VALU_DEP_3)
	v_cmp_eq_u32_e64 s15, 1, v66
	v_mul_u64_e32 v[20:21], v[68:69], v[20:21]
	s_or_b32 s14, s14, s15
	s_delay_alu instid0(SALU_CYCLE_1) | instskip(SKIP_1) | instid1(VALU_DEP_2)
	v_cndmask_b32_e64 v66, 0, 1, s14
	v_cndmask_b32_e64 v63, 0, 1, s14
	v_or_b32_e32 v66, v61, v66
.LBB47_217:
	s_or_b32 exec_lo, exec_lo, s17
	s_delay_alu instid0(VALU_DEP_4) | instskip(SKIP_1) | instid1(VALU_DEP_3)
	v_mov_b32_dpp v68, v20 row_shr:8 row_mask:0xf bank_mask:0xf
	v_mov_b32_dpp v69, v21 row_shr:8 row_mask:0xf bank_mask:0xf
	;; [unrolled: 1-line block ×3, first 2 shown]
	s_mov_b32 s17, exec_lo
	v_cmpx_lt_u32_e32 7, v65
	s_cbranch_execz .LBB47_219
; %bb.218:
	v_cmp_eq_u16_e64 s14, 0, v63
	v_and_b32_e32 v63, 1, v63
	s_delay_alu instid0(VALU_DEP_2) | instskip(SKIP_1) | instid1(VALU_DEP_3)
	v_dual_cndmask_b32 v69, 0, v69, s14 :: v_dual_bitop2_b32 v65, 1, v67 bitop3:0x40
	v_cndmask_b32_e64 v68, 1, v68, s14
	v_cmp_eq_u32_e64 s14, 1, v63
	s_delay_alu instid0(VALU_DEP_3) | instskip(NEXT) | instid1(VALU_DEP_3)
	v_cmp_eq_u32_e64 s15, 1, v65
	v_mul_u64_e32 v[20:21], v[68:69], v[20:21]
	s_or_b32 s14, s14, s15
	s_delay_alu instid0(SALU_CYCLE_1) | instskip(SKIP_1) | instid1(VALU_DEP_2)
	v_cndmask_b32_e64 v65, 0, 1, s14
	v_cndmask_b32_e64 v63, 0, 1, s14
	v_or_b32_e32 v66, v61, v65
.LBB47_219:
	s_or_b32 exec_lo, exec_lo, s17
	ds_swizzle_b32 v67, v20 offset:swizzle(BROADCAST,32,15)
	ds_swizzle_b32 v68, v21 offset:swizzle(BROADCAST,32,15)
	;; [unrolled: 1-line block ×3, first 2 shown]
	v_and_b32_e32 v66, 16, v62
	s_mov_b32 s17, exec_lo
	s_delay_alu instid0(VALU_DEP_1)
	v_cmpx_ne_u32_e32 0, v66
	s_cbranch_execz .LBB47_221
; %bb.220:
	v_cmp_eq_u16_e64 s14, 0, v63
	v_and_b32_e32 v63, 1, v63
	s_wait_dscnt 0x0
	s_delay_alu instid0(VALU_DEP_2) | instskip(SKIP_1) | instid1(VALU_DEP_3)
	v_dual_cndmask_b32 v69, 0, v68, s14 :: v_dual_bitop2_b32 v65, 1, v65 bitop3:0x40
	v_cndmask_b32_e64 v68, 1, v67, s14
	v_cmp_eq_u32_e64 s14, 1, v63
	s_delay_alu instid0(VALU_DEP_3) | instskip(NEXT) | instid1(VALU_DEP_3)
	v_cmp_eq_u32_e64 s15, 1, v65
	v_mul_u64_e32 v[20:21], v[68:69], v[20:21]
	s_or_b32 s14, s14, s15
	s_delay_alu instid0(SALU_CYCLE_1)
	v_cndmask_b32_e64 v63, 0, 1, s14
.LBB47_221:
	s_or_b32 exec_lo, exec_lo, s17
	s_wait_dscnt 0x0
	v_add_nc_u32_e32 v65, -1, v62
	s_delay_alu instid0(VALU_DEP_2) | instskip(NEXT) | instid1(VALU_DEP_2)
	v_and_b32_e32 v63, 0xffff, v63
	; wave barrier
	v_cmp_gt_i32_e64 s14, 0, v65
	s_delay_alu instid0(VALU_DEP_2) | instskip(NEXT) | instid1(VALU_DEP_2)
	v_or_b32_e32 v61, v61, v63
	v_cndmask_b32_e64 v62, v65, v62, s14
	v_and_b32_e32 v65, 0xff, v60
	s_delay_alu instid0(VALU_DEP_2) | instskip(NEXT) | instid1(VALU_DEP_2)
	v_lshlrev_b32_e32 v62, 2, v62
	v_cmp_eq_u32_e64 s14, 0, v65
	ds_bpermute_b32 v21, v62, v21
	ds_bpermute_b32 v20, v62, v20
	s_wait_dscnt 0x0
	v_dual_cndmask_b32 v21, 0, v21, s14 :: v_dual_cndmask_b32 v20, 1, v20, s14
	s_delay_alu instid0(VALU_DEP_1) | instskip(SKIP_3) | instid1(VALU_DEP_1)
	v_mul_u64_e32 v[4:5], v[20:21], v[4:5]
	ds_bpermute_b32 v20, v62, v61
	s_wait_dscnt 0x0
	v_dual_cndmask_b32 v5, v5, v59, vcc_lo :: v_dual_bitop2_b32 v20, v20, v60 bitop3:0x54
	v_dual_cndmask_b32 v4, v4, v58, vcc_lo :: v_dual_bitop2_b32 v20, 1, v20 bitop3:0x40
	s_delay_alu instid0(VALU_DEP_1)
	v_cndmask_b32_e32 v33, v20, v33, vcc_lo
	ds_store_b64 v32, v[4:5]
	ds_store_b8 v32, v33 offset:8
	; wave barrier
	ds_load_u8 v65, v32 offset:24
	ds_load_2addr_b64 v[60:63], v32 offset0:2 offset1:4
	ds_load_u8 v74, v32 offset:40
	ds_load_u8 v75, v32 offset:56
	;; [unrolled: 1-line block ×5, first 2 shown]
	ds_load_b64 v[20:21], v32 offset:112
	ds_load_u8 v79, v32 offset:120
	s_wait_dscnt 0x8
	v_and_b32_e32 v66, 0xff, v65
	s_wait_dscnt 0x5
	v_and_b32_e32 v68, 0xff, v75
	s_delay_alu instid0(VALU_DEP_2) | instskip(SKIP_2) | instid1(VALU_DEP_2)
	v_cmp_eq_u16_e64 s14, 0, v66
	s_wait_dscnt 0x3
	v_and_b32_e32 v72, 0xff, v77
	v_dual_cndmask_b32 v5, 0, v5, s14 :: v_dual_cndmask_b32 v4, 1, v4, s14
	s_delay_alu instid0(VALU_DEP_1) | instskip(SKIP_1) | instid1(VALU_DEP_1)
	v_mul_u64_e32 v[4:5], v[4:5], v[60:61]
	v_and_b32_e32 v60, 0xff, v74
	v_cmp_eq_u16_e64 s14, 0, v60
	s_delay_alu instid0(VALU_DEP_1) | instskip(SKIP_1) | instid1(VALU_DEP_2)
	v_dual_cndmask_b32 v61, 0, v5, s14 :: v_dual_cndmask_b32 v60, 1, v4, s14
	v_cmp_eq_u16_e64 s14, 0, v68
	v_mul_u64_e32 v[66:67], v[60:61], v[62:63]
	ds_load_2addr_b64 v[60:63], v32 offset0:6 offset1:8
	v_dual_cndmask_b32 v69, 0, v67, s14 :: v_dual_cndmask_b32 v68, 1, v66, s14
	s_wait_dscnt 0x0
	s_delay_alu instid0(VALU_DEP_1) | instskip(SKIP_1) | instid1(VALU_DEP_1)
	v_mul_u64_e32 v[68:69], v[68:69], v[60:61]
	v_and_b32_e32 v60, 0xff, v76
	v_cmp_eq_u16_e64 s14, 0, v60
	s_delay_alu instid0(VALU_DEP_1) | instskip(SKIP_1) | instid1(VALU_DEP_2)
	v_dual_cndmask_b32 v61, 0, v69, s14 :: v_dual_cndmask_b32 v60, 1, v68, s14
	v_cmp_eq_u16_e64 s14, 0, v72
	v_mul_u64_e32 v[70:71], v[60:61], v[62:63]
	ds_load_2addr_b64 v[60:63], v32 offset0:10 offset1:12
	v_dual_cndmask_b32 v73, 0, v71, s14 :: v_dual_cndmask_b32 v72, 1, v70, s14
	s_wait_dscnt 0x0
	s_delay_alu instid0(VALU_DEP_1) | instskip(SKIP_1) | instid1(VALU_DEP_1)
	v_mul_u64_e32 v[60:61], v[72:73], v[60:61]
	v_and_b32_e32 v72, 0xff, v78
	v_cmp_eq_u16_e64 s14, 0, v72
	s_delay_alu instid0(VALU_DEP_1) | instskip(SKIP_1) | instid1(VALU_DEP_2)
	v_dual_cndmask_b32 v73, 0, v61, s14 :: v_dual_cndmask_b32 v72, 1, v60, s14
	v_cmp_eq_u16_e64 s14, 0, v79
	v_mul_u64_e32 v[62:63], v[72:73], v[62:63]
	s_delay_alu instid0(VALU_DEP_1) | instskip(NEXT) | instid1(VALU_DEP_1)
	v_dual_cndmask_b32 v73, 0, v63, s14 :: v_dual_cndmask_b32 v72, 1, v62, s14
	v_mul_u64_e32 v[20:21], v[72:73], v[20:21]
	v_or_b32_e32 v72, v65, v33
	v_bitop3_b16 v73, v74, v65, v33 bitop3:0xfe
	v_bitop3_b16 v33, v65, 1, v33 bitop3:0xc8
	s_delay_alu instid0(VALU_DEP_3) | instskip(NEXT) | instid1(VALU_DEP_3)
	v_bitop3_b16 v80, v75, v74, v72 bitop3:0xfe
	v_bitop3_b16 v81, v76, v75, v73 bitop3:0xfe
	;; [unrolled: 1-line block ×4, first 2 shown]
	s_delay_alu instid0(VALU_DEP_4) | instskip(NEXT) | instid1(VALU_DEP_4)
	v_bitop3_b16 v72, v77, v76, v80 bitop3:0xfe
	v_bitop3_b16 v74, v78, v77, v81 bitop3:0xfe
	;; [unrolled: 1-line block ×4, first 2 shown]
	s_delay_alu instid0(VALU_DEP_4) | instskip(NEXT) | instid1(VALU_DEP_4)
	v_bitop3_b16 v72, v78, 1, v72 bitop3:0xc8
	v_bitop3_b16 v74, v79, 1, v74 bitop3:0xc8
	ds_store_2addr_b64 v32, v[4:5], v[66:67] offset0:2 offset1:4
	ds_store_2addr_b64 v32, v[68:69], v[70:71] offset0:6 offset1:8
	;; [unrolled: 1-line block ×3, first 2 shown]
	ds_store_b8 v32, v33 offset:24
	ds_store_b8 v32, v65 offset:40
	;; [unrolled: 1-line block ×6, first 2 shown]
	ds_store_b64 v32, v[20:21] offset:112
	ds_store_b8 v32, v74 offset:120
.LBB47_222:
	s_or_b32 exec_lo, exec_lo, s16
	s_wait_dscnt 0x0
	s_barrier_signal -1
	s_barrier_wait -1
	s_and_saveexec_b32 s14, s0
	s_cbranch_execz .LBB47_224
; %bb.223:
	v_and_b32_e32 v1, 0xff, v1
	s_delay_alu instid0(VALU_DEP_1) | instskip(SKIP_1) | instid1(VALU_DEP_1)
	v_cmp_eq_u16_e64 s0, 0, v1
	v_add_nc_u32_e32 v4, -1, v0
	v_lshrrev_b32_e32 v5, 1, v4
	s_delay_alu instid0(VALU_DEP_1) | instskip(NEXT) | instid1(VALU_DEP_1)
	v_and_b32_e32 v5, 0x7ffffff0, v5
	v_lshl_add_u32 v4, v4, 4, v5
	ds_load_b64 v[4:5], v4
	;;#ASMSTART
	;;#ASMEND
	s_wait_dscnt 0x0
	v_dual_cndmask_b32 v5, 0, v5, s0 :: v_dual_cndmask_b32 v4, 1, v4, s0
	s_delay_alu instid0(VALU_DEP_1) | instskip(NEXT) | instid1(VALU_DEP_1)
	v_mul_u64_e32 v[2:3], v[4:5], v[2:3]
	v_dual_cndmask_b32 v5, 0, v3, s1 :: v_dual_cndmask_b32 v4, 1, v2, s1
	s_delay_alu instid0(VALU_DEP_1) | instskip(NEXT) | instid1(VALU_DEP_1)
	v_mul_u64_e32 v[34:35], v[4:5], v[6:7]
	;; [unrolled: 3-line block ×13, first 2 shown]
	v_dual_cndmask_b32 v5, 0, v57, s13 :: v_dual_cndmask_b32 v4, 1, v56, s13
	s_delay_alu instid0(VALU_DEP_1)
	v_mul_u64_e32 v[58:59], v[4:5], v[8:9]
.LBB47_224:
	s_or_b32 exec_lo, exec_lo, s14
	s_and_saveexec_b32 s0, vcc_lo
	s_cbranch_execz .LBB47_226
; %bb.225:
	v_dual_mov_b32 v1, 0 :: v_dual_mov_b32 v7, 2
	ds_load_b64 v[4:5], v1 offset:4192
	ds_load_u8 v6, v1 offset:4200
	s_wait_dscnt 0x1
	global_store_b64 v1, v[4:5], s[38:39] offset:512
	s_wait_dscnt 0x0
	global_store_b8 v1, v6, s[38:39] offset:520
	global_wb scope:SCOPE_DEV
	s_wait_storecnt 0x0
	global_inv scope:SCOPE_DEV
	s_wait_xcnt 0x0
	global_store_b8 v1, v7, s[40:41] offset:32 scope:SCOPE_DEV
.LBB47_226:
	s_wait_xcnt 0x0
	s_or_b32 exec_lo, exec_lo, s0
	v_mov_b64_e32 v[32:33], v[2:3]
	s_add_nc_u64 s[0:1], s[26:27], s[34:35]
	s_and_b32 vcc_lo, exec_lo, s23
	s_add_nc_u64 s[0:1], s[0:1], s[24:25]
	s_cbranch_vccnz .LBB47_154
.LBB47_227:
	s_mov_b32 s2, 0
                                        ; implicit-def: $vgpr4_vgpr5
	s_cbranch_execz .LBB47_229
; %bb.228:
	v_mul_u32_u24_e32 v1, 0x70, v0
	v_mul_i32_i24_e32 v2, 0xffffff98, v0
	s_wait_storecnt 0x0
	s_wait_loadcnt_dscnt 0x0
	s_barrier_signal -1
	s_barrier_wait -1
	ds_store_b128 v1, v[32:35]
	ds_store_b128 v1, v[36:39] offset:16
	ds_store_b128 v1, v[40:43] offset:32
	;; [unrolled: 1-line block ×6, first 2 shown]
	v_mad_u32_u24 v1, 0x70, v0, v2
	s_wait_dscnt 0x0
	s_barrier_signal -1
	s_barrier_wait -1
	ds_load_2addr_stride64_b64 v[6:9], v1 offset1:4
	ds_load_2addr_stride64_b64 v[10:13], v1 offset0:8 offset1:12
	ds_load_2addr_stride64_b64 v[14:17], v1 offset0:16 offset1:20
	;; [unrolled: 1-line block ×6, first 2 shown]
	s_or_b32 s2, s2, exec_lo
	s_wait_dscnt 0x6
	s_clause 0x1
	flat_store_b64 v0, v[6:7], s[0:1] scale_offset
	flat_store_b64 v0, v[8:9], s[0:1] offset:2048 scale_offset
	s_wait_dscnt 0x7
	s_clause 0x1
	flat_store_b64 v0, v[10:11], s[0:1] offset:4096 scale_offset
	flat_store_b64 v0, v[12:13], s[0:1] offset:6144 scale_offset
	s_wait_dscnt 0x8
	s_clause 0x1
	flat_store_b64 v0, v[14:15], s[0:1] offset:8192 scale_offset
	flat_store_b64 v0, v[16:17], s[0:1] offset:10240 scale_offset
	s_wait_dscnt 0x9
	s_clause 0x1
	flat_store_b64 v0, v[18:19], s[0:1] offset:12288 scale_offset
	flat_store_b64 v0, v[20:21], s[0:1] offset:14336 scale_offset
	s_wait_dscnt 0xa
	s_clause 0x1
	flat_store_b64 v0, v[22:23], s[0:1] offset:16384 scale_offset
	flat_store_b64 v0, v[24:25], s[0:1] offset:18432 scale_offset
	s_wait_dscnt 0xb
	s_clause 0x1
	flat_store_b64 v0, v[26:27], s[0:1] offset:20480 scale_offset
	flat_store_b64 v0, v[28:29], s[0:1] offset:22528 scale_offset
	s_wait_dscnt 0xc
	flat_store_b64 v0, v[2:3], s[0:1] offset:24576 scale_offset
.LBB47_229:
	s_wait_xcnt 0x0
	s_delay_alu instid0(VALU_DEP_1)
	s_and_saveexec_b32 s3, s2
	s_cbranch_execnz .LBB47_231
; %bb.230:
	s_sendmsg sendmsg(MSG_DEALLOC_VGPRS)
	s_endpgm
.LBB47_231:
	s_wait_dscnt 0x0
	flat_store_b64 v0, v[4:5], s[0:1] offset:26624 scale_offset
	s_sendmsg sendmsg(MSG_DEALLOC_VGPRS)
	s_endpgm
	.section	.rodata,"a",@progbits
	.p2align	6, 0x0
	.amdhsa_kernel _ZN7rocprim17ROCPRIM_400000_NS6detail17trampoline_kernelINS0_14default_configENS1_27scan_by_key_config_selectorIxxEEZZNS1_16scan_by_key_implILNS1_25lookback_scan_determinismE0ELb0ES3_N6thrust23THRUST_200600_302600_NS6detail15normal_iteratorINS9_10device_ptrIxEEEESE_SE_xNS9_10multipliesIxEENS9_8equal_toIxEExEE10hipError_tPvRmT2_T3_T4_T5_mT6_T7_P12ihipStream_tbENKUlT_T0_E_clISt17integral_constantIbLb0EESZ_EEDaSU_SV_EUlSU_E_NS1_11comp_targetILNS1_3genE0ELNS1_11target_archE4294967295ELNS1_3gpuE0ELNS1_3repE0EEENS1_30default_config_static_selectorELNS0_4arch9wavefront6targetE0EEEvT1_
		.amdhsa_group_segment_fixed_size 32768
		.amdhsa_private_segment_fixed_size 0
		.amdhsa_kernarg_size 136
		.amdhsa_user_sgpr_count 2
		.amdhsa_user_sgpr_dispatch_ptr 0
		.amdhsa_user_sgpr_queue_ptr 0
		.amdhsa_user_sgpr_kernarg_segment_ptr 1
		.amdhsa_user_sgpr_dispatch_id 0
		.amdhsa_user_sgpr_kernarg_preload_length 0
		.amdhsa_user_sgpr_kernarg_preload_offset 0
		.amdhsa_user_sgpr_private_segment_size 0
		.amdhsa_wavefront_size32 1
		.amdhsa_uses_dynamic_stack 0
		.amdhsa_enable_private_segment 0
		.amdhsa_system_sgpr_workgroup_id_x 1
		.amdhsa_system_sgpr_workgroup_id_y 0
		.amdhsa_system_sgpr_workgroup_id_z 0
		.amdhsa_system_sgpr_workgroup_info 0
		.amdhsa_system_vgpr_workitem_id 0
		.amdhsa_next_free_vgpr 111
		.amdhsa_next_free_sgpr 52
		.amdhsa_named_barrier_count 0
		.amdhsa_reserve_vcc 1
		.amdhsa_float_round_mode_32 0
		.amdhsa_float_round_mode_16_64 0
		.amdhsa_float_denorm_mode_32 3
		.amdhsa_float_denorm_mode_16_64 3
		.amdhsa_fp16_overflow 0
		.amdhsa_memory_ordered 1
		.amdhsa_forward_progress 1
		.amdhsa_inst_pref_size 124
		.amdhsa_round_robin_scheduling 0
		.amdhsa_exception_fp_ieee_invalid_op 0
		.amdhsa_exception_fp_denorm_src 0
		.amdhsa_exception_fp_ieee_div_zero 0
		.amdhsa_exception_fp_ieee_overflow 0
		.amdhsa_exception_fp_ieee_underflow 0
		.amdhsa_exception_fp_ieee_inexact 0
		.amdhsa_exception_int_div_zero 0
	.end_amdhsa_kernel
	.section	.text._ZN7rocprim17ROCPRIM_400000_NS6detail17trampoline_kernelINS0_14default_configENS1_27scan_by_key_config_selectorIxxEEZZNS1_16scan_by_key_implILNS1_25lookback_scan_determinismE0ELb0ES3_N6thrust23THRUST_200600_302600_NS6detail15normal_iteratorINS9_10device_ptrIxEEEESE_SE_xNS9_10multipliesIxEENS9_8equal_toIxEExEE10hipError_tPvRmT2_T3_T4_T5_mT6_T7_P12ihipStream_tbENKUlT_T0_E_clISt17integral_constantIbLb0EESZ_EEDaSU_SV_EUlSU_E_NS1_11comp_targetILNS1_3genE0ELNS1_11target_archE4294967295ELNS1_3gpuE0ELNS1_3repE0EEENS1_30default_config_static_selectorELNS0_4arch9wavefront6targetE0EEEvT1_,"axG",@progbits,_ZN7rocprim17ROCPRIM_400000_NS6detail17trampoline_kernelINS0_14default_configENS1_27scan_by_key_config_selectorIxxEEZZNS1_16scan_by_key_implILNS1_25lookback_scan_determinismE0ELb0ES3_N6thrust23THRUST_200600_302600_NS6detail15normal_iteratorINS9_10device_ptrIxEEEESE_SE_xNS9_10multipliesIxEENS9_8equal_toIxEExEE10hipError_tPvRmT2_T3_T4_T5_mT6_T7_P12ihipStream_tbENKUlT_T0_E_clISt17integral_constantIbLb0EESZ_EEDaSU_SV_EUlSU_E_NS1_11comp_targetILNS1_3genE0ELNS1_11target_archE4294967295ELNS1_3gpuE0ELNS1_3repE0EEENS1_30default_config_static_selectorELNS0_4arch9wavefront6targetE0EEEvT1_,comdat
.Lfunc_end47:
	.size	_ZN7rocprim17ROCPRIM_400000_NS6detail17trampoline_kernelINS0_14default_configENS1_27scan_by_key_config_selectorIxxEEZZNS1_16scan_by_key_implILNS1_25lookback_scan_determinismE0ELb0ES3_N6thrust23THRUST_200600_302600_NS6detail15normal_iteratorINS9_10device_ptrIxEEEESE_SE_xNS9_10multipliesIxEENS9_8equal_toIxEExEE10hipError_tPvRmT2_T3_T4_T5_mT6_T7_P12ihipStream_tbENKUlT_T0_E_clISt17integral_constantIbLb0EESZ_EEDaSU_SV_EUlSU_E_NS1_11comp_targetILNS1_3genE0ELNS1_11target_archE4294967295ELNS1_3gpuE0ELNS1_3repE0EEENS1_30default_config_static_selectorELNS0_4arch9wavefront6targetE0EEEvT1_, .Lfunc_end47-_ZN7rocprim17ROCPRIM_400000_NS6detail17trampoline_kernelINS0_14default_configENS1_27scan_by_key_config_selectorIxxEEZZNS1_16scan_by_key_implILNS1_25lookback_scan_determinismE0ELb0ES3_N6thrust23THRUST_200600_302600_NS6detail15normal_iteratorINS9_10device_ptrIxEEEESE_SE_xNS9_10multipliesIxEENS9_8equal_toIxEExEE10hipError_tPvRmT2_T3_T4_T5_mT6_T7_P12ihipStream_tbENKUlT_T0_E_clISt17integral_constantIbLb0EESZ_EEDaSU_SV_EUlSU_E_NS1_11comp_targetILNS1_3genE0ELNS1_11target_archE4294967295ELNS1_3gpuE0ELNS1_3repE0EEENS1_30default_config_static_selectorELNS0_4arch9wavefront6targetE0EEEvT1_
                                        ; -- End function
	.set _ZN7rocprim17ROCPRIM_400000_NS6detail17trampoline_kernelINS0_14default_configENS1_27scan_by_key_config_selectorIxxEEZZNS1_16scan_by_key_implILNS1_25lookback_scan_determinismE0ELb0ES3_N6thrust23THRUST_200600_302600_NS6detail15normal_iteratorINS9_10device_ptrIxEEEESE_SE_xNS9_10multipliesIxEENS9_8equal_toIxEExEE10hipError_tPvRmT2_T3_T4_T5_mT6_T7_P12ihipStream_tbENKUlT_T0_E_clISt17integral_constantIbLb0EESZ_EEDaSU_SV_EUlSU_E_NS1_11comp_targetILNS1_3genE0ELNS1_11target_archE4294967295ELNS1_3gpuE0ELNS1_3repE0EEENS1_30default_config_static_selectorELNS0_4arch9wavefront6targetE0EEEvT1_.num_vgpr, 111
	.set _ZN7rocprim17ROCPRIM_400000_NS6detail17trampoline_kernelINS0_14default_configENS1_27scan_by_key_config_selectorIxxEEZZNS1_16scan_by_key_implILNS1_25lookback_scan_determinismE0ELb0ES3_N6thrust23THRUST_200600_302600_NS6detail15normal_iteratorINS9_10device_ptrIxEEEESE_SE_xNS9_10multipliesIxEENS9_8equal_toIxEExEE10hipError_tPvRmT2_T3_T4_T5_mT6_T7_P12ihipStream_tbENKUlT_T0_E_clISt17integral_constantIbLb0EESZ_EEDaSU_SV_EUlSU_E_NS1_11comp_targetILNS1_3genE0ELNS1_11target_archE4294967295ELNS1_3gpuE0ELNS1_3repE0EEENS1_30default_config_static_selectorELNS0_4arch9wavefront6targetE0EEEvT1_.num_agpr, 0
	.set _ZN7rocprim17ROCPRIM_400000_NS6detail17trampoline_kernelINS0_14default_configENS1_27scan_by_key_config_selectorIxxEEZZNS1_16scan_by_key_implILNS1_25lookback_scan_determinismE0ELb0ES3_N6thrust23THRUST_200600_302600_NS6detail15normal_iteratorINS9_10device_ptrIxEEEESE_SE_xNS9_10multipliesIxEENS9_8equal_toIxEExEE10hipError_tPvRmT2_T3_T4_T5_mT6_T7_P12ihipStream_tbENKUlT_T0_E_clISt17integral_constantIbLb0EESZ_EEDaSU_SV_EUlSU_E_NS1_11comp_targetILNS1_3genE0ELNS1_11target_archE4294967295ELNS1_3gpuE0ELNS1_3repE0EEENS1_30default_config_static_selectorELNS0_4arch9wavefront6targetE0EEEvT1_.numbered_sgpr, 52
	.set _ZN7rocprim17ROCPRIM_400000_NS6detail17trampoline_kernelINS0_14default_configENS1_27scan_by_key_config_selectorIxxEEZZNS1_16scan_by_key_implILNS1_25lookback_scan_determinismE0ELb0ES3_N6thrust23THRUST_200600_302600_NS6detail15normal_iteratorINS9_10device_ptrIxEEEESE_SE_xNS9_10multipliesIxEENS9_8equal_toIxEExEE10hipError_tPvRmT2_T3_T4_T5_mT6_T7_P12ihipStream_tbENKUlT_T0_E_clISt17integral_constantIbLb0EESZ_EEDaSU_SV_EUlSU_E_NS1_11comp_targetILNS1_3genE0ELNS1_11target_archE4294967295ELNS1_3gpuE0ELNS1_3repE0EEENS1_30default_config_static_selectorELNS0_4arch9wavefront6targetE0EEEvT1_.num_named_barrier, 0
	.set _ZN7rocprim17ROCPRIM_400000_NS6detail17trampoline_kernelINS0_14default_configENS1_27scan_by_key_config_selectorIxxEEZZNS1_16scan_by_key_implILNS1_25lookback_scan_determinismE0ELb0ES3_N6thrust23THRUST_200600_302600_NS6detail15normal_iteratorINS9_10device_ptrIxEEEESE_SE_xNS9_10multipliesIxEENS9_8equal_toIxEExEE10hipError_tPvRmT2_T3_T4_T5_mT6_T7_P12ihipStream_tbENKUlT_T0_E_clISt17integral_constantIbLb0EESZ_EEDaSU_SV_EUlSU_E_NS1_11comp_targetILNS1_3genE0ELNS1_11target_archE4294967295ELNS1_3gpuE0ELNS1_3repE0EEENS1_30default_config_static_selectorELNS0_4arch9wavefront6targetE0EEEvT1_.private_seg_size, 0
	.set _ZN7rocprim17ROCPRIM_400000_NS6detail17trampoline_kernelINS0_14default_configENS1_27scan_by_key_config_selectorIxxEEZZNS1_16scan_by_key_implILNS1_25lookback_scan_determinismE0ELb0ES3_N6thrust23THRUST_200600_302600_NS6detail15normal_iteratorINS9_10device_ptrIxEEEESE_SE_xNS9_10multipliesIxEENS9_8equal_toIxEExEE10hipError_tPvRmT2_T3_T4_T5_mT6_T7_P12ihipStream_tbENKUlT_T0_E_clISt17integral_constantIbLb0EESZ_EEDaSU_SV_EUlSU_E_NS1_11comp_targetILNS1_3genE0ELNS1_11target_archE4294967295ELNS1_3gpuE0ELNS1_3repE0EEENS1_30default_config_static_selectorELNS0_4arch9wavefront6targetE0EEEvT1_.uses_vcc, 1
	.set _ZN7rocprim17ROCPRIM_400000_NS6detail17trampoline_kernelINS0_14default_configENS1_27scan_by_key_config_selectorIxxEEZZNS1_16scan_by_key_implILNS1_25lookback_scan_determinismE0ELb0ES3_N6thrust23THRUST_200600_302600_NS6detail15normal_iteratorINS9_10device_ptrIxEEEESE_SE_xNS9_10multipliesIxEENS9_8equal_toIxEExEE10hipError_tPvRmT2_T3_T4_T5_mT6_T7_P12ihipStream_tbENKUlT_T0_E_clISt17integral_constantIbLb0EESZ_EEDaSU_SV_EUlSU_E_NS1_11comp_targetILNS1_3genE0ELNS1_11target_archE4294967295ELNS1_3gpuE0ELNS1_3repE0EEENS1_30default_config_static_selectorELNS0_4arch9wavefront6targetE0EEEvT1_.uses_flat_scratch, 1
	.set _ZN7rocprim17ROCPRIM_400000_NS6detail17trampoline_kernelINS0_14default_configENS1_27scan_by_key_config_selectorIxxEEZZNS1_16scan_by_key_implILNS1_25lookback_scan_determinismE0ELb0ES3_N6thrust23THRUST_200600_302600_NS6detail15normal_iteratorINS9_10device_ptrIxEEEESE_SE_xNS9_10multipliesIxEENS9_8equal_toIxEExEE10hipError_tPvRmT2_T3_T4_T5_mT6_T7_P12ihipStream_tbENKUlT_T0_E_clISt17integral_constantIbLb0EESZ_EEDaSU_SV_EUlSU_E_NS1_11comp_targetILNS1_3genE0ELNS1_11target_archE4294967295ELNS1_3gpuE0ELNS1_3repE0EEENS1_30default_config_static_selectorELNS0_4arch9wavefront6targetE0EEEvT1_.has_dyn_sized_stack, 0
	.set _ZN7rocprim17ROCPRIM_400000_NS6detail17trampoline_kernelINS0_14default_configENS1_27scan_by_key_config_selectorIxxEEZZNS1_16scan_by_key_implILNS1_25lookback_scan_determinismE0ELb0ES3_N6thrust23THRUST_200600_302600_NS6detail15normal_iteratorINS9_10device_ptrIxEEEESE_SE_xNS9_10multipliesIxEENS9_8equal_toIxEExEE10hipError_tPvRmT2_T3_T4_T5_mT6_T7_P12ihipStream_tbENKUlT_T0_E_clISt17integral_constantIbLb0EESZ_EEDaSU_SV_EUlSU_E_NS1_11comp_targetILNS1_3genE0ELNS1_11target_archE4294967295ELNS1_3gpuE0ELNS1_3repE0EEENS1_30default_config_static_selectorELNS0_4arch9wavefront6targetE0EEEvT1_.has_recursion, 0
	.set _ZN7rocprim17ROCPRIM_400000_NS6detail17trampoline_kernelINS0_14default_configENS1_27scan_by_key_config_selectorIxxEEZZNS1_16scan_by_key_implILNS1_25lookback_scan_determinismE0ELb0ES3_N6thrust23THRUST_200600_302600_NS6detail15normal_iteratorINS9_10device_ptrIxEEEESE_SE_xNS9_10multipliesIxEENS9_8equal_toIxEExEE10hipError_tPvRmT2_T3_T4_T5_mT6_T7_P12ihipStream_tbENKUlT_T0_E_clISt17integral_constantIbLb0EESZ_EEDaSU_SV_EUlSU_E_NS1_11comp_targetILNS1_3genE0ELNS1_11target_archE4294967295ELNS1_3gpuE0ELNS1_3repE0EEENS1_30default_config_static_selectorELNS0_4arch9wavefront6targetE0EEEvT1_.has_indirect_call, 0
	.section	.AMDGPU.csdata,"",@progbits
; Kernel info:
; codeLenInByte = 15768
; TotalNumSgprs: 54
; NumVgprs: 111
; ScratchSize: 0
; MemoryBound: 0
; FloatMode: 240
; IeeeMode: 1
; LDSByteSize: 32768 bytes/workgroup (compile time only)
; SGPRBlocks: 0
; VGPRBlocks: 6
; NumSGPRsForWavesPerEU: 54
; NumVGPRsForWavesPerEU: 111
; NamedBarCnt: 0
; Occupancy: 9
; WaveLimiterHint : 1
; COMPUTE_PGM_RSRC2:SCRATCH_EN: 0
; COMPUTE_PGM_RSRC2:USER_SGPR: 2
; COMPUTE_PGM_RSRC2:TRAP_HANDLER: 0
; COMPUTE_PGM_RSRC2:TGID_X_EN: 1
; COMPUTE_PGM_RSRC2:TGID_Y_EN: 0
; COMPUTE_PGM_RSRC2:TGID_Z_EN: 0
; COMPUTE_PGM_RSRC2:TIDIG_COMP_CNT: 0
	.section	.text._ZN7rocprim17ROCPRIM_400000_NS6detail17trampoline_kernelINS0_14default_configENS1_27scan_by_key_config_selectorIxxEEZZNS1_16scan_by_key_implILNS1_25lookback_scan_determinismE0ELb0ES3_N6thrust23THRUST_200600_302600_NS6detail15normal_iteratorINS9_10device_ptrIxEEEESE_SE_xNS9_10multipliesIxEENS9_8equal_toIxEExEE10hipError_tPvRmT2_T3_T4_T5_mT6_T7_P12ihipStream_tbENKUlT_T0_E_clISt17integral_constantIbLb0EESZ_EEDaSU_SV_EUlSU_E_NS1_11comp_targetILNS1_3genE10ELNS1_11target_archE1201ELNS1_3gpuE5ELNS1_3repE0EEENS1_30default_config_static_selectorELNS0_4arch9wavefront6targetE0EEEvT1_,"axG",@progbits,_ZN7rocprim17ROCPRIM_400000_NS6detail17trampoline_kernelINS0_14default_configENS1_27scan_by_key_config_selectorIxxEEZZNS1_16scan_by_key_implILNS1_25lookback_scan_determinismE0ELb0ES3_N6thrust23THRUST_200600_302600_NS6detail15normal_iteratorINS9_10device_ptrIxEEEESE_SE_xNS9_10multipliesIxEENS9_8equal_toIxEExEE10hipError_tPvRmT2_T3_T4_T5_mT6_T7_P12ihipStream_tbENKUlT_T0_E_clISt17integral_constantIbLb0EESZ_EEDaSU_SV_EUlSU_E_NS1_11comp_targetILNS1_3genE10ELNS1_11target_archE1201ELNS1_3gpuE5ELNS1_3repE0EEENS1_30default_config_static_selectorELNS0_4arch9wavefront6targetE0EEEvT1_,comdat
	.protected	_ZN7rocprim17ROCPRIM_400000_NS6detail17trampoline_kernelINS0_14default_configENS1_27scan_by_key_config_selectorIxxEEZZNS1_16scan_by_key_implILNS1_25lookback_scan_determinismE0ELb0ES3_N6thrust23THRUST_200600_302600_NS6detail15normal_iteratorINS9_10device_ptrIxEEEESE_SE_xNS9_10multipliesIxEENS9_8equal_toIxEExEE10hipError_tPvRmT2_T3_T4_T5_mT6_T7_P12ihipStream_tbENKUlT_T0_E_clISt17integral_constantIbLb0EESZ_EEDaSU_SV_EUlSU_E_NS1_11comp_targetILNS1_3genE10ELNS1_11target_archE1201ELNS1_3gpuE5ELNS1_3repE0EEENS1_30default_config_static_selectorELNS0_4arch9wavefront6targetE0EEEvT1_ ; -- Begin function _ZN7rocprim17ROCPRIM_400000_NS6detail17trampoline_kernelINS0_14default_configENS1_27scan_by_key_config_selectorIxxEEZZNS1_16scan_by_key_implILNS1_25lookback_scan_determinismE0ELb0ES3_N6thrust23THRUST_200600_302600_NS6detail15normal_iteratorINS9_10device_ptrIxEEEESE_SE_xNS9_10multipliesIxEENS9_8equal_toIxEExEE10hipError_tPvRmT2_T3_T4_T5_mT6_T7_P12ihipStream_tbENKUlT_T0_E_clISt17integral_constantIbLb0EESZ_EEDaSU_SV_EUlSU_E_NS1_11comp_targetILNS1_3genE10ELNS1_11target_archE1201ELNS1_3gpuE5ELNS1_3repE0EEENS1_30default_config_static_selectorELNS0_4arch9wavefront6targetE0EEEvT1_
	.globl	_ZN7rocprim17ROCPRIM_400000_NS6detail17trampoline_kernelINS0_14default_configENS1_27scan_by_key_config_selectorIxxEEZZNS1_16scan_by_key_implILNS1_25lookback_scan_determinismE0ELb0ES3_N6thrust23THRUST_200600_302600_NS6detail15normal_iteratorINS9_10device_ptrIxEEEESE_SE_xNS9_10multipliesIxEENS9_8equal_toIxEExEE10hipError_tPvRmT2_T3_T4_T5_mT6_T7_P12ihipStream_tbENKUlT_T0_E_clISt17integral_constantIbLb0EESZ_EEDaSU_SV_EUlSU_E_NS1_11comp_targetILNS1_3genE10ELNS1_11target_archE1201ELNS1_3gpuE5ELNS1_3repE0EEENS1_30default_config_static_selectorELNS0_4arch9wavefront6targetE0EEEvT1_
	.p2align	8
	.type	_ZN7rocprim17ROCPRIM_400000_NS6detail17trampoline_kernelINS0_14default_configENS1_27scan_by_key_config_selectorIxxEEZZNS1_16scan_by_key_implILNS1_25lookback_scan_determinismE0ELb0ES3_N6thrust23THRUST_200600_302600_NS6detail15normal_iteratorINS9_10device_ptrIxEEEESE_SE_xNS9_10multipliesIxEENS9_8equal_toIxEExEE10hipError_tPvRmT2_T3_T4_T5_mT6_T7_P12ihipStream_tbENKUlT_T0_E_clISt17integral_constantIbLb0EESZ_EEDaSU_SV_EUlSU_E_NS1_11comp_targetILNS1_3genE10ELNS1_11target_archE1201ELNS1_3gpuE5ELNS1_3repE0EEENS1_30default_config_static_selectorELNS0_4arch9wavefront6targetE0EEEvT1_,@function
_ZN7rocprim17ROCPRIM_400000_NS6detail17trampoline_kernelINS0_14default_configENS1_27scan_by_key_config_selectorIxxEEZZNS1_16scan_by_key_implILNS1_25lookback_scan_determinismE0ELb0ES3_N6thrust23THRUST_200600_302600_NS6detail15normal_iteratorINS9_10device_ptrIxEEEESE_SE_xNS9_10multipliesIxEENS9_8equal_toIxEExEE10hipError_tPvRmT2_T3_T4_T5_mT6_T7_P12ihipStream_tbENKUlT_T0_E_clISt17integral_constantIbLb0EESZ_EEDaSU_SV_EUlSU_E_NS1_11comp_targetILNS1_3genE10ELNS1_11target_archE1201ELNS1_3gpuE5ELNS1_3repE0EEENS1_30default_config_static_selectorELNS0_4arch9wavefront6targetE0EEEvT1_: ; @_ZN7rocprim17ROCPRIM_400000_NS6detail17trampoline_kernelINS0_14default_configENS1_27scan_by_key_config_selectorIxxEEZZNS1_16scan_by_key_implILNS1_25lookback_scan_determinismE0ELb0ES3_N6thrust23THRUST_200600_302600_NS6detail15normal_iteratorINS9_10device_ptrIxEEEESE_SE_xNS9_10multipliesIxEENS9_8equal_toIxEExEE10hipError_tPvRmT2_T3_T4_T5_mT6_T7_P12ihipStream_tbENKUlT_T0_E_clISt17integral_constantIbLb0EESZ_EEDaSU_SV_EUlSU_E_NS1_11comp_targetILNS1_3genE10ELNS1_11target_archE1201ELNS1_3gpuE5ELNS1_3repE0EEENS1_30default_config_static_selectorELNS0_4arch9wavefront6targetE0EEEvT1_
; %bb.0:
	.section	.rodata,"a",@progbits
	.p2align	6, 0x0
	.amdhsa_kernel _ZN7rocprim17ROCPRIM_400000_NS6detail17trampoline_kernelINS0_14default_configENS1_27scan_by_key_config_selectorIxxEEZZNS1_16scan_by_key_implILNS1_25lookback_scan_determinismE0ELb0ES3_N6thrust23THRUST_200600_302600_NS6detail15normal_iteratorINS9_10device_ptrIxEEEESE_SE_xNS9_10multipliesIxEENS9_8equal_toIxEExEE10hipError_tPvRmT2_T3_T4_T5_mT6_T7_P12ihipStream_tbENKUlT_T0_E_clISt17integral_constantIbLb0EESZ_EEDaSU_SV_EUlSU_E_NS1_11comp_targetILNS1_3genE10ELNS1_11target_archE1201ELNS1_3gpuE5ELNS1_3repE0EEENS1_30default_config_static_selectorELNS0_4arch9wavefront6targetE0EEEvT1_
		.amdhsa_group_segment_fixed_size 0
		.amdhsa_private_segment_fixed_size 0
		.amdhsa_kernarg_size 136
		.amdhsa_user_sgpr_count 2
		.amdhsa_user_sgpr_dispatch_ptr 0
		.amdhsa_user_sgpr_queue_ptr 0
		.amdhsa_user_sgpr_kernarg_segment_ptr 1
		.amdhsa_user_sgpr_dispatch_id 0
		.amdhsa_user_sgpr_kernarg_preload_length 0
		.amdhsa_user_sgpr_kernarg_preload_offset 0
		.amdhsa_user_sgpr_private_segment_size 0
		.amdhsa_wavefront_size32 1
		.amdhsa_uses_dynamic_stack 0
		.amdhsa_enable_private_segment 0
		.amdhsa_system_sgpr_workgroup_id_x 1
		.amdhsa_system_sgpr_workgroup_id_y 0
		.amdhsa_system_sgpr_workgroup_id_z 0
		.amdhsa_system_sgpr_workgroup_info 0
		.amdhsa_system_vgpr_workitem_id 0
		.amdhsa_next_free_vgpr 1
		.amdhsa_next_free_sgpr 1
		.amdhsa_named_barrier_count 0
		.amdhsa_reserve_vcc 0
		.amdhsa_float_round_mode_32 0
		.amdhsa_float_round_mode_16_64 0
		.amdhsa_float_denorm_mode_32 3
		.amdhsa_float_denorm_mode_16_64 3
		.amdhsa_fp16_overflow 0
		.amdhsa_memory_ordered 1
		.amdhsa_forward_progress 1
		.amdhsa_inst_pref_size 0
		.amdhsa_round_robin_scheduling 0
		.amdhsa_exception_fp_ieee_invalid_op 0
		.amdhsa_exception_fp_denorm_src 0
		.amdhsa_exception_fp_ieee_div_zero 0
		.amdhsa_exception_fp_ieee_overflow 0
		.amdhsa_exception_fp_ieee_underflow 0
		.amdhsa_exception_fp_ieee_inexact 0
		.amdhsa_exception_int_div_zero 0
	.end_amdhsa_kernel
	.section	.text._ZN7rocprim17ROCPRIM_400000_NS6detail17trampoline_kernelINS0_14default_configENS1_27scan_by_key_config_selectorIxxEEZZNS1_16scan_by_key_implILNS1_25lookback_scan_determinismE0ELb0ES3_N6thrust23THRUST_200600_302600_NS6detail15normal_iteratorINS9_10device_ptrIxEEEESE_SE_xNS9_10multipliesIxEENS9_8equal_toIxEExEE10hipError_tPvRmT2_T3_T4_T5_mT6_T7_P12ihipStream_tbENKUlT_T0_E_clISt17integral_constantIbLb0EESZ_EEDaSU_SV_EUlSU_E_NS1_11comp_targetILNS1_3genE10ELNS1_11target_archE1201ELNS1_3gpuE5ELNS1_3repE0EEENS1_30default_config_static_selectorELNS0_4arch9wavefront6targetE0EEEvT1_,"axG",@progbits,_ZN7rocprim17ROCPRIM_400000_NS6detail17trampoline_kernelINS0_14default_configENS1_27scan_by_key_config_selectorIxxEEZZNS1_16scan_by_key_implILNS1_25lookback_scan_determinismE0ELb0ES3_N6thrust23THRUST_200600_302600_NS6detail15normal_iteratorINS9_10device_ptrIxEEEESE_SE_xNS9_10multipliesIxEENS9_8equal_toIxEExEE10hipError_tPvRmT2_T3_T4_T5_mT6_T7_P12ihipStream_tbENKUlT_T0_E_clISt17integral_constantIbLb0EESZ_EEDaSU_SV_EUlSU_E_NS1_11comp_targetILNS1_3genE10ELNS1_11target_archE1201ELNS1_3gpuE5ELNS1_3repE0EEENS1_30default_config_static_selectorELNS0_4arch9wavefront6targetE0EEEvT1_,comdat
.Lfunc_end48:
	.size	_ZN7rocprim17ROCPRIM_400000_NS6detail17trampoline_kernelINS0_14default_configENS1_27scan_by_key_config_selectorIxxEEZZNS1_16scan_by_key_implILNS1_25lookback_scan_determinismE0ELb0ES3_N6thrust23THRUST_200600_302600_NS6detail15normal_iteratorINS9_10device_ptrIxEEEESE_SE_xNS9_10multipliesIxEENS9_8equal_toIxEExEE10hipError_tPvRmT2_T3_T4_T5_mT6_T7_P12ihipStream_tbENKUlT_T0_E_clISt17integral_constantIbLb0EESZ_EEDaSU_SV_EUlSU_E_NS1_11comp_targetILNS1_3genE10ELNS1_11target_archE1201ELNS1_3gpuE5ELNS1_3repE0EEENS1_30default_config_static_selectorELNS0_4arch9wavefront6targetE0EEEvT1_, .Lfunc_end48-_ZN7rocprim17ROCPRIM_400000_NS6detail17trampoline_kernelINS0_14default_configENS1_27scan_by_key_config_selectorIxxEEZZNS1_16scan_by_key_implILNS1_25lookback_scan_determinismE0ELb0ES3_N6thrust23THRUST_200600_302600_NS6detail15normal_iteratorINS9_10device_ptrIxEEEESE_SE_xNS9_10multipliesIxEENS9_8equal_toIxEExEE10hipError_tPvRmT2_T3_T4_T5_mT6_T7_P12ihipStream_tbENKUlT_T0_E_clISt17integral_constantIbLb0EESZ_EEDaSU_SV_EUlSU_E_NS1_11comp_targetILNS1_3genE10ELNS1_11target_archE1201ELNS1_3gpuE5ELNS1_3repE0EEENS1_30default_config_static_selectorELNS0_4arch9wavefront6targetE0EEEvT1_
                                        ; -- End function
	.set _ZN7rocprim17ROCPRIM_400000_NS6detail17trampoline_kernelINS0_14default_configENS1_27scan_by_key_config_selectorIxxEEZZNS1_16scan_by_key_implILNS1_25lookback_scan_determinismE0ELb0ES3_N6thrust23THRUST_200600_302600_NS6detail15normal_iteratorINS9_10device_ptrIxEEEESE_SE_xNS9_10multipliesIxEENS9_8equal_toIxEExEE10hipError_tPvRmT2_T3_T4_T5_mT6_T7_P12ihipStream_tbENKUlT_T0_E_clISt17integral_constantIbLb0EESZ_EEDaSU_SV_EUlSU_E_NS1_11comp_targetILNS1_3genE10ELNS1_11target_archE1201ELNS1_3gpuE5ELNS1_3repE0EEENS1_30default_config_static_selectorELNS0_4arch9wavefront6targetE0EEEvT1_.num_vgpr, 0
	.set _ZN7rocprim17ROCPRIM_400000_NS6detail17trampoline_kernelINS0_14default_configENS1_27scan_by_key_config_selectorIxxEEZZNS1_16scan_by_key_implILNS1_25lookback_scan_determinismE0ELb0ES3_N6thrust23THRUST_200600_302600_NS6detail15normal_iteratorINS9_10device_ptrIxEEEESE_SE_xNS9_10multipliesIxEENS9_8equal_toIxEExEE10hipError_tPvRmT2_T3_T4_T5_mT6_T7_P12ihipStream_tbENKUlT_T0_E_clISt17integral_constantIbLb0EESZ_EEDaSU_SV_EUlSU_E_NS1_11comp_targetILNS1_3genE10ELNS1_11target_archE1201ELNS1_3gpuE5ELNS1_3repE0EEENS1_30default_config_static_selectorELNS0_4arch9wavefront6targetE0EEEvT1_.num_agpr, 0
	.set _ZN7rocprim17ROCPRIM_400000_NS6detail17trampoline_kernelINS0_14default_configENS1_27scan_by_key_config_selectorIxxEEZZNS1_16scan_by_key_implILNS1_25lookback_scan_determinismE0ELb0ES3_N6thrust23THRUST_200600_302600_NS6detail15normal_iteratorINS9_10device_ptrIxEEEESE_SE_xNS9_10multipliesIxEENS9_8equal_toIxEExEE10hipError_tPvRmT2_T3_T4_T5_mT6_T7_P12ihipStream_tbENKUlT_T0_E_clISt17integral_constantIbLb0EESZ_EEDaSU_SV_EUlSU_E_NS1_11comp_targetILNS1_3genE10ELNS1_11target_archE1201ELNS1_3gpuE5ELNS1_3repE0EEENS1_30default_config_static_selectorELNS0_4arch9wavefront6targetE0EEEvT1_.numbered_sgpr, 0
	.set _ZN7rocprim17ROCPRIM_400000_NS6detail17trampoline_kernelINS0_14default_configENS1_27scan_by_key_config_selectorIxxEEZZNS1_16scan_by_key_implILNS1_25lookback_scan_determinismE0ELb0ES3_N6thrust23THRUST_200600_302600_NS6detail15normal_iteratorINS9_10device_ptrIxEEEESE_SE_xNS9_10multipliesIxEENS9_8equal_toIxEExEE10hipError_tPvRmT2_T3_T4_T5_mT6_T7_P12ihipStream_tbENKUlT_T0_E_clISt17integral_constantIbLb0EESZ_EEDaSU_SV_EUlSU_E_NS1_11comp_targetILNS1_3genE10ELNS1_11target_archE1201ELNS1_3gpuE5ELNS1_3repE0EEENS1_30default_config_static_selectorELNS0_4arch9wavefront6targetE0EEEvT1_.num_named_barrier, 0
	.set _ZN7rocprim17ROCPRIM_400000_NS6detail17trampoline_kernelINS0_14default_configENS1_27scan_by_key_config_selectorIxxEEZZNS1_16scan_by_key_implILNS1_25lookback_scan_determinismE0ELb0ES3_N6thrust23THRUST_200600_302600_NS6detail15normal_iteratorINS9_10device_ptrIxEEEESE_SE_xNS9_10multipliesIxEENS9_8equal_toIxEExEE10hipError_tPvRmT2_T3_T4_T5_mT6_T7_P12ihipStream_tbENKUlT_T0_E_clISt17integral_constantIbLb0EESZ_EEDaSU_SV_EUlSU_E_NS1_11comp_targetILNS1_3genE10ELNS1_11target_archE1201ELNS1_3gpuE5ELNS1_3repE0EEENS1_30default_config_static_selectorELNS0_4arch9wavefront6targetE0EEEvT1_.private_seg_size, 0
	.set _ZN7rocprim17ROCPRIM_400000_NS6detail17trampoline_kernelINS0_14default_configENS1_27scan_by_key_config_selectorIxxEEZZNS1_16scan_by_key_implILNS1_25lookback_scan_determinismE0ELb0ES3_N6thrust23THRUST_200600_302600_NS6detail15normal_iteratorINS9_10device_ptrIxEEEESE_SE_xNS9_10multipliesIxEENS9_8equal_toIxEExEE10hipError_tPvRmT2_T3_T4_T5_mT6_T7_P12ihipStream_tbENKUlT_T0_E_clISt17integral_constantIbLb0EESZ_EEDaSU_SV_EUlSU_E_NS1_11comp_targetILNS1_3genE10ELNS1_11target_archE1201ELNS1_3gpuE5ELNS1_3repE0EEENS1_30default_config_static_selectorELNS0_4arch9wavefront6targetE0EEEvT1_.uses_vcc, 0
	.set _ZN7rocprim17ROCPRIM_400000_NS6detail17trampoline_kernelINS0_14default_configENS1_27scan_by_key_config_selectorIxxEEZZNS1_16scan_by_key_implILNS1_25lookback_scan_determinismE0ELb0ES3_N6thrust23THRUST_200600_302600_NS6detail15normal_iteratorINS9_10device_ptrIxEEEESE_SE_xNS9_10multipliesIxEENS9_8equal_toIxEExEE10hipError_tPvRmT2_T3_T4_T5_mT6_T7_P12ihipStream_tbENKUlT_T0_E_clISt17integral_constantIbLb0EESZ_EEDaSU_SV_EUlSU_E_NS1_11comp_targetILNS1_3genE10ELNS1_11target_archE1201ELNS1_3gpuE5ELNS1_3repE0EEENS1_30default_config_static_selectorELNS0_4arch9wavefront6targetE0EEEvT1_.uses_flat_scratch, 0
	.set _ZN7rocprim17ROCPRIM_400000_NS6detail17trampoline_kernelINS0_14default_configENS1_27scan_by_key_config_selectorIxxEEZZNS1_16scan_by_key_implILNS1_25lookback_scan_determinismE0ELb0ES3_N6thrust23THRUST_200600_302600_NS6detail15normal_iteratorINS9_10device_ptrIxEEEESE_SE_xNS9_10multipliesIxEENS9_8equal_toIxEExEE10hipError_tPvRmT2_T3_T4_T5_mT6_T7_P12ihipStream_tbENKUlT_T0_E_clISt17integral_constantIbLb0EESZ_EEDaSU_SV_EUlSU_E_NS1_11comp_targetILNS1_3genE10ELNS1_11target_archE1201ELNS1_3gpuE5ELNS1_3repE0EEENS1_30default_config_static_selectorELNS0_4arch9wavefront6targetE0EEEvT1_.has_dyn_sized_stack, 0
	.set _ZN7rocprim17ROCPRIM_400000_NS6detail17trampoline_kernelINS0_14default_configENS1_27scan_by_key_config_selectorIxxEEZZNS1_16scan_by_key_implILNS1_25lookback_scan_determinismE0ELb0ES3_N6thrust23THRUST_200600_302600_NS6detail15normal_iteratorINS9_10device_ptrIxEEEESE_SE_xNS9_10multipliesIxEENS9_8equal_toIxEExEE10hipError_tPvRmT2_T3_T4_T5_mT6_T7_P12ihipStream_tbENKUlT_T0_E_clISt17integral_constantIbLb0EESZ_EEDaSU_SV_EUlSU_E_NS1_11comp_targetILNS1_3genE10ELNS1_11target_archE1201ELNS1_3gpuE5ELNS1_3repE0EEENS1_30default_config_static_selectorELNS0_4arch9wavefront6targetE0EEEvT1_.has_recursion, 0
	.set _ZN7rocprim17ROCPRIM_400000_NS6detail17trampoline_kernelINS0_14default_configENS1_27scan_by_key_config_selectorIxxEEZZNS1_16scan_by_key_implILNS1_25lookback_scan_determinismE0ELb0ES3_N6thrust23THRUST_200600_302600_NS6detail15normal_iteratorINS9_10device_ptrIxEEEESE_SE_xNS9_10multipliesIxEENS9_8equal_toIxEExEE10hipError_tPvRmT2_T3_T4_T5_mT6_T7_P12ihipStream_tbENKUlT_T0_E_clISt17integral_constantIbLb0EESZ_EEDaSU_SV_EUlSU_E_NS1_11comp_targetILNS1_3genE10ELNS1_11target_archE1201ELNS1_3gpuE5ELNS1_3repE0EEENS1_30default_config_static_selectorELNS0_4arch9wavefront6targetE0EEEvT1_.has_indirect_call, 0
	.section	.AMDGPU.csdata,"",@progbits
; Kernel info:
; codeLenInByte = 0
; TotalNumSgprs: 0
; NumVgprs: 0
; ScratchSize: 0
; MemoryBound: 0
; FloatMode: 240
; IeeeMode: 1
; LDSByteSize: 0 bytes/workgroup (compile time only)
; SGPRBlocks: 0
; VGPRBlocks: 0
; NumSGPRsForWavesPerEU: 1
; NumVGPRsForWavesPerEU: 1
; NamedBarCnt: 0
; Occupancy: 16
; WaveLimiterHint : 0
; COMPUTE_PGM_RSRC2:SCRATCH_EN: 0
; COMPUTE_PGM_RSRC2:USER_SGPR: 2
; COMPUTE_PGM_RSRC2:TRAP_HANDLER: 0
; COMPUTE_PGM_RSRC2:TGID_X_EN: 1
; COMPUTE_PGM_RSRC2:TGID_Y_EN: 0
; COMPUTE_PGM_RSRC2:TGID_Z_EN: 0
; COMPUTE_PGM_RSRC2:TIDIG_COMP_CNT: 0
	.section	.text._ZN7rocprim17ROCPRIM_400000_NS6detail17trampoline_kernelINS0_14default_configENS1_27scan_by_key_config_selectorIxxEEZZNS1_16scan_by_key_implILNS1_25lookback_scan_determinismE0ELb0ES3_N6thrust23THRUST_200600_302600_NS6detail15normal_iteratorINS9_10device_ptrIxEEEESE_SE_xNS9_10multipliesIxEENS9_8equal_toIxEExEE10hipError_tPvRmT2_T3_T4_T5_mT6_T7_P12ihipStream_tbENKUlT_T0_E_clISt17integral_constantIbLb0EESZ_EEDaSU_SV_EUlSU_E_NS1_11comp_targetILNS1_3genE5ELNS1_11target_archE942ELNS1_3gpuE9ELNS1_3repE0EEENS1_30default_config_static_selectorELNS0_4arch9wavefront6targetE0EEEvT1_,"axG",@progbits,_ZN7rocprim17ROCPRIM_400000_NS6detail17trampoline_kernelINS0_14default_configENS1_27scan_by_key_config_selectorIxxEEZZNS1_16scan_by_key_implILNS1_25lookback_scan_determinismE0ELb0ES3_N6thrust23THRUST_200600_302600_NS6detail15normal_iteratorINS9_10device_ptrIxEEEESE_SE_xNS9_10multipliesIxEENS9_8equal_toIxEExEE10hipError_tPvRmT2_T3_T4_T5_mT6_T7_P12ihipStream_tbENKUlT_T0_E_clISt17integral_constantIbLb0EESZ_EEDaSU_SV_EUlSU_E_NS1_11comp_targetILNS1_3genE5ELNS1_11target_archE942ELNS1_3gpuE9ELNS1_3repE0EEENS1_30default_config_static_selectorELNS0_4arch9wavefront6targetE0EEEvT1_,comdat
	.protected	_ZN7rocprim17ROCPRIM_400000_NS6detail17trampoline_kernelINS0_14default_configENS1_27scan_by_key_config_selectorIxxEEZZNS1_16scan_by_key_implILNS1_25lookback_scan_determinismE0ELb0ES3_N6thrust23THRUST_200600_302600_NS6detail15normal_iteratorINS9_10device_ptrIxEEEESE_SE_xNS9_10multipliesIxEENS9_8equal_toIxEExEE10hipError_tPvRmT2_T3_T4_T5_mT6_T7_P12ihipStream_tbENKUlT_T0_E_clISt17integral_constantIbLb0EESZ_EEDaSU_SV_EUlSU_E_NS1_11comp_targetILNS1_3genE5ELNS1_11target_archE942ELNS1_3gpuE9ELNS1_3repE0EEENS1_30default_config_static_selectorELNS0_4arch9wavefront6targetE0EEEvT1_ ; -- Begin function _ZN7rocprim17ROCPRIM_400000_NS6detail17trampoline_kernelINS0_14default_configENS1_27scan_by_key_config_selectorIxxEEZZNS1_16scan_by_key_implILNS1_25lookback_scan_determinismE0ELb0ES3_N6thrust23THRUST_200600_302600_NS6detail15normal_iteratorINS9_10device_ptrIxEEEESE_SE_xNS9_10multipliesIxEENS9_8equal_toIxEExEE10hipError_tPvRmT2_T3_T4_T5_mT6_T7_P12ihipStream_tbENKUlT_T0_E_clISt17integral_constantIbLb0EESZ_EEDaSU_SV_EUlSU_E_NS1_11comp_targetILNS1_3genE5ELNS1_11target_archE942ELNS1_3gpuE9ELNS1_3repE0EEENS1_30default_config_static_selectorELNS0_4arch9wavefront6targetE0EEEvT1_
	.globl	_ZN7rocprim17ROCPRIM_400000_NS6detail17trampoline_kernelINS0_14default_configENS1_27scan_by_key_config_selectorIxxEEZZNS1_16scan_by_key_implILNS1_25lookback_scan_determinismE0ELb0ES3_N6thrust23THRUST_200600_302600_NS6detail15normal_iteratorINS9_10device_ptrIxEEEESE_SE_xNS9_10multipliesIxEENS9_8equal_toIxEExEE10hipError_tPvRmT2_T3_T4_T5_mT6_T7_P12ihipStream_tbENKUlT_T0_E_clISt17integral_constantIbLb0EESZ_EEDaSU_SV_EUlSU_E_NS1_11comp_targetILNS1_3genE5ELNS1_11target_archE942ELNS1_3gpuE9ELNS1_3repE0EEENS1_30default_config_static_selectorELNS0_4arch9wavefront6targetE0EEEvT1_
	.p2align	8
	.type	_ZN7rocprim17ROCPRIM_400000_NS6detail17trampoline_kernelINS0_14default_configENS1_27scan_by_key_config_selectorIxxEEZZNS1_16scan_by_key_implILNS1_25lookback_scan_determinismE0ELb0ES3_N6thrust23THRUST_200600_302600_NS6detail15normal_iteratorINS9_10device_ptrIxEEEESE_SE_xNS9_10multipliesIxEENS9_8equal_toIxEExEE10hipError_tPvRmT2_T3_T4_T5_mT6_T7_P12ihipStream_tbENKUlT_T0_E_clISt17integral_constantIbLb0EESZ_EEDaSU_SV_EUlSU_E_NS1_11comp_targetILNS1_3genE5ELNS1_11target_archE942ELNS1_3gpuE9ELNS1_3repE0EEENS1_30default_config_static_selectorELNS0_4arch9wavefront6targetE0EEEvT1_,@function
_ZN7rocprim17ROCPRIM_400000_NS6detail17trampoline_kernelINS0_14default_configENS1_27scan_by_key_config_selectorIxxEEZZNS1_16scan_by_key_implILNS1_25lookback_scan_determinismE0ELb0ES3_N6thrust23THRUST_200600_302600_NS6detail15normal_iteratorINS9_10device_ptrIxEEEESE_SE_xNS9_10multipliesIxEENS9_8equal_toIxEExEE10hipError_tPvRmT2_T3_T4_T5_mT6_T7_P12ihipStream_tbENKUlT_T0_E_clISt17integral_constantIbLb0EESZ_EEDaSU_SV_EUlSU_E_NS1_11comp_targetILNS1_3genE5ELNS1_11target_archE942ELNS1_3gpuE9ELNS1_3repE0EEENS1_30default_config_static_selectorELNS0_4arch9wavefront6targetE0EEEvT1_: ; @_ZN7rocprim17ROCPRIM_400000_NS6detail17trampoline_kernelINS0_14default_configENS1_27scan_by_key_config_selectorIxxEEZZNS1_16scan_by_key_implILNS1_25lookback_scan_determinismE0ELb0ES3_N6thrust23THRUST_200600_302600_NS6detail15normal_iteratorINS9_10device_ptrIxEEEESE_SE_xNS9_10multipliesIxEENS9_8equal_toIxEExEE10hipError_tPvRmT2_T3_T4_T5_mT6_T7_P12ihipStream_tbENKUlT_T0_E_clISt17integral_constantIbLb0EESZ_EEDaSU_SV_EUlSU_E_NS1_11comp_targetILNS1_3genE5ELNS1_11target_archE942ELNS1_3gpuE9ELNS1_3repE0EEENS1_30default_config_static_selectorELNS0_4arch9wavefront6targetE0EEEvT1_
; %bb.0:
	.section	.rodata,"a",@progbits
	.p2align	6, 0x0
	.amdhsa_kernel _ZN7rocprim17ROCPRIM_400000_NS6detail17trampoline_kernelINS0_14default_configENS1_27scan_by_key_config_selectorIxxEEZZNS1_16scan_by_key_implILNS1_25lookback_scan_determinismE0ELb0ES3_N6thrust23THRUST_200600_302600_NS6detail15normal_iteratorINS9_10device_ptrIxEEEESE_SE_xNS9_10multipliesIxEENS9_8equal_toIxEExEE10hipError_tPvRmT2_T3_T4_T5_mT6_T7_P12ihipStream_tbENKUlT_T0_E_clISt17integral_constantIbLb0EESZ_EEDaSU_SV_EUlSU_E_NS1_11comp_targetILNS1_3genE5ELNS1_11target_archE942ELNS1_3gpuE9ELNS1_3repE0EEENS1_30default_config_static_selectorELNS0_4arch9wavefront6targetE0EEEvT1_
		.amdhsa_group_segment_fixed_size 0
		.amdhsa_private_segment_fixed_size 0
		.amdhsa_kernarg_size 136
		.amdhsa_user_sgpr_count 2
		.amdhsa_user_sgpr_dispatch_ptr 0
		.amdhsa_user_sgpr_queue_ptr 0
		.amdhsa_user_sgpr_kernarg_segment_ptr 1
		.amdhsa_user_sgpr_dispatch_id 0
		.amdhsa_user_sgpr_kernarg_preload_length 0
		.amdhsa_user_sgpr_kernarg_preload_offset 0
		.amdhsa_user_sgpr_private_segment_size 0
		.amdhsa_wavefront_size32 1
		.amdhsa_uses_dynamic_stack 0
		.amdhsa_enable_private_segment 0
		.amdhsa_system_sgpr_workgroup_id_x 1
		.amdhsa_system_sgpr_workgroup_id_y 0
		.amdhsa_system_sgpr_workgroup_id_z 0
		.amdhsa_system_sgpr_workgroup_info 0
		.amdhsa_system_vgpr_workitem_id 0
		.amdhsa_next_free_vgpr 1
		.amdhsa_next_free_sgpr 1
		.amdhsa_named_barrier_count 0
		.amdhsa_reserve_vcc 0
		.amdhsa_float_round_mode_32 0
		.amdhsa_float_round_mode_16_64 0
		.amdhsa_float_denorm_mode_32 3
		.amdhsa_float_denorm_mode_16_64 3
		.amdhsa_fp16_overflow 0
		.amdhsa_memory_ordered 1
		.amdhsa_forward_progress 1
		.amdhsa_inst_pref_size 0
		.amdhsa_round_robin_scheduling 0
		.amdhsa_exception_fp_ieee_invalid_op 0
		.amdhsa_exception_fp_denorm_src 0
		.amdhsa_exception_fp_ieee_div_zero 0
		.amdhsa_exception_fp_ieee_overflow 0
		.amdhsa_exception_fp_ieee_underflow 0
		.amdhsa_exception_fp_ieee_inexact 0
		.amdhsa_exception_int_div_zero 0
	.end_amdhsa_kernel
	.section	.text._ZN7rocprim17ROCPRIM_400000_NS6detail17trampoline_kernelINS0_14default_configENS1_27scan_by_key_config_selectorIxxEEZZNS1_16scan_by_key_implILNS1_25lookback_scan_determinismE0ELb0ES3_N6thrust23THRUST_200600_302600_NS6detail15normal_iteratorINS9_10device_ptrIxEEEESE_SE_xNS9_10multipliesIxEENS9_8equal_toIxEExEE10hipError_tPvRmT2_T3_T4_T5_mT6_T7_P12ihipStream_tbENKUlT_T0_E_clISt17integral_constantIbLb0EESZ_EEDaSU_SV_EUlSU_E_NS1_11comp_targetILNS1_3genE5ELNS1_11target_archE942ELNS1_3gpuE9ELNS1_3repE0EEENS1_30default_config_static_selectorELNS0_4arch9wavefront6targetE0EEEvT1_,"axG",@progbits,_ZN7rocprim17ROCPRIM_400000_NS6detail17trampoline_kernelINS0_14default_configENS1_27scan_by_key_config_selectorIxxEEZZNS1_16scan_by_key_implILNS1_25lookback_scan_determinismE0ELb0ES3_N6thrust23THRUST_200600_302600_NS6detail15normal_iteratorINS9_10device_ptrIxEEEESE_SE_xNS9_10multipliesIxEENS9_8equal_toIxEExEE10hipError_tPvRmT2_T3_T4_T5_mT6_T7_P12ihipStream_tbENKUlT_T0_E_clISt17integral_constantIbLb0EESZ_EEDaSU_SV_EUlSU_E_NS1_11comp_targetILNS1_3genE5ELNS1_11target_archE942ELNS1_3gpuE9ELNS1_3repE0EEENS1_30default_config_static_selectorELNS0_4arch9wavefront6targetE0EEEvT1_,comdat
.Lfunc_end49:
	.size	_ZN7rocprim17ROCPRIM_400000_NS6detail17trampoline_kernelINS0_14default_configENS1_27scan_by_key_config_selectorIxxEEZZNS1_16scan_by_key_implILNS1_25lookback_scan_determinismE0ELb0ES3_N6thrust23THRUST_200600_302600_NS6detail15normal_iteratorINS9_10device_ptrIxEEEESE_SE_xNS9_10multipliesIxEENS9_8equal_toIxEExEE10hipError_tPvRmT2_T3_T4_T5_mT6_T7_P12ihipStream_tbENKUlT_T0_E_clISt17integral_constantIbLb0EESZ_EEDaSU_SV_EUlSU_E_NS1_11comp_targetILNS1_3genE5ELNS1_11target_archE942ELNS1_3gpuE9ELNS1_3repE0EEENS1_30default_config_static_selectorELNS0_4arch9wavefront6targetE0EEEvT1_, .Lfunc_end49-_ZN7rocprim17ROCPRIM_400000_NS6detail17trampoline_kernelINS0_14default_configENS1_27scan_by_key_config_selectorIxxEEZZNS1_16scan_by_key_implILNS1_25lookback_scan_determinismE0ELb0ES3_N6thrust23THRUST_200600_302600_NS6detail15normal_iteratorINS9_10device_ptrIxEEEESE_SE_xNS9_10multipliesIxEENS9_8equal_toIxEExEE10hipError_tPvRmT2_T3_T4_T5_mT6_T7_P12ihipStream_tbENKUlT_T0_E_clISt17integral_constantIbLb0EESZ_EEDaSU_SV_EUlSU_E_NS1_11comp_targetILNS1_3genE5ELNS1_11target_archE942ELNS1_3gpuE9ELNS1_3repE0EEENS1_30default_config_static_selectorELNS0_4arch9wavefront6targetE0EEEvT1_
                                        ; -- End function
	.set _ZN7rocprim17ROCPRIM_400000_NS6detail17trampoline_kernelINS0_14default_configENS1_27scan_by_key_config_selectorIxxEEZZNS1_16scan_by_key_implILNS1_25lookback_scan_determinismE0ELb0ES3_N6thrust23THRUST_200600_302600_NS6detail15normal_iteratorINS9_10device_ptrIxEEEESE_SE_xNS9_10multipliesIxEENS9_8equal_toIxEExEE10hipError_tPvRmT2_T3_T4_T5_mT6_T7_P12ihipStream_tbENKUlT_T0_E_clISt17integral_constantIbLb0EESZ_EEDaSU_SV_EUlSU_E_NS1_11comp_targetILNS1_3genE5ELNS1_11target_archE942ELNS1_3gpuE9ELNS1_3repE0EEENS1_30default_config_static_selectorELNS0_4arch9wavefront6targetE0EEEvT1_.num_vgpr, 0
	.set _ZN7rocprim17ROCPRIM_400000_NS6detail17trampoline_kernelINS0_14default_configENS1_27scan_by_key_config_selectorIxxEEZZNS1_16scan_by_key_implILNS1_25lookback_scan_determinismE0ELb0ES3_N6thrust23THRUST_200600_302600_NS6detail15normal_iteratorINS9_10device_ptrIxEEEESE_SE_xNS9_10multipliesIxEENS9_8equal_toIxEExEE10hipError_tPvRmT2_T3_T4_T5_mT6_T7_P12ihipStream_tbENKUlT_T0_E_clISt17integral_constantIbLb0EESZ_EEDaSU_SV_EUlSU_E_NS1_11comp_targetILNS1_3genE5ELNS1_11target_archE942ELNS1_3gpuE9ELNS1_3repE0EEENS1_30default_config_static_selectorELNS0_4arch9wavefront6targetE0EEEvT1_.num_agpr, 0
	.set _ZN7rocprim17ROCPRIM_400000_NS6detail17trampoline_kernelINS0_14default_configENS1_27scan_by_key_config_selectorIxxEEZZNS1_16scan_by_key_implILNS1_25lookback_scan_determinismE0ELb0ES3_N6thrust23THRUST_200600_302600_NS6detail15normal_iteratorINS9_10device_ptrIxEEEESE_SE_xNS9_10multipliesIxEENS9_8equal_toIxEExEE10hipError_tPvRmT2_T3_T4_T5_mT6_T7_P12ihipStream_tbENKUlT_T0_E_clISt17integral_constantIbLb0EESZ_EEDaSU_SV_EUlSU_E_NS1_11comp_targetILNS1_3genE5ELNS1_11target_archE942ELNS1_3gpuE9ELNS1_3repE0EEENS1_30default_config_static_selectorELNS0_4arch9wavefront6targetE0EEEvT1_.numbered_sgpr, 0
	.set _ZN7rocprim17ROCPRIM_400000_NS6detail17trampoline_kernelINS0_14default_configENS1_27scan_by_key_config_selectorIxxEEZZNS1_16scan_by_key_implILNS1_25lookback_scan_determinismE0ELb0ES3_N6thrust23THRUST_200600_302600_NS6detail15normal_iteratorINS9_10device_ptrIxEEEESE_SE_xNS9_10multipliesIxEENS9_8equal_toIxEExEE10hipError_tPvRmT2_T3_T4_T5_mT6_T7_P12ihipStream_tbENKUlT_T0_E_clISt17integral_constantIbLb0EESZ_EEDaSU_SV_EUlSU_E_NS1_11comp_targetILNS1_3genE5ELNS1_11target_archE942ELNS1_3gpuE9ELNS1_3repE0EEENS1_30default_config_static_selectorELNS0_4arch9wavefront6targetE0EEEvT1_.num_named_barrier, 0
	.set _ZN7rocprim17ROCPRIM_400000_NS6detail17trampoline_kernelINS0_14default_configENS1_27scan_by_key_config_selectorIxxEEZZNS1_16scan_by_key_implILNS1_25lookback_scan_determinismE0ELb0ES3_N6thrust23THRUST_200600_302600_NS6detail15normal_iteratorINS9_10device_ptrIxEEEESE_SE_xNS9_10multipliesIxEENS9_8equal_toIxEExEE10hipError_tPvRmT2_T3_T4_T5_mT6_T7_P12ihipStream_tbENKUlT_T0_E_clISt17integral_constantIbLb0EESZ_EEDaSU_SV_EUlSU_E_NS1_11comp_targetILNS1_3genE5ELNS1_11target_archE942ELNS1_3gpuE9ELNS1_3repE0EEENS1_30default_config_static_selectorELNS0_4arch9wavefront6targetE0EEEvT1_.private_seg_size, 0
	.set _ZN7rocprim17ROCPRIM_400000_NS6detail17trampoline_kernelINS0_14default_configENS1_27scan_by_key_config_selectorIxxEEZZNS1_16scan_by_key_implILNS1_25lookback_scan_determinismE0ELb0ES3_N6thrust23THRUST_200600_302600_NS6detail15normal_iteratorINS9_10device_ptrIxEEEESE_SE_xNS9_10multipliesIxEENS9_8equal_toIxEExEE10hipError_tPvRmT2_T3_T4_T5_mT6_T7_P12ihipStream_tbENKUlT_T0_E_clISt17integral_constantIbLb0EESZ_EEDaSU_SV_EUlSU_E_NS1_11comp_targetILNS1_3genE5ELNS1_11target_archE942ELNS1_3gpuE9ELNS1_3repE0EEENS1_30default_config_static_selectorELNS0_4arch9wavefront6targetE0EEEvT1_.uses_vcc, 0
	.set _ZN7rocprim17ROCPRIM_400000_NS6detail17trampoline_kernelINS0_14default_configENS1_27scan_by_key_config_selectorIxxEEZZNS1_16scan_by_key_implILNS1_25lookback_scan_determinismE0ELb0ES3_N6thrust23THRUST_200600_302600_NS6detail15normal_iteratorINS9_10device_ptrIxEEEESE_SE_xNS9_10multipliesIxEENS9_8equal_toIxEExEE10hipError_tPvRmT2_T3_T4_T5_mT6_T7_P12ihipStream_tbENKUlT_T0_E_clISt17integral_constantIbLb0EESZ_EEDaSU_SV_EUlSU_E_NS1_11comp_targetILNS1_3genE5ELNS1_11target_archE942ELNS1_3gpuE9ELNS1_3repE0EEENS1_30default_config_static_selectorELNS0_4arch9wavefront6targetE0EEEvT1_.uses_flat_scratch, 0
	.set _ZN7rocprim17ROCPRIM_400000_NS6detail17trampoline_kernelINS0_14default_configENS1_27scan_by_key_config_selectorIxxEEZZNS1_16scan_by_key_implILNS1_25lookback_scan_determinismE0ELb0ES3_N6thrust23THRUST_200600_302600_NS6detail15normal_iteratorINS9_10device_ptrIxEEEESE_SE_xNS9_10multipliesIxEENS9_8equal_toIxEExEE10hipError_tPvRmT2_T3_T4_T5_mT6_T7_P12ihipStream_tbENKUlT_T0_E_clISt17integral_constantIbLb0EESZ_EEDaSU_SV_EUlSU_E_NS1_11comp_targetILNS1_3genE5ELNS1_11target_archE942ELNS1_3gpuE9ELNS1_3repE0EEENS1_30default_config_static_selectorELNS0_4arch9wavefront6targetE0EEEvT1_.has_dyn_sized_stack, 0
	.set _ZN7rocprim17ROCPRIM_400000_NS6detail17trampoline_kernelINS0_14default_configENS1_27scan_by_key_config_selectorIxxEEZZNS1_16scan_by_key_implILNS1_25lookback_scan_determinismE0ELb0ES3_N6thrust23THRUST_200600_302600_NS6detail15normal_iteratorINS9_10device_ptrIxEEEESE_SE_xNS9_10multipliesIxEENS9_8equal_toIxEExEE10hipError_tPvRmT2_T3_T4_T5_mT6_T7_P12ihipStream_tbENKUlT_T0_E_clISt17integral_constantIbLb0EESZ_EEDaSU_SV_EUlSU_E_NS1_11comp_targetILNS1_3genE5ELNS1_11target_archE942ELNS1_3gpuE9ELNS1_3repE0EEENS1_30default_config_static_selectorELNS0_4arch9wavefront6targetE0EEEvT1_.has_recursion, 0
	.set _ZN7rocprim17ROCPRIM_400000_NS6detail17trampoline_kernelINS0_14default_configENS1_27scan_by_key_config_selectorIxxEEZZNS1_16scan_by_key_implILNS1_25lookback_scan_determinismE0ELb0ES3_N6thrust23THRUST_200600_302600_NS6detail15normal_iteratorINS9_10device_ptrIxEEEESE_SE_xNS9_10multipliesIxEENS9_8equal_toIxEExEE10hipError_tPvRmT2_T3_T4_T5_mT6_T7_P12ihipStream_tbENKUlT_T0_E_clISt17integral_constantIbLb0EESZ_EEDaSU_SV_EUlSU_E_NS1_11comp_targetILNS1_3genE5ELNS1_11target_archE942ELNS1_3gpuE9ELNS1_3repE0EEENS1_30default_config_static_selectorELNS0_4arch9wavefront6targetE0EEEvT1_.has_indirect_call, 0
	.section	.AMDGPU.csdata,"",@progbits
; Kernel info:
; codeLenInByte = 0
; TotalNumSgprs: 0
; NumVgprs: 0
; ScratchSize: 0
; MemoryBound: 0
; FloatMode: 240
; IeeeMode: 1
; LDSByteSize: 0 bytes/workgroup (compile time only)
; SGPRBlocks: 0
; VGPRBlocks: 0
; NumSGPRsForWavesPerEU: 1
; NumVGPRsForWavesPerEU: 1
; NamedBarCnt: 0
; Occupancy: 16
; WaveLimiterHint : 0
; COMPUTE_PGM_RSRC2:SCRATCH_EN: 0
; COMPUTE_PGM_RSRC2:USER_SGPR: 2
; COMPUTE_PGM_RSRC2:TRAP_HANDLER: 0
; COMPUTE_PGM_RSRC2:TGID_X_EN: 1
; COMPUTE_PGM_RSRC2:TGID_Y_EN: 0
; COMPUTE_PGM_RSRC2:TGID_Z_EN: 0
; COMPUTE_PGM_RSRC2:TIDIG_COMP_CNT: 0
	.section	.text._ZN7rocprim17ROCPRIM_400000_NS6detail17trampoline_kernelINS0_14default_configENS1_27scan_by_key_config_selectorIxxEEZZNS1_16scan_by_key_implILNS1_25lookback_scan_determinismE0ELb0ES3_N6thrust23THRUST_200600_302600_NS6detail15normal_iteratorINS9_10device_ptrIxEEEESE_SE_xNS9_10multipliesIxEENS9_8equal_toIxEExEE10hipError_tPvRmT2_T3_T4_T5_mT6_T7_P12ihipStream_tbENKUlT_T0_E_clISt17integral_constantIbLb0EESZ_EEDaSU_SV_EUlSU_E_NS1_11comp_targetILNS1_3genE4ELNS1_11target_archE910ELNS1_3gpuE8ELNS1_3repE0EEENS1_30default_config_static_selectorELNS0_4arch9wavefront6targetE0EEEvT1_,"axG",@progbits,_ZN7rocprim17ROCPRIM_400000_NS6detail17trampoline_kernelINS0_14default_configENS1_27scan_by_key_config_selectorIxxEEZZNS1_16scan_by_key_implILNS1_25lookback_scan_determinismE0ELb0ES3_N6thrust23THRUST_200600_302600_NS6detail15normal_iteratorINS9_10device_ptrIxEEEESE_SE_xNS9_10multipliesIxEENS9_8equal_toIxEExEE10hipError_tPvRmT2_T3_T4_T5_mT6_T7_P12ihipStream_tbENKUlT_T0_E_clISt17integral_constantIbLb0EESZ_EEDaSU_SV_EUlSU_E_NS1_11comp_targetILNS1_3genE4ELNS1_11target_archE910ELNS1_3gpuE8ELNS1_3repE0EEENS1_30default_config_static_selectorELNS0_4arch9wavefront6targetE0EEEvT1_,comdat
	.protected	_ZN7rocprim17ROCPRIM_400000_NS6detail17trampoline_kernelINS0_14default_configENS1_27scan_by_key_config_selectorIxxEEZZNS1_16scan_by_key_implILNS1_25lookback_scan_determinismE0ELb0ES3_N6thrust23THRUST_200600_302600_NS6detail15normal_iteratorINS9_10device_ptrIxEEEESE_SE_xNS9_10multipliesIxEENS9_8equal_toIxEExEE10hipError_tPvRmT2_T3_T4_T5_mT6_T7_P12ihipStream_tbENKUlT_T0_E_clISt17integral_constantIbLb0EESZ_EEDaSU_SV_EUlSU_E_NS1_11comp_targetILNS1_3genE4ELNS1_11target_archE910ELNS1_3gpuE8ELNS1_3repE0EEENS1_30default_config_static_selectorELNS0_4arch9wavefront6targetE0EEEvT1_ ; -- Begin function _ZN7rocprim17ROCPRIM_400000_NS6detail17trampoline_kernelINS0_14default_configENS1_27scan_by_key_config_selectorIxxEEZZNS1_16scan_by_key_implILNS1_25lookback_scan_determinismE0ELb0ES3_N6thrust23THRUST_200600_302600_NS6detail15normal_iteratorINS9_10device_ptrIxEEEESE_SE_xNS9_10multipliesIxEENS9_8equal_toIxEExEE10hipError_tPvRmT2_T3_T4_T5_mT6_T7_P12ihipStream_tbENKUlT_T0_E_clISt17integral_constantIbLb0EESZ_EEDaSU_SV_EUlSU_E_NS1_11comp_targetILNS1_3genE4ELNS1_11target_archE910ELNS1_3gpuE8ELNS1_3repE0EEENS1_30default_config_static_selectorELNS0_4arch9wavefront6targetE0EEEvT1_
	.globl	_ZN7rocprim17ROCPRIM_400000_NS6detail17trampoline_kernelINS0_14default_configENS1_27scan_by_key_config_selectorIxxEEZZNS1_16scan_by_key_implILNS1_25lookback_scan_determinismE0ELb0ES3_N6thrust23THRUST_200600_302600_NS6detail15normal_iteratorINS9_10device_ptrIxEEEESE_SE_xNS9_10multipliesIxEENS9_8equal_toIxEExEE10hipError_tPvRmT2_T3_T4_T5_mT6_T7_P12ihipStream_tbENKUlT_T0_E_clISt17integral_constantIbLb0EESZ_EEDaSU_SV_EUlSU_E_NS1_11comp_targetILNS1_3genE4ELNS1_11target_archE910ELNS1_3gpuE8ELNS1_3repE0EEENS1_30default_config_static_selectorELNS0_4arch9wavefront6targetE0EEEvT1_
	.p2align	8
	.type	_ZN7rocprim17ROCPRIM_400000_NS6detail17trampoline_kernelINS0_14default_configENS1_27scan_by_key_config_selectorIxxEEZZNS1_16scan_by_key_implILNS1_25lookback_scan_determinismE0ELb0ES3_N6thrust23THRUST_200600_302600_NS6detail15normal_iteratorINS9_10device_ptrIxEEEESE_SE_xNS9_10multipliesIxEENS9_8equal_toIxEExEE10hipError_tPvRmT2_T3_T4_T5_mT6_T7_P12ihipStream_tbENKUlT_T0_E_clISt17integral_constantIbLb0EESZ_EEDaSU_SV_EUlSU_E_NS1_11comp_targetILNS1_3genE4ELNS1_11target_archE910ELNS1_3gpuE8ELNS1_3repE0EEENS1_30default_config_static_selectorELNS0_4arch9wavefront6targetE0EEEvT1_,@function
_ZN7rocprim17ROCPRIM_400000_NS6detail17trampoline_kernelINS0_14default_configENS1_27scan_by_key_config_selectorIxxEEZZNS1_16scan_by_key_implILNS1_25lookback_scan_determinismE0ELb0ES3_N6thrust23THRUST_200600_302600_NS6detail15normal_iteratorINS9_10device_ptrIxEEEESE_SE_xNS9_10multipliesIxEENS9_8equal_toIxEExEE10hipError_tPvRmT2_T3_T4_T5_mT6_T7_P12ihipStream_tbENKUlT_T0_E_clISt17integral_constantIbLb0EESZ_EEDaSU_SV_EUlSU_E_NS1_11comp_targetILNS1_3genE4ELNS1_11target_archE910ELNS1_3gpuE8ELNS1_3repE0EEENS1_30default_config_static_selectorELNS0_4arch9wavefront6targetE0EEEvT1_: ; @_ZN7rocprim17ROCPRIM_400000_NS6detail17trampoline_kernelINS0_14default_configENS1_27scan_by_key_config_selectorIxxEEZZNS1_16scan_by_key_implILNS1_25lookback_scan_determinismE0ELb0ES3_N6thrust23THRUST_200600_302600_NS6detail15normal_iteratorINS9_10device_ptrIxEEEESE_SE_xNS9_10multipliesIxEENS9_8equal_toIxEExEE10hipError_tPvRmT2_T3_T4_T5_mT6_T7_P12ihipStream_tbENKUlT_T0_E_clISt17integral_constantIbLb0EESZ_EEDaSU_SV_EUlSU_E_NS1_11comp_targetILNS1_3genE4ELNS1_11target_archE910ELNS1_3gpuE8ELNS1_3repE0EEENS1_30default_config_static_selectorELNS0_4arch9wavefront6targetE0EEEvT1_
; %bb.0:
	.section	.rodata,"a",@progbits
	.p2align	6, 0x0
	.amdhsa_kernel _ZN7rocprim17ROCPRIM_400000_NS6detail17trampoline_kernelINS0_14default_configENS1_27scan_by_key_config_selectorIxxEEZZNS1_16scan_by_key_implILNS1_25lookback_scan_determinismE0ELb0ES3_N6thrust23THRUST_200600_302600_NS6detail15normal_iteratorINS9_10device_ptrIxEEEESE_SE_xNS9_10multipliesIxEENS9_8equal_toIxEExEE10hipError_tPvRmT2_T3_T4_T5_mT6_T7_P12ihipStream_tbENKUlT_T0_E_clISt17integral_constantIbLb0EESZ_EEDaSU_SV_EUlSU_E_NS1_11comp_targetILNS1_3genE4ELNS1_11target_archE910ELNS1_3gpuE8ELNS1_3repE0EEENS1_30default_config_static_selectorELNS0_4arch9wavefront6targetE0EEEvT1_
		.amdhsa_group_segment_fixed_size 0
		.amdhsa_private_segment_fixed_size 0
		.amdhsa_kernarg_size 136
		.amdhsa_user_sgpr_count 2
		.amdhsa_user_sgpr_dispatch_ptr 0
		.amdhsa_user_sgpr_queue_ptr 0
		.amdhsa_user_sgpr_kernarg_segment_ptr 1
		.amdhsa_user_sgpr_dispatch_id 0
		.amdhsa_user_sgpr_kernarg_preload_length 0
		.amdhsa_user_sgpr_kernarg_preload_offset 0
		.amdhsa_user_sgpr_private_segment_size 0
		.amdhsa_wavefront_size32 1
		.amdhsa_uses_dynamic_stack 0
		.amdhsa_enable_private_segment 0
		.amdhsa_system_sgpr_workgroup_id_x 1
		.amdhsa_system_sgpr_workgroup_id_y 0
		.amdhsa_system_sgpr_workgroup_id_z 0
		.amdhsa_system_sgpr_workgroup_info 0
		.amdhsa_system_vgpr_workitem_id 0
		.amdhsa_next_free_vgpr 1
		.amdhsa_next_free_sgpr 1
		.amdhsa_named_barrier_count 0
		.amdhsa_reserve_vcc 0
		.amdhsa_float_round_mode_32 0
		.amdhsa_float_round_mode_16_64 0
		.amdhsa_float_denorm_mode_32 3
		.amdhsa_float_denorm_mode_16_64 3
		.amdhsa_fp16_overflow 0
		.amdhsa_memory_ordered 1
		.amdhsa_forward_progress 1
		.amdhsa_inst_pref_size 0
		.amdhsa_round_robin_scheduling 0
		.amdhsa_exception_fp_ieee_invalid_op 0
		.amdhsa_exception_fp_denorm_src 0
		.amdhsa_exception_fp_ieee_div_zero 0
		.amdhsa_exception_fp_ieee_overflow 0
		.amdhsa_exception_fp_ieee_underflow 0
		.amdhsa_exception_fp_ieee_inexact 0
		.amdhsa_exception_int_div_zero 0
	.end_amdhsa_kernel
	.section	.text._ZN7rocprim17ROCPRIM_400000_NS6detail17trampoline_kernelINS0_14default_configENS1_27scan_by_key_config_selectorIxxEEZZNS1_16scan_by_key_implILNS1_25lookback_scan_determinismE0ELb0ES3_N6thrust23THRUST_200600_302600_NS6detail15normal_iteratorINS9_10device_ptrIxEEEESE_SE_xNS9_10multipliesIxEENS9_8equal_toIxEExEE10hipError_tPvRmT2_T3_T4_T5_mT6_T7_P12ihipStream_tbENKUlT_T0_E_clISt17integral_constantIbLb0EESZ_EEDaSU_SV_EUlSU_E_NS1_11comp_targetILNS1_3genE4ELNS1_11target_archE910ELNS1_3gpuE8ELNS1_3repE0EEENS1_30default_config_static_selectorELNS0_4arch9wavefront6targetE0EEEvT1_,"axG",@progbits,_ZN7rocprim17ROCPRIM_400000_NS6detail17trampoline_kernelINS0_14default_configENS1_27scan_by_key_config_selectorIxxEEZZNS1_16scan_by_key_implILNS1_25lookback_scan_determinismE0ELb0ES3_N6thrust23THRUST_200600_302600_NS6detail15normal_iteratorINS9_10device_ptrIxEEEESE_SE_xNS9_10multipliesIxEENS9_8equal_toIxEExEE10hipError_tPvRmT2_T3_T4_T5_mT6_T7_P12ihipStream_tbENKUlT_T0_E_clISt17integral_constantIbLb0EESZ_EEDaSU_SV_EUlSU_E_NS1_11comp_targetILNS1_3genE4ELNS1_11target_archE910ELNS1_3gpuE8ELNS1_3repE0EEENS1_30default_config_static_selectorELNS0_4arch9wavefront6targetE0EEEvT1_,comdat
.Lfunc_end50:
	.size	_ZN7rocprim17ROCPRIM_400000_NS6detail17trampoline_kernelINS0_14default_configENS1_27scan_by_key_config_selectorIxxEEZZNS1_16scan_by_key_implILNS1_25lookback_scan_determinismE0ELb0ES3_N6thrust23THRUST_200600_302600_NS6detail15normal_iteratorINS9_10device_ptrIxEEEESE_SE_xNS9_10multipliesIxEENS9_8equal_toIxEExEE10hipError_tPvRmT2_T3_T4_T5_mT6_T7_P12ihipStream_tbENKUlT_T0_E_clISt17integral_constantIbLb0EESZ_EEDaSU_SV_EUlSU_E_NS1_11comp_targetILNS1_3genE4ELNS1_11target_archE910ELNS1_3gpuE8ELNS1_3repE0EEENS1_30default_config_static_selectorELNS0_4arch9wavefront6targetE0EEEvT1_, .Lfunc_end50-_ZN7rocprim17ROCPRIM_400000_NS6detail17trampoline_kernelINS0_14default_configENS1_27scan_by_key_config_selectorIxxEEZZNS1_16scan_by_key_implILNS1_25lookback_scan_determinismE0ELb0ES3_N6thrust23THRUST_200600_302600_NS6detail15normal_iteratorINS9_10device_ptrIxEEEESE_SE_xNS9_10multipliesIxEENS9_8equal_toIxEExEE10hipError_tPvRmT2_T3_T4_T5_mT6_T7_P12ihipStream_tbENKUlT_T0_E_clISt17integral_constantIbLb0EESZ_EEDaSU_SV_EUlSU_E_NS1_11comp_targetILNS1_3genE4ELNS1_11target_archE910ELNS1_3gpuE8ELNS1_3repE0EEENS1_30default_config_static_selectorELNS0_4arch9wavefront6targetE0EEEvT1_
                                        ; -- End function
	.set _ZN7rocprim17ROCPRIM_400000_NS6detail17trampoline_kernelINS0_14default_configENS1_27scan_by_key_config_selectorIxxEEZZNS1_16scan_by_key_implILNS1_25lookback_scan_determinismE0ELb0ES3_N6thrust23THRUST_200600_302600_NS6detail15normal_iteratorINS9_10device_ptrIxEEEESE_SE_xNS9_10multipliesIxEENS9_8equal_toIxEExEE10hipError_tPvRmT2_T3_T4_T5_mT6_T7_P12ihipStream_tbENKUlT_T0_E_clISt17integral_constantIbLb0EESZ_EEDaSU_SV_EUlSU_E_NS1_11comp_targetILNS1_3genE4ELNS1_11target_archE910ELNS1_3gpuE8ELNS1_3repE0EEENS1_30default_config_static_selectorELNS0_4arch9wavefront6targetE0EEEvT1_.num_vgpr, 0
	.set _ZN7rocprim17ROCPRIM_400000_NS6detail17trampoline_kernelINS0_14default_configENS1_27scan_by_key_config_selectorIxxEEZZNS1_16scan_by_key_implILNS1_25lookback_scan_determinismE0ELb0ES3_N6thrust23THRUST_200600_302600_NS6detail15normal_iteratorINS9_10device_ptrIxEEEESE_SE_xNS9_10multipliesIxEENS9_8equal_toIxEExEE10hipError_tPvRmT2_T3_T4_T5_mT6_T7_P12ihipStream_tbENKUlT_T0_E_clISt17integral_constantIbLb0EESZ_EEDaSU_SV_EUlSU_E_NS1_11comp_targetILNS1_3genE4ELNS1_11target_archE910ELNS1_3gpuE8ELNS1_3repE0EEENS1_30default_config_static_selectorELNS0_4arch9wavefront6targetE0EEEvT1_.num_agpr, 0
	.set _ZN7rocprim17ROCPRIM_400000_NS6detail17trampoline_kernelINS0_14default_configENS1_27scan_by_key_config_selectorIxxEEZZNS1_16scan_by_key_implILNS1_25lookback_scan_determinismE0ELb0ES3_N6thrust23THRUST_200600_302600_NS6detail15normal_iteratorINS9_10device_ptrIxEEEESE_SE_xNS9_10multipliesIxEENS9_8equal_toIxEExEE10hipError_tPvRmT2_T3_T4_T5_mT6_T7_P12ihipStream_tbENKUlT_T0_E_clISt17integral_constantIbLb0EESZ_EEDaSU_SV_EUlSU_E_NS1_11comp_targetILNS1_3genE4ELNS1_11target_archE910ELNS1_3gpuE8ELNS1_3repE0EEENS1_30default_config_static_selectorELNS0_4arch9wavefront6targetE0EEEvT1_.numbered_sgpr, 0
	.set _ZN7rocprim17ROCPRIM_400000_NS6detail17trampoline_kernelINS0_14default_configENS1_27scan_by_key_config_selectorIxxEEZZNS1_16scan_by_key_implILNS1_25lookback_scan_determinismE0ELb0ES3_N6thrust23THRUST_200600_302600_NS6detail15normal_iteratorINS9_10device_ptrIxEEEESE_SE_xNS9_10multipliesIxEENS9_8equal_toIxEExEE10hipError_tPvRmT2_T3_T4_T5_mT6_T7_P12ihipStream_tbENKUlT_T0_E_clISt17integral_constantIbLb0EESZ_EEDaSU_SV_EUlSU_E_NS1_11comp_targetILNS1_3genE4ELNS1_11target_archE910ELNS1_3gpuE8ELNS1_3repE0EEENS1_30default_config_static_selectorELNS0_4arch9wavefront6targetE0EEEvT1_.num_named_barrier, 0
	.set _ZN7rocprim17ROCPRIM_400000_NS6detail17trampoline_kernelINS0_14default_configENS1_27scan_by_key_config_selectorIxxEEZZNS1_16scan_by_key_implILNS1_25lookback_scan_determinismE0ELb0ES3_N6thrust23THRUST_200600_302600_NS6detail15normal_iteratorINS9_10device_ptrIxEEEESE_SE_xNS9_10multipliesIxEENS9_8equal_toIxEExEE10hipError_tPvRmT2_T3_T4_T5_mT6_T7_P12ihipStream_tbENKUlT_T0_E_clISt17integral_constantIbLb0EESZ_EEDaSU_SV_EUlSU_E_NS1_11comp_targetILNS1_3genE4ELNS1_11target_archE910ELNS1_3gpuE8ELNS1_3repE0EEENS1_30default_config_static_selectorELNS0_4arch9wavefront6targetE0EEEvT1_.private_seg_size, 0
	.set _ZN7rocprim17ROCPRIM_400000_NS6detail17trampoline_kernelINS0_14default_configENS1_27scan_by_key_config_selectorIxxEEZZNS1_16scan_by_key_implILNS1_25lookback_scan_determinismE0ELb0ES3_N6thrust23THRUST_200600_302600_NS6detail15normal_iteratorINS9_10device_ptrIxEEEESE_SE_xNS9_10multipliesIxEENS9_8equal_toIxEExEE10hipError_tPvRmT2_T3_T4_T5_mT6_T7_P12ihipStream_tbENKUlT_T0_E_clISt17integral_constantIbLb0EESZ_EEDaSU_SV_EUlSU_E_NS1_11comp_targetILNS1_3genE4ELNS1_11target_archE910ELNS1_3gpuE8ELNS1_3repE0EEENS1_30default_config_static_selectorELNS0_4arch9wavefront6targetE0EEEvT1_.uses_vcc, 0
	.set _ZN7rocprim17ROCPRIM_400000_NS6detail17trampoline_kernelINS0_14default_configENS1_27scan_by_key_config_selectorIxxEEZZNS1_16scan_by_key_implILNS1_25lookback_scan_determinismE0ELb0ES3_N6thrust23THRUST_200600_302600_NS6detail15normal_iteratorINS9_10device_ptrIxEEEESE_SE_xNS9_10multipliesIxEENS9_8equal_toIxEExEE10hipError_tPvRmT2_T3_T4_T5_mT6_T7_P12ihipStream_tbENKUlT_T0_E_clISt17integral_constantIbLb0EESZ_EEDaSU_SV_EUlSU_E_NS1_11comp_targetILNS1_3genE4ELNS1_11target_archE910ELNS1_3gpuE8ELNS1_3repE0EEENS1_30default_config_static_selectorELNS0_4arch9wavefront6targetE0EEEvT1_.uses_flat_scratch, 0
	.set _ZN7rocprim17ROCPRIM_400000_NS6detail17trampoline_kernelINS0_14default_configENS1_27scan_by_key_config_selectorIxxEEZZNS1_16scan_by_key_implILNS1_25lookback_scan_determinismE0ELb0ES3_N6thrust23THRUST_200600_302600_NS6detail15normal_iteratorINS9_10device_ptrIxEEEESE_SE_xNS9_10multipliesIxEENS9_8equal_toIxEExEE10hipError_tPvRmT2_T3_T4_T5_mT6_T7_P12ihipStream_tbENKUlT_T0_E_clISt17integral_constantIbLb0EESZ_EEDaSU_SV_EUlSU_E_NS1_11comp_targetILNS1_3genE4ELNS1_11target_archE910ELNS1_3gpuE8ELNS1_3repE0EEENS1_30default_config_static_selectorELNS0_4arch9wavefront6targetE0EEEvT1_.has_dyn_sized_stack, 0
	.set _ZN7rocprim17ROCPRIM_400000_NS6detail17trampoline_kernelINS0_14default_configENS1_27scan_by_key_config_selectorIxxEEZZNS1_16scan_by_key_implILNS1_25lookback_scan_determinismE0ELb0ES3_N6thrust23THRUST_200600_302600_NS6detail15normal_iteratorINS9_10device_ptrIxEEEESE_SE_xNS9_10multipliesIxEENS9_8equal_toIxEExEE10hipError_tPvRmT2_T3_T4_T5_mT6_T7_P12ihipStream_tbENKUlT_T0_E_clISt17integral_constantIbLb0EESZ_EEDaSU_SV_EUlSU_E_NS1_11comp_targetILNS1_3genE4ELNS1_11target_archE910ELNS1_3gpuE8ELNS1_3repE0EEENS1_30default_config_static_selectorELNS0_4arch9wavefront6targetE0EEEvT1_.has_recursion, 0
	.set _ZN7rocprim17ROCPRIM_400000_NS6detail17trampoline_kernelINS0_14default_configENS1_27scan_by_key_config_selectorIxxEEZZNS1_16scan_by_key_implILNS1_25lookback_scan_determinismE0ELb0ES3_N6thrust23THRUST_200600_302600_NS6detail15normal_iteratorINS9_10device_ptrIxEEEESE_SE_xNS9_10multipliesIxEENS9_8equal_toIxEExEE10hipError_tPvRmT2_T3_T4_T5_mT6_T7_P12ihipStream_tbENKUlT_T0_E_clISt17integral_constantIbLb0EESZ_EEDaSU_SV_EUlSU_E_NS1_11comp_targetILNS1_3genE4ELNS1_11target_archE910ELNS1_3gpuE8ELNS1_3repE0EEENS1_30default_config_static_selectorELNS0_4arch9wavefront6targetE0EEEvT1_.has_indirect_call, 0
	.section	.AMDGPU.csdata,"",@progbits
; Kernel info:
; codeLenInByte = 0
; TotalNumSgprs: 0
; NumVgprs: 0
; ScratchSize: 0
; MemoryBound: 0
; FloatMode: 240
; IeeeMode: 1
; LDSByteSize: 0 bytes/workgroup (compile time only)
; SGPRBlocks: 0
; VGPRBlocks: 0
; NumSGPRsForWavesPerEU: 1
; NumVGPRsForWavesPerEU: 1
; NamedBarCnt: 0
; Occupancy: 16
; WaveLimiterHint : 0
; COMPUTE_PGM_RSRC2:SCRATCH_EN: 0
; COMPUTE_PGM_RSRC2:USER_SGPR: 2
; COMPUTE_PGM_RSRC2:TRAP_HANDLER: 0
; COMPUTE_PGM_RSRC2:TGID_X_EN: 1
; COMPUTE_PGM_RSRC2:TGID_Y_EN: 0
; COMPUTE_PGM_RSRC2:TGID_Z_EN: 0
; COMPUTE_PGM_RSRC2:TIDIG_COMP_CNT: 0
	.section	.text._ZN7rocprim17ROCPRIM_400000_NS6detail17trampoline_kernelINS0_14default_configENS1_27scan_by_key_config_selectorIxxEEZZNS1_16scan_by_key_implILNS1_25lookback_scan_determinismE0ELb0ES3_N6thrust23THRUST_200600_302600_NS6detail15normal_iteratorINS9_10device_ptrIxEEEESE_SE_xNS9_10multipliesIxEENS9_8equal_toIxEExEE10hipError_tPvRmT2_T3_T4_T5_mT6_T7_P12ihipStream_tbENKUlT_T0_E_clISt17integral_constantIbLb0EESZ_EEDaSU_SV_EUlSU_E_NS1_11comp_targetILNS1_3genE3ELNS1_11target_archE908ELNS1_3gpuE7ELNS1_3repE0EEENS1_30default_config_static_selectorELNS0_4arch9wavefront6targetE0EEEvT1_,"axG",@progbits,_ZN7rocprim17ROCPRIM_400000_NS6detail17trampoline_kernelINS0_14default_configENS1_27scan_by_key_config_selectorIxxEEZZNS1_16scan_by_key_implILNS1_25lookback_scan_determinismE0ELb0ES3_N6thrust23THRUST_200600_302600_NS6detail15normal_iteratorINS9_10device_ptrIxEEEESE_SE_xNS9_10multipliesIxEENS9_8equal_toIxEExEE10hipError_tPvRmT2_T3_T4_T5_mT6_T7_P12ihipStream_tbENKUlT_T0_E_clISt17integral_constantIbLb0EESZ_EEDaSU_SV_EUlSU_E_NS1_11comp_targetILNS1_3genE3ELNS1_11target_archE908ELNS1_3gpuE7ELNS1_3repE0EEENS1_30default_config_static_selectorELNS0_4arch9wavefront6targetE0EEEvT1_,comdat
	.protected	_ZN7rocprim17ROCPRIM_400000_NS6detail17trampoline_kernelINS0_14default_configENS1_27scan_by_key_config_selectorIxxEEZZNS1_16scan_by_key_implILNS1_25lookback_scan_determinismE0ELb0ES3_N6thrust23THRUST_200600_302600_NS6detail15normal_iteratorINS9_10device_ptrIxEEEESE_SE_xNS9_10multipliesIxEENS9_8equal_toIxEExEE10hipError_tPvRmT2_T3_T4_T5_mT6_T7_P12ihipStream_tbENKUlT_T0_E_clISt17integral_constantIbLb0EESZ_EEDaSU_SV_EUlSU_E_NS1_11comp_targetILNS1_3genE3ELNS1_11target_archE908ELNS1_3gpuE7ELNS1_3repE0EEENS1_30default_config_static_selectorELNS0_4arch9wavefront6targetE0EEEvT1_ ; -- Begin function _ZN7rocprim17ROCPRIM_400000_NS6detail17trampoline_kernelINS0_14default_configENS1_27scan_by_key_config_selectorIxxEEZZNS1_16scan_by_key_implILNS1_25lookback_scan_determinismE0ELb0ES3_N6thrust23THRUST_200600_302600_NS6detail15normal_iteratorINS9_10device_ptrIxEEEESE_SE_xNS9_10multipliesIxEENS9_8equal_toIxEExEE10hipError_tPvRmT2_T3_T4_T5_mT6_T7_P12ihipStream_tbENKUlT_T0_E_clISt17integral_constantIbLb0EESZ_EEDaSU_SV_EUlSU_E_NS1_11comp_targetILNS1_3genE3ELNS1_11target_archE908ELNS1_3gpuE7ELNS1_3repE0EEENS1_30default_config_static_selectorELNS0_4arch9wavefront6targetE0EEEvT1_
	.globl	_ZN7rocprim17ROCPRIM_400000_NS6detail17trampoline_kernelINS0_14default_configENS1_27scan_by_key_config_selectorIxxEEZZNS1_16scan_by_key_implILNS1_25lookback_scan_determinismE0ELb0ES3_N6thrust23THRUST_200600_302600_NS6detail15normal_iteratorINS9_10device_ptrIxEEEESE_SE_xNS9_10multipliesIxEENS9_8equal_toIxEExEE10hipError_tPvRmT2_T3_T4_T5_mT6_T7_P12ihipStream_tbENKUlT_T0_E_clISt17integral_constantIbLb0EESZ_EEDaSU_SV_EUlSU_E_NS1_11comp_targetILNS1_3genE3ELNS1_11target_archE908ELNS1_3gpuE7ELNS1_3repE0EEENS1_30default_config_static_selectorELNS0_4arch9wavefront6targetE0EEEvT1_
	.p2align	8
	.type	_ZN7rocprim17ROCPRIM_400000_NS6detail17trampoline_kernelINS0_14default_configENS1_27scan_by_key_config_selectorIxxEEZZNS1_16scan_by_key_implILNS1_25lookback_scan_determinismE0ELb0ES3_N6thrust23THRUST_200600_302600_NS6detail15normal_iteratorINS9_10device_ptrIxEEEESE_SE_xNS9_10multipliesIxEENS9_8equal_toIxEExEE10hipError_tPvRmT2_T3_T4_T5_mT6_T7_P12ihipStream_tbENKUlT_T0_E_clISt17integral_constantIbLb0EESZ_EEDaSU_SV_EUlSU_E_NS1_11comp_targetILNS1_3genE3ELNS1_11target_archE908ELNS1_3gpuE7ELNS1_3repE0EEENS1_30default_config_static_selectorELNS0_4arch9wavefront6targetE0EEEvT1_,@function
_ZN7rocprim17ROCPRIM_400000_NS6detail17trampoline_kernelINS0_14default_configENS1_27scan_by_key_config_selectorIxxEEZZNS1_16scan_by_key_implILNS1_25lookback_scan_determinismE0ELb0ES3_N6thrust23THRUST_200600_302600_NS6detail15normal_iteratorINS9_10device_ptrIxEEEESE_SE_xNS9_10multipliesIxEENS9_8equal_toIxEExEE10hipError_tPvRmT2_T3_T4_T5_mT6_T7_P12ihipStream_tbENKUlT_T0_E_clISt17integral_constantIbLb0EESZ_EEDaSU_SV_EUlSU_E_NS1_11comp_targetILNS1_3genE3ELNS1_11target_archE908ELNS1_3gpuE7ELNS1_3repE0EEENS1_30default_config_static_selectorELNS0_4arch9wavefront6targetE0EEEvT1_: ; @_ZN7rocprim17ROCPRIM_400000_NS6detail17trampoline_kernelINS0_14default_configENS1_27scan_by_key_config_selectorIxxEEZZNS1_16scan_by_key_implILNS1_25lookback_scan_determinismE0ELb0ES3_N6thrust23THRUST_200600_302600_NS6detail15normal_iteratorINS9_10device_ptrIxEEEESE_SE_xNS9_10multipliesIxEENS9_8equal_toIxEExEE10hipError_tPvRmT2_T3_T4_T5_mT6_T7_P12ihipStream_tbENKUlT_T0_E_clISt17integral_constantIbLb0EESZ_EEDaSU_SV_EUlSU_E_NS1_11comp_targetILNS1_3genE3ELNS1_11target_archE908ELNS1_3gpuE7ELNS1_3repE0EEENS1_30default_config_static_selectorELNS0_4arch9wavefront6targetE0EEEvT1_
; %bb.0:
	.section	.rodata,"a",@progbits
	.p2align	6, 0x0
	.amdhsa_kernel _ZN7rocprim17ROCPRIM_400000_NS6detail17trampoline_kernelINS0_14default_configENS1_27scan_by_key_config_selectorIxxEEZZNS1_16scan_by_key_implILNS1_25lookback_scan_determinismE0ELb0ES3_N6thrust23THRUST_200600_302600_NS6detail15normal_iteratorINS9_10device_ptrIxEEEESE_SE_xNS9_10multipliesIxEENS9_8equal_toIxEExEE10hipError_tPvRmT2_T3_T4_T5_mT6_T7_P12ihipStream_tbENKUlT_T0_E_clISt17integral_constantIbLb0EESZ_EEDaSU_SV_EUlSU_E_NS1_11comp_targetILNS1_3genE3ELNS1_11target_archE908ELNS1_3gpuE7ELNS1_3repE0EEENS1_30default_config_static_selectorELNS0_4arch9wavefront6targetE0EEEvT1_
		.amdhsa_group_segment_fixed_size 0
		.amdhsa_private_segment_fixed_size 0
		.amdhsa_kernarg_size 136
		.amdhsa_user_sgpr_count 2
		.amdhsa_user_sgpr_dispatch_ptr 0
		.amdhsa_user_sgpr_queue_ptr 0
		.amdhsa_user_sgpr_kernarg_segment_ptr 1
		.amdhsa_user_sgpr_dispatch_id 0
		.amdhsa_user_sgpr_kernarg_preload_length 0
		.amdhsa_user_sgpr_kernarg_preload_offset 0
		.amdhsa_user_sgpr_private_segment_size 0
		.amdhsa_wavefront_size32 1
		.amdhsa_uses_dynamic_stack 0
		.amdhsa_enable_private_segment 0
		.amdhsa_system_sgpr_workgroup_id_x 1
		.amdhsa_system_sgpr_workgroup_id_y 0
		.amdhsa_system_sgpr_workgroup_id_z 0
		.amdhsa_system_sgpr_workgroup_info 0
		.amdhsa_system_vgpr_workitem_id 0
		.amdhsa_next_free_vgpr 1
		.amdhsa_next_free_sgpr 1
		.amdhsa_named_barrier_count 0
		.amdhsa_reserve_vcc 0
		.amdhsa_float_round_mode_32 0
		.amdhsa_float_round_mode_16_64 0
		.amdhsa_float_denorm_mode_32 3
		.amdhsa_float_denorm_mode_16_64 3
		.amdhsa_fp16_overflow 0
		.amdhsa_memory_ordered 1
		.amdhsa_forward_progress 1
		.amdhsa_inst_pref_size 0
		.amdhsa_round_robin_scheduling 0
		.amdhsa_exception_fp_ieee_invalid_op 0
		.amdhsa_exception_fp_denorm_src 0
		.amdhsa_exception_fp_ieee_div_zero 0
		.amdhsa_exception_fp_ieee_overflow 0
		.amdhsa_exception_fp_ieee_underflow 0
		.amdhsa_exception_fp_ieee_inexact 0
		.amdhsa_exception_int_div_zero 0
	.end_amdhsa_kernel
	.section	.text._ZN7rocprim17ROCPRIM_400000_NS6detail17trampoline_kernelINS0_14default_configENS1_27scan_by_key_config_selectorIxxEEZZNS1_16scan_by_key_implILNS1_25lookback_scan_determinismE0ELb0ES3_N6thrust23THRUST_200600_302600_NS6detail15normal_iteratorINS9_10device_ptrIxEEEESE_SE_xNS9_10multipliesIxEENS9_8equal_toIxEExEE10hipError_tPvRmT2_T3_T4_T5_mT6_T7_P12ihipStream_tbENKUlT_T0_E_clISt17integral_constantIbLb0EESZ_EEDaSU_SV_EUlSU_E_NS1_11comp_targetILNS1_3genE3ELNS1_11target_archE908ELNS1_3gpuE7ELNS1_3repE0EEENS1_30default_config_static_selectorELNS0_4arch9wavefront6targetE0EEEvT1_,"axG",@progbits,_ZN7rocprim17ROCPRIM_400000_NS6detail17trampoline_kernelINS0_14default_configENS1_27scan_by_key_config_selectorIxxEEZZNS1_16scan_by_key_implILNS1_25lookback_scan_determinismE0ELb0ES3_N6thrust23THRUST_200600_302600_NS6detail15normal_iteratorINS9_10device_ptrIxEEEESE_SE_xNS9_10multipliesIxEENS9_8equal_toIxEExEE10hipError_tPvRmT2_T3_T4_T5_mT6_T7_P12ihipStream_tbENKUlT_T0_E_clISt17integral_constantIbLb0EESZ_EEDaSU_SV_EUlSU_E_NS1_11comp_targetILNS1_3genE3ELNS1_11target_archE908ELNS1_3gpuE7ELNS1_3repE0EEENS1_30default_config_static_selectorELNS0_4arch9wavefront6targetE0EEEvT1_,comdat
.Lfunc_end51:
	.size	_ZN7rocprim17ROCPRIM_400000_NS6detail17trampoline_kernelINS0_14default_configENS1_27scan_by_key_config_selectorIxxEEZZNS1_16scan_by_key_implILNS1_25lookback_scan_determinismE0ELb0ES3_N6thrust23THRUST_200600_302600_NS6detail15normal_iteratorINS9_10device_ptrIxEEEESE_SE_xNS9_10multipliesIxEENS9_8equal_toIxEExEE10hipError_tPvRmT2_T3_T4_T5_mT6_T7_P12ihipStream_tbENKUlT_T0_E_clISt17integral_constantIbLb0EESZ_EEDaSU_SV_EUlSU_E_NS1_11comp_targetILNS1_3genE3ELNS1_11target_archE908ELNS1_3gpuE7ELNS1_3repE0EEENS1_30default_config_static_selectorELNS0_4arch9wavefront6targetE0EEEvT1_, .Lfunc_end51-_ZN7rocprim17ROCPRIM_400000_NS6detail17trampoline_kernelINS0_14default_configENS1_27scan_by_key_config_selectorIxxEEZZNS1_16scan_by_key_implILNS1_25lookback_scan_determinismE0ELb0ES3_N6thrust23THRUST_200600_302600_NS6detail15normal_iteratorINS9_10device_ptrIxEEEESE_SE_xNS9_10multipliesIxEENS9_8equal_toIxEExEE10hipError_tPvRmT2_T3_T4_T5_mT6_T7_P12ihipStream_tbENKUlT_T0_E_clISt17integral_constantIbLb0EESZ_EEDaSU_SV_EUlSU_E_NS1_11comp_targetILNS1_3genE3ELNS1_11target_archE908ELNS1_3gpuE7ELNS1_3repE0EEENS1_30default_config_static_selectorELNS0_4arch9wavefront6targetE0EEEvT1_
                                        ; -- End function
	.set _ZN7rocprim17ROCPRIM_400000_NS6detail17trampoline_kernelINS0_14default_configENS1_27scan_by_key_config_selectorIxxEEZZNS1_16scan_by_key_implILNS1_25lookback_scan_determinismE0ELb0ES3_N6thrust23THRUST_200600_302600_NS6detail15normal_iteratorINS9_10device_ptrIxEEEESE_SE_xNS9_10multipliesIxEENS9_8equal_toIxEExEE10hipError_tPvRmT2_T3_T4_T5_mT6_T7_P12ihipStream_tbENKUlT_T0_E_clISt17integral_constantIbLb0EESZ_EEDaSU_SV_EUlSU_E_NS1_11comp_targetILNS1_3genE3ELNS1_11target_archE908ELNS1_3gpuE7ELNS1_3repE0EEENS1_30default_config_static_selectorELNS0_4arch9wavefront6targetE0EEEvT1_.num_vgpr, 0
	.set _ZN7rocprim17ROCPRIM_400000_NS6detail17trampoline_kernelINS0_14default_configENS1_27scan_by_key_config_selectorIxxEEZZNS1_16scan_by_key_implILNS1_25lookback_scan_determinismE0ELb0ES3_N6thrust23THRUST_200600_302600_NS6detail15normal_iteratorINS9_10device_ptrIxEEEESE_SE_xNS9_10multipliesIxEENS9_8equal_toIxEExEE10hipError_tPvRmT2_T3_T4_T5_mT6_T7_P12ihipStream_tbENKUlT_T0_E_clISt17integral_constantIbLb0EESZ_EEDaSU_SV_EUlSU_E_NS1_11comp_targetILNS1_3genE3ELNS1_11target_archE908ELNS1_3gpuE7ELNS1_3repE0EEENS1_30default_config_static_selectorELNS0_4arch9wavefront6targetE0EEEvT1_.num_agpr, 0
	.set _ZN7rocprim17ROCPRIM_400000_NS6detail17trampoline_kernelINS0_14default_configENS1_27scan_by_key_config_selectorIxxEEZZNS1_16scan_by_key_implILNS1_25lookback_scan_determinismE0ELb0ES3_N6thrust23THRUST_200600_302600_NS6detail15normal_iteratorINS9_10device_ptrIxEEEESE_SE_xNS9_10multipliesIxEENS9_8equal_toIxEExEE10hipError_tPvRmT2_T3_T4_T5_mT6_T7_P12ihipStream_tbENKUlT_T0_E_clISt17integral_constantIbLb0EESZ_EEDaSU_SV_EUlSU_E_NS1_11comp_targetILNS1_3genE3ELNS1_11target_archE908ELNS1_3gpuE7ELNS1_3repE0EEENS1_30default_config_static_selectorELNS0_4arch9wavefront6targetE0EEEvT1_.numbered_sgpr, 0
	.set _ZN7rocprim17ROCPRIM_400000_NS6detail17trampoline_kernelINS0_14default_configENS1_27scan_by_key_config_selectorIxxEEZZNS1_16scan_by_key_implILNS1_25lookback_scan_determinismE0ELb0ES3_N6thrust23THRUST_200600_302600_NS6detail15normal_iteratorINS9_10device_ptrIxEEEESE_SE_xNS9_10multipliesIxEENS9_8equal_toIxEExEE10hipError_tPvRmT2_T3_T4_T5_mT6_T7_P12ihipStream_tbENKUlT_T0_E_clISt17integral_constantIbLb0EESZ_EEDaSU_SV_EUlSU_E_NS1_11comp_targetILNS1_3genE3ELNS1_11target_archE908ELNS1_3gpuE7ELNS1_3repE0EEENS1_30default_config_static_selectorELNS0_4arch9wavefront6targetE0EEEvT1_.num_named_barrier, 0
	.set _ZN7rocprim17ROCPRIM_400000_NS6detail17trampoline_kernelINS0_14default_configENS1_27scan_by_key_config_selectorIxxEEZZNS1_16scan_by_key_implILNS1_25lookback_scan_determinismE0ELb0ES3_N6thrust23THRUST_200600_302600_NS6detail15normal_iteratorINS9_10device_ptrIxEEEESE_SE_xNS9_10multipliesIxEENS9_8equal_toIxEExEE10hipError_tPvRmT2_T3_T4_T5_mT6_T7_P12ihipStream_tbENKUlT_T0_E_clISt17integral_constantIbLb0EESZ_EEDaSU_SV_EUlSU_E_NS1_11comp_targetILNS1_3genE3ELNS1_11target_archE908ELNS1_3gpuE7ELNS1_3repE0EEENS1_30default_config_static_selectorELNS0_4arch9wavefront6targetE0EEEvT1_.private_seg_size, 0
	.set _ZN7rocprim17ROCPRIM_400000_NS6detail17trampoline_kernelINS0_14default_configENS1_27scan_by_key_config_selectorIxxEEZZNS1_16scan_by_key_implILNS1_25lookback_scan_determinismE0ELb0ES3_N6thrust23THRUST_200600_302600_NS6detail15normal_iteratorINS9_10device_ptrIxEEEESE_SE_xNS9_10multipliesIxEENS9_8equal_toIxEExEE10hipError_tPvRmT2_T3_T4_T5_mT6_T7_P12ihipStream_tbENKUlT_T0_E_clISt17integral_constantIbLb0EESZ_EEDaSU_SV_EUlSU_E_NS1_11comp_targetILNS1_3genE3ELNS1_11target_archE908ELNS1_3gpuE7ELNS1_3repE0EEENS1_30default_config_static_selectorELNS0_4arch9wavefront6targetE0EEEvT1_.uses_vcc, 0
	.set _ZN7rocprim17ROCPRIM_400000_NS6detail17trampoline_kernelINS0_14default_configENS1_27scan_by_key_config_selectorIxxEEZZNS1_16scan_by_key_implILNS1_25lookback_scan_determinismE0ELb0ES3_N6thrust23THRUST_200600_302600_NS6detail15normal_iteratorINS9_10device_ptrIxEEEESE_SE_xNS9_10multipliesIxEENS9_8equal_toIxEExEE10hipError_tPvRmT2_T3_T4_T5_mT6_T7_P12ihipStream_tbENKUlT_T0_E_clISt17integral_constantIbLb0EESZ_EEDaSU_SV_EUlSU_E_NS1_11comp_targetILNS1_3genE3ELNS1_11target_archE908ELNS1_3gpuE7ELNS1_3repE0EEENS1_30default_config_static_selectorELNS0_4arch9wavefront6targetE0EEEvT1_.uses_flat_scratch, 0
	.set _ZN7rocprim17ROCPRIM_400000_NS6detail17trampoline_kernelINS0_14default_configENS1_27scan_by_key_config_selectorIxxEEZZNS1_16scan_by_key_implILNS1_25lookback_scan_determinismE0ELb0ES3_N6thrust23THRUST_200600_302600_NS6detail15normal_iteratorINS9_10device_ptrIxEEEESE_SE_xNS9_10multipliesIxEENS9_8equal_toIxEExEE10hipError_tPvRmT2_T3_T4_T5_mT6_T7_P12ihipStream_tbENKUlT_T0_E_clISt17integral_constantIbLb0EESZ_EEDaSU_SV_EUlSU_E_NS1_11comp_targetILNS1_3genE3ELNS1_11target_archE908ELNS1_3gpuE7ELNS1_3repE0EEENS1_30default_config_static_selectorELNS0_4arch9wavefront6targetE0EEEvT1_.has_dyn_sized_stack, 0
	.set _ZN7rocprim17ROCPRIM_400000_NS6detail17trampoline_kernelINS0_14default_configENS1_27scan_by_key_config_selectorIxxEEZZNS1_16scan_by_key_implILNS1_25lookback_scan_determinismE0ELb0ES3_N6thrust23THRUST_200600_302600_NS6detail15normal_iteratorINS9_10device_ptrIxEEEESE_SE_xNS9_10multipliesIxEENS9_8equal_toIxEExEE10hipError_tPvRmT2_T3_T4_T5_mT6_T7_P12ihipStream_tbENKUlT_T0_E_clISt17integral_constantIbLb0EESZ_EEDaSU_SV_EUlSU_E_NS1_11comp_targetILNS1_3genE3ELNS1_11target_archE908ELNS1_3gpuE7ELNS1_3repE0EEENS1_30default_config_static_selectorELNS0_4arch9wavefront6targetE0EEEvT1_.has_recursion, 0
	.set _ZN7rocprim17ROCPRIM_400000_NS6detail17trampoline_kernelINS0_14default_configENS1_27scan_by_key_config_selectorIxxEEZZNS1_16scan_by_key_implILNS1_25lookback_scan_determinismE0ELb0ES3_N6thrust23THRUST_200600_302600_NS6detail15normal_iteratorINS9_10device_ptrIxEEEESE_SE_xNS9_10multipliesIxEENS9_8equal_toIxEExEE10hipError_tPvRmT2_T3_T4_T5_mT6_T7_P12ihipStream_tbENKUlT_T0_E_clISt17integral_constantIbLb0EESZ_EEDaSU_SV_EUlSU_E_NS1_11comp_targetILNS1_3genE3ELNS1_11target_archE908ELNS1_3gpuE7ELNS1_3repE0EEENS1_30default_config_static_selectorELNS0_4arch9wavefront6targetE0EEEvT1_.has_indirect_call, 0
	.section	.AMDGPU.csdata,"",@progbits
; Kernel info:
; codeLenInByte = 0
; TotalNumSgprs: 0
; NumVgprs: 0
; ScratchSize: 0
; MemoryBound: 0
; FloatMode: 240
; IeeeMode: 1
; LDSByteSize: 0 bytes/workgroup (compile time only)
; SGPRBlocks: 0
; VGPRBlocks: 0
; NumSGPRsForWavesPerEU: 1
; NumVGPRsForWavesPerEU: 1
; NamedBarCnt: 0
; Occupancy: 16
; WaveLimiterHint : 0
; COMPUTE_PGM_RSRC2:SCRATCH_EN: 0
; COMPUTE_PGM_RSRC2:USER_SGPR: 2
; COMPUTE_PGM_RSRC2:TRAP_HANDLER: 0
; COMPUTE_PGM_RSRC2:TGID_X_EN: 1
; COMPUTE_PGM_RSRC2:TGID_Y_EN: 0
; COMPUTE_PGM_RSRC2:TGID_Z_EN: 0
; COMPUTE_PGM_RSRC2:TIDIG_COMP_CNT: 0
	.section	.text._ZN7rocprim17ROCPRIM_400000_NS6detail17trampoline_kernelINS0_14default_configENS1_27scan_by_key_config_selectorIxxEEZZNS1_16scan_by_key_implILNS1_25lookback_scan_determinismE0ELb0ES3_N6thrust23THRUST_200600_302600_NS6detail15normal_iteratorINS9_10device_ptrIxEEEESE_SE_xNS9_10multipliesIxEENS9_8equal_toIxEExEE10hipError_tPvRmT2_T3_T4_T5_mT6_T7_P12ihipStream_tbENKUlT_T0_E_clISt17integral_constantIbLb0EESZ_EEDaSU_SV_EUlSU_E_NS1_11comp_targetILNS1_3genE2ELNS1_11target_archE906ELNS1_3gpuE6ELNS1_3repE0EEENS1_30default_config_static_selectorELNS0_4arch9wavefront6targetE0EEEvT1_,"axG",@progbits,_ZN7rocprim17ROCPRIM_400000_NS6detail17trampoline_kernelINS0_14default_configENS1_27scan_by_key_config_selectorIxxEEZZNS1_16scan_by_key_implILNS1_25lookback_scan_determinismE0ELb0ES3_N6thrust23THRUST_200600_302600_NS6detail15normal_iteratorINS9_10device_ptrIxEEEESE_SE_xNS9_10multipliesIxEENS9_8equal_toIxEExEE10hipError_tPvRmT2_T3_T4_T5_mT6_T7_P12ihipStream_tbENKUlT_T0_E_clISt17integral_constantIbLb0EESZ_EEDaSU_SV_EUlSU_E_NS1_11comp_targetILNS1_3genE2ELNS1_11target_archE906ELNS1_3gpuE6ELNS1_3repE0EEENS1_30default_config_static_selectorELNS0_4arch9wavefront6targetE0EEEvT1_,comdat
	.protected	_ZN7rocprim17ROCPRIM_400000_NS6detail17trampoline_kernelINS0_14default_configENS1_27scan_by_key_config_selectorIxxEEZZNS1_16scan_by_key_implILNS1_25lookback_scan_determinismE0ELb0ES3_N6thrust23THRUST_200600_302600_NS6detail15normal_iteratorINS9_10device_ptrIxEEEESE_SE_xNS9_10multipliesIxEENS9_8equal_toIxEExEE10hipError_tPvRmT2_T3_T4_T5_mT6_T7_P12ihipStream_tbENKUlT_T0_E_clISt17integral_constantIbLb0EESZ_EEDaSU_SV_EUlSU_E_NS1_11comp_targetILNS1_3genE2ELNS1_11target_archE906ELNS1_3gpuE6ELNS1_3repE0EEENS1_30default_config_static_selectorELNS0_4arch9wavefront6targetE0EEEvT1_ ; -- Begin function _ZN7rocprim17ROCPRIM_400000_NS6detail17trampoline_kernelINS0_14default_configENS1_27scan_by_key_config_selectorIxxEEZZNS1_16scan_by_key_implILNS1_25lookback_scan_determinismE0ELb0ES3_N6thrust23THRUST_200600_302600_NS6detail15normal_iteratorINS9_10device_ptrIxEEEESE_SE_xNS9_10multipliesIxEENS9_8equal_toIxEExEE10hipError_tPvRmT2_T3_T4_T5_mT6_T7_P12ihipStream_tbENKUlT_T0_E_clISt17integral_constantIbLb0EESZ_EEDaSU_SV_EUlSU_E_NS1_11comp_targetILNS1_3genE2ELNS1_11target_archE906ELNS1_3gpuE6ELNS1_3repE0EEENS1_30default_config_static_selectorELNS0_4arch9wavefront6targetE0EEEvT1_
	.globl	_ZN7rocprim17ROCPRIM_400000_NS6detail17trampoline_kernelINS0_14default_configENS1_27scan_by_key_config_selectorIxxEEZZNS1_16scan_by_key_implILNS1_25lookback_scan_determinismE0ELb0ES3_N6thrust23THRUST_200600_302600_NS6detail15normal_iteratorINS9_10device_ptrIxEEEESE_SE_xNS9_10multipliesIxEENS9_8equal_toIxEExEE10hipError_tPvRmT2_T3_T4_T5_mT6_T7_P12ihipStream_tbENKUlT_T0_E_clISt17integral_constantIbLb0EESZ_EEDaSU_SV_EUlSU_E_NS1_11comp_targetILNS1_3genE2ELNS1_11target_archE906ELNS1_3gpuE6ELNS1_3repE0EEENS1_30default_config_static_selectorELNS0_4arch9wavefront6targetE0EEEvT1_
	.p2align	8
	.type	_ZN7rocprim17ROCPRIM_400000_NS6detail17trampoline_kernelINS0_14default_configENS1_27scan_by_key_config_selectorIxxEEZZNS1_16scan_by_key_implILNS1_25lookback_scan_determinismE0ELb0ES3_N6thrust23THRUST_200600_302600_NS6detail15normal_iteratorINS9_10device_ptrIxEEEESE_SE_xNS9_10multipliesIxEENS9_8equal_toIxEExEE10hipError_tPvRmT2_T3_T4_T5_mT6_T7_P12ihipStream_tbENKUlT_T0_E_clISt17integral_constantIbLb0EESZ_EEDaSU_SV_EUlSU_E_NS1_11comp_targetILNS1_3genE2ELNS1_11target_archE906ELNS1_3gpuE6ELNS1_3repE0EEENS1_30default_config_static_selectorELNS0_4arch9wavefront6targetE0EEEvT1_,@function
_ZN7rocprim17ROCPRIM_400000_NS6detail17trampoline_kernelINS0_14default_configENS1_27scan_by_key_config_selectorIxxEEZZNS1_16scan_by_key_implILNS1_25lookback_scan_determinismE0ELb0ES3_N6thrust23THRUST_200600_302600_NS6detail15normal_iteratorINS9_10device_ptrIxEEEESE_SE_xNS9_10multipliesIxEENS9_8equal_toIxEExEE10hipError_tPvRmT2_T3_T4_T5_mT6_T7_P12ihipStream_tbENKUlT_T0_E_clISt17integral_constantIbLb0EESZ_EEDaSU_SV_EUlSU_E_NS1_11comp_targetILNS1_3genE2ELNS1_11target_archE906ELNS1_3gpuE6ELNS1_3repE0EEENS1_30default_config_static_selectorELNS0_4arch9wavefront6targetE0EEEvT1_: ; @_ZN7rocprim17ROCPRIM_400000_NS6detail17trampoline_kernelINS0_14default_configENS1_27scan_by_key_config_selectorIxxEEZZNS1_16scan_by_key_implILNS1_25lookback_scan_determinismE0ELb0ES3_N6thrust23THRUST_200600_302600_NS6detail15normal_iteratorINS9_10device_ptrIxEEEESE_SE_xNS9_10multipliesIxEENS9_8equal_toIxEExEE10hipError_tPvRmT2_T3_T4_T5_mT6_T7_P12ihipStream_tbENKUlT_T0_E_clISt17integral_constantIbLb0EESZ_EEDaSU_SV_EUlSU_E_NS1_11comp_targetILNS1_3genE2ELNS1_11target_archE906ELNS1_3gpuE6ELNS1_3repE0EEENS1_30default_config_static_selectorELNS0_4arch9wavefront6targetE0EEEvT1_
; %bb.0:
	.section	.rodata,"a",@progbits
	.p2align	6, 0x0
	.amdhsa_kernel _ZN7rocprim17ROCPRIM_400000_NS6detail17trampoline_kernelINS0_14default_configENS1_27scan_by_key_config_selectorIxxEEZZNS1_16scan_by_key_implILNS1_25lookback_scan_determinismE0ELb0ES3_N6thrust23THRUST_200600_302600_NS6detail15normal_iteratorINS9_10device_ptrIxEEEESE_SE_xNS9_10multipliesIxEENS9_8equal_toIxEExEE10hipError_tPvRmT2_T3_T4_T5_mT6_T7_P12ihipStream_tbENKUlT_T0_E_clISt17integral_constantIbLb0EESZ_EEDaSU_SV_EUlSU_E_NS1_11comp_targetILNS1_3genE2ELNS1_11target_archE906ELNS1_3gpuE6ELNS1_3repE0EEENS1_30default_config_static_selectorELNS0_4arch9wavefront6targetE0EEEvT1_
		.amdhsa_group_segment_fixed_size 0
		.amdhsa_private_segment_fixed_size 0
		.amdhsa_kernarg_size 136
		.amdhsa_user_sgpr_count 2
		.amdhsa_user_sgpr_dispatch_ptr 0
		.amdhsa_user_sgpr_queue_ptr 0
		.amdhsa_user_sgpr_kernarg_segment_ptr 1
		.amdhsa_user_sgpr_dispatch_id 0
		.amdhsa_user_sgpr_kernarg_preload_length 0
		.amdhsa_user_sgpr_kernarg_preload_offset 0
		.amdhsa_user_sgpr_private_segment_size 0
		.amdhsa_wavefront_size32 1
		.amdhsa_uses_dynamic_stack 0
		.amdhsa_enable_private_segment 0
		.amdhsa_system_sgpr_workgroup_id_x 1
		.amdhsa_system_sgpr_workgroup_id_y 0
		.amdhsa_system_sgpr_workgroup_id_z 0
		.amdhsa_system_sgpr_workgroup_info 0
		.amdhsa_system_vgpr_workitem_id 0
		.amdhsa_next_free_vgpr 1
		.amdhsa_next_free_sgpr 1
		.amdhsa_named_barrier_count 0
		.amdhsa_reserve_vcc 0
		.amdhsa_float_round_mode_32 0
		.amdhsa_float_round_mode_16_64 0
		.amdhsa_float_denorm_mode_32 3
		.amdhsa_float_denorm_mode_16_64 3
		.amdhsa_fp16_overflow 0
		.amdhsa_memory_ordered 1
		.amdhsa_forward_progress 1
		.amdhsa_inst_pref_size 0
		.amdhsa_round_robin_scheduling 0
		.amdhsa_exception_fp_ieee_invalid_op 0
		.amdhsa_exception_fp_denorm_src 0
		.amdhsa_exception_fp_ieee_div_zero 0
		.amdhsa_exception_fp_ieee_overflow 0
		.amdhsa_exception_fp_ieee_underflow 0
		.amdhsa_exception_fp_ieee_inexact 0
		.amdhsa_exception_int_div_zero 0
	.end_amdhsa_kernel
	.section	.text._ZN7rocprim17ROCPRIM_400000_NS6detail17trampoline_kernelINS0_14default_configENS1_27scan_by_key_config_selectorIxxEEZZNS1_16scan_by_key_implILNS1_25lookback_scan_determinismE0ELb0ES3_N6thrust23THRUST_200600_302600_NS6detail15normal_iteratorINS9_10device_ptrIxEEEESE_SE_xNS9_10multipliesIxEENS9_8equal_toIxEExEE10hipError_tPvRmT2_T3_T4_T5_mT6_T7_P12ihipStream_tbENKUlT_T0_E_clISt17integral_constantIbLb0EESZ_EEDaSU_SV_EUlSU_E_NS1_11comp_targetILNS1_3genE2ELNS1_11target_archE906ELNS1_3gpuE6ELNS1_3repE0EEENS1_30default_config_static_selectorELNS0_4arch9wavefront6targetE0EEEvT1_,"axG",@progbits,_ZN7rocprim17ROCPRIM_400000_NS6detail17trampoline_kernelINS0_14default_configENS1_27scan_by_key_config_selectorIxxEEZZNS1_16scan_by_key_implILNS1_25lookback_scan_determinismE0ELb0ES3_N6thrust23THRUST_200600_302600_NS6detail15normal_iteratorINS9_10device_ptrIxEEEESE_SE_xNS9_10multipliesIxEENS9_8equal_toIxEExEE10hipError_tPvRmT2_T3_T4_T5_mT6_T7_P12ihipStream_tbENKUlT_T0_E_clISt17integral_constantIbLb0EESZ_EEDaSU_SV_EUlSU_E_NS1_11comp_targetILNS1_3genE2ELNS1_11target_archE906ELNS1_3gpuE6ELNS1_3repE0EEENS1_30default_config_static_selectorELNS0_4arch9wavefront6targetE0EEEvT1_,comdat
.Lfunc_end52:
	.size	_ZN7rocprim17ROCPRIM_400000_NS6detail17trampoline_kernelINS0_14default_configENS1_27scan_by_key_config_selectorIxxEEZZNS1_16scan_by_key_implILNS1_25lookback_scan_determinismE0ELb0ES3_N6thrust23THRUST_200600_302600_NS6detail15normal_iteratorINS9_10device_ptrIxEEEESE_SE_xNS9_10multipliesIxEENS9_8equal_toIxEExEE10hipError_tPvRmT2_T3_T4_T5_mT6_T7_P12ihipStream_tbENKUlT_T0_E_clISt17integral_constantIbLb0EESZ_EEDaSU_SV_EUlSU_E_NS1_11comp_targetILNS1_3genE2ELNS1_11target_archE906ELNS1_3gpuE6ELNS1_3repE0EEENS1_30default_config_static_selectorELNS0_4arch9wavefront6targetE0EEEvT1_, .Lfunc_end52-_ZN7rocprim17ROCPRIM_400000_NS6detail17trampoline_kernelINS0_14default_configENS1_27scan_by_key_config_selectorIxxEEZZNS1_16scan_by_key_implILNS1_25lookback_scan_determinismE0ELb0ES3_N6thrust23THRUST_200600_302600_NS6detail15normal_iteratorINS9_10device_ptrIxEEEESE_SE_xNS9_10multipliesIxEENS9_8equal_toIxEExEE10hipError_tPvRmT2_T3_T4_T5_mT6_T7_P12ihipStream_tbENKUlT_T0_E_clISt17integral_constantIbLb0EESZ_EEDaSU_SV_EUlSU_E_NS1_11comp_targetILNS1_3genE2ELNS1_11target_archE906ELNS1_3gpuE6ELNS1_3repE0EEENS1_30default_config_static_selectorELNS0_4arch9wavefront6targetE0EEEvT1_
                                        ; -- End function
	.set _ZN7rocprim17ROCPRIM_400000_NS6detail17trampoline_kernelINS0_14default_configENS1_27scan_by_key_config_selectorIxxEEZZNS1_16scan_by_key_implILNS1_25lookback_scan_determinismE0ELb0ES3_N6thrust23THRUST_200600_302600_NS6detail15normal_iteratorINS9_10device_ptrIxEEEESE_SE_xNS9_10multipliesIxEENS9_8equal_toIxEExEE10hipError_tPvRmT2_T3_T4_T5_mT6_T7_P12ihipStream_tbENKUlT_T0_E_clISt17integral_constantIbLb0EESZ_EEDaSU_SV_EUlSU_E_NS1_11comp_targetILNS1_3genE2ELNS1_11target_archE906ELNS1_3gpuE6ELNS1_3repE0EEENS1_30default_config_static_selectorELNS0_4arch9wavefront6targetE0EEEvT1_.num_vgpr, 0
	.set _ZN7rocprim17ROCPRIM_400000_NS6detail17trampoline_kernelINS0_14default_configENS1_27scan_by_key_config_selectorIxxEEZZNS1_16scan_by_key_implILNS1_25lookback_scan_determinismE0ELb0ES3_N6thrust23THRUST_200600_302600_NS6detail15normal_iteratorINS9_10device_ptrIxEEEESE_SE_xNS9_10multipliesIxEENS9_8equal_toIxEExEE10hipError_tPvRmT2_T3_T4_T5_mT6_T7_P12ihipStream_tbENKUlT_T0_E_clISt17integral_constantIbLb0EESZ_EEDaSU_SV_EUlSU_E_NS1_11comp_targetILNS1_3genE2ELNS1_11target_archE906ELNS1_3gpuE6ELNS1_3repE0EEENS1_30default_config_static_selectorELNS0_4arch9wavefront6targetE0EEEvT1_.num_agpr, 0
	.set _ZN7rocprim17ROCPRIM_400000_NS6detail17trampoline_kernelINS0_14default_configENS1_27scan_by_key_config_selectorIxxEEZZNS1_16scan_by_key_implILNS1_25lookback_scan_determinismE0ELb0ES3_N6thrust23THRUST_200600_302600_NS6detail15normal_iteratorINS9_10device_ptrIxEEEESE_SE_xNS9_10multipliesIxEENS9_8equal_toIxEExEE10hipError_tPvRmT2_T3_T4_T5_mT6_T7_P12ihipStream_tbENKUlT_T0_E_clISt17integral_constantIbLb0EESZ_EEDaSU_SV_EUlSU_E_NS1_11comp_targetILNS1_3genE2ELNS1_11target_archE906ELNS1_3gpuE6ELNS1_3repE0EEENS1_30default_config_static_selectorELNS0_4arch9wavefront6targetE0EEEvT1_.numbered_sgpr, 0
	.set _ZN7rocprim17ROCPRIM_400000_NS6detail17trampoline_kernelINS0_14default_configENS1_27scan_by_key_config_selectorIxxEEZZNS1_16scan_by_key_implILNS1_25lookback_scan_determinismE0ELb0ES3_N6thrust23THRUST_200600_302600_NS6detail15normal_iteratorINS9_10device_ptrIxEEEESE_SE_xNS9_10multipliesIxEENS9_8equal_toIxEExEE10hipError_tPvRmT2_T3_T4_T5_mT6_T7_P12ihipStream_tbENKUlT_T0_E_clISt17integral_constantIbLb0EESZ_EEDaSU_SV_EUlSU_E_NS1_11comp_targetILNS1_3genE2ELNS1_11target_archE906ELNS1_3gpuE6ELNS1_3repE0EEENS1_30default_config_static_selectorELNS0_4arch9wavefront6targetE0EEEvT1_.num_named_barrier, 0
	.set _ZN7rocprim17ROCPRIM_400000_NS6detail17trampoline_kernelINS0_14default_configENS1_27scan_by_key_config_selectorIxxEEZZNS1_16scan_by_key_implILNS1_25lookback_scan_determinismE0ELb0ES3_N6thrust23THRUST_200600_302600_NS6detail15normal_iteratorINS9_10device_ptrIxEEEESE_SE_xNS9_10multipliesIxEENS9_8equal_toIxEExEE10hipError_tPvRmT2_T3_T4_T5_mT6_T7_P12ihipStream_tbENKUlT_T0_E_clISt17integral_constantIbLb0EESZ_EEDaSU_SV_EUlSU_E_NS1_11comp_targetILNS1_3genE2ELNS1_11target_archE906ELNS1_3gpuE6ELNS1_3repE0EEENS1_30default_config_static_selectorELNS0_4arch9wavefront6targetE0EEEvT1_.private_seg_size, 0
	.set _ZN7rocprim17ROCPRIM_400000_NS6detail17trampoline_kernelINS0_14default_configENS1_27scan_by_key_config_selectorIxxEEZZNS1_16scan_by_key_implILNS1_25lookback_scan_determinismE0ELb0ES3_N6thrust23THRUST_200600_302600_NS6detail15normal_iteratorINS9_10device_ptrIxEEEESE_SE_xNS9_10multipliesIxEENS9_8equal_toIxEExEE10hipError_tPvRmT2_T3_T4_T5_mT6_T7_P12ihipStream_tbENKUlT_T0_E_clISt17integral_constantIbLb0EESZ_EEDaSU_SV_EUlSU_E_NS1_11comp_targetILNS1_3genE2ELNS1_11target_archE906ELNS1_3gpuE6ELNS1_3repE0EEENS1_30default_config_static_selectorELNS0_4arch9wavefront6targetE0EEEvT1_.uses_vcc, 0
	.set _ZN7rocprim17ROCPRIM_400000_NS6detail17trampoline_kernelINS0_14default_configENS1_27scan_by_key_config_selectorIxxEEZZNS1_16scan_by_key_implILNS1_25lookback_scan_determinismE0ELb0ES3_N6thrust23THRUST_200600_302600_NS6detail15normal_iteratorINS9_10device_ptrIxEEEESE_SE_xNS9_10multipliesIxEENS9_8equal_toIxEExEE10hipError_tPvRmT2_T3_T4_T5_mT6_T7_P12ihipStream_tbENKUlT_T0_E_clISt17integral_constantIbLb0EESZ_EEDaSU_SV_EUlSU_E_NS1_11comp_targetILNS1_3genE2ELNS1_11target_archE906ELNS1_3gpuE6ELNS1_3repE0EEENS1_30default_config_static_selectorELNS0_4arch9wavefront6targetE0EEEvT1_.uses_flat_scratch, 0
	.set _ZN7rocprim17ROCPRIM_400000_NS6detail17trampoline_kernelINS0_14default_configENS1_27scan_by_key_config_selectorIxxEEZZNS1_16scan_by_key_implILNS1_25lookback_scan_determinismE0ELb0ES3_N6thrust23THRUST_200600_302600_NS6detail15normal_iteratorINS9_10device_ptrIxEEEESE_SE_xNS9_10multipliesIxEENS9_8equal_toIxEExEE10hipError_tPvRmT2_T3_T4_T5_mT6_T7_P12ihipStream_tbENKUlT_T0_E_clISt17integral_constantIbLb0EESZ_EEDaSU_SV_EUlSU_E_NS1_11comp_targetILNS1_3genE2ELNS1_11target_archE906ELNS1_3gpuE6ELNS1_3repE0EEENS1_30default_config_static_selectorELNS0_4arch9wavefront6targetE0EEEvT1_.has_dyn_sized_stack, 0
	.set _ZN7rocprim17ROCPRIM_400000_NS6detail17trampoline_kernelINS0_14default_configENS1_27scan_by_key_config_selectorIxxEEZZNS1_16scan_by_key_implILNS1_25lookback_scan_determinismE0ELb0ES3_N6thrust23THRUST_200600_302600_NS6detail15normal_iteratorINS9_10device_ptrIxEEEESE_SE_xNS9_10multipliesIxEENS9_8equal_toIxEExEE10hipError_tPvRmT2_T3_T4_T5_mT6_T7_P12ihipStream_tbENKUlT_T0_E_clISt17integral_constantIbLb0EESZ_EEDaSU_SV_EUlSU_E_NS1_11comp_targetILNS1_3genE2ELNS1_11target_archE906ELNS1_3gpuE6ELNS1_3repE0EEENS1_30default_config_static_selectorELNS0_4arch9wavefront6targetE0EEEvT1_.has_recursion, 0
	.set _ZN7rocprim17ROCPRIM_400000_NS6detail17trampoline_kernelINS0_14default_configENS1_27scan_by_key_config_selectorIxxEEZZNS1_16scan_by_key_implILNS1_25lookback_scan_determinismE0ELb0ES3_N6thrust23THRUST_200600_302600_NS6detail15normal_iteratorINS9_10device_ptrIxEEEESE_SE_xNS9_10multipliesIxEENS9_8equal_toIxEExEE10hipError_tPvRmT2_T3_T4_T5_mT6_T7_P12ihipStream_tbENKUlT_T0_E_clISt17integral_constantIbLb0EESZ_EEDaSU_SV_EUlSU_E_NS1_11comp_targetILNS1_3genE2ELNS1_11target_archE906ELNS1_3gpuE6ELNS1_3repE0EEENS1_30default_config_static_selectorELNS0_4arch9wavefront6targetE0EEEvT1_.has_indirect_call, 0
	.section	.AMDGPU.csdata,"",@progbits
; Kernel info:
; codeLenInByte = 0
; TotalNumSgprs: 0
; NumVgprs: 0
; ScratchSize: 0
; MemoryBound: 0
; FloatMode: 240
; IeeeMode: 1
; LDSByteSize: 0 bytes/workgroup (compile time only)
; SGPRBlocks: 0
; VGPRBlocks: 0
; NumSGPRsForWavesPerEU: 1
; NumVGPRsForWavesPerEU: 1
; NamedBarCnt: 0
; Occupancy: 16
; WaveLimiterHint : 0
; COMPUTE_PGM_RSRC2:SCRATCH_EN: 0
; COMPUTE_PGM_RSRC2:USER_SGPR: 2
; COMPUTE_PGM_RSRC2:TRAP_HANDLER: 0
; COMPUTE_PGM_RSRC2:TGID_X_EN: 1
; COMPUTE_PGM_RSRC2:TGID_Y_EN: 0
; COMPUTE_PGM_RSRC2:TGID_Z_EN: 0
; COMPUTE_PGM_RSRC2:TIDIG_COMP_CNT: 0
	.section	.text._ZN7rocprim17ROCPRIM_400000_NS6detail17trampoline_kernelINS0_14default_configENS1_27scan_by_key_config_selectorIxxEEZZNS1_16scan_by_key_implILNS1_25lookback_scan_determinismE0ELb0ES3_N6thrust23THRUST_200600_302600_NS6detail15normal_iteratorINS9_10device_ptrIxEEEESE_SE_xNS9_10multipliesIxEENS9_8equal_toIxEExEE10hipError_tPvRmT2_T3_T4_T5_mT6_T7_P12ihipStream_tbENKUlT_T0_E_clISt17integral_constantIbLb0EESZ_EEDaSU_SV_EUlSU_E_NS1_11comp_targetILNS1_3genE10ELNS1_11target_archE1200ELNS1_3gpuE4ELNS1_3repE0EEENS1_30default_config_static_selectorELNS0_4arch9wavefront6targetE0EEEvT1_,"axG",@progbits,_ZN7rocprim17ROCPRIM_400000_NS6detail17trampoline_kernelINS0_14default_configENS1_27scan_by_key_config_selectorIxxEEZZNS1_16scan_by_key_implILNS1_25lookback_scan_determinismE0ELb0ES3_N6thrust23THRUST_200600_302600_NS6detail15normal_iteratorINS9_10device_ptrIxEEEESE_SE_xNS9_10multipliesIxEENS9_8equal_toIxEExEE10hipError_tPvRmT2_T3_T4_T5_mT6_T7_P12ihipStream_tbENKUlT_T0_E_clISt17integral_constantIbLb0EESZ_EEDaSU_SV_EUlSU_E_NS1_11comp_targetILNS1_3genE10ELNS1_11target_archE1200ELNS1_3gpuE4ELNS1_3repE0EEENS1_30default_config_static_selectorELNS0_4arch9wavefront6targetE0EEEvT1_,comdat
	.protected	_ZN7rocprim17ROCPRIM_400000_NS6detail17trampoline_kernelINS0_14default_configENS1_27scan_by_key_config_selectorIxxEEZZNS1_16scan_by_key_implILNS1_25lookback_scan_determinismE0ELb0ES3_N6thrust23THRUST_200600_302600_NS6detail15normal_iteratorINS9_10device_ptrIxEEEESE_SE_xNS9_10multipliesIxEENS9_8equal_toIxEExEE10hipError_tPvRmT2_T3_T4_T5_mT6_T7_P12ihipStream_tbENKUlT_T0_E_clISt17integral_constantIbLb0EESZ_EEDaSU_SV_EUlSU_E_NS1_11comp_targetILNS1_3genE10ELNS1_11target_archE1200ELNS1_3gpuE4ELNS1_3repE0EEENS1_30default_config_static_selectorELNS0_4arch9wavefront6targetE0EEEvT1_ ; -- Begin function _ZN7rocprim17ROCPRIM_400000_NS6detail17trampoline_kernelINS0_14default_configENS1_27scan_by_key_config_selectorIxxEEZZNS1_16scan_by_key_implILNS1_25lookback_scan_determinismE0ELb0ES3_N6thrust23THRUST_200600_302600_NS6detail15normal_iteratorINS9_10device_ptrIxEEEESE_SE_xNS9_10multipliesIxEENS9_8equal_toIxEExEE10hipError_tPvRmT2_T3_T4_T5_mT6_T7_P12ihipStream_tbENKUlT_T0_E_clISt17integral_constantIbLb0EESZ_EEDaSU_SV_EUlSU_E_NS1_11comp_targetILNS1_3genE10ELNS1_11target_archE1200ELNS1_3gpuE4ELNS1_3repE0EEENS1_30default_config_static_selectorELNS0_4arch9wavefront6targetE0EEEvT1_
	.globl	_ZN7rocprim17ROCPRIM_400000_NS6detail17trampoline_kernelINS0_14default_configENS1_27scan_by_key_config_selectorIxxEEZZNS1_16scan_by_key_implILNS1_25lookback_scan_determinismE0ELb0ES3_N6thrust23THRUST_200600_302600_NS6detail15normal_iteratorINS9_10device_ptrIxEEEESE_SE_xNS9_10multipliesIxEENS9_8equal_toIxEExEE10hipError_tPvRmT2_T3_T4_T5_mT6_T7_P12ihipStream_tbENKUlT_T0_E_clISt17integral_constantIbLb0EESZ_EEDaSU_SV_EUlSU_E_NS1_11comp_targetILNS1_3genE10ELNS1_11target_archE1200ELNS1_3gpuE4ELNS1_3repE0EEENS1_30default_config_static_selectorELNS0_4arch9wavefront6targetE0EEEvT1_
	.p2align	8
	.type	_ZN7rocprim17ROCPRIM_400000_NS6detail17trampoline_kernelINS0_14default_configENS1_27scan_by_key_config_selectorIxxEEZZNS1_16scan_by_key_implILNS1_25lookback_scan_determinismE0ELb0ES3_N6thrust23THRUST_200600_302600_NS6detail15normal_iteratorINS9_10device_ptrIxEEEESE_SE_xNS9_10multipliesIxEENS9_8equal_toIxEExEE10hipError_tPvRmT2_T3_T4_T5_mT6_T7_P12ihipStream_tbENKUlT_T0_E_clISt17integral_constantIbLb0EESZ_EEDaSU_SV_EUlSU_E_NS1_11comp_targetILNS1_3genE10ELNS1_11target_archE1200ELNS1_3gpuE4ELNS1_3repE0EEENS1_30default_config_static_selectorELNS0_4arch9wavefront6targetE0EEEvT1_,@function
_ZN7rocprim17ROCPRIM_400000_NS6detail17trampoline_kernelINS0_14default_configENS1_27scan_by_key_config_selectorIxxEEZZNS1_16scan_by_key_implILNS1_25lookback_scan_determinismE0ELb0ES3_N6thrust23THRUST_200600_302600_NS6detail15normal_iteratorINS9_10device_ptrIxEEEESE_SE_xNS9_10multipliesIxEENS9_8equal_toIxEExEE10hipError_tPvRmT2_T3_T4_T5_mT6_T7_P12ihipStream_tbENKUlT_T0_E_clISt17integral_constantIbLb0EESZ_EEDaSU_SV_EUlSU_E_NS1_11comp_targetILNS1_3genE10ELNS1_11target_archE1200ELNS1_3gpuE4ELNS1_3repE0EEENS1_30default_config_static_selectorELNS0_4arch9wavefront6targetE0EEEvT1_: ; @_ZN7rocprim17ROCPRIM_400000_NS6detail17trampoline_kernelINS0_14default_configENS1_27scan_by_key_config_selectorIxxEEZZNS1_16scan_by_key_implILNS1_25lookback_scan_determinismE0ELb0ES3_N6thrust23THRUST_200600_302600_NS6detail15normal_iteratorINS9_10device_ptrIxEEEESE_SE_xNS9_10multipliesIxEENS9_8equal_toIxEExEE10hipError_tPvRmT2_T3_T4_T5_mT6_T7_P12ihipStream_tbENKUlT_T0_E_clISt17integral_constantIbLb0EESZ_EEDaSU_SV_EUlSU_E_NS1_11comp_targetILNS1_3genE10ELNS1_11target_archE1200ELNS1_3gpuE4ELNS1_3repE0EEENS1_30default_config_static_selectorELNS0_4arch9wavefront6targetE0EEEvT1_
; %bb.0:
	.section	.rodata,"a",@progbits
	.p2align	6, 0x0
	.amdhsa_kernel _ZN7rocprim17ROCPRIM_400000_NS6detail17trampoline_kernelINS0_14default_configENS1_27scan_by_key_config_selectorIxxEEZZNS1_16scan_by_key_implILNS1_25lookback_scan_determinismE0ELb0ES3_N6thrust23THRUST_200600_302600_NS6detail15normal_iteratorINS9_10device_ptrIxEEEESE_SE_xNS9_10multipliesIxEENS9_8equal_toIxEExEE10hipError_tPvRmT2_T3_T4_T5_mT6_T7_P12ihipStream_tbENKUlT_T0_E_clISt17integral_constantIbLb0EESZ_EEDaSU_SV_EUlSU_E_NS1_11comp_targetILNS1_3genE10ELNS1_11target_archE1200ELNS1_3gpuE4ELNS1_3repE0EEENS1_30default_config_static_selectorELNS0_4arch9wavefront6targetE0EEEvT1_
		.amdhsa_group_segment_fixed_size 0
		.amdhsa_private_segment_fixed_size 0
		.amdhsa_kernarg_size 136
		.amdhsa_user_sgpr_count 2
		.amdhsa_user_sgpr_dispatch_ptr 0
		.amdhsa_user_sgpr_queue_ptr 0
		.amdhsa_user_sgpr_kernarg_segment_ptr 1
		.amdhsa_user_sgpr_dispatch_id 0
		.amdhsa_user_sgpr_kernarg_preload_length 0
		.amdhsa_user_sgpr_kernarg_preload_offset 0
		.amdhsa_user_sgpr_private_segment_size 0
		.amdhsa_wavefront_size32 1
		.amdhsa_uses_dynamic_stack 0
		.amdhsa_enable_private_segment 0
		.amdhsa_system_sgpr_workgroup_id_x 1
		.amdhsa_system_sgpr_workgroup_id_y 0
		.amdhsa_system_sgpr_workgroup_id_z 0
		.amdhsa_system_sgpr_workgroup_info 0
		.amdhsa_system_vgpr_workitem_id 0
		.amdhsa_next_free_vgpr 1
		.amdhsa_next_free_sgpr 1
		.amdhsa_named_barrier_count 0
		.amdhsa_reserve_vcc 0
		.amdhsa_float_round_mode_32 0
		.amdhsa_float_round_mode_16_64 0
		.amdhsa_float_denorm_mode_32 3
		.amdhsa_float_denorm_mode_16_64 3
		.amdhsa_fp16_overflow 0
		.amdhsa_memory_ordered 1
		.amdhsa_forward_progress 1
		.amdhsa_inst_pref_size 0
		.amdhsa_round_robin_scheduling 0
		.amdhsa_exception_fp_ieee_invalid_op 0
		.amdhsa_exception_fp_denorm_src 0
		.amdhsa_exception_fp_ieee_div_zero 0
		.amdhsa_exception_fp_ieee_overflow 0
		.amdhsa_exception_fp_ieee_underflow 0
		.amdhsa_exception_fp_ieee_inexact 0
		.amdhsa_exception_int_div_zero 0
	.end_amdhsa_kernel
	.section	.text._ZN7rocprim17ROCPRIM_400000_NS6detail17trampoline_kernelINS0_14default_configENS1_27scan_by_key_config_selectorIxxEEZZNS1_16scan_by_key_implILNS1_25lookback_scan_determinismE0ELb0ES3_N6thrust23THRUST_200600_302600_NS6detail15normal_iteratorINS9_10device_ptrIxEEEESE_SE_xNS9_10multipliesIxEENS9_8equal_toIxEExEE10hipError_tPvRmT2_T3_T4_T5_mT6_T7_P12ihipStream_tbENKUlT_T0_E_clISt17integral_constantIbLb0EESZ_EEDaSU_SV_EUlSU_E_NS1_11comp_targetILNS1_3genE10ELNS1_11target_archE1200ELNS1_3gpuE4ELNS1_3repE0EEENS1_30default_config_static_selectorELNS0_4arch9wavefront6targetE0EEEvT1_,"axG",@progbits,_ZN7rocprim17ROCPRIM_400000_NS6detail17trampoline_kernelINS0_14default_configENS1_27scan_by_key_config_selectorIxxEEZZNS1_16scan_by_key_implILNS1_25lookback_scan_determinismE0ELb0ES3_N6thrust23THRUST_200600_302600_NS6detail15normal_iteratorINS9_10device_ptrIxEEEESE_SE_xNS9_10multipliesIxEENS9_8equal_toIxEExEE10hipError_tPvRmT2_T3_T4_T5_mT6_T7_P12ihipStream_tbENKUlT_T0_E_clISt17integral_constantIbLb0EESZ_EEDaSU_SV_EUlSU_E_NS1_11comp_targetILNS1_3genE10ELNS1_11target_archE1200ELNS1_3gpuE4ELNS1_3repE0EEENS1_30default_config_static_selectorELNS0_4arch9wavefront6targetE0EEEvT1_,comdat
.Lfunc_end53:
	.size	_ZN7rocprim17ROCPRIM_400000_NS6detail17trampoline_kernelINS0_14default_configENS1_27scan_by_key_config_selectorIxxEEZZNS1_16scan_by_key_implILNS1_25lookback_scan_determinismE0ELb0ES3_N6thrust23THRUST_200600_302600_NS6detail15normal_iteratorINS9_10device_ptrIxEEEESE_SE_xNS9_10multipliesIxEENS9_8equal_toIxEExEE10hipError_tPvRmT2_T3_T4_T5_mT6_T7_P12ihipStream_tbENKUlT_T0_E_clISt17integral_constantIbLb0EESZ_EEDaSU_SV_EUlSU_E_NS1_11comp_targetILNS1_3genE10ELNS1_11target_archE1200ELNS1_3gpuE4ELNS1_3repE0EEENS1_30default_config_static_selectorELNS0_4arch9wavefront6targetE0EEEvT1_, .Lfunc_end53-_ZN7rocprim17ROCPRIM_400000_NS6detail17trampoline_kernelINS0_14default_configENS1_27scan_by_key_config_selectorIxxEEZZNS1_16scan_by_key_implILNS1_25lookback_scan_determinismE0ELb0ES3_N6thrust23THRUST_200600_302600_NS6detail15normal_iteratorINS9_10device_ptrIxEEEESE_SE_xNS9_10multipliesIxEENS9_8equal_toIxEExEE10hipError_tPvRmT2_T3_T4_T5_mT6_T7_P12ihipStream_tbENKUlT_T0_E_clISt17integral_constantIbLb0EESZ_EEDaSU_SV_EUlSU_E_NS1_11comp_targetILNS1_3genE10ELNS1_11target_archE1200ELNS1_3gpuE4ELNS1_3repE0EEENS1_30default_config_static_selectorELNS0_4arch9wavefront6targetE0EEEvT1_
                                        ; -- End function
	.set _ZN7rocprim17ROCPRIM_400000_NS6detail17trampoline_kernelINS0_14default_configENS1_27scan_by_key_config_selectorIxxEEZZNS1_16scan_by_key_implILNS1_25lookback_scan_determinismE0ELb0ES3_N6thrust23THRUST_200600_302600_NS6detail15normal_iteratorINS9_10device_ptrIxEEEESE_SE_xNS9_10multipliesIxEENS9_8equal_toIxEExEE10hipError_tPvRmT2_T3_T4_T5_mT6_T7_P12ihipStream_tbENKUlT_T0_E_clISt17integral_constantIbLb0EESZ_EEDaSU_SV_EUlSU_E_NS1_11comp_targetILNS1_3genE10ELNS1_11target_archE1200ELNS1_3gpuE4ELNS1_3repE0EEENS1_30default_config_static_selectorELNS0_4arch9wavefront6targetE0EEEvT1_.num_vgpr, 0
	.set _ZN7rocprim17ROCPRIM_400000_NS6detail17trampoline_kernelINS0_14default_configENS1_27scan_by_key_config_selectorIxxEEZZNS1_16scan_by_key_implILNS1_25lookback_scan_determinismE0ELb0ES3_N6thrust23THRUST_200600_302600_NS6detail15normal_iteratorINS9_10device_ptrIxEEEESE_SE_xNS9_10multipliesIxEENS9_8equal_toIxEExEE10hipError_tPvRmT2_T3_T4_T5_mT6_T7_P12ihipStream_tbENKUlT_T0_E_clISt17integral_constantIbLb0EESZ_EEDaSU_SV_EUlSU_E_NS1_11comp_targetILNS1_3genE10ELNS1_11target_archE1200ELNS1_3gpuE4ELNS1_3repE0EEENS1_30default_config_static_selectorELNS0_4arch9wavefront6targetE0EEEvT1_.num_agpr, 0
	.set _ZN7rocprim17ROCPRIM_400000_NS6detail17trampoline_kernelINS0_14default_configENS1_27scan_by_key_config_selectorIxxEEZZNS1_16scan_by_key_implILNS1_25lookback_scan_determinismE0ELb0ES3_N6thrust23THRUST_200600_302600_NS6detail15normal_iteratorINS9_10device_ptrIxEEEESE_SE_xNS9_10multipliesIxEENS9_8equal_toIxEExEE10hipError_tPvRmT2_T3_T4_T5_mT6_T7_P12ihipStream_tbENKUlT_T0_E_clISt17integral_constantIbLb0EESZ_EEDaSU_SV_EUlSU_E_NS1_11comp_targetILNS1_3genE10ELNS1_11target_archE1200ELNS1_3gpuE4ELNS1_3repE0EEENS1_30default_config_static_selectorELNS0_4arch9wavefront6targetE0EEEvT1_.numbered_sgpr, 0
	.set _ZN7rocprim17ROCPRIM_400000_NS6detail17trampoline_kernelINS0_14default_configENS1_27scan_by_key_config_selectorIxxEEZZNS1_16scan_by_key_implILNS1_25lookback_scan_determinismE0ELb0ES3_N6thrust23THRUST_200600_302600_NS6detail15normal_iteratorINS9_10device_ptrIxEEEESE_SE_xNS9_10multipliesIxEENS9_8equal_toIxEExEE10hipError_tPvRmT2_T3_T4_T5_mT6_T7_P12ihipStream_tbENKUlT_T0_E_clISt17integral_constantIbLb0EESZ_EEDaSU_SV_EUlSU_E_NS1_11comp_targetILNS1_3genE10ELNS1_11target_archE1200ELNS1_3gpuE4ELNS1_3repE0EEENS1_30default_config_static_selectorELNS0_4arch9wavefront6targetE0EEEvT1_.num_named_barrier, 0
	.set _ZN7rocprim17ROCPRIM_400000_NS6detail17trampoline_kernelINS0_14default_configENS1_27scan_by_key_config_selectorIxxEEZZNS1_16scan_by_key_implILNS1_25lookback_scan_determinismE0ELb0ES3_N6thrust23THRUST_200600_302600_NS6detail15normal_iteratorINS9_10device_ptrIxEEEESE_SE_xNS9_10multipliesIxEENS9_8equal_toIxEExEE10hipError_tPvRmT2_T3_T4_T5_mT6_T7_P12ihipStream_tbENKUlT_T0_E_clISt17integral_constantIbLb0EESZ_EEDaSU_SV_EUlSU_E_NS1_11comp_targetILNS1_3genE10ELNS1_11target_archE1200ELNS1_3gpuE4ELNS1_3repE0EEENS1_30default_config_static_selectorELNS0_4arch9wavefront6targetE0EEEvT1_.private_seg_size, 0
	.set _ZN7rocprim17ROCPRIM_400000_NS6detail17trampoline_kernelINS0_14default_configENS1_27scan_by_key_config_selectorIxxEEZZNS1_16scan_by_key_implILNS1_25lookback_scan_determinismE0ELb0ES3_N6thrust23THRUST_200600_302600_NS6detail15normal_iteratorINS9_10device_ptrIxEEEESE_SE_xNS9_10multipliesIxEENS9_8equal_toIxEExEE10hipError_tPvRmT2_T3_T4_T5_mT6_T7_P12ihipStream_tbENKUlT_T0_E_clISt17integral_constantIbLb0EESZ_EEDaSU_SV_EUlSU_E_NS1_11comp_targetILNS1_3genE10ELNS1_11target_archE1200ELNS1_3gpuE4ELNS1_3repE0EEENS1_30default_config_static_selectorELNS0_4arch9wavefront6targetE0EEEvT1_.uses_vcc, 0
	.set _ZN7rocprim17ROCPRIM_400000_NS6detail17trampoline_kernelINS0_14default_configENS1_27scan_by_key_config_selectorIxxEEZZNS1_16scan_by_key_implILNS1_25lookback_scan_determinismE0ELb0ES3_N6thrust23THRUST_200600_302600_NS6detail15normal_iteratorINS9_10device_ptrIxEEEESE_SE_xNS9_10multipliesIxEENS9_8equal_toIxEExEE10hipError_tPvRmT2_T3_T4_T5_mT6_T7_P12ihipStream_tbENKUlT_T0_E_clISt17integral_constantIbLb0EESZ_EEDaSU_SV_EUlSU_E_NS1_11comp_targetILNS1_3genE10ELNS1_11target_archE1200ELNS1_3gpuE4ELNS1_3repE0EEENS1_30default_config_static_selectorELNS0_4arch9wavefront6targetE0EEEvT1_.uses_flat_scratch, 0
	.set _ZN7rocprim17ROCPRIM_400000_NS6detail17trampoline_kernelINS0_14default_configENS1_27scan_by_key_config_selectorIxxEEZZNS1_16scan_by_key_implILNS1_25lookback_scan_determinismE0ELb0ES3_N6thrust23THRUST_200600_302600_NS6detail15normal_iteratorINS9_10device_ptrIxEEEESE_SE_xNS9_10multipliesIxEENS9_8equal_toIxEExEE10hipError_tPvRmT2_T3_T4_T5_mT6_T7_P12ihipStream_tbENKUlT_T0_E_clISt17integral_constantIbLb0EESZ_EEDaSU_SV_EUlSU_E_NS1_11comp_targetILNS1_3genE10ELNS1_11target_archE1200ELNS1_3gpuE4ELNS1_3repE0EEENS1_30default_config_static_selectorELNS0_4arch9wavefront6targetE0EEEvT1_.has_dyn_sized_stack, 0
	.set _ZN7rocprim17ROCPRIM_400000_NS6detail17trampoline_kernelINS0_14default_configENS1_27scan_by_key_config_selectorIxxEEZZNS1_16scan_by_key_implILNS1_25lookback_scan_determinismE0ELb0ES3_N6thrust23THRUST_200600_302600_NS6detail15normal_iteratorINS9_10device_ptrIxEEEESE_SE_xNS9_10multipliesIxEENS9_8equal_toIxEExEE10hipError_tPvRmT2_T3_T4_T5_mT6_T7_P12ihipStream_tbENKUlT_T0_E_clISt17integral_constantIbLb0EESZ_EEDaSU_SV_EUlSU_E_NS1_11comp_targetILNS1_3genE10ELNS1_11target_archE1200ELNS1_3gpuE4ELNS1_3repE0EEENS1_30default_config_static_selectorELNS0_4arch9wavefront6targetE0EEEvT1_.has_recursion, 0
	.set _ZN7rocprim17ROCPRIM_400000_NS6detail17trampoline_kernelINS0_14default_configENS1_27scan_by_key_config_selectorIxxEEZZNS1_16scan_by_key_implILNS1_25lookback_scan_determinismE0ELb0ES3_N6thrust23THRUST_200600_302600_NS6detail15normal_iteratorINS9_10device_ptrIxEEEESE_SE_xNS9_10multipliesIxEENS9_8equal_toIxEExEE10hipError_tPvRmT2_T3_T4_T5_mT6_T7_P12ihipStream_tbENKUlT_T0_E_clISt17integral_constantIbLb0EESZ_EEDaSU_SV_EUlSU_E_NS1_11comp_targetILNS1_3genE10ELNS1_11target_archE1200ELNS1_3gpuE4ELNS1_3repE0EEENS1_30default_config_static_selectorELNS0_4arch9wavefront6targetE0EEEvT1_.has_indirect_call, 0
	.section	.AMDGPU.csdata,"",@progbits
; Kernel info:
; codeLenInByte = 0
; TotalNumSgprs: 0
; NumVgprs: 0
; ScratchSize: 0
; MemoryBound: 0
; FloatMode: 240
; IeeeMode: 1
; LDSByteSize: 0 bytes/workgroup (compile time only)
; SGPRBlocks: 0
; VGPRBlocks: 0
; NumSGPRsForWavesPerEU: 1
; NumVGPRsForWavesPerEU: 1
; NamedBarCnt: 0
; Occupancy: 16
; WaveLimiterHint : 0
; COMPUTE_PGM_RSRC2:SCRATCH_EN: 0
; COMPUTE_PGM_RSRC2:USER_SGPR: 2
; COMPUTE_PGM_RSRC2:TRAP_HANDLER: 0
; COMPUTE_PGM_RSRC2:TGID_X_EN: 1
; COMPUTE_PGM_RSRC2:TGID_Y_EN: 0
; COMPUTE_PGM_RSRC2:TGID_Z_EN: 0
; COMPUTE_PGM_RSRC2:TIDIG_COMP_CNT: 0
	.section	.text._ZN7rocprim17ROCPRIM_400000_NS6detail17trampoline_kernelINS0_14default_configENS1_27scan_by_key_config_selectorIxxEEZZNS1_16scan_by_key_implILNS1_25lookback_scan_determinismE0ELb0ES3_N6thrust23THRUST_200600_302600_NS6detail15normal_iteratorINS9_10device_ptrIxEEEESE_SE_xNS9_10multipliesIxEENS9_8equal_toIxEExEE10hipError_tPvRmT2_T3_T4_T5_mT6_T7_P12ihipStream_tbENKUlT_T0_E_clISt17integral_constantIbLb0EESZ_EEDaSU_SV_EUlSU_E_NS1_11comp_targetILNS1_3genE9ELNS1_11target_archE1100ELNS1_3gpuE3ELNS1_3repE0EEENS1_30default_config_static_selectorELNS0_4arch9wavefront6targetE0EEEvT1_,"axG",@progbits,_ZN7rocprim17ROCPRIM_400000_NS6detail17trampoline_kernelINS0_14default_configENS1_27scan_by_key_config_selectorIxxEEZZNS1_16scan_by_key_implILNS1_25lookback_scan_determinismE0ELb0ES3_N6thrust23THRUST_200600_302600_NS6detail15normal_iteratorINS9_10device_ptrIxEEEESE_SE_xNS9_10multipliesIxEENS9_8equal_toIxEExEE10hipError_tPvRmT2_T3_T4_T5_mT6_T7_P12ihipStream_tbENKUlT_T0_E_clISt17integral_constantIbLb0EESZ_EEDaSU_SV_EUlSU_E_NS1_11comp_targetILNS1_3genE9ELNS1_11target_archE1100ELNS1_3gpuE3ELNS1_3repE0EEENS1_30default_config_static_selectorELNS0_4arch9wavefront6targetE0EEEvT1_,comdat
	.protected	_ZN7rocprim17ROCPRIM_400000_NS6detail17trampoline_kernelINS0_14default_configENS1_27scan_by_key_config_selectorIxxEEZZNS1_16scan_by_key_implILNS1_25lookback_scan_determinismE0ELb0ES3_N6thrust23THRUST_200600_302600_NS6detail15normal_iteratorINS9_10device_ptrIxEEEESE_SE_xNS9_10multipliesIxEENS9_8equal_toIxEExEE10hipError_tPvRmT2_T3_T4_T5_mT6_T7_P12ihipStream_tbENKUlT_T0_E_clISt17integral_constantIbLb0EESZ_EEDaSU_SV_EUlSU_E_NS1_11comp_targetILNS1_3genE9ELNS1_11target_archE1100ELNS1_3gpuE3ELNS1_3repE0EEENS1_30default_config_static_selectorELNS0_4arch9wavefront6targetE0EEEvT1_ ; -- Begin function _ZN7rocprim17ROCPRIM_400000_NS6detail17trampoline_kernelINS0_14default_configENS1_27scan_by_key_config_selectorIxxEEZZNS1_16scan_by_key_implILNS1_25lookback_scan_determinismE0ELb0ES3_N6thrust23THRUST_200600_302600_NS6detail15normal_iteratorINS9_10device_ptrIxEEEESE_SE_xNS9_10multipliesIxEENS9_8equal_toIxEExEE10hipError_tPvRmT2_T3_T4_T5_mT6_T7_P12ihipStream_tbENKUlT_T0_E_clISt17integral_constantIbLb0EESZ_EEDaSU_SV_EUlSU_E_NS1_11comp_targetILNS1_3genE9ELNS1_11target_archE1100ELNS1_3gpuE3ELNS1_3repE0EEENS1_30default_config_static_selectorELNS0_4arch9wavefront6targetE0EEEvT1_
	.globl	_ZN7rocprim17ROCPRIM_400000_NS6detail17trampoline_kernelINS0_14default_configENS1_27scan_by_key_config_selectorIxxEEZZNS1_16scan_by_key_implILNS1_25lookback_scan_determinismE0ELb0ES3_N6thrust23THRUST_200600_302600_NS6detail15normal_iteratorINS9_10device_ptrIxEEEESE_SE_xNS9_10multipliesIxEENS9_8equal_toIxEExEE10hipError_tPvRmT2_T3_T4_T5_mT6_T7_P12ihipStream_tbENKUlT_T0_E_clISt17integral_constantIbLb0EESZ_EEDaSU_SV_EUlSU_E_NS1_11comp_targetILNS1_3genE9ELNS1_11target_archE1100ELNS1_3gpuE3ELNS1_3repE0EEENS1_30default_config_static_selectorELNS0_4arch9wavefront6targetE0EEEvT1_
	.p2align	8
	.type	_ZN7rocprim17ROCPRIM_400000_NS6detail17trampoline_kernelINS0_14default_configENS1_27scan_by_key_config_selectorIxxEEZZNS1_16scan_by_key_implILNS1_25lookback_scan_determinismE0ELb0ES3_N6thrust23THRUST_200600_302600_NS6detail15normal_iteratorINS9_10device_ptrIxEEEESE_SE_xNS9_10multipliesIxEENS9_8equal_toIxEExEE10hipError_tPvRmT2_T3_T4_T5_mT6_T7_P12ihipStream_tbENKUlT_T0_E_clISt17integral_constantIbLb0EESZ_EEDaSU_SV_EUlSU_E_NS1_11comp_targetILNS1_3genE9ELNS1_11target_archE1100ELNS1_3gpuE3ELNS1_3repE0EEENS1_30default_config_static_selectorELNS0_4arch9wavefront6targetE0EEEvT1_,@function
_ZN7rocprim17ROCPRIM_400000_NS6detail17trampoline_kernelINS0_14default_configENS1_27scan_by_key_config_selectorIxxEEZZNS1_16scan_by_key_implILNS1_25lookback_scan_determinismE0ELb0ES3_N6thrust23THRUST_200600_302600_NS6detail15normal_iteratorINS9_10device_ptrIxEEEESE_SE_xNS9_10multipliesIxEENS9_8equal_toIxEExEE10hipError_tPvRmT2_T3_T4_T5_mT6_T7_P12ihipStream_tbENKUlT_T0_E_clISt17integral_constantIbLb0EESZ_EEDaSU_SV_EUlSU_E_NS1_11comp_targetILNS1_3genE9ELNS1_11target_archE1100ELNS1_3gpuE3ELNS1_3repE0EEENS1_30default_config_static_selectorELNS0_4arch9wavefront6targetE0EEEvT1_: ; @_ZN7rocprim17ROCPRIM_400000_NS6detail17trampoline_kernelINS0_14default_configENS1_27scan_by_key_config_selectorIxxEEZZNS1_16scan_by_key_implILNS1_25lookback_scan_determinismE0ELb0ES3_N6thrust23THRUST_200600_302600_NS6detail15normal_iteratorINS9_10device_ptrIxEEEESE_SE_xNS9_10multipliesIxEENS9_8equal_toIxEExEE10hipError_tPvRmT2_T3_T4_T5_mT6_T7_P12ihipStream_tbENKUlT_T0_E_clISt17integral_constantIbLb0EESZ_EEDaSU_SV_EUlSU_E_NS1_11comp_targetILNS1_3genE9ELNS1_11target_archE1100ELNS1_3gpuE3ELNS1_3repE0EEENS1_30default_config_static_selectorELNS0_4arch9wavefront6targetE0EEEvT1_
; %bb.0:
	.section	.rodata,"a",@progbits
	.p2align	6, 0x0
	.amdhsa_kernel _ZN7rocprim17ROCPRIM_400000_NS6detail17trampoline_kernelINS0_14default_configENS1_27scan_by_key_config_selectorIxxEEZZNS1_16scan_by_key_implILNS1_25lookback_scan_determinismE0ELb0ES3_N6thrust23THRUST_200600_302600_NS6detail15normal_iteratorINS9_10device_ptrIxEEEESE_SE_xNS9_10multipliesIxEENS9_8equal_toIxEExEE10hipError_tPvRmT2_T3_T4_T5_mT6_T7_P12ihipStream_tbENKUlT_T0_E_clISt17integral_constantIbLb0EESZ_EEDaSU_SV_EUlSU_E_NS1_11comp_targetILNS1_3genE9ELNS1_11target_archE1100ELNS1_3gpuE3ELNS1_3repE0EEENS1_30default_config_static_selectorELNS0_4arch9wavefront6targetE0EEEvT1_
		.amdhsa_group_segment_fixed_size 0
		.amdhsa_private_segment_fixed_size 0
		.amdhsa_kernarg_size 136
		.amdhsa_user_sgpr_count 2
		.amdhsa_user_sgpr_dispatch_ptr 0
		.amdhsa_user_sgpr_queue_ptr 0
		.amdhsa_user_sgpr_kernarg_segment_ptr 1
		.amdhsa_user_sgpr_dispatch_id 0
		.amdhsa_user_sgpr_kernarg_preload_length 0
		.amdhsa_user_sgpr_kernarg_preload_offset 0
		.amdhsa_user_sgpr_private_segment_size 0
		.amdhsa_wavefront_size32 1
		.amdhsa_uses_dynamic_stack 0
		.amdhsa_enable_private_segment 0
		.amdhsa_system_sgpr_workgroup_id_x 1
		.amdhsa_system_sgpr_workgroup_id_y 0
		.amdhsa_system_sgpr_workgroup_id_z 0
		.amdhsa_system_sgpr_workgroup_info 0
		.amdhsa_system_vgpr_workitem_id 0
		.amdhsa_next_free_vgpr 1
		.amdhsa_next_free_sgpr 1
		.amdhsa_named_barrier_count 0
		.amdhsa_reserve_vcc 0
		.amdhsa_float_round_mode_32 0
		.amdhsa_float_round_mode_16_64 0
		.amdhsa_float_denorm_mode_32 3
		.amdhsa_float_denorm_mode_16_64 3
		.amdhsa_fp16_overflow 0
		.amdhsa_memory_ordered 1
		.amdhsa_forward_progress 1
		.amdhsa_inst_pref_size 0
		.amdhsa_round_robin_scheduling 0
		.amdhsa_exception_fp_ieee_invalid_op 0
		.amdhsa_exception_fp_denorm_src 0
		.amdhsa_exception_fp_ieee_div_zero 0
		.amdhsa_exception_fp_ieee_overflow 0
		.amdhsa_exception_fp_ieee_underflow 0
		.amdhsa_exception_fp_ieee_inexact 0
		.amdhsa_exception_int_div_zero 0
	.end_amdhsa_kernel
	.section	.text._ZN7rocprim17ROCPRIM_400000_NS6detail17trampoline_kernelINS0_14default_configENS1_27scan_by_key_config_selectorIxxEEZZNS1_16scan_by_key_implILNS1_25lookback_scan_determinismE0ELb0ES3_N6thrust23THRUST_200600_302600_NS6detail15normal_iteratorINS9_10device_ptrIxEEEESE_SE_xNS9_10multipliesIxEENS9_8equal_toIxEExEE10hipError_tPvRmT2_T3_T4_T5_mT6_T7_P12ihipStream_tbENKUlT_T0_E_clISt17integral_constantIbLb0EESZ_EEDaSU_SV_EUlSU_E_NS1_11comp_targetILNS1_3genE9ELNS1_11target_archE1100ELNS1_3gpuE3ELNS1_3repE0EEENS1_30default_config_static_selectorELNS0_4arch9wavefront6targetE0EEEvT1_,"axG",@progbits,_ZN7rocprim17ROCPRIM_400000_NS6detail17trampoline_kernelINS0_14default_configENS1_27scan_by_key_config_selectorIxxEEZZNS1_16scan_by_key_implILNS1_25lookback_scan_determinismE0ELb0ES3_N6thrust23THRUST_200600_302600_NS6detail15normal_iteratorINS9_10device_ptrIxEEEESE_SE_xNS9_10multipliesIxEENS9_8equal_toIxEExEE10hipError_tPvRmT2_T3_T4_T5_mT6_T7_P12ihipStream_tbENKUlT_T0_E_clISt17integral_constantIbLb0EESZ_EEDaSU_SV_EUlSU_E_NS1_11comp_targetILNS1_3genE9ELNS1_11target_archE1100ELNS1_3gpuE3ELNS1_3repE0EEENS1_30default_config_static_selectorELNS0_4arch9wavefront6targetE0EEEvT1_,comdat
.Lfunc_end54:
	.size	_ZN7rocprim17ROCPRIM_400000_NS6detail17trampoline_kernelINS0_14default_configENS1_27scan_by_key_config_selectorIxxEEZZNS1_16scan_by_key_implILNS1_25lookback_scan_determinismE0ELb0ES3_N6thrust23THRUST_200600_302600_NS6detail15normal_iteratorINS9_10device_ptrIxEEEESE_SE_xNS9_10multipliesIxEENS9_8equal_toIxEExEE10hipError_tPvRmT2_T3_T4_T5_mT6_T7_P12ihipStream_tbENKUlT_T0_E_clISt17integral_constantIbLb0EESZ_EEDaSU_SV_EUlSU_E_NS1_11comp_targetILNS1_3genE9ELNS1_11target_archE1100ELNS1_3gpuE3ELNS1_3repE0EEENS1_30default_config_static_selectorELNS0_4arch9wavefront6targetE0EEEvT1_, .Lfunc_end54-_ZN7rocprim17ROCPRIM_400000_NS6detail17trampoline_kernelINS0_14default_configENS1_27scan_by_key_config_selectorIxxEEZZNS1_16scan_by_key_implILNS1_25lookback_scan_determinismE0ELb0ES3_N6thrust23THRUST_200600_302600_NS6detail15normal_iteratorINS9_10device_ptrIxEEEESE_SE_xNS9_10multipliesIxEENS9_8equal_toIxEExEE10hipError_tPvRmT2_T3_T4_T5_mT6_T7_P12ihipStream_tbENKUlT_T0_E_clISt17integral_constantIbLb0EESZ_EEDaSU_SV_EUlSU_E_NS1_11comp_targetILNS1_3genE9ELNS1_11target_archE1100ELNS1_3gpuE3ELNS1_3repE0EEENS1_30default_config_static_selectorELNS0_4arch9wavefront6targetE0EEEvT1_
                                        ; -- End function
	.set _ZN7rocprim17ROCPRIM_400000_NS6detail17trampoline_kernelINS0_14default_configENS1_27scan_by_key_config_selectorIxxEEZZNS1_16scan_by_key_implILNS1_25lookback_scan_determinismE0ELb0ES3_N6thrust23THRUST_200600_302600_NS6detail15normal_iteratorINS9_10device_ptrIxEEEESE_SE_xNS9_10multipliesIxEENS9_8equal_toIxEExEE10hipError_tPvRmT2_T3_T4_T5_mT6_T7_P12ihipStream_tbENKUlT_T0_E_clISt17integral_constantIbLb0EESZ_EEDaSU_SV_EUlSU_E_NS1_11comp_targetILNS1_3genE9ELNS1_11target_archE1100ELNS1_3gpuE3ELNS1_3repE0EEENS1_30default_config_static_selectorELNS0_4arch9wavefront6targetE0EEEvT1_.num_vgpr, 0
	.set _ZN7rocprim17ROCPRIM_400000_NS6detail17trampoline_kernelINS0_14default_configENS1_27scan_by_key_config_selectorIxxEEZZNS1_16scan_by_key_implILNS1_25lookback_scan_determinismE0ELb0ES3_N6thrust23THRUST_200600_302600_NS6detail15normal_iteratorINS9_10device_ptrIxEEEESE_SE_xNS9_10multipliesIxEENS9_8equal_toIxEExEE10hipError_tPvRmT2_T3_T4_T5_mT6_T7_P12ihipStream_tbENKUlT_T0_E_clISt17integral_constantIbLb0EESZ_EEDaSU_SV_EUlSU_E_NS1_11comp_targetILNS1_3genE9ELNS1_11target_archE1100ELNS1_3gpuE3ELNS1_3repE0EEENS1_30default_config_static_selectorELNS0_4arch9wavefront6targetE0EEEvT1_.num_agpr, 0
	.set _ZN7rocprim17ROCPRIM_400000_NS6detail17trampoline_kernelINS0_14default_configENS1_27scan_by_key_config_selectorIxxEEZZNS1_16scan_by_key_implILNS1_25lookback_scan_determinismE0ELb0ES3_N6thrust23THRUST_200600_302600_NS6detail15normal_iteratorINS9_10device_ptrIxEEEESE_SE_xNS9_10multipliesIxEENS9_8equal_toIxEExEE10hipError_tPvRmT2_T3_T4_T5_mT6_T7_P12ihipStream_tbENKUlT_T0_E_clISt17integral_constantIbLb0EESZ_EEDaSU_SV_EUlSU_E_NS1_11comp_targetILNS1_3genE9ELNS1_11target_archE1100ELNS1_3gpuE3ELNS1_3repE0EEENS1_30default_config_static_selectorELNS0_4arch9wavefront6targetE0EEEvT1_.numbered_sgpr, 0
	.set _ZN7rocprim17ROCPRIM_400000_NS6detail17trampoline_kernelINS0_14default_configENS1_27scan_by_key_config_selectorIxxEEZZNS1_16scan_by_key_implILNS1_25lookback_scan_determinismE0ELb0ES3_N6thrust23THRUST_200600_302600_NS6detail15normal_iteratorINS9_10device_ptrIxEEEESE_SE_xNS9_10multipliesIxEENS9_8equal_toIxEExEE10hipError_tPvRmT2_T3_T4_T5_mT6_T7_P12ihipStream_tbENKUlT_T0_E_clISt17integral_constantIbLb0EESZ_EEDaSU_SV_EUlSU_E_NS1_11comp_targetILNS1_3genE9ELNS1_11target_archE1100ELNS1_3gpuE3ELNS1_3repE0EEENS1_30default_config_static_selectorELNS0_4arch9wavefront6targetE0EEEvT1_.num_named_barrier, 0
	.set _ZN7rocprim17ROCPRIM_400000_NS6detail17trampoline_kernelINS0_14default_configENS1_27scan_by_key_config_selectorIxxEEZZNS1_16scan_by_key_implILNS1_25lookback_scan_determinismE0ELb0ES3_N6thrust23THRUST_200600_302600_NS6detail15normal_iteratorINS9_10device_ptrIxEEEESE_SE_xNS9_10multipliesIxEENS9_8equal_toIxEExEE10hipError_tPvRmT2_T3_T4_T5_mT6_T7_P12ihipStream_tbENKUlT_T0_E_clISt17integral_constantIbLb0EESZ_EEDaSU_SV_EUlSU_E_NS1_11comp_targetILNS1_3genE9ELNS1_11target_archE1100ELNS1_3gpuE3ELNS1_3repE0EEENS1_30default_config_static_selectorELNS0_4arch9wavefront6targetE0EEEvT1_.private_seg_size, 0
	.set _ZN7rocprim17ROCPRIM_400000_NS6detail17trampoline_kernelINS0_14default_configENS1_27scan_by_key_config_selectorIxxEEZZNS1_16scan_by_key_implILNS1_25lookback_scan_determinismE0ELb0ES3_N6thrust23THRUST_200600_302600_NS6detail15normal_iteratorINS9_10device_ptrIxEEEESE_SE_xNS9_10multipliesIxEENS9_8equal_toIxEExEE10hipError_tPvRmT2_T3_T4_T5_mT6_T7_P12ihipStream_tbENKUlT_T0_E_clISt17integral_constantIbLb0EESZ_EEDaSU_SV_EUlSU_E_NS1_11comp_targetILNS1_3genE9ELNS1_11target_archE1100ELNS1_3gpuE3ELNS1_3repE0EEENS1_30default_config_static_selectorELNS0_4arch9wavefront6targetE0EEEvT1_.uses_vcc, 0
	.set _ZN7rocprim17ROCPRIM_400000_NS6detail17trampoline_kernelINS0_14default_configENS1_27scan_by_key_config_selectorIxxEEZZNS1_16scan_by_key_implILNS1_25lookback_scan_determinismE0ELb0ES3_N6thrust23THRUST_200600_302600_NS6detail15normal_iteratorINS9_10device_ptrIxEEEESE_SE_xNS9_10multipliesIxEENS9_8equal_toIxEExEE10hipError_tPvRmT2_T3_T4_T5_mT6_T7_P12ihipStream_tbENKUlT_T0_E_clISt17integral_constantIbLb0EESZ_EEDaSU_SV_EUlSU_E_NS1_11comp_targetILNS1_3genE9ELNS1_11target_archE1100ELNS1_3gpuE3ELNS1_3repE0EEENS1_30default_config_static_selectorELNS0_4arch9wavefront6targetE0EEEvT1_.uses_flat_scratch, 0
	.set _ZN7rocprim17ROCPRIM_400000_NS6detail17trampoline_kernelINS0_14default_configENS1_27scan_by_key_config_selectorIxxEEZZNS1_16scan_by_key_implILNS1_25lookback_scan_determinismE0ELb0ES3_N6thrust23THRUST_200600_302600_NS6detail15normal_iteratorINS9_10device_ptrIxEEEESE_SE_xNS9_10multipliesIxEENS9_8equal_toIxEExEE10hipError_tPvRmT2_T3_T4_T5_mT6_T7_P12ihipStream_tbENKUlT_T0_E_clISt17integral_constantIbLb0EESZ_EEDaSU_SV_EUlSU_E_NS1_11comp_targetILNS1_3genE9ELNS1_11target_archE1100ELNS1_3gpuE3ELNS1_3repE0EEENS1_30default_config_static_selectorELNS0_4arch9wavefront6targetE0EEEvT1_.has_dyn_sized_stack, 0
	.set _ZN7rocprim17ROCPRIM_400000_NS6detail17trampoline_kernelINS0_14default_configENS1_27scan_by_key_config_selectorIxxEEZZNS1_16scan_by_key_implILNS1_25lookback_scan_determinismE0ELb0ES3_N6thrust23THRUST_200600_302600_NS6detail15normal_iteratorINS9_10device_ptrIxEEEESE_SE_xNS9_10multipliesIxEENS9_8equal_toIxEExEE10hipError_tPvRmT2_T3_T4_T5_mT6_T7_P12ihipStream_tbENKUlT_T0_E_clISt17integral_constantIbLb0EESZ_EEDaSU_SV_EUlSU_E_NS1_11comp_targetILNS1_3genE9ELNS1_11target_archE1100ELNS1_3gpuE3ELNS1_3repE0EEENS1_30default_config_static_selectorELNS0_4arch9wavefront6targetE0EEEvT1_.has_recursion, 0
	.set _ZN7rocprim17ROCPRIM_400000_NS6detail17trampoline_kernelINS0_14default_configENS1_27scan_by_key_config_selectorIxxEEZZNS1_16scan_by_key_implILNS1_25lookback_scan_determinismE0ELb0ES3_N6thrust23THRUST_200600_302600_NS6detail15normal_iteratorINS9_10device_ptrIxEEEESE_SE_xNS9_10multipliesIxEENS9_8equal_toIxEExEE10hipError_tPvRmT2_T3_T4_T5_mT6_T7_P12ihipStream_tbENKUlT_T0_E_clISt17integral_constantIbLb0EESZ_EEDaSU_SV_EUlSU_E_NS1_11comp_targetILNS1_3genE9ELNS1_11target_archE1100ELNS1_3gpuE3ELNS1_3repE0EEENS1_30default_config_static_selectorELNS0_4arch9wavefront6targetE0EEEvT1_.has_indirect_call, 0
	.section	.AMDGPU.csdata,"",@progbits
; Kernel info:
; codeLenInByte = 0
; TotalNumSgprs: 0
; NumVgprs: 0
; ScratchSize: 0
; MemoryBound: 0
; FloatMode: 240
; IeeeMode: 1
; LDSByteSize: 0 bytes/workgroup (compile time only)
; SGPRBlocks: 0
; VGPRBlocks: 0
; NumSGPRsForWavesPerEU: 1
; NumVGPRsForWavesPerEU: 1
; NamedBarCnt: 0
; Occupancy: 16
; WaveLimiterHint : 0
; COMPUTE_PGM_RSRC2:SCRATCH_EN: 0
; COMPUTE_PGM_RSRC2:USER_SGPR: 2
; COMPUTE_PGM_RSRC2:TRAP_HANDLER: 0
; COMPUTE_PGM_RSRC2:TGID_X_EN: 1
; COMPUTE_PGM_RSRC2:TGID_Y_EN: 0
; COMPUTE_PGM_RSRC2:TGID_Z_EN: 0
; COMPUTE_PGM_RSRC2:TIDIG_COMP_CNT: 0
	.section	.text._ZN7rocprim17ROCPRIM_400000_NS6detail17trampoline_kernelINS0_14default_configENS1_27scan_by_key_config_selectorIxxEEZZNS1_16scan_by_key_implILNS1_25lookback_scan_determinismE0ELb0ES3_N6thrust23THRUST_200600_302600_NS6detail15normal_iteratorINS9_10device_ptrIxEEEESE_SE_xNS9_10multipliesIxEENS9_8equal_toIxEExEE10hipError_tPvRmT2_T3_T4_T5_mT6_T7_P12ihipStream_tbENKUlT_T0_E_clISt17integral_constantIbLb0EESZ_EEDaSU_SV_EUlSU_E_NS1_11comp_targetILNS1_3genE8ELNS1_11target_archE1030ELNS1_3gpuE2ELNS1_3repE0EEENS1_30default_config_static_selectorELNS0_4arch9wavefront6targetE0EEEvT1_,"axG",@progbits,_ZN7rocprim17ROCPRIM_400000_NS6detail17trampoline_kernelINS0_14default_configENS1_27scan_by_key_config_selectorIxxEEZZNS1_16scan_by_key_implILNS1_25lookback_scan_determinismE0ELb0ES3_N6thrust23THRUST_200600_302600_NS6detail15normal_iteratorINS9_10device_ptrIxEEEESE_SE_xNS9_10multipliesIxEENS9_8equal_toIxEExEE10hipError_tPvRmT2_T3_T4_T5_mT6_T7_P12ihipStream_tbENKUlT_T0_E_clISt17integral_constantIbLb0EESZ_EEDaSU_SV_EUlSU_E_NS1_11comp_targetILNS1_3genE8ELNS1_11target_archE1030ELNS1_3gpuE2ELNS1_3repE0EEENS1_30default_config_static_selectorELNS0_4arch9wavefront6targetE0EEEvT1_,comdat
	.protected	_ZN7rocprim17ROCPRIM_400000_NS6detail17trampoline_kernelINS0_14default_configENS1_27scan_by_key_config_selectorIxxEEZZNS1_16scan_by_key_implILNS1_25lookback_scan_determinismE0ELb0ES3_N6thrust23THRUST_200600_302600_NS6detail15normal_iteratorINS9_10device_ptrIxEEEESE_SE_xNS9_10multipliesIxEENS9_8equal_toIxEExEE10hipError_tPvRmT2_T3_T4_T5_mT6_T7_P12ihipStream_tbENKUlT_T0_E_clISt17integral_constantIbLb0EESZ_EEDaSU_SV_EUlSU_E_NS1_11comp_targetILNS1_3genE8ELNS1_11target_archE1030ELNS1_3gpuE2ELNS1_3repE0EEENS1_30default_config_static_selectorELNS0_4arch9wavefront6targetE0EEEvT1_ ; -- Begin function _ZN7rocprim17ROCPRIM_400000_NS6detail17trampoline_kernelINS0_14default_configENS1_27scan_by_key_config_selectorIxxEEZZNS1_16scan_by_key_implILNS1_25lookback_scan_determinismE0ELb0ES3_N6thrust23THRUST_200600_302600_NS6detail15normal_iteratorINS9_10device_ptrIxEEEESE_SE_xNS9_10multipliesIxEENS9_8equal_toIxEExEE10hipError_tPvRmT2_T3_T4_T5_mT6_T7_P12ihipStream_tbENKUlT_T0_E_clISt17integral_constantIbLb0EESZ_EEDaSU_SV_EUlSU_E_NS1_11comp_targetILNS1_3genE8ELNS1_11target_archE1030ELNS1_3gpuE2ELNS1_3repE0EEENS1_30default_config_static_selectorELNS0_4arch9wavefront6targetE0EEEvT1_
	.globl	_ZN7rocprim17ROCPRIM_400000_NS6detail17trampoline_kernelINS0_14default_configENS1_27scan_by_key_config_selectorIxxEEZZNS1_16scan_by_key_implILNS1_25lookback_scan_determinismE0ELb0ES3_N6thrust23THRUST_200600_302600_NS6detail15normal_iteratorINS9_10device_ptrIxEEEESE_SE_xNS9_10multipliesIxEENS9_8equal_toIxEExEE10hipError_tPvRmT2_T3_T4_T5_mT6_T7_P12ihipStream_tbENKUlT_T0_E_clISt17integral_constantIbLb0EESZ_EEDaSU_SV_EUlSU_E_NS1_11comp_targetILNS1_3genE8ELNS1_11target_archE1030ELNS1_3gpuE2ELNS1_3repE0EEENS1_30default_config_static_selectorELNS0_4arch9wavefront6targetE0EEEvT1_
	.p2align	8
	.type	_ZN7rocprim17ROCPRIM_400000_NS6detail17trampoline_kernelINS0_14default_configENS1_27scan_by_key_config_selectorIxxEEZZNS1_16scan_by_key_implILNS1_25lookback_scan_determinismE0ELb0ES3_N6thrust23THRUST_200600_302600_NS6detail15normal_iteratorINS9_10device_ptrIxEEEESE_SE_xNS9_10multipliesIxEENS9_8equal_toIxEExEE10hipError_tPvRmT2_T3_T4_T5_mT6_T7_P12ihipStream_tbENKUlT_T0_E_clISt17integral_constantIbLb0EESZ_EEDaSU_SV_EUlSU_E_NS1_11comp_targetILNS1_3genE8ELNS1_11target_archE1030ELNS1_3gpuE2ELNS1_3repE0EEENS1_30default_config_static_selectorELNS0_4arch9wavefront6targetE0EEEvT1_,@function
_ZN7rocprim17ROCPRIM_400000_NS6detail17trampoline_kernelINS0_14default_configENS1_27scan_by_key_config_selectorIxxEEZZNS1_16scan_by_key_implILNS1_25lookback_scan_determinismE0ELb0ES3_N6thrust23THRUST_200600_302600_NS6detail15normal_iteratorINS9_10device_ptrIxEEEESE_SE_xNS9_10multipliesIxEENS9_8equal_toIxEExEE10hipError_tPvRmT2_T3_T4_T5_mT6_T7_P12ihipStream_tbENKUlT_T0_E_clISt17integral_constantIbLb0EESZ_EEDaSU_SV_EUlSU_E_NS1_11comp_targetILNS1_3genE8ELNS1_11target_archE1030ELNS1_3gpuE2ELNS1_3repE0EEENS1_30default_config_static_selectorELNS0_4arch9wavefront6targetE0EEEvT1_: ; @_ZN7rocprim17ROCPRIM_400000_NS6detail17trampoline_kernelINS0_14default_configENS1_27scan_by_key_config_selectorIxxEEZZNS1_16scan_by_key_implILNS1_25lookback_scan_determinismE0ELb0ES3_N6thrust23THRUST_200600_302600_NS6detail15normal_iteratorINS9_10device_ptrIxEEEESE_SE_xNS9_10multipliesIxEENS9_8equal_toIxEExEE10hipError_tPvRmT2_T3_T4_T5_mT6_T7_P12ihipStream_tbENKUlT_T0_E_clISt17integral_constantIbLb0EESZ_EEDaSU_SV_EUlSU_E_NS1_11comp_targetILNS1_3genE8ELNS1_11target_archE1030ELNS1_3gpuE2ELNS1_3repE0EEENS1_30default_config_static_selectorELNS0_4arch9wavefront6targetE0EEEvT1_
; %bb.0:
	.section	.rodata,"a",@progbits
	.p2align	6, 0x0
	.amdhsa_kernel _ZN7rocprim17ROCPRIM_400000_NS6detail17trampoline_kernelINS0_14default_configENS1_27scan_by_key_config_selectorIxxEEZZNS1_16scan_by_key_implILNS1_25lookback_scan_determinismE0ELb0ES3_N6thrust23THRUST_200600_302600_NS6detail15normal_iteratorINS9_10device_ptrIxEEEESE_SE_xNS9_10multipliesIxEENS9_8equal_toIxEExEE10hipError_tPvRmT2_T3_T4_T5_mT6_T7_P12ihipStream_tbENKUlT_T0_E_clISt17integral_constantIbLb0EESZ_EEDaSU_SV_EUlSU_E_NS1_11comp_targetILNS1_3genE8ELNS1_11target_archE1030ELNS1_3gpuE2ELNS1_3repE0EEENS1_30default_config_static_selectorELNS0_4arch9wavefront6targetE0EEEvT1_
		.amdhsa_group_segment_fixed_size 0
		.amdhsa_private_segment_fixed_size 0
		.amdhsa_kernarg_size 136
		.amdhsa_user_sgpr_count 2
		.amdhsa_user_sgpr_dispatch_ptr 0
		.amdhsa_user_sgpr_queue_ptr 0
		.amdhsa_user_sgpr_kernarg_segment_ptr 1
		.amdhsa_user_sgpr_dispatch_id 0
		.amdhsa_user_sgpr_kernarg_preload_length 0
		.amdhsa_user_sgpr_kernarg_preload_offset 0
		.amdhsa_user_sgpr_private_segment_size 0
		.amdhsa_wavefront_size32 1
		.amdhsa_uses_dynamic_stack 0
		.amdhsa_enable_private_segment 0
		.amdhsa_system_sgpr_workgroup_id_x 1
		.amdhsa_system_sgpr_workgroup_id_y 0
		.amdhsa_system_sgpr_workgroup_id_z 0
		.amdhsa_system_sgpr_workgroup_info 0
		.amdhsa_system_vgpr_workitem_id 0
		.amdhsa_next_free_vgpr 1
		.amdhsa_next_free_sgpr 1
		.amdhsa_named_barrier_count 0
		.amdhsa_reserve_vcc 0
		.amdhsa_float_round_mode_32 0
		.amdhsa_float_round_mode_16_64 0
		.amdhsa_float_denorm_mode_32 3
		.amdhsa_float_denorm_mode_16_64 3
		.amdhsa_fp16_overflow 0
		.amdhsa_memory_ordered 1
		.amdhsa_forward_progress 1
		.amdhsa_inst_pref_size 0
		.amdhsa_round_robin_scheduling 0
		.amdhsa_exception_fp_ieee_invalid_op 0
		.amdhsa_exception_fp_denorm_src 0
		.amdhsa_exception_fp_ieee_div_zero 0
		.amdhsa_exception_fp_ieee_overflow 0
		.amdhsa_exception_fp_ieee_underflow 0
		.amdhsa_exception_fp_ieee_inexact 0
		.amdhsa_exception_int_div_zero 0
	.end_amdhsa_kernel
	.section	.text._ZN7rocprim17ROCPRIM_400000_NS6detail17trampoline_kernelINS0_14default_configENS1_27scan_by_key_config_selectorIxxEEZZNS1_16scan_by_key_implILNS1_25lookback_scan_determinismE0ELb0ES3_N6thrust23THRUST_200600_302600_NS6detail15normal_iteratorINS9_10device_ptrIxEEEESE_SE_xNS9_10multipliesIxEENS9_8equal_toIxEExEE10hipError_tPvRmT2_T3_T4_T5_mT6_T7_P12ihipStream_tbENKUlT_T0_E_clISt17integral_constantIbLb0EESZ_EEDaSU_SV_EUlSU_E_NS1_11comp_targetILNS1_3genE8ELNS1_11target_archE1030ELNS1_3gpuE2ELNS1_3repE0EEENS1_30default_config_static_selectorELNS0_4arch9wavefront6targetE0EEEvT1_,"axG",@progbits,_ZN7rocprim17ROCPRIM_400000_NS6detail17trampoline_kernelINS0_14default_configENS1_27scan_by_key_config_selectorIxxEEZZNS1_16scan_by_key_implILNS1_25lookback_scan_determinismE0ELb0ES3_N6thrust23THRUST_200600_302600_NS6detail15normal_iteratorINS9_10device_ptrIxEEEESE_SE_xNS9_10multipliesIxEENS9_8equal_toIxEExEE10hipError_tPvRmT2_T3_T4_T5_mT6_T7_P12ihipStream_tbENKUlT_T0_E_clISt17integral_constantIbLb0EESZ_EEDaSU_SV_EUlSU_E_NS1_11comp_targetILNS1_3genE8ELNS1_11target_archE1030ELNS1_3gpuE2ELNS1_3repE0EEENS1_30default_config_static_selectorELNS0_4arch9wavefront6targetE0EEEvT1_,comdat
.Lfunc_end55:
	.size	_ZN7rocprim17ROCPRIM_400000_NS6detail17trampoline_kernelINS0_14default_configENS1_27scan_by_key_config_selectorIxxEEZZNS1_16scan_by_key_implILNS1_25lookback_scan_determinismE0ELb0ES3_N6thrust23THRUST_200600_302600_NS6detail15normal_iteratorINS9_10device_ptrIxEEEESE_SE_xNS9_10multipliesIxEENS9_8equal_toIxEExEE10hipError_tPvRmT2_T3_T4_T5_mT6_T7_P12ihipStream_tbENKUlT_T0_E_clISt17integral_constantIbLb0EESZ_EEDaSU_SV_EUlSU_E_NS1_11comp_targetILNS1_3genE8ELNS1_11target_archE1030ELNS1_3gpuE2ELNS1_3repE0EEENS1_30default_config_static_selectorELNS0_4arch9wavefront6targetE0EEEvT1_, .Lfunc_end55-_ZN7rocprim17ROCPRIM_400000_NS6detail17trampoline_kernelINS0_14default_configENS1_27scan_by_key_config_selectorIxxEEZZNS1_16scan_by_key_implILNS1_25lookback_scan_determinismE0ELb0ES3_N6thrust23THRUST_200600_302600_NS6detail15normal_iteratorINS9_10device_ptrIxEEEESE_SE_xNS9_10multipliesIxEENS9_8equal_toIxEExEE10hipError_tPvRmT2_T3_T4_T5_mT6_T7_P12ihipStream_tbENKUlT_T0_E_clISt17integral_constantIbLb0EESZ_EEDaSU_SV_EUlSU_E_NS1_11comp_targetILNS1_3genE8ELNS1_11target_archE1030ELNS1_3gpuE2ELNS1_3repE0EEENS1_30default_config_static_selectorELNS0_4arch9wavefront6targetE0EEEvT1_
                                        ; -- End function
	.set _ZN7rocprim17ROCPRIM_400000_NS6detail17trampoline_kernelINS0_14default_configENS1_27scan_by_key_config_selectorIxxEEZZNS1_16scan_by_key_implILNS1_25lookback_scan_determinismE0ELb0ES3_N6thrust23THRUST_200600_302600_NS6detail15normal_iteratorINS9_10device_ptrIxEEEESE_SE_xNS9_10multipliesIxEENS9_8equal_toIxEExEE10hipError_tPvRmT2_T3_T4_T5_mT6_T7_P12ihipStream_tbENKUlT_T0_E_clISt17integral_constantIbLb0EESZ_EEDaSU_SV_EUlSU_E_NS1_11comp_targetILNS1_3genE8ELNS1_11target_archE1030ELNS1_3gpuE2ELNS1_3repE0EEENS1_30default_config_static_selectorELNS0_4arch9wavefront6targetE0EEEvT1_.num_vgpr, 0
	.set _ZN7rocprim17ROCPRIM_400000_NS6detail17trampoline_kernelINS0_14default_configENS1_27scan_by_key_config_selectorIxxEEZZNS1_16scan_by_key_implILNS1_25lookback_scan_determinismE0ELb0ES3_N6thrust23THRUST_200600_302600_NS6detail15normal_iteratorINS9_10device_ptrIxEEEESE_SE_xNS9_10multipliesIxEENS9_8equal_toIxEExEE10hipError_tPvRmT2_T3_T4_T5_mT6_T7_P12ihipStream_tbENKUlT_T0_E_clISt17integral_constantIbLb0EESZ_EEDaSU_SV_EUlSU_E_NS1_11comp_targetILNS1_3genE8ELNS1_11target_archE1030ELNS1_3gpuE2ELNS1_3repE0EEENS1_30default_config_static_selectorELNS0_4arch9wavefront6targetE0EEEvT1_.num_agpr, 0
	.set _ZN7rocprim17ROCPRIM_400000_NS6detail17trampoline_kernelINS0_14default_configENS1_27scan_by_key_config_selectorIxxEEZZNS1_16scan_by_key_implILNS1_25lookback_scan_determinismE0ELb0ES3_N6thrust23THRUST_200600_302600_NS6detail15normal_iteratorINS9_10device_ptrIxEEEESE_SE_xNS9_10multipliesIxEENS9_8equal_toIxEExEE10hipError_tPvRmT2_T3_T4_T5_mT6_T7_P12ihipStream_tbENKUlT_T0_E_clISt17integral_constantIbLb0EESZ_EEDaSU_SV_EUlSU_E_NS1_11comp_targetILNS1_3genE8ELNS1_11target_archE1030ELNS1_3gpuE2ELNS1_3repE0EEENS1_30default_config_static_selectorELNS0_4arch9wavefront6targetE0EEEvT1_.numbered_sgpr, 0
	.set _ZN7rocprim17ROCPRIM_400000_NS6detail17trampoline_kernelINS0_14default_configENS1_27scan_by_key_config_selectorIxxEEZZNS1_16scan_by_key_implILNS1_25lookback_scan_determinismE0ELb0ES3_N6thrust23THRUST_200600_302600_NS6detail15normal_iteratorINS9_10device_ptrIxEEEESE_SE_xNS9_10multipliesIxEENS9_8equal_toIxEExEE10hipError_tPvRmT2_T3_T4_T5_mT6_T7_P12ihipStream_tbENKUlT_T0_E_clISt17integral_constantIbLb0EESZ_EEDaSU_SV_EUlSU_E_NS1_11comp_targetILNS1_3genE8ELNS1_11target_archE1030ELNS1_3gpuE2ELNS1_3repE0EEENS1_30default_config_static_selectorELNS0_4arch9wavefront6targetE0EEEvT1_.num_named_barrier, 0
	.set _ZN7rocprim17ROCPRIM_400000_NS6detail17trampoline_kernelINS0_14default_configENS1_27scan_by_key_config_selectorIxxEEZZNS1_16scan_by_key_implILNS1_25lookback_scan_determinismE0ELb0ES3_N6thrust23THRUST_200600_302600_NS6detail15normal_iteratorINS9_10device_ptrIxEEEESE_SE_xNS9_10multipliesIxEENS9_8equal_toIxEExEE10hipError_tPvRmT2_T3_T4_T5_mT6_T7_P12ihipStream_tbENKUlT_T0_E_clISt17integral_constantIbLb0EESZ_EEDaSU_SV_EUlSU_E_NS1_11comp_targetILNS1_3genE8ELNS1_11target_archE1030ELNS1_3gpuE2ELNS1_3repE0EEENS1_30default_config_static_selectorELNS0_4arch9wavefront6targetE0EEEvT1_.private_seg_size, 0
	.set _ZN7rocprim17ROCPRIM_400000_NS6detail17trampoline_kernelINS0_14default_configENS1_27scan_by_key_config_selectorIxxEEZZNS1_16scan_by_key_implILNS1_25lookback_scan_determinismE0ELb0ES3_N6thrust23THRUST_200600_302600_NS6detail15normal_iteratorINS9_10device_ptrIxEEEESE_SE_xNS9_10multipliesIxEENS9_8equal_toIxEExEE10hipError_tPvRmT2_T3_T4_T5_mT6_T7_P12ihipStream_tbENKUlT_T0_E_clISt17integral_constantIbLb0EESZ_EEDaSU_SV_EUlSU_E_NS1_11comp_targetILNS1_3genE8ELNS1_11target_archE1030ELNS1_3gpuE2ELNS1_3repE0EEENS1_30default_config_static_selectorELNS0_4arch9wavefront6targetE0EEEvT1_.uses_vcc, 0
	.set _ZN7rocprim17ROCPRIM_400000_NS6detail17trampoline_kernelINS0_14default_configENS1_27scan_by_key_config_selectorIxxEEZZNS1_16scan_by_key_implILNS1_25lookback_scan_determinismE0ELb0ES3_N6thrust23THRUST_200600_302600_NS6detail15normal_iteratorINS9_10device_ptrIxEEEESE_SE_xNS9_10multipliesIxEENS9_8equal_toIxEExEE10hipError_tPvRmT2_T3_T4_T5_mT6_T7_P12ihipStream_tbENKUlT_T0_E_clISt17integral_constantIbLb0EESZ_EEDaSU_SV_EUlSU_E_NS1_11comp_targetILNS1_3genE8ELNS1_11target_archE1030ELNS1_3gpuE2ELNS1_3repE0EEENS1_30default_config_static_selectorELNS0_4arch9wavefront6targetE0EEEvT1_.uses_flat_scratch, 0
	.set _ZN7rocprim17ROCPRIM_400000_NS6detail17trampoline_kernelINS0_14default_configENS1_27scan_by_key_config_selectorIxxEEZZNS1_16scan_by_key_implILNS1_25lookback_scan_determinismE0ELb0ES3_N6thrust23THRUST_200600_302600_NS6detail15normal_iteratorINS9_10device_ptrIxEEEESE_SE_xNS9_10multipliesIxEENS9_8equal_toIxEExEE10hipError_tPvRmT2_T3_T4_T5_mT6_T7_P12ihipStream_tbENKUlT_T0_E_clISt17integral_constantIbLb0EESZ_EEDaSU_SV_EUlSU_E_NS1_11comp_targetILNS1_3genE8ELNS1_11target_archE1030ELNS1_3gpuE2ELNS1_3repE0EEENS1_30default_config_static_selectorELNS0_4arch9wavefront6targetE0EEEvT1_.has_dyn_sized_stack, 0
	.set _ZN7rocprim17ROCPRIM_400000_NS6detail17trampoline_kernelINS0_14default_configENS1_27scan_by_key_config_selectorIxxEEZZNS1_16scan_by_key_implILNS1_25lookback_scan_determinismE0ELb0ES3_N6thrust23THRUST_200600_302600_NS6detail15normal_iteratorINS9_10device_ptrIxEEEESE_SE_xNS9_10multipliesIxEENS9_8equal_toIxEExEE10hipError_tPvRmT2_T3_T4_T5_mT6_T7_P12ihipStream_tbENKUlT_T0_E_clISt17integral_constantIbLb0EESZ_EEDaSU_SV_EUlSU_E_NS1_11comp_targetILNS1_3genE8ELNS1_11target_archE1030ELNS1_3gpuE2ELNS1_3repE0EEENS1_30default_config_static_selectorELNS0_4arch9wavefront6targetE0EEEvT1_.has_recursion, 0
	.set _ZN7rocprim17ROCPRIM_400000_NS6detail17trampoline_kernelINS0_14default_configENS1_27scan_by_key_config_selectorIxxEEZZNS1_16scan_by_key_implILNS1_25lookback_scan_determinismE0ELb0ES3_N6thrust23THRUST_200600_302600_NS6detail15normal_iteratorINS9_10device_ptrIxEEEESE_SE_xNS9_10multipliesIxEENS9_8equal_toIxEExEE10hipError_tPvRmT2_T3_T4_T5_mT6_T7_P12ihipStream_tbENKUlT_T0_E_clISt17integral_constantIbLb0EESZ_EEDaSU_SV_EUlSU_E_NS1_11comp_targetILNS1_3genE8ELNS1_11target_archE1030ELNS1_3gpuE2ELNS1_3repE0EEENS1_30default_config_static_selectorELNS0_4arch9wavefront6targetE0EEEvT1_.has_indirect_call, 0
	.section	.AMDGPU.csdata,"",@progbits
; Kernel info:
; codeLenInByte = 0
; TotalNumSgprs: 0
; NumVgprs: 0
; ScratchSize: 0
; MemoryBound: 0
; FloatMode: 240
; IeeeMode: 1
; LDSByteSize: 0 bytes/workgroup (compile time only)
; SGPRBlocks: 0
; VGPRBlocks: 0
; NumSGPRsForWavesPerEU: 1
; NumVGPRsForWavesPerEU: 1
; NamedBarCnt: 0
; Occupancy: 16
; WaveLimiterHint : 0
; COMPUTE_PGM_RSRC2:SCRATCH_EN: 0
; COMPUTE_PGM_RSRC2:USER_SGPR: 2
; COMPUTE_PGM_RSRC2:TRAP_HANDLER: 0
; COMPUTE_PGM_RSRC2:TGID_X_EN: 1
; COMPUTE_PGM_RSRC2:TGID_Y_EN: 0
; COMPUTE_PGM_RSRC2:TGID_Z_EN: 0
; COMPUTE_PGM_RSRC2:TIDIG_COMP_CNT: 0
	.section	.text._ZN7rocprim17ROCPRIM_400000_NS6detail17trampoline_kernelINS0_14default_configENS1_27scan_by_key_config_selectorIxxEEZZNS1_16scan_by_key_implILNS1_25lookback_scan_determinismE0ELb0ES3_N6thrust23THRUST_200600_302600_NS6detail15normal_iteratorINS9_10device_ptrIxEEEESE_SE_xNS9_10multipliesIxEENS9_8equal_toIxEExEE10hipError_tPvRmT2_T3_T4_T5_mT6_T7_P12ihipStream_tbENKUlT_T0_E_clISt17integral_constantIbLb1EESZ_EEDaSU_SV_EUlSU_E_NS1_11comp_targetILNS1_3genE0ELNS1_11target_archE4294967295ELNS1_3gpuE0ELNS1_3repE0EEENS1_30default_config_static_selectorELNS0_4arch9wavefront6targetE0EEEvT1_,"axG",@progbits,_ZN7rocprim17ROCPRIM_400000_NS6detail17trampoline_kernelINS0_14default_configENS1_27scan_by_key_config_selectorIxxEEZZNS1_16scan_by_key_implILNS1_25lookback_scan_determinismE0ELb0ES3_N6thrust23THRUST_200600_302600_NS6detail15normal_iteratorINS9_10device_ptrIxEEEESE_SE_xNS9_10multipliesIxEENS9_8equal_toIxEExEE10hipError_tPvRmT2_T3_T4_T5_mT6_T7_P12ihipStream_tbENKUlT_T0_E_clISt17integral_constantIbLb1EESZ_EEDaSU_SV_EUlSU_E_NS1_11comp_targetILNS1_3genE0ELNS1_11target_archE4294967295ELNS1_3gpuE0ELNS1_3repE0EEENS1_30default_config_static_selectorELNS0_4arch9wavefront6targetE0EEEvT1_,comdat
	.protected	_ZN7rocprim17ROCPRIM_400000_NS6detail17trampoline_kernelINS0_14default_configENS1_27scan_by_key_config_selectorIxxEEZZNS1_16scan_by_key_implILNS1_25lookback_scan_determinismE0ELb0ES3_N6thrust23THRUST_200600_302600_NS6detail15normal_iteratorINS9_10device_ptrIxEEEESE_SE_xNS9_10multipliesIxEENS9_8equal_toIxEExEE10hipError_tPvRmT2_T3_T4_T5_mT6_T7_P12ihipStream_tbENKUlT_T0_E_clISt17integral_constantIbLb1EESZ_EEDaSU_SV_EUlSU_E_NS1_11comp_targetILNS1_3genE0ELNS1_11target_archE4294967295ELNS1_3gpuE0ELNS1_3repE0EEENS1_30default_config_static_selectorELNS0_4arch9wavefront6targetE0EEEvT1_ ; -- Begin function _ZN7rocprim17ROCPRIM_400000_NS6detail17trampoline_kernelINS0_14default_configENS1_27scan_by_key_config_selectorIxxEEZZNS1_16scan_by_key_implILNS1_25lookback_scan_determinismE0ELb0ES3_N6thrust23THRUST_200600_302600_NS6detail15normal_iteratorINS9_10device_ptrIxEEEESE_SE_xNS9_10multipliesIxEENS9_8equal_toIxEExEE10hipError_tPvRmT2_T3_T4_T5_mT6_T7_P12ihipStream_tbENKUlT_T0_E_clISt17integral_constantIbLb1EESZ_EEDaSU_SV_EUlSU_E_NS1_11comp_targetILNS1_3genE0ELNS1_11target_archE4294967295ELNS1_3gpuE0ELNS1_3repE0EEENS1_30default_config_static_selectorELNS0_4arch9wavefront6targetE0EEEvT1_
	.globl	_ZN7rocprim17ROCPRIM_400000_NS6detail17trampoline_kernelINS0_14default_configENS1_27scan_by_key_config_selectorIxxEEZZNS1_16scan_by_key_implILNS1_25lookback_scan_determinismE0ELb0ES3_N6thrust23THRUST_200600_302600_NS6detail15normal_iteratorINS9_10device_ptrIxEEEESE_SE_xNS9_10multipliesIxEENS9_8equal_toIxEExEE10hipError_tPvRmT2_T3_T4_T5_mT6_T7_P12ihipStream_tbENKUlT_T0_E_clISt17integral_constantIbLb1EESZ_EEDaSU_SV_EUlSU_E_NS1_11comp_targetILNS1_3genE0ELNS1_11target_archE4294967295ELNS1_3gpuE0ELNS1_3repE0EEENS1_30default_config_static_selectorELNS0_4arch9wavefront6targetE0EEEvT1_
	.p2align	8
	.type	_ZN7rocprim17ROCPRIM_400000_NS6detail17trampoline_kernelINS0_14default_configENS1_27scan_by_key_config_selectorIxxEEZZNS1_16scan_by_key_implILNS1_25lookback_scan_determinismE0ELb0ES3_N6thrust23THRUST_200600_302600_NS6detail15normal_iteratorINS9_10device_ptrIxEEEESE_SE_xNS9_10multipliesIxEENS9_8equal_toIxEExEE10hipError_tPvRmT2_T3_T4_T5_mT6_T7_P12ihipStream_tbENKUlT_T0_E_clISt17integral_constantIbLb1EESZ_EEDaSU_SV_EUlSU_E_NS1_11comp_targetILNS1_3genE0ELNS1_11target_archE4294967295ELNS1_3gpuE0ELNS1_3repE0EEENS1_30default_config_static_selectorELNS0_4arch9wavefront6targetE0EEEvT1_,@function
_ZN7rocprim17ROCPRIM_400000_NS6detail17trampoline_kernelINS0_14default_configENS1_27scan_by_key_config_selectorIxxEEZZNS1_16scan_by_key_implILNS1_25lookback_scan_determinismE0ELb0ES3_N6thrust23THRUST_200600_302600_NS6detail15normal_iteratorINS9_10device_ptrIxEEEESE_SE_xNS9_10multipliesIxEENS9_8equal_toIxEExEE10hipError_tPvRmT2_T3_T4_T5_mT6_T7_P12ihipStream_tbENKUlT_T0_E_clISt17integral_constantIbLb1EESZ_EEDaSU_SV_EUlSU_E_NS1_11comp_targetILNS1_3genE0ELNS1_11target_archE4294967295ELNS1_3gpuE0ELNS1_3repE0EEENS1_30default_config_static_selectorELNS0_4arch9wavefront6targetE0EEEvT1_: ; @_ZN7rocprim17ROCPRIM_400000_NS6detail17trampoline_kernelINS0_14default_configENS1_27scan_by_key_config_selectorIxxEEZZNS1_16scan_by_key_implILNS1_25lookback_scan_determinismE0ELb0ES3_N6thrust23THRUST_200600_302600_NS6detail15normal_iteratorINS9_10device_ptrIxEEEESE_SE_xNS9_10multipliesIxEENS9_8equal_toIxEExEE10hipError_tPvRmT2_T3_T4_T5_mT6_T7_P12ihipStream_tbENKUlT_T0_E_clISt17integral_constantIbLb1EESZ_EEDaSU_SV_EUlSU_E_NS1_11comp_targetILNS1_3genE0ELNS1_11target_archE4294967295ELNS1_3gpuE0ELNS1_3repE0EEENS1_30default_config_static_selectorELNS0_4arch9wavefront6targetE0EEEvT1_
; %bb.0:
	s_endpgm
	.section	.rodata,"a",@progbits
	.p2align	6, 0x0
	.amdhsa_kernel _ZN7rocprim17ROCPRIM_400000_NS6detail17trampoline_kernelINS0_14default_configENS1_27scan_by_key_config_selectorIxxEEZZNS1_16scan_by_key_implILNS1_25lookback_scan_determinismE0ELb0ES3_N6thrust23THRUST_200600_302600_NS6detail15normal_iteratorINS9_10device_ptrIxEEEESE_SE_xNS9_10multipliesIxEENS9_8equal_toIxEExEE10hipError_tPvRmT2_T3_T4_T5_mT6_T7_P12ihipStream_tbENKUlT_T0_E_clISt17integral_constantIbLb1EESZ_EEDaSU_SV_EUlSU_E_NS1_11comp_targetILNS1_3genE0ELNS1_11target_archE4294967295ELNS1_3gpuE0ELNS1_3repE0EEENS1_30default_config_static_selectorELNS0_4arch9wavefront6targetE0EEEvT1_
		.amdhsa_group_segment_fixed_size 0
		.amdhsa_private_segment_fixed_size 0
		.amdhsa_kernarg_size 136
		.amdhsa_user_sgpr_count 2
		.amdhsa_user_sgpr_dispatch_ptr 0
		.amdhsa_user_sgpr_queue_ptr 0
		.amdhsa_user_sgpr_kernarg_segment_ptr 1
		.amdhsa_user_sgpr_dispatch_id 0
		.amdhsa_user_sgpr_kernarg_preload_length 0
		.amdhsa_user_sgpr_kernarg_preload_offset 0
		.amdhsa_user_sgpr_private_segment_size 0
		.amdhsa_wavefront_size32 1
		.amdhsa_uses_dynamic_stack 0
		.amdhsa_enable_private_segment 0
		.amdhsa_system_sgpr_workgroup_id_x 1
		.amdhsa_system_sgpr_workgroup_id_y 0
		.amdhsa_system_sgpr_workgroup_id_z 0
		.amdhsa_system_sgpr_workgroup_info 0
		.amdhsa_system_vgpr_workitem_id 0
		.amdhsa_next_free_vgpr 1
		.amdhsa_next_free_sgpr 1
		.amdhsa_named_barrier_count 0
		.amdhsa_reserve_vcc 0
		.amdhsa_float_round_mode_32 0
		.amdhsa_float_round_mode_16_64 0
		.amdhsa_float_denorm_mode_32 3
		.amdhsa_float_denorm_mode_16_64 3
		.amdhsa_fp16_overflow 0
		.amdhsa_memory_ordered 1
		.amdhsa_forward_progress 1
		.amdhsa_inst_pref_size 1
		.amdhsa_round_robin_scheduling 0
		.amdhsa_exception_fp_ieee_invalid_op 0
		.amdhsa_exception_fp_denorm_src 0
		.amdhsa_exception_fp_ieee_div_zero 0
		.amdhsa_exception_fp_ieee_overflow 0
		.amdhsa_exception_fp_ieee_underflow 0
		.amdhsa_exception_fp_ieee_inexact 0
		.amdhsa_exception_int_div_zero 0
	.end_amdhsa_kernel
	.section	.text._ZN7rocprim17ROCPRIM_400000_NS6detail17trampoline_kernelINS0_14default_configENS1_27scan_by_key_config_selectorIxxEEZZNS1_16scan_by_key_implILNS1_25lookback_scan_determinismE0ELb0ES3_N6thrust23THRUST_200600_302600_NS6detail15normal_iteratorINS9_10device_ptrIxEEEESE_SE_xNS9_10multipliesIxEENS9_8equal_toIxEExEE10hipError_tPvRmT2_T3_T4_T5_mT6_T7_P12ihipStream_tbENKUlT_T0_E_clISt17integral_constantIbLb1EESZ_EEDaSU_SV_EUlSU_E_NS1_11comp_targetILNS1_3genE0ELNS1_11target_archE4294967295ELNS1_3gpuE0ELNS1_3repE0EEENS1_30default_config_static_selectorELNS0_4arch9wavefront6targetE0EEEvT1_,"axG",@progbits,_ZN7rocprim17ROCPRIM_400000_NS6detail17trampoline_kernelINS0_14default_configENS1_27scan_by_key_config_selectorIxxEEZZNS1_16scan_by_key_implILNS1_25lookback_scan_determinismE0ELb0ES3_N6thrust23THRUST_200600_302600_NS6detail15normal_iteratorINS9_10device_ptrIxEEEESE_SE_xNS9_10multipliesIxEENS9_8equal_toIxEExEE10hipError_tPvRmT2_T3_T4_T5_mT6_T7_P12ihipStream_tbENKUlT_T0_E_clISt17integral_constantIbLb1EESZ_EEDaSU_SV_EUlSU_E_NS1_11comp_targetILNS1_3genE0ELNS1_11target_archE4294967295ELNS1_3gpuE0ELNS1_3repE0EEENS1_30default_config_static_selectorELNS0_4arch9wavefront6targetE0EEEvT1_,comdat
.Lfunc_end56:
	.size	_ZN7rocprim17ROCPRIM_400000_NS6detail17trampoline_kernelINS0_14default_configENS1_27scan_by_key_config_selectorIxxEEZZNS1_16scan_by_key_implILNS1_25lookback_scan_determinismE0ELb0ES3_N6thrust23THRUST_200600_302600_NS6detail15normal_iteratorINS9_10device_ptrIxEEEESE_SE_xNS9_10multipliesIxEENS9_8equal_toIxEExEE10hipError_tPvRmT2_T3_T4_T5_mT6_T7_P12ihipStream_tbENKUlT_T0_E_clISt17integral_constantIbLb1EESZ_EEDaSU_SV_EUlSU_E_NS1_11comp_targetILNS1_3genE0ELNS1_11target_archE4294967295ELNS1_3gpuE0ELNS1_3repE0EEENS1_30default_config_static_selectorELNS0_4arch9wavefront6targetE0EEEvT1_, .Lfunc_end56-_ZN7rocprim17ROCPRIM_400000_NS6detail17trampoline_kernelINS0_14default_configENS1_27scan_by_key_config_selectorIxxEEZZNS1_16scan_by_key_implILNS1_25lookback_scan_determinismE0ELb0ES3_N6thrust23THRUST_200600_302600_NS6detail15normal_iteratorINS9_10device_ptrIxEEEESE_SE_xNS9_10multipliesIxEENS9_8equal_toIxEExEE10hipError_tPvRmT2_T3_T4_T5_mT6_T7_P12ihipStream_tbENKUlT_T0_E_clISt17integral_constantIbLb1EESZ_EEDaSU_SV_EUlSU_E_NS1_11comp_targetILNS1_3genE0ELNS1_11target_archE4294967295ELNS1_3gpuE0ELNS1_3repE0EEENS1_30default_config_static_selectorELNS0_4arch9wavefront6targetE0EEEvT1_
                                        ; -- End function
	.set _ZN7rocprim17ROCPRIM_400000_NS6detail17trampoline_kernelINS0_14default_configENS1_27scan_by_key_config_selectorIxxEEZZNS1_16scan_by_key_implILNS1_25lookback_scan_determinismE0ELb0ES3_N6thrust23THRUST_200600_302600_NS6detail15normal_iteratorINS9_10device_ptrIxEEEESE_SE_xNS9_10multipliesIxEENS9_8equal_toIxEExEE10hipError_tPvRmT2_T3_T4_T5_mT6_T7_P12ihipStream_tbENKUlT_T0_E_clISt17integral_constantIbLb1EESZ_EEDaSU_SV_EUlSU_E_NS1_11comp_targetILNS1_3genE0ELNS1_11target_archE4294967295ELNS1_3gpuE0ELNS1_3repE0EEENS1_30default_config_static_selectorELNS0_4arch9wavefront6targetE0EEEvT1_.num_vgpr, 0
	.set _ZN7rocprim17ROCPRIM_400000_NS6detail17trampoline_kernelINS0_14default_configENS1_27scan_by_key_config_selectorIxxEEZZNS1_16scan_by_key_implILNS1_25lookback_scan_determinismE0ELb0ES3_N6thrust23THRUST_200600_302600_NS6detail15normal_iteratorINS9_10device_ptrIxEEEESE_SE_xNS9_10multipliesIxEENS9_8equal_toIxEExEE10hipError_tPvRmT2_T3_T4_T5_mT6_T7_P12ihipStream_tbENKUlT_T0_E_clISt17integral_constantIbLb1EESZ_EEDaSU_SV_EUlSU_E_NS1_11comp_targetILNS1_3genE0ELNS1_11target_archE4294967295ELNS1_3gpuE0ELNS1_3repE0EEENS1_30default_config_static_selectorELNS0_4arch9wavefront6targetE0EEEvT1_.num_agpr, 0
	.set _ZN7rocprim17ROCPRIM_400000_NS6detail17trampoline_kernelINS0_14default_configENS1_27scan_by_key_config_selectorIxxEEZZNS1_16scan_by_key_implILNS1_25lookback_scan_determinismE0ELb0ES3_N6thrust23THRUST_200600_302600_NS6detail15normal_iteratorINS9_10device_ptrIxEEEESE_SE_xNS9_10multipliesIxEENS9_8equal_toIxEExEE10hipError_tPvRmT2_T3_T4_T5_mT6_T7_P12ihipStream_tbENKUlT_T0_E_clISt17integral_constantIbLb1EESZ_EEDaSU_SV_EUlSU_E_NS1_11comp_targetILNS1_3genE0ELNS1_11target_archE4294967295ELNS1_3gpuE0ELNS1_3repE0EEENS1_30default_config_static_selectorELNS0_4arch9wavefront6targetE0EEEvT1_.numbered_sgpr, 0
	.set _ZN7rocprim17ROCPRIM_400000_NS6detail17trampoline_kernelINS0_14default_configENS1_27scan_by_key_config_selectorIxxEEZZNS1_16scan_by_key_implILNS1_25lookback_scan_determinismE0ELb0ES3_N6thrust23THRUST_200600_302600_NS6detail15normal_iteratorINS9_10device_ptrIxEEEESE_SE_xNS9_10multipliesIxEENS9_8equal_toIxEExEE10hipError_tPvRmT2_T3_T4_T5_mT6_T7_P12ihipStream_tbENKUlT_T0_E_clISt17integral_constantIbLb1EESZ_EEDaSU_SV_EUlSU_E_NS1_11comp_targetILNS1_3genE0ELNS1_11target_archE4294967295ELNS1_3gpuE0ELNS1_3repE0EEENS1_30default_config_static_selectorELNS0_4arch9wavefront6targetE0EEEvT1_.num_named_barrier, 0
	.set _ZN7rocprim17ROCPRIM_400000_NS6detail17trampoline_kernelINS0_14default_configENS1_27scan_by_key_config_selectorIxxEEZZNS1_16scan_by_key_implILNS1_25lookback_scan_determinismE0ELb0ES3_N6thrust23THRUST_200600_302600_NS6detail15normal_iteratorINS9_10device_ptrIxEEEESE_SE_xNS9_10multipliesIxEENS9_8equal_toIxEExEE10hipError_tPvRmT2_T3_T4_T5_mT6_T7_P12ihipStream_tbENKUlT_T0_E_clISt17integral_constantIbLb1EESZ_EEDaSU_SV_EUlSU_E_NS1_11comp_targetILNS1_3genE0ELNS1_11target_archE4294967295ELNS1_3gpuE0ELNS1_3repE0EEENS1_30default_config_static_selectorELNS0_4arch9wavefront6targetE0EEEvT1_.private_seg_size, 0
	.set _ZN7rocprim17ROCPRIM_400000_NS6detail17trampoline_kernelINS0_14default_configENS1_27scan_by_key_config_selectorIxxEEZZNS1_16scan_by_key_implILNS1_25lookback_scan_determinismE0ELb0ES3_N6thrust23THRUST_200600_302600_NS6detail15normal_iteratorINS9_10device_ptrIxEEEESE_SE_xNS9_10multipliesIxEENS9_8equal_toIxEExEE10hipError_tPvRmT2_T3_T4_T5_mT6_T7_P12ihipStream_tbENKUlT_T0_E_clISt17integral_constantIbLb1EESZ_EEDaSU_SV_EUlSU_E_NS1_11comp_targetILNS1_3genE0ELNS1_11target_archE4294967295ELNS1_3gpuE0ELNS1_3repE0EEENS1_30default_config_static_selectorELNS0_4arch9wavefront6targetE0EEEvT1_.uses_vcc, 0
	.set _ZN7rocprim17ROCPRIM_400000_NS6detail17trampoline_kernelINS0_14default_configENS1_27scan_by_key_config_selectorIxxEEZZNS1_16scan_by_key_implILNS1_25lookback_scan_determinismE0ELb0ES3_N6thrust23THRUST_200600_302600_NS6detail15normal_iteratorINS9_10device_ptrIxEEEESE_SE_xNS9_10multipliesIxEENS9_8equal_toIxEExEE10hipError_tPvRmT2_T3_T4_T5_mT6_T7_P12ihipStream_tbENKUlT_T0_E_clISt17integral_constantIbLb1EESZ_EEDaSU_SV_EUlSU_E_NS1_11comp_targetILNS1_3genE0ELNS1_11target_archE4294967295ELNS1_3gpuE0ELNS1_3repE0EEENS1_30default_config_static_selectorELNS0_4arch9wavefront6targetE0EEEvT1_.uses_flat_scratch, 0
	.set _ZN7rocprim17ROCPRIM_400000_NS6detail17trampoline_kernelINS0_14default_configENS1_27scan_by_key_config_selectorIxxEEZZNS1_16scan_by_key_implILNS1_25lookback_scan_determinismE0ELb0ES3_N6thrust23THRUST_200600_302600_NS6detail15normal_iteratorINS9_10device_ptrIxEEEESE_SE_xNS9_10multipliesIxEENS9_8equal_toIxEExEE10hipError_tPvRmT2_T3_T4_T5_mT6_T7_P12ihipStream_tbENKUlT_T0_E_clISt17integral_constantIbLb1EESZ_EEDaSU_SV_EUlSU_E_NS1_11comp_targetILNS1_3genE0ELNS1_11target_archE4294967295ELNS1_3gpuE0ELNS1_3repE0EEENS1_30default_config_static_selectorELNS0_4arch9wavefront6targetE0EEEvT1_.has_dyn_sized_stack, 0
	.set _ZN7rocprim17ROCPRIM_400000_NS6detail17trampoline_kernelINS0_14default_configENS1_27scan_by_key_config_selectorIxxEEZZNS1_16scan_by_key_implILNS1_25lookback_scan_determinismE0ELb0ES3_N6thrust23THRUST_200600_302600_NS6detail15normal_iteratorINS9_10device_ptrIxEEEESE_SE_xNS9_10multipliesIxEENS9_8equal_toIxEExEE10hipError_tPvRmT2_T3_T4_T5_mT6_T7_P12ihipStream_tbENKUlT_T0_E_clISt17integral_constantIbLb1EESZ_EEDaSU_SV_EUlSU_E_NS1_11comp_targetILNS1_3genE0ELNS1_11target_archE4294967295ELNS1_3gpuE0ELNS1_3repE0EEENS1_30default_config_static_selectorELNS0_4arch9wavefront6targetE0EEEvT1_.has_recursion, 0
	.set _ZN7rocprim17ROCPRIM_400000_NS6detail17trampoline_kernelINS0_14default_configENS1_27scan_by_key_config_selectorIxxEEZZNS1_16scan_by_key_implILNS1_25lookback_scan_determinismE0ELb0ES3_N6thrust23THRUST_200600_302600_NS6detail15normal_iteratorINS9_10device_ptrIxEEEESE_SE_xNS9_10multipliesIxEENS9_8equal_toIxEExEE10hipError_tPvRmT2_T3_T4_T5_mT6_T7_P12ihipStream_tbENKUlT_T0_E_clISt17integral_constantIbLb1EESZ_EEDaSU_SV_EUlSU_E_NS1_11comp_targetILNS1_3genE0ELNS1_11target_archE4294967295ELNS1_3gpuE0ELNS1_3repE0EEENS1_30default_config_static_selectorELNS0_4arch9wavefront6targetE0EEEvT1_.has_indirect_call, 0
	.section	.AMDGPU.csdata,"",@progbits
; Kernel info:
; codeLenInByte = 4
; TotalNumSgprs: 0
; NumVgprs: 0
; ScratchSize: 0
; MemoryBound: 0
; FloatMode: 240
; IeeeMode: 1
; LDSByteSize: 0 bytes/workgroup (compile time only)
; SGPRBlocks: 0
; VGPRBlocks: 0
; NumSGPRsForWavesPerEU: 1
; NumVGPRsForWavesPerEU: 1
; NamedBarCnt: 0
; Occupancy: 16
; WaveLimiterHint : 0
; COMPUTE_PGM_RSRC2:SCRATCH_EN: 0
; COMPUTE_PGM_RSRC2:USER_SGPR: 2
; COMPUTE_PGM_RSRC2:TRAP_HANDLER: 0
; COMPUTE_PGM_RSRC2:TGID_X_EN: 1
; COMPUTE_PGM_RSRC2:TGID_Y_EN: 0
; COMPUTE_PGM_RSRC2:TGID_Z_EN: 0
; COMPUTE_PGM_RSRC2:TIDIG_COMP_CNT: 0
	.section	.text._ZN7rocprim17ROCPRIM_400000_NS6detail17trampoline_kernelINS0_14default_configENS1_27scan_by_key_config_selectorIxxEEZZNS1_16scan_by_key_implILNS1_25lookback_scan_determinismE0ELb0ES3_N6thrust23THRUST_200600_302600_NS6detail15normal_iteratorINS9_10device_ptrIxEEEESE_SE_xNS9_10multipliesIxEENS9_8equal_toIxEExEE10hipError_tPvRmT2_T3_T4_T5_mT6_T7_P12ihipStream_tbENKUlT_T0_E_clISt17integral_constantIbLb1EESZ_EEDaSU_SV_EUlSU_E_NS1_11comp_targetILNS1_3genE10ELNS1_11target_archE1201ELNS1_3gpuE5ELNS1_3repE0EEENS1_30default_config_static_selectorELNS0_4arch9wavefront6targetE0EEEvT1_,"axG",@progbits,_ZN7rocprim17ROCPRIM_400000_NS6detail17trampoline_kernelINS0_14default_configENS1_27scan_by_key_config_selectorIxxEEZZNS1_16scan_by_key_implILNS1_25lookback_scan_determinismE0ELb0ES3_N6thrust23THRUST_200600_302600_NS6detail15normal_iteratorINS9_10device_ptrIxEEEESE_SE_xNS9_10multipliesIxEENS9_8equal_toIxEExEE10hipError_tPvRmT2_T3_T4_T5_mT6_T7_P12ihipStream_tbENKUlT_T0_E_clISt17integral_constantIbLb1EESZ_EEDaSU_SV_EUlSU_E_NS1_11comp_targetILNS1_3genE10ELNS1_11target_archE1201ELNS1_3gpuE5ELNS1_3repE0EEENS1_30default_config_static_selectorELNS0_4arch9wavefront6targetE0EEEvT1_,comdat
	.protected	_ZN7rocprim17ROCPRIM_400000_NS6detail17trampoline_kernelINS0_14default_configENS1_27scan_by_key_config_selectorIxxEEZZNS1_16scan_by_key_implILNS1_25lookback_scan_determinismE0ELb0ES3_N6thrust23THRUST_200600_302600_NS6detail15normal_iteratorINS9_10device_ptrIxEEEESE_SE_xNS9_10multipliesIxEENS9_8equal_toIxEExEE10hipError_tPvRmT2_T3_T4_T5_mT6_T7_P12ihipStream_tbENKUlT_T0_E_clISt17integral_constantIbLb1EESZ_EEDaSU_SV_EUlSU_E_NS1_11comp_targetILNS1_3genE10ELNS1_11target_archE1201ELNS1_3gpuE5ELNS1_3repE0EEENS1_30default_config_static_selectorELNS0_4arch9wavefront6targetE0EEEvT1_ ; -- Begin function _ZN7rocprim17ROCPRIM_400000_NS6detail17trampoline_kernelINS0_14default_configENS1_27scan_by_key_config_selectorIxxEEZZNS1_16scan_by_key_implILNS1_25lookback_scan_determinismE0ELb0ES3_N6thrust23THRUST_200600_302600_NS6detail15normal_iteratorINS9_10device_ptrIxEEEESE_SE_xNS9_10multipliesIxEENS9_8equal_toIxEExEE10hipError_tPvRmT2_T3_T4_T5_mT6_T7_P12ihipStream_tbENKUlT_T0_E_clISt17integral_constantIbLb1EESZ_EEDaSU_SV_EUlSU_E_NS1_11comp_targetILNS1_3genE10ELNS1_11target_archE1201ELNS1_3gpuE5ELNS1_3repE0EEENS1_30default_config_static_selectorELNS0_4arch9wavefront6targetE0EEEvT1_
	.globl	_ZN7rocprim17ROCPRIM_400000_NS6detail17trampoline_kernelINS0_14default_configENS1_27scan_by_key_config_selectorIxxEEZZNS1_16scan_by_key_implILNS1_25lookback_scan_determinismE0ELb0ES3_N6thrust23THRUST_200600_302600_NS6detail15normal_iteratorINS9_10device_ptrIxEEEESE_SE_xNS9_10multipliesIxEENS9_8equal_toIxEExEE10hipError_tPvRmT2_T3_T4_T5_mT6_T7_P12ihipStream_tbENKUlT_T0_E_clISt17integral_constantIbLb1EESZ_EEDaSU_SV_EUlSU_E_NS1_11comp_targetILNS1_3genE10ELNS1_11target_archE1201ELNS1_3gpuE5ELNS1_3repE0EEENS1_30default_config_static_selectorELNS0_4arch9wavefront6targetE0EEEvT1_
	.p2align	8
	.type	_ZN7rocprim17ROCPRIM_400000_NS6detail17trampoline_kernelINS0_14default_configENS1_27scan_by_key_config_selectorIxxEEZZNS1_16scan_by_key_implILNS1_25lookback_scan_determinismE0ELb0ES3_N6thrust23THRUST_200600_302600_NS6detail15normal_iteratorINS9_10device_ptrIxEEEESE_SE_xNS9_10multipliesIxEENS9_8equal_toIxEExEE10hipError_tPvRmT2_T3_T4_T5_mT6_T7_P12ihipStream_tbENKUlT_T0_E_clISt17integral_constantIbLb1EESZ_EEDaSU_SV_EUlSU_E_NS1_11comp_targetILNS1_3genE10ELNS1_11target_archE1201ELNS1_3gpuE5ELNS1_3repE0EEENS1_30default_config_static_selectorELNS0_4arch9wavefront6targetE0EEEvT1_,@function
_ZN7rocprim17ROCPRIM_400000_NS6detail17trampoline_kernelINS0_14default_configENS1_27scan_by_key_config_selectorIxxEEZZNS1_16scan_by_key_implILNS1_25lookback_scan_determinismE0ELb0ES3_N6thrust23THRUST_200600_302600_NS6detail15normal_iteratorINS9_10device_ptrIxEEEESE_SE_xNS9_10multipliesIxEENS9_8equal_toIxEExEE10hipError_tPvRmT2_T3_T4_T5_mT6_T7_P12ihipStream_tbENKUlT_T0_E_clISt17integral_constantIbLb1EESZ_EEDaSU_SV_EUlSU_E_NS1_11comp_targetILNS1_3genE10ELNS1_11target_archE1201ELNS1_3gpuE5ELNS1_3repE0EEENS1_30default_config_static_selectorELNS0_4arch9wavefront6targetE0EEEvT1_: ; @_ZN7rocprim17ROCPRIM_400000_NS6detail17trampoline_kernelINS0_14default_configENS1_27scan_by_key_config_selectorIxxEEZZNS1_16scan_by_key_implILNS1_25lookback_scan_determinismE0ELb0ES3_N6thrust23THRUST_200600_302600_NS6detail15normal_iteratorINS9_10device_ptrIxEEEESE_SE_xNS9_10multipliesIxEENS9_8equal_toIxEExEE10hipError_tPvRmT2_T3_T4_T5_mT6_T7_P12ihipStream_tbENKUlT_T0_E_clISt17integral_constantIbLb1EESZ_EEDaSU_SV_EUlSU_E_NS1_11comp_targetILNS1_3genE10ELNS1_11target_archE1201ELNS1_3gpuE5ELNS1_3repE0EEENS1_30default_config_static_selectorELNS0_4arch9wavefront6targetE0EEEvT1_
; %bb.0:
	.section	.rodata,"a",@progbits
	.p2align	6, 0x0
	.amdhsa_kernel _ZN7rocprim17ROCPRIM_400000_NS6detail17trampoline_kernelINS0_14default_configENS1_27scan_by_key_config_selectorIxxEEZZNS1_16scan_by_key_implILNS1_25lookback_scan_determinismE0ELb0ES3_N6thrust23THRUST_200600_302600_NS6detail15normal_iteratorINS9_10device_ptrIxEEEESE_SE_xNS9_10multipliesIxEENS9_8equal_toIxEExEE10hipError_tPvRmT2_T3_T4_T5_mT6_T7_P12ihipStream_tbENKUlT_T0_E_clISt17integral_constantIbLb1EESZ_EEDaSU_SV_EUlSU_E_NS1_11comp_targetILNS1_3genE10ELNS1_11target_archE1201ELNS1_3gpuE5ELNS1_3repE0EEENS1_30default_config_static_selectorELNS0_4arch9wavefront6targetE0EEEvT1_
		.amdhsa_group_segment_fixed_size 0
		.amdhsa_private_segment_fixed_size 0
		.amdhsa_kernarg_size 136
		.amdhsa_user_sgpr_count 2
		.amdhsa_user_sgpr_dispatch_ptr 0
		.amdhsa_user_sgpr_queue_ptr 0
		.amdhsa_user_sgpr_kernarg_segment_ptr 1
		.amdhsa_user_sgpr_dispatch_id 0
		.amdhsa_user_sgpr_kernarg_preload_length 0
		.amdhsa_user_sgpr_kernarg_preload_offset 0
		.amdhsa_user_sgpr_private_segment_size 0
		.amdhsa_wavefront_size32 1
		.amdhsa_uses_dynamic_stack 0
		.amdhsa_enable_private_segment 0
		.amdhsa_system_sgpr_workgroup_id_x 1
		.amdhsa_system_sgpr_workgroup_id_y 0
		.amdhsa_system_sgpr_workgroup_id_z 0
		.amdhsa_system_sgpr_workgroup_info 0
		.amdhsa_system_vgpr_workitem_id 0
		.amdhsa_next_free_vgpr 1
		.amdhsa_next_free_sgpr 1
		.amdhsa_named_barrier_count 0
		.amdhsa_reserve_vcc 0
		.amdhsa_float_round_mode_32 0
		.amdhsa_float_round_mode_16_64 0
		.amdhsa_float_denorm_mode_32 3
		.amdhsa_float_denorm_mode_16_64 3
		.amdhsa_fp16_overflow 0
		.amdhsa_memory_ordered 1
		.amdhsa_forward_progress 1
		.amdhsa_inst_pref_size 0
		.amdhsa_round_robin_scheduling 0
		.amdhsa_exception_fp_ieee_invalid_op 0
		.amdhsa_exception_fp_denorm_src 0
		.amdhsa_exception_fp_ieee_div_zero 0
		.amdhsa_exception_fp_ieee_overflow 0
		.amdhsa_exception_fp_ieee_underflow 0
		.amdhsa_exception_fp_ieee_inexact 0
		.amdhsa_exception_int_div_zero 0
	.end_amdhsa_kernel
	.section	.text._ZN7rocprim17ROCPRIM_400000_NS6detail17trampoline_kernelINS0_14default_configENS1_27scan_by_key_config_selectorIxxEEZZNS1_16scan_by_key_implILNS1_25lookback_scan_determinismE0ELb0ES3_N6thrust23THRUST_200600_302600_NS6detail15normal_iteratorINS9_10device_ptrIxEEEESE_SE_xNS9_10multipliesIxEENS9_8equal_toIxEExEE10hipError_tPvRmT2_T3_T4_T5_mT6_T7_P12ihipStream_tbENKUlT_T0_E_clISt17integral_constantIbLb1EESZ_EEDaSU_SV_EUlSU_E_NS1_11comp_targetILNS1_3genE10ELNS1_11target_archE1201ELNS1_3gpuE5ELNS1_3repE0EEENS1_30default_config_static_selectorELNS0_4arch9wavefront6targetE0EEEvT1_,"axG",@progbits,_ZN7rocprim17ROCPRIM_400000_NS6detail17trampoline_kernelINS0_14default_configENS1_27scan_by_key_config_selectorIxxEEZZNS1_16scan_by_key_implILNS1_25lookback_scan_determinismE0ELb0ES3_N6thrust23THRUST_200600_302600_NS6detail15normal_iteratorINS9_10device_ptrIxEEEESE_SE_xNS9_10multipliesIxEENS9_8equal_toIxEExEE10hipError_tPvRmT2_T3_T4_T5_mT6_T7_P12ihipStream_tbENKUlT_T0_E_clISt17integral_constantIbLb1EESZ_EEDaSU_SV_EUlSU_E_NS1_11comp_targetILNS1_3genE10ELNS1_11target_archE1201ELNS1_3gpuE5ELNS1_3repE0EEENS1_30default_config_static_selectorELNS0_4arch9wavefront6targetE0EEEvT1_,comdat
.Lfunc_end57:
	.size	_ZN7rocprim17ROCPRIM_400000_NS6detail17trampoline_kernelINS0_14default_configENS1_27scan_by_key_config_selectorIxxEEZZNS1_16scan_by_key_implILNS1_25lookback_scan_determinismE0ELb0ES3_N6thrust23THRUST_200600_302600_NS6detail15normal_iteratorINS9_10device_ptrIxEEEESE_SE_xNS9_10multipliesIxEENS9_8equal_toIxEExEE10hipError_tPvRmT2_T3_T4_T5_mT6_T7_P12ihipStream_tbENKUlT_T0_E_clISt17integral_constantIbLb1EESZ_EEDaSU_SV_EUlSU_E_NS1_11comp_targetILNS1_3genE10ELNS1_11target_archE1201ELNS1_3gpuE5ELNS1_3repE0EEENS1_30default_config_static_selectorELNS0_4arch9wavefront6targetE0EEEvT1_, .Lfunc_end57-_ZN7rocprim17ROCPRIM_400000_NS6detail17trampoline_kernelINS0_14default_configENS1_27scan_by_key_config_selectorIxxEEZZNS1_16scan_by_key_implILNS1_25lookback_scan_determinismE0ELb0ES3_N6thrust23THRUST_200600_302600_NS6detail15normal_iteratorINS9_10device_ptrIxEEEESE_SE_xNS9_10multipliesIxEENS9_8equal_toIxEExEE10hipError_tPvRmT2_T3_T4_T5_mT6_T7_P12ihipStream_tbENKUlT_T0_E_clISt17integral_constantIbLb1EESZ_EEDaSU_SV_EUlSU_E_NS1_11comp_targetILNS1_3genE10ELNS1_11target_archE1201ELNS1_3gpuE5ELNS1_3repE0EEENS1_30default_config_static_selectorELNS0_4arch9wavefront6targetE0EEEvT1_
                                        ; -- End function
	.set _ZN7rocprim17ROCPRIM_400000_NS6detail17trampoline_kernelINS0_14default_configENS1_27scan_by_key_config_selectorIxxEEZZNS1_16scan_by_key_implILNS1_25lookback_scan_determinismE0ELb0ES3_N6thrust23THRUST_200600_302600_NS6detail15normal_iteratorINS9_10device_ptrIxEEEESE_SE_xNS9_10multipliesIxEENS9_8equal_toIxEExEE10hipError_tPvRmT2_T3_T4_T5_mT6_T7_P12ihipStream_tbENKUlT_T0_E_clISt17integral_constantIbLb1EESZ_EEDaSU_SV_EUlSU_E_NS1_11comp_targetILNS1_3genE10ELNS1_11target_archE1201ELNS1_3gpuE5ELNS1_3repE0EEENS1_30default_config_static_selectorELNS0_4arch9wavefront6targetE0EEEvT1_.num_vgpr, 0
	.set _ZN7rocprim17ROCPRIM_400000_NS6detail17trampoline_kernelINS0_14default_configENS1_27scan_by_key_config_selectorIxxEEZZNS1_16scan_by_key_implILNS1_25lookback_scan_determinismE0ELb0ES3_N6thrust23THRUST_200600_302600_NS6detail15normal_iteratorINS9_10device_ptrIxEEEESE_SE_xNS9_10multipliesIxEENS9_8equal_toIxEExEE10hipError_tPvRmT2_T3_T4_T5_mT6_T7_P12ihipStream_tbENKUlT_T0_E_clISt17integral_constantIbLb1EESZ_EEDaSU_SV_EUlSU_E_NS1_11comp_targetILNS1_3genE10ELNS1_11target_archE1201ELNS1_3gpuE5ELNS1_3repE0EEENS1_30default_config_static_selectorELNS0_4arch9wavefront6targetE0EEEvT1_.num_agpr, 0
	.set _ZN7rocprim17ROCPRIM_400000_NS6detail17trampoline_kernelINS0_14default_configENS1_27scan_by_key_config_selectorIxxEEZZNS1_16scan_by_key_implILNS1_25lookback_scan_determinismE0ELb0ES3_N6thrust23THRUST_200600_302600_NS6detail15normal_iteratorINS9_10device_ptrIxEEEESE_SE_xNS9_10multipliesIxEENS9_8equal_toIxEExEE10hipError_tPvRmT2_T3_T4_T5_mT6_T7_P12ihipStream_tbENKUlT_T0_E_clISt17integral_constantIbLb1EESZ_EEDaSU_SV_EUlSU_E_NS1_11comp_targetILNS1_3genE10ELNS1_11target_archE1201ELNS1_3gpuE5ELNS1_3repE0EEENS1_30default_config_static_selectorELNS0_4arch9wavefront6targetE0EEEvT1_.numbered_sgpr, 0
	.set _ZN7rocprim17ROCPRIM_400000_NS6detail17trampoline_kernelINS0_14default_configENS1_27scan_by_key_config_selectorIxxEEZZNS1_16scan_by_key_implILNS1_25lookback_scan_determinismE0ELb0ES3_N6thrust23THRUST_200600_302600_NS6detail15normal_iteratorINS9_10device_ptrIxEEEESE_SE_xNS9_10multipliesIxEENS9_8equal_toIxEExEE10hipError_tPvRmT2_T3_T4_T5_mT6_T7_P12ihipStream_tbENKUlT_T0_E_clISt17integral_constantIbLb1EESZ_EEDaSU_SV_EUlSU_E_NS1_11comp_targetILNS1_3genE10ELNS1_11target_archE1201ELNS1_3gpuE5ELNS1_3repE0EEENS1_30default_config_static_selectorELNS0_4arch9wavefront6targetE0EEEvT1_.num_named_barrier, 0
	.set _ZN7rocprim17ROCPRIM_400000_NS6detail17trampoline_kernelINS0_14default_configENS1_27scan_by_key_config_selectorIxxEEZZNS1_16scan_by_key_implILNS1_25lookback_scan_determinismE0ELb0ES3_N6thrust23THRUST_200600_302600_NS6detail15normal_iteratorINS9_10device_ptrIxEEEESE_SE_xNS9_10multipliesIxEENS9_8equal_toIxEExEE10hipError_tPvRmT2_T3_T4_T5_mT6_T7_P12ihipStream_tbENKUlT_T0_E_clISt17integral_constantIbLb1EESZ_EEDaSU_SV_EUlSU_E_NS1_11comp_targetILNS1_3genE10ELNS1_11target_archE1201ELNS1_3gpuE5ELNS1_3repE0EEENS1_30default_config_static_selectorELNS0_4arch9wavefront6targetE0EEEvT1_.private_seg_size, 0
	.set _ZN7rocprim17ROCPRIM_400000_NS6detail17trampoline_kernelINS0_14default_configENS1_27scan_by_key_config_selectorIxxEEZZNS1_16scan_by_key_implILNS1_25lookback_scan_determinismE0ELb0ES3_N6thrust23THRUST_200600_302600_NS6detail15normal_iteratorINS9_10device_ptrIxEEEESE_SE_xNS9_10multipliesIxEENS9_8equal_toIxEExEE10hipError_tPvRmT2_T3_T4_T5_mT6_T7_P12ihipStream_tbENKUlT_T0_E_clISt17integral_constantIbLb1EESZ_EEDaSU_SV_EUlSU_E_NS1_11comp_targetILNS1_3genE10ELNS1_11target_archE1201ELNS1_3gpuE5ELNS1_3repE0EEENS1_30default_config_static_selectorELNS0_4arch9wavefront6targetE0EEEvT1_.uses_vcc, 0
	.set _ZN7rocprim17ROCPRIM_400000_NS6detail17trampoline_kernelINS0_14default_configENS1_27scan_by_key_config_selectorIxxEEZZNS1_16scan_by_key_implILNS1_25lookback_scan_determinismE0ELb0ES3_N6thrust23THRUST_200600_302600_NS6detail15normal_iteratorINS9_10device_ptrIxEEEESE_SE_xNS9_10multipliesIxEENS9_8equal_toIxEExEE10hipError_tPvRmT2_T3_T4_T5_mT6_T7_P12ihipStream_tbENKUlT_T0_E_clISt17integral_constantIbLb1EESZ_EEDaSU_SV_EUlSU_E_NS1_11comp_targetILNS1_3genE10ELNS1_11target_archE1201ELNS1_3gpuE5ELNS1_3repE0EEENS1_30default_config_static_selectorELNS0_4arch9wavefront6targetE0EEEvT1_.uses_flat_scratch, 0
	.set _ZN7rocprim17ROCPRIM_400000_NS6detail17trampoline_kernelINS0_14default_configENS1_27scan_by_key_config_selectorIxxEEZZNS1_16scan_by_key_implILNS1_25lookback_scan_determinismE0ELb0ES3_N6thrust23THRUST_200600_302600_NS6detail15normal_iteratorINS9_10device_ptrIxEEEESE_SE_xNS9_10multipliesIxEENS9_8equal_toIxEExEE10hipError_tPvRmT2_T3_T4_T5_mT6_T7_P12ihipStream_tbENKUlT_T0_E_clISt17integral_constantIbLb1EESZ_EEDaSU_SV_EUlSU_E_NS1_11comp_targetILNS1_3genE10ELNS1_11target_archE1201ELNS1_3gpuE5ELNS1_3repE0EEENS1_30default_config_static_selectorELNS0_4arch9wavefront6targetE0EEEvT1_.has_dyn_sized_stack, 0
	.set _ZN7rocprim17ROCPRIM_400000_NS6detail17trampoline_kernelINS0_14default_configENS1_27scan_by_key_config_selectorIxxEEZZNS1_16scan_by_key_implILNS1_25lookback_scan_determinismE0ELb0ES3_N6thrust23THRUST_200600_302600_NS6detail15normal_iteratorINS9_10device_ptrIxEEEESE_SE_xNS9_10multipliesIxEENS9_8equal_toIxEExEE10hipError_tPvRmT2_T3_T4_T5_mT6_T7_P12ihipStream_tbENKUlT_T0_E_clISt17integral_constantIbLb1EESZ_EEDaSU_SV_EUlSU_E_NS1_11comp_targetILNS1_3genE10ELNS1_11target_archE1201ELNS1_3gpuE5ELNS1_3repE0EEENS1_30default_config_static_selectorELNS0_4arch9wavefront6targetE0EEEvT1_.has_recursion, 0
	.set _ZN7rocprim17ROCPRIM_400000_NS6detail17trampoline_kernelINS0_14default_configENS1_27scan_by_key_config_selectorIxxEEZZNS1_16scan_by_key_implILNS1_25lookback_scan_determinismE0ELb0ES3_N6thrust23THRUST_200600_302600_NS6detail15normal_iteratorINS9_10device_ptrIxEEEESE_SE_xNS9_10multipliesIxEENS9_8equal_toIxEExEE10hipError_tPvRmT2_T3_T4_T5_mT6_T7_P12ihipStream_tbENKUlT_T0_E_clISt17integral_constantIbLb1EESZ_EEDaSU_SV_EUlSU_E_NS1_11comp_targetILNS1_3genE10ELNS1_11target_archE1201ELNS1_3gpuE5ELNS1_3repE0EEENS1_30default_config_static_selectorELNS0_4arch9wavefront6targetE0EEEvT1_.has_indirect_call, 0
	.section	.AMDGPU.csdata,"",@progbits
; Kernel info:
; codeLenInByte = 0
; TotalNumSgprs: 0
; NumVgprs: 0
; ScratchSize: 0
; MemoryBound: 0
; FloatMode: 240
; IeeeMode: 1
; LDSByteSize: 0 bytes/workgroup (compile time only)
; SGPRBlocks: 0
; VGPRBlocks: 0
; NumSGPRsForWavesPerEU: 1
; NumVGPRsForWavesPerEU: 1
; NamedBarCnt: 0
; Occupancy: 16
; WaveLimiterHint : 0
; COMPUTE_PGM_RSRC2:SCRATCH_EN: 0
; COMPUTE_PGM_RSRC2:USER_SGPR: 2
; COMPUTE_PGM_RSRC2:TRAP_HANDLER: 0
; COMPUTE_PGM_RSRC2:TGID_X_EN: 1
; COMPUTE_PGM_RSRC2:TGID_Y_EN: 0
; COMPUTE_PGM_RSRC2:TGID_Z_EN: 0
; COMPUTE_PGM_RSRC2:TIDIG_COMP_CNT: 0
	.section	.text._ZN7rocprim17ROCPRIM_400000_NS6detail17trampoline_kernelINS0_14default_configENS1_27scan_by_key_config_selectorIxxEEZZNS1_16scan_by_key_implILNS1_25lookback_scan_determinismE0ELb0ES3_N6thrust23THRUST_200600_302600_NS6detail15normal_iteratorINS9_10device_ptrIxEEEESE_SE_xNS9_10multipliesIxEENS9_8equal_toIxEExEE10hipError_tPvRmT2_T3_T4_T5_mT6_T7_P12ihipStream_tbENKUlT_T0_E_clISt17integral_constantIbLb1EESZ_EEDaSU_SV_EUlSU_E_NS1_11comp_targetILNS1_3genE5ELNS1_11target_archE942ELNS1_3gpuE9ELNS1_3repE0EEENS1_30default_config_static_selectorELNS0_4arch9wavefront6targetE0EEEvT1_,"axG",@progbits,_ZN7rocprim17ROCPRIM_400000_NS6detail17trampoline_kernelINS0_14default_configENS1_27scan_by_key_config_selectorIxxEEZZNS1_16scan_by_key_implILNS1_25lookback_scan_determinismE0ELb0ES3_N6thrust23THRUST_200600_302600_NS6detail15normal_iteratorINS9_10device_ptrIxEEEESE_SE_xNS9_10multipliesIxEENS9_8equal_toIxEExEE10hipError_tPvRmT2_T3_T4_T5_mT6_T7_P12ihipStream_tbENKUlT_T0_E_clISt17integral_constantIbLb1EESZ_EEDaSU_SV_EUlSU_E_NS1_11comp_targetILNS1_3genE5ELNS1_11target_archE942ELNS1_3gpuE9ELNS1_3repE0EEENS1_30default_config_static_selectorELNS0_4arch9wavefront6targetE0EEEvT1_,comdat
	.protected	_ZN7rocprim17ROCPRIM_400000_NS6detail17trampoline_kernelINS0_14default_configENS1_27scan_by_key_config_selectorIxxEEZZNS1_16scan_by_key_implILNS1_25lookback_scan_determinismE0ELb0ES3_N6thrust23THRUST_200600_302600_NS6detail15normal_iteratorINS9_10device_ptrIxEEEESE_SE_xNS9_10multipliesIxEENS9_8equal_toIxEExEE10hipError_tPvRmT2_T3_T4_T5_mT6_T7_P12ihipStream_tbENKUlT_T0_E_clISt17integral_constantIbLb1EESZ_EEDaSU_SV_EUlSU_E_NS1_11comp_targetILNS1_3genE5ELNS1_11target_archE942ELNS1_3gpuE9ELNS1_3repE0EEENS1_30default_config_static_selectorELNS0_4arch9wavefront6targetE0EEEvT1_ ; -- Begin function _ZN7rocprim17ROCPRIM_400000_NS6detail17trampoline_kernelINS0_14default_configENS1_27scan_by_key_config_selectorIxxEEZZNS1_16scan_by_key_implILNS1_25lookback_scan_determinismE0ELb0ES3_N6thrust23THRUST_200600_302600_NS6detail15normal_iteratorINS9_10device_ptrIxEEEESE_SE_xNS9_10multipliesIxEENS9_8equal_toIxEExEE10hipError_tPvRmT2_T3_T4_T5_mT6_T7_P12ihipStream_tbENKUlT_T0_E_clISt17integral_constantIbLb1EESZ_EEDaSU_SV_EUlSU_E_NS1_11comp_targetILNS1_3genE5ELNS1_11target_archE942ELNS1_3gpuE9ELNS1_3repE0EEENS1_30default_config_static_selectorELNS0_4arch9wavefront6targetE0EEEvT1_
	.globl	_ZN7rocprim17ROCPRIM_400000_NS6detail17trampoline_kernelINS0_14default_configENS1_27scan_by_key_config_selectorIxxEEZZNS1_16scan_by_key_implILNS1_25lookback_scan_determinismE0ELb0ES3_N6thrust23THRUST_200600_302600_NS6detail15normal_iteratorINS9_10device_ptrIxEEEESE_SE_xNS9_10multipliesIxEENS9_8equal_toIxEExEE10hipError_tPvRmT2_T3_T4_T5_mT6_T7_P12ihipStream_tbENKUlT_T0_E_clISt17integral_constantIbLb1EESZ_EEDaSU_SV_EUlSU_E_NS1_11comp_targetILNS1_3genE5ELNS1_11target_archE942ELNS1_3gpuE9ELNS1_3repE0EEENS1_30default_config_static_selectorELNS0_4arch9wavefront6targetE0EEEvT1_
	.p2align	8
	.type	_ZN7rocprim17ROCPRIM_400000_NS6detail17trampoline_kernelINS0_14default_configENS1_27scan_by_key_config_selectorIxxEEZZNS1_16scan_by_key_implILNS1_25lookback_scan_determinismE0ELb0ES3_N6thrust23THRUST_200600_302600_NS6detail15normal_iteratorINS9_10device_ptrIxEEEESE_SE_xNS9_10multipliesIxEENS9_8equal_toIxEExEE10hipError_tPvRmT2_T3_T4_T5_mT6_T7_P12ihipStream_tbENKUlT_T0_E_clISt17integral_constantIbLb1EESZ_EEDaSU_SV_EUlSU_E_NS1_11comp_targetILNS1_3genE5ELNS1_11target_archE942ELNS1_3gpuE9ELNS1_3repE0EEENS1_30default_config_static_selectorELNS0_4arch9wavefront6targetE0EEEvT1_,@function
_ZN7rocprim17ROCPRIM_400000_NS6detail17trampoline_kernelINS0_14default_configENS1_27scan_by_key_config_selectorIxxEEZZNS1_16scan_by_key_implILNS1_25lookback_scan_determinismE0ELb0ES3_N6thrust23THRUST_200600_302600_NS6detail15normal_iteratorINS9_10device_ptrIxEEEESE_SE_xNS9_10multipliesIxEENS9_8equal_toIxEExEE10hipError_tPvRmT2_T3_T4_T5_mT6_T7_P12ihipStream_tbENKUlT_T0_E_clISt17integral_constantIbLb1EESZ_EEDaSU_SV_EUlSU_E_NS1_11comp_targetILNS1_3genE5ELNS1_11target_archE942ELNS1_3gpuE9ELNS1_3repE0EEENS1_30default_config_static_selectorELNS0_4arch9wavefront6targetE0EEEvT1_: ; @_ZN7rocprim17ROCPRIM_400000_NS6detail17trampoline_kernelINS0_14default_configENS1_27scan_by_key_config_selectorIxxEEZZNS1_16scan_by_key_implILNS1_25lookback_scan_determinismE0ELb0ES3_N6thrust23THRUST_200600_302600_NS6detail15normal_iteratorINS9_10device_ptrIxEEEESE_SE_xNS9_10multipliesIxEENS9_8equal_toIxEExEE10hipError_tPvRmT2_T3_T4_T5_mT6_T7_P12ihipStream_tbENKUlT_T0_E_clISt17integral_constantIbLb1EESZ_EEDaSU_SV_EUlSU_E_NS1_11comp_targetILNS1_3genE5ELNS1_11target_archE942ELNS1_3gpuE9ELNS1_3repE0EEENS1_30default_config_static_selectorELNS0_4arch9wavefront6targetE0EEEvT1_
; %bb.0:
	.section	.rodata,"a",@progbits
	.p2align	6, 0x0
	.amdhsa_kernel _ZN7rocprim17ROCPRIM_400000_NS6detail17trampoline_kernelINS0_14default_configENS1_27scan_by_key_config_selectorIxxEEZZNS1_16scan_by_key_implILNS1_25lookback_scan_determinismE0ELb0ES3_N6thrust23THRUST_200600_302600_NS6detail15normal_iteratorINS9_10device_ptrIxEEEESE_SE_xNS9_10multipliesIxEENS9_8equal_toIxEExEE10hipError_tPvRmT2_T3_T4_T5_mT6_T7_P12ihipStream_tbENKUlT_T0_E_clISt17integral_constantIbLb1EESZ_EEDaSU_SV_EUlSU_E_NS1_11comp_targetILNS1_3genE5ELNS1_11target_archE942ELNS1_3gpuE9ELNS1_3repE0EEENS1_30default_config_static_selectorELNS0_4arch9wavefront6targetE0EEEvT1_
		.amdhsa_group_segment_fixed_size 0
		.amdhsa_private_segment_fixed_size 0
		.amdhsa_kernarg_size 136
		.amdhsa_user_sgpr_count 2
		.amdhsa_user_sgpr_dispatch_ptr 0
		.amdhsa_user_sgpr_queue_ptr 0
		.amdhsa_user_sgpr_kernarg_segment_ptr 1
		.amdhsa_user_sgpr_dispatch_id 0
		.amdhsa_user_sgpr_kernarg_preload_length 0
		.amdhsa_user_sgpr_kernarg_preload_offset 0
		.amdhsa_user_sgpr_private_segment_size 0
		.amdhsa_wavefront_size32 1
		.amdhsa_uses_dynamic_stack 0
		.amdhsa_enable_private_segment 0
		.amdhsa_system_sgpr_workgroup_id_x 1
		.amdhsa_system_sgpr_workgroup_id_y 0
		.amdhsa_system_sgpr_workgroup_id_z 0
		.amdhsa_system_sgpr_workgroup_info 0
		.amdhsa_system_vgpr_workitem_id 0
		.amdhsa_next_free_vgpr 1
		.amdhsa_next_free_sgpr 1
		.amdhsa_named_barrier_count 0
		.amdhsa_reserve_vcc 0
		.amdhsa_float_round_mode_32 0
		.amdhsa_float_round_mode_16_64 0
		.amdhsa_float_denorm_mode_32 3
		.amdhsa_float_denorm_mode_16_64 3
		.amdhsa_fp16_overflow 0
		.amdhsa_memory_ordered 1
		.amdhsa_forward_progress 1
		.amdhsa_inst_pref_size 0
		.amdhsa_round_robin_scheduling 0
		.amdhsa_exception_fp_ieee_invalid_op 0
		.amdhsa_exception_fp_denorm_src 0
		.amdhsa_exception_fp_ieee_div_zero 0
		.amdhsa_exception_fp_ieee_overflow 0
		.amdhsa_exception_fp_ieee_underflow 0
		.amdhsa_exception_fp_ieee_inexact 0
		.amdhsa_exception_int_div_zero 0
	.end_amdhsa_kernel
	.section	.text._ZN7rocprim17ROCPRIM_400000_NS6detail17trampoline_kernelINS0_14default_configENS1_27scan_by_key_config_selectorIxxEEZZNS1_16scan_by_key_implILNS1_25lookback_scan_determinismE0ELb0ES3_N6thrust23THRUST_200600_302600_NS6detail15normal_iteratorINS9_10device_ptrIxEEEESE_SE_xNS9_10multipliesIxEENS9_8equal_toIxEExEE10hipError_tPvRmT2_T3_T4_T5_mT6_T7_P12ihipStream_tbENKUlT_T0_E_clISt17integral_constantIbLb1EESZ_EEDaSU_SV_EUlSU_E_NS1_11comp_targetILNS1_3genE5ELNS1_11target_archE942ELNS1_3gpuE9ELNS1_3repE0EEENS1_30default_config_static_selectorELNS0_4arch9wavefront6targetE0EEEvT1_,"axG",@progbits,_ZN7rocprim17ROCPRIM_400000_NS6detail17trampoline_kernelINS0_14default_configENS1_27scan_by_key_config_selectorIxxEEZZNS1_16scan_by_key_implILNS1_25lookback_scan_determinismE0ELb0ES3_N6thrust23THRUST_200600_302600_NS6detail15normal_iteratorINS9_10device_ptrIxEEEESE_SE_xNS9_10multipliesIxEENS9_8equal_toIxEExEE10hipError_tPvRmT2_T3_T4_T5_mT6_T7_P12ihipStream_tbENKUlT_T0_E_clISt17integral_constantIbLb1EESZ_EEDaSU_SV_EUlSU_E_NS1_11comp_targetILNS1_3genE5ELNS1_11target_archE942ELNS1_3gpuE9ELNS1_3repE0EEENS1_30default_config_static_selectorELNS0_4arch9wavefront6targetE0EEEvT1_,comdat
.Lfunc_end58:
	.size	_ZN7rocprim17ROCPRIM_400000_NS6detail17trampoline_kernelINS0_14default_configENS1_27scan_by_key_config_selectorIxxEEZZNS1_16scan_by_key_implILNS1_25lookback_scan_determinismE0ELb0ES3_N6thrust23THRUST_200600_302600_NS6detail15normal_iteratorINS9_10device_ptrIxEEEESE_SE_xNS9_10multipliesIxEENS9_8equal_toIxEExEE10hipError_tPvRmT2_T3_T4_T5_mT6_T7_P12ihipStream_tbENKUlT_T0_E_clISt17integral_constantIbLb1EESZ_EEDaSU_SV_EUlSU_E_NS1_11comp_targetILNS1_3genE5ELNS1_11target_archE942ELNS1_3gpuE9ELNS1_3repE0EEENS1_30default_config_static_selectorELNS0_4arch9wavefront6targetE0EEEvT1_, .Lfunc_end58-_ZN7rocprim17ROCPRIM_400000_NS6detail17trampoline_kernelINS0_14default_configENS1_27scan_by_key_config_selectorIxxEEZZNS1_16scan_by_key_implILNS1_25lookback_scan_determinismE0ELb0ES3_N6thrust23THRUST_200600_302600_NS6detail15normal_iteratorINS9_10device_ptrIxEEEESE_SE_xNS9_10multipliesIxEENS9_8equal_toIxEExEE10hipError_tPvRmT2_T3_T4_T5_mT6_T7_P12ihipStream_tbENKUlT_T0_E_clISt17integral_constantIbLb1EESZ_EEDaSU_SV_EUlSU_E_NS1_11comp_targetILNS1_3genE5ELNS1_11target_archE942ELNS1_3gpuE9ELNS1_3repE0EEENS1_30default_config_static_selectorELNS0_4arch9wavefront6targetE0EEEvT1_
                                        ; -- End function
	.set _ZN7rocprim17ROCPRIM_400000_NS6detail17trampoline_kernelINS0_14default_configENS1_27scan_by_key_config_selectorIxxEEZZNS1_16scan_by_key_implILNS1_25lookback_scan_determinismE0ELb0ES3_N6thrust23THRUST_200600_302600_NS6detail15normal_iteratorINS9_10device_ptrIxEEEESE_SE_xNS9_10multipliesIxEENS9_8equal_toIxEExEE10hipError_tPvRmT2_T3_T4_T5_mT6_T7_P12ihipStream_tbENKUlT_T0_E_clISt17integral_constantIbLb1EESZ_EEDaSU_SV_EUlSU_E_NS1_11comp_targetILNS1_3genE5ELNS1_11target_archE942ELNS1_3gpuE9ELNS1_3repE0EEENS1_30default_config_static_selectorELNS0_4arch9wavefront6targetE0EEEvT1_.num_vgpr, 0
	.set _ZN7rocprim17ROCPRIM_400000_NS6detail17trampoline_kernelINS0_14default_configENS1_27scan_by_key_config_selectorIxxEEZZNS1_16scan_by_key_implILNS1_25lookback_scan_determinismE0ELb0ES3_N6thrust23THRUST_200600_302600_NS6detail15normal_iteratorINS9_10device_ptrIxEEEESE_SE_xNS9_10multipliesIxEENS9_8equal_toIxEExEE10hipError_tPvRmT2_T3_T4_T5_mT6_T7_P12ihipStream_tbENKUlT_T0_E_clISt17integral_constantIbLb1EESZ_EEDaSU_SV_EUlSU_E_NS1_11comp_targetILNS1_3genE5ELNS1_11target_archE942ELNS1_3gpuE9ELNS1_3repE0EEENS1_30default_config_static_selectorELNS0_4arch9wavefront6targetE0EEEvT1_.num_agpr, 0
	.set _ZN7rocprim17ROCPRIM_400000_NS6detail17trampoline_kernelINS0_14default_configENS1_27scan_by_key_config_selectorIxxEEZZNS1_16scan_by_key_implILNS1_25lookback_scan_determinismE0ELb0ES3_N6thrust23THRUST_200600_302600_NS6detail15normal_iteratorINS9_10device_ptrIxEEEESE_SE_xNS9_10multipliesIxEENS9_8equal_toIxEExEE10hipError_tPvRmT2_T3_T4_T5_mT6_T7_P12ihipStream_tbENKUlT_T0_E_clISt17integral_constantIbLb1EESZ_EEDaSU_SV_EUlSU_E_NS1_11comp_targetILNS1_3genE5ELNS1_11target_archE942ELNS1_3gpuE9ELNS1_3repE0EEENS1_30default_config_static_selectorELNS0_4arch9wavefront6targetE0EEEvT1_.numbered_sgpr, 0
	.set _ZN7rocprim17ROCPRIM_400000_NS6detail17trampoline_kernelINS0_14default_configENS1_27scan_by_key_config_selectorIxxEEZZNS1_16scan_by_key_implILNS1_25lookback_scan_determinismE0ELb0ES3_N6thrust23THRUST_200600_302600_NS6detail15normal_iteratorINS9_10device_ptrIxEEEESE_SE_xNS9_10multipliesIxEENS9_8equal_toIxEExEE10hipError_tPvRmT2_T3_T4_T5_mT6_T7_P12ihipStream_tbENKUlT_T0_E_clISt17integral_constantIbLb1EESZ_EEDaSU_SV_EUlSU_E_NS1_11comp_targetILNS1_3genE5ELNS1_11target_archE942ELNS1_3gpuE9ELNS1_3repE0EEENS1_30default_config_static_selectorELNS0_4arch9wavefront6targetE0EEEvT1_.num_named_barrier, 0
	.set _ZN7rocprim17ROCPRIM_400000_NS6detail17trampoline_kernelINS0_14default_configENS1_27scan_by_key_config_selectorIxxEEZZNS1_16scan_by_key_implILNS1_25lookback_scan_determinismE0ELb0ES3_N6thrust23THRUST_200600_302600_NS6detail15normal_iteratorINS9_10device_ptrIxEEEESE_SE_xNS9_10multipliesIxEENS9_8equal_toIxEExEE10hipError_tPvRmT2_T3_T4_T5_mT6_T7_P12ihipStream_tbENKUlT_T0_E_clISt17integral_constantIbLb1EESZ_EEDaSU_SV_EUlSU_E_NS1_11comp_targetILNS1_3genE5ELNS1_11target_archE942ELNS1_3gpuE9ELNS1_3repE0EEENS1_30default_config_static_selectorELNS0_4arch9wavefront6targetE0EEEvT1_.private_seg_size, 0
	.set _ZN7rocprim17ROCPRIM_400000_NS6detail17trampoline_kernelINS0_14default_configENS1_27scan_by_key_config_selectorIxxEEZZNS1_16scan_by_key_implILNS1_25lookback_scan_determinismE0ELb0ES3_N6thrust23THRUST_200600_302600_NS6detail15normal_iteratorINS9_10device_ptrIxEEEESE_SE_xNS9_10multipliesIxEENS9_8equal_toIxEExEE10hipError_tPvRmT2_T3_T4_T5_mT6_T7_P12ihipStream_tbENKUlT_T0_E_clISt17integral_constantIbLb1EESZ_EEDaSU_SV_EUlSU_E_NS1_11comp_targetILNS1_3genE5ELNS1_11target_archE942ELNS1_3gpuE9ELNS1_3repE0EEENS1_30default_config_static_selectorELNS0_4arch9wavefront6targetE0EEEvT1_.uses_vcc, 0
	.set _ZN7rocprim17ROCPRIM_400000_NS6detail17trampoline_kernelINS0_14default_configENS1_27scan_by_key_config_selectorIxxEEZZNS1_16scan_by_key_implILNS1_25lookback_scan_determinismE0ELb0ES3_N6thrust23THRUST_200600_302600_NS6detail15normal_iteratorINS9_10device_ptrIxEEEESE_SE_xNS9_10multipliesIxEENS9_8equal_toIxEExEE10hipError_tPvRmT2_T3_T4_T5_mT6_T7_P12ihipStream_tbENKUlT_T0_E_clISt17integral_constantIbLb1EESZ_EEDaSU_SV_EUlSU_E_NS1_11comp_targetILNS1_3genE5ELNS1_11target_archE942ELNS1_3gpuE9ELNS1_3repE0EEENS1_30default_config_static_selectorELNS0_4arch9wavefront6targetE0EEEvT1_.uses_flat_scratch, 0
	.set _ZN7rocprim17ROCPRIM_400000_NS6detail17trampoline_kernelINS0_14default_configENS1_27scan_by_key_config_selectorIxxEEZZNS1_16scan_by_key_implILNS1_25lookback_scan_determinismE0ELb0ES3_N6thrust23THRUST_200600_302600_NS6detail15normal_iteratorINS9_10device_ptrIxEEEESE_SE_xNS9_10multipliesIxEENS9_8equal_toIxEExEE10hipError_tPvRmT2_T3_T4_T5_mT6_T7_P12ihipStream_tbENKUlT_T0_E_clISt17integral_constantIbLb1EESZ_EEDaSU_SV_EUlSU_E_NS1_11comp_targetILNS1_3genE5ELNS1_11target_archE942ELNS1_3gpuE9ELNS1_3repE0EEENS1_30default_config_static_selectorELNS0_4arch9wavefront6targetE0EEEvT1_.has_dyn_sized_stack, 0
	.set _ZN7rocprim17ROCPRIM_400000_NS6detail17trampoline_kernelINS0_14default_configENS1_27scan_by_key_config_selectorIxxEEZZNS1_16scan_by_key_implILNS1_25lookback_scan_determinismE0ELb0ES3_N6thrust23THRUST_200600_302600_NS6detail15normal_iteratorINS9_10device_ptrIxEEEESE_SE_xNS9_10multipliesIxEENS9_8equal_toIxEExEE10hipError_tPvRmT2_T3_T4_T5_mT6_T7_P12ihipStream_tbENKUlT_T0_E_clISt17integral_constantIbLb1EESZ_EEDaSU_SV_EUlSU_E_NS1_11comp_targetILNS1_3genE5ELNS1_11target_archE942ELNS1_3gpuE9ELNS1_3repE0EEENS1_30default_config_static_selectorELNS0_4arch9wavefront6targetE0EEEvT1_.has_recursion, 0
	.set _ZN7rocprim17ROCPRIM_400000_NS6detail17trampoline_kernelINS0_14default_configENS1_27scan_by_key_config_selectorIxxEEZZNS1_16scan_by_key_implILNS1_25lookback_scan_determinismE0ELb0ES3_N6thrust23THRUST_200600_302600_NS6detail15normal_iteratorINS9_10device_ptrIxEEEESE_SE_xNS9_10multipliesIxEENS9_8equal_toIxEExEE10hipError_tPvRmT2_T3_T4_T5_mT6_T7_P12ihipStream_tbENKUlT_T0_E_clISt17integral_constantIbLb1EESZ_EEDaSU_SV_EUlSU_E_NS1_11comp_targetILNS1_3genE5ELNS1_11target_archE942ELNS1_3gpuE9ELNS1_3repE0EEENS1_30default_config_static_selectorELNS0_4arch9wavefront6targetE0EEEvT1_.has_indirect_call, 0
	.section	.AMDGPU.csdata,"",@progbits
; Kernel info:
; codeLenInByte = 0
; TotalNumSgprs: 0
; NumVgprs: 0
; ScratchSize: 0
; MemoryBound: 0
; FloatMode: 240
; IeeeMode: 1
; LDSByteSize: 0 bytes/workgroup (compile time only)
; SGPRBlocks: 0
; VGPRBlocks: 0
; NumSGPRsForWavesPerEU: 1
; NumVGPRsForWavesPerEU: 1
; NamedBarCnt: 0
; Occupancy: 16
; WaveLimiterHint : 0
; COMPUTE_PGM_RSRC2:SCRATCH_EN: 0
; COMPUTE_PGM_RSRC2:USER_SGPR: 2
; COMPUTE_PGM_RSRC2:TRAP_HANDLER: 0
; COMPUTE_PGM_RSRC2:TGID_X_EN: 1
; COMPUTE_PGM_RSRC2:TGID_Y_EN: 0
; COMPUTE_PGM_RSRC2:TGID_Z_EN: 0
; COMPUTE_PGM_RSRC2:TIDIG_COMP_CNT: 0
	.section	.text._ZN7rocprim17ROCPRIM_400000_NS6detail17trampoline_kernelINS0_14default_configENS1_27scan_by_key_config_selectorIxxEEZZNS1_16scan_by_key_implILNS1_25lookback_scan_determinismE0ELb0ES3_N6thrust23THRUST_200600_302600_NS6detail15normal_iteratorINS9_10device_ptrIxEEEESE_SE_xNS9_10multipliesIxEENS9_8equal_toIxEExEE10hipError_tPvRmT2_T3_T4_T5_mT6_T7_P12ihipStream_tbENKUlT_T0_E_clISt17integral_constantIbLb1EESZ_EEDaSU_SV_EUlSU_E_NS1_11comp_targetILNS1_3genE4ELNS1_11target_archE910ELNS1_3gpuE8ELNS1_3repE0EEENS1_30default_config_static_selectorELNS0_4arch9wavefront6targetE0EEEvT1_,"axG",@progbits,_ZN7rocprim17ROCPRIM_400000_NS6detail17trampoline_kernelINS0_14default_configENS1_27scan_by_key_config_selectorIxxEEZZNS1_16scan_by_key_implILNS1_25lookback_scan_determinismE0ELb0ES3_N6thrust23THRUST_200600_302600_NS6detail15normal_iteratorINS9_10device_ptrIxEEEESE_SE_xNS9_10multipliesIxEENS9_8equal_toIxEExEE10hipError_tPvRmT2_T3_T4_T5_mT6_T7_P12ihipStream_tbENKUlT_T0_E_clISt17integral_constantIbLb1EESZ_EEDaSU_SV_EUlSU_E_NS1_11comp_targetILNS1_3genE4ELNS1_11target_archE910ELNS1_3gpuE8ELNS1_3repE0EEENS1_30default_config_static_selectorELNS0_4arch9wavefront6targetE0EEEvT1_,comdat
	.protected	_ZN7rocprim17ROCPRIM_400000_NS6detail17trampoline_kernelINS0_14default_configENS1_27scan_by_key_config_selectorIxxEEZZNS1_16scan_by_key_implILNS1_25lookback_scan_determinismE0ELb0ES3_N6thrust23THRUST_200600_302600_NS6detail15normal_iteratorINS9_10device_ptrIxEEEESE_SE_xNS9_10multipliesIxEENS9_8equal_toIxEExEE10hipError_tPvRmT2_T3_T4_T5_mT6_T7_P12ihipStream_tbENKUlT_T0_E_clISt17integral_constantIbLb1EESZ_EEDaSU_SV_EUlSU_E_NS1_11comp_targetILNS1_3genE4ELNS1_11target_archE910ELNS1_3gpuE8ELNS1_3repE0EEENS1_30default_config_static_selectorELNS0_4arch9wavefront6targetE0EEEvT1_ ; -- Begin function _ZN7rocprim17ROCPRIM_400000_NS6detail17trampoline_kernelINS0_14default_configENS1_27scan_by_key_config_selectorIxxEEZZNS1_16scan_by_key_implILNS1_25lookback_scan_determinismE0ELb0ES3_N6thrust23THRUST_200600_302600_NS6detail15normal_iteratorINS9_10device_ptrIxEEEESE_SE_xNS9_10multipliesIxEENS9_8equal_toIxEExEE10hipError_tPvRmT2_T3_T4_T5_mT6_T7_P12ihipStream_tbENKUlT_T0_E_clISt17integral_constantIbLb1EESZ_EEDaSU_SV_EUlSU_E_NS1_11comp_targetILNS1_3genE4ELNS1_11target_archE910ELNS1_3gpuE8ELNS1_3repE0EEENS1_30default_config_static_selectorELNS0_4arch9wavefront6targetE0EEEvT1_
	.globl	_ZN7rocprim17ROCPRIM_400000_NS6detail17trampoline_kernelINS0_14default_configENS1_27scan_by_key_config_selectorIxxEEZZNS1_16scan_by_key_implILNS1_25lookback_scan_determinismE0ELb0ES3_N6thrust23THRUST_200600_302600_NS6detail15normal_iteratorINS9_10device_ptrIxEEEESE_SE_xNS9_10multipliesIxEENS9_8equal_toIxEExEE10hipError_tPvRmT2_T3_T4_T5_mT6_T7_P12ihipStream_tbENKUlT_T0_E_clISt17integral_constantIbLb1EESZ_EEDaSU_SV_EUlSU_E_NS1_11comp_targetILNS1_3genE4ELNS1_11target_archE910ELNS1_3gpuE8ELNS1_3repE0EEENS1_30default_config_static_selectorELNS0_4arch9wavefront6targetE0EEEvT1_
	.p2align	8
	.type	_ZN7rocprim17ROCPRIM_400000_NS6detail17trampoline_kernelINS0_14default_configENS1_27scan_by_key_config_selectorIxxEEZZNS1_16scan_by_key_implILNS1_25lookback_scan_determinismE0ELb0ES3_N6thrust23THRUST_200600_302600_NS6detail15normal_iteratorINS9_10device_ptrIxEEEESE_SE_xNS9_10multipliesIxEENS9_8equal_toIxEExEE10hipError_tPvRmT2_T3_T4_T5_mT6_T7_P12ihipStream_tbENKUlT_T0_E_clISt17integral_constantIbLb1EESZ_EEDaSU_SV_EUlSU_E_NS1_11comp_targetILNS1_3genE4ELNS1_11target_archE910ELNS1_3gpuE8ELNS1_3repE0EEENS1_30default_config_static_selectorELNS0_4arch9wavefront6targetE0EEEvT1_,@function
_ZN7rocprim17ROCPRIM_400000_NS6detail17trampoline_kernelINS0_14default_configENS1_27scan_by_key_config_selectorIxxEEZZNS1_16scan_by_key_implILNS1_25lookback_scan_determinismE0ELb0ES3_N6thrust23THRUST_200600_302600_NS6detail15normal_iteratorINS9_10device_ptrIxEEEESE_SE_xNS9_10multipliesIxEENS9_8equal_toIxEExEE10hipError_tPvRmT2_T3_T4_T5_mT6_T7_P12ihipStream_tbENKUlT_T0_E_clISt17integral_constantIbLb1EESZ_EEDaSU_SV_EUlSU_E_NS1_11comp_targetILNS1_3genE4ELNS1_11target_archE910ELNS1_3gpuE8ELNS1_3repE0EEENS1_30default_config_static_selectorELNS0_4arch9wavefront6targetE0EEEvT1_: ; @_ZN7rocprim17ROCPRIM_400000_NS6detail17trampoline_kernelINS0_14default_configENS1_27scan_by_key_config_selectorIxxEEZZNS1_16scan_by_key_implILNS1_25lookback_scan_determinismE0ELb0ES3_N6thrust23THRUST_200600_302600_NS6detail15normal_iteratorINS9_10device_ptrIxEEEESE_SE_xNS9_10multipliesIxEENS9_8equal_toIxEExEE10hipError_tPvRmT2_T3_T4_T5_mT6_T7_P12ihipStream_tbENKUlT_T0_E_clISt17integral_constantIbLb1EESZ_EEDaSU_SV_EUlSU_E_NS1_11comp_targetILNS1_3genE4ELNS1_11target_archE910ELNS1_3gpuE8ELNS1_3repE0EEENS1_30default_config_static_selectorELNS0_4arch9wavefront6targetE0EEEvT1_
; %bb.0:
	.section	.rodata,"a",@progbits
	.p2align	6, 0x0
	.amdhsa_kernel _ZN7rocprim17ROCPRIM_400000_NS6detail17trampoline_kernelINS0_14default_configENS1_27scan_by_key_config_selectorIxxEEZZNS1_16scan_by_key_implILNS1_25lookback_scan_determinismE0ELb0ES3_N6thrust23THRUST_200600_302600_NS6detail15normal_iteratorINS9_10device_ptrIxEEEESE_SE_xNS9_10multipliesIxEENS9_8equal_toIxEExEE10hipError_tPvRmT2_T3_T4_T5_mT6_T7_P12ihipStream_tbENKUlT_T0_E_clISt17integral_constantIbLb1EESZ_EEDaSU_SV_EUlSU_E_NS1_11comp_targetILNS1_3genE4ELNS1_11target_archE910ELNS1_3gpuE8ELNS1_3repE0EEENS1_30default_config_static_selectorELNS0_4arch9wavefront6targetE0EEEvT1_
		.amdhsa_group_segment_fixed_size 0
		.amdhsa_private_segment_fixed_size 0
		.amdhsa_kernarg_size 136
		.amdhsa_user_sgpr_count 2
		.amdhsa_user_sgpr_dispatch_ptr 0
		.amdhsa_user_sgpr_queue_ptr 0
		.amdhsa_user_sgpr_kernarg_segment_ptr 1
		.amdhsa_user_sgpr_dispatch_id 0
		.amdhsa_user_sgpr_kernarg_preload_length 0
		.amdhsa_user_sgpr_kernarg_preload_offset 0
		.amdhsa_user_sgpr_private_segment_size 0
		.amdhsa_wavefront_size32 1
		.amdhsa_uses_dynamic_stack 0
		.amdhsa_enable_private_segment 0
		.amdhsa_system_sgpr_workgroup_id_x 1
		.amdhsa_system_sgpr_workgroup_id_y 0
		.amdhsa_system_sgpr_workgroup_id_z 0
		.amdhsa_system_sgpr_workgroup_info 0
		.amdhsa_system_vgpr_workitem_id 0
		.amdhsa_next_free_vgpr 1
		.amdhsa_next_free_sgpr 1
		.amdhsa_named_barrier_count 0
		.amdhsa_reserve_vcc 0
		.amdhsa_float_round_mode_32 0
		.amdhsa_float_round_mode_16_64 0
		.amdhsa_float_denorm_mode_32 3
		.amdhsa_float_denorm_mode_16_64 3
		.amdhsa_fp16_overflow 0
		.amdhsa_memory_ordered 1
		.amdhsa_forward_progress 1
		.amdhsa_inst_pref_size 0
		.amdhsa_round_robin_scheduling 0
		.amdhsa_exception_fp_ieee_invalid_op 0
		.amdhsa_exception_fp_denorm_src 0
		.amdhsa_exception_fp_ieee_div_zero 0
		.amdhsa_exception_fp_ieee_overflow 0
		.amdhsa_exception_fp_ieee_underflow 0
		.amdhsa_exception_fp_ieee_inexact 0
		.amdhsa_exception_int_div_zero 0
	.end_amdhsa_kernel
	.section	.text._ZN7rocprim17ROCPRIM_400000_NS6detail17trampoline_kernelINS0_14default_configENS1_27scan_by_key_config_selectorIxxEEZZNS1_16scan_by_key_implILNS1_25lookback_scan_determinismE0ELb0ES3_N6thrust23THRUST_200600_302600_NS6detail15normal_iteratorINS9_10device_ptrIxEEEESE_SE_xNS9_10multipliesIxEENS9_8equal_toIxEExEE10hipError_tPvRmT2_T3_T4_T5_mT6_T7_P12ihipStream_tbENKUlT_T0_E_clISt17integral_constantIbLb1EESZ_EEDaSU_SV_EUlSU_E_NS1_11comp_targetILNS1_3genE4ELNS1_11target_archE910ELNS1_3gpuE8ELNS1_3repE0EEENS1_30default_config_static_selectorELNS0_4arch9wavefront6targetE0EEEvT1_,"axG",@progbits,_ZN7rocprim17ROCPRIM_400000_NS6detail17trampoline_kernelINS0_14default_configENS1_27scan_by_key_config_selectorIxxEEZZNS1_16scan_by_key_implILNS1_25lookback_scan_determinismE0ELb0ES3_N6thrust23THRUST_200600_302600_NS6detail15normal_iteratorINS9_10device_ptrIxEEEESE_SE_xNS9_10multipliesIxEENS9_8equal_toIxEExEE10hipError_tPvRmT2_T3_T4_T5_mT6_T7_P12ihipStream_tbENKUlT_T0_E_clISt17integral_constantIbLb1EESZ_EEDaSU_SV_EUlSU_E_NS1_11comp_targetILNS1_3genE4ELNS1_11target_archE910ELNS1_3gpuE8ELNS1_3repE0EEENS1_30default_config_static_selectorELNS0_4arch9wavefront6targetE0EEEvT1_,comdat
.Lfunc_end59:
	.size	_ZN7rocprim17ROCPRIM_400000_NS6detail17trampoline_kernelINS0_14default_configENS1_27scan_by_key_config_selectorIxxEEZZNS1_16scan_by_key_implILNS1_25lookback_scan_determinismE0ELb0ES3_N6thrust23THRUST_200600_302600_NS6detail15normal_iteratorINS9_10device_ptrIxEEEESE_SE_xNS9_10multipliesIxEENS9_8equal_toIxEExEE10hipError_tPvRmT2_T3_T4_T5_mT6_T7_P12ihipStream_tbENKUlT_T0_E_clISt17integral_constantIbLb1EESZ_EEDaSU_SV_EUlSU_E_NS1_11comp_targetILNS1_3genE4ELNS1_11target_archE910ELNS1_3gpuE8ELNS1_3repE0EEENS1_30default_config_static_selectorELNS0_4arch9wavefront6targetE0EEEvT1_, .Lfunc_end59-_ZN7rocprim17ROCPRIM_400000_NS6detail17trampoline_kernelINS0_14default_configENS1_27scan_by_key_config_selectorIxxEEZZNS1_16scan_by_key_implILNS1_25lookback_scan_determinismE0ELb0ES3_N6thrust23THRUST_200600_302600_NS6detail15normal_iteratorINS9_10device_ptrIxEEEESE_SE_xNS9_10multipliesIxEENS9_8equal_toIxEExEE10hipError_tPvRmT2_T3_T4_T5_mT6_T7_P12ihipStream_tbENKUlT_T0_E_clISt17integral_constantIbLb1EESZ_EEDaSU_SV_EUlSU_E_NS1_11comp_targetILNS1_3genE4ELNS1_11target_archE910ELNS1_3gpuE8ELNS1_3repE0EEENS1_30default_config_static_selectorELNS0_4arch9wavefront6targetE0EEEvT1_
                                        ; -- End function
	.set _ZN7rocprim17ROCPRIM_400000_NS6detail17trampoline_kernelINS0_14default_configENS1_27scan_by_key_config_selectorIxxEEZZNS1_16scan_by_key_implILNS1_25lookback_scan_determinismE0ELb0ES3_N6thrust23THRUST_200600_302600_NS6detail15normal_iteratorINS9_10device_ptrIxEEEESE_SE_xNS9_10multipliesIxEENS9_8equal_toIxEExEE10hipError_tPvRmT2_T3_T4_T5_mT6_T7_P12ihipStream_tbENKUlT_T0_E_clISt17integral_constantIbLb1EESZ_EEDaSU_SV_EUlSU_E_NS1_11comp_targetILNS1_3genE4ELNS1_11target_archE910ELNS1_3gpuE8ELNS1_3repE0EEENS1_30default_config_static_selectorELNS0_4arch9wavefront6targetE0EEEvT1_.num_vgpr, 0
	.set _ZN7rocprim17ROCPRIM_400000_NS6detail17trampoline_kernelINS0_14default_configENS1_27scan_by_key_config_selectorIxxEEZZNS1_16scan_by_key_implILNS1_25lookback_scan_determinismE0ELb0ES3_N6thrust23THRUST_200600_302600_NS6detail15normal_iteratorINS9_10device_ptrIxEEEESE_SE_xNS9_10multipliesIxEENS9_8equal_toIxEExEE10hipError_tPvRmT2_T3_T4_T5_mT6_T7_P12ihipStream_tbENKUlT_T0_E_clISt17integral_constantIbLb1EESZ_EEDaSU_SV_EUlSU_E_NS1_11comp_targetILNS1_3genE4ELNS1_11target_archE910ELNS1_3gpuE8ELNS1_3repE0EEENS1_30default_config_static_selectorELNS0_4arch9wavefront6targetE0EEEvT1_.num_agpr, 0
	.set _ZN7rocprim17ROCPRIM_400000_NS6detail17trampoline_kernelINS0_14default_configENS1_27scan_by_key_config_selectorIxxEEZZNS1_16scan_by_key_implILNS1_25lookback_scan_determinismE0ELb0ES3_N6thrust23THRUST_200600_302600_NS6detail15normal_iteratorINS9_10device_ptrIxEEEESE_SE_xNS9_10multipliesIxEENS9_8equal_toIxEExEE10hipError_tPvRmT2_T3_T4_T5_mT6_T7_P12ihipStream_tbENKUlT_T0_E_clISt17integral_constantIbLb1EESZ_EEDaSU_SV_EUlSU_E_NS1_11comp_targetILNS1_3genE4ELNS1_11target_archE910ELNS1_3gpuE8ELNS1_3repE0EEENS1_30default_config_static_selectorELNS0_4arch9wavefront6targetE0EEEvT1_.numbered_sgpr, 0
	.set _ZN7rocprim17ROCPRIM_400000_NS6detail17trampoline_kernelINS0_14default_configENS1_27scan_by_key_config_selectorIxxEEZZNS1_16scan_by_key_implILNS1_25lookback_scan_determinismE0ELb0ES3_N6thrust23THRUST_200600_302600_NS6detail15normal_iteratorINS9_10device_ptrIxEEEESE_SE_xNS9_10multipliesIxEENS9_8equal_toIxEExEE10hipError_tPvRmT2_T3_T4_T5_mT6_T7_P12ihipStream_tbENKUlT_T0_E_clISt17integral_constantIbLb1EESZ_EEDaSU_SV_EUlSU_E_NS1_11comp_targetILNS1_3genE4ELNS1_11target_archE910ELNS1_3gpuE8ELNS1_3repE0EEENS1_30default_config_static_selectorELNS0_4arch9wavefront6targetE0EEEvT1_.num_named_barrier, 0
	.set _ZN7rocprim17ROCPRIM_400000_NS6detail17trampoline_kernelINS0_14default_configENS1_27scan_by_key_config_selectorIxxEEZZNS1_16scan_by_key_implILNS1_25lookback_scan_determinismE0ELb0ES3_N6thrust23THRUST_200600_302600_NS6detail15normal_iteratorINS9_10device_ptrIxEEEESE_SE_xNS9_10multipliesIxEENS9_8equal_toIxEExEE10hipError_tPvRmT2_T3_T4_T5_mT6_T7_P12ihipStream_tbENKUlT_T0_E_clISt17integral_constantIbLb1EESZ_EEDaSU_SV_EUlSU_E_NS1_11comp_targetILNS1_3genE4ELNS1_11target_archE910ELNS1_3gpuE8ELNS1_3repE0EEENS1_30default_config_static_selectorELNS0_4arch9wavefront6targetE0EEEvT1_.private_seg_size, 0
	.set _ZN7rocprim17ROCPRIM_400000_NS6detail17trampoline_kernelINS0_14default_configENS1_27scan_by_key_config_selectorIxxEEZZNS1_16scan_by_key_implILNS1_25lookback_scan_determinismE0ELb0ES3_N6thrust23THRUST_200600_302600_NS6detail15normal_iteratorINS9_10device_ptrIxEEEESE_SE_xNS9_10multipliesIxEENS9_8equal_toIxEExEE10hipError_tPvRmT2_T3_T4_T5_mT6_T7_P12ihipStream_tbENKUlT_T0_E_clISt17integral_constantIbLb1EESZ_EEDaSU_SV_EUlSU_E_NS1_11comp_targetILNS1_3genE4ELNS1_11target_archE910ELNS1_3gpuE8ELNS1_3repE0EEENS1_30default_config_static_selectorELNS0_4arch9wavefront6targetE0EEEvT1_.uses_vcc, 0
	.set _ZN7rocprim17ROCPRIM_400000_NS6detail17trampoline_kernelINS0_14default_configENS1_27scan_by_key_config_selectorIxxEEZZNS1_16scan_by_key_implILNS1_25lookback_scan_determinismE0ELb0ES3_N6thrust23THRUST_200600_302600_NS6detail15normal_iteratorINS9_10device_ptrIxEEEESE_SE_xNS9_10multipliesIxEENS9_8equal_toIxEExEE10hipError_tPvRmT2_T3_T4_T5_mT6_T7_P12ihipStream_tbENKUlT_T0_E_clISt17integral_constantIbLb1EESZ_EEDaSU_SV_EUlSU_E_NS1_11comp_targetILNS1_3genE4ELNS1_11target_archE910ELNS1_3gpuE8ELNS1_3repE0EEENS1_30default_config_static_selectorELNS0_4arch9wavefront6targetE0EEEvT1_.uses_flat_scratch, 0
	.set _ZN7rocprim17ROCPRIM_400000_NS6detail17trampoline_kernelINS0_14default_configENS1_27scan_by_key_config_selectorIxxEEZZNS1_16scan_by_key_implILNS1_25lookback_scan_determinismE0ELb0ES3_N6thrust23THRUST_200600_302600_NS6detail15normal_iteratorINS9_10device_ptrIxEEEESE_SE_xNS9_10multipliesIxEENS9_8equal_toIxEExEE10hipError_tPvRmT2_T3_T4_T5_mT6_T7_P12ihipStream_tbENKUlT_T0_E_clISt17integral_constantIbLb1EESZ_EEDaSU_SV_EUlSU_E_NS1_11comp_targetILNS1_3genE4ELNS1_11target_archE910ELNS1_3gpuE8ELNS1_3repE0EEENS1_30default_config_static_selectorELNS0_4arch9wavefront6targetE0EEEvT1_.has_dyn_sized_stack, 0
	.set _ZN7rocprim17ROCPRIM_400000_NS6detail17trampoline_kernelINS0_14default_configENS1_27scan_by_key_config_selectorIxxEEZZNS1_16scan_by_key_implILNS1_25lookback_scan_determinismE0ELb0ES3_N6thrust23THRUST_200600_302600_NS6detail15normal_iteratorINS9_10device_ptrIxEEEESE_SE_xNS9_10multipliesIxEENS9_8equal_toIxEExEE10hipError_tPvRmT2_T3_T4_T5_mT6_T7_P12ihipStream_tbENKUlT_T0_E_clISt17integral_constantIbLb1EESZ_EEDaSU_SV_EUlSU_E_NS1_11comp_targetILNS1_3genE4ELNS1_11target_archE910ELNS1_3gpuE8ELNS1_3repE0EEENS1_30default_config_static_selectorELNS0_4arch9wavefront6targetE0EEEvT1_.has_recursion, 0
	.set _ZN7rocprim17ROCPRIM_400000_NS6detail17trampoline_kernelINS0_14default_configENS1_27scan_by_key_config_selectorIxxEEZZNS1_16scan_by_key_implILNS1_25lookback_scan_determinismE0ELb0ES3_N6thrust23THRUST_200600_302600_NS6detail15normal_iteratorINS9_10device_ptrIxEEEESE_SE_xNS9_10multipliesIxEENS9_8equal_toIxEExEE10hipError_tPvRmT2_T3_T4_T5_mT6_T7_P12ihipStream_tbENKUlT_T0_E_clISt17integral_constantIbLb1EESZ_EEDaSU_SV_EUlSU_E_NS1_11comp_targetILNS1_3genE4ELNS1_11target_archE910ELNS1_3gpuE8ELNS1_3repE0EEENS1_30default_config_static_selectorELNS0_4arch9wavefront6targetE0EEEvT1_.has_indirect_call, 0
	.section	.AMDGPU.csdata,"",@progbits
; Kernel info:
; codeLenInByte = 0
; TotalNumSgprs: 0
; NumVgprs: 0
; ScratchSize: 0
; MemoryBound: 0
; FloatMode: 240
; IeeeMode: 1
; LDSByteSize: 0 bytes/workgroup (compile time only)
; SGPRBlocks: 0
; VGPRBlocks: 0
; NumSGPRsForWavesPerEU: 1
; NumVGPRsForWavesPerEU: 1
; NamedBarCnt: 0
; Occupancy: 16
; WaveLimiterHint : 0
; COMPUTE_PGM_RSRC2:SCRATCH_EN: 0
; COMPUTE_PGM_RSRC2:USER_SGPR: 2
; COMPUTE_PGM_RSRC2:TRAP_HANDLER: 0
; COMPUTE_PGM_RSRC2:TGID_X_EN: 1
; COMPUTE_PGM_RSRC2:TGID_Y_EN: 0
; COMPUTE_PGM_RSRC2:TGID_Z_EN: 0
; COMPUTE_PGM_RSRC2:TIDIG_COMP_CNT: 0
	.section	.text._ZN7rocprim17ROCPRIM_400000_NS6detail17trampoline_kernelINS0_14default_configENS1_27scan_by_key_config_selectorIxxEEZZNS1_16scan_by_key_implILNS1_25lookback_scan_determinismE0ELb0ES3_N6thrust23THRUST_200600_302600_NS6detail15normal_iteratorINS9_10device_ptrIxEEEESE_SE_xNS9_10multipliesIxEENS9_8equal_toIxEExEE10hipError_tPvRmT2_T3_T4_T5_mT6_T7_P12ihipStream_tbENKUlT_T0_E_clISt17integral_constantIbLb1EESZ_EEDaSU_SV_EUlSU_E_NS1_11comp_targetILNS1_3genE3ELNS1_11target_archE908ELNS1_3gpuE7ELNS1_3repE0EEENS1_30default_config_static_selectorELNS0_4arch9wavefront6targetE0EEEvT1_,"axG",@progbits,_ZN7rocprim17ROCPRIM_400000_NS6detail17trampoline_kernelINS0_14default_configENS1_27scan_by_key_config_selectorIxxEEZZNS1_16scan_by_key_implILNS1_25lookback_scan_determinismE0ELb0ES3_N6thrust23THRUST_200600_302600_NS6detail15normal_iteratorINS9_10device_ptrIxEEEESE_SE_xNS9_10multipliesIxEENS9_8equal_toIxEExEE10hipError_tPvRmT2_T3_T4_T5_mT6_T7_P12ihipStream_tbENKUlT_T0_E_clISt17integral_constantIbLb1EESZ_EEDaSU_SV_EUlSU_E_NS1_11comp_targetILNS1_3genE3ELNS1_11target_archE908ELNS1_3gpuE7ELNS1_3repE0EEENS1_30default_config_static_selectorELNS0_4arch9wavefront6targetE0EEEvT1_,comdat
	.protected	_ZN7rocprim17ROCPRIM_400000_NS6detail17trampoline_kernelINS0_14default_configENS1_27scan_by_key_config_selectorIxxEEZZNS1_16scan_by_key_implILNS1_25lookback_scan_determinismE0ELb0ES3_N6thrust23THRUST_200600_302600_NS6detail15normal_iteratorINS9_10device_ptrIxEEEESE_SE_xNS9_10multipliesIxEENS9_8equal_toIxEExEE10hipError_tPvRmT2_T3_T4_T5_mT6_T7_P12ihipStream_tbENKUlT_T0_E_clISt17integral_constantIbLb1EESZ_EEDaSU_SV_EUlSU_E_NS1_11comp_targetILNS1_3genE3ELNS1_11target_archE908ELNS1_3gpuE7ELNS1_3repE0EEENS1_30default_config_static_selectorELNS0_4arch9wavefront6targetE0EEEvT1_ ; -- Begin function _ZN7rocprim17ROCPRIM_400000_NS6detail17trampoline_kernelINS0_14default_configENS1_27scan_by_key_config_selectorIxxEEZZNS1_16scan_by_key_implILNS1_25lookback_scan_determinismE0ELb0ES3_N6thrust23THRUST_200600_302600_NS6detail15normal_iteratorINS9_10device_ptrIxEEEESE_SE_xNS9_10multipliesIxEENS9_8equal_toIxEExEE10hipError_tPvRmT2_T3_T4_T5_mT6_T7_P12ihipStream_tbENKUlT_T0_E_clISt17integral_constantIbLb1EESZ_EEDaSU_SV_EUlSU_E_NS1_11comp_targetILNS1_3genE3ELNS1_11target_archE908ELNS1_3gpuE7ELNS1_3repE0EEENS1_30default_config_static_selectorELNS0_4arch9wavefront6targetE0EEEvT1_
	.globl	_ZN7rocprim17ROCPRIM_400000_NS6detail17trampoline_kernelINS0_14default_configENS1_27scan_by_key_config_selectorIxxEEZZNS1_16scan_by_key_implILNS1_25lookback_scan_determinismE0ELb0ES3_N6thrust23THRUST_200600_302600_NS6detail15normal_iteratorINS9_10device_ptrIxEEEESE_SE_xNS9_10multipliesIxEENS9_8equal_toIxEExEE10hipError_tPvRmT2_T3_T4_T5_mT6_T7_P12ihipStream_tbENKUlT_T0_E_clISt17integral_constantIbLb1EESZ_EEDaSU_SV_EUlSU_E_NS1_11comp_targetILNS1_3genE3ELNS1_11target_archE908ELNS1_3gpuE7ELNS1_3repE0EEENS1_30default_config_static_selectorELNS0_4arch9wavefront6targetE0EEEvT1_
	.p2align	8
	.type	_ZN7rocprim17ROCPRIM_400000_NS6detail17trampoline_kernelINS0_14default_configENS1_27scan_by_key_config_selectorIxxEEZZNS1_16scan_by_key_implILNS1_25lookback_scan_determinismE0ELb0ES3_N6thrust23THRUST_200600_302600_NS6detail15normal_iteratorINS9_10device_ptrIxEEEESE_SE_xNS9_10multipliesIxEENS9_8equal_toIxEExEE10hipError_tPvRmT2_T3_T4_T5_mT6_T7_P12ihipStream_tbENKUlT_T0_E_clISt17integral_constantIbLb1EESZ_EEDaSU_SV_EUlSU_E_NS1_11comp_targetILNS1_3genE3ELNS1_11target_archE908ELNS1_3gpuE7ELNS1_3repE0EEENS1_30default_config_static_selectorELNS0_4arch9wavefront6targetE0EEEvT1_,@function
_ZN7rocprim17ROCPRIM_400000_NS6detail17trampoline_kernelINS0_14default_configENS1_27scan_by_key_config_selectorIxxEEZZNS1_16scan_by_key_implILNS1_25lookback_scan_determinismE0ELb0ES3_N6thrust23THRUST_200600_302600_NS6detail15normal_iteratorINS9_10device_ptrIxEEEESE_SE_xNS9_10multipliesIxEENS9_8equal_toIxEExEE10hipError_tPvRmT2_T3_T4_T5_mT6_T7_P12ihipStream_tbENKUlT_T0_E_clISt17integral_constantIbLb1EESZ_EEDaSU_SV_EUlSU_E_NS1_11comp_targetILNS1_3genE3ELNS1_11target_archE908ELNS1_3gpuE7ELNS1_3repE0EEENS1_30default_config_static_selectorELNS0_4arch9wavefront6targetE0EEEvT1_: ; @_ZN7rocprim17ROCPRIM_400000_NS6detail17trampoline_kernelINS0_14default_configENS1_27scan_by_key_config_selectorIxxEEZZNS1_16scan_by_key_implILNS1_25lookback_scan_determinismE0ELb0ES3_N6thrust23THRUST_200600_302600_NS6detail15normal_iteratorINS9_10device_ptrIxEEEESE_SE_xNS9_10multipliesIxEENS9_8equal_toIxEExEE10hipError_tPvRmT2_T3_T4_T5_mT6_T7_P12ihipStream_tbENKUlT_T0_E_clISt17integral_constantIbLb1EESZ_EEDaSU_SV_EUlSU_E_NS1_11comp_targetILNS1_3genE3ELNS1_11target_archE908ELNS1_3gpuE7ELNS1_3repE0EEENS1_30default_config_static_selectorELNS0_4arch9wavefront6targetE0EEEvT1_
; %bb.0:
	.section	.rodata,"a",@progbits
	.p2align	6, 0x0
	.amdhsa_kernel _ZN7rocprim17ROCPRIM_400000_NS6detail17trampoline_kernelINS0_14default_configENS1_27scan_by_key_config_selectorIxxEEZZNS1_16scan_by_key_implILNS1_25lookback_scan_determinismE0ELb0ES3_N6thrust23THRUST_200600_302600_NS6detail15normal_iteratorINS9_10device_ptrIxEEEESE_SE_xNS9_10multipliesIxEENS9_8equal_toIxEExEE10hipError_tPvRmT2_T3_T4_T5_mT6_T7_P12ihipStream_tbENKUlT_T0_E_clISt17integral_constantIbLb1EESZ_EEDaSU_SV_EUlSU_E_NS1_11comp_targetILNS1_3genE3ELNS1_11target_archE908ELNS1_3gpuE7ELNS1_3repE0EEENS1_30default_config_static_selectorELNS0_4arch9wavefront6targetE0EEEvT1_
		.amdhsa_group_segment_fixed_size 0
		.amdhsa_private_segment_fixed_size 0
		.amdhsa_kernarg_size 136
		.amdhsa_user_sgpr_count 2
		.amdhsa_user_sgpr_dispatch_ptr 0
		.amdhsa_user_sgpr_queue_ptr 0
		.amdhsa_user_sgpr_kernarg_segment_ptr 1
		.amdhsa_user_sgpr_dispatch_id 0
		.amdhsa_user_sgpr_kernarg_preload_length 0
		.amdhsa_user_sgpr_kernarg_preload_offset 0
		.amdhsa_user_sgpr_private_segment_size 0
		.amdhsa_wavefront_size32 1
		.amdhsa_uses_dynamic_stack 0
		.amdhsa_enable_private_segment 0
		.amdhsa_system_sgpr_workgroup_id_x 1
		.amdhsa_system_sgpr_workgroup_id_y 0
		.amdhsa_system_sgpr_workgroup_id_z 0
		.amdhsa_system_sgpr_workgroup_info 0
		.amdhsa_system_vgpr_workitem_id 0
		.amdhsa_next_free_vgpr 1
		.amdhsa_next_free_sgpr 1
		.amdhsa_named_barrier_count 0
		.amdhsa_reserve_vcc 0
		.amdhsa_float_round_mode_32 0
		.amdhsa_float_round_mode_16_64 0
		.amdhsa_float_denorm_mode_32 3
		.amdhsa_float_denorm_mode_16_64 3
		.amdhsa_fp16_overflow 0
		.amdhsa_memory_ordered 1
		.amdhsa_forward_progress 1
		.amdhsa_inst_pref_size 0
		.amdhsa_round_robin_scheduling 0
		.amdhsa_exception_fp_ieee_invalid_op 0
		.amdhsa_exception_fp_denorm_src 0
		.amdhsa_exception_fp_ieee_div_zero 0
		.amdhsa_exception_fp_ieee_overflow 0
		.amdhsa_exception_fp_ieee_underflow 0
		.amdhsa_exception_fp_ieee_inexact 0
		.amdhsa_exception_int_div_zero 0
	.end_amdhsa_kernel
	.section	.text._ZN7rocprim17ROCPRIM_400000_NS6detail17trampoline_kernelINS0_14default_configENS1_27scan_by_key_config_selectorIxxEEZZNS1_16scan_by_key_implILNS1_25lookback_scan_determinismE0ELb0ES3_N6thrust23THRUST_200600_302600_NS6detail15normal_iteratorINS9_10device_ptrIxEEEESE_SE_xNS9_10multipliesIxEENS9_8equal_toIxEExEE10hipError_tPvRmT2_T3_T4_T5_mT6_T7_P12ihipStream_tbENKUlT_T0_E_clISt17integral_constantIbLb1EESZ_EEDaSU_SV_EUlSU_E_NS1_11comp_targetILNS1_3genE3ELNS1_11target_archE908ELNS1_3gpuE7ELNS1_3repE0EEENS1_30default_config_static_selectorELNS0_4arch9wavefront6targetE0EEEvT1_,"axG",@progbits,_ZN7rocprim17ROCPRIM_400000_NS6detail17trampoline_kernelINS0_14default_configENS1_27scan_by_key_config_selectorIxxEEZZNS1_16scan_by_key_implILNS1_25lookback_scan_determinismE0ELb0ES3_N6thrust23THRUST_200600_302600_NS6detail15normal_iteratorINS9_10device_ptrIxEEEESE_SE_xNS9_10multipliesIxEENS9_8equal_toIxEExEE10hipError_tPvRmT2_T3_T4_T5_mT6_T7_P12ihipStream_tbENKUlT_T0_E_clISt17integral_constantIbLb1EESZ_EEDaSU_SV_EUlSU_E_NS1_11comp_targetILNS1_3genE3ELNS1_11target_archE908ELNS1_3gpuE7ELNS1_3repE0EEENS1_30default_config_static_selectorELNS0_4arch9wavefront6targetE0EEEvT1_,comdat
.Lfunc_end60:
	.size	_ZN7rocprim17ROCPRIM_400000_NS6detail17trampoline_kernelINS0_14default_configENS1_27scan_by_key_config_selectorIxxEEZZNS1_16scan_by_key_implILNS1_25lookback_scan_determinismE0ELb0ES3_N6thrust23THRUST_200600_302600_NS6detail15normal_iteratorINS9_10device_ptrIxEEEESE_SE_xNS9_10multipliesIxEENS9_8equal_toIxEExEE10hipError_tPvRmT2_T3_T4_T5_mT6_T7_P12ihipStream_tbENKUlT_T0_E_clISt17integral_constantIbLb1EESZ_EEDaSU_SV_EUlSU_E_NS1_11comp_targetILNS1_3genE3ELNS1_11target_archE908ELNS1_3gpuE7ELNS1_3repE0EEENS1_30default_config_static_selectorELNS0_4arch9wavefront6targetE0EEEvT1_, .Lfunc_end60-_ZN7rocprim17ROCPRIM_400000_NS6detail17trampoline_kernelINS0_14default_configENS1_27scan_by_key_config_selectorIxxEEZZNS1_16scan_by_key_implILNS1_25lookback_scan_determinismE0ELb0ES3_N6thrust23THRUST_200600_302600_NS6detail15normal_iteratorINS9_10device_ptrIxEEEESE_SE_xNS9_10multipliesIxEENS9_8equal_toIxEExEE10hipError_tPvRmT2_T3_T4_T5_mT6_T7_P12ihipStream_tbENKUlT_T0_E_clISt17integral_constantIbLb1EESZ_EEDaSU_SV_EUlSU_E_NS1_11comp_targetILNS1_3genE3ELNS1_11target_archE908ELNS1_3gpuE7ELNS1_3repE0EEENS1_30default_config_static_selectorELNS0_4arch9wavefront6targetE0EEEvT1_
                                        ; -- End function
	.set _ZN7rocprim17ROCPRIM_400000_NS6detail17trampoline_kernelINS0_14default_configENS1_27scan_by_key_config_selectorIxxEEZZNS1_16scan_by_key_implILNS1_25lookback_scan_determinismE0ELb0ES3_N6thrust23THRUST_200600_302600_NS6detail15normal_iteratorINS9_10device_ptrIxEEEESE_SE_xNS9_10multipliesIxEENS9_8equal_toIxEExEE10hipError_tPvRmT2_T3_T4_T5_mT6_T7_P12ihipStream_tbENKUlT_T0_E_clISt17integral_constantIbLb1EESZ_EEDaSU_SV_EUlSU_E_NS1_11comp_targetILNS1_3genE3ELNS1_11target_archE908ELNS1_3gpuE7ELNS1_3repE0EEENS1_30default_config_static_selectorELNS0_4arch9wavefront6targetE0EEEvT1_.num_vgpr, 0
	.set _ZN7rocprim17ROCPRIM_400000_NS6detail17trampoline_kernelINS0_14default_configENS1_27scan_by_key_config_selectorIxxEEZZNS1_16scan_by_key_implILNS1_25lookback_scan_determinismE0ELb0ES3_N6thrust23THRUST_200600_302600_NS6detail15normal_iteratorINS9_10device_ptrIxEEEESE_SE_xNS9_10multipliesIxEENS9_8equal_toIxEExEE10hipError_tPvRmT2_T3_T4_T5_mT6_T7_P12ihipStream_tbENKUlT_T0_E_clISt17integral_constantIbLb1EESZ_EEDaSU_SV_EUlSU_E_NS1_11comp_targetILNS1_3genE3ELNS1_11target_archE908ELNS1_3gpuE7ELNS1_3repE0EEENS1_30default_config_static_selectorELNS0_4arch9wavefront6targetE0EEEvT1_.num_agpr, 0
	.set _ZN7rocprim17ROCPRIM_400000_NS6detail17trampoline_kernelINS0_14default_configENS1_27scan_by_key_config_selectorIxxEEZZNS1_16scan_by_key_implILNS1_25lookback_scan_determinismE0ELb0ES3_N6thrust23THRUST_200600_302600_NS6detail15normal_iteratorINS9_10device_ptrIxEEEESE_SE_xNS9_10multipliesIxEENS9_8equal_toIxEExEE10hipError_tPvRmT2_T3_T4_T5_mT6_T7_P12ihipStream_tbENKUlT_T0_E_clISt17integral_constantIbLb1EESZ_EEDaSU_SV_EUlSU_E_NS1_11comp_targetILNS1_3genE3ELNS1_11target_archE908ELNS1_3gpuE7ELNS1_3repE0EEENS1_30default_config_static_selectorELNS0_4arch9wavefront6targetE0EEEvT1_.numbered_sgpr, 0
	.set _ZN7rocprim17ROCPRIM_400000_NS6detail17trampoline_kernelINS0_14default_configENS1_27scan_by_key_config_selectorIxxEEZZNS1_16scan_by_key_implILNS1_25lookback_scan_determinismE0ELb0ES3_N6thrust23THRUST_200600_302600_NS6detail15normal_iteratorINS9_10device_ptrIxEEEESE_SE_xNS9_10multipliesIxEENS9_8equal_toIxEExEE10hipError_tPvRmT2_T3_T4_T5_mT6_T7_P12ihipStream_tbENKUlT_T0_E_clISt17integral_constantIbLb1EESZ_EEDaSU_SV_EUlSU_E_NS1_11comp_targetILNS1_3genE3ELNS1_11target_archE908ELNS1_3gpuE7ELNS1_3repE0EEENS1_30default_config_static_selectorELNS0_4arch9wavefront6targetE0EEEvT1_.num_named_barrier, 0
	.set _ZN7rocprim17ROCPRIM_400000_NS6detail17trampoline_kernelINS0_14default_configENS1_27scan_by_key_config_selectorIxxEEZZNS1_16scan_by_key_implILNS1_25lookback_scan_determinismE0ELb0ES3_N6thrust23THRUST_200600_302600_NS6detail15normal_iteratorINS9_10device_ptrIxEEEESE_SE_xNS9_10multipliesIxEENS9_8equal_toIxEExEE10hipError_tPvRmT2_T3_T4_T5_mT6_T7_P12ihipStream_tbENKUlT_T0_E_clISt17integral_constantIbLb1EESZ_EEDaSU_SV_EUlSU_E_NS1_11comp_targetILNS1_3genE3ELNS1_11target_archE908ELNS1_3gpuE7ELNS1_3repE0EEENS1_30default_config_static_selectorELNS0_4arch9wavefront6targetE0EEEvT1_.private_seg_size, 0
	.set _ZN7rocprim17ROCPRIM_400000_NS6detail17trampoline_kernelINS0_14default_configENS1_27scan_by_key_config_selectorIxxEEZZNS1_16scan_by_key_implILNS1_25lookback_scan_determinismE0ELb0ES3_N6thrust23THRUST_200600_302600_NS6detail15normal_iteratorINS9_10device_ptrIxEEEESE_SE_xNS9_10multipliesIxEENS9_8equal_toIxEExEE10hipError_tPvRmT2_T3_T4_T5_mT6_T7_P12ihipStream_tbENKUlT_T0_E_clISt17integral_constantIbLb1EESZ_EEDaSU_SV_EUlSU_E_NS1_11comp_targetILNS1_3genE3ELNS1_11target_archE908ELNS1_3gpuE7ELNS1_3repE0EEENS1_30default_config_static_selectorELNS0_4arch9wavefront6targetE0EEEvT1_.uses_vcc, 0
	.set _ZN7rocprim17ROCPRIM_400000_NS6detail17trampoline_kernelINS0_14default_configENS1_27scan_by_key_config_selectorIxxEEZZNS1_16scan_by_key_implILNS1_25lookback_scan_determinismE0ELb0ES3_N6thrust23THRUST_200600_302600_NS6detail15normal_iteratorINS9_10device_ptrIxEEEESE_SE_xNS9_10multipliesIxEENS9_8equal_toIxEExEE10hipError_tPvRmT2_T3_T4_T5_mT6_T7_P12ihipStream_tbENKUlT_T0_E_clISt17integral_constantIbLb1EESZ_EEDaSU_SV_EUlSU_E_NS1_11comp_targetILNS1_3genE3ELNS1_11target_archE908ELNS1_3gpuE7ELNS1_3repE0EEENS1_30default_config_static_selectorELNS0_4arch9wavefront6targetE0EEEvT1_.uses_flat_scratch, 0
	.set _ZN7rocprim17ROCPRIM_400000_NS6detail17trampoline_kernelINS0_14default_configENS1_27scan_by_key_config_selectorIxxEEZZNS1_16scan_by_key_implILNS1_25lookback_scan_determinismE0ELb0ES3_N6thrust23THRUST_200600_302600_NS6detail15normal_iteratorINS9_10device_ptrIxEEEESE_SE_xNS9_10multipliesIxEENS9_8equal_toIxEExEE10hipError_tPvRmT2_T3_T4_T5_mT6_T7_P12ihipStream_tbENKUlT_T0_E_clISt17integral_constantIbLb1EESZ_EEDaSU_SV_EUlSU_E_NS1_11comp_targetILNS1_3genE3ELNS1_11target_archE908ELNS1_3gpuE7ELNS1_3repE0EEENS1_30default_config_static_selectorELNS0_4arch9wavefront6targetE0EEEvT1_.has_dyn_sized_stack, 0
	.set _ZN7rocprim17ROCPRIM_400000_NS6detail17trampoline_kernelINS0_14default_configENS1_27scan_by_key_config_selectorIxxEEZZNS1_16scan_by_key_implILNS1_25lookback_scan_determinismE0ELb0ES3_N6thrust23THRUST_200600_302600_NS6detail15normal_iteratorINS9_10device_ptrIxEEEESE_SE_xNS9_10multipliesIxEENS9_8equal_toIxEExEE10hipError_tPvRmT2_T3_T4_T5_mT6_T7_P12ihipStream_tbENKUlT_T0_E_clISt17integral_constantIbLb1EESZ_EEDaSU_SV_EUlSU_E_NS1_11comp_targetILNS1_3genE3ELNS1_11target_archE908ELNS1_3gpuE7ELNS1_3repE0EEENS1_30default_config_static_selectorELNS0_4arch9wavefront6targetE0EEEvT1_.has_recursion, 0
	.set _ZN7rocprim17ROCPRIM_400000_NS6detail17trampoline_kernelINS0_14default_configENS1_27scan_by_key_config_selectorIxxEEZZNS1_16scan_by_key_implILNS1_25lookback_scan_determinismE0ELb0ES3_N6thrust23THRUST_200600_302600_NS6detail15normal_iteratorINS9_10device_ptrIxEEEESE_SE_xNS9_10multipliesIxEENS9_8equal_toIxEExEE10hipError_tPvRmT2_T3_T4_T5_mT6_T7_P12ihipStream_tbENKUlT_T0_E_clISt17integral_constantIbLb1EESZ_EEDaSU_SV_EUlSU_E_NS1_11comp_targetILNS1_3genE3ELNS1_11target_archE908ELNS1_3gpuE7ELNS1_3repE0EEENS1_30default_config_static_selectorELNS0_4arch9wavefront6targetE0EEEvT1_.has_indirect_call, 0
	.section	.AMDGPU.csdata,"",@progbits
; Kernel info:
; codeLenInByte = 0
; TotalNumSgprs: 0
; NumVgprs: 0
; ScratchSize: 0
; MemoryBound: 0
; FloatMode: 240
; IeeeMode: 1
; LDSByteSize: 0 bytes/workgroup (compile time only)
; SGPRBlocks: 0
; VGPRBlocks: 0
; NumSGPRsForWavesPerEU: 1
; NumVGPRsForWavesPerEU: 1
; NamedBarCnt: 0
; Occupancy: 16
; WaveLimiterHint : 0
; COMPUTE_PGM_RSRC2:SCRATCH_EN: 0
; COMPUTE_PGM_RSRC2:USER_SGPR: 2
; COMPUTE_PGM_RSRC2:TRAP_HANDLER: 0
; COMPUTE_PGM_RSRC2:TGID_X_EN: 1
; COMPUTE_PGM_RSRC2:TGID_Y_EN: 0
; COMPUTE_PGM_RSRC2:TGID_Z_EN: 0
; COMPUTE_PGM_RSRC2:TIDIG_COMP_CNT: 0
	.section	.text._ZN7rocprim17ROCPRIM_400000_NS6detail17trampoline_kernelINS0_14default_configENS1_27scan_by_key_config_selectorIxxEEZZNS1_16scan_by_key_implILNS1_25lookback_scan_determinismE0ELb0ES3_N6thrust23THRUST_200600_302600_NS6detail15normal_iteratorINS9_10device_ptrIxEEEESE_SE_xNS9_10multipliesIxEENS9_8equal_toIxEExEE10hipError_tPvRmT2_T3_T4_T5_mT6_T7_P12ihipStream_tbENKUlT_T0_E_clISt17integral_constantIbLb1EESZ_EEDaSU_SV_EUlSU_E_NS1_11comp_targetILNS1_3genE2ELNS1_11target_archE906ELNS1_3gpuE6ELNS1_3repE0EEENS1_30default_config_static_selectorELNS0_4arch9wavefront6targetE0EEEvT1_,"axG",@progbits,_ZN7rocprim17ROCPRIM_400000_NS6detail17trampoline_kernelINS0_14default_configENS1_27scan_by_key_config_selectorIxxEEZZNS1_16scan_by_key_implILNS1_25lookback_scan_determinismE0ELb0ES3_N6thrust23THRUST_200600_302600_NS6detail15normal_iteratorINS9_10device_ptrIxEEEESE_SE_xNS9_10multipliesIxEENS9_8equal_toIxEExEE10hipError_tPvRmT2_T3_T4_T5_mT6_T7_P12ihipStream_tbENKUlT_T0_E_clISt17integral_constantIbLb1EESZ_EEDaSU_SV_EUlSU_E_NS1_11comp_targetILNS1_3genE2ELNS1_11target_archE906ELNS1_3gpuE6ELNS1_3repE0EEENS1_30default_config_static_selectorELNS0_4arch9wavefront6targetE0EEEvT1_,comdat
	.protected	_ZN7rocprim17ROCPRIM_400000_NS6detail17trampoline_kernelINS0_14default_configENS1_27scan_by_key_config_selectorIxxEEZZNS1_16scan_by_key_implILNS1_25lookback_scan_determinismE0ELb0ES3_N6thrust23THRUST_200600_302600_NS6detail15normal_iteratorINS9_10device_ptrIxEEEESE_SE_xNS9_10multipliesIxEENS9_8equal_toIxEExEE10hipError_tPvRmT2_T3_T4_T5_mT6_T7_P12ihipStream_tbENKUlT_T0_E_clISt17integral_constantIbLb1EESZ_EEDaSU_SV_EUlSU_E_NS1_11comp_targetILNS1_3genE2ELNS1_11target_archE906ELNS1_3gpuE6ELNS1_3repE0EEENS1_30default_config_static_selectorELNS0_4arch9wavefront6targetE0EEEvT1_ ; -- Begin function _ZN7rocprim17ROCPRIM_400000_NS6detail17trampoline_kernelINS0_14default_configENS1_27scan_by_key_config_selectorIxxEEZZNS1_16scan_by_key_implILNS1_25lookback_scan_determinismE0ELb0ES3_N6thrust23THRUST_200600_302600_NS6detail15normal_iteratorINS9_10device_ptrIxEEEESE_SE_xNS9_10multipliesIxEENS9_8equal_toIxEExEE10hipError_tPvRmT2_T3_T4_T5_mT6_T7_P12ihipStream_tbENKUlT_T0_E_clISt17integral_constantIbLb1EESZ_EEDaSU_SV_EUlSU_E_NS1_11comp_targetILNS1_3genE2ELNS1_11target_archE906ELNS1_3gpuE6ELNS1_3repE0EEENS1_30default_config_static_selectorELNS0_4arch9wavefront6targetE0EEEvT1_
	.globl	_ZN7rocprim17ROCPRIM_400000_NS6detail17trampoline_kernelINS0_14default_configENS1_27scan_by_key_config_selectorIxxEEZZNS1_16scan_by_key_implILNS1_25lookback_scan_determinismE0ELb0ES3_N6thrust23THRUST_200600_302600_NS6detail15normal_iteratorINS9_10device_ptrIxEEEESE_SE_xNS9_10multipliesIxEENS9_8equal_toIxEExEE10hipError_tPvRmT2_T3_T4_T5_mT6_T7_P12ihipStream_tbENKUlT_T0_E_clISt17integral_constantIbLb1EESZ_EEDaSU_SV_EUlSU_E_NS1_11comp_targetILNS1_3genE2ELNS1_11target_archE906ELNS1_3gpuE6ELNS1_3repE0EEENS1_30default_config_static_selectorELNS0_4arch9wavefront6targetE0EEEvT1_
	.p2align	8
	.type	_ZN7rocprim17ROCPRIM_400000_NS6detail17trampoline_kernelINS0_14default_configENS1_27scan_by_key_config_selectorIxxEEZZNS1_16scan_by_key_implILNS1_25lookback_scan_determinismE0ELb0ES3_N6thrust23THRUST_200600_302600_NS6detail15normal_iteratorINS9_10device_ptrIxEEEESE_SE_xNS9_10multipliesIxEENS9_8equal_toIxEExEE10hipError_tPvRmT2_T3_T4_T5_mT6_T7_P12ihipStream_tbENKUlT_T0_E_clISt17integral_constantIbLb1EESZ_EEDaSU_SV_EUlSU_E_NS1_11comp_targetILNS1_3genE2ELNS1_11target_archE906ELNS1_3gpuE6ELNS1_3repE0EEENS1_30default_config_static_selectorELNS0_4arch9wavefront6targetE0EEEvT1_,@function
_ZN7rocprim17ROCPRIM_400000_NS6detail17trampoline_kernelINS0_14default_configENS1_27scan_by_key_config_selectorIxxEEZZNS1_16scan_by_key_implILNS1_25lookback_scan_determinismE0ELb0ES3_N6thrust23THRUST_200600_302600_NS6detail15normal_iteratorINS9_10device_ptrIxEEEESE_SE_xNS9_10multipliesIxEENS9_8equal_toIxEExEE10hipError_tPvRmT2_T3_T4_T5_mT6_T7_P12ihipStream_tbENKUlT_T0_E_clISt17integral_constantIbLb1EESZ_EEDaSU_SV_EUlSU_E_NS1_11comp_targetILNS1_3genE2ELNS1_11target_archE906ELNS1_3gpuE6ELNS1_3repE0EEENS1_30default_config_static_selectorELNS0_4arch9wavefront6targetE0EEEvT1_: ; @_ZN7rocprim17ROCPRIM_400000_NS6detail17trampoline_kernelINS0_14default_configENS1_27scan_by_key_config_selectorIxxEEZZNS1_16scan_by_key_implILNS1_25lookback_scan_determinismE0ELb0ES3_N6thrust23THRUST_200600_302600_NS6detail15normal_iteratorINS9_10device_ptrIxEEEESE_SE_xNS9_10multipliesIxEENS9_8equal_toIxEExEE10hipError_tPvRmT2_T3_T4_T5_mT6_T7_P12ihipStream_tbENKUlT_T0_E_clISt17integral_constantIbLb1EESZ_EEDaSU_SV_EUlSU_E_NS1_11comp_targetILNS1_3genE2ELNS1_11target_archE906ELNS1_3gpuE6ELNS1_3repE0EEENS1_30default_config_static_selectorELNS0_4arch9wavefront6targetE0EEEvT1_
; %bb.0:
	.section	.rodata,"a",@progbits
	.p2align	6, 0x0
	.amdhsa_kernel _ZN7rocprim17ROCPRIM_400000_NS6detail17trampoline_kernelINS0_14default_configENS1_27scan_by_key_config_selectorIxxEEZZNS1_16scan_by_key_implILNS1_25lookback_scan_determinismE0ELb0ES3_N6thrust23THRUST_200600_302600_NS6detail15normal_iteratorINS9_10device_ptrIxEEEESE_SE_xNS9_10multipliesIxEENS9_8equal_toIxEExEE10hipError_tPvRmT2_T3_T4_T5_mT6_T7_P12ihipStream_tbENKUlT_T0_E_clISt17integral_constantIbLb1EESZ_EEDaSU_SV_EUlSU_E_NS1_11comp_targetILNS1_3genE2ELNS1_11target_archE906ELNS1_3gpuE6ELNS1_3repE0EEENS1_30default_config_static_selectorELNS0_4arch9wavefront6targetE0EEEvT1_
		.amdhsa_group_segment_fixed_size 0
		.amdhsa_private_segment_fixed_size 0
		.amdhsa_kernarg_size 136
		.amdhsa_user_sgpr_count 2
		.amdhsa_user_sgpr_dispatch_ptr 0
		.amdhsa_user_sgpr_queue_ptr 0
		.amdhsa_user_sgpr_kernarg_segment_ptr 1
		.amdhsa_user_sgpr_dispatch_id 0
		.amdhsa_user_sgpr_kernarg_preload_length 0
		.amdhsa_user_sgpr_kernarg_preload_offset 0
		.amdhsa_user_sgpr_private_segment_size 0
		.amdhsa_wavefront_size32 1
		.amdhsa_uses_dynamic_stack 0
		.amdhsa_enable_private_segment 0
		.amdhsa_system_sgpr_workgroup_id_x 1
		.amdhsa_system_sgpr_workgroup_id_y 0
		.amdhsa_system_sgpr_workgroup_id_z 0
		.amdhsa_system_sgpr_workgroup_info 0
		.amdhsa_system_vgpr_workitem_id 0
		.amdhsa_next_free_vgpr 1
		.amdhsa_next_free_sgpr 1
		.amdhsa_named_barrier_count 0
		.amdhsa_reserve_vcc 0
		.amdhsa_float_round_mode_32 0
		.amdhsa_float_round_mode_16_64 0
		.amdhsa_float_denorm_mode_32 3
		.amdhsa_float_denorm_mode_16_64 3
		.amdhsa_fp16_overflow 0
		.amdhsa_memory_ordered 1
		.amdhsa_forward_progress 1
		.amdhsa_inst_pref_size 0
		.amdhsa_round_robin_scheduling 0
		.amdhsa_exception_fp_ieee_invalid_op 0
		.amdhsa_exception_fp_denorm_src 0
		.amdhsa_exception_fp_ieee_div_zero 0
		.amdhsa_exception_fp_ieee_overflow 0
		.amdhsa_exception_fp_ieee_underflow 0
		.amdhsa_exception_fp_ieee_inexact 0
		.amdhsa_exception_int_div_zero 0
	.end_amdhsa_kernel
	.section	.text._ZN7rocprim17ROCPRIM_400000_NS6detail17trampoline_kernelINS0_14default_configENS1_27scan_by_key_config_selectorIxxEEZZNS1_16scan_by_key_implILNS1_25lookback_scan_determinismE0ELb0ES3_N6thrust23THRUST_200600_302600_NS6detail15normal_iteratorINS9_10device_ptrIxEEEESE_SE_xNS9_10multipliesIxEENS9_8equal_toIxEExEE10hipError_tPvRmT2_T3_T4_T5_mT6_T7_P12ihipStream_tbENKUlT_T0_E_clISt17integral_constantIbLb1EESZ_EEDaSU_SV_EUlSU_E_NS1_11comp_targetILNS1_3genE2ELNS1_11target_archE906ELNS1_3gpuE6ELNS1_3repE0EEENS1_30default_config_static_selectorELNS0_4arch9wavefront6targetE0EEEvT1_,"axG",@progbits,_ZN7rocprim17ROCPRIM_400000_NS6detail17trampoline_kernelINS0_14default_configENS1_27scan_by_key_config_selectorIxxEEZZNS1_16scan_by_key_implILNS1_25lookback_scan_determinismE0ELb0ES3_N6thrust23THRUST_200600_302600_NS6detail15normal_iteratorINS9_10device_ptrIxEEEESE_SE_xNS9_10multipliesIxEENS9_8equal_toIxEExEE10hipError_tPvRmT2_T3_T4_T5_mT6_T7_P12ihipStream_tbENKUlT_T0_E_clISt17integral_constantIbLb1EESZ_EEDaSU_SV_EUlSU_E_NS1_11comp_targetILNS1_3genE2ELNS1_11target_archE906ELNS1_3gpuE6ELNS1_3repE0EEENS1_30default_config_static_selectorELNS0_4arch9wavefront6targetE0EEEvT1_,comdat
.Lfunc_end61:
	.size	_ZN7rocprim17ROCPRIM_400000_NS6detail17trampoline_kernelINS0_14default_configENS1_27scan_by_key_config_selectorIxxEEZZNS1_16scan_by_key_implILNS1_25lookback_scan_determinismE0ELb0ES3_N6thrust23THRUST_200600_302600_NS6detail15normal_iteratorINS9_10device_ptrIxEEEESE_SE_xNS9_10multipliesIxEENS9_8equal_toIxEExEE10hipError_tPvRmT2_T3_T4_T5_mT6_T7_P12ihipStream_tbENKUlT_T0_E_clISt17integral_constantIbLb1EESZ_EEDaSU_SV_EUlSU_E_NS1_11comp_targetILNS1_3genE2ELNS1_11target_archE906ELNS1_3gpuE6ELNS1_3repE0EEENS1_30default_config_static_selectorELNS0_4arch9wavefront6targetE0EEEvT1_, .Lfunc_end61-_ZN7rocprim17ROCPRIM_400000_NS6detail17trampoline_kernelINS0_14default_configENS1_27scan_by_key_config_selectorIxxEEZZNS1_16scan_by_key_implILNS1_25lookback_scan_determinismE0ELb0ES3_N6thrust23THRUST_200600_302600_NS6detail15normal_iteratorINS9_10device_ptrIxEEEESE_SE_xNS9_10multipliesIxEENS9_8equal_toIxEExEE10hipError_tPvRmT2_T3_T4_T5_mT6_T7_P12ihipStream_tbENKUlT_T0_E_clISt17integral_constantIbLb1EESZ_EEDaSU_SV_EUlSU_E_NS1_11comp_targetILNS1_3genE2ELNS1_11target_archE906ELNS1_3gpuE6ELNS1_3repE0EEENS1_30default_config_static_selectorELNS0_4arch9wavefront6targetE0EEEvT1_
                                        ; -- End function
	.set _ZN7rocprim17ROCPRIM_400000_NS6detail17trampoline_kernelINS0_14default_configENS1_27scan_by_key_config_selectorIxxEEZZNS1_16scan_by_key_implILNS1_25lookback_scan_determinismE0ELb0ES3_N6thrust23THRUST_200600_302600_NS6detail15normal_iteratorINS9_10device_ptrIxEEEESE_SE_xNS9_10multipliesIxEENS9_8equal_toIxEExEE10hipError_tPvRmT2_T3_T4_T5_mT6_T7_P12ihipStream_tbENKUlT_T0_E_clISt17integral_constantIbLb1EESZ_EEDaSU_SV_EUlSU_E_NS1_11comp_targetILNS1_3genE2ELNS1_11target_archE906ELNS1_3gpuE6ELNS1_3repE0EEENS1_30default_config_static_selectorELNS0_4arch9wavefront6targetE0EEEvT1_.num_vgpr, 0
	.set _ZN7rocprim17ROCPRIM_400000_NS6detail17trampoline_kernelINS0_14default_configENS1_27scan_by_key_config_selectorIxxEEZZNS1_16scan_by_key_implILNS1_25lookback_scan_determinismE0ELb0ES3_N6thrust23THRUST_200600_302600_NS6detail15normal_iteratorINS9_10device_ptrIxEEEESE_SE_xNS9_10multipliesIxEENS9_8equal_toIxEExEE10hipError_tPvRmT2_T3_T4_T5_mT6_T7_P12ihipStream_tbENKUlT_T0_E_clISt17integral_constantIbLb1EESZ_EEDaSU_SV_EUlSU_E_NS1_11comp_targetILNS1_3genE2ELNS1_11target_archE906ELNS1_3gpuE6ELNS1_3repE0EEENS1_30default_config_static_selectorELNS0_4arch9wavefront6targetE0EEEvT1_.num_agpr, 0
	.set _ZN7rocprim17ROCPRIM_400000_NS6detail17trampoline_kernelINS0_14default_configENS1_27scan_by_key_config_selectorIxxEEZZNS1_16scan_by_key_implILNS1_25lookback_scan_determinismE0ELb0ES3_N6thrust23THRUST_200600_302600_NS6detail15normal_iteratorINS9_10device_ptrIxEEEESE_SE_xNS9_10multipliesIxEENS9_8equal_toIxEExEE10hipError_tPvRmT2_T3_T4_T5_mT6_T7_P12ihipStream_tbENKUlT_T0_E_clISt17integral_constantIbLb1EESZ_EEDaSU_SV_EUlSU_E_NS1_11comp_targetILNS1_3genE2ELNS1_11target_archE906ELNS1_3gpuE6ELNS1_3repE0EEENS1_30default_config_static_selectorELNS0_4arch9wavefront6targetE0EEEvT1_.numbered_sgpr, 0
	.set _ZN7rocprim17ROCPRIM_400000_NS6detail17trampoline_kernelINS0_14default_configENS1_27scan_by_key_config_selectorIxxEEZZNS1_16scan_by_key_implILNS1_25lookback_scan_determinismE0ELb0ES3_N6thrust23THRUST_200600_302600_NS6detail15normal_iteratorINS9_10device_ptrIxEEEESE_SE_xNS9_10multipliesIxEENS9_8equal_toIxEExEE10hipError_tPvRmT2_T3_T4_T5_mT6_T7_P12ihipStream_tbENKUlT_T0_E_clISt17integral_constantIbLb1EESZ_EEDaSU_SV_EUlSU_E_NS1_11comp_targetILNS1_3genE2ELNS1_11target_archE906ELNS1_3gpuE6ELNS1_3repE0EEENS1_30default_config_static_selectorELNS0_4arch9wavefront6targetE0EEEvT1_.num_named_barrier, 0
	.set _ZN7rocprim17ROCPRIM_400000_NS6detail17trampoline_kernelINS0_14default_configENS1_27scan_by_key_config_selectorIxxEEZZNS1_16scan_by_key_implILNS1_25lookback_scan_determinismE0ELb0ES3_N6thrust23THRUST_200600_302600_NS6detail15normal_iteratorINS9_10device_ptrIxEEEESE_SE_xNS9_10multipliesIxEENS9_8equal_toIxEExEE10hipError_tPvRmT2_T3_T4_T5_mT6_T7_P12ihipStream_tbENKUlT_T0_E_clISt17integral_constantIbLb1EESZ_EEDaSU_SV_EUlSU_E_NS1_11comp_targetILNS1_3genE2ELNS1_11target_archE906ELNS1_3gpuE6ELNS1_3repE0EEENS1_30default_config_static_selectorELNS0_4arch9wavefront6targetE0EEEvT1_.private_seg_size, 0
	.set _ZN7rocprim17ROCPRIM_400000_NS6detail17trampoline_kernelINS0_14default_configENS1_27scan_by_key_config_selectorIxxEEZZNS1_16scan_by_key_implILNS1_25lookback_scan_determinismE0ELb0ES3_N6thrust23THRUST_200600_302600_NS6detail15normal_iteratorINS9_10device_ptrIxEEEESE_SE_xNS9_10multipliesIxEENS9_8equal_toIxEExEE10hipError_tPvRmT2_T3_T4_T5_mT6_T7_P12ihipStream_tbENKUlT_T0_E_clISt17integral_constantIbLb1EESZ_EEDaSU_SV_EUlSU_E_NS1_11comp_targetILNS1_3genE2ELNS1_11target_archE906ELNS1_3gpuE6ELNS1_3repE0EEENS1_30default_config_static_selectorELNS0_4arch9wavefront6targetE0EEEvT1_.uses_vcc, 0
	.set _ZN7rocprim17ROCPRIM_400000_NS6detail17trampoline_kernelINS0_14default_configENS1_27scan_by_key_config_selectorIxxEEZZNS1_16scan_by_key_implILNS1_25lookback_scan_determinismE0ELb0ES3_N6thrust23THRUST_200600_302600_NS6detail15normal_iteratorINS9_10device_ptrIxEEEESE_SE_xNS9_10multipliesIxEENS9_8equal_toIxEExEE10hipError_tPvRmT2_T3_T4_T5_mT6_T7_P12ihipStream_tbENKUlT_T0_E_clISt17integral_constantIbLb1EESZ_EEDaSU_SV_EUlSU_E_NS1_11comp_targetILNS1_3genE2ELNS1_11target_archE906ELNS1_3gpuE6ELNS1_3repE0EEENS1_30default_config_static_selectorELNS0_4arch9wavefront6targetE0EEEvT1_.uses_flat_scratch, 0
	.set _ZN7rocprim17ROCPRIM_400000_NS6detail17trampoline_kernelINS0_14default_configENS1_27scan_by_key_config_selectorIxxEEZZNS1_16scan_by_key_implILNS1_25lookback_scan_determinismE0ELb0ES3_N6thrust23THRUST_200600_302600_NS6detail15normal_iteratorINS9_10device_ptrIxEEEESE_SE_xNS9_10multipliesIxEENS9_8equal_toIxEExEE10hipError_tPvRmT2_T3_T4_T5_mT6_T7_P12ihipStream_tbENKUlT_T0_E_clISt17integral_constantIbLb1EESZ_EEDaSU_SV_EUlSU_E_NS1_11comp_targetILNS1_3genE2ELNS1_11target_archE906ELNS1_3gpuE6ELNS1_3repE0EEENS1_30default_config_static_selectorELNS0_4arch9wavefront6targetE0EEEvT1_.has_dyn_sized_stack, 0
	.set _ZN7rocprim17ROCPRIM_400000_NS6detail17trampoline_kernelINS0_14default_configENS1_27scan_by_key_config_selectorIxxEEZZNS1_16scan_by_key_implILNS1_25lookback_scan_determinismE0ELb0ES3_N6thrust23THRUST_200600_302600_NS6detail15normal_iteratorINS9_10device_ptrIxEEEESE_SE_xNS9_10multipliesIxEENS9_8equal_toIxEExEE10hipError_tPvRmT2_T3_T4_T5_mT6_T7_P12ihipStream_tbENKUlT_T0_E_clISt17integral_constantIbLb1EESZ_EEDaSU_SV_EUlSU_E_NS1_11comp_targetILNS1_3genE2ELNS1_11target_archE906ELNS1_3gpuE6ELNS1_3repE0EEENS1_30default_config_static_selectorELNS0_4arch9wavefront6targetE0EEEvT1_.has_recursion, 0
	.set _ZN7rocprim17ROCPRIM_400000_NS6detail17trampoline_kernelINS0_14default_configENS1_27scan_by_key_config_selectorIxxEEZZNS1_16scan_by_key_implILNS1_25lookback_scan_determinismE0ELb0ES3_N6thrust23THRUST_200600_302600_NS6detail15normal_iteratorINS9_10device_ptrIxEEEESE_SE_xNS9_10multipliesIxEENS9_8equal_toIxEExEE10hipError_tPvRmT2_T3_T4_T5_mT6_T7_P12ihipStream_tbENKUlT_T0_E_clISt17integral_constantIbLb1EESZ_EEDaSU_SV_EUlSU_E_NS1_11comp_targetILNS1_3genE2ELNS1_11target_archE906ELNS1_3gpuE6ELNS1_3repE0EEENS1_30default_config_static_selectorELNS0_4arch9wavefront6targetE0EEEvT1_.has_indirect_call, 0
	.section	.AMDGPU.csdata,"",@progbits
; Kernel info:
; codeLenInByte = 0
; TotalNumSgprs: 0
; NumVgprs: 0
; ScratchSize: 0
; MemoryBound: 0
; FloatMode: 240
; IeeeMode: 1
; LDSByteSize: 0 bytes/workgroup (compile time only)
; SGPRBlocks: 0
; VGPRBlocks: 0
; NumSGPRsForWavesPerEU: 1
; NumVGPRsForWavesPerEU: 1
; NamedBarCnt: 0
; Occupancy: 16
; WaveLimiterHint : 0
; COMPUTE_PGM_RSRC2:SCRATCH_EN: 0
; COMPUTE_PGM_RSRC2:USER_SGPR: 2
; COMPUTE_PGM_RSRC2:TRAP_HANDLER: 0
; COMPUTE_PGM_RSRC2:TGID_X_EN: 1
; COMPUTE_PGM_RSRC2:TGID_Y_EN: 0
; COMPUTE_PGM_RSRC2:TGID_Z_EN: 0
; COMPUTE_PGM_RSRC2:TIDIG_COMP_CNT: 0
	.section	.text._ZN7rocprim17ROCPRIM_400000_NS6detail17trampoline_kernelINS0_14default_configENS1_27scan_by_key_config_selectorIxxEEZZNS1_16scan_by_key_implILNS1_25lookback_scan_determinismE0ELb0ES3_N6thrust23THRUST_200600_302600_NS6detail15normal_iteratorINS9_10device_ptrIxEEEESE_SE_xNS9_10multipliesIxEENS9_8equal_toIxEExEE10hipError_tPvRmT2_T3_T4_T5_mT6_T7_P12ihipStream_tbENKUlT_T0_E_clISt17integral_constantIbLb1EESZ_EEDaSU_SV_EUlSU_E_NS1_11comp_targetILNS1_3genE10ELNS1_11target_archE1200ELNS1_3gpuE4ELNS1_3repE0EEENS1_30default_config_static_selectorELNS0_4arch9wavefront6targetE0EEEvT1_,"axG",@progbits,_ZN7rocprim17ROCPRIM_400000_NS6detail17trampoline_kernelINS0_14default_configENS1_27scan_by_key_config_selectorIxxEEZZNS1_16scan_by_key_implILNS1_25lookback_scan_determinismE0ELb0ES3_N6thrust23THRUST_200600_302600_NS6detail15normal_iteratorINS9_10device_ptrIxEEEESE_SE_xNS9_10multipliesIxEENS9_8equal_toIxEExEE10hipError_tPvRmT2_T3_T4_T5_mT6_T7_P12ihipStream_tbENKUlT_T0_E_clISt17integral_constantIbLb1EESZ_EEDaSU_SV_EUlSU_E_NS1_11comp_targetILNS1_3genE10ELNS1_11target_archE1200ELNS1_3gpuE4ELNS1_3repE0EEENS1_30default_config_static_selectorELNS0_4arch9wavefront6targetE0EEEvT1_,comdat
	.protected	_ZN7rocprim17ROCPRIM_400000_NS6detail17trampoline_kernelINS0_14default_configENS1_27scan_by_key_config_selectorIxxEEZZNS1_16scan_by_key_implILNS1_25lookback_scan_determinismE0ELb0ES3_N6thrust23THRUST_200600_302600_NS6detail15normal_iteratorINS9_10device_ptrIxEEEESE_SE_xNS9_10multipliesIxEENS9_8equal_toIxEExEE10hipError_tPvRmT2_T3_T4_T5_mT6_T7_P12ihipStream_tbENKUlT_T0_E_clISt17integral_constantIbLb1EESZ_EEDaSU_SV_EUlSU_E_NS1_11comp_targetILNS1_3genE10ELNS1_11target_archE1200ELNS1_3gpuE4ELNS1_3repE0EEENS1_30default_config_static_selectorELNS0_4arch9wavefront6targetE0EEEvT1_ ; -- Begin function _ZN7rocprim17ROCPRIM_400000_NS6detail17trampoline_kernelINS0_14default_configENS1_27scan_by_key_config_selectorIxxEEZZNS1_16scan_by_key_implILNS1_25lookback_scan_determinismE0ELb0ES3_N6thrust23THRUST_200600_302600_NS6detail15normal_iteratorINS9_10device_ptrIxEEEESE_SE_xNS9_10multipliesIxEENS9_8equal_toIxEExEE10hipError_tPvRmT2_T3_T4_T5_mT6_T7_P12ihipStream_tbENKUlT_T0_E_clISt17integral_constantIbLb1EESZ_EEDaSU_SV_EUlSU_E_NS1_11comp_targetILNS1_3genE10ELNS1_11target_archE1200ELNS1_3gpuE4ELNS1_3repE0EEENS1_30default_config_static_selectorELNS0_4arch9wavefront6targetE0EEEvT1_
	.globl	_ZN7rocprim17ROCPRIM_400000_NS6detail17trampoline_kernelINS0_14default_configENS1_27scan_by_key_config_selectorIxxEEZZNS1_16scan_by_key_implILNS1_25lookback_scan_determinismE0ELb0ES3_N6thrust23THRUST_200600_302600_NS6detail15normal_iteratorINS9_10device_ptrIxEEEESE_SE_xNS9_10multipliesIxEENS9_8equal_toIxEExEE10hipError_tPvRmT2_T3_T4_T5_mT6_T7_P12ihipStream_tbENKUlT_T0_E_clISt17integral_constantIbLb1EESZ_EEDaSU_SV_EUlSU_E_NS1_11comp_targetILNS1_3genE10ELNS1_11target_archE1200ELNS1_3gpuE4ELNS1_3repE0EEENS1_30default_config_static_selectorELNS0_4arch9wavefront6targetE0EEEvT1_
	.p2align	8
	.type	_ZN7rocprim17ROCPRIM_400000_NS6detail17trampoline_kernelINS0_14default_configENS1_27scan_by_key_config_selectorIxxEEZZNS1_16scan_by_key_implILNS1_25lookback_scan_determinismE0ELb0ES3_N6thrust23THRUST_200600_302600_NS6detail15normal_iteratorINS9_10device_ptrIxEEEESE_SE_xNS9_10multipliesIxEENS9_8equal_toIxEExEE10hipError_tPvRmT2_T3_T4_T5_mT6_T7_P12ihipStream_tbENKUlT_T0_E_clISt17integral_constantIbLb1EESZ_EEDaSU_SV_EUlSU_E_NS1_11comp_targetILNS1_3genE10ELNS1_11target_archE1200ELNS1_3gpuE4ELNS1_3repE0EEENS1_30default_config_static_selectorELNS0_4arch9wavefront6targetE0EEEvT1_,@function
_ZN7rocprim17ROCPRIM_400000_NS6detail17trampoline_kernelINS0_14default_configENS1_27scan_by_key_config_selectorIxxEEZZNS1_16scan_by_key_implILNS1_25lookback_scan_determinismE0ELb0ES3_N6thrust23THRUST_200600_302600_NS6detail15normal_iteratorINS9_10device_ptrIxEEEESE_SE_xNS9_10multipliesIxEENS9_8equal_toIxEExEE10hipError_tPvRmT2_T3_T4_T5_mT6_T7_P12ihipStream_tbENKUlT_T0_E_clISt17integral_constantIbLb1EESZ_EEDaSU_SV_EUlSU_E_NS1_11comp_targetILNS1_3genE10ELNS1_11target_archE1200ELNS1_3gpuE4ELNS1_3repE0EEENS1_30default_config_static_selectorELNS0_4arch9wavefront6targetE0EEEvT1_: ; @_ZN7rocprim17ROCPRIM_400000_NS6detail17trampoline_kernelINS0_14default_configENS1_27scan_by_key_config_selectorIxxEEZZNS1_16scan_by_key_implILNS1_25lookback_scan_determinismE0ELb0ES3_N6thrust23THRUST_200600_302600_NS6detail15normal_iteratorINS9_10device_ptrIxEEEESE_SE_xNS9_10multipliesIxEENS9_8equal_toIxEExEE10hipError_tPvRmT2_T3_T4_T5_mT6_T7_P12ihipStream_tbENKUlT_T0_E_clISt17integral_constantIbLb1EESZ_EEDaSU_SV_EUlSU_E_NS1_11comp_targetILNS1_3genE10ELNS1_11target_archE1200ELNS1_3gpuE4ELNS1_3repE0EEENS1_30default_config_static_selectorELNS0_4arch9wavefront6targetE0EEEvT1_
; %bb.0:
	.section	.rodata,"a",@progbits
	.p2align	6, 0x0
	.amdhsa_kernel _ZN7rocprim17ROCPRIM_400000_NS6detail17trampoline_kernelINS0_14default_configENS1_27scan_by_key_config_selectorIxxEEZZNS1_16scan_by_key_implILNS1_25lookback_scan_determinismE0ELb0ES3_N6thrust23THRUST_200600_302600_NS6detail15normal_iteratorINS9_10device_ptrIxEEEESE_SE_xNS9_10multipliesIxEENS9_8equal_toIxEExEE10hipError_tPvRmT2_T3_T4_T5_mT6_T7_P12ihipStream_tbENKUlT_T0_E_clISt17integral_constantIbLb1EESZ_EEDaSU_SV_EUlSU_E_NS1_11comp_targetILNS1_3genE10ELNS1_11target_archE1200ELNS1_3gpuE4ELNS1_3repE0EEENS1_30default_config_static_selectorELNS0_4arch9wavefront6targetE0EEEvT1_
		.amdhsa_group_segment_fixed_size 0
		.amdhsa_private_segment_fixed_size 0
		.amdhsa_kernarg_size 136
		.amdhsa_user_sgpr_count 2
		.amdhsa_user_sgpr_dispatch_ptr 0
		.amdhsa_user_sgpr_queue_ptr 0
		.amdhsa_user_sgpr_kernarg_segment_ptr 1
		.amdhsa_user_sgpr_dispatch_id 0
		.amdhsa_user_sgpr_kernarg_preload_length 0
		.amdhsa_user_sgpr_kernarg_preload_offset 0
		.amdhsa_user_sgpr_private_segment_size 0
		.amdhsa_wavefront_size32 1
		.amdhsa_uses_dynamic_stack 0
		.amdhsa_enable_private_segment 0
		.amdhsa_system_sgpr_workgroup_id_x 1
		.amdhsa_system_sgpr_workgroup_id_y 0
		.amdhsa_system_sgpr_workgroup_id_z 0
		.amdhsa_system_sgpr_workgroup_info 0
		.amdhsa_system_vgpr_workitem_id 0
		.amdhsa_next_free_vgpr 1
		.amdhsa_next_free_sgpr 1
		.amdhsa_named_barrier_count 0
		.amdhsa_reserve_vcc 0
		.amdhsa_float_round_mode_32 0
		.amdhsa_float_round_mode_16_64 0
		.amdhsa_float_denorm_mode_32 3
		.amdhsa_float_denorm_mode_16_64 3
		.amdhsa_fp16_overflow 0
		.amdhsa_memory_ordered 1
		.amdhsa_forward_progress 1
		.amdhsa_inst_pref_size 0
		.amdhsa_round_robin_scheduling 0
		.amdhsa_exception_fp_ieee_invalid_op 0
		.amdhsa_exception_fp_denorm_src 0
		.amdhsa_exception_fp_ieee_div_zero 0
		.amdhsa_exception_fp_ieee_overflow 0
		.amdhsa_exception_fp_ieee_underflow 0
		.amdhsa_exception_fp_ieee_inexact 0
		.amdhsa_exception_int_div_zero 0
	.end_amdhsa_kernel
	.section	.text._ZN7rocprim17ROCPRIM_400000_NS6detail17trampoline_kernelINS0_14default_configENS1_27scan_by_key_config_selectorIxxEEZZNS1_16scan_by_key_implILNS1_25lookback_scan_determinismE0ELb0ES3_N6thrust23THRUST_200600_302600_NS6detail15normal_iteratorINS9_10device_ptrIxEEEESE_SE_xNS9_10multipliesIxEENS9_8equal_toIxEExEE10hipError_tPvRmT2_T3_T4_T5_mT6_T7_P12ihipStream_tbENKUlT_T0_E_clISt17integral_constantIbLb1EESZ_EEDaSU_SV_EUlSU_E_NS1_11comp_targetILNS1_3genE10ELNS1_11target_archE1200ELNS1_3gpuE4ELNS1_3repE0EEENS1_30default_config_static_selectorELNS0_4arch9wavefront6targetE0EEEvT1_,"axG",@progbits,_ZN7rocprim17ROCPRIM_400000_NS6detail17trampoline_kernelINS0_14default_configENS1_27scan_by_key_config_selectorIxxEEZZNS1_16scan_by_key_implILNS1_25lookback_scan_determinismE0ELb0ES3_N6thrust23THRUST_200600_302600_NS6detail15normal_iteratorINS9_10device_ptrIxEEEESE_SE_xNS9_10multipliesIxEENS9_8equal_toIxEExEE10hipError_tPvRmT2_T3_T4_T5_mT6_T7_P12ihipStream_tbENKUlT_T0_E_clISt17integral_constantIbLb1EESZ_EEDaSU_SV_EUlSU_E_NS1_11comp_targetILNS1_3genE10ELNS1_11target_archE1200ELNS1_3gpuE4ELNS1_3repE0EEENS1_30default_config_static_selectorELNS0_4arch9wavefront6targetE0EEEvT1_,comdat
.Lfunc_end62:
	.size	_ZN7rocprim17ROCPRIM_400000_NS6detail17trampoline_kernelINS0_14default_configENS1_27scan_by_key_config_selectorIxxEEZZNS1_16scan_by_key_implILNS1_25lookback_scan_determinismE0ELb0ES3_N6thrust23THRUST_200600_302600_NS6detail15normal_iteratorINS9_10device_ptrIxEEEESE_SE_xNS9_10multipliesIxEENS9_8equal_toIxEExEE10hipError_tPvRmT2_T3_T4_T5_mT6_T7_P12ihipStream_tbENKUlT_T0_E_clISt17integral_constantIbLb1EESZ_EEDaSU_SV_EUlSU_E_NS1_11comp_targetILNS1_3genE10ELNS1_11target_archE1200ELNS1_3gpuE4ELNS1_3repE0EEENS1_30default_config_static_selectorELNS0_4arch9wavefront6targetE0EEEvT1_, .Lfunc_end62-_ZN7rocprim17ROCPRIM_400000_NS6detail17trampoline_kernelINS0_14default_configENS1_27scan_by_key_config_selectorIxxEEZZNS1_16scan_by_key_implILNS1_25lookback_scan_determinismE0ELb0ES3_N6thrust23THRUST_200600_302600_NS6detail15normal_iteratorINS9_10device_ptrIxEEEESE_SE_xNS9_10multipliesIxEENS9_8equal_toIxEExEE10hipError_tPvRmT2_T3_T4_T5_mT6_T7_P12ihipStream_tbENKUlT_T0_E_clISt17integral_constantIbLb1EESZ_EEDaSU_SV_EUlSU_E_NS1_11comp_targetILNS1_3genE10ELNS1_11target_archE1200ELNS1_3gpuE4ELNS1_3repE0EEENS1_30default_config_static_selectorELNS0_4arch9wavefront6targetE0EEEvT1_
                                        ; -- End function
	.set _ZN7rocprim17ROCPRIM_400000_NS6detail17trampoline_kernelINS0_14default_configENS1_27scan_by_key_config_selectorIxxEEZZNS1_16scan_by_key_implILNS1_25lookback_scan_determinismE0ELb0ES3_N6thrust23THRUST_200600_302600_NS6detail15normal_iteratorINS9_10device_ptrIxEEEESE_SE_xNS9_10multipliesIxEENS9_8equal_toIxEExEE10hipError_tPvRmT2_T3_T4_T5_mT6_T7_P12ihipStream_tbENKUlT_T0_E_clISt17integral_constantIbLb1EESZ_EEDaSU_SV_EUlSU_E_NS1_11comp_targetILNS1_3genE10ELNS1_11target_archE1200ELNS1_3gpuE4ELNS1_3repE0EEENS1_30default_config_static_selectorELNS0_4arch9wavefront6targetE0EEEvT1_.num_vgpr, 0
	.set _ZN7rocprim17ROCPRIM_400000_NS6detail17trampoline_kernelINS0_14default_configENS1_27scan_by_key_config_selectorIxxEEZZNS1_16scan_by_key_implILNS1_25lookback_scan_determinismE0ELb0ES3_N6thrust23THRUST_200600_302600_NS6detail15normal_iteratorINS9_10device_ptrIxEEEESE_SE_xNS9_10multipliesIxEENS9_8equal_toIxEExEE10hipError_tPvRmT2_T3_T4_T5_mT6_T7_P12ihipStream_tbENKUlT_T0_E_clISt17integral_constantIbLb1EESZ_EEDaSU_SV_EUlSU_E_NS1_11comp_targetILNS1_3genE10ELNS1_11target_archE1200ELNS1_3gpuE4ELNS1_3repE0EEENS1_30default_config_static_selectorELNS0_4arch9wavefront6targetE0EEEvT1_.num_agpr, 0
	.set _ZN7rocprim17ROCPRIM_400000_NS6detail17trampoline_kernelINS0_14default_configENS1_27scan_by_key_config_selectorIxxEEZZNS1_16scan_by_key_implILNS1_25lookback_scan_determinismE0ELb0ES3_N6thrust23THRUST_200600_302600_NS6detail15normal_iteratorINS9_10device_ptrIxEEEESE_SE_xNS9_10multipliesIxEENS9_8equal_toIxEExEE10hipError_tPvRmT2_T3_T4_T5_mT6_T7_P12ihipStream_tbENKUlT_T0_E_clISt17integral_constantIbLb1EESZ_EEDaSU_SV_EUlSU_E_NS1_11comp_targetILNS1_3genE10ELNS1_11target_archE1200ELNS1_3gpuE4ELNS1_3repE0EEENS1_30default_config_static_selectorELNS0_4arch9wavefront6targetE0EEEvT1_.numbered_sgpr, 0
	.set _ZN7rocprim17ROCPRIM_400000_NS6detail17trampoline_kernelINS0_14default_configENS1_27scan_by_key_config_selectorIxxEEZZNS1_16scan_by_key_implILNS1_25lookback_scan_determinismE0ELb0ES3_N6thrust23THRUST_200600_302600_NS6detail15normal_iteratorINS9_10device_ptrIxEEEESE_SE_xNS9_10multipliesIxEENS9_8equal_toIxEExEE10hipError_tPvRmT2_T3_T4_T5_mT6_T7_P12ihipStream_tbENKUlT_T0_E_clISt17integral_constantIbLb1EESZ_EEDaSU_SV_EUlSU_E_NS1_11comp_targetILNS1_3genE10ELNS1_11target_archE1200ELNS1_3gpuE4ELNS1_3repE0EEENS1_30default_config_static_selectorELNS0_4arch9wavefront6targetE0EEEvT1_.num_named_barrier, 0
	.set _ZN7rocprim17ROCPRIM_400000_NS6detail17trampoline_kernelINS0_14default_configENS1_27scan_by_key_config_selectorIxxEEZZNS1_16scan_by_key_implILNS1_25lookback_scan_determinismE0ELb0ES3_N6thrust23THRUST_200600_302600_NS6detail15normal_iteratorINS9_10device_ptrIxEEEESE_SE_xNS9_10multipliesIxEENS9_8equal_toIxEExEE10hipError_tPvRmT2_T3_T4_T5_mT6_T7_P12ihipStream_tbENKUlT_T0_E_clISt17integral_constantIbLb1EESZ_EEDaSU_SV_EUlSU_E_NS1_11comp_targetILNS1_3genE10ELNS1_11target_archE1200ELNS1_3gpuE4ELNS1_3repE0EEENS1_30default_config_static_selectorELNS0_4arch9wavefront6targetE0EEEvT1_.private_seg_size, 0
	.set _ZN7rocprim17ROCPRIM_400000_NS6detail17trampoline_kernelINS0_14default_configENS1_27scan_by_key_config_selectorIxxEEZZNS1_16scan_by_key_implILNS1_25lookback_scan_determinismE0ELb0ES3_N6thrust23THRUST_200600_302600_NS6detail15normal_iteratorINS9_10device_ptrIxEEEESE_SE_xNS9_10multipliesIxEENS9_8equal_toIxEExEE10hipError_tPvRmT2_T3_T4_T5_mT6_T7_P12ihipStream_tbENKUlT_T0_E_clISt17integral_constantIbLb1EESZ_EEDaSU_SV_EUlSU_E_NS1_11comp_targetILNS1_3genE10ELNS1_11target_archE1200ELNS1_3gpuE4ELNS1_3repE0EEENS1_30default_config_static_selectorELNS0_4arch9wavefront6targetE0EEEvT1_.uses_vcc, 0
	.set _ZN7rocprim17ROCPRIM_400000_NS6detail17trampoline_kernelINS0_14default_configENS1_27scan_by_key_config_selectorIxxEEZZNS1_16scan_by_key_implILNS1_25lookback_scan_determinismE0ELb0ES3_N6thrust23THRUST_200600_302600_NS6detail15normal_iteratorINS9_10device_ptrIxEEEESE_SE_xNS9_10multipliesIxEENS9_8equal_toIxEExEE10hipError_tPvRmT2_T3_T4_T5_mT6_T7_P12ihipStream_tbENKUlT_T0_E_clISt17integral_constantIbLb1EESZ_EEDaSU_SV_EUlSU_E_NS1_11comp_targetILNS1_3genE10ELNS1_11target_archE1200ELNS1_3gpuE4ELNS1_3repE0EEENS1_30default_config_static_selectorELNS0_4arch9wavefront6targetE0EEEvT1_.uses_flat_scratch, 0
	.set _ZN7rocprim17ROCPRIM_400000_NS6detail17trampoline_kernelINS0_14default_configENS1_27scan_by_key_config_selectorIxxEEZZNS1_16scan_by_key_implILNS1_25lookback_scan_determinismE0ELb0ES3_N6thrust23THRUST_200600_302600_NS6detail15normal_iteratorINS9_10device_ptrIxEEEESE_SE_xNS9_10multipliesIxEENS9_8equal_toIxEExEE10hipError_tPvRmT2_T3_T4_T5_mT6_T7_P12ihipStream_tbENKUlT_T0_E_clISt17integral_constantIbLb1EESZ_EEDaSU_SV_EUlSU_E_NS1_11comp_targetILNS1_3genE10ELNS1_11target_archE1200ELNS1_3gpuE4ELNS1_3repE0EEENS1_30default_config_static_selectorELNS0_4arch9wavefront6targetE0EEEvT1_.has_dyn_sized_stack, 0
	.set _ZN7rocprim17ROCPRIM_400000_NS6detail17trampoline_kernelINS0_14default_configENS1_27scan_by_key_config_selectorIxxEEZZNS1_16scan_by_key_implILNS1_25lookback_scan_determinismE0ELb0ES3_N6thrust23THRUST_200600_302600_NS6detail15normal_iteratorINS9_10device_ptrIxEEEESE_SE_xNS9_10multipliesIxEENS9_8equal_toIxEExEE10hipError_tPvRmT2_T3_T4_T5_mT6_T7_P12ihipStream_tbENKUlT_T0_E_clISt17integral_constantIbLb1EESZ_EEDaSU_SV_EUlSU_E_NS1_11comp_targetILNS1_3genE10ELNS1_11target_archE1200ELNS1_3gpuE4ELNS1_3repE0EEENS1_30default_config_static_selectorELNS0_4arch9wavefront6targetE0EEEvT1_.has_recursion, 0
	.set _ZN7rocprim17ROCPRIM_400000_NS6detail17trampoline_kernelINS0_14default_configENS1_27scan_by_key_config_selectorIxxEEZZNS1_16scan_by_key_implILNS1_25lookback_scan_determinismE0ELb0ES3_N6thrust23THRUST_200600_302600_NS6detail15normal_iteratorINS9_10device_ptrIxEEEESE_SE_xNS9_10multipliesIxEENS9_8equal_toIxEExEE10hipError_tPvRmT2_T3_T4_T5_mT6_T7_P12ihipStream_tbENKUlT_T0_E_clISt17integral_constantIbLb1EESZ_EEDaSU_SV_EUlSU_E_NS1_11comp_targetILNS1_3genE10ELNS1_11target_archE1200ELNS1_3gpuE4ELNS1_3repE0EEENS1_30default_config_static_selectorELNS0_4arch9wavefront6targetE0EEEvT1_.has_indirect_call, 0
	.section	.AMDGPU.csdata,"",@progbits
; Kernel info:
; codeLenInByte = 0
; TotalNumSgprs: 0
; NumVgprs: 0
; ScratchSize: 0
; MemoryBound: 0
; FloatMode: 240
; IeeeMode: 1
; LDSByteSize: 0 bytes/workgroup (compile time only)
; SGPRBlocks: 0
; VGPRBlocks: 0
; NumSGPRsForWavesPerEU: 1
; NumVGPRsForWavesPerEU: 1
; NamedBarCnt: 0
; Occupancy: 16
; WaveLimiterHint : 0
; COMPUTE_PGM_RSRC2:SCRATCH_EN: 0
; COMPUTE_PGM_RSRC2:USER_SGPR: 2
; COMPUTE_PGM_RSRC2:TRAP_HANDLER: 0
; COMPUTE_PGM_RSRC2:TGID_X_EN: 1
; COMPUTE_PGM_RSRC2:TGID_Y_EN: 0
; COMPUTE_PGM_RSRC2:TGID_Z_EN: 0
; COMPUTE_PGM_RSRC2:TIDIG_COMP_CNT: 0
	.section	.text._ZN7rocprim17ROCPRIM_400000_NS6detail17trampoline_kernelINS0_14default_configENS1_27scan_by_key_config_selectorIxxEEZZNS1_16scan_by_key_implILNS1_25lookback_scan_determinismE0ELb0ES3_N6thrust23THRUST_200600_302600_NS6detail15normal_iteratorINS9_10device_ptrIxEEEESE_SE_xNS9_10multipliesIxEENS9_8equal_toIxEExEE10hipError_tPvRmT2_T3_T4_T5_mT6_T7_P12ihipStream_tbENKUlT_T0_E_clISt17integral_constantIbLb1EESZ_EEDaSU_SV_EUlSU_E_NS1_11comp_targetILNS1_3genE9ELNS1_11target_archE1100ELNS1_3gpuE3ELNS1_3repE0EEENS1_30default_config_static_selectorELNS0_4arch9wavefront6targetE0EEEvT1_,"axG",@progbits,_ZN7rocprim17ROCPRIM_400000_NS6detail17trampoline_kernelINS0_14default_configENS1_27scan_by_key_config_selectorIxxEEZZNS1_16scan_by_key_implILNS1_25lookback_scan_determinismE0ELb0ES3_N6thrust23THRUST_200600_302600_NS6detail15normal_iteratorINS9_10device_ptrIxEEEESE_SE_xNS9_10multipliesIxEENS9_8equal_toIxEExEE10hipError_tPvRmT2_T3_T4_T5_mT6_T7_P12ihipStream_tbENKUlT_T0_E_clISt17integral_constantIbLb1EESZ_EEDaSU_SV_EUlSU_E_NS1_11comp_targetILNS1_3genE9ELNS1_11target_archE1100ELNS1_3gpuE3ELNS1_3repE0EEENS1_30default_config_static_selectorELNS0_4arch9wavefront6targetE0EEEvT1_,comdat
	.protected	_ZN7rocprim17ROCPRIM_400000_NS6detail17trampoline_kernelINS0_14default_configENS1_27scan_by_key_config_selectorIxxEEZZNS1_16scan_by_key_implILNS1_25lookback_scan_determinismE0ELb0ES3_N6thrust23THRUST_200600_302600_NS6detail15normal_iteratorINS9_10device_ptrIxEEEESE_SE_xNS9_10multipliesIxEENS9_8equal_toIxEExEE10hipError_tPvRmT2_T3_T4_T5_mT6_T7_P12ihipStream_tbENKUlT_T0_E_clISt17integral_constantIbLb1EESZ_EEDaSU_SV_EUlSU_E_NS1_11comp_targetILNS1_3genE9ELNS1_11target_archE1100ELNS1_3gpuE3ELNS1_3repE0EEENS1_30default_config_static_selectorELNS0_4arch9wavefront6targetE0EEEvT1_ ; -- Begin function _ZN7rocprim17ROCPRIM_400000_NS6detail17trampoline_kernelINS0_14default_configENS1_27scan_by_key_config_selectorIxxEEZZNS1_16scan_by_key_implILNS1_25lookback_scan_determinismE0ELb0ES3_N6thrust23THRUST_200600_302600_NS6detail15normal_iteratorINS9_10device_ptrIxEEEESE_SE_xNS9_10multipliesIxEENS9_8equal_toIxEExEE10hipError_tPvRmT2_T3_T4_T5_mT6_T7_P12ihipStream_tbENKUlT_T0_E_clISt17integral_constantIbLb1EESZ_EEDaSU_SV_EUlSU_E_NS1_11comp_targetILNS1_3genE9ELNS1_11target_archE1100ELNS1_3gpuE3ELNS1_3repE0EEENS1_30default_config_static_selectorELNS0_4arch9wavefront6targetE0EEEvT1_
	.globl	_ZN7rocprim17ROCPRIM_400000_NS6detail17trampoline_kernelINS0_14default_configENS1_27scan_by_key_config_selectorIxxEEZZNS1_16scan_by_key_implILNS1_25lookback_scan_determinismE0ELb0ES3_N6thrust23THRUST_200600_302600_NS6detail15normal_iteratorINS9_10device_ptrIxEEEESE_SE_xNS9_10multipliesIxEENS9_8equal_toIxEExEE10hipError_tPvRmT2_T3_T4_T5_mT6_T7_P12ihipStream_tbENKUlT_T0_E_clISt17integral_constantIbLb1EESZ_EEDaSU_SV_EUlSU_E_NS1_11comp_targetILNS1_3genE9ELNS1_11target_archE1100ELNS1_3gpuE3ELNS1_3repE0EEENS1_30default_config_static_selectorELNS0_4arch9wavefront6targetE0EEEvT1_
	.p2align	8
	.type	_ZN7rocprim17ROCPRIM_400000_NS6detail17trampoline_kernelINS0_14default_configENS1_27scan_by_key_config_selectorIxxEEZZNS1_16scan_by_key_implILNS1_25lookback_scan_determinismE0ELb0ES3_N6thrust23THRUST_200600_302600_NS6detail15normal_iteratorINS9_10device_ptrIxEEEESE_SE_xNS9_10multipliesIxEENS9_8equal_toIxEExEE10hipError_tPvRmT2_T3_T4_T5_mT6_T7_P12ihipStream_tbENKUlT_T0_E_clISt17integral_constantIbLb1EESZ_EEDaSU_SV_EUlSU_E_NS1_11comp_targetILNS1_3genE9ELNS1_11target_archE1100ELNS1_3gpuE3ELNS1_3repE0EEENS1_30default_config_static_selectorELNS0_4arch9wavefront6targetE0EEEvT1_,@function
_ZN7rocprim17ROCPRIM_400000_NS6detail17trampoline_kernelINS0_14default_configENS1_27scan_by_key_config_selectorIxxEEZZNS1_16scan_by_key_implILNS1_25lookback_scan_determinismE0ELb0ES3_N6thrust23THRUST_200600_302600_NS6detail15normal_iteratorINS9_10device_ptrIxEEEESE_SE_xNS9_10multipliesIxEENS9_8equal_toIxEExEE10hipError_tPvRmT2_T3_T4_T5_mT6_T7_P12ihipStream_tbENKUlT_T0_E_clISt17integral_constantIbLb1EESZ_EEDaSU_SV_EUlSU_E_NS1_11comp_targetILNS1_3genE9ELNS1_11target_archE1100ELNS1_3gpuE3ELNS1_3repE0EEENS1_30default_config_static_selectorELNS0_4arch9wavefront6targetE0EEEvT1_: ; @_ZN7rocprim17ROCPRIM_400000_NS6detail17trampoline_kernelINS0_14default_configENS1_27scan_by_key_config_selectorIxxEEZZNS1_16scan_by_key_implILNS1_25lookback_scan_determinismE0ELb0ES3_N6thrust23THRUST_200600_302600_NS6detail15normal_iteratorINS9_10device_ptrIxEEEESE_SE_xNS9_10multipliesIxEENS9_8equal_toIxEExEE10hipError_tPvRmT2_T3_T4_T5_mT6_T7_P12ihipStream_tbENKUlT_T0_E_clISt17integral_constantIbLb1EESZ_EEDaSU_SV_EUlSU_E_NS1_11comp_targetILNS1_3genE9ELNS1_11target_archE1100ELNS1_3gpuE3ELNS1_3repE0EEENS1_30default_config_static_selectorELNS0_4arch9wavefront6targetE0EEEvT1_
; %bb.0:
	.section	.rodata,"a",@progbits
	.p2align	6, 0x0
	.amdhsa_kernel _ZN7rocprim17ROCPRIM_400000_NS6detail17trampoline_kernelINS0_14default_configENS1_27scan_by_key_config_selectorIxxEEZZNS1_16scan_by_key_implILNS1_25lookback_scan_determinismE0ELb0ES3_N6thrust23THRUST_200600_302600_NS6detail15normal_iteratorINS9_10device_ptrIxEEEESE_SE_xNS9_10multipliesIxEENS9_8equal_toIxEExEE10hipError_tPvRmT2_T3_T4_T5_mT6_T7_P12ihipStream_tbENKUlT_T0_E_clISt17integral_constantIbLb1EESZ_EEDaSU_SV_EUlSU_E_NS1_11comp_targetILNS1_3genE9ELNS1_11target_archE1100ELNS1_3gpuE3ELNS1_3repE0EEENS1_30default_config_static_selectorELNS0_4arch9wavefront6targetE0EEEvT1_
		.amdhsa_group_segment_fixed_size 0
		.amdhsa_private_segment_fixed_size 0
		.amdhsa_kernarg_size 136
		.amdhsa_user_sgpr_count 2
		.amdhsa_user_sgpr_dispatch_ptr 0
		.amdhsa_user_sgpr_queue_ptr 0
		.amdhsa_user_sgpr_kernarg_segment_ptr 1
		.amdhsa_user_sgpr_dispatch_id 0
		.amdhsa_user_sgpr_kernarg_preload_length 0
		.amdhsa_user_sgpr_kernarg_preload_offset 0
		.amdhsa_user_sgpr_private_segment_size 0
		.amdhsa_wavefront_size32 1
		.amdhsa_uses_dynamic_stack 0
		.amdhsa_enable_private_segment 0
		.amdhsa_system_sgpr_workgroup_id_x 1
		.amdhsa_system_sgpr_workgroup_id_y 0
		.amdhsa_system_sgpr_workgroup_id_z 0
		.amdhsa_system_sgpr_workgroup_info 0
		.amdhsa_system_vgpr_workitem_id 0
		.amdhsa_next_free_vgpr 1
		.amdhsa_next_free_sgpr 1
		.amdhsa_named_barrier_count 0
		.amdhsa_reserve_vcc 0
		.amdhsa_float_round_mode_32 0
		.amdhsa_float_round_mode_16_64 0
		.amdhsa_float_denorm_mode_32 3
		.amdhsa_float_denorm_mode_16_64 3
		.amdhsa_fp16_overflow 0
		.amdhsa_memory_ordered 1
		.amdhsa_forward_progress 1
		.amdhsa_inst_pref_size 0
		.amdhsa_round_robin_scheduling 0
		.amdhsa_exception_fp_ieee_invalid_op 0
		.amdhsa_exception_fp_denorm_src 0
		.amdhsa_exception_fp_ieee_div_zero 0
		.amdhsa_exception_fp_ieee_overflow 0
		.amdhsa_exception_fp_ieee_underflow 0
		.amdhsa_exception_fp_ieee_inexact 0
		.amdhsa_exception_int_div_zero 0
	.end_amdhsa_kernel
	.section	.text._ZN7rocprim17ROCPRIM_400000_NS6detail17trampoline_kernelINS0_14default_configENS1_27scan_by_key_config_selectorIxxEEZZNS1_16scan_by_key_implILNS1_25lookback_scan_determinismE0ELb0ES3_N6thrust23THRUST_200600_302600_NS6detail15normal_iteratorINS9_10device_ptrIxEEEESE_SE_xNS9_10multipliesIxEENS9_8equal_toIxEExEE10hipError_tPvRmT2_T3_T4_T5_mT6_T7_P12ihipStream_tbENKUlT_T0_E_clISt17integral_constantIbLb1EESZ_EEDaSU_SV_EUlSU_E_NS1_11comp_targetILNS1_3genE9ELNS1_11target_archE1100ELNS1_3gpuE3ELNS1_3repE0EEENS1_30default_config_static_selectorELNS0_4arch9wavefront6targetE0EEEvT1_,"axG",@progbits,_ZN7rocprim17ROCPRIM_400000_NS6detail17trampoline_kernelINS0_14default_configENS1_27scan_by_key_config_selectorIxxEEZZNS1_16scan_by_key_implILNS1_25lookback_scan_determinismE0ELb0ES3_N6thrust23THRUST_200600_302600_NS6detail15normal_iteratorINS9_10device_ptrIxEEEESE_SE_xNS9_10multipliesIxEENS9_8equal_toIxEExEE10hipError_tPvRmT2_T3_T4_T5_mT6_T7_P12ihipStream_tbENKUlT_T0_E_clISt17integral_constantIbLb1EESZ_EEDaSU_SV_EUlSU_E_NS1_11comp_targetILNS1_3genE9ELNS1_11target_archE1100ELNS1_3gpuE3ELNS1_3repE0EEENS1_30default_config_static_selectorELNS0_4arch9wavefront6targetE0EEEvT1_,comdat
.Lfunc_end63:
	.size	_ZN7rocprim17ROCPRIM_400000_NS6detail17trampoline_kernelINS0_14default_configENS1_27scan_by_key_config_selectorIxxEEZZNS1_16scan_by_key_implILNS1_25lookback_scan_determinismE0ELb0ES3_N6thrust23THRUST_200600_302600_NS6detail15normal_iteratorINS9_10device_ptrIxEEEESE_SE_xNS9_10multipliesIxEENS9_8equal_toIxEExEE10hipError_tPvRmT2_T3_T4_T5_mT6_T7_P12ihipStream_tbENKUlT_T0_E_clISt17integral_constantIbLb1EESZ_EEDaSU_SV_EUlSU_E_NS1_11comp_targetILNS1_3genE9ELNS1_11target_archE1100ELNS1_3gpuE3ELNS1_3repE0EEENS1_30default_config_static_selectorELNS0_4arch9wavefront6targetE0EEEvT1_, .Lfunc_end63-_ZN7rocprim17ROCPRIM_400000_NS6detail17trampoline_kernelINS0_14default_configENS1_27scan_by_key_config_selectorIxxEEZZNS1_16scan_by_key_implILNS1_25lookback_scan_determinismE0ELb0ES3_N6thrust23THRUST_200600_302600_NS6detail15normal_iteratorINS9_10device_ptrIxEEEESE_SE_xNS9_10multipliesIxEENS9_8equal_toIxEExEE10hipError_tPvRmT2_T3_T4_T5_mT6_T7_P12ihipStream_tbENKUlT_T0_E_clISt17integral_constantIbLb1EESZ_EEDaSU_SV_EUlSU_E_NS1_11comp_targetILNS1_3genE9ELNS1_11target_archE1100ELNS1_3gpuE3ELNS1_3repE0EEENS1_30default_config_static_selectorELNS0_4arch9wavefront6targetE0EEEvT1_
                                        ; -- End function
	.set _ZN7rocprim17ROCPRIM_400000_NS6detail17trampoline_kernelINS0_14default_configENS1_27scan_by_key_config_selectorIxxEEZZNS1_16scan_by_key_implILNS1_25lookback_scan_determinismE0ELb0ES3_N6thrust23THRUST_200600_302600_NS6detail15normal_iteratorINS9_10device_ptrIxEEEESE_SE_xNS9_10multipliesIxEENS9_8equal_toIxEExEE10hipError_tPvRmT2_T3_T4_T5_mT6_T7_P12ihipStream_tbENKUlT_T0_E_clISt17integral_constantIbLb1EESZ_EEDaSU_SV_EUlSU_E_NS1_11comp_targetILNS1_3genE9ELNS1_11target_archE1100ELNS1_3gpuE3ELNS1_3repE0EEENS1_30default_config_static_selectorELNS0_4arch9wavefront6targetE0EEEvT1_.num_vgpr, 0
	.set _ZN7rocprim17ROCPRIM_400000_NS6detail17trampoline_kernelINS0_14default_configENS1_27scan_by_key_config_selectorIxxEEZZNS1_16scan_by_key_implILNS1_25lookback_scan_determinismE0ELb0ES3_N6thrust23THRUST_200600_302600_NS6detail15normal_iteratorINS9_10device_ptrIxEEEESE_SE_xNS9_10multipliesIxEENS9_8equal_toIxEExEE10hipError_tPvRmT2_T3_T4_T5_mT6_T7_P12ihipStream_tbENKUlT_T0_E_clISt17integral_constantIbLb1EESZ_EEDaSU_SV_EUlSU_E_NS1_11comp_targetILNS1_3genE9ELNS1_11target_archE1100ELNS1_3gpuE3ELNS1_3repE0EEENS1_30default_config_static_selectorELNS0_4arch9wavefront6targetE0EEEvT1_.num_agpr, 0
	.set _ZN7rocprim17ROCPRIM_400000_NS6detail17trampoline_kernelINS0_14default_configENS1_27scan_by_key_config_selectorIxxEEZZNS1_16scan_by_key_implILNS1_25lookback_scan_determinismE0ELb0ES3_N6thrust23THRUST_200600_302600_NS6detail15normal_iteratorINS9_10device_ptrIxEEEESE_SE_xNS9_10multipliesIxEENS9_8equal_toIxEExEE10hipError_tPvRmT2_T3_T4_T5_mT6_T7_P12ihipStream_tbENKUlT_T0_E_clISt17integral_constantIbLb1EESZ_EEDaSU_SV_EUlSU_E_NS1_11comp_targetILNS1_3genE9ELNS1_11target_archE1100ELNS1_3gpuE3ELNS1_3repE0EEENS1_30default_config_static_selectorELNS0_4arch9wavefront6targetE0EEEvT1_.numbered_sgpr, 0
	.set _ZN7rocprim17ROCPRIM_400000_NS6detail17trampoline_kernelINS0_14default_configENS1_27scan_by_key_config_selectorIxxEEZZNS1_16scan_by_key_implILNS1_25lookback_scan_determinismE0ELb0ES3_N6thrust23THRUST_200600_302600_NS6detail15normal_iteratorINS9_10device_ptrIxEEEESE_SE_xNS9_10multipliesIxEENS9_8equal_toIxEExEE10hipError_tPvRmT2_T3_T4_T5_mT6_T7_P12ihipStream_tbENKUlT_T0_E_clISt17integral_constantIbLb1EESZ_EEDaSU_SV_EUlSU_E_NS1_11comp_targetILNS1_3genE9ELNS1_11target_archE1100ELNS1_3gpuE3ELNS1_3repE0EEENS1_30default_config_static_selectorELNS0_4arch9wavefront6targetE0EEEvT1_.num_named_barrier, 0
	.set _ZN7rocprim17ROCPRIM_400000_NS6detail17trampoline_kernelINS0_14default_configENS1_27scan_by_key_config_selectorIxxEEZZNS1_16scan_by_key_implILNS1_25lookback_scan_determinismE0ELb0ES3_N6thrust23THRUST_200600_302600_NS6detail15normal_iteratorINS9_10device_ptrIxEEEESE_SE_xNS9_10multipliesIxEENS9_8equal_toIxEExEE10hipError_tPvRmT2_T3_T4_T5_mT6_T7_P12ihipStream_tbENKUlT_T0_E_clISt17integral_constantIbLb1EESZ_EEDaSU_SV_EUlSU_E_NS1_11comp_targetILNS1_3genE9ELNS1_11target_archE1100ELNS1_3gpuE3ELNS1_3repE0EEENS1_30default_config_static_selectorELNS0_4arch9wavefront6targetE0EEEvT1_.private_seg_size, 0
	.set _ZN7rocprim17ROCPRIM_400000_NS6detail17trampoline_kernelINS0_14default_configENS1_27scan_by_key_config_selectorIxxEEZZNS1_16scan_by_key_implILNS1_25lookback_scan_determinismE0ELb0ES3_N6thrust23THRUST_200600_302600_NS6detail15normal_iteratorINS9_10device_ptrIxEEEESE_SE_xNS9_10multipliesIxEENS9_8equal_toIxEExEE10hipError_tPvRmT2_T3_T4_T5_mT6_T7_P12ihipStream_tbENKUlT_T0_E_clISt17integral_constantIbLb1EESZ_EEDaSU_SV_EUlSU_E_NS1_11comp_targetILNS1_3genE9ELNS1_11target_archE1100ELNS1_3gpuE3ELNS1_3repE0EEENS1_30default_config_static_selectorELNS0_4arch9wavefront6targetE0EEEvT1_.uses_vcc, 0
	.set _ZN7rocprim17ROCPRIM_400000_NS6detail17trampoline_kernelINS0_14default_configENS1_27scan_by_key_config_selectorIxxEEZZNS1_16scan_by_key_implILNS1_25lookback_scan_determinismE0ELb0ES3_N6thrust23THRUST_200600_302600_NS6detail15normal_iteratorINS9_10device_ptrIxEEEESE_SE_xNS9_10multipliesIxEENS9_8equal_toIxEExEE10hipError_tPvRmT2_T3_T4_T5_mT6_T7_P12ihipStream_tbENKUlT_T0_E_clISt17integral_constantIbLb1EESZ_EEDaSU_SV_EUlSU_E_NS1_11comp_targetILNS1_3genE9ELNS1_11target_archE1100ELNS1_3gpuE3ELNS1_3repE0EEENS1_30default_config_static_selectorELNS0_4arch9wavefront6targetE0EEEvT1_.uses_flat_scratch, 0
	.set _ZN7rocprim17ROCPRIM_400000_NS6detail17trampoline_kernelINS0_14default_configENS1_27scan_by_key_config_selectorIxxEEZZNS1_16scan_by_key_implILNS1_25lookback_scan_determinismE0ELb0ES3_N6thrust23THRUST_200600_302600_NS6detail15normal_iteratorINS9_10device_ptrIxEEEESE_SE_xNS9_10multipliesIxEENS9_8equal_toIxEExEE10hipError_tPvRmT2_T3_T4_T5_mT6_T7_P12ihipStream_tbENKUlT_T0_E_clISt17integral_constantIbLb1EESZ_EEDaSU_SV_EUlSU_E_NS1_11comp_targetILNS1_3genE9ELNS1_11target_archE1100ELNS1_3gpuE3ELNS1_3repE0EEENS1_30default_config_static_selectorELNS0_4arch9wavefront6targetE0EEEvT1_.has_dyn_sized_stack, 0
	.set _ZN7rocprim17ROCPRIM_400000_NS6detail17trampoline_kernelINS0_14default_configENS1_27scan_by_key_config_selectorIxxEEZZNS1_16scan_by_key_implILNS1_25lookback_scan_determinismE0ELb0ES3_N6thrust23THRUST_200600_302600_NS6detail15normal_iteratorINS9_10device_ptrIxEEEESE_SE_xNS9_10multipliesIxEENS9_8equal_toIxEExEE10hipError_tPvRmT2_T3_T4_T5_mT6_T7_P12ihipStream_tbENKUlT_T0_E_clISt17integral_constantIbLb1EESZ_EEDaSU_SV_EUlSU_E_NS1_11comp_targetILNS1_3genE9ELNS1_11target_archE1100ELNS1_3gpuE3ELNS1_3repE0EEENS1_30default_config_static_selectorELNS0_4arch9wavefront6targetE0EEEvT1_.has_recursion, 0
	.set _ZN7rocprim17ROCPRIM_400000_NS6detail17trampoline_kernelINS0_14default_configENS1_27scan_by_key_config_selectorIxxEEZZNS1_16scan_by_key_implILNS1_25lookback_scan_determinismE0ELb0ES3_N6thrust23THRUST_200600_302600_NS6detail15normal_iteratorINS9_10device_ptrIxEEEESE_SE_xNS9_10multipliesIxEENS9_8equal_toIxEExEE10hipError_tPvRmT2_T3_T4_T5_mT6_T7_P12ihipStream_tbENKUlT_T0_E_clISt17integral_constantIbLb1EESZ_EEDaSU_SV_EUlSU_E_NS1_11comp_targetILNS1_3genE9ELNS1_11target_archE1100ELNS1_3gpuE3ELNS1_3repE0EEENS1_30default_config_static_selectorELNS0_4arch9wavefront6targetE0EEEvT1_.has_indirect_call, 0
	.section	.AMDGPU.csdata,"",@progbits
; Kernel info:
; codeLenInByte = 0
; TotalNumSgprs: 0
; NumVgprs: 0
; ScratchSize: 0
; MemoryBound: 0
; FloatMode: 240
; IeeeMode: 1
; LDSByteSize: 0 bytes/workgroup (compile time only)
; SGPRBlocks: 0
; VGPRBlocks: 0
; NumSGPRsForWavesPerEU: 1
; NumVGPRsForWavesPerEU: 1
; NamedBarCnt: 0
; Occupancy: 16
; WaveLimiterHint : 0
; COMPUTE_PGM_RSRC2:SCRATCH_EN: 0
; COMPUTE_PGM_RSRC2:USER_SGPR: 2
; COMPUTE_PGM_RSRC2:TRAP_HANDLER: 0
; COMPUTE_PGM_RSRC2:TGID_X_EN: 1
; COMPUTE_PGM_RSRC2:TGID_Y_EN: 0
; COMPUTE_PGM_RSRC2:TGID_Z_EN: 0
; COMPUTE_PGM_RSRC2:TIDIG_COMP_CNT: 0
	.section	.text._ZN7rocprim17ROCPRIM_400000_NS6detail17trampoline_kernelINS0_14default_configENS1_27scan_by_key_config_selectorIxxEEZZNS1_16scan_by_key_implILNS1_25lookback_scan_determinismE0ELb0ES3_N6thrust23THRUST_200600_302600_NS6detail15normal_iteratorINS9_10device_ptrIxEEEESE_SE_xNS9_10multipliesIxEENS9_8equal_toIxEExEE10hipError_tPvRmT2_T3_T4_T5_mT6_T7_P12ihipStream_tbENKUlT_T0_E_clISt17integral_constantIbLb1EESZ_EEDaSU_SV_EUlSU_E_NS1_11comp_targetILNS1_3genE8ELNS1_11target_archE1030ELNS1_3gpuE2ELNS1_3repE0EEENS1_30default_config_static_selectorELNS0_4arch9wavefront6targetE0EEEvT1_,"axG",@progbits,_ZN7rocprim17ROCPRIM_400000_NS6detail17trampoline_kernelINS0_14default_configENS1_27scan_by_key_config_selectorIxxEEZZNS1_16scan_by_key_implILNS1_25lookback_scan_determinismE0ELb0ES3_N6thrust23THRUST_200600_302600_NS6detail15normal_iteratorINS9_10device_ptrIxEEEESE_SE_xNS9_10multipliesIxEENS9_8equal_toIxEExEE10hipError_tPvRmT2_T3_T4_T5_mT6_T7_P12ihipStream_tbENKUlT_T0_E_clISt17integral_constantIbLb1EESZ_EEDaSU_SV_EUlSU_E_NS1_11comp_targetILNS1_3genE8ELNS1_11target_archE1030ELNS1_3gpuE2ELNS1_3repE0EEENS1_30default_config_static_selectorELNS0_4arch9wavefront6targetE0EEEvT1_,comdat
	.protected	_ZN7rocprim17ROCPRIM_400000_NS6detail17trampoline_kernelINS0_14default_configENS1_27scan_by_key_config_selectorIxxEEZZNS1_16scan_by_key_implILNS1_25lookback_scan_determinismE0ELb0ES3_N6thrust23THRUST_200600_302600_NS6detail15normal_iteratorINS9_10device_ptrIxEEEESE_SE_xNS9_10multipliesIxEENS9_8equal_toIxEExEE10hipError_tPvRmT2_T3_T4_T5_mT6_T7_P12ihipStream_tbENKUlT_T0_E_clISt17integral_constantIbLb1EESZ_EEDaSU_SV_EUlSU_E_NS1_11comp_targetILNS1_3genE8ELNS1_11target_archE1030ELNS1_3gpuE2ELNS1_3repE0EEENS1_30default_config_static_selectorELNS0_4arch9wavefront6targetE0EEEvT1_ ; -- Begin function _ZN7rocprim17ROCPRIM_400000_NS6detail17trampoline_kernelINS0_14default_configENS1_27scan_by_key_config_selectorIxxEEZZNS1_16scan_by_key_implILNS1_25lookback_scan_determinismE0ELb0ES3_N6thrust23THRUST_200600_302600_NS6detail15normal_iteratorINS9_10device_ptrIxEEEESE_SE_xNS9_10multipliesIxEENS9_8equal_toIxEExEE10hipError_tPvRmT2_T3_T4_T5_mT6_T7_P12ihipStream_tbENKUlT_T0_E_clISt17integral_constantIbLb1EESZ_EEDaSU_SV_EUlSU_E_NS1_11comp_targetILNS1_3genE8ELNS1_11target_archE1030ELNS1_3gpuE2ELNS1_3repE0EEENS1_30default_config_static_selectorELNS0_4arch9wavefront6targetE0EEEvT1_
	.globl	_ZN7rocprim17ROCPRIM_400000_NS6detail17trampoline_kernelINS0_14default_configENS1_27scan_by_key_config_selectorIxxEEZZNS1_16scan_by_key_implILNS1_25lookback_scan_determinismE0ELb0ES3_N6thrust23THRUST_200600_302600_NS6detail15normal_iteratorINS9_10device_ptrIxEEEESE_SE_xNS9_10multipliesIxEENS9_8equal_toIxEExEE10hipError_tPvRmT2_T3_T4_T5_mT6_T7_P12ihipStream_tbENKUlT_T0_E_clISt17integral_constantIbLb1EESZ_EEDaSU_SV_EUlSU_E_NS1_11comp_targetILNS1_3genE8ELNS1_11target_archE1030ELNS1_3gpuE2ELNS1_3repE0EEENS1_30default_config_static_selectorELNS0_4arch9wavefront6targetE0EEEvT1_
	.p2align	8
	.type	_ZN7rocprim17ROCPRIM_400000_NS6detail17trampoline_kernelINS0_14default_configENS1_27scan_by_key_config_selectorIxxEEZZNS1_16scan_by_key_implILNS1_25lookback_scan_determinismE0ELb0ES3_N6thrust23THRUST_200600_302600_NS6detail15normal_iteratorINS9_10device_ptrIxEEEESE_SE_xNS9_10multipliesIxEENS9_8equal_toIxEExEE10hipError_tPvRmT2_T3_T4_T5_mT6_T7_P12ihipStream_tbENKUlT_T0_E_clISt17integral_constantIbLb1EESZ_EEDaSU_SV_EUlSU_E_NS1_11comp_targetILNS1_3genE8ELNS1_11target_archE1030ELNS1_3gpuE2ELNS1_3repE0EEENS1_30default_config_static_selectorELNS0_4arch9wavefront6targetE0EEEvT1_,@function
_ZN7rocprim17ROCPRIM_400000_NS6detail17trampoline_kernelINS0_14default_configENS1_27scan_by_key_config_selectorIxxEEZZNS1_16scan_by_key_implILNS1_25lookback_scan_determinismE0ELb0ES3_N6thrust23THRUST_200600_302600_NS6detail15normal_iteratorINS9_10device_ptrIxEEEESE_SE_xNS9_10multipliesIxEENS9_8equal_toIxEExEE10hipError_tPvRmT2_T3_T4_T5_mT6_T7_P12ihipStream_tbENKUlT_T0_E_clISt17integral_constantIbLb1EESZ_EEDaSU_SV_EUlSU_E_NS1_11comp_targetILNS1_3genE8ELNS1_11target_archE1030ELNS1_3gpuE2ELNS1_3repE0EEENS1_30default_config_static_selectorELNS0_4arch9wavefront6targetE0EEEvT1_: ; @_ZN7rocprim17ROCPRIM_400000_NS6detail17trampoline_kernelINS0_14default_configENS1_27scan_by_key_config_selectorIxxEEZZNS1_16scan_by_key_implILNS1_25lookback_scan_determinismE0ELb0ES3_N6thrust23THRUST_200600_302600_NS6detail15normal_iteratorINS9_10device_ptrIxEEEESE_SE_xNS9_10multipliesIxEENS9_8equal_toIxEExEE10hipError_tPvRmT2_T3_T4_T5_mT6_T7_P12ihipStream_tbENKUlT_T0_E_clISt17integral_constantIbLb1EESZ_EEDaSU_SV_EUlSU_E_NS1_11comp_targetILNS1_3genE8ELNS1_11target_archE1030ELNS1_3gpuE2ELNS1_3repE0EEENS1_30default_config_static_selectorELNS0_4arch9wavefront6targetE0EEEvT1_
; %bb.0:
	.section	.rodata,"a",@progbits
	.p2align	6, 0x0
	.amdhsa_kernel _ZN7rocprim17ROCPRIM_400000_NS6detail17trampoline_kernelINS0_14default_configENS1_27scan_by_key_config_selectorIxxEEZZNS1_16scan_by_key_implILNS1_25lookback_scan_determinismE0ELb0ES3_N6thrust23THRUST_200600_302600_NS6detail15normal_iteratorINS9_10device_ptrIxEEEESE_SE_xNS9_10multipliesIxEENS9_8equal_toIxEExEE10hipError_tPvRmT2_T3_T4_T5_mT6_T7_P12ihipStream_tbENKUlT_T0_E_clISt17integral_constantIbLb1EESZ_EEDaSU_SV_EUlSU_E_NS1_11comp_targetILNS1_3genE8ELNS1_11target_archE1030ELNS1_3gpuE2ELNS1_3repE0EEENS1_30default_config_static_selectorELNS0_4arch9wavefront6targetE0EEEvT1_
		.amdhsa_group_segment_fixed_size 0
		.amdhsa_private_segment_fixed_size 0
		.amdhsa_kernarg_size 136
		.amdhsa_user_sgpr_count 2
		.amdhsa_user_sgpr_dispatch_ptr 0
		.amdhsa_user_sgpr_queue_ptr 0
		.amdhsa_user_sgpr_kernarg_segment_ptr 1
		.amdhsa_user_sgpr_dispatch_id 0
		.amdhsa_user_sgpr_kernarg_preload_length 0
		.amdhsa_user_sgpr_kernarg_preload_offset 0
		.amdhsa_user_sgpr_private_segment_size 0
		.amdhsa_wavefront_size32 1
		.amdhsa_uses_dynamic_stack 0
		.amdhsa_enable_private_segment 0
		.amdhsa_system_sgpr_workgroup_id_x 1
		.amdhsa_system_sgpr_workgroup_id_y 0
		.amdhsa_system_sgpr_workgroup_id_z 0
		.amdhsa_system_sgpr_workgroup_info 0
		.amdhsa_system_vgpr_workitem_id 0
		.amdhsa_next_free_vgpr 1
		.amdhsa_next_free_sgpr 1
		.amdhsa_named_barrier_count 0
		.amdhsa_reserve_vcc 0
		.amdhsa_float_round_mode_32 0
		.amdhsa_float_round_mode_16_64 0
		.amdhsa_float_denorm_mode_32 3
		.amdhsa_float_denorm_mode_16_64 3
		.amdhsa_fp16_overflow 0
		.amdhsa_memory_ordered 1
		.amdhsa_forward_progress 1
		.amdhsa_inst_pref_size 0
		.amdhsa_round_robin_scheduling 0
		.amdhsa_exception_fp_ieee_invalid_op 0
		.amdhsa_exception_fp_denorm_src 0
		.amdhsa_exception_fp_ieee_div_zero 0
		.amdhsa_exception_fp_ieee_overflow 0
		.amdhsa_exception_fp_ieee_underflow 0
		.amdhsa_exception_fp_ieee_inexact 0
		.amdhsa_exception_int_div_zero 0
	.end_amdhsa_kernel
	.section	.text._ZN7rocprim17ROCPRIM_400000_NS6detail17trampoline_kernelINS0_14default_configENS1_27scan_by_key_config_selectorIxxEEZZNS1_16scan_by_key_implILNS1_25lookback_scan_determinismE0ELb0ES3_N6thrust23THRUST_200600_302600_NS6detail15normal_iteratorINS9_10device_ptrIxEEEESE_SE_xNS9_10multipliesIxEENS9_8equal_toIxEExEE10hipError_tPvRmT2_T3_T4_T5_mT6_T7_P12ihipStream_tbENKUlT_T0_E_clISt17integral_constantIbLb1EESZ_EEDaSU_SV_EUlSU_E_NS1_11comp_targetILNS1_3genE8ELNS1_11target_archE1030ELNS1_3gpuE2ELNS1_3repE0EEENS1_30default_config_static_selectorELNS0_4arch9wavefront6targetE0EEEvT1_,"axG",@progbits,_ZN7rocprim17ROCPRIM_400000_NS6detail17trampoline_kernelINS0_14default_configENS1_27scan_by_key_config_selectorIxxEEZZNS1_16scan_by_key_implILNS1_25lookback_scan_determinismE0ELb0ES3_N6thrust23THRUST_200600_302600_NS6detail15normal_iteratorINS9_10device_ptrIxEEEESE_SE_xNS9_10multipliesIxEENS9_8equal_toIxEExEE10hipError_tPvRmT2_T3_T4_T5_mT6_T7_P12ihipStream_tbENKUlT_T0_E_clISt17integral_constantIbLb1EESZ_EEDaSU_SV_EUlSU_E_NS1_11comp_targetILNS1_3genE8ELNS1_11target_archE1030ELNS1_3gpuE2ELNS1_3repE0EEENS1_30default_config_static_selectorELNS0_4arch9wavefront6targetE0EEEvT1_,comdat
.Lfunc_end64:
	.size	_ZN7rocprim17ROCPRIM_400000_NS6detail17trampoline_kernelINS0_14default_configENS1_27scan_by_key_config_selectorIxxEEZZNS1_16scan_by_key_implILNS1_25lookback_scan_determinismE0ELb0ES3_N6thrust23THRUST_200600_302600_NS6detail15normal_iteratorINS9_10device_ptrIxEEEESE_SE_xNS9_10multipliesIxEENS9_8equal_toIxEExEE10hipError_tPvRmT2_T3_T4_T5_mT6_T7_P12ihipStream_tbENKUlT_T0_E_clISt17integral_constantIbLb1EESZ_EEDaSU_SV_EUlSU_E_NS1_11comp_targetILNS1_3genE8ELNS1_11target_archE1030ELNS1_3gpuE2ELNS1_3repE0EEENS1_30default_config_static_selectorELNS0_4arch9wavefront6targetE0EEEvT1_, .Lfunc_end64-_ZN7rocprim17ROCPRIM_400000_NS6detail17trampoline_kernelINS0_14default_configENS1_27scan_by_key_config_selectorIxxEEZZNS1_16scan_by_key_implILNS1_25lookback_scan_determinismE0ELb0ES3_N6thrust23THRUST_200600_302600_NS6detail15normal_iteratorINS9_10device_ptrIxEEEESE_SE_xNS9_10multipliesIxEENS9_8equal_toIxEExEE10hipError_tPvRmT2_T3_T4_T5_mT6_T7_P12ihipStream_tbENKUlT_T0_E_clISt17integral_constantIbLb1EESZ_EEDaSU_SV_EUlSU_E_NS1_11comp_targetILNS1_3genE8ELNS1_11target_archE1030ELNS1_3gpuE2ELNS1_3repE0EEENS1_30default_config_static_selectorELNS0_4arch9wavefront6targetE0EEEvT1_
                                        ; -- End function
	.set _ZN7rocprim17ROCPRIM_400000_NS6detail17trampoline_kernelINS0_14default_configENS1_27scan_by_key_config_selectorIxxEEZZNS1_16scan_by_key_implILNS1_25lookback_scan_determinismE0ELb0ES3_N6thrust23THRUST_200600_302600_NS6detail15normal_iteratorINS9_10device_ptrIxEEEESE_SE_xNS9_10multipliesIxEENS9_8equal_toIxEExEE10hipError_tPvRmT2_T3_T4_T5_mT6_T7_P12ihipStream_tbENKUlT_T0_E_clISt17integral_constantIbLb1EESZ_EEDaSU_SV_EUlSU_E_NS1_11comp_targetILNS1_3genE8ELNS1_11target_archE1030ELNS1_3gpuE2ELNS1_3repE0EEENS1_30default_config_static_selectorELNS0_4arch9wavefront6targetE0EEEvT1_.num_vgpr, 0
	.set _ZN7rocprim17ROCPRIM_400000_NS6detail17trampoline_kernelINS0_14default_configENS1_27scan_by_key_config_selectorIxxEEZZNS1_16scan_by_key_implILNS1_25lookback_scan_determinismE0ELb0ES3_N6thrust23THRUST_200600_302600_NS6detail15normal_iteratorINS9_10device_ptrIxEEEESE_SE_xNS9_10multipliesIxEENS9_8equal_toIxEExEE10hipError_tPvRmT2_T3_T4_T5_mT6_T7_P12ihipStream_tbENKUlT_T0_E_clISt17integral_constantIbLb1EESZ_EEDaSU_SV_EUlSU_E_NS1_11comp_targetILNS1_3genE8ELNS1_11target_archE1030ELNS1_3gpuE2ELNS1_3repE0EEENS1_30default_config_static_selectorELNS0_4arch9wavefront6targetE0EEEvT1_.num_agpr, 0
	.set _ZN7rocprim17ROCPRIM_400000_NS6detail17trampoline_kernelINS0_14default_configENS1_27scan_by_key_config_selectorIxxEEZZNS1_16scan_by_key_implILNS1_25lookback_scan_determinismE0ELb0ES3_N6thrust23THRUST_200600_302600_NS6detail15normal_iteratorINS9_10device_ptrIxEEEESE_SE_xNS9_10multipliesIxEENS9_8equal_toIxEExEE10hipError_tPvRmT2_T3_T4_T5_mT6_T7_P12ihipStream_tbENKUlT_T0_E_clISt17integral_constantIbLb1EESZ_EEDaSU_SV_EUlSU_E_NS1_11comp_targetILNS1_3genE8ELNS1_11target_archE1030ELNS1_3gpuE2ELNS1_3repE0EEENS1_30default_config_static_selectorELNS0_4arch9wavefront6targetE0EEEvT1_.numbered_sgpr, 0
	.set _ZN7rocprim17ROCPRIM_400000_NS6detail17trampoline_kernelINS0_14default_configENS1_27scan_by_key_config_selectorIxxEEZZNS1_16scan_by_key_implILNS1_25lookback_scan_determinismE0ELb0ES3_N6thrust23THRUST_200600_302600_NS6detail15normal_iteratorINS9_10device_ptrIxEEEESE_SE_xNS9_10multipliesIxEENS9_8equal_toIxEExEE10hipError_tPvRmT2_T3_T4_T5_mT6_T7_P12ihipStream_tbENKUlT_T0_E_clISt17integral_constantIbLb1EESZ_EEDaSU_SV_EUlSU_E_NS1_11comp_targetILNS1_3genE8ELNS1_11target_archE1030ELNS1_3gpuE2ELNS1_3repE0EEENS1_30default_config_static_selectorELNS0_4arch9wavefront6targetE0EEEvT1_.num_named_barrier, 0
	.set _ZN7rocprim17ROCPRIM_400000_NS6detail17trampoline_kernelINS0_14default_configENS1_27scan_by_key_config_selectorIxxEEZZNS1_16scan_by_key_implILNS1_25lookback_scan_determinismE0ELb0ES3_N6thrust23THRUST_200600_302600_NS6detail15normal_iteratorINS9_10device_ptrIxEEEESE_SE_xNS9_10multipliesIxEENS9_8equal_toIxEExEE10hipError_tPvRmT2_T3_T4_T5_mT6_T7_P12ihipStream_tbENKUlT_T0_E_clISt17integral_constantIbLb1EESZ_EEDaSU_SV_EUlSU_E_NS1_11comp_targetILNS1_3genE8ELNS1_11target_archE1030ELNS1_3gpuE2ELNS1_3repE0EEENS1_30default_config_static_selectorELNS0_4arch9wavefront6targetE0EEEvT1_.private_seg_size, 0
	.set _ZN7rocprim17ROCPRIM_400000_NS6detail17trampoline_kernelINS0_14default_configENS1_27scan_by_key_config_selectorIxxEEZZNS1_16scan_by_key_implILNS1_25lookback_scan_determinismE0ELb0ES3_N6thrust23THRUST_200600_302600_NS6detail15normal_iteratorINS9_10device_ptrIxEEEESE_SE_xNS9_10multipliesIxEENS9_8equal_toIxEExEE10hipError_tPvRmT2_T3_T4_T5_mT6_T7_P12ihipStream_tbENKUlT_T0_E_clISt17integral_constantIbLb1EESZ_EEDaSU_SV_EUlSU_E_NS1_11comp_targetILNS1_3genE8ELNS1_11target_archE1030ELNS1_3gpuE2ELNS1_3repE0EEENS1_30default_config_static_selectorELNS0_4arch9wavefront6targetE0EEEvT1_.uses_vcc, 0
	.set _ZN7rocprim17ROCPRIM_400000_NS6detail17trampoline_kernelINS0_14default_configENS1_27scan_by_key_config_selectorIxxEEZZNS1_16scan_by_key_implILNS1_25lookback_scan_determinismE0ELb0ES3_N6thrust23THRUST_200600_302600_NS6detail15normal_iteratorINS9_10device_ptrIxEEEESE_SE_xNS9_10multipliesIxEENS9_8equal_toIxEExEE10hipError_tPvRmT2_T3_T4_T5_mT6_T7_P12ihipStream_tbENKUlT_T0_E_clISt17integral_constantIbLb1EESZ_EEDaSU_SV_EUlSU_E_NS1_11comp_targetILNS1_3genE8ELNS1_11target_archE1030ELNS1_3gpuE2ELNS1_3repE0EEENS1_30default_config_static_selectorELNS0_4arch9wavefront6targetE0EEEvT1_.uses_flat_scratch, 0
	.set _ZN7rocprim17ROCPRIM_400000_NS6detail17trampoline_kernelINS0_14default_configENS1_27scan_by_key_config_selectorIxxEEZZNS1_16scan_by_key_implILNS1_25lookback_scan_determinismE0ELb0ES3_N6thrust23THRUST_200600_302600_NS6detail15normal_iteratorINS9_10device_ptrIxEEEESE_SE_xNS9_10multipliesIxEENS9_8equal_toIxEExEE10hipError_tPvRmT2_T3_T4_T5_mT6_T7_P12ihipStream_tbENKUlT_T0_E_clISt17integral_constantIbLb1EESZ_EEDaSU_SV_EUlSU_E_NS1_11comp_targetILNS1_3genE8ELNS1_11target_archE1030ELNS1_3gpuE2ELNS1_3repE0EEENS1_30default_config_static_selectorELNS0_4arch9wavefront6targetE0EEEvT1_.has_dyn_sized_stack, 0
	.set _ZN7rocprim17ROCPRIM_400000_NS6detail17trampoline_kernelINS0_14default_configENS1_27scan_by_key_config_selectorIxxEEZZNS1_16scan_by_key_implILNS1_25lookback_scan_determinismE0ELb0ES3_N6thrust23THRUST_200600_302600_NS6detail15normal_iteratorINS9_10device_ptrIxEEEESE_SE_xNS9_10multipliesIxEENS9_8equal_toIxEExEE10hipError_tPvRmT2_T3_T4_T5_mT6_T7_P12ihipStream_tbENKUlT_T0_E_clISt17integral_constantIbLb1EESZ_EEDaSU_SV_EUlSU_E_NS1_11comp_targetILNS1_3genE8ELNS1_11target_archE1030ELNS1_3gpuE2ELNS1_3repE0EEENS1_30default_config_static_selectorELNS0_4arch9wavefront6targetE0EEEvT1_.has_recursion, 0
	.set _ZN7rocprim17ROCPRIM_400000_NS6detail17trampoline_kernelINS0_14default_configENS1_27scan_by_key_config_selectorIxxEEZZNS1_16scan_by_key_implILNS1_25lookback_scan_determinismE0ELb0ES3_N6thrust23THRUST_200600_302600_NS6detail15normal_iteratorINS9_10device_ptrIxEEEESE_SE_xNS9_10multipliesIxEENS9_8equal_toIxEExEE10hipError_tPvRmT2_T3_T4_T5_mT6_T7_P12ihipStream_tbENKUlT_T0_E_clISt17integral_constantIbLb1EESZ_EEDaSU_SV_EUlSU_E_NS1_11comp_targetILNS1_3genE8ELNS1_11target_archE1030ELNS1_3gpuE2ELNS1_3repE0EEENS1_30default_config_static_selectorELNS0_4arch9wavefront6targetE0EEEvT1_.has_indirect_call, 0
	.section	.AMDGPU.csdata,"",@progbits
; Kernel info:
; codeLenInByte = 0
; TotalNumSgprs: 0
; NumVgprs: 0
; ScratchSize: 0
; MemoryBound: 0
; FloatMode: 240
; IeeeMode: 1
; LDSByteSize: 0 bytes/workgroup (compile time only)
; SGPRBlocks: 0
; VGPRBlocks: 0
; NumSGPRsForWavesPerEU: 1
; NumVGPRsForWavesPerEU: 1
; NamedBarCnt: 0
; Occupancy: 16
; WaveLimiterHint : 0
; COMPUTE_PGM_RSRC2:SCRATCH_EN: 0
; COMPUTE_PGM_RSRC2:USER_SGPR: 2
; COMPUTE_PGM_RSRC2:TRAP_HANDLER: 0
; COMPUTE_PGM_RSRC2:TGID_X_EN: 1
; COMPUTE_PGM_RSRC2:TGID_Y_EN: 0
; COMPUTE_PGM_RSRC2:TGID_Z_EN: 0
; COMPUTE_PGM_RSRC2:TIDIG_COMP_CNT: 0
	.section	.text._ZN7rocprim17ROCPRIM_400000_NS6detail17trampoline_kernelINS0_14default_configENS1_27scan_by_key_config_selectorIxxEEZZNS1_16scan_by_key_implILNS1_25lookback_scan_determinismE0ELb0ES3_N6thrust23THRUST_200600_302600_NS6detail15normal_iteratorINS9_10device_ptrIxEEEESE_SE_xNS9_10multipliesIxEENS9_8equal_toIxEExEE10hipError_tPvRmT2_T3_T4_T5_mT6_T7_P12ihipStream_tbENKUlT_T0_E_clISt17integral_constantIbLb1EESY_IbLb0EEEEDaSU_SV_EUlSU_E_NS1_11comp_targetILNS1_3genE0ELNS1_11target_archE4294967295ELNS1_3gpuE0ELNS1_3repE0EEENS1_30default_config_static_selectorELNS0_4arch9wavefront6targetE0EEEvT1_,"axG",@progbits,_ZN7rocprim17ROCPRIM_400000_NS6detail17trampoline_kernelINS0_14default_configENS1_27scan_by_key_config_selectorIxxEEZZNS1_16scan_by_key_implILNS1_25lookback_scan_determinismE0ELb0ES3_N6thrust23THRUST_200600_302600_NS6detail15normal_iteratorINS9_10device_ptrIxEEEESE_SE_xNS9_10multipliesIxEENS9_8equal_toIxEExEE10hipError_tPvRmT2_T3_T4_T5_mT6_T7_P12ihipStream_tbENKUlT_T0_E_clISt17integral_constantIbLb1EESY_IbLb0EEEEDaSU_SV_EUlSU_E_NS1_11comp_targetILNS1_3genE0ELNS1_11target_archE4294967295ELNS1_3gpuE0ELNS1_3repE0EEENS1_30default_config_static_selectorELNS0_4arch9wavefront6targetE0EEEvT1_,comdat
	.protected	_ZN7rocprim17ROCPRIM_400000_NS6detail17trampoline_kernelINS0_14default_configENS1_27scan_by_key_config_selectorIxxEEZZNS1_16scan_by_key_implILNS1_25lookback_scan_determinismE0ELb0ES3_N6thrust23THRUST_200600_302600_NS6detail15normal_iteratorINS9_10device_ptrIxEEEESE_SE_xNS9_10multipliesIxEENS9_8equal_toIxEExEE10hipError_tPvRmT2_T3_T4_T5_mT6_T7_P12ihipStream_tbENKUlT_T0_E_clISt17integral_constantIbLb1EESY_IbLb0EEEEDaSU_SV_EUlSU_E_NS1_11comp_targetILNS1_3genE0ELNS1_11target_archE4294967295ELNS1_3gpuE0ELNS1_3repE0EEENS1_30default_config_static_selectorELNS0_4arch9wavefront6targetE0EEEvT1_ ; -- Begin function _ZN7rocprim17ROCPRIM_400000_NS6detail17trampoline_kernelINS0_14default_configENS1_27scan_by_key_config_selectorIxxEEZZNS1_16scan_by_key_implILNS1_25lookback_scan_determinismE0ELb0ES3_N6thrust23THRUST_200600_302600_NS6detail15normal_iteratorINS9_10device_ptrIxEEEESE_SE_xNS9_10multipliesIxEENS9_8equal_toIxEExEE10hipError_tPvRmT2_T3_T4_T5_mT6_T7_P12ihipStream_tbENKUlT_T0_E_clISt17integral_constantIbLb1EESY_IbLb0EEEEDaSU_SV_EUlSU_E_NS1_11comp_targetILNS1_3genE0ELNS1_11target_archE4294967295ELNS1_3gpuE0ELNS1_3repE0EEENS1_30default_config_static_selectorELNS0_4arch9wavefront6targetE0EEEvT1_
	.globl	_ZN7rocprim17ROCPRIM_400000_NS6detail17trampoline_kernelINS0_14default_configENS1_27scan_by_key_config_selectorIxxEEZZNS1_16scan_by_key_implILNS1_25lookback_scan_determinismE0ELb0ES3_N6thrust23THRUST_200600_302600_NS6detail15normal_iteratorINS9_10device_ptrIxEEEESE_SE_xNS9_10multipliesIxEENS9_8equal_toIxEExEE10hipError_tPvRmT2_T3_T4_T5_mT6_T7_P12ihipStream_tbENKUlT_T0_E_clISt17integral_constantIbLb1EESY_IbLb0EEEEDaSU_SV_EUlSU_E_NS1_11comp_targetILNS1_3genE0ELNS1_11target_archE4294967295ELNS1_3gpuE0ELNS1_3repE0EEENS1_30default_config_static_selectorELNS0_4arch9wavefront6targetE0EEEvT1_
	.p2align	8
	.type	_ZN7rocprim17ROCPRIM_400000_NS6detail17trampoline_kernelINS0_14default_configENS1_27scan_by_key_config_selectorIxxEEZZNS1_16scan_by_key_implILNS1_25lookback_scan_determinismE0ELb0ES3_N6thrust23THRUST_200600_302600_NS6detail15normal_iteratorINS9_10device_ptrIxEEEESE_SE_xNS9_10multipliesIxEENS9_8equal_toIxEExEE10hipError_tPvRmT2_T3_T4_T5_mT6_T7_P12ihipStream_tbENKUlT_T0_E_clISt17integral_constantIbLb1EESY_IbLb0EEEEDaSU_SV_EUlSU_E_NS1_11comp_targetILNS1_3genE0ELNS1_11target_archE4294967295ELNS1_3gpuE0ELNS1_3repE0EEENS1_30default_config_static_selectorELNS0_4arch9wavefront6targetE0EEEvT1_,@function
_ZN7rocprim17ROCPRIM_400000_NS6detail17trampoline_kernelINS0_14default_configENS1_27scan_by_key_config_selectorIxxEEZZNS1_16scan_by_key_implILNS1_25lookback_scan_determinismE0ELb0ES3_N6thrust23THRUST_200600_302600_NS6detail15normal_iteratorINS9_10device_ptrIxEEEESE_SE_xNS9_10multipliesIxEENS9_8equal_toIxEExEE10hipError_tPvRmT2_T3_T4_T5_mT6_T7_P12ihipStream_tbENKUlT_T0_E_clISt17integral_constantIbLb1EESY_IbLb0EEEEDaSU_SV_EUlSU_E_NS1_11comp_targetILNS1_3genE0ELNS1_11target_archE4294967295ELNS1_3gpuE0ELNS1_3repE0EEENS1_30default_config_static_selectorELNS0_4arch9wavefront6targetE0EEEvT1_: ; @_ZN7rocprim17ROCPRIM_400000_NS6detail17trampoline_kernelINS0_14default_configENS1_27scan_by_key_config_selectorIxxEEZZNS1_16scan_by_key_implILNS1_25lookback_scan_determinismE0ELb0ES3_N6thrust23THRUST_200600_302600_NS6detail15normal_iteratorINS9_10device_ptrIxEEEESE_SE_xNS9_10multipliesIxEENS9_8equal_toIxEExEE10hipError_tPvRmT2_T3_T4_T5_mT6_T7_P12ihipStream_tbENKUlT_T0_E_clISt17integral_constantIbLb1EESY_IbLb0EEEEDaSU_SV_EUlSU_E_NS1_11comp_targetILNS1_3genE0ELNS1_11target_archE4294967295ELNS1_3gpuE0ELNS1_3repE0EEENS1_30default_config_static_selectorELNS0_4arch9wavefront6targetE0EEEvT1_
; %bb.0:
	s_endpgm
	.section	.rodata,"a",@progbits
	.p2align	6, 0x0
	.amdhsa_kernel _ZN7rocprim17ROCPRIM_400000_NS6detail17trampoline_kernelINS0_14default_configENS1_27scan_by_key_config_selectorIxxEEZZNS1_16scan_by_key_implILNS1_25lookback_scan_determinismE0ELb0ES3_N6thrust23THRUST_200600_302600_NS6detail15normal_iteratorINS9_10device_ptrIxEEEESE_SE_xNS9_10multipliesIxEENS9_8equal_toIxEExEE10hipError_tPvRmT2_T3_T4_T5_mT6_T7_P12ihipStream_tbENKUlT_T0_E_clISt17integral_constantIbLb1EESY_IbLb0EEEEDaSU_SV_EUlSU_E_NS1_11comp_targetILNS1_3genE0ELNS1_11target_archE4294967295ELNS1_3gpuE0ELNS1_3repE0EEENS1_30default_config_static_selectorELNS0_4arch9wavefront6targetE0EEEvT1_
		.amdhsa_group_segment_fixed_size 0
		.amdhsa_private_segment_fixed_size 0
		.amdhsa_kernarg_size 136
		.amdhsa_user_sgpr_count 2
		.amdhsa_user_sgpr_dispatch_ptr 0
		.amdhsa_user_sgpr_queue_ptr 0
		.amdhsa_user_sgpr_kernarg_segment_ptr 1
		.amdhsa_user_sgpr_dispatch_id 0
		.amdhsa_user_sgpr_kernarg_preload_length 0
		.amdhsa_user_sgpr_kernarg_preload_offset 0
		.amdhsa_user_sgpr_private_segment_size 0
		.amdhsa_wavefront_size32 1
		.amdhsa_uses_dynamic_stack 0
		.amdhsa_enable_private_segment 0
		.amdhsa_system_sgpr_workgroup_id_x 1
		.amdhsa_system_sgpr_workgroup_id_y 0
		.amdhsa_system_sgpr_workgroup_id_z 0
		.amdhsa_system_sgpr_workgroup_info 0
		.amdhsa_system_vgpr_workitem_id 0
		.amdhsa_next_free_vgpr 1
		.amdhsa_next_free_sgpr 1
		.amdhsa_named_barrier_count 0
		.amdhsa_reserve_vcc 0
		.amdhsa_float_round_mode_32 0
		.amdhsa_float_round_mode_16_64 0
		.amdhsa_float_denorm_mode_32 3
		.amdhsa_float_denorm_mode_16_64 3
		.amdhsa_fp16_overflow 0
		.amdhsa_memory_ordered 1
		.amdhsa_forward_progress 1
		.amdhsa_inst_pref_size 1
		.amdhsa_round_robin_scheduling 0
		.amdhsa_exception_fp_ieee_invalid_op 0
		.amdhsa_exception_fp_denorm_src 0
		.amdhsa_exception_fp_ieee_div_zero 0
		.amdhsa_exception_fp_ieee_overflow 0
		.amdhsa_exception_fp_ieee_underflow 0
		.amdhsa_exception_fp_ieee_inexact 0
		.amdhsa_exception_int_div_zero 0
	.end_amdhsa_kernel
	.section	.text._ZN7rocprim17ROCPRIM_400000_NS6detail17trampoline_kernelINS0_14default_configENS1_27scan_by_key_config_selectorIxxEEZZNS1_16scan_by_key_implILNS1_25lookback_scan_determinismE0ELb0ES3_N6thrust23THRUST_200600_302600_NS6detail15normal_iteratorINS9_10device_ptrIxEEEESE_SE_xNS9_10multipliesIxEENS9_8equal_toIxEExEE10hipError_tPvRmT2_T3_T4_T5_mT6_T7_P12ihipStream_tbENKUlT_T0_E_clISt17integral_constantIbLb1EESY_IbLb0EEEEDaSU_SV_EUlSU_E_NS1_11comp_targetILNS1_3genE0ELNS1_11target_archE4294967295ELNS1_3gpuE0ELNS1_3repE0EEENS1_30default_config_static_selectorELNS0_4arch9wavefront6targetE0EEEvT1_,"axG",@progbits,_ZN7rocprim17ROCPRIM_400000_NS6detail17trampoline_kernelINS0_14default_configENS1_27scan_by_key_config_selectorIxxEEZZNS1_16scan_by_key_implILNS1_25lookback_scan_determinismE0ELb0ES3_N6thrust23THRUST_200600_302600_NS6detail15normal_iteratorINS9_10device_ptrIxEEEESE_SE_xNS9_10multipliesIxEENS9_8equal_toIxEExEE10hipError_tPvRmT2_T3_T4_T5_mT6_T7_P12ihipStream_tbENKUlT_T0_E_clISt17integral_constantIbLb1EESY_IbLb0EEEEDaSU_SV_EUlSU_E_NS1_11comp_targetILNS1_3genE0ELNS1_11target_archE4294967295ELNS1_3gpuE0ELNS1_3repE0EEENS1_30default_config_static_selectorELNS0_4arch9wavefront6targetE0EEEvT1_,comdat
.Lfunc_end65:
	.size	_ZN7rocprim17ROCPRIM_400000_NS6detail17trampoline_kernelINS0_14default_configENS1_27scan_by_key_config_selectorIxxEEZZNS1_16scan_by_key_implILNS1_25lookback_scan_determinismE0ELb0ES3_N6thrust23THRUST_200600_302600_NS6detail15normal_iteratorINS9_10device_ptrIxEEEESE_SE_xNS9_10multipliesIxEENS9_8equal_toIxEExEE10hipError_tPvRmT2_T3_T4_T5_mT6_T7_P12ihipStream_tbENKUlT_T0_E_clISt17integral_constantIbLb1EESY_IbLb0EEEEDaSU_SV_EUlSU_E_NS1_11comp_targetILNS1_3genE0ELNS1_11target_archE4294967295ELNS1_3gpuE0ELNS1_3repE0EEENS1_30default_config_static_selectorELNS0_4arch9wavefront6targetE0EEEvT1_, .Lfunc_end65-_ZN7rocprim17ROCPRIM_400000_NS6detail17trampoline_kernelINS0_14default_configENS1_27scan_by_key_config_selectorIxxEEZZNS1_16scan_by_key_implILNS1_25lookback_scan_determinismE0ELb0ES3_N6thrust23THRUST_200600_302600_NS6detail15normal_iteratorINS9_10device_ptrIxEEEESE_SE_xNS9_10multipliesIxEENS9_8equal_toIxEExEE10hipError_tPvRmT2_T3_T4_T5_mT6_T7_P12ihipStream_tbENKUlT_T0_E_clISt17integral_constantIbLb1EESY_IbLb0EEEEDaSU_SV_EUlSU_E_NS1_11comp_targetILNS1_3genE0ELNS1_11target_archE4294967295ELNS1_3gpuE0ELNS1_3repE0EEENS1_30default_config_static_selectorELNS0_4arch9wavefront6targetE0EEEvT1_
                                        ; -- End function
	.set _ZN7rocprim17ROCPRIM_400000_NS6detail17trampoline_kernelINS0_14default_configENS1_27scan_by_key_config_selectorIxxEEZZNS1_16scan_by_key_implILNS1_25lookback_scan_determinismE0ELb0ES3_N6thrust23THRUST_200600_302600_NS6detail15normal_iteratorINS9_10device_ptrIxEEEESE_SE_xNS9_10multipliesIxEENS9_8equal_toIxEExEE10hipError_tPvRmT2_T3_T4_T5_mT6_T7_P12ihipStream_tbENKUlT_T0_E_clISt17integral_constantIbLb1EESY_IbLb0EEEEDaSU_SV_EUlSU_E_NS1_11comp_targetILNS1_3genE0ELNS1_11target_archE4294967295ELNS1_3gpuE0ELNS1_3repE0EEENS1_30default_config_static_selectorELNS0_4arch9wavefront6targetE0EEEvT1_.num_vgpr, 0
	.set _ZN7rocprim17ROCPRIM_400000_NS6detail17trampoline_kernelINS0_14default_configENS1_27scan_by_key_config_selectorIxxEEZZNS1_16scan_by_key_implILNS1_25lookback_scan_determinismE0ELb0ES3_N6thrust23THRUST_200600_302600_NS6detail15normal_iteratorINS9_10device_ptrIxEEEESE_SE_xNS9_10multipliesIxEENS9_8equal_toIxEExEE10hipError_tPvRmT2_T3_T4_T5_mT6_T7_P12ihipStream_tbENKUlT_T0_E_clISt17integral_constantIbLb1EESY_IbLb0EEEEDaSU_SV_EUlSU_E_NS1_11comp_targetILNS1_3genE0ELNS1_11target_archE4294967295ELNS1_3gpuE0ELNS1_3repE0EEENS1_30default_config_static_selectorELNS0_4arch9wavefront6targetE0EEEvT1_.num_agpr, 0
	.set _ZN7rocprim17ROCPRIM_400000_NS6detail17trampoline_kernelINS0_14default_configENS1_27scan_by_key_config_selectorIxxEEZZNS1_16scan_by_key_implILNS1_25lookback_scan_determinismE0ELb0ES3_N6thrust23THRUST_200600_302600_NS6detail15normal_iteratorINS9_10device_ptrIxEEEESE_SE_xNS9_10multipliesIxEENS9_8equal_toIxEExEE10hipError_tPvRmT2_T3_T4_T5_mT6_T7_P12ihipStream_tbENKUlT_T0_E_clISt17integral_constantIbLb1EESY_IbLb0EEEEDaSU_SV_EUlSU_E_NS1_11comp_targetILNS1_3genE0ELNS1_11target_archE4294967295ELNS1_3gpuE0ELNS1_3repE0EEENS1_30default_config_static_selectorELNS0_4arch9wavefront6targetE0EEEvT1_.numbered_sgpr, 0
	.set _ZN7rocprim17ROCPRIM_400000_NS6detail17trampoline_kernelINS0_14default_configENS1_27scan_by_key_config_selectorIxxEEZZNS1_16scan_by_key_implILNS1_25lookback_scan_determinismE0ELb0ES3_N6thrust23THRUST_200600_302600_NS6detail15normal_iteratorINS9_10device_ptrIxEEEESE_SE_xNS9_10multipliesIxEENS9_8equal_toIxEExEE10hipError_tPvRmT2_T3_T4_T5_mT6_T7_P12ihipStream_tbENKUlT_T0_E_clISt17integral_constantIbLb1EESY_IbLb0EEEEDaSU_SV_EUlSU_E_NS1_11comp_targetILNS1_3genE0ELNS1_11target_archE4294967295ELNS1_3gpuE0ELNS1_3repE0EEENS1_30default_config_static_selectorELNS0_4arch9wavefront6targetE0EEEvT1_.num_named_barrier, 0
	.set _ZN7rocprim17ROCPRIM_400000_NS6detail17trampoline_kernelINS0_14default_configENS1_27scan_by_key_config_selectorIxxEEZZNS1_16scan_by_key_implILNS1_25lookback_scan_determinismE0ELb0ES3_N6thrust23THRUST_200600_302600_NS6detail15normal_iteratorINS9_10device_ptrIxEEEESE_SE_xNS9_10multipliesIxEENS9_8equal_toIxEExEE10hipError_tPvRmT2_T3_T4_T5_mT6_T7_P12ihipStream_tbENKUlT_T0_E_clISt17integral_constantIbLb1EESY_IbLb0EEEEDaSU_SV_EUlSU_E_NS1_11comp_targetILNS1_3genE0ELNS1_11target_archE4294967295ELNS1_3gpuE0ELNS1_3repE0EEENS1_30default_config_static_selectorELNS0_4arch9wavefront6targetE0EEEvT1_.private_seg_size, 0
	.set _ZN7rocprim17ROCPRIM_400000_NS6detail17trampoline_kernelINS0_14default_configENS1_27scan_by_key_config_selectorIxxEEZZNS1_16scan_by_key_implILNS1_25lookback_scan_determinismE0ELb0ES3_N6thrust23THRUST_200600_302600_NS6detail15normal_iteratorINS9_10device_ptrIxEEEESE_SE_xNS9_10multipliesIxEENS9_8equal_toIxEExEE10hipError_tPvRmT2_T3_T4_T5_mT6_T7_P12ihipStream_tbENKUlT_T0_E_clISt17integral_constantIbLb1EESY_IbLb0EEEEDaSU_SV_EUlSU_E_NS1_11comp_targetILNS1_3genE0ELNS1_11target_archE4294967295ELNS1_3gpuE0ELNS1_3repE0EEENS1_30default_config_static_selectorELNS0_4arch9wavefront6targetE0EEEvT1_.uses_vcc, 0
	.set _ZN7rocprim17ROCPRIM_400000_NS6detail17trampoline_kernelINS0_14default_configENS1_27scan_by_key_config_selectorIxxEEZZNS1_16scan_by_key_implILNS1_25lookback_scan_determinismE0ELb0ES3_N6thrust23THRUST_200600_302600_NS6detail15normal_iteratorINS9_10device_ptrIxEEEESE_SE_xNS9_10multipliesIxEENS9_8equal_toIxEExEE10hipError_tPvRmT2_T3_T4_T5_mT6_T7_P12ihipStream_tbENKUlT_T0_E_clISt17integral_constantIbLb1EESY_IbLb0EEEEDaSU_SV_EUlSU_E_NS1_11comp_targetILNS1_3genE0ELNS1_11target_archE4294967295ELNS1_3gpuE0ELNS1_3repE0EEENS1_30default_config_static_selectorELNS0_4arch9wavefront6targetE0EEEvT1_.uses_flat_scratch, 0
	.set _ZN7rocprim17ROCPRIM_400000_NS6detail17trampoline_kernelINS0_14default_configENS1_27scan_by_key_config_selectorIxxEEZZNS1_16scan_by_key_implILNS1_25lookback_scan_determinismE0ELb0ES3_N6thrust23THRUST_200600_302600_NS6detail15normal_iteratorINS9_10device_ptrIxEEEESE_SE_xNS9_10multipliesIxEENS9_8equal_toIxEExEE10hipError_tPvRmT2_T3_T4_T5_mT6_T7_P12ihipStream_tbENKUlT_T0_E_clISt17integral_constantIbLb1EESY_IbLb0EEEEDaSU_SV_EUlSU_E_NS1_11comp_targetILNS1_3genE0ELNS1_11target_archE4294967295ELNS1_3gpuE0ELNS1_3repE0EEENS1_30default_config_static_selectorELNS0_4arch9wavefront6targetE0EEEvT1_.has_dyn_sized_stack, 0
	.set _ZN7rocprim17ROCPRIM_400000_NS6detail17trampoline_kernelINS0_14default_configENS1_27scan_by_key_config_selectorIxxEEZZNS1_16scan_by_key_implILNS1_25lookback_scan_determinismE0ELb0ES3_N6thrust23THRUST_200600_302600_NS6detail15normal_iteratorINS9_10device_ptrIxEEEESE_SE_xNS9_10multipliesIxEENS9_8equal_toIxEExEE10hipError_tPvRmT2_T3_T4_T5_mT6_T7_P12ihipStream_tbENKUlT_T0_E_clISt17integral_constantIbLb1EESY_IbLb0EEEEDaSU_SV_EUlSU_E_NS1_11comp_targetILNS1_3genE0ELNS1_11target_archE4294967295ELNS1_3gpuE0ELNS1_3repE0EEENS1_30default_config_static_selectorELNS0_4arch9wavefront6targetE0EEEvT1_.has_recursion, 0
	.set _ZN7rocprim17ROCPRIM_400000_NS6detail17trampoline_kernelINS0_14default_configENS1_27scan_by_key_config_selectorIxxEEZZNS1_16scan_by_key_implILNS1_25lookback_scan_determinismE0ELb0ES3_N6thrust23THRUST_200600_302600_NS6detail15normal_iteratorINS9_10device_ptrIxEEEESE_SE_xNS9_10multipliesIxEENS9_8equal_toIxEExEE10hipError_tPvRmT2_T3_T4_T5_mT6_T7_P12ihipStream_tbENKUlT_T0_E_clISt17integral_constantIbLb1EESY_IbLb0EEEEDaSU_SV_EUlSU_E_NS1_11comp_targetILNS1_3genE0ELNS1_11target_archE4294967295ELNS1_3gpuE0ELNS1_3repE0EEENS1_30default_config_static_selectorELNS0_4arch9wavefront6targetE0EEEvT1_.has_indirect_call, 0
	.section	.AMDGPU.csdata,"",@progbits
; Kernel info:
; codeLenInByte = 4
; TotalNumSgprs: 0
; NumVgprs: 0
; ScratchSize: 0
; MemoryBound: 0
; FloatMode: 240
; IeeeMode: 1
; LDSByteSize: 0 bytes/workgroup (compile time only)
; SGPRBlocks: 0
; VGPRBlocks: 0
; NumSGPRsForWavesPerEU: 1
; NumVGPRsForWavesPerEU: 1
; NamedBarCnt: 0
; Occupancy: 16
; WaveLimiterHint : 0
; COMPUTE_PGM_RSRC2:SCRATCH_EN: 0
; COMPUTE_PGM_RSRC2:USER_SGPR: 2
; COMPUTE_PGM_RSRC2:TRAP_HANDLER: 0
; COMPUTE_PGM_RSRC2:TGID_X_EN: 1
; COMPUTE_PGM_RSRC2:TGID_Y_EN: 0
; COMPUTE_PGM_RSRC2:TGID_Z_EN: 0
; COMPUTE_PGM_RSRC2:TIDIG_COMP_CNT: 0
	.section	.text._ZN7rocprim17ROCPRIM_400000_NS6detail17trampoline_kernelINS0_14default_configENS1_27scan_by_key_config_selectorIxxEEZZNS1_16scan_by_key_implILNS1_25lookback_scan_determinismE0ELb0ES3_N6thrust23THRUST_200600_302600_NS6detail15normal_iteratorINS9_10device_ptrIxEEEESE_SE_xNS9_10multipliesIxEENS9_8equal_toIxEExEE10hipError_tPvRmT2_T3_T4_T5_mT6_T7_P12ihipStream_tbENKUlT_T0_E_clISt17integral_constantIbLb1EESY_IbLb0EEEEDaSU_SV_EUlSU_E_NS1_11comp_targetILNS1_3genE10ELNS1_11target_archE1201ELNS1_3gpuE5ELNS1_3repE0EEENS1_30default_config_static_selectorELNS0_4arch9wavefront6targetE0EEEvT1_,"axG",@progbits,_ZN7rocprim17ROCPRIM_400000_NS6detail17trampoline_kernelINS0_14default_configENS1_27scan_by_key_config_selectorIxxEEZZNS1_16scan_by_key_implILNS1_25lookback_scan_determinismE0ELb0ES3_N6thrust23THRUST_200600_302600_NS6detail15normal_iteratorINS9_10device_ptrIxEEEESE_SE_xNS9_10multipliesIxEENS9_8equal_toIxEExEE10hipError_tPvRmT2_T3_T4_T5_mT6_T7_P12ihipStream_tbENKUlT_T0_E_clISt17integral_constantIbLb1EESY_IbLb0EEEEDaSU_SV_EUlSU_E_NS1_11comp_targetILNS1_3genE10ELNS1_11target_archE1201ELNS1_3gpuE5ELNS1_3repE0EEENS1_30default_config_static_selectorELNS0_4arch9wavefront6targetE0EEEvT1_,comdat
	.protected	_ZN7rocprim17ROCPRIM_400000_NS6detail17trampoline_kernelINS0_14default_configENS1_27scan_by_key_config_selectorIxxEEZZNS1_16scan_by_key_implILNS1_25lookback_scan_determinismE0ELb0ES3_N6thrust23THRUST_200600_302600_NS6detail15normal_iteratorINS9_10device_ptrIxEEEESE_SE_xNS9_10multipliesIxEENS9_8equal_toIxEExEE10hipError_tPvRmT2_T3_T4_T5_mT6_T7_P12ihipStream_tbENKUlT_T0_E_clISt17integral_constantIbLb1EESY_IbLb0EEEEDaSU_SV_EUlSU_E_NS1_11comp_targetILNS1_3genE10ELNS1_11target_archE1201ELNS1_3gpuE5ELNS1_3repE0EEENS1_30default_config_static_selectorELNS0_4arch9wavefront6targetE0EEEvT1_ ; -- Begin function _ZN7rocprim17ROCPRIM_400000_NS6detail17trampoline_kernelINS0_14default_configENS1_27scan_by_key_config_selectorIxxEEZZNS1_16scan_by_key_implILNS1_25lookback_scan_determinismE0ELb0ES3_N6thrust23THRUST_200600_302600_NS6detail15normal_iteratorINS9_10device_ptrIxEEEESE_SE_xNS9_10multipliesIxEENS9_8equal_toIxEExEE10hipError_tPvRmT2_T3_T4_T5_mT6_T7_P12ihipStream_tbENKUlT_T0_E_clISt17integral_constantIbLb1EESY_IbLb0EEEEDaSU_SV_EUlSU_E_NS1_11comp_targetILNS1_3genE10ELNS1_11target_archE1201ELNS1_3gpuE5ELNS1_3repE0EEENS1_30default_config_static_selectorELNS0_4arch9wavefront6targetE0EEEvT1_
	.globl	_ZN7rocprim17ROCPRIM_400000_NS6detail17trampoline_kernelINS0_14default_configENS1_27scan_by_key_config_selectorIxxEEZZNS1_16scan_by_key_implILNS1_25lookback_scan_determinismE0ELb0ES3_N6thrust23THRUST_200600_302600_NS6detail15normal_iteratorINS9_10device_ptrIxEEEESE_SE_xNS9_10multipliesIxEENS9_8equal_toIxEExEE10hipError_tPvRmT2_T3_T4_T5_mT6_T7_P12ihipStream_tbENKUlT_T0_E_clISt17integral_constantIbLb1EESY_IbLb0EEEEDaSU_SV_EUlSU_E_NS1_11comp_targetILNS1_3genE10ELNS1_11target_archE1201ELNS1_3gpuE5ELNS1_3repE0EEENS1_30default_config_static_selectorELNS0_4arch9wavefront6targetE0EEEvT1_
	.p2align	8
	.type	_ZN7rocprim17ROCPRIM_400000_NS6detail17trampoline_kernelINS0_14default_configENS1_27scan_by_key_config_selectorIxxEEZZNS1_16scan_by_key_implILNS1_25lookback_scan_determinismE0ELb0ES3_N6thrust23THRUST_200600_302600_NS6detail15normal_iteratorINS9_10device_ptrIxEEEESE_SE_xNS9_10multipliesIxEENS9_8equal_toIxEExEE10hipError_tPvRmT2_T3_T4_T5_mT6_T7_P12ihipStream_tbENKUlT_T0_E_clISt17integral_constantIbLb1EESY_IbLb0EEEEDaSU_SV_EUlSU_E_NS1_11comp_targetILNS1_3genE10ELNS1_11target_archE1201ELNS1_3gpuE5ELNS1_3repE0EEENS1_30default_config_static_selectorELNS0_4arch9wavefront6targetE0EEEvT1_,@function
_ZN7rocprim17ROCPRIM_400000_NS6detail17trampoline_kernelINS0_14default_configENS1_27scan_by_key_config_selectorIxxEEZZNS1_16scan_by_key_implILNS1_25lookback_scan_determinismE0ELb0ES3_N6thrust23THRUST_200600_302600_NS6detail15normal_iteratorINS9_10device_ptrIxEEEESE_SE_xNS9_10multipliesIxEENS9_8equal_toIxEExEE10hipError_tPvRmT2_T3_T4_T5_mT6_T7_P12ihipStream_tbENKUlT_T0_E_clISt17integral_constantIbLb1EESY_IbLb0EEEEDaSU_SV_EUlSU_E_NS1_11comp_targetILNS1_3genE10ELNS1_11target_archE1201ELNS1_3gpuE5ELNS1_3repE0EEENS1_30default_config_static_selectorELNS0_4arch9wavefront6targetE0EEEvT1_: ; @_ZN7rocprim17ROCPRIM_400000_NS6detail17trampoline_kernelINS0_14default_configENS1_27scan_by_key_config_selectorIxxEEZZNS1_16scan_by_key_implILNS1_25lookback_scan_determinismE0ELb0ES3_N6thrust23THRUST_200600_302600_NS6detail15normal_iteratorINS9_10device_ptrIxEEEESE_SE_xNS9_10multipliesIxEENS9_8equal_toIxEExEE10hipError_tPvRmT2_T3_T4_T5_mT6_T7_P12ihipStream_tbENKUlT_T0_E_clISt17integral_constantIbLb1EESY_IbLb0EEEEDaSU_SV_EUlSU_E_NS1_11comp_targetILNS1_3genE10ELNS1_11target_archE1201ELNS1_3gpuE5ELNS1_3repE0EEENS1_30default_config_static_selectorELNS0_4arch9wavefront6targetE0EEEvT1_
; %bb.0:
	.section	.rodata,"a",@progbits
	.p2align	6, 0x0
	.amdhsa_kernel _ZN7rocprim17ROCPRIM_400000_NS6detail17trampoline_kernelINS0_14default_configENS1_27scan_by_key_config_selectorIxxEEZZNS1_16scan_by_key_implILNS1_25lookback_scan_determinismE0ELb0ES3_N6thrust23THRUST_200600_302600_NS6detail15normal_iteratorINS9_10device_ptrIxEEEESE_SE_xNS9_10multipliesIxEENS9_8equal_toIxEExEE10hipError_tPvRmT2_T3_T4_T5_mT6_T7_P12ihipStream_tbENKUlT_T0_E_clISt17integral_constantIbLb1EESY_IbLb0EEEEDaSU_SV_EUlSU_E_NS1_11comp_targetILNS1_3genE10ELNS1_11target_archE1201ELNS1_3gpuE5ELNS1_3repE0EEENS1_30default_config_static_selectorELNS0_4arch9wavefront6targetE0EEEvT1_
		.amdhsa_group_segment_fixed_size 0
		.amdhsa_private_segment_fixed_size 0
		.amdhsa_kernarg_size 136
		.amdhsa_user_sgpr_count 2
		.amdhsa_user_sgpr_dispatch_ptr 0
		.amdhsa_user_sgpr_queue_ptr 0
		.amdhsa_user_sgpr_kernarg_segment_ptr 1
		.amdhsa_user_sgpr_dispatch_id 0
		.amdhsa_user_sgpr_kernarg_preload_length 0
		.amdhsa_user_sgpr_kernarg_preload_offset 0
		.amdhsa_user_sgpr_private_segment_size 0
		.amdhsa_wavefront_size32 1
		.amdhsa_uses_dynamic_stack 0
		.amdhsa_enable_private_segment 0
		.amdhsa_system_sgpr_workgroup_id_x 1
		.amdhsa_system_sgpr_workgroup_id_y 0
		.amdhsa_system_sgpr_workgroup_id_z 0
		.amdhsa_system_sgpr_workgroup_info 0
		.amdhsa_system_vgpr_workitem_id 0
		.amdhsa_next_free_vgpr 1
		.amdhsa_next_free_sgpr 1
		.amdhsa_named_barrier_count 0
		.amdhsa_reserve_vcc 0
		.amdhsa_float_round_mode_32 0
		.amdhsa_float_round_mode_16_64 0
		.amdhsa_float_denorm_mode_32 3
		.amdhsa_float_denorm_mode_16_64 3
		.amdhsa_fp16_overflow 0
		.amdhsa_memory_ordered 1
		.amdhsa_forward_progress 1
		.amdhsa_inst_pref_size 0
		.amdhsa_round_robin_scheduling 0
		.amdhsa_exception_fp_ieee_invalid_op 0
		.amdhsa_exception_fp_denorm_src 0
		.amdhsa_exception_fp_ieee_div_zero 0
		.amdhsa_exception_fp_ieee_overflow 0
		.amdhsa_exception_fp_ieee_underflow 0
		.amdhsa_exception_fp_ieee_inexact 0
		.amdhsa_exception_int_div_zero 0
	.end_amdhsa_kernel
	.section	.text._ZN7rocprim17ROCPRIM_400000_NS6detail17trampoline_kernelINS0_14default_configENS1_27scan_by_key_config_selectorIxxEEZZNS1_16scan_by_key_implILNS1_25lookback_scan_determinismE0ELb0ES3_N6thrust23THRUST_200600_302600_NS6detail15normal_iteratorINS9_10device_ptrIxEEEESE_SE_xNS9_10multipliesIxEENS9_8equal_toIxEExEE10hipError_tPvRmT2_T3_T4_T5_mT6_T7_P12ihipStream_tbENKUlT_T0_E_clISt17integral_constantIbLb1EESY_IbLb0EEEEDaSU_SV_EUlSU_E_NS1_11comp_targetILNS1_3genE10ELNS1_11target_archE1201ELNS1_3gpuE5ELNS1_3repE0EEENS1_30default_config_static_selectorELNS0_4arch9wavefront6targetE0EEEvT1_,"axG",@progbits,_ZN7rocprim17ROCPRIM_400000_NS6detail17trampoline_kernelINS0_14default_configENS1_27scan_by_key_config_selectorIxxEEZZNS1_16scan_by_key_implILNS1_25lookback_scan_determinismE0ELb0ES3_N6thrust23THRUST_200600_302600_NS6detail15normal_iteratorINS9_10device_ptrIxEEEESE_SE_xNS9_10multipliesIxEENS9_8equal_toIxEExEE10hipError_tPvRmT2_T3_T4_T5_mT6_T7_P12ihipStream_tbENKUlT_T0_E_clISt17integral_constantIbLb1EESY_IbLb0EEEEDaSU_SV_EUlSU_E_NS1_11comp_targetILNS1_3genE10ELNS1_11target_archE1201ELNS1_3gpuE5ELNS1_3repE0EEENS1_30default_config_static_selectorELNS0_4arch9wavefront6targetE0EEEvT1_,comdat
.Lfunc_end66:
	.size	_ZN7rocprim17ROCPRIM_400000_NS6detail17trampoline_kernelINS0_14default_configENS1_27scan_by_key_config_selectorIxxEEZZNS1_16scan_by_key_implILNS1_25lookback_scan_determinismE0ELb0ES3_N6thrust23THRUST_200600_302600_NS6detail15normal_iteratorINS9_10device_ptrIxEEEESE_SE_xNS9_10multipliesIxEENS9_8equal_toIxEExEE10hipError_tPvRmT2_T3_T4_T5_mT6_T7_P12ihipStream_tbENKUlT_T0_E_clISt17integral_constantIbLb1EESY_IbLb0EEEEDaSU_SV_EUlSU_E_NS1_11comp_targetILNS1_3genE10ELNS1_11target_archE1201ELNS1_3gpuE5ELNS1_3repE0EEENS1_30default_config_static_selectorELNS0_4arch9wavefront6targetE0EEEvT1_, .Lfunc_end66-_ZN7rocprim17ROCPRIM_400000_NS6detail17trampoline_kernelINS0_14default_configENS1_27scan_by_key_config_selectorIxxEEZZNS1_16scan_by_key_implILNS1_25lookback_scan_determinismE0ELb0ES3_N6thrust23THRUST_200600_302600_NS6detail15normal_iteratorINS9_10device_ptrIxEEEESE_SE_xNS9_10multipliesIxEENS9_8equal_toIxEExEE10hipError_tPvRmT2_T3_T4_T5_mT6_T7_P12ihipStream_tbENKUlT_T0_E_clISt17integral_constantIbLb1EESY_IbLb0EEEEDaSU_SV_EUlSU_E_NS1_11comp_targetILNS1_3genE10ELNS1_11target_archE1201ELNS1_3gpuE5ELNS1_3repE0EEENS1_30default_config_static_selectorELNS0_4arch9wavefront6targetE0EEEvT1_
                                        ; -- End function
	.set _ZN7rocprim17ROCPRIM_400000_NS6detail17trampoline_kernelINS0_14default_configENS1_27scan_by_key_config_selectorIxxEEZZNS1_16scan_by_key_implILNS1_25lookback_scan_determinismE0ELb0ES3_N6thrust23THRUST_200600_302600_NS6detail15normal_iteratorINS9_10device_ptrIxEEEESE_SE_xNS9_10multipliesIxEENS9_8equal_toIxEExEE10hipError_tPvRmT2_T3_T4_T5_mT6_T7_P12ihipStream_tbENKUlT_T0_E_clISt17integral_constantIbLb1EESY_IbLb0EEEEDaSU_SV_EUlSU_E_NS1_11comp_targetILNS1_3genE10ELNS1_11target_archE1201ELNS1_3gpuE5ELNS1_3repE0EEENS1_30default_config_static_selectorELNS0_4arch9wavefront6targetE0EEEvT1_.num_vgpr, 0
	.set _ZN7rocprim17ROCPRIM_400000_NS6detail17trampoline_kernelINS0_14default_configENS1_27scan_by_key_config_selectorIxxEEZZNS1_16scan_by_key_implILNS1_25lookback_scan_determinismE0ELb0ES3_N6thrust23THRUST_200600_302600_NS6detail15normal_iteratorINS9_10device_ptrIxEEEESE_SE_xNS9_10multipliesIxEENS9_8equal_toIxEExEE10hipError_tPvRmT2_T3_T4_T5_mT6_T7_P12ihipStream_tbENKUlT_T0_E_clISt17integral_constantIbLb1EESY_IbLb0EEEEDaSU_SV_EUlSU_E_NS1_11comp_targetILNS1_3genE10ELNS1_11target_archE1201ELNS1_3gpuE5ELNS1_3repE0EEENS1_30default_config_static_selectorELNS0_4arch9wavefront6targetE0EEEvT1_.num_agpr, 0
	.set _ZN7rocprim17ROCPRIM_400000_NS6detail17trampoline_kernelINS0_14default_configENS1_27scan_by_key_config_selectorIxxEEZZNS1_16scan_by_key_implILNS1_25lookback_scan_determinismE0ELb0ES3_N6thrust23THRUST_200600_302600_NS6detail15normal_iteratorINS9_10device_ptrIxEEEESE_SE_xNS9_10multipliesIxEENS9_8equal_toIxEExEE10hipError_tPvRmT2_T3_T4_T5_mT6_T7_P12ihipStream_tbENKUlT_T0_E_clISt17integral_constantIbLb1EESY_IbLb0EEEEDaSU_SV_EUlSU_E_NS1_11comp_targetILNS1_3genE10ELNS1_11target_archE1201ELNS1_3gpuE5ELNS1_3repE0EEENS1_30default_config_static_selectorELNS0_4arch9wavefront6targetE0EEEvT1_.numbered_sgpr, 0
	.set _ZN7rocprim17ROCPRIM_400000_NS6detail17trampoline_kernelINS0_14default_configENS1_27scan_by_key_config_selectorIxxEEZZNS1_16scan_by_key_implILNS1_25lookback_scan_determinismE0ELb0ES3_N6thrust23THRUST_200600_302600_NS6detail15normal_iteratorINS9_10device_ptrIxEEEESE_SE_xNS9_10multipliesIxEENS9_8equal_toIxEExEE10hipError_tPvRmT2_T3_T4_T5_mT6_T7_P12ihipStream_tbENKUlT_T0_E_clISt17integral_constantIbLb1EESY_IbLb0EEEEDaSU_SV_EUlSU_E_NS1_11comp_targetILNS1_3genE10ELNS1_11target_archE1201ELNS1_3gpuE5ELNS1_3repE0EEENS1_30default_config_static_selectorELNS0_4arch9wavefront6targetE0EEEvT1_.num_named_barrier, 0
	.set _ZN7rocprim17ROCPRIM_400000_NS6detail17trampoline_kernelINS0_14default_configENS1_27scan_by_key_config_selectorIxxEEZZNS1_16scan_by_key_implILNS1_25lookback_scan_determinismE0ELb0ES3_N6thrust23THRUST_200600_302600_NS6detail15normal_iteratorINS9_10device_ptrIxEEEESE_SE_xNS9_10multipliesIxEENS9_8equal_toIxEExEE10hipError_tPvRmT2_T3_T4_T5_mT6_T7_P12ihipStream_tbENKUlT_T0_E_clISt17integral_constantIbLb1EESY_IbLb0EEEEDaSU_SV_EUlSU_E_NS1_11comp_targetILNS1_3genE10ELNS1_11target_archE1201ELNS1_3gpuE5ELNS1_3repE0EEENS1_30default_config_static_selectorELNS0_4arch9wavefront6targetE0EEEvT1_.private_seg_size, 0
	.set _ZN7rocprim17ROCPRIM_400000_NS6detail17trampoline_kernelINS0_14default_configENS1_27scan_by_key_config_selectorIxxEEZZNS1_16scan_by_key_implILNS1_25lookback_scan_determinismE0ELb0ES3_N6thrust23THRUST_200600_302600_NS6detail15normal_iteratorINS9_10device_ptrIxEEEESE_SE_xNS9_10multipliesIxEENS9_8equal_toIxEExEE10hipError_tPvRmT2_T3_T4_T5_mT6_T7_P12ihipStream_tbENKUlT_T0_E_clISt17integral_constantIbLb1EESY_IbLb0EEEEDaSU_SV_EUlSU_E_NS1_11comp_targetILNS1_3genE10ELNS1_11target_archE1201ELNS1_3gpuE5ELNS1_3repE0EEENS1_30default_config_static_selectorELNS0_4arch9wavefront6targetE0EEEvT1_.uses_vcc, 0
	.set _ZN7rocprim17ROCPRIM_400000_NS6detail17trampoline_kernelINS0_14default_configENS1_27scan_by_key_config_selectorIxxEEZZNS1_16scan_by_key_implILNS1_25lookback_scan_determinismE0ELb0ES3_N6thrust23THRUST_200600_302600_NS6detail15normal_iteratorINS9_10device_ptrIxEEEESE_SE_xNS9_10multipliesIxEENS9_8equal_toIxEExEE10hipError_tPvRmT2_T3_T4_T5_mT6_T7_P12ihipStream_tbENKUlT_T0_E_clISt17integral_constantIbLb1EESY_IbLb0EEEEDaSU_SV_EUlSU_E_NS1_11comp_targetILNS1_3genE10ELNS1_11target_archE1201ELNS1_3gpuE5ELNS1_3repE0EEENS1_30default_config_static_selectorELNS0_4arch9wavefront6targetE0EEEvT1_.uses_flat_scratch, 0
	.set _ZN7rocprim17ROCPRIM_400000_NS6detail17trampoline_kernelINS0_14default_configENS1_27scan_by_key_config_selectorIxxEEZZNS1_16scan_by_key_implILNS1_25lookback_scan_determinismE0ELb0ES3_N6thrust23THRUST_200600_302600_NS6detail15normal_iteratorINS9_10device_ptrIxEEEESE_SE_xNS9_10multipliesIxEENS9_8equal_toIxEExEE10hipError_tPvRmT2_T3_T4_T5_mT6_T7_P12ihipStream_tbENKUlT_T0_E_clISt17integral_constantIbLb1EESY_IbLb0EEEEDaSU_SV_EUlSU_E_NS1_11comp_targetILNS1_3genE10ELNS1_11target_archE1201ELNS1_3gpuE5ELNS1_3repE0EEENS1_30default_config_static_selectorELNS0_4arch9wavefront6targetE0EEEvT1_.has_dyn_sized_stack, 0
	.set _ZN7rocprim17ROCPRIM_400000_NS6detail17trampoline_kernelINS0_14default_configENS1_27scan_by_key_config_selectorIxxEEZZNS1_16scan_by_key_implILNS1_25lookback_scan_determinismE0ELb0ES3_N6thrust23THRUST_200600_302600_NS6detail15normal_iteratorINS9_10device_ptrIxEEEESE_SE_xNS9_10multipliesIxEENS9_8equal_toIxEExEE10hipError_tPvRmT2_T3_T4_T5_mT6_T7_P12ihipStream_tbENKUlT_T0_E_clISt17integral_constantIbLb1EESY_IbLb0EEEEDaSU_SV_EUlSU_E_NS1_11comp_targetILNS1_3genE10ELNS1_11target_archE1201ELNS1_3gpuE5ELNS1_3repE0EEENS1_30default_config_static_selectorELNS0_4arch9wavefront6targetE0EEEvT1_.has_recursion, 0
	.set _ZN7rocprim17ROCPRIM_400000_NS6detail17trampoline_kernelINS0_14default_configENS1_27scan_by_key_config_selectorIxxEEZZNS1_16scan_by_key_implILNS1_25lookback_scan_determinismE0ELb0ES3_N6thrust23THRUST_200600_302600_NS6detail15normal_iteratorINS9_10device_ptrIxEEEESE_SE_xNS9_10multipliesIxEENS9_8equal_toIxEExEE10hipError_tPvRmT2_T3_T4_T5_mT6_T7_P12ihipStream_tbENKUlT_T0_E_clISt17integral_constantIbLb1EESY_IbLb0EEEEDaSU_SV_EUlSU_E_NS1_11comp_targetILNS1_3genE10ELNS1_11target_archE1201ELNS1_3gpuE5ELNS1_3repE0EEENS1_30default_config_static_selectorELNS0_4arch9wavefront6targetE0EEEvT1_.has_indirect_call, 0
	.section	.AMDGPU.csdata,"",@progbits
; Kernel info:
; codeLenInByte = 0
; TotalNumSgprs: 0
; NumVgprs: 0
; ScratchSize: 0
; MemoryBound: 0
; FloatMode: 240
; IeeeMode: 1
; LDSByteSize: 0 bytes/workgroup (compile time only)
; SGPRBlocks: 0
; VGPRBlocks: 0
; NumSGPRsForWavesPerEU: 1
; NumVGPRsForWavesPerEU: 1
; NamedBarCnt: 0
; Occupancy: 16
; WaveLimiterHint : 0
; COMPUTE_PGM_RSRC2:SCRATCH_EN: 0
; COMPUTE_PGM_RSRC2:USER_SGPR: 2
; COMPUTE_PGM_RSRC2:TRAP_HANDLER: 0
; COMPUTE_PGM_RSRC2:TGID_X_EN: 1
; COMPUTE_PGM_RSRC2:TGID_Y_EN: 0
; COMPUTE_PGM_RSRC2:TGID_Z_EN: 0
; COMPUTE_PGM_RSRC2:TIDIG_COMP_CNT: 0
	.section	.text._ZN7rocprim17ROCPRIM_400000_NS6detail17trampoline_kernelINS0_14default_configENS1_27scan_by_key_config_selectorIxxEEZZNS1_16scan_by_key_implILNS1_25lookback_scan_determinismE0ELb0ES3_N6thrust23THRUST_200600_302600_NS6detail15normal_iteratorINS9_10device_ptrIxEEEESE_SE_xNS9_10multipliesIxEENS9_8equal_toIxEExEE10hipError_tPvRmT2_T3_T4_T5_mT6_T7_P12ihipStream_tbENKUlT_T0_E_clISt17integral_constantIbLb1EESY_IbLb0EEEEDaSU_SV_EUlSU_E_NS1_11comp_targetILNS1_3genE5ELNS1_11target_archE942ELNS1_3gpuE9ELNS1_3repE0EEENS1_30default_config_static_selectorELNS0_4arch9wavefront6targetE0EEEvT1_,"axG",@progbits,_ZN7rocprim17ROCPRIM_400000_NS6detail17trampoline_kernelINS0_14default_configENS1_27scan_by_key_config_selectorIxxEEZZNS1_16scan_by_key_implILNS1_25lookback_scan_determinismE0ELb0ES3_N6thrust23THRUST_200600_302600_NS6detail15normal_iteratorINS9_10device_ptrIxEEEESE_SE_xNS9_10multipliesIxEENS9_8equal_toIxEExEE10hipError_tPvRmT2_T3_T4_T5_mT6_T7_P12ihipStream_tbENKUlT_T0_E_clISt17integral_constantIbLb1EESY_IbLb0EEEEDaSU_SV_EUlSU_E_NS1_11comp_targetILNS1_3genE5ELNS1_11target_archE942ELNS1_3gpuE9ELNS1_3repE0EEENS1_30default_config_static_selectorELNS0_4arch9wavefront6targetE0EEEvT1_,comdat
	.protected	_ZN7rocprim17ROCPRIM_400000_NS6detail17trampoline_kernelINS0_14default_configENS1_27scan_by_key_config_selectorIxxEEZZNS1_16scan_by_key_implILNS1_25lookback_scan_determinismE0ELb0ES3_N6thrust23THRUST_200600_302600_NS6detail15normal_iteratorINS9_10device_ptrIxEEEESE_SE_xNS9_10multipliesIxEENS9_8equal_toIxEExEE10hipError_tPvRmT2_T3_T4_T5_mT6_T7_P12ihipStream_tbENKUlT_T0_E_clISt17integral_constantIbLb1EESY_IbLb0EEEEDaSU_SV_EUlSU_E_NS1_11comp_targetILNS1_3genE5ELNS1_11target_archE942ELNS1_3gpuE9ELNS1_3repE0EEENS1_30default_config_static_selectorELNS0_4arch9wavefront6targetE0EEEvT1_ ; -- Begin function _ZN7rocprim17ROCPRIM_400000_NS6detail17trampoline_kernelINS0_14default_configENS1_27scan_by_key_config_selectorIxxEEZZNS1_16scan_by_key_implILNS1_25lookback_scan_determinismE0ELb0ES3_N6thrust23THRUST_200600_302600_NS6detail15normal_iteratorINS9_10device_ptrIxEEEESE_SE_xNS9_10multipliesIxEENS9_8equal_toIxEExEE10hipError_tPvRmT2_T3_T4_T5_mT6_T7_P12ihipStream_tbENKUlT_T0_E_clISt17integral_constantIbLb1EESY_IbLb0EEEEDaSU_SV_EUlSU_E_NS1_11comp_targetILNS1_3genE5ELNS1_11target_archE942ELNS1_3gpuE9ELNS1_3repE0EEENS1_30default_config_static_selectorELNS0_4arch9wavefront6targetE0EEEvT1_
	.globl	_ZN7rocprim17ROCPRIM_400000_NS6detail17trampoline_kernelINS0_14default_configENS1_27scan_by_key_config_selectorIxxEEZZNS1_16scan_by_key_implILNS1_25lookback_scan_determinismE0ELb0ES3_N6thrust23THRUST_200600_302600_NS6detail15normal_iteratorINS9_10device_ptrIxEEEESE_SE_xNS9_10multipliesIxEENS9_8equal_toIxEExEE10hipError_tPvRmT2_T3_T4_T5_mT6_T7_P12ihipStream_tbENKUlT_T0_E_clISt17integral_constantIbLb1EESY_IbLb0EEEEDaSU_SV_EUlSU_E_NS1_11comp_targetILNS1_3genE5ELNS1_11target_archE942ELNS1_3gpuE9ELNS1_3repE0EEENS1_30default_config_static_selectorELNS0_4arch9wavefront6targetE0EEEvT1_
	.p2align	8
	.type	_ZN7rocprim17ROCPRIM_400000_NS6detail17trampoline_kernelINS0_14default_configENS1_27scan_by_key_config_selectorIxxEEZZNS1_16scan_by_key_implILNS1_25lookback_scan_determinismE0ELb0ES3_N6thrust23THRUST_200600_302600_NS6detail15normal_iteratorINS9_10device_ptrIxEEEESE_SE_xNS9_10multipliesIxEENS9_8equal_toIxEExEE10hipError_tPvRmT2_T3_T4_T5_mT6_T7_P12ihipStream_tbENKUlT_T0_E_clISt17integral_constantIbLb1EESY_IbLb0EEEEDaSU_SV_EUlSU_E_NS1_11comp_targetILNS1_3genE5ELNS1_11target_archE942ELNS1_3gpuE9ELNS1_3repE0EEENS1_30default_config_static_selectorELNS0_4arch9wavefront6targetE0EEEvT1_,@function
_ZN7rocprim17ROCPRIM_400000_NS6detail17trampoline_kernelINS0_14default_configENS1_27scan_by_key_config_selectorIxxEEZZNS1_16scan_by_key_implILNS1_25lookback_scan_determinismE0ELb0ES3_N6thrust23THRUST_200600_302600_NS6detail15normal_iteratorINS9_10device_ptrIxEEEESE_SE_xNS9_10multipliesIxEENS9_8equal_toIxEExEE10hipError_tPvRmT2_T3_T4_T5_mT6_T7_P12ihipStream_tbENKUlT_T0_E_clISt17integral_constantIbLb1EESY_IbLb0EEEEDaSU_SV_EUlSU_E_NS1_11comp_targetILNS1_3genE5ELNS1_11target_archE942ELNS1_3gpuE9ELNS1_3repE0EEENS1_30default_config_static_selectorELNS0_4arch9wavefront6targetE0EEEvT1_: ; @_ZN7rocprim17ROCPRIM_400000_NS6detail17trampoline_kernelINS0_14default_configENS1_27scan_by_key_config_selectorIxxEEZZNS1_16scan_by_key_implILNS1_25lookback_scan_determinismE0ELb0ES3_N6thrust23THRUST_200600_302600_NS6detail15normal_iteratorINS9_10device_ptrIxEEEESE_SE_xNS9_10multipliesIxEENS9_8equal_toIxEExEE10hipError_tPvRmT2_T3_T4_T5_mT6_T7_P12ihipStream_tbENKUlT_T0_E_clISt17integral_constantIbLb1EESY_IbLb0EEEEDaSU_SV_EUlSU_E_NS1_11comp_targetILNS1_3genE5ELNS1_11target_archE942ELNS1_3gpuE9ELNS1_3repE0EEENS1_30default_config_static_selectorELNS0_4arch9wavefront6targetE0EEEvT1_
; %bb.0:
	.section	.rodata,"a",@progbits
	.p2align	6, 0x0
	.amdhsa_kernel _ZN7rocprim17ROCPRIM_400000_NS6detail17trampoline_kernelINS0_14default_configENS1_27scan_by_key_config_selectorIxxEEZZNS1_16scan_by_key_implILNS1_25lookback_scan_determinismE0ELb0ES3_N6thrust23THRUST_200600_302600_NS6detail15normal_iteratorINS9_10device_ptrIxEEEESE_SE_xNS9_10multipliesIxEENS9_8equal_toIxEExEE10hipError_tPvRmT2_T3_T4_T5_mT6_T7_P12ihipStream_tbENKUlT_T0_E_clISt17integral_constantIbLb1EESY_IbLb0EEEEDaSU_SV_EUlSU_E_NS1_11comp_targetILNS1_3genE5ELNS1_11target_archE942ELNS1_3gpuE9ELNS1_3repE0EEENS1_30default_config_static_selectorELNS0_4arch9wavefront6targetE0EEEvT1_
		.amdhsa_group_segment_fixed_size 0
		.amdhsa_private_segment_fixed_size 0
		.amdhsa_kernarg_size 136
		.amdhsa_user_sgpr_count 2
		.amdhsa_user_sgpr_dispatch_ptr 0
		.amdhsa_user_sgpr_queue_ptr 0
		.amdhsa_user_sgpr_kernarg_segment_ptr 1
		.amdhsa_user_sgpr_dispatch_id 0
		.amdhsa_user_sgpr_kernarg_preload_length 0
		.amdhsa_user_sgpr_kernarg_preload_offset 0
		.amdhsa_user_sgpr_private_segment_size 0
		.amdhsa_wavefront_size32 1
		.amdhsa_uses_dynamic_stack 0
		.amdhsa_enable_private_segment 0
		.amdhsa_system_sgpr_workgroup_id_x 1
		.amdhsa_system_sgpr_workgroup_id_y 0
		.amdhsa_system_sgpr_workgroup_id_z 0
		.amdhsa_system_sgpr_workgroup_info 0
		.amdhsa_system_vgpr_workitem_id 0
		.amdhsa_next_free_vgpr 1
		.amdhsa_next_free_sgpr 1
		.amdhsa_named_barrier_count 0
		.amdhsa_reserve_vcc 0
		.amdhsa_float_round_mode_32 0
		.amdhsa_float_round_mode_16_64 0
		.amdhsa_float_denorm_mode_32 3
		.amdhsa_float_denorm_mode_16_64 3
		.amdhsa_fp16_overflow 0
		.amdhsa_memory_ordered 1
		.amdhsa_forward_progress 1
		.amdhsa_inst_pref_size 0
		.amdhsa_round_robin_scheduling 0
		.amdhsa_exception_fp_ieee_invalid_op 0
		.amdhsa_exception_fp_denorm_src 0
		.amdhsa_exception_fp_ieee_div_zero 0
		.amdhsa_exception_fp_ieee_overflow 0
		.amdhsa_exception_fp_ieee_underflow 0
		.amdhsa_exception_fp_ieee_inexact 0
		.amdhsa_exception_int_div_zero 0
	.end_amdhsa_kernel
	.section	.text._ZN7rocprim17ROCPRIM_400000_NS6detail17trampoline_kernelINS0_14default_configENS1_27scan_by_key_config_selectorIxxEEZZNS1_16scan_by_key_implILNS1_25lookback_scan_determinismE0ELb0ES3_N6thrust23THRUST_200600_302600_NS6detail15normal_iteratorINS9_10device_ptrIxEEEESE_SE_xNS9_10multipliesIxEENS9_8equal_toIxEExEE10hipError_tPvRmT2_T3_T4_T5_mT6_T7_P12ihipStream_tbENKUlT_T0_E_clISt17integral_constantIbLb1EESY_IbLb0EEEEDaSU_SV_EUlSU_E_NS1_11comp_targetILNS1_3genE5ELNS1_11target_archE942ELNS1_3gpuE9ELNS1_3repE0EEENS1_30default_config_static_selectorELNS0_4arch9wavefront6targetE0EEEvT1_,"axG",@progbits,_ZN7rocprim17ROCPRIM_400000_NS6detail17trampoline_kernelINS0_14default_configENS1_27scan_by_key_config_selectorIxxEEZZNS1_16scan_by_key_implILNS1_25lookback_scan_determinismE0ELb0ES3_N6thrust23THRUST_200600_302600_NS6detail15normal_iteratorINS9_10device_ptrIxEEEESE_SE_xNS9_10multipliesIxEENS9_8equal_toIxEExEE10hipError_tPvRmT2_T3_T4_T5_mT6_T7_P12ihipStream_tbENKUlT_T0_E_clISt17integral_constantIbLb1EESY_IbLb0EEEEDaSU_SV_EUlSU_E_NS1_11comp_targetILNS1_3genE5ELNS1_11target_archE942ELNS1_3gpuE9ELNS1_3repE0EEENS1_30default_config_static_selectorELNS0_4arch9wavefront6targetE0EEEvT1_,comdat
.Lfunc_end67:
	.size	_ZN7rocprim17ROCPRIM_400000_NS6detail17trampoline_kernelINS0_14default_configENS1_27scan_by_key_config_selectorIxxEEZZNS1_16scan_by_key_implILNS1_25lookback_scan_determinismE0ELb0ES3_N6thrust23THRUST_200600_302600_NS6detail15normal_iteratorINS9_10device_ptrIxEEEESE_SE_xNS9_10multipliesIxEENS9_8equal_toIxEExEE10hipError_tPvRmT2_T3_T4_T5_mT6_T7_P12ihipStream_tbENKUlT_T0_E_clISt17integral_constantIbLb1EESY_IbLb0EEEEDaSU_SV_EUlSU_E_NS1_11comp_targetILNS1_3genE5ELNS1_11target_archE942ELNS1_3gpuE9ELNS1_3repE0EEENS1_30default_config_static_selectorELNS0_4arch9wavefront6targetE0EEEvT1_, .Lfunc_end67-_ZN7rocprim17ROCPRIM_400000_NS6detail17trampoline_kernelINS0_14default_configENS1_27scan_by_key_config_selectorIxxEEZZNS1_16scan_by_key_implILNS1_25lookback_scan_determinismE0ELb0ES3_N6thrust23THRUST_200600_302600_NS6detail15normal_iteratorINS9_10device_ptrIxEEEESE_SE_xNS9_10multipliesIxEENS9_8equal_toIxEExEE10hipError_tPvRmT2_T3_T4_T5_mT6_T7_P12ihipStream_tbENKUlT_T0_E_clISt17integral_constantIbLb1EESY_IbLb0EEEEDaSU_SV_EUlSU_E_NS1_11comp_targetILNS1_3genE5ELNS1_11target_archE942ELNS1_3gpuE9ELNS1_3repE0EEENS1_30default_config_static_selectorELNS0_4arch9wavefront6targetE0EEEvT1_
                                        ; -- End function
	.set _ZN7rocprim17ROCPRIM_400000_NS6detail17trampoline_kernelINS0_14default_configENS1_27scan_by_key_config_selectorIxxEEZZNS1_16scan_by_key_implILNS1_25lookback_scan_determinismE0ELb0ES3_N6thrust23THRUST_200600_302600_NS6detail15normal_iteratorINS9_10device_ptrIxEEEESE_SE_xNS9_10multipliesIxEENS9_8equal_toIxEExEE10hipError_tPvRmT2_T3_T4_T5_mT6_T7_P12ihipStream_tbENKUlT_T0_E_clISt17integral_constantIbLb1EESY_IbLb0EEEEDaSU_SV_EUlSU_E_NS1_11comp_targetILNS1_3genE5ELNS1_11target_archE942ELNS1_3gpuE9ELNS1_3repE0EEENS1_30default_config_static_selectorELNS0_4arch9wavefront6targetE0EEEvT1_.num_vgpr, 0
	.set _ZN7rocprim17ROCPRIM_400000_NS6detail17trampoline_kernelINS0_14default_configENS1_27scan_by_key_config_selectorIxxEEZZNS1_16scan_by_key_implILNS1_25lookback_scan_determinismE0ELb0ES3_N6thrust23THRUST_200600_302600_NS6detail15normal_iteratorINS9_10device_ptrIxEEEESE_SE_xNS9_10multipliesIxEENS9_8equal_toIxEExEE10hipError_tPvRmT2_T3_T4_T5_mT6_T7_P12ihipStream_tbENKUlT_T0_E_clISt17integral_constantIbLb1EESY_IbLb0EEEEDaSU_SV_EUlSU_E_NS1_11comp_targetILNS1_3genE5ELNS1_11target_archE942ELNS1_3gpuE9ELNS1_3repE0EEENS1_30default_config_static_selectorELNS0_4arch9wavefront6targetE0EEEvT1_.num_agpr, 0
	.set _ZN7rocprim17ROCPRIM_400000_NS6detail17trampoline_kernelINS0_14default_configENS1_27scan_by_key_config_selectorIxxEEZZNS1_16scan_by_key_implILNS1_25lookback_scan_determinismE0ELb0ES3_N6thrust23THRUST_200600_302600_NS6detail15normal_iteratorINS9_10device_ptrIxEEEESE_SE_xNS9_10multipliesIxEENS9_8equal_toIxEExEE10hipError_tPvRmT2_T3_T4_T5_mT6_T7_P12ihipStream_tbENKUlT_T0_E_clISt17integral_constantIbLb1EESY_IbLb0EEEEDaSU_SV_EUlSU_E_NS1_11comp_targetILNS1_3genE5ELNS1_11target_archE942ELNS1_3gpuE9ELNS1_3repE0EEENS1_30default_config_static_selectorELNS0_4arch9wavefront6targetE0EEEvT1_.numbered_sgpr, 0
	.set _ZN7rocprim17ROCPRIM_400000_NS6detail17trampoline_kernelINS0_14default_configENS1_27scan_by_key_config_selectorIxxEEZZNS1_16scan_by_key_implILNS1_25lookback_scan_determinismE0ELb0ES3_N6thrust23THRUST_200600_302600_NS6detail15normal_iteratorINS9_10device_ptrIxEEEESE_SE_xNS9_10multipliesIxEENS9_8equal_toIxEExEE10hipError_tPvRmT2_T3_T4_T5_mT6_T7_P12ihipStream_tbENKUlT_T0_E_clISt17integral_constantIbLb1EESY_IbLb0EEEEDaSU_SV_EUlSU_E_NS1_11comp_targetILNS1_3genE5ELNS1_11target_archE942ELNS1_3gpuE9ELNS1_3repE0EEENS1_30default_config_static_selectorELNS0_4arch9wavefront6targetE0EEEvT1_.num_named_barrier, 0
	.set _ZN7rocprim17ROCPRIM_400000_NS6detail17trampoline_kernelINS0_14default_configENS1_27scan_by_key_config_selectorIxxEEZZNS1_16scan_by_key_implILNS1_25lookback_scan_determinismE0ELb0ES3_N6thrust23THRUST_200600_302600_NS6detail15normal_iteratorINS9_10device_ptrIxEEEESE_SE_xNS9_10multipliesIxEENS9_8equal_toIxEExEE10hipError_tPvRmT2_T3_T4_T5_mT6_T7_P12ihipStream_tbENKUlT_T0_E_clISt17integral_constantIbLb1EESY_IbLb0EEEEDaSU_SV_EUlSU_E_NS1_11comp_targetILNS1_3genE5ELNS1_11target_archE942ELNS1_3gpuE9ELNS1_3repE0EEENS1_30default_config_static_selectorELNS0_4arch9wavefront6targetE0EEEvT1_.private_seg_size, 0
	.set _ZN7rocprim17ROCPRIM_400000_NS6detail17trampoline_kernelINS0_14default_configENS1_27scan_by_key_config_selectorIxxEEZZNS1_16scan_by_key_implILNS1_25lookback_scan_determinismE0ELb0ES3_N6thrust23THRUST_200600_302600_NS6detail15normal_iteratorINS9_10device_ptrIxEEEESE_SE_xNS9_10multipliesIxEENS9_8equal_toIxEExEE10hipError_tPvRmT2_T3_T4_T5_mT6_T7_P12ihipStream_tbENKUlT_T0_E_clISt17integral_constantIbLb1EESY_IbLb0EEEEDaSU_SV_EUlSU_E_NS1_11comp_targetILNS1_3genE5ELNS1_11target_archE942ELNS1_3gpuE9ELNS1_3repE0EEENS1_30default_config_static_selectorELNS0_4arch9wavefront6targetE0EEEvT1_.uses_vcc, 0
	.set _ZN7rocprim17ROCPRIM_400000_NS6detail17trampoline_kernelINS0_14default_configENS1_27scan_by_key_config_selectorIxxEEZZNS1_16scan_by_key_implILNS1_25lookback_scan_determinismE0ELb0ES3_N6thrust23THRUST_200600_302600_NS6detail15normal_iteratorINS9_10device_ptrIxEEEESE_SE_xNS9_10multipliesIxEENS9_8equal_toIxEExEE10hipError_tPvRmT2_T3_T4_T5_mT6_T7_P12ihipStream_tbENKUlT_T0_E_clISt17integral_constantIbLb1EESY_IbLb0EEEEDaSU_SV_EUlSU_E_NS1_11comp_targetILNS1_3genE5ELNS1_11target_archE942ELNS1_3gpuE9ELNS1_3repE0EEENS1_30default_config_static_selectorELNS0_4arch9wavefront6targetE0EEEvT1_.uses_flat_scratch, 0
	.set _ZN7rocprim17ROCPRIM_400000_NS6detail17trampoline_kernelINS0_14default_configENS1_27scan_by_key_config_selectorIxxEEZZNS1_16scan_by_key_implILNS1_25lookback_scan_determinismE0ELb0ES3_N6thrust23THRUST_200600_302600_NS6detail15normal_iteratorINS9_10device_ptrIxEEEESE_SE_xNS9_10multipliesIxEENS9_8equal_toIxEExEE10hipError_tPvRmT2_T3_T4_T5_mT6_T7_P12ihipStream_tbENKUlT_T0_E_clISt17integral_constantIbLb1EESY_IbLb0EEEEDaSU_SV_EUlSU_E_NS1_11comp_targetILNS1_3genE5ELNS1_11target_archE942ELNS1_3gpuE9ELNS1_3repE0EEENS1_30default_config_static_selectorELNS0_4arch9wavefront6targetE0EEEvT1_.has_dyn_sized_stack, 0
	.set _ZN7rocprim17ROCPRIM_400000_NS6detail17trampoline_kernelINS0_14default_configENS1_27scan_by_key_config_selectorIxxEEZZNS1_16scan_by_key_implILNS1_25lookback_scan_determinismE0ELb0ES3_N6thrust23THRUST_200600_302600_NS6detail15normal_iteratorINS9_10device_ptrIxEEEESE_SE_xNS9_10multipliesIxEENS9_8equal_toIxEExEE10hipError_tPvRmT2_T3_T4_T5_mT6_T7_P12ihipStream_tbENKUlT_T0_E_clISt17integral_constantIbLb1EESY_IbLb0EEEEDaSU_SV_EUlSU_E_NS1_11comp_targetILNS1_3genE5ELNS1_11target_archE942ELNS1_3gpuE9ELNS1_3repE0EEENS1_30default_config_static_selectorELNS0_4arch9wavefront6targetE0EEEvT1_.has_recursion, 0
	.set _ZN7rocprim17ROCPRIM_400000_NS6detail17trampoline_kernelINS0_14default_configENS1_27scan_by_key_config_selectorIxxEEZZNS1_16scan_by_key_implILNS1_25lookback_scan_determinismE0ELb0ES3_N6thrust23THRUST_200600_302600_NS6detail15normal_iteratorINS9_10device_ptrIxEEEESE_SE_xNS9_10multipliesIxEENS9_8equal_toIxEExEE10hipError_tPvRmT2_T3_T4_T5_mT6_T7_P12ihipStream_tbENKUlT_T0_E_clISt17integral_constantIbLb1EESY_IbLb0EEEEDaSU_SV_EUlSU_E_NS1_11comp_targetILNS1_3genE5ELNS1_11target_archE942ELNS1_3gpuE9ELNS1_3repE0EEENS1_30default_config_static_selectorELNS0_4arch9wavefront6targetE0EEEvT1_.has_indirect_call, 0
	.section	.AMDGPU.csdata,"",@progbits
; Kernel info:
; codeLenInByte = 0
; TotalNumSgprs: 0
; NumVgprs: 0
; ScratchSize: 0
; MemoryBound: 0
; FloatMode: 240
; IeeeMode: 1
; LDSByteSize: 0 bytes/workgroup (compile time only)
; SGPRBlocks: 0
; VGPRBlocks: 0
; NumSGPRsForWavesPerEU: 1
; NumVGPRsForWavesPerEU: 1
; NamedBarCnt: 0
; Occupancy: 16
; WaveLimiterHint : 0
; COMPUTE_PGM_RSRC2:SCRATCH_EN: 0
; COMPUTE_PGM_RSRC2:USER_SGPR: 2
; COMPUTE_PGM_RSRC2:TRAP_HANDLER: 0
; COMPUTE_PGM_RSRC2:TGID_X_EN: 1
; COMPUTE_PGM_RSRC2:TGID_Y_EN: 0
; COMPUTE_PGM_RSRC2:TGID_Z_EN: 0
; COMPUTE_PGM_RSRC2:TIDIG_COMP_CNT: 0
	.section	.text._ZN7rocprim17ROCPRIM_400000_NS6detail17trampoline_kernelINS0_14default_configENS1_27scan_by_key_config_selectorIxxEEZZNS1_16scan_by_key_implILNS1_25lookback_scan_determinismE0ELb0ES3_N6thrust23THRUST_200600_302600_NS6detail15normal_iteratorINS9_10device_ptrIxEEEESE_SE_xNS9_10multipliesIxEENS9_8equal_toIxEExEE10hipError_tPvRmT2_T3_T4_T5_mT6_T7_P12ihipStream_tbENKUlT_T0_E_clISt17integral_constantIbLb1EESY_IbLb0EEEEDaSU_SV_EUlSU_E_NS1_11comp_targetILNS1_3genE4ELNS1_11target_archE910ELNS1_3gpuE8ELNS1_3repE0EEENS1_30default_config_static_selectorELNS0_4arch9wavefront6targetE0EEEvT1_,"axG",@progbits,_ZN7rocprim17ROCPRIM_400000_NS6detail17trampoline_kernelINS0_14default_configENS1_27scan_by_key_config_selectorIxxEEZZNS1_16scan_by_key_implILNS1_25lookback_scan_determinismE0ELb0ES3_N6thrust23THRUST_200600_302600_NS6detail15normal_iteratorINS9_10device_ptrIxEEEESE_SE_xNS9_10multipliesIxEENS9_8equal_toIxEExEE10hipError_tPvRmT2_T3_T4_T5_mT6_T7_P12ihipStream_tbENKUlT_T0_E_clISt17integral_constantIbLb1EESY_IbLb0EEEEDaSU_SV_EUlSU_E_NS1_11comp_targetILNS1_3genE4ELNS1_11target_archE910ELNS1_3gpuE8ELNS1_3repE0EEENS1_30default_config_static_selectorELNS0_4arch9wavefront6targetE0EEEvT1_,comdat
	.protected	_ZN7rocprim17ROCPRIM_400000_NS6detail17trampoline_kernelINS0_14default_configENS1_27scan_by_key_config_selectorIxxEEZZNS1_16scan_by_key_implILNS1_25lookback_scan_determinismE0ELb0ES3_N6thrust23THRUST_200600_302600_NS6detail15normal_iteratorINS9_10device_ptrIxEEEESE_SE_xNS9_10multipliesIxEENS9_8equal_toIxEExEE10hipError_tPvRmT2_T3_T4_T5_mT6_T7_P12ihipStream_tbENKUlT_T0_E_clISt17integral_constantIbLb1EESY_IbLb0EEEEDaSU_SV_EUlSU_E_NS1_11comp_targetILNS1_3genE4ELNS1_11target_archE910ELNS1_3gpuE8ELNS1_3repE0EEENS1_30default_config_static_selectorELNS0_4arch9wavefront6targetE0EEEvT1_ ; -- Begin function _ZN7rocprim17ROCPRIM_400000_NS6detail17trampoline_kernelINS0_14default_configENS1_27scan_by_key_config_selectorIxxEEZZNS1_16scan_by_key_implILNS1_25lookback_scan_determinismE0ELb0ES3_N6thrust23THRUST_200600_302600_NS6detail15normal_iteratorINS9_10device_ptrIxEEEESE_SE_xNS9_10multipliesIxEENS9_8equal_toIxEExEE10hipError_tPvRmT2_T3_T4_T5_mT6_T7_P12ihipStream_tbENKUlT_T0_E_clISt17integral_constantIbLb1EESY_IbLb0EEEEDaSU_SV_EUlSU_E_NS1_11comp_targetILNS1_3genE4ELNS1_11target_archE910ELNS1_3gpuE8ELNS1_3repE0EEENS1_30default_config_static_selectorELNS0_4arch9wavefront6targetE0EEEvT1_
	.globl	_ZN7rocprim17ROCPRIM_400000_NS6detail17trampoline_kernelINS0_14default_configENS1_27scan_by_key_config_selectorIxxEEZZNS1_16scan_by_key_implILNS1_25lookback_scan_determinismE0ELb0ES3_N6thrust23THRUST_200600_302600_NS6detail15normal_iteratorINS9_10device_ptrIxEEEESE_SE_xNS9_10multipliesIxEENS9_8equal_toIxEExEE10hipError_tPvRmT2_T3_T4_T5_mT6_T7_P12ihipStream_tbENKUlT_T0_E_clISt17integral_constantIbLb1EESY_IbLb0EEEEDaSU_SV_EUlSU_E_NS1_11comp_targetILNS1_3genE4ELNS1_11target_archE910ELNS1_3gpuE8ELNS1_3repE0EEENS1_30default_config_static_selectorELNS0_4arch9wavefront6targetE0EEEvT1_
	.p2align	8
	.type	_ZN7rocprim17ROCPRIM_400000_NS6detail17trampoline_kernelINS0_14default_configENS1_27scan_by_key_config_selectorIxxEEZZNS1_16scan_by_key_implILNS1_25lookback_scan_determinismE0ELb0ES3_N6thrust23THRUST_200600_302600_NS6detail15normal_iteratorINS9_10device_ptrIxEEEESE_SE_xNS9_10multipliesIxEENS9_8equal_toIxEExEE10hipError_tPvRmT2_T3_T4_T5_mT6_T7_P12ihipStream_tbENKUlT_T0_E_clISt17integral_constantIbLb1EESY_IbLb0EEEEDaSU_SV_EUlSU_E_NS1_11comp_targetILNS1_3genE4ELNS1_11target_archE910ELNS1_3gpuE8ELNS1_3repE0EEENS1_30default_config_static_selectorELNS0_4arch9wavefront6targetE0EEEvT1_,@function
_ZN7rocprim17ROCPRIM_400000_NS6detail17trampoline_kernelINS0_14default_configENS1_27scan_by_key_config_selectorIxxEEZZNS1_16scan_by_key_implILNS1_25lookback_scan_determinismE0ELb0ES3_N6thrust23THRUST_200600_302600_NS6detail15normal_iteratorINS9_10device_ptrIxEEEESE_SE_xNS9_10multipliesIxEENS9_8equal_toIxEExEE10hipError_tPvRmT2_T3_T4_T5_mT6_T7_P12ihipStream_tbENKUlT_T0_E_clISt17integral_constantIbLb1EESY_IbLb0EEEEDaSU_SV_EUlSU_E_NS1_11comp_targetILNS1_3genE4ELNS1_11target_archE910ELNS1_3gpuE8ELNS1_3repE0EEENS1_30default_config_static_selectorELNS0_4arch9wavefront6targetE0EEEvT1_: ; @_ZN7rocprim17ROCPRIM_400000_NS6detail17trampoline_kernelINS0_14default_configENS1_27scan_by_key_config_selectorIxxEEZZNS1_16scan_by_key_implILNS1_25lookback_scan_determinismE0ELb0ES3_N6thrust23THRUST_200600_302600_NS6detail15normal_iteratorINS9_10device_ptrIxEEEESE_SE_xNS9_10multipliesIxEENS9_8equal_toIxEExEE10hipError_tPvRmT2_T3_T4_T5_mT6_T7_P12ihipStream_tbENKUlT_T0_E_clISt17integral_constantIbLb1EESY_IbLb0EEEEDaSU_SV_EUlSU_E_NS1_11comp_targetILNS1_3genE4ELNS1_11target_archE910ELNS1_3gpuE8ELNS1_3repE0EEENS1_30default_config_static_selectorELNS0_4arch9wavefront6targetE0EEEvT1_
; %bb.0:
	.section	.rodata,"a",@progbits
	.p2align	6, 0x0
	.amdhsa_kernel _ZN7rocprim17ROCPRIM_400000_NS6detail17trampoline_kernelINS0_14default_configENS1_27scan_by_key_config_selectorIxxEEZZNS1_16scan_by_key_implILNS1_25lookback_scan_determinismE0ELb0ES3_N6thrust23THRUST_200600_302600_NS6detail15normal_iteratorINS9_10device_ptrIxEEEESE_SE_xNS9_10multipliesIxEENS9_8equal_toIxEExEE10hipError_tPvRmT2_T3_T4_T5_mT6_T7_P12ihipStream_tbENKUlT_T0_E_clISt17integral_constantIbLb1EESY_IbLb0EEEEDaSU_SV_EUlSU_E_NS1_11comp_targetILNS1_3genE4ELNS1_11target_archE910ELNS1_3gpuE8ELNS1_3repE0EEENS1_30default_config_static_selectorELNS0_4arch9wavefront6targetE0EEEvT1_
		.amdhsa_group_segment_fixed_size 0
		.amdhsa_private_segment_fixed_size 0
		.amdhsa_kernarg_size 136
		.amdhsa_user_sgpr_count 2
		.amdhsa_user_sgpr_dispatch_ptr 0
		.amdhsa_user_sgpr_queue_ptr 0
		.amdhsa_user_sgpr_kernarg_segment_ptr 1
		.amdhsa_user_sgpr_dispatch_id 0
		.amdhsa_user_sgpr_kernarg_preload_length 0
		.amdhsa_user_sgpr_kernarg_preload_offset 0
		.amdhsa_user_sgpr_private_segment_size 0
		.amdhsa_wavefront_size32 1
		.amdhsa_uses_dynamic_stack 0
		.amdhsa_enable_private_segment 0
		.amdhsa_system_sgpr_workgroup_id_x 1
		.amdhsa_system_sgpr_workgroup_id_y 0
		.amdhsa_system_sgpr_workgroup_id_z 0
		.amdhsa_system_sgpr_workgroup_info 0
		.amdhsa_system_vgpr_workitem_id 0
		.amdhsa_next_free_vgpr 1
		.amdhsa_next_free_sgpr 1
		.amdhsa_named_barrier_count 0
		.amdhsa_reserve_vcc 0
		.amdhsa_float_round_mode_32 0
		.amdhsa_float_round_mode_16_64 0
		.amdhsa_float_denorm_mode_32 3
		.amdhsa_float_denorm_mode_16_64 3
		.amdhsa_fp16_overflow 0
		.amdhsa_memory_ordered 1
		.amdhsa_forward_progress 1
		.amdhsa_inst_pref_size 0
		.amdhsa_round_robin_scheduling 0
		.amdhsa_exception_fp_ieee_invalid_op 0
		.amdhsa_exception_fp_denorm_src 0
		.amdhsa_exception_fp_ieee_div_zero 0
		.amdhsa_exception_fp_ieee_overflow 0
		.amdhsa_exception_fp_ieee_underflow 0
		.amdhsa_exception_fp_ieee_inexact 0
		.amdhsa_exception_int_div_zero 0
	.end_amdhsa_kernel
	.section	.text._ZN7rocprim17ROCPRIM_400000_NS6detail17trampoline_kernelINS0_14default_configENS1_27scan_by_key_config_selectorIxxEEZZNS1_16scan_by_key_implILNS1_25lookback_scan_determinismE0ELb0ES3_N6thrust23THRUST_200600_302600_NS6detail15normal_iteratorINS9_10device_ptrIxEEEESE_SE_xNS9_10multipliesIxEENS9_8equal_toIxEExEE10hipError_tPvRmT2_T3_T4_T5_mT6_T7_P12ihipStream_tbENKUlT_T0_E_clISt17integral_constantIbLb1EESY_IbLb0EEEEDaSU_SV_EUlSU_E_NS1_11comp_targetILNS1_3genE4ELNS1_11target_archE910ELNS1_3gpuE8ELNS1_3repE0EEENS1_30default_config_static_selectorELNS0_4arch9wavefront6targetE0EEEvT1_,"axG",@progbits,_ZN7rocprim17ROCPRIM_400000_NS6detail17trampoline_kernelINS0_14default_configENS1_27scan_by_key_config_selectorIxxEEZZNS1_16scan_by_key_implILNS1_25lookback_scan_determinismE0ELb0ES3_N6thrust23THRUST_200600_302600_NS6detail15normal_iteratorINS9_10device_ptrIxEEEESE_SE_xNS9_10multipliesIxEENS9_8equal_toIxEExEE10hipError_tPvRmT2_T3_T4_T5_mT6_T7_P12ihipStream_tbENKUlT_T0_E_clISt17integral_constantIbLb1EESY_IbLb0EEEEDaSU_SV_EUlSU_E_NS1_11comp_targetILNS1_3genE4ELNS1_11target_archE910ELNS1_3gpuE8ELNS1_3repE0EEENS1_30default_config_static_selectorELNS0_4arch9wavefront6targetE0EEEvT1_,comdat
.Lfunc_end68:
	.size	_ZN7rocprim17ROCPRIM_400000_NS6detail17trampoline_kernelINS0_14default_configENS1_27scan_by_key_config_selectorIxxEEZZNS1_16scan_by_key_implILNS1_25lookback_scan_determinismE0ELb0ES3_N6thrust23THRUST_200600_302600_NS6detail15normal_iteratorINS9_10device_ptrIxEEEESE_SE_xNS9_10multipliesIxEENS9_8equal_toIxEExEE10hipError_tPvRmT2_T3_T4_T5_mT6_T7_P12ihipStream_tbENKUlT_T0_E_clISt17integral_constantIbLb1EESY_IbLb0EEEEDaSU_SV_EUlSU_E_NS1_11comp_targetILNS1_3genE4ELNS1_11target_archE910ELNS1_3gpuE8ELNS1_3repE0EEENS1_30default_config_static_selectorELNS0_4arch9wavefront6targetE0EEEvT1_, .Lfunc_end68-_ZN7rocprim17ROCPRIM_400000_NS6detail17trampoline_kernelINS0_14default_configENS1_27scan_by_key_config_selectorIxxEEZZNS1_16scan_by_key_implILNS1_25lookback_scan_determinismE0ELb0ES3_N6thrust23THRUST_200600_302600_NS6detail15normal_iteratorINS9_10device_ptrIxEEEESE_SE_xNS9_10multipliesIxEENS9_8equal_toIxEExEE10hipError_tPvRmT2_T3_T4_T5_mT6_T7_P12ihipStream_tbENKUlT_T0_E_clISt17integral_constantIbLb1EESY_IbLb0EEEEDaSU_SV_EUlSU_E_NS1_11comp_targetILNS1_3genE4ELNS1_11target_archE910ELNS1_3gpuE8ELNS1_3repE0EEENS1_30default_config_static_selectorELNS0_4arch9wavefront6targetE0EEEvT1_
                                        ; -- End function
	.set _ZN7rocprim17ROCPRIM_400000_NS6detail17trampoline_kernelINS0_14default_configENS1_27scan_by_key_config_selectorIxxEEZZNS1_16scan_by_key_implILNS1_25lookback_scan_determinismE0ELb0ES3_N6thrust23THRUST_200600_302600_NS6detail15normal_iteratorINS9_10device_ptrIxEEEESE_SE_xNS9_10multipliesIxEENS9_8equal_toIxEExEE10hipError_tPvRmT2_T3_T4_T5_mT6_T7_P12ihipStream_tbENKUlT_T0_E_clISt17integral_constantIbLb1EESY_IbLb0EEEEDaSU_SV_EUlSU_E_NS1_11comp_targetILNS1_3genE4ELNS1_11target_archE910ELNS1_3gpuE8ELNS1_3repE0EEENS1_30default_config_static_selectorELNS0_4arch9wavefront6targetE0EEEvT1_.num_vgpr, 0
	.set _ZN7rocprim17ROCPRIM_400000_NS6detail17trampoline_kernelINS0_14default_configENS1_27scan_by_key_config_selectorIxxEEZZNS1_16scan_by_key_implILNS1_25lookback_scan_determinismE0ELb0ES3_N6thrust23THRUST_200600_302600_NS6detail15normal_iteratorINS9_10device_ptrIxEEEESE_SE_xNS9_10multipliesIxEENS9_8equal_toIxEExEE10hipError_tPvRmT2_T3_T4_T5_mT6_T7_P12ihipStream_tbENKUlT_T0_E_clISt17integral_constantIbLb1EESY_IbLb0EEEEDaSU_SV_EUlSU_E_NS1_11comp_targetILNS1_3genE4ELNS1_11target_archE910ELNS1_3gpuE8ELNS1_3repE0EEENS1_30default_config_static_selectorELNS0_4arch9wavefront6targetE0EEEvT1_.num_agpr, 0
	.set _ZN7rocprim17ROCPRIM_400000_NS6detail17trampoline_kernelINS0_14default_configENS1_27scan_by_key_config_selectorIxxEEZZNS1_16scan_by_key_implILNS1_25lookback_scan_determinismE0ELb0ES3_N6thrust23THRUST_200600_302600_NS6detail15normal_iteratorINS9_10device_ptrIxEEEESE_SE_xNS9_10multipliesIxEENS9_8equal_toIxEExEE10hipError_tPvRmT2_T3_T4_T5_mT6_T7_P12ihipStream_tbENKUlT_T0_E_clISt17integral_constantIbLb1EESY_IbLb0EEEEDaSU_SV_EUlSU_E_NS1_11comp_targetILNS1_3genE4ELNS1_11target_archE910ELNS1_3gpuE8ELNS1_3repE0EEENS1_30default_config_static_selectorELNS0_4arch9wavefront6targetE0EEEvT1_.numbered_sgpr, 0
	.set _ZN7rocprim17ROCPRIM_400000_NS6detail17trampoline_kernelINS0_14default_configENS1_27scan_by_key_config_selectorIxxEEZZNS1_16scan_by_key_implILNS1_25lookback_scan_determinismE0ELb0ES3_N6thrust23THRUST_200600_302600_NS6detail15normal_iteratorINS9_10device_ptrIxEEEESE_SE_xNS9_10multipliesIxEENS9_8equal_toIxEExEE10hipError_tPvRmT2_T3_T4_T5_mT6_T7_P12ihipStream_tbENKUlT_T0_E_clISt17integral_constantIbLb1EESY_IbLb0EEEEDaSU_SV_EUlSU_E_NS1_11comp_targetILNS1_3genE4ELNS1_11target_archE910ELNS1_3gpuE8ELNS1_3repE0EEENS1_30default_config_static_selectorELNS0_4arch9wavefront6targetE0EEEvT1_.num_named_barrier, 0
	.set _ZN7rocprim17ROCPRIM_400000_NS6detail17trampoline_kernelINS0_14default_configENS1_27scan_by_key_config_selectorIxxEEZZNS1_16scan_by_key_implILNS1_25lookback_scan_determinismE0ELb0ES3_N6thrust23THRUST_200600_302600_NS6detail15normal_iteratorINS9_10device_ptrIxEEEESE_SE_xNS9_10multipliesIxEENS9_8equal_toIxEExEE10hipError_tPvRmT2_T3_T4_T5_mT6_T7_P12ihipStream_tbENKUlT_T0_E_clISt17integral_constantIbLb1EESY_IbLb0EEEEDaSU_SV_EUlSU_E_NS1_11comp_targetILNS1_3genE4ELNS1_11target_archE910ELNS1_3gpuE8ELNS1_3repE0EEENS1_30default_config_static_selectorELNS0_4arch9wavefront6targetE0EEEvT1_.private_seg_size, 0
	.set _ZN7rocprim17ROCPRIM_400000_NS6detail17trampoline_kernelINS0_14default_configENS1_27scan_by_key_config_selectorIxxEEZZNS1_16scan_by_key_implILNS1_25lookback_scan_determinismE0ELb0ES3_N6thrust23THRUST_200600_302600_NS6detail15normal_iteratorINS9_10device_ptrIxEEEESE_SE_xNS9_10multipliesIxEENS9_8equal_toIxEExEE10hipError_tPvRmT2_T3_T4_T5_mT6_T7_P12ihipStream_tbENKUlT_T0_E_clISt17integral_constantIbLb1EESY_IbLb0EEEEDaSU_SV_EUlSU_E_NS1_11comp_targetILNS1_3genE4ELNS1_11target_archE910ELNS1_3gpuE8ELNS1_3repE0EEENS1_30default_config_static_selectorELNS0_4arch9wavefront6targetE0EEEvT1_.uses_vcc, 0
	.set _ZN7rocprim17ROCPRIM_400000_NS6detail17trampoline_kernelINS0_14default_configENS1_27scan_by_key_config_selectorIxxEEZZNS1_16scan_by_key_implILNS1_25lookback_scan_determinismE0ELb0ES3_N6thrust23THRUST_200600_302600_NS6detail15normal_iteratorINS9_10device_ptrIxEEEESE_SE_xNS9_10multipliesIxEENS9_8equal_toIxEExEE10hipError_tPvRmT2_T3_T4_T5_mT6_T7_P12ihipStream_tbENKUlT_T0_E_clISt17integral_constantIbLb1EESY_IbLb0EEEEDaSU_SV_EUlSU_E_NS1_11comp_targetILNS1_3genE4ELNS1_11target_archE910ELNS1_3gpuE8ELNS1_3repE0EEENS1_30default_config_static_selectorELNS0_4arch9wavefront6targetE0EEEvT1_.uses_flat_scratch, 0
	.set _ZN7rocprim17ROCPRIM_400000_NS6detail17trampoline_kernelINS0_14default_configENS1_27scan_by_key_config_selectorIxxEEZZNS1_16scan_by_key_implILNS1_25lookback_scan_determinismE0ELb0ES3_N6thrust23THRUST_200600_302600_NS6detail15normal_iteratorINS9_10device_ptrIxEEEESE_SE_xNS9_10multipliesIxEENS9_8equal_toIxEExEE10hipError_tPvRmT2_T3_T4_T5_mT6_T7_P12ihipStream_tbENKUlT_T0_E_clISt17integral_constantIbLb1EESY_IbLb0EEEEDaSU_SV_EUlSU_E_NS1_11comp_targetILNS1_3genE4ELNS1_11target_archE910ELNS1_3gpuE8ELNS1_3repE0EEENS1_30default_config_static_selectorELNS0_4arch9wavefront6targetE0EEEvT1_.has_dyn_sized_stack, 0
	.set _ZN7rocprim17ROCPRIM_400000_NS6detail17trampoline_kernelINS0_14default_configENS1_27scan_by_key_config_selectorIxxEEZZNS1_16scan_by_key_implILNS1_25lookback_scan_determinismE0ELb0ES3_N6thrust23THRUST_200600_302600_NS6detail15normal_iteratorINS9_10device_ptrIxEEEESE_SE_xNS9_10multipliesIxEENS9_8equal_toIxEExEE10hipError_tPvRmT2_T3_T4_T5_mT6_T7_P12ihipStream_tbENKUlT_T0_E_clISt17integral_constantIbLb1EESY_IbLb0EEEEDaSU_SV_EUlSU_E_NS1_11comp_targetILNS1_3genE4ELNS1_11target_archE910ELNS1_3gpuE8ELNS1_3repE0EEENS1_30default_config_static_selectorELNS0_4arch9wavefront6targetE0EEEvT1_.has_recursion, 0
	.set _ZN7rocprim17ROCPRIM_400000_NS6detail17trampoline_kernelINS0_14default_configENS1_27scan_by_key_config_selectorIxxEEZZNS1_16scan_by_key_implILNS1_25lookback_scan_determinismE0ELb0ES3_N6thrust23THRUST_200600_302600_NS6detail15normal_iteratorINS9_10device_ptrIxEEEESE_SE_xNS9_10multipliesIxEENS9_8equal_toIxEExEE10hipError_tPvRmT2_T3_T4_T5_mT6_T7_P12ihipStream_tbENKUlT_T0_E_clISt17integral_constantIbLb1EESY_IbLb0EEEEDaSU_SV_EUlSU_E_NS1_11comp_targetILNS1_3genE4ELNS1_11target_archE910ELNS1_3gpuE8ELNS1_3repE0EEENS1_30default_config_static_selectorELNS0_4arch9wavefront6targetE0EEEvT1_.has_indirect_call, 0
	.section	.AMDGPU.csdata,"",@progbits
; Kernel info:
; codeLenInByte = 0
; TotalNumSgprs: 0
; NumVgprs: 0
; ScratchSize: 0
; MemoryBound: 0
; FloatMode: 240
; IeeeMode: 1
; LDSByteSize: 0 bytes/workgroup (compile time only)
; SGPRBlocks: 0
; VGPRBlocks: 0
; NumSGPRsForWavesPerEU: 1
; NumVGPRsForWavesPerEU: 1
; NamedBarCnt: 0
; Occupancy: 16
; WaveLimiterHint : 0
; COMPUTE_PGM_RSRC2:SCRATCH_EN: 0
; COMPUTE_PGM_RSRC2:USER_SGPR: 2
; COMPUTE_PGM_RSRC2:TRAP_HANDLER: 0
; COMPUTE_PGM_RSRC2:TGID_X_EN: 1
; COMPUTE_PGM_RSRC2:TGID_Y_EN: 0
; COMPUTE_PGM_RSRC2:TGID_Z_EN: 0
; COMPUTE_PGM_RSRC2:TIDIG_COMP_CNT: 0
	.section	.text._ZN7rocprim17ROCPRIM_400000_NS6detail17trampoline_kernelINS0_14default_configENS1_27scan_by_key_config_selectorIxxEEZZNS1_16scan_by_key_implILNS1_25lookback_scan_determinismE0ELb0ES3_N6thrust23THRUST_200600_302600_NS6detail15normal_iteratorINS9_10device_ptrIxEEEESE_SE_xNS9_10multipliesIxEENS9_8equal_toIxEExEE10hipError_tPvRmT2_T3_T4_T5_mT6_T7_P12ihipStream_tbENKUlT_T0_E_clISt17integral_constantIbLb1EESY_IbLb0EEEEDaSU_SV_EUlSU_E_NS1_11comp_targetILNS1_3genE3ELNS1_11target_archE908ELNS1_3gpuE7ELNS1_3repE0EEENS1_30default_config_static_selectorELNS0_4arch9wavefront6targetE0EEEvT1_,"axG",@progbits,_ZN7rocprim17ROCPRIM_400000_NS6detail17trampoline_kernelINS0_14default_configENS1_27scan_by_key_config_selectorIxxEEZZNS1_16scan_by_key_implILNS1_25lookback_scan_determinismE0ELb0ES3_N6thrust23THRUST_200600_302600_NS6detail15normal_iteratorINS9_10device_ptrIxEEEESE_SE_xNS9_10multipliesIxEENS9_8equal_toIxEExEE10hipError_tPvRmT2_T3_T4_T5_mT6_T7_P12ihipStream_tbENKUlT_T0_E_clISt17integral_constantIbLb1EESY_IbLb0EEEEDaSU_SV_EUlSU_E_NS1_11comp_targetILNS1_3genE3ELNS1_11target_archE908ELNS1_3gpuE7ELNS1_3repE0EEENS1_30default_config_static_selectorELNS0_4arch9wavefront6targetE0EEEvT1_,comdat
	.protected	_ZN7rocprim17ROCPRIM_400000_NS6detail17trampoline_kernelINS0_14default_configENS1_27scan_by_key_config_selectorIxxEEZZNS1_16scan_by_key_implILNS1_25lookback_scan_determinismE0ELb0ES3_N6thrust23THRUST_200600_302600_NS6detail15normal_iteratorINS9_10device_ptrIxEEEESE_SE_xNS9_10multipliesIxEENS9_8equal_toIxEExEE10hipError_tPvRmT2_T3_T4_T5_mT6_T7_P12ihipStream_tbENKUlT_T0_E_clISt17integral_constantIbLb1EESY_IbLb0EEEEDaSU_SV_EUlSU_E_NS1_11comp_targetILNS1_3genE3ELNS1_11target_archE908ELNS1_3gpuE7ELNS1_3repE0EEENS1_30default_config_static_selectorELNS0_4arch9wavefront6targetE0EEEvT1_ ; -- Begin function _ZN7rocprim17ROCPRIM_400000_NS6detail17trampoline_kernelINS0_14default_configENS1_27scan_by_key_config_selectorIxxEEZZNS1_16scan_by_key_implILNS1_25lookback_scan_determinismE0ELb0ES3_N6thrust23THRUST_200600_302600_NS6detail15normal_iteratorINS9_10device_ptrIxEEEESE_SE_xNS9_10multipliesIxEENS9_8equal_toIxEExEE10hipError_tPvRmT2_T3_T4_T5_mT6_T7_P12ihipStream_tbENKUlT_T0_E_clISt17integral_constantIbLb1EESY_IbLb0EEEEDaSU_SV_EUlSU_E_NS1_11comp_targetILNS1_3genE3ELNS1_11target_archE908ELNS1_3gpuE7ELNS1_3repE0EEENS1_30default_config_static_selectorELNS0_4arch9wavefront6targetE0EEEvT1_
	.globl	_ZN7rocprim17ROCPRIM_400000_NS6detail17trampoline_kernelINS0_14default_configENS1_27scan_by_key_config_selectorIxxEEZZNS1_16scan_by_key_implILNS1_25lookback_scan_determinismE0ELb0ES3_N6thrust23THRUST_200600_302600_NS6detail15normal_iteratorINS9_10device_ptrIxEEEESE_SE_xNS9_10multipliesIxEENS9_8equal_toIxEExEE10hipError_tPvRmT2_T3_T4_T5_mT6_T7_P12ihipStream_tbENKUlT_T0_E_clISt17integral_constantIbLb1EESY_IbLb0EEEEDaSU_SV_EUlSU_E_NS1_11comp_targetILNS1_3genE3ELNS1_11target_archE908ELNS1_3gpuE7ELNS1_3repE0EEENS1_30default_config_static_selectorELNS0_4arch9wavefront6targetE0EEEvT1_
	.p2align	8
	.type	_ZN7rocprim17ROCPRIM_400000_NS6detail17trampoline_kernelINS0_14default_configENS1_27scan_by_key_config_selectorIxxEEZZNS1_16scan_by_key_implILNS1_25lookback_scan_determinismE0ELb0ES3_N6thrust23THRUST_200600_302600_NS6detail15normal_iteratorINS9_10device_ptrIxEEEESE_SE_xNS9_10multipliesIxEENS9_8equal_toIxEExEE10hipError_tPvRmT2_T3_T4_T5_mT6_T7_P12ihipStream_tbENKUlT_T0_E_clISt17integral_constantIbLb1EESY_IbLb0EEEEDaSU_SV_EUlSU_E_NS1_11comp_targetILNS1_3genE3ELNS1_11target_archE908ELNS1_3gpuE7ELNS1_3repE0EEENS1_30default_config_static_selectorELNS0_4arch9wavefront6targetE0EEEvT1_,@function
_ZN7rocprim17ROCPRIM_400000_NS6detail17trampoline_kernelINS0_14default_configENS1_27scan_by_key_config_selectorIxxEEZZNS1_16scan_by_key_implILNS1_25lookback_scan_determinismE0ELb0ES3_N6thrust23THRUST_200600_302600_NS6detail15normal_iteratorINS9_10device_ptrIxEEEESE_SE_xNS9_10multipliesIxEENS9_8equal_toIxEExEE10hipError_tPvRmT2_T3_T4_T5_mT6_T7_P12ihipStream_tbENKUlT_T0_E_clISt17integral_constantIbLb1EESY_IbLb0EEEEDaSU_SV_EUlSU_E_NS1_11comp_targetILNS1_3genE3ELNS1_11target_archE908ELNS1_3gpuE7ELNS1_3repE0EEENS1_30default_config_static_selectorELNS0_4arch9wavefront6targetE0EEEvT1_: ; @_ZN7rocprim17ROCPRIM_400000_NS6detail17trampoline_kernelINS0_14default_configENS1_27scan_by_key_config_selectorIxxEEZZNS1_16scan_by_key_implILNS1_25lookback_scan_determinismE0ELb0ES3_N6thrust23THRUST_200600_302600_NS6detail15normal_iteratorINS9_10device_ptrIxEEEESE_SE_xNS9_10multipliesIxEENS9_8equal_toIxEExEE10hipError_tPvRmT2_T3_T4_T5_mT6_T7_P12ihipStream_tbENKUlT_T0_E_clISt17integral_constantIbLb1EESY_IbLb0EEEEDaSU_SV_EUlSU_E_NS1_11comp_targetILNS1_3genE3ELNS1_11target_archE908ELNS1_3gpuE7ELNS1_3repE0EEENS1_30default_config_static_selectorELNS0_4arch9wavefront6targetE0EEEvT1_
; %bb.0:
	.section	.rodata,"a",@progbits
	.p2align	6, 0x0
	.amdhsa_kernel _ZN7rocprim17ROCPRIM_400000_NS6detail17trampoline_kernelINS0_14default_configENS1_27scan_by_key_config_selectorIxxEEZZNS1_16scan_by_key_implILNS1_25lookback_scan_determinismE0ELb0ES3_N6thrust23THRUST_200600_302600_NS6detail15normal_iteratorINS9_10device_ptrIxEEEESE_SE_xNS9_10multipliesIxEENS9_8equal_toIxEExEE10hipError_tPvRmT2_T3_T4_T5_mT6_T7_P12ihipStream_tbENKUlT_T0_E_clISt17integral_constantIbLb1EESY_IbLb0EEEEDaSU_SV_EUlSU_E_NS1_11comp_targetILNS1_3genE3ELNS1_11target_archE908ELNS1_3gpuE7ELNS1_3repE0EEENS1_30default_config_static_selectorELNS0_4arch9wavefront6targetE0EEEvT1_
		.amdhsa_group_segment_fixed_size 0
		.amdhsa_private_segment_fixed_size 0
		.amdhsa_kernarg_size 136
		.amdhsa_user_sgpr_count 2
		.amdhsa_user_sgpr_dispatch_ptr 0
		.amdhsa_user_sgpr_queue_ptr 0
		.amdhsa_user_sgpr_kernarg_segment_ptr 1
		.amdhsa_user_sgpr_dispatch_id 0
		.amdhsa_user_sgpr_kernarg_preload_length 0
		.amdhsa_user_sgpr_kernarg_preload_offset 0
		.amdhsa_user_sgpr_private_segment_size 0
		.amdhsa_wavefront_size32 1
		.amdhsa_uses_dynamic_stack 0
		.amdhsa_enable_private_segment 0
		.amdhsa_system_sgpr_workgroup_id_x 1
		.amdhsa_system_sgpr_workgroup_id_y 0
		.amdhsa_system_sgpr_workgroup_id_z 0
		.amdhsa_system_sgpr_workgroup_info 0
		.amdhsa_system_vgpr_workitem_id 0
		.amdhsa_next_free_vgpr 1
		.amdhsa_next_free_sgpr 1
		.amdhsa_named_barrier_count 0
		.amdhsa_reserve_vcc 0
		.amdhsa_float_round_mode_32 0
		.amdhsa_float_round_mode_16_64 0
		.amdhsa_float_denorm_mode_32 3
		.amdhsa_float_denorm_mode_16_64 3
		.amdhsa_fp16_overflow 0
		.amdhsa_memory_ordered 1
		.amdhsa_forward_progress 1
		.amdhsa_inst_pref_size 0
		.amdhsa_round_robin_scheduling 0
		.amdhsa_exception_fp_ieee_invalid_op 0
		.amdhsa_exception_fp_denorm_src 0
		.amdhsa_exception_fp_ieee_div_zero 0
		.amdhsa_exception_fp_ieee_overflow 0
		.amdhsa_exception_fp_ieee_underflow 0
		.amdhsa_exception_fp_ieee_inexact 0
		.amdhsa_exception_int_div_zero 0
	.end_amdhsa_kernel
	.section	.text._ZN7rocprim17ROCPRIM_400000_NS6detail17trampoline_kernelINS0_14default_configENS1_27scan_by_key_config_selectorIxxEEZZNS1_16scan_by_key_implILNS1_25lookback_scan_determinismE0ELb0ES3_N6thrust23THRUST_200600_302600_NS6detail15normal_iteratorINS9_10device_ptrIxEEEESE_SE_xNS9_10multipliesIxEENS9_8equal_toIxEExEE10hipError_tPvRmT2_T3_T4_T5_mT6_T7_P12ihipStream_tbENKUlT_T0_E_clISt17integral_constantIbLb1EESY_IbLb0EEEEDaSU_SV_EUlSU_E_NS1_11comp_targetILNS1_3genE3ELNS1_11target_archE908ELNS1_3gpuE7ELNS1_3repE0EEENS1_30default_config_static_selectorELNS0_4arch9wavefront6targetE0EEEvT1_,"axG",@progbits,_ZN7rocprim17ROCPRIM_400000_NS6detail17trampoline_kernelINS0_14default_configENS1_27scan_by_key_config_selectorIxxEEZZNS1_16scan_by_key_implILNS1_25lookback_scan_determinismE0ELb0ES3_N6thrust23THRUST_200600_302600_NS6detail15normal_iteratorINS9_10device_ptrIxEEEESE_SE_xNS9_10multipliesIxEENS9_8equal_toIxEExEE10hipError_tPvRmT2_T3_T4_T5_mT6_T7_P12ihipStream_tbENKUlT_T0_E_clISt17integral_constantIbLb1EESY_IbLb0EEEEDaSU_SV_EUlSU_E_NS1_11comp_targetILNS1_3genE3ELNS1_11target_archE908ELNS1_3gpuE7ELNS1_3repE0EEENS1_30default_config_static_selectorELNS0_4arch9wavefront6targetE0EEEvT1_,comdat
.Lfunc_end69:
	.size	_ZN7rocprim17ROCPRIM_400000_NS6detail17trampoline_kernelINS0_14default_configENS1_27scan_by_key_config_selectorIxxEEZZNS1_16scan_by_key_implILNS1_25lookback_scan_determinismE0ELb0ES3_N6thrust23THRUST_200600_302600_NS6detail15normal_iteratorINS9_10device_ptrIxEEEESE_SE_xNS9_10multipliesIxEENS9_8equal_toIxEExEE10hipError_tPvRmT2_T3_T4_T5_mT6_T7_P12ihipStream_tbENKUlT_T0_E_clISt17integral_constantIbLb1EESY_IbLb0EEEEDaSU_SV_EUlSU_E_NS1_11comp_targetILNS1_3genE3ELNS1_11target_archE908ELNS1_3gpuE7ELNS1_3repE0EEENS1_30default_config_static_selectorELNS0_4arch9wavefront6targetE0EEEvT1_, .Lfunc_end69-_ZN7rocprim17ROCPRIM_400000_NS6detail17trampoline_kernelINS0_14default_configENS1_27scan_by_key_config_selectorIxxEEZZNS1_16scan_by_key_implILNS1_25lookback_scan_determinismE0ELb0ES3_N6thrust23THRUST_200600_302600_NS6detail15normal_iteratorINS9_10device_ptrIxEEEESE_SE_xNS9_10multipliesIxEENS9_8equal_toIxEExEE10hipError_tPvRmT2_T3_T4_T5_mT6_T7_P12ihipStream_tbENKUlT_T0_E_clISt17integral_constantIbLb1EESY_IbLb0EEEEDaSU_SV_EUlSU_E_NS1_11comp_targetILNS1_3genE3ELNS1_11target_archE908ELNS1_3gpuE7ELNS1_3repE0EEENS1_30default_config_static_selectorELNS0_4arch9wavefront6targetE0EEEvT1_
                                        ; -- End function
	.set _ZN7rocprim17ROCPRIM_400000_NS6detail17trampoline_kernelINS0_14default_configENS1_27scan_by_key_config_selectorIxxEEZZNS1_16scan_by_key_implILNS1_25lookback_scan_determinismE0ELb0ES3_N6thrust23THRUST_200600_302600_NS6detail15normal_iteratorINS9_10device_ptrIxEEEESE_SE_xNS9_10multipliesIxEENS9_8equal_toIxEExEE10hipError_tPvRmT2_T3_T4_T5_mT6_T7_P12ihipStream_tbENKUlT_T0_E_clISt17integral_constantIbLb1EESY_IbLb0EEEEDaSU_SV_EUlSU_E_NS1_11comp_targetILNS1_3genE3ELNS1_11target_archE908ELNS1_3gpuE7ELNS1_3repE0EEENS1_30default_config_static_selectorELNS0_4arch9wavefront6targetE0EEEvT1_.num_vgpr, 0
	.set _ZN7rocprim17ROCPRIM_400000_NS6detail17trampoline_kernelINS0_14default_configENS1_27scan_by_key_config_selectorIxxEEZZNS1_16scan_by_key_implILNS1_25lookback_scan_determinismE0ELb0ES3_N6thrust23THRUST_200600_302600_NS6detail15normal_iteratorINS9_10device_ptrIxEEEESE_SE_xNS9_10multipliesIxEENS9_8equal_toIxEExEE10hipError_tPvRmT2_T3_T4_T5_mT6_T7_P12ihipStream_tbENKUlT_T0_E_clISt17integral_constantIbLb1EESY_IbLb0EEEEDaSU_SV_EUlSU_E_NS1_11comp_targetILNS1_3genE3ELNS1_11target_archE908ELNS1_3gpuE7ELNS1_3repE0EEENS1_30default_config_static_selectorELNS0_4arch9wavefront6targetE0EEEvT1_.num_agpr, 0
	.set _ZN7rocprim17ROCPRIM_400000_NS6detail17trampoline_kernelINS0_14default_configENS1_27scan_by_key_config_selectorIxxEEZZNS1_16scan_by_key_implILNS1_25lookback_scan_determinismE0ELb0ES3_N6thrust23THRUST_200600_302600_NS6detail15normal_iteratorINS9_10device_ptrIxEEEESE_SE_xNS9_10multipliesIxEENS9_8equal_toIxEExEE10hipError_tPvRmT2_T3_T4_T5_mT6_T7_P12ihipStream_tbENKUlT_T0_E_clISt17integral_constantIbLb1EESY_IbLb0EEEEDaSU_SV_EUlSU_E_NS1_11comp_targetILNS1_3genE3ELNS1_11target_archE908ELNS1_3gpuE7ELNS1_3repE0EEENS1_30default_config_static_selectorELNS0_4arch9wavefront6targetE0EEEvT1_.numbered_sgpr, 0
	.set _ZN7rocprim17ROCPRIM_400000_NS6detail17trampoline_kernelINS0_14default_configENS1_27scan_by_key_config_selectorIxxEEZZNS1_16scan_by_key_implILNS1_25lookback_scan_determinismE0ELb0ES3_N6thrust23THRUST_200600_302600_NS6detail15normal_iteratorINS9_10device_ptrIxEEEESE_SE_xNS9_10multipliesIxEENS9_8equal_toIxEExEE10hipError_tPvRmT2_T3_T4_T5_mT6_T7_P12ihipStream_tbENKUlT_T0_E_clISt17integral_constantIbLb1EESY_IbLb0EEEEDaSU_SV_EUlSU_E_NS1_11comp_targetILNS1_3genE3ELNS1_11target_archE908ELNS1_3gpuE7ELNS1_3repE0EEENS1_30default_config_static_selectorELNS0_4arch9wavefront6targetE0EEEvT1_.num_named_barrier, 0
	.set _ZN7rocprim17ROCPRIM_400000_NS6detail17trampoline_kernelINS0_14default_configENS1_27scan_by_key_config_selectorIxxEEZZNS1_16scan_by_key_implILNS1_25lookback_scan_determinismE0ELb0ES3_N6thrust23THRUST_200600_302600_NS6detail15normal_iteratorINS9_10device_ptrIxEEEESE_SE_xNS9_10multipliesIxEENS9_8equal_toIxEExEE10hipError_tPvRmT2_T3_T4_T5_mT6_T7_P12ihipStream_tbENKUlT_T0_E_clISt17integral_constantIbLb1EESY_IbLb0EEEEDaSU_SV_EUlSU_E_NS1_11comp_targetILNS1_3genE3ELNS1_11target_archE908ELNS1_3gpuE7ELNS1_3repE0EEENS1_30default_config_static_selectorELNS0_4arch9wavefront6targetE0EEEvT1_.private_seg_size, 0
	.set _ZN7rocprim17ROCPRIM_400000_NS6detail17trampoline_kernelINS0_14default_configENS1_27scan_by_key_config_selectorIxxEEZZNS1_16scan_by_key_implILNS1_25lookback_scan_determinismE0ELb0ES3_N6thrust23THRUST_200600_302600_NS6detail15normal_iteratorINS9_10device_ptrIxEEEESE_SE_xNS9_10multipliesIxEENS9_8equal_toIxEExEE10hipError_tPvRmT2_T3_T4_T5_mT6_T7_P12ihipStream_tbENKUlT_T0_E_clISt17integral_constantIbLb1EESY_IbLb0EEEEDaSU_SV_EUlSU_E_NS1_11comp_targetILNS1_3genE3ELNS1_11target_archE908ELNS1_3gpuE7ELNS1_3repE0EEENS1_30default_config_static_selectorELNS0_4arch9wavefront6targetE0EEEvT1_.uses_vcc, 0
	.set _ZN7rocprim17ROCPRIM_400000_NS6detail17trampoline_kernelINS0_14default_configENS1_27scan_by_key_config_selectorIxxEEZZNS1_16scan_by_key_implILNS1_25lookback_scan_determinismE0ELb0ES3_N6thrust23THRUST_200600_302600_NS6detail15normal_iteratorINS9_10device_ptrIxEEEESE_SE_xNS9_10multipliesIxEENS9_8equal_toIxEExEE10hipError_tPvRmT2_T3_T4_T5_mT6_T7_P12ihipStream_tbENKUlT_T0_E_clISt17integral_constantIbLb1EESY_IbLb0EEEEDaSU_SV_EUlSU_E_NS1_11comp_targetILNS1_3genE3ELNS1_11target_archE908ELNS1_3gpuE7ELNS1_3repE0EEENS1_30default_config_static_selectorELNS0_4arch9wavefront6targetE0EEEvT1_.uses_flat_scratch, 0
	.set _ZN7rocprim17ROCPRIM_400000_NS6detail17trampoline_kernelINS0_14default_configENS1_27scan_by_key_config_selectorIxxEEZZNS1_16scan_by_key_implILNS1_25lookback_scan_determinismE0ELb0ES3_N6thrust23THRUST_200600_302600_NS6detail15normal_iteratorINS9_10device_ptrIxEEEESE_SE_xNS9_10multipliesIxEENS9_8equal_toIxEExEE10hipError_tPvRmT2_T3_T4_T5_mT6_T7_P12ihipStream_tbENKUlT_T0_E_clISt17integral_constantIbLb1EESY_IbLb0EEEEDaSU_SV_EUlSU_E_NS1_11comp_targetILNS1_3genE3ELNS1_11target_archE908ELNS1_3gpuE7ELNS1_3repE0EEENS1_30default_config_static_selectorELNS0_4arch9wavefront6targetE0EEEvT1_.has_dyn_sized_stack, 0
	.set _ZN7rocprim17ROCPRIM_400000_NS6detail17trampoline_kernelINS0_14default_configENS1_27scan_by_key_config_selectorIxxEEZZNS1_16scan_by_key_implILNS1_25lookback_scan_determinismE0ELb0ES3_N6thrust23THRUST_200600_302600_NS6detail15normal_iteratorINS9_10device_ptrIxEEEESE_SE_xNS9_10multipliesIxEENS9_8equal_toIxEExEE10hipError_tPvRmT2_T3_T4_T5_mT6_T7_P12ihipStream_tbENKUlT_T0_E_clISt17integral_constantIbLb1EESY_IbLb0EEEEDaSU_SV_EUlSU_E_NS1_11comp_targetILNS1_3genE3ELNS1_11target_archE908ELNS1_3gpuE7ELNS1_3repE0EEENS1_30default_config_static_selectorELNS0_4arch9wavefront6targetE0EEEvT1_.has_recursion, 0
	.set _ZN7rocprim17ROCPRIM_400000_NS6detail17trampoline_kernelINS0_14default_configENS1_27scan_by_key_config_selectorIxxEEZZNS1_16scan_by_key_implILNS1_25lookback_scan_determinismE0ELb0ES3_N6thrust23THRUST_200600_302600_NS6detail15normal_iteratorINS9_10device_ptrIxEEEESE_SE_xNS9_10multipliesIxEENS9_8equal_toIxEExEE10hipError_tPvRmT2_T3_T4_T5_mT6_T7_P12ihipStream_tbENKUlT_T0_E_clISt17integral_constantIbLb1EESY_IbLb0EEEEDaSU_SV_EUlSU_E_NS1_11comp_targetILNS1_3genE3ELNS1_11target_archE908ELNS1_3gpuE7ELNS1_3repE0EEENS1_30default_config_static_selectorELNS0_4arch9wavefront6targetE0EEEvT1_.has_indirect_call, 0
	.section	.AMDGPU.csdata,"",@progbits
; Kernel info:
; codeLenInByte = 0
; TotalNumSgprs: 0
; NumVgprs: 0
; ScratchSize: 0
; MemoryBound: 0
; FloatMode: 240
; IeeeMode: 1
; LDSByteSize: 0 bytes/workgroup (compile time only)
; SGPRBlocks: 0
; VGPRBlocks: 0
; NumSGPRsForWavesPerEU: 1
; NumVGPRsForWavesPerEU: 1
; NamedBarCnt: 0
; Occupancy: 16
; WaveLimiterHint : 0
; COMPUTE_PGM_RSRC2:SCRATCH_EN: 0
; COMPUTE_PGM_RSRC2:USER_SGPR: 2
; COMPUTE_PGM_RSRC2:TRAP_HANDLER: 0
; COMPUTE_PGM_RSRC2:TGID_X_EN: 1
; COMPUTE_PGM_RSRC2:TGID_Y_EN: 0
; COMPUTE_PGM_RSRC2:TGID_Z_EN: 0
; COMPUTE_PGM_RSRC2:TIDIG_COMP_CNT: 0
	.section	.text._ZN7rocprim17ROCPRIM_400000_NS6detail17trampoline_kernelINS0_14default_configENS1_27scan_by_key_config_selectorIxxEEZZNS1_16scan_by_key_implILNS1_25lookback_scan_determinismE0ELb0ES3_N6thrust23THRUST_200600_302600_NS6detail15normal_iteratorINS9_10device_ptrIxEEEESE_SE_xNS9_10multipliesIxEENS9_8equal_toIxEExEE10hipError_tPvRmT2_T3_T4_T5_mT6_T7_P12ihipStream_tbENKUlT_T0_E_clISt17integral_constantIbLb1EESY_IbLb0EEEEDaSU_SV_EUlSU_E_NS1_11comp_targetILNS1_3genE2ELNS1_11target_archE906ELNS1_3gpuE6ELNS1_3repE0EEENS1_30default_config_static_selectorELNS0_4arch9wavefront6targetE0EEEvT1_,"axG",@progbits,_ZN7rocprim17ROCPRIM_400000_NS6detail17trampoline_kernelINS0_14default_configENS1_27scan_by_key_config_selectorIxxEEZZNS1_16scan_by_key_implILNS1_25lookback_scan_determinismE0ELb0ES3_N6thrust23THRUST_200600_302600_NS6detail15normal_iteratorINS9_10device_ptrIxEEEESE_SE_xNS9_10multipliesIxEENS9_8equal_toIxEExEE10hipError_tPvRmT2_T3_T4_T5_mT6_T7_P12ihipStream_tbENKUlT_T0_E_clISt17integral_constantIbLb1EESY_IbLb0EEEEDaSU_SV_EUlSU_E_NS1_11comp_targetILNS1_3genE2ELNS1_11target_archE906ELNS1_3gpuE6ELNS1_3repE0EEENS1_30default_config_static_selectorELNS0_4arch9wavefront6targetE0EEEvT1_,comdat
	.protected	_ZN7rocprim17ROCPRIM_400000_NS6detail17trampoline_kernelINS0_14default_configENS1_27scan_by_key_config_selectorIxxEEZZNS1_16scan_by_key_implILNS1_25lookback_scan_determinismE0ELb0ES3_N6thrust23THRUST_200600_302600_NS6detail15normal_iteratorINS9_10device_ptrIxEEEESE_SE_xNS9_10multipliesIxEENS9_8equal_toIxEExEE10hipError_tPvRmT2_T3_T4_T5_mT6_T7_P12ihipStream_tbENKUlT_T0_E_clISt17integral_constantIbLb1EESY_IbLb0EEEEDaSU_SV_EUlSU_E_NS1_11comp_targetILNS1_3genE2ELNS1_11target_archE906ELNS1_3gpuE6ELNS1_3repE0EEENS1_30default_config_static_selectorELNS0_4arch9wavefront6targetE0EEEvT1_ ; -- Begin function _ZN7rocprim17ROCPRIM_400000_NS6detail17trampoline_kernelINS0_14default_configENS1_27scan_by_key_config_selectorIxxEEZZNS1_16scan_by_key_implILNS1_25lookback_scan_determinismE0ELb0ES3_N6thrust23THRUST_200600_302600_NS6detail15normal_iteratorINS9_10device_ptrIxEEEESE_SE_xNS9_10multipliesIxEENS9_8equal_toIxEExEE10hipError_tPvRmT2_T3_T4_T5_mT6_T7_P12ihipStream_tbENKUlT_T0_E_clISt17integral_constantIbLb1EESY_IbLb0EEEEDaSU_SV_EUlSU_E_NS1_11comp_targetILNS1_3genE2ELNS1_11target_archE906ELNS1_3gpuE6ELNS1_3repE0EEENS1_30default_config_static_selectorELNS0_4arch9wavefront6targetE0EEEvT1_
	.globl	_ZN7rocprim17ROCPRIM_400000_NS6detail17trampoline_kernelINS0_14default_configENS1_27scan_by_key_config_selectorIxxEEZZNS1_16scan_by_key_implILNS1_25lookback_scan_determinismE0ELb0ES3_N6thrust23THRUST_200600_302600_NS6detail15normal_iteratorINS9_10device_ptrIxEEEESE_SE_xNS9_10multipliesIxEENS9_8equal_toIxEExEE10hipError_tPvRmT2_T3_T4_T5_mT6_T7_P12ihipStream_tbENKUlT_T0_E_clISt17integral_constantIbLb1EESY_IbLb0EEEEDaSU_SV_EUlSU_E_NS1_11comp_targetILNS1_3genE2ELNS1_11target_archE906ELNS1_3gpuE6ELNS1_3repE0EEENS1_30default_config_static_selectorELNS0_4arch9wavefront6targetE0EEEvT1_
	.p2align	8
	.type	_ZN7rocprim17ROCPRIM_400000_NS6detail17trampoline_kernelINS0_14default_configENS1_27scan_by_key_config_selectorIxxEEZZNS1_16scan_by_key_implILNS1_25lookback_scan_determinismE0ELb0ES3_N6thrust23THRUST_200600_302600_NS6detail15normal_iteratorINS9_10device_ptrIxEEEESE_SE_xNS9_10multipliesIxEENS9_8equal_toIxEExEE10hipError_tPvRmT2_T3_T4_T5_mT6_T7_P12ihipStream_tbENKUlT_T0_E_clISt17integral_constantIbLb1EESY_IbLb0EEEEDaSU_SV_EUlSU_E_NS1_11comp_targetILNS1_3genE2ELNS1_11target_archE906ELNS1_3gpuE6ELNS1_3repE0EEENS1_30default_config_static_selectorELNS0_4arch9wavefront6targetE0EEEvT1_,@function
_ZN7rocprim17ROCPRIM_400000_NS6detail17trampoline_kernelINS0_14default_configENS1_27scan_by_key_config_selectorIxxEEZZNS1_16scan_by_key_implILNS1_25lookback_scan_determinismE0ELb0ES3_N6thrust23THRUST_200600_302600_NS6detail15normal_iteratorINS9_10device_ptrIxEEEESE_SE_xNS9_10multipliesIxEENS9_8equal_toIxEExEE10hipError_tPvRmT2_T3_T4_T5_mT6_T7_P12ihipStream_tbENKUlT_T0_E_clISt17integral_constantIbLb1EESY_IbLb0EEEEDaSU_SV_EUlSU_E_NS1_11comp_targetILNS1_3genE2ELNS1_11target_archE906ELNS1_3gpuE6ELNS1_3repE0EEENS1_30default_config_static_selectorELNS0_4arch9wavefront6targetE0EEEvT1_: ; @_ZN7rocprim17ROCPRIM_400000_NS6detail17trampoline_kernelINS0_14default_configENS1_27scan_by_key_config_selectorIxxEEZZNS1_16scan_by_key_implILNS1_25lookback_scan_determinismE0ELb0ES3_N6thrust23THRUST_200600_302600_NS6detail15normal_iteratorINS9_10device_ptrIxEEEESE_SE_xNS9_10multipliesIxEENS9_8equal_toIxEExEE10hipError_tPvRmT2_T3_T4_T5_mT6_T7_P12ihipStream_tbENKUlT_T0_E_clISt17integral_constantIbLb1EESY_IbLb0EEEEDaSU_SV_EUlSU_E_NS1_11comp_targetILNS1_3genE2ELNS1_11target_archE906ELNS1_3gpuE6ELNS1_3repE0EEENS1_30default_config_static_selectorELNS0_4arch9wavefront6targetE0EEEvT1_
; %bb.0:
	.section	.rodata,"a",@progbits
	.p2align	6, 0x0
	.amdhsa_kernel _ZN7rocprim17ROCPRIM_400000_NS6detail17trampoline_kernelINS0_14default_configENS1_27scan_by_key_config_selectorIxxEEZZNS1_16scan_by_key_implILNS1_25lookback_scan_determinismE0ELb0ES3_N6thrust23THRUST_200600_302600_NS6detail15normal_iteratorINS9_10device_ptrIxEEEESE_SE_xNS9_10multipliesIxEENS9_8equal_toIxEExEE10hipError_tPvRmT2_T3_T4_T5_mT6_T7_P12ihipStream_tbENKUlT_T0_E_clISt17integral_constantIbLb1EESY_IbLb0EEEEDaSU_SV_EUlSU_E_NS1_11comp_targetILNS1_3genE2ELNS1_11target_archE906ELNS1_3gpuE6ELNS1_3repE0EEENS1_30default_config_static_selectorELNS0_4arch9wavefront6targetE0EEEvT1_
		.amdhsa_group_segment_fixed_size 0
		.amdhsa_private_segment_fixed_size 0
		.amdhsa_kernarg_size 136
		.amdhsa_user_sgpr_count 2
		.amdhsa_user_sgpr_dispatch_ptr 0
		.amdhsa_user_sgpr_queue_ptr 0
		.amdhsa_user_sgpr_kernarg_segment_ptr 1
		.amdhsa_user_sgpr_dispatch_id 0
		.amdhsa_user_sgpr_kernarg_preload_length 0
		.amdhsa_user_sgpr_kernarg_preload_offset 0
		.amdhsa_user_sgpr_private_segment_size 0
		.amdhsa_wavefront_size32 1
		.amdhsa_uses_dynamic_stack 0
		.amdhsa_enable_private_segment 0
		.amdhsa_system_sgpr_workgroup_id_x 1
		.amdhsa_system_sgpr_workgroup_id_y 0
		.amdhsa_system_sgpr_workgroup_id_z 0
		.amdhsa_system_sgpr_workgroup_info 0
		.amdhsa_system_vgpr_workitem_id 0
		.amdhsa_next_free_vgpr 1
		.amdhsa_next_free_sgpr 1
		.amdhsa_named_barrier_count 0
		.amdhsa_reserve_vcc 0
		.amdhsa_float_round_mode_32 0
		.amdhsa_float_round_mode_16_64 0
		.amdhsa_float_denorm_mode_32 3
		.amdhsa_float_denorm_mode_16_64 3
		.amdhsa_fp16_overflow 0
		.amdhsa_memory_ordered 1
		.amdhsa_forward_progress 1
		.amdhsa_inst_pref_size 0
		.amdhsa_round_robin_scheduling 0
		.amdhsa_exception_fp_ieee_invalid_op 0
		.amdhsa_exception_fp_denorm_src 0
		.amdhsa_exception_fp_ieee_div_zero 0
		.amdhsa_exception_fp_ieee_overflow 0
		.amdhsa_exception_fp_ieee_underflow 0
		.amdhsa_exception_fp_ieee_inexact 0
		.amdhsa_exception_int_div_zero 0
	.end_amdhsa_kernel
	.section	.text._ZN7rocprim17ROCPRIM_400000_NS6detail17trampoline_kernelINS0_14default_configENS1_27scan_by_key_config_selectorIxxEEZZNS1_16scan_by_key_implILNS1_25lookback_scan_determinismE0ELb0ES3_N6thrust23THRUST_200600_302600_NS6detail15normal_iteratorINS9_10device_ptrIxEEEESE_SE_xNS9_10multipliesIxEENS9_8equal_toIxEExEE10hipError_tPvRmT2_T3_T4_T5_mT6_T7_P12ihipStream_tbENKUlT_T0_E_clISt17integral_constantIbLb1EESY_IbLb0EEEEDaSU_SV_EUlSU_E_NS1_11comp_targetILNS1_3genE2ELNS1_11target_archE906ELNS1_3gpuE6ELNS1_3repE0EEENS1_30default_config_static_selectorELNS0_4arch9wavefront6targetE0EEEvT1_,"axG",@progbits,_ZN7rocprim17ROCPRIM_400000_NS6detail17trampoline_kernelINS0_14default_configENS1_27scan_by_key_config_selectorIxxEEZZNS1_16scan_by_key_implILNS1_25lookback_scan_determinismE0ELb0ES3_N6thrust23THRUST_200600_302600_NS6detail15normal_iteratorINS9_10device_ptrIxEEEESE_SE_xNS9_10multipliesIxEENS9_8equal_toIxEExEE10hipError_tPvRmT2_T3_T4_T5_mT6_T7_P12ihipStream_tbENKUlT_T0_E_clISt17integral_constantIbLb1EESY_IbLb0EEEEDaSU_SV_EUlSU_E_NS1_11comp_targetILNS1_3genE2ELNS1_11target_archE906ELNS1_3gpuE6ELNS1_3repE0EEENS1_30default_config_static_selectorELNS0_4arch9wavefront6targetE0EEEvT1_,comdat
.Lfunc_end70:
	.size	_ZN7rocprim17ROCPRIM_400000_NS6detail17trampoline_kernelINS0_14default_configENS1_27scan_by_key_config_selectorIxxEEZZNS1_16scan_by_key_implILNS1_25lookback_scan_determinismE0ELb0ES3_N6thrust23THRUST_200600_302600_NS6detail15normal_iteratorINS9_10device_ptrIxEEEESE_SE_xNS9_10multipliesIxEENS9_8equal_toIxEExEE10hipError_tPvRmT2_T3_T4_T5_mT6_T7_P12ihipStream_tbENKUlT_T0_E_clISt17integral_constantIbLb1EESY_IbLb0EEEEDaSU_SV_EUlSU_E_NS1_11comp_targetILNS1_3genE2ELNS1_11target_archE906ELNS1_3gpuE6ELNS1_3repE0EEENS1_30default_config_static_selectorELNS0_4arch9wavefront6targetE0EEEvT1_, .Lfunc_end70-_ZN7rocprim17ROCPRIM_400000_NS6detail17trampoline_kernelINS0_14default_configENS1_27scan_by_key_config_selectorIxxEEZZNS1_16scan_by_key_implILNS1_25lookback_scan_determinismE0ELb0ES3_N6thrust23THRUST_200600_302600_NS6detail15normal_iteratorINS9_10device_ptrIxEEEESE_SE_xNS9_10multipliesIxEENS9_8equal_toIxEExEE10hipError_tPvRmT2_T3_T4_T5_mT6_T7_P12ihipStream_tbENKUlT_T0_E_clISt17integral_constantIbLb1EESY_IbLb0EEEEDaSU_SV_EUlSU_E_NS1_11comp_targetILNS1_3genE2ELNS1_11target_archE906ELNS1_3gpuE6ELNS1_3repE0EEENS1_30default_config_static_selectorELNS0_4arch9wavefront6targetE0EEEvT1_
                                        ; -- End function
	.set _ZN7rocprim17ROCPRIM_400000_NS6detail17trampoline_kernelINS0_14default_configENS1_27scan_by_key_config_selectorIxxEEZZNS1_16scan_by_key_implILNS1_25lookback_scan_determinismE0ELb0ES3_N6thrust23THRUST_200600_302600_NS6detail15normal_iteratorINS9_10device_ptrIxEEEESE_SE_xNS9_10multipliesIxEENS9_8equal_toIxEExEE10hipError_tPvRmT2_T3_T4_T5_mT6_T7_P12ihipStream_tbENKUlT_T0_E_clISt17integral_constantIbLb1EESY_IbLb0EEEEDaSU_SV_EUlSU_E_NS1_11comp_targetILNS1_3genE2ELNS1_11target_archE906ELNS1_3gpuE6ELNS1_3repE0EEENS1_30default_config_static_selectorELNS0_4arch9wavefront6targetE0EEEvT1_.num_vgpr, 0
	.set _ZN7rocprim17ROCPRIM_400000_NS6detail17trampoline_kernelINS0_14default_configENS1_27scan_by_key_config_selectorIxxEEZZNS1_16scan_by_key_implILNS1_25lookback_scan_determinismE0ELb0ES3_N6thrust23THRUST_200600_302600_NS6detail15normal_iteratorINS9_10device_ptrIxEEEESE_SE_xNS9_10multipliesIxEENS9_8equal_toIxEExEE10hipError_tPvRmT2_T3_T4_T5_mT6_T7_P12ihipStream_tbENKUlT_T0_E_clISt17integral_constantIbLb1EESY_IbLb0EEEEDaSU_SV_EUlSU_E_NS1_11comp_targetILNS1_3genE2ELNS1_11target_archE906ELNS1_3gpuE6ELNS1_3repE0EEENS1_30default_config_static_selectorELNS0_4arch9wavefront6targetE0EEEvT1_.num_agpr, 0
	.set _ZN7rocprim17ROCPRIM_400000_NS6detail17trampoline_kernelINS0_14default_configENS1_27scan_by_key_config_selectorIxxEEZZNS1_16scan_by_key_implILNS1_25lookback_scan_determinismE0ELb0ES3_N6thrust23THRUST_200600_302600_NS6detail15normal_iteratorINS9_10device_ptrIxEEEESE_SE_xNS9_10multipliesIxEENS9_8equal_toIxEExEE10hipError_tPvRmT2_T3_T4_T5_mT6_T7_P12ihipStream_tbENKUlT_T0_E_clISt17integral_constantIbLb1EESY_IbLb0EEEEDaSU_SV_EUlSU_E_NS1_11comp_targetILNS1_3genE2ELNS1_11target_archE906ELNS1_3gpuE6ELNS1_3repE0EEENS1_30default_config_static_selectorELNS0_4arch9wavefront6targetE0EEEvT1_.numbered_sgpr, 0
	.set _ZN7rocprim17ROCPRIM_400000_NS6detail17trampoline_kernelINS0_14default_configENS1_27scan_by_key_config_selectorIxxEEZZNS1_16scan_by_key_implILNS1_25lookback_scan_determinismE0ELb0ES3_N6thrust23THRUST_200600_302600_NS6detail15normal_iteratorINS9_10device_ptrIxEEEESE_SE_xNS9_10multipliesIxEENS9_8equal_toIxEExEE10hipError_tPvRmT2_T3_T4_T5_mT6_T7_P12ihipStream_tbENKUlT_T0_E_clISt17integral_constantIbLb1EESY_IbLb0EEEEDaSU_SV_EUlSU_E_NS1_11comp_targetILNS1_3genE2ELNS1_11target_archE906ELNS1_3gpuE6ELNS1_3repE0EEENS1_30default_config_static_selectorELNS0_4arch9wavefront6targetE0EEEvT1_.num_named_barrier, 0
	.set _ZN7rocprim17ROCPRIM_400000_NS6detail17trampoline_kernelINS0_14default_configENS1_27scan_by_key_config_selectorIxxEEZZNS1_16scan_by_key_implILNS1_25lookback_scan_determinismE0ELb0ES3_N6thrust23THRUST_200600_302600_NS6detail15normal_iteratorINS9_10device_ptrIxEEEESE_SE_xNS9_10multipliesIxEENS9_8equal_toIxEExEE10hipError_tPvRmT2_T3_T4_T5_mT6_T7_P12ihipStream_tbENKUlT_T0_E_clISt17integral_constantIbLb1EESY_IbLb0EEEEDaSU_SV_EUlSU_E_NS1_11comp_targetILNS1_3genE2ELNS1_11target_archE906ELNS1_3gpuE6ELNS1_3repE0EEENS1_30default_config_static_selectorELNS0_4arch9wavefront6targetE0EEEvT1_.private_seg_size, 0
	.set _ZN7rocprim17ROCPRIM_400000_NS6detail17trampoline_kernelINS0_14default_configENS1_27scan_by_key_config_selectorIxxEEZZNS1_16scan_by_key_implILNS1_25lookback_scan_determinismE0ELb0ES3_N6thrust23THRUST_200600_302600_NS6detail15normal_iteratorINS9_10device_ptrIxEEEESE_SE_xNS9_10multipliesIxEENS9_8equal_toIxEExEE10hipError_tPvRmT2_T3_T4_T5_mT6_T7_P12ihipStream_tbENKUlT_T0_E_clISt17integral_constantIbLb1EESY_IbLb0EEEEDaSU_SV_EUlSU_E_NS1_11comp_targetILNS1_3genE2ELNS1_11target_archE906ELNS1_3gpuE6ELNS1_3repE0EEENS1_30default_config_static_selectorELNS0_4arch9wavefront6targetE0EEEvT1_.uses_vcc, 0
	.set _ZN7rocprim17ROCPRIM_400000_NS6detail17trampoline_kernelINS0_14default_configENS1_27scan_by_key_config_selectorIxxEEZZNS1_16scan_by_key_implILNS1_25lookback_scan_determinismE0ELb0ES3_N6thrust23THRUST_200600_302600_NS6detail15normal_iteratorINS9_10device_ptrIxEEEESE_SE_xNS9_10multipliesIxEENS9_8equal_toIxEExEE10hipError_tPvRmT2_T3_T4_T5_mT6_T7_P12ihipStream_tbENKUlT_T0_E_clISt17integral_constantIbLb1EESY_IbLb0EEEEDaSU_SV_EUlSU_E_NS1_11comp_targetILNS1_3genE2ELNS1_11target_archE906ELNS1_3gpuE6ELNS1_3repE0EEENS1_30default_config_static_selectorELNS0_4arch9wavefront6targetE0EEEvT1_.uses_flat_scratch, 0
	.set _ZN7rocprim17ROCPRIM_400000_NS6detail17trampoline_kernelINS0_14default_configENS1_27scan_by_key_config_selectorIxxEEZZNS1_16scan_by_key_implILNS1_25lookback_scan_determinismE0ELb0ES3_N6thrust23THRUST_200600_302600_NS6detail15normal_iteratorINS9_10device_ptrIxEEEESE_SE_xNS9_10multipliesIxEENS9_8equal_toIxEExEE10hipError_tPvRmT2_T3_T4_T5_mT6_T7_P12ihipStream_tbENKUlT_T0_E_clISt17integral_constantIbLb1EESY_IbLb0EEEEDaSU_SV_EUlSU_E_NS1_11comp_targetILNS1_3genE2ELNS1_11target_archE906ELNS1_3gpuE6ELNS1_3repE0EEENS1_30default_config_static_selectorELNS0_4arch9wavefront6targetE0EEEvT1_.has_dyn_sized_stack, 0
	.set _ZN7rocprim17ROCPRIM_400000_NS6detail17trampoline_kernelINS0_14default_configENS1_27scan_by_key_config_selectorIxxEEZZNS1_16scan_by_key_implILNS1_25lookback_scan_determinismE0ELb0ES3_N6thrust23THRUST_200600_302600_NS6detail15normal_iteratorINS9_10device_ptrIxEEEESE_SE_xNS9_10multipliesIxEENS9_8equal_toIxEExEE10hipError_tPvRmT2_T3_T4_T5_mT6_T7_P12ihipStream_tbENKUlT_T0_E_clISt17integral_constantIbLb1EESY_IbLb0EEEEDaSU_SV_EUlSU_E_NS1_11comp_targetILNS1_3genE2ELNS1_11target_archE906ELNS1_3gpuE6ELNS1_3repE0EEENS1_30default_config_static_selectorELNS0_4arch9wavefront6targetE0EEEvT1_.has_recursion, 0
	.set _ZN7rocprim17ROCPRIM_400000_NS6detail17trampoline_kernelINS0_14default_configENS1_27scan_by_key_config_selectorIxxEEZZNS1_16scan_by_key_implILNS1_25lookback_scan_determinismE0ELb0ES3_N6thrust23THRUST_200600_302600_NS6detail15normal_iteratorINS9_10device_ptrIxEEEESE_SE_xNS9_10multipliesIxEENS9_8equal_toIxEExEE10hipError_tPvRmT2_T3_T4_T5_mT6_T7_P12ihipStream_tbENKUlT_T0_E_clISt17integral_constantIbLb1EESY_IbLb0EEEEDaSU_SV_EUlSU_E_NS1_11comp_targetILNS1_3genE2ELNS1_11target_archE906ELNS1_3gpuE6ELNS1_3repE0EEENS1_30default_config_static_selectorELNS0_4arch9wavefront6targetE0EEEvT1_.has_indirect_call, 0
	.section	.AMDGPU.csdata,"",@progbits
; Kernel info:
; codeLenInByte = 0
; TotalNumSgprs: 0
; NumVgprs: 0
; ScratchSize: 0
; MemoryBound: 0
; FloatMode: 240
; IeeeMode: 1
; LDSByteSize: 0 bytes/workgroup (compile time only)
; SGPRBlocks: 0
; VGPRBlocks: 0
; NumSGPRsForWavesPerEU: 1
; NumVGPRsForWavesPerEU: 1
; NamedBarCnt: 0
; Occupancy: 16
; WaveLimiterHint : 0
; COMPUTE_PGM_RSRC2:SCRATCH_EN: 0
; COMPUTE_PGM_RSRC2:USER_SGPR: 2
; COMPUTE_PGM_RSRC2:TRAP_HANDLER: 0
; COMPUTE_PGM_RSRC2:TGID_X_EN: 1
; COMPUTE_PGM_RSRC2:TGID_Y_EN: 0
; COMPUTE_PGM_RSRC2:TGID_Z_EN: 0
; COMPUTE_PGM_RSRC2:TIDIG_COMP_CNT: 0
	.section	.text._ZN7rocprim17ROCPRIM_400000_NS6detail17trampoline_kernelINS0_14default_configENS1_27scan_by_key_config_selectorIxxEEZZNS1_16scan_by_key_implILNS1_25lookback_scan_determinismE0ELb0ES3_N6thrust23THRUST_200600_302600_NS6detail15normal_iteratorINS9_10device_ptrIxEEEESE_SE_xNS9_10multipliesIxEENS9_8equal_toIxEExEE10hipError_tPvRmT2_T3_T4_T5_mT6_T7_P12ihipStream_tbENKUlT_T0_E_clISt17integral_constantIbLb1EESY_IbLb0EEEEDaSU_SV_EUlSU_E_NS1_11comp_targetILNS1_3genE10ELNS1_11target_archE1200ELNS1_3gpuE4ELNS1_3repE0EEENS1_30default_config_static_selectorELNS0_4arch9wavefront6targetE0EEEvT1_,"axG",@progbits,_ZN7rocprim17ROCPRIM_400000_NS6detail17trampoline_kernelINS0_14default_configENS1_27scan_by_key_config_selectorIxxEEZZNS1_16scan_by_key_implILNS1_25lookback_scan_determinismE0ELb0ES3_N6thrust23THRUST_200600_302600_NS6detail15normal_iteratorINS9_10device_ptrIxEEEESE_SE_xNS9_10multipliesIxEENS9_8equal_toIxEExEE10hipError_tPvRmT2_T3_T4_T5_mT6_T7_P12ihipStream_tbENKUlT_T0_E_clISt17integral_constantIbLb1EESY_IbLb0EEEEDaSU_SV_EUlSU_E_NS1_11comp_targetILNS1_3genE10ELNS1_11target_archE1200ELNS1_3gpuE4ELNS1_3repE0EEENS1_30default_config_static_selectorELNS0_4arch9wavefront6targetE0EEEvT1_,comdat
	.protected	_ZN7rocprim17ROCPRIM_400000_NS6detail17trampoline_kernelINS0_14default_configENS1_27scan_by_key_config_selectorIxxEEZZNS1_16scan_by_key_implILNS1_25lookback_scan_determinismE0ELb0ES3_N6thrust23THRUST_200600_302600_NS6detail15normal_iteratorINS9_10device_ptrIxEEEESE_SE_xNS9_10multipliesIxEENS9_8equal_toIxEExEE10hipError_tPvRmT2_T3_T4_T5_mT6_T7_P12ihipStream_tbENKUlT_T0_E_clISt17integral_constantIbLb1EESY_IbLb0EEEEDaSU_SV_EUlSU_E_NS1_11comp_targetILNS1_3genE10ELNS1_11target_archE1200ELNS1_3gpuE4ELNS1_3repE0EEENS1_30default_config_static_selectorELNS0_4arch9wavefront6targetE0EEEvT1_ ; -- Begin function _ZN7rocprim17ROCPRIM_400000_NS6detail17trampoline_kernelINS0_14default_configENS1_27scan_by_key_config_selectorIxxEEZZNS1_16scan_by_key_implILNS1_25lookback_scan_determinismE0ELb0ES3_N6thrust23THRUST_200600_302600_NS6detail15normal_iteratorINS9_10device_ptrIxEEEESE_SE_xNS9_10multipliesIxEENS9_8equal_toIxEExEE10hipError_tPvRmT2_T3_T4_T5_mT6_T7_P12ihipStream_tbENKUlT_T0_E_clISt17integral_constantIbLb1EESY_IbLb0EEEEDaSU_SV_EUlSU_E_NS1_11comp_targetILNS1_3genE10ELNS1_11target_archE1200ELNS1_3gpuE4ELNS1_3repE0EEENS1_30default_config_static_selectorELNS0_4arch9wavefront6targetE0EEEvT1_
	.globl	_ZN7rocprim17ROCPRIM_400000_NS6detail17trampoline_kernelINS0_14default_configENS1_27scan_by_key_config_selectorIxxEEZZNS1_16scan_by_key_implILNS1_25lookback_scan_determinismE0ELb0ES3_N6thrust23THRUST_200600_302600_NS6detail15normal_iteratorINS9_10device_ptrIxEEEESE_SE_xNS9_10multipliesIxEENS9_8equal_toIxEExEE10hipError_tPvRmT2_T3_T4_T5_mT6_T7_P12ihipStream_tbENKUlT_T0_E_clISt17integral_constantIbLb1EESY_IbLb0EEEEDaSU_SV_EUlSU_E_NS1_11comp_targetILNS1_3genE10ELNS1_11target_archE1200ELNS1_3gpuE4ELNS1_3repE0EEENS1_30default_config_static_selectorELNS0_4arch9wavefront6targetE0EEEvT1_
	.p2align	8
	.type	_ZN7rocprim17ROCPRIM_400000_NS6detail17trampoline_kernelINS0_14default_configENS1_27scan_by_key_config_selectorIxxEEZZNS1_16scan_by_key_implILNS1_25lookback_scan_determinismE0ELb0ES3_N6thrust23THRUST_200600_302600_NS6detail15normal_iteratorINS9_10device_ptrIxEEEESE_SE_xNS9_10multipliesIxEENS9_8equal_toIxEExEE10hipError_tPvRmT2_T3_T4_T5_mT6_T7_P12ihipStream_tbENKUlT_T0_E_clISt17integral_constantIbLb1EESY_IbLb0EEEEDaSU_SV_EUlSU_E_NS1_11comp_targetILNS1_3genE10ELNS1_11target_archE1200ELNS1_3gpuE4ELNS1_3repE0EEENS1_30default_config_static_selectorELNS0_4arch9wavefront6targetE0EEEvT1_,@function
_ZN7rocprim17ROCPRIM_400000_NS6detail17trampoline_kernelINS0_14default_configENS1_27scan_by_key_config_selectorIxxEEZZNS1_16scan_by_key_implILNS1_25lookback_scan_determinismE0ELb0ES3_N6thrust23THRUST_200600_302600_NS6detail15normal_iteratorINS9_10device_ptrIxEEEESE_SE_xNS9_10multipliesIxEENS9_8equal_toIxEExEE10hipError_tPvRmT2_T3_T4_T5_mT6_T7_P12ihipStream_tbENKUlT_T0_E_clISt17integral_constantIbLb1EESY_IbLb0EEEEDaSU_SV_EUlSU_E_NS1_11comp_targetILNS1_3genE10ELNS1_11target_archE1200ELNS1_3gpuE4ELNS1_3repE0EEENS1_30default_config_static_selectorELNS0_4arch9wavefront6targetE0EEEvT1_: ; @_ZN7rocprim17ROCPRIM_400000_NS6detail17trampoline_kernelINS0_14default_configENS1_27scan_by_key_config_selectorIxxEEZZNS1_16scan_by_key_implILNS1_25lookback_scan_determinismE0ELb0ES3_N6thrust23THRUST_200600_302600_NS6detail15normal_iteratorINS9_10device_ptrIxEEEESE_SE_xNS9_10multipliesIxEENS9_8equal_toIxEExEE10hipError_tPvRmT2_T3_T4_T5_mT6_T7_P12ihipStream_tbENKUlT_T0_E_clISt17integral_constantIbLb1EESY_IbLb0EEEEDaSU_SV_EUlSU_E_NS1_11comp_targetILNS1_3genE10ELNS1_11target_archE1200ELNS1_3gpuE4ELNS1_3repE0EEENS1_30default_config_static_selectorELNS0_4arch9wavefront6targetE0EEEvT1_
; %bb.0:
	.section	.rodata,"a",@progbits
	.p2align	6, 0x0
	.amdhsa_kernel _ZN7rocprim17ROCPRIM_400000_NS6detail17trampoline_kernelINS0_14default_configENS1_27scan_by_key_config_selectorIxxEEZZNS1_16scan_by_key_implILNS1_25lookback_scan_determinismE0ELb0ES3_N6thrust23THRUST_200600_302600_NS6detail15normal_iteratorINS9_10device_ptrIxEEEESE_SE_xNS9_10multipliesIxEENS9_8equal_toIxEExEE10hipError_tPvRmT2_T3_T4_T5_mT6_T7_P12ihipStream_tbENKUlT_T0_E_clISt17integral_constantIbLb1EESY_IbLb0EEEEDaSU_SV_EUlSU_E_NS1_11comp_targetILNS1_3genE10ELNS1_11target_archE1200ELNS1_3gpuE4ELNS1_3repE0EEENS1_30default_config_static_selectorELNS0_4arch9wavefront6targetE0EEEvT1_
		.amdhsa_group_segment_fixed_size 0
		.amdhsa_private_segment_fixed_size 0
		.amdhsa_kernarg_size 136
		.amdhsa_user_sgpr_count 2
		.amdhsa_user_sgpr_dispatch_ptr 0
		.amdhsa_user_sgpr_queue_ptr 0
		.amdhsa_user_sgpr_kernarg_segment_ptr 1
		.amdhsa_user_sgpr_dispatch_id 0
		.amdhsa_user_sgpr_kernarg_preload_length 0
		.amdhsa_user_sgpr_kernarg_preload_offset 0
		.amdhsa_user_sgpr_private_segment_size 0
		.amdhsa_wavefront_size32 1
		.amdhsa_uses_dynamic_stack 0
		.amdhsa_enable_private_segment 0
		.amdhsa_system_sgpr_workgroup_id_x 1
		.amdhsa_system_sgpr_workgroup_id_y 0
		.amdhsa_system_sgpr_workgroup_id_z 0
		.amdhsa_system_sgpr_workgroup_info 0
		.amdhsa_system_vgpr_workitem_id 0
		.amdhsa_next_free_vgpr 1
		.amdhsa_next_free_sgpr 1
		.amdhsa_named_barrier_count 0
		.amdhsa_reserve_vcc 0
		.amdhsa_float_round_mode_32 0
		.amdhsa_float_round_mode_16_64 0
		.amdhsa_float_denorm_mode_32 3
		.amdhsa_float_denorm_mode_16_64 3
		.amdhsa_fp16_overflow 0
		.amdhsa_memory_ordered 1
		.amdhsa_forward_progress 1
		.amdhsa_inst_pref_size 0
		.amdhsa_round_robin_scheduling 0
		.amdhsa_exception_fp_ieee_invalid_op 0
		.amdhsa_exception_fp_denorm_src 0
		.amdhsa_exception_fp_ieee_div_zero 0
		.amdhsa_exception_fp_ieee_overflow 0
		.amdhsa_exception_fp_ieee_underflow 0
		.amdhsa_exception_fp_ieee_inexact 0
		.amdhsa_exception_int_div_zero 0
	.end_amdhsa_kernel
	.section	.text._ZN7rocprim17ROCPRIM_400000_NS6detail17trampoline_kernelINS0_14default_configENS1_27scan_by_key_config_selectorIxxEEZZNS1_16scan_by_key_implILNS1_25lookback_scan_determinismE0ELb0ES3_N6thrust23THRUST_200600_302600_NS6detail15normal_iteratorINS9_10device_ptrIxEEEESE_SE_xNS9_10multipliesIxEENS9_8equal_toIxEExEE10hipError_tPvRmT2_T3_T4_T5_mT6_T7_P12ihipStream_tbENKUlT_T0_E_clISt17integral_constantIbLb1EESY_IbLb0EEEEDaSU_SV_EUlSU_E_NS1_11comp_targetILNS1_3genE10ELNS1_11target_archE1200ELNS1_3gpuE4ELNS1_3repE0EEENS1_30default_config_static_selectorELNS0_4arch9wavefront6targetE0EEEvT1_,"axG",@progbits,_ZN7rocprim17ROCPRIM_400000_NS6detail17trampoline_kernelINS0_14default_configENS1_27scan_by_key_config_selectorIxxEEZZNS1_16scan_by_key_implILNS1_25lookback_scan_determinismE0ELb0ES3_N6thrust23THRUST_200600_302600_NS6detail15normal_iteratorINS9_10device_ptrIxEEEESE_SE_xNS9_10multipliesIxEENS9_8equal_toIxEExEE10hipError_tPvRmT2_T3_T4_T5_mT6_T7_P12ihipStream_tbENKUlT_T0_E_clISt17integral_constantIbLb1EESY_IbLb0EEEEDaSU_SV_EUlSU_E_NS1_11comp_targetILNS1_3genE10ELNS1_11target_archE1200ELNS1_3gpuE4ELNS1_3repE0EEENS1_30default_config_static_selectorELNS0_4arch9wavefront6targetE0EEEvT1_,comdat
.Lfunc_end71:
	.size	_ZN7rocprim17ROCPRIM_400000_NS6detail17trampoline_kernelINS0_14default_configENS1_27scan_by_key_config_selectorIxxEEZZNS1_16scan_by_key_implILNS1_25lookback_scan_determinismE0ELb0ES3_N6thrust23THRUST_200600_302600_NS6detail15normal_iteratorINS9_10device_ptrIxEEEESE_SE_xNS9_10multipliesIxEENS9_8equal_toIxEExEE10hipError_tPvRmT2_T3_T4_T5_mT6_T7_P12ihipStream_tbENKUlT_T0_E_clISt17integral_constantIbLb1EESY_IbLb0EEEEDaSU_SV_EUlSU_E_NS1_11comp_targetILNS1_3genE10ELNS1_11target_archE1200ELNS1_3gpuE4ELNS1_3repE0EEENS1_30default_config_static_selectorELNS0_4arch9wavefront6targetE0EEEvT1_, .Lfunc_end71-_ZN7rocprim17ROCPRIM_400000_NS6detail17trampoline_kernelINS0_14default_configENS1_27scan_by_key_config_selectorIxxEEZZNS1_16scan_by_key_implILNS1_25lookback_scan_determinismE0ELb0ES3_N6thrust23THRUST_200600_302600_NS6detail15normal_iteratorINS9_10device_ptrIxEEEESE_SE_xNS9_10multipliesIxEENS9_8equal_toIxEExEE10hipError_tPvRmT2_T3_T4_T5_mT6_T7_P12ihipStream_tbENKUlT_T0_E_clISt17integral_constantIbLb1EESY_IbLb0EEEEDaSU_SV_EUlSU_E_NS1_11comp_targetILNS1_3genE10ELNS1_11target_archE1200ELNS1_3gpuE4ELNS1_3repE0EEENS1_30default_config_static_selectorELNS0_4arch9wavefront6targetE0EEEvT1_
                                        ; -- End function
	.set _ZN7rocprim17ROCPRIM_400000_NS6detail17trampoline_kernelINS0_14default_configENS1_27scan_by_key_config_selectorIxxEEZZNS1_16scan_by_key_implILNS1_25lookback_scan_determinismE0ELb0ES3_N6thrust23THRUST_200600_302600_NS6detail15normal_iteratorINS9_10device_ptrIxEEEESE_SE_xNS9_10multipliesIxEENS9_8equal_toIxEExEE10hipError_tPvRmT2_T3_T4_T5_mT6_T7_P12ihipStream_tbENKUlT_T0_E_clISt17integral_constantIbLb1EESY_IbLb0EEEEDaSU_SV_EUlSU_E_NS1_11comp_targetILNS1_3genE10ELNS1_11target_archE1200ELNS1_3gpuE4ELNS1_3repE0EEENS1_30default_config_static_selectorELNS0_4arch9wavefront6targetE0EEEvT1_.num_vgpr, 0
	.set _ZN7rocprim17ROCPRIM_400000_NS6detail17trampoline_kernelINS0_14default_configENS1_27scan_by_key_config_selectorIxxEEZZNS1_16scan_by_key_implILNS1_25lookback_scan_determinismE0ELb0ES3_N6thrust23THRUST_200600_302600_NS6detail15normal_iteratorINS9_10device_ptrIxEEEESE_SE_xNS9_10multipliesIxEENS9_8equal_toIxEExEE10hipError_tPvRmT2_T3_T4_T5_mT6_T7_P12ihipStream_tbENKUlT_T0_E_clISt17integral_constantIbLb1EESY_IbLb0EEEEDaSU_SV_EUlSU_E_NS1_11comp_targetILNS1_3genE10ELNS1_11target_archE1200ELNS1_3gpuE4ELNS1_3repE0EEENS1_30default_config_static_selectorELNS0_4arch9wavefront6targetE0EEEvT1_.num_agpr, 0
	.set _ZN7rocprim17ROCPRIM_400000_NS6detail17trampoline_kernelINS0_14default_configENS1_27scan_by_key_config_selectorIxxEEZZNS1_16scan_by_key_implILNS1_25lookback_scan_determinismE0ELb0ES3_N6thrust23THRUST_200600_302600_NS6detail15normal_iteratorINS9_10device_ptrIxEEEESE_SE_xNS9_10multipliesIxEENS9_8equal_toIxEExEE10hipError_tPvRmT2_T3_T4_T5_mT6_T7_P12ihipStream_tbENKUlT_T0_E_clISt17integral_constantIbLb1EESY_IbLb0EEEEDaSU_SV_EUlSU_E_NS1_11comp_targetILNS1_3genE10ELNS1_11target_archE1200ELNS1_3gpuE4ELNS1_3repE0EEENS1_30default_config_static_selectorELNS0_4arch9wavefront6targetE0EEEvT1_.numbered_sgpr, 0
	.set _ZN7rocprim17ROCPRIM_400000_NS6detail17trampoline_kernelINS0_14default_configENS1_27scan_by_key_config_selectorIxxEEZZNS1_16scan_by_key_implILNS1_25lookback_scan_determinismE0ELb0ES3_N6thrust23THRUST_200600_302600_NS6detail15normal_iteratorINS9_10device_ptrIxEEEESE_SE_xNS9_10multipliesIxEENS9_8equal_toIxEExEE10hipError_tPvRmT2_T3_T4_T5_mT6_T7_P12ihipStream_tbENKUlT_T0_E_clISt17integral_constantIbLb1EESY_IbLb0EEEEDaSU_SV_EUlSU_E_NS1_11comp_targetILNS1_3genE10ELNS1_11target_archE1200ELNS1_3gpuE4ELNS1_3repE0EEENS1_30default_config_static_selectorELNS0_4arch9wavefront6targetE0EEEvT1_.num_named_barrier, 0
	.set _ZN7rocprim17ROCPRIM_400000_NS6detail17trampoline_kernelINS0_14default_configENS1_27scan_by_key_config_selectorIxxEEZZNS1_16scan_by_key_implILNS1_25lookback_scan_determinismE0ELb0ES3_N6thrust23THRUST_200600_302600_NS6detail15normal_iteratorINS9_10device_ptrIxEEEESE_SE_xNS9_10multipliesIxEENS9_8equal_toIxEExEE10hipError_tPvRmT2_T3_T4_T5_mT6_T7_P12ihipStream_tbENKUlT_T0_E_clISt17integral_constantIbLb1EESY_IbLb0EEEEDaSU_SV_EUlSU_E_NS1_11comp_targetILNS1_3genE10ELNS1_11target_archE1200ELNS1_3gpuE4ELNS1_3repE0EEENS1_30default_config_static_selectorELNS0_4arch9wavefront6targetE0EEEvT1_.private_seg_size, 0
	.set _ZN7rocprim17ROCPRIM_400000_NS6detail17trampoline_kernelINS0_14default_configENS1_27scan_by_key_config_selectorIxxEEZZNS1_16scan_by_key_implILNS1_25lookback_scan_determinismE0ELb0ES3_N6thrust23THRUST_200600_302600_NS6detail15normal_iteratorINS9_10device_ptrIxEEEESE_SE_xNS9_10multipliesIxEENS9_8equal_toIxEExEE10hipError_tPvRmT2_T3_T4_T5_mT6_T7_P12ihipStream_tbENKUlT_T0_E_clISt17integral_constantIbLb1EESY_IbLb0EEEEDaSU_SV_EUlSU_E_NS1_11comp_targetILNS1_3genE10ELNS1_11target_archE1200ELNS1_3gpuE4ELNS1_3repE0EEENS1_30default_config_static_selectorELNS0_4arch9wavefront6targetE0EEEvT1_.uses_vcc, 0
	.set _ZN7rocprim17ROCPRIM_400000_NS6detail17trampoline_kernelINS0_14default_configENS1_27scan_by_key_config_selectorIxxEEZZNS1_16scan_by_key_implILNS1_25lookback_scan_determinismE0ELb0ES3_N6thrust23THRUST_200600_302600_NS6detail15normal_iteratorINS9_10device_ptrIxEEEESE_SE_xNS9_10multipliesIxEENS9_8equal_toIxEExEE10hipError_tPvRmT2_T3_T4_T5_mT6_T7_P12ihipStream_tbENKUlT_T0_E_clISt17integral_constantIbLb1EESY_IbLb0EEEEDaSU_SV_EUlSU_E_NS1_11comp_targetILNS1_3genE10ELNS1_11target_archE1200ELNS1_3gpuE4ELNS1_3repE0EEENS1_30default_config_static_selectorELNS0_4arch9wavefront6targetE0EEEvT1_.uses_flat_scratch, 0
	.set _ZN7rocprim17ROCPRIM_400000_NS6detail17trampoline_kernelINS0_14default_configENS1_27scan_by_key_config_selectorIxxEEZZNS1_16scan_by_key_implILNS1_25lookback_scan_determinismE0ELb0ES3_N6thrust23THRUST_200600_302600_NS6detail15normal_iteratorINS9_10device_ptrIxEEEESE_SE_xNS9_10multipliesIxEENS9_8equal_toIxEExEE10hipError_tPvRmT2_T3_T4_T5_mT6_T7_P12ihipStream_tbENKUlT_T0_E_clISt17integral_constantIbLb1EESY_IbLb0EEEEDaSU_SV_EUlSU_E_NS1_11comp_targetILNS1_3genE10ELNS1_11target_archE1200ELNS1_3gpuE4ELNS1_3repE0EEENS1_30default_config_static_selectorELNS0_4arch9wavefront6targetE0EEEvT1_.has_dyn_sized_stack, 0
	.set _ZN7rocprim17ROCPRIM_400000_NS6detail17trampoline_kernelINS0_14default_configENS1_27scan_by_key_config_selectorIxxEEZZNS1_16scan_by_key_implILNS1_25lookback_scan_determinismE0ELb0ES3_N6thrust23THRUST_200600_302600_NS6detail15normal_iteratorINS9_10device_ptrIxEEEESE_SE_xNS9_10multipliesIxEENS9_8equal_toIxEExEE10hipError_tPvRmT2_T3_T4_T5_mT6_T7_P12ihipStream_tbENKUlT_T0_E_clISt17integral_constantIbLb1EESY_IbLb0EEEEDaSU_SV_EUlSU_E_NS1_11comp_targetILNS1_3genE10ELNS1_11target_archE1200ELNS1_3gpuE4ELNS1_3repE0EEENS1_30default_config_static_selectorELNS0_4arch9wavefront6targetE0EEEvT1_.has_recursion, 0
	.set _ZN7rocprim17ROCPRIM_400000_NS6detail17trampoline_kernelINS0_14default_configENS1_27scan_by_key_config_selectorIxxEEZZNS1_16scan_by_key_implILNS1_25lookback_scan_determinismE0ELb0ES3_N6thrust23THRUST_200600_302600_NS6detail15normal_iteratorINS9_10device_ptrIxEEEESE_SE_xNS9_10multipliesIxEENS9_8equal_toIxEExEE10hipError_tPvRmT2_T3_T4_T5_mT6_T7_P12ihipStream_tbENKUlT_T0_E_clISt17integral_constantIbLb1EESY_IbLb0EEEEDaSU_SV_EUlSU_E_NS1_11comp_targetILNS1_3genE10ELNS1_11target_archE1200ELNS1_3gpuE4ELNS1_3repE0EEENS1_30default_config_static_selectorELNS0_4arch9wavefront6targetE0EEEvT1_.has_indirect_call, 0
	.section	.AMDGPU.csdata,"",@progbits
; Kernel info:
; codeLenInByte = 0
; TotalNumSgprs: 0
; NumVgprs: 0
; ScratchSize: 0
; MemoryBound: 0
; FloatMode: 240
; IeeeMode: 1
; LDSByteSize: 0 bytes/workgroup (compile time only)
; SGPRBlocks: 0
; VGPRBlocks: 0
; NumSGPRsForWavesPerEU: 1
; NumVGPRsForWavesPerEU: 1
; NamedBarCnt: 0
; Occupancy: 16
; WaveLimiterHint : 0
; COMPUTE_PGM_RSRC2:SCRATCH_EN: 0
; COMPUTE_PGM_RSRC2:USER_SGPR: 2
; COMPUTE_PGM_RSRC2:TRAP_HANDLER: 0
; COMPUTE_PGM_RSRC2:TGID_X_EN: 1
; COMPUTE_PGM_RSRC2:TGID_Y_EN: 0
; COMPUTE_PGM_RSRC2:TGID_Z_EN: 0
; COMPUTE_PGM_RSRC2:TIDIG_COMP_CNT: 0
	.section	.text._ZN7rocprim17ROCPRIM_400000_NS6detail17trampoline_kernelINS0_14default_configENS1_27scan_by_key_config_selectorIxxEEZZNS1_16scan_by_key_implILNS1_25lookback_scan_determinismE0ELb0ES3_N6thrust23THRUST_200600_302600_NS6detail15normal_iteratorINS9_10device_ptrIxEEEESE_SE_xNS9_10multipliesIxEENS9_8equal_toIxEExEE10hipError_tPvRmT2_T3_T4_T5_mT6_T7_P12ihipStream_tbENKUlT_T0_E_clISt17integral_constantIbLb1EESY_IbLb0EEEEDaSU_SV_EUlSU_E_NS1_11comp_targetILNS1_3genE9ELNS1_11target_archE1100ELNS1_3gpuE3ELNS1_3repE0EEENS1_30default_config_static_selectorELNS0_4arch9wavefront6targetE0EEEvT1_,"axG",@progbits,_ZN7rocprim17ROCPRIM_400000_NS6detail17trampoline_kernelINS0_14default_configENS1_27scan_by_key_config_selectorIxxEEZZNS1_16scan_by_key_implILNS1_25lookback_scan_determinismE0ELb0ES3_N6thrust23THRUST_200600_302600_NS6detail15normal_iteratorINS9_10device_ptrIxEEEESE_SE_xNS9_10multipliesIxEENS9_8equal_toIxEExEE10hipError_tPvRmT2_T3_T4_T5_mT6_T7_P12ihipStream_tbENKUlT_T0_E_clISt17integral_constantIbLb1EESY_IbLb0EEEEDaSU_SV_EUlSU_E_NS1_11comp_targetILNS1_3genE9ELNS1_11target_archE1100ELNS1_3gpuE3ELNS1_3repE0EEENS1_30default_config_static_selectorELNS0_4arch9wavefront6targetE0EEEvT1_,comdat
	.protected	_ZN7rocprim17ROCPRIM_400000_NS6detail17trampoline_kernelINS0_14default_configENS1_27scan_by_key_config_selectorIxxEEZZNS1_16scan_by_key_implILNS1_25lookback_scan_determinismE0ELb0ES3_N6thrust23THRUST_200600_302600_NS6detail15normal_iteratorINS9_10device_ptrIxEEEESE_SE_xNS9_10multipliesIxEENS9_8equal_toIxEExEE10hipError_tPvRmT2_T3_T4_T5_mT6_T7_P12ihipStream_tbENKUlT_T0_E_clISt17integral_constantIbLb1EESY_IbLb0EEEEDaSU_SV_EUlSU_E_NS1_11comp_targetILNS1_3genE9ELNS1_11target_archE1100ELNS1_3gpuE3ELNS1_3repE0EEENS1_30default_config_static_selectorELNS0_4arch9wavefront6targetE0EEEvT1_ ; -- Begin function _ZN7rocprim17ROCPRIM_400000_NS6detail17trampoline_kernelINS0_14default_configENS1_27scan_by_key_config_selectorIxxEEZZNS1_16scan_by_key_implILNS1_25lookback_scan_determinismE0ELb0ES3_N6thrust23THRUST_200600_302600_NS6detail15normal_iteratorINS9_10device_ptrIxEEEESE_SE_xNS9_10multipliesIxEENS9_8equal_toIxEExEE10hipError_tPvRmT2_T3_T4_T5_mT6_T7_P12ihipStream_tbENKUlT_T0_E_clISt17integral_constantIbLb1EESY_IbLb0EEEEDaSU_SV_EUlSU_E_NS1_11comp_targetILNS1_3genE9ELNS1_11target_archE1100ELNS1_3gpuE3ELNS1_3repE0EEENS1_30default_config_static_selectorELNS0_4arch9wavefront6targetE0EEEvT1_
	.globl	_ZN7rocprim17ROCPRIM_400000_NS6detail17trampoline_kernelINS0_14default_configENS1_27scan_by_key_config_selectorIxxEEZZNS1_16scan_by_key_implILNS1_25lookback_scan_determinismE0ELb0ES3_N6thrust23THRUST_200600_302600_NS6detail15normal_iteratorINS9_10device_ptrIxEEEESE_SE_xNS9_10multipliesIxEENS9_8equal_toIxEExEE10hipError_tPvRmT2_T3_T4_T5_mT6_T7_P12ihipStream_tbENKUlT_T0_E_clISt17integral_constantIbLb1EESY_IbLb0EEEEDaSU_SV_EUlSU_E_NS1_11comp_targetILNS1_3genE9ELNS1_11target_archE1100ELNS1_3gpuE3ELNS1_3repE0EEENS1_30default_config_static_selectorELNS0_4arch9wavefront6targetE0EEEvT1_
	.p2align	8
	.type	_ZN7rocprim17ROCPRIM_400000_NS6detail17trampoline_kernelINS0_14default_configENS1_27scan_by_key_config_selectorIxxEEZZNS1_16scan_by_key_implILNS1_25lookback_scan_determinismE0ELb0ES3_N6thrust23THRUST_200600_302600_NS6detail15normal_iteratorINS9_10device_ptrIxEEEESE_SE_xNS9_10multipliesIxEENS9_8equal_toIxEExEE10hipError_tPvRmT2_T3_T4_T5_mT6_T7_P12ihipStream_tbENKUlT_T0_E_clISt17integral_constantIbLb1EESY_IbLb0EEEEDaSU_SV_EUlSU_E_NS1_11comp_targetILNS1_3genE9ELNS1_11target_archE1100ELNS1_3gpuE3ELNS1_3repE0EEENS1_30default_config_static_selectorELNS0_4arch9wavefront6targetE0EEEvT1_,@function
_ZN7rocprim17ROCPRIM_400000_NS6detail17trampoline_kernelINS0_14default_configENS1_27scan_by_key_config_selectorIxxEEZZNS1_16scan_by_key_implILNS1_25lookback_scan_determinismE0ELb0ES3_N6thrust23THRUST_200600_302600_NS6detail15normal_iteratorINS9_10device_ptrIxEEEESE_SE_xNS9_10multipliesIxEENS9_8equal_toIxEExEE10hipError_tPvRmT2_T3_T4_T5_mT6_T7_P12ihipStream_tbENKUlT_T0_E_clISt17integral_constantIbLb1EESY_IbLb0EEEEDaSU_SV_EUlSU_E_NS1_11comp_targetILNS1_3genE9ELNS1_11target_archE1100ELNS1_3gpuE3ELNS1_3repE0EEENS1_30default_config_static_selectorELNS0_4arch9wavefront6targetE0EEEvT1_: ; @_ZN7rocprim17ROCPRIM_400000_NS6detail17trampoline_kernelINS0_14default_configENS1_27scan_by_key_config_selectorIxxEEZZNS1_16scan_by_key_implILNS1_25lookback_scan_determinismE0ELb0ES3_N6thrust23THRUST_200600_302600_NS6detail15normal_iteratorINS9_10device_ptrIxEEEESE_SE_xNS9_10multipliesIxEENS9_8equal_toIxEExEE10hipError_tPvRmT2_T3_T4_T5_mT6_T7_P12ihipStream_tbENKUlT_T0_E_clISt17integral_constantIbLb1EESY_IbLb0EEEEDaSU_SV_EUlSU_E_NS1_11comp_targetILNS1_3genE9ELNS1_11target_archE1100ELNS1_3gpuE3ELNS1_3repE0EEENS1_30default_config_static_selectorELNS0_4arch9wavefront6targetE0EEEvT1_
; %bb.0:
	.section	.rodata,"a",@progbits
	.p2align	6, 0x0
	.amdhsa_kernel _ZN7rocprim17ROCPRIM_400000_NS6detail17trampoline_kernelINS0_14default_configENS1_27scan_by_key_config_selectorIxxEEZZNS1_16scan_by_key_implILNS1_25lookback_scan_determinismE0ELb0ES3_N6thrust23THRUST_200600_302600_NS6detail15normal_iteratorINS9_10device_ptrIxEEEESE_SE_xNS9_10multipliesIxEENS9_8equal_toIxEExEE10hipError_tPvRmT2_T3_T4_T5_mT6_T7_P12ihipStream_tbENKUlT_T0_E_clISt17integral_constantIbLb1EESY_IbLb0EEEEDaSU_SV_EUlSU_E_NS1_11comp_targetILNS1_3genE9ELNS1_11target_archE1100ELNS1_3gpuE3ELNS1_3repE0EEENS1_30default_config_static_selectorELNS0_4arch9wavefront6targetE0EEEvT1_
		.amdhsa_group_segment_fixed_size 0
		.amdhsa_private_segment_fixed_size 0
		.amdhsa_kernarg_size 136
		.amdhsa_user_sgpr_count 2
		.amdhsa_user_sgpr_dispatch_ptr 0
		.amdhsa_user_sgpr_queue_ptr 0
		.amdhsa_user_sgpr_kernarg_segment_ptr 1
		.amdhsa_user_sgpr_dispatch_id 0
		.amdhsa_user_sgpr_kernarg_preload_length 0
		.amdhsa_user_sgpr_kernarg_preload_offset 0
		.amdhsa_user_sgpr_private_segment_size 0
		.amdhsa_wavefront_size32 1
		.amdhsa_uses_dynamic_stack 0
		.amdhsa_enable_private_segment 0
		.amdhsa_system_sgpr_workgroup_id_x 1
		.amdhsa_system_sgpr_workgroup_id_y 0
		.amdhsa_system_sgpr_workgroup_id_z 0
		.amdhsa_system_sgpr_workgroup_info 0
		.amdhsa_system_vgpr_workitem_id 0
		.amdhsa_next_free_vgpr 1
		.amdhsa_next_free_sgpr 1
		.amdhsa_named_barrier_count 0
		.amdhsa_reserve_vcc 0
		.amdhsa_float_round_mode_32 0
		.amdhsa_float_round_mode_16_64 0
		.amdhsa_float_denorm_mode_32 3
		.amdhsa_float_denorm_mode_16_64 3
		.amdhsa_fp16_overflow 0
		.amdhsa_memory_ordered 1
		.amdhsa_forward_progress 1
		.amdhsa_inst_pref_size 0
		.amdhsa_round_robin_scheduling 0
		.amdhsa_exception_fp_ieee_invalid_op 0
		.amdhsa_exception_fp_denorm_src 0
		.amdhsa_exception_fp_ieee_div_zero 0
		.amdhsa_exception_fp_ieee_overflow 0
		.amdhsa_exception_fp_ieee_underflow 0
		.amdhsa_exception_fp_ieee_inexact 0
		.amdhsa_exception_int_div_zero 0
	.end_amdhsa_kernel
	.section	.text._ZN7rocprim17ROCPRIM_400000_NS6detail17trampoline_kernelINS0_14default_configENS1_27scan_by_key_config_selectorIxxEEZZNS1_16scan_by_key_implILNS1_25lookback_scan_determinismE0ELb0ES3_N6thrust23THRUST_200600_302600_NS6detail15normal_iteratorINS9_10device_ptrIxEEEESE_SE_xNS9_10multipliesIxEENS9_8equal_toIxEExEE10hipError_tPvRmT2_T3_T4_T5_mT6_T7_P12ihipStream_tbENKUlT_T0_E_clISt17integral_constantIbLb1EESY_IbLb0EEEEDaSU_SV_EUlSU_E_NS1_11comp_targetILNS1_3genE9ELNS1_11target_archE1100ELNS1_3gpuE3ELNS1_3repE0EEENS1_30default_config_static_selectorELNS0_4arch9wavefront6targetE0EEEvT1_,"axG",@progbits,_ZN7rocprim17ROCPRIM_400000_NS6detail17trampoline_kernelINS0_14default_configENS1_27scan_by_key_config_selectorIxxEEZZNS1_16scan_by_key_implILNS1_25lookback_scan_determinismE0ELb0ES3_N6thrust23THRUST_200600_302600_NS6detail15normal_iteratorINS9_10device_ptrIxEEEESE_SE_xNS9_10multipliesIxEENS9_8equal_toIxEExEE10hipError_tPvRmT2_T3_T4_T5_mT6_T7_P12ihipStream_tbENKUlT_T0_E_clISt17integral_constantIbLb1EESY_IbLb0EEEEDaSU_SV_EUlSU_E_NS1_11comp_targetILNS1_3genE9ELNS1_11target_archE1100ELNS1_3gpuE3ELNS1_3repE0EEENS1_30default_config_static_selectorELNS0_4arch9wavefront6targetE0EEEvT1_,comdat
.Lfunc_end72:
	.size	_ZN7rocprim17ROCPRIM_400000_NS6detail17trampoline_kernelINS0_14default_configENS1_27scan_by_key_config_selectorIxxEEZZNS1_16scan_by_key_implILNS1_25lookback_scan_determinismE0ELb0ES3_N6thrust23THRUST_200600_302600_NS6detail15normal_iteratorINS9_10device_ptrIxEEEESE_SE_xNS9_10multipliesIxEENS9_8equal_toIxEExEE10hipError_tPvRmT2_T3_T4_T5_mT6_T7_P12ihipStream_tbENKUlT_T0_E_clISt17integral_constantIbLb1EESY_IbLb0EEEEDaSU_SV_EUlSU_E_NS1_11comp_targetILNS1_3genE9ELNS1_11target_archE1100ELNS1_3gpuE3ELNS1_3repE0EEENS1_30default_config_static_selectorELNS0_4arch9wavefront6targetE0EEEvT1_, .Lfunc_end72-_ZN7rocprim17ROCPRIM_400000_NS6detail17trampoline_kernelINS0_14default_configENS1_27scan_by_key_config_selectorIxxEEZZNS1_16scan_by_key_implILNS1_25lookback_scan_determinismE0ELb0ES3_N6thrust23THRUST_200600_302600_NS6detail15normal_iteratorINS9_10device_ptrIxEEEESE_SE_xNS9_10multipliesIxEENS9_8equal_toIxEExEE10hipError_tPvRmT2_T3_T4_T5_mT6_T7_P12ihipStream_tbENKUlT_T0_E_clISt17integral_constantIbLb1EESY_IbLb0EEEEDaSU_SV_EUlSU_E_NS1_11comp_targetILNS1_3genE9ELNS1_11target_archE1100ELNS1_3gpuE3ELNS1_3repE0EEENS1_30default_config_static_selectorELNS0_4arch9wavefront6targetE0EEEvT1_
                                        ; -- End function
	.set _ZN7rocprim17ROCPRIM_400000_NS6detail17trampoline_kernelINS0_14default_configENS1_27scan_by_key_config_selectorIxxEEZZNS1_16scan_by_key_implILNS1_25lookback_scan_determinismE0ELb0ES3_N6thrust23THRUST_200600_302600_NS6detail15normal_iteratorINS9_10device_ptrIxEEEESE_SE_xNS9_10multipliesIxEENS9_8equal_toIxEExEE10hipError_tPvRmT2_T3_T4_T5_mT6_T7_P12ihipStream_tbENKUlT_T0_E_clISt17integral_constantIbLb1EESY_IbLb0EEEEDaSU_SV_EUlSU_E_NS1_11comp_targetILNS1_3genE9ELNS1_11target_archE1100ELNS1_3gpuE3ELNS1_3repE0EEENS1_30default_config_static_selectorELNS0_4arch9wavefront6targetE0EEEvT1_.num_vgpr, 0
	.set _ZN7rocprim17ROCPRIM_400000_NS6detail17trampoline_kernelINS0_14default_configENS1_27scan_by_key_config_selectorIxxEEZZNS1_16scan_by_key_implILNS1_25lookback_scan_determinismE0ELb0ES3_N6thrust23THRUST_200600_302600_NS6detail15normal_iteratorINS9_10device_ptrIxEEEESE_SE_xNS9_10multipliesIxEENS9_8equal_toIxEExEE10hipError_tPvRmT2_T3_T4_T5_mT6_T7_P12ihipStream_tbENKUlT_T0_E_clISt17integral_constantIbLb1EESY_IbLb0EEEEDaSU_SV_EUlSU_E_NS1_11comp_targetILNS1_3genE9ELNS1_11target_archE1100ELNS1_3gpuE3ELNS1_3repE0EEENS1_30default_config_static_selectorELNS0_4arch9wavefront6targetE0EEEvT1_.num_agpr, 0
	.set _ZN7rocprim17ROCPRIM_400000_NS6detail17trampoline_kernelINS0_14default_configENS1_27scan_by_key_config_selectorIxxEEZZNS1_16scan_by_key_implILNS1_25lookback_scan_determinismE0ELb0ES3_N6thrust23THRUST_200600_302600_NS6detail15normal_iteratorINS9_10device_ptrIxEEEESE_SE_xNS9_10multipliesIxEENS9_8equal_toIxEExEE10hipError_tPvRmT2_T3_T4_T5_mT6_T7_P12ihipStream_tbENKUlT_T0_E_clISt17integral_constantIbLb1EESY_IbLb0EEEEDaSU_SV_EUlSU_E_NS1_11comp_targetILNS1_3genE9ELNS1_11target_archE1100ELNS1_3gpuE3ELNS1_3repE0EEENS1_30default_config_static_selectorELNS0_4arch9wavefront6targetE0EEEvT1_.numbered_sgpr, 0
	.set _ZN7rocprim17ROCPRIM_400000_NS6detail17trampoline_kernelINS0_14default_configENS1_27scan_by_key_config_selectorIxxEEZZNS1_16scan_by_key_implILNS1_25lookback_scan_determinismE0ELb0ES3_N6thrust23THRUST_200600_302600_NS6detail15normal_iteratorINS9_10device_ptrIxEEEESE_SE_xNS9_10multipliesIxEENS9_8equal_toIxEExEE10hipError_tPvRmT2_T3_T4_T5_mT6_T7_P12ihipStream_tbENKUlT_T0_E_clISt17integral_constantIbLb1EESY_IbLb0EEEEDaSU_SV_EUlSU_E_NS1_11comp_targetILNS1_3genE9ELNS1_11target_archE1100ELNS1_3gpuE3ELNS1_3repE0EEENS1_30default_config_static_selectorELNS0_4arch9wavefront6targetE0EEEvT1_.num_named_barrier, 0
	.set _ZN7rocprim17ROCPRIM_400000_NS6detail17trampoline_kernelINS0_14default_configENS1_27scan_by_key_config_selectorIxxEEZZNS1_16scan_by_key_implILNS1_25lookback_scan_determinismE0ELb0ES3_N6thrust23THRUST_200600_302600_NS6detail15normal_iteratorINS9_10device_ptrIxEEEESE_SE_xNS9_10multipliesIxEENS9_8equal_toIxEExEE10hipError_tPvRmT2_T3_T4_T5_mT6_T7_P12ihipStream_tbENKUlT_T0_E_clISt17integral_constantIbLb1EESY_IbLb0EEEEDaSU_SV_EUlSU_E_NS1_11comp_targetILNS1_3genE9ELNS1_11target_archE1100ELNS1_3gpuE3ELNS1_3repE0EEENS1_30default_config_static_selectorELNS0_4arch9wavefront6targetE0EEEvT1_.private_seg_size, 0
	.set _ZN7rocprim17ROCPRIM_400000_NS6detail17trampoline_kernelINS0_14default_configENS1_27scan_by_key_config_selectorIxxEEZZNS1_16scan_by_key_implILNS1_25lookback_scan_determinismE0ELb0ES3_N6thrust23THRUST_200600_302600_NS6detail15normal_iteratorINS9_10device_ptrIxEEEESE_SE_xNS9_10multipliesIxEENS9_8equal_toIxEExEE10hipError_tPvRmT2_T3_T4_T5_mT6_T7_P12ihipStream_tbENKUlT_T0_E_clISt17integral_constantIbLb1EESY_IbLb0EEEEDaSU_SV_EUlSU_E_NS1_11comp_targetILNS1_3genE9ELNS1_11target_archE1100ELNS1_3gpuE3ELNS1_3repE0EEENS1_30default_config_static_selectorELNS0_4arch9wavefront6targetE0EEEvT1_.uses_vcc, 0
	.set _ZN7rocprim17ROCPRIM_400000_NS6detail17trampoline_kernelINS0_14default_configENS1_27scan_by_key_config_selectorIxxEEZZNS1_16scan_by_key_implILNS1_25lookback_scan_determinismE0ELb0ES3_N6thrust23THRUST_200600_302600_NS6detail15normal_iteratorINS9_10device_ptrIxEEEESE_SE_xNS9_10multipliesIxEENS9_8equal_toIxEExEE10hipError_tPvRmT2_T3_T4_T5_mT6_T7_P12ihipStream_tbENKUlT_T0_E_clISt17integral_constantIbLb1EESY_IbLb0EEEEDaSU_SV_EUlSU_E_NS1_11comp_targetILNS1_3genE9ELNS1_11target_archE1100ELNS1_3gpuE3ELNS1_3repE0EEENS1_30default_config_static_selectorELNS0_4arch9wavefront6targetE0EEEvT1_.uses_flat_scratch, 0
	.set _ZN7rocprim17ROCPRIM_400000_NS6detail17trampoline_kernelINS0_14default_configENS1_27scan_by_key_config_selectorIxxEEZZNS1_16scan_by_key_implILNS1_25lookback_scan_determinismE0ELb0ES3_N6thrust23THRUST_200600_302600_NS6detail15normal_iteratorINS9_10device_ptrIxEEEESE_SE_xNS9_10multipliesIxEENS9_8equal_toIxEExEE10hipError_tPvRmT2_T3_T4_T5_mT6_T7_P12ihipStream_tbENKUlT_T0_E_clISt17integral_constantIbLb1EESY_IbLb0EEEEDaSU_SV_EUlSU_E_NS1_11comp_targetILNS1_3genE9ELNS1_11target_archE1100ELNS1_3gpuE3ELNS1_3repE0EEENS1_30default_config_static_selectorELNS0_4arch9wavefront6targetE0EEEvT1_.has_dyn_sized_stack, 0
	.set _ZN7rocprim17ROCPRIM_400000_NS6detail17trampoline_kernelINS0_14default_configENS1_27scan_by_key_config_selectorIxxEEZZNS1_16scan_by_key_implILNS1_25lookback_scan_determinismE0ELb0ES3_N6thrust23THRUST_200600_302600_NS6detail15normal_iteratorINS9_10device_ptrIxEEEESE_SE_xNS9_10multipliesIxEENS9_8equal_toIxEExEE10hipError_tPvRmT2_T3_T4_T5_mT6_T7_P12ihipStream_tbENKUlT_T0_E_clISt17integral_constantIbLb1EESY_IbLb0EEEEDaSU_SV_EUlSU_E_NS1_11comp_targetILNS1_3genE9ELNS1_11target_archE1100ELNS1_3gpuE3ELNS1_3repE0EEENS1_30default_config_static_selectorELNS0_4arch9wavefront6targetE0EEEvT1_.has_recursion, 0
	.set _ZN7rocprim17ROCPRIM_400000_NS6detail17trampoline_kernelINS0_14default_configENS1_27scan_by_key_config_selectorIxxEEZZNS1_16scan_by_key_implILNS1_25lookback_scan_determinismE0ELb0ES3_N6thrust23THRUST_200600_302600_NS6detail15normal_iteratorINS9_10device_ptrIxEEEESE_SE_xNS9_10multipliesIxEENS9_8equal_toIxEExEE10hipError_tPvRmT2_T3_T4_T5_mT6_T7_P12ihipStream_tbENKUlT_T0_E_clISt17integral_constantIbLb1EESY_IbLb0EEEEDaSU_SV_EUlSU_E_NS1_11comp_targetILNS1_3genE9ELNS1_11target_archE1100ELNS1_3gpuE3ELNS1_3repE0EEENS1_30default_config_static_selectorELNS0_4arch9wavefront6targetE0EEEvT1_.has_indirect_call, 0
	.section	.AMDGPU.csdata,"",@progbits
; Kernel info:
; codeLenInByte = 0
; TotalNumSgprs: 0
; NumVgprs: 0
; ScratchSize: 0
; MemoryBound: 0
; FloatMode: 240
; IeeeMode: 1
; LDSByteSize: 0 bytes/workgroup (compile time only)
; SGPRBlocks: 0
; VGPRBlocks: 0
; NumSGPRsForWavesPerEU: 1
; NumVGPRsForWavesPerEU: 1
; NamedBarCnt: 0
; Occupancy: 16
; WaveLimiterHint : 0
; COMPUTE_PGM_RSRC2:SCRATCH_EN: 0
; COMPUTE_PGM_RSRC2:USER_SGPR: 2
; COMPUTE_PGM_RSRC2:TRAP_HANDLER: 0
; COMPUTE_PGM_RSRC2:TGID_X_EN: 1
; COMPUTE_PGM_RSRC2:TGID_Y_EN: 0
; COMPUTE_PGM_RSRC2:TGID_Z_EN: 0
; COMPUTE_PGM_RSRC2:TIDIG_COMP_CNT: 0
	.section	.text._ZN7rocprim17ROCPRIM_400000_NS6detail17trampoline_kernelINS0_14default_configENS1_27scan_by_key_config_selectorIxxEEZZNS1_16scan_by_key_implILNS1_25lookback_scan_determinismE0ELb0ES3_N6thrust23THRUST_200600_302600_NS6detail15normal_iteratorINS9_10device_ptrIxEEEESE_SE_xNS9_10multipliesIxEENS9_8equal_toIxEExEE10hipError_tPvRmT2_T3_T4_T5_mT6_T7_P12ihipStream_tbENKUlT_T0_E_clISt17integral_constantIbLb1EESY_IbLb0EEEEDaSU_SV_EUlSU_E_NS1_11comp_targetILNS1_3genE8ELNS1_11target_archE1030ELNS1_3gpuE2ELNS1_3repE0EEENS1_30default_config_static_selectorELNS0_4arch9wavefront6targetE0EEEvT1_,"axG",@progbits,_ZN7rocprim17ROCPRIM_400000_NS6detail17trampoline_kernelINS0_14default_configENS1_27scan_by_key_config_selectorIxxEEZZNS1_16scan_by_key_implILNS1_25lookback_scan_determinismE0ELb0ES3_N6thrust23THRUST_200600_302600_NS6detail15normal_iteratorINS9_10device_ptrIxEEEESE_SE_xNS9_10multipliesIxEENS9_8equal_toIxEExEE10hipError_tPvRmT2_T3_T4_T5_mT6_T7_P12ihipStream_tbENKUlT_T0_E_clISt17integral_constantIbLb1EESY_IbLb0EEEEDaSU_SV_EUlSU_E_NS1_11comp_targetILNS1_3genE8ELNS1_11target_archE1030ELNS1_3gpuE2ELNS1_3repE0EEENS1_30default_config_static_selectorELNS0_4arch9wavefront6targetE0EEEvT1_,comdat
	.protected	_ZN7rocprim17ROCPRIM_400000_NS6detail17trampoline_kernelINS0_14default_configENS1_27scan_by_key_config_selectorIxxEEZZNS1_16scan_by_key_implILNS1_25lookback_scan_determinismE0ELb0ES3_N6thrust23THRUST_200600_302600_NS6detail15normal_iteratorINS9_10device_ptrIxEEEESE_SE_xNS9_10multipliesIxEENS9_8equal_toIxEExEE10hipError_tPvRmT2_T3_T4_T5_mT6_T7_P12ihipStream_tbENKUlT_T0_E_clISt17integral_constantIbLb1EESY_IbLb0EEEEDaSU_SV_EUlSU_E_NS1_11comp_targetILNS1_3genE8ELNS1_11target_archE1030ELNS1_3gpuE2ELNS1_3repE0EEENS1_30default_config_static_selectorELNS0_4arch9wavefront6targetE0EEEvT1_ ; -- Begin function _ZN7rocprim17ROCPRIM_400000_NS6detail17trampoline_kernelINS0_14default_configENS1_27scan_by_key_config_selectorIxxEEZZNS1_16scan_by_key_implILNS1_25lookback_scan_determinismE0ELb0ES3_N6thrust23THRUST_200600_302600_NS6detail15normal_iteratorINS9_10device_ptrIxEEEESE_SE_xNS9_10multipliesIxEENS9_8equal_toIxEExEE10hipError_tPvRmT2_T3_T4_T5_mT6_T7_P12ihipStream_tbENKUlT_T0_E_clISt17integral_constantIbLb1EESY_IbLb0EEEEDaSU_SV_EUlSU_E_NS1_11comp_targetILNS1_3genE8ELNS1_11target_archE1030ELNS1_3gpuE2ELNS1_3repE0EEENS1_30default_config_static_selectorELNS0_4arch9wavefront6targetE0EEEvT1_
	.globl	_ZN7rocprim17ROCPRIM_400000_NS6detail17trampoline_kernelINS0_14default_configENS1_27scan_by_key_config_selectorIxxEEZZNS1_16scan_by_key_implILNS1_25lookback_scan_determinismE0ELb0ES3_N6thrust23THRUST_200600_302600_NS6detail15normal_iteratorINS9_10device_ptrIxEEEESE_SE_xNS9_10multipliesIxEENS9_8equal_toIxEExEE10hipError_tPvRmT2_T3_T4_T5_mT6_T7_P12ihipStream_tbENKUlT_T0_E_clISt17integral_constantIbLb1EESY_IbLb0EEEEDaSU_SV_EUlSU_E_NS1_11comp_targetILNS1_3genE8ELNS1_11target_archE1030ELNS1_3gpuE2ELNS1_3repE0EEENS1_30default_config_static_selectorELNS0_4arch9wavefront6targetE0EEEvT1_
	.p2align	8
	.type	_ZN7rocprim17ROCPRIM_400000_NS6detail17trampoline_kernelINS0_14default_configENS1_27scan_by_key_config_selectorIxxEEZZNS1_16scan_by_key_implILNS1_25lookback_scan_determinismE0ELb0ES3_N6thrust23THRUST_200600_302600_NS6detail15normal_iteratorINS9_10device_ptrIxEEEESE_SE_xNS9_10multipliesIxEENS9_8equal_toIxEExEE10hipError_tPvRmT2_T3_T4_T5_mT6_T7_P12ihipStream_tbENKUlT_T0_E_clISt17integral_constantIbLb1EESY_IbLb0EEEEDaSU_SV_EUlSU_E_NS1_11comp_targetILNS1_3genE8ELNS1_11target_archE1030ELNS1_3gpuE2ELNS1_3repE0EEENS1_30default_config_static_selectorELNS0_4arch9wavefront6targetE0EEEvT1_,@function
_ZN7rocprim17ROCPRIM_400000_NS6detail17trampoline_kernelINS0_14default_configENS1_27scan_by_key_config_selectorIxxEEZZNS1_16scan_by_key_implILNS1_25lookback_scan_determinismE0ELb0ES3_N6thrust23THRUST_200600_302600_NS6detail15normal_iteratorINS9_10device_ptrIxEEEESE_SE_xNS9_10multipliesIxEENS9_8equal_toIxEExEE10hipError_tPvRmT2_T3_T4_T5_mT6_T7_P12ihipStream_tbENKUlT_T0_E_clISt17integral_constantIbLb1EESY_IbLb0EEEEDaSU_SV_EUlSU_E_NS1_11comp_targetILNS1_3genE8ELNS1_11target_archE1030ELNS1_3gpuE2ELNS1_3repE0EEENS1_30default_config_static_selectorELNS0_4arch9wavefront6targetE0EEEvT1_: ; @_ZN7rocprim17ROCPRIM_400000_NS6detail17trampoline_kernelINS0_14default_configENS1_27scan_by_key_config_selectorIxxEEZZNS1_16scan_by_key_implILNS1_25lookback_scan_determinismE0ELb0ES3_N6thrust23THRUST_200600_302600_NS6detail15normal_iteratorINS9_10device_ptrIxEEEESE_SE_xNS9_10multipliesIxEENS9_8equal_toIxEExEE10hipError_tPvRmT2_T3_T4_T5_mT6_T7_P12ihipStream_tbENKUlT_T0_E_clISt17integral_constantIbLb1EESY_IbLb0EEEEDaSU_SV_EUlSU_E_NS1_11comp_targetILNS1_3genE8ELNS1_11target_archE1030ELNS1_3gpuE2ELNS1_3repE0EEENS1_30default_config_static_selectorELNS0_4arch9wavefront6targetE0EEEvT1_
; %bb.0:
	.section	.rodata,"a",@progbits
	.p2align	6, 0x0
	.amdhsa_kernel _ZN7rocprim17ROCPRIM_400000_NS6detail17trampoline_kernelINS0_14default_configENS1_27scan_by_key_config_selectorIxxEEZZNS1_16scan_by_key_implILNS1_25lookback_scan_determinismE0ELb0ES3_N6thrust23THRUST_200600_302600_NS6detail15normal_iteratorINS9_10device_ptrIxEEEESE_SE_xNS9_10multipliesIxEENS9_8equal_toIxEExEE10hipError_tPvRmT2_T3_T4_T5_mT6_T7_P12ihipStream_tbENKUlT_T0_E_clISt17integral_constantIbLb1EESY_IbLb0EEEEDaSU_SV_EUlSU_E_NS1_11comp_targetILNS1_3genE8ELNS1_11target_archE1030ELNS1_3gpuE2ELNS1_3repE0EEENS1_30default_config_static_selectorELNS0_4arch9wavefront6targetE0EEEvT1_
		.amdhsa_group_segment_fixed_size 0
		.amdhsa_private_segment_fixed_size 0
		.amdhsa_kernarg_size 136
		.amdhsa_user_sgpr_count 2
		.amdhsa_user_sgpr_dispatch_ptr 0
		.amdhsa_user_sgpr_queue_ptr 0
		.amdhsa_user_sgpr_kernarg_segment_ptr 1
		.amdhsa_user_sgpr_dispatch_id 0
		.amdhsa_user_sgpr_kernarg_preload_length 0
		.amdhsa_user_sgpr_kernarg_preload_offset 0
		.amdhsa_user_sgpr_private_segment_size 0
		.amdhsa_wavefront_size32 1
		.amdhsa_uses_dynamic_stack 0
		.amdhsa_enable_private_segment 0
		.amdhsa_system_sgpr_workgroup_id_x 1
		.amdhsa_system_sgpr_workgroup_id_y 0
		.amdhsa_system_sgpr_workgroup_id_z 0
		.amdhsa_system_sgpr_workgroup_info 0
		.amdhsa_system_vgpr_workitem_id 0
		.amdhsa_next_free_vgpr 1
		.amdhsa_next_free_sgpr 1
		.amdhsa_named_barrier_count 0
		.amdhsa_reserve_vcc 0
		.amdhsa_float_round_mode_32 0
		.amdhsa_float_round_mode_16_64 0
		.amdhsa_float_denorm_mode_32 3
		.amdhsa_float_denorm_mode_16_64 3
		.amdhsa_fp16_overflow 0
		.amdhsa_memory_ordered 1
		.amdhsa_forward_progress 1
		.amdhsa_inst_pref_size 0
		.amdhsa_round_robin_scheduling 0
		.amdhsa_exception_fp_ieee_invalid_op 0
		.amdhsa_exception_fp_denorm_src 0
		.amdhsa_exception_fp_ieee_div_zero 0
		.amdhsa_exception_fp_ieee_overflow 0
		.amdhsa_exception_fp_ieee_underflow 0
		.amdhsa_exception_fp_ieee_inexact 0
		.amdhsa_exception_int_div_zero 0
	.end_amdhsa_kernel
	.section	.text._ZN7rocprim17ROCPRIM_400000_NS6detail17trampoline_kernelINS0_14default_configENS1_27scan_by_key_config_selectorIxxEEZZNS1_16scan_by_key_implILNS1_25lookback_scan_determinismE0ELb0ES3_N6thrust23THRUST_200600_302600_NS6detail15normal_iteratorINS9_10device_ptrIxEEEESE_SE_xNS9_10multipliesIxEENS9_8equal_toIxEExEE10hipError_tPvRmT2_T3_T4_T5_mT6_T7_P12ihipStream_tbENKUlT_T0_E_clISt17integral_constantIbLb1EESY_IbLb0EEEEDaSU_SV_EUlSU_E_NS1_11comp_targetILNS1_3genE8ELNS1_11target_archE1030ELNS1_3gpuE2ELNS1_3repE0EEENS1_30default_config_static_selectorELNS0_4arch9wavefront6targetE0EEEvT1_,"axG",@progbits,_ZN7rocprim17ROCPRIM_400000_NS6detail17trampoline_kernelINS0_14default_configENS1_27scan_by_key_config_selectorIxxEEZZNS1_16scan_by_key_implILNS1_25lookback_scan_determinismE0ELb0ES3_N6thrust23THRUST_200600_302600_NS6detail15normal_iteratorINS9_10device_ptrIxEEEESE_SE_xNS9_10multipliesIxEENS9_8equal_toIxEExEE10hipError_tPvRmT2_T3_T4_T5_mT6_T7_P12ihipStream_tbENKUlT_T0_E_clISt17integral_constantIbLb1EESY_IbLb0EEEEDaSU_SV_EUlSU_E_NS1_11comp_targetILNS1_3genE8ELNS1_11target_archE1030ELNS1_3gpuE2ELNS1_3repE0EEENS1_30default_config_static_selectorELNS0_4arch9wavefront6targetE0EEEvT1_,comdat
.Lfunc_end73:
	.size	_ZN7rocprim17ROCPRIM_400000_NS6detail17trampoline_kernelINS0_14default_configENS1_27scan_by_key_config_selectorIxxEEZZNS1_16scan_by_key_implILNS1_25lookback_scan_determinismE0ELb0ES3_N6thrust23THRUST_200600_302600_NS6detail15normal_iteratorINS9_10device_ptrIxEEEESE_SE_xNS9_10multipliesIxEENS9_8equal_toIxEExEE10hipError_tPvRmT2_T3_T4_T5_mT6_T7_P12ihipStream_tbENKUlT_T0_E_clISt17integral_constantIbLb1EESY_IbLb0EEEEDaSU_SV_EUlSU_E_NS1_11comp_targetILNS1_3genE8ELNS1_11target_archE1030ELNS1_3gpuE2ELNS1_3repE0EEENS1_30default_config_static_selectorELNS0_4arch9wavefront6targetE0EEEvT1_, .Lfunc_end73-_ZN7rocprim17ROCPRIM_400000_NS6detail17trampoline_kernelINS0_14default_configENS1_27scan_by_key_config_selectorIxxEEZZNS1_16scan_by_key_implILNS1_25lookback_scan_determinismE0ELb0ES3_N6thrust23THRUST_200600_302600_NS6detail15normal_iteratorINS9_10device_ptrIxEEEESE_SE_xNS9_10multipliesIxEENS9_8equal_toIxEExEE10hipError_tPvRmT2_T3_T4_T5_mT6_T7_P12ihipStream_tbENKUlT_T0_E_clISt17integral_constantIbLb1EESY_IbLb0EEEEDaSU_SV_EUlSU_E_NS1_11comp_targetILNS1_3genE8ELNS1_11target_archE1030ELNS1_3gpuE2ELNS1_3repE0EEENS1_30default_config_static_selectorELNS0_4arch9wavefront6targetE0EEEvT1_
                                        ; -- End function
	.set _ZN7rocprim17ROCPRIM_400000_NS6detail17trampoline_kernelINS0_14default_configENS1_27scan_by_key_config_selectorIxxEEZZNS1_16scan_by_key_implILNS1_25lookback_scan_determinismE0ELb0ES3_N6thrust23THRUST_200600_302600_NS6detail15normal_iteratorINS9_10device_ptrIxEEEESE_SE_xNS9_10multipliesIxEENS9_8equal_toIxEExEE10hipError_tPvRmT2_T3_T4_T5_mT6_T7_P12ihipStream_tbENKUlT_T0_E_clISt17integral_constantIbLb1EESY_IbLb0EEEEDaSU_SV_EUlSU_E_NS1_11comp_targetILNS1_3genE8ELNS1_11target_archE1030ELNS1_3gpuE2ELNS1_3repE0EEENS1_30default_config_static_selectorELNS0_4arch9wavefront6targetE0EEEvT1_.num_vgpr, 0
	.set _ZN7rocprim17ROCPRIM_400000_NS6detail17trampoline_kernelINS0_14default_configENS1_27scan_by_key_config_selectorIxxEEZZNS1_16scan_by_key_implILNS1_25lookback_scan_determinismE0ELb0ES3_N6thrust23THRUST_200600_302600_NS6detail15normal_iteratorINS9_10device_ptrIxEEEESE_SE_xNS9_10multipliesIxEENS9_8equal_toIxEExEE10hipError_tPvRmT2_T3_T4_T5_mT6_T7_P12ihipStream_tbENKUlT_T0_E_clISt17integral_constantIbLb1EESY_IbLb0EEEEDaSU_SV_EUlSU_E_NS1_11comp_targetILNS1_3genE8ELNS1_11target_archE1030ELNS1_3gpuE2ELNS1_3repE0EEENS1_30default_config_static_selectorELNS0_4arch9wavefront6targetE0EEEvT1_.num_agpr, 0
	.set _ZN7rocprim17ROCPRIM_400000_NS6detail17trampoline_kernelINS0_14default_configENS1_27scan_by_key_config_selectorIxxEEZZNS1_16scan_by_key_implILNS1_25lookback_scan_determinismE0ELb0ES3_N6thrust23THRUST_200600_302600_NS6detail15normal_iteratorINS9_10device_ptrIxEEEESE_SE_xNS9_10multipliesIxEENS9_8equal_toIxEExEE10hipError_tPvRmT2_T3_T4_T5_mT6_T7_P12ihipStream_tbENKUlT_T0_E_clISt17integral_constantIbLb1EESY_IbLb0EEEEDaSU_SV_EUlSU_E_NS1_11comp_targetILNS1_3genE8ELNS1_11target_archE1030ELNS1_3gpuE2ELNS1_3repE0EEENS1_30default_config_static_selectorELNS0_4arch9wavefront6targetE0EEEvT1_.numbered_sgpr, 0
	.set _ZN7rocprim17ROCPRIM_400000_NS6detail17trampoline_kernelINS0_14default_configENS1_27scan_by_key_config_selectorIxxEEZZNS1_16scan_by_key_implILNS1_25lookback_scan_determinismE0ELb0ES3_N6thrust23THRUST_200600_302600_NS6detail15normal_iteratorINS9_10device_ptrIxEEEESE_SE_xNS9_10multipliesIxEENS9_8equal_toIxEExEE10hipError_tPvRmT2_T3_T4_T5_mT6_T7_P12ihipStream_tbENKUlT_T0_E_clISt17integral_constantIbLb1EESY_IbLb0EEEEDaSU_SV_EUlSU_E_NS1_11comp_targetILNS1_3genE8ELNS1_11target_archE1030ELNS1_3gpuE2ELNS1_3repE0EEENS1_30default_config_static_selectorELNS0_4arch9wavefront6targetE0EEEvT1_.num_named_barrier, 0
	.set _ZN7rocprim17ROCPRIM_400000_NS6detail17trampoline_kernelINS0_14default_configENS1_27scan_by_key_config_selectorIxxEEZZNS1_16scan_by_key_implILNS1_25lookback_scan_determinismE0ELb0ES3_N6thrust23THRUST_200600_302600_NS6detail15normal_iteratorINS9_10device_ptrIxEEEESE_SE_xNS9_10multipliesIxEENS9_8equal_toIxEExEE10hipError_tPvRmT2_T3_T4_T5_mT6_T7_P12ihipStream_tbENKUlT_T0_E_clISt17integral_constantIbLb1EESY_IbLb0EEEEDaSU_SV_EUlSU_E_NS1_11comp_targetILNS1_3genE8ELNS1_11target_archE1030ELNS1_3gpuE2ELNS1_3repE0EEENS1_30default_config_static_selectorELNS0_4arch9wavefront6targetE0EEEvT1_.private_seg_size, 0
	.set _ZN7rocprim17ROCPRIM_400000_NS6detail17trampoline_kernelINS0_14default_configENS1_27scan_by_key_config_selectorIxxEEZZNS1_16scan_by_key_implILNS1_25lookback_scan_determinismE0ELb0ES3_N6thrust23THRUST_200600_302600_NS6detail15normal_iteratorINS9_10device_ptrIxEEEESE_SE_xNS9_10multipliesIxEENS9_8equal_toIxEExEE10hipError_tPvRmT2_T3_T4_T5_mT6_T7_P12ihipStream_tbENKUlT_T0_E_clISt17integral_constantIbLb1EESY_IbLb0EEEEDaSU_SV_EUlSU_E_NS1_11comp_targetILNS1_3genE8ELNS1_11target_archE1030ELNS1_3gpuE2ELNS1_3repE0EEENS1_30default_config_static_selectorELNS0_4arch9wavefront6targetE0EEEvT1_.uses_vcc, 0
	.set _ZN7rocprim17ROCPRIM_400000_NS6detail17trampoline_kernelINS0_14default_configENS1_27scan_by_key_config_selectorIxxEEZZNS1_16scan_by_key_implILNS1_25lookback_scan_determinismE0ELb0ES3_N6thrust23THRUST_200600_302600_NS6detail15normal_iteratorINS9_10device_ptrIxEEEESE_SE_xNS9_10multipliesIxEENS9_8equal_toIxEExEE10hipError_tPvRmT2_T3_T4_T5_mT6_T7_P12ihipStream_tbENKUlT_T0_E_clISt17integral_constantIbLb1EESY_IbLb0EEEEDaSU_SV_EUlSU_E_NS1_11comp_targetILNS1_3genE8ELNS1_11target_archE1030ELNS1_3gpuE2ELNS1_3repE0EEENS1_30default_config_static_selectorELNS0_4arch9wavefront6targetE0EEEvT1_.uses_flat_scratch, 0
	.set _ZN7rocprim17ROCPRIM_400000_NS6detail17trampoline_kernelINS0_14default_configENS1_27scan_by_key_config_selectorIxxEEZZNS1_16scan_by_key_implILNS1_25lookback_scan_determinismE0ELb0ES3_N6thrust23THRUST_200600_302600_NS6detail15normal_iteratorINS9_10device_ptrIxEEEESE_SE_xNS9_10multipliesIxEENS9_8equal_toIxEExEE10hipError_tPvRmT2_T3_T4_T5_mT6_T7_P12ihipStream_tbENKUlT_T0_E_clISt17integral_constantIbLb1EESY_IbLb0EEEEDaSU_SV_EUlSU_E_NS1_11comp_targetILNS1_3genE8ELNS1_11target_archE1030ELNS1_3gpuE2ELNS1_3repE0EEENS1_30default_config_static_selectorELNS0_4arch9wavefront6targetE0EEEvT1_.has_dyn_sized_stack, 0
	.set _ZN7rocprim17ROCPRIM_400000_NS6detail17trampoline_kernelINS0_14default_configENS1_27scan_by_key_config_selectorIxxEEZZNS1_16scan_by_key_implILNS1_25lookback_scan_determinismE0ELb0ES3_N6thrust23THRUST_200600_302600_NS6detail15normal_iteratorINS9_10device_ptrIxEEEESE_SE_xNS9_10multipliesIxEENS9_8equal_toIxEExEE10hipError_tPvRmT2_T3_T4_T5_mT6_T7_P12ihipStream_tbENKUlT_T0_E_clISt17integral_constantIbLb1EESY_IbLb0EEEEDaSU_SV_EUlSU_E_NS1_11comp_targetILNS1_3genE8ELNS1_11target_archE1030ELNS1_3gpuE2ELNS1_3repE0EEENS1_30default_config_static_selectorELNS0_4arch9wavefront6targetE0EEEvT1_.has_recursion, 0
	.set _ZN7rocprim17ROCPRIM_400000_NS6detail17trampoline_kernelINS0_14default_configENS1_27scan_by_key_config_selectorIxxEEZZNS1_16scan_by_key_implILNS1_25lookback_scan_determinismE0ELb0ES3_N6thrust23THRUST_200600_302600_NS6detail15normal_iteratorINS9_10device_ptrIxEEEESE_SE_xNS9_10multipliesIxEENS9_8equal_toIxEExEE10hipError_tPvRmT2_T3_T4_T5_mT6_T7_P12ihipStream_tbENKUlT_T0_E_clISt17integral_constantIbLb1EESY_IbLb0EEEEDaSU_SV_EUlSU_E_NS1_11comp_targetILNS1_3genE8ELNS1_11target_archE1030ELNS1_3gpuE2ELNS1_3repE0EEENS1_30default_config_static_selectorELNS0_4arch9wavefront6targetE0EEEvT1_.has_indirect_call, 0
	.section	.AMDGPU.csdata,"",@progbits
; Kernel info:
; codeLenInByte = 0
; TotalNumSgprs: 0
; NumVgprs: 0
; ScratchSize: 0
; MemoryBound: 0
; FloatMode: 240
; IeeeMode: 1
; LDSByteSize: 0 bytes/workgroup (compile time only)
; SGPRBlocks: 0
; VGPRBlocks: 0
; NumSGPRsForWavesPerEU: 1
; NumVGPRsForWavesPerEU: 1
; NamedBarCnt: 0
; Occupancy: 16
; WaveLimiterHint : 0
; COMPUTE_PGM_RSRC2:SCRATCH_EN: 0
; COMPUTE_PGM_RSRC2:USER_SGPR: 2
; COMPUTE_PGM_RSRC2:TRAP_HANDLER: 0
; COMPUTE_PGM_RSRC2:TGID_X_EN: 1
; COMPUTE_PGM_RSRC2:TGID_Y_EN: 0
; COMPUTE_PGM_RSRC2:TGID_Z_EN: 0
; COMPUTE_PGM_RSRC2:TIDIG_COMP_CNT: 0
	.section	.text._ZN7rocprim17ROCPRIM_400000_NS6detail17trampoline_kernelINS0_14default_configENS1_27scan_by_key_config_selectorIxxEEZZNS1_16scan_by_key_implILNS1_25lookback_scan_determinismE0ELb0ES3_N6thrust23THRUST_200600_302600_NS6detail15normal_iteratorINS9_10device_ptrIxEEEESE_SE_xNS9_10multipliesIxEENS9_8equal_toIxEExEE10hipError_tPvRmT2_T3_T4_T5_mT6_T7_P12ihipStream_tbENKUlT_T0_E_clISt17integral_constantIbLb0EESY_IbLb1EEEEDaSU_SV_EUlSU_E_NS1_11comp_targetILNS1_3genE0ELNS1_11target_archE4294967295ELNS1_3gpuE0ELNS1_3repE0EEENS1_30default_config_static_selectorELNS0_4arch9wavefront6targetE0EEEvT1_,"axG",@progbits,_ZN7rocprim17ROCPRIM_400000_NS6detail17trampoline_kernelINS0_14default_configENS1_27scan_by_key_config_selectorIxxEEZZNS1_16scan_by_key_implILNS1_25lookback_scan_determinismE0ELb0ES3_N6thrust23THRUST_200600_302600_NS6detail15normal_iteratorINS9_10device_ptrIxEEEESE_SE_xNS9_10multipliesIxEENS9_8equal_toIxEExEE10hipError_tPvRmT2_T3_T4_T5_mT6_T7_P12ihipStream_tbENKUlT_T0_E_clISt17integral_constantIbLb0EESY_IbLb1EEEEDaSU_SV_EUlSU_E_NS1_11comp_targetILNS1_3genE0ELNS1_11target_archE4294967295ELNS1_3gpuE0ELNS1_3repE0EEENS1_30default_config_static_selectorELNS0_4arch9wavefront6targetE0EEEvT1_,comdat
	.protected	_ZN7rocprim17ROCPRIM_400000_NS6detail17trampoline_kernelINS0_14default_configENS1_27scan_by_key_config_selectorIxxEEZZNS1_16scan_by_key_implILNS1_25lookback_scan_determinismE0ELb0ES3_N6thrust23THRUST_200600_302600_NS6detail15normal_iteratorINS9_10device_ptrIxEEEESE_SE_xNS9_10multipliesIxEENS9_8equal_toIxEExEE10hipError_tPvRmT2_T3_T4_T5_mT6_T7_P12ihipStream_tbENKUlT_T0_E_clISt17integral_constantIbLb0EESY_IbLb1EEEEDaSU_SV_EUlSU_E_NS1_11comp_targetILNS1_3genE0ELNS1_11target_archE4294967295ELNS1_3gpuE0ELNS1_3repE0EEENS1_30default_config_static_selectorELNS0_4arch9wavefront6targetE0EEEvT1_ ; -- Begin function _ZN7rocprim17ROCPRIM_400000_NS6detail17trampoline_kernelINS0_14default_configENS1_27scan_by_key_config_selectorIxxEEZZNS1_16scan_by_key_implILNS1_25lookback_scan_determinismE0ELb0ES3_N6thrust23THRUST_200600_302600_NS6detail15normal_iteratorINS9_10device_ptrIxEEEESE_SE_xNS9_10multipliesIxEENS9_8equal_toIxEExEE10hipError_tPvRmT2_T3_T4_T5_mT6_T7_P12ihipStream_tbENKUlT_T0_E_clISt17integral_constantIbLb0EESY_IbLb1EEEEDaSU_SV_EUlSU_E_NS1_11comp_targetILNS1_3genE0ELNS1_11target_archE4294967295ELNS1_3gpuE0ELNS1_3repE0EEENS1_30default_config_static_selectorELNS0_4arch9wavefront6targetE0EEEvT1_
	.globl	_ZN7rocprim17ROCPRIM_400000_NS6detail17trampoline_kernelINS0_14default_configENS1_27scan_by_key_config_selectorIxxEEZZNS1_16scan_by_key_implILNS1_25lookback_scan_determinismE0ELb0ES3_N6thrust23THRUST_200600_302600_NS6detail15normal_iteratorINS9_10device_ptrIxEEEESE_SE_xNS9_10multipliesIxEENS9_8equal_toIxEExEE10hipError_tPvRmT2_T3_T4_T5_mT6_T7_P12ihipStream_tbENKUlT_T0_E_clISt17integral_constantIbLb0EESY_IbLb1EEEEDaSU_SV_EUlSU_E_NS1_11comp_targetILNS1_3genE0ELNS1_11target_archE4294967295ELNS1_3gpuE0ELNS1_3repE0EEENS1_30default_config_static_selectorELNS0_4arch9wavefront6targetE0EEEvT1_
	.p2align	8
	.type	_ZN7rocprim17ROCPRIM_400000_NS6detail17trampoline_kernelINS0_14default_configENS1_27scan_by_key_config_selectorIxxEEZZNS1_16scan_by_key_implILNS1_25lookback_scan_determinismE0ELb0ES3_N6thrust23THRUST_200600_302600_NS6detail15normal_iteratorINS9_10device_ptrIxEEEESE_SE_xNS9_10multipliesIxEENS9_8equal_toIxEExEE10hipError_tPvRmT2_T3_T4_T5_mT6_T7_P12ihipStream_tbENKUlT_T0_E_clISt17integral_constantIbLb0EESY_IbLb1EEEEDaSU_SV_EUlSU_E_NS1_11comp_targetILNS1_3genE0ELNS1_11target_archE4294967295ELNS1_3gpuE0ELNS1_3repE0EEENS1_30default_config_static_selectorELNS0_4arch9wavefront6targetE0EEEvT1_,@function
_ZN7rocprim17ROCPRIM_400000_NS6detail17trampoline_kernelINS0_14default_configENS1_27scan_by_key_config_selectorIxxEEZZNS1_16scan_by_key_implILNS1_25lookback_scan_determinismE0ELb0ES3_N6thrust23THRUST_200600_302600_NS6detail15normal_iteratorINS9_10device_ptrIxEEEESE_SE_xNS9_10multipliesIxEENS9_8equal_toIxEExEE10hipError_tPvRmT2_T3_T4_T5_mT6_T7_P12ihipStream_tbENKUlT_T0_E_clISt17integral_constantIbLb0EESY_IbLb1EEEEDaSU_SV_EUlSU_E_NS1_11comp_targetILNS1_3genE0ELNS1_11target_archE4294967295ELNS1_3gpuE0ELNS1_3repE0EEENS1_30default_config_static_selectorELNS0_4arch9wavefront6targetE0EEEvT1_: ; @_ZN7rocprim17ROCPRIM_400000_NS6detail17trampoline_kernelINS0_14default_configENS1_27scan_by_key_config_selectorIxxEEZZNS1_16scan_by_key_implILNS1_25lookback_scan_determinismE0ELb0ES3_N6thrust23THRUST_200600_302600_NS6detail15normal_iteratorINS9_10device_ptrIxEEEESE_SE_xNS9_10multipliesIxEENS9_8equal_toIxEExEE10hipError_tPvRmT2_T3_T4_T5_mT6_T7_P12ihipStream_tbENKUlT_T0_E_clISt17integral_constantIbLb0EESY_IbLb1EEEEDaSU_SV_EUlSU_E_NS1_11comp_targetILNS1_3genE0ELNS1_11target_archE4294967295ELNS1_3gpuE0ELNS1_3repE0EEENS1_30default_config_static_selectorELNS0_4arch9wavefront6targetE0EEEvT1_
; %bb.0:
	s_clause 0x1
	s_load_b256 s[24:31], s[0:1], 0x30
	s_load_b64 s[52:53], s[0:1], 0x50
	v_cmp_ne_u32_e64 s3, 0, v0
	v_cmp_eq_u32_e64 s2, 0, v0
	s_and_saveexec_b32 s4, s2
	s_cbranch_execz .LBB74_4
; %bb.1:
	s_mov_b32 s6, exec_lo
	s_mov_b32 s5, exec_lo
	v_mbcnt_lo_u32_b32 v1, s6, 0
                                        ; implicit-def: $vgpr2
	s_delay_alu instid0(VALU_DEP_1)
	v_cmpx_eq_u32_e32 0, v1
	s_cbranch_execz .LBB74_3
; %bb.2:
	s_load_b64 s[8:9], s[0:1], 0x80
	s_bcnt1_i32_b32 s6, s6
	s_delay_alu instid0(SALU_CYCLE_1)
	v_dual_mov_b32 v2, 0 :: v_dual_mov_b32 v3, s6
	s_wait_xcnt 0x0
	s_wait_kmcnt 0x0
	global_atomic_add_u32 v2, v2, v3, s[8:9] th:TH_ATOMIC_RETURN scope:SCOPE_DEV
.LBB74_3:
	s_wait_xcnt 0x0
	s_or_b32 exec_lo, exec_lo, s5
	s_wait_loadcnt 0x0
	v_readfirstlane_b32 s5, v2
	s_delay_alu instid0(VALU_DEP_1)
	v_dual_mov_b32 v2, 0 :: v_dual_add_nc_u32 v1, s5, v1
	ds_store_b32 v2, v1
.LBB74_4:
	s_or_b32 exec_lo, exec_lo, s4
	v_mov_b32_e32 v1, 0
	s_clause 0x2
	s_load_b256 s[36:43], s[0:1], 0x0
	s_load_b32 s54, s[0:1], 0x58
	s_load_b256 s[44:51], s[0:1], 0x60
	s_wait_dscnt 0x0
	s_barrier_signal -1
	s_barrier_wait -1
	ds_load_b32 v2, v1
	s_mov_b32 s55, 0
	s_wait_dscnt 0x0
	s_mov_b32 s9, s55
	s_barrier_signal -1
	s_barrier_wait -1
	s_barrier_signal -1
	s_barrier_wait -1
	s_wait_kmcnt 0x0
	s_lshl_b64 s[34:35], s[38:39], 3
	s_mul_u64 s[6:7], s[52:53], s[54:55]
	s_cmp_lg_u64 s[48:49], 0
	s_add_nc_u64 s[0:1], s[36:37], s[34:35]
	s_add_nc_u64 s[4:5], s[40:41], s[34:35]
	s_cselect_b32 s38, -1, 0
	v_readfirstlane_b32 s54, v2
	s_add_nc_u64 s[20:21], s[6:7], s[54:55]
	s_add_nc_u64 s[6:7], s[44:45], -1
	s_mul_i32 s8, s54, 0xe00
	v_cmp_ge_u64_e64 s31, s[20:21], s[6:7]
	s_lshl_b64 s[36:37], s[8:9], 3
	s_mul_i32 s33, s6, 0xfffff200
	s_add_nc_u64 s[18:19], s[0:1], s[36:37]
	s_add_nc_u64 s[16:17], s[4:5], s[36:37]
	s_and_b32 vcc_lo, exec_lo, s31
	s_cbranch_vccz .LBB74_36
; %bb.5:
	flat_load_b64 v[2:3], v1, s[18:19]
	s_add_co_i32 s39, s33, s30
	s_delay_alu instid0(SALU_CYCLE_1)
	v_cmp_gt_u32_e64 s0, s39, v0
	s_wait_loadcnt_dscnt 0x0
	v_mov_b64_e32 v[4:5], v[2:3]
	s_and_saveexec_b32 s1, s0
	s_cbranch_execz .LBB74_7
; %bb.6:
	flat_load_b64 v[4:5], v0, s[18:19] scale_offset
.LBB74_7:
	s_wait_xcnt 0x0
	s_or_b32 exec_lo, exec_lo, s1
	v_or_b32_e32 v1, 0x100, v0
	v_mov_b64_e32 v[6:7], v[2:3]
	s_delay_alu instid0(VALU_DEP_2)
	v_cmp_gt_u32_e64 s1, s39, v1
	s_and_saveexec_b32 s4, s1
	s_cbranch_execz .LBB74_9
; %bb.8:
	flat_load_b64 v[6:7], v0, s[18:19] offset:2048 scale_offset
.LBB74_9:
	s_wait_xcnt 0x0
	s_or_b32 exec_lo, exec_lo, s4
	v_or_b32_e32 v1, 0x200, v0
	v_mov_b64_e32 v[8:9], v[2:3]
	s_delay_alu instid0(VALU_DEP_2)
	v_cmp_gt_u32_e64 s4, s39, v1
	s_and_saveexec_b32 s5, s4
	s_cbranch_execz .LBB74_11
; %bb.10:
	flat_load_b64 v[8:9], v0, s[18:19] offset:4096 scale_offset
.LBB74_11:
	;; [unrolled: 11-line block ×12, first 2 shown]
	s_wait_xcnt 0x0
	s_or_b32 exec_lo, exec_lo, s15
	v_or_b32_e32 v1, 0xd00, v0
	s_mov_b32 s22, exec_lo
	s_delay_alu instid0(VALU_DEP_1) | instskip(SKIP_2) | instid1(SALU_CYCLE_1)
	v_cmp_gt_u32_e64 s15, s39, v1
	v_cmpx_le_u32_e64 s39, v1
	s_xor_b32 s22, exec_lo, s22
	s_and_not1_saveexec_b32 s22, s22
	s_cbranch_execz .LBB74_33
; %bb.32:
	flat_load_b64 v[2:3], v0, s[18:19] offset:26624 scale_offset
.LBB74_33:
	s_wait_xcnt 0x0
	s_or_b32 exec_lo, exec_lo, s22
	v_lshlrev_b32_e32 v1, 3, v0
	s_cmp_eq_u64 s[20:21], 0
	s_mov_b64 s[22:23], s[18:19]
	s_wait_loadcnt_dscnt 0x0
	ds_store_2addr_stride64_b64 v1, v[4:5], v[6:7] offset1:4
	ds_store_2addr_stride64_b64 v1, v[8:9], v[10:11] offset0:8 offset1:12
	ds_store_2addr_stride64_b64 v1, v[12:13], v[14:15] offset0:16 offset1:20
	;; [unrolled: 1-line block ×6, first 2 shown]
	v_mad_u32_u24 v103, 0x68, v0, v1
	s_wait_dscnt 0x0
	s_barrier_signal -1
	s_barrier_wait -1
	ds_load_b128 v[76:79], v103 offset:16
	ds_load_2addr_b64 v[64:67], v103 offset0:3 offset1:4
	ds_load_b128 v[72:75], v103
	ds_load_2addr_b64 v[80:83], v103 offset0:1 offset1:2
	ds_load_2addr_b64 v[52:55], v103 offset0:7 offset1:8
	;; [unrolled: 1-line block ×5, first 2 shown]
	ds_load_b64 v[86:87], v103 offset:104
	s_cbranch_scc1 .LBB74_39
; %bb.34:
	s_and_not1_b32 vcc_lo, exec_lo, s38
	s_cbranch_vccnz .LBB74_37
; %bb.35:
	s_lshl_b64 s[22:23], s[20:21], 3
	s_mov_b32 s40, 0
	s_add_nc_u64 s[22:23], s[50:51], s[22:23]
	s_delay_alu instid0(SALU_CYCLE_1)
	s_add_nc_u64 s[22:23], s[22:23], -8
	s_branch .LBB74_38
.LBB74_36:
                                        ; implicit-def: $sgpr6
                                        ; implicit-def: $vgpr97
                                        ; implicit-def: $vgpr90
                                        ; implicit-def: $vgpr96
                                        ; implicit-def: $vgpr95
                                        ; implicit-def: $vgpr108
                                        ; implicit-def: $vgpr89
                                        ; implicit-def: $vgpr104
                                        ; implicit-def: $vgpr101
                                        ; implicit-def: $vgpr20_vgpr21
                                        ; implicit-def: $vgpr34_vgpr35
                                        ; implicit-def: $vgpr38_vgpr39
                                        ; implicit-def: $vgpr42_vgpr43
                                        ; implicit-def: $vgpr46_vgpr47
                                        ; implicit-def: $vgpr62_vgpr63
                                        ; implicit-def: $vgpr4_vgpr5
                                        ; implicit-def: $vgpr110
                                        ; implicit-def: $vgpr94
                                        ; implicit-def: $vgpr91
                                        ; implicit-def: $vgpr92
                                        ; implicit-def: $vgpr93
                                        ; implicit-def: $vgpr102
                                        ; implicit-def: $vgpr100
                                        ; implicit-def: $vgpr99
                                        ; implicit-def: $vgpr98
                                        ; implicit-def: $vgpr88
                                        ; implicit-def: $vgpr109
                                        ; implicit-def: $vgpr106
                                        ; implicit-def: $vgpr105
                                        ; implicit-def: $vgpr84_vgpr85
                                        ; implicit-def: $vgpr28_vgpr29
                                        ; implicit-def: $vgpr24_vgpr25
                                        ; implicit-def: $vgpr16_vgpr17
                                        ; implicit-def: $vgpr12_vgpr13
                                        ; implicit-def: $vgpr1
                                        ; implicit-def: $vgpr30_vgpr31
                                        ; implicit-def: $vgpr26_vgpr27
                                        ; implicit-def: $vgpr22_vgpr23
                                        ; implicit-def: $vgpr14_vgpr15
                                        ; implicit-def: $vgpr10_vgpr11
                                        ; implicit-def: $vgpr6_vgpr7
	v_lshlrev_b32_e32 v64, 3, v0
	s_cbranch_execnz .LBB74_83
	s_branch .LBB74_104
.LBB74_37:
	s_add_nc_u64 s[22:23], s[18:19], -8
	s_mov_b32 s40, -1
.LBB74_38:
	s_delay_alu instid0(SALU_CYCLE_1)
	s_and_not1_b32 vcc_lo, exec_lo, s40
.LBB74_39:
	v_mov_b32_e32 v2, 0
	flat_load_b64 v[8:9], v2, s[22:23]
	s_wait_xcnt 0x0
	v_mad_i32_i24 v2, 0xffffff98, v0, v103
	s_wait_dscnt 0x1
	ds_store_b64 v2, v[86:87] offset:28672
	s_wait_loadcnt_dscnt 0x0
	s_barrier_signal -1
	s_barrier_wait -1
	s_and_saveexec_b32 s22, s3
; %bb.40:
	v_mul_i32_i24_e32 v2, 0xffffff98, v0
	s_delay_alu instid0(VALU_DEP_1)
	v_add_nc_u32_e32 v2, v103, v2
	ds_load_b64 v[8:9], v2 offset:28664
; %bb.41:
	s_or_b32 exec_lo, exec_lo, s22
	s_wait_dscnt 0x0
	s_barrier_signal -1
	s_barrier_wait -1
                                        ; implicit-def: $vgpr2_vgpr3
	s_and_saveexec_b32 s22, s0
	s_cbranch_execnz .LBB74_86
; %bb.42:
	s_or_b32 exec_lo, exec_lo, s22
                                        ; implicit-def: $vgpr4_vgpr5
	s_and_saveexec_b32 s0, s1
	s_cbranch_execnz .LBB74_87
.LBB74_43:
	s_or_b32 exec_lo, exec_lo, s0
                                        ; implicit-def: $vgpr6_vgpr7
	s_and_saveexec_b32 s0, s4
	s_cbranch_execnz .LBB74_88
.LBB74_44:
	s_or_b32 exec_lo, exec_lo, s0
                                        ; implicit-def: $vgpr10_vgpr11
	s_and_saveexec_b32 s0, s5
	s_cbranch_execnz .LBB74_89
.LBB74_45:
	s_or_b32 exec_lo, exec_lo, s0
                                        ; implicit-def: $vgpr12_vgpr13
	s_and_saveexec_b32 s0, s6
	s_cbranch_execnz .LBB74_90
.LBB74_46:
	s_or_b32 exec_lo, exec_lo, s0
                                        ; implicit-def: $vgpr14_vgpr15
	s_and_saveexec_b32 s0, s7
	s_cbranch_execnz .LBB74_91
.LBB74_47:
	s_or_b32 exec_lo, exec_lo, s0
                                        ; implicit-def: $vgpr16_vgpr17
	s_and_saveexec_b32 s0, s8
	s_cbranch_execnz .LBB74_92
.LBB74_48:
	s_or_b32 exec_lo, exec_lo, s0
                                        ; implicit-def: $vgpr18_vgpr19
	s_and_saveexec_b32 s0, s9
	s_cbranch_execnz .LBB74_93
.LBB74_49:
	s_or_b32 exec_lo, exec_lo, s0
                                        ; implicit-def: $vgpr20_vgpr21
	s_and_saveexec_b32 s0, s10
	s_cbranch_execnz .LBB74_94
.LBB74_50:
	s_or_b32 exec_lo, exec_lo, s0
                                        ; implicit-def: $vgpr22_vgpr23
	s_and_saveexec_b32 s0, s11
	s_cbranch_execnz .LBB74_95
.LBB74_51:
	s_or_b32 exec_lo, exec_lo, s0
                                        ; implicit-def: $vgpr24_vgpr25
	s_and_saveexec_b32 s0, s12
	s_cbranch_execnz .LBB74_96
.LBB74_52:
	s_or_b32 exec_lo, exec_lo, s0
                                        ; implicit-def: $vgpr26_vgpr27
	s_and_saveexec_b32 s0, s13
	s_cbranch_execnz .LBB74_97
.LBB74_53:
	s_or_b32 exec_lo, exec_lo, s0
                                        ; implicit-def: $vgpr28_vgpr29
	s_and_saveexec_b32 s0, s14
	s_cbranch_execnz .LBB74_98
.LBB74_54:
	s_or_b32 exec_lo, exec_lo, s0
                                        ; implicit-def: $vgpr30_vgpr31
	s_and_saveexec_b32 s0, s15
	s_cbranch_execz .LBB74_56
.LBB74_55:
	flat_load_b64 v[30:31], v0, s[16:17] offset:26624 scale_offset
.LBB74_56:
	s_wait_xcnt 0x0
	s_or_b32 exec_lo, exec_lo, s0
	v_mul_u32_u24_e32 v107, 14, v0
	s_wait_loadcnt_dscnt 0x0
	ds_store_2addr_stride64_b64 v1, v[2:3], v[4:5] offset1:4
	ds_store_2addr_stride64_b64 v1, v[6:7], v[10:11] offset0:8 offset1:12
	ds_store_2addr_stride64_b64 v1, v[12:13], v[14:15] offset0:16 offset1:20
	;; [unrolled: 1-line block ×6, first 2 shown]
	v_mov_b64_e32 v[34:35], 0
	v_mov_b64_e32 v[32:33], 0
	;; [unrolled: 1-line block ×24, first 2 shown]
	v_cmp_gt_u32_e32 vcc_lo, s39, v107
	v_dual_mov_b32 v97, 0 :: v_dual_mov_b32 v90, 0
	v_dual_mov_b32 v96, 0 :: v_dual_mov_b32 v95, 0
	v_dual_mov_b32 v108, 0 :: v_dual_mov_b32 v89, 0
	v_dual_mov_b32 v104, 0 :: v_dual_mov_b32 v101, 0
	v_dual_mov_b32 v110, 0 :: v_dual_mov_b32 v94, 0
	v_dual_mov_b32 v91, 0 :: v_dual_mov_b32 v92, 0
	v_dual_mov_b32 v93, 0 :: v_dual_mov_b32 v102, 0
	v_dual_mov_b32 v100, 0 :: v_dual_mov_b32 v99, 0
	v_dual_mov_b32 v98, 0 :: v_dual_mov_b32 v88, 0
	v_dual_mov_b32 v109, 0 :: v_dual_mov_b32 v106, 0
	v_dual_mov_b32 v105, 0 :: v_dual_mov_b32 v1, 0
	s_mov_b32 s5, 0
	s_wait_dscnt 0x0
	s_barrier_signal -1
	s_barrier_wait -1
                                        ; implicit-def: $sgpr6
	s_and_saveexec_b32 s7, vcc_lo
	s_cbranch_execz .LBB74_82
; %bb.57:
	ds_load_b64 v[2:3], v103
	v_dual_mov_b32 v97, 0 :: v_dual_bitop2_b32 v1, 1, v107 bitop3:0x54
	v_mov_b64_e32 v[34:35], 0
	v_mov_b64_e32 v[32:33], 0
	v_mov_b64_e32 v[38:39], 0
	v_mov_b64_e32 v[36:37], 0
	v_mov_b64_e32 v[42:43], 0
	v_mov_b64_e32 v[40:41], 0
	v_mov_b64_e32 v[46:47], 0
	v_mov_b64_e32 v[44:45], 0
	v_mov_b64_e32 v[62:63], 0
	v_mov_b64_e32 v[60:61], 0
	v_mov_b64_e32 v[4:5], 0
	v_mov_b64_e32 v[18:19], 0
	v_mov_b64_e32 v[30:31], 0
	v_mov_b64_e32 v[84:85], 0
	v_mov_b64_e32 v[26:27], 0
	v_mov_b64_e32 v[28:29], 0
	v_mov_b64_e32 v[22:23], 0
	v_mov_b64_e32 v[24:25], 0
	v_mov_b64_e32 v[14:15], 0
	v_mov_b64_e32 v[16:17], 0
	v_mov_b64_e32 v[10:11], 0
	v_mov_b64_e32 v[12:13], 0
	v_mov_b64_e32 v[6:7], 0
	v_cmp_gt_u32_e64 s0, s39, v1
	v_dual_mov_b32 v90, 0 :: v_dual_mov_b32 v96, 0
	v_dual_mov_b32 v95, 0 :: v_dual_mov_b32 v108, 0
	;; [unrolled: 1-line block ×9, first 2 shown]
	v_mov_b32_e32 v105, 0
	s_mov_b32 s1, 0
	v_cmp_ne_u64_e32 vcc_lo, v[8:9], v[72:73]
                                        ; implicit-def: $sgpr6
	s_and_saveexec_b32 s8, s0
	s_cbranch_execz .LBB74_81
; %bb.58:
	ds_load_2addr_b64 v[6:9], v103 offset0:1 offset1:2
	v_cmp_ne_u64_e64 s0, v[74:75], v[82:83]
	v_cmp_ne_u64_e64 s4, v[72:73], v[80:81]
	v_dual_add_nc_u32 v5, 2, v107 :: v_dual_mov_b32 v97, 0
	v_cmp_ne_u64_e64 s1, v[78:79], v[66:67]
	v_mov_b64_e32 v[34:35], 0
	v_mov_b64_e32 v[32:33], 0
	v_cndmask_b32_e64 v1, 0, 1, s0
	v_cmp_ne_u64_e64 s0, v[76:77], v[64:65]
	v_mov_b64_e32 v[38:39], 0
	v_mov_b64_e32 v[36:37], 0
	;; [unrolled: 1-line block ×19, first 2 shown]
	v_lshlrev_b16 v1, 8, v1
	v_cndmask_b32_e64 v4, 0, 1, s4
	v_cmp_gt_u32_e64 s4, s39, v5
	v_dual_mov_b32 v90, 0 :: v_dual_mov_b32 v96, 0
	v_dual_mov_b32 v95, 0 :: v_dual_mov_b32 v89, 0
	;; [unrolled: 1-line block ×8, first 2 shown]
	v_mov_b32_e32 v105, 0
	s_mov_b32 s10, 0
                                        ; implicit-def: $sgpr6
	s_and_saveexec_b32 s9, s4
	s_cbranch_execz .LBB74_80
; %bb.59:
	v_cndmask_b32_e64 v5, 0, 1, s1
	v_cndmask_b32_e64 v10, 0, 1, s0
	v_and_b32_e32 v11, 0xffff, v1
	v_dual_mov_b32 v97, 0 :: v_dual_add_nc_u32 v12, 3, v107
	s_delay_alu instid0(VALU_DEP_4)
	v_lshlrev_b16 v5, 8, v5
	v_mov_b32_e32 v95, 0
	v_mov_b64_e32 v[34:35], 0
	v_mov_b64_e32 v[32:33], 0
	;; [unrolled: 1-line block ×3, first 2 shown]
	v_or_b32_e32 v5, v10, v5
	v_mov_b64_e32 v[36:37], 0
	v_mov_b64_e32 v[42:43], 0
	;; [unrolled: 1-line block ×4, first 2 shown]
	v_dual_lshlrev_b32 v60, 16, v5 :: v_dual_mov_b32 v94, 0
	v_mov_b64_e32 v[44:45], 0
	v_mov_b64_e32 v[62:63], 0
	v_mov_b64_e32 v[18:19], 0
	s_delay_alu instid0(VALU_DEP_4) | instskip(SKIP_3) | instid1(VALU_DEP_4)
	v_dual_mov_b32 v91, 0 :: v_dual_bitop2_b32 v10, v11, v60 bitop3:0x54
	v_mov_b64_e32 v[30:31], 0
	v_mov_b64_e32 v[84:85], 0
	;; [unrolled: 1-line block ×3, first 2 shown]
	v_dual_mov_b32 v92, 0 :: v_dual_lshrrev_b32 v89, 8, v10
	v_mov_b64_e32 v[28:29], 0
	v_mov_b64_e32 v[22:23], 0
	;; [unrolled: 1-line block ×6, first 2 shown]
	v_dual_mov_b32 v90, 0 :: v_dual_mov_b32 v96, 0
	v_dual_mov_b32 v104, 0 :: v_dual_mov_b32 v101, 0
	v_cmp_gt_u32_e64 s0, s39, v12
	v_dual_mov_b32 v93, 0 :: v_dual_mov_b32 v102, 0
	v_dual_mov_b32 v100, 0 :: v_dual_mov_b32 v99, 0
	;; [unrolled: 1-line block ×3, first 2 shown]
	v_mov_b32_e32 v105, 0
	s_mov_b32 s1, 0
                                        ; implicit-def: $sgpr6
	s_and_saveexec_b32 s10, s0
	s_cbranch_execz .LBB74_79
; %bb.60:
	ds_load_2addr_b64 v[10:13], v103 offset0:3 offset1:4
	v_dual_mov_b32 v97, 0 :: v_dual_add_nc_u32 v14, 4, v107
	v_mov_b64_e32 v[34:35], 0
	v_mov_b64_e32 v[32:33], 0
	;; [unrolled: 1-line block ×3, first 2 shown]
	s_delay_alu instid0(VALU_DEP_4)
	v_cmp_gt_u32_e64 s0, s39, v14
	v_mov_b64_e32 v[36:37], 0
	v_mov_b64_e32 v[42:43], 0
	;; [unrolled: 1-line block ×14, first 2 shown]
	v_dual_mov_b32 v90, 0 :: v_dual_mov_b32 v96, 0
	v_dual_mov_b32 v95, 0 :: v_dual_mov_b32 v101, 0
	;; [unrolled: 1-line block ×6, first 2 shown]
	v_mov_b32_e32 v105, 0
                                        ; implicit-def: $sgpr6
	s_and_saveexec_b32 s11, s0
	s_cbranch_execz .LBB74_78
; %bb.61:
	v_dual_mov_b32 v97, 0 :: v_dual_add_nc_u32 v14, 5, v107
	v_mov_b64_e32 v[34:35], 0
	v_mov_b64_e32 v[32:33], 0
	;; [unrolled: 1-line block ×3, first 2 shown]
	s_delay_alu instid0(VALU_DEP_4)
	v_cmp_gt_u32_e64 s0, s39, v14
	v_mov_b64_e32 v[36:37], 0
	v_mov_b64_e32 v[42:43], 0
	;; [unrolled: 1-line block ×12, first 2 shown]
	v_dual_mov_b32 v90, 0 :: v_dual_mov_b32 v96, 0
	v_dual_mov_b32 v95, 0 :: v_dual_mov_b32 v94, 0
	;; [unrolled: 1-line block ×5, first 2 shown]
                                        ; implicit-def: $sgpr6
	s_and_saveexec_b32 s12, s0
	s_cbranch_execz .LBB74_77
; %bb.62:
	ds_load_2addr_b64 v[14:17], v103 offset0:5 offset1:6
	v_cmp_ne_u64_e64 s0, v[68:69], v[70:71]
	v_cmp_ne_u64_e64 s4, v[66:67], v[68:69]
	v_dual_mov_b32 v90, 0 :: v_dual_add_nc_u32 v19, 6, v107
	v_cmp_ne_u64_e64 s1, v[52:53], v[54:55]
	v_mov_b64_e32 v[34:35], 0
	v_mov_b64_e32 v[32:33], 0
	v_cndmask_b32_e64 v18, 0, 1, s0
	v_cmp_ne_u64_e64 s0, v[70:71], v[52:53]
	v_cndmask_b32_e64 v45, 0, 1, s4
	v_cmp_gt_u32_e64 s4, s39, v19
	v_mov_b64_e32 v[38:39], 0
	v_lshlrev_b16 v44, 8, v18
	v_mov_b64_e32 v[36:37], 0
	v_mov_b64_e32 v[42:43], 0
	v_mov_b64_e32 v[40:41], 0
	v_mov_b64_e32 v[18:19], 0
	v_mov_b64_e32 v[30:31], 0
	v_mov_b64_e32 v[84:85], 0
	v_mov_b64_e32 v[26:27], 0
	v_mov_b64_e32 v[28:29], 0
	v_mov_b64_e32 v[22:23], 0
	v_mov_b64_e32 v[24:25], 0
	v_dual_mov_b32 v96, 0 :: v_dual_mov_b32 v95, 0
	v_dual_mov_b32 v94, 0 :: v_dual_mov_b32 v91, 0
	;; [unrolled: 1-line block ×4, first 2 shown]
	v_mov_b32_e32 v98, 0
	s_mov_b32 s14, 0
                                        ; implicit-def: $sgpr6
	s_and_saveexec_b32 s13, s4
	s_cbranch_execz .LBB74_76
; %bb.63:
	v_cndmask_b32_e64 v18, 0, 1, s1
	v_cndmask_b32_e64 v19, 0, 1, s0
	v_and_b32_e32 v20, 0xffff, v44
	v_mov_b64_e32 v[34:35], 0
	v_mov_b64_e32 v[32:33], 0
	v_lshlrev_b16 v18, 8, v18
	v_mov_b32_e32 v95, 0
	v_mov_b64_e32 v[38:39], 0
	v_mov_b64_e32 v[36:37], 0
	;; [unrolled: 1-line block ×3, first 2 shown]
	v_or_b32_e32 v40, v19, v18
	v_mov_b64_e32 v[18:19], 0
	v_mov_b64_e32 v[30:31], 0
	;; [unrolled: 1-line block ×4, first 2 shown]
	v_dual_mov_b32 v92, 0 :: v_dual_lshlrev_b32 v41, 16, v40
	v_mov_b64_e32 v[28:29], 0
	v_mov_b64_e32 v[22:23], 0
	v_dual_mov_b32 v96, 0 :: v_dual_add_nc_u32 v21, 7, v107
	s_delay_alu instid0(VALU_DEP_4) | instskip(SKIP_1) | instid1(VALU_DEP_2)
	v_dual_mov_b32 v93, 0 :: v_dual_bitop2_b32 v20, v20, v41 bitop3:0x54
	v_dual_mov_b32 v94, 0 :: v_dual_mov_b32 v91, 0
	v_dual_mov_b32 v98, 0 :: v_dual_lshrrev_b32 v90, 8, v20
	s_mov_b32 s1, 0
	s_mov_b32 s14, exec_lo
                                        ; implicit-def: $sgpr6
	v_cmpx_gt_u32_e64 s39, v21
	s_cbranch_execz .LBB74_75
; %bb.64:
	ds_load_2addr_b64 v[22:25], v103 offset0:7 offset1:8
	v_dual_mov_b32 v95, 0 :: v_dual_add_nc_u32 v18, 8, v107
	v_mov_b64_e32 v[34:35], 0
	v_mov_b64_e32 v[32:33], 0
	;; [unrolled: 1-line block ×3, first 2 shown]
	s_delay_alu instid0(VALU_DEP_4)
	v_cmp_gt_u32_e64 s0, s39, v18
	v_mov_b64_e32 v[36:37], 0
	v_mov_b64_e32 v[18:19], 0
	;; [unrolled: 1-line block ×6, first 2 shown]
	v_dual_mov_b32 v94, 0 :: v_dual_mov_b32 v91, 0
	v_dual_mov_b32 v92, 0 :: v_dual_mov_b32 v93, 0
                                        ; implicit-def: $sgpr6
	s_and_saveexec_b32 s15, s0
	s_cbranch_execz .LBB74_74
; %bb.65:
	v_dual_add_nc_u32 v18, 9, v107 :: v_dual_mov_b32 v94, 0
	v_mov_b64_e32 v[34:35], 0
	v_mov_b64_e32 v[32:33], 0
	;; [unrolled: 1-line block ×3, first 2 shown]
	s_delay_alu instid0(VALU_DEP_4)
	v_cmp_gt_u32_e64 s0, s39, v18
	v_mov_b64_e32 v[18:19], 0
	v_mov_b64_e32 v[30:31], 0
	;; [unrolled: 1-line block ×4, first 2 shown]
	v_dual_mov_b32 v91, 0 :: v_dual_mov_b32 v92, 0
	v_mov_b32_e32 v93, 0
                                        ; implicit-def: $sgpr6
	s_and_saveexec_b32 s22, s0
	s_cbranch_execz .LBB74_73
; %bb.66:
	ds_load_2addr_b64 v[26:29], v103 offset0:9 offset1:10
	v_cmp_ne_u64_e64 s0, v[56:57], v[58:59]
	v_cmp_ne_u64_e64 s4, v[54:55], v[56:57]
	v_dual_add_nc_u32 v19, 10, v107 :: v_dual_mov_b32 v91, 0
	v_cmp_ne_u64_e64 s1, v[48:49], v[50:51]
	v_mov_b64_e32 v[34:35], 0
	v_mov_b64_e32 v[32:33], 0
	v_cndmask_b32_e64 v18, 0, 1, s0
	v_cmp_ne_u64_e64 s0, v[58:59], v[48:49]
	v_cndmask_b32_e64 v37, 0, 1, s4
	v_cmp_gt_u32_e64 s4, s39, v19
	v_mov_b64_e32 v[30:31], 0
	v_lshlrev_b16 v36, 8, v18
	v_mov_b64_e32 v[18:19], 0
	v_mov_b64_e32 v[84:85], 0
	v_dual_mov_b32 v92, 0 :: v_dual_mov_b32 v93, 0
	s_mov_b32 s40, 0
                                        ; implicit-def: $sgpr6
	s_and_saveexec_b32 s23, s4
	s_cbranch_execz .LBB74_72
; %bb.67:
	v_cndmask_b32_e64 v18, 0, 1, s1
	v_cndmask_b32_e64 v19, 0, 1, s0
	v_mov_b64_e32 v[30:31], 0
	s_mov_b32 s4, 0
	s_mov_b32 s1, exec_lo
	v_lshlrev_b16 v18, 8, v18
                                        ; implicit-def: $sgpr6
	v_dual_add_nc_u32 v20, 11, v107 :: v_dual_mov_b32 v92, 0
	s_delay_alu instid0(VALU_DEP_2) | instskip(SKIP_1) | instid1(VALU_DEP_2)
	v_dual_mov_b32 v93, 0 :: v_dual_bitop2_b32 v34, v19, v18 bitop3:0x54
	v_and_b32_e32 v18, 0xffff, v36
	v_lshlrev_b32_e32 v35, 16, v34
	s_delay_alu instid0(VALU_DEP_1) | instskip(SKIP_1) | instid1(VALU_DEP_2)
	v_or_b32_e32 v21, v18, v35
	v_mov_b64_e32 v[18:19], 0
	v_lshrrev_b32_e32 v91, 8, v21
	v_cmpx_gt_u32_e64 s39, v20
	s_cbranch_execz .LBB74_71
; %bb.68:
	ds_load_2addr_b64 v[30:33], v103 offset0:11 offset1:12
	v_mov_b64_e32 v[18:19], 0
	v_dual_mov_b32 v93, 0 :: v_dual_add_nc_u32 v20, 12, v107
	s_mov_b32 s40, exec_lo
                                        ; implicit-def: $sgpr6
	s_delay_alu instid0(VALU_DEP_1)
	v_cmpx_gt_u32_e64 s39, v20
	s_xor_b32 s40, exec_lo, s40
	s_cbranch_execz .LBB74_70
; %bb.69:
	ds_load_b64 v[20:21], v103 offset:104
	v_add_nc_u32_e32 v18, 13, v107
	v_cmp_ne_u64_e64 s6, v[50:51], v[86:87]
	v_lshrrev_b32_e32 v93, 24, v35
	s_delay_alu instid0(VALU_DEP_3)
	v_cmp_gt_u32_e64 s0, s39, v18
	s_wait_dscnt 0x1
	v_mov_b64_e32 v[18:19], v[32:33]
	s_and_b32 s4, s0, exec_lo
.LBB74_70:
	s_or_b32 exec_lo, exec_lo, s40
	v_mov_b32_e32 v92, v34
	s_and_b32 s4, s4, exec_lo
.LBB74_71:
	s_or_b32 exec_lo, exec_lo, s1
	s_wait_dscnt 0x0
	v_mov_b64_e32 v[34:35], v[30:31]
	v_mov_b64_e32 v[32:33], v[28:29]
	;; [unrolled: 1-line block ×3, first 2 shown]
	s_and_b32 s40, s4, exec_lo
.LBB74_72:
	s_or_b32 exec_lo, exec_lo, s23
	s_wait_dscnt 0x0
	v_mov_b64_e32 v[38:39], v[26:27]
	v_or_b32_e32 v94, v37, v36
	s_and_b32 s1, s40, exec_lo
.LBB74_73:
	s_or_b32 exec_lo, exec_lo, s22
	s_wait_dscnt 0x0
	v_mov_b64_e32 v[36:37], v[24:25]
	v_mov_b64_e32 v[28:29], v[24:25]
	v_lshrrev_b32_e32 v95, 24, v41
	s_and_b32 s1, s1, exec_lo
.LBB74_74:
	s_or_b32 exec_lo, exec_lo, s15
	s_wait_dscnt 0x0
	v_mov_b64_e32 v[42:43], v[22:23]
	v_dual_mov_b32 v96, v40 :: v_dual_mov_b32 v98, v95
	s_and_b32 s1, s1, exec_lo
.LBB74_75:
	s_or_b32 exec_lo, exec_lo, s14
	s_wait_dscnt 0x0
	v_mov_b64_e32 v[40:41], v[16:17]
	v_mov_b64_e32 v[24:25], v[16:17]
	v_dual_mov_b32 v100, v90 :: v_dual_mov_b32 v99, v96
	s_and_b32 s14, s1, exec_lo
.LBB74_76:
	s_or_b32 exec_lo, exec_lo, s13
	s_wait_dscnt 0x0
	v_mov_b64_e32 v[46:47], v[14:15]
	v_or_b32_e32 v97, v45, v44
	s_and_b32 s1, s14, exec_lo
.LBB74_77:
	s_or_b32 exec_lo, exec_lo, s12
	s_delay_alu instid0(VALU_DEP_1)
	v_dual_mov_b32 v102, v97 :: v_dual_lshrrev_b32 v101, 24, v60
	s_wait_dscnt 0x0
	v_mov_b64_e32 v[44:45], v[12:13]
	v_mov_b64_e32 v[16:17], v[12:13]
	s_and_b32 s1, s1, exec_lo
	v_mov_b32_e32 v105, v101
.LBB74_78:
	s_or_b32 exec_lo, exec_lo, s11
	s_wait_dscnt 0x0
	v_mov_b64_e32 v[62:63], v[10:11]
	v_dual_mov_b32 v104, v5 :: v_dual_mov_b32 v106, v5
	s_and_b32 s1, s1, exec_lo
.LBB74_79:
	s_or_b32 exec_lo, exec_lo, s10
	s_wait_dscnt 0x0
	v_mov_b64_e32 v[60:61], v[8:9]
	v_mov_b64_e32 v[12:13], v[8:9]
	v_mov_b32_e32 v109, v89
	s_and_b32 s10, s1, exec_lo
.LBB74_80:
	s_or_b32 exec_lo, exec_lo, s9
	v_or_b32_e32 v108, v4, v1
	s_wait_dscnt 0x0
	v_mov_b64_e32 v[4:5], v[6:7]
	s_and_b32 s1, s10, exec_lo
	s_delay_alu instid0(VALU_DEP_2)
	v_mov_b32_e32 v88, v108
.LBB74_81:
	s_or_b32 exec_lo, exec_lo, s8
	v_cndmask_b32_e64 v110, 0, 1, vcc_lo
	s_and_b32 s55, s1, exec_lo
	s_delay_alu instid0(VALU_DEP_1)
	v_mov_b32_e32 v1, v110
.LBB74_82:
	s_or_b32 exec_lo, exec_lo, s7
	v_lshlrev_b32_e32 v64, 3, v0
	s_and_b32 vcc_lo, exec_lo, s5
	s_cbranch_vccz .LBB74_104
.LBB74_83:
	s_wait_dscnt 0x0
	s_clause 0xd
	flat_load_b64 v[2:3], v0, s[18:19] scale_offset
	flat_load_b64 v[4:5], v0, s[18:19] offset:2048 scale_offset
	flat_load_b64 v[6:7], v0, s[18:19] offset:4096 scale_offset
	;; [unrolled: 1-line block ×13, first 2 shown]
	v_mad_u32_u24 v48, 0x68, v0, v64
	v_mov_b32_e32 v1, 0
	s_cmp_eq_u64 s[20:21], 0
	s_wait_loadcnt_dscnt 0xc0c
	ds_store_2addr_stride64_b64 v64, v[2:3], v[4:5] offset1:4
	s_wait_loadcnt_dscnt 0xa0b
	ds_store_2addr_stride64_b64 v64, v[6:7], v[8:9] offset0:8 offset1:12
	s_wait_loadcnt_dscnt 0x80a
	ds_store_2addr_stride64_b64 v64, v[10:11], v[12:13] offset0:16 offset1:20
	;; [unrolled: 2-line block ×6, first 2 shown]
	s_wait_dscnt 0x0
	s_barrier_signal -1
	s_barrier_wait -1
	ds_load_b128 v[6:9], v48 offset:16
	ds_load_2addr_b64 v[10:13], v48 offset0:3 offset1:4
	ds_load_b128 v[2:5], v48
	ds_load_2addr_b64 v[14:17], v48 offset0:1 offset1:2
	ds_load_2addr_b64 v[18:21], v48 offset0:7 offset1:8
	ds_load_2addr_b64 v[22:25], v48 offset0:5 offset1:6
	ds_load_2addr_b64 v[26:29], v48 offset0:11 offset1:12
	ds_load_2addr_b64 v[30:33], v48 offset0:9 offset1:10
	ds_load_b64 v[34:35], v48 offset:104
	s_cbranch_scc1 .LBB74_101
; %bb.84:
	s_and_not1_b32 vcc_lo, exec_lo, s38
	s_cbranch_vccnz .LBB74_99
; %bb.85:
	s_lshl_b64 s[0:1], s[20:21], 3
	s_delay_alu instid0(SALU_CYCLE_1) | instskip(NEXT) | instid1(SALU_CYCLE_1)
	s_add_nc_u64 s[0:1], s[50:51], s[0:1]
	s_add_nc_u64 s[18:19], s[0:1], -8
	s_mov_b32 s0, 0
	s_branch .LBB74_100
.LBB74_86:
	flat_load_b64 v[2:3], v0, s[16:17] scale_offset
	s_wait_xcnt 0x0
	s_or_b32 exec_lo, exec_lo, s22
                                        ; implicit-def: $vgpr4_vgpr5
	s_and_saveexec_b32 s0, s1
	s_cbranch_execz .LBB74_43
.LBB74_87:
	flat_load_b64 v[4:5], v0, s[16:17] offset:2048 scale_offset
	s_wait_xcnt 0x0
	s_or_b32 exec_lo, exec_lo, s0
                                        ; implicit-def: $vgpr6_vgpr7
	s_and_saveexec_b32 s0, s4
	s_cbranch_execz .LBB74_44
.LBB74_88:
	flat_load_b64 v[6:7], v0, s[16:17] offset:4096 scale_offset
	s_wait_xcnt 0x0
	s_or_b32 exec_lo, exec_lo, s0
                                        ; implicit-def: $vgpr10_vgpr11
	s_and_saveexec_b32 s0, s5
	s_cbranch_execz .LBB74_45
.LBB74_89:
	flat_load_b64 v[10:11], v0, s[16:17] offset:6144 scale_offset
	s_wait_xcnt 0x0
	s_or_b32 exec_lo, exec_lo, s0
                                        ; implicit-def: $vgpr12_vgpr13
	s_and_saveexec_b32 s0, s6
	s_cbranch_execz .LBB74_46
.LBB74_90:
	flat_load_b64 v[12:13], v0, s[16:17] offset:8192 scale_offset
	s_wait_xcnt 0x0
	s_or_b32 exec_lo, exec_lo, s0
                                        ; implicit-def: $vgpr14_vgpr15
	s_and_saveexec_b32 s0, s7
	s_cbranch_execz .LBB74_47
.LBB74_91:
	flat_load_b64 v[14:15], v0, s[16:17] offset:10240 scale_offset
	s_wait_xcnt 0x0
	s_or_b32 exec_lo, exec_lo, s0
                                        ; implicit-def: $vgpr16_vgpr17
	s_and_saveexec_b32 s0, s8
	s_cbranch_execz .LBB74_48
.LBB74_92:
	flat_load_b64 v[16:17], v0, s[16:17] offset:12288 scale_offset
	s_wait_xcnt 0x0
	s_or_b32 exec_lo, exec_lo, s0
                                        ; implicit-def: $vgpr18_vgpr19
	s_and_saveexec_b32 s0, s9
	s_cbranch_execz .LBB74_49
.LBB74_93:
	flat_load_b64 v[18:19], v0, s[16:17] offset:14336 scale_offset
	s_wait_xcnt 0x0
	s_or_b32 exec_lo, exec_lo, s0
                                        ; implicit-def: $vgpr20_vgpr21
	s_and_saveexec_b32 s0, s10
	s_cbranch_execz .LBB74_50
.LBB74_94:
	flat_load_b64 v[20:21], v0, s[16:17] offset:16384 scale_offset
	s_wait_xcnt 0x0
	s_or_b32 exec_lo, exec_lo, s0
                                        ; implicit-def: $vgpr22_vgpr23
	s_and_saveexec_b32 s0, s11
	s_cbranch_execz .LBB74_51
.LBB74_95:
	flat_load_b64 v[22:23], v0, s[16:17] offset:18432 scale_offset
	s_wait_xcnt 0x0
	s_or_b32 exec_lo, exec_lo, s0
                                        ; implicit-def: $vgpr24_vgpr25
	s_and_saveexec_b32 s0, s12
	s_cbranch_execz .LBB74_52
.LBB74_96:
	flat_load_b64 v[24:25], v0, s[16:17] offset:20480 scale_offset
	s_wait_xcnt 0x0
	s_or_b32 exec_lo, exec_lo, s0
                                        ; implicit-def: $vgpr26_vgpr27
	s_and_saveexec_b32 s0, s13
	s_cbranch_execz .LBB74_53
.LBB74_97:
	flat_load_b64 v[26:27], v0, s[16:17] offset:22528 scale_offset
	s_wait_xcnt 0x0
	s_or_b32 exec_lo, exec_lo, s0
                                        ; implicit-def: $vgpr28_vgpr29
	s_and_saveexec_b32 s0, s14
	s_cbranch_execz .LBB74_54
.LBB74_98:
	flat_load_b64 v[28:29], v0, s[16:17] offset:24576 scale_offset
	s_wait_xcnt 0x0
	s_or_b32 exec_lo, exec_lo, s0
                                        ; implicit-def: $vgpr30_vgpr31
	s_and_saveexec_b32 s0, s15
	s_cbranch_execnz .LBB74_55
	s_branch .LBB74_56
.LBB74_99:
	s_add_nc_u64 s[18:19], s[18:19], -8
	s_mov_b32 s0, -1
.LBB74_100:
	s_delay_alu instid0(SALU_CYCLE_1)
	s_and_not1_b32 vcc_lo, exec_lo, s0
.LBB74_101:
	flat_load_b64 v[36:37], v1, s[18:19]
	s_wait_xcnt 0x0
	v_mad_i32_i24 v1, 0xffffff98, v0, v48
	s_wait_dscnt 0x1
	ds_store_b64 v1, v[34:35] offset:28672
	s_wait_loadcnt_dscnt 0x0
	s_barrier_signal -1
	s_barrier_wait -1
	s_and_saveexec_b32 s0, s3
; %bb.102:
	v_mul_i32_i24_e32 v1, 0xffffff98, v0
	s_delay_alu instid0(VALU_DEP_1)
	v_add_nc_u32_e32 v1, v48, v1
	ds_load_b64 v[36:37], v1 offset:28664
; %bb.103:
	s_or_b32 exec_lo, exec_lo, s0
	s_wait_dscnt 0x0
	s_barrier_signal -1
	s_barrier_wait -1
	s_clause 0xd
	flat_load_b64 v[38:39], v0, s[16:17] scale_offset
	flat_load_b64 v[40:41], v0, s[16:17] offset:2048 scale_offset
	flat_load_b64 v[42:43], v0, s[16:17] offset:4096 scale_offset
	;; [unrolled: 1-line block ×13, first 2 shown]
	v_cmp_ne_u64_e32 vcc_lo, v[30:31], v[32:33]
	v_cmp_ne_u64_e64 s6, v[28:29], v[34:35]
	s_mov_b32 s55, -1
	s_wait_loadcnt_dscnt 0xc0c
	ds_store_2addr_stride64_b64 v64, v[38:39], v[40:41] offset1:4
	s_wait_loadcnt_dscnt 0xa0b
	ds_store_2addr_stride64_b64 v64, v[42:43], v[44:45] offset0:8 offset1:12
	s_wait_loadcnt_dscnt 0x80a
	ds_store_2addr_stride64_b64 v64, v[46:47], v[50:51] offset0:16 offset1:20
	;; [unrolled: 2-line block ×6, first 2 shown]
	v_cndmask_b32_e64 v1, 0, 1, vcc_lo
	v_cmp_ne_u64_e32 vcc_lo, v[20:21], v[30:31]
	s_wait_dscnt 0x0
	s_barrier_signal -1
	s_barrier_wait -1
	v_cndmask_b32_e64 v30, 0, 1, vcc_lo
	v_cmp_ne_u64_e32 vcc_lo, v[26:27], v[28:29]
	v_cndmask_b32_e64 v28, 0, 1, vcc_lo
	v_cmp_ne_u64_e32 vcc_lo, v[32:33], v[26:27]
	;; [unrolled: 2-line block ×8, first 2 shown]
	s_delay_alu instid0(VALU_DEP_2) | instskip(SKIP_3) | instid1(VALU_DEP_3)
	v_lshlrev_b16 v4, 8, v4
	v_cndmask_b32_e64 v5, 0, 1, vcc_lo
	v_cmp_ne_u64_e32 vcc_lo, v[8:9], v[12:13]
	v_lshlrev_b16 v9, 8, v20
	v_or_b32_e32 v108, v5, v4
	v_cndmask_b32_e64 v8, 0, 1, vcc_lo
	v_cmp_ne_u64_e32 vcc_lo, v[6:7], v[10:11]
	v_lshlrev_b16 v7, 8, v27
	s_delay_alu instid0(VALU_DEP_3)
	v_lshlrev_b16 v8, 8, v8
	v_cndmask_b32_e64 v6, 0, 1, vcc_lo
	v_cmp_ne_u64_e32 vcc_lo, v[36:37], v[2:3]
	v_lshlrev_b16 v3, 8, v28
	v_lshlrev_b16 v2, 8, v1
	ds_load_b128 v[36:39], v48 offset:64
	ds_load_b128 v[32:35], v48 offset:80
	v_or_b32_e32 v104, v6, v8
	v_or_b32_e32 v97, v22, v7
	;; [unrolled: 1-line block ×3, first 2 shown]
	v_cndmask_b32_e64 v110, 0, 1, vcc_lo
	v_and_b32_e32 v6, 0xffff, v4
	s_delay_alu instid0(VALU_DEP_4) | instskip(NEXT) | instid1(VALU_DEP_4)
	v_dual_mov_b32 v102, v97 :: v_dual_lshlrev_b32 v9, 16, v104
	v_dual_lshlrev_b32 v8, 16, v96 :: v_dual_bitop2_b32 v92, v26, v3 bitop3:0x54
	v_or_b32_e32 v94, v30, v2
	v_and_b32_e32 v2, 0xffff, v2
	s_delay_alu instid0(VALU_DEP_3)
	v_dual_mov_b32 v1, v110 :: v_dual_lshlrev_b32 v3, 16, v92
	ds_load_b128 v[44:47], v48 offset:32
	ds_load_b128 v[40:43], v48 offset:48
	v_and_b32_e32 v7, 0xffff, v7
	v_dual_lshrrev_b32 v101, 24, v9 :: v_dual_bitop2_b32 v6, v6, v9 bitop3:0x54
	v_dual_lshrrev_b32 v93, 24, v3 :: v_dual_bitop2_b32 v10, v2, v3 bitop3:0x54
	ds_load_b128 v[2:5], v48
	ds_load_b128 v[60:63], v48 offset:16
	ds_load_b128 v[18:21], v48 offset:96
	v_dual_lshrrev_b32 v95, 24, v8 :: v_dual_bitop2_b32 v7, v7, v8 bitop3:0x54
	v_lshrrev_b32_e32 v91, 8, v10
	v_lshrrev_b32_e32 v89, 8, v6
	s_wait_dscnt 0x5
	v_mov_b64_e32 v[30:31], v[34:35]
	v_lshrrev_b32_e32 v90, 8, v7
	v_mov_b64_e32 v[84:85], v[32:33]
	v_mov_b64_e32 v[26:27], v[38:39]
	;; [unrolled: 1-line block ×3, first 2 shown]
	v_dual_mov_b32 v99, v96 :: v_dual_mov_b32 v88, v108
	v_mov_b32_e32 v106, v104
	s_wait_dscnt 0x3
	v_mov_b64_e32 v[22:23], v[42:43]
	v_mov_b64_e32 v[24:25], v[40:41]
	;; [unrolled: 1-line block ×4, first 2 shown]
	v_mov_b32_e32 v98, v95
	s_wait_dscnt 0x2
	v_mov_b64_e32 v[6:7], v[4:5]
	s_wait_dscnt 0x1
	v_mov_b64_e32 v[12:13], v[60:61]
	v_mov_b64_e32 v[10:11], v[62:63]
	v_dual_mov_b32 v105, v101 :: v_dual_mov_b32 v100, v90
	v_mov_b32_e32 v109, v89
.LBB74_104:
	v_mov_b64_e32 v[8:9], 0
	v_mov_b32_e32 v65, 0
	s_and_saveexec_b32 s0, s55
	s_cbranch_execz .LBB74_106
; %bb.105:
	v_mov_b64_e32 v[6:7], v[4:5]
	v_mov_b64_e32 v[12:13], v[60:61]
	;; [unrolled: 1-line block ×11, first 2 shown]
	s_wait_dscnt 0x0
	v_mov_b64_e32 v[8:9], v[20:21]
	v_cndmask_b32_e64 v65, 0, 1, s6
	v_dual_mov_b32 v1, v110 :: v_dual_mov_b32 v88, v108
	v_dual_mov_b32 v109, v89 :: v_dual_mov_b32 v106, v104
	;; [unrolled: 1-line block ×4, first 2 shown]
	v_mov_b32_e32 v98, v95
.LBB74_106:
	s_or_b32 exec_lo, exec_lo, s0
	v_dual_lshrrev_b32 v68, 1, v0 :: v_dual_bitop2_b32 v63, 1, v109 bitop3:0x40
	v_and_b32_e32 v62, 1, v102
	s_delay_alu instid0(VALU_DEP_3)
	v_and_b32_e32 v60, 1, v98
	v_and_b32_e32 v61, 1, v92
	v_and_b32_e32 v78, 0xff, v105
	v_and_b32_e32 v80, 0xff, v106
	v_and_b32_e32 v81, 0xff, v109
	v_and_b32_e32 v82, 0xff, v88
	v_cmp_eq_u32_e64 s15, 1, v63
	v_bitop3_b16 v66, v105, 0xff, v106 bitop3:0xc8
	v_and_b32_e32 v74, 0xff, v98
	v_and_b32_e32 v76, 0xff, v99
	;; [unrolled: 1-line block ×4, first 2 shown]
	v_cmp_eq_u32_e64 s16, 1, v62
	v_bitop3_b16 v67, v99, 0xff, v100 bitop3:0xc8
	v_cmp_eq_u32_e64 s17, 1, v60
	v_and_b32_e32 v71, 0xff, v93
	v_and_b32_e32 v72, 0xff, v92
	;; [unrolled: 1-line block ×4, first 2 shown]
	v_bitop3_b16 v69, v91, 0xff, v94 bitop3:0xc8
	v_cmp_eq_u32_e64 s18, 1, v61
	v_cmp_eq_u16_e64 s0, 0, v65
	v_bitop3_b16 v70, v65, 0xff, v93 bitop3:0xc8
	s_cmp_lg_u32 s54, 0
	s_wait_dscnt 0x0
	v_cmp_gt_u32_e32 vcc_lo, 32, v0
	s_barrier_signal -1
	s_barrier_wait -1
	s_cbranch_scc0 .LBB74_156
; %bb.107:
	v_cmp_eq_u16_e64 s1, 0, v82
	v_cmp_eq_u16_e64 s4, 0, v81
	;; [unrolled: 1-line block ×5, first 2 shown]
	v_dual_cndmask_b32 v5, 0, v3, s1 :: v_dual_cndmask_b32 v4, 1, v2, s1
	v_cmp_eq_u16_e64 s8, 0, v77
	v_cmp_eq_u16_e64 s9, 0, v76
	;; [unrolled: 1-line block ×4, first 2 shown]
	v_mul_u64_e32 v[4:5], v[4:5], v[6:7]
	v_cmp_eq_u16_e64 s12, 0, v73
	v_cmp_eq_u16_e64 s13, 0, v72
	;; [unrolled: 1-line block ×3, first 2 shown]
	v_cmp_ne_u16_e64 s20, 0, v69
	v_bitop3_b16 v20, v88, 0xff, v1 bitop3:0xc8
	v_cmp_ne_u16_e64 s21, 0, v67
	v_cmp_ne_u16_e64 s22, 0, v70
	;; [unrolled: 1-line block ×3, first 2 shown]
	s_or_b32 s18, s20, s18
	v_cmp_ne_u16_e64 s23, 0, v20
	s_or_b32 s17, s21, s17
	s_or_b32 s18, s22, s18
	;; [unrolled: 1-line block ×4, first 2 shown]
	v_and_b32_e32 v21, 0x70, v68
	s_or_b32 s15, s23, s15
	s_or_b32 s16, s17, s16
	s_delay_alu instid0(SALU_CYCLE_1) | instskip(NEXT) | instid1(VALU_DEP_1)
	s_or_b32 s18, s16, s15
	v_lshl_add_u32 v20, v0, 4, v21
	v_cndmask_b32_e64 v35, 0, 1, s18
	v_dual_cndmask_b32 v5, 0, v5, s4 :: v_dual_cndmask_b32 v4, 1, v4, s4
	s_delay_alu instid0(VALU_DEP_1) | instskip(NEXT) | instid1(VALU_DEP_1)
	v_mul_u64_e32 v[4:5], v[4:5], v[12:13]
	v_dual_cndmask_b32 v5, 0, v5, s5 :: v_dual_cndmask_b32 v4, 1, v4, s5
	s_delay_alu instid0(VALU_DEP_1) | instskip(NEXT) | instid1(VALU_DEP_1)
	v_mul_u64_e32 v[4:5], v[4:5], v[10:11]
	v_dual_cndmask_b32 v5, 0, v5, s6 :: v_dual_cndmask_b32 v4, 1, v4, s6
	s_delay_alu instid0(VALU_DEP_1) | instskip(NEXT) | instid1(VALU_DEP_1)
	v_mul_u64_e32 v[4:5], v[4:5], v[16:17]
	v_dual_cndmask_b32 v5, 0, v5, s7 :: v_dual_cndmask_b32 v4, 1, v4, s7
	s_delay_alu instid0(VALU_DEP_1) | instskip(NEXT) | instid1(VALU_DEP_1)
	v_mul_u64_e32 v[4:5], v[4:5], v[14:15]
	v_dual_cndmask_b32 v5, 0, v5, s8 :: v_dual_cndmask_b32 v4, 1, v4, s8
	s_delay_alu instid0(VALU_DEP_1) | instskip(NEXT) | instid1(VALU_DEP_1)
	v_mul_u64_e32 v[4:5], v[4:5], v[24:25]
	v_dual_cndmask_b32 v5, 0, v5, s9 :: v_dual_cndmask_b32 v4, 1, v4, s9
	s_delay_alu instid0(VALU_DEP_1) | instskip(NEXT) | instid1(VALU_DEP_1)
	v_mul_u64_e32 v[4:5], v[4:5], v[22:23]
	v_dual_cndmask_b32 v5, 0, v5, s10 :: v_dual_cndmask_b32 v4, 1, v4, s10
	s_delay_alu instid0(VALU_DEP_1) | instskip(NEXT) | instid1(VALU_DEP_1)
	v_mul_u64_e32 v[4:5], v[4:5], v[28:29]
	v_dual_cndmask_b32 v5, 0, v5, s11 :: v_dual_cndmask_b32 v4, 1, v4, s11
	s_delay_alu instid0(VALU_DEP_1) | instskip(NEXT) | instid1(VALU_DEP_1)
	v_mul_u64_e32 v[4:5], v[4:5], v[26:27]
	v_dual_cndmask_b32 v5, 0, v5, s12 :: v_dual_cndmask_b32 v4, 1, v4, s12
	s_delay_alu instid0(VALU_DEP_1) | instskip(NEXT) | instid1(VALU_DEP_1)
	v_mul_u64_e32 v[4:5], v[4:5], v[84:85]
	v_dual_cndmask_b32 v5, 0, v5, s13 :: v_dual_cndmask_b32 v4, 1, v4, s13
	s_delay_alu instid0(VALU_DEP_1) | instskip(NEXT) | instid1(VALU_DEP_1)
	v_mul_u64_e32 v[4:5], v[4:5], v[30:31]
	v_dual_cndmask_b32 v5, 0, v5, s14 :: v_dual_cndmask_b32 v4, 1, v4, s14
	s_delay_alu instid0(VALU_DEP_1) | instskip(NEXT) | instid1(VALU_DEP_1)
	v_mul_u64_e32 v[4:5], v[4:5], v[18:19]
	v_dual_cndmask_b32 v5, 0, v5, s0 :: v_dual_cndmask_b32 v4, 1, v4, s0
	s_delay_alu instid0(VALU_DEP_1)
	v_mul_u64_e32 v[4:5], v[4:5], v[8:9]
	ds_store_b64 v20, v[4:5]
	ds_store_b8 v20, v35 offset:8
	s_wait_dscnt 0x0
	s_barrier_signal -1
	s_barrier_wait -1
	s_and_saveexec_b32 s17, vcc_lo
	s_cbranch_execz .LBB74_119
; %bb.108:
	v_dual_lshlrev_b32 v20, 2, v0 :: v_dual_lshlrev_b32 v21, 7, v0
	s_delay_alu instid0(VALU_DEP_1) | instskip(NEXT) | instid1(VALU_DEP_1)
	v_and_b32_e32 v20, 0x3f0, v20
	v_add_nc_u32_e32 v34, v20, v21
	ds_load_u8 v37, v34 offset:24
	ds_load_b64 v[20:21], v34
	ds_load_2addr_b64 v[38:41], v34 offset0:2 offset1:4
	ds_load_b32 v36, v34 offset:8
	ds_load_u8 v42, v34 offset:40
	ds_load_u8 v43, v34 offset:56
	;; [unrolled: 1-line block ×5, first 2 shown]
	s_wait_dscnt 0x8
	v_cmp_eq_u16_e64 s15, 0, v37
	s_wait_dscnt 0x7
	s_delay_alu instid0(VALU_DEP_1)
	v_dual_cndmask_b32 v33, 0, v21, s15 :: v_dual_cndmask_b32 v32, 1, v20, s15
	s_wait_dscnt 0x4
	v_cmp_eq_u16_e64 s15, 0, v42
	s_wait_dscnt 0x3
	v_bitop3_b16 v37, v42, v43, v37 bitop3:0xfe
	v_mul_u64_e32 v[32:33], v[32:33], v[38:39]
	s_delay_alu instid0(VALU_DEP_1) | instskip(SKIP_1) | instid1(VALU_DEP_2)
	v_dual_cndmask_b32 v33, 0, v33, s15 :: v_dual_cndmask_b32 v32, 1, v32, s15
	v_cmp_eq_u16_e64 s15, 0, v43
	v_mul_u64_e32 v[32:33], v[32:33], v[40:41]
	ds_load_2addr_b64 v[38:41], v34 offset0:6 offset1:8
	v_dual_cndmask_b32 v33, 0, v33, s15 :: v_dual_cndmask_b32 v32, 1, v32, s15
	s_wait_dscnt 0x3
	v_cmp_eq_u16_e64 s15, 0, v44
	s_wait_dscnt 0x0
	s_delay_alu instid0(VALU_DEP_2) | instskip(NEXT) | instid1(VALU_DEP_1)
	v_mul_u64_e32 v[32:33], v[32:33], v[38:39]
	v_dual_cndmask_b32 v33, 0, v33, s15 :: v_dual_cndmask_b32 v32, 1, v32, s15
	v_cmp_eq_u16_e64 s15, 0, v45
	s_delay_alu instid0(VALU_DEP_2) | instskip(SKIP_4) | instid1(VALU_DEP_2)
	v_mul_u64_e32 v[32:33], v[32:33], v[40:41]
	ds_load_2addr_b64 v[38:41], v34 offset0:10 offset1:12
	v_dual_cndmask_b32 v33, 0, v33, s15 :: v_dual_cndmask_b32 v32, 1, v32, s15
	v_cmp_eq_u16_e64 s15, 0, v46
	s_wait_dscnt 0x0
	v_mul_u64_e32 v[32:33], v[32:33], v[38:39]
	s_delay_alu instid0(VALU_DEP_1) | instskip(NEXT) | instid1(VALU_DEP_1)
	v_dual_cndmask_b32 v33, 0, v33, s15 :: v_dual_cndmask_b32 v32, 1, v32, s15
	v_mul_u64_e32 v[32:33], v[32:33], v[40:41]
	ds_load_u8 v40, v34 offset:120
	ds_load_b64 v[38:39], v34 offset:112
	v_bitop3_b16 v41, v45, v46, v44 bitop3:0xfe
	s_wait_dscnt 0x1
	v_cmp_eq_u16_e64 s15, 0, v40
	s_delay_alu instid0(VALU_DEP_2) | instskip(NEXT) | instid1(VALU_DEP_1)
	v_bitop3_b16 v37, v40, v37, v41 bitop3:0xfe
	v_and_b32_e32 v37, 1, v37
	s_delay_alu instid0(VALU_DEP_1) | instskip(NEXT) | instid1(VALU_DEP_4)
	v_cmp_eq_u32_e64 s16, 1, v37
	v_dual_cndmask_b32 v33, 0, v33, s15 :: v_dual_cndmask_b32 v32, 1, v32, s15
	v_and_b32_e32 v37, 0xffffff00, v36
	s_wait_dscnt 0x0
	s_delay_alu instid0(VALU_DEP_2) | instskip(SKIP_1) | instid1(VALU_DEP_1)
	v_mul_u64_e32 v[32:33], v[32:33], v[38:39]
	v_and_b32_e32 v38, 1, v36
	v_cmp_eq_u32_e64 s15, 1, v38
	v_mbcnt_lo_u32_b32 v38, -1, 0
	s_or_b32 s19, s16, s15
	s_mov_b32 s16, exec_lo
	v_cndmask_b32_e64 v40, 0, 1, s19
	v_cndmask_b32_e64 v39, 0, 1, s19
	s_delay_alu instid0(VALU_DEP_2) | instskip(SKIP_1) | instid1(VALU_DEP_2)
	v_or_b32_e32 v41, v37, v40
	v_and_b32_e32 v40, 15, v38
	v_mov_b32_dpp v42, v41 row_shr:1 row_mask:0xf bank_mask:0xf
	v_mov_b32_dpp v43, v32 row_shr:1 row_mask:0xf bank_mask:0xf
	;; [unrolled: 1-line block ×3, first 2 shown]
	s_delay_alu instid0(VALU_DEP_4)
	v_cmpx_ne_u32_e32 0, v40
	s_cbranch_execz .LBB74_110
; %bb.109:
	s_delay_alu instid0(VALU_DEP_2) | instskip(SKIP_2) | instid1(VALU_DEP_2)
	v_cndmask_b32_e64 v45, v44, 0, s19
	v_cndmask_b32_e64 v44, v43, 1, s19
	v_bitop3_b16 v39, v42, v39, 1 bitop3:0xec
	v_mul_u64_e32 v[32:33], v[44:45], v[32:33]
	s_delay_alu instid0(VALU_DEP_2) | instskip(NEXT) | instid1(VALU_DEP_1)
	v_and_b32_e32 v41, 0xffff, v39
	v_or_b32_e32 v41, v37, v41
.LBB74_110:
	s_or_b32 exec_lo, exec_lo, s16
	s_delay_alu instid0(VALU_DEP_3) | instskip(NEXT) | instid1(VALU_DEP_4)
	v_mov_b32_dpp v43, v32 row_shr:2 row_mask:0xf bank_mask:0xf
	v_mov_b32_dpp v44, v33 row_shr:2 row_mask:0xf bank_mask:0xf
	s_delay_alu instid0(VALU_DEP_3)
	v_mov_b32_dpp v42, v41 row_shr:2 row_mask:0xf bank_mask:0xf
	s_mov_b32 s19, exec_lo
	v_cmpx_lt_u32_e32 1, v40
	s_cbranch_execz .LBB74_112
; %bb.111:
	v_cmp_eq_u16_e64 s15, 0, v39
	v_and_b32_e32 v39, 1, v39
	s_delay_alu instid0(VALU_DEP_2) | instskip(SKIP_1) | instid1(VALU_DEP_3)
	v_dual_cndmask_b32 v45, 0, v44, s15 :: v_dual_bitop2_b32 v41, 1, v42 bitop3:0x40
	v_cndmask_b32_e64 v44, 1, v43, s15
	v_cmp_eq_u32_e64 s15, 1, v39
	s_delay_alu instid0(VALU_DEP_3) | instskip(NEXT) | instid1(VALU_DEP_3)
	v_cmp_eq_u32_e64 s16, 1, v41
	v_mul_u64_e32 v[32:33], v[44:45], v[32:33]
	s_or_b32 s15, s15, s16
	s_delay_alu instid0(SALU_CYCLE_1) | instskip(SKIP_1) | instid1(VALU_DEP_2)
	v_cndmask_b32_e64 v41, 0, 1, s15
	v_cndmask_b32_e64 v39, 0, 1, s15
	v_or_b32_e32 v41, v37, v41
.LBB74_112:
	s_or_b32 exec_lo, exec_lo, s19
	s_delay_alu instid0(VALU_DEP_4) | instskip(SKIP_1) | instid1(VALU_DEP_3)
	v_mov_b32_dpp v43, v32 row_shr:4 row_mask:0xf bank_mask:0xf
	v_mov_b32_dpp v44, v33 row_shr:4 row_mask:0xf bank_mask:0xf
	;; [unrolled: 1-line block ×3, first 2 shown]
	s_mov_b32 s19, exec_lo
	v_cmpx_lt_u32_e32 3, v40
	s_cbranch_execz .LBB74_114
; %bb.113:
	v_cmp_eq_u16_e64 s15, 0, v39
	v_and_b32_e32 v39, 1, v39
	s_delay_alu instid0(VALU_DEP_2) | instskip(SKIP_1) | instid1(VALU_DEP_3)
	v_dual_cndmask_b32 v45, 0, v44, s15 :: v_dual_bitop2_b32 v41, 1, v42 bitop3:0x40
	v_cndmask_b32_e64 v44, 1, v43, s15
	v_cmp_eq_u32_e64 s15, 1, v39
	s_delay_alu instid0(VALU_DEP_3) | instskip(NEXT) | instid1(VALU_DEP_3)
	v_cmp_eq_u32_e64 s16, 1, v41
	v_mul_u64_e32 v[32:33], v[44:45], v[32:33]
	s_or_b32 s15, s15, s16
	s_delay_alu instid0(SALU_CYCLE_1) | instskip(SKIP_1) | instid1(VALU_DEP_2)
	v_cndmask_b32_e64 v41, 0, 1, s15
	v_cndmask_b32_e64 v39, 0, 1, s15
	v_or_b32_e32 v41, v37, v41
.LBB74_114:
	s_or_b32 exec_lo, exec_lo, s19
	s_delay_alu instid0(VALU_DEP_4) | instskip(SKIP_1) | instid1(VALU_DEP_3)
	v_mov_b32_dpp v43, v32 row_shr:8 row_mask:0xf bank_mask:0xf
	v_mov_b32_dpp v44, v33 row_shr:8 row_mask:0xf bank_mask:0xf
	;; [unrolled: 1-line block ×3, first 2 shown]
	s_mov_b32 s19, exec_lo
	v_cmpx_lt_u32_e32 7, v40
	s_cbranch_execz .LBB74_116
; %bb.115:
	v_cmp_eq_u16_e64 s15, 0, v39
	s_delay_alu instid0(VALU_DEP_1) | instskip(SKIP_1) | instid1(VALU_DEP_2)
	v_dual_cndmask_b32 v41, 0, v44, s15 :: v_dual_bitop2_b32 v39, 1, v39 bitop3:0x40
	v_cndmask_b32_e64 v40, 1, v43, s15
	v_cmp_eq_u32_e64 s15, 1, v39
	s_delay_alu instid0(VALU_DEP_2) | instskip(SKIP_1) | instid1(VALU_DEP_1)
	v_mul_u64_e32 v[32:33], v[40:41], v[32:33]
	v_and_b32_e32 v40, 1, v42
	v_cmp_eq_u32_e64 s16, 1, v40
	s_or_b32 s15, s15, s16
	s_delay_alu instid0(SALU_CYCLE_1) | instskip(SKIP_1) | instid1(VALU_DEP_2)
	v_cndmask_b32_e64 v40, 0, 1, s15
	v_cndmask_b32_e64 v39, 0, 1, s15
	v_or_b32_e32 v41, v37, v40
.LBB74_116:
	s_or_b32 exec_lo, exec_lo, s19
	ds_swizzle_b32 v42, v32 offset:swizzle(BROADCAST,32,15)
	ds_swizzle_b32 v43, v33 offset:swizzle(BROADCAST,32,15)
	;; [unrolled: 1-line block ×3, first 2 shown]
	v_and_b32_e32 v41, 16, v38
	s_mov_b32 s19, exec_lo
	s_delay_alu instid0(VALU_DEP_1)
	v_cmpx_ne_u32_e32 0, v41
	s_cbranch_execz .LBB74_118
; %bb.117:
	v_cmp_eq_u16_e64 s15, 0, v39
	v_and_b32_e32 v39, 1, v39
	s_wait_dscnt 0x0
	s_delay_alu instid0(VALU_DEP_2) | instskip(SKIP_1) | instid1(VALU_DEP_3)
	v_dual_cndmask_b32 v43, 0, v43, s15 :: v_dual_bitop2_b32 v40, 1, v40 bitop3:0x40
	v_cndmask_b32_e64 v42, 1, v42, s15
	v_cmp_eq_u32_e64 s15, 1, v39
	s_delay_alu instid0(VALU_DEP_3) | instskip(NEXT) | instid1(VALU_DEP_3)
	v_cmp_eq_u32_e64 s16, 1, v40
	v_mul_u64_e32 v[32:33], v[42:43], v[32:33]
	s_or_b32 s15, s15, s16
	s_delay_alu instid0(SALU_CYCLE_1)
	v_cndmask_b32_e64 v39, 0, 1, s15
.LBB74_118:
	s_or_b32 exec_lo, exec_lo, s19
	s_wait_dscnt 0x0
	v_add_nc_u32_e32 v40, -1, v38
	s_delay_alu instid0(VALU_DEP_2) | instskip(NEXT) | instid1(VALU_DEP_2)
	v_and_b32_e32 v39, 0xffff, v39
	; wave barrier
	v_cmp_gt_i32_e64 s15, 0, v40
	s_delay_alu instid0(VALU_DEP_1) | instskip(SKIP_1) | instid1(VALU_DEP_2)
	v_dual_cndmask_b32 v38, v40, v38, s15 :: v_dual_bitop2_b32 v37, v37, v39 bitop3:0x54
	v_and_b32_e32 v40, 0xff, v36
	v_lshlrev_b32_e32 v38, 2, v38
	s_delay_alu instid0(VALU_DEP_2) | instskip(SKIP_4) | instid1(VALU_DEP_1)
	v_cmp_eq_u32_e64 s15, 0, v40
	ds_bpermute_b32 v33, v38, v33
	ds_bpermute_b32 v32, v38, v32
	s_wait_dscnt 0x0
	v_dual_cndmask_b32 v33, 0, v33, s15 :: v_dual_cndmask_b32 v32, 1, v32, s15
	v_mul_u64_e32 v[20:21], v[32:33], v[20:21]
	ds_bpermute_b32 v32, v38, v37
	s_wait_dscnt 0x0
	v_dual_cndmask_b32 v21, v21, v5, s2 :: v_dual_bitop2_b32 v32, v32, v36 bitop3:0x54
	s_delay_alu instid0(VALU_DEP_1) | instskip(SKIP_1) | instid1(VALU_DEP_2)
	v_and_b32_e32 v32, 1, v32
	v_cndmask_b32_e64 v20, v20, v4, s2
	v_cndmask_b32_e64 v35, v32, v35, s2
	ds_store_b64 v34, v[20:21]
	ds_store_b8 v34, v35 offset:8
	; wave barrier
	ds_load_u8 v48, v34 offset:24
	ds_load_2addr_b64 v[36:39], v34 offset0:2 offset1:4
	ds_load_u8 v49, v34 offset:40
	ds_load_u8 v50, v34 offset:56
	;; [unrolled: 1-line block ×5, first 2 shown]
	ds_load_b64 v[32:33], v34 offset:112
	ds_load_u8 v54, v34 offset:120
	s_wait_dscnt 0x8
	v_and_b32_e32 v40, 0xff, v48
	s_wait_dscnt 0x5
	v_and_b32_e32 v42, 0xff, v50
	s_delay_alu instid0(VALU_DEP_2) | instskip(SKIP_2) | instid1(VALU_DEP_2)
	v_cmp_eq_u16_e64 s15, 0, v40
	s_wait_dscnt 0x3
	v_and_b32_e32 v46, 0xff, v52
	v_dual_cndmask_b32 v21, 0, v21, s15 :: v_dual_cndmask_b32 v20, 1, v20, s15
	s_delay_alu instid0(VALU_DEP_1) | instskip(SKIP_1) | instid1(VALU_DEP_1)
	v_mul_u64_e32 v[20:21], v[20:21], v[36:37]
	v_and_b32_e32 v36, 0xff, v49
	v_cmp_eq_u16_e64 s15, 0, v36
	s_delay_alu instid0(VALU_DEP_1) | instskip(SKIP_1) | instid1(VALU_DEP_2)
	v_dual_cndmask_b32 v37, 0, v21, s15 :: v_dual_cndmask_b32 v36, 1, v20, s15
	v_cmp_eq_u16_e64 s15, 0, v42
	v_mul_u64_e32 v[40:41], v[36:37], v[38:39]
	ds_load_2addr_b64 v[36:39], v34 offset0:6 offset1:8
	v_dual_cndmask_b32 v43, 0, v41, s15 :: v_dual_cndmask_b32 v42, 1, v40, s15
	s_wait_dscnt 0x0
	s_delay_alu instid0(VALU_DEP_1) | instskip(SKIP_1) | instid1(VALU_DEP_1)
	v_mul_u64_e32 v[42:43], v[42:43], v[36:37]
	v_and_b32_e32 v36, 0xff, v51
	v_cmp_eq_u16_e64 s15, 0, v36
	s_delay_alu instid0(VALU_DEP_1) | instskip(SKIP_1) | instid1(VALU_DEP_2)
	v_dual_cndmask_b32 v37, 0, v43, s15 :: v_dual_cndmask_b32 v36, 1, v42, s15
	v_cmp_eq_u16_e64 s15, 0, v46
	v_mul_u64_e32 v[44:45], v[36:37], v[38:39]
	ds_load_2addr_b64 v[36:39], v34 offset0:10 offset1:12
	v_dual_cndmask_b32 v47, 0, v45, s15 :: v_dual_cndmask_b32 v46, 1, v44, s15
	s_wait_dscnt 0x0
	s_delay_alu instid0(VALU_DEP_1) | instskip(SKIP_1) | instid1(VALU_DEP_1)
	v_mul_u64_e32 v[36:37], v[46:47], v[36:37]
	v_and_b32_e32 v46, 0xff, v53
	v_cmp_eq_u16_e64 s15, 0, v46
	s_delay_alu instid0(VALU_DEP_1) | instskip(SKIP_1) | instid1(VALU_DEP_2)
	v_dual_cndmask_b32 v47, 0, v37, s15 :: v_dual_cndmask_b32 v46, 1, v36, s15
	v_cmp_eq_u16_e64 s15, 0, v54
	v_mul_u64_e32 v[38:39], v[46:47], v[38:39]
	s_delay_alu instid0(VALU_DEP_1) | instskip(NEXT) | instid1(VALU_DEP_1)
	v_dual_cndmask_b32 v47, 0, v39, s15 :: v_dual_cndmask_b32 v46, 1, v38, s15
	v_mul_u64_e32 v[32:33], v[46:47], v[32:33]
	v_or_b32_e32 v46, v48, v35
	v_bitop3_b16 v47, v49, v48, v35 bitop3:0xfe
	v_bitop3_b16 v35, v48, 1, v35 bitop3:0xc8
	s_delay_alu instid0(VALU_DEP_3) | instskip(NEXT) | instid1(VALU_DEP_3)
	v_bitop3_b16 v55, v50, v49, v46 bitop3:0xfe
	v_bitop3_b16 v56, v51, v50, v47 bitop3:0xfe
	;; [unrolled: 1-line block ×4, first 2 shown]
	s_delay_alu instid0(VALU_DEP_4) | instskip(NEXT) | instid1(VALU_DEP_4)
	v_bitop3_b16 v48, v52, v51, v55 bitop3:0xfe
	v_bitop3_b16 v49, v53, v52, v56 bitop3:0xfe
	;; [unrolled: 1-line block ×4, first 2 shown]
	s_delay_alu instid0(VALU_DEP_4) | instskip(NEXT) | instid1(VALU_DEP_4)
	v_bitop3_b16 v48, v53, 1, v48 bitop3:0xc8
	v_bitop3_b16 v49, v54, 1, v49 bitop3:0xc8
	ds_store_2addr_b64 v34, v[20:21], v[40:41] offset0:2 offset1:4
	ds_store_2addr_b64 v34, v[42:43], v[44:45] offset0:6 offset1:8
	;; [unrolled: 1-line block ×3, first 2 shown]
	ds_store_b8 v34, v35 offset:24
	ds_store_b8 v34, v46 offset:40
	;; [unrolled: 1-line block ×6, first 2 shown]
	ds_store_b64 v34, v[32:33] offset:112
	ds_store_b8 v34, v49 offset:120
.LBB74_119:
	s_or_b32 exec_lo, exec_lo, s17
	s_wait_dscnt 0x0
	s_barrier_signal -1
	s_barrier_wait -1
	s_and_saveexec_b32 s16, s3
	s_cbranch_execz .LBB74_121
; %bb.120:
	v_add_nc_u32_e32 v4, -1, v0
	s_and_not1_b32 s17, s18, exec_lo
	s_delay_alu instid0(VALU_DEP_1) | instskip(NEXT) | instid1(VALU_DEP_1)
	v_lshrrev_b32_e32 v5, 1, v4
	v_and_b32_e32 v5, 0x7ffffff0, v5
	s_delay_alu instid0(VALU_DEP_1) | instskip(SKIP_4) | instid1(VALU_DEP_1)
	v_lshl_add_u32 v4, v4, 4, v5
	ds_load_u8 v20, v4 offset:8
	ds_load_b64 v[4:5], v4
	s_wait_dscnt 0x1
	v_and_b32_e32 v20, 1, v20
	v_cmp_eq_u32_e64 s15, 1, v20
	s_and_b32 s15, s15, exec_lo
	s_delay_alu instid0(SALU_CYCLE_1)
	s_or_b32 s18, s17, s15
.LBB74_121:
	s_or_b32 exec_lo, exec_lo, s16
	s_and_saveexec_b32 s19, vcc_lo
	s_cbranch_execz .LBB74_209
; %bb.122:
	v_mov_b32_e32 v35, 0
	v_mbcnt_lo_u32_b32 v39, -1, 0
	s_mov_b32 s17, 0
	ds_load_b64 v[20:21], v35 offset:4192
	ds_load_u8 v38, v35 offset:4200
	v_cmp_eq_u32_e64 s15, 0, v39
	s_and_saveexec_b32 s20, s15
	s_cbranch_execz .LBB74_124
; %bb.123:
	s_add_co_i32 s16, s54, 32
	s_delay_alu instid0(SALU_CYCLE_1) | instskip(SKIP_1) | instid1(SALU_CYCLE_1)
	v_dual_mov_b32 v32, 1 :: v_dual_mov_b32 v33, s16
	s_lshl_b64 s[22:23], s[16:17], 4
	s_add_nc_u64 s[16:17], s[24:25], s[22:23]
	s_wait_dscnt 0x1
	global_store_b64 v35, v[20:21], s[16:17]
	s_wait_dscnt 0x0
	global_store_b8 v35, v38, s[16:17] offset:8
	global_wb scope:SCOPE_DEV
	s_wait_storecnt 0x0
	global_inv scope:SCOPE_DEV
	s_wait_xcnt 0x0
	global_store_b8 v33, v32, s[28:29] scope:SCOPE_DEV
.LBB74_124:
	s_wait_xcnt 0x0
	s_or_b32 exec_lo, exec_lo, s20
	v_xad_u32 v32, v39, -1, s54
	s_mov_b32 s16, exec_lo
	s_delay_alu instid0(VALU_DEP_1)
	v_add_nc_u32_e32 v34, 32, v32
	global_load_u8 v40, v34, s[28:29] scope:SCOPE_DEV
	s_wait_loadcnt 0x0
	v_cmpx_eq_u16_e32 0, v40
	s_cbranch_execz .LBB74_128
; %bb.125:
	v_add_nc_u64_e32 v[36:37], s[28:29], v[34:35]
	s_mov_b32 s17, 0
.LBB74_126:                             ; =>This Inner Loop Header: Depth=1
	global_load_u8 v40, v[36:37], off scope:SCOPE_DEV
	s_wait_loadcnt 0x0
	v_cmp_ne_u16_e32 vcc_lo, 0, v40
	s_or_b32 s17, vcc_lo, s17
	s_wait_xcnt 0x0
	s_and_not1_b32 exec_lo, exec_lo, s17
	s_cbranch_execnz .LBB74_126
; %bb.127:
	s_or_b32 exec_lo, exec_lo, s17
.LBB74_128:
	s_delay_alu instid0(SALU_CYCLE_1)
	s_or_b32 exec_lo, exec_lo, s16
	v_dual_mov_b32 v33, s25 :: v_dual_mov_b32 v36, s24
	v_cmp_eq_u16_e32 vcc_lo, 1, v40
	global_wb scope:SCOPE_DEV
	s_wait_storecnt_dscnt 0x0
	global_inv scope:SCOPE_DEV
	v_lshlrev_b32_e64 v42, v39, -1
	s_mov_b32 s16, exec_lo
	v_cndmask_b32_e32 v37, s27, v33, vcc_lo
	v_cndmask_b32_e32 v36, s26, v36, vcc_lo
	v_cmp_ne_u32_e32 vcc_lo, 31, v39
	v_add_co_ci_u32_e64 v33, null, 0, v39, vcc_lo
	v_cmp_eq_u16_e32 vcc_lo, 2, v40
	s_delay_alu instid0(VALU_DEP_2)
	v_lshlrev_b32_e32 v41, 2, v33
	v_lshl_add_u64 v[34:35], v[34:35], 4, v[36:37]
	s_clause 0x1
	global_load_u8 v52, v[34:35], off offset:8
	global_load_b64 v[36:37], v[34:35], off
	v_and_or_b32 v33, vcc_lo, v42, 0x80000000
	s_delay_alu instid0(VALU_DEP_1)
	v_ctz_i32_b32_e32 v33, v33
	s_wait_loadcnt 0x1
	s_wait_xcnt 0x0
	v_and_b32_e32 v34, 1, v52
	s_wait_loadcnt 0x0
	ds_bpermute_b32 v43, v41, v36
	ds_bpermute_b32 v44, v41, v37
	;; [unrolled: 1-line block ×3, first 2 shown]
	v_cmpx_lt_u32_e64 v39, v33
	s_cbranch_execz .LBB74_130
; %bb.129:
	v_and_b32_e32 v34, 0xff, v52
	s_wait_dscnt 0x0
	v_bitop3_b16 v52, v35, v52, 1 bitop3:0xec
	s_delay_alu instid0(VALU_DEP_2) | instskip(NEXT) | instid1(VALU_DEP_2)
	v_cmp_eq_u16_e32 vcc_lo, 0, v34
	v_and_b32_e32 v34, 0xff, v52
	v_dual_cndmask_b32 v45, 0, v44 :: v_dual_cndmask_b32 v44, 1, v43
	s_delay_alu instid0(VALU_DEP_1)
	v_mul_u64_e32 v[36:37], v[44:45], v[36:37]
.LBB74_130:
	s_or_b32 exec_lo, exec_lo, s16
	v_cmp_gt_u32_e32 vcc_lo, 30, v39
	s_wait_dscnt 0x1
	v_add_nc_u32_e32 v44, 2, v39
	s_mov_b32 s17, exec_lo
	s_wait_dscnt 0x0
	v_cndmask_b32_e64 v35, 0, 2, vcc_lo
	s_delay_alu instid0(VALU_DEP_1)
	v_add_lshl_u32 v43, v35, v39, 2
	ds_bpermute_b32 v45, v43, v36
	ds_bpermute_b32 v46, v43, v37
	ds_bpermute_b32 v35, v43, v34
	v_cmpx_le_u32_e64 v44, v33
	s_cbranch_execz .LBB74_132
; %bb.131:
	v_and_b32_e32 v34, 0xff, v52
	s_wait_dscnt 0x0
	v_and_b32_e32 v35, 1, v35
	s_delay_alu instid0(VALU_DEP_2) | instskip(SKIP_1) | instid1(VALU_DEP_3)
	v_cmp_eq_u16_e32 vcc_lo, 0, v34
	v_and_b32_e32 v34, 1, v52
	v_cmp_eq_u32_e64 s16, 1, v35
	v_dual_cndmask_b32 v47, 0, v46 :: v_dual_cndmask_b32 v46, 1, v45
	s_delay_alu instid0(VALU_DEP_3) | instskip(NEXT) | instid1(VALU_DEP_2)
	v_cmp_eq_u32_e32 vcc_lo, 1, v34
	v_mul_u64_e32 v[36:37], v[46:47], v[36:37]
	s_or_b32 s16, vcc_lo, s16
	s_delay_alu instid0(SALU_CYCLE_1)
	v_cndmask_b32_e64 v52, 0, 1, s16
	v_cndmask_b32_e64 v34, 0, 1, s16
.LBB74_132:
	s_or_b32 exec_lo, exec_lo, s17
	v_cmp_gt_u32_e32 vcc_lo, 28, v39
	s_wait_dscnt 0x1
	v_add_nc_u32_e32 v46, 4, v39
	s_mov_b32 s17, exec_lo
	s_wait_dscnt 0x0
	v_cndmask_b32_e64 v35, 0, 4, vcc_lo
	s_delay_alu instid0(VALU_DEP_1)
	v_add_lshl_u32 v45, v35, v39, 2
	ds_bpermute_b32 v47, v45, v36
	ds_bpermute_b32 v48, v45, v37
	ds_bpermute_b32 v35, v45, v34
	v_cmpx_le_u32_e64 v46, v33
	s_cbranch_execz .LBB74_134
; %bb.133:
	v_and_b32_e32 v34, 0xff, v52
	s_wait_dscnt 0x0
	v_and_b32_e32 v35, 1, v35
	s_delay_alu instid0(VALU_DEP_2) | instskip(SKIP_1) | instid1(VALU_DEP_3)
	v_cmp_eq_u16_e32 vcc_lo, 0, v34
	v_and_b32_e32 v34, 1, v52
	v_cmp_eq_u32_e64 s16, 1, v35
	v_dual_cndmask_b32 v49, 0, v48 :: v_dual_cndmask_b32 v48, 1, v47
	s_delay_alu instid0(VALU_DEP_3) | instskip(NEXT) | instid1(VALU_DEP_2)
	v_cmp_eq_u32_e32 vcc_lo, 1, v34
	v_mul_u64_e32 v[36:37], v[48:49], v[36:37]
	s_or_b32 s16, vcc_lo, s16
	s_delay_alu instid0(SALU_CYCLE_1)
	v_cndmask_b32_e64 v52, 0, 1, s16
	v_cndmask_b32_e64 v34, 0, 1, s16
.LBB74_134:
	;; [unrolled: 31-line block ×3, first 2 shown]
	s_or_b32 exec_lo, exec_lo, s17
	s_wait_dscnt 0x2
	v_lshl_or_b32 v49, v39, 2, 64
	v_add_nc_u32_e32 v51, 16, v39
	s_mov_b32 s17, exec_lo
	s_wait_dscnt 0x0
	ds_bpermute_b32 v35, v49, v36
	ds_bpermute_b32 v50, v49, v37
	;; [unrolled: 1-line block ×3, first 2 shown]
	v_cmpx_le_u32_e64 v51, v33
	s_cbranch_execz .LBB74_138
; %bb.137:
	v_and_b32_e32 v33, 0xff, v52
	s_wait_dscnt 0x0
	v_and_b32_e32 v34, 1, v34
	s_delay_alu instid0(VALU_DEP_2) | instskip(SKIP_1) | instid1(VALU_DEP_3)
	v_cmp_eq_u16_e32 vcc_lo, 0, v33
	v_and_b32_e32 v33, 1, v52
	v_cmp_eq_u32_e64 s16, 1, v34
	v_dual_cndmask_b32 v55, 0, v50 :: v_dual_cndmask_b32 v54, 1, v35
	s_delay_alu instid0(VALU_DEP_3) | instskip(NEXT) | instid1(VALU_DEP_2)
	v_cmp_eq_u32_e32 vcc_lo, 1, v33
	v_mul_u64_e32 v[36:37], v[54:55], v[36:37]
	s_or_b32 s16, vcc_lo, s16
	s_delay_alu instid0(SALU_CYCLE_1)
	v_cndmask_b32_e64 v52, 0, 1, s16
.LBB74_138:
	s_or_b32 exec_lo, exec_lo, s17
	v_mov_b32_e32 v33, 0
	s_branch .LBB74_141
.LBB74_139:                             ;   in Loop: Header=BB74_141 Depth=1
	s_or_b32 exec_lo, exec_lo, s20
	v_and_b32_e32 v52, 0xff, v50
	v_subrev_nc_u32_e32 v32, 32, v32
	s_delay_alu instid0(VALU_DEP_2) | instskip(NEXT) | instid1(VALU_DEP_4)
	v_cmp_eq_u16_e32 vcc_lo, 0, v52
	v_dual_cndmask_b32 v37, 0, v37, vcc_lo :: v_dual_bitop2_b32 v52, 1, v50 bitop3:0x40
	v_cndmask_b32_e32 v36, 1, v36, vcc_lo
	s_delay_alu instid0(VALU_DEP_2) | instskip(NEXT) | instid1(VALU_DEP_2)
	v_cmp_eq_u32_e32 vcc_lo, 1, v52
	v_mul_u64_e32 v[36:37], v[36:37], v[34:35]
	s_or_b32 s16, vcc_lo, s17
	s_delay_alu instid0(SALU_CYCLE_1)
	v_cndmask_b32_e64 v52, 0, 1, s16
	s_mov_b32 s16, 0
.LBB74_140:                             ;   in Loop: Header=BB74_141 Depth=1
	s_delay_alu instid0(SALU_CYCLE_1)
	s_and_b32 vcc_lo, exec_lo, s16
	s_cbranch_vccnz .LBB74_205
.LBB74_141:                             ; =>This Loop Header: Depth=1
                                        ;     Child Loop BB74_144 Depth 2
	s_wait_dscnt 0x0
	v_and_b32_e32 v34, 0xff, v40
	v_mov_b32_e32 v50, v52
	s_mov_b32 s16, -1
                                        ; implicit-def: $vgpr52
                                        ; implicit-def: $vgpr40
	s_delay_alu instid0(VALU_DEP_2)
	v_cmp_ne_u16_e32 vcc_lo, 2, v34
	v_mov_b64_e32 v[34:35], v[36:37]
                                        ; implicit-def: $vgpr36_vgpr37
	s_cmp_lg_u32 vcc_lo, exec_lo
	s_cbranch_scc1 .LBB74_140
; %bb.142:                              ;   in Loop: Header=BB74_141 Depth=1
	global_load_u8 v40, v32, s[28:29] scope:SCOPE_DEV
	s_mov_b32 s16, exec_lo
	s_wait_loadcnt 0x0
	v_cmpx_eq_u16_e32 0, v40
	s_cbranch_execz .LBB74_146
; %bb.143:                              ;   in Loop: Header=BB74_141 Depth=1
	v_add_nc_u64_e32 v[36:37], s[28:29], v[32:33]
	s_mov_b32 s17, 0
.LBB74_144:                             ;   Parent Loop BB74_141 Depth=1
                                        ; =>  This Inner Loop Header: Depth=2
	global_load_u8 v40, v[36:37], off scope:SCOPE_DEV
	s_wait_loadcnt 0x0
	v_cmp_ne_u16_e32 vcc_lo, 0, v40
	s_or_b32 s17, vcc_lo, s17
	s_delay_alu instid0(SALU_CYCLE_1)
	s_and_not1_b32 exec_lo, exec_lo, s17
	s_cbranch_execnz .LBB74_144
; %bb.145:                              ;   in Loop: Header=BB74_141 Depth=1
	s_or_b32 exec_lo, exec_lo, s17
.LBB74_146:                             ;   in Loop: Header=BB74_141 Depth=1
	s_delay_alu instid0(SALU_CYCLE_1)
	s_or_b32 exec_lo, exec_lo, s16
	v_dual_mov_b32 v36, s25 :: v_dual_mov_b32 v52, s24
	v_cmp_eq_u16_e32 vcc_lo, 1, v40
	global_wb scope:SCOPE_DEV
	s_wait_storecnt 0x0
	global_inv scope:SCOPE_DEV
	s_mov_b32 s16, exec_lo
	v_cndmask_b32_e32 v37, s27, v36, vcc_lo
	v_cndmask_b32_e32 v36, s26, v52, vcc_lo
	v_cmp_eq_u16_e32 vcc_lo, 2, v40
	s_delay_alu instid0(VALU_DEP_2)
	v_lshl_add_u64 v[54:55], v[32:33], 4, v[36:37]
	v_and_or_b32 v53, vcc_lo, v42, 0x80000000
	s_clause 0x1
	global_load_u8 v52, v[54:55], off offset:8
	global_load_b64 v[36:37], v[54:55], off
	v_ctz_i32_b32_e32 v53, v53
	s_wait_loadcnt 0x1
	s_wait_xcnt 0x0
	v_and_b32_e32 v54, 1, v52
	s_wait_loadcnt 0x0
	ds_bpermute_b32 v56, v41, v36
	ds_bpermute_b32 v57, v41, v37
	;; [unrolled: 1-line block ×3, first 2 shown]
	v_cmpx_lt_u32_e64 v39, v53
	s_cbranch_execz .LBB74_148
; %bb.147:                              ;   in Loop: Header=BB74_141 Depth=1
	v_and_b32_e32 v54, 0xff, v52
	s_wait_dscnt 0x0
	v_bitop3_b16 v52, v55, v52, 1 bitop3:0xec
	s_delay_alu instid0(VALU_DEP_2) | instskip(NEXT) | instid1(VALU_DEP_2)
	v_cmp_eq_u16_e32 vcc_lo, 0, v54
	v_and_b32_e32 v54, 0xff, v52
	v_dual_cndmask_b32 v57, 0, v57 :: v_dual_cndmask_b32 v56, 1, v56
	s_delay_alu instid0(VALU_DEP_1)
	v_mul_u64_e32 v[36:37], v[56:57], v[36:37]
.LBB74_148:                             ;   in Loop: Header=BB74_141 Depth=1
	s_or_b32 exec_lo, exec_lo, s16
	s_wait_dscnt 0x2
	ds_bpermute_b32 v56, v43, v36
	s_wait_dscnt 0x2
	ds_bpermute_b32 v57, v43, v37
	;; [unrolled: 2-line block ×3, first 2 shown]
	v_and_b32_e32 v58, 1, v52
	s_mov_b32 s16, exec_lo
	s_delay_alu instid0(VALU_DEP_1)
	v_cmp_eq_u32_e64 s17, 1, v58
	v_cmpx_le_u32_e64 v44, v53
	s_cbranch_execz .LBB74_150
; %bb.149:                              ;   in Loop: Header=BB74_141 Depth=1
	v_and_b32_e32 v52, 0xff, v52
	s_delay_alu instid0(VALU_DEP_1) | instskip(SKIP_3) | instid1(VALU_DEP_2)
	v_cmp_eq_u16_e32 vcc_lo, 0, v52
	s_wait_dscnt 0x0
	v_dual_cndmask_b32 v57, 0, v57, vcc_lo :: v_dual_bitop2_b32 v52, 1, v55 bitop3:0x40
	v_cndmask_b32_e32 v56, 1, v56, vcc_lo
	v_cmp_eq_u32_e32 vcc_lo, 1, v52
	s_delay_alu instid0(VALU_DEP_2)
	v_mul_u64_e32 v[36:37], v[56:57], v[36:37]
	s_or_b32 s20, s17, vcc_lo
	s_and_not1_b32 s17, s17, exec_lo
	v_cndmask_b32_e64 v52, 0, 1, s20
	v_cndmask_b32_e64 v54, 0, 1, s20
	s_and_b32 s20, s20, exec_lo
	s_delay_alu instid0(SALU_CYCLE_1)
	s_or_b32 s17, s17, s20
.LBB74_150:                             ;   in Loop: Header=BB74_141 Depth=1
	s_or_b32 exec_lo, exec_lo, s16
	s_wait_dscnt 0x2
	ds_bpermute_b32 v56, v45, v36
	s_wait_dscnt 0x2
	ds_bpermute_b32 v57, v45, v37
	;; [unrolled: 2-line block ×3, first 2 shown]
	s_mov_b32 s20, exec_lo
	v_cmpx_le_u32_e64 v46, v53
	s_cbranch_execz .LBB74_152
; %bb.151:                              ;   in Loop: Header=BB74_141 Depth=1
	v_and_b32_e32 v54, 0xff, v52
	v_and_b32_e32 v52, 1, v52
	s_and_not1_b32 s17, s17, exec_lo
	s_delay_alu instid0(VALU_DEP_2) | instskip(SKIP_4) | instid1(VALU_DEP_3)
	v_cmp_eq_u16_e32 vcc_lo, 0, v54
	s_wait_dscnt 0x0
	v_dual_cndmask_b32 v57, 0, v57, vcc_lo :: v_dual_bitop2_b32 v54, 1, v55 bitop3:0x40
	v_cndmask_b32_e32 v56, 1, v56, vcc_lo
	v_cmp_eq_u32_e32 vcc_lo, 1, v52
	v_cmp_eq_u32_e64 s16, 1, v54
	s_delay_alu instid0(VALU_DEP_3) | instskip(SKIP_1) | instid1(SALU_CYCLE_1)
	v_mul_u64_e32 v[36:37], v[56:57], v[36:37]
	s_or_b32 s16, vcc_lo, s16
	v_cndmask_b32_e64 v52, 0, 1, s16
	v_cndmask_b32_e64 v54, 0, 1, s16
	s_and_b32 s16, s16, exec_lo
	s_delay_alu instid0(SALU_CYCLE_1)
	s_or_b32 s17, s17, s16
.LBB74_152:                             ;   in Loop: Header=BB74_141 Depth=1
	s_or_b32 exec_lo, exec_lo, s20
	s_wait_dscnt 0x2
	ds_bpermute_b32 v56, v47, v36
	s_wait_dscnt 0x2
	ds_bpermute_b32 v57, v47, v37
	;; [unrolled: 2-line block ×3, first 2 shown]
	s_mov_b32 s20, exec_lo
	v_cmpx_le_u32_e64 v48, v53
	s_cbranch_execz .LBB74_154
; %bb.153:                              ;   in Loop: Header=BB74_141 Depth=1
	v_and_b32_e32 v54, 0xff, v52
	v_and_b32_e32 v52, 1, v52
	s_and_not1_b32 s17, s17, exec_lo
	s_delay_alu instid0(VALU_DEP_2) | instskip(SKIP_4) | instid1(VALU_DEP_3)
	v_cmp_eq_u16_e32 vcc_lo, 0, v54
	s_wait_dscnt 0x0
	v_dual_cndmask_b32 v57, 0, v57, vcc_lo :: v_dual_bitop2_b32 v54, 1, v55 bitop3:0x40
	v_cndmask_b32_e32 v56, 1, v56, vcc_lo
	v_cmp_eq_u32_e32 vcc_lo, 1, v52
	v_cmp_eq_u32_e64 s16, 1, v54
	s_delay_alu instid0(VALU_DEP_3) | instskip(SKIP_1) | instid1(SALU_CYCLE_1)
	v_mul_u64_e32 v[36:37], v[56:57], v[36:37]
	s_or_b32 s16, vcc_lo, s16
	v_cndmask_b32_e64 v52, 0, 1, s16
	v_cndmask_b32_e64 v54, 0, 1, s16
	s_and_b32 s16, s16, exec_lo
	s_delay_alu instid0(SALU_CYCLE_1)
	s_or_b32 s17, s17, s16
.LBB74_154:                             ;   in Loop: Header=BB74_141 Depth=1
	s_or_b32 exec_lo, exec_lo, s20
	s_wait_dscnt 0x0
	ds_bpermute_b32 v55, v49, v36
	ds_bpermute_b32 v56, v49, v37
	;; [unrolled: 1-line block ×3, first 2 shown]
	s_mov_b32 s20, exec_lo
	v_cmpx_le_u32_e64 v51, v53
	s_cbranch_execz .LBB74_139
; %bb.155:                              ;   in Loop: Header=BB74_141 Depth=1
	v_and_b32_e32 v53, 0xff, v52
	v_and_b32_e32 v52, 1, v52
	s_and_not1_b32 s17, s17, exec_lo
	s_delay_alu instid0(VALU_DEP_2) | instskip(SKIP_4) | instid1(VALU_DEP_3)
	v_cmp_eq_u16_e32 vcc_lo, 0, v53
	s_wait_dscnt 0x0
	v_dual_cndmask_b32 v57, 0, v56, vcc_lo :: v_dual_bitop2_b32 v53, 1, v54 bitop3:0x40
	v_cndmask_b32_e32 v56, 1, v55, vcc_lo
	v_cmp_eq_u32_e32 vcc_lo, 1, v52
	v_cmp_eq_u32_e64 s16, 1, v53
	s_delay_alu instid0(VALU_DEP_3) | instskip(SKIP_1) | instid1(SALU_CYCLE_1)
	v_mul_u64_e32 v[36:37], v[56:57], v[36:37]
	s_or_b32 s16, vcc_lo, s16
	s_and_b32 s16, s16, exec_lo
	s_delay_alu instid0(SALU_CYCLE_1)
	s_or_b32 s17, s17, s16
	s_branch .LBB74_139
.LBB74_156:
                                        ; implicit-def: $vgpr58_vgpr59
                                        ; implicit-def: $vgpr54_vgpr55
                                        ; implicit-def: $vgpr50_vgpr51
                                        ; implicit-def: $vgpr46_vgpr47
                                        ; implicit-def: $vgpr42_vgpr43
                                        ; implicit-def: $vgpr38_vgpr39
                                        ; implicit-def: $vgpr34_vgpr35
	s_cbranch_execnz .LBB74_212
.LBB74_157:
	s_add_nc_u64 s[0:1], s[42:43], s[34:35]
	s_and_b32 vcc_lo, exec_lo, s31
	s_add_nc_u64 s[0:1], s[0:1], s[36:37]
	s_cbranch_vccz .LBB74_231
.LBB74_158:
	v_mul_u32_u24_e32 v1, 14, v0
	s_add_co_i32 s33, s33, s30
	s_mov_b32 s2, exec_lo
	s_delay_alu instid0(VALU_DEP_1)
	v_cmpx_gt_u32_e64 s33, v1
	s_cbranch_execz .LBB74_178
; %bb.159:
	v_or_b32_e32 v2, 1, v1
	s_mov_b32 s3, exec_lo
	s_delay_alu instid0(VALU_DEP_1)
	v_cmpx_gt_u32_e64 s33, v2
	s_cbranch_execz .LBB74_177
; %bb.160:
	v_add_nc_u32_e32 v2, 2, v1
	s_mov_b32 s4, exec_lo
	s_delay_alu instid0(VALU_DEP_1)
	v_cmpx_gt_u32_e64 s33, v2
	s_cbranch_execz .LBB74_176
; %bb.161:
	v_add_nc_u32_e32 v2, 3, v1
	;; [unrolled: 6-line block ×8, first 2 shown]
	s_mov_b32 s11, exec_lo
	s_delay_alu instid0(VALU_DEP_1)
	v_cmpx_gt_u32_e64 s33, v2
; %bb.168:
	v_add_nc_u32_e32 v2, 10, v1
	s_mov_b32 s12, exec_lo
	s_delay_alu instid0(VALU_DEP_1)
	v_cmpx_gt_u32_e64 s33, v2
	s_or_b32 exec_lo, exec_lo, s12
; %bb.169:
	s_delay_alu instid0(SALU_CYCLE_1)
	s_or_b32 exec_lo, exec_lo, s11
.LBB74_170:
	s_delay_alu instid0(SALU_CYCLE_1)
	s_or_b32 exec_lo, exec_lo, s10
.LBB74_171:
	s_delay_alu instid0(SALU_CYCLE_1)
	s_or_b32 exec_lo, exec_lo, s9
.LBB74_172:
	s_delay_alu instid0(SALU_CYCLE_1)
	s_or_b32 exec_lo, exec_lo, s8
.LBB74_173:
	s_delay_alu instid0(SALU_CYCLE_1)
	s_or_b32 exec_lo, exec_lo, s7
.LBB74_174:
	s_delay_alu instid0(SALU_CYCLE_1)
	s_or_b32 exec_lo, exec_lo, s6
.LBB74_175:
	s_delay_alu instid0(SALU_CYCLE_1)
	s_or_b32 exec_lo, exec_lo, s5
.LBB74_176:
	s_delay_alu instid0(SALU_CYCLE_1)
	s_or_b32 exec_lo, exec_lo, s4
.LBB74_177:
	s_delay_alu instid0(SALU_CYCLE_1)
	s_or_b32 exec_lo, exec_lo, s3
.LBB74_178:
	s_delay_alu instid0(SALU_CYCLE_1)
	s_or_b32 exec_lo, exec_lo, s2
	v_dual_lshlrev_b32 v1, 3, v1 :: v_dual_mov_b32 v65, 0
	s_wait_loadcnt 0x0
	s_wait_storecnt 0x0
	s_barrier_signal -1
	s_barrier_wait -1
	v_mad_i32_i24 v2, 0xffffff98, v0, v1
	ds_store_b128 v1, v[32:35]
	ds_store_b128 v1, v[36:39] offset:16
	ds_store_b128 v1, v[40:43] offset:32
	ds_store_b128 v1, v[44:47] offset:48
	ds_store_b128 v1, v[48:51] offset:64
	ds_store_b128 v1, v[52:55] offset:80
	ds_store_b128 v1, v[56:59] offset:96
	s_wait_dscnt 0x0
	s_barrier_signal -1
	s_barrier_wait -1
	ds_load_2addr_stride64_b64 v[26:29], v2 offset0:4 offset1:8
	ds_load_2addr_stride64_b64 v[22:25], v2 offset0:12 offset1:16
	ds_load_2addr_stride64_b64 v[18:21], v2 offset0:20 offset1:24
	ds_load_2addr_stride64_b64 v[14:17], v2 offset0:28 offset1:32
	ds_load_2addr_stride64_b64 v[10:13], v2 offset0:36 offset1:40
	ds_load_2addr_stride64_b64 v[6:9], v2 offset0:44 offset1:48
	ds_load_b64 v[4:5], v2 offset:26624
	v_add_nc_u64_e32 v[2:3], s[0:1], v[64:65]
	s_mov_b32 s2, exec_lo
	v_cmpx_gt_u32_e64 s33, v0
	s_cbranch_execz .LBB74_180
; %bb.179:
	v_mul_i32_i24_e32 v30, 0xffffff98, v0
	s_delay_alu instid0(VALU_DEP_1)
	v_add_nc_u32_e32 v1, v1, v30
	ds_load_b64 v[30:31], v1
	s_wait_dscnt 0x0
	flat_store_b64 v[2:3], v[30:31]
.LBB74_180:
	s_wait_xcnt 0x0
	s_or_b32 exec_lo, exec_lo, s2
	v_or_b32_e32 v1, 0x100, v0
	s_mov_b32 s2, exec_lo
	s_delay_alu instid0(VALU_DEP_1)
	v_cmpx_gt_u32_e64 s33, v1
	s_cbranch_execz .LBB74_182
; %bb.181:
	s_wait_dscnt 0x6
	flat_store_b64 v[2:3], v[26:27] offset:2048
.LBB74_182:
	s_wait_xcnt 0x0
	s_or_b32 exec_lo, exec_lo, s2
	v_or_b32_e32 v1, 0x200, v0
	s_mov_b32 s2, exec_lo
	s_delay_alu instid0(VALU_DEP_1)
	v_cmpx_gt_u32_e64 s33, v1
	s_cbranch_execz .LBB74_184
; %bb.183:
	s_wait_dscnt 0x6
	flat_store_b64 v[2:3], v[28:29] offset:4096
.LBB74_184:
	;; [unrolled: 11-line block ×12, first 2 shown]
	s_wait_xcnt 0x0
	s_or_b32 exec_lo, exec_lo, s2
	v_or_b32_e32 v1, 0xd00, v0
	s_delay_alu instid0(VALU_DEP_1)
	v_cmp_gt_u32_e64 s2, s33, v1
	s_branch .LBB74_233
.LBB74_205:
	s_and_saveexec_b32 s16, s15
	s_cbranch_execz .LBB74_207
; %bb.206:
	v_and_b32_e32 v32, 0xff, v38
	s_add_co_i32 s20, s54, 32
	s_mov_b32 s21, 0
	v_mov_b32_e32 v37, s20
	s_lshl_b64 s[22:23], s[20:21], 4
	v_cmp_eq_u32_e32 vcc_lo, 0, v32
	s_add_nc_u64 s[20:21], s[26:27], s[22:23]
	v_dual_mov_b32 v36, 2 :: v_dual_cndmask_b32 v33, 0, v35
	v_cndmask_b32_e32 v32, 1, v34, vcc_lo
	s_delay_alu instid0(VALU_DEP_1)
	v_mul_u64_e32 v[20:21], v[32:33], v[20:21]
	v_mov_b32_e32 v33, 0
	v_bitop3_b16 v32, v38, 1, v50 bitop3:0xc8
	s_clause 0x1
	global_store_b64 v33, v[20:21], s[20:21]
	global_store_b8 v33, v32, s[20:21] offset:8
	global_wb scope:SCOPE_DEV
	s_wait_storecnt_dscnt 0x0
	global_inv scope:SCOPE_DEV
	s_wait_xcnt 0x0
	global_store_b8 v37, v36, s[28:29] scope:SCOPE_DEV
.LBB74_207:
	s_wait_xcnt 0x0
	s_or_b32 exec_lo, exec_lo, s16
	s_delay_alu instid0(SALU_CYCLE_1)
	s_and_b32 exec_lo, exec_lo, s2
	s_cbranch_execz .LBB74_209
; %bb.208:
	v_mov_b32_e32 v20, 0
	ds_store_b64 v20, v[34:35]
	ds_store_b8 v20, v50 offset:8
.LBB74_209:
	s_or_b32 exec_lo, exec_lo, s19
	v_dual_mov_b32 v20, 0 :: v_dual_mov_b32 v34, v1
	s_wait_storecnt 0x0
	s_wait_loadcnt_dscnt 0x0
	s_barrier_signal -1
	s_barrier_wait -1
	ds_load_b64 v[20:21], v20
	v_mov_b64_e32 v[32:33], v[2:3]
	s_and_saveexec_b32 s15, s3
	s_cbranch_execz .LBB74_211
; %bb.210:
	v_and_b32_e32 v32, 0xff, v1
	s_delay_alu instid0(VALU_DEP_1) | instskip(SKIP_1) | instid1(VALU_DEP_1)
	v_cmp_eq_u16_e32 vcc_lo, 0, v32
	v_dual_cndmask_b32 v5, 0, v5 :: v_dual_cndmask_b32 v4, 1, v4
	v_mul_u64_e32 v[32:33], v[4:5], v[2:3]
	v_and_b32_e32 v4, 1, v1
	s_delay_alu instid0(VALU_DEP_1) | instskip(SKIP_1) | instid1(SALU_CYCLE_1)
	v_cmp_eq_u32_e32 vcc_lo, 1, v4
	s_or_b32 s16, vcc_lo, s18
	v_cndmask_b32_e64 v34, 0, 1, s16
.LBB74_211:
	s_or_b32 exec_lo, exec_lo, s15
	s_delay_alu instid0(VALU_DEP_1) | instskip(NEXT) | instid1(VALU_DEP_1)
	v_and_b32_e32 v4, 0xff, v34
	v_cmp_eq_u16_e32 vcc_lo, 0, v4
	s_wait_dscnt 0x0
	v_dual_cndmask_b32 v5, 0, v21 :: v_dual_cndmask_b32 v4, 1, v20
	s_delay_alu instid0(VALU_DEP_1) | instskip(NEXT) | instid1(VALU_DEP_1)
	v_mul_u64_e32 v[32:33], v[4:5], v[32:33]
	v_dual_cndmask_b32 v5, 0, v33, s1 :: v_dual_cndmask_b32 v4, 1, v32, s1
	s_delay_alu instid0(VALU_DEP_1) | instskip(NEXT) | instid1(VALU_DEP_1)
	v_mul_u64_e32 v[34:35], v[4:5], v[6:7]
	v_dual_cndmask_b32 v5, 0, v35, s4 :: v_dual_cndmask_b32 v4, 1, v34, s4
	;; [unrolled: 3-line block ×13, first 2 shown]
	s_delay_alu instid0(VALU_DEP_1)
	v_mul_u64_e32 v[58:59], v[4:5], v[8:9]
	s_branch .LBB74_157
.LBB74_212:
	s_cmp_lg_u64 s[52:53], 0
	s_cselect_b32 s0, -1, 0
	s_cmp_lg_u64 s[46:47], 0
	s_cselect_b32 s1, -1, 0
	s_delay_alu instid0(SALU_CYCLE_1) | instskip(NEXT) | instid1(SALU_CYCLE_1)
	s_and_b32 s0, s0, s1
	s_and_b32 s1, s2, s0
	s_delay_alu instid0(SALU_CYCLE_1)
	s_and_saveexec_b32 s0, s1
	s_cbranch_execz .LBB74_214
; %bb.213:
	v_mov_b32_e32 v20, 0
	s_clause 0x1
	global_load_b64 v[4:5], v20, s[46:47]
	global_load_u8 v21, v20, s[46:47] offset:8
	s_wait_xcnt 0x0
	v_and_b32_e32 v20, 0xff, v1
	s_delay_alu instid0(VALU_DEP_1) | instskip(SKIP_4) | instid1(VALU_DEP_2)
	v_cmp_eq_u16_e32 vcc_lo, 0, v20
	s_wait_loadcnt 0x1
	v_dual_cndmask_b32 v5, 0, v5 :: v_dual_cndmask_b32 v4, 1, v4
	s_wait_loadcnt 0x0
	v_bitop3_b16 v1, v1, 1, v21 bitop3:0xc8
	v_mul_u64_e32 v[2:3], v[4:5], v[2:3]
.LBB74_214:
	s_or_b32 exec_lo, exec_lo, s0
	v_cmp_eq_u16_e32 vcc_lo, 0, v82
	v_cmp_eq_u16_e64 s0, 0, v81
	v_cmp_eq_u16_e64 s1, 0, v80
	;; [unrolled: 1-line block ×4, first 2 shown]
	v_dual_cndmask_b32 v5, 0, v3 :: v_dual_cndmask_b32 v4, 1, v2
	v_cmp_eq_u16_e64 s6, 0, v77
	v_cmp_eq_u16_e64 s7, 0, v76
	;; [unrolled: 1-line block ×4, first 2 shown]
	v_mul_u64_e32 v[34:35], v[4:5], v[6:7]
	v_cmp_eq_u16_e64 s10, 0, v73
	v_cmp_eq_u16_e64 s11, 0, v72
	;; [unrolled: 1-line block ×4, first 2 shown]
	v_cmp_ne_u16_e64 s18, 0, v69
	v_cmp_eq_u32_e64 s19, 1, v61
	v_cmp_ne_u16_e64 s17, 0, v67
	v_cmp_eq_u32_e64 s20, 1, v60
	v_cmp_ne_u16_e64 s21, 0, v70
	v_cmp_ne_u16_e64 s15, 0, v66
	v_cmp_eq_u32_e64 s16, 1, v62
	s_or_b32 s18, s18, s19
	v_cmp_eq_u32_e64 s14, 1, v63
	s_or_b32 s17, s17, s20
	s_or_b32 s18, s21, s18
	;; [unrolled: 1-line block ×4, first 2 shown]
	s_delay_alu instid0(SALU_CYCLE_1) | instskip(SKIP_2) | instid1(VALU_DEP_1)
	s_or_b32 s15, s16, s15
	s_mov_b32 s16, exec_lo
	v_dual_cndmask_b32 v5, 0, v35, s0 :: v_dual_cndmask_b32 v4, 1, v34, s0
	v_mul_u64_e32 v[36:37], v[4:5], v[12:13]
	s_delay_alu instid0(VALU_DEP_1) | instskip(NEXT) | instid1(VALU_DEP_1)
	v_dual_cndmask_b32 v5, 0, v37, s1 :: v_dual_cndmask_b32 v4, 1, v36, s1
	v_mul_u64_e32 v[38:39], v[4:5], v[10:11]
	s_delay_alu instid0(VALU_DEP_1) | instskip(NEXT) | instid1(VALU_DEP_1)
	;; [unrolled: 3-line block ×11, first 2 shown]
	v_dual_cndmask_b32 v5, 0, v57, s13 :: v_dual_cndmask_b32 v4, 1, v56, s13
	v_mul_u64_e32 v[58:59], v[4:5], v[8:9]
	v_bitop3_b16 v4, v1, 0xff, v88 bitop3:0xc8
	v_and_b32_e32 v5, 0x70, v68
	s_delay_alu instid0(VALU_DEP_2) | instskip(NEXT) | instid1(VALU_DEP_2)
	v_cmp_ne_u16_e64 s22, 0, v4
	v_lshl_add_u32 v4, v0, 4, v5
	s_or_b32 s14, s22, s14
	s_delay_alu instid0(SALU_CYCLE_1) | instskip(NEXT) | instid1(SALU_CYCLE_1)
	s_or_b32 s14, s15, s14
	v_cndmask_b32_e64 v33, 0, 1, s14
	ds_store_b64 v4, v[58:59]
	ds_store_b8 v4, v33 offset:8
	s_wait_dscnt 0x0
	s_barrier_signal -1
	s_barrier_wait -1
	v_cmpx_gt_u32_e32 32, v0
	s_cbranch_execz .LBB74_226
; %bb.215:
	v_dual_lshlrev_b32 v4, 2, v0 :: v_dual_lshlrev_b32 v5, 7, v0
	s_delay_alu instid0(VALU_DEP_1) | instskip(NEXT) | instid1(VALU_DEP_1)
	v_and_b32_e32 v4, 0x3f0, v4
	v_add_nc_u32_e32 v32, v4, v5
	ds_load_u8 v61, v32 offset:24
	ds_load_b64 v[4:5], v32
	ds_load_2addr_b64 v[66:69], v32 offset0:2 offset1:4
	ds_load_b32 v60, v32 offset:8
	ds_load_u8 v65, v32 offset:40
	ds_load_u8 v70, v32 offset:56
	;; [unrolled: 1-line block ×5, first 2 shown]
	s_wait_dscnt 0x8
	v_cmp_eq_u16_e64 s14, 0, v61
	s_wait_dscnt 0x7
	s_delay_alu instid0(VALU_DEP_1)
	v_dual_cndmask_b32 v21, 0, v5, s14 :: v_dual_cndmask_b32 v20, 1, v4, s14
	s_wait_dscnt 0x4
	v_cmp_eq_u16_e64 s14, 0, v65
	s_wait_dscnt 0x3
	v_bitop3_b16 v61, v65, v70, v61 bitop3:0xfe
	s_wait_dscnt 0x0
	v_bitop3_b16 v65, v72, v73, v71 bitop3:0xfe
	v_mul_u64_e32 v[20:21], v[20:21], v[66:67]
	s_delay_alu instid0(VALU_DEP_1) | instskip(SKIP_1) | instid1(VALU_DEP_2)
	v_dual_cndmask_b32 v21, 0, v21, s14 :: v_dual_cndmask_b32 v20, 1, v20, s14
	v_cmp_eq_u16_e64 s14, 0, v70
	v_mul_u64_e32 v[20:21], v[20:21], v[68:69]
	ds_load_2addr_b64 v[66:69], v32 offset0:6 offset1:8
	v_dual_cndmask_b32 v21, 0, v21, s14 :: v_dual_cndmask_b32 v20, 1, v20, s14
	v_cmp_eq_u16_e64 s14, 0, v71
	s_wait_dscnt 0x0
	s_delay_alu instid0(VALU_DEP_2) | instskip(NEXT) | instid1(VALU_DEP_1)
	v_mul_u64_e32 v[20:21], v[20:21], v[66:67]
	v_dual_cndmask_b32 v21, 0, v21, s14 :: v_dual_cndmask_b32 v20, 1, v20, s14
	v_cmp_eq_u16_e64 s14, 0, v72
	s_delay_alu instid0(VALU_DEP_2) | instskip(SKIP_4) | instid1(VALU_DEP_2)
	v_mul_u64_e32 v[20:21], v[20:21], v[68:69]
	ds_load_2addr_b64 v[66:69], v32 offset0:10 offset1:12
	v_dual_cndmask_b32 v21, 0, v21, s14 :: v_dual_cndmask_b32 v20, 1, v20, s14
	v_cmp_eq_u16_e64 s14, 0, v73
	s_wait_dscnt 0x0
	v_mul_u64_e32 v[20:21], v[20:21], v[66:67]
	ds_load_u8 v66, v32 offset:120
	ds_load_b64 v[62:63], v32 offset:112
	s_wait_dscnt 0x1
	v_bitop3_b16 v61, v66, v61, v65 bitop3:0xfe
	s_delay_alu instid0(VALU_DEP_1) | instskip(NEXT) | instid1(VALU_DEP_1)
	v_and_b32_e32 v61, 1, v61
	v_cmp_eq_u32_e64 s15, 1, v61
	v_and_b32_e32 v61, 0xffffff00, v60
	v_dual_cndmask_b32 v21, 0, v21, s14 :: v_dual_cndmask_b32 v20, 1, v20, s14
	v_cmp_eq_u16_e64 s14, 0, v66
	s_delay_alu instid0(VALU_DEP_2) | instskip(NEXT) | instid1(VALU_DEP_1)
	v_mul_u64_e32 v[20:21], v[20:21], v[68:69]
	v_dual_cndmask_b32 v21, 0, v21, s14 :: v_dual_cndmask_b32 v20, 1, v20, s14
	s_wait_dscnt 0x0
	s_delay_alu instid0(VALU_DEP_1) | instskip(SKIP_1) | instid1(VALU_DEP_1)
	v_mul_u64_e32 v[20:21], v[20:21], v[62:63]
	v_and_b32_e32 v62, 1, v60
	v_cmp_eq_u32_e64 s14, 1, v62
	v_mbcnt_lo_u32_b32 v62, -1, 0
	s_or_b32 s17, s15, s14
	s_mov_b32 s15, exec_lo
	v_cndmask_b32_e64 v65, 0, 1, s17
	v_cndmask_b32_e64 v63, 0, 1, s17
	s_delay_alu instid0(VALU_DEP_2) | instskip(SKIP_1) | instid1(VALU_DEP_2)
	v_or_b32_e32 v66, v61, v65
	v_and_b32_e32 v65, 15, v62
	v_mov_b32_dpp v67, v66 row_shr:1 row_mask:0xf bank_mask:0xf
	v_mov_b32_dpp v68, v20 row_shr:1 row_mask:0xf bank_mask:0xf
	;; [unrolled: 1-line block ×3, first 2 shown]
	s_delay_alu instid0(VALU_DEP_4)
	v_cmpx_ne_u32_e32 0, v65
	s_cbranch_execz .LBB74_217
; %bb.216:
	s_delay_alu instid0(VALU_DEP_2) | instskip(SKIP_2) | instid1(VALU_DEP_2)
	v_cndmask_b32_e64 v69, v69, 0, s17
	v_cndmask_b32_e64 v68, v68, 1, s17
	v_bitop3_b16 v63, v67, v63, 1 bitop3:0xec
	v_mul_u64_e32 v[20:21], v[68:69], v[20:21]
	s_delay_alu instid0(VALU_DEP_2) | instskip(NEXT) | instid1(VALU_DEP_1)
	v_and_b32_e32 v66, 0xffff, v63
	v_or_b32_e32 v66, v61, v66
.LBB74_217:
	s_or_b32 exec_lo, exec_lo, s15
	s_delay_alu instid0(VALU_DEP_3) | instskip(NEXT) | instid1(VALU_DEP_4)
	v_mov_b32_dpp v68, v20 row_shr:2 row_mask:0xf bank_mask:0xf
	v_mov_b32_dpp v69, v21 row_shr:2 row_mask:0xf bank_mask:0xf
	s_delay_alu instid0(VALU_DEP_3)
	v_mov_b32_dpp v67, v66 row_shr:2 row_mask:0xf bank_mask:0xf
	s_mov_b32 s17, exec_lo
	v_cmpx_lt_u32_e32 1, v65
	s_cbranch_execz .LBB74_219
; %bb.218:
	v_cmp_eq_u16_e64 s14, 0, v63
	v_and_b32_e32 v63, 1, v63
	s_delay_alu instid0(VALU_DEP_2) | instskip(SKIP_1) | instid1(VALU_DEP_3)
	v_dual_cndmask_b32 v69, 0, v69, s14 :: v_dual_bitop2_b32 v66, 1, v67 bitop3:0x40
	v_cndmask_b32_e64 v68, 1, v68, s14
	v_cmp_eq_u32_e64 s14, 1, v63
	s_delay_alu instid0(VALU_DEP_3) | instskip(NEXT) | instid1(VALU_DEP_3)
	v_cmp_eq_u32_e64 s15, 1, v66
	v_mul_u64_e32 v[20:21], v[68:69], v[20:21]
	s_or_b32 s14, s14, s15
	s_delay_alu instid0(SALU_CYCLE_1) | instskip(SKIP_1) | instid1(VALU_DEP_2)
	v_cndmask_b32_e64 v66, 0, 1, s14
	v_cndmask_b32_e64 v63, 0, 1, s14
	v_or_b32_e32 v66, v61, v66
.LBB74_219:
	s_or_b32 exec_lo, exec_lo, s17
	s_delay_alu instid0(VALU_DEP_4) | instskip(SKIP_1) | instid1(VALU_DEP_3)
	v_mov_b32_dpp v68, v20 row_shr:4 row_mask:0xf bank_mask:0xf
	v_mov_b32_dpp v69, v21 row_shr:4 row_mask:0xf bank_mask:0xf
	;; [unrolled: 1-line block ×3, first 2 shown]
	s_mov_b32 s17, exec_lo
	v_cmpx_lt_u32_e32 3, v65
	s_cbranch_execz .LBB74_221
; %bb.220:
	v_cmp_eq_u16_e64 s14, 0, v63
	v_and_b32_e32 v63, 1, v63
	s_delay_alu instid0(VALU_DEP_2) | instskip(SKIP_1) | instid1(VALU_DEP_3)
	v_dual_cndmask_b32 v69, 0, v69, s14 :: v_dual_bitop2_b32 v66, 1, v67 bitop3:0x40
	v_cndmask_b32_e64 v68, 1, v68, s14
	v_cmp_eq_u32_e64 s14, 1, v63
	s_delay_alu instid0(VALU_DEP_3) | instskip(NEXT) | instid1(VALU_DEP_3)
	v_cmp_eq_u32_e64 s15, 1, v66
	v_mul_u64_e32 v[20:21], v[68:69], v[20:21]
	s_or_b32 s14, s14, s15
	s_delay_alu instid0(SALU_CYCLE_1) | instskip(SKIP_1) | instid1(VALU_DEP_2)
	v_cndmask_b32_e64 v66, 0, 1, s14
	v_cndmask_b32_e64 v63, 0, 1, s14
	v_or_b32_e32 v66, v61, v66
.LBB74_221:
	s_or_b32 exec_lo, exec_lo, s17
	s_delay_alu instid0(VALU_DEP_4) | instskip(SKIP_1) | instid1(VALU_DEP_3)
	v_mov_b32_dpp v68, v20 row_shr:8 row_mask:0xf bank_mask:0xf
	v_mov_b32_dpp v69, v21 row_shr:8 row_mask:0xf bank_mask:0xf
	;; [unrolled: 1-line block ×3, first 2 shown]
	s_mov_b32 s17, exec_lo
	v_cmpx_lt_u32_e32 7, v65
	s_cbranch_execz .LBB74_223
; %bb.222:
	v_cmp_eq_u16_e64 s14, 0, v63
	v_and_b32_e32 v63, 1, v63
	s_delay_alu instid0(VALU_DEP_2) | instskip(SKIP_1) | instid1(VALU_DEP_3)
	v_dual_cndmask_b32 v69, 0, v69, s14 :: v_dual_bitop2_b32 v65, 1, v67 bitop3:0x40
	v_cndmask_b32_e64 v68, 1, v68, s14
	v_cmp_eq_u32_e64 s14, 1, v63
	s_delay_alu instid0(VALU_DEP_3) | instskip(NEXT) | instid1(VALU_DEP_3)
	v_cmp_eq_u32_e64 s15, 1, v65
	v_mul_u64_e32 v[20:21], v[68:69], v[20:21]
	s_or_b32 s14, s14, s15
	s_delay_alu instid0(SALU_CYCLE_1) | instskip(SKIP_1) | instid1(VALU_DEP_2)
	v_cndmask_b32_e64 v65, 0, 1, s14
	v_cndmask_b32_e64 v63, 0, 1, s14
	v_or_b32_e32 v66, v61, v65
.LBB74_223:
	s_or_b32 exec_lo, exec_lo, s17
	ds_swizzle_b32 v67, v20 offset:swizzle(BROADCAST,32,15)
	ds_swizzle_b32 v68, v21 offset:swizzle(BROADCAST,32,15)
	;; [unrolled: 1-line block ×3, first 2 shown]
	v_and_b32_e32 v66, 16, v62
	s_mov_b32 s17, exec_lo
	s_delay_alu instid0(VALU_DEP_1)
	v_cmpx_ne_u32_e32 0, v66
	s_cbranch_execz .LBB74_225
; %bb.224:
	v_cmp_eq_u16_e64 s14, 0, v63
	v_and_b32_e32 v63, 1, v63
	s_wait_dscnt 0x0
	s_delay_alu instid0(VALU_DEP_2) | instskip(SKIP_1) | instid1(VALU_DEP_3)
	v_dual_cndmask_b32 v69, 0, v68, s14 :: v_dual_bitop2_b32 v65, 1, v65 bitop3:0x40
	v_cndmask_b32_e64 v68, 1, v67, s14
	v_cmp_eq_u32_e64 s14, 1, v63
	s_delay_alu instid0(VALU_DEP_3) | instskip(NEXT) | instid1(VALU_DEP_3)
	v_cmp_eq_u32_e64 s15, 1, v65
	v_mul_u64_e32 v[20:21], v[68:69], v[20:21]
	s_or_b32 s14, s14, s15
	s_delay_alu instid0(SALU_CYCLE_1)
	v_cndmask_b32_e64 v63, 0, 1, s14
.LBB74_225:
	s_or_b32 exec_lo, exec_lo, s17
	s_wait_dscnt 0x0
	v_add_nc_u32_e32 v65, -1, v62
	s_delay_alu instid0(VALU_DEP_2) | instskip(NEXT) | instid1(VALU_DEP_2)
	v_and_b32_e32 v63, 0xffff, v63
	; wave barrier
	v_cmp_gt_i32_e64 s14, 0, v65
	s_delay_alu instid0(VALU_DEP_2) | instskip(NEXT) | instid1(VALU_DEP_2)
	v_or_b32_e32 v61, v61, v63
	v_cndmask_b32_e64 v62, v65, v62, s14
	v_and_b32_e32 v65, 0xff, v60
	s_delay_alu instid0(VALU_DEP_2) | instskip(NEXT) | instid1(VALU_DEP_2)
	v_lshlrev_b32_e32 v62, 2, v62
	v_cmp_eq_u32_e64 s14, 0, v65
	ds_bpermute_b32 v21, v62, v21
	ds_bpermute_b32 v20, v62, v20
	s_wait_dscnt 0x0
	v_dual_cndmask_b32 v21, 0, v21, s14 :: v_dual_cndmask_b32 v20, 1, v20, s14
	s_delay_alu instid0(VALU_DEP_1) | instskip(SKIP_3) | instid1(VALU_DEP_1)
	v_mul_u64_e32 v[4:5], v[20:21], v[4:5]
	ds_bpermute_b32 v20, v62, v61
	s_wait_dscnt 0x0
	v_dual_cndmask_b32 v5, v5, v59, s2 :: v_dual_bitop2_b32 v20, v20, v60 bitop3:0x54
	v_dual_cndmask_b32 v4, v4, v58, s2 :: v_dual_bitop2_b32 v20, 1, v20 bitop3:0x40
	s_delay_alu instid0(VALU_DEP_1)
	v_cndmask_b32_e64 v33, v20, v33, s2
	ds_store_b64 v32, v[4:5]
	ds_store_b8 v32, v33 offset:8
	; wave barrier
	ds_load_u8 v65, v32 offset:24
	ds_load_2addr_b64 v[60:63], v32 offset0:2 offset1:4
	ds_load_u8 v74, v32 offset:40
	ds_load_u8 v75, v32 offset:56
	;; [unrolled: 1-line block ×5, first 2 shown]
	ds_load_b64 v[20:21], v32 offset:112
	ds_load_u8 v79, v32 offset:120
	s_wait_dscnt 0x8
	v_and_b32_e32 v66, 0xff, v65
	s_wait_dscnt 0x5
	v_and_b32_e32 v68, 0xff, v75
	s_delay_alu instid0(VALU_DEP_2) | instskip(SKIP_2) | instid1(VALU_DEP_2)
	v_cmp_eq_u16_e64 s14, 0, v66
	s_wait_dscnt 0x3
	v_and_b32_e32 v72, 0xff, v77
	v_dual_cndmask_b32 v5, 0, v5, s14 :: v_dual_cndmask_b32 v4, 1, v4, s14
	s_delay_alu instid0(VALU_DEP_1) | instskip(SKIP_1) | instid1(VALU_DEP_1)
	v_mul_u64_e32 v[4:5], v[4:5], v[60:61]
	v_and_b32_e32 v60, 0xff, v74
	v_cmp_eq_u16_e64 s14, 0, v60
	s_delay_alu instid0(VALU_DEP_1) | instskip(SKIP_1) | instid1(VALU_DEP_2)
	v_dual_cndmask_b32 v61, 0, v5, s14 :: v_dual_cndmask_b32 v60, 1, v4, s14
	v_cmp_eq_u16_e64 s14, 0, v68
	v_mul_u64_e32 v[66:67], v[60:61], v[62:63]
	ds_load_2addr_b64 v[60:63], v32 offset0:6 offset1:8
	v_dual_cndmask_b32 v69, 0, v67, s14 :: v_dual_cndmask_b32 v68, 1, v66, s14
	s_wait_dscnt 0x0
	s_delay_alu instid0(VALU_DEP_1) | instskip(SKIP_1) | instid1(VALU_DEP_1)
	v_mul_u64_e32 v[68:69], v[68:69], v[60:61]
	v_and_b32_e32 v60, 0xff, v76
	v_cmp_eq_u16_e64 s14, 0, v60
	s_delay_alu instid0(VALU_DEP_1) | instskip(SKIP_1) | instid1(VALU_DEP_2)
	v_dual_cndmask_b32 v61, 0, v69, s14 :: v_dual_cndmask_b32 v60, 1, v68, s14
	v_cmp_eq_u16_e64 s14, 0, v72
	v_mul_u64_e32 v[70:71], v[60:61], v[62:63]
	ds_load_2addr_b64 v[60:63], v32 offset0:10 offset1:12
	v_dual_cndmask_b32 v73, 0, v71, s14 :: v_dual_cndmask_b32 v72, 1, v70, s14
	s_wait_dscnt 0x0
	s_delay_alu instid0(VALU_DEP_1) | instskip(SKIP_1) | instid1(VALU_DEP_1)
	v_mul_u64_e32 v[60:61], v[72:73], v[60:61]
	v_and_b32_e32 v72, 0xff, v78
	v_cmp_eq_u16_e64 s14, 0, v72
	s_delay_alu instid0(VALU_DEP_1) | instskip(SKIP_1) | instid1(VALU_DEP_2)
	v_dual_cndmask_b32 v73, 0, v61, s14 :: v_dual_cndmask_b32 v72, 1, v60, s14
	v_cmp_eq_u16_e64 s14, 0, v79
	v_mul_u64_e32 v[62:63], v[72:73], v[62:63]
	s_delay_alu instid0(VALU_DEP_1) | instskip(NEXT) | instid1(VALU_DEP_1)
	v_dual_cndmask_b32 v73, 0, v63, s14 :: v_dual_cndmask_b32 v72, 1, v62, s14
	v_mul_u64_e32 v[20:21], v[72:73], v[20:21]
	v_or_b32_e32 v72, v65, v33
	v_bitop3_b16 v73, v74, v65, v33 bitop3:0xfe
	v_bitop3_b16 v33, v65, 1, v33 bitop3:0xc8
	s_delay_alu instid0(VALU_DEP_3) | instskip(NEXT) | instid1(VALU_DEP_3)
	v_bitop3_b16 v80, v75, v74, v72 bitop3:0xfe
	v_bitop3_b16 v81, v76, v75, v73 bitop3:0xfe
	;; [unrolled: 1-line block ×4, first 2 shown]
	s_delay_alu instid0(VALU_DEP_4) | instskip(NEXT) | instid1(VALU_DEP_4)
	v_bitop3_b16 v72, v77, v76, v80 bitop3:0xfe
	v_bitop3_b16 v74, v78, v77, v81 bitop3:0xfe
	;; [unrolled: 1-line block ×4, first 2 shown]
	s_delay_alu instid0(VALU_DEP_4) | instskip(NEXT) | instid1(VALU_DEP_4)
	v_bitop3_b16 v72, v78, 1, v72 bitop3:0xc8
	v_bitop3_b16 v74, v79, 1, v74 bitop3:0xc8
	ds_store_2addr_b64 v32, v[4:5], v[66:67] offset0:2 offset1:4
	ds_store_2addr_b64 v32, v[68:69], v[70:71] offset0:6 offset1:8
	;; [unrolled: 1-line block ×3, first 2 shown]
	ds_store_b8 v32, v33 offset:24
	ds_store_b8 v32, v65 offset:40
	;; [unrolled: 1-line block ×6, first 2 shown]
	ds_store_b64 v32, v[20:21] offset:112
	ds_store_b8 v32, v74 offset:120
.LBB74_226:
	s_or_b32 exec_lo, exec_lo, s16
	s_wait_dscnt 0x0
	s_barrier_signal -1
	s_barrier_wait -1
	s_and_saveexec_b32 s14, s3
	s_cbranch_execz .LBB74_228
; %bb.227:
	v_and_b32_e32 v1, 0xff, v1
	s_delay_alu instid0(VALU_DEP_1) | instskip(SKIP_1) | instid1(VALU_DEP_1)
	v_cmp_eq_u16_e64 s3, 0, v1
	v_add_nc_u32_e32 v4, -1, v0
	v_lshrrev_b32_e32 v5, 1, v4
	s_delay_alu instid0(VALU_DEP_1) | instskip(NEXT) | instid1(VALU_DEP_1)
	v_and_b32_e32 v5, 0x7ffffff0, v5
	v_lshl_add_u32 v4, v4, 4, v5
	ds_load_b64 v[4:5], v4
	;;#ASMSTART
	;;#ASMEND
	s_wait_dscnt 0x0
	v_dual_cndmask_b32 v5, 0, v5, s3 :: v_dual_cndmask_b32 v4, 1, v4, s3
	s_delay_alu instid0(VALU_DEP_1) | instskip(NEXT) | instid1(VALU_DEP_1)
	v_mul_u64_e32 v[2:3], v[4:5], v[2:3]
	v_dual_cndmask_b32 v5, 0, v3 :: v_dual_cndmask_b32 v4, 1, v2
	s_delay_alu instid0(VALU_DEP_1) | instskip(NEXT) | instid1(VALU_DEP_1)
	v_mul_u64_e32 v[34:35], v[4:5], v[6:7]
	v_dual_cndmask_b32 v5, 0, v35, s0 :: v_dual_cndmask_b32 v4, 1, v34, s0
	s_delay_alu instid0(VALU_DEP_1) | instskip(NEXT) | instid1(VALU_DEP_1)
	v_mul_u64_e32 v[36:37], v[4:5], v[12:13]
	v_dual_cndmask_b32 v5, 0, v37, s1 :: v_dual_cndmask_b32 v4, 1, v36, s1
	s_delay_alu instid0(VALU_DEP_1) | instskip(NEXT) | instid1(VALU_DEP_1)
	v_mul_u64_e32 v[38:39], v[4:5], v[10:11]
	v_dual_cndmask_b32 v5, 0, v39, s4 :: v_dual_cndmask_b32 v4, 1, v38, s4
	s_delay_alu instid0(VALU_DEP_1) | instskip(NEXT) | instid1(VALU_DEP_1)
	v_mul_u64_e32 v[40:41], v[4:5], v[16:17]
	v_dual_cndmask_b32 v5, 0, v41, s5 :: v_dual_cndmask_b32 v4, 1, v40, s5
	s_delay_alu instid0(VALU_DEP_1) | instskip(NEXT) | instid1(VALU_DEP_1)
	v_mul_u64_e32 v[42:43], v[4:5], v[14:15]
	v_dual_cndmask_b32 v5, 0, v43, s6 :: v_dual_cndmask_b32 v4, 1, v42, s6
	s_delay_alu instid0(VALU_DEP_1) | instskip(NEXT) | instid1(VALU_DEP_1)
	v_mul_u64_e32 v[44:45], v[4:5], v[24:25]
	v_dual_cndmask_b32 v5, 0, v45, s7 :: v_dual_cndmask_b32 v4, 1, v44, s7
	s_delay_alu instid0(VALU_DEP_1) | instskip(NEXT) | instid1(VALU_DEP_1)
	v_mul_u64_e32 v[46:47], v[4:5], v[22:23]
	v_dual_cndmask_b32 v5, 0, v47, s8 :: v_dual_cndmask_b32 v4, 1, v46, s8
	s_delay_alu instid0(VALU_DEP_1) | instskip(NEXT) | instid1(VALU_DEP_1)
	v_mul_u64_e32 v[48:49], v[4:5], v[28:29]
	v_dual_cndmask_b32 v5, 0, v49, s9 :: v_dual_cndmask_b32 v4, 1, v48, s9
	s_delay_alu instid0(VALU_DEP_1) | instskip(NEXT) | instid1(VALU_DEP_1)
	v_mul_u64_e32 v[50:51], v[4:5], v[26:27]
	v_dual_cndmask_b32 v5, 0, v51, s10 :: v_dual_cndmask_b32 v4, 1, v50, s10
	s_delay_alu instid0(VALU_DEP_1) | instskip(NEXT) | instid1(VALU_DEP_1)
	v_mul_u64_e32 v[52:53], v[4:5], v[84:85]
	v_dual_cndmask_b32 v5, 0, v53, s11 :: v_dual_cndmask_b32 v4, 1, v52, s11
	s_delay_alu instid0(VALU_DEP_1) | instskip(NEXT) | instid1(VALU_DEP_1)
	v_mul_u64_e32 v[54:55], v[4:5], v[30:31]
	v_dual_cndmask_b32 v5, 0, v55, s12 :: v_dual_cndmask_b32 v4, 1, v54, s12
	s_delay_alu instid0(VALU_DEP_1) | instskip(NEXT) | instid1(VALU_DEP_1)
	v_mul_u64_e32 v[56:57], v[4:5], v[18:19]
	v_dual_cndmask_b32 v5, 0, v57, s13 :: v_dual_cndmask_b32 v4, 1, v56, s13
	s_delay_alu instid0(VALU_DEP_1)
	v_mul_u64_e32 v[58:59], v[4:5], v[8:9]
.LBB74_228:
	s_or_b32 exec_lo, exec_lo, s14
	s_and_saveexec_b32 s0, s2
	s_cbranch_execz .LBB74_230
; %bb.229:
	v_dual_mov_b32 v1, 0 :: v_dual_mov_b32 v7, 2
	ds_load_b64 v[4:5], v1 offset:4192
	ds_load_u8 v6, v1 offset:4200
	s_wait_dscnt 0x1
	global_store_b64 v1, v[4:5], s[26:27] offset:512
	s_wait_dscnt 0x0
	global_store_b8 v1, v6, s[26:27] offset:520
	global_wb scope:SCOPE_DEV
	s_wait_storecnt 0x0
	global_inv scope:SCOPE_DEV
	s_wait_xcnt 0x0
	global_store_b8 v1, v7, s[28:29] offset:32 scope:SCOPE_DEV
.LBB74_230:
	s_wait_xcnt 0x0
	s_or_b32 exec_lo, exec_lo, s0
	v_mov_b64_e32 v[32:33], v[2:3]
	s_add_nc_u64 s[0:1], s[42:43], s[34:35]
	s_and_b32 vcc_lo, exec_lo, s31
	s_add_nc_u64 s[0:1], s[0:1], s[36:37]
	s_cbranch_vccnz .LBB74_158
.LBB74_231:
	s_mov_b32 s2, 0
                                        ; implicit-def: $vgpr4_vgpr5
	s_cbranch_execz .LBB74_233
; %bb.232:
	v_mul_u32_u24_e32 v1, 0x70, v0
	v_mul_i32_i24_e32 v2, 0xffffff98, v0
	s_wait_storecnt 0x0
	s_wait_loadcnt_dscnt 0x0
	s_barrier_signal -1
	s_barrier_wait -1
	ds_store_b128 v1, v[32:35]
	ds_store_b128 v1, v[36:39] offset:16
	ds_store_b128 v1, v[40:43] offset:32
	;; [unrolled: 1-line block ×6, first 2 shown]
	v_mad_u32_u24 v1, 0x70, v0, v2
	s_wait_dscnt 0x0
	s_barrier_signal -1
	s_barrier_wait -1
	ds_load_2addr_stride64_b64 v[6:9], v1 offset1:4
	ds_load_2addr_stride64_b64 v[10:13], v1 offset0:8 offset1:12
	ds_load_2addr_stride64_b64 v[14:17], v1 offset0:16 offset1:20
	;; [unrolled: 1-line block ×6, first 2 shown]
	s_or_b32 s2, s2, exec_lo
	s_wait_dscnt 0x6
	s_clause 0x1
	flat_store_b64 v0, v[6:7], s[0:1] scale_offset
	flat_store_b64 v0, v[8:9], s[0:1] offset:2048 scale_offset
	s_wait_dscnt 0x7
	s_clause 0x1
	flat_store_b64 v0, v[10:11], s[0:1] offset:4096 scale_offset
	flat_store_b64 v0, v[12:13], s[0:1] offset:6144 scale_offset
	s_wait_dscnt 0x8
	s_clause 0x1
	flat_store_b64 v0, v[14:15], s[0:1] offset:8192 scale_offset
	;; [unrolled: 4-line block ×5, first 2 shown]
	flat_store_b64 v0, v[28:29], s[0:1] offset:22528 scale_offset
	s_wait_dscnt 0xc
	flat_store_b64 v0, v[2:3], s[0:1] offset:24576 scale_offset
.LBB74_233:
	s_wait_xcnt 0x0
	s_delay_alu instid0(VALU_DEP_1)
	s_and_saveexec_b32 s3, s2
	s_cbranch_execnz .LBB74_235
; %bb.234:
	s_sendmsg sendmsg(MSG_DEALLOC_VGPRS)
	s_endpgm
.LBB74_235:
	s_wait_dscnt 0x0
	flat_store_b64 v0, v[4:5], s[0:1] offset:26624 scale_offset
	s_sendmsg sendmsg(MSG_DEALLOC_VGPRS)
	s_endpgm
	.section	.rodata,"a",@progbits
	.p2align	6, 0x0
	.amdhsa_kernel _ZN7rocprim17ROCPRIM_400000_NS6detail17trampoline_kernelINS0_14default_configENS1_27scan_by_key_config_selectorIxxEEZZNS1_16scan_by_key_implILNS1_25lookback_scan_determinismE0ELb0ES3_N6thrust23THRUST_200600_302600_NS6detail15normal_iteratorINS9_10device_ptrIxEEEESE_SE_xNS9_10multipliesIxEENS9_8equal_toIxEExEE10hipError_tPvRmT2_T3_T4_T5_mT6_T7_P12ihipStream_tbENKUlT_T0_E_clISt17integral_constantIbLb0EESY_IbLb1EEEEDaSU_SV_EUlSU_E_NS1_11comp_targetILNS1_3genE0ELNS1_11target_archE4294967295ELNS1_3gpuE0ELNS1_3repE0EEENS1_30default_config_static_selectorELNS0_4arch9wavefront6targetE0EEEvT1_
		.amdhsa_group_segment_fixed_size 32768
		.amdhsa_private_segment_fixed_size 0
		.amdhsa_kernarg_size 136
		.amdhsa_user_sgpr_count 2
		.amdhsa_user_sgpr_dispatch_ptr 0
		.amdhsa_user_sgpr_queue_ptr 0
		.amdhsa_user_sgpr_kernarg_segment_ptr 1
		.amdhsa_user_sgpr_dispatch_id 0
		.amdhsa_user_sgpr_kernarg_preload_length 0
		.amdhsa_user_sgpr_kernarg_preload_offset 0
		.amdhsa_user_sgpr_private_segment_size 0
		.amdhsa_wavefront_size32 1
		.amdhsa_uses_dynamic_stack 0
		.amdhsa_enable_private_segment 0
		.amdhsa_system_sgpr_workgroup_id_x 1
		.amdhsa_system_sgpr_workgroup_id_y 0
		.amdhsa_system_sgpr_workgroup_id_z 0
		.amdhsa_system_sgpr_workgroup_info 0
		.amdhsa_system_vgpr_workitem_id 0
		.amdhsa_next_free_vgpr 111
		.amdhsa_next_free_sgpr 56
		.amdhsa_named_barrier_count 0
		.amdhsa_reserve_vcc 1
		.amdhsa_float_round_mode_32 0
		.amdhsa_float_round_mode_16_64 0
		.amdhsa_float_denorm_mode_32 3
		.amdhsa_float_denorm_mode_16_64 3
		.amdhsa_fp16_overflow 0
		.amdhsa_memory_ordered 1
		.amdhsa_forward_progress 1
		.amdhsa_inst_pref_size 124
		.amdhsa_round_robin_scheduling 0
		.amdhsa_exception_fp_ieee_invalid_op 0
		.amdhsa_exception_fp_denorm_src 0
		.amdhsa_exception_fp_ieee_div_zero 0
		.amdhsa_exception_fp_ieee_overflow 0
		.amdhsa_exception_fp_ieee_underflow 0
		.amdhsa_exception_fp_ieee_inexact 0
		.amdhsa_exception_int_div_zero 0
	.end_amdhsa_kernel
	.section	.text._ZN7rocprim17ROCPRIM_400000_NS6detail17trampoline_kernelINS0_14default_configENS1_27scan_by_key_config_selectorIxxEEZZNS1_16scan_by_key_implILNS1_25lookback_scan_determinismE0ELb0ES3_N6thrust23THRUST_200600_302600_NS6detail15normal_iteratorINS9_10device_ptrIxEEEESE_SE_xNS9_10multipliesIxEENS9_8equal_toIxEExEE10hipError_tPvRmT2_T3_T4_T5_mT6_T7_P12ihipStream_tbENKUlT_T0_E_clISt17integral_constantIbLb0EESY_IbLb1EEEEDaSU_SV_EUlSU_E_NS1_11comp_targetILNS1_3genE0ELNS1_11target_archE4294967295ELNS1_3gpuE0ELNS1_3repE0EEENS1_30default_config_static_selectorELNS0_4arch9wavefront6targetE0EEEvT1_,"axG",@progbits,_ZN7rocprim17ROCPRIM_400000_NS6detail17trampoline_kernelINS0_14default_configENS1_27scan_by_key_config_selectorIxxEEZZNS1_16scan_by_key_implILNS1_25lookback_scan_determinismE0ELb0ES3_N6thrust23THRUST_200600_302600_NS6detail15normal_iteratorINS9_10device_ptrIxEEEESE_SE_xNS9_10multipliesIxEENS9_8equal_toIxEExEE10hipError_tPvRmT2_T3_T4_T5_mT6_T7_P12ihipStream_tbENKUlT_T0_E_clISt17integral_constantIbLb0EESY_IbLb1EEEEDaSU_SV_EUlSU_E_NS1_11comp_targetILNS1_3genE0ELNS1_11target_archE4294967295ELNS1_3gpuE0ELNS1_3repE0EEENS1_30default_config_static_selectorELNS0_4arch9wavefront6targetE0EEEvT1_,comdat
.Lfunc_end74:
	.size	_ZN7rocprim17ROCPRIM_400000_NS6detail17trampoline_kernelINS0_14default_configENS1_27scan_by_key_config_selectorIxxEEZZNS1_16scan_by_key_implILNS1_25lookback_scan_determinismE0ELb0ES3_N6thrust23THRUST_200600_302600_NS6detail15normal_iteratorINS9_10device_ptrIxEEEESE_SE_xNS9_10multipliesIxEENS9_8equal_toIxEExEE10hipError_tPvRmT2_T3_T4_T5_mT6_T7_P12ihipStream_tbENKUlT_T0_E_clISt17integral_constantIbLb0EESY_IbLb1EEEEDaSU_SV_EUlSU_E_NS1_11comp_targetILNS1_3genE0ELNS1_11target_archE4294967295ELNS1_3gpuE0ELNS1_3repE0EEENS1_30default_config_static_selectorELNS0_4arch9wavefront6targetE0EEEvT1_, .Lfunc_end74-_ZN7rocprim17ROCPRIM_400000_NS6detail17trampoline_kernelINS0_14default_configENS1_27scan_by_key_config_selectorIxxEEZZNS1_16scan_by_key_implILNS1_25lookback_scan_determinismE0ELb0ES3_N6thrust23THRUST_200600_302600_NS6detail15normal_iteratorINS9_10device_ptrIxEEEESE_SE_xNS9_10multipliesIxEENS9_8equal_toIxEExEE10hipError_tPvRmT2_T3_T4_T5_mT6_T7_P12ihipStream_tbENKUlT_T0_E_clISt17integral_constantIbLb0EESY_IbLb1EEEEDaSU_SV_EUlSU_E_NS1_11comp_targetILNS1_3genE0ELNS1_11target_archE4294967295ELNS1_3gpuE0ELNS1_3repE0EEENS1_30default_config_static_selectorELNS0_4arch9wavefront6targetE0EEEvT1_
                                        ; -- End function
	.set _ZN7rocprim17ROCPRIM_400000_NS6detail17trampoline_kernelINS0_14default_configENS1_27scan_by_key_config_selectorIxxEEZZNS1_16scan_by_key_implILNS1_25lookback_scan_determinismE0ELb0ES3_N6thrust23THRUST_200600_302600_NS6detail15normal_iteratorINS9_10device_ptrIxEEEESE_SE_xNS9_10multipliesIxEENS9_8equal_toIxEExEE10hipError_tPvRmT2_T3_T4_T5_mT6_T7_P12ihipStream_tbENKUlT_T0_E_clISt17integral_constantIbLb0EESY_IbLb1EEEEDaSU_SV_EUlSU_E_NS1_11comp_targetILNS1_3genE0ELNS1_11target_archE4294967295ELNS1_3gpuE0ELNS1_3repE0EEENS1_30default_config_static_selectorELNS0_4arch9wavefront6targetE0EEEvT1_.num_vgpr, 111
	.set _ZN7rocprim17ROCPRIM_400000_NS6detail17trampoline_kernelINS0_14default_configENS1_27scan_by_key_config_selectorIxxEEZZNS1_16scan_by_key_implILNS1_25lookback_scan_determinismE0ELb0ES3_N6thrust23THRUST_200600_302600_NS6detail15normal_iteratorINS9_10device_ptrIxEEEESE_SE_xNS9_10multipliesIxEENS9_8equal_toIxEExEE10hipError_tPvRmT2_T3_T4_T5_mT6_T7_P12ihipStream_tbENKUlT_T0_E_clISt17integral_constantIbLb0EESY_IbLb1EEEEDaSU_SV_EUlSU_E_NS1_11comp_targetILNS1_3genE0ELNS1_11target_archE4294967295ELNS1_3gpuE0ELNS1_3repE0EEENS1_30default_config_static_selectorELNS0_4arch9wavefront6targetE0EEEvT1_.num_agpr, 0
	.set _ZN7rocprim17ROCPRIM_400000_NS6detail17trampoline_kernelINS0_14default_configENS1_27scan_by_key_config_selectorIxxEEZZNS1_16scan_by_key_implILNS1_25lookback_scan_determinismE0ELb0ES3_N6thrust23THRUST_200600_302600_NS6detail15normal_iteratorINS9_10device_ptrIxEEEESE_SE_xNS9_10multipliesIxEENS9_8equal_toIxEExEE10hipError_tPvRmT2_T3_T4_T5_mT6_T7_P12ihipStream_tbENKUlT_T0_E_clISt17integral_constantIbLb0EESY_IbLb1EEEEDaSU_SV_EUlSU_E_NS1_11comp_targetILNS1_3genE0ELNS1_11target_archE4294967295ELNS1_3gpuE0ELNS1_3repE0EEENS1_30default_config_static_selectorELNS0_4arch9wavefront6targetE0EEEvT1_.numbered_sgpr, 56
	.set _ZN7rocprim17ROCPRIM_400000_NS6detail17trampoline_kernelINS0_14default_configENS1_27scan_by_key_config_selectorIxxEEZZNS1_16scan_by_key_implILNS1_25lookback_scan_determinismE0ELb0ES3_N6thrust23THRUST_200600_302600_NS6detail15normal_iteratorINS9_10device_ptrIxEEEESE_SE_xNS9_10multipliesIxEENS9_8equal_toIxEExEE10hipError_tPvRmT2_T3_T4_T5_mT6_T7_P12ihipStream_tbENKUlT_T0_E_clISt17integral_constantIbLb0EESY_IbLb1EEEEDaSU_SV_EUlSU_E_NS1_11comp_targetILNS1_3genE0ELNS1_11target_archE4294967295ELNS1_3gpuE0ELNS1_3repE0EEENS1_30default_config_static_selectorELNS0_4arch9wavefront6targetE0EEEvT1_.num_named_barrier, 0
	.set _ZN7rocprim17ROCPRIM_400000_NS6detail17trampoline_kernelINS0_14default_configENS1_27scan_by_key_config_selectorIxxEEZZNS1_16scan_by_key_implILNS1_25lookback_scan_determinismE0ELb0ES3_N6thrust23THRUST_200600_302600_NS6detail15normal_iteratorINS9_10device_ptrIxEEEESE_SE_xNS9_10multipliesIxEENS9_8equal_toIxEExEE10hipError_tPvRmT2_T3_T4_T5_mT6_T7_P12ihipStream_tbENKUlT_T0_E_clISt17integral_constantIbLb0EESY_IbLb1EEEEDaSU_SV_EUlSU_E_NS1_11comp_targetILNS1_3genE0ELNS1_11target_archE4294967295ELNS1_3gpuE0ELNS1_3repE0EEENS1_30default_config_static_selectorELNS0_4arch9wavefront6targetE0EEEvT1_.private_seg_size, 0
	.set _ZN7rocprim17ROCPRIM_400000_NS6detail17trampoline_kernelINS0_14default_configENS1_27scan_by_key_config_selectorIxxEEZZNS1_16scan_by_key_implILNS1_25lookback_scan_determinismE0ELb0ES3_N6thrust23THRUST_200600_302600_NS6detail15normal_iteratorINS9_10device_ptrIxEEEESE_SE_xNS9_10multipliesIxEENS9_8equal_toIxEExEE10hipError_tPvRmT2_T3_T4_T5_mT6_T7_P12ihipStream_tbENKUlT_T0_E_clISt17integral_constantIbLb0EESY_IbLb1EEEEDaSU_SV_EUlSU_E_NS1_11comp_targetILNS1_3genE0ELNS1_11target_archE4294967295ELNS1_3gpuE0ELNS1_3repE0EEENS1_30default_config_static_selectorELNS0_4arch9wavefront6targetE0EEEvT1_.uses_vcc, 1
	.set _ZN7rocprim17ROCPRIM_400000_NS6detail17trampoline_kernelINS0_14default_configENS1_27scan_by_key_config_selectorIxxEEZZNS1_16scan_by_key_implILNS1_25lookback_scan_determinismE0ELb0ES3_N6thrust23THRUST_200600_302600_NS6detail15normal_iteratorINS9_10device_ptrIxEEEESE_SE_xNS9_10multipliesIxEENS9_8equal_toIxEExEE10hipError_tPvRmT2_T3_T4_T5_mT6_T7_P12ihipStream_tbENKUlT_T0_E_clISt17integral_constantIbLb0EESY_IbLb1EEEEDaSU_SV_EUlSU_E_NS1_11comp_targetILNS1_3genE0ELNS1_11target_archE4294967295ELNS1_3gpuE0ELNS1_3repE0EEENS1_30default_config_static_selectorELNS0_4arch9wavefront6targetE0EEEvT1_.uses_flat_scratch, 1
	.set _ZN7rocprim17ROCPRIM_400000_NS6detail17trampoline_kernelINS0_14default_configENS1_27scan_by_key_config_selectorIxxEEZZNS1_16scan_by_key_implILNS1_25lookback_scan_determinismE0ELb0ES3_N6thrust23THRUST_200600_302600_NS6detail15normal_iteratorINS9_10device_ptrIxEEEESE_SE_xNS9_10multipliesIxEENS9_8equal_toIxEExEE10hipError_tPvRmT2_T3_T4_T5_mT6_T7_P12ihipStream_tbENKUlT_T0_E_clISt17integral_constantIbLb0EESY_IbLb1EEEEDaSU_SV_EUlSU_E_NS1_11comp_targetILNS1_3genE0ELNS1_11target_archE4294967295ELNS1_3gpuE0ELNS1_3repE0EEENS1_30default_config_static_selectorELNS0_4arch9wavefront6targetE0EEEvT1_.has_dyn_sized_stack, 0
	.set _ZN7rocprim17ROCPRIM_400000_NS6detail17trampoline_kernelINS0_14default_configENS1_27scan_by_key_config_selectorIxxEEZZNS1_16scan_by_key_implILNS1_25lookback_scan_determinismE0ELb0ES3_N6thrust23THRUST_200600_302600_NS6detail15normal_iteratorINS9_10device_ptrIxEEEESE_SE_xNS9_10multipliesIxEENS9_8equal_toIxEExEE10hipError_tPvRmT2_T3_T4_T5_mT6_T7_P12ihipStream_tbENKUlT_T0_E_clISt17integral_constantIbLb0EESY_IbLb1EEEEDaSU_SV_EUlSU_E_NS1_11comp_targetILNS1_3genE0ELNS1_11target_archE4294967295ELNS1_3gpuE0ELNS1_3repE0EEENS1_30default_config_static_selectorELNS0_4arch9wavefront6targetE0EEEvT1_.has_recursion, 0
	.set _ZN7rocprim17ROCPRIM_400000_NS6detail17trampoline_kernelINS0_14default_configENS1_27scan_by_key_config_selectorIxxEEZZNS1_16scan_by_key_implILNS1_25lookback_scan_determinismE0ELb0ES3_N6thrust23THRUST_200600_302600_NS6detail15normal_iteratorINS9_10device_ptrIxEEEESE_SE_xNS9_10multipliesIxEENS9_8equal_toIxEExEE10hipError_tPvRmT2_T3_T4_T5_mT6_T7_P12ihipStream_tbENKUlT_T0_E_clISt17integral_constantIbLb0EESY_IbLb1EEEEDaSU_SV_EUlSU_E_NS1_11comp_targetILNS1_3genE0ELNS1_11target_archE4294967295ELNS1_3gpuE0ELNS1_3repE0EEENS1_30default_config_static_selectorELNS0_4arch9wavefront6targetE0EEEvT1_.has_indirect_call, 0
	.section	.AMDGPU.csdata,"",@progbits
; Kernel info:
; codeLenInByte = 15840
; TotalNumSgprs: 58
; NumVgprs: 111
; ScratchSize: 0
; MemoryBound: 0
; FloatMode: 240
; IeeeMode: 1
; LDSByteSize: 32768 bytes/workgroup (compile time only)
; SGPRBlocks: 0
; VGPRBlocks: 6
; NumSGPRsForWavesPerEU: 58
; NumVGPRsForWavesPerEU: 111
; NamedBarCnt: 0
; Occupancy: 9
; WaveLimiterHint : 1
; COMPUTE_PGM_RSRC2:SCRATCH_EN: 0
; COMPUTE_PGM_RSRC2:USER_SGPR: 2
; COMPUTE_PGM_RSRC2:TRAP_HANDLER: 0
; COMPUTE_PGM_RSRC2:TGID_X_EN: 1
; COMPUTE_PGM_RSRC2:TGID_Y_EN: 0
; COMPUTE_PGM_RSRC2:TGID_Z_EN: 0
; COMPUTE_PGM_RSRC2:TIDIG_COMP_CNT: 0
	.section	.text._ZN7rocprim17ROCPRIM_400000_NS6detail17trampoline_kernelINS0_14default_configENS1_27scan_by_key_config_selectorIxxEEZZNS1_16scan_by_key_implILNS1_25lookback_scan_determinismE0ELb0ES3_N6thrust23THRUST_200600_302600_NS6detail15normal_iteratorINS9_10device_ptrIxEEEESE_SE_xNS9_10multipliesIxEENS9_8equal_toIxEExEE10hipError_tPvRmT2_T3_T4_T5_mT6_T7_P12ihipStream_tbENKUlT_T0_E_clISt17integral_constantIbLb0EESY_IbLb1EEEEDaSU_SV_EUlSU_E_NS1_11comp_targetILNS1_3genE10ELNS1_11target_archE1201ELNS1_3gpuE5ELNS1_3repE0EEENS1_30default_config_static_selectorELNS0_4arch9wavefront6targetE0EEEvT1_,"axG",@progbits,_ZN7rocprim17ROCPRIM_400000_NS6detail17trampoline_kernelINS0_14default_configENS1_27scan_by_key_config_selectorIxxEEZZNS1_16scan_by_key_implILNS1_25lookback_scan_determinismE0ELb0ES3_N6thrust23THRUST_200600_302600_NS6detail15normal_iteratorINS9_10device_ptrIxEEEESE_SE_xNS9_10multipliesIxEENS9_8equal_toIxEExEE10hipError_tPvRmT2_T3_T4_T5_mT6_T7_P12ihipStream_tbENKUlT_T0_E_clISt17integral_constantIbLb0EESY_IbLb1EEEEDaSU_SV_EUlSU_E_NS1_11comp_targetILNS1_3genE10ELNS1_11target_archE1201ELNS1_3gpuE5ELNS1_3repE0EEENS1_30default_config_static_selectorELNS0_4arch9wavefront6targetE0EEEvT1_,comdat
	.protected	_ZN7rocprim17ROCPRIM_400000_NS6detail17trampoline_kernelINS0_14default_configENS1_27scan_by_key_config_selectorIxxEEZZNS1_16scan_by_key_implILNS1_25lookback_scan_determinismE0ELb0ES3_N6thrust23THRUST_200600_302600_NS6detail15normal_iteratorINS9_10device_ptrIxEEEESE_SE_xNS9_10multipliesIxEENS9_8equal_toIxEExEE10hipError_tPvRmT2_T3_T4_T5_mT6_T7_P12ihipStream_tbENKUlT_T0_E_clISt17integral_constantIbLb0EESY_IbLb1EEEEDaSU_SV_EUlSU_E_NS1_11comp_targetILNS1_3genE10ELNS1_11target_archE1201ELNS1_3gpuE5ELNS1_3repE0EEENS1_30default_config_static_selectorELNS0_4arch9wavefront6targetE0EEEvT1_ ; -- Begin function _ZN7rocprim17ROCPRIM_400000_NS6detail17trampoline_kernelINS0_14default_configENS1_27scan_by_key_config_selectorIxxEEZZNS1_16scan_by_key_implILNS1_25lookback_scan_determinismE0ELb0ES3_N6thrust23THRUST_200600_302600_NS6detail15normal_iteratorINS9_10device_ptrIxEEEESE_SE_xNS9_10multipliesIxEENS9_8equal_toIxEExEE10hipError_tPvRmT2_T3_T4_T5_mT6_T7_P12ihipStream_tbENKUlT_T0_E_clISt17integral_constantIbLb0EESY_IbLb1EEEEDaSU_SV_EUlSU_E_NS1_11comp_targetILNS1_3genE10ELNS1_11target_archE1201ELNS1_3gpuE5ELNS1_3repE0EEENS1_30default_config_static_selectorELNS0_4arch9wavefront6targetE0EEEvT1_
	.globl	_ZN7rocprim17ROCPRIM_400000_NS6detail17trampoline_kernelINS0_14default_configENS1_27scan_by_key_config_selectorIxxEEZZNS1_16scan_by_key_implILNS1_25lookback_scan_determinismE0ELb0ES3_N6thrust23THRUST_200600_302600_NS6detail15normal_iteratorINS9_10device_ptrIxEEEESE_SE_xNS9_10multipliesIxEENS9_8equal_toIxEExEE10hipError_tPvRmT2_T3_T4_T5_mT6_T7_P12ihipStream_tbENKUlT_T0_E_clISt17integral_constantIbLb0EESY_IbLb1EEEEDaSU_SV_EUlSU_E_NS1_11comp_targetILNS1_3genE10ELNS1_11target_archE1201ELNS1_3gpuE5ELNS1_3repE0EEENS1_30default_config_static_selectorELNS0_4arch9wavefront6targetE0EEEvT1_
	.p2align	8
	.type	_ZN7rocprim17ROCPRIM_400000_NS6detail17trampoline_kernelINS0_14default_configENS1_27scan_by_key_config_selectorIxxEEZZNS1_16scan_by_key_implILNS1_25lookback_scan_determinismE0ELb0ES3_N6thrust23THRUST_200600_302600_NS6detail15normal_iteratorINS9_10device_ptrIxEEEESE_SE_xNS9_10multipliesIxEENS9_8equal_toIxEExEE10hipError_tPvRmT2_T3_T4_T5_mT6_T7_P12ihipStream_tbENKUlT_T0_E_clISt17integral_constantIbLb0EESY_IbLb1EEEEDaSU_SV_EUlSU_E_NS1_11comp_targetILNS1_3genE10ELNS1_11target_archE1201ELNS1_3gpuE5ELNS1_3repE0EEENS1_30default_config_static_selectorELNS0_4arch9wavefront6targetE0EEEvT1_,@function
_ZN7rocprim17ROCPRIM_400000_NS6detail17trampoline_kernelINS0_14default_configENS1_27scan_by_key_config_selectorIxxEEZZNS1_16scan_by_key_implILNS1_25lookback_scan_determinismE0ELb0ES3_N6thrust23THRUST_200600_302600_NS6detail15normal_iteratorINS9_10device_ptrIxEEEESE_SE_xNS9_10multipliesIxEENS9_8equal_toIxEExEE10hipError_tPvRmT2_T3_T4_T5_mT6_T7_P12ihipStream_tbENKUlT_T0_E_clISt17integral_constantIbLb0EESY_IbLb1EEEEDaSU_SV_EUlSU_E_NS1_11comp_targetILNS1_3genE10ELNS1_11target_archE1201ELNS1_3gpuE5ELNS1_3repE0EEENS1_30default_config_static_selectorELNS0_4arch9wavefront6targetE0EEEvT1_: ; @_ZN7rocprim17ROCPRIM_400000_NS6detail17trampoline_kernelINS0_14default_configENS1_27scan_by_key_config_selectorIxxEEZZNS1_16scan_by_key_implILNS1_25lookback_scan_determinismE0ELb0ES3_N6thrust23THRUST_200600_302600_NS6detail15normal_iteratorINS9_10device_ptrIxEEEESE_SE_xNS9_10multipliesIxEENS9_8equal_toIxEExEE10hipError_tPvRmT2_T3_T4_T5_mT6_T7_P12ihipStream_tbENKUlT_T0_E_clISt17integral_constantIbLb0EESY_IbLb1EEEEDaSU_SV_EUlSU_E_NS1_11comp_targetILNS1_3genE10ELNS1_11target_archE1201ELNS1_3gpuE5ELNS1_3repE0EEENS1_30default_config_static_selectorELNS0_4arch9wavefront6targetE0EEEvT1_
; %bb.0:
	.section	.rodata,"a",@progbits
	.p2align	6, 0x0
	.amdhsa_kernel _ZN7rocprim17ROCPRIM_400000_NS6detail17trampoline_kernelINS0_14default_configENS1_27scan_by_key_config_selectorIxxEEZZNS1_16scan_by_key_implILNS1_25lookback_scan_determinismE0ELb0ES3_N6thrust23THRUST_200600_302600_NS6detail15normal_iteratorINS9_10device_ptrIxEEEESE_SE_xNS9_10multipliesIxEENS9_8equal_toIxEExEE10hipError_tPvRmT2_T3_T4_T5_mT6_T7_P12ihipStream_tbENKUlT_T0_E_clISt17integral_constantIbLb0EESY_IbLb1EEEEDaSU_SV_EUlSU_E_NS1_11comp_targetILNS1_3genE10ELNS1_11target_archE1201ELNS1_3gpuE5ELNS1_3repE0EEENS1_30default_config_static_selectorELNS0_4arch9wavefront6targetE0EEEvT1_
		.amdhsa_group_segment_fixed_size 0
		.amdhsa_private_segment_fixed_size 0
		.amdhsa_kernarg_size 136
		.amdhsa_user_sgpr_count 2
		.amdhsa_user_sgpr_dispatch_ptr 0
		.amdhsa_user_sgpr_queue_ptr 0
		.amdhsa_user_sgpr_kernarg_segment_ptr 1
		.amdhsa_user_sgpr_dispatch_id 0
		.amdhsa_user_sgpr_kernarg_preload_length 0
		.amdhsa_user_sgpr_kernarg_preload_offset 0
		.amdhsa_user_sgpr_private_segment_size 0
		.amdhsa_wavefront_size32 1
		.amdhsa_uses_dynamic_stack 0
		.amdhsa_enable_private_segment 0
		.amdhsa_system_sgpr_workgroup_id_x 1
		.amdhsa_system_sgpr_workgroup_id_y 0
		.amdhsa_system_sgpr_workgroup_id_z 0
		.amdhsa_system_sgpr_workgroup_info 0
		.amdhsa_system_vgpr_workitem_id 0
		.amdhsa_next_free_vgpr 1
		.amdhsa_next_free_sgpr 1
		.amdhsa_named_barrier_count 0
		.amdhsa_reserve_vcc 0
		.amdhsa_float_round_mode_32 0
		.amdhsa_float_round_mode_16_64 0
		.amdhsa_float_denorm_mode_32 3
		.amdhsa_float_denorm_mode_16_64 3
		.amdhsa_fp16_overflow 0
		.amdhsa_memory_ordered 1
		.amdhsa_forward_progress 1
		.amdhsa_inst_pref_size 0
		.amdhsa_round_robin_scheduling 0
		.amdhsa_exception_fp_ieee_invalid_op 0
		.amdhsa_exception_fp_denorm_src 0
		.amdhsa_exception_fp_ieee_div_zero 0
		.amdhsa_exception_fp_ieee_overflow 0
		.amdhsa_exception_fp_ieee_underflow 0
		.amdhsa_exception_fp_ieee_inexact 0
		.amdhsa_exception_int_div_zero 0
	.end_amdhsa_kernel
	.section	.text._ZN7rocprim17ROCPRIM_400000_NS6detail17trampoline_kernelINS0_14default_configENS1_27scan_by_key_config_selectorIxxEEZZNS1_16scan_by_key_implILNS1_25lookback_scan_determinismE0ELb0ES3_N6thrust23THRUST_200600_302600_NS6detail15normal_iteratorINS9_10device_ptrIxEEEESE_SE_xNS9_10multipliesIxEENS9_8equal_toIxEExEE10hipError_tPvRmT2_T3_T4_T5_mT6_T7_P12ihipStream_tbENKUlT_T0_E_clISt17integral_constantIbLb0EESY_IbLb1EEEEDaSU_SV_EUlSU_E_NS1_11comp_targetILNS1_3genE10ELNS1_11target_archE1201ELNS1_3gpuE5ELNS1_3repE0EEENS1_30default_config_static_selectorELNS0_4arch9wavefront6targetE0EEEvT1_,"axG",@progbits,_ZN7rocprim17ROCPRIM_400000_NS6detail17trampoline_kernelINS0_14default_configENS1_27scan_by_key_config_selectorIxxEEZZNS1_16scan_by_key_implILNS1_25lookback_scan_determinismE0ELb0ES3_N6thrust23THRUST_200600_302600_NS6detail15normal_iteratorINS9_10device_ptrIxEEEESE_SE_xNS9_10multipliesIxEENS9_8equal_toIxEExEE10hipError_tPvRmT2_T3_T4_T5_mT6_T7_P12ihipStream_tbENKUlT_T0_E_clISt17integral_constantIbLb0EESY_IbLb1EEEEDaSU_SV_EUlSU_E_NS1_11comp_targetILNS1_3genE10ELNS1_11target_archE1201ELNS1_3gpuE5ELNS1_3repE0EEENS1_30default_config_static_selectorELNS0_4arch9wavefront6targetE0EEEvT1_,comdat
.Lfunc_end75:
	.size	_ZN7rocprim17ROCPRIM_400000_NS6detail17trampoline_kernelINS0_14default_configENS1_27scan_by_key_config_selectorIxxEEZZNS1_16scan_by_key_implILNS1_25lookback_scan_determinismE0ELb0ES3_N6thrust23THRUST_200600_302600_NS6detail15normal_iteratorINS9_10device_ptrIxEEEESE_SE_xNS9_10multipliesIxEENS9_8equal_toIxEExEE10hipError_tPvRmT2_T3_T4_T5_mT6_T7_P12ihipStream_tbENKUlT_T0_E_clISt17integral_constantIbLb0EESY_IbLb1EEEEDaSU_SV_EUlSU_E_NS1_11comp_targetILNS1_3genE10ELNS1_11target_archE1201ELNS1_3gpuE5ELNS1_3repE0EEENS1_30default_config_static_selectorELNS0_4arch9wavefront6targetE0EEEvT1_, .Lfunc_end75-_ZN7rocprim17ROCPRIM_400000_NS6detail17trampoline_kernelINS0_14default_configENS1_27scan_by_key_config_selectorIxxEEZZNS1_16scan_by_key_implILNS1_25lookback_scan_determinismE0ELb0ES3_N6thrust23THRUST_200600_302600_NS6detail15normal_iteratorINS9_10device_ptrIxEEEESE_SE_xNS9_10multipliesIxEENS9_8equal_toIxEExEE10hipError_tPvRmT2_T3_T4_T5_mT6_T7_P12ihipStream_tbENKUlT_T0_E_clISt17integral_constantIbLb0EESY_IbLb1EEEEDaSU_SV_EUlSU_E_NS1_11comp_targetILNS1_3genE10ELNS1_11target_archE1201ELNS1_3gpuE5ELNS1_3repE0EEENS1_30default_config_static_selectorELNS0_4arch9wavefront6targetE0EEEvT1_
                                        ; -- End function
	.set _ZN7rocprim17ROCPRIM_400000_NS6detail17trampoline_kernelINS0_14default_configENS1_27scan_by_key_config_selectorIxxEEZZNS1_16scan_by_key_implILNS1_25lookback_scan_determinismE0ELb0ES3_N6thrust23THRUST_200600_302600_NS6detail15normal_iteratorINS9_10device_ptrIxEEEESE_SE_xNS9_10multipliesIxEENS9_8equal_toIxEExEE10hipError_tPvRmT2_T3_T4_T5_mT6_T7_P12ihipStream_tbENKUlT_T0_E_clISt17integral_constantIbLb0EESY_IbLb1EEEEDaSU_SV_EUlSU_E_NS1_11comp_targetILNS1_3genE10ELNS1_11target_archE1201ELNS1_3gpuE5ELNS1_3repE0EEENS1_30default_config_static_selectorELNS0_4arch9wavefront6targetE0EEEvT1_.num_vgpr, 0
	.set _ZN7rocprim17ROCPRIM_400000_NS6detail17trampoline_kernelINS0_14default_configENS1_27scan_by_key_config_selectorIxxEEZZNS1_16scan_by_key_implILNS1_25lookback_scan_determinismE0ELb0ES3_N6thrust23THRUST_200600_302600_NS6detail15normal_iteratorINS9_10device_ptrIxEEEESE_SE_xNS9_10multipliesIxEENS9_8equal_toIxEExEE10hipError_tPvRmT2_T3_T4_T5_mT6_T7_P12ihipStream_tbENKUlT_T0_E_clISt17integral_constantIbLb0EESY_IbLb1EEEEDaSU_SV_EUlSU_E_NS1_11comp_targetILNS1_3genE10ELNS1_11target_archE1201ELNS1_3gpuE5ELNS1_3repE0EEENS1_30default_config_static_selectorELNS0_4arch9wavefront6targetE0EEEvT1_.num_agpr, 0
	.set _ZN7rocprim17ROCPRIM_400000_NS6detail17trampoline_kernelINS0_14default_configENS1_27scan_by_key_config_selectorIxxEEZZNS1_16scan_by_key_implILNS1_25lookback_scan_determinismE0ELb0ES3_N6thrust23THRUST_200600_302600_NS6detail15normal_iteratorINS9_10device_ptrIxEEEESE_SE_xNS9_10multipliesIxEENS9_8equal_toIxEExEE10hipError_tPvRmT2_T3_T4_T5_mT6_T7_P12ihipStream_tbENKUlT_T0_E_clISt17integral_constantIbLb0EESY_IbLb1EEEEDaSU_SV_EUlSU_E_NS1_11comp_targetILNS1_3genE10ELNS1_11target_archE1201ELNS1_3gpuE5ELNS1_3repE0EEENS1_30default_config_static_selectorELNS0_4arch9wavefront6targetE0EEEvT1_.numbered_sgpr, 0
	.set _ZN7rocprim17ROCPRIM_400000_NS6detail17trampoline_kernelINS0_14default_configENS1_27scan_by_key_config_selectorIxxEEZZNS1_16scan_by_key_implILNS1_25lookback_scan_determinismE0ELb0ES3_N6thrust23THRUST_200600_302600_NS6detail15normal_iteratorINS9_10device_ptrIxEEEESE_SE_xNS9_10multipliesIxEENS9_8equal_toIxEExEE10hipError_tPvRmT2_T3_T4_T5_mT6_T7_P12ihipStream_tbENKUlT_T0_E_clISt17integral_constantIbLb0EESY_IbLb1EEEEDaSU_SV_EUlSU_E_NS1_11comp_targetILNS1_3genE10ELNS1_11target_archE1201ELNS1_3gpuE5ELNS1_3repE0EEENS1_30default_config_static_selectorELNS0_4arch9wavefront6targetE0EEEvT1_.num_named_barrier, 0
	.set _ZN7rocprim17ROCPRIM_400000_NS6detail17trampoline_kernelINS0_14default_configENS1_27scan_by_key_config_selectorIxxEEZZNS1_16scan_by_key_implILNS1_25lookback_scan_determinismE0ELb0ES3_N6thrust23THRUST_200600_302600_NS6detail15normal_iteratorINS9_10device_ptrIxEEEESE_SE_xNS9_10multipliesIxEENS9_8equal_toIxEExEE10hipError_tPvRmT2_T3_T4_T5_mT6_T7_P12ihipStream_tbENKUlT_T0_E_clISt17integral_constantIbLb0EESY_IbLb1EEEEDaSU_SV_EUlSU_E_NS1_11comp_targetILNS1_3genE10ELNS1_11target_archE1201ELNS1_3gpuE5ELNS1_3repE0EEENS1_30default_config_static_selectorELNS0_4arch9wavefront6targetE0EEEvT1_.private_seg_size, 0
	.set _ZN7rocprim17ROCPRIM_400000_NS6detail17trampoline_kernelINS0_14default_configENS1_27scan_by_key_config_selectorIxxEEZZNS1_16scan_by_key_implILNS1_25lookback_scan_determinismE0ELb0ES3_N6thrust23THRUST_200600_302600_NS6detail15normal_iteratorINS9_10device_ptrIxEEEESE_SE_xNS9_10multipliesIxEENS9_8equal_toIxEExEE10hipError_tPvRmT2_T3_T4_T5_mT6_T7_P12ihipStream_tbENKUlT_T0_E_clISt17integral_constantIbLb0EESY_IbLb1EEEEDaSU_SV_EUlSU_E_NS1_11comp_targetILNS1_3genE10ELNS1_11target_archE1201ELNS1_3gpuE5ELNS1_3repE0EEENS1_30default_config_static_selectorELNS0_4arch9wavefront6targetE0EEEvT1_.uses_vcc, 0
	.set _ZN7rocprim17ROCPRIM_400000_NS6detail17trampoline_kernelINS0_14default_configENS1_27scan_by_key_config_selectorIxxEEZZNS1_16scan_by_key_implILNS1_25lookback_scan_determinismE0ELb0ES3_N6thrust23THRUST_200600_302600_NS6detail15normal_iteratorINS9_10device_ptrIxEEEESE_SE_xNS9_10multipliesIxEENS9_8equal_toIxEExEE10hipError_tPvRmT2_T3_T4_T5_mT6_T7_P12ihipStream_tbENKUlT_T0_E_clISt17integral_constantIbLb0EESY_IbLb1EEEEDaSU_SV_EUlSU_E_NS1_11comp_targetILNS1_3genE10ELNS1_11target_archE1201ELNS1_3gpuE5ELNS1_3repE0EEENS1_30default_config_static_selectorELNS0_4arch9wavefront6targetE0EEEvT1_.uses_flat_scratch, 0
	.set _ZN7rocprim17ROCPRIM_400000_NS6detail17trampoline_kernelINS0_14default_configENS1_27scan_by_key_config_selectorIxxEEZZNS1_16scan_by_key_implILNS1_25lookback_scan_determinismE0ELb0ES3_N6thrust23THRUST_200600_302600_NS6detail15normal_iteratorINS9_10device_ptrIxEEEESE_SE_xNS9_10multipliesIxEENS9_8equal_toIxEExEE10hipError_tPvRmT2_T3_T4_T5_mT6_T7_P12ihipStream_tbENKUlT_T0_E_clISt17integral_constantIbLb0EESY_IbLb1EEEEDaSU_SV_EUlSU_E_NS1_11comp_targetILNS1_3genE10ELNS1_11target_archE1201ELNS1_3gpuE5ELNS1_3repE0EEENS1_30default_config_static_selectorELNS0_4arch9wavefront6targetE0EEEvT1_.has_dyn_sized_stack, 0
	.set _ZN7rocprim17ROCPRIM_400000_NS6detail17trampoline_kernelINS0_14default_configENS1_27scan_by_key_config_selectorIxxEEZZNS1_16scan_by_key_implILNS1_25lookback_scan_determinismE0ELb0ES3_N6thrust23THRUST_200600_302600_NS6detail15normal_iteratorINS9_10device_ptrIxEEEESE_SE_xNS9_10multipliesIxEENS9_8equal_toIxEExEE10hipError_tPvRmT2_T3_T4_T5_mT6_T7_P12ihipStream_tbENKUlT_T0_E_clISt17integral_constantIbLb0EESY_IbLb1EEEEDaSU_SV_EUlSU_E_NS1_11comp_targetILNS1_3genE10ELNS1_11target_archE1201ELNS1_3gpuE5ELNS1_3repE0EEENS1_30default_config_static_selectorELNS0_4arch9wavefront6targetE0EEEvT1_.has_recursion, 0
	.set _ZN7rocprim17ROCPRIM_400000_NS6detail17trampoline_kernelINS0_14default_configENS1_27scan_by_key_config_selectorIxxEEZZNS1_16scan_by_key_implILNS1_25lookback_scan_determinismE0ELb0ES3_N6thrust23THRUST_200600_302600_NS6detail15normal_iteratorINS9_10device_ptrIxEEEESE_SE_xNS9_10multipliesIxEENS9_8equal_toIxEExEE10hipError_tPvRmT2_T3_T4_T5_mT6_T7_P12ihipStream_tbENKUlT_T0_E_clISt17integral_constantIbLb0EESY_IbLb1EEEEDaSU_SV_EUlSU_E_NS1_11comp_targetILNS1_3genE10ELNS1_11target_archE1201ELNS1_3gpuE5ELNS1_3repE0EEENS1_30default_config_static_selectorELNS0_4arch9wavefront6targetE0EEEvT1_.has_indirect_call, 0
	.section	.AMDGPU.csdata,"",@progbits
; Kernel info:
; codeLenInByte = 0
; TotalNumSgprs: 0
; NumVgprs: 0
; ScratchSize: 0
; MemoryBound: 0
; FloatMode: 240
; IeeeMode: 1
; LDSByteSize: 0 bytes/workgroup (compile time only)
; SGPRBlocks: 0
; VGPRBlocks: 0
; NumSGPRsForWavesPerEU: 1
; NumVGPRsForWavesPerEU: 1
; NamedBarCnt: 0
; Occupancy: 16
; WaveLimiterHint : 0
; COMPUTE_PGM_RSRC2:SCRATCH_EN: 0
; COMPUTE_PGM_RSRC2:USER_SGPR: 2
; COMPUTE_PGM_RSRC2:TRAP_HANDLER: 0
; COMPUTE_PGM_RSRC2:TGID_X_EN: 1
; COMPUTE_PGM_RSRC2:TGID_Y_EN: 0
; COMPUTE_PGM_RSRC2:TGID_Z_EN: 0
; COMPUTE_PGM_RSRC2:TIDIG_COMP_CNT: 0
	.section	.text._ZN7rocprim17ROCPRIM_400000_NS6detail17trampoline_kernelINS0_14default_configENS1_27scan_by_key_config_selectorIxxEEZZNS1_16scan_by_key_implILNS1_25lookback_scan_determinismE0ELb0ES3_N6thrust23THRUST_200600_302600_NS6detail15normal_iteratorINS9_10device_ptrIxEEEESE_SE_xNS9_10multipliesIxEENS9_8equal_toIxEExEE10hipError_tPvRmT2_T3_T4_T5_mT6_T7_P12ihipStream_tbENKUlT_T0_E_clISt17integral_constantIbLb0EESY_IbLb1EEEEDaSU_SV_EUlSU_E_NS1_11comp_targetILNS1_3genE5ELNS1_11target_archE942ELNS1_3gpuE9ELNS1_3repE0EEENS1_30default_config_static_selectorELNS0_4arch9wavefront6targetE0EEEvT1_,"axG",@progbits,_ZN7rocprim17ROCPRIM_400000_NS6detail17trampoline_kernelINS0_14default_configENS1_27scan_by_key_config_selectorIxxEEZZNS1_16scan_by_key_implILNS1_25lookback_scan_determinismE0ELb0ES3_N6thrust23THRUST_200600_302600_NS6detail15normal_iteratorINS9_10device_ptrIxEEEESE_SE_xNS9_10multipliesIxEENS9_8equal_toIxEExEE10hipError_tPvRmT2_T3_T4_T5_mT6_T7_P12ihipStream_tbENKUlT_T0_E_clISt17integral_constantIbLb0EESY_IbLb1EEEEDaSU_SV_EUlSU_E_NS1_11comp_targetILNS1_3genE5ELNS1_11target_archE942ELNS1_3gpuE9ELNS1_3repE0EEENS1_30default_config_static_selectorELNS0_4arch9wavefront6targetE0EEEvT1_,comdat
	.protected	_ZN7rocprim17ROCPRIM_400000_NS6detail17trampoline_kernelINS0_14default_configENS1_27scan_by_key_config_selectorIxxEEZZNS1_16scan_by_key_implILNS1_25lookback_scan_determinismE0ELb0ES3_N6thrust23THRUST_200600_302600_NS6detail15normal_iteratorINS9_10device_ptrIxEEEESE_SE_xNS9_10multipliesIxEENS9_8equal_toIxEExEE10hipError_tPvRmT2_T3_T4_T5_mT6_T7_P12ihipStream_tbENKUlT_T0_E_clISt17integral_constantIbLb0EESY_IbLb1EEEEDaSU_SV_EUlSU_E_NS1_11comp_targetILNS1_3genE5ELNS1_11target_archE942ELNS1_3gpuE9ELNS1_3repE0EEENS1_30default_config_static_selectorELNS0_4arch9wavefront6targetE0EEEvT1_ ; -- Begin function _ZN7rocprim17ROCPRIM_400000_NS6detail17trampoline_kernelINS0_14default_configENS1_27scan_by_key_config_selectorIxxEEZZNS1_16scan_by_key_implILNS1_25lookback_scan_determinismE0ELb0ES3_N6thrust23THRUST_200600_302600_NS6detail15normal_iteratorINS9_10device_ptrIxEEEESE_SE_xNS9_10multipliesIxEENS9_8equal_toIxEExEE10hipError_tPvRmT2_T3_T4_T5_mT6_T7_P12ihipStream_tbENKUlT_T0_E_clISt17integral_constantIbLb0EESY_IbLb1EEEEDaSU_SV_EUlSU_E_NS1_11comp_targetILNS1_3genE5ELNS1_11target_archE942ELNS1_3gpuE9ELNS1_3repE0EEENS1_30default_config_static_selectorELNS0_4arch9wavefront6targetE0EEEvT1_
	.globl	_ZN7rocprim17ROCPRIM_400000_NS6detail17trampoline_kernelINS0_14default_configENS1_27scan_by_key_config_selectorIxxEEZZNS1_16scan_by_key_implILNS1_25lookback_scan_determinismE0ELb0ES3_N6thrust23THRUST_200600_302600_NS6detail15normal_iteratorINS9_10device_ptrIxEEEESE_SE_xNS9_10multipliesIxEENS9_8equal_toIxEExEE10hipError_tPvRmT2_T3_T4_T5_mT6_T7_P12ihipStream_tbENKUlT_T0_E_clISt17integral_constantIbLb0EESY_IbLb1EEEEDaSU_SV_EUlSU_E_NS1_11comp_targetILNS1_3genE5ELNS1_11target_archE942ELNS1_3gpuE9ELNS1_3repE0EEENS1_30default_config_static_selectorELNS0_4arch9wavefront6targetE0EEEvT1_
	.p2align	8
	.type	_ZN7rocprim17ROCPRIM_400000_NS6detail17trampoline_kernelINS0_14default_configENS1_27scan_by_key_config_selectorIxxEEZZNS1_16scan_by_key_implILNS1_25lookback_scan_determinismE0ELb0ES3_N6thrust23THRUST_200600_302600_NS6detail15normal_iteratorINS9_10device_ptrIxEEEESE_SE_xNS9_10multipliesIxEENS9_8equal_toIxEExEE10hipError_tPvRmT2_T3_T4_T5_mT6_T7_P12ihipStream_tbENKUlT_T0_E_clISt17integral_constantIbLb0EESY_IbLb1EEEEDaSU_SV_EUlSU_E_NS1_11comp_targetILNS1_3genE5ELNS1_11target_archE942ELNS1_3gpuE9ELNS1_3repE0EEENS1_30default_config_static_selectorELNS0_4arch9wavefront6targetE0EEEvT1_,@function
_ZN7rocprim17ROCPRIM_400000_NS6detail17trampoline_kernelINS0_14default_configENS1_27scan_by_key_config_selectorIxxEEZZNS1_16scan_by_key_implILNS1_25lookback_scan_determinismE0ELb0ES3_N6thrust23THRUST_200600_302600_NS6detail15normal_iteratorINS9_10device_ptrIxEEEESE_SE_xNS9_10multipliesIxEENS9_8equal_toIxEExEE10hipError_tPvRmT2_T3_T4_T5_mT6_T7_P12ihipStream_tbENKUlT_T0_E_clISt17integral_constantIbLb0EESY_IbLb1EEEEDaSU_SV_EUlSU_E_NS1_11comp_targetILNS1_3genE5ELNS1_11target_archE942ELNS1_3gpuE9ELNS1_3repE0EEENS1_30default_config_static_selectorELNS0_4arch9wavefront6targetE0EEEvT1_: ; @_ZN7rocprim17ROCPRIM_400000_NS6detail17trampoline_kernelINS0_14default_configENS1_27scan_by_key_config_selectorIxxEEZZNS1_16scan_by_key_implILNS1_25lookback_scan_determinismE0ELb0ES3_N6thrust23THRUST_200600_302600_NS6detail15normal_iteratorINS9_10device_ptrIxEEEESE_SE_xNS9_10multipliesIxEENS9_8equal_toIxEExEE10hipError_tPvRmT2_T3_T4_T5_mT6_T7_P12ihipStream_tbENKUlT_T0_E_clISt17integral_constantIbLb0EESY_IbLb1EEEEDaSU_SV_EUlSU_E_NS1_11comp_targetILNS1_3genE5ELNS1_11target_archE942ELNS1_3gpuE9ELNS1_3repE0EEENS1_30default_config_static_selectorELNS0_4arch9wavefront6targetE0EEEvT1_
; %bb.0:
	.section	.rodata,"a",@progbits
	.p2align	6, 0x0
	.amdhsa_kernel _ZN7rocprim17ROCPRIM_400000_NS6detail17trampoline_kernelINS0_14default_configENS1_27scan_by_key_config_selectorIxxEEZZNS1_16scan_by_key_implILNS1_25lookback_scan_determinismE0ELb0ES3_N6thrust23THRUST_200600_302600_NS6detail15normal_iteratorINS9_10device_ptrIxEEEESE_SE_xNS9_10multipliesIxEENS9_8equal_toIxEExEE10hipError_tPvRmT2_T3_T4_T5_mT6_T7_P12ihipStream_tbENKUlT_T0_E_clISt17integral_constantIbLb0EESY_IbLb1EEEEDaSU_SV_EUlSU_E_NS1_11comp_targetILNS1_3genE5ELNS1_11target_archE942ELNS1_3gpuE9ELNS1_3repE0EEENS1_30default_config_static_selectorELNS0_4arch9wavefront6targetE0EEEvT1_
		.amdhsa_group_segment_fixed_size 0
		.amdhsa_private_segment_fixed_size 0
		.amdhsa_kernarg_size 136
		.amdhsa_user_sgpr_count 2
		.amdhsa_user_sgpr_dispatch_ptr 0
		.amdhsa_user_sgpr_queue_ptr 0
		.amdhsa_user_sgpr_kernarg_segment_ptr 1
		.amdhsa_user_sgpr_dispatch_id 0
		.amdhsa_user_sgpr_kernarg_preload_length 0
		.amdhsa_user_sgpr_kernarg_preload_offset 0
		.amdhsa_user_sgpr_private_segment_size 0
		.amdhsa_wavefront_size32 1
		.amdhsa_uses_dynamic_stack 0
		.amdhsa_enable_private_segment 0
		.amdhsa_system_sgpr_workgroup_id_x 1
		.amdhsa_system_sgpr_workgroup_id_y 0
		.amdhsa_system_sgpr_workgroup_id_z 0
		.amdhsa_system_sgpr_workgroup_info 0
		.amdhsa_system_vgpr_workitem_id 0
		.amdhsa_next_free_vgpr 1
		.amdhsa_next_free_sgpr 1
		.amdhsa_named_barrier_count 0
		.amdhsa_reserve_vcc 0
		.amdhsa_float_round_mode_32 0
		.amdhsa_float_round_mode_16_64 0
		.amdhsa_float_denorm_mode_32 3
		.amdhsa_float_denorm_mode_16_64 3
		.amdhsa_fp16_overflow 0
		.amdhsa_memory_ordered 1
		.amdhsa_forward_progress 1
		.amdhsa_inst_pref_size 0
		.amdhsa_round_robin_scheduling 0
		.amdhsa_exception_fp_ieee_invalid_op 0
		.amdhsa_exception_fp_denorm_src 0
		.amdhsa_exception_fp_ieee_div_zero 0
		.amdhsa_exception_fp_ieee_overflow 0
		.amdhsa_exception_fp_ieee_underflow 0
		.amdhsa_exception_fp_ieee_inexact 0
		.amdhsa_exception_int_div_zero 0
	.end_amdhsa_kernel
	.section	.text._ZN7rocprim17ROCPRIM_400000_NS6detail17trampoline_kernelINS0_14default_configENS1_27scan_by_key_config_selectorIxxEEZZNS1_16scan_by_key_implILNS1_25lookback_scan_determinismE0ELb0ES3_N6thrust23THRUST_200600_302600_NS6detail15normal_iteratorINS9_10device_ptrIxEEEESE_SE_xNS9_10multipliesIxEENS9_8equal_toIxEExEE10hipError_tPvRmT2_T3_T4_T5_mT6_T7_P12ihipStream_tbENKUlT_T0_E_clISt17integral_constantIbLb0EESY_IbLb1EEEEDaSU_SV_EUlSU_E_NS1_11comp_targetILNS1_3genE5ELNS1_11target_archE942ELNS1_3gpuE9ELNS1_3repE0EEENS1_30default_config_static_selectorELNS0_4arch9wavefront6targetE0EEEvT1_,"axG",@progbits,_ZN7rocprim17ROCPRIM_400000_NS6detail17trampoline_kernelINS0_14default_configENS1_27scan_by_key_config_selectorIxxEEZZNS1_16scan_by_key_implILNS1_25lookback_scan_determinismE0ELb0ES3_N6thrust23THRUST_200600_302600_NS6detail15normal_iteratorINS9_10device_ptrIxEEEESE_SE_xNS9_10multipliesIxEENS9_8equal_toIxEExEE10hipError_tPvRmT2_T3_T4_T5_mT6_T7_P12ihipStream_tbENKUlT_T0_E_clISt17integral_constantIbLb0EESY_IbLb1EEEEDaSU_SV_EUlSU_E_NS1_11comp_targetILNS1_3genE5ELNS1_11target_archE942ELNS1_3gpuE9ELNS1_3repE0EEENS1_30default_config_static_selectorELNS0_4arch9wavefront6targetE0EEEvT1_,comdat
.Lfunc_end76:
	.size	_ZN7rocprim17ROCPRIM_400000_NS6detail17trampoline_kernelINS0_14default_configENS1_27scan_by_key_config_selectorIxxEEZZNS1_16scan_by_key_implILNS1_25lookback_scan_determinismE0ELb0ES3_N6thrust23THRUST_200600_302600_NS6detail15normal_iteratorINS9_10device_ptrIxEEEESE_SE_xNS9_10multipliesIxEENS9_8equal_toIxEExEE10hipError_tPvRmT2_T3_T4_T5_mT6_T7_P12ihipStream_tbENKUlT_T0_E_clISt17integral_constantIbLb0EESY_IbLb1EEEEDaSU_SV_EUlSU_E_NS1_11comp_targetILNS1_3genE5ELNS1_11target_archE942ELNS1_3gpuE9ELNS1_3repE0EEENS1_30default_config_static_selectorELNS0_4arch9wavefront6targetE0EEEvT1_, .Lfunc_end76-_ZN7rocprim17ROCPRIM_400000_NS6detail17trampoline_kernelINS0_14default_configENS1_27scan_by_key_config_selectorIxxEEZZNS1_16scan_by_key_implILNS1_25lookback_scan_determinismE0ELb0ES3_N6thrust23THRUST_200600_302600_NS6detail15normal_iteratorINS9_10device_ptrIxEEEESE_SE_xNS9_10multipliesIxEENS9_8equal_toIxEExEE10hipError_tPvRmT2_T3_T4_T5_mT6_T7_P12ihipStream_tbENKUlT_T0_E_clISt17integral_constantIbLb0EESY_IbLb1EEEEDaSU_SV_EUlSU_E_NS1_11comp_targetILNS1_3genE5ELNS1_11target_archE942ELNS1_3gpuE9ELNS1_3repE0EEENS1_30default_config_static_selectorELNS0_4arch9wavefront6targetE0EEEvT1_
                                        ; -- End function
	.set _ZN7rocprim17ROCPRIM_400000_NS6detail17trampoline_kernelINS0_14default_configENS1_27scan_by_key_config_selectorIxxEEZZNS1_16scan_by_key_implILNS1_25lookback_scan_determinismE0ELb0ES3_N6thrust23THRUST_200600_302600_NS6detail15normal_iteratorINS9_10device_ptrIxEEEESE_SE_xNS9_10multipliesIxEENS9_8equal_toIxEExEE10hipError_tPvRmT2_T3_T4_T5_mT6_T7_P12ihipStream_tbENKUlT_T0_E_clISt17integral_constantIbLb0EESY_IbLb1EEEEDaSU_SV_EUlSU_E_NS1_11comp_targetILNS1_3genE5ELNS1_11target_archE942ELNS1_3gpuE9ELNS1_3repE0EEENS1_30default_config_static_selectorELNS0_4arch9wavefront6targetE0EEEvT1_.num_vgpr, 0
	.set _ZN7rocprim17ROCPRIM_400000_NS6detail17trampoline_kernelINS0_14default_configENS1_27scan_by_key_config_selectorIxxEEZZNS1_16scan_by_key_implILNS1_25lookback_scan_determinismE0ELb0ES3_N6thrust23THRUST_200600_302600_NS6detail15normal_iteratorINS9_10device_ptrIxEEEESE_SE_xNS9_10multipliesIxEENS9_8equal_toIxEExEE10hipError_tPvRmT2_T3_T4_T5_mT6_T7_P12ihipStream_tbENKUlT_T0_E_clISt17integral_constantIbLb0EESY_IbLb1EEEEDaSU_SV_EUlSU_E_NS1_11comp_targetILNS1_3genE5ELNS1_11target_archE942ELNS1_3gpuE9ELNS1_3repE0EEENS1_30default_config_static_selectorELNS0_4arch9wavefront6targetE0EEEvT1_.num_agpr, 0
	.set _ZN7rocprim17ROCPRIM_400000_NS6detail17trampoline_kernelINS0_14default_configENS1_27scan_by_key_config_selectorIxxEEZZNS1_16scan_by_key_implILNS1_25lookback_scan_determinismE0ELb0ES3_N6thrust23THRUST_200600_302600_NS6detail15normal_iteratorINS9_10device_ptrIxEEEESE_SE_xNS9_10multipliesIxEENS9_8equal_toIxEExEE10hipError_tPvRmT2_T3_T4_T5_mT6_T7_P12ihipStream_tbENKUlT_T0_E_clISt17integral_constantIbLb0EESY_IbLb1EEEEDaSU_SV_EUlSU_E_NS1_11comp_targetILNS1_3genE5ELNS1_11target_archE942ELNS1_3gpuE9ELNS1_3repE0EEENS1_30default_config_static_selectorELNS0_4arch9wavefront6targetE0EEEvT1_.numbered_sgpr, 0
	.set _ZN7rocprim17ROCPRIM_400000_NS6detail17trampoline_kernelINS0_14default_configENS1_27scan_by_key_config_selectorIxxEEZZNS1_16scan_by_key_implILNS1_25lookback_scan_determinismE0ELb0ES3_N6thrust23THRUST_200600_302600_NS6detail15normal_iteratorINS9_10device_ptrIxEEEESE_SE_xNS9_10multipliesIxEENS9_8equal_toIxEExEE10hipError_tPvRmT2_T3_T4_T5_mT6_T7_P12ihipStream_tbENKUlT_T0_E_clISt17integral_constantIbLb0EESY_IbLb1EEEEDaSU_SV_EUlSU_E_NS1_11comp_targetILNS1_3genE5ELNS1_11target_archE942ELNS1_3gpuE9ELNS1_3repE0EEENS1_30default_config_static_selectorELNS0_4arch9wavefront6targetE0EEEvT1_.num_named_barrier, 0
	.set _ZN7rocprim17ROCPRIM_400000_NS6detail17trampoline_kernelINS0_14default_configENS1_27scan_by_key_config_selectorIxxEEZZNS1_16scan_by_key_implILNS1_25lookback_scan_determinismE0ELb0ES3_N6thrust23THRUST_200600_302600_NS6detail15normal_iteratorINS9_10device_ptrIxEEEESE_SE_xNS9_10multipliesIxEENS9_8equal_toIxEExEE10hipError_tPvRmT2_T3_T4_T5_mT6_T7_P12ihipStream_tbENKUlT_T0_E_clISt17integral_constantIbLb0EESY_IbLb1EEEEDaSU_SV_EUlSU_E_NS1_11comp_targetILNS1_3genE5ELNS1_11target_archE942ELNS1_3gpuE9ELNS1_3repE0EEENS1_30default_config_static_selectorELNS0_4arch9wavefront6targetE0EEEvT1_.private_seg_size, 0
	.set _ZN7rocprim17ROCPRIM_400000_NS6detail17trampoline_kernelINS0_14default_configENS1_27scan_by_key_config_selectorIxxEEZZNS1_16scan_by_key_implILNS1_25lookback_scan_determinismE0ELb0ES3_N6thrust23THRUST_200600_302600_NS6detail15normal_iteratorINS9_10device_ptrIxEEEESE_SE_xNS9_10multipliesIxEENS9_8equal_toIxEExEE10hipError_tPvRmT2_T3_T4_T5_mT6_T7_P12ihipStream_tbENKUlT_T0_E_clISt17integral_constantIbLb0EESY_IbLb1EEEEDaSU_SV_EUlSU_E_NS1_11comp_targetILNS1_3genE5ELNS1_11target_archE942ELNS1_3gpuE9ELNS1_3repE0EEENS1_30default_config_static_selectorELNS0_4arch9wavefront6targetE0EEEvT1_.uses_vcc, 0
	.set _ZN7rocprim17ROCPRIM_400000_NS6detail17trampoline_kernelINS0_14default_configENS1_27scan_by_key_config_selectorIxxEEZZNS1_16scan_by_key_implILNS1_25lookback_scan_determinismE0ELb0ES3_N6thrust23THRUST_200600_302600_NS6detail15normal_iteratorINS9_10device_ptrIxEEEESE_SE_xNS9_10multipliesIxEENS9_8equal_toIxEExEE10hipError_tPvRmT2_T3_T4_T5_mT6_T7_P12ihipStream_tbENKUlT_T0_E_clISt17integral_constantIbLb0EESY_IbLb1EEEEDaSU_SV_EUlSU_E_NS1_11comp_targetILNS1_3genE5ELNS1_11target_archE942ELNS1_3gpuE9ELNS1_3repE0EEENS1_30default_config_static_selectorELNS0_4arch9wavefront6targetE0EEEvT1_.uses_flat_scratch, 0
	.set _ZN7rocprim17ROCPRIM_400000_NS6detail17trampoline_kernelINS0_14default_configENS1_27scan_by_key_config_selectorIxxEEZZNS1_16scan_by_key_implILNS1_25lookback_scan_determinismE0ELb0ES3_N6thrust23THRUST_200600_302600_NS6detail15normal_iteratorINS9_10device_ptrIxEEEESE_SE_xNS9_10multipliesIxEENS9_8equal_toIxEExEE10hipError_tPvRmT2_T3_T4_T5_mT6_T7_P12ihipStream_tbENKUlT_T0_E_clISt17integral_constantIbLb0EESY_IbLb1EEEEDaSU_SV_EUlSU_E_NS1_11comp_targetILNS1_3genE5ELNS1_11target_archE942ELNS1_3gpuE9ELNS1_3repE0EEENS1_30default_config_static_selectorELNS0_4arch9wavefront6targetE0EEEvT1_.has_dyn_sized_stack, 0
	.set _ZN7rocprim17ROCPRIM_400000_NS6detail17trampoline_kernelINS0_14default_configENS1_27scan_by_key_config_selectorIxxEEZZNS1_16scan_by_key_implILNS1_25lookback_scan_determinismE0ELb0ES3_N6thrust23THRUST_200600_302600_NS6detail15normal_iteratorINS9_10device_ptrIxEEEESE_SE_xNS9_10multipliesIxEENS9_8equal_toIxEExEE10hipError_tPvRmT2_T3_T4_T5_mT6_T7_P12ihipStream_tbENKUlT_T0_E_clISt17integral_constantIbLb0EESY_IbLb1EEEEDaSU_SV_EUlSU_E_NS1_11comp_targetILNS1_3genE5ELNS1_11target_archE942ELNS1_3gpuE9ELNS1_3repE0EEENS1_30default_config_static_selectorELNS0_4arch9wavefront6targetE0EEEvT1_.has_recursion, 0
	.set _ZN7rocprim17ROCPRIM_400000_NS6detail17trampoline_kernelINS0_14default_configENS1_27scan_by_key_config_selectorIxxEEZZNS1_16scan_by_key_implILNS1_25lookback_scan_determinismE0ELb0ES3_N6thrust23THRUST_200600_302600_NS6detail15normal_iteratorINS9_10device_ptrIxEEEESE_SE_xNS9_10multipliesIxEENS9_8equal_toIxEExEE10hipError_tPvRmT2_T3_T4_T5_mT6_T7_P12ihipStream_tbENKUlT_T0_E_clISt17integral_constantIbLb0EESY_IbLb1EEEEDaSU_SV_EUlSU_E_NS1_11comp_targetILNS1_3genE5ELNS1_11target_archE942ELNS1_3gpuE9ELNS1_3repE0EEENS1_30default_config_static_selectorELNS0_4arch9wavefront6targetE0EEEvT1_.has_indirect_call, 0
	.section	.AMDGPU.csdata,"",@progbits
; Kernel info:
; codeLenInByte = 0
; TotalNumSgprs: 0
; NumVgprs: 0
; ScratchSize: 0
; MemoryBound: 0
; FloatMode: 240
; IeeeMode: 1
; LDSByteSize: 0 bytes/workgroup (compile time only)
; SGPRBlocks: 0
; VGPRBlocks: 0
; NumSGPRsForWavesPerEU: 1
; NumVGPRsForWavesPerEU: 1
; NamedBarCnt: 0
; Occupancy: 16
; WaveLimiterHint : 0
; COMPUTE_PGM_RSRC2:SCRATCH_EN: 0
; COMPUTE_PGM_RSRC2:USER_SGPR: 2
; COMPUTE_PGM_RSRC2:TRAP_HANDLER: 0
; COMPUTE_PGM_RSRC2:TGID_X_EN: 1
; COMPUTE_PGM_RSRC2:TGID_Y_EN: 0
; COMPUTE_PGM_RSRC2:TGID_Z_EN: 0
; COMPUTE_PGM_RSRC2:TIDIG_COMP_CNT: 0
	.section	.text._ZN7rocprim17ROCPRIM_400000_NS6detail17trampoline_kernelINS0_14default_configENS1_27scan_by_key_config_selectorIxxEEZZNS1_16scan_by_key_implILNS1_25lookback_scan_determinismE0ELb0ES3_N6thrust23THRUST_200600_302600_NS6detail15normal_iteratorINS9_10device_ptrIxEEEESE_SE_xNS9_10multipliesIxEENS9_8equal_toIxEExEE10hipError_tPvRmT2_T3_T4_T5_mT6_T7_P12ihipStream_tbENKUlT_T0_E_clISt17integral_constantIbLb0EESY_IbLb1EEEEDaSU_SV_EUlSU_E_NS1_11comp_targetILNS1_3genE4ELNS1_11target_archE910ELNS1_3gpuE8ELNS1_3repE0EEENS1_30default_config_static_selectorELNS0_4arch9wavefront6targetE0EEEvT1_,"axG",@progbits,_ZN7rocprim17ROCPRIM_400000_NS6detail17trampoline_kernelINS0_14default_configENS1_27scan_by_key_config_selectorIxxEEZZNS1_16scan_by_key_implILNS1_25lookback_scan_determinismE0ELb0ES3_N6thrust23THRUST_200600_302600_NS6detail15normal_iteratorINS9_10device_ptrIxEEEESE_SE_xNS9_10multipliesIxEENS9_8equal_toIxEExEE10hipError_tPvRmT2_T3_T4_T5_mT6_T7_P12ihipStream_tbENKUlT_T0_E_clISt17integral_constantIbLb0EESY_IbLb1EEEEDaSU_SV_EUlSU_E_NS1_11comp_targetILNS1_3genE4ELNS1_11target_archE910ELNS1_3gpuE8ELNS1_3repE0EEENS1_30default_config_static_selectorELNS0_4arch9wavefront6targetE0EEEvT1_,comdat
	.protected	_ZN7rocprim17ROCPRIM_400000_NS6detail17trampoline_kernelINS0_14default_configENS1_27scan_by_key_config_selectorIxxEEZZNS1_16scan_by_key_implILNS1_25lookback_scan_determinismE0ELb0ES3_N6thrust23THRUST_200600_302600_NS6detail15normal_iteratorINS9_10device_ptrIxEEEESE_SE_xNS9_10multipliesIxEENS9_8equal_toIxEExEE10hipError_tPvRmT2_T3_T4_T5_mT6_T7_P12ihipStream_tbENKUlT_T0_E_clISt17integral_constantIbLb0EESY_IbLb1EEEEDaSU_SV_EUlSU_E_NS1_11comp_targetILNS1_3genE4ELNS1_11target_archE910ELNS1_3gpuE8ELNS1_3repE0EEENS1_30default_config_static_selectorELNS0_4arch9wavefront6targetE0EEEvT1_ ; -- Begin function _ZN7rocprim17ROCPRIM_400000_NS6detail17trampoline_kernelINS0_14default_configENS1_27scan_by_key_config_selectorIxxEEZZNS1_16scan_by_key_implILNS1_25lookback_scan_determinismE0ELb0ES3_N6thrust23THRUST_200600_302600_NS6detail15normal_iteratorINS9_10device_ptrIxEEEESE_SE_xNS9_10multipliesIxEENS9_8equal_toIxEExEE10hipError_tPvRmT2_T3_T4_T5_mT6_T7_P12ihipStream_tbENKUlT_T0_E_clISt17integral_constantIbLb0EESY_IbLb1EEEEDaSU_SV_EUlSU_E_NS1_11comp_targetILNS1_3genE4ELNS1_11target_archE910ELNS1_3gpuE8ELNS1_3repE0EEENS1_30default_config_static_selectorELNS0_4arch9wavefront6targetE0EEEvT1_
	.globl	_ZN7rocprim17ROCPRIM_400000_NS6detail17trampoline_kernelINS0_14default_configENS1_27scan_by_key_config_selectorIxxEEZZNS1_16scan_by_key_implILNS1_25lookback_scan_determinismE0ELb0ES3_N6thrust23THRUST_200600_302600_NS6detail15normal_iteratorINS9_10device_ptrIxEEEESE_SE_xNS9_10multipliesIxEENS9_8equal_toIxEExEE10hipError_tPvRmT2_T3_T4_T5_mT6_T7_P12ihipStream_tbENKUlT_T0_E_clISt17integral_constantIbLb0EESY_IbLb1EEEEDaSU_SV_EUlSU_E_NS1_11comp_targetILNS1_3genE4ELNS1_11target_archE910ELNS1_3gpuE8ELNS1_3repE0EEENS1_30default_config_static_selectorELNS0_4arch9wavefront6targetE0EEEvT1_
	.p2align	8
	.type	_ZN7rocprim17ROCPRIM_400000_NS6detail17trampoline_kernelINS0_14default_configENS1_27scan_by_key_config_selectorIxxEEZZNS1_16scan_by_key_implILNS1_25lookback_scan_determinismE0ELb0ES3_N6thrust23THRUST_200600_302600_NS6detail15normal_iteratorINS9_10device_ptrIxEEEESE_SE_xNS9_10multipliesIxEENS9_8equal_toIxEExEE10hipError_tPvRmT2_T3_T4_T5_mT6_T7_P12ihipStream_tbENKUlT_T0_E_clISt17integral_constantIbLb0EESY_IbLb1EEEEDaSU_SV_EUlSU_E_NS1_11comp_targetILNS1_3genE4ELNS1_11target_archE910ELNS1_3gpuE8ELNS1_3repE0EEENS1_30default_config_static_selectorELNS0_4arch9wavefront6targetE0EEEvT1_,@function
_ZN7rocprim17ROCPRIM_400000_NS6detail17trampoline_kernelINS0_14default_configENS1_27scan_by_key_config_selectorIxxEEZZNS1_16scan_by_key_implILNS1_25lookback_scan_determinismE0ELb0ES3_N6thrust23THRUST_200600_302600_NS6detail15normal_iteratorINS9_10device_ptrIxEEEESE_SE_xNS9_10multipliesIxEENS9_8equal_toIxEExEE10hipError_tPvRmT2_T3_T4_T5_mT6_T7_P12ihipStream_tbENKUlT_T0_E_clISt17integral_constantIbLb0EESY_IbLb1EEEEDaSU_SV_EUlSU_E_NS1_11comp_targetILNS1_3genE4ELNS1_11target_archE910ELNS1_3gpuE8ELNS1_3repE0EEENS1_30default_config_static_selectorELNS0_4arch9wavefront6targetE0EEEvT1_: ; @_ZN7rocprim17ROCPRIM_400000_NS6detail17trampoline_kernelINS0_14default_configENS1_27scan_by_key_config_selectorIxxEEZZNS1_16scan_by_key_implILNS1_25lookback_scan_determinismE0ELb0ES3_N6thrust23THRUST_200600_302600_NS6detail15normal_iteratorINS9_10device_ptrIxEEEESE_SE_xNS9_10multipliesIxEENS9_8equal_toIxEExEE10hipError_tPvRmT2_T3_T4_T5_mT6_T7_P12ihipStream_tbENKUlT_T0_E_clISt17integral_constantIbLb0EESY_IbLb1EEEEDaSU_SV_EUlSU_E_NS1_11comp_targetILNS1_3genE4ELNS1_11target_archE910ELNS1_3gpuE8ELNS1_3repE0EEENS1_30default_config_static_selectorELNS0_4arch9wavefront6targetE0EEEvT1_
; %bb.0:
	.section	.rodata,"a",@progbits
	.p2align	6, 0x0
	.amdhsa_kernel _ZN7rocprim17ROCPRIM_400000_NS6detail17trampoline_kernelINS0_14default_configENS1_27scan_by_key_config_selectorIxxEEZZNS1_16scan_by_key_implILNS1_25lookback_scan_determinismE0ELb0ES3_N6thrust23THRUST_200600_302600_NS6detail15normal_iteratorINS9_10device_ptrIxEEEESE_SE_xNS9_10multipliesIxEENS9_8equal_toIxEExEE10hipError_tPvRmT2_T3_T4_T5_mT6_T7_P12ihipStream_tbENKUlT_T0_E_clISt17integral_constantIbLb0EESY_IbLb1EEEEDaSU_SV_EUlSU_E_NS1_11comp_targetILNS1_3genE4ELNS1_11target_archE910ELNS1_3gpuE8ELNS1_3repE0EEENS1_30default_config_static_selectorELNS0_4arch9wavefront6targetE0EEEvT1_
		.amdhsa_group_segment_fixed_size 0
		.amdhsa_private_segment_fixed_size 0
		.amdhsa_kernarg_size 136
		.amdhsa_user_sgpr_count 2
		.amdhsa_user_sgpr_dispatch_ptr 0
		.amdhsa_user_sgpr_queue_ptr 0
		.amdhsa_user_sgpr_kernarg_segment_ptr 1
		.amdhsa_user_sgpr_dispatch_id 0
		.amdhsa_user_sgpr_kernarg_preload_length 0
		.amdhsa_user_sgpr_kernarg_preload_offset 0
		.amdhsa_user_sgpr_private_segment_size 0
		.amdhsa_wavefront_size32 1
		.amdhsa_uses_dynamic_stack 0
		.amdhsa_enable_private_segment 0
		.amdhsa_system_sgpr_workgroup_id_x 1
		.amdhsa_system_sgpr_workgroup_id_y 0
		.amdhsa_system_sgpr_workgroup_id_z 0
		.amdhsa_system_sgpr_workgroup_info 0
		.amdhsa_system_vgpr_workitem_id 0
		.amdhsa_next_free_vgpr 1
		.amdhsa_next_free_sgpr 1
		.amdhsa_named_barrier_count 0
		.amdhsa_reserve_vcc 0
		.amdhsa_float_round_mode_32 0
		.amdhsa_float_round_mode_16_64 0
		.amdhsa_float_denorm_mode_32 3
		.amdhsa_float_denorm_mode_16_64 3
		.amdhsa_fp16_overflow 0
		.amdhsa_memory_ordered 1
		.amdhsa_forward_progress 1
		.amdhsa_inst_pref_size 0
		.amdhsa_round_robin_scheduling 0
		.amdhsa_exception_fp_ieee_invalid_op 0
		.amdhsa_exception_fp_denorm_src 0
		.amdhsa_exception_fp_ieee_div_zero 0
		.amdhsa_exception_fp_ieee_overflow 0
		.amdhsa_exception_fp_ieee_underflow 0
		.amdhsa_exception_fp_ieee_inexact 0
		.amdhsa_exception_int_div_zero 0
	.end_amdhsa_kernel
	.section	.text._ZN7rocprim17ROCPRIM_400000_NS6detail17trampoline_kernelINS0_14default_configENS1_27scan_by_key_config_selectorIxxEEZZNS1_16scan_by_key_implILNS1_25lookback_scan_determinismE0ELb0ES3_N6thrust23THRUST_200600_302600_NS6detail15normal_iteratorINS9_10device_ptrIxEEEESE_SE_xNS9_10multipliesIxEENS9_8equal_toIxEExEE10hipError_tPvRmT2_T3_T4_T5_mT6_T7_P12ihipStream_tbENKUlT_T0_E_clISt17integral_constantIbLb0EESY_IbLb1EEEEDaSU_SV_EUlSU_E_NS1_11comp_targetILNS1_3genE4ELNS1_11target_archE910ELNS1_3gpuE8ELNS1_3repE0EEENS1_30default_config_static_selectorELNS0_4arch9wavefront6targetE0EEEvT1_,"axG",@progbits,_ZN7rocprim17ROCPRIM_400000_NS6detail17trampoline_kernelINS0_14default_configENS1_27scan_by_key_config_selectorIxxEEZZNS1_16scan_by_key_implILNS1_25lookback_scan_determinismE0ELb0ES3_N6thrust23THRUST_200600_302600_NS6detail15normal_iteratorINS9_10device_ptrIxEEEESE_SE_xNS9_10multipliesIxEENS9_8equal_toIxEExEE10hipError_tPvRmT2_T3_T4_T5_mT6_T7_P12ihipStream_tbENKUlT_T0_E_clISt17integral_constantIbLb0EESY_IbLb1EEEEDaSU_SV_EUlSU_E_NS1_11comp_targetILNS1_3genE4ELNS1_11target_archE910ELNS1_3gpuE8ELNS1_3repE0EEENS1_30default_config_static_selectorELNS0_4arch9wavefront6targetE0EEEvT1_,comdat
.Lfunc_end77:
	.size	_ZN7rocprim17ROCPRIM_400000_NS6detail17trampoline_kernelINS0_14default_configENS1_27scan_by_key_config_selectorIxxEEZZNS1_16scan_by_key_implILNS1_25lookback_scan_determinismE0ELb0ES3_N6thrust23THRUST_200600_302600_NS6detail15normal_iteratorINS9_10device_ptrIxEEEESE_SE_xNS9_10multipliesIxEENS9_8equal_toIxEExEE10hipError_tPvRmT2_T3_T4_T5_mT6_T7_P12ihipStream_tbENKUlT_T0_E_clISt17integral_constantIbLb0EESY_IbLb1EEEEDaSU_SV_EUlSU_E_NS1_11comp_targetILNS1_3genE4ELNS1_11target_archE910ELNS1_3gpuE8ELNS1_3repE0EEENS1_30default_config_static_selectorELNS0_4arch9wavefront6targetE0EEEvT1_, .Lfunc_end77-_ZN7rocprim17ROCPRIM_400000_NS6detail17trampoline_kernelINS0_14default_configENS1_27scan_by_key_config_selectorIxxEEZZNS1_16scan_by_key_implILNS1_25lookback_scan_determinismE0ELb0ES3_N6thrust23THRUST_200600_302600_NS6detail15normal_iteratorINS9_10device_ptrIxEEEESE_SE_xNS9_10multipliesIxEENS9_8equal_toIxEExEE10hipError_tPvRmT2_T3_T4_T5_mT6_T7_P12ihipStream_tbENKUlT_T0_E_clISt17integral_constantIbLb0EESY_IbLb1EEEEDaSU_SV_EUlSU_E_NS1_11comp_targetILNS1_3genE4ELNS1_11target_archE910ELNS1_3gpuE8ELNS1_3repE0EEENS1_30default_config_static_selectorELNS0_4arch9wavefront6targetE0EEEvT1_
                                        ; -- End function
	.set _ZN7rocprim17ROCPRIM_400000_NS6detail17trampoline_kernelINS0_14default_configENS1_27scan_by_key_config_selectorIxxEEZZNS1_16scan_by_key_implILNS1_25lookback_scan_determinismE0ELb0ES3_N6thrust23THRUST_200600_302600_NS6detail15normal_iteratorINS9_10device_ptrIxEEEESE_SE_xNS9_10multipliesIxEENS9_8equal_toIxEExEE10hipError_tPvRmT2_T3_T4_T5_mT6_T7_P12ihipStream_tbENKUlT_T0_E_clISt17integral_constantIbLb0EESY_IbLb1EEEEDaSU_SV_EUlSU_E_NS1_11comp_targetILNS1_3genE4ELNS1_11target_archE910ELNS1_3gpuE8ELNS1_3repE0EEENS1_30default_config_static_selectorELNS0_4arch9wavefront6targetE0EEEvT1_.num_vgpr, 0
	.set _ZN7rocprim17ROCPRIM_400000_NS6detail17trampoline_kernelINS0_14default_configENS1_27scan_by_key_config_selectorIxxEEZZNS1_16scan_by_key_implILNS1_25lookback_scan_determinismE0ELb0ES3_N6thrust23THRUST_200600_302600_NS6detail15normal_iteratorINS9_10device_ptrIxEEEESE_SE_xNS9_10multipliesIxEENS9_8equal_toIxEExEE10hipError_tPvRmT2_T3_T4_T5_mT6_T7_P12ihipStream_tbENKUlT_T0_E_clISt17integral_constantIbLb0EESY_IbLb1EEEEDaSU_SV_EUlSU_E_NS1_11comp_targetILNS1_3genE4ELNS1_11target_archE910ELNS1_3gpuE8ELNS1_3repE0EEENS1_30default_config_static_selectorELNS0_4arch9wavefront6targetE0EEEvT1_.num_agpr, 0
	.set _ZN7rocprim17ROCPRIM_400000_NS6detail17trampoline_kernelINS0_14default_configENS1_27scan_by_key_config_selectorIxxEEZZNS1_16scan_by_key_implILNS1_25lookback_scan_determinismE0ELb0ES3_N6thrust23THRUST_200600_302600_NS6detail15normal_iteratorINS9_10device_ptrIxEEEESE_SE_xNS9_10multipliesIxEENS9_8equal_toIxEExEE10hipError_tPvRmT2_T3_T4_T5_mT6_T7_P12ihipStream_tbENKUlT_T0_E_clISt17integral_constantIbLb0EESY_IbLb1EEEEDaSU_SV_EUlSU_E_NS1_11comp_targetILNS1_3genE4ELNS1_11target_archE910ELNS1_3gpuE8ELNS1_3repE0EEENS1_30default_config_static_selectorELNS0_4arch9wavefront6targetE0EEEvT1_.numbered_sgpr, 0
	.set _ZN7rocprim17ROCPRIM_400000_NS6detail17trampoline_kernelINS0_14default_configENS1_27scan_by_key_config_selectorIxxEEZZNS1_16scan_by_key_implILNS1_25lookback_scan_determinismE0ELb0ES3_N6thrust23THRUST_200600_302600_NS6detail15normal_iteratorINS9_10device_ptrIxEEEESE_SE_xNS9_10multipliesIxEENS9_8equal_toIxEExEE10hipError_tPvRmT2_T3_T4_T5_mT6_T7_P12ihipStream_tbENKUlT_T0_E_clISt17integral_constantIbLb0EESY_IbLb1EEEEDaSU_SV_EUlSU_E_NS1_11comp_targetILNS1_3genE4ELNS1_11target_archE910ELNS1_3gpuE8ELNS1_3repE0EEENS1_30default_config_static_selectorELNS0_4arch9wavefront6targetE0EEEvT1_.num_named_barrier, 0
	.set _ZN7rocprim17ROCPRIM_400000_NS6detail17trampoline_kernelINS0_14default_configENS1_27scan_by_key_config_selectorIxxEEZZNS1_16scan_by_key_implILNS1_25lookback_scan_determinismE0ELb0ES3_N6thrust23THRUST_200600_302600_NS6detail15normal_iteratorINS9_10device_ptrIxEEEESE_SE_xNS9_10multipliesIxEENS9_8equal_toIxEExEE10hipError_tPvRmT2_T3_T4_T5_mT6_T7_P12ihipStream_tbENKUlT_T0_E_clISt17integral_constantIbLb0EESY_IbLb1EEEEDaSU_SV_EUlSU_E_NS1_11comp_targetILNS1_3genE4ELNS1_11target_archE910ELNS1_3gpuE8ELNS1_3repE0EEENS1_30default_config_static_selectorELNS0_4arch9wavefront6targetE0EEEvT1_.private_seg_size, 0
	.set _ZN7rocprim17ROCPRIM_400000_NS6detail17trampoline_kernelINS0_14default_configENS1_27scan_by_key_config_selectorIxxEEZZNS1_16scan_by_key_implILNS1_25lookback_scan_determinismE0ELb0ES3_N6thrust23THRUST_200600_302600_NS6detail15normal_iteratorINS9_10device_ptrIxEEEESE_SE_xNS9_10multipliesIxEENS9_8equal_toIxEExEE10hipError_tPvRmT2_T3_T4_T5_mT6_T7_P12ihipStream_tbENKUlT_T0_E_clISt17integral_constantIbLb0EESY_IbLb1EEEEDaSU_SV_EUlSU_E_NS1_11comp_targetILNS1_3genE4ELNS1_11target_archE910ELNS1_3gpuE8ELNS1_3repE0EEENS1_30default_config_static_selectorELNS0_4arch9wavefront6targetE0EEEvT1_.uses_vcc, 0
	.set _ZN7rocprim17ROCPRIM_400000_NS6detail17trampoline_kernelINS0_14default_configENS1_27scan_by_key_config_selectorIxxEEZZNS1_16scan_by_key_implILNS1_25lookback_scan_determinismE0ELb0ES3_N6thrust23THRUST_200600_302600_NS6detail15normal_iteratorINS9_10device_ptrIxEEEESE_SE_xNS9_10multipliesIxEENS9_8equal_toIxEExEE10hipError_tPvRmT2_T3_T4_T5_mT6_T7_P12ihipStream_tbENKUlT_T0_E_clISt17integral_constantIbLb0EESY_IbLb1EEEEDaSU_SV_EUlSU_E_NS1_11comp_targetILNS1_3genE4ELNS1_11target_archE910ELNS1_3gpuE8ELNS1_3repE0EEENS1_30default_config_static_selectorELNS0_4arch9wavefront6targetE0EEEvT1_.uses_flat_scratch, 0
	.set _ZN7rocprim17ROCPRIM_400000_NS6detail17trampoline_kernelINS0_14default_configENS1_27scan_by_key_config_selectorIxxEEZZNS1_16scan_by_key_implILNS1_25lookback_scan_determinismE0ELb0ES3_N6thrust23THRUST_200600_302600_NS6detail15normal_iteratorINS9_10device_ptrIxEEEESE_SE_xNS9_10multipliesIxEENS9_8equal_toIxEExEE10hipError_tPvRmT2_T3_T4_T5_mT6_T7_P12ihipStream_tbENKUlT_T0_E_clISt17integral_constantIbLb0EESY_IbLb1EEEEDaSU_SV_EUlSU_E_NS1_11comp_targetILNS1_3genE4ELNS1_11target_archE910ELNS1_3gpuE8ELNS1_3repE0EEENS1_30default_config_static_selectorELNS0_4arch9wavefront6targetE0EEEvT1_.has_dyn_sized_stack, 0
	.set _ZN7rocprim17ROCPRIM_400000_NS6detail17trampoline_kernelINS0_14default_configENS1_27scan_by_key_config_selectorIxxEEZZNS1_16scan_by_key_implILNS1_25lookback_scan_determinismE0ELb0ES3_N6thrust23THRUST_200600_302600_NS6detail15normal_iteratorINS9_10device_ptrIxEEEESE_SE_xNS9_10multipliesIxEENS9_8equal_toIxEExEE10hipError_tPvRmT2_T3_T4_T5_mT6_T7_P12ihipStream_tbENKUlT_T0_E_clISt17integral_constantIbLb0EESY_IbLb1EEEEDaSU_SV_EUlSU_E_NS1_11comp_targetILNS1_3genE4ELNS1_11target_archE910ELNS1_3gpuE8ELNS1_3repE0EEENS1_30default_config_static_selectorELNS0_4arch9wavefront6targetE0EEEvT1_.has_recursion, 0
	.set _ZN7rocprim17ROCPRIM_400000_NS6detail17trampoline_kernelINS0_14default_configENS1_27scan_by_key_config_selectorIxxEEZZNS1_16scan_by_key_implILNS1_25lookback_scan_determinismE0ELb0ES3_N6thrust23THRUST_200600_302600_NS6detail15normal_iteratorINS9_10device_ptrIxEEEESE_SE_xNS9_10multipliesIxEENS9_8equal_toIxEExEE10hipError_tPvRmT2_T3_T4_T5_mT6_T7_P12ihipStream_tbENKUlT_T0_E_clISt17integral_constantIbLb0EESY_IbLb1EEEEDaSU_SV_EUlSU_E_NS1_11comp_targetILNS1_3genE4ELNS1_11target_archE910ELNS1_3gpuE8ELNS1_3repE0EEENS1_30default_config_static_selectorELNS0_4arch9wavefront6targetE0EEEvT1_.has_indirect_call, 0
	.section	.AMDGPU.csdata,"",@progbits
; Kernel info:
; codeLenInByte = 0
; TotalNumSgprs: 0
; NumVgprs: 0
; ScratchSize: 0
; MemoryBound: 0
; FloatMode: 240
; IeeeMode: 1
; LDSByteSize: 0 bytes/workgroup (compile time only)
; SGPRBlocks: 0
; VGPRBlocks: 0
; NumSGPRsForWavesPerEU: 1
; NumVGPRsForWavesPerEU: 1
; NamedBarCnt: 0
; Occupancy: 16
; WaveLimiterHint : 0
; COMPUTE_PGM_RSRC2:SCRATCH_EN: 0
; COMPUTE_PGM_RSRC2:USER_SGPR: 2
; COMPUTE_PGM_RSRC2:TRAP_HANDLER: 0
; COMPUTE_PGM_RSRC2:TGID_X_EN: 1
; COMPUTE_PGM_RSRC2:TGID_Y_EN: 0
; COMPUTE_PGM_RSRC2:TGID_Z_EN: 0
; COMPUTE_PGM_RSRC2:TIDIG_COMP_CNT: 0
	.section	.text._ZN7rocprim17ROCPRIM_400000_NS6detail17trampoline_kernelINS0_14default_configENS1_27scan_by_key_config_selectorIxxEEZZNS1_16scan_by_key_implILNS1_25lookback_scan_determinismE0ELb0ES3_N6thrust23THRUST_200600_302600_NS6detail15normal_iteratorINS9_10device_ptrIxEEEESE_SE_xNS9_10multipliesIxEENS9_8equal_toIxEExEE10hipError_tPvRmT2_T3_T4_T5_mT6_T7_P12ihipStream_tbENKUlT_T0_E_clISt17integral_constantIbLb0EESY_IbLb1EEEEDaSU_SV_EUlSU_E_NS1_11comp_targetILNS1_3genE3ELNS1_11target_archE908ELNS1_3gpuE7ELNS1_3repE0EEENS1_30default_config_static_selectorELNS0_4arch9wavefront6targetE0EEEvT1_,"axG",@progbits,_ZN7rocprim17ROCPRIM_400000_NS6detail17trampoline_kernelINS0_14default_configENS1_27scan_by_key_config_selectorIxxEEZZNS1_16scan_by_key_implILNS1_25lookback_scan_determinismE0ELb0ES3_N6thrust23THRUST_200600_302600_NS6detail15normal_iteratorINS9_10device_ptrIxEEEESE_SE_xNS9_10multipliesIxEENS9_8equal_toIxEExEE10hipError_tPvRmT2_T3_T4_T5_mT6_T7_P12ihipStream_tbENKUlT_T0_E_clISt17integral_constantIbLb0EESY_IbLb1EEEEDaSU_SV_EUlSU_E_NS1_11comp_targetILNS1_3genE3ELNS1_11target_archE908ELNS1_3gpuE7ELNS1_3repE0EEENS1_30default_config_static_selectorELNS0_4arch9wavefront6targetE0EEEvT1_,comdat
	.protected	_ZN7rocprim17ROCPRIM_400000_NS6detail17trampoline_kernelINS0_14default_configENS1_27scan_by_key_config_selectorIxxEEZZNS1_16scan_by_key_implILNS1_25lookback_scan_determinismE0ELb0ES3_N6thrust23THRUST_200600_302600_NS6detail15normal_iteratorINS9_10device_ptrIxEEEESE_SE_xNS9_10multipliesIxEENS9_8equal_toIxEExEE10hipError_tPvRmT2_T3_T4_T5_mT6_T7_P12ihipStream_tbENKUlT_T0_E_clISt17integral_constantIbLb0EESY_IbLb1EEEEDaSU_SV_EUlSU_E_NS1_11comp_targetILNS1_3genE3ELNS1_11target_archE908ELNS1_3gpuE7ELNS1_3repE0EEENS1_30default_config_static_selectorELNS0_4arch9wavefront6targetE0EEEvT1_ ; -- Begin function _ZN7rocprim17ROCPRIM_400000_NS6detail17trampoline_kernelINS0_14default_configENS1_27scan_by_key_config_selectorIxxEEZZNS1_16scan_by_key_implILNS1_25lookback_scan_determinismE0ELb0ES3_N6thrust23THRUST_200600_302600_NS6detail15normal_iteratorINS9_10device_ptrIxEEEESE_SE_xNS9_10multipliesIxEENS9_8equal_toIxEExEE10hipError_tPvRmT2_T3_T4_T5_mT6_T7_P12ihipStream_tbENKUlT_T0_E_clISt17integral_constantIbLb0EESY_IbLb1EEEEDaSU_SV_EUlSU_E_NS1_11comp_targetILNS1_3genE3ELNS1_11target_archE908ELNS1_3gpuE7ELNS1_3repE0EEENS1_30default_config_static_selectorELNS0_4arch9wavefront6targetE0EEEvT1_
	.globl	_ZN7rocprim17ROCPRIM_400000_NS6detail17trampoline_kernelINS0_14default_configENS1_27scan_by_key_config_selectorIxxEEZZNS1_16scan_by_key_implILNS1_25lookback_scan_determinismE0ELb0ES3_N6thrust23THRUST_200600_302600_NS6detail15normal_iteratorINS9_10device_ptrIxEEEESE_SE_xNS9_10multipliesIxEENS9_8equal_toIxEExEE10hipError_tPvRmT2_T3_T4_T5_mT6_T7_P12ihipStream_tbENKUlT_T0_E_clISt17integral_constantIbLb0EESY_IbLb1EEEEDaSU_SV_EUlSU_E_NS1_11comp_targetILNS1_3genE3ELNS1_11target_archE908ELNS1_3gpuE7ELNS1_3repE0EEENS1_30default_config_static_selectorELNS0_4arch9wavefront6targetE0EEEvT1_
	.p2align	8
	.type	_ZN7rocprim17ROCPRIM_400000_NS6detail17trampoline_kernelINS0_14default_configENS1_27scan_by_key_config_selectorIxxEEZZNS1_16scan_by_key_implILNS1_25lookback_scan_determinismE0ELb0ES3_N6thrust23THRUST_200600_302600_NS6detail15normal_iteratorINS9_10device_ptrIxEEEESE_SE_xNS9_10multipliesIxEENS9_8equal_toIxEExEE10hipError_tPvRmT2_T3_T4_T5_mT6_T7_P12ihipStream_tbENKUlT_T0_E_clISt17integral_constantIbLb0EESY_IbLb1EEEEDaSU_SV_EUlSU_E_NS1_11comp_targetILNS1_3genE3ELNS1_11target_archE908ELNS1_3gpuE7ELNS1_3repE0EEENS1_30default_config_static_selectorELNS0_4arch9wavefront6targetE0EEEvT1_,@function
_ZN7rocprim17ROCPRIM_400000_NS6detail17trampoline_kernelINS0_14default_configENS1_27scan_by_key_config_selectorIxxEEZZNS1_16scan_by_key_implILNS1_25lookback_scan_determinismE0ELb0ES3_N6thrust23THRUST_200600_302600_NS6detail15normal_iteratorINS9_10device_ptrIxEEEESE_SE_xNS9_10multipliesIxEENS9_8equal_toIxEExEE10hipError_tPvRmT2_T3_T4_T5_mT6_T7_P12ihipStream_tbENKUlT_T0_E_clISt17integral_constantIbLb0EESY_IbLb1EEEEDaSU_SV_EUlSU_E_NS1_11comp_targetILNS1_3genE3ELNS1_11target_archE908ELNS1_3gpuE7ELNS1_3repE0EEENS1_30default_config_static_selectorELNS0_4arch9wavefront6targetE0EEEvT1_: ; @_ZN7rocprim17ROCPRIM_400000_NS6detail17trampoline_kernelINS0_14default_configENS1_27scan_by_key_config_selectorIxxEEZZNS1_16scan_by_key_implILNS1_25lookback_scan_determinismE0ELb0ES3_N6thrust23THRUST_200600_302600_NS6detail15normal_iteratorINS9_10device_ptrIxEEEESE_SE_xNS9_10multipliesIxEENS9_8equal_toIxEExEE10hipError_tPvRmT2_T3_T4_T5_mT6_T7_P12ihipStream_tbENKUlT_T0_E_clISt17integral_constantIbLb0EESY_IbLb1EEEEDaSU_SV_EUlSU_E_NS1_11comp_targetILNS1_3genE3ELNS1_11target_archE908ELNS1_3gpuE7ELNS1_3repE0EEENS1_30default_config_static_selectorELNS0_4arch9wavefront6targetE0EEEvT1_
; %bb.0:
	.section	.rodata,"a",@progbits
	.p2align	6, 0x0
	.amdhsa_kernel _ZN7rocprim17ROCPRIM_400000_NS6detail17trampoline_kernelINS0_14default_configENS1_27scan_by_key_config_selectorIxxEEZZNS1_16scan_by_key_implILNS1_25lookback_scan_determinismE0ELb0ES3_N6thrust23THRUST_200600_302600_NS6detail15normal_iteratorINS9_10device_ptrIxEEEESE_SE_xNS9_10multipliesIxEENS9_8equal_toIxEExEE10hipError_tPvRmT2_T3_T4_T5_mT6_T7_P12ihipStream_tbENKUlT_T0_E_clISt17integral_constantIbLb0EESY_IbLb1EEEEDaSU_SV_EUlSU_E_NS1_11comp_targetILNS1_3genE3ELNS1_11target_archE908ELNS1_3gpuE7ELNS1_3repE0EEENS1_30default_config_static_selectorELNS0_4arch9wavefront6targetE0EEEvT1_
		.amdhsa_group_segment_fixed_size 0
		.amdhsa_private_segment_fixed_size 0
		.amdhsa_kernarg_size 136
		.amdhsa_user_sgpr_count 2
		.amdhsa_user_sgpr_dispatch_ptr 0
		.amdhsa_user_sgpr_queue_ptr 0
		.amdhsa_user_sgpr_kernarg_segment_ptr 1
		.amdhsa_user_sgpr_dispatch_id 0
		.amdhsa_user_sgpr_kernarg_preload_length 0
		.amdhsa_user_sgpr_kernarg_preload_offset 0
		.amdhsa_user_sgpr_private_segment_size 0
		.amdhsa_wavefront_size32 1
		.amdhsa_uses_dynamic_stack 0
		.amdhsa_enable_private_segment 0
		.amdhsa_system_sgpr_workgroup_id_x 1
		.amdhsa_system_sgpr_workgroup_id_y 0
		.amdhsa_system_sgpr_workgroup_id_z 0
		.amdhsa_system_sgpr_workgroup_info 0
		.amdhsa_system_vgpr_workitem_id 0
		.amdhsa_next_free_vgpr 1
		.amdhsa_next_free_sgpr 1
		.amdhsa_named_barrier_count 0
		.amdhsa_reserve_vcc 0
		.amdhsa_float_round_mode_32 0
		.amdhsa_float_round_mode_16_64 0
		.amdhsa_float_denorm_mode_32 3
		.amdhsa_float_denorm_mode_16_64 3
		.amdhsa_fp16_overflow 0
		.amdhsa_memory_ordered 1
		.amdhsa_forward_progress 1
		.amdhsa_inst_pref_size 0
		.amdhsa_round_robin_scheduling 0
		.amdhsa_exception_fp_ieee_invalid_op 0
		.amdhsa_exception_fp_denorm_src 0
		.amdhsa_exception_fp_ieee_div_zero 0
		.amdhsa_exception_fp_ieee_overflow 0
		.amdhsa_exception_fp_ieee_underflow 0
		.amdhsa_exception_fp_ieee_inexact 0
		.amdhsa_exception_int_div_zero 0
	.end_amdhsa_kernel
	.section	.text._ZN7rocprim17ROCPRIM_400000_NS6detail17trampoline_kernelINS0_14default_configENS1_27scan_by_key_config_selectorIxxEEZZNS1_16scan_by_key_implILNS1_25lookback_scan_determinismE0ELb0ES3_N6thrust23THRUST_200600_302600_NS6detail15normal_iteratorINS9_10device_ptrIxEEEESE_SE_xNS9_10multipliesIxEENS9_8equal_toIxEExEE10hipError_tPvRmT2_T3_T4_T5_mT6_T7_P12ihipStream_tbENKUlT_T0_E_clISt17integral_constantIbLb0EESY_IbLb1EEEEDaSU_SV_EUlSU_E_NS1_11comp_targetILNS1_3genE3ELNS1_11target_archE908ELNS1_3gpuE7ELNS1_3repE0EEENS1_30default_config_static_selectorELNS0_4arch9wavefront6targetE0EEEvT1_,"axG",@progbits,_ZN7rocprim17ROCPRIM_400000_NS6detail17trampoline_kernelINS0_14default_configENS1_27scan_by_key_config_selectorIxxEEZZNS1_16scan_by_key_implILNS1_25lookback_scan_determinismE0ELb0ES3_N6thrust23THRUST_200600_302600_NS6detail15normal_iteratorINS9_10device_ptrIxEEEESE_SE_xNS9_10multipliesIxEENS9_8equal_toIxEExEE10hipError_tPvRmT2_T3_T4_T5_mT6_T7_P12ihipStream_tbENKUlT_T0_E_clISt17integral_constantIbLb0EESY_IbLb1EEEEDaSU_SV_EUlSU_E_NS1_11comp_targetILNS1_3genE3ELNS1_11target_archE908ELNS1_3gpuE7ELNS1_3repE0EEENS1_30default_config_static_selectorELNS0_4arch9wavefront6targetE0EEEvT1_,comdat
.Lfunc_end78:
	.size	_ZN7rocprim17ROCPRIM_400000_NS6detail17trampoline_kernelINS0_14default_configENS1_27scan_by_key_config_selectorIxxEEZZNS1_16scan_by_key_implILNS1_25lookback_scan_determinismE0ELb0ES3_N6thrust23THRUST_200600_302600_NS6detail15normal_iteratorINS9_10device_ptrIxEEEESE_SE_xNS9_10multipliesIxEENS9_8equal_toIxEExEE10hipError_tPvRmT2_T3_T4_T5_mT6_T7_P12ihipStream_tbENKUlT_T0_E_clISt17integral_constantIbLb0EESY_IbLb1EEEEDaSU_SV_EUlSU_E_NS1_11comp_targetILNS1_3genE3ELNS1_11target_archE908ELNS1_3gpuE7ELNS1_3repE0EEENS1_30default_config_static_selectorELNS0_4arch9wavefront6targetE0EEEvT1_, .Lfunc_end78-_ZN7rocprim17ROCPRIM_400000_NS6detail17trampoline_kernelINS0_14default_configENS1_27scan_by_key_config_selectorIxxEEZZNS1_16scan_by_key_implILNS1_25lookback_scan_determinismE0ELb0ES3_N6thrust23THRUST_200600_302600_NS6detail15normal_iteratorINS9_10device_ptrIxEEEESE_SE_xNS9_10multipliesIxEENS9_8equal_toIxEExEE10hipError_tPvRmT2_T3_T4_T5_mT6_T7_P12ihipStream_tbENKUlT_T0_E_clISt17integral_constantIbLb0EESY_IbLb1EEEEDaSU_SV_EUlSU_E_NS1_11comp_targetILNS1_3genE3ELNS1_11target_archE908ELNS1_3gpuE7ELNS1_3repE0EEENS1_30default_config_static_selectorELNS0_4arch9wavefront6targetE0EEEvT1_
                                        ; -- End function
	.set _ZN7rocprim17ROCPRIM_400000_NS6detail17trampoline_kernelINS0_14default_configENS1_27scan_by_key_config_selectorIxxEEZZNS1_16scan_by_key_implILNS1_25lookback_scan_determinismE0ELb0ES3_N6thrust23THRUST_200600_302600_NS6detail15normal_iteratorINS9_10device_ptrIxEEEESE_SE_xNS9_10multipliesIxEENS9_8equal_toIxEExEE10hipError_tPvRmT2_T3_T4_T5_mT6_T7_P12ihipStream_tbENKUlT_T0_E_clISt17integral_constantIbLb0EESY_IbLb1EEEEDaSU_SV_EUlSU_E_NS1_11comp_targetILNS1_3genE3ELNS1_11target_archE908ELNS1_3gpuE7ELNS1_3repE0EEENS1_30default_config_static_selectorELNS0_4arch9wavefront6targetE0EEEvT1_.num_vgpr, 0
	.set _ZN7rocprim17ROCPRIM_400000_NS6detail17trampoline_kernelINS0_14default_configENS1_27scan_by_key_config_selectorIxxEEZZNS1_16scan_by_key_implILNS1_25lookback_scan_determinismE0ELb0ES3_N6thrust23THRUST_200600_302600_NS6detail15normal_iteratorINS9_10device_ptrIxEEEESE_SE_xNS9_10multipliesIxEENS9_8equal_toIxEExEE10hipError_tPvRmT2_T3_T4_T5_mT6_T7_P12ihipStream_tbENKUlT_T0_E_clISt17integral_constantIbLb0EESY_IbLb1EEEEDaSU_SV_EUlSU_E_NS1_11comp_targetILNS1_3genE3ELNS1_11target_archE908ELNS1_3gpuE7ELNS1_3repE0EEENS1_30default_config_static_selectorELNS0_4arch9wavefront6targetE0EEEvT1_.num_agpr, 0
	.set _ZN7rocprim17ROCPRIM_400000_NS6detail17trampoline_kernelINS0_14default_configENS1_27scan_by_key_config_selectorIxxEEZZNS1_16scan_by_key_implILNS1_25lookback_scan_determinismE0ELb0ES3_N6thrust23THRUST_200600_302600_NS6detail15normal_iteratorINS9_10device_ptrIxEEEESE_SE_xNS9_10multipliesIxEENS9_8equal_toIxEExEE10hipError_tPvRmT2_T3_T4_T5_mT6_T7_P12ihipStream_tbENKUlT_T0_E_clISt17integral_constantIbLb0EESY_IbLb1EEEEDaSU_SV_EUlSU_E_NS1_11comp_targetILNS1_3genE3ELNS1_11target_archE908ELNS1_3gpuE7ELNS1_3repE0EEENS1_30default_config_static_selectorELNS0_4arch9wavefront6targetE0EEEvT1_.numbered_sgpr, 0
	.set _ZN7rocprim17ROCPRIM_400000_NS6detail17trampoline_kernelINS0_14default_configENS1_27scan_by_key_config_selectorIxxEEZZNS1_16scan_by_key_implILNS1_25lookback_scan_determinismE0ELb0ES3_N6thrust23THRUST_200600_302600_NS6detail15normal_iteratorINS9_10device_ptrIxEEEESE_SE_xNS9_10multipliesIxEENS9_8equal_toIxEExEE10hipError_tPvRmT2_T3_T4_T5_mT6_T7_P12ihipStream_tbENKUlT_T0_E_clISt17integral_constantIbLb0EESY_IbLb1EEEEDaSU_SV_EUlSU_E_NS1_11comp_targetILNS1_3genE3ELNS1_11target_archE908ELNS1_3gpuE7ELNS1_3repE0EEENS1_30default_config_static_selectorELNS0_4arch9wavefront6targetE0EEEvT1_.num_named_barrier, 0
	.set _ZN7rocprim17ROCPRIM_400000_NS6detail17trampoline_kernelINS0_14default_configENS1_27scan_by_key_config_selectorIxxEEZZNS1_16scan_by_key_implILNS1_25lookback_scan_determinismE0ELb0ES3_N6thrust23THRUST_200600_302600_NS6detail15normal_iteratorINS9_10device_ptrIxEEEESE_SE_xNS9_10multipliesIxEENS9_8equal_toIxEExEE10hipError_tPvRmT2_T3_T4_T5_mT6_T7_P12ihipStream_tbENKUlT_T0_E_clISt17integral_constantIbLb0EESY_IbLb1EEEEDaSU_SV_EUlSU_E_NS1_11comp_targetILNS1_3genE3ELNS1_11target_archE908ELNS1_3gpuE7ELNS1_3repE0EEENS1_30default_config_static_selectorELNS0_4arch9wavefront6targetE0EEEvT1_.private_seg_size, 0
	.set _ZN7rocprim17ROCPRIM_400000_NS6detail17trampoline_kernelINS0_14default_configENS1_27scan_by_key_config_selectorIxxEEZZNS1_16scan_by_key_implILNS1_25lookback_scan_determinismE0ELb0ES3_N6thrust23THRUST_200600_302600_NS6detail15normal_iteratorINS9_10device_ptrIxEEEESE_SE_xNS9_10multipliesIxEENS9_8equal_toIxEExEE10hipError_tPvRmT2_T3_T4_T5_mT6_T7_P12ihipStream_tbENKUlT_T0_E_clISt17integral_constantIbLb0EESY_IbLb1EEEEDaSU_SV_EUlSU_E_NS1_11comp_targetILNS1_3genE3ELNS1_11target_archE908ELNS1_3gpuE7ELNS1_3repE0EEENS1_30default_config_static_selectorELNS0_4arch9wavefront6targetE0EEEvT1_.uses_vcc, 0
	.set _ZN7rocprim17ROCPRIM_400000_NS6detail17trampoline_kernelINS0_14default_configENS1_27scan_by_key_config_selectorIxxEEZZNS1_16scan_by_key_implILNS1_25lookback_scan_determinismE0ELb0ES3_N6thrust23THRUST_200600_302600_NS6detail15normal_iteratorINS9_10device_ptrIxEEEESE_SE_xNS9_10multipliesIxEENS9_8equal_toIxEExEE10hipError_tPvRmT2_T3_T4_T5_mT6_T7_P12ihipStream_tbENKUlT_T0_E_clISt17integral_constantIbLb0EESY_IbLb1EEEEDaSU_SV_EUlSU_E_NS1_11comp_targetILNS1_3genE3ELNS1_11target_archE908ELNS1_3gpuE7ELNS1_3repE0EEENS1_30default_config_static_selectorELNS0_4arch9wavefront6targetE0EEEvT1_.uses_flat_scratch, 0
	.set _ZN7rocprim17ROCPRIM_400000_NS6detail17trampoline_kernelINS0_14default_configENS1_27scan_by_key_config_selectorIxxEEZZNS1_16scan_by_key_implILNS1_25lookback_scan_determinismE0ELb0ES3_N6thrust23THRUST_200600_302600_NS6detail15normal_iteratorINS9_10device_ptrIxEEEESE_SE_xNS9_10multipliesIxEENS9_8equal_toIxEExEE10hipError_tPvRmT2_T3_T4_T5_mT6_T7_P12ihipStream_tbENKUlT_T0_E_clISt17integral_constantIbLb0EESY_IbLb1EEEEDaSU_SV_EUlSU_E_NS1_11comp_targetILNS1_3genE3ELNS1_11target_archE908ELNS1_3gpuE7ELNS1_3repE0EEENS1_30default_config_static_selectorELNS0_4arch9wavefront6targetE0EEEvT1_.has_dyn_sized_stack, 0
	.set _ZN7rocprim17ROCPRIM_400000_NS6detail17trampoline_kernelINS0_14default_configENS1_27scan_by_key_config_selectorIxxEEZZNS1_16scan_by_key_implILNS1_25lookback_scan_determinismE0ELb0ES3_N6thrust23THRUST_200600_302600_NS6detail15normal_iteratorINS9_10device_ptrIxEEEESE_SE_xNS9_10multipliesIxEENS9_8equal_toIxEExEE10hipError_tPvRmT2_T3_T4_T5_mT6_T7_P12ihipStream_tbENKUlT_T0_E_clISt17integral_constantIbLb0EESY_IbLb1EEEEDaSU_SV_EUlSU_E_NS1_11comp_targetILNS1_3genE3ELNS1_11target_archE908ELNS1_3gpuE7ELNS1_3repE0EEENS1_30default_config_static_selectorELNS0_4arch9wavefront6targetE0EEEvT1_.has_recursion, 0
	.set _ZN7rocprim17ROCPRIM_400000_NS6detail17trampoline_kernelINS0_14default_configENS1_27scan_by_key_config_selectorIxxEEZZNS1_16scan_by_key_implILNS1_25lookback_scan_determinismE0ELb0ES3_N6thrust23THRUST_200600_302600_NS6detail15normal_iteratorINS9_10device_ptrIxEEEESE_SE_xNS9_10multipliesIxEENS9_8equal_toIxEExEE10hipError_tPvRmT2_T3_T4_T5_mT6_T7_P12ihipStream_tbENKUlT_T0_E_clISt17integral_constantIbLb0EESY_IbLb1EEEEDaSU_SV_EUlSU_E_NS1_11comp_targetILNS1_3genE3ELNS1_11target_archE908ELNS1_3gpuE7ELNS1_3repE0EEENS1_30default_config_static_selectorELNS0_4arch9wavefront6targetE0EEEvT1_.has_indirect_call, 0
	.section	.AMDGPU.csdata,"",@progbits
; Kernel info:
; codeLenInByte = 0
; TotalNumSgprs: 0
; NumVgprs: 0
; ScratchSize: 0
; MemoryBound: 0
; FloatMode: 240
; IeeeMode: 1
; LDSByteSize: 0 bytes/workgroup (compile time only)
; SGPRBlocks: 0
; VGPRBlocks: 0
; NumSGPRsForWavesPerEU: 1
; NumVGPRsForWavesPerEU: 1
; NamedBarCnt: 0
; Occupancy: 16
; WaveLimiterHint : 0
; COMPUTE_PGM_RSRC2:SCRATCH_EN: 0
; COMPUTE_PGM_RSRC2:USER_SGPR: 2
; COMPUTE_PGM_RSRC2:TRAP_HANDLER: 0
; COMPUTE_PGM_RSRC2:TGID_X_EN: 1
; COMPUTE_PGM_RSRC2:TGID_Y_EN: 0
; COMPUTE_PGM_RSRC2:TGID_Z_EN: 0
; COMPUTE_PGM_RSRC2:TIDIG_COMP_CNT: 0
	.section	.text._ZN7rocprim17ROCPRIM_400000_NS6detail17trampoline_kernelINS0_14default_configENS1_27scan_by_key_config_selectorIxxEEZZNS1_16scan_by_key_implILNS1_25lookback_scan_determinismE0ELb0ES3_N6thrust23THRUST_200600_302600_NS6detail15normal_iteratorINS9_10device_ptrIxEEEESE_SE_xNS9_10multipliesIxEENS9_8equal_toIxEExEE10hipError_tPvRmT2_T3_T4_T5_mT6_T7_P12ihipStream_tbENKUlT_T0_E_clISt17integral_constantIbLb0EESY_IbLb1EEEEDaSU_SV_EUlSU_E_NS1_11comp_targetILNS1_3genE2ELNS1_11target_archE906ELNS1_3gpuE6ELNS1_3repE0EEENS1_30default_config_static_selectorELNS0_4arch9wavefront6targetE0EEEvT1_,"axG",@progbits,_ZN7rocprim17ROCPRIM_400000_NS6detail17trampoline_kernelINS0_14default_configENS1_27scan_by_key_config_selectorIxxEEZZNS1_16scan_by_key_implILNS1_25lookback_scan_determinismE0ELb0ES3_N6thrust23THRUST_200600_302600_NS6detail15normal_iteratorINS9_10device_ptrIxEEEESE_SE_xNS9_10multipliesIxEENS9_8equal_toIxEExEE10hipError_tPvRmT2_T3_T4_T5_mT6_T7_P12ihipStream_tbENKUlT_T0_E_clISt17integral_constantIbLb0EESY_IbLb1EEEEDaSU_SV_EUlSU_E_NS1_11comp_targetILNS1_3genE2ELNS1_11target_archE906ELNS1_3gpuE6ELNS1_3repE0EEENS1_30default_config_static_selectorELNS0_4arch9wavefront6targetE0EEEvT1_,comdat
	.protected	_ZN7rocprim17ROCPRIM_400000_NS6detail17trampoline_kernelINS0_14default_configENS1_27scan_by_key_config_selectorIxxEEZZNS1_16scan_by_key_implILNS1_25lookback_scan_determinismE0ELb0ES3_N6thrust23THRUST_200600_302600_NS6detail15normal_iteratorINS9_10device_ptrIxEEEESE_SE_xNS9_10multipliesIxEENS9_8equal_toIxEExEE10hipError_tPvRmT2_T3_T4_T5_mT6_T7_P12ihipStream_tbENKUlT_T0_E_clISt17integral_constantIbLb0EESY_IbLb1EEEEDaSU_SV_EUlSU_E_NS1_11comp_targetILNS1_3genE2ELNS1_11target_archE906ELNS1_3gpuE6ELNS1_3repE0EEENS1_30default_config_static_selectorELNS0_4arch9wavefront6targetE0EEEvT1_ ; -- Begin function _ZN7rocprim17ROCPRIM_400000_NS6detail17trampoline_kernelINS0_14default_configENS1_27scan_by_key_config_selectorIxxEEZZNS1_16scan_by_key_implILNS1_25lookback_scan_determinismE0ELb0ES3_N6thrust23THRUST_200600_302600_NS6detail15normal_iteratorINS9_10device_ptrIxEEEESE_SE_xNS9_10multipliesIxEENS9_8equal_toIxEExEE10hipError_tPvRmT2_T3_T4_T5_mT6_T7_P12ihipStream_tbENKUlT_T0_E_clISt17integral_constantIbLb0EESY_IbLb1EEEEDaSU_SV_EUlSU_E_NS1_11comp_targetILNS1_3genE2ELNS1_11target_archE906ELNS1_3gpuE6ELNS1_3repE0EEENS1_30default_config_static_selectorELNS0_4arch9wavefront6targetE0EEEvT1_
	.globl	_ZN7rocprim17ROCPRIM_400000_NS6detail17trampoline_kernelINS0_14default_configENS1_27scan_by_key_config_selectorIxxEEZZNS1_16scan_by_key_implILNS1_25lookback_scan_determinismE0ELb0ES3_N6thrust23THRUST_200600_302600_NS6detail15normal_iteratorINS9_10device_ptrIxEEEESE_SE_xNS9_10multipliesIxEENS9_8equal_toIxEExEE10hipError_tPvRmT2_T3_T4_T5_mT6_T7_P12ihipStream_tbENKUlT_T0_E_clISt17integral_constantIbLb0EESY_IbLb1EEEEDaSU_SV_EUlSU_E_NS1_11comp_targetILNS1_3genE2ELNS1_11target_archE906ELNS1_3gpuE6ELNS1_3repE0EEENS1_30default_config_static_selectorELNS0_4arch9wavefront6targetE0EEEvT1_
	.p2align	8
	.type	_ZN7rocprim17ROCPRIM_400000_NS6detail17trampoline_kernelINS0_14default_configENS1_27scan_by_key_config_selectorIxxEEZZNS1_16scan_by_key_implILNS1_25lookback_scan_determinismE0ELb0ES3_N6thrust23THRUST_200600_302600_NS6detail15normal_iteratorINS9_10device_ptrIxEEEESE_SE_xNS9_10multipliesIxEENS9_8equal_toIxEExEE10hipError_tPvRmT2_T3_T4_T5_mT6_T7_P12ihipStream_tbENKUlT_T0_E_clISt17integral_constantIbLb0EESY_IbLb1EEEEDaSU_SV_EUlSU_E_NS1_11comp_targetILNS1_3genE2ELNS1_11target_archE906ELNS1_3gpuE6ELNS1_3repE0EEENS1_30default_config_static_selectorELNS0_4arch9wavefront6targetE0EEEvT1_,@function
_ZN7rocprim17ROCPRIM_400000_NS6detail17trampoline_kernelINS0_14default_configENS1_27scan_by_key_config_selectorIxxEEZZNS1_16scan_by_key_implILNS1_25lookback_scan_determinismE0ELb0ES3_N6thrust23THRUST_200600_302600_NS6detail15normal_iteratorINS9_10device_ptrIxEEEESE_SE_xNS9_10multipliesIxEENS9_8equal_toIxEExEE10hipError_tPvRmT2_T3_T4_T5_mT6_T7_P12ihipStream_tbENKUlT_T0_E_clISt17integral_constantIbLb0EESY_IbLb1EEEEDaSU_SV_EUlSU_E_NS1_11comp_targetILNS1_3genE2ELNS1_11target_archE906ELNS1_3gpuE6ELNS1_3repE0EEENS1_30default_config_static_selectorELNS0_4arch9wavefront6targetE0EEEvT1_: ; @_ZN7rocprim17ROCPRIM_400000_NS6detail17trampoline_kernelINS0_14default_configENS1_27scan_by_key_config_selectorIxxEEZZNS1_16scan_by_key_implILNS1_25lookback_scan_determinismE0ELb0ES3_N6thrust23THRUST_200600_302600_NS6detail15normal_iteratorINS9_10device_ptrIxEEEESE_SE_xNS9_10multipliesIxEENS9_8equal_toIxEExEE10hipError_tPvRmT2_T3_T4_T5_mT6_T7_P12ihipStream_tbENKUlT_T0_E_clISt17integral_constantIbLb0EESY_IbLb1EEEEDaSU_SV_EUlSU_E_NS1_11comp_targetILNS1_3genE2ELNS1_11target_archE906ELNS1_3gpuE6ELNS1_3repE0EEENS1_30default_config_static_selectorELNS0_4arch9wavefront6targetE0EEEvT1_
; %bb.0:
	.section	.rodata,"a",@progbits
	.p2align	6, 0x0
	.amdhsa_kernel _ZN7rocprim17ROCPRIM_400000_NS6detail17trampoline_kernelINS0_14default_configENS1_27scan_by_key_config_selectorIxxEEZZNS1_16scan_by_key_implILNS1_25lookback_scan_determinismE0ELb0ES3_N6thrust23THRUST_200600_302600_NS6detail15normal_iteratorINS9_10device_ptrIxEEEESE_SE_xNS9_10multipliesIxEENS9_8equal_toIxEExEE10hipError_tPvRmT2_T3_T4_T5_mT6_T7_P12ihipStream_tbENKUlT_T0_E_clISt17integral_constantIbLb0EESY_IbLb1EEEEDaSU_SV_EUlSU_E_NS1_11comp_targetILNS1_3genE2ELNS1_11target_archE906ELNS1_3gpuE6ELNS1_3repE0EEENS1_30default_config_static_selectorELNS0_4arch9wavefront6targetE0EEEvT1_
		.amdhsa_group_segment_fixed_size 0
		.amdhsa_private_segment_fixed_size 0
		.amdhsa_kernarg_size 136
		.amdhsa_user_sgpr_count 2
		.amdhsa_user_sgpr_dispatch_ptr 0
		.amdhsa_user_sgpr_queue_ptr 0
		.amdhsa_user_sgpr_kernarg_segment_ptr 1
		.amdhsa_user_sgpr_dispatch_id 0
		.amdhsa_user_sgpr_kernarg_preload_length 0
		.amdhsa_user_sgpr_kernarg_preload_offset 0
		.amdhsa_user_sgpr_private_segment_size 0
		.amdhsa_wavefront_size32 1
		.amdhsa_uses_dynamic_stack 0
		.amdhsa_enable_private_segment 0
		.amdhsa_system_sgpr_workgroup_id_x 1
		.amdhsa_system_sgpr_workgroup_id_y 0
		.amdhsa_system_sgpr_workgroup_id_z 0
		.amdhsa_system_sgpr_workgroup_info 0
		.amdhsa_system_vgpr_workitem_id 0
		.amdhsa_next_free_vgpr 1
		.amdhsa_next_free_sgpr 1
		.amdhsa_named_barrier_count 0
		.amdhsa_reserve_vcc 0
		.amdhsa_float_round_mode_32 0
		.amdhsa_float_round_mode_16_64 0
		.amdhsa_float_denorm_mode_32 3
		.amdhsa_float_denorm_mode_16_64 3
		.amdhsa_fp16_overflow 0
		.amdhsa_memory_ordered 1
		.amdhsa_forward_progress 1
		.amdhsa_inst_pref_size 0
		.amdhsa_round_robin_scheduling 0
		.amdhsa_exception_fp_ieee_invalid_op 0
		.amdhsa_exception_fp_denorm_src 0
		.amdhsa_exception_fp_ieee_div_zero 0
		.amdhsa_exception_fp_ieee_overflow 0
		.amdhsa_exception_fp_ieee_underflow 0
		.amdhsa_exception_fp_ieee_inexact 0
		.amdhsa_exception_int_div_zero 0
	.end_amdhsa_kernel
	.section	.text._ZN7rocprim17ROCPRIM_400000_NS6detail17trampoline_kernelINS0_14default_configENS1_27scan_by_key_config_selectorIxxEEZZNS1_16scan_by_key_implILNS1_25lookback_scan_determinismE0ELb0ES3_N6thrust23THRUST_200600_302600_NS6detail15normal_iteratorINS9_10device_ptrIxEEEESE_SE_xNS9_10multipliesIxEENS9_8equal_toIxEExEE10hipError_tPvRmT2_T3_T4_T5_mT6_T7_P12ihipStream_tbENKUlT_T0_E_clISt17integral_constantIbLb0EESY_IbLb1EEEEDaSU_SV_EUlSU_E_NS1_11comp_targetILNS1_3genE2ELNS1_11target_archE906ELNS1_3gpuE6ELNS1_3repE0EEENS1_30default_config_static_selectorELNS0_4arch9wavefront6targetE0EEEvT1_,"axG",@progbits,_ZN7rocprim17ROCPRIM_400000_NS6detail17trampoline_kernelINS0_14default_configENS1_27scan_by_key_config_selectorIxxEEZZNS1_16scan_by_key_implILNS1_25lookback_scan_determinismE0ELb0ES3_N6thrust23THRUST_200600_302600_NS6detail15normal_iteratorINS9_10device_ptrIxEEEESE_SE_xNS9_10multipliesIxEENS9_8equal_toIxEExEE10hipError_tPvRmT2_T3_T4_T5_mT6_T7_P12ihipStream_tbENKUlT_T0_E_clISt17integral_constantIbLb0EESY_IbLb1EEEEDaSU_SV_EUlSU_E_NS1_11comp_targetILNS1_3genE2ELNS1_11target_archE906ELNS1_3gpuE6ELNS1_3repE0EEENS1_30default_config_static_selectorELNS0_4arch9wavefront6targetE0EEEvT1_,comdat
.Lfunc_end79:
	.size	_ZN7rocprim17ROCPRIM_400000_NS6detail17trampoline_kernelINS0_14default_configENS1_27scan_by_key_config_selectorIxxEEZZNS1_16scan_by_key_implILNS1_25lookback_scan_determinismE0ELb0ES3_N6thrust23THRUST_200600_302600_NS6detail15normal_iteratorINS9_10device_ptrIxEEEESE_SE_xNS9_10multipliesIxEENS9_8equal_toIxEExEE10hipError_tPvRmT2_T3_T4_T5_mT6_T7_P12ihipStream_tbENKUlT_T0_E_clISt17integral_constantIbLb0EESY_IbLb1EEEEDaSU_SV_EUlSU_E_NS1_11comp_targetILNS1_3genE2ELNS1_11target_archE906ELNS1_3gpuE6ELNS1_3repE0EEENS1_30default_config_static_selectorELNS0_4arch9wavefront6targetE0EEEvT1_, .Lfunc_end79-_ZN7rocprim17ROCPRIM_400000_NS6detail17trampoline_kernelINS0_14default_configENS1_27scan_by_key_config_selectorIxxEEZZNS1_16scan_by_key_implILNS1_25lookback_scan_determinismE0ELb0ES3_N6thrust23THRUST_200600_302600_NS6detail15normal_iteratorINS9_10device_ptrIxEEEESE_SE_xNS9_10multipliesIxEENS9_8equal_toIxEExEE10hipError_tPvRmT2_T3_T4_T5_mT6_T7_P12ihipStream_tbENKUlT_T0_E_clISt17integral_constantIbLb0EESY_IbLb1EEEEDaSU_SV_EUlSU_E_NS1_11comp_targetILNS1_3genE2ELNS1_11target_archE906ELNS1_3gpuE6ELNS1_3repE0EEENS1_30default_config_static_selectorELNS0_4arch9wavefront6targetE0EEEvT1_
                                        ; -- End function
	.set _ZN7rocprim17ROCPRIM_400000_NS6detail17trampoline_kernelINS0_14default_configENS1_27scan_by_key_config_selectorIxxEEZZNS1_16scan_by_key_implILNS1_25lookback_scan_determinismE0ELb0ES3_N6thrust23THRUST_200600_302600_NS6detail15normal_iteratorINS9_10device_ptrIxEEEESE_SE_xNS9_10multipliesIxEENS9_8equal_toIxEExEE10hipError_tPvRmT2_T3_T4_T5_mT6_T7_P12ihipStream_tbENKUlT_T0_E_clISt17integral_constantIbLb0EESY_IbLb1EEEEDaSU_SV_EUlSU_E_NS1_11comp_targetILNS1_3genE2ELNS1_11target_archE906ELNS1_3gpuE6ELNS1_3repE0EEENS1_30default_config_static_selectorELNS0_4arch9wavefront6targetE0EEEvT1_.num_vgpr, 0
	.set _ZN7rocprim17ROCPRIM_400000_NS6detail17trampoline_kernelINS0_14default_configENS1_27scan_by_key_config_selectorIxxEEZZNS1_16scan_by_key_implILNS1_25lookback_scan_determinismE0ELb0ES3_N6thrust23THRUST_200600_302600_NS6detail15normal_iteratorINS9_10device_ptrIxEEEESE_SE_xNS9_10multipliesIxEENS9_8equal_toIxEExEE10hipError_tPvRmT2_T3_T4_T5_mT6_T7_P12ihipStream_tbENKUlT_T0_E_clISt17integral_constantIbLb0EESY_IbLb1EEEEDaSU_SV_EUlSU_E_NS1_11comp_targetILNS1_3genE2ELNS1_11target_archE906ELNS1_3gpuE6ELNS1_3repE0EEENS1_30default_config_static_selectorELNS0_4arch9wavefront6targetE0EEEvT1_.num_agpr, 0
	.set _ZN7rocprim17ROCPRIM_400000_NS6detail17trampoline_kernelINS0_14default_configENS1_27scan_by_key_config_selectorIxxEEZZNS1_16scan_by_key_implILNS1_25lookback_scan_determinismE0ELb0ES3_N6thrust23THRUST_200600_302600_NS6detail15normal_iteratorINS9_10device_ptrIxEEEESE_SE_xNS9_10multipliesIxEENS9_8equal_toIxEExEE10hipError_tPvRmT2_T3_T4_T5_mT6_T7_P12ihipStream_tbENKUlT_T0_E_clISt17integral_constantIbLb0EESY_IbLb1EEEEDaSU_SV_EUlSU_E_NS1_11comp_targetILNS1_3genE2ELNS1_11target_archE906ELNS1_3gpuE6ELNS1_3repE0EEENS1_30default_config_static_selectorELNS0_4arch9wavefront6targetE0EEEvT1_.numbered_sgpr, 0
	.set _ZN7rocprim17ROCPRIM_400000_NS6detail17trampoline_kernelINS0_14default_configENS1_27scan_by_key_config_selectorIxxEEZZNS1_16scan_by_key_implILNS1_25lookback_scan_determinismE0ELb0ES3_N6thrust23THRUST_200600_302600_NS6detail15normal_iteratorINS9_10device_ptrIxEEEESE_SE_xNS9_10multipliesIxEENS9_8equal_toIxEExEE10hipError_tPvRmT2_T3_T4_T5_mT6_T7_P12ihipStream_tbENKUlT_T0_E_clISt17integral_constantIbLb0EESY_IbLb1EEEEDaSU_SV_EUlSU_E_NS1_11comp_targetILNS1_3genE2ELNS1_11target_archE906ELNS1_3gpuE6ELNS1_3repE0EEENS1_30default_config_static_selectorELNS0_4arch9wavefront6targetE0EEEvT1_.num_named_barrier, 0
	.set _ZN7rocprim17ROCPRIM_400000_NS6detail17trampoline_kernelINS0_14default_configENS1_27scan_by_key_config_selectorIxxEEZZNS1_16scan_by_key_implILNS1_25lookback_scan_determinismE0ELb0ES3_N6thrust23THRUST_200600_302600_NS6detail15normal_iteratorINS9_10device_ptrIxEEEESE_SE_xNS9_10multipliesIxEENS9_8equal_toIxEExEE10hipError_tPvRmT2_T3_T4_T5_mT6_T7_P12ihipStream_tbENKUlT_T0_E_clISt17integral_constantIbLb0EESY_IbLb1EEEEDaSU_SV_EUlSU_E_NS1_11comp_targetILNS1_3genE2ELNS1_11target_archE906ELNS1_3gpuE6ELNS1_3repE0EEENS1_30default_config_static_selectorELNS0_4arch9wavefront6targetE0EEEvT1_.private_seg_size, 0
	.set _ZN7rocprim17ROCPRIM_400000_NS6detail17trampoline_kernelINS0_14default_configENS1_27scan_by_key_config_selectorIxxEEZZNS1_16scan_by_key_implILNS1_25lookback_scan_determinismE0ELb0ES3_N6thrust23THRUST_200600_302600_NS6detail15normal_iteratorINS9_10device_ptrIxEEEESE_SE_xNS9_10multipliesIxEENS9_8equal_toIxEExEE10hipError_tPvRmT2_T3_T4_T5_mT6_T7_P12ihipStream_tbENKUlT_T0_E_clISt17integral_constantIbLb0EESY_IbLb1EEEEDaSU_SV_EUlSU_E_NS1_11comp_targetILNS1_3genE2ELNS1_11target_archE906ELNS1_3gpuE6ELNS1_3repE0EEENS1_30default_config_static_selectorELNS0_4arch9wavefront6targetE0EEEvT1_.uses_vcc, 0
	.set _ZN7rocprim17ROCPRIM_400000_NS6detail17trampoline_kernelINS0_14default_configENS1_27scan_by_key_config_selectorIxxEEZZNS1_16scan_by_key_implILNS1_25lookback_scan_determinismE0ELb0ES3_N6thrust23THRUST_200600_302600_NS6detail15normal_iteratorINS9_10device_ptrIxEEEESE_SE_xNS9_10multipliesIxEENS9_8equal_toIxEExEE10hipError_tPvRmT2_T3_T4_T5_mT6_T7_P12ihipStream_tbENKUlT_T0_E_clISt17integral_constantIbLb0EESY_IbLb1EEEEDaSU_SV_EUlSU_E_NS1_11comp_targetILNS1_3genE2ELNS1_11target_archE906ELNS1_3gpuE6ELNS1_3repE0EEENS1_30default_config_static_selectorELNS0_4arch9wavefront6targetE0EEEvT1_.uses_flat_scratch, 0
	.set _ZN7rocprim17ROCPRIM_400000_NS6detail17trampoline_kernelINS0_14default_configENS1_27scan_by_key_config_selectorIxxEEZZNS1_16scan_by_key_implILNS1_25lookback_scan_determinismE0ELb0ES3_N6thrust23THRUST_200600_302600_NS6detail15normal_iteratorINS9_10device_ptrIxEEEESE_SE_xNS9_10multipliesIxEENS9_8equal_toIxEExEE10hipError_tPvRmT2_T3_T4_T5_mT6_T7_P12ihipStream_tbENKUlT_T0_E_clISt17integral_constantIbLb0EESY_IbLb1EEEEDaSU_SV_EUlSU_E_NS1_11comp_targetILNS1_3genE2ELNS1_11target_archE906ELNS1_3gpuE6ELNS1_3repE0EEENS1_30default_config_static_selectorELNS0_4arch9wavefront6targetE0EEEvT1_.has_dyn_sized_stack, 0
	.set _ZN7rocprim17ROCPRIM_400000_NS6detail17trampoline_kernelINS0_14default_configENS1_27scan_by_key_config_selectorIxxEEZZNS1_16scan_by_key_implILNS1_25lookback_scan_determinismE0ELb0ES3_N6thrust23THRUST_200600_302600_NS6detail15normal_iteratorINS9_10device_ptrIxEEEESE_SE_xNS9_10multipliesIxEENS9_8equal_toIxEExEE10hipError_tPvRmT2_T3_T4_T5_mT6_T7_P12ihipStream_tbENKUlT_T0_E_clISt17integral_constantIbLb0EESY_IbLb1EEEEDaSU_SV_EUlSU_E_NS1_11comp_targetILNS1_3genE2ELNS1_11target_archE906ELNS1_3gpuE6ELNS1_3repE0EEENS1_30default_config_static_selectorELNS0_4arch9wavefront6targetE0EEEvT1_.has_recursion, 0
	.set _ZN7rocprim17ROCPRIM_400000_NS6detail17trampoline_kernelINS0_14default_configENS1_27scan_by_key_config_selectorIxxEEZZNS1_16scan_by_key_implILNS1_25lookback_scan_determinismE0ELb0ES3_N6thrust23THRUST_200600_302600_NS6detail15normal_iteratorINS9_10device_ptrIxEEEESE_SE_xNS9_10multipliesIxEENS9_8equal_toIxEExEE10hipError_tPvRmT2_T3_T4_T5_mT6_T7_P12ihipStream_tbENKUlT_T0_E_clISt17integral_constantIbLb0EESY_IbLb1EEEEDaSU_SV_EUlSU_E_NS1_11comp_targetILNS1_3genE2ELNS1_11target_archE906ELNS1_3gpuE6ELNS1_3repE0EEENS1_30default_config_static_selectorELNS0_4arch9wavefront6targetE0EEEvT1_.has_indirect_call, 0
	.section	.AMDGPU.csdata,"",@progbits
; Kernel info:
; codeLenInByte = 0
; TotalNumSgprs: 0
; NumVgprs: 0
; ScratchSize: 0
; MemoryBound: 0
; FloatMode: 240
; IeeeMode: 1
; LDSByteSize: 0 bytes/workgroup (compile time only)
; SGPRBlocks: 0
; VGPRBlocks: 0
; NumSGPRsForWavesPerEU: 1
; NumVGPRsForWavesPerEU: 1
; NamedBarCnt: 0
; Occupancy: 16
; WaveLimiterHint : 0
; COMPUTE_PGM_RSRC2:SCRATCH_EN: 0
; COMPUTE_PGM_RSRC2:USER_SGPR: 2
; COMPUTE_PGM_RSRC2:TRAP_HANDLER: 0
; COMPUTE_PGM_RSRC2:TGID_X_EN: 1
; COMPUTE_PGM_RSRC2:TGID_Y_EN: 0
; COMPUTE_PGM_RSRC2:TGID_Z_EN: 0
; COMPUTE_PGM_RSRC2:TIDIG_COMP_CNT: 0
	.section	.text._ZN7rocprim17ROCPRIM_400000_NS6detail17trampoline_kernelINS0_14default_configENS1_27scan_by_key_config_selectorIxxEEZZNS1_16scan_by_key_implILNS1_25lookback_scan_determinismE0ELb0ES3_N6thrust23THRUST_200600_302600_NS6detail15normal_iteratorINS9_10device_ptrIxEEEESE_SE_xNS9_10multipliesIxEENS9_8equal_toIxEExEE10hipError_tPvRmT2_T3_T4_T5_mT6_T7_P12ihipStream_tbENKUlT_T0_E_clISt17integral_constantIbLb0EESY_IbLb1EEEEDaSU_SV_EUlSU_E_NS1_11comp_targetILNS1_3genE10ELNS1_11target_archE1200ELNS1_3gpuE4ELNS1_3repE0EEENS1_30default_config_static_selectorELNS0_4arch9wavefront6targetE0EEEvT1_,"axG",@progbits,_ZN7rocprim17ROCPRIM_400000_NS6detail17trampoline_kernelINS0_14default_configENS1_27scan_by_key_config_selectorIxxEEZZNS1_16scan_by_key_implILNS1_25lookback_scan_determinismE0ELb0ES3_N6thrust23THRUST_200600_302600_NS6detail15normal_iteratorINS9_10device_ptrIxEEEESE_SE_xNS9_10multipliesIxEENS9_8equal_toIxEExEE10hipError_tPvRmT2_T3_T4_T5_mT6_T7_P12ihipStream_tbENKUlT_T0_E_clISt17integral_constantIbLb0EESY_IbLb1EEEEDaSU_SV_EUlSU_E_NS1_11comp_targetILNS1_3genE10ELNS1_11target_archE1200ELNS1_3gpuE4ELNS1_3repE0EEENS1_30default_config_static_selectorELNS0_4arch9wavefront6targetE0EEEvT1_,comdat
	.protected	_ZN7rocprim17ROCPRIM_400000_NS6detail17trampoline_kernelINS0_14default_configENS1_27scan_by_key_config_selectorIxxEEZZNS1_16scan_by_key_implILNS1_25lookback_scan_determinismE0ELb0ES3_N6thrust23THRUST_200600_302600_NS6detail15normal_iteratorINS9_10device_ptrIxEEEESE_SE_xNS9_10multipliesIxEENS9_8equal_toIxEExEE10hipError_tPvRmT2_T3_T4_T5_mT6_T7_P12ihipStream_tbENKUlT_T0_E_clISt17integral_constantIbLb0EESY_IbLb1EEEEDaSU_SV_EUlSU_E_NS1_11comp_targetILNS1_3genE10ELNS1_11target_archE1200ELNS1_3gpuE4ELNS1_3repE0EEENS1_30default_config_static_selectorELNS0_4arch9wavefront6targetE0EEEvT1_ ; -- Begin function _ZN7rocprim17ROCPRIM_400000_NS6detail17trampoline_kernelINS0_14default_configENS1_27scan_by_key_config_selectorIxxEEZZNS1_16scan_by_key_implILNS1_25lookback_scan_determinismE0ELb0ES3_N6thrust23THRUST_200600_302600_NS6detail15normal_iteratorINS9_10device_ptrIxEEEESE_SE_xNS9_10multipliesIxEENS9_8equal_toIxEExEE10hipError_tPvRmT2_T3_T4_T5_mT6_T7_P12ihipStream_tbENKUlT_T0_E_clISt17integral_constantIbLb0EESY_IbLb1EEEEDaSU_SV_EUlSU_E_NS1_11comp_targetILNS1_3genE10ELNS1_11target_archE1200ELNS1_3gpuE4ELNS1_3repE0EEENS1_30default_config_static_selectorELNS0_4arch9wavefront6targetE0EEEvT1_
	.globl	_ZN7rocprim17ROCPRIM_400000_NS6detail17trampoline_kernelINS0_14default_configENS1_27scan_by_key_config_selectorIxxEEZZNS1_16scan_by_key_implILNS1_25lookback_scan_determinismE0ELb0ES3_N6thrust23THRUST_200600_302600_NS6detail15normal_iteratorINS9_10device_ptrIxEEEESE_SE_xNS9_10multipliesIxEENS9_8equal_toIxEExEE10hipError_tPvRmT2_T3_T4_T5_mT6_T7_P12ihipStream_tbENKUlT_T0_E_clISt17integral_constantIbLb0EESY_IbLb1EEEEDaSU_SV_EUlSU_E_NS1_11comp_targetILNS1_3genE10ELNS1_11target_archE1200ELNS1_3gpuE4ELNS1_3repE0EEENS1_30default_config_static_selectorELNS0_4arch9wavefront6targetE0EEEvT1_
	.p2align	8
	.type	_ZN7rocprim17ROCPRIM_400000_NS6detail17trampoline_kernelINS0_14default_configENS1_27scan_by_key_config_selectorIxxEEZZNS1_16scan_by_key_implILNS1_25lookback_scan_determinismE0ELb0ES3_N6thrust23THRUST_200600_302600_NS6detail15normal_iteratorINS9_10device_ptrIxEEEESE_SE_xNS9_10multipliesIxEENS9_8equal_toIxEExEE10hipError_tPvRmT2_T3_T4_T5_mT6_T7_P12ihipStream_tbENKUlT_T0_E_clISt17integral_constantIbLb0EESY_IbLb1EEEEDaSU_SV_EUlSU_E_NS1_11comp_targetILNS1_3genE10ELNS1_11target_archE1200ELNS1_3gpuE4ELNS1_3repE0EEENS1_30default_config_static_selectorELNS0_4arch9wavefront6targetE0EEEvT1_,@function
_ZN7rocprim17ROCPRIM_400000_NS6detail17trampoline_kernelINS0_14default_configENS1_27scan_by_key_config_selectorIxxEEZZNS1_16scan_by_key_implILNS1_25lookback_scan_determinismE0ELb0ES3_N6thrust23THRUST_200600_302600_NS6detail15normal_iteratorINS9_10device_ptrIxEEEESE_SE_xNS9_10multipliesIxEENS9_8equal_toIxEExEE10hipError_tPvRmT2_T3_T4_T5_mT6_T7_P12ihipStream_tbENKUlT_T0_E_clISt17integral_constantIbLb0EESY_IbLb1EEEEDaSU_SV_EUlSU_E_NS1_11comp_targetILNS1_3genE10ELNS1_11target_archE1200ELNS1_3gpuE4ELNS1_3repE0EEENS1_30default_config_static_selectorELNS0_4arch9wavefront6targetE0EEEvT1_: ; @_ZN7rocprim17ROCPRIM_400000_NS6detail17trampoline_kernelINS0_14default_configENS1_27scan_by_key_config_selectorIxxEEZZNS1_16scan_by_key_implILNS1_25lookback_scan_determinismE0ELb0ES3_N6thrust23THRUST_200600_302600_NS6detail15normal_iteratorINS9_10device_ptrIxEEEESE_SE_xNS9_10multipliesIxEENS9_8equal_toIxEExEE10hipError_tPvRmT2_T3_T4_T5_mT6_T7_P12ihipStream_tbENKUlT_T0_E_clISt17integral_constantIbLb0EESY_IbLb1EEEEDaSU_SV_EUlSU_E_NS1_11comp_targetILNS1_3genE10ELNS1_11target_archE1200ELNS1_3gpuE4ELNS1_3repE0EEENS1_30default_config_static_selectorELNS0_4arch9wavefront6targetE0EEEvT1_
; %bb.0:
	.section	.rodata,"a",@progbits
	.p2align	6, 0x0
	.amdhsa_kernel _ZN7rocprim17ROCPRIM_400000_NS6detail17trampoline_kernelINS0_14default_configENS1_27scan_by_key_config_selectorIxxEEZZNS1_16scan_by_key_implILNS1_25lookback_scan_determinismE0ELb0ES3_N6thrust23THRUST_200600_302600_NS6detail15normal_iteratorINS9_10device_ptrIxEEEESE_SE_xNS9_10multipliesIxEENS9_8equal_toIxEExEE10hipError_tPvRmT2_T3_T4_T5_mT6_T7_P12ihipStream_tbENKUlT_T0_E_clISt17integral_constantIbLb0EESY_IbLb1EEEEDaSU_SV_EUlSU_E_NS1_11comp_targetILNS1_3genE10ELNS1_11target_archE1200ELNS1_3gpuE4ELNS1_3repE0EEENS1_30default_config_static_selectorELNS0_4arch9wavefront6targetE0EEEvT1_
		.amdhsa_group_segment_fixed_size 0
		.amdhsa_private_segment_fixed_size 0
		.amdhsa_kernarg_size 136
		.amdhsa_user_sgpr_count 2
		.amdhsa_user_sgpr_dispatch_ptr 0
		.amdhsa_user_sgpr_queue_ptr 0
		.amdhsa_user_sgpr_kernarg_segment_ptr 1
		.amdhsa_user_sgpr_dispatch_id 0
		.amdhsa_user_sgpr_kernarg_preload_length 0
		.amdhsa_user_sgpr_kernarg_preload_offset 0
		.amdhsa_user_sgpr_private_segment_size 0
		.amdhsa_wavefront_size32 1
		.amdhsa_uses_dynamic_stack 0
		.amdhsa_enable_private_segment 0
		.amdhsa_system_sgpr_workgroup_id_x 1
		.amdhsa_system_sgpr_workgroup_id_y 0
		.amdhsa_system_sgpr_workgroup_id_z 0
		.amdhsa_system_sgpr_workgroup_info 0
		.amdhsa_system_vgpr_workitem_id 0
		.amdhsa_next_free_vgpr 1
		.amdhsa_next_free_sgpr 1
		.amdhsa_named_barrier_count 0
		.amdhsa_reserve_vcc 0
		.amdhsa_float_round_mode_32 0
		.amdhsa_float_round_mode_16_64 0
		.amdhsa_float_denorm_mode_32 3
		.amdhsa_float_denorm_mode_16_64 3
		.amdhsa_fp16_overflow 0
		.amdhsa_memory_ordered 1
		.amdhsa_forward_progress 1
		.amdhsa_inst_pref_size 0
		.amdhsa_round_robin_scheduling 0
		.amdhsa_exception_fp_ieee_invalid_op 0
		.amdhsa_exception_fp_denorm_src 0
		.amdhsa_exception_fp_ieee_div_zero 0
		.amdhsa_exception_fp_ieee_overflow 0
		.amdhsa_exception_fp_ieee_underflow 0
		.amdhsa_exception_fp_ieee_inexact 0
		.amdhsa_exception_int_div_zero 0
	.end_amdhsa_kernel
	.section	.text._ZN7rocprim17ROCPRIM_400000_NS6detail17trampoline_kernelINS0_14default_configENS1_27scan_by_key_config_selectorIxxEEZZNS1_16scan_by_key_implILNS1_25lookback_scan_determinismE0ELb0ES3_N6thrust23THRUST_200600_302600_NS6detail15normal_iteratorINS9_10device_ptrIxEEEESE_SE_xNS9_10multipliesIxEENS9_8equal_toIxEExEE10hipError_tPvRmT2_T3_T4_T5_mT6_T7_P12ihipStream_tbENKUlT_T0_E_clISt17integral_constantIbLb0EESY_IbLb1EEEEDaSU_SV_EUlSU_E_NS1_11comp_targetILNS1_3genE10ELNS1_11target_archE1200ELNS1_3gpuE4ELNS1_3repE0EEENS1_30default_config_static_selectorELNS0_4arch9wavefront6targetE0EEEvT1_,"axG",@progbits,_ZN7rocprim17ROCPRIM_400000_NS6detail17trampoline_kernelINS0_14default_configENS1_27scan_by_key_config_selectorIxxEEZZNS1_16scan_by_key_implILNS1_25lookback_scan_determinismE0ELb0ES3_N6thrust23THRUST_200600_302600_NS6detail15normal_iteratorINS9_10device_ptrIxEEEESE_SE_xNS9_10multipliesIxEENS9_8equal_toIxEExEE10hipError_tPvRmT2_T3_T4_T5_mT6_T7_P12ihipStream_tbENKUlT_T0_E_clISt17integral_constantIbLb0EESY_IbLb1EEEEDaSU_SV_EUlSU_E_NS1_11comp_targetILNS1_3genE10ELNS1_11target_archE1200ELNS1_3gpuE4ELNS1_3repE0EEENS1_30default_config_static_selectorELNS0_4arch9wavefront6targetE0EEEvT1_,comdat
.Lfunc_end80:
	.size	_ZN7rocprim17ROCPRIM_400000_NS6detail17trampoline_kernelINS0_14default_configENS1_27scan_by_key_config_selectorIxxEEZZNS1_16scan_by_key_implILNS1_25lookback_scan_determinismE0ELb0ES3_N6thrust23THRUST_200600_302600_NS6detail15normal_iteratorINS9_10device_ptrIxEEEESE_SE_xNS9_10multipliesIxEENS9_8equal_toIxEExEE10hipError_tPvRmT2_T3_T4_T5_mT6_T7_P12ihipStream_tbENKUlT_T0_E_clISt17integral_constantIbLb0EESY_IbLb1EEEEDaSU_SV_EUlSU_E_NS1_11comp_targetILNS1_3genE10ELNS1_11target_archE1200ELNS1_3gpuE4ELNS1_3repE0EEENS1_30default_config_static_selectorELNS0_4arch9wavefront6targetE0EEEvT1_, .Lfunc_end80-_ZN7rocprim17ROCPRIM_400000_NS6detail17trampoline_kernelINS0_14default_configENS1_27scan_by_key_config_selectorIxxEEZZNS1_16scan_by_key_implILNS1_25lookback_scan_determinismE0ELb0ES3_N6thrust23THRUST_200600_302600_NS6detail15normal_iteratorINS9_10device_ptrIxEEEESE_SE_xNS9_10multipliesIxEENS9_8equal_toIxEExEE10hipError_tPvRmT2_T3_T4_T5_mT6_T7_P12ihipStream_tbENKUlT_T0_E_clISt17integral_constantIbLb0EESY_IbLb1EEEEDaSU_SV_EUlSU_E_NS1_11comp_targetILNS1_3genE10ELNS1_11target_archE1200ELNS1_3gpuE4ELNS1_3repE0EEENS1_30default_config_static_selectorELNS0_4arch9wavefront6targetE0EEEvT1_
                                        ; -- End function
	.set _ZN7rocprim17ROCPRIM_400000_NS6detail17trampoline_kernelINS0_14default_configENS1_27scan_by_key_config_selectorIxxEEZZNS1_16scan_by_key_implILNS1_25lookback_scan_determinismE0ELb0ES3_N6thrust23THRUST_200600_302600_NS6detail15normal_iteratorINS9_10device_ptrIxEEEESE_SE_xNS9_10multipliesIxEENS9_8equal_toIxEExEE10hipError_tPvRmT2_T3_T4_T5_mT6_T7_P12ihipStream_tbENKUlT_T0_E_clISt17integral_constantIbLb0EESY_IbLb1EEEEDaSU_SV_EUlSU_E_NS1_11comp_targetILNS1_3genE10ELNS1_11target_archE1200ELNS1_3gpuE4ELNS1_3repE0EEENS1_30default_config_static_selectorELNS0_4arch9wavefront6targetE0EEEvT1_.num_vgpr, 0
	.set _ZN7rocprim17ROCPRIM_400000_NS6detail17trampoline_kernelINS0_14default_configENS1_27scan_by_key_config_selectorIxxEEZZNS1_16scan_by_key_implILNS1_25lookback_scan_determinismE0ELb0ES3_N6thrust23THRUST_200600_302600_NS6detail15normal_iteratorINS9_10device_ptrIxEEEESE_SE_xNS9_10multipliesIxEENS9_8equal_toIxEExEE10hipError_tPvRmT2_T3_T4_T5_mT6_T7_P12ihipStream_tbENKUlT_T0_E_clISt17integral_constantIbLb0EESY_IbLb1EEEEDaSU_SV_EUlSU_E_NS1_11comp_targetILNS1_3genE10ELNS1_11target_archE1200ELNS1_3gpuE4ELNS1_3repE0EEENS1_30default_config_static_selectorELNS0_4arch9wavefront6targetE0EEEvT1_.num_agpr, 0
	.set _ZN7rocprim17ROCPRIM_400000_NS6detail17trampoline_kernelINS0_14default_configENS1_27scan_by_key_config_selectorIxxEEZZNS1_16scan_by_key_implILNS1_25lookback_scan_determinismE0ELb0ES3_N6thrust23THRUST_200600_302600_NS6detail15normal_iteratorINS9_10device_ptrIxEEEESE_SE_xNS9_10multipliesIxEENS9_8equal_toIxEExEE10hipError_tPvRmT2_T3_T4_T5_mT6_T7_P12ihipStream_tbENKUlT_T0_E_clISt17integral_constantIbLb0EESY_IbLb1EEEEDaSU_SV_EUlSU_E_NS1_11comp_targetILNS1_3genE10ELNS1_11target_archE1200ELNS1_3gpuE4ELNS1_3repE0EEENS1_30default_config_static_selectorELNS0_4arch9wavefront6targetE0EEEvT1_.numbered_sgpr, 0
	.set _ZN7rocprim17ROCPRIM_400000_NS6detail17trampoline_kernelINS0_14default_configENS1_27scan_by_key_config_selectorIxxEEZZNS1_16scan_by_key_implILNS1_25lookback_scan_determinismE0ELb0ES3_N6thrust23THRUST_200600_302600_NS6detail15normal_iteratorINS9_10device_ptrIxEEEESE_SE_xNS9_10multipliesIxEENS9_8equal_toIxEExEE10hipError_tPvRmT2_T3_T4_T5_mT6_T7_P12ihipStream_tbENKUlT_T0_E_clISt17integral_constantIbLb0EESY_IbLb1EEEEDaSU_SV_EUlSU_E_NS1_11comp_targetILNS1_3genE10ELNS1_11target_archE1200ELNS1_3gpuE4ELNS1_3repE0EEENS1_30default_config_static_selectorELNS0_4arch9wavefront6targetE0EEEvT1_.num_named_barrier, 0
	.set _ZN7rocprim17ROCPRIM_400000_NS6detail17trampoline_kernelINS0_14default_configENS1_27scan_by_key_config_selectorIxxEEZZNS1_16scan_by_key_implILNS1_25lookback_scan_determinismE0ELb0ES3_N6thrust23THRUST_200600_302600_NS6detail15normal_iteratorINS9_10device_ptrIxEEEESE_SE_xNS9_10multipliesIxEENS9_8equal_toIxEExEE10hipError_tPvRmT2_T3_T4_T5_mT6_T7_P12ihipStream_tbENKUlT_T0_E_clISt17integral_constantIbLb0EESY_IbLb1EEEEDaSU_SV_EUlSU_E_NS1_11comp_targetILNS1_3genE10ELNS1_11target_archE1200ELNS1_3gpuE4ELNS1_3repE0EEENS1_30default_config_static_selectorELNS0_4arch9wavefront6targetE0EEEvT1_.private_seg_size, 0
	.set _ZN7rocprim17ROCPRIM_400000_NS6detail17trampoline_kernelINS0_14default_configENS1_27scan_by_key_config_selectorIxxEEZZNS1_16scan_by_key_implILNS1_25lookback_scan_determinismE0ELb0ES3_N6thrust23THRUST_200600_302600_NS6detail15normal_iteratorINS9_10device_ptrIxEEEESE_SE_xNS9_10multipliesIxEENS9_8equal_toIxEExEE10hipError_tPvRmT2_T3_T4_T5_mT6_T7_P12ihipStream_tbENKUlT_T0_E_clISt17integral_constantIbLb0EESY_IbLb1EEEEDaSU_SV_EUlSU_E_NS1_11comp_targetILNS1_3genE10ELNS1_11target_archE1200ELNS1_3gpuE4ELNS1_3repE0EEENS1_30default_config_static_selectorELNS0_4arch9wavefront6targetE0EEEvT1_.uses_vcc, 0
	.set _ZN7rocprim17ROCPRIM_400000_NS6detail17trampoline_kernelINS0_14default_configENS1_27scan_by_key_config_selectorIxxEEZZNS1_16scan_by_key_implILNS1_25lookback_scan_determinismE0ELb0ES3_N6thrust23THRUST_200600_302600_NS6detail15normal_iteratorINS9_10device_ptrIxEEEESE_SE_xNS9_10multipliesIxEENS9_8equal_toIxEExEE10hipError_tPvRmT2_T3_T4_T5_mT6_T7_P12ihipStream_tbENKUlT_T0_E_clISt17integral_constantIbLb0EESY_IbLb1EEEEDaSU_SV_EUlSU_E_NS1_11comp_targetILNS1_3genE10ELNS1_11target_archE1200ELNS1_3gpuE4ELNS1_3repE0EEENS1_30default_config_static_selectorELNS0_4arch9wavefront6targetE0EEEvT1_.uses_flat_scratch, 0
	.set _ZN7rocprim17ROCPRIM_400000_NS6detail17trampoline_kernelINS0_14default_configENS1_27scan_by_key_config_selectorIxxEEZZNS1_16scan_by_key_implILNS1_25lookback_scan_determinismE0ELb0ES3_N6thrust23THRUST_200600_302600_NS6detail15normal_iteratorINS9_10device_ptrIxEEEESE_SE_xNS9_10multipliesIxEENS9_8equal_toIxEExEE10hipError_tPvRmT2_T3_T4_T5_mT6_T7_P12ihipStream_tbENKUlT_T0_E_clISt17integral_constantIbLb0EESY_IbLb1EEEEDaSU_SV_EUlSU_E_NS1_11comp_targetILNS1_3genE10ELNS1_11target_archE1200ELNS1_3gpuE4ELNS1_3repE0EEENS1_30default_config_static_selectorELNS0_4arch9wavefront6targetE0EEEvT1_.has_dyn_sized_stack, 0
	.set _ZN7rocprim17ROCPRIM_400000_NS6detail17trampoline_kernelINS0_14default_configENS1_27scan_by_key_config_selectorIxxEEZZNS1_16scan_by_key_implILNS1_25lookback_scan_determinismE0ELb0ES3_N6thrust23THRUST_200600_302600_NS6detail15normal_iteratorINS9_10device_ptrIxEEEESE_SE_xNS9_10multipliesIxEENS9_8equal_toIxEExEE10hipError_tPvRmT2_T3_T4_T5_mT6_T7_P12ihipStream_tbENKUlT_T0_E_clISt17integral_constantIbLb0EESY_IbLb1EEEEDaSU_SV_EUlSU_E_NS1_11comp_targetILNS1_3genE10ELNS1_11target_archE1200ELNS1_3gpuE4ELNS1_3repE0EEENS1_30default_config_static_selectorELNS0_4arch9wavefront6targetE0EEEvT1_.has_recursion, 0
	.set _ZN7rocprim17ROCPRIM_400000_NS6detail17trampoline_kernelINS0_14default_configENS1_27scan_by_key_config_selectorIxxEEZZNS1_16scan_by_key_implILNS1_25lookback_scan_determinismE0ELb0ES3_N6thrust23THRUST_200600_302600_NS6detail15normal_iteratorINS9_10device_ptrIxEEEESE_SE_xNS9_10multipliesIxEENS9_8equal_toIxEExEE10hipError_tPvRmT2_T3_T4_T5_mT6_T7_P12ihipStream_tbENKUlT_T0_E_clISt17integral_constantIbLb0EESY_IbLb1EEEEDaSU_SV_EUlSU_E_NS1_11comp_targetILNS1_3genE10ELNS1_11target_archE1200ELNS1_3gpuE4ELNS1_3repE0EEENS1_30default_config_static_selectorELNS0_4arch9wavefront6targetE0EEEvT1_.has_indirect_call, 0
	.section	.AMDGPU.csdata,"",@progbits
; Kernel info:
; codeLenInByte = 0
; TotalNumSgprs: 0
; NumVgprs: 0
; ScratchSize: 0
; MemoryBound: 0
; FloatMode: 240
; IeeeMode: 1
; LDSByteSize: 0 bytes/workgroup (compile time only)
; SGPRBlocks: 0
; VGPRBlocks: 0
; NumSGPRsForWavesPerEU: 1
; NumVGPRsForWavesPerEU: 1
; NamedBarCnt: 0
; Occupancy: 16
; WaveLimiterHint : 0
; COMPUTE_PGM_RSRC2:SCRATCH_EN: 0
; COMPUTE_PGM_RSRC2:USER_SGPR: 2
; COMPUTE_PGM_RSRC2:TRAP_HANDLER: 0
; COMPUTE_PGM_RSRC2:TGID_X_EN: 1
; COMPUTE_PGM_RSRC2:TGID_Y_EN: 0
; COMPUTE_PGM_RSRC2:TGID_Z_EN: 0
; COMPUTE_PGM_RSRC2:TIDIG_COMP_CNT: 0
	.section	.text._ZN7rocprim17ROCPRIM_400000_NS6detail17trampoline_kernelINS0_14default_configENS1_27scan_by_key_config_selectorIxxEEZZNS1_16scan_by_key_implILNS1_25lookback_scan_determinismE0ELb0ES3_N6thrust23THRUST_200600_302600_NS6detail15normal_iteratorINS9_10device_ptrIxEEEESE_SE_xNS9_10multipliesIxEENS9_8equal_toIxEExEE10hipError_tPvRmT2_T3_T4_T5_mT6_T7_P12ihipStream_tbENKUlT_T0_E_clISt17integral_constantIbLb0EESY_IbLb1EEEEDaSU_SV_EUlSU_E_NS1_11comp_targetILNS1_3genE9ELNS1_11target_archE1100ELNS1_3gpuE3ELNS1_3repE0EEENS1_30default_config_static_selectorELNS0_4arch9wavefront6targetE0EEEvT1_,"axG",@progbits,_ZN7rocprim17ROCPRIM_400000_NS6detail17trampoline_kernelINS0_14default_configENS1_27scan_by_key_config_selectorIxxEEZZNS1_16scan_by_key_implILNS1_25lookback_scan_determinismE0ELb0ES3_N6thrust23THRUST_200600_302600_NS6detail15normal_iteratorINS9_10device_ptrIxEEEESE_SE_xNS9_10multipliesIxEENS9_8equal_toIxEExEE10hipError_tPvRmT2_T3_T4_T5_mT6_T7_P12ihipStream_tbENKUlT_T0_E_clISt17integral_constantIbLb0EESY_IbLb1EEEEDaSU_SV_EUlSU_E_NS1_11comp_targetILNS1_3genE9ELNS1_11target_archE1100ELNS1_3gpuE3ELNS1_3repE0EEENS1_30default_config_static_selectorELNS0_4arch9wavefront6targetE0EEEvT1_,comdat
	.protected	_ZN7rocprim17ROCPRIM_400000_NS6detail17trampoline_kernelINS0_14default_configENS1_27scan_by_key_config_selectorIxxEEZZNS1_16scan_by_key_implILNS1_25lookback_scan_determinismE0ELb0ES3_N6thrust23THRUST_200600_302600_NS6detail15normal_iteratorINS9_10device_ptrIxEEEESE_SE_xNS9_10multipliesIxEENS9_8equal_toIxEExEE10hipError_tPvRmT2_T3_T4_T5_mT6_T7_P12ihipStream_tbENKUlT_T0_E_clISt17integral_constantIbLb0EESY_IbLb1EEEEDaSU_SV_EUlSU_E_NS1_11comp_targetILNS1_3genE9ELNS1_11target_archE1100ELNS1_3gpuE3ELNS1_3repE0EEENS1_30default_config_static_selectorELNS0_4arch9wavefront6targetE0EEEvT1_ ; -- Begin function _ZN7rocprim17ROCPRIM_400000_NS6detail17trampoline_kernelINS0_14default_configENS1_27scan_by_key_config_selectorIxxEEZZNS1_16scan_by_key_implILNS1_25lookback_scan_determinismE0ELb0ES3_N6thrust23THRUST_200600_302600_NS6detail15normal_iteratorINS9_10device_ptrIxEEEESE_SE_xNS9_10multipliesIxEENS9_8equal_toIxEExEE10hipError_tPvRmT2_T3_T4_T5_mT6_T7_P12ihipStream_tbENKUlT_T0_E_clISt17integral_constantIbLb0EESY_IbLb1EEEEDaSU_SV_EUlSU_E_NS1_11comp_targetILNS1_3genE9ELNS1_11target_archE1100ELNS1_3gpuE3ELNS1_3repE0EEENS1_30default_config_static_selectorELNS0_4arch9wavefront6targetE0EEEvT1_
	.globl	_ZN7rocprim17ROCPRIM_400000_NS6detail17trampoline_kernelINS0_14default_configENS1_27scan_by_key_config_selectorIxxEEZZNS1_16scan_by_key_implILNS1_25lookback_scan_determinismE0ELb0ES3_N6thrust23THRUST_200600_302600_NS6detail15normal_iteratorINS9_10device_ptrIxEEEESE_SE_xNS9_10multipliesIxEENS9_8equal_toIxEExEE10hipError_tPvRmT2_T3_T4_T5_mT6_T7_P12ihipStream_tbENKUlT_T0_E_clISt17integral_constantIbLb0EESY_IbLb1EEEEDaSU_SV_EUlSU_E_NS1_11comp_targetILNS1_3genE9ELNS1_11target_archE1100ELNS1_3gpuE3ELNS1_3repE0EEENS1_30default_config_static_selectorELNS0_4arch9wavefront6targetE0EEEvT1_
	.p2align	8
	.type	_ZN7rocprim17ROCPRIM_400000_NS6detail17trampoline_kernelINS0_14default_configENS1_27scan_by_key_config_selectorIxxEEZZNS1_16scan_by_key_implILNS1_25lookback_scan_determinismE0ELb0ES3_N6thrust23THRUST_200600_302600_NS6detail15normal_iteratorINS9_10device_ptrIxEEEESE_SE_xNS9_10multipliesIxEENS9_8equal_toIxEExEE10hipError_tPvRmT2_T3_T4_T5_mT6_T7_P12ihipStream_tbENKUlT_T0_E_clISt17integral_constantIbLb0EESY_IbLb1EEEEDaSU_SV_EUlSU_E_NS1_11comp_targetILNS1_3genE9ELNS1_11target_archE1100ELNS1_3gpuE3ELNS1_3repE0EEENS1_30default_config_static_selectorELNS0_4arch9wavefront6targetE0EEEvT1_,@function
_ZN7rocprim17ROCPRIM_400000_NS6detail17trampoline_kernelINS0_14default_configENS1_27scan_by_key_config_selectorIxxEEZZNS1_16scan_by_key_implILNS1_25lookback_scan_determinismE0ELb0ES3_N6thrust23THRUST_200600_302600_NS6detail15normal_iteratorINS9_10device_ptrIxEEEESE_SE_xNS9_10multipliesIxEENS9_8equal_toIxEExEE10hipError_tPvRmT2_T3_T4_T5_mT6_T7_P12ihipStream_tbENKUlT_T0_E_clISt17integral_constantIbLb0EESY_IbLb1EEEEDaSU_SV_EUlSU_E_NS1_11comp_targetILNS1_3genE9ELNS1_11target_archE1100ELNS1_3gpuE3ELNS1_3repE0EEENS1_30default_config_static_selectorELNS0_4arch9wavefront6targetE0EEEvT1_: ; @_ZN7rocprim17ROCPRIM_400000_NS6detail17trampoline_kernelINS0_14default_configENS1_27scan_by_key_config_selectorIxxEEZZNS1_16scan_by_key_implILNS1_25lookback_scan_determinismE0ELb0ES3_N6thrust23THRUST_200600_302600_NS6detail15normal_iteratorINS9_10device_ptrIxEEEESE_SE_xNS9_10multipliesIxEENS9_8equal_toIxEExEE10hipError_tPvRmT2_T3_T4_T5_mT6_T7_P12ihipStream_tbENKUlT_T0_E_clISt17integral_constantIbLb0EESY_IbLb1EEEEDaSU_SV_EUlSU_E_NS1_11comp_targetILNS1_3genE9ELNS1_11target_archE1100ELNS1_3gpuE3ELNS1_3repE0EEENS1_30default_config_static_selectorELNS0_4arch9wavefront6targetE0EEEvT1_
; %bb.0:
	.section	.rodata,"a",@progbits
	.p2align	6, 0x0
	.amdhsa_kernel _ZN7rocprim17ROCPRIM_400000_NS6detail17trampoline_kernelINS0_14default_configENS1_27scan_by_key_config_selectorIxxEEZZNS1_16scan_by_key_implILNS1_25lookback_scan_determinismE0ELb0ES3_N6thrust23THRUST_200600_302600_NS6detail15normal_iteratorINS9_10device_ptrIxEEEESE_SE_xNS9_10multipliesIxEENS9_8equal_toIxEExEE10hipError_tPvRmT2_T3_T4_T5_mT6_T7_P12ihipStream_tbENKUlT_T0_E_clISt17integral_constantIbLb0EESY_IbLb1EEEEDaSU_SV_EUlSU_E_NS1_11comp_targetILNS1_3genE9ELNS1_11target_archE1100ELNS1_3gpuE3ELNS1_3repE0EEENS1_30default_config_static_selectorELNS0_4arch9wavefront6targetE0EEEvT1_
		.amdhsa_group_segment_fixed_size 0
		.amdhsa_private_segment_fixed_size 0
		.amdhsa_kernarg_size 136
		.amdhsa_user_sgpr_count 2
		.amdhsa_user_sgpr_dispatch_ptr 0
		.amdhsa_user_sgpr_queue_ptr 0
		.amdhsa_user_sgpr_kernarg_segment_ptr 1
		.amdhsa_user_sgpr_dispatch_id 0
		.amdhsa_user_sgpr_kernarg_preload_length 0
		.amdhsa_user_sgpr_kernarg_preload_offset 0
		.amdhsa_user_sgpr_private_segment_size 0
		.amdhsa_wavefront_size32 1
		.amdhsa_uses_dynamic_stack 0
		.amdhsa_enable_private_segment 0
		.amdhsa_system_sgpr_workgroup_id_x 1
		.amdhsa_system_sgpr_workgroup_id_y 0
		.amdhsa_system_sgpr_workgroup_id_z 0
		.amdhsa_system_sgpr_workgroup_info 0
		.amdhsa_system_vgpr_workitem_id 0
		.amdhsa_next_free_vgpr 1
		.amdhsa_next_free_sgpr 1
		.amdhsa_named_barrier_count 0
		.amdhsa_reserve_vcc 0
		.amdhsa_float_round_mode_32 0
		.amdhsa_float_round_mode_16_64 0
		.amdhsa_float_denorm_mode_32 3
		.amdhsa_float_denorm_mode_16_64 3
		.amdhsa_fp16_overflow 0
		.amdhsa_memory_ordered 1
		.amdhsa_forward_progress 1
		.amdhsa_inst_pref_size 0
		.amdhsa_round_robin_scheduling 0
		.amdhsa_exception_fp_ieee_invalid_op 0
		.amdhsa_exception_fp_denorm_src 0
		.amdhsa_exception_fp_ieee_div_zero 0
		.amdhsa_exception_fp_ieee_overflow 0
		.amdhsa_exception_fp_ieee_underflow 0
		.amdhsa_exception_fp_ieee_inexact 0
		.amdhsa_exception_int_div_zero 0
	.end_amdhsa_kernel
	.section	.text._ZN7rocprim17ROCPRIM_400000_NS6detail17trampoline_kernelINS0_14default_configENS1_27scan_by_key_config_selectorIxxEEZZNS1_16scan_by_key_implILNS1_25lookback_scan_determinismE0ELb0ES3_N6thrust23THRUST_200600_302600_NS6detail15normal_iteratorINS9_10device_ptrIxEEEESE_SE_xNS9_10multipliesIxEENS9_8equal_toIxEExEE10hipError_tPvRmT2_T3_T4_T5_mT6_T7_P12ihipStream_tbENKUlT_T0_E_clISt17integral_constantIbLb0EESY_IbLb1EEEEDaSU_SV_EUlSU_E_NS1_11comp_targetILNS1_3genE9ELNS1_11target_archE1100ELNS1_3gpuE3ELNS1_3repE0EEENS1_30default_config_static_selectorELNS0_4arch9wavefront6targetE0EEEvT1_,"axG",@progbits,_ZN7rocprim17ROCPRIM_400000_NS6detail17trampoline_kernelINS0_14default_configENS1_27scan_by_key_config_selectorIxxEEZZNS1_16scan_by_key_implILNS1_25lookback_scan_determinismE0ELb0ES3_N6thrust23THRUST_200600_302600_NS6detail15normal_iteratorINS9_10device_ptrIxEEEESE_SE_xNS9_10multipliesIxEENS9_8equal_toIxEExEE10hipError_tPvRmT2_T3_T4_T5_mT6_T7_P12ihipStream_tbENKUlT_T0_E_clISt17integral_constantIbLb0EESY_IbLb1EEEEDaSU_SV_EUlSU_E_NS1_11comp_targetILNS1_3genE9ELNS1_11target_archE1100ELNS1_3gpuE3ELNS1_3repE0EEENS1_30default_config_static_selectorELNS0_4arch9wavefront6targetE0EEEvT1_,comdat
.Lfunc_end81:
	.size	_ZN7rocprim17ROCPRIM_400000_NS6detail17trampoline_kernelINS0_14default_configENS1_27scan_by_key_config_selectorIxxEEZZNS1_16scan_by_key_implILNS1_25lookback_scan_determinismE0ELb0ES3_N6thrust23THRUST_200600_302600_NS6detail15normal_iteratorINS9_10device_ptrIxEEEESE_SE_xNS9_10multipliesIxEENS9_8equal_toIxEExEE10hipError_tPvRmT2_T3_T4_T5_mT6_T7_P12ihipStream_tbENKUlT_T0_E_clISt17integral_constantIbLb0EESY_IbLb1EEEEDaSU_SV_EUlSU_E_NS1_11comp_targetILNS1_3genE9ELNS1_11target_archE1100ELNS1_3gpuE3ELNS1_3repE0EEENS1_30default_config_static_selectorELNS0_4arch9wavefront6targetE0EEEvT1_, .Lfunc_end81-_ZN7rocprim17ROCPRIM_400000_NS6detail17trampoline_kernelINS0_14default_configENS1_27scan_by_key_config_selectorIxxEEZZNS1_16scan_by_key_implILNS1_25lookback_scan_determinismE0ELb0ES3_N6thrust23THRUST_200600_302600_NS6detail15normal_iteratorINS9_10device_ptrIxEEEESE_SE_xNS9_10multipliesIxEENS9_8equal_toIxEExEE10hipError_tPvRmT2_T3_T4_T5_mT6_T7_P12ihipStream_tbENKUlT_T0_E_clISt17integral_constantIbLb0EESY_IbLb1EEEEDaSU_SV_EUlSU_E_NS1_11comp_targetILNS1_3genE9ELNS1_11target_archE1100ELNS1_3gpuE3ELNS1_3repE0EEENS1_30default_config_static_selectorELNS0_4arch9wavefront6targetE0EEEvT1_
                                        ; -- End function
	.set _ZN7rocprim17ROCPRIM_400000_NS6detail17trampoline_kernelINS0_14default_configENS1_27scan_by_key_config_selectorIxxEEZZNS1_16scan_by_key_implILNS1_25lookback_scan_determinismE0ELb0ES3_N6thrust23THRUST_200600_302600_NS6detail15normal_iteratorINS9_10device_ptrIxEEEESE_SE_xNS9_10multipliesIxEENS9_8equal_toIxEExEE10hipError_tPvRmT2_T3_T4_T5_mT6_T7_P12ihipStream_tbENKUlT_T0_E_clISt17integral_constantIbLb0EESY_IbLb1EEEEDaSU_SV_EUlSU_E_NS1_11comp_targetILNS1_3genE9ELNS1_11target_archE1100ELNS1_3gpuE3ELNS1_3repE0EEENS1_30default_config_static_selectorELNS0_4arch9wavefront6targetE0EEEvT1_.num_vgpr, 0
	.set _ZN7rocprim17ROCPRIM_400000_NS6detail17trampoline_kernelINS0_14default_configENS1_27scan_by_key_config_selectorIxxEEZZNS1_16scan_by_key_implILNS1_25lookback_scan_determinismE0ELb0ES3_N6thrust23THRUST_200600_302600_NS6detail15normal_iteratorINS9_10device_ptrIxEEEESE_SE_xNS9_10multipliesIxEENS9_8equal_toIxEExEE10hipError_tPvRmT2_T3_T4_T5_mT6_T7_P12ihipStream_tbENKUlT_T0_E_clISt17integral_constantIbLb0EESY_IbLb1EEEEDaSU_SV_EUlSU_E_NS1_11comp_targetILNS1_3genE9ELNS1_11target_archE1100ELNS1_3gpuE3ELNS1_3repE0EEENS1_30default_config_static_selectorELNS0_4arch9wavefront6targetE0EEEvT1_.num_agpr, 0
	.set _ZN7rocprim17ROCPRIM_400000_NS6detail17trampoline_kernelINS0_14default_configENS1_27scan_by_key_config_selectorIxxEEZZNS1_16scan_by_key_implILNS1_25lookback_scan_determinismE0ELb0ES3_N6thrust23THRUST_200600_302600_NS6detail15normal_iteratorINS9_10device_ptrIxEEEESE_SE_xNS9_10multipliesIxEENS9_8equal_toIxEExEE10hipError_tPvRmT2_T3_T4_T5_mT6_T7_P12ihipStream_tbENKUlT_T0_E_clISt17integral_constantIbLb0EESY_IbLb1EEEEDaSU_SV_EUlSU_E_NS1_11comp_targetILNS1_3genE9ELNS1_11target_archE1100ELNS1_3gpuE3ELNS1_3repE0EEENS1_30default_config_static_selectorELNS0_4arch9wavefront6targetE0EEEvT1_.numbered_sgpr, 0
	.set _ZN7rocprim17ROCPRIM_400000_NS6detail17trampoline_kernelINS0_14default_configENS1_27scan_by_key_config_selectorIxxEEZZNS1_16scan_by_key_implILNS1_25lookback_scan_determinismE0ELb0ES3_N6thrust23THRUST_200600_302600_NS6detail15normal_iteratorINS9_10device_ptrIxEEEESE_SE_xNS9_10multipliesIxEENS9_8equal_toIxEExEE10hipError_tPvRmT2_T3_T4_T5_mT6_T7_P12ihipStream_tbENKUlT_T0_E_clISt17integral_constantIbLb0EESY_IbLb1EEEEDaSU_SV_EUlSU_E_NS1_11comp_targetILNS1_3genE9ELNS1_11target_archE1100ELNS1_3gpuE3ELNS1_3repE0EEENS1_30default_config_static_selectorELNS0_4arch9wavefront6targetE0EEEvT1_.num_named_barrier, 0
	.set _ZN7rocprim17ROCPRIM_400000_NS6detail17trampoline_kernelINS0_14default_configENS1_27scan_by_key_config_selectorIxxEEZZNS1_16scan_by_key_implILNS1_25lookback_scan_determinismE0ELb0ES3_N6thrust23THRUST_200600_302600_NS6detail15normal_iteratorINS9_10device_ptrIxEEEESE_SE_xNS9_10multipliesIxEENS9_8equal_toIxEExEE10hipError_tPvRmT2_T3_T4_T5_mT6_T7_P12ihipStream_tbENKUlT_T0_E_clISt17integral_constantIbLb0EESY_IbLb1EEEEDaSU_SV_EUlSU_E_NS1_11comp_targetILNS1_3genE9ELNS1_11target_archE1100ELNS1_3gpuE3ELNS1_3repE0EEENS1_30default_config_static_selectorELNS0_4arch9wavefront6targetE0EEEvT1_.private_seg_size, 0
	.set _ZN7rocprim17ROCPRIM_400000_NS6detail17trampoline_kernelINS0_14default_configENS1_27scan_by_key_config_selectorIxxEEZZNS1_16scan_by_key_implILNS1_25lookback_scan_determinismE0ELb0ES3_N6thrust23THRUST_200600_302600_NS6detail15normal_iteratorINS9_10device_ptrIxEEEESE_SE_xNS9_10multipliesIxEENS9_8equal_toIxEExEE10hipError_tPvRmT2_T3_T4_T5_mT6_T7_P12ihipStream_tbENKUlT_T0_E_clISt17integral_constantIbLb0EESY_IbLb1EEEEDaSU_SV_EUlSU_E_NS1_11comp_targetILNS1_3genE9ELNS1_11target_archE1100ELNS1_3gpuE3ELNS1_3repE0EEENS1_30default_config_static_selectorELNS0_4arch9wavefront6targetE0EEEvT1_.uses_vcc, 0
	.set _ZN7rocprim17ROCPRIM_400000_NS6detail17trampoline_kernelINS0_14default_configENS1_27scan_by_key_config_selectorIxxEEZZNS1_16scan_by_key_implILNS1_25lookback_scan_determinismE0ELb0ES3_N6thrust23THRUST_200600_302600_NS6detail15normal_iteratorINS9_10device_ptrIxEEEESE_SE_xNS9_10multipliesIxEENS9_8equal_toIxEExEE10hipError_tPvRmT2_T3_T4_T5_mT6_T7_P12ihipStream_tbENKUlT_T0_E_clISt17integral_constantIbLb0EESY_IbLb1EEEEDaSU_SV_EUlSU_E_NS1_11comp_targetILNS1_3genE9ELNS1_11target_archE1100ELNS1_3gpuE3ELNS1_3repE0EEENS1_30default_config_static_selectorELNS0_4arch9wavefront6targetE0EEEvT1_.uses_flat_scratch, 0
	.set _ZN7rocprim17ROCPRIM_400000_NS6detail17trampoline_kernelINS0_14default_configENS1_27scan_by_key_config_selectorIxxEEZZNS1_16scan_by_key_implILNS1_25lookback_scan_determinismE0ELb0ES3_N6thrust23THRUST_200600_302600_NS6detail15normal_iteratorINS9_10device_ptrIxEEEESE_SE_xNS9_10multipliesIxEENS9_8equal_toIxEExEE10hipError_tPvRmT2_T3_T4_T5_mT6_T7_P12ihipStream_tbENKUlT_T0_E_clISt17integral_constantIbLb0EESY_IbLb1EEEEDaSU_SV_EUlSU_E_NS1_11comp_targetILNS1_3genE9ELNS1_11target_archE1100ELNS1_3gpuE3ELNS1_3repE0EEENS1_30default_config_static_selectorELNS0_4arch9wavefront6targetE0EEEvT1_.has_dyn_sized_stack, 0
	.set _ZN7rocprim17ROCPRIM_400000_NS6detail17trampoline_kernelINS0_14default_configENS1_27scan_by_key_config_selectorIxxEEZZNS1_16scan_by_key_implILNS1_25lookback_scan_determinismE0ELb0ES3_N6thrust23THRUST_200600_302600_NS6detail15normal_iteratorINS9_10device_ptrIxEEEESE_SE_xNS9_10multipliesIxEENS9_8equal_toIxEExEE10hipError_tPvRmT2_T3_T4_T5_mT6_T7_P12ihipStream_tbENKUlT_T0_E_clISt17integral_constantIbLb0EESY_IbLb1EEEEDaSU_SV_EUlSU_E_NS1_11comp_targetILNS1_3genE9ELNS1_11target_archE1100ELNS1_3gpuE3ELNS1_3repE0EEENS1_30default_config_static_selectorELNS0_4arch9wavefront6targetE0EEEvT1_.has_recursion, 0
	.set _ZN7rocprim17ROCPRIM_400000_NS6detail17trampoline_kernelINS0_14default_configENS1_27scan_by_key_config_selectorIxxEEZZNS1_16scan_by_key_implILNS1_25lookback_scan_determinismE0ELb0ES3_N6thrust23THRUST_200600_302600_NS6detail15normal_iteratorINS9_10device_ptrIxEEEESE_SE_xNS9_10multipliesIxEENS9_8equal_toIxEExEE10hipError_tPvRmT2_T3_T4_T5_mT6_T7_P12ihipStream_tbENKUlT_T0_E_clISt17integral_constantIbLb0EESY_IbLb1EEEEDaSU_SV_EUlSU_E_NS1_11comp_targetILNS1_3genE9ELNS1_11target_archE1100ELNS1_3gpuE3ELNS1_3repE0EEENS1_30default_config_static_selectorELNS0_4arch9wavefront6targetE0EEEvT1_.has_indirect_call, 0
	.section	.AMDGPU.csdata,"",@progbits
; Kernel info:
; codeLenInByte = 0
; TotalNumSgprs: 0
; NumVgprs: 0
; ScratchSize: 0
; MemoryBound: 0
; FloatMode: 240
; IeeeMode: 1
; LDSByteSize: 0 bytes/workgroup (compile time only)
; SGPRBlocks: 0
; VGPRBlocks: 0
; NumSGPRsForWavesPerEU: 1
; NumVGPRsForWavesPerEU: 1
; NamedBarCnt: 0
; Occupancy: 16
; WaveLimiterHint : 0
; COMPUTE_PGM_RSRC2:SCRATCH_EN: 0
; COMPUTE_PGM_RSRC2:USER_SGPR: 2
; COMPUTE_PGM_RSRC2:TRAP_HANDLER: 0
; COMPUTE_PGM_RSRC2:TGID_X_EN: 1
; COMPUTE_PGM_RSRC2:TGID_Y_EN: 0
; COMPUTE_PGM_RSRC2:TGID_Z_EN: 0
; COMPUTE_PGM_RSRC2:TIDIG_COMP_CNT: 0
	.section	.text._ZN7rocprim17ROCPRIM_400000_NS6detail17trampoline_kernelINS0_14default_configENS1_27scan_by_key_config_selectorIxxEEZZNS1_16scan_by_key_implILNS1_25lookback_scan_determinismE0ELb0ES3_N6thrust23THRUST_200600_302600_NS6detail15normal_iteratorINS9_10device_ptrIxEEEESE_SE_xNS9_10multipliesIxEENS9_8equal_toIxEExEE10hipError_tPvRmT2_T3_T4_T5_mT6_T7_P12ihipStream_tbENKUlT_T0_E_clISt17integral_constantIbLb0EESY_IbLb1EEEEDaSU_SV_EUlSU_E_NS1_11comp_targetILNS1_3genE8ELNS1_11target_archE1030ELNS1_3gpuE2ELNS1_3repE0EEENS1_30default_config_static_selectorELNS0_4arch9wavefront6targetE0EEEvT1_,"axG",@progbits,_ZN7rocprim17ROCPRIM_400000_NS6detail17trampoline_kernelINS0_14default_configENS1_27scan_by_key_config_selectorIxxEEZZNS1_16scan_by_key_implILNS1_25lookback_scan_determinismE0ELb0ES3_N6thrust23THRUST_200600_302600_NS6detail15normal_iteratorINS9_10device_ptrIxEEEESE_SE_xNS9_10multipliesIxEENS9_8equal_toIxEExEE10hipError_tPvRmT2_T3_T4_T5_mT6_T7_P12ihipStream_tbENKUlT_T0_E_clISt17integral_constantIbLb0EESY_IbLb1EEEEDaSU_SV_EUlSU_E_NS1_11comp_targetILNS1_3genE8ELNS1_11target_archE1030ELNS1_3gpuE2ELNS1_3repE0EEENS1_30default_config_static_selectorELNS0_4arch9wavefront6targetE0EEEvT1_,comdat
	.protected	_ZN7rocprim17ROCPRIM_400000_NS6detail17trampoline_kernelINS0_14default_configENS1_27scan_by_key_config_selectorIxxEEZZNS1_16scan_by_key_implILNS1_25lookback_scan_determinismE0ELb0ES3_N6thrust23THRUST_200600_302600_NS6detail15normal_iteratorINS9_10device_ptrIxEEEESE_SE_xNS9_10multipliesIxEENS9_8equal_toIxEExEE10hipError_tPvRmT2_T3_T4_T5_mT6_T7_P12ihipStream_tbENKUlT_T0_E_clISt17integral_constantIbLb0EESY_IbLb1EEEEDaSU_SV_EUlSU_E_NS1_11comp_targetILNS1_3genE8ELNS1_11target_archE1030ELNS1_3gpuE2ELNS1_3repE0EEENS1_30default_config_static_selectorELNS0_4arch9wavefront6targetE0EEEvT1_ ; -- Begin function _ZN7rocprim17ROCPRIM_400000_NS6detail17trampoline_kernelINS0_14default_configENS1_27scan_by_key_config_selectorIxxEEZZNS1_16scan_by_key_implILNS1_25lookback_scan_determinismE0ELb0ES3_N6thrust23THRUST_200600_302600_NS6detail15normal_iteratorINS9_10device_ptrIxEEEESE_SE_xNS9_10multipliesIxEENS9_8equal_toIxEExEE10hipError_tPvRmT2_T3_T4_T5_mT6_T7_P12ihipStream_tbENKUlT_T0_E_clISt17integral_constantIbLb0EESY_IbLb1EEEEDaSU_SV_EUlSU_E_NS1_11comp_targetILNS1_3genE8ELNS1_11target_archE1030ELNS1_3gpuE2ELNS1_3repE0EEENS1_30default_config_static_selectorELNS0_4arch9wavefront6targetE0EEEvT1_
	.globl	_ZN7rocprim17ROCPRIM_400000_NS6detail17trampoline_kernelINS0_14default_configENS1_27scan_by_key_config_selectorIxxEEZZNS1_16scan_by_key_implILNS1_25lookback_scan_determinismE0ELb0ES3_N6thrust23THRUST_200600_302600_NS6detail15normal_iteratorINS9_10device_ptrIxEEEESE_SE_xNS9_10multipliesIxEENS9_8equal_toIxEExEE10hipError_tPvRmT2_T3_T4_T5_mT6_T7_P12ihipStream_tbENKUlT_T0_E_clISt17integral_constantIbLb0EESY_IbLb1EEEEDaSU_SV_EUlSU_E_NS1_11comp_targetILNS1_3genE8ELNS1_11target_archE1030ELNS1_3gpuE2ELNS1_3repE0EEENS1_30default_config_static_selectorELNS0_4arch9wavefront6targetE0EEEvT1_
	.p2align	8
	.type	_ZN7rocprim17ROCPRIM_400000_NS6detail17trampoline_kernelINS0_14default_configENS1_27scan_by_key_config_selectorIxxEEZZNS1_16scan_by_key_implILNS1_25lookback_scan_determinismE0ELb0ES3_N6thrust23THRUST_200600_302600_NS6detail15normal_iteratorINS9_10device_ptrIxEEEESE_SE_xNS9_10multipliesIxEENS9_8equal_toIxEExEE10hipError_tPvRmT2_T3_T4_T5_mT6_T7_P12ihipStream_tbENKUlT_T0_E_clISt17integral_constantIbLb0EESY_IbLb1EEEEDaSU_SV_EUlSU_E_NS1_11comp_targetILNS1_3genE8ELNS1_11target_archE1030ELNS1_3gpuE2ELNS1_3repE0EEENS1_30default_config_static_selectorELNS0_4arch9wavefront6targetE0EEEvT1_,@function
_ZN7rocprim17ROCPRIM_400000_NS6detail17trampoline_kernelINS0_14default_configENS1_27scan_by_key_config_selectorIxxEEZZNS1_16scan_by_key_implILNS1_25lookback_scan_determinismE0ELb0ES3_N6thrust23THRUST_200600_302600_NS6detail15normal_iteratorINS9_10device_ptrIxEEEESE_SE_xNS9_10multipliesIxEENS9_8equal_toIxEExEE10hipError_tPvRmT2_T3_T4_T5_mT6_T7_P12ihipStream_tbENKUlT_T0_E_clISt17integral_constantIbLb0EESY_IbLb1EEEEDaSU_SV_EUlSU_E_NS1_11comp_targetILNS1_3genE8ELNS1_11target_archE1030ELNS1_3gpuE2ELNS1_3repE0EEENS1_30default_config_static_selectorELNS0_4arch9wavefront6targetE0EEEvT1_: ; @_ZN7rocprim17ROCPRIM_400000_NS6detail17trampoline_kernelINS0_14default_configENS1_27scan_by_key_config_selectorIxxEEZZNS1_16scan_by_key_implILNS1_25lookback_scan_determinismE0ELb0ES3_N6thrust23THRUST_200600_302600_NS6detail15normal_iteratorINS9_10device_ptrIxEEEESE_SE_xNS9_10multipliesIxEENS9_8equal_toIxEExEE10hipError_tPvRmT2_T3_T4_T5_mT6_T7_P12ihipStream_tbENKUlT_T0_E_clISt17integral_constantIbLb0EESY_IbLb1EEEEDaSU_SV_EUlSU_E_NS1_11comp_targetILNS1_3genE8ELNS1_11target_archE1030ELNS1_3gpuE2ELNS1_3repE0EEENS1_30default_config_static_selectorELNS0_4arch9wavefront6targetE0EEEvT1_
; %bb.0:
	.section	.rodata,"a",@progbits
	.p2align	6, 0x0
	.amdhsa_kernel _ZN7rocprim17ROCPRIM_400000_NS6detail17trampoline_kernelINS0_14default_configENS1_27scan_by_key_config_selectorIxxEEZZNS1_16scan_by_key_implILNS1_25lookback_scan_determinismE0ELb0ES3_N6thrust23THRUST_200600_302600_NS6detail15normal_iteratorINS9_10device_ptrIxEEEESE_SE_xNS9_10multipliesIxEENS9_8equal_toIxEExEE10hipError_tPvRmT2_T3_T4_T5_mT6_T7_P12ihipStream_tbENKUlT_T0_E_clISt17integral_constantIbLb0EESY_IbLb1EEEEDaSU_SV_EUlSU_E_NS1_11comp_targetILNS1_3genE8ELNS1_11target_archE1030ELNS1_3gpuE2ELNS1_3repE0EEENS1_30default_config_static_selectorELNS0_4arch9wavefront6targetE0EEEvT1_
		.amdhsa_group_segment_fixed_size 0
		.amdhsa_private_segment_fixed_size 0
		.amdhsa_kernarg_size 136
		.amdhsa_user_sgpr_count 2
		.amdhsa_user_sgpr_dispatch_ptr 0
		.amdhsa_user_sgpr_queue_ptr 0
		.amdhsa_user_sgpr_kernarg_segment_ptr 1
		.amdhsa_user_sgpr_dispatch_id 0
		.amdhsa_user_sgpr_kernarg_preload_length 0
		.amdhsa_user_sgpr_kernarg_preload_offset 0
		.amdhsa_user_sgpr_private_segment_size 0
		.amdhsa_wavefront_size32 1
		.amdhsa_uses_dynamic_stack 0
		.amdhsa_enable_private_segment 0
		.amdhsa_system_sgpr_workgroup_id_x 1
		.amdhsa_system_sgpr_workgroup_id_y 0
		.amdhsa_system_sgpr_workgroup_id_z 0
		.amdhsa_system_sgpr_workgroup_info 0
		.amdhsa_system_vgpr_workitem_id 0
		.amdhsa_next_free_vgpr 1
		.amdhsa_next_free_sgpr 1
		.amdhsa_named_barrier_count 0
		.amdhsa_reserve_vcc 0
		.amdhsa_float_round_mode_32 0
		.amdhsa_float_round_mode_16_64 0
		.amdhsa_float_denorm_mode_32 3
		.amdhsa_float_denorm_mode_16_64 3
		.amdhsa_fp16_overflow 0
		.amdhsa_memory_ordered 1
		.amdhsa_forward_progress 1
		.amdhsa_inst_pref_size 0
		.amdhsa_round_robin_scheduling 0
		.amdhsa_exception_fp_ieee_invalid_op 0
		.amdhsa_exception_fp_denorm_src 0
		.amdhsa_exception_fp_ieee_div_zero 0
		.amdhsa_exception_fp_ieee_overflow 0
		.amdhsa_exception_fp_ieee_underflow 0
		.amdhsa_exception_fp_ieee_inexact 0
		.amdhsa_exception_int_div_zero 0
	.end_amdhsa_kernel
	.section	.text._ZN7rocprim17ROCPRIM_400000_NS6detail17trampoline_kernelINS0_14default_configENS1_27scan_by_key_config_selectorIxxEEZZNS1_16scan_by_key_implILNS1_25lookback_scan_determinismE0ELb0ES3_N6thrust23THRUST_200600_302600_NS6detail15normal_iteratorINS9_10device_ptrIxEEEESE_SE_xNS9_10multipliesIxEENS9_8equal_toIxEExEE10hipError_tPvRmT2_T3_T4_T5_mT6_T7_P12ihipStream_tbENKUlT_T0_E_clISt17integral_constantIbLb0EESY_IbLb1EEEEDaSU_SV_EUlSU_E_NS1_11comp_targetILNS1_3genE8ELNS1_11target_archE1030ELNS1_3gpuE2ELNS1_3repE0EEENS1_30default_config_static_selectorELNS0_4arch9wavefront6targetE0EEEvT1_,"axG",@progbits,_ZN7rocprim17ROCPRIM_400000_NS6detail17trampoline_kernelINS0_14default_configENS1_27scan_by_key_config_selectorIxxEEZZNS1_16scan_by_key_implILNS1_25lookback_scan_determinismE0ELb0ES3_N6thrust23THRUST_200600_302600_NS6detail15normal_iteratorINS9_10device_ptrIxEEEESE_SE_xNS9_10multipliesIxEENS9_8equal_toIxEExEE10hipError_tPvRmT2_T3_T4_T5_mT6_T7_P12ihipStream_tbENKUlT_T0_E_clISt17integral_constantIbLb0EESY_IbLb1EEEEDaSU_SV_EUlSU_E_NS1_11comp_targetILNS1_3genE8ELNS1_11target_archE1030ELNS1_3gpuE2ELNS1_3repE0EEENS1_30default_config_static_selectorELNS0_4arch9wavefront6targetE0EEEvT1_,comdat
.Lfunc_end82:
	.size	_ZN7rocprim17ROCPRIM_400000_NS6detail17trampoline_kernelINS0_14default_configENS1_27scan_by_key_config_selectorIxxEEZZNS1_16scan_by_key_implILNS1_25lookback_scan_determinismE0ELb0ES3_N6thrust23THRUST_200600_302600_NS6detail15normal_iteratorINS9_10device_ptrIxEEEESE_SE_xNS9_10multipliesIxEENS9_8equal_toIxEExEE10hipError_tPvRmT2_T3_T4_T5_mT6_T7_P12ihipStream_tbENKUlT_T0_E_clISt17integral_constantIbLb0EESY_IbLb1EEEEDaSU_SV_EUlSU_E_NS1_11comp_targetILNS1_3genE8ELNS1_11target_archE1030ELNS1_3gpuE2ELNS1_3repE0EEENS1_30default_config_static_selectorELNS0_4arch9wavefront6targetE0EEEvT1_, .Lfunc_end82-_ZN7rocprim17ROCPRIM_400000_NS6detail17trampoline_kernelINS0_14default_configENS1_27scan_by_key_config_selectorIxxEEZZNS1_16scan_by_key_implILNS1_25lookback_scan_determinismE0ELb0ES3_N6thrust23THRUST_200600_302600_NS6detail15normal_iteratorINS9_10device_ptrIxEEEESE_SE_xNS9_10multipliesIxEENS9_8equal_toIxEExEE10hipError_tPvRmT2_T3_T4_T5_mT6_T7_P12ihipStream_tbENKUlT_T0_E_clISt17integral_constantIbLb0EESY_IbLb1EEEEDaSU_SV_EUlSU_E_NS1_11comp_targetILNS1_3genE8ELNS1_11target_archE1030ELNS1_3gpuE2ELNS1_3repE0EEENS1_30default_config_static_selectorELNS0_4arch9wavefront6targetE0EEEvT1_
                                        ; -- End function
	.set _ZN7rocprim17ROCPRIM_400000_NS6detail17trampoline_kernelINS0_14default_configENS1_27scan_by_key_config_selectorIxxEEZZNS1_16scan_by_key_implILNS1_25lookback_scan_determinismE0ELb0ES3_N6thrust23THRUST_200600_302600_NS6detail15normal_iteratorINS9_10device_ptrIxEEEESE_SE_xNS9_10multipliesIxEENS9_8equal_toIxEExEE10hipError_tPvRmT2_T3_T4_T5_mT6_T7_P12ihipStream_tbENKUlT_T0_E_clISt17integral_constantIbLb0EESY_IbLb1EEEEDaSU_SV_EUlSU_E_NS1_11comp_targetILNS1_3genE8ELNS1_11target_archE1030ELNS1_3gpuE2ELNS1_3repE0EEENS1_30default_config_static_selectorELNS0_4arch9wavefront6targetE0EEEvT1_.num_vgpr, 0
	.set _ZN7rocprim17ROCPRIM_400000_NS6detail17trampoline_kernelINS0_14default_configENS1_27scan_by_key_config_selectorIxxEEZZNS1_16scan_by_key_implILNS1_25lookback_scan_determinismE0ELb0ES3_N6thrust23THRUST_200600_302600_NS6detail15normal_iteratorINS9_10device_ptrIxEEEESE_SE_xNS9_10multipliesIxEENS9_8equal_toIxEExEE10hipError_tPvRmT2_T3_T4_T5_mT6_T7_P12ihipStream_tbENKUlT_T0_E_clISt17integral_constantIbLb0EESY_IbLb1EEEEDaSU_SV_EUlSU_E_NS1_11comp_targetILNS1_3genE8ELNS1_11target_archE1030ELNS1_3gpuE2ELNS1_3repE0EEENS1_30default_config_static_selectorELNS0_4arch9wavefront6targetE0EEEvT1_.num_agpr, 0
	.set _ZN7rocprim17ROCPRIM_400000_NS6detail17trampoline_kernelINS0_14default_configENS1_27scan_by_key_config_selectorIxxEEZZNS1_16scan_by_key_implILNS1_25lookback_scan_determinismE0ELb0ES3_N6thrust23THRUST_200600_302600_NS6detail15normal_iteratorINS9_10device_ptrIxEEEESE_SE_xNS9_10multipliesIxEENS9_8equal_toIxEExEE10hipError_tPvRmT2_T3_T4_T5_mT6_T7_P12ihipStream_tbENKUlT_T0_E_clISt17integral_constantIbLb0EESY_IbLb1EEEEDaSU_SV_EUlSU_E_NS1_11comp_targetILNS1_3genE8ELNS1_11target_archE1030ELNS1_3gpuE2ELNS1_3repE0EEENS1_30default_config_static_selectorELNS0_4arch9wavefront6targetE0EEEvT1_.numbered_sgpr, 0
	.set _ZN7rocprim17ROCPRIM_400000_NS6detail17trampoline_kernelINS0_14default_configENS1_27scan_by_key_config_selectorIxxEEZZNS1_16scan_by_key_implILNS1_25lookback_scan_determinismE0ELb0ES3_N6thrust23THRUST_200600_302600_NS6detail15normal_iteratorINS9_10device_ptrIxEEEESE_SE_xNS9_10multipliesIxEENS9_8equal_toIxEExEE10hipError_tPvRmT2_T3_T4_T5_mT6_T7_P12ihipStream_tbENKUlT_T0_E_clISt17integral_constantIbLb0EESY_IbLb1EEEEDaSU_SV_EUlSU_E_NS1_11comp_targetILNS1_3genE8ELNS1_11target_archE1030ELNS1_3gpuE2ELNS1_3repE0EEENS1_30default_config_static_selectorELNS0_4arch9wavefront6targetE0EEEvT1_.num_named_barrier, 0
	.set _ZN7rocprim17ROCPRIM_400000_NS6detail17trampoline_kernelINS0_14default_configENS1_27scan_by_key_config_selectorIxxEEZZNS1_16scan_by_key_implILNS1_25lookback_scan_determinismE0ELb0ES3_N6thrust23THRUST_200600_302600_NS6detail15normal_iteratorINS9_10device_ptrIxEEEESE_SE_xNS9_10multipliesIxEENS9_8equal_toIxEExEE10hipError_tPvRmT2_T3_T4_T5_mT6_T7_P12ihipStream_tbENKUlT_T0_E_clISt17integral_constantIbLb0EESY_IbLb1EEEEDaSU_SV_EUlSU_E_NS1_11comp_targetILNS1_3genE8ELNS1_11target_archE1030ELNS1_3gpuE2ELNS1_3repE0EEENS1_30default_config_static_selectorELNS0_4arch9wavefront6targetE0EEEvT1_.private_seg_size, 0
	.set _ZN7rocprim17ROCPRIM_400000_NS6detail17trampoline_kernelINS0_14default_configENS1_27scan_by_key_config_selectorIxxEEZZNS1_16scan_by_key_implILNS1_25lookback_scan_determinismE0ELb0ES3_N6thrust23THRUST_200600_302600_NS6detail15normal_iteratorINS9_10device_ptrIxEEEESE_SE_xNS9_10multipliesIxEENS9_8equal_toIxEExEE10hipError_tPvRmT2_T3_T4_T5_mT6_T7_P12ihipStream_tbENKUlT_T0_E_clISt17integral_constantIbLb0EESY_IbLb1EEEEDaSU_SV_EUlSU_E_NS1_11comp_targetILNS1_3genE8ELNS1_11target_archE1030ELNS1_3gpuE2ELNS1_3repE0EEENS1_30default_config_static_selectorELNS0_4arch9wavefront6targetE0EEEvT1_.uses_vcc, 0
	.set _ZN7rocprim17ROCPRIM_400000_NS6detail17trampoline_kernelINS0_14default_configENS1_27scan_by_key_config_selectorIxxEEZZNS1_16scan_by_key_implILNS1_25lookback_scan_determinismE0ELb0ES3_N6thrust23THRUST_200600_302600_NS6detail15normal_iteratorINS9_10device_ptrIxEEEESE_SE_xNS9_10multipliesIxEENS9_8equal_toIxEExEE10hipError_tPvRmT2_T3_T4_T5_mT6_T7_P12ihipStream_tbENKUlT_T0_E_clISt17integral_constantIbLb0EESY_IbLb1EEEEDaSU_SV_EUlSU_E_NS1_11comp_targetILNS1_3genE8ELNS1_11target_archE1030ELNS1_3gpuE2ELNS1_3repE0EEENS1_30default_config_static_selectorELNS0_4arch9wavefront6targetE0EEEvT1_.uses_flat_scratch, 0
	.set _ZN7rocprim17ROCPRIM_400000_NS6detail17trampoline_kernelINS0_14default_configENS1_27scan_by_key_config_selectorIxxEEZZNS1_16scan_by_key_implILNS1_25lookback_scan_determinismE0ELb0ES3_N6thrust23THRUST_200600_302600_NS6detail15normal_iteratorINS9_10device_ptrIxEEEESE_SE_xNS9_10multipliesIxEENS9_8equal_toIxEExEE10hipError_tPvRmT2_T3_T4_T5_mT6_T7_P12ihipStream_tbENKUlT_T0_E_clISt17integral_constantIbLb0EESY_IbLb1EEEEDaSU_SV_EUlSU_E_NS1_11comp_targetILNS1_3genE8ELNS1_11target_archE1030ELNS1_3gpuE2ELNS1_3repE0EEENS1_30default_config_static_selectorELNS0_4arch9wavefront6targetE0EEEvT1_.has_dyn_sized_stack, 0
	.set _ZN7rocprim17ROCPRIM_400000_NS6detail17trampoline_kernelINS0_14default_configENS1_27scan_by_key_config_selectorIxxEEZZNS1_16scan_by_key_implILNS1_25lookback_scan_determinismE0ELb0ES3_N6thrust23THRUST_200600_302600_NS6detail15normal_iteratorINS9_10device_ptrIxEEEESE_SE_xNS9_10multipliesIxEENS9_8equal_toIxEExEE10hipError_tPvRmT2_T3_T4_T5_mT6_T7_P12ihipStream_tbENKUlT_T0_E_clISt17integral_constantIbLb0EESY_IbLb1EEEEDaSU_SV_EUlSU_E_NS1_11comp_targetILNS1_3genE8ELNS1_11target_archE1030ELNS1_3gpuE2ELNS1_3repE0EEENS1_30default_config_static_selectorELNS0_4arch9wavefront6targetE0EEEvT1_.has_recursion, 0
	.set _ZN7rocprim17ROCPRIM_400000_NS6detail17trampoline_kernelINS0_14default_configENS1_27scan_by_key_config_selectorIxxEEZZNS1_16scan_by_key_implILNS1_25lookback_scan_determinismE0ELb0ES3_N6thrust23THRUST_200600_302600_NS6detail15normal_iteratorINS9_10device_ptrIxEEEESE_SE_xNS9_10multipliesIxEENS9_8equal_toIxEExEE10hipError_tPvRmT2_T3_T4_T5_mT6_T7_P12ihipStream_tbENKUlT_T0_E_clISt17integral_constantIbLb0EESY_IbLb1EEEEDaSU_SV_EUlSU_E_NS1_11comp_targetILNS1_3genE8ELNS1_11target_archE1030ELNS1_3gpuE2ELNS1_3repE0EEENS1_30default_config_static_selectorELNS0_4arch9wavefront6targetE0EEEvT1_.has_indirect_call, 0
	.section	.AMDGPU.csdata,"",@progbits
; Kernel info:
; codeLenInByte = 0
; TotalNumSgprs: 0
; NumVgprs: 0
; ScratchSize: 0
; MemoryBound: 0
; FloatMode: 240
; IeeeMode: 1
; LDSByteSize: 0 bytes/workgroup (compile time only)
; SGPRBlocks: 0
; VGPRBlocks: 0
; NumSGPRsForWavesPerEU: 1
; NumVGPRsForWavesPerEU: 1
; NamedBarCnt: 0
; Occupancy: 16
; WaveLimiterHint : 0
; COMPUTE_PGM_RSRC2:SCRATCH_EN: 0
; COMPUTE_PGM_RSRC2:USER_SGPR: 2
; COMPUTE_PGM_RSRC2:TRAP_HANDLER: 0
; COMPUTE_PGM_RSRC2:TGID_X_EN: 1
; COMPUTE_PGM_RSRC2:TGID_Y_EN: 0
; COMPUTE_PGM_RSRC2:TGID_Z_EN: 0
; COMPUTE_PGM_RSRC2:TIDIG_COMP_CNT: 0
	.section	.text._ZN7rocprim17ROCPRIM_400000_NS6detail17trampoline_kernelINS0_14default_configENS1_27scan_by_key_config_selectorIxxEEZZNS1_16scan_by_key_implILNS1_25lookback_scan_determinismE0ELb0ES3_N6thrust23THRUST_200600_302600_NS6detail15normal_iteratorINS9_10device_ptrIxEEEESE_SE_xNS9_4plusIvEENS9_8equal_toIxEExEE10hipError_tPvRmT2_T3_T4_T5_mT6_T7_P12ihipStream_tbENKUlT_T0_E_clISt17integral_constantIbLb0EESZ_EEDaSU_SV_EUlSU_E_NS1_11comp_targetILNS1_3genE0ELNS1_11target_archE4294967295ELNS1_3gpuE0ELNS1_3repE0EEENS1_30default_config_static_selectorELNS0_4arch9wavefront6targetE0EEEvT1_,"axG",@progbits,_ZN7rocprim17ROCPRIM_400000_NS6detail17trampoline_kernelINS0_14default_configENS1_27scan_by_key_config_selectorIxxEEZZNS1_16scan_by_key_implILNS1_25lookback_scan_determinismE0ELb0ES3_N6thrust23THRUST_200600_302600_NS6detail15normal_iteratorINS9_10device_ptrIxEEEESE_SE_xNS9_4plusIvEENS9_8equal_toIxEExEE10hipError_tPvRmT2_T3_T4_T5_mT6_T7_P12ihipStream_tbENKUlT_T0_E_clISt17integral_constantIbLb0EESZ_EEDaSU_SV_EUlSU_E_NS1_11comp_targetILNS1_3genE0ELNS1_11target_archE4294967295ELNS1_3gpuE0ELNS1_3repE0EEENS1_30default_config_static_selectorELNS0_4arch9wavefront6targetE0EEEvT1_,comdat
	.protected	_ZN7rocprim17ROCPRIM_400000_NS6detail17trampoline_kernelINS0_14default_configENS1_27scan_by_key_config_selectorIxxEEZZNS1_16scan_by_key_implILNS1_25lookback_scan_determinismE0ELb0ES3_N6thrust23THRUST_200600_302600_NS6detail15normal_iteratorINS9_10device_ptrIxEEEESE_SE_xNS9_4plusIvEENS9_8equal_toIxEExEE10hipError_tPvRmT2_T3_T4_T5_mT6_T7_P12ihipStream_tbENKUlT_T0_E_clISt17integral_constantIbLb0EESZ_EEDaSU_SV_EUlSU_E_NS1_11comp_targetILNS1_3genE0ELNS1_11target_archE4294967295ELNS1_3gpuE0ELNS1_3repE0EEENS1_30default_config_static_selectorELNS0_4arch9wavefront6targetE0EEEvT1_ ; -- Begin function _ZN7rocprim17ROCPRIM_400000_NS6detail17trampoline_kernelINS0_14default_configENS1_27scan_by_key_config_selectorIxxEEZZNS1_16scan_by_key_implILNS1_25lookback_scan_determinismE0ELb0ES3_N6thrust23THRUST_200600_302600_NS6detail15normal_iteratorINS9_10device_ptrIxEEEESE_SE_xNS9_4plusIvEENS9_8equal_toIxEExEE10hipError_tPvRmT2_T3_T4_T5_mT6_T7_P12ihipStream_tbENKUlT_T0_E_clISt17integral_constantIbLb0EESZ_EEDaSU_SV_EUlSU_E_NS1_11comp_targetILNS1_3genE0ELNS1_11target_archE4294967295ELNS1_3gpuE0ELNS1_3repE0EEENS1_30default_config_static_selectorELNS0_4arch9wavefront6targetE0EEEvT1_
	.globl	_ZN7rocprim17ROCPRIM_400000_NS6detail17trampoline_kernelINS0_14default_configENS1_27scan_by_key_config_selectorIxxEEZZNS1_16scan_by_key_implILNS1_25lookback_scan_determinismE0ELb0ES3_N6thrust23THRUST_200600_302600_NS6detail15normal_iteratorINS9_10device_ptrIxEEEESE_SE_xNS9_4plusIvEENS9_8equal_toIxEExEE10hipError_tPvRmT2_T3_T4_T5_mT6_T7_P12ihipStream_tbENKUlT_T0_E_clISt17integral_constantIbLb0EESZ_EEDaSU_SV_EUlSU_E_NS1_11comp_targetILNS1_3genE0ELNS1_11target_archE4294967295ELNS1_3gpuE0ELNS1_3repE0EEENS1_30default_config_static_selectorELNS0_4arch9wavefront6targetE0EEEvT1_
	.p2align	8
	.type	_ZN7rocprim17ROCPRIM_400000_NS6detail17trampoline_kernelINS0_14default_configENS1_27scan_by_key_config_selectorIxxEEZZNS1_16scan_by_key_implILNS1_25lookback_scan_determinismE0ELb0ES3_N6thrust23THRUST_200600_302600_NS6detail15normal_iteratorINS9_10device_ptrIxEEEESE_SE_xNS9_4plusIvEENS9_8equal_toIxEExEE10hipError_tPvRmT2_T3_T4_T5_mT6_T7_P12ihipStream_tbENKUlT_T0_E_clISt17integral_constantIbLb0EESZ_EEDaSU_SV_EUlSU_E_NS1_11comp_targetILNS1_3genE0ELNS1_11target_archE4294967295ELNS1_3gpuE0ELNS1_3repE0EEENS1_30default_config_static_selectorELNS0_4arch9wavefront6targetE0EEEvT1_,@function
_ZN7rocprim17ROCPRIM_400000_NS6detail17trampoline_kernelINS0_14default_configENS1_27scan_by_key_config_selectorIxxEEZZNS1_16scan_by_key_implILNS1_25lookback_scan_determinismE0ELb0ES3_N6thrust23THRUST_200600_302600_NS6detail15normal_iteratorINS9_10device_ptrIxEEEESE_SE_xNS9_4plusIvEENS9_8equal_toIxEExEE10hipError_tPvRmT2_T3_T4_T5_mT6_T7_P12ihipStream_tbENKUlT_T0_E_clISt17integral_constantIbLb0EESZ_EEDaSU_SV_EUlSU_E_NS1_11comp_targetILNS1_3genE0ELNS1_11target_archE4294967295ELNS1_3gpuE0ELNS1_3repE0EEENS1_30default_config_static_selectorELNS0_4arch9wavefront6targetE0EEEvT1_: ; @_ZN7rocprim17ROCPRIM_400000_NS6detail17trampoline_kernelINS0_14default_configENS1_27scan_by_key_config_selectorIxxEEZZNS1_16scan_by_key_implILNS1_25lookback_scan_determinismE0ELb0ES3_N6thrust23THRUST_200600_302600_NS6detail15normal_iteratorINS9_10device_ptrIxEEEESE_SE_xNS9_4plusIvEENS9_8equal_toIxEExEE10hipError_tPvRmT2_T3_T4_T5_mT6_T7_P12ihipStream_tbENKUlT_T0_E_clISt17integral_constantIbLb0EESZ_EEDaSU_SV_EUlSU_E_NS1_11comp_targetILNS1_3genE0ELNS1_11target_archE4294967295ELNS1_3gpuE0ELNS1_3repE0EEENS1_30default_config_static_selectorELNS0_4arch9wavefront6targetE0EEEvT1_
; %bb.0:
	s_clause 0x3
	s_load_b256 s[20:27], s[0:1], 0x0
	s_load_b256 s[44:51], s[0:1], 0x60
	s_load_b96 s[28:30], s[0:1], 0x50
	s_load_b256 s[36:43], s[0:1], 0x30
	s_getreg_b32 s4, hwreg(HW_REG_IB_STS2, 6, 4)
	s_mov_b32 s3, 0
	s_barrier_signal -1
	s_barrier_wait -1
	s_wait_kmcnt 0x0
	s_lshl_b64 s[34:35], s[22:23], 3
	s_cmp_lg_u64 s[48:49], 0
	s_mov_b32 s2, s30
	s_cselect_b32 s31, -1, 0
	s_bfe_u32 s0, ttmp6, 0x4000c
	s_and_b32 s5, ttmp6, 15
	s_add_co_i32 s0, s0, 1
	s_mov_b32 s23, s3
	s_mul_i32 s6, ttmp9, s0
	s_add_nc_u64 s[0:1], s[20:21], s[34:35]
	s_add_co_i32 s6, s5, s6
	s_cmp_eq_u32 s4, 0
	s_mul_u64 s[4:5], s[28:29], s[2:3]
	s_cselect_b32 s22, ttmp9, s6
	s_add_nc_u64 s[6:7], s[24:25], s[34:35]
	s_add_nc_u64 s[18:19], s[4:5], s[22:23]
	s_add_nc_u64 s[4:5], s[44:45], -1
	s_mul_i32 s2, s22, 0xe00
	v_cmp_ge_u64_e64 s23, s[18:19], s[4:5]
	s_lshl_b64 s[24:25], s[2:3], 3
	s_mul_i32 s30, s4, 0xfffff200
	s_add_nc_u64 s[16:17], s[0:1], s[24:25]
	s_add_nc_u64 s[14:15], s[6:7], s[24:25]
	s_and_b32 vcc_lo, exec_lo, s23
	s_cbranch_vccz .LBB83_32
; %bb.1:
	v_mov_b32_e32 v1, 0
	s_add_co_i32 s33, s30, s42
	s_delay_alu instid0(SALU_CYCLE_1)
	v_cmp_gt_u32_e64 s0, s33, v0
	flat_load_b64 v[2:3], v1, s[16:17]
	s_wait_loadcnt_dscnt 0x0
	v_mov_b64_e32 v[4:5], v[2:3]
	s_and_saveexec_b32 s1, s0
	s_cbranch_execz .LBB83_3
; %bb.2:
	flat_load_b64 v[4:5], v0, s[16:17] scale_offset
.LBB83_3:
	s_wait_xcnt 0x0
	s_or_b32 exec_lo, exec_lo, s1
	v_or_b32_e32 v1, 0x100, v0
	v_mov_b64_e32 v[6:7], v[2:3]
	s_delay_alu instid0(VALU_DEP_2)
	v_cmp_gt_u32_e64 s1, s33, v1
	s_and_saveexec_b32 s2, s1
	s_cbranch_execz .LBB83_5
; %bb.4:
	flat_load_b64 v[6:7], v0, s[16:17] offset:2048 scale_offset
.LBB83_5:
	s_wait_xcnt 0x0
	s_or_b32 exec_lo, exec_lo, s2
	v_or_b32_e32 v1, 0x200, v0
	v_mov_b64_e32 v[8:9], v[2:3]
	s_delay_alu instid0(VALU_DEP_2)
	v_cmp_gt_u32_e64 s2, s33, v1
	s_and_saveexec_b32 s3, s2
	s_cbranch_execz .LBB83_7
; %bb.6:
	flat_load_b64 v[8:9], v0, s[16:17] offset:4096 scale_offset
.LBB83_7:
	;; [unrolled: 11-line block ×12, first 2 shown]
	s_wait_xcnt 0x0
	s_or_b32 exec_lo, exec_lo, s13
	v_or_b32_e32 v1, 0xd00, v0
	s_mov_b32 s20, exec_lo
	s_delay_alu instid0(VALU_DEP_1) | instskip(SKIP_2) | instid1(SALU_CYCLE_1)
	v_cmp_gt_u32_e64 s13, s33, v1
	v_cmpx_le_u32_e64 s33, v1
	s_xor_b32 s20, exec_lo, s20
	s_and_not1_saveexec_b32 s20, s20
	s_cbranch_execz .LBB83_29
; %bb.28:
	flat_load_b64 v[2:3], v0, s[16:17] offset:26624 scale_offset
.LBB83_29:
	s_wait_xcnt 0x0
	s_or_b32 exec_lo, exec_lo, s20
	v_lshlrev_b32_e32 v1, 3, v0
	s_cmp_eq_u64 s[18:19], 0
	s_mov_b64 s[20:21], s[16:17]
	s_wait_loadcnt_dscnt 0x0
	ds_store_2addr_stride64_b64 v1, v[4:5], v[6:7] offset1:4
	ds_store_2addr_stride64_b64 v1, v[8:9], v[10:11] offset0:8 offset1:12
	ds_store_2addr_stride64_b64 v1, v[12:13], v[14:15] offset0:16 offset1:20
	;; [unrolled: 1-line block ×6, first 2 shown]
	v_mad_u32_u24 v103, 0x68, v0, v1
	s_wait_dscnt 0x0
	s_barrier_signal -1
	s_barrier_wait -1
	ds_load_b128 v[76:79], v103 offset:16
	ds_load_2addr_b64 v[64:67], v103 offset0:3 offset1:4
	ds_load_b128 v[72:75], v103
	ds_load_2addr_b64 v[80:83], v103 offset0:1 offset1:2
	ds_load_2addr_b64 v[52:55], v103 offset0:7 offset1:8
	;; [unrolled: 1-line block ×5, first 2 shown]
	ds_load_b64 v[86:87], v103 offset:104
	s_cbranch_scc1 .LBB83_35
; %bb.30:
	s_and_not1_b32 vcc_lo, exec_lo, s31
	s_cbranch_vccnz .LBB83_33
; %bb.31:
	s_lshl_b64 s[20:21], s[18:19], 3
	s_mov_b32 s43, 0
	s_add_nc_u64 s[20:21], s[50:51], s[20:21]
	s_delay_alu instid0(SALU_CYCLE_1)
	s_add_nc_u64 s[20:21], s[20:21], -8
	s_branch .LBB83_34
.LBB83_32:
                                        ; implicit-def: $sgpr5
                                        ; implicit-def: $vgpr97
                                        ; implicit-def: $vgpr90
                                        ; implicit-def: $vgpr96
                                        ; implicit-def: $vgpr95
                                        ; implicit-def: $vgpr108
                                        ; implicit-def: $vgpr89
                                        ; implicit-def: $vgpr104
                                        ; implicit-def: $vgpr101
                                        ; implicit-def: $vgpr20_vgpr21
                                        ; implicit-def: $vgpr34_vgpr35
                                        ; implicit-def: $vgpr38_vgpr39
                                        ; implicit-def: $vgpr42_vgpr43
                                        ; implicit-def: $vgpr46_vgpr47
                                        ; implicit-def: $vgpr62_vgpr63
                                        ; implicit-def: $vgpr4_vgpr5
                                        ; implicit-def: $vgpr110
                                        ; implicit-def: $vgpr94
                                        ; implicit-def: $vgpr91
                                        ; implicit-def: $vgpr92
                                        ; implicit-def: $vgpr93
                                        ; implicit-def: $vgpr102
                                        ; implicit-def: $vgpr100
                                        ; implicit-def: $vgpr99
                                        ; implicit-def: $vgpr98
                                        ; implicit-def: $vgpr88
                                        ; implicit-def: $vgpr109
                                        ; implicit-def: $vgpr106
                                        ; implicit-def: $vgpr105
                                        ; implicit-def: $vgpr84_vgpr85
                                        ; implicit-def: $vgpr28_vgpr29
                                        ; implicit-def: $vgpr24_vgpr25
                                        ; implicit-def: $vgpr16_vgpr17
                                        ; implicit-def: $vgpr12_vgpr13
                                        ; implicit-def: $vgpr1
                                        ; implicit-def: $vgpr30_vgpr31
                                        ; implicit-def: $vgpr26_vgpr27
                                        ; implicit-def: $vgpr22_vgpr23
                                        ; implicit-def: $vgpr14_vgpr15
                                        ; implicit-def: $vgpr10_vgpr11
                                        ; implicit-def: $vgpr6_vgpr7
	v_lshlrev_b32_e32 v64, 3, v0
	s_cbranch_execnz .LBB83_79
	s_branch .LBB83_100
.LBB83_33:
	s_add_nc_u64 s[20:21], s[16:17], -8
	s_mov_b32 s43, -1
.LBB83_34:
	s_delay_alu instid0(SALU_CYCLE_1)
	s_and_not1_b32 vcc_lo, exec_lo, s43
.LBB83_35:
	v_mov_b32_e32 v2, 0
	flat_load_b64 v[8:9], v2, s[20:21]
	s_wait_xcnt 0x0
	v_mad_i32_i24 v2, 0xffffff98, v0, v103
	s_mov_b32 s20, exec_lo
	s_wait_dscnt 0x1
	ds_store_b64 v2, v[86:87] offset:28672
	s_wait_loadcnt_dscnt 0x0
	s_barrier_signal -1
	s_barrier_wait -1
	v_cmpx_ne_u32_e32 0, v0
; %bb.36:
	v_mul_i32_i24_e32 v2, 0xffffff98, v0
	s_delay_alu instid0(VALU_DEP_1)
	v_add_nc_u32_e32 v2, v103, v2
	ds_load_b64 v[8:9], v2 offset:28664
; %bb.37:
	s_or_b32 exec_lo, exec_lo, s20
	s_wait_dscnt 0x0
	s_barrier_signal -1
	s_barrier_wait -1
                                        ; implicit-def: $vgpr2_vgpr3
	s_and_saveexec_b32 s20, s0
	s_cbranch_execnz .LBB83_82
; %bb.38:
	s_or_b32 exec_lo, exec_lo, s20
                                        ; implicit-def: $vgpr4_vgpr5
	s_and_saveexec_b32 s0, s1
	s_cbranch_execnz .LBB83_83
.LBB83_39:
	s_or_b32 exec_lo, exec_lo, s0
                                        ; implicit-def: $vgpr6_vgpr7
	s_and_saveexec_b32 s0, s2
	s_cbranch_execnz .LBB83_84
.LBB83_40:
	s_or_b32 exec_lo, exec_lo, s0
                                        ; implicit-def: $vgpr10_vgpr11
	s_and_saveexec_b32 s0, s3
	s_cbranch_execnz .LBB83_85
.LBB83_41:
	s_or_b32 exec_lo, exec_lo, s0
                                        ; implicit-def: $vgpr12_vgpr13
	s_and_saveexec_b32 s0, s4
	s_cbranch_execnz .LBB83_86
.LBB83_42:
	s_or_b32 exec_lo, exec_lo, s0
                                        ; implicit-def: $vgpr14_vgpr15
	s_and_saveexec_b32 s0, s5
	s_cbranch_execnz .LBB83_87
.LBB83_43:
	s_or_b32 exec_lo, exec_lo, s0
                                        ; implicit-def: $vgpr16_vgpr17
	s_and_saveexec_b32 s0, s6
	s_cbranch_execnz .LBB83_88
.LBB83_44:
	s_or_b32 exec_lo, exec_lo, s0
                                        ; implicit-def: $vgpr18_vgpr19
	s_and_saveexec_b32 s0, s7
	s_cbranch_execnz .LBB83_89
.LBB83_45:
	s_or_b32 exec_lo, exec_lo, s0
                                        ; implicit-def: $vgpr20_vgpr21
	s_and_saveexec_b32 s0, s8
	s_cbranch_execnz .LBB83_90
.LBB83_46:
	s_or_b32 exec_lo, exec_lo, s0
                                        ; implicit-def: $vgpr22_vgpr23
	s_and_saveexec_b32 s0, s9
	s_cbranch_execnz .LBB83_91
.LBB83_47:
	s_or_b32 exec_lo, exec_lo, s0
                                        ; implicit-def: $vgpr24_vgpr25
	s_and_saveexec_b32 s0, s10
	s_cbranch_execnz .LBB83_92
.LBB83_48:
	s_or_b32 exec_lo, exec_lo, s0
                                        ; implicit-def: $vgpr26_vgpr27
	s_and_saveexec_b32 s0, s11
	s_cbranch_execnz .LBB83_93
.LBB83_49:
	s_or_b32 exec_lo, exec_lo, s0
                                        ; implicit-def: $vgpr28_vgpr29
	s_and_saveexec_b32 s0, s12
	s_cbranch_execnz .LBB83_94
.LBB83_50:
	s_or_b32 exec_lo, exec_lo, s0
                                        ; implicit-def: $vgpr30_vgpr31
	s_and_saveexec_b32 s0, s13
	s_cbranch_execz .LBB83_52
.LBB83_51:
	flat_load_b64 v[30:31], v0, s[14:15] offset:26624 scale_offset
.LBB83_52:
	s_wait_xcnt 0x0
	s_or_b32 exec_lo, exec_lo, s0
	v_mul_u32_u24_e32 v107, 14, v0
	s_wait_loadcnt_dscnt 0x0
	ds_store_2addr_stride64_b64 v1, v[2:3], v[4:5] offset1:4
	ds_store_2addr_stride64_b64 v1, v[6:7], v[10:11] offset0:8 offset1:12
	ds_store_2addr_stride64_b64 v1, v[12:13], v[14:15] offset0:16 offset1:20
	ds_store_2addr_stride64_b64 v1, v[16:17], v[18:19] offset0:24 offset1:28
	ds_store_2addr_stride64_b64 v1, v[20:21], v[22:23] offset0:32 offset1:36
	ds_store_2addr_stride64_b64 v1, v[24:25], v[26:27] offset0:40 offset1:44
	ds_store_2addr_stride64_b64 v1, v[28:29], v[30:31] offset0:48 offset1:52
	v_mov_b64_e32 v[34:35], 0
	v_mov_b64_e32 v[32:33], 0
	;; [unrolled: 1-line block ×24, first 2 shown]
	v_cmp_gt_u32_e32 vcc_lo, s33, v107
	v_dual_mov_b32 v97, 0 :: v_dual_mov_b32 v90, 0
	v_dual_mov_b32 v96, 0 :: v_dual_mov_b32 v95, 0
	;; [unrolled: 1-line block ×11, first 2 shown]
	s_mov_b32 s4, 0
	s_mov_b32 s3, 0
	s_wait_dscnt 0x0
	s_barrier_signal -1
	s_barrier_wait -1
                                        ; implicit-def: $sgpr5
	s_and_saveexec_b32 s6, vcc_lo
	s_cbranch_execz .LBB83_78
; %bb.53:
	ds_load_b64 v[2:3], v103
	v_dual_mov_b32 v97, 0 :: v_dual_bitop2_b32 v1, 1, v107 bitop3:0x54
	v_mov_b64_e32 v[34:35], 0
	v_mov_b64_e32 v[32:33], 0
	;; [unrolled: 1-line block ×23, first 2 shown]
	v_cmp_gt_u32_e64 s0, s33, v1
	v_dual_mov_b32 v90, 0 :: v_dual_mov_b32 v96, 0
	v_dual_mov_b32 v95, 0 :: v_dual_mov_b32 v108, 0
	;; [unrolled: 1-line block ×9, first 2 shown]
	v_mov_b32_e32 v105, 0
	s_mov_b32 s1, 0
	v_cmp_ne_u64_e32 vcc_lo, v[8:9], v[72:73]
                                        ; implicit-def: $sgpr5
	s_and_saveexec_b32 s3, s0
	s_cbranch_execz .LBB83_77
; %bb.54:
	ds_load_2addr_b64 v[6:9], v103 offset0:1 offset1:2
	v_cmp_ne_u64_e64 s0, v[74:75], v[82:83]
	v_cmp_ne_u64_e64 s2, v[72:73], v[80:81]
	v_dual_add_nc_u32 v5, 2, v107 :: v_dual_mov_b32 v97, 0
	v_cmp_ne_u64_e64 s1, v[78:79], v[66:67]
	v_mov_b64_e32 v[34:35], 0
	v_mov_b64_e32 v[32:33], 0
	v_cndmask_b32_e64 v1, 0, 1, s0
	v_cmp_ne_u64_e64 s0, v[76:77], v[64:65]
	v_mov_b64_e32 v[38:39], 0
	v_mov_b64_e32 v[36:37], 0
	;; [unrolled: 1-line block ×19, first 2 shown]
	v_lshlrev_b16 v1, 8, v1
	v_cndmask_b32_e64 v4, 0, 1, s2
	v_cmp_gt_u32_e64 s2, s33, v5
	v_dual_mov_b32 v90, 0 :: v_dual_mov_b32 v96, 0
	v_dual_mov_b32 v95, 0 :: v_dual_mov_b32 v89, 0
	;; [unrolled: 1-line block ×8, first 2 shown]
	v_mov_b32_e32 v105, 0
	s_mov_b32 s8, 0
                                        ; implicit-def: $sgpr5
	s_and_saveexec_b32 s7, s2
	s_cbranch_execz .LBB83_76
; %bb.55:
	v_cndmask_b32_e64 v5, 0, 1, s1
	v_cndmask_b32_e64 v10, 0, 1, s0
	v_and_b32_e32 v11, 0xffff, v1
	v_dual_mov_b32 v97, 0 :: v_dual_add_nc_u32 v12, 3, v107
	s_delay_alu instid0(VALU_DEP_4)
	v_lshlrev_b16 v5, 8, v5
	v_mov_b32_e32 v95, 0
	v_mov_b64_e32 v[34:35], 0
	v_mov_b64_e32 v[32:33], 0
	v_mov_b64_e32 v[38:39], 0
	v_or_b32_e32 v5, v10, v5
	v_mov_b64_e32 v[36:37], 0
	v_mov_b64_e32 v[42:43], 0
	;; [unrolled: 1-line block ×4, first 2 shown]
	v_dual_lshlrev_b32 v60, 16, v5 :: v_dual_mov_b32 v94, 0
	v_mov_b64_e32 v[44:45], 0
	v_mov_b64_e32 v[62:63], 0
	;; [unrolled: 1-line block ×3, first 2 shown]
	s_delay_alu instid0(VALU_DEP_4) | instskip(SKIP_3) | instid1(VALU_DEP_4)
	v_dual_mov_b32 v91, 0 :: v_dual_bitop2_b32 v10, v11, v60 bitop3:0x54
	v_mov_b64_e32 v[30:31], 0
	v_mov_b64_e32 v[84:85], 0
	;; [unrolled: 1-line block ×3, first 2 shown]
	v_dual_mov_b32 v92, 0 :: v_dual_lshrrev_b32 v89, 8, v10
	v_mov_b64_e32 v[28:29], 0
	v_mov_b64_e32 v[22:23], 0
	;; [unrolled: 1-line block ×6, first 2 shown]
	v_dual_mov_b32 v90, 0 :: v_dual_mov_b32 v96, 0
	v_dual_mov_b32 v104, 0 :: v_dual_mov_b32 v101, 0
	v_cmp_gt_u32_e64 s0, s33, v12
	v_dual_mov_b32 v93, 0 :: v_dual_mov_b32 v102, 0
	v_dual_mov_b32 v100, 0 :: v_dual_mov_b32 v99, 0
	;; [unrolled: 1-line block ×3, first 2 shown]
	v_mov_b32_e32 v105, 0
	s_mov_b32 s1, 0
                                        ; implicit-def: $sgpr5
	s_and_saveexec_b32 s8, s0
	s_cbranch_execz .LBB83_75
; %bb.56:
	ds_load_2addr_b64 v[10:13], v103 offset0:3 offset1:4
	v_dual_mov_b32 v97, 0 :: v_dual_add_nc_u32 v14, 4, v107
	v_mov_b64_e32 v[34:35], 0
	v_mov_b64_e32 v[32:33], 0
	;; [unrolled: 1-line block ×3, first 2 shown]
	s_delay_alu instid0(VALU_DEP_4)
	v_cmp_gt_u32_e64 s0, s33, v14
	v_mov_b64_e32 v[36:37], 0
	v_mov_b64_e32 v[42:43], 0
	v_mov_b64_e32 v[40:41], 0
	v_mov_b64_e32 v[46:47], 0
	v_mov_b64_e32 v[44:45], 0
	v_mov_b64_e32 v[18:19], 0
	v_mov_b64_e32 v[30:31], 0
	v_mov_b64_e32 v[84:85], 0
	v_mov_b64_e32 v[26:27], 0
	v_mov_b64_e32 v[28:29], 0
	v_mov_b64_e32 v[22:23], 0
	v_mov_b64_e32 v[24:25], 0
	v_mov_b64_e32 v[14:15], 0
	v_mov_b64_e32 v[16:17], 0
	v_dual_mov_b32 v90, 0 :: v_dual_mov_b32 v96, 0
	v_dual_mov_b32 v95, 0 :: v_dual_mov_b32 v101, 0
	;; [unrolled: 1-line block ×6, first 2 shown]
	v_mov_b32_e32 v105, 0
                                        ; implicit-def: $sgpr5
	s_and_saveexec_b32 s9, s0
	s_cbranch_execz .LBB83_74
; %bb.57:
	v_dual_mov_b32 v97, 0 :: v_dual_add_nc_u32 v14, 5, v107
	v_mov_b64_e32 v[34:35], 0
	v_mov_b64_e32 v[32:33], 0
	;; [unrolled: 1-line block ×3, first 2 shown]
	s_delay_alu instid0(VALU_DEP_4)
	v_cmp_gt_u32_e64 s0, s33, v14
	v_mov_b64_e32 v[36:37], 0
	v_mov_b64_e32 v[42:43], 0
	;; [unrolled: 1-line block ×12, first 2 shown]
	v_dual_mov_b32 v90, 0 :: v_dual_mov_b32 v96, 0
	v_dual_mov_b32 v95, 0 :: v_dual_mov_b32 v94, 0
	;; [unrolled: 1-line block ×5, first 2 shown]
                                        ; implicit-def: $sgpr5
	s_and_saveexec_b32 s10, s0
	s_cbranch_execz .LBB83_73
; %bb.58:
	ds_load_2addr_b64 v[14:17], v103 offset0:5 offset1:6
	v_cmp_ne_u64_e64 s0, v[68:69], v[70:71]
	v_cmp_ne_u64_e64 s2, v[66:67], v[68:69]
	v_dual_mov_b32 v90, 0 :: v_dual_add_nc_u32 v19, 6, v107
	v_cmp_ne_u64_e64 s1, v[52:53], v[54:55]
	v_mov_b64_e32 v[34:35], 0
	v_mov_b64_e32 v[32:33], 0
	v_cndmask_b32_e64 v18, 0, 1, s0
	v_cmp_ne_u64_e64 s0, v[70:71], v[52:53]
	v_cndmask_b32_e64 v45, 0, 1, s2
	v_cmp_gt_u32_e64 s2, s33, v19
	v_mov_b64_e32 v[38:39], 0
	v_lshlrev_b16 v44, 8, v18
	v_mov_b64_e32 v[36:37], 0
	v_mov_b64_e32 v[42:43], 0
	;; [unrolled: 1-line block ×10, first 2 shown]
	v_dual_mov_b32 v96, 0 :: v_dual_mov_b32 v95, 0
	v_dual_mov_b32 v94, 0 :: v_dual_mov_b32 v91, 0
	;; [unrolled: 1-line block ×4, first 2 shown]
	v_mov_b32_e32 v98, 0
	s_mov_b32 s12, 0
                                        ; implicit-def: $sgpr5
	s_and_saveexec_b32 s11, s2
	s_cbranch_execz .LBB83_72
; %bb.59:
	v_cndmask_b32_e64 v18, 0, 1, s1
	v_cndmask_b32_e64 v19, 0, 1, s0
	v_and_b32_e32 v20, 0xffff, v44
	v_mov_b64_e32 v[34:35], 0
	v_mov_b64_e32 v[32:33], 0
	v_lshlrev_b16 v18, 8, v18
	v_mov_b32_e32 v95, 0
	v_mov_b64_e32 v[38:39], 0
	v_mov_b64_e32 v[36:37], 0
	;; [unrolled: 1-line block ×3, first 2 shown]
	v_or_b32_e32 v40, v19, v18
	v_mov_b64_e32 v[18:19], 0
	v_mov_b64_e32 v[30:31], 0
	;; [unrolled: 1-line block ×4, first 2 shown]
	v_dual_mov_b32 v92, 0 :: v_dual_lshlrev_b32 v41, 16, v40
	v_mov_b64_e32 v[28:29], 0
	v_mov_b64_e32 v[22:23], 0
	v_dual_mov_b32 v96, 0 :: v_dual_add_nc_u32 v21, 7, v107
	s_delay_alu instid0(VALU_DEP_4) | instskip(SKIP_1) | instid1(VALU_DEP_2)
	v_dual_mov_b32 v93, 0 :: v_dual_bitop2_b32 v20, v20, v41 bitop3:0x54
	v_dual_mov_b32 v94, 0 :: v_dual_mov_b32 v91, 0
	v_dual_mov_b32 v98, 0 :: v_dual_lshrrev_b32 v90, 8, v20
	s_mov_b32 s1, 0
	s_mov_b32 s12, exec_lo
                                        ; implicit-def: $sgpr5
	v_cmpx_gt_u32_e64 s33, v21
	s_cbranch_execz .LBB83_71
; %bb.60:
	ds_load_2addr_b64 v[22:25], v103 offset0:7 offset1:8
	v_dual_mov_b32 v95, 0 :: v_dual_add_nc_u32 v18, 8, v107
	v_mov_b64_e32 v[34:35], 0
	v_mov_b64_e32 v[32:33], 0
	;; [unrolled: 1-line block ×3, first 2 shown]
	s_delay_alu instid0(VALU_DEP_4)
	v_cmp_gt_u32_e64 s0, s33, v18
	v_mov_b64_e32 v[36:37], 0
	v_mov_b64_e32 v[18:19], 0
	;; [unrolled: 1-line block ×6, first 2 shown]
	v_dual_mov_b32 v94, 0 :: v_dual_mov_b32 v91, 0
	v_dual_mov_b32 v92, 0 :: v_dual_mov_b32 v93, 0
                                        ; implicit-def: $sgpr5
	s_and_saveexec_b32 s13, s0
	s_cbranch_execz .LBB83_70
; %bb.61:
	v_dual_add_nc_u32 v18, 9, v107 :: v_dual_mov_b32 v94, 0
	v_mov_b64_e32 v[34:35], 0
	v_mov_b64_e32 v[32:33], 0
	;; [unrolled: 1-line block ×3, first 2 shown]
	s_delay_alu instid0(VALU_DEP_4)
	v_cmp_gt_u32_e64 s0, s33, v18
	v_mov_b64_e32 v[18:19], 0
	v_mov_b64_e32 v[30:31], 0
	;; [unrolled: 1-line block ×4, first 2 shown]
	v_dual_mov_b32 v91, 0 :: v_dual_mov_b32 v92, 0
	v_mov_b32_e32 v93, 0
                                        ; implicit-def: $sgpr5
	s_and_saveexec_b32 s20, s0
	s_cbranch_execz .LBB83_69
; %bb.62:
	ds_load_2addr_b64 v[26:29], v103 offset0:9 offset1:10
	v_cmp_ne_u64_e64 s0, v[56:57], v[58:59]
	v_cmp_ne_u64_e64 s2, v[54:55], v[56:57]
	v_dual_add_nc_u32 v19, 10, v107 :: v_dual_mov_b32 v91, 0
	v_cmp_ne_u64_e64 s1, v[48:49], v[50:51]
	v_mov_b64_e32 v[34:35], 0
	v_mov_b64_e32 v[32:33], 0
	v_cndmask_b32_e64 v18, 0, 1, s0
	v_cmp_ne_u64_e64 s0, v[58:59], v[48:49]
	v_cndmask_b32_e64 v37, 0, 1, s2
	v_cmp_gt_u32_e64 s2, s33, v19
	v_mov_b64_e32 v[30:31], 0
	v_lshlrev_b16 v36, 8, v18
	v_mov_b64_e32 v[18:19], 0
	v_mov_b64_e32 v[84:85], 0
	v_dual_mov_b32 v92, 0 :: v_dual_mov_b32 v93, 0
	s_mov_b32 s43, 0
                                        ; implicit-def: $sgpr5
	s_and_saveexec_b32 s21, s2
	s_cbranch_execz .LBB83_68
; %bb.63:
	v_cndmask_b32_e64 v18, 0, 1, s1
	v_cndmask_b32_e64 v19, 0, 1, s0
	v_mov_b64_e32 v[30:31], 0
	s_mov_b32 s2, 0
	s_mov_b32 s1, exec_lo
	v_lshlrev_b16 v18, 8, v18
                                        ; implicit-def: $sgpr5
	v_dual_add_nc_u32 v20, 11, v107 :: v_dual_mov_b32 v92, 0
	s_delay_alu instid0(VALU_DEP_2) | instskip(SKIP_1) | instid1(VALU_DEP_2)
	v_dual_mov_b32 v93, 0 :: v_dual_bitop2_b32 v34, v19, v18 bitop3:0x54
	v_and_b32_e32 v18, 0xffff, v36
	v_lshlrev_b32_e32 v35, 16, v34
	s_delay_alu instid0(VALU_DEP_1) | instskip(SKIP_1) | instid1(VALU_DEP_2)
	v_or_b32_e32 v21, v18, v35
	v_mov_b64_e32 v[18:19], 0
	v_lshrrev_b32_e32 v91, 8, v21
	v_cmpx_gt_u32_e64 s33, v20
	s_cbranch_execz .LBB83_67
; %bb.64:
	ds_load_2addr_b64 v[30:33], v103 offset0:11 offset1:12
	v_mov_b64_e32 v[18:19], 0
	v_dual_mov_b32 v93, 0 :: v_dual_add_nc_u32 v20, 12, v107
	s_mov_b32 s43, exec_lo
                                        ; implicit-def: $sgpr5
	s_delay_alu instid0(VALU_DEP_1)
	v_cmpx_gt_u32_e64 s33, v20
	s_xor_b32 s43, exec_lo, s43
	s_cbranch_execz .LBB83_66
; %bb.65:
	ds_load_b64 v[20:21], v103 offset:104
	v_add_nc_u32_e32 v18, 13, v107
	v_cmp_ne_u64_e64 s5, v[50:51], v[86:87]
	v_lshrrev_b32_e32 v93, 24, v35
	s_delay_alu instid0(VALU_DEP_3)
	v_cmp_gt_u32_e64 s0, s33, v18
	s_wait_dscnt 0x1
	v_mov_b64_e32 v[18:19], v[32:33]
	s_and_b32 s2, s0, exec_lo
.LBB83_66:
	s_or_b32 exec_lo, exec_lo, s43
	v_mov_b32_e32 v92, v34
	s_and_b32 s2, s2, exec_lo
.LBB83_67:
	s_or_b32 exec_lo, exec_lo, s1
	s_wait_dscnt 0x0
	v_mov_b64_e32 v[34:35], v[30:31]
	v_mov_b64_e32 v[32:33], v[28:29]
	;; [unrolled: 1-line block ×3, first 2 shown]
	s_and_b32 s43, s2, exec_lo
.LBB83_68:
	s_or_b32 exec_lo, exec_lo, s21
	s_wait_dscnt 0x0
	v_mov_b64_e32 v[38:39], v[26:27]
	v_or_b32_e32 v94, v37, v36
	s_and_b32 s1, s43, exec_lo
.LBB83_69:
	s_or_b32 exec_lo, exec_lo, s20
	s_wait_dscnt 0x0
	v_mov_b64_e32 v[36:37], v[24:25]
	v_mov_b64_e32 v[28:29], v[24:25]
	v_lshrrev_b32_e32 v95, 24, v41
	s_and_b32 s1, s1, exec_lo
.LBB83_70:
	s_or_b32 exec_lo, exec_lo, s13
	s_wait_dscnt 0x0
	v_mov_b64_e32 v[42:43], v[22:23]
	v_dual_mov_b32 v96, v40 :: v_dual_mov_b32 v98, v95
	s_and_b32 s1, s1, exec_lo
.LBB83_71:
	s_or_b32 exec_lo, exec_lo, s12
	s_wait_dscnt 0x0
	v_mov_b64_e32 v[40:41], v[16:17]
	v_mov_b64_e32 v[24:25], v[16:17]
	v_dual_mov_b32 v100, v90 :: v_dual_mov_b32 v99, v96
	s_and_b32 s12, s1, exec_lo
.LBB83_72:
	s_or_b32 exec_lo, exec_lo, s11
	s_wait_dscnt 0x0
	v_mov_b64_e32 v[46:47], v[14:15]
	v_or_b32_e32 v97, v45, v44
	s_and_b32 s1, s12, exec_lo
.LBB83_73:
	s_or_b32 exec_lo, exec_lo, s10
	s_delay_alu instid0(VALU_DEP_1)
	v_dual_mov_b32 v102, v97 :: v_dual_lshrrev_b32 v101, 24, v60
	s_wait_dscnt 0x0
	v_mov_b64_e32 v[44:45], v[12:13]
	v_mov_b64_e32 v[16:17], v[12:13]
	s_and_b32 s1, s1, exec_lo
	v_mov_b32_e32 v105, v101
.LBB83_74:
	s_or_b32 exec_lo, exec_lo, s9
	s_wait_dscnt 0x0
	v_mov_b64_e32 v[62:63], v[10:11]
	v_dual_mov_b32 v104, v5 :: v_dual_mov_b32 v106, v5
	s_and_b32 s1, s1, exec_lo
.LBB83_75:
	s_or_b32 exec_lo, exec_lo, s8
	s_wait_dscnt 0x0
	v_mov_b64_e32 v[60:61], v[8:9]
	v_mov_b64_e32 v[12:13], v[8:9]
	v_mov_b32_e32 v109, v89
	s_and_b32 s8, s1, exec_lo
.LBB83_76:
	s_or_b32 exec_lo, exec_lo, s7
	v_or_b32_e32 v108, v4, v1
	s_wait_dscnt 0x0
	v_mov_b64_e32 v[4:5], v[6:7]
	s_and_b32 s1, s8, exec_lo
	s_delay_alu instid0(VALU_DEP_2)
	v_mov_b32_e32 v88, v108
.LBB83_77:
	s_or_b32 exec_lo, exec_lo, s3
	v_cndmask_b32_e64 v110, 0, 1, vcc_lo
	s_and_b32 s3, s1, exec_lo
	s_delay_alu instid0(VALU_DEP_1)
	v_mov_b32_e32 v1, v110
.LBB83_78:
	s_or_b32 exec_lo, exec_lo, s6
	v_lshlrev_b32_e32 v64, 3, v0
	s_and_b32 vcc_lo, exec_lo, s4
	s_cbranch_vccz .LBB83_100
.LBB83_79:
	s_wait_dscnt 0x0
	s_clause 0xd
	flat_load_b64 v[2:3], v0, s[16:17] scale_offset
	flat_load_b64 v[4:5], v0, s[16:17] offset:2048 scale_offset
	flat_load_b64 v[6:7], v0, s[16:17] offset:4096 scale_offset
	;; [unrolled: 1-line block ×13, first 2 shown]
	v_mad_u32_u24 v48, 0x68, v0, v64
	v_mov_b32_e32 v1, 0
	s_cmp_eq_u64 s[18:19], 0
	s_wait_loadcnt_dscnt 0xc0c
	ds_store_2addr_stride64_b64 v64, v[2:3], v[4:5] offset1:4
	s_wait_loadcnt_dscnt 0xa0b
	ds_store_2addr_stride64_b64 v64, v[6:7], v[8:9] offset0:8 offset1:12
	s_wait_loadcnt_dscnt 0x80a
	ds_store_2addr_stride64_b64 v64, v[10:11], v[12:13] offset0:16 offset1:20
	;; [unrolled: 2-line block ×6, first 2 shown]
	s_wait_dscnt 0x0
	s_barrier_signal -1
	s_barrier_wait -1
	ds_load_b128 v[6:9], v48 offset:16
	ds_load_2addr_b64 v[10:13], v48 offset0:3 offset1:4
	ds_load_b128 v[2:5], v48
	ds_load_2addr_b64 v[14:17], v48 offset0:1 offset1:2
	ds_load_2addr_b64 v[18:21], v48 offset0:7 offset1:8
	;; [unrolled: 1-line block ×5, first 2 shown]
	ds_load_b64 v[34:35], v48 offset:104
	s_cbranch_scc1 .LBB83_97
; %bb.80:
	s_and_not1_b32 vcc_lo, exec_lo, s31
	s_cbranch_vccnz .LBB83_95
; %bb.81:
	s_lshl_b64 s[0:1], s[18:19], 3
	s_delay_alu instid0(SALU_CYCLE_1) | instskip(NEXT) | instid1(SALU_CYCLE_1)
	s_add_nc_u64 s[0:1], s[50:51], s[0:1]
	s_add_nc_u64 s[16:17], s[0:1], -8
	s_mov_b32 s0, 0
	s_branch .LBB83_96
.LBB83_82:
	flat_load_b64 v[2:3], v0, s[14:15] scale_offset
	s_wait_xcnt 0x0
	s_or_b32 exec_lo, exec_lo, s20
                                        ; implicit-def: $vgpr4_vgpr5
	s_and_saveexec_b32 s0, s1
	s_cbranch_execz .LBB83_39
.LBB83_83:
	flat_load_b64 v[4:5], v0, s[14:15] offset:2048 scale_offset
	s_wait_xcnt 0x0
	s_or_b32 exec_lo, exec_lo, s0
                                        ; implicit-def: $vgpr6_vgpr7
	s_and_saveexec_b32 s0, s2
	s_cbranch_execz .LBB83_40
.LBB83_84:
	flat_load_b64 v[6:7], v0, s[14:15] offset:4096 scale_offset
	s_wait_xcnt 0x0
	s_or_b32 exec_lo, exec_lo, s0
                                        ; implicit-def: $vgpr10_vgpr11
	s_and_saveexec_b32 s0, s3
	s_cbranch_execz .LBB83_41
.LBB83_85:
	flat_load_b64 v[10:11], v0, s[14:15] offset:6144 scale_offset
	s_wait_xcnt 0x0
	s_or_b32 exec_lo, exec_lo, s0
                                        ; implicit-def: $vgpr12_vgpr13
	s_and_saveexec_b32 s0, s4
	s_cbranch_execz .LBB83_42
.LBB83_86:
	flat_load_b64 v[12:13], v0, s[14:15] offset:8192 scale_offset
	s_wait_xcnt 0x0
	s_or_b32 exec_lo, exec_lo, s0
                                        ; implicit-def: $vgpr14_vgpr15
	s_and_saveexec_b32 s0, s5
	s_cbranch_execz .LBB83_43
.LBB83_87:
	flat_load_b64 v[14:15], v0, s[14:15] offset:10240 scale_offset
	s_wait_xcnt 0x0
	s_or_b32 exec_lo, exec_lo, s0
                                        ; implicit-def: $vgpr16_vgpr17
	s_and_saveexec_b32 s0, s6
	s_cbranch_execz .LBB83_44
.LBB83_88:
	flat_load_b64 v[16:17], v0, s[14:15] offset:12288 scale_offset
	s_wait_xcnt 0x0
	s_or_b32 exec_lo, exec_lo, s0
                                        ; implicit-def: $vgpr18_vgpr19
	s_and_saveexec_b32 s0, s7
	s_cbranch_execz .LBB83_45
.LBB83_89:
	flat_load_b64 v[18:19], v0, s[14:15] offset:14336 scale_offset
	s_wait_xcnt 0x0
	s_or_b32 exec_lo, exec_lo, s0
                                        ; implicit-def: $vgpr20_vgpr21
	s_and_saveexec_b32 s0, s8
	s_cbranch_execz .LBB83_46
.LBB83_90:
	flat_load_b64 v[20:21], v0, s[14:15] offset:16384 scale_offset
	s_wait_xcnt 0x0
	s_or_b32 exec_lo, exec_lo, s0
                                        ; implicit-def: $vgpr22_vgpr23
	s_and_saveexec_b32 s0, s9
	s_cbranch_execz .LBB83_47
.LBB83_91:
	flat_load_b64 v[22:23], v0, s[14:15] offset:18432 scale_offset
	s_wait_xcnt 0x0
	s_or_b32 exec_lo, exec_lo, s0
                                        ; implicit-def: $vgpr24_vgpr25
	s_and_saveexec_b32 s0, s10
	s_cbranch_execz .LBB83_48
.LBB83_92:
	flat_load_b64 v[24:25], v0, s[14:15] offset:20480 scale_offset
	s_wait_xcnt 0x0
	s_or_b32 exec_lo, exec_lo, s0
                                        ; implicit-def: $vgpr26_vgpr27
	s_and_saveexec_b32 s0, s11
	s_cbranch_execz .LBB83_49
.LBB83_93:
	flat_load_b64 v[26:27], v0, s[14:15] offset:22528 scale_offset
	s_wait_xcnt 0x0
	s_or_b32 exec_lo, exec_lo, s0
                                        ; implicit-def: $vgpr28_vgpr29
	s_and_saveexec_b32 s0, s12
	s_cbranch_execz .LBB83_50
.LBB83_94:
	flat_load_b64 v[28:29], v0, s[14:15] offset:24576 scale_offset
	s_wait_xcnt 0x0
	s_or_b32 exec_lo, exec_lo, s0
                                        ; implicit-def: $vgpr30_vgpr31
	s_and_saveexec_b32 s0, s13
	s_cbranch_execnz .LBB83_51
	s_branch .LBB83_52
.LBB83_95:
	s_add_nc_u64 s[16:17], s[16:17], -8
	s_mov_b32 s0, -1
.LBB83_96:
	s_delay_alu instid0(SALU_CYCLE_1)
	s_and_not1_b32 vcc_lo, exec_lo, s0
.LBB83_97:
	flat_load_b64 v[36:37], v1, s[16:17]
	s_wait_xcnt 0x0
	v_mad_i32_i24 v1, 0xffffff98, v0, v48
	s_mov_b32 s0, exec_lo
	s_wait_dscnt 0x1
	ds_store_b64 v1, v[34:35] offset:28672
	s_wait_loadcnt_dscnt 0x0
	s_barrier_signal -1
	s_barrier_wait -1
	v_cmpx_ne_u32_e32 0, v0
; %bb.98:
	v_mul_i32_i24_e32 v1, 0xffffff98, v0
	s_delay_alu instid0(VALU_DEP_1)
	v_add_nc_u32_e32 v1, v48, v1
	ds_load_b64 v[36:37], v1 offset:28664
; %bb.99:
	s_or_b32 exec_lo, exec_lo, s0
	s_wait_dscnt 0x0
	s_barrier_signal -1
	s_barrier_wait -1
	s_clause 0xd
	flat_load_b64 v[38:39], v0, s[14:15] scale_offset
	flat_load_b64 v[40:41], v0, s[14:15] offset:2048 scale_offset
	flat_load_b64 v[42:43], v0, s[14:15] offset:4096 scale_offset
	;; [unrolled: 1-line block ×13, first 2 shown]
	v_cmp_ne_u64_e32 vcc_lo, v[30:31], v[32:33]
	v_cmp_ne_u64_e64 s5, v[28:29], v[34:35]
	s_mov_b32 s3, -1
	s_wait_loadcnt_dscnt 0xc0c
	ds_store_2addr_stride64_b64 v64, v[38:39], v[40:41] offset1:4
	s_wait_loadcnt_dscnt 0xa0b
	ds_store_2addr_stride64_b64 v64, v[42:43], v[44:45] offset0:8 offset1:12
	s_wait_loadcnt_dscnt 0x80a
	ds_store_2addr_stride64_b64 v64, v[46:47], v[50:51] offset0:16 offset1:20
	;; [unrolled: 2-line block ×6, first 2 shown]
	v_cndmask_b32_e64 v1, 0, 1, vcc_lo
	v_cmp_ne_u64_e32 vcc_lo, v[20:21], v[30:31]
	s_wait_dscnt 0x0
	s_barrier_signal -1
	s_barrier_wait -1
	v_cndmask_b32_e64 v30, 0, 1, vcc_lo
	v_cmp_ne_u64_e32 vcc_lo, v[26:27], v[28:29]
	v_cndmask_b32_e64 v28, 0, 1, vcc_lo
	v_cmp_ne_u64_e32 vcc_lo, v[32:33], v[26:27]
	;; [unrolled: 2-line block ×8, first 2 shown]
	s_delay_alu instid0(VALU_DEP_2) | instskip(SKIP_3) | instid1(VALU_DEP_3)
	v_lshlrev_b16 v4, 8, v4
	v_cndmask_b32_e64 v5, 0, 1, vcc_lo
	v_cmp_ne_u64_e32 vcc_lo, v[8:9], v[12:13]
	v_lshlrev_b16 v9, 8, v20
	v_or_b32_e32 v108, v5, v4
	v_cndmask_b32_e64 v8, 0, 1, vcc_lo
	v_cmp_ne_u64_e32 vcc_lo, v[6:7], v[10:11]
	v_lshlrev_b16 v7, 8, v27
	s_delay_alu instid0(VALU_DEP_3)
	v_lshlrev_b16 v8, 8, v8
	v_cndmask_b32_e64 v6, 0, 1, vcc_lo
	v_cmp_ne_u64_e32 vcc_lo, v[36:37], v[2:3]
	v_lshlrev_b16 v3, 8, v28
	v_lshlrev_b16 v2, 8, v1
	ds_load_b128 v[36:39], v48 offset:64
	ds_load_b128 v[32:35], v48 offset:80
	v_or_b32_e32 v104, v6, v8
	v_or_b32_e32 v97, v22, v7
	;; [unrolled: 1-line block ×3, first 2 shown]
	v_cndmask_b32_e64 v110, 0, 1, vcc_lo
	v_and_b32_e32 v6, 0xffff, v4
	s_delay_alu instid0(VALU_DEP_4) | instskip(NEXT) | instid1(VALU_DEP_4)
	v_dual_mov_b32 v102, v97 :: v_dual_lshlrev_b32 v9, 16, v104
	v_dual_lshlrev_b32 v8, 16, v96 :: v_dual_bitop2_b32 v92, v26, v3 bitop3:0x54
	v_or_b32_e32 v94, v30, v2
	v_and_b32_e32 v2, 0xffff, v2
	s_delay_alu instid0(VALU_DEP_3)
	v_dual_mov_b32 v1, v110 :: v_dual_lshlrev_b32 v3, 16, v92
	ds_load_b128 v[44:47], v48 offset:32
	ds_load_b128 v[40:43], v48 offset:48
	v_and_b32_e32 v7, 0xffff, v7
	v_dual_lshrrev_b32 v101, 24, v9 :: v_dual_bitop2_b32 v6, v6, v9 bitop3:0x54
	v_dual_lshrrev_b32 v93, 24, v3 :: v_dual_bitop2_b32 v10, v2, v3 bitop3:0x54
	ds_load_b128 v[2:5], v48
	ds_load_b128 v[60:63], v48 offset:16
	ds_load_b128 v[18:21], v48 offset:96
	v_dual_lshrrev_b32 v95, 24, v8 :: v_dual_bitop2_b32 v7, v7, v8 bitop3:0x54
	v_lshrrev_b32_e32 v91, 8, v10
	v_lshrrev_b32_e32 v89, 8, v6
	s_wait_dscnt 0x5
	v_mov_b64_e32 v[30:31], v[34:35]
	v_lshrrev_b32_e32 v90, 8, v7
	v_mov_b64_e32 v[84:85], v[32:33]
	v_mov_b64_e32 v[26:27], v[38:39]
	;; [unrolled: 1-line block ×3, first 2 shown]
	v_dual_mov_b32 v99, v96 :: v_dual_mov_b32 v88, v108
	v_mov_b32_e32 v106, v104
	s_wait_dscnt 0x3
	v_mov_b64_e32 v[22:23], v[42:43]
	v_mov_b64_e32 v[24:25], v[40:41]
	;; [unrolled: 1-line block ×4, first 2 shown]
	v_mov_b32_e32 v98, v95
	s_wait_dscnt 0x2
	v_mov_b64_e32 v[6:7], v[4:5]
	s_wait_dscnt 0x1
	v_mov_b64_e32 v[12:13], v[60:61]
	v_mov_b64_e32 v[10:11], v[62:63]
	v_dual_mov_b32 v105, v101 :: v_dual_mov_b32 v100, v90
	v_mov_b32_e32 v109, v89
.LBB83_100:
	v_mov_b64_e32 v[8:9], 0
	v_mov_b32_e32 v65, 0
	s_and_saveexec_b32 s0, s3
	s_cbranch_execz .LBB83_102
; %bb.101:
	v_mov_b64_e32 v[6:7], v[4:5]
	v_mov_b64_e32 v[12:13], v[60:61]
	;; [unrolled: 1-line block ×11, first 2 shown]
	s_wait_dscnt 0x0
	v_mov_b64_e32 v[8:9], v[20:21]
	v_cndmask_b32_e64 v65, 0, 1, s5
	v_dual_mov_b32 v1, v110 :: v_dual_mov_b32 v88, v108
	v_dual_mov_b32 v109, v89 :: v_dual_mov_b32 v106, v104
	v_dual_mov_b32 v105, v101 :: v_dual_mov_b32 v102, v97
	v_dual_mov_b32 v100, v90 :: v_dual_mov_b32 v99, v96
	v_mov_b32_e32 v98, v95
.LBB83_102:
	s_or_b32 exec_lo, exec_lo, s0
	v_dual_lshrrev_b32 v63, 1, v0 :: v_dual_bitop2_b32 v66, 1, v109 bitop3:0x40
	v_and_b32_e32 v62, 1, v102
	s_delay_alu instid0(VALU_DEP_3)
	v_and_b32_e32 v61, 1, v98
	v_and_b32_e32 v60, 1, v92
	;; [unrolled: 1-line block ×6, first 2 shown]
	v_cmp_eq_u32_e64 s13, 1, v66
	v_bitop3_b16 v68, v105, 0xff, v106 bitop3:0xc8
	v_and_b32_e32 v74, 0xff, v98
	v_and_b32_e32 v76, 0xff, v99
	;; [unrolled: 1-line block ×4, first 2 shown]
	v_cmp_eq_u32_e64 s14, 1, v62
	v_bitop3_b16 v69, v99, 0xff, v100 bitop3:0xc8
	v_cmp_eq_u32_e64 s15, 1, v61
	v_and_b32_e32 v71, 0xff, v93
	v_and_b32_e32 v72, 0xff, v92
	;; [unrolled: 1-line block ×4, first 2 shown]
	v_bitop3_b16 v70, v91, 0xff, v94 bitop3:0xc8
	v_cmp_eq_u32_e64 s16, 1, v60
	v_cmp_eq_u16_e64 s0, 0, v65
	v_bitop3_b16 v67, v65, 0xff, v93 bitop3:0xc8
	s_cmp_lg_u32 s22, 0
	s_wait_dscnt 0x0
	v_cmp_gt_u32_e32 vcc_lo, 32, v0
	s_barrier_signal -1
	s_barrier_wait -1
	s_cbranch_scc0 .LBB83_152
; %bb.103:
	v_cmp_eq_u16_e64 s1, 0, v82
	v_cmp_eq_u16_e64 s2, 0, v81
	;; [unrolled: 1-line block ×5, first 2 shown]
	v_dual_cndmask_b32 v5, 0, v3, s1 :: v_dual_cndmask_b32 v4, 0, v2, s1
	v_cmp_eq_u16_e64 s6, 0, v77
	v_cmp_eq_u16_e64 s7, 0, v76
	;; [unrolled: 1-line block ×4, first 2 shown]
	v_add_nc_u64_e32 v[4:5], v[4:5], v[6:7]
	v_cmp_eq_u16_e64 s10, 0, v73
	v_cmp_eq_u16_e64 s11, 0, v72
	;; [unrolled: 1-line block ×3, first 2 shown]
	v_cmp_ne_u16_e64 s19, 0, v70
	v_bitop3_b16 v20, v88, 0xff, v1 bitop3:0xc8
	v_cmp_ne_u16_e64 s18, 0, v69
	v_dual_cndmask_b32 v5, 0, v5, s2 :: v_dual_cndmask_b32 v4, 0, v4, s2
	v_cmp_ne_u16_e64 s20, 0, v67
	v_cmp_ne_u16_e64 s17, 0, v68
	s_or_b32 s16, s19, s16
	v_cmp_ne_u16_e64 s21, 0, v20
	v_add_nc_u64_e32 v[4:5], v[4:5], v[12:13]
	s_or_b32 s15, s18, s15
	s_or_b32 s16, s20, s16
	;; [unrolled: 1-line block ×4, first 2 shown]
	v_and_b32_e32 v21, 0x70, v63
	s_or_b32 s13, s21, s13
	v_dual_cndmask_b32 v5, 0, v5, s3 :: v_dual_cndmask_b32 v4, 0, v4, s3
	s_or_b32 s14, s15, s14
	s_delay_alu instid0(VALU_DEP_2) | instskip(SKIP_1) | instid1(VALU_DEP_2)
	v_lshl_add_u32 v20, v0, 4, v21
	s_or_b32 s18, s14, s13
	v_add_nc_u64_e32 v[4:5], v[4:5], v[10:11]
	v_cndmask_b32_e64 v35, 0, 1, s18
	s_delay_alu instid0(VALU_DEP_2) | instskip(NEXT) | instid1(VALU_DEP_1)
	v_dual_cndmask_b32 v5, 0, v5, s4 :: v_dual_cndmask_b32 v4, 0, v4, s4
	v_add_nc_u64_e32 v[4:5], v[4:5], v[16:17]
	s_delay_alu instid0(VALU_DEP_1) | instskip(NEXT) | instid1(VALU_DEP_1)
	v_dual_cndmask_b32 v5, 0, v5, s5 :: v_dual_cndmask_b32 v4, 0, v4, s5
	v_add_nc_u64_e32 v[4:5], v[4:5], v[14:15]
	s_delay_alu instid0(VALU_DEP_1) | instskip(NEXT) | instid1(VALU_DEP_1)
	;; [unrolled: 3-line block ×9, first 2 shown]
	v_dual_cndmask_b32 v5, 0, v5, s0 :: v_dual_cndmask_b32 v4, 0, v4, s0
	v_add_nc_u64_e32 v[4:5], v[4:5], v[8:9]
	ds_store_b64 v20, v[4:5]
	ds_store_b8 v20, v35 offset:8
	s_wait_dscnt 0x0
	s_barrier_signal -1
	s_barrier_wait -1
	s_and_saveexec_b32 s16, vcc_lo
	s_cbranch_execz .LBB83_115
; %bb.104:
	v_dual_lshlrev_b32 v20, 2, v0 :: v_dual_lshlrev_b32 v21, 7, v0
	s_delay_alu instid0(VALU_DEP_1) | instskip(NEXT) | instid1(VALU_DEP_1)
	v_and_b32_e32 v20, 0x3f0, v20
	v_add_nc_u32_e32 v34, v20, v21
	ds_load_u8 v37, v34 offset:24
	ds_load_b64 v[20:21], v34
	ds_load_2addr_b64 v[38:41], v34 offset0:2 offset1:4
	ds_load_u8 v46, v34 offset:40
	ds_load_b32 v36, v34 offset:8
	ds_load_u8 v47, v34 offset:56
	ds_load_u8 v48, v34 offset:72
	;; [unrolled: 1-line block ×4, first 2 shown]
	s_wait_dscnt 0x8
	v_cmp_eq_u16_e64 s13, 0, v37
	s_wait_dscnt 0x7
	s_delay_alu instid0(VALU_DEP_1)
	v_dual_cndmask_b32 v33, 0, v21, s13 :: v_dual_cndmask_b32 v32, 0, v20, s13
	s_wait_dscnt 0x5
	v_cmp_eq_u16_e64 s13, 0, v46
	ds_load_2addr_b64 v[42:45], v34 offset0:6 offset1:8
	s_wait_dscnt 0x4
	v_bitop3_b16 v37, v46, v47, v37 bitop3:0xfe
	v_add_nc_u64_e32 v[32:33], v[32:33], v[38:39]
	s_delay_alu instid0(VALU_DEP_1) | instskip(SKIP_1) | instid1(VALU_DEP_2)
	v_dual_cndmask_b32 v33, 0, v33, s13 :: v_dual_cndmask_b32 v32, 0, v32, s13
	v_cmp_eq_u16_e64 s13, 0, v47
	v_add_nc_u64_e32 v[32:33], v[32:33], v[40:41]
	ds_load_2addr_b64 v[38:41], v34 offset0:10 offset1:12
	ds_load_u8 v51, v34 offset:120
	v_dual_cndmask_b32 v33, 0, v33, s13 :: v_dual_cndmask_b32 v32, 0, v32, s13
	s_wait_dscnt 0x5
	v_cmp_eq_u16_e64 s13, 0, v48
	s_wait_dscnt 0x2
	s_delay_alu instid0(VALU_DEP_2) | instskip(SKIP_1) | instid1(VALU_DEP_2)
	v_add_nc_u64_e32 v[32:33], v[32:33], v[42:43]
	v_bitop3_b16 v42, v49, v50, v48 bitop3:0xfe
	v_dual_cndmask_b32 v33, 0, v33, s13 :: v_dual_cndmask_b32 v32, 0, v32, s13
	v_cmp_eq_u16_e64 s13, 0, v49
	s_wait_dscnt 0x0
	s_delay_alu instid0(VALU_DEP_3) | instskip(SKIP_3) | instid1(VALU_DEP_1)
	v_bitop3_b16 v37, v51, v37, v42 bitop3:0xfe
	ds_load_b64 v[42:43], v34 offset:112
	v_cmp_eq_u16_e64 s15, 0, v51
	v_add_nc_u64_e32 v[32:33], v[32:33], v[44:45]
	v_dual_cndmask_b32 v32, 0, v32, s13 :: v_dual_bitop2_b32 v37, 1, v37 bitop3:0x40
	s_delay_alu instid0(VALU_DEP_2) | instskip(SKIP_1) | instid1(VALU_DEP_3)
	v_cndmask_b32_e64 v33, 0, v33, s13
	v_cmp_eq_u16_e64 s13, 0, v50
	v_cmp_eq_u32_e64 s14, 1, v37
	v_and_b32_e32 v37, 0xffffff00, v36
	s_delay_alu instid0(VALU_DEP_4) | instskip(NEXT) | instid1(VALU_DEP_1)
	v_add_nc_u64_e32 v[32:33], v[32:33], v[38:39]
	v_dual_cndmask_b32 v33, 0, v33, s13 :: v_dual_bitop2_b32 v38, 1, v36 bitop3:0x40
	s_delay_alu instid0(VALU_DEP_2) | instskip(NEXT) | instid1(VALU_DEP_2)
	v_cndmask_b32_e64 v32, 0, v32, s13
	v_cmp_eq_u32_e64 s13, 1, v38
	v_mbcnt_lo_u32_b32 v38, -1, 0
	s_delay_alu instid0(VALU_DEP_3) | instskip(SKIP_1) | instid1(SALU_CYCLE_1)
	v_add_nc_u64_e32 v[32:33], v[32:33], v[40:41]
	s_or_b32 s14, s14, s13
	v_cndmask_b32_e64 v40, 0, 1, s14
	v_cndmask_b32_e64 v39, 0, 1, s14
	s_delay_alu instid0(VALU_DEP_3) | instskip(NEXT) | instid1(VALU_DEP_3)
	v_dual_cndmask_b32 v33, 0, v33, s15 :: v_dual_cndmask_b32 v32, 0, v32, s15
	v_or_b32_e32 v41, v37, v40
	v_and_b32_e32 v40, 15, v38
	s_mov_b32 s15, exec_lo
	s_wait_dscnt 0x0
	v_add_nc_u64_e32 v[32:33], v[32:33], v[42:43]
	v_mov_b32_dpp v43, v41 row_shr:1 row_mask:0xf bank_mask:0xf
	s_delay_alu instid0(VALU_DEP_2) | instskip(NEXT) | instid1(VALU_DEP_3)
	v_mov_b32_dpp v42, v32 row_shr:1 row_mask:0xf bank_mask:0xf
	v_mov_b32_dpp v44, v33 row_shr:1 row_mask:0xf bank_mask:0xf
	v_cmpx_ne_u32_e32 0, v40
; %bb.105:
	s_delay_alu instid0(VALU_DEP_4) | instskip(NEXT) | instid1(VALU_DEP_3)
	v_bitop3_b16 v39, v43, v39, 1 bitop3:0xec
	v_cndmask_b32_e64 v43, v44, 0, s14
	v_cndmask_b32_e64 v42, v42, 0, s14
	s_delay_alu instid0(VALU_DEP_3) | instskip(NEXT) | instid1(VALU_DEP_2)
	v_and_b32_e32 v41, 0xffff, v39
	v_add_nc_u64_e32 v[32:33], v[42:43], v[32:33]
	s_delay_alu instid0(VALU_DEP_2)
	v_or_b32_e32 v41, v37, v41
; %bb.106:
	s_or_b32 exec_lo, exec_lo, s15
	s_delay_alu instid0(VALU_DEP_2) | instskip(NEXT) | instid1(VALU_DEP_3)
	v_mov_b32_dpp v42, v32 row_shr:2 row_mask:0xf bank_mask:0xf
	v_mov_b32_dpp v43, v33 row_shr:2 row_mask:0xf bank_mask:0xf
	s_delay_alu instid0(VALU_DEP_3)
	v_mov_b32_dpp v44, v41 row_shr:2 row_mask:0xf bank_mask:0xf
	s_mov_b32 s17, exec_lo
	v_cmpx_lt_u32_e32 1, v40
	s_cbranch_execz .LBB83_108
; %bb.107:
	v_cmp_eq_u16_e64 s13, 0, v39
	v_and_b32_e32 v41, 1, v39
	s_delay_alu instid0(VALU_DEP_2) | instskip(SKIP_1) | instid1(VALU_DEP_3)
	v_dual_cndmask_b32 v43, 0, v43, s13 :: v_dual_bitop2_b32 v44, 1, v44 bitop3:0x40
	v_cndmask_b32_e64 v42, 0, v42, s13
	v_cmp_eq_u32_e64 s14, 1, v41
	s_delay_alu instid0(VALU_DEP_3) | instskip(NEXT) | instid1(VALU_DEP_3)
	v_cmp_eq_u32_e64 s15, 1, v44
	v_add_nc_u64_e32 v[32:33], v[42:43], v[32:33]
	s_or_b32 s13, s14, s15
	s_delay_alu instid0(SALU_CYCLE_1) | instskip(SKIP_1) | instid1(VALU_DEP_2)
	v_cndmask_b32_e64 v41, 0, 1, s13
	v_cndmask_b32_e64 v39, 0, 1, s13
	v_or_b32_e32 v41, v37, v41
.LBB83_108:
	s_or_b32 exec_lo, exec_lo, s17
	s_delay_alu instid0(VALU_DEP_4) | instskip(SKIP_1) | instid1(VALU_DEP_3)
	v_mov_b32_dpp v42, v32 row_shr:4 row_mask:0xf bank_mask:0xf
	v_mov_b32_dpp v43, v33 row_shr:4 row_mask:0xf bank_mask:0xf
	;; [unrolled: 1-line block ×3, first 2 shown]
	s_mov_b32 s17, exec_lo
	v_cmpx_lt_u32_e32 3, v40
	s_cbranch_execz .LBB83_110
; %bb.109:
	v_cmp_eq_u16_e64 s13, 0, v39
	v_and_b32_e32 v41, 1, v39
	s_delay_alu instid0(VALU_DEP_2) | instskip(SKIP_1) | instid1(VALU_DEP_3)
	v_dual_cndmask_b32 v43, 0, v43, s13 :: v_dual_bitop2_b32 v44, 1, v44 bitop3:0x40
	v_cndmask_b32_e64 v42, 0, v42, s13
	v_cmp_eq_u32_e64 s14, 1, v41
	s_delay_alu instid0(VALU_DEP_3) | instskip(NEXT) | instid1(VALU_DEP_3)
	v_cmp_eq_u32_e64 s15, 1, v44
	v_add_nc_u64_e32 v[32:33], v[42:43], v[32:33]
	s_or_b32 s13, s14, s15
	s_delay_alu instid0(SALU_CYCLE_1) | instskip(SKIP_1) | instid1(VALU_DEP_2)
	v_cndmask_b32_e64 v41, 0, 1, s13
	v_cndmask_b32_e64 v39, 0, 1, s13
	v_or_b32_e32 v41, v37, v41
.LBB83_110:
	s_or_b32 exec_lo, exec_lo, s17
	s_delay_alu instid0(VALU_DEP_4) | instskip(SKIP_1) | instid1(VALU_DEP_3)
	v_mov_b32_dpp v42, v32 row_shr:8 row_mask:0xf bank_mask:0xf
	v_mov_b32_dpp v43, v33 row_shr:8 row_mask:0xf bank_mask:0xf
	v_mov_b32_dpp v44, v41 row_shr:8 row_mask:0xf bank_mask:0xf
	s_mov_b32 s17, exec_lo
	v_cmpx_lt_u32_e32 7, v40
	s_cbranch_execz .LBB83_112
; %bb.111:
	v_and_b32_e32 v40, 1, v39
	v_cmp_eq_u16_e64 s13, 0, v39
	v_and_b32_e32 v41, 1, v44
	s_delay_alu instid0(VALU_DEP_3) | instskip(NEXT) | instid1(VALU_DEP_3)
	v_cmp_eq_u32_e64 s14, 1, v40
	v_cndmask_b32_e64 v40, 0, v42, s13
	s_delay_alu instid0(VALU_DEP_3) | instskip(SKIP_2) | instid1(VALU_DEP_1)
	v_cmp_eq_u32_e64 s15, 1, v41
	v_cndmask_b32_e64 v41, 0, v43, s13
	s_or_b32 s13, s14, s15
	v_add_nc_u64_e32 v[32:33], v[40:41], v[32:33]
	v_cndmask_b32_e64 v42, 0, 1, s13
	v_cndmask_b32_e64 v39, 0, 1, s13
	s_delay_alu instid0(VALU_DEP_2)
	v_or_b32_e32 v41, v37, v42
.LBB83_112:
	s_or_b32 exec_lo, exec_lo, s17
	ds_swizzle_b32 v40, v32 offset:swizzle(BROADCAST,32,15)
	ds_swizzle_b32 v42, v33 offset:swizzle(BROADCAST,32,15)
	;; [unrolled: 1-line block ×3, first 2 shown]
	v_and_b32_e32 v43, 16, v38
	s_mov_b32 s15, exec_lo
	s_delay_alu instid0(VALU_DEP_1)
	v_cmpx_ne_u32_e32 0, v43
	s_cbranch_execz .LBB83_114
; %bb.113:
	v_cmp_eq_u16_e64 s13, 0, v39
	v_and_b32_e32 v39, 1, v39
	s_wait_dscnt 0x0
	s_delay_alu instid0(VALU_DEP_2) | instskip(SKIP_1) | instid1(VALU_DEP_3)
	v_dual_cndmask_b32 v40, 0, v40, s13 :: v_dual_bitop2_b32 v43, 1, v41 bitop3:0x40
	v_cndmask_b32_e64 v41, 0, v42, s13
	v_cmp_eq_u32_e64 s13, 1, v39
	s_delay_alu instid0(VALU_DEP_3) | instskip(NEXT) | instid1(VALU_DEP_3)
	v_cmp_eq_u32_e64 s14, 1, v43
	v_add_nc_u64_e32 v[32:33], v[40:41], v[32:33]
	s_or_b32 s13, s13, s14
	s_delay_alu instid0(SALU_CYCLE_1)
	v_cndmask_b32_e64 v39, 0, 1, s13
.LBB83_114:
	s_or_b32 exec_lo, exec_lo, s15
	s_wait_dscnt 0x2
	v_add_nc_u32_e32 v40, -1, v38
	s_delay_alu instid0(VALU_DEP_2) | instskip(NEXT) | instid1(VALU_DEP_2)
	v_and_b32_e32 v39, 0xffff, v39
	; wave barrier
	v_cmp_gt_i32_e64 s13, 0, v40
	s_delay_alu instid0(VALU_DEP_1) | instskip(NEXT) | instid1(VALU_DEP_1)
	v_dual_cndmask_b32 v38, v40, v38, s13 :: v_dual_bitop2_b32 v37, v37, v39 bitop3:0x54
	v_lshlrev_b32_e32 v38, 2, v38
	ds_bpermute_b32 v33, v38, v33
	ds_bpermute_b32 v32, v38, v32
	ds_bpermute_b32 v37, v38, v37
	v_and_b32_e32 v38, 0xff, v36
	s_delay_alu instid0(VALU_DEP_1) | instskip(SKIP_1) | instid1(VALU_DEP_1)
	v_cmp_eq_u32_e64 s13, 0, v38
	s_wait_dscnt 0x1
	v_dual_cndmask_b32 v33, 0, v33, s13 :: v_dual_cndmask_b32 v32, 0, v32, s13
	v_cmp_eq_u32_e64 s13, 0, v0
	s_wait_dscnt 0x0
	v_or_b32_e32 v36, v37, v36
	s_delay_alu instid0(VALU_DEP_3) | instskip(NEXT) | instid1(VALU_DEP_1)
	v_add_nc_u64_e32 v[20:21], v[32:33], v[20:21]
	v_dual_cndmask_b32 v21, v21, v5, s13 :: v_dual_bitop2_b32 v32, 1, v36 bitop3:0x40
	s_delay_alu instid0(VALU_DEP_2) | instskip(NEXT) | instid1(VALU_DEP_2)
	v_cndmask_b32_e64 v20, v20, v4, s13
	v_cndmask_b32_e64 v35, v32, v35, s13
	ds_store_b64 v34, v[20:21]
	ds_store_b8 v34, v35 offset:8
	; wave barrier
	ds_load_u8 v48, v34 offset:24
	ds_load_2addr_b64 v[36:39], v34 offset0:2 offset1:4
	ds_load_u8 v49, v34 offset:40
	ds_load_u8 v50, v34 offset:56
	ds_load_u8 v51, v34 offset:72
	ds_load_u8 v52, v34 offset:88
	ds_load_u8 v53, v34 offset:104
	ds_load_b64 v[32:33], v34 offset:112
	ds_load_u8 v54, v34 offset:120
	s_wait_dscnt 0x8
	v_and_b32_e32 v40, 0xff, v48
	v_bitop3_b16 v56, v48, 1, v35 bitop3:0xc8
	s_wait_dscnt 0x5
	v_and_b32_e32 v46, 0xff, v50
	s_delay_alu instid0(VALU_DEP_3) | instskip(SKIP_3) | instid1(VALU_DEP_3)
	v_cmp_eq_u16_e64 s13, 0, v40
	v_and_b32_e32 v40, 0xff, v49
	s_wait_dscnt 0x3
	v_and_b32_e32 v55, 0xff, v52
	v_dual_cndmask_b32 v21, 0, v21, s13 :: v_dual_cndmask_b32 v20, 0, v20, s13
	s_delay_alu instid0(VALU_DEP_3) | instskip(SKIP_2) | instid1(VALU_DEP_1)
	v_cmp_eq_u16_e64 s13, 0, v40
	ds_load_2addr_b64 v[40:43], v34 offset0:6 offset1:8
	v_add_nc_u64_e32 v[20:21], v[20:21], v[36:37]
	v_dual_cndmask_b32 v37, 0, v21, s13 :: v_dual_cndmask_b32 v36, 0, v20, s13
	v_cmp_eq_u16_e64 s13, 0, v46
	s_delay_alu instid0(VALU_DEP_2) | instskip(SKIP_1) | instid1(VALU_DEP_2)
	v_add_nc_u64_e32 v[44:45], v[36:37], v[38:39]
	v_and_b32_e32 v38, 0xff, v51
	v_dual_cndmask_b32 v37, 0, v45, s13 :: v_dual_cndmask_b32 v36, 0, v44, s13
	s_delay_alu instid0(VALU_DEP_2) | instskip(SKIP_1) | instid1(VALU_DEP_2)
	v_cmp_eq_u16_e64 s13, 0, v38
	s_wait_dscnt 0x0
	v_add_nc_u64_e32 v[40:41], v[36:37], v[40:41]
	ds_load_2addr_b64 v[36:39], v34 offset0:10 offset1:12
	v_dual_cndmask_b32 v47, 0, v41, s13 :: v_dual_cndmask_b32 v46, 0, v40, s13
	v_cmp_eq_u16_e64 s13, 0, v55
	v_and_b32_e32 v55, 0xff, v53
	s_delay_alu instid0(VALU_DEP_3) | instskip(NEXT) | instid1(VALU_DEP_1)
	v_add_nc_u64_e32 v[42:43], v[46:47], v[42:43]
	v_dual_cndmask_b32 v47, 0, v43, s13 :: v_dual_cndmask_b32 v46, 0, v42, s13
	s_delay_alu instid0(VALU_DEP_3) | instskip(SKIP_4) | instid1(VALU_DEP_3)
	v_cmp_eq_u16_e64 s13, 0, v55
	v_or_b32_e32 v55, v48, v35
	v_bitop3_b16 v35, v49, v48, v35 bitop3:0xfe
	s_wait_dscnt 0x0
	v_add_nc_u64_e32 v[36:37], v[46:47], v[36:37]
	v_bitop3_b16 v48, v50, v49, v55 bitop3:0xfe
	v_bitop3_b16 v49, v49, 1, v55 bitop3:0xc8
	;; [unrolled: 1-line block ×4, first 2 shown]
	v_dual_cndmask_b32 v47, 0, v37, s13 :: v_dual_cndmask_b32 v46, 0, v36, s13
	v_cmp_eq_u16_e64 s13, 0, v54
	s_delay_alu instid0(VALU_DEP_3) | instskip(SKIP_1) | instid1(VALU_DEP_4)
	v_bitop3_b16 v50, v53, v52, v35 bitop3:0xfe
	v_bitop3_b16 v35, v52, 1, v35 bitop3:0xc8
	v_add_nc_u64_e32 v[38:39], v[46:47], v[38:39]
	v_bitop3_b16 v46, v52, v51, v48 bitop3:0xfe
	v_bitop3_b16 v48, v51, 1, v48 bitop3:0xc8
	ds_store_2addr_b64 v34, v[20:21], v[44:45] offset0:2 offset1:4
	ds_store_2addr_b64 v34, v[40:41], v[42:43] offset0:6 offset1:8
	;; [unrolled: 1-line block ×3, first 2 shown]
	v_bitop3_b16 v51, v53, 1, v46 bitop3:0xc8
	v_dual_cndmask_b32 v47, 0, v39, s13 :: v_dual_cndmask_b32 v46, 0, v38, s13
	v_bitop3_b16 v50, v54, 1, v50 bitop3:0xc8
	s_delay_alu instid0(VALU_DEP_2)
	v_add_nc_u64_e32 v[20:21], v[46:47], v[32:33]
	ds_store_b8 v34, v56 offset:24
	ds_store_b8 v34, v49 offset:40
	;; [unrolled: 1-line block ×6, first 2 shown]
	ds_store_b64 v34, v[20:21] offset:112
	ds_store_b8 v34, v50 offset:120
.LBB83_115:
	s_or_b32 exec_lo, exec_lo, s16
	v_cmp_eq_u32_e64 s13, 0, v0
	s_mov_b32 s15, exec_lo
	s_wait_dscnt 0x0
	s_barrier_signal -1
	s_barrier_wait -1
	v_cmpx_ne_u32_e32 0, v0
	s_cbranch_execz .LBB83_117
; %bb.116:
	v_add_nc_u32_e32 v4, -1, v0
	s_and_not1_b32 s16, s18, exec_lo
	s_delay_alu instid0(VALU_DEP_1) | instskip(NEXT) | instid1(VALU_DEP_1)
	v_lshrrev_b32_e32 v5, 1, v4
	v_and_b32_e32 v5, 0x7ffffff0, v5
	s_delay_alu instid0(VALU_DEP_1) | instskip(SKIP_4) | instid1(VALU_DEP_1)
	v_lshl_add_u32 v4, v4, 4, v5
	ds_load_u8 v20, v4 offset:8
	ds_load_b64 v[4:5], v4
	s_wait_dscnt 0x1
	v_and_b32_e32 v20, 1, v20
	v_cmp_eq_u32_e64 s14, 1, v20
	s_and_b32 s14, s14, exec_lo
	s_delay_alu instid0(SALU_CYCLE_1)
	s_or_b32 s18, s16, s14
.LBB83_117:
	s_or_b32 exec_lo, exec_lo, s15
	s_and_saveexec_b32 s19, vcc_lo
	s_cbranch_execz .LBB83_205
; %bb.118:
	v_mov_b32_e32 v35, 0
	v_mbcnt_lo_u32_b32 v39, -1, 0
	s_mov_b32 s17, 0
	ds_load_b64 v[20:21], v35 offset:4192
	ds_load_u8 v38, v35 offset:4200
	v_cmp_eq_u32_e64 s14, 0, v39
	s_and_saveexec_b32 s15, s14
	s_cbranch_execz .LBB83_120
; %bb.119:
	s_add_co_i32 s16, s22, 32
	s_delay_alu instid0(SALU_CYCLE_1) | instskip(SKIP_1) | instid1(SALU_CYCLE_1)
	v_dual_mov_b32 v32, 1 :: v_dual_mov_b32 v33, s16
	s_lshl_b64 s[20:21], s[16:17], 4
	s_add_nc_u64 s[16:17], s[36:37], s[20:21]
	s_wait_dscnt 0x1
	global_store_b64 v35, v[20:21], s[16:17]
	s_wait_dscnt 0x0
	global_store_b8 v35, v38, s[16:17] offset:8
	global_wb scope:SCOPE_DEV
	s_wait_storecnt 0x0
	global_inv scope:SCOPE_DEV
	s_wait_xcnt 0x0
	global_store_b8 v33, v32, s[40:41] scope:SCOPE_DEV
.LBB83_120:
	s_wait_xcnt 0x0
	s_or_b32 exec_lo, exec_lo, s15
	v_xad_u32 v32, v39, -1, s22
	s_mov_b32 s15, exec_lo
	s_delay_alu instid0(VALU_DEP_1)
	v_add_nc_u32_e32 v34, 32, v32
	global_load_u8 v40, v34, s[40:41] scope:SCOPE_DEV
	s_wait_loadcnt 0x0
	v_cmpx_eq_u16_e32 0, v40
	s_cbranch_execz .LBB83_124
; %bb.121:
	v_add_nc_u64_e32 v[36:37], s[40:41], v[34:35]
	s_mov_b32 s16, 0
.LBB83_122:                             ; =>This Inner Loop Header: Depth=1
	global_load_u8 v40, v[36:37], off scope:SCOPE_DEV
	s_wait_loadcnt 0x0
	v_cmp_ne_u16_e32 vcc_lo, 0, v40
	s_or_b32 s16, vcc_lo, s16
	s_wait_xcnt 0x0
	s_and_not1_b32 exec_lo, exec_lo, s16
	s_cbranch_execnz .LBB83_122
; %bb.123:
	s_or_b32 exec_lo, exec_lo, s16
.LBB83_124:
	s_delay_alu instid0(SALU_CYCLE_1)
	s_or_b32 exec_lo, exec_lo, s15
	v_dual_mov_b32 v33, s37 :: v_dual_mov_b32 v36, s36
	v_cmp_eq_u16_e32 vcc_lo, 1, v40
	global_wb scope:SCOPE_DEV
	s_wait_storecnt_dscnt 0x0
	global_inv scope:SCOPE_DEV
	v_lshlrev_b32_e64 v42, v39, -1
	s_mov_b32 s15, exec_lo
	v_cndmask_b32_e32 v37, s39, v33, vcc_lo
	v_cndmask_b32_e32 v36, s38, v36, vcc_lo
	v_cmp_ne_u32_e32 vcc_lo, 31, v39
	v_add_co_ci_u32_e64 v33, null, 0, v39, vcc_lo
	v_cmp_eq_u16_e32 vcc_lo, 2, v40
	s_delay_alu instid0(VALU_DEP_2)
	v_lshlrev_b32_e32 v41, 2, v33
	v_lshl_add_u64 v[34:35], v[34:35], 4, v[36:37]
	s_clause 0x1
	global_load_u8 v52, v[34:35], off offset:8
	global_load_b64 v[36:37], v[34:35], off
	v_and_or_b32 v33, vcc_lo, v42, 0x80000000
	s_delay_alu instid0(VALU_DEP_1)
	v_ctz_i32_b32_e32 v33, v33
	s_wait_loadcnt 0x1
	s_wait_xcnt 0x0
	v_and_b32_e32 v34, 1, v52
	s_wait_loadcnt 0x0
	ds_bpermute_b32 v43, v41, v36
	ds_bpermute_b32 v44, v41, v37
	;; [unrolled: 1-line block ×3, first 2 shown]
	v_cmpx_lt_u32_e64 v39, v33
	s_cbranch_execz .LBB83_126
; %bb.125:
	v_and_b32_e32 v34, 0xff, v52
	s_wait_dscnt 0x0
	v_bitop3_b16 v52, v35, v52, 1 bitop3:0xec
	s_delay_alu instid0(VALU_DEP_2) | instskip(NEXT) | instid1(VALU_DEP_2)
	v_cmp_eq_u16_e32 vcc_lo, 0, v34
	v_and_b32_e32 v34, 0xff, v52
	v_dual_cndmask_b32 v45, 0, v44 :: v_dual_cndmask_b32 v44, 0, v43
	s_delay_alu instid0(VALU_DEP_1)
	v_add_nc_u64_e32 v[36:37], v[44:45], v[36:37]
.LBB83_126:
	s_or_b32 exec_lo, exec_lo, s15
	v_cmp_gt_u32_e32 vcc_lo, 30, v39
	s_wait_dscnt 0x1
	v_add_nc_u32_e32 v44, 2, v39
	s_mov_b32 s16, exec_lo
	s_wait_dscnt 0x0
	v_cndmask_b32_e64 v35, 0, 2, vcc_lo
	s_delay_alu instid0(VALU_DEP_1)
	v_add_lshl_u32 v43, v35, v39, 2
	ds_bpermute_b32 v35, v43, v36
	ds_bpermute_b32 v45, v43, v37
	;; [unrolled: 1-line block ×3, first 2 shown]
	v_cmpx_le_u32_e64 v44, v33
	s_cbranch_execz .LBB83_128
; %bb.127:
	v_and_b32_e32 v34, 0xff, v52
	s_delay_alu instid0(VALU_DEP_1) | instskip(SKIP_4) | instid1(VALU_DEP_3)
	v_cmp_eq_u16_e32 vcc_lo, 0, v34
	v_and_b32_e32 v48, 1, v52
	s_wait_dscnt 0x0
	v_dual_cndmask_b32 v46, 0, v35, vcc_lo :: v_dual_bitop2_b32 v34, 1, v46 bitop3:0x40
	v_cndmask_b32_e32 v47, 0, v45, vcc_lo
	v_cmp_eq_u32_e64 s15, 1, v48
	s_delay_alu instid0(VALU_DEP_3) | instskip(NEXT) | instid1(VALU_DEP_3)
	v_cmp_eq_u32_e32 vcc_lo, 1, v34
	v_add_nc_u64_e32 v[36:37], v[46:47], v[36:37]
	s_or_b32 s15, s15, vcc_lo
	s_delay_alu instid0(SALU_CYCLE_1)
	v_cndmask_b32_e64 v52, 0, 1, s15
	v_cndmask_b32_e64 v34, 0, 1, s15
.LBB83_128:
	s_or_b32 exec_lo, exec_lo, s16
	v_cmp_gt_u32_e32 vcc_lo, 28, v39
	s_wait_dscnt 0x0
	v_add_nc_u32_e32 v46, 4, v39
	s_mov_b32 s16, exec_lo
	v_cndmask_b32_e64 v35, 0, 4, vcc_lo
	s_delay_alu instid0(VALU_DEP_1)
	v_add_lshl_u32 v45, v35, v39, 2
	ds_bpermute_b32 v35, v45, v36
	ds_bpermute_b32 v47, v45, v37
	;; [unrolled: 1-line block ×3, first 2 shown]
	v_cmpx_le_u32_e64 v46, v33
	s_cbranch_execz .LBB83_130
; %bb.129:
	v_and_b32_e32 v34, 0xff, v52
	s_delay_alu instid0(VALU_DEP_1) | instskip(SKIP_4) | instid1(VALU_DEP_3)
	v_cmp_eq_u16_e32 vcc_lo, 0, v34
	v_and_b32_e32 v50, 1, v52
	s_wait_dscnt 0x0
	v_dual_cndmask_b32 v48, 0, v35, vcc_lo :: v_dual_bitop2_b32 v34, 1, v48 bitop3:0x40
	v_cndmask_b32_e32 v49, 0, v47, vcc_lo
	v_cmp_eq_u32_e64 s15, 1, v50
	s_delay_alu instid0(VALU_DEP_3) | instskip(NEXT) | instid1(VALU_DEP_3)
	v_cmp_eq_u32_e32 vcc_lo, 1, v34
	v_add_nc_u64_e32 v[36:37], v[48:49], v[36:37]
	s_or_b32 s15, s15, vcc_lo
	s_delay_alu instid0(SALU_CYCLE_1)
	v_cndmask_b32_e64 v52, 0, 1, s15
	v_cndmask_b32_e64 v34, 0, 1, s15
.LBB83_130:
	s_or_b32 exec_lo, exec_lo, s16
	v_cmp_gt_u32_e32 vcc_lo, 24, v39
	s_wait_dscnt 0x0
	v_add_nc_u32_e32 v48, 8, v39
	s_mov_b32 s16, exec_lo
	v_cndmask_b32_e64 v35, 0, 8, vcc_lo
	s_delay_alu instid0(VALU_DEP_1)
	v_add_lshl_u32 v47, v35, v39, 2
	ds_bpermute_b32 v35, v47, v36
	ds_bpermute_b32 v49, v47, v37
	;; [unrolled: 1-line block ×3, first 2 shown]
	v_cmpx_le_u32_e64 v48, v33
	s_cbranch_execz .LBB83_132
; %bb.131:
	v_and_b32_e32 v34, 0xff, v52
	s_delay_alu instid0(VALU_DEP_1) | instskip(SKIP_4) | instid1(VALU_DEP_3)
	v_cmp_eq_u16_e32 vcc_lo, 0, v34
	v_and_b32_e32 v52, 1, v52
	s_wait_dscnt 0x0
	v_dual_cndmask_b32 v50, 0, v35, vcc_lo :: v_dual_bitop2_b32 v34, 1, v50 bitop3:0x40
	v_cndmask_b32_e32 v51, 0, v49, vcc_lo
	v_cmp_eq_u32_e64 s15, 1, v52
	s_delay_alu instid0(VALU_DEP_3) | instskip(NEXT) | instid1(VALU_DEP_3)
	v_cmp_eq_u32_e32 vcc_lo, 1, v34
	v_add_nc_u64_e32 v[36:37], v[50:51], v[36:37]
	s_or_b32 s15, s15, vcc_lo
	s_delay_alu instid0(SALU_CYCLE_1)
	v_cndmask_b32_e64 v52, 0, 1, s15
	v_cndmask_b32_e64 v34, 0, 1, s15
.LBB83_132:
	s_or_b32 exec_lo, exec_lo, s16
	s_wait_dscnt 0x1
	v_lshl_or_b32 v49, v39, 2, 64
	v_add_nc_u32_e32 v51, 16, v39
	s_mov_b32 s16, exec_lo
	ds_bpermute_b32 v35, v49, v36
	s_wait_dscnt 0x1
	ds_bpermute_b32 v50, v49, v37
	ds_bpermute_b32 v34, v49, v34
	v_cmpx_le_u32_e64 v51, v33
	s_cbranch_execz .LBB83_134
; %bb.133:
	v_and_b32_e32 v33, 0xff, v52
	s_delay_alu instid0(VALU_DEP_1) | instskip(SKIP_4) | instid1(VALU_DEP_3)
	v_cmp_eq_u16_e32 vcc_lo, 0, v33
	v_and_b32_e32 v33, 1, v52
	s_wait_dscnt 0x0
	v_dual_cndmask_b32 v52, 0, v35, vcc_lo :: v_dual_bitop2_b32 v34, 1, v34 bitop3:0x40
	v_cndmask_b32_e32 v53, 0, v50, vcc_lo
	v_cmp_eq_u32_e32 vcc_lo, 1, v33
	s_delay_alu instid0(VALU_DEP_3) | instskip(NEXT) | instid1(VALU_DEP_3)
	v_cmp_eq_u32_e64 s15, 1, v34
	v_add_nc_u64_e32 v[36:37], v[52:53], v[36:37]
	s_or_b32 s15, vcc_lo, s15
	s_delay_alu instid0(SALU_CYCLE_1)
	v_cndmask_b32_e64 v52, 0, 1, s15
.LBB83_134:
	s_or_b32 exec_lo, exec_lo, s16
	v_mov_b32_e32 v33, 0
	s_branch .LBB83_137
.LBB83_135:                             ;   in Loop: Header=BB83_137 Depth=1
	s_or_b32 exec_lo, exec_lo, s17
	v_and_b32_e32 v52, 0xff, v50
	v_subrev_nc_u32_e32 v32, 32, v32
	s_delay_alu instid0(VALU_DEP_2) | instskip(SKIP_2) | instid1(VALU_DEP_2)
	v_cmp_eq_u16_e32 vcc_lo, 0, v52
	v_dual_cndmask_b32 v37, 0, v37, vcc_lo :: v_dual_bitop2_b32 v52, 1, v50 bitop3:0x40
	v_cndmask_b32_e32 v36, 0, v36, vcc_lo
	v_cmp_eq_u32_e32 vcc_lo, 1, v52
	s_delay_alu instid0(VALU_DEP_2) | instskip(SKIP_1) | instid1(SALU_CYCLE_1)
	v_add_nc_u64_e32 v[36:37], v[36:37], v[34:35]
	s_or_b32 s15, vcc_lo, s16
	v_cndmask_b32_e64 v52, 0, 1, s15
	s_mov_b32 s15, 0
.LBB83_136:                             ;   in Loop: Header=BB83_137 Depth=1
	s_delay_alu instid0(SALU_CYCLE_1)
	s_and_b32 vcc_lo, exec_lo, s15
	s_cbranch_vccnz .LBB83_201
.LBB83_137:                             ; =>This Loop Header: Depth=1
                                        ;     Child Loop BB83_140 Depth 2
	s_wait_dscnt 0x0
	v_and_b32_e32 v34, 0xff, v40
	v_mov_b32_e32 v50, v52
	s_mov_b32 s15, -1
                                        ; implicit-def: $vgpr52
                                        ; implicit-def: $vgpr40
	s_delay_alu instid0(VALU_DEP_2)
	v_cmp_ne_u16_e32 vcc_lo, 2, v34
	v_mov_b64_e32 v[34:35], v[36:37]
                                        ; implicit-def: $vgpr36_vgpr37
	s_cmp_lg_u32 vcc_lo, exec_lo
	s_cbranch_scc1 .LBB83_136
; %bb.138:                              ;   in Loop: Header=BB83_137 Depth=1
	global_load_u8 v40, v32, s[40:41] scope:SCOPE_DEV
	s_mov_b32 s15, exec_lo
	s_wait_loadcnt 0x0
	v_cmpx_eq_u16_e32 0, v40
	s_cbranch_execz .LBB83_142
; %bb.139:                              ;   in Loop: Header=BB83_137 Depth=1
	v_add_nc_u64_e32 v[36:37], s[40:41], v[32:33]
	s_mov_b32 s16, 0
.LBB83_140:                             ;   Parent Loop BB83_137 Depth=1
                                        ; =>  This Inner Loop Header: Depth=2
	global_load_u8 v40, v[36:37], off scope:SCOPE_DEV
	s_wait_loadcnt 0x0
	v_cmp_ne_u16_e32 vcc_lo, 0, v40
	s_or_b32 s16, vcc_lo, s16
	s_delay_alu instid0(SALU_CYCLE_1)
	s_and_not1_b32 exec_lo, exec_lo, s16
	s_cbranch_execnz .LBB83_140
; %bb.141:                              ;   in Loop: Header=BB83_137 Depth=1
	s_or_b32 exec_lo, exec_lo, s16
.LBB83_142:                             ;   in Loop: Header=BB83_137 Depth=1
	s_delay_alu instid0(SALU_CYCLE_1)
	s_or_b32 exec_lo, exec_lo, s15
	v_dual_mov_b32 v36, s37 :: v_dual_mov_b32 v52, s36
	v_cmp_eq_u16_e32 vcc_lo, 1, v40
	global_wb scope:SCOPE_DEV
	s_wait_storecnt 0x0
	global_inv scope:SCOPE_DEV
	s_mov_b32 s15, exec_lo
	v_cndmask_b32_e32 v37, s39, v36, vcc_lo
	v_cndmask_b32_e32 v36, s38, v52, vcc_lo
	v_cmp_eq_u16_e32 vcc_lo, 2, v40
	s_delay_alu instid0(VALU_DEP_2)
	v_lshl_add_u64 v[54:55], v[32:33], 4, v[36:37]
	v_and_or_b32 v52, vcc_lo, v42, 0x80000000
	s_clause 0x1
	global_load_u8 v53, v[54:55], off offset:8
	global_load_b64 v[36:37], v[54:55], off
	v_ctz_i32_b32_e32 v52, v52
	s_wait_loadcnt 0x1
	s_wait_xcnt 0x0
	v_and_b32_e32 v54, 1, v53
	s_wait_loadcnt 0x0
	ds_bpermute_b32 v56, v41, v36
	ds_bpermute_b32 v57, v41, v37
	;; [unrolled: 1-line block ×3, first 2 shown]
	v_cmpx_lt_u32_e64 v39, v52
	s_cbranch_execz .LBB83_144
; %bb.143:                              ;   in Loop: Header=BB83_137 Depth=1
	v_and_b32_e32 v54, 0xff, v53
	s_wait_dscnt 0x0
	v_bitop3_b16 v53, v55, v53, 1 bitop3:0xec
	s_delay_alu instid0(VALU_DEP_2) | instskip(NEXT) | instid1(VALU_DEP_2)
	v_cmp_eq_u16_e32 vcc_lo, 0, v54
	v_and_b32_e32 v54, 0xff, v53
	v_dual_cndmask_b32 v57, 0, v57 :: v_dual_cndmask_b32 v56, 0, v56
	s_delay_alu instid0(VALU_DEP_1)
	v_add_nc_u64_e32 v[36:37], v[56:57], v[36:37]
.LBB83_144:                             ;   in Loop: Header=BB83_137 Depth=1
	s_or_b32 exec_lo, exec_lo, s15
	s_wait_dscnt 0x0
	ds_bpermute_b32 v55, v43, v36
	ds_bpermute_b32 v56, v43, v37
	;; [unrolled: 1-line block ×3, first 2 shown]
	v_and_b32_e32 v58, 1, v53
	s_mov_b32 s15, exec_lo
	s_delay_alu instid0(VALU_DEP_1)
	v_cmp_eq_u32_e64 s16, 1, v58
	v_cmpx_le_u32_e64 v44, v52
	s_cbranch_execz .LBB83_146
; %bb.145:                              ;   in Loop: Header=BB83_137 Depth=1
	v_and_b32_e32 v53, 0xff, v53
	s_delay_alu instid0(VALU_DEP_1) | instskip(SKIP_3) | instid1(VALU_DEP_2)
	v_cmp_eq_u16_e32 vcc_lo, 0, v53
	s_wait_dscnt 0x0
	v_dual_cndmask_b32 v57, 0, v56, vcc_lo :: v_dual_bitop2_b32 v53, 1, v57 bitop3:0x40
	v_cndmask_b32_e32 v56, 0, v55, vcc_lo
	v_cmp_eq_u32_e32 vcc_lo, 1, v53
	s_delay_alu instid0(VALU_DEP_2)
	v_add_nc_u64_e32 v[36:37], v[56:57], v[36:37]
	s_or_b32 s17, s16, vcc_lo
	s_and_not1_b32 s16, s16, exec_lo
	v_cndmask_b32_e64 v53, 0, 1, s17
	v_cndmask_b32_e64 v54, 0, 1, s17
	s_and_b32 s17, s17, exec_lo
	s_delay_alu instid0(SALU_CYCLE_1)
	s_or_b32 s16, s16, s17
.LBB83_146:                             ;   in Loop: Header=BB83_137 Depth=1
	s_or_b32 exec_lo, exec_lo, s15
	s_wait_dscnt 0x2
	ds_bpermute_b32 v55, v45, v36
	s_wait_dscnt 0x2
	ds_bpermute_b32 v56, v45, v37
	;; [unrolled: 2-line block ×3, first 2 shown]
	s_mov_b32 s17, exec_lo
	v_cmpx_le_u32_e64 v46, v52
	s_cbranch_execz .LBB83_148
; %bb.147:                              ;   in Loop: Header=BB83_137 Depth=1
	v_and_b32_e32 v54, 0xff, v53
	s_and_not1_b32 s16, s16, exec_lo
	s_delay_alu instid0(VALU_DEP_1) | instskip(SKIP_3) | instid1(VALU_DEP_2)
	v_cmp_eq_u16_e32 vcc_lo, 0, v54
	v_and_b32_e32 v53, 1, v53
	s_wait_dscnt 0x0
	v_dual_cndmask_b32 v57, 0, v56, vcc_lo :: v_dual_bitop2_b32 v54, 1, v57 bitop3:0x40
	v_cmp_eq_u32_e64 s15, 1, v53
	v_cndmask_b32_e32 v56, 0, v55, vcc_lo
	s_delay_alu instid0(VALU_DEP_3) | instskip(NEXT) | instid1(VALU_DEP_2)
	v_cmp_eq_u32_e32 vcc_lo, 1, v54
	v_add_nc_u64_e32 v[36:37], v[56:57], v[36:37]
	s_or_b32 s15, s15, vcc_lo
	s_delay_alu instid0(SALU_CYCLE_1) | instskip(SKIP_2) | instid1(SALU_CYCLE_1)
	v_cndmask_b32_e64 v53, 0, 1, s15
	v_cndmask_b32_e64 v54, 0, 1, s15
	s_and_b32 s15, s15, exec_lo
	s_or_b32 s16, s16, s15
.LBB83_148:                             ;   in Loop: Header=BB83_137 Depth=1
	s_or_b32 exec_lo, exec_lo, s17
	s_wait_dscnt 0x2
	ds_bpermute_b32 v55, v47, v36
	s_wait_dscnt 0x2
	ds_bpermute_b32 v56, v47, v37
	;; [unrolled: 2-line block ×3, first 2 shown]
	s_mov_b32 s17, exec_lo
	v_cmpx_le_u32_e64 v48, v52
	s_cbranch_execz .LBB83_150
; %bb.149:                              ;   in Loop: Header=BB83_137 Depth=1
	v_and_b32_e32 v54, 0xff, v53
	s_and_not1_b32 s16, s16, exec_lo
	s_delay_alu instid0(VALU_DEP_1) | instskip(SKIP_3) | instid1(VALU_DEP_2)
	v_cmp_eq_u16_e32 vcc_lo, 0, v54
	v_and_b32_e32 v53, 1, v53
	s_wait_dscnt 0x0
	v_dual_cndmask_b32 v57, 0, v56, vcc_lo :: v_dual_bitop2_b32 v54, 1, v57 bitop3:0x40
	v_cmp_eq_u32_e64 s15, 1, v53
	v_cndmask_b32_e32 v56, 0, v55, vcc_lo
	s_delay_alu instid0(VALU_DEP_3) | instskip(NEXT) | instid1(VALU_DEP_2)
	v_cmp_eq_u32_e32 vcc_lo, 1, v54
	v_add_nc_u64_e32 v[36:37], v[56:57], v[36:37]
	s_or_b32 s15, s15, vcc_lo
	s_delay_alu instid0(SALU_CYCLE_1) | instskip(SKIP_2) | instid1(SALU_CYCLE_1)
	v_cndmask_b32_e64 v53, 0, 1, s15
	v_cndmask_b32_e64 v54, 0, 1, s15
	s_and_b32 s15, s15, exec_lo
	s_or_b32 s16, s16, s15
.LBB83_150:                             ;   in Loop: Header=BB83_137 Depth=1
	s_or_b32 exec_lo, exec_lo, s17
	s_wait_dscnt 0x2
	ds_bpermute_b32 v55, v49, v36
	s_wait_dscnt 0x2
	ds_bpermute_b32 v56, v49, v37
	ds_bpermute_b32 v54, v49, v54
	s_mov_b32 s17, exec_lo
	v_cmpx_le_u32_e64 v51, v52
	s_cbranch_execz .LBB83_135
; %bb.151:                              ;   in Loop: Header=BB83_137 Depth=1
	v_and_b32_e32 v52, 0xff, v53
	s_and_not1_b32 s16, s16, exec_lo
	s_delay_alu instid0(VALU_DEP_1)
	v_cmp_eq_u16_e32 vcc_lo, 0, v52
	s_wait_dscnt 0x3
	v_and_b32_e32 v57, 1, v53
	s_wait_dscnt 0x0
	v_dual_cndmask_b32 v52, 0, v55, vcc_lo :: v_dual_bitop2_b32 v54, 1, v54 bitop3:0x40
	v_cndmask_b32_e32 v53, 0, v56, vcc_lo
	s_delay_alu instid0(VALU_DEP_3) | instskip(NEXT) | instid1(VALU_DEP_3)
	v_cmp_eq_u32_e32 vcc_lo, 1, v57
	v_cmp_eq_u32_e64 s15, 1, v54
	s_delay_alu instid0(VALU_DEP_3) | instskip(SKIP_1) | instid1(SALU_CYCLE_1)
	v_add_nc_u64_e32 v[36:37], v[52:53], v[36:37]
	s_or_b32 s15, vcc_lo, s15
	s_and_b32 s15, s15, exec_lo
	s_delay_alu instid0(SALU_CYCLE_1)
	s_or_b32 s16, s16, s15
	s_branch .LBB83_135
.LBB83_152:
                                        ; implicit-def: $vgpr58_vgpr59
                                        ; implicit-def: $vgpr54_vgpr55
                                        ; implicit-def: $vgpr50_vgpr51
                                        ; implicit-def: $vgpr46_vgpr47
                                        ; implicit-def: $vgpr42_vgpr43
                                        ; implicit-def: $vgpr38_vgpr39
                                        ; implicit-def: $vgpr34_vgpr35
	s_cbranch_execnz .LBB83_206
.LBB83_153:
	s_add_nc_u64 s[0:1], s[26:27], s[34:35]
	s_and_b32 vcc_lo, exec_lo, s23
	s_add_nc_u64 s[0:1], s[0:1], s[24:25]
	s_cbranch_vccz .LBB83_225
.LBB83_154:
	v_mul_u32_u24_e32 v1, 14, v0
	s_add_co_i32 s30, s30, s42
	s_mov_b32 s2, exec_lo
	s_delay_alu instid0(VALU_DEP_1)
	v_cmpx_gt_u32_e64 s30, v1
	s_cbranch_execz .LBB83_174
; %bb.155:
	v_or_b32_e32 v2, 1, v1
	s_mov_b32 s3, exec_lo
	s_delay_alu instid0(VALU_DEP_1)
	v_cmpx_gt_u32_e64 s30, v2
	s_cbranch_execz .LBB83_173
; %bb.156:
	v_add_nc_u32_e32 v2, 2, v1
	s_mov_b32 s4, exec_lo
	s_delay_alu instid0(VALU_DEP_1)
	v_cmpx_gt_u32_e64 s30, v2
	s_cbranch_execz .LBB83_172
; %bb.157:
	v_add_nc_u32_e32 v2, 3, v1
	s_mov_b32 s5, exec_lo
	s_delay_alu instid0(VALU_DEP_1)
	v_cmpx_gt_u32_e64 s30, v2
	s_cbranch_execz .LBB83_171
; %bb.158:
	v_add_nc_u32_e32 v2, 4, v1
	s_mov_b32 s6, exec_lo
	s_delay_alu instid0(VALU_DEP_1)
	v_cmpx_gt_u32_e64 s30, v2
	s_cbranch_execz .LBB83_170
; %bb.159:
	v_add_nc_u32_e32 v2, 5, v1
	s_mov_b32 s7, exec_lo
	s_delay_alu instid0(VALU_DEP_1)
	v_cmpx_gt_u32_e64 s30, v2
	s_cbranch_execz .LBB83_169
; %bb.160:
	v_add_nc_u32_e32 v2, 6, v1
	s_mov_b32 s8, exec_lo
	s_delay_alu instid0(VALU_DEP_1)
	v_cmpx_gt_u32_e64 s30, v2
	s_cbranch_execz .LBB83_168
; %bb.161:
	v_add_nc_u32_e32 v2, 7, v1
	s_mov_b32 s9, exec_lo
	s_delay_alu instid0(VALU_DEP_1)
	v_cmpx_gt_u32_e64 s30, v2
	s_cbranch_execz .LBB83_167
; %bb.162:
	v_add_nc_u32_e32 v2, 8, v1
	s_mov_b32 s10, exec_lo
	s_delay_alu instid0(VALU_DEP_1)
	v_cmpx_gt_u32_e64 s30, v2
	s_cbranch_execz .LBB83_166
; %bb.163:
	v_add_nc_u32_e32 v2, 9, v1
	s_mov_b32 s11, exec_lo
	s_delay_alu instid0(VALU_DEP_1)
	v_cmpx_gt_u32_e64 s30, v2
; %bb.164:
	v_add_nc_u32_e32 v2, 10, v1
	s_mov_b32 s12, exec_lo
	s_delay_alu instid0(VALU_DEP_1)
	v_cmpx_gt_u32_e64 s30, v2
	s_or_b32 exec_lo, exec_lo, s12
; %bb.165:
	s_delay_alu instid0(SALU_CYCLE_1)
	s_or_b32 exec_lo, exec_lo, s11
.LBB83_166:
	s_delay_alu instid0(SALU_CYCLE_1)
	s_or_b32 exec_lo, exec_lo, s10
.LBB83_167:
	s_delay_alu instid0(SALU_CYCLE_1)
	s_or_b32 exec_lo, exec_lo, s9
.LBB83_168:
	s_delay_alu instid0(SALU_CYCLE_1)
	s_or_b32 exec_lo, exec_lo, s8
.LBB83_169:
	s_delay_alu instid0(SALU_CYCLE_1)
	s_or_b32 exec_lo, exec_lo, s7
.LBB83_170:
	s_delay_alu instid0(SALU_CYCLE_1)
	s_or_b32 exec_lo, exec_lo, s6
.LBB83_171:
	s_delay_alu instid0(SALU_CYCLE_1)
	s_or_b32 exec_lo, exec_lo, s5
.LBB83_172:
	s_delay_alu instid0(SALU_CYCLE_1)
	s_or_b32 exec_lo, exec_lo, s4
.LBB83_173:
	s_delay_alu instid0(SALU_CYCLE_1)
	s_or_b32 exec_lo, exec_lo, s3
.LBB83_174:
	s_delay_alu instid0(SALU_CYCLE_1)
	s_or_b32 exec_lo, exec_lo, s2
	v_dual_lshlrev_b32 v1, 3, v1 :: v_dual_mov_b32 v65, 0
	s_wait_loadcnt 0x0
	s_wait_storecnt 0x0
	s_barrier_signal -1
	s_barrier_wait -1
	v_mad_i32_i24 v2, 0xffffff98, v0, v1
	ds_store_b128 v1, v[32:35]
	ds_store_b128 v1, v[36:39] offset:16
	ds_store_b128 v1, v[40:43] offset:32
	;; [unrolled: 1-line block ×6, first 2 shown]
	s_wait_dscnt 0x0
	s_barrier_signal -1
	s_barrier_wait -1
	ds_load_2addr_stride64_b64 v[26:29], v2 offset0:4 offset1:8
	ds_load_2addr_stride64_b64 v[22:25], v2 offset0:12 offset1:16
	;; [unrolled: 1-line block ×6, first 2 shown]
	ds_load_b64 v[4:5], v2 offset:26624
	v_add_nc_u64_e32 v[2:3], s[0:1], v[64:65]
	s_mov_b32 s2, exec_lo
	v_cmpx_gt_u32_e64 s30, v0
	s_cbranch_execz .LBB83_176
; %bb.175:
	v_mul_i32_i24_e32 v30, 0xffffff98, v0
	s_delay_alu instid0(VALU_DEP_1)
	v_add_nc_u32_e32 v1, v1, v30
	ds_load_b64 v[30:31], v1
	s_wait_dscnt 0x0
	flat_store_b64 v[2:3], v[30:31]
.LBB83_176:
	s_wait_xcnt 0x0
	s_or_b32 exec_lo, exec_lo, s2
	v_or_b32_e32 v1, 0x100, v0
	s_mov_b32 s2, exec_lo
	s_delay_alu instid0(VALU_DEP_1)
	v_cmpx_gt_u32_e64 s30, v1
	s_cbranch_execz .LBB83_178
; %bb.177:
	s_wait_dscnt 0x6
	flat_store_b64 v[2:3], v[26:27] offset:2048
.LBB83_178:
	s_wait_xcnt 0x0
	s_or_b32 exec_lo, exec_lo, s2
	v_or_b32_e32 v1, 0x200, v0
	s_mov_b32 s2, exec_lo
	s_delay_alu instid0(VALU_DEP_1)
	v_cmpx_gt_u32_e64 s30, v1
	s_cbranch_execz .LBB83_180
; %bb.179:
	s_wait_dscnt 0x6
	flat_store_b64 v[2:3], v[28:29] offset:4096
.LBB83_180:
	;; [unrolled: 11-line block ×12, first 2 shown]
	s_wait_xcnt 0x0
	s_or_b32 exec_lo, exec_lo, s2
	v_or_b32_e32 v1, 0xd00, v0
	s_delay_alu instid0(VALU_DEP_1)
	v_cmp_gt_u32_e64 s2, s30, v1
	s_branch .LBB83_227
.LBB83_201:
	s_and_saveexec_b32 s15, s14
	s_cbranch_execz .LBB83_203
; %bb.202:
	v_and_b32_e32 v32, 0xff, v38
	s_add_co_i32 s16, s22, 32
	s_mov_b32 s17, 0
	v_mov_b32_e32 v37, s16
	v_bitop3_b16 v36, v38, 1, v50 bitop3:0xc8
	v_cmp_eq_u32_e32 vcc_lo, 0, v32
	s_lshl_b64 s[20:21], s[16:17], 4
	s_delay_alu instid0(SALU_CYCLE_1) | instskip(SKIP_1) | instid1(VALU_DEP_1)
	s_add_nc_u64 s[16:17], s[38:39], s[20:21]
	v_dual_cndmask_b32 v33, 0, v35 :: v_dual_cndmask_b32 v32, 0, v34
	v_add_nc_u64_e32 v[20:21], v[32:33], v[20:21]
	v_dual_mov_b32 v32, 0 :: v_dual_mov_b32 v33, 2
	s_clause 0x1
	global_store_b64 v32, v[20:21], s[16:17]
	global_store_b8 v32, v36, s[16:17] offset:8
	global_wb scope:SCOPE_DEV
	s_wait_storecnt_dscnt 0x0
	global_inv scope:SCOPE_DEV
	s_wait_xcnt 0x0
	global_store_b8 v37, v33, s[40:41] scope:SCOPE_DEV
.LBB83_203:
	s_wait_xcnt 0x0
	s_or_b32 exec_lo, exec_lo, s15
	s_delay_alu instid0(SALU_CYCLE_1)
	s_and_b32 exec_lo, exec_lo, s13
	s_cbranch_execz .LBB83_205
; %bb.204:
	v_mov_b32_e32 v20, 0
	ds_store_b64 v20, v[34:35]
	ds_store_b8 v20, v50 offset:8
.LBB83_205:
	s_or_b32 exec_lo, exec_lo, s19
	v_dual_mov_b32 v21, 0 :: v_dual_bitop2_b32 v20, 1, v1 bitop3:0x40
	s_wait_storecnt 0x0
	s_wait_loadcnt_dscnt 0x0
	s_barrier_signal -1
	s_barrier_wait -1
	v_cmp_eq_u32_e32 vcc_lo, 1, v20
	v_and_b32_e32 v32, 0xff, v1
	ds_load_b64 v[20:21], v21
	s_or_b32 s14, vcc_lo, s18
	v_cmp_eq_u16_e32 vcc_lo, 0, v32
	v_cndmask_b32_e64 v33, 0, 1, s14
	v_cndmask_b32_e32 v5, 0, v5, vcc_lo
	s_delay_alu instid0(VALU_DEP_2) | instskip(NEXT) | instid1(VALU_DEP_1)
	v_dual_cndmask_b32 v32, v33, v1, s13 :: v_dual_cndmask_b32 v4, 0, v4, vcc_lo
	v_and_b32_e32 v32, 0xff, v32
	s_delay_alu instid0(VALU_DEP_2) | instskip(NEXT) | instid1(VALU_DEP_2)
	v_cndmask_b32_e64 v4, v4, 0, s13
	v_cmp_eq_u16_e32 vcc_lo, 0, v32
	s_wait_dscnt 0x0
	v_cndmask_b32_e32 v20, 0, v20, vcc_lo
	v_cndmask_b32_e64 v5, v5, 0, s13
	v_cndmask_b32_e32 v21, 0, v21, vcc_lo
	s_delay_alu instid0(VALU_DEP_2) | instskip(NEXT) | instid1(VALU_DEP_1)
	v_add_nc_u64_e32 v[4:5], v[4:5], v[2:3]
	v_add_nc_u64_e32 v[32:33], v[4:5], v[20:21]
	s_delay_alu instid0(VALU_DEP_1) | instskip(NEXT) | instid1(VALU_DEP_1)
	v_dual_cndmask_b32 v5, 0, v33, s1 :: v_dual_cndmask_b32 v4, 0, v32, s1
	v_add_nc_u64_e32 v[34:35], v[4:5], v[6:7]
	s_delay_alu instid0(VALU_DEP_1) | instskip(NEXT) | instid1(VALU_DEP_1)
	v_dual_cndmask_b32 v5, 0, v35, s2 :: v_dual_cndmask_b32 v4, 0, v34, s2
	;; [unrolled: 3-line block ×13, first 2 shown]
	v_add_nc_u64_e32 v[58:59], v[4:5], v[8:9]
	s_branch .LBB83_153
.LBB83_206:
	s_cmp_lg_u64 s[28:29], 0
	v_cmp_eq_u32_e32 vcc_lo, 0, v0
	s_cselect_b32 s1, -1, 0
	s_cmp_lg_u64 s[46:47], 0
	v_cmp_ne_u32_e64 s0, 0, v0
	s_cselect_b32 s2, -1, 0
	s_delay_alu instid0(SALU_CYCLE_1) | instskip(NEXT) | instid1(SALU_CYCLE_1)
	s_and_b32 s1, s1, s2
	s_and_b32 s1, vcc_lo, s1
	s_delay_alu instid0(SALU_CYCLE_1)
	s_and_saveexec_b32 s2, s1
	s_cbranch_execz .LBB83_208
; %bb.207:
	v_mov_b32_e32 v20, 0
	s_clause 0x1
	global_load_b64 v[4:5], v20, s[46:47]
	global_load_u8 v21, v20, s[46:47] offset:8
	s_wait_xcnt 0x0
	v_and_b32_e32 v20, 0xff, v1
	s_delay_alu instid0(VALU_DEP_1) | instskip(SKIP_1) | instid1(VALU_DEP_1)
	v_cmp_eq_u16_e64 s1, 0, v20
	s_wait_loadcnt 0x1
	v_dual_cndmask_b32 v5, 0, v5, s1 :: v_dual_cndmask_b32 v4, 0, v4, s1
	s_wait_loadcnt 0x0
	v_bitop3_b16 v1, v1, 1, v21 bitop3:0xc8
	s_delay_alu instid0(VALU_DEP_2)
	v_add_nc_u64_e32 v[2:3], v[4:5], v[2:3]
.LBB83_208:
	s_or_b32 exec_lo, exec_lo, s2
	v_cmp_eq_u16_e64 s1, 0, v82
	v_cmp_eq_u16_e64 s2, 0, v81
	;; [unrolled: 1-line block ×5, first 2 shown]
	v_dual_cndmask_b32 v5, 0, v3, s1 :: v_dual_cndmask_b32 v4, 0, v2, s1
	v_cmp_eq_u16_e64 s6, 0, v77
	v_cmp_eq_u16_e64 s7, 0, v76
	;; [unrolled: 1-line block ×4, first 2 shown]
	v_add_nc_u64_e32 v[34:35], v[4:5], v[6:7]
	v_cmp_eq_u16_e64 s10, 0, v73
	v_cmp_eq_u16_e64 s11, 0, v72
	;; [unrolled: 1-line block ×3, first 2 shown]
	v_cmp_ne_u16_e64 s19, 0, v70
	v_cmp_eq_u32_e64 s20, 1, v60
	v_bitop3_b16 v20, v1, 0xff, v88 bitop3:0xc8
	v_dual_cndmask_b32 v5, 0, v35, s2 :: v_dual_cndmask_b32 v4, 0, v34, s2
	v_cmp_ne_u16_e64 s17, 0, v69
	v_cmp_eq_u32_e64 s18, 1, v61
	v_cmp_ne_u16_e64 s21, 0, v67
	v_cmp_eq_u16_e64 s13, 0, v65
	v_add_nc_u64_e32 v[36:37], v[4:5], v[12:13]
	v_cmp_ne_u16_e64 s15, 0, v68
	v_cmp_eq_u32_e64 s16, 1, v62
	s_or_b32 s19, s19, s20
	v_cmp_eq_u32_e64 s14, 1, v66
	v_cmp_ne_u16_e64 s22, 0, v20
	s_or_b32 s17, s17, s18
	v_dual_cndmask_b32 v5, 0, v37, s3 :: v_dual_cndmask_b32 v4, 0, v36, s3
	s_or_b32 s18, s21, s19
	s_or_b32 s15, s15, s16
	;; [unrolled: 1-line block ×3, first 2 shown]
	v_and_b32_e32 v21, 0x70, v63
	v_add_nc_u64_e32 v[38:39], v[4:5], v[10:11]
	s_or_b32 s14, s22, s14
	s_or_b32 s15, s16, s15
	s_mov_b32 s17, exec_lo
	s_or_b32 s14, s15, s14
	s_delay_alu instid0(SALU_CYCLE_1) | instskip(NEXT) | instid1(VALU_DEP_2)
	v_cndmask_b32_e64 v33, 0, 1, s14
	v_dual_cndmask_b32 v5, 0, v39, s4 :: v_dual_cndmask_b32 v4, 0, v38, s4
	s_delay_alu instid0(VALU_DEP_1) | instskip(NEXT) | instid1(VALU_DEP_1)
	v_add_nc_u64_e32 v[40:41], v[4:5], v[16:17]
	v_dual_cndmask_b32 v5, 0, v41, s5 :: v_dual_cndmask_b32 v4, 0, v40, s5
	s_delay_alu instid0(VALU_DEP_1) | instskip(NEXT) | instid1(VALU_DEP_1)
	v_add_nc_u64_e32 v[42:43], v[4:5], v[14:15]
	;; [unrolled: 3-line block ×9, first 2 shown]
	v_dual_cndmask_b32 v5, 0, v57, s13 :: v_dual_cndmask_b32 v4, 0, v56, s13
	s_delay_alu instid0(VALU_DEP_1)
	v_add_nc_u64_e32 v[58:59], v[4:5], v[8:9]
	v_lshl_add_u32 v4, v0, 4, v21
	ds_store_b64 v4, v[58:59]
	ds_store_b8 v4, v33 offset:8
	s_wait_dscnt 0x0
	s_barrier_signal -1
	s_barrier_wait -1
	v_cmpx_gt_u32_e32 32, v0
	s_cbranch_execz .LBB83_220
; %bb.209:
	v_dual_lshlrev_b32 v4, 2, v0 :: v_dual_lshlrev_b32 v5, 7, v0
	s_delay_alu instid0(VALU_DEP_1) | instskip(NEXT) | instid1(VALU_DEP_1)
	v_and_b32_e32 v4, 0x3f0, v4
	v_add_nc_u32_e32 v32, v4, v5
	ds_load_u8 v61, v32 offset:24
	ds_load_b64 v[4:5], v32
	ds_load_2addr_b64 v[66:69], v32 offset0:2 offset1:4
	ds_load_u8 v62, v32 offset:40
	ds_load_b32 v60, v32 offset:8
	ds_load_u8 v63, v32 offset:56
	ds_load_u8 v65, v32 offset:72
	;; [unrolled: 1-line block ×4, first 2 shown]
	s_wait_dscnt 0x8
	v_cmp_eq_u16_e64 s14, 0, v61
	s_wait_dscnt 0x7
	s_delay_alu instid0(VALU_DEP_1)
	v_dual_cndmask_b32 v21, 0, v5, s14 :: v_dual_cndmask_b32 v20, 0, v4, s14
	s_wait_dscnt 0x5
	v_cmp_eq_u16_e64 s14, 0, v62
	ds_load_2addr_b64 v[70:73], v32 offset0:6 offset1:8
	s_wait_dscnt 0x4
	v_bitop3_b16 v61, v62, v63, v61 bitop3:0xfe
	s_wait_dscnt 0x1
	v_bitop3_b16 v62, v74, v75, v65 bitop3:0xfe
	v_add_nc_u64_e32 v[20:21], v[20:21], v[66:67]
	s_delay_alu instid0(VALU_DEP_1) | instskip(SKIP_1) | instid1(VALU_DEP_2)
	v_dual_cndmask_b32 v21, 0, v21, s14 :: v_dual_cndmask_b32 v20, 0, v20, s14
	v_cmp_eq_u16_e64 s14, 0, v63
	v_add_nc_u64_e32 v[20:21], v[20:21], v[68:69]
	s_delay_alu instid0(VALU_DEP_1) | instskip(SKIP_2) | instid1(VALU_DEP_2)
	v_dual_cndmask_b32 v21, 0, v21, s14 :: v_dual_cndmask_b32 v20, 0, v20, s14
	v_cmp_eq_u16_e64 s14, 0, v65
	s_wait_dscnt 0x0
	v_add_nc_u64_e32 v[20:21], v[20:21], v[70:71]
	ds_load_2addr_b64 v[66:69], v32 offset0:10 offset1:12
	ds_load_u8 v70, v32 offset:120
	v_dual_cndmask_b32 v21, 0, v21, s14 :: v_dual_cndmask_b32 v20, 0, v20, s14
	v_cmp_eq_u16_e64 s14, 0, v74
	s_delay_alu instid0(VALU_DEP_2) | instskip(NEXT) | instid1(VALU_DEP_1)
	v_add_nc_u64_e32 v[20:21], v[20:21], v[72:73]
	v_cndmask_b32_e64 v21, 0, v21, s14
	s_wait_dscnt 0x0
	v_bitop3_b16 v61, v70, v61, v62 bitop3:0xfe
	s_delay_alu instid0(VALU_DEP_3) | instskip(SKIP_2) | instid1(VALU_DEP_4)
	v_cndmask_b32_e64 v20, 0, v20, s14
	v_cmp_eq_u16_e64 s14, 0, v75
	v_cmp_eq_u16_e64 s16, 0, v70
	v_and_b32_e32 v61, 1, v61
	s_delay_alu instid0(VALU_DEP_4)
	v_add_nc_u64_e32 v[20:21], v[20:21], v[66:67]
	ds_load_b64 v[66:67], v32 offset:112
	v_and_b32_e32 v62, 1, v60
	v_cmp_eq_u32_e64 s15, 1, v61
	v_and_b32_e32 v61, 0xffffff00, v60
	v_dual_cndmask_b32 v21, 0, v21, s14 :: v_dual_cndmask_b32 v20, 0, v20, s14
	s_delay_alu instid0(VALU_DEP_4) | instskip(SKIP_1) | instid1(VALU_DEP_3)
	v_cmp_eq_u32_e64 s14, 1, v62
	v_mbcnt_lo_u32_b32 v62, -1, 0
	v_add_nc_u64_e32 v[20:21], v[20:21], v[68:69]
	s_or_b32 s15, s15, s14
	s_delay_alu instid0(SALU_CYCLE_1) | instskip(SKIP_1) | instid1(VALU_DEP_3)
	v_cndmask_b32_e64 v65, 0, 1, s15
	v_cndmask_b32_e64 v63, 0, 1, s15
	v_dual_cndmask_b32 v21, 0, v21, s16 :: v_dual_cndmask_b32 v20, 0, v20, s16
	s_mov_b32 s16, exec_lo
	s_wait_dscnt 0x0
	s_delay_alu instid0(VALU_DEP_1) | instskip(SKIP_2) | instid1(VALU_DEP_2)
	v_add_nc_u64_e32 v[20:21], v[20:21], v[66:67]
	v_or_b32_e32 v66, v61, v65
	v_and_b32_e32 v65, 15, v62
	v_mov_b32_dpp v68, v66 row_shr:1 row_mask:0xf bank_mask:0xf
	s_delay_alu instid0(VALU_DEP_4) | instskip(SKIP_1) | instid1(VALU_DEP_4)
	v_mov_b32_dpp v67, v20 row_shr:1 row_mask:0xf bank_mask:0xf
	v_mov_b32_dpp v69, v21 row_shr:1 row_mask:0xf bank_mask:0xf
	v_cmpx_ne_u32_e32 0, v65
; %bb.210:
	s_delay_alu instid0(VALU_DEP_4) | instskip(NEXT) | instid1(VALU_DEP_3)
	v_bitop3_b16 v63, v68, v63, 1 bitop3:0xec
	v_cndmask_b32_e64 v69, v69, 0, s15
	v_cndmask_b32_e64 v68, v67, 0, s15
	s_delay_alu instid0(VALU_DEP_3) | instskip(NEXT) | instid1(VALU_DEP_2)
	v_and_b32_e32 v66, 0xffff, v63
	v_add_nc_u64_e32 v[20:21], v[68:69], v[20:21]
	s_delay_alu instid0(VALU_DEP_2)
	v_or_b32_e32 v66, v61, v66
; %bb.211:
	s_or_b32 exec_lo, exec_lo, s16
	s_delay_alu instid0(VALU_DEP_2) | instskip(NEXT) | instid1(VALU_DEP_3)
	v_mov_b32_dpp v67, v20 row_shr:2 row_mask:0xf bank_mask:0xf
	v_mov_b32_dpp v68, v21 row_shr:2 row_mask:0xf bank_mask:0xf
	s_delay_alu instid0(VALU_DEP_3)
	v_mov_b32_dpp v69, v66 row_shr:2 row_mask:0xf bank_mask:0xf
	s_mov_b32 s18, exec_lo
	v_cmpx_lt_u32_e32 1, v65
	s_cbranch_execz .LBB83_213
; %bb.212:
	v_cmp_eq_u16_e64 s14, 0, v63
	v_and_b32_e32 v66, 1, v63
	v_and_b32_e32 v69, 1, v69
	s_delay_alu instid0(VALU_DEP_1) | instskip(NEXT) | instid1(VALU_DEP_4)
	v_cmp_eq_u32_e64 s16, 1, v69
	v_cndmask_b32_e64 v69, 0, v68, s14
	s_delay_alu instid0(VALU_DEP_4) | instskip(SKIP_2) | instid1(VALU_DEP_1)
	v_cmp_eq_u32_e64 s15, 1, v66
	v_cndmask_b32_e64 v68, 0, v67, s14
	s_or_b32 s14, s15, s16
	v_add_nc_u64_e32 v[20:21], v[68:69], v[20:21]
	v_cndmask_b32_e64 v66, 0, 1, s14
	v_cndmask_b32_e64 v63, 0, 1, s14
	s_delay_alu instid0(VALU_DEP_2)
	v_or_b32_e32 v66, v61, v66
.LBB83_213:
	s_or_b32 exec_lo, exec_lo, s18
	s_delay_alu instid0(VALU_DEP_4) | instskip(SKIP_1) | instid1(VALU_DEP_3)
	v_mov_b32_dpp v67, v20 row_shr:4 row_mask:0xf bank_mask:0xf
	v_mov_b32_dpp v68, v21 row_shr:4 row_mask:0xf bank_mask:0xf
	;; [unrolled: 1-line block ×3, first 2 shown]
	s_mov_b32 s18, exec_lo
	v_cmpx_lt_u32_e32 3, v65
	s_cbranch_execz .LBB83_215
; %bb.214:
	v_cmp_eq_u16_e64 s14, 0, v63
	v_and_b32_e32 v66, 1, v63
	v_and_b32_e32 v69, 1, v69
	s_delay_alu instid0(VALU_DEP_1) | instskip(NEXT) | instid1(VALU_DEP_4)
	v_cmp_eq_u32_e64 s16, 1, v69
	v_cndmask_b32_e64 v69, 0, v68, s14
	s_delay_alu instid0(VALU_DEP_4) | instskip(SKIP_2) | instid1(VALU_DEP_1)
	v_cmp_eq_u32_e64 s15, 1, v66
	v_cndmask_b32_e64 v68, 0, v67, s14
	s_or_b32 s14, s15, s16
	v_add_nc_u64_e32 v[20:21], v[68:69], v[20:21]
	v_cndmask_b32_e64 v66, 0, 1, s14
	v_cndmask_b32_e64 v63, 0, 1, s14
	s_delay_alu instid0(VALU_DEP_2)
	v_or_b32_e32 v66, v61, v66
.LBB83_215:
	s_or_b32 exec_lo, exec_lo, s18
	s_delay_alu instid0(VALU_DEP_4) | instskip(SKIP_1) | instid1(VALU_DEP_3)
	v_mov_b32_dpp v67, v20 row_shr:8 row_mask:0xf bank_mask:0xf
	v_mov_b32_dpp v68, v21 row_shr:8 row_mask:0xf bank_mask:0xf
	;; [unrolled: 1-line block ×3, first 2 shown]
	s_mov_b32 s18, exec_lo
	v_cmpx_lt_u32_e32 7, v65
	s_cbranch_execz .LBB83_217
; %bb.216:
	v_cmp_eq_u16_e64 s14, 0, v63
	v_and_b32_e32 v65, 1, v63
	s_delay_alu instid0(VALU_DEP_2) | instskip(NEXT) | instid1(VALU_DEP_2)
	v_dual_cndmask_b32 v69, 0, v68, s14 :: v_dual_bitop2_b32 v66, 1, v69 bitop3:0x40
	v_cmp_eq_u32_e64 s15, 1, v65
	v_cndmask_b32_e64 v68, 0, v67, s14
	s_delay_alu instid0(VALU_DEP_3) | instskip(NEXT) | instid1(VALU_DEP_2)
	v_cmp_eq_u32_e64 s16, 1, v66
	v_add_nc_u64_e32 v[20:21], v[68:69], v[20:21]
	s_or_b32 s14, s15, s16
	s_delay_alu instid0(SALU_CYCLE_1) | instskip(SKIP_1) | instid1(VALU_DEP_2)
	v_cndmask_b32_e64 v65, 0, 1, s14
	v_cndmask_b32_e64 v63, 0, 1, s14
	v_or_b32_e32 v66, v61, v65
.LBB83_217:
	s_or_b32 exec_lo, exec_lo, s18
	ds_swizzle_b32 v65, v20 offset:swizzle(BROADCAST,32,15)
	ds_swizzle_b32 v67, v21 offset:swizzle(BROADCAST,32,15)
	;; [unrolled: 1-line block ×3, first 2 shown]
	v_and_b32_e32 v68, 16, v62
	s_mov_b32 s16, exec_lo
	s_delay_alu instid0(VALU_DEP_1)
	v_cmpx_ne_u32_e32 0, v68
	s_cbranch_execz .LBB83_219
; %bb.218:
	v_cmp_eq_u16_e64 s14, 0, v63
	v_and_b32_e32 v63, 1, v63
	s_wait_dscnt 0x0
	s_delay_alu instid0(VALU_DEP_2) | instskip(SKIP_1) | instid1(VALU_DEP_3)
	v_dual_cndmask_b32 v67, 0, v67, s14 :: v_dual_bitop2_b32 v68, 1, v66 bitop3:0x40
	v_cndmask_b32_e64 v66, 0, v65, s14
	v_cmp_eq_u32_e64 s14, 1, v63
	s_delay_alu instid0(VALU_DEP_3) | instskip(NEXT) | instid1(VALU_DEP_3)
	v_cmp_eq_u32_e64 s15, 1, v68
	v_add_nc_u64_e32 v[20:21], v[66:67], v[20:21]
	s_or_b32 s14, s14, s15
	s_delay_alu instid0(SALU_CYCLE_1)
	v_cndmask_b32_e64 v63, 0, 1, s14
.LBB83_219:
	s_or_b32 exec_lo, exec_lo, s16
	s_wait_dscnt 0x2
	v_add_nc_u32_e32 v65, -1, v62
	s_delay_alu instid0(VALU_DEP_2) | instskip(NEXT) | instid1(VALU_DEP_2)
	v_and_b32_e32 v63, 0xffff, v63
	; wave barrier
	v_cmp_gt_i32_e64 s14, 0, v65
	s_delay_alu instid0(VALU_DEP_1) | instskip(NEXT) | instid1(VALU_DEP_1)
	v_cndmask_b32_e64 v62, v65, v62, s14
	v_lshlrev_b32_e32 v62, 2, v62
	ds_bpermute_b32 v21, v62, v21
	ds_bpermute_b32 v20, v62, v20
	v_or_b32_e32 v61, v61, v63
	ds_bpermute_b32 v61, v62, v61
	v_and_b32_e32 v62, 0xff, v60
	s_delay_alu instid0(VALU_DEP_1) | instskip(SKIP_1) | instid1(VALU_DEP_1)
	v_cmp_eq_u32_e64 s14, 0, v62
	s_wait_dscnt 0x1
	v_dual_cndmask_b32 v21, 0, v21, s14 :: v_dual_cndmask_b32 v20, 0, v20, s14
	s_delay_alu instid0(VALU_DEP_1) | instskip(SKIP_1) | instid1(VALU_DEP_1)
	v_add_nc_u64_e32 v[4:5], v[20:21], v[4:5]
	s_wait_dscnt 0x0
	v_dual_cndmask_b32 v4, v4, v58, vcc_lo :: v_dual_bitop2_b32 v60, v61, v60 bitop3:0x54
	s_delay_alu instid0(VALU_DEP_1) | instskip(NEXT) | instid1(VALU_DEP_1)
	v_dual_cndmask_b32 v5, v5, v59, vcc_lo :: v_dual_bitop2_b32 v20, 1, v60 bitop3:0x40
	v_cndmask_b32_e32 v33, v20, v33, vcc_lo
	ds_store_b64 v32, v[4:5]
	ds_store_b8 v32, v33 offset:8
	; wave barrier
	ds_load_u8 v65, v32 offset:24
	ds_load_2addr_b64 v[60:63], v32 offset0:2 offset1:4
	ds_load_u8 v74, v32 offset:40
	ds_load_u8 v75, v32 offset:56
	;; [unrolled: 1-line block ×5, first 2 shown]
	ds_load_b64 v[20:21], v32 offset:112
	ds_load_u8 v79, v32 offset:120
	s_wait_dscnt 0x8
	v_and_b32_e32 v66, 0xff, v65
	s_wait_dscnt 0x5
	v_and_b32_e32 v72, 0xff, v75
	s_delay_alu instid0(VALU_DEP_2) | instskip(SKIP_3) | instid1(VALU_DEP_3)
	v_cmp_eq_u16_e64 s14, 0, v66
	v_and_b32_e32 v66, 0xff, v74
	s_wait_dscnt 0x3
	v_and_b32_e32 v80, 0xff, v77
	v_dual_cndmask_b32 v5, 0, v5, s14 :: v_dual_cndmask_b32 v4, 0, v4, s14
	s_delay_alu instid0(VALU_DEP_3) | instskip(SKIP_3) | instid1(VALU_DEP_1)
	v_cmp_eq_u16_e64 s14, 0, v66
	ds_load_2addr_b64 v[66:69], v32 offset0:6 offset1:8
	v_bitop3_b16 v81, v65, 1, v33 bitop3:0xc8
	v_add_nc_u64_e32 v[4:5], v[4:5], v[60:61]
	v_dual_cndmask_b32 v61, 0, v5, s14 :: v_dual_cndmask_b32 v60, 0, v4, s14
	v_cmp_eq_u16_e64 s14, 0, v72
	s_delay_alu instid0(VALU_DEP_2) | instskip(SKIP_1) | instid1(VALU_DEP_2)
	v_add_nc_u64_e32 v[70:71], v[60:61], v[62:63]
	v_and_b32_e32 v62, 0xff, v76
	v_dual_cndmask_b32 v61, 0, v71, s14 :: v_dual_cndmask_b32 v60, 0, v70, s14
	s_delay_alu instid0(VALU_DEP_2) | instskip(SKIP_1) | instid1(VALU_DEP_2)
	v_cmp_eq_u16_e64 s14, 0, v62
	s_wait_dscnt 0x0
	v_add_nc_u64_e32 v[66:67], v[60:61], v[66:67]
	ds_load_2addr_b64 v[60:63], v32 offset0:10 offset1:12
	v_dual_cndmask_b32 v73, 0, v67, s14 :: v_dual_cndmask_b32 v72, 0, v66, s14
	v_cmp_eq_u16_e64 s14, 0, v80
	v_and_b32_e32 v80, 0xff, v78
	s_delay_alu instid0(VALU_DEP_3) | instskip(NEXT) | instid1(VALU_DEP_1)
	v_add_nc_u64_e32 v[68:69], v[72:73], v[68:69]
	v_dual_cndmask_b32 v73, 0, v69, s14 :: v_dual_cndmask_b32 v72, 0, v68, s14
	s_delay_alu instid0(VALU_DEP_3) | instskip(SKIP_1) | instid1(VALU_DEP_2)
	v_cmp_eq_u16_e64 s14, 0, v80
	s_wait_dscnt 0x0
	v_add_nc_u64_e32 v[60:61], v[72:73], v[60:61]
	s_delay_alu instid0(VALU_DEP_1) | instskip(SKIP_1) | instid1(VALU_DEP_2)
	v_dual_cndmask_b32 v73, 0, v61, s14 :: v_dual_cndmask_b32 v72, 0, v60, s14
	v_cmp_eq_u16_e64 s14, 0, v79
	v_add_nc_u64_e32 v[62:63], v[72:73], v[62:63]
	v_or_b32_e32 v80, v65, v33
	v_bitop3_b16 v33, v74, v65, v33 bitop3:0xfe
	ds_store_2addr_b64 v32, v[4:5], v[70:71] offset0:2 offset1:4
	ds_store_2addr_b64 v32, v[66:67], v[68:69] offset0:6 offset1:8
	ds_store_2addr_b64 v32, v[60:61], v[62:63] offset0:10 offset1:12
	v_cndmask_b32_e64 v73, 0, v63, s14
	v_bitop3_b16 v65, v75, v74, v80 bitop3:0xfe
	v_bitop3_b16 v74, v74, 1, v80 bitop3:0xc8
	;; [unrolled: 1-line block ×4, first 2 shown]
	s_delay_alu instid0(VALU_DEP_4) | instskip(SKIP_1) | instid1(VALU_DEP_3)
	v_bitop3_b16 v72, v77, v76, v65 bitop3:0xfe
	v_bitop3_b16 v65, v76, 1, v65 bitop3:0xc8
	;; [unrolled: 1-line block ×4, first 2 shown]
	s_delay_alu instid0(VALU_DEP_4) | instskip(SKIP_1) | instid1(VALU_DEP_4)
	v_bitop3_b16 v76, v78, 1, v72 bitop3:0xc8
	v_cndmask_b32_e64 v72, 0, v62, s14
	v_bitop3_b16 v75, v79, 1, v75 bitop3:0xc8
	s_delay_alu instid0(VALU_DEP_2)
	v_add_nc_u64_e32 v[4:5], v[72:73], v[20:21]
	ds_store_b8 v32, v81 offset:24
	ds_store_b8 v32, v74 offset:40
	;; [unrolled: 1-line block ×6, first 2 shown]
	ds_store_b64 v32, v[4:5] offset:112
	ds_store_b8 v32, v75 offset:120
.LBB83_220:
	s_or_b32 exec_lo, exec_lo, s17
	s_wait_dscnt 0x0
	s_barrier_signal -1
	s_barrier_wait -1
	s_and_saveexec_b32 s14, s0
	s_cbranch_execz .LBB83_222
; %bb.221:
	v_and_b32_e32 v1, 0xff, v1
	s_delay_alu instid0(VALU_DEP_1) | instskip(SKIP_1) | instid1(VALU_DEP_1)
	v_cmp_eq_u16_e64 s0, 0, v1
	v_add_nc_u32_e32 v4, -1, v0
	v_lshrrev_b32_e32 v5, 1, v4
	s_delay_alu instid0(VALU_DEP_1) | instskip(NEXT) | instid1(VALU_DEP_1)
	v_and_b32_e32 v5, 0x7ffffff0, v5
	v_lshl_add_u32 v4, v4, 4, v5
	ds_load_b64 v[4:5], v4
	;;#ASMSTART
	;;#ASMEND
	s_wait_dscnt 0x0
	v_dual_cndmask_b32 v5, 0, v5, s0 :: v_dual_cndmask_b32 v4, 0, v4, s0
	s_delay_alu instid0(VALU_DEP_1) | instskip(NEXT) | instid1(VALU_DEP_1)
	v_add_nc_u64_e32 v[2:3], v[4:5], v[2:3]
	v_dual_cndmask_b32 v5, 0, v3, s1 :: v_dual_cndmask_b32 v4, 0, v2, s1
	s_delay_alu instid0(VALU_DEP_1) | instskip(NEXT) | instid1(VALU_DEP_1)
	v_add_nc_u64_e32 v[34:35], v[4:5], v[6:7]
	;; [unrolled: 3-line block ×13, first 2 shown]
	v_dual_cndmask_b32 v5, 0, v57, s13 :: v_dual_cndmask_b32 v4, 0, v56, s13
	s_delay_alu instid0(VALU_DEP_1)
	v_add_nc_u64_e32 v[58:59], v[4:5], v[8:9]
.LBB83_222:
	s_or_b32 exec_lo, exec_lo, s14
	s_and_saveexec_b32 s0, vcc_lo
	s_cbranch_execz .LBB83_224
; %bb.223:
	v_dual_mov_b32 v1, 0 :: v_dual_mov_b32 v7, 2
	ds_load_b64 v[4:5], v1 offset:4192
	ds_load_u8 v6, v1 offset:4200
	s_wait_dscnt 0x1
	global_store_b64 v1, v[4:5], s[38:39] offset:512
	s_wait_dscnt 0x0
	global_store_b8 v1, v6, s[38:39] offset:520
	global_wb scope:SCOPE_DEV
	s_wait_storecnt 0x0
	global_inv scope:SCOPE_DEV
	s_wait_xcnt 0x0
	global_store_b8 v1, v7, s[40:41] offset:32 scope:SCOPE_DEV
.LBB83_224:
	s_wait_xcnt 0x0
	s_or_b32 exec_lo, exec_lo, s0
	v_mov_b64_e32 v[32:33], v[2:3]
	s_add_nc_u64 s[0:1], s[26:27], s[34:35]
	s_and_b32 vcc_lo, exec_lo, s23
	s_add_nc_u64 s[0:1], s[0:1], s[24:25]
	s_cbranch_vccnz .LBB83_154
.LBB83_225:
	s_mov_b32 s2, 0
                                        ; implicit-def: $vgpr4_vgpr5
	s_cbranch_execz .LBB83_227
; %bb.226:
	v_mul_u32_u24_e32 v1, 0x70, v0
	v_mul_i32_i24_e32 v2, 0xffffff98, v0
	s_wait_storecnt 0x0
	s_wait_loadcnt_dscnt 0x0
	s_barrier_signal -1
	s_barrier_wait -1
	ds_store_b128 v1, v[32:35]
	ds_store_b128 v1, v[36:39] offset:16
	ds_store_b128 v1, v[40:43] offset:32
	;; [unrolled: 1-line block ×6, first 2 shown]
	v_mad_u32_u24 v1, 0x70, v0, v2
	s_wait_dscnt 0x0
	s_barrier_signal -1
	s_barrier_wait -1
	ds_load_2addr_stride64_b64 v[6:9], v1 offset1:4
	ds_load_2addr_stride64_b64 v[10:13], v1 offset0:8 offset1:12
	ds_load_2addr_stride64_b64 v[14:17], v1 offset0:16 offset1:20
	;; [unrolled: 1-line block ×6, first 2 shown]
	s_or_b32 s2, s2, exec_lo
	s_wait_dscnt 0x6
	s_clause 0x1
	flat_store_b64 v0, v[6:7], s[0:1] scale_offset
	flat_store_b64 v0, v[8:9], s[0:1] offset:2048 scale_offset
	s_wait_dscnt 0x7
	s_clause 0x1
	flat_store_b64 v0, v[10:11], s[0:1] offset:4096 scale_offset
	flat_store_b64 v0, v[12:13], s[0:1] offset:6144 scale_offset
	s_wait_dscnt 0x8
	s_clause 0x1
	flat_store_b64 v0, v[14:15], s[0:1] offset:8192 scale_offset
	;; [unrolled: 4-line block ×5, first 2 shown]
	flat_store_b64 v0, v[28:29], s[0:1] offset:22528 scale_offset
	s_wait_dscnt 0xc
	flat_store_b64 v0, v[2:3], s[0:1] offset:24576 scale_offset
.LBB83_227:
	s_wait_xcnt 0x0
	s_delay_alu instid0(VALU_DEP_1)
	s_and_saveexec_b32 s3, s2
	s_cbranch_execnz .LBB83_229
; %bb.228:
	s_sendmsg sendmsg(MSG_DEALLOC_VGPRS)
	s_endpgm
.LBB83_229:
	s_wait_dscnt 0x0
	flat_store_b64 v0, v[4:5], s[0:1] offset:26624 scale_offset
	s_sendmsg sendmsg(MSG_DEALLOC_VGPRS)
	s_endpgm
	.section	.rodata,"a",@progbits
	.p2align	6, 0x0
	.amdhsa_kernel _ZN7rocprim17ROCPRIM_400000_NS6detail17trampoline_kernelINS0_14default_configENS1_27scan_by_key_config_selectorIxxEEZZNS1_16scan_by_key_implILNS1_25lookback_scan_determinismE0ELb0ES3_N6thrust23THRUST_200600_302600_NS6detail15normal_iteratorINS9_10device_ptrIxEEEESE_SE_xNS9_4plusIvEENS9_8equal_toIxEExEE10hipError_tPvRmT2_T3_T4_T5_mT6_T7_P12ihipStream_tbENKUlT_T0_E_clISt17integral_constantIbLb0EESZ_EEDaSU_SV_EUlSU_E_NS1_11comp_targetILNS1_3genE0ELNS1_11target_archE4294967295ELNS1_3gpuE0ELNS1_3repE0EEENS1_30default_config_static_selectorELNS0_4arch9wavefront6targetE0EEEvT1_
		.amdhsa_group_segment_fixed_size 32768
		.amdhsa_private_segment_fixed_size 0
		.amdhsa_kernarg_size 136
		.amdhsa_user_sgpr_count 2
		.amdhsa_user_sgpr_dispatch_ptr 0
		.amdhsa_user_sgpr_queue_ptr 0
		.amdhsa_user_sgpr_kernarg_segment_ptr 1
		.amdhsa_user_sgpr_dispatch_id 0
		.amdhsa_user_sgpr_kernarg_preload_length 0
		.amdhsa_user_sgpr_kernarg_preload_offset 0
		.amdhsa_user_sgpr_private_segment_size 0
		.amdhsa_wavefront_size32 1
		.amdhsa_uses_dynamic_stack 0
		.amdhsa_enable_private_segment 0
		.amdhsa_system_sgpr_workgroup_id_x 1
		.amdhsa_system_sgpr_workgroup_id_y 0
		.amdhsa_system_sgpr_workgroup_id_z 0
		.amdhsa_system_sgpr_workgroup_info 0
		.amdhsa_system_vgpr_workitem_id 0
		.amdhsa_next_free_vgpr 111
		.amdhsa_next_free_sgpr 52
		.amdhsa_named_barrier_count 0
		.amdhsa_reserve_vcc 1
		.amdhsa_float_round_mode_32 0
		.amdhsa_float_round_mode_16_64 0
		.amdhsa_float_denorm_mode_32 3
		.amdhsa_float_denorm_mode_16_64 3
		.amdhsa_fp16_overflow 0
		.amdhsa_memory_ordered 1
		.amdhsa_forward_progress 1
		.amdhsa_inst_pref_size 124
		.amdhsa_round_robin_scheduling 0
		.amdhsa_exception_fp_ieee_invalid_op 0
		.amdhsa_exception_fp_denorm_src 0
		.amdhsa_exception_fp_ieee_div_zero 0
		.amdhsa_exception_fp_ieee_overflow 0
		.amdhsa_exception_fp_ieee_underflow 0
		.amdhsa_exception_fp_ieee_inexact 0
		.amdhsa_exception_int_div_zero 0
	.end_amdhsa_kernel
	.section	.text._ZN7rocprim17ROCPRIM_400000_NS6detail17trampoline_kernelINS0_14default_configENS1_27scan_by_key_config_selectorIxxEEZZNS1_16scan_by_key_implILNS1_25lookback_scan_determinismE0ELb0ES3_N6thrust23THRUST_200600_302600_NS6detail15normal_iteratorINS9_10device_ptrIxEEEESE_SE_xNS9_4plusIvEENS9_8equal_toIxEExEE10hipError_tPvRmT2_T3_T4_T5_mT6_T7_P12ihipStream_tbENKUlT_T0_E_clISt17integral_constantIbLb0EESZ_EEDaSU_SV_EUlSU_E_NS1_11comp_targetILNS1_3genE0ELNS1_11target_archE4294967295ELNS1_3gpuE0ELNS1_3repE0EEENS1_30default_config_static_selectorELNS0_4arch9wavefront6targetE0EEEvT1_,"axG",@progbits,_ZN7rocprim17ROCPRIM_400000_NS6detail17trampoline_kernelINS0_14default_configENS1_27scan_by_key_config_selectorIxxEEZZNS1_16scan_by_key_implILNS1_25lookback_scan_determinismE0ELb0ES3_N6thrust23THRUST_200600_302600_NS6detail15normal_iteratorINS9_10device_ptrIxEEEESE_SE_xNS9_4plusIvEENS9_8equal_toIxEExEE10hipError_tPvRmT2_T3_T4_T5_mT6_T7_P12ihipStream_tbENKUlT_T0_E_clISt17integral_constantIbLb0EESZ_EEDaSU_SV_EUlSU_E_NS1_11comp_targetILNS1_3genE0ELNS1_11target_archE4294967295ELNS1_3gpuE0ELNS1_3repE0EEENS1_30default_config_static_selectorELNS0_4arch9wavefront6targetE0EEEvT1_,comdat
.Lfunc_end83:
	.size	_ZN7rocprim17ROCPRIM_400000_NS6detail17trampoline_kernelINS0_14default_configENS1_27scan_by_key_config_selectorIxxEEZZNS1_16scan_by_key_implILNS1_25lookback_scan_determinismE0ELb0ES3_N6thrust23THRUST_200600_302600_NS6detail15normal_iteratorINS9_10device_ptrIxEEEESE_SE_xNS9_4plusIvEENS9_8equal_toIxEExEE10hipError_tPvRmT2_T3_T4_T5_mT6_T7_P12ihipStream_tbENKUlT_T0_E_clISt17integral_constantIbLb0EESZ_EEDaSU_SV_EUlSU_E_NS1_11comp_targetILNS1_3genE0ELNS1_11target_archE4294967295ELNS1_3gpuE0ELNS1_3repE0EEENS1_30default_config_static_selectorELNS0_4arch9wavefront6targetE0EEEvT1_, .Lfunc_end83-_ZN7rocprim17ROCPRIM_400000_NS6detail17trampoline_kernelINS0_14default_configENS1_27scan_by_key_config_selectorIxxEEZZNS1_16scan_by_key_implILNS1_25lookback_scan_determinismE0ELb0ES3_N6thrust23THRUST_200600_302600_NS6detail15normal_iteratorINS9_10device_ptrIxEEEESE_SE_xNS9_4plusIvEENS9_8equal_toIxEExEE10hipError_tPvRmT2_T3_T4_T5_mT6_T7_P12ihipStream_tbENKUlT_T0_E_clISt17integral_constantIbLb0EESZ_EEDaSU_SV_EUlSU_E_NS1_11comp_targetILNS1_3genE0ELNS1_11target_archE4294967295ELNS1_3gpuE0ELNS1_3repE0EEENS1_30default_config_static_selectorELNS0_4arch9wavefront6targetE0EEEvT1_
                                        ; -- End function
	.set _ZN7rocprim17ROCPRIM_400000_NS6detail17trampoline_kernelINS0_14default_configENS1_27scan_by_key_config_selectorIxxEEZZNS1_16scan_by_key_implILNS1_25lookback_scan_determinismE0ELb0ES3_N6thrust23THRUST_200600_302600_NS6detail15normal_iteratorINS9_10device_ptrIxEEEESE_SE_xNS9_4plusIvEENS9_8equal_toIxEExEE10hipError_tPvRmT2_T3_T4_T5_mT6_T7_P12ihipStream_tbENKUlT_T0_E_clISt17integral_constantIbLb0EESZ_EEDaSU_SV_EUlSU_E_NS1_11comp_targetILNS1_3genE0ELNS1_11target_archE4294967295ELNS1_3gpuE0ELNS1_3repE0EEENS1_30default_config_static_selectorELNS0_4arch9wavefront6targetE0EEEvT1_.num_vgpr, 111
	.set _ZN7rocprim17ROCPRIM_400000_NS6detail17trampoline_kernelINS0_14default_configENS1_27scan_by_key_config_selectorIxxEEZZNS1_16scan_by_key_implILNS1_25lookback_scan_determinismE0ELb0ES3_N6thrust23THRUST_200600_302600_NS6detail15normal_iteratorINS9_10device_ptrIxEEEESE_SE_xNS9_4plusIvEENS9_8equal_toIxEExEE10hipError_tPvRmT2_T3_T4_T5_mT6_T7_P12ihipStream_tbENKUlT_T0_E_clISt17integral_constantIbLb0EESZ_EEDaSU_SV_EUlSU_E_NS1_11comp_targetILNS1_3genE0ELNS1_11target_archE4294967295ELNS1_3gpuE0ELNS1_3repE0EEENS1_30default_config_static_selectorELNS0_4arch9wavefront6targetE0EEEvT1_.num_agpr, 0
	.set _ZN7rocprim17ROCPRIM_400000_NS6detail17trampoline_kernelINS0_14default_configENS1_27scan_by_key_config_selectorIxxEEZZNS1_16scan_by_key_implILNS1_25lookback_scan_determinismE0ELb0ES3_N6thrust23THRUST_200600_302600_NS6detail15normal_iteratorINS9_10device_ptrIxEEEESE_SE_xNS9_4plusIvEENS9_8equal_toIxEExEE10hipError_tPvRmT2_T3_T4_T5_mT6_T7_P12ihipStream_tbENKUlT_T0_E_clISt17integral_constantIbLb0EESZ_EEDaSU_SV_EUlSU_E_NS1_11comp_targetILNS1_3genE0ELNS1_11target_archE4294967295ELNS1_3gpuE0ELNS1_3repE0EEENS1_30default_config_static_selectorELNS0_4arch9wavefront6targetE0EEEvT1_.numbered_sgpr, 52
	.set _ZN7rocprim17ROCPRIM_400000_NS6detail17trampoline_kernelINS0_14default_configENS1_27scan_by_key_config_selectorIxxEEZZNS1_16scan_by_key_implILNS1_25lookback_scan_determinismE0ELb0ES3_N6thrust23THRUST_200600_302600_NS6detail15normal_iteratorINS9_10device_ptrIxEEEESE_SE_xNS9_4plusIvEENS9_8equal_toIxEExEE10hipError_tPvRmT2_T3_T4_T5_mT6_T7_P12ihipStream_tbENKUlT_T0_E_clISt17integral_constantIbLb0EESZ_EEDaSU_SV_EUlSU_E_NS1_11comp_targetILNS1_3genE0ELNS1_11target_archE4294967295ELNS1_3gpuE0ELNS1_3repE0EEENS1_30default_config_static_selectorELNS0_4arch9wavefront6targetE0EEEvT1_.num_named_barrier, 0
	.set _ZN7rocprim17ROCPRIM_400000_NS6detail17trampoline_kernelINS0_14default_configENS1_27scan_by_key_config_selectorIxxEEZZNS1_16scan_by_key_implILNS1_25lookback_scan_determinismE0ELb0ES3_N6thrust23THRUST_200600_302600_NS6detail15normal_iteratorINS9_10device_ptrIxEEEESE_SE_xNS9_4plusIvEENS9_8equal_toIxEExEE10hipError_tPvRmT2_T3_T4_T5_mT6_T7_P12ihipStream_tbENKUlT_T0_E_clISt17integral_constantIbLb0EESZ_EEDaSU_SV_EUlSU_E_NS1_11comp_targetILNS1_3genE0ELNS1_11target_archE4294967295ELNS1_3gpuE0ELNS1_3repE0EEENS1_30default_config_static_selectorELNS0_4arch9wavefront6targetE0EEEvT1_.private_seg_size, 0
	.set _ZN7rocprim17ROCPRIM_400000_NS6detail17trampoline_kernelINS0_14default_configENS1_27scan_by_key_config_selectorIxxEEZZNS1_16scan_by_key_implILNS1_25lookback_scan_determinismE0ELb0ES3_N6thrust23THRUST_200600_302600_NS6detail15normal_iteratorINS9_10device_ptrIxEEEESE_SE_xNS9_4plusIvEENS9_8equal_toIxEExEE10hipError_tPvRmT2_T3_T4_T5_mT6_T7_P12ihipStream_tbENKUlT_T0_E_clISt17integral_constantIbLb0EESZ_EEDaSU_SV_EUlSU_E_NS1_11comp_targetILNS1_3genE0ELNS1_11target_archE4294967295ELNS1_3gpuE0ELNS1_3repE0EEENS1_30default_config_static_selectorELNS0_4arch9wavefront6targetE0EEEvT1_.uses_vcc, 1
	.set _ZN7rocprim17ROCPRIM_400000_NS6detail17trampoline_kernelINS0_14default_configENS1_27scan_by_key_config_selectorIxxEEZZNS1_16scan_by_key_implILNS1_25lookback_scan_determinismE0ELb0ES3_N6thrust23THRUST_200600_302600_NS6detail15normal_iteratorINS9_10device_ptrIxEEEESE_SE_xNS9_4plusIvEENS9_8equal_toIxEExEE10hipError_tPvRmT2_T3_T4_T5_mT6_T7_P12ihipStream_tbENKUlT_T0_E_clISt17integral_constantIbLb0EESZ_EEDaSU_SV_EUlSU_E_NS1_11comp_targetILNS1_3genE0ELNS1_11target_archE4294967295ELNS1_3gpuE0ELNS1_3repE0EEENS1_30default_config_static_selectorELNS0_4arch9wavefront6targetE0EEEvT1_.uses_flat_scratch, 1
	.set _ZN7rocprim17ROCPRIM_400000_NS6detail17trampoline_kernelINS0_14default_configENS1_27scan_by_key_config_selectorIxxEEZZNS1_16scan_by_key_implILNS1_25lookback_scan_determinismE0ELb0ES3_N6thrust23THRUST_200600_302600_NS6detail15normal_iteratorINS9_10device_ptrIxEEEESE_SE_xNS9_4plusIvEENS9_8equal_toIxEExEE10hipError_tPvRmT2_T3_T4_T5_mT6_T7_P12ihipStream_tbENKUlT_T0_E_clISt17integral_constantIbLb0EESZ_EEDaSU_SV_EUlSU_E_NS1_11comp_targetILNS1_3genE0ELNS1_11target_archE4294967295ELNS1_3gpuE0ELNS1_3repE0EEENS1_30default_config_static_selectorELNS0_4arch9wavefront6targetE0EEEvT1_.has_dyn_sized_stack, 0
	.set _ZN7rocprim17ROCPRIM_400000_NS6detail17trampoline_kernelINS0_14default_configENS1_27scan_by_key_config_selectorIxxEEZZNS1_16scan_by_key_implILNS1_25lookback_scan_determinismE0ELb0ES3_N6thrust23THRUST_200600_302600_NS6detail15normal_iteratorINS9_10device_ptrIxEEEESE_SE_xNS9_4plusIvEENS9_8equal_toIxEExEE10hipError_tPvRmT2_T3_T4_T5_mT6_T7_P12ihipStream_tbENKUlT_T0_E_clISt17integral_constantIbLb0EESZ_EEDaSU_SV_EUlSU_E_NS1_11comp_targetILNS1_3genE0ELNS1_11target_archE4294967295ELNS1_3gpuE0ELNS1_3repE0EEENS1_30default_config_static_selectorELNS0_4arch9wavefront6targetE0EEEvT1_.has_recursion, 0
	.set _ZN7rocprim17ROCPRIM_400000_NS6detail17trampoline_kernelINS0_14default_configENS1_27scan_by_key_config_selectorIxxEEZZNS1_16scan_by_key_implILNS1_25lookback_scan_determinismE0ELb0ES3_N6thrust23THRUST_200600_302600_NS6detail15normal_iteratorINS9_10device_ptrIxEEEESE_SE_xNS9_4plusIvEENS9_8equal_toIxEExEE10hipError_tPvRmT2_T3_T4_T5_mT6_T7_P12ihipStream_tbENKUlT_T0_E_clISt17integral_constantIbLb0EESZ_EEDaSU_SV_EUlSU_E_NS1_11comp_targetILNS1_3genE0ELNS1_11target_archE4294967295ELNS1_3gpuE0ELNS1_3repE0EEENS1_30default_config_static_selectorELNS0_4arch9wavefront6targetE0EEEvT1_.has_indirect_call, 0
	.section	.AMDGPU.csdata,"",@progbits
; Kernel info:
; codeLenInByte = 15748
; TotalNumSgprs: 54
; NumVgprs: 111
; ScratchSize: 0
; MemoryBound: 0
; FloatMode: 240
; IeeeMode: 1
; LDSByteSize: 32768 bytes/workgroup (compile time only)
; SGPRBlocks: 0
; VGPRBlocks: 6
; NumSGPRsForWavesPerEU: 54
; NumVGPRsForWavesPerEU: 111
; NamedBarCnt: 0
; Occupancy: 9
; WaveLimiterHint : 1
; COMPUTE_PGM_RSRC2:SCRATCH_EN: 0
; COMPUTE_PGM_RSRC2:USER_SGPR: 2
; COMPUTE_PGM_RSRC2:TRAP_HANDLER: 0
; COMPUTE_PGM_RSRC2:TGID_X_EN: 1
; COMPUTE_PGM_RSRC2:TGID_Y_EN: 0
; COMPUTE_PGM_RSRC2:TGID_Z_EN: 0
; COMPUTE_PGM_RSRC2:TIDIG_COMP_CNT: 0
	.section	.text._ZN7rocprim17ROCPRIM_400000_NS6detail17trampoline_kernelINS0_14default_configENS1_27scan_by_key_config_selectorIxxEEZZNS1_16scan_by_key_implILNS1_25lookback_scan_determinismE0ELb0ES3_N6thrust23THRUST_200600_302600_NS6detail15normal_iteratorINS9_10device_ptrIxEEEESE_SE_xNS9_4plusIvEENS9_8equal_toIxEExEE10hipError_tPvRmT2_T3_T4_T5_mT6_T7_P12ihipStream_tbENKUlT_T0_E_clISt17integral_constantIbLb0EESZ_EEDaSU_SV_EUlSU_E_NS1_11comp_targetILNS1_3genE10ELNS1_11target_archE1201ELNS1_3gpuE5ELNS1_3repE0EEENS1_30default_config_static_selectorELNS0_4arch9wavefront6targetE0EEEvT1_,"axG",@progbits,_ZN7rocprim17ROCPRIM_400000_NS6detail17trampoline_kernelINS0_14default_configENS1_27scan_by_key_config_selectorIxxEEZZNS1_16scan_by_key_implILNS1_25lookback_scan_determinismE0ELb0ES3_N6thrust23THRUST_200600_302600_NS6detail15normal_iteratorINS9_10device_ptrIxEEEESE_SE_xNS9_4plusIvEENS9_8equal_toIxEExEE10hipError_tPvRmT2_T3_T4_T5_mT6_T7_P12ihipStream_tbENKUlT_T0_E_clISt17integral_constantIbLb0EESZ_EEDaSU_SV_EUlSU_E_NS1_11comp_targetILNS1_3genE10ELNS1_11target_archE1201ELNS1_3gpuE5ELNS1_3repE0EEENS1_30default_config_static_selectorELNS0_4arch9wavefront6targetE0EEEvT1_,comdat
	.protected	_ZN7rocprim17ROCPRIM_400000_NS6detail17trampoline_kernelINS0_14default_configENS1_27scan_by_key_config_selectorIxxEEZZNS1_16scan_by_key_implILNS1_25lookback_scan_determinismE0ELb0ES3_N6thrust23THRUST_200600_302600_NS6detail15normal_iteratorINS9_10device_ptrIxEEEESE_SE_xNS9_4plusIvEENS9_8equal_toIxEExEE10hipError_tPvRmT2_T3_T4_T5_mT6_T7_P12ihipStream_tbENKUlT_T0_E_clISt17integral_constantIbLb0EESZ_EEDaSU_SV_EUlSU_E_NS1_11comp_targetILNS1_3genE10ELNS1_11target_archE1201ELNS1_3gpuE5ELNS1_3repE0EEENS1_30default_config_static_selectorELNS0_4arch9wavefront6targetE0EEEvT1_ ; -- Begin function _ZN7rocprim17ROCPRIM_400000_NS6detail17trampoline_kernelINS0_14default_configENS1_27scan_by_key_config_selectorIxxEEZZNS1_16scan_by_key_implILNS1_25lookback_scan_determinismE0ELb0ES3_N6thrust23THRUST_200600_302600_NS6detail15normal_iteratorINS9_10device_ptrIxEEEESE_SE_xNS9_4plusIvEENS9_8equal_toIxEExEE10hipError_tPvRmT2_T3_T4_T5_mT6_T7_P12ihipStream_tbENKUlT_T0_E_clISt17integral_constantIbLb0EESZ_EEDaSU_SV_EUlSU_E_NS1_11comp_targetILNS1_3genE10ELNS1_11target_archE1201ELNS1_3gpuE5ELNS1_3repE0EEENS1_30default_config_static_selectorELNS0_4arch9wavefront6targetE0EEEvT1_
	.globl	_ZN7rocprim17ROCPRIM_400000_NS6detail17trampoline_kernelINS0_14default_configENS1_27scan_by_key_config_selectorIxxEEZZNS1_16scan_by_key_implILNS1_25lookback_scan_determinismE0ELb0ES3_N6thrust23THRUST_200600_302600_NS6detail15normal_iteratorINS9_10device_ptrIxEEEESE_SE_xNS9_4plusIvEENS9_8equal_toIxEExEE10hipError_tPvRmT2_T3_T4_T5_mT6_T7_P12ihipStream_tbENKUlT_T0_E_clISt17integral_constantIbLb0EESZ_EEDaSU_SV_EUlSU_E_NS1_11comp_targetILNS1_3genE10ELNS1_11target_archE1201ELNS1_3gpuE5ELNS1_3repE0EEENS1_30default_config_static_selectorELNS0_4arch9wavefront6targetE0EEEvT1_
	.p2align	8
	.type	_ZN7rocprim17ROCPRIM_400000_NS6detail17trampoline_kernelINS0_14default_configENS1_27scan_by_key_config_selectorIxxEEZZNS1_16scan_by_key_implILNS1_25lookback_scan_determinismE0ELb0ES3_N6thrust23THRUST_200600_302600_NS6detail15normal_iteratorINS9_10device_ptrIxEEEESE_SE_xNS9_4plusIvEENS9_8equal_toIxEExEE10hipError_tPvRmT2_T3_T4_T5_mT6_T7_P12ihipStream_tbENKUlT_T0_E_clISt17integral_constantIbLb0EESZ_EEDaSU_SV_EUlSU_E_NS1_11comp_targetILNS1_3genE10ELNS1_11target_archE1201ELNS1_3gpuE5ELNS1_3repE0EEENS1_30default_config_static_selectorELNS0_4arch9wavefront6targetE0EEEvT1_,@function
_ZN7rocprim17ROCPRIM_400000_NS6detail17trampoline_kernelINS0_14default_configENS1_27scan_by_key_config_selectorIxxEEZZNS1_16scan_by_key_implILNS1_25lookback_scan_determinismE0ELb0ES3_N6thrust23THRUST_200600_302600_NS6detail15normal_iteratorINS9_10device_ptrIxEEEESE_SE_xNS9_4plusIvEENS9_8equal_toIxEExEE10hipError_tPvRmT2_T3_T4_T5_mT6_T7_P12ihipStream_tbENKUlT_T0_E_clISt17integral_constantIbLb0EESZ_EEDaSU_SV_EUlSU_E_NS1_11comp_targetILNS1_3genE10ELNS1_11target_archE1201ELNS1_3gpuE5ELNS1_3repE0EEENS1_30default_config_static_selectorELNS0_4arch9wavefront6targetE0EEEvT1_: ; @_ZN7rocprim17ROCPRIM_400000_NS6detail17trampoline_kernelINS0_14default_configENS1_27scan_by_key_config_selectorIxxEEZZNS1_16scan_by_key_implILNS1_25lookback_scan_determinismE0ELb0ES3_N6thrust23THRUST_200600_302600_NS6detail15normal_iteratorINS9_10device_ptrIxEEEESE_SE_xNS9_4plusIvEENS9_8equal_toIxEExEE10hipError_tPvRmT2_T3_T4_T5_mT6_T7_P12ihipStream_tbENKUlT_T0_E_clISt17integral_constantIbLb0EESZ_EEDaSU_SV_EUlSU_E_NS1_11comp_targetILNS1_3genE10ELNS1_11target_archE1201ELNS1_3gpuE5ELNS1_3repE0EEENS1_30default_config_static_selectorELNS0_4arch9wavefront6targetE0EEEvT1_
; %bb.0:
	.section	.rodata,"a",@progbits
	.p2align	6, 0x0
	.amdhsa_kernel _ZN7rocprim17ROCPRIM_400000_NS6detail17trampoline_kernelINS0_14default_configENS1_27scan_by_key_config_selectorIxxEEZZNS1_16scan_by_key_implILNS1_25lookback_scan_determinismE0ELb0ES3_N6thrust23THRUST_200600_302600_NS6detail15normal_iteratorINS9_10device_ptrIxEEEESE_SE_xNS9_4plusIvEENS9_8equal_toIxEExEE10hipError_tPvRmT2_T3_T4_T5_mT6_T7_P12ihipStream_tbENKUlT_T0_E_clISt17integral_constantIbLb0EESZ_EEDaSU_SV_EUlSU_E_NS1_11comp_targetILNS1_3genE10ELNS1_11target_archE1201ELNS1_3gpuE5ELNS1_3repE0EEENS1_30default_config_static_selectorELNS0_4arch9wavefront6targetE0EEEvT1_
		.amdhsa_group_segment_fixed_size 0
		.amdhsa_private_segment_fixed_size 0
		.amdhsa_kernarg_size 136
		.amdhsa_user_sgpr_count 2
		.amdhsa_user_sgpr_dispatch_ptr 0
		.amdhsa_user_sgpr_queue_ptr 0
		.amdhsa_user_sgpr_kernarg_segment_ptr 1
		.amdhsa_user_sgpr_dispatch_id 0
		.amdhsa_user_sgpr_kernarg_preload_length 0
		.amdhsa_user_sgpr_kernarg_preload_offset 0
		.amdhsa_user_sgpr_private_segment_size 0
		.amdhsa_wavefront_size32 1
		.amdhsa_uses_dynamic_stack 0
		.amdhsa_enable_private_segment 0
		.amdhsa_system_sgpr_workgroup_id_x 1
		.amdhsa_system_sgpr_workgroup_id_y 0
		.amdhsa_system_sgpr_workgroup_id_z 0
		.amdhsa_system_sgpr_workgroup_info 0
		.amdhsa_system_vgpr_workitem_id 0
		.amdhsa_next_free_vgpr 1
		.amdhsa_next_free_sgpr 1
		.amdhsa_named_barrier_count 0
		.amdhsa_reserve_vcc 0
		.amdhsa_float_round_mode_32 0
		.amdhsa_float_round_mode_16_64 0
		.amdhsa_float_denorm_mode_32 3
		.amdhsa_float_denorm_mode_16_64 3
		.amdhsa_fp16_overflow 0
		.amdhsa_memory_ordered 1
		.amdhsa_forward_progress 1
		.amdhsa_inst_pref_size 0
		.amdhsa_round_robin_scheduling 0
		.amdhsa_exception_fp_ieee_invalid_op 0
		.amdhsa_exception_fp_denorm_src 0
		.amdhsa_exception_fp_ieee_div_zero 0
		.amdhsa_exception_fp_ieee_overflow 0
		.amdhsa_exception_fp_ieee_underflow 0
		.amdhsa_exception_fp_ieee_inexact 0
		.amdhsa_exception_int_div_zero 0
	.end_amdhsa_kernel
	.section	.text._ZN7rocprim17ROCPRIM_400000_NS6detail17trampoline_kernelINS0_14default_configENS1_27scan_by_key_config_selectorIxxEEZZNS1_16scan_by_key_implILNS1_25lookback_scan_determinismE0ELb0ES3_N6thrust23THRUST_200600_302600_NS6detail15normal_iteratorINS9_10device_ptrIxEEEESE_SE_xNS9_4plusIvEENS9_8equal_toIxEExEE10hipError_tPvRmT2_T3_T4_T5_mT6_T7_P12ihipStream_tbENKUlT_T0_E_clISt17integral_constantIbLb0EESZ_EEDaSU_SV_EUlSU_E_NS1_11comp_targetILNS1_3genE10ELNS1_11target_archE1201ELNS1_3gpuE5ELNS1_3repE0EEENS1_30default_config_static_selectorELNS0_4arch9wavefront6targetE0EEEvT1_,"axG",@progbits,_ZN7rocprim17ROCPRIM_400000_NS6detail17trampoline_kernelINS0_14default_configENS1_27scan_by_key_config_selectorIxxEEZZNS1_16scan_by_key_implILNS1_25lookback_scan_determinismE0ELb0ES3_N6thrust23THRUST_200600_302600_NS6detail15normal_iteratorINS9_10device_ptrIxEEEESE_SE_xNS9_4plusIvEENS9_8equal_toIxEExEE10hipError_tPvRmT2_T3_T4_T5_mT6_T7_P12ihipStream_tbENKUlT_T0_E_clISt17integral_constantIbLb0EESZ_EEDaSU_SV_EUlSU_E_NS1_11comp_targetILNS1_3genE10ELNS1_11target_archE1201ELNS1_3gpuE5ELNS1_3repE0EEENS1_30default_config_static_selectorELNS0_4arch9wavefront6targetE0EEEvT1_,comdat
.Lfunc_end84:
	.size	_ZN7rocprim17ROCPRIM_400000_NS6detail17trampoline_kernelINS0_14default_configENS1_27scan_by_key_config_selectorIxxEEZZNS1_16scan_by_key_implILNS1_25lookback_scan_determinismE0ELb0ES3_N6thrust23THRUST_200600_302600_NS6detail15normal_iteratorINS9_10device_ptrIxEEEESE_SE_xNS9_4plusIvEENS9_8equal_toIxEExEE10hipError_tPvRmT2_T3_T4_T5_mT6_T7_P12ihipStream_tbENKUlT_T0_E_clISt17integral_constantIbLb0EESZ_EEDaSU_SV_EUlSU_E_NS1_11comp_targetILNS1_3genE10ELNS1_11target_archE1201ELNS1_3gpuE5ELNS1_3repE0EEENS1_30default_config_static_selectorELNS0_4arch9wavefront6targetE0EEEvT1_, .Lfunc_end84-_ZN7rocprim17ROCPRIM_400000_NS6detail17trampoline_kernelINS0_14default_configENS1_27scan_by_key_config_selectorIxxEEZZNS1_16scan_by_key_implILNS1_25lookback_scan_determinismE0ELb0ES3_N6thrust23THRUST_200600_302600_NS6detail15normal_iteratorINS9_10device_ptrIxEEEESE_SE_xNS9_4plusIvEENS9_8equal_toIxEExEE10hipError_tPvRmT2_T3_T4_T5_mT6_T7_P12ihipStream_tbENKUlT_T0_E_clISt17integral_constantIbLb0EESZ_EEDaSU_SV_EUlSU_E_NS1_11comp_targetILNS1_3genE10ELNS1_11target_archE1201ELNS1_3gpuE5ELNS1_3repE0EEENS1_30default_config_static_selectorELNS0_4arch9wavefront6targetE0EEEvT1_
                                        ; -- End function
	.set _ZN7rocprim17ROCPRIM_400000_NS6detail17trampoline_kernelINS0_14default_configENS1_27scan_by_key_config_selectorIxxEEZZNS1_16scan_by_key_implILNS1_25lookback_scan_determinismE0ELb0ES3_N6thrust23THRUST_200600_302600_NS6detail15normal_iteratorINS9_10device_ptrIxEEEESE_SE_xNS9_4plusIvEENS9_8equal_toIxEExEE10hipError_tPvRmT2_T3_T4_T5_mT6_T7_P12ihipStream_tbENKUlT_T0_E_clISt17integral_constantIbLb0EESZ_EEDaSU_SV_EUlSU_E_NS1_11comp_targetILNS1_3genE10ELNS1_11target_archE1201ELNS1_3gpuE5ELNS1_3repE0EEENS1_30default_config_static_selectorELNS0_4arch9wavefront6targetE0EEEvT1_.num_vgpr, 0
	.set _ZN7rocprim17ROCPRIM_400000_NS6detail17trampoline_kernelINS0_14default_configENS1_27scan_by_key_config_selectorIxxEEZZNS1_16scan_by_key_implILNS1_25lookback_scan_determinismE0ELb0ES3_N6thrust23THRUST_200600_302600_NS6detail15normal_iteratorINS9_10device_ptrIxEEEESE_SE_xNS9_4plusIvEENS9_8equal_toIxEExEE10hipError_tPvRmT2_T3_T4_T5_mT6_T7_P12ihipStream_tbENKUlT_T0_E_clISt17integral_constantIbLb0EESZ_EEDaSU_SV_EUlSU_E_NS1_11comp_targetILNS1_3genE10ELNS1_11target_archE1201ELNS1_3gpuE5ELNS1_3repE0EEENS1_30default_config_static_selectorELNS0_4arch9wavefront6targetE0EEEvT1_.num_agpr, 0
	.set _ZN7rocprim17ROCPRIM_400000_NS6detail17trampoline_kernelINS0_14default_configENS1_27scan_by_key_config_selectorIxxEEZZNS1_16scan_by_key_implILNS1_25lookback_scan_determinismE0ELb0ES3_N6thrust23THRUST_200600_302600_NS6detail15normal_iteratorINS9_10device_ptrIxEEEESE_SE_xNS9_4plusIvEENS9_8equal_toIxEExEE10hipError_tPvRmT2_T3_T4_T5_mT6_T7_P12ihipStream_tbENKUlT_T0_E_clISt17integral_constantIbLb0EESZ_EEDaSU_SV_EUlSU_E_NS1_11comp_targetILNS1_3genE10ELNS1_11target_archE1201ELNS1_3gpuE5ELNS1_3repE0EEENS1_30default_config_static_selectorELNS0_4arch9wavefront6targetE0EEEvT1_.numbered_sgpr, 0
	.set _ZN7rocprim17ROCPRIM_400000_NS6detail17trampoline_kernelINS0_14default_configENS1_27scan_by_key_config_selectorIxxEEZZNS1_16scan_by_key_implILNS1_25lookback_scan_determinismE0ELb0ES3_N6thrust23THRUST_200600_302600_NS6detail15normal_iteratorINS9_10device_ptrIxEEEESE_SE_xNS9_4plusIvEENS9_8equal_toIxEExEE10hipError_tPvRmT2_T3_T4_T5_mT6_T7_P12ihipStream_tbENKUlT_T0_E_clISt17integral_constantIbLb0EESZ_EEDaSU_SV_EUlSU_E_NS1_11comp_targetILNS1_3genE10ELNS1_11target_archE1201ELNS1_3gpuE5ELNS1_3repE0EEENS1_30default_config_static_selectorELNS0_4arch9wavefront6targetE0EEEvT1_.num_named_barrier, 0
	.set _ZN7rocprim17ROCPRIM_400000_NS6detail17trampoline_kernelINS0_14default_configENS1_27scan_by_key_config_selectorIxxEEZZNS1_16scan_by_key_implILNS1_25lookback_scan_determinismE0ELb0ES3_N6thrust23THRUST_200600_302600_NS6detail15normal_iteratorINS9_10device_ptrIxEEEESE_SE_xNS9_4plusIvEENS9_8equal_toIxEExEE10hipError_tPvRmT2_T3_T4_T5_mT6_T7_P12ihipStream_tbENKUlT_T0_E_clISt17integral_constantIbLb0EESZ_EEDaSU_SV_EUlSU_E_NS1_11comp_targetILNS1_3genE10ELNS1_11target_archE1201ELNS1_3gpuE5ELNS1_3repE0EEENS1_30default_config_static_selectorELNS0_4arch9wavefront6targetE0EEEvT1_.private_seg_size, 0
	.set _ZN7rocprim17ROCPRIM_400000_NS6detail17trampoline_kernelINS0_14default_configENS1_27scan_by_key_config_selectorIxxEEZZNS1_16scan_by_key_implILNS1_25lookback_scan_determinismE0ELb0ES3_N6thrust23THRUST_200600_302600_NS6detail15normal_iteratorINS9_10device_ptrIxEEEESE_SE_xNS9_4plusIvEENS9_8equal_toIxEExEE10hipError_tPvRmT2_T3_T4_T5_mT6_T7_P12ihipStream_tbENKUlT_T0_E_clISt17integral_constantIbLb0EESZ_EEDaSU_SV_EUlSU_E_NS1_11comp_targetILNS1_3genE10ELNS1_11target_archE1201ELNS1_3gpuE5ELNS1_3repE0EEENS1_30default_config_static_selectorELNS0_4arch9wavefront6targetE0EEEvT1_.uses_vcc, 0
	.set _ZN7rocprim17ROCPRIM_400000_NS6detail17trampoline_kernelINS0_14default_configENS1_27scan_by_key_config_selectorIxxEEZZNS1_16scan_by_key_implILNS1_25lookback_scan_determinismE0ELb0ES3_N6thrust23THRUST_200600_302600_NS6detail15normal_iteratorINS9_10device_ptrIxEEEESE_SE_xNS9_4plusIvEENS9_8equal_toIxEExEE10hipError_tPvRmT2_T3_T4_T5_mT6_T7_P12ihipStream_tbENKUlT_T0_E_clISt17integral_constantIbLb0EESZ_EEDaSU_SV_EUlSU_E_NS1_11comp_targetILNS1_3genE10ELNS1_11target_archE1201ELNS1_3gpuE5ELNS1_3repE0EEENS1_30default_config_static_selectorELNS0_4arch9wavefront6targetE0EEEvT1_.uses_flat_scratch, 0
	.set _ZN7rocprim17ROCPRIM_400000_NS6detail17trampoline_kernelINS0_14default_configENS1_27scan_by_key_config_selectorIxxEEZZNS1_16scan_by_key_implILNS1_25lookback_scan_determinismE0ELb0ES3_N6thrust23THRUST_200600_302600_NS6detail15normal_iteratorINS9_10device_ptrIxEEEESE_SE_xNS9_4plusIvEENS9_8equal_toIxEExEE10hipError_tPvRmT2_T3_T4_T5_mT6_T7_P12ihipStream_tbENKUlT_T0_E_clISt17integral_constantIbLb0EESZ_EEDaSU_SV_EUlSU_E_NS1_11comp_targetILNS1_3genE10ELNS1_11target_archE1201ELNS1_3gpuE5ELNS1_3repE0EEENS1_30default_config_static_selectorELNS0_4arch9wavefront6targetE0EEEvT1_.has_dyn_sized_stack, 0
	.set _ZN7rocprim17ROCPRIM_400000_NS6detail17trampoline_kernelINS0_14default_configENS1_27scan_by_key_config_selectorIxxEEZZNS1_16scan_by_key_implILNS1_25lookback_scan_determinismE0ELb0ES3_N6thrust23THRUST_200600_302600_NS6detail15normal_iteratorINS9_10device_ptrIxEEEESE_SE_xNS9_4plusIvEENS9_8equal_toIxEExEE10hipError_tPvRmT2_T3_T4_T5_mT6_T7_P12ihipStream_tbENKUlT_T0_E_clISt17integral_constantIbLb0EESZ_EEDaSU_SV_EUlSU_E_NS1_11comp_targetILNS1_3genE10ELNS1_11target_archE1201ELNS1_3gpuE5ELNS1_3repE0EEENS1_30default_config_static_selectorELNS0_4arch9wavefront6targetE0EEEvT1_.has_recursion, 0
	.set _ZN7rocprim17ROCPRIM_400000_NS6detail17trampoline_kernelINS0_14default_configENS1_27scan_by_key_config_selectorIxxEEZZNS1_16scan_by_key_implILNS1_25lookback_scan_determinismE0ELb0ES3_N6thrust23THRUST_200600_302600_NS6detail15normal_iteratorINS9_10device_ptrIxEEEESE_SE_xNS9_4plusIvEENS9_8equal_toIxEExEE10hipError_tPvRmT2_T3_T4_T5_mT6_T7_P12ihipStream_tbENKUlT_T0_E_clISt17integral_constantIbLb0EESZ_EEDaSU_SV_EUlSU_E_NS1_11comp_targetILNS1_3genE10ELNS1_11target_archE1201ELNS1_3gpuE5ELNS1_3repE0EEENS1_30default_config_static_selectorELNS0_4arch9wavefront6targetE0EEEvT1_.has_indirect_call, 0
	.section	.AMDGPU.csdata,"",@progbits
; Kernel info:
; codeLenInByte = 0
; TotalNumSgprs: 0
; NumVgprs: 0
; ScratchSize: 0
; MemoryBound: 0
; FloatMode: 240
; IeeeMode: 1
; LDSByteSize: 0 bytes/workgroup (compile time only)
; SGPRBlocks: 0
; VGPRBlocks: 0
; NumSGPRsForWavesPerEU: 1
; NumVGPRsForWavesPerEU: 1
; NamedBarCnt: 0
; Occupancy: 16
; WaveLimiterHint : 0
; COMPUTE_PGM_RSRC2:SCRATCH_EN: 0
; COMPUTE_PGM_RSRC2:USER_SGPR: 2
; COMPUTE_PGM_RSRC2:TRAP_HANDLER: 0
; COMPUTE_PGM_RSRC2:TGID_X_EN: 1
; COMPUTE_PGM_RSRC2:TGID_Y_EN: 0
; COMPUTE_PGM_RSRC2:TGID_Z_EN: 0
; COMPUTE_PGM_RSRC2:TIDIG_COMP_CNT: 0
	.section	.text._ZN7rocprim17ROCPRIM_400000_NS6detail17trampoline_kernelINS0_14default_configENS1_27scan_by_key_config_selectorIxxEEZZNS1_16scan_by_key_implILNS1_25lookback_scan_determinismE0ELb0ES3_N6thrust23THRUST_200600_302600_NS6detail15normal_iteratorINS9_10device_ptrIxEEEESE_SE_xNS9_4plusIvEENS9_8equal_toIxEExEE10hipError_tPvRmT2_T3_T4_T5_mT6_T7_P12ihipStream_tbENKUlT_T0_E_clISt17integral_constantIbLb0EESZ_EEDaSU_SV_EUlSU_E_NS1_11comp_targetILNS1_3genE5ELNS1_11target_archE942ELNS1_3gpuE9ELNS1_3repE0EEENS1_30default_config_static_selectorELNS0_4arch9wavefront6targetE0EEEvT1_,"axG",@progbits,_ZN7rocprim17ROCPRIM_400000_NS6detail17trampoline_kernelINS0_14default_configENS1_27scan_by_key_config_selectorIxxEEZZNS1_16scan_by_key_implILNS1_25lookback_scan_determinismE0ELb0ES3_N6thrust23THRUST_200600_302600_NS6detail15normal_iteratorINS9_10device_ptrIxEEEESE_SE_xNS9_4plusIvEENS9_8equal_toIxEExEE10hipError_tPvRmT2_T3_T4_T5_mT6_T7_P12ihipStream_tbENKUlT_T0_E_clISt17integral_constantIbLb0EESZ_EEDaSU_SV_EUlSU_E_NS1_11comp_targetILNS1_3genE5ELNS1_11target_archE942ELNS1_3gpuE9ELNS1_3repE0EEENS1_30default_config_static_selectorELNS0_4arch9wavefront6targetE0EEEvT1_,comdat
	.protected	_ZN7rocprim17ROCPRIM_400000_NS6detail17trampoline_kernelINS0_14default_configENS1_27scan_by_key_config_selectorIxxEEZZNS1_16scan_by_key_implILNS1_25lookback_scan_determinismE0ELb0ES3_N6thrust23THRUST_200600_302600_NS6detail15normal_iteratorINS9_10device_ptrIxEEEESE_SE_xNS9_4plusIvEENS9_8equal_toIxEExEE10hipError_tPvRmT2_T3_T4_T5_mT6_T7_P12ihipStream_tbENKUlT_T0_E_clISt17integral_constantIbLb0EESZ_EEDaSU_SV_EUlSU_E_NS1_11comp_targetILNS1_3genE5ELNS1_11target_archE942ELNS1_3gpuE9ELNS1_3repE0EEENS1_30default_config_static_selectorELNS0_4arch9wavefront6targetE0EEEvT1_ ; -- Begin function _ZN7rocprim17ROCPRIM_400000_NS6detail17trampoline_kernelINS0_14default_configENS1_27scan_by_key_config_selectorIxxEEZZNS1_16scan_by_key_implILNS1_25lookback_scan_determinismE0ELb0ES3_N6thrust23THRUST_200600_302600_NS6detail15normal_iteratorINS9_10device_ptrIxEEEESE_SE_xNS9_4plusIvEENS9_8equal_toIxEExEE10hipError_tPvRmT2_T3_T4_T5_mT6_T7_P12ihipStream_tbENKUlT_T0_E_clISt17integral_constantIbLb0EESZ_EEDaSU_SV_EUlSU_E_NS1_11comp_targetILNS1_3genE5ELNS1_11target_archE942ELNS1_3gpuE9ELNS1_3repE0EEENS1_30default_config_static_selectorELNS0_4arch9wavefront6targetE0EEEvT1_
	.globl	_ZN7rocprim17ROCPRIM_400000_NS6detail17trampoline_kernelINS0_14default_configENS1_27scan_by_key_config_selectorIxxEEZZNS1_16scan_by_key_implILNS1_25lookback_scan_determinismE0ELb0ES3_N6thrust23THRUST_200600_302600_NS6detail15normal_iteratorINS9_10device_ptrIxEEEESE_SE_xNS9_4plusIvEENS9_8equal_toIxEExEE10hipError_tPvRmT2_T3_T4_T5_mT6_T7_P12ihipStream_tbENKUlT_T0_E_clISt17integral_constantIbLb0EESZ_EEDaSU_SV_EUlSU_E_NS1_11comp_targetILNS1_3genE5ELNS1_11target_archE942ELNS1_3gpuE9ELNS1_3repE0EEENS1_30default_config_static_selectorELNS0_4arch9wavefront6targetE0EEEvT1_
	.p2align	8
	.type	_ZN7rocprim17ROCPRIM_400000_NS6detail17trampoline_kernelINS0_14default_configENS1_27scan_by_key_config_selectorIxxEEZZNS1_16scan_by_key_implILNS1_25lookback_scan_determinismE0ELb0ES3_N6thrust23THRUST_200600_302600_NS6detail15normal_iteratorINS9_10device_ptrIxEEEESE_SE_xNS9_4plusIvEENS9_8equal_toIxEExEE10hipError_tPvRmT2_T3_T4_T5_mT6_T7_P12ihipStream_tbENKUlT_T0_E_clISt17integral_constantIbLb0EESZ_EEDaSU_SV_EUlSU_E_NS1_11comp_targetILNS1_3genE5ELNS1_11target_archE942ELNS1_3gpuE9ELNS1_3repE0EEENS1_30default_config_static_selectorELNS0_4arch9wavefront6targetE0EEEvT1_,@function
_ZN7rocprim17ROCPRIM_400000_NS6detail17trampoline_kernelINS0_14default_configENS1_27scan_by_key_config_selectorIxxEEZZNS1_16scan_by_key_implILNS1_25lookback_scan_determinismE0ELb0ES3_N6thrust23THRUST_200600_302600_NS6detail15normal_iteratorINS9_10device_ptrIxEEEESE_SE_xNS9_4plusIvEENS9_8equal_toIxEExEE10hipError_tPvRmT2_T3_T4_T5_mT6_T7_P12ihipStream_tbENKUlT_T0_E_clISt17integral_constantIbLb0EESZ_EEDaSU_SV_EUlSU_E_NS1_11comp_targetILNS1_3genE5ELNS1_11target_archE942ELNS1_3gpuE9ELNS1_3repE0EEENS1_30default_config_static_selectorELNS0_4arch9wavefront6targetE0EEEvT1_: ; @_ZN7rocprim17ROCPRIM_400000_NS6detail17trampoline_kernelINS0_14default_configENS1_27scan_by_key_config_selectorIxxEEZZNS1_16scan_by_key_implILNS1_25lookback_scan_determinismE0ELb0ES3_N6thrust23THRUST_200600_302600_NS6detail15normal_iteratorINS9_10device_ptrIxEEEESE_SE_xNS9_4plusIvEENS9_8equal_toIxEExEE10hipError_tPvRmT2_T3_T4_T5_mT6_T7_P12ihipStream_tbENKUlT_T0_E_clISt17integral_constantIbLb0EESZ_EEDaSU_SV_EUlSU_E_NS1_11comp_targetILNS1_3genE5ELNS1_11target_archE942ELNS1_3gpuE9ELNS1_3repE0EEENS1_30default_config_static_selectorELNS0_4arch9wavefront6targetE0EEEvT1_
; %bb.0:
	.section	.rodata,"a",@progbits
	.p2align	6, 0x0
	.amdhsa_kernel _ZN7rocprim17ROCPRIM_400000_NS6detail17trampoline_kernelINS0_14default_configENS1_27scan_by_key_config_selectorIxxEEZZNS1_16scan_by_key_implILNS1_25lookback_scan_determinismE0ELb0ES3_N6thrust23THRUST_200600_302600_NS6detail15normal_iteratorINS9_10device_ptrIxEEEESE_SE_xNS9_4plusIvEENS9_8equal_toIxEExEE10hipError_tPvRmT2_T3_T4_T5_mT6_T7_P12ihipStream_tbENKUlT_T0_E_clISt17integral_constantIbLb0EESZ_EEDaSU_SV_EUlSU_E_NS1_11comp_targetILNS1_3genE5ELNS1_11target_archE942ELNS1_3gpuE9ELNS1_3repE0EEENS1_30default_config_static_selectorELNS0_4arch9wavefront6targetE0EEEvT1_
		.amdhsa_group_segment_fixed_size 0
		.amdhsa_private_segment_fixed_size 0
		.amdhsa_kernarg_size 136
		.amdhsa_user_sgpr_count 2
		.amdhsa_user_sgpr_dispatch_ptr 0
		.amdhsa_user_sgpr_queue_ptr 0
		.amdhsa_user_sgpr_kernarg_segment_ptr 1
		.amdhsa_user_sgpr_dispatch_id 0
		.amdhsa_user_sgpr_kernarg_preload_length 0
		.amdhsa_user_sgpr_kernarg_preload_offset 0
		.amdhsa_user_sgpr_private_segment_size 0
		.amdhsa_wavefront_size32 1
		.amdhsa_uses_dynamic_stack 0
		.amdhsa_enable_private_segment 0
		.amdhsa_system_sgpr_workgroup_id_x 1
		.amdhsa_system_sgpr_workgroup_id_y 0
		.amdhsa_system_sgpr_workgroup_id_z 0
		.amdhsa_system_sgpr_workgroup_info 0
		.amdhsa_system_vgpr_workitem_id 0
		.amdhsa_next_free_vgpr 1
		.amdhsa_next_free_sgpr 1
		.amdhsa_named_barrier_count 0
		.amdhsa_reserve_vcc 0
		.amdhsa_float_round_mode_32 0
		.amdhsa_float_round_mode_16_64 0
		.amdhsa_float_denorm_mode_32 3
		.amdhsa_float_denorm_mode_16_64 3
		.amdhsa_fp16_overflow 0
		.amdhsa_memory_ordered 1
		.amdhsa_forward_progress 1
		.amdhsa_inst_pref_size 0
		.amdhsa_round_robin_scheduling 0
		.amdhsa_exception_fp_ieee_invalid_op 0
		.amdhsa_exception_fp_denorm_src 0
		.amdhsa_exception_fp_ieee_div_zero 0
		.amdhsa_exception_fp_ieee_overflow 0
		.amdhsa_exception_fp_ieee_underflow 0
		.amdhsa_exception_fp_ieee_inexact 0
		.amdhsa_exception_int_div_zero 0
	.end_amdhsa_kernel
	.section	.text._ZN7rocprim17ROCPRIM_400000_NS6detail17trampoline_kernelINS0_14default_configENS1_27scan_by_key_config_selectorIxxEEZZNS1_16scan_by_key_implILNS1_25lookback_scan_determinismE0ELb0ES3_N6thrust23THRUST_200600_302600_NS6detail15normal_iteratorINS9_10device_ptrIxEEEESE_SE_xNS9_4plusIvEENS9_8equal_toIxEExEE10hipError_tPvRmT2_T3_T4_T5_mT6_T7_P12ihipStream_tbENKUlT_T0_E_clISt17integral_constantIbLb0EESZ_EEDaSU_SV_EUlSU_E_NS1_11comp_targetILNS1_3genE5ELNS1_11target_archE942ELNS1_3gpuE9ELNS1_3repE0EEENS1_30default_config_static_selectorELNS0_4arch9wavefront6targetE0EEEvT1_,"axG",@progbits,_ZN7rocprim17ROCPRIM_400000_NS6detail17trampoline_kernelINS0_14default_configENS1_27scan_by_key_config_selectorIxxEEZZNS1_16scan_by_key_implILNS1_25lookback_scan_determinismE0ELb0ES3_N6thrust23THRUST_200600_302600_NS6detail15normal_iteratorINS9_10device_ptrIxEEEESE_SE_xNS9_4plusIvEENS9_8equal_toIxEExEE10hipError_tPvRmT2_T3_T4_T5_mT6_T7_P12ihipStream_tbENKUlT_T0_E_clISt17integral_constantIbLb0EESZ_EEDaSU_SV_EUlSU_E_NS1_11comp_targetILNS1_3genE5ELNS1_11target_archE942ELNS1_3gpuE9ELNS1_3repE0EEENS1_30default_config_static_selectorELNS0_4arch9wavefront6targetE0EEEvT1_,comdat
.Lfunc_end85:
	.size	_ZN7rocprim17ROCPRIM_400000_NS6detail17trampoline_kernelINS0_14default_configENS1_27scan_by_key_config_selectorIxxEEZZNS1_16scan_by_key_implILNS1_25lookback_scan_determinismE0ELb0ES3_N6thrust23THRUST_200600_302600_NS6detail15normal_iteratorINS9_10device_ptrIxEEEESE_SE_xNS9_4plusIvEENS9_8equal_toIxEExEE10hipError_tPvRmT2_T3_T4_T5_mT6_T7_P12ihipStream_tbENKUlT_T0_E_clISt17integral_constantIbLb0EESZ_EEDaSU_SV_EUlSU_E_NS1_11comp_targetILNS1_3genE5ELNS1_11target_archE942ELNS1_3gpuE9ELNS1_3repE0EEENS1_30default_config_static_selectorELNS0_4arch9wavefront6targetE0EEEvT1_, .Lfunc_end85-_ZN7rocprim17ROCPRIM_400000_NS6detail17trampoline_kernelINS0_14default_configENS1_27scan_by_key_config_selectorIxxEEZZNS1_16scan_by_key_implILNS1_25lookback_scan_determinismE0ELb0ES3_N6thrust23THRUST_200600_302600_NS6detail15normal_iteratorINS9_10device_ptrIxEEEESE_SE_xNS9_4plusIvEENS9_8equal_toIxEExEE10hipError_tPvRmT2_T3_T4_T5_mT6_T7_P12ihipStream_tbENKUlT_T0_E_clISt17integral_constantIbLb0EESZ_EEDaSU_SV_EUlSU_E_NS1_11comp_targetILNS1_3genE5ELNS1_11target_archE942ELNS1_3gpuE9ELNS1_3repE0EEENS1_30default_config_static_selectorELNS0_4arch9wavefront6targetE0EEEvT1_
                                        ; -- End function
	.set _ZN7rocprim17ROCPRIM_400000_NS6detail17trampoline_kernelINS0_14default_configENS1_27scan_by_key_config_selectorIxxEEZZNS1_16scan_by_key_implILNS1_25lookback_scan_determinismE0ELb0ES3_N6thrust23THRUST_200600_302600_NS6detail15normal_iteratorINS9_10device_ptrIxEEEESE_SE_xNS9_4plusIvEENS9_8equal_toIxEExEE10hipError_tPvRmT2_T3_T4_T5_mT6_T7_P12ihipStream_tbENKUlT_T0_E_clISt17integral_constantIbLb0EESZ_EEDaSU_SV_EUlSU_E_NS1_11comp_targetILNS1_3genE5ELNS1_11target_archE942ELNS1_3gpuE9ELNS1_3repE0EEENS1_30default_config_static_selectorELNS0_4arch9wavefront6targetE0EEEvT1_.num_vgpr, 0
	.set _ZN7rocprim17ROCPRIM_400000_NS6detail17trampoline_kernelINS0_14default_configENS1_27scan_by_key_config_selectorIxxEEZZNS1_16scan_by_key_implILNS1_25lookback_scan_determinismE0ELb0ES3_N6thrust23THRUST_200600_302600_NS6detail15normal_iteratorINS9_10device_ptrIxEEEESE_SE_xNS9_4plusIvEENS9_8equal_toIxEExEE10hipError_tPvRmT2_T3_T4_T5_mT6_T7_P12ihipStream_tbENKUlT_T0_E_clISt17integral_constantIbLb0EESZ_EEDaSU_SV_EUlSU_E_NS1_11comp_targetILNS1_3genE5ELNS1_11target_archE942ELNS1_3gpuE9ELNS1_3repE0EEENS1_30default_config_static_selectorELNS0_4arch9wavefront6targetE0EEEvT1_.num_agpr, 0
	.set _ZN7rocprim17ROCPRIM_400000_NS6detail17trampoline_kernelINS0_14default_configENS1_27scan_by_key_config_selectorIxxEEZZNS1_16scan_by_key_implILNS1_25lookback_scan_determinismE0ELb0ES3_N6thrust23THRUST_200600_302600_NS6detail15normal_iteratorINS9_10device_ptrIxEEEESE_SE_xNS9_4plusIvEENS9_8equal_toIxEExEE10hipError_tPvRmT2_T3_T4_T5_mT6_T7_P12ihipStream_tbENKUlT_T0_E_clISt17integral_constantIbLb0EESZ_EEDaSU_SV_EUlSU_E_NS1_11comp_targetILNS1_3genE5ELNS1_11target_archE942ELNS1_3gpuE9ELNS1_3repE0EEENS1_30default_config_static_selectorELNS0_4arch9wavefront6targetE0EEEvT1_.numbered_sgpr, 0
	.set _ZN7rocprim17ROCPRIM_400000_NS6detail17trampoline_kernelINS0_14default_configENS1_27scan_by_key_config_selectorIxxEEZZNS1_16scan_by_key_implILNS1_25lookback_scan_determinismE0ELb0ES3_N6thrust23THRUST_200600_302600_NS6detail15normal_iteratorINS9_10device_ptrIxEEEESE_SE_xNS9_4plusIvEENS9_8equal_toIxEExEE10hipError_tPvRmT2_T3_T4_T5_mT6_T7_P12ihipStream_tbENKUlT_T0_E_clISt17integral_constantIbLb0EESZ_EEDaSU_SV_EUlSU_E_NS1_11comp_targetILNS1_3genE5ELNS1_11target_archE942ELNS1_3gpuE9ELNS1_3repE0EEENS1_30default_config_static_selectorELNS0_4arch9wavefront6targetE0EEEvT1_.num_named_barrier, 0
	.set _ZN7rocprim17ROCPRIM_400000_NS6detail17trampoline_kernelINS0_14default_configENS1_27scan_by_key_config_selectorIxxEEZZNS1_16scan_by_key_implILNS1_25lookback_scan_determinismE0ELb0ES3_N6thrust23THRUST_200600_302600_NS6detail15normal_iteratorINS9_10device_ptrIxEEEESE_SE_xNS9_4plusIvEENS9_8equal_toIxEExEE10hipError_tPvRmT2_T3_T4_T5_mT6_T7_P12ihipStream_tbENKUlT_T0_E_clISt17integral_constantIbLb0EESZ_EEDaSU_SV_EUlSU_E_NS1_11comp_targetILNS1_3genE5ELNS1_11target_archE942ELNS1_3gpuE9ELNS1_3repE0EEENS1_30default_config_static_selectorELNS0_4arch9wavefront6targetE0EEEvT1_.private_seg_size, 0
	.set _ZN7rocprim17ROCPRIM_400000_NS6detail17trampoline_kernelINS0_14default_configENS1_27scan_by_key_config_selectorIxxEEZZNS1_16scan_by_key_implILNS1_25lookback_scan_determinismE0ELb0ES3_N6thrust23THRUST_200600_302600_NS6detail15normal_iteratorINS9_10device_ptrIxEEEESE_SE_xNS9_4plusIvEENS9_8equal_toIxEExEE10hipError_tPvRmT2_T3_T4_T5_mT6_T7_P12ihipStream_tbENKUlT_T0_E_clISt17integral_constantIbLb0EESZ_EEDaSU_SV_EUlSU_E_NS1_11comp_targetILNS1_3genE5ELNS1_11target_archE942ELNS1_3gpuE9ELNS1_3repE0EEENS1_30default_config_static_selectorELNS0_4arch9wavefront6targetE0EEEvT1_.uses_vcc, 0
	.set _ZN7rocprim17ROCPRIM_400000_NS6detail17trampoline_kernelINS0_14default_configENS1_27scan_by_key_config_selectorIxxEEZZNS1_16scan_by_key_implILNS1_25lookback_scan_determinismE0ELb0ES3_N6thrust23THRUST_200600_302600_NS6detail15normal_iteratorINS9_10device_ptrIxEEEESE_SE_xNS9_4plusIvEENS9_8equal_toIxEExEE10hipError_tPvRmT2_T3_T4_T5_mT6_T7_P12ihipStream_tbENKUlT_T0_E_clISt17integral_constantIbLb0EESZ_EEDaSU_SV_EUlSU_E_NS1_11comp_targetILNS1_3genE5ELNS1_11target_archE942ELNS1_3gpuE9ELNS1_3repE0EEENS1_30default_config_static_selectorELNS0_4arch9wavefront6targetE0EEEvT1_.uses_flat_scratch, 0
	.set _ZN7rocprim17ROCPRIM_400000_NS6detail17trampoline_kernelINS0_14default_configENS1_27scan_by_key_config_selectorIxxEEZZNS1_16scan_by_key_implILNS1_25lookback_scan_determinismE0ELb0ES3_N6thrust23THRUST_200600_302600_NS6detail15normal_iteratorINS9_10device_ptrIxEEEESE_SE_xNS9_4plusIvEENS9_8equal_toIxEExEE10hipError_tPvRmT2_T3_T4_T5_mT6_T7_P12ihipStream_tbENKUlT_T0_E_clISt17integral_constantIbLb0EESZ_EEDaSU_SV_EUlSU_E_NS1_11comp_targetILNS1_3genE5ELNS1_11target_archE942ELNS1_3gpuE9ELNS1_3repE0EEENS1_30default_config_static_selectorELNS0_4arch9wavefront6targetE0EEEvT1_.has_dyn_sized_stack, 0
	.set _ZN7rocprim17ROCPRIM_400000_NS6detail17trampoline_kernelINS0_14default_configENS1_27scan_by_key_config_selectorIxxEEZZNS1_16scan_by_key_implILNS1_25lookback_scan_determinismE0ELb0ES3_N6thrust23THRUST_200600_302600_NS6detail15normal_iteratorINS9_10device_ptrIxEEEESE_SE_xNS9_4plusIvEENS9_8equal_toIxEExEE10hipError_tPvRmT2_T3_T4_T5_mT6_T7_P12ihipStream_tbENKUlT_T0_E_clISt17integral_constantIbLb0EESZ_EEDaSU_SV_EUlSU_E_NS1_11comp_targetILNS1_3genE5ELNS1_11target_archE942ELNS1_3gpuE9ELNS1_3repE0EEENS1_30default_config_static_selectorELNS0_4arch9wavefront6targetE0EEEvT1_.has_recursion, 0
	.set _ZN7rocprim17ROCPRIM_400000_NS6detail17trampoline_kernelINS0_14default_configENS1_27scan_by_key_config_selectorIxxEEZZNS1_16scan_by_key_implILNS1_25lookback_scan_determinismE0ELb0ES3_N6thrust23THRUST_200600_302600_NS6detail15normal_iteratorINS9_10device_ptrIxEEEESE_SE_xNS9_4plusIvEENS9_8equal_toIxEExEE10hipError_tPvRmT2_T3_T4_T5_mT6_T7_P12ihipStream_tbENKUlT_T0_E_clISt17integral_constantIbLb0EESZ_EEDaSU_SV_EUlSU_E_NS1_11comp_targetILNS1_3genE5ELNS1_11target_archE942ELNS1_3gpuE9ELNS1_3repE0EEENS1_30default_config_static_selectorELNS0_4arch9wavefront6targetE0EEEvT1_.has_indirect_call, 0
	.section	.AMDGPU.csdata,"",@progbits
; Kernel info:
; codeLenInByte = 0
; TotalNumSgprs: 0
; NumVgprs: 0
; ScratchSize: 0
; MemoryBound: 0
; FloatMode: 240
; IeeeMode: 1
; LDSByteSize: 0 bytes/workgroup (compile time only)
; SGPRBlocks: 0
; VGPRBlocks: 0
; NumSGPRsForWavesPerEU: 1
; NumVGPRsForWavesPerEU: 1
; NamedBarCnt: 0
; Occupancy: 16
; WaveLimiterHint : 0
; COMPUTE_PGM_RSRC2:SCRATCH_EN: 0
; COMPUTE_PGM_RSRC2:USER_SGPR: 2
; COMPUTE_PGM_RSRC2:TRAP_HANDLER: 0
; COMPUTE_PGM_RSRC2:TGID_X_EN: 1
; COMPUTE_PGM_RSRC2:TGID_Y_EN: 0
; COMPUTE_PGM_RSRC2:TGID_Z_EN: 0
; COMPUTE_PGM_RSRC2:TIDIG_COMP_CNT: 0
	.section	.text._ZN7rocprim17ROCPRIM_400000_NS6detail17trampoline_kernelINS0_14default_configENS1_27scan_by_key_config_selectorIxxEEZZNS1_16scan_by_key_implILNS1_25lookback_scan_determinismE0ELb0ES3_N6thrust23THRUST_200600_302600_NS6detail15normal_iteratorINS9_10device_ptrIxEEEESE_SE_xNS9_4plusIvEENS9_8equal_toIxEExEE10hipError_tPvRmT2_T3_T4_T5_mT6_T7_P12ihipStream_tbENKUlT_T0_E_clISt17integral_constantIbLb0EESZ_EEDaSU_SV_EUlSU_E_NS1_11comp_targetILNS1_3genE4ELNS1_11target_archE910ELNS1_3gpuE8ELNS1_3repE0EEENS1_30default_config_static_selectorELNS0_4arch9wavefront6targetE0EEEvT1_,"axG",@progbits,_ZN7rocprim17ROCPRIM_400000_NS6detail17trampoline_kernelINS0_14default_configENS1_27scan_by_key_config_selectorIxxEEZZNS1_16scan_by_key_implILNS1_25lookback_scan_determinismE0ELb0ES3_N6thrust23THRUST_200600_302600_NS6detail15normal_iteratorINS9_10device_ptrIxEEEESE_SE_xNS9_4plusIvEENS9_8equal_toIxEExEE10hipError_tPvRmT2_T3_T4_T5_mT6_T7_P12ihipStream_tbENKUlT_T0_E_clISt17integral_constantIbLb0EESZ_EEDaSU_SV_EUlSU_E_NS1_11comp_targetILNS1_3genE4ELNS1_11target_archE910ELNS1_3gpuE8ELNS1_3repE0EEENS1_30default_config_static_selectorELNS0_4arch9wavefront6targetE0EEEvT1_,comdat
	.protected	_ZN7rocprim17ROCPRIM_400000_NS6detail17trampoline_kernelINS0_14default_configENS1_27scan_by_key_config_selectorIxxEEZZNS1_16scan_by_key_implILNS1_25lookback_scan_determinismE0ELb0ES3_N6thrust23THRUST_200600_302600_NS6detail15normal_iteratorINS9_10device_ptrIxEEEESE_SE_xNS9_4plusIvEENS9_8equal_toIxEExEE10hipError_tPvRmT2_T3_T4_T5_mT6_T7_P12ihipStream_tbENKUlT_T0_E_clISt17integral_constantIbLb0EESZ_EEDaSU_SV_EUlSU_E_NS1_11comp_targetILNS1_3genE4ELNS1_11target_archE910ELNS1_3gpuE8ELNS1_3repE0EEENS1_30default_config_static_selectorELNS0_4arch9wavefront6targetE0EEEvT1_ ; -- Begin function _ZN7rocprim17ROCPRIM_400000_NS6detail17trampoline_kernelINS0_14default_configENS1_27scan_by_key_config_selectorIxxEEZZNS1_16scan_by_key_implILNS1_25lookback_scan_determinismE0ELb0ES3_N6thrust23THRUST_200600_302600_NS6detail15normal_iteratorINS9_10device_ptrIxEEEESE_SE_xNS9_4plusIvEENS9_8equal_toIxEExEE10hipError_tPvRmT2_T3_T4_T5_mT6_T7_P12ihipStream_tbENKUlT_T0_E_clISt17integral_constantIbLb0EESZ_EEDaSU_SV_EUlSU_E_NS1_11comp_targetILNS1_3genE4ELNS1_11target_archE910ELNS1_3gpuE8ELNS1_3repE0EEENS1_30default_config_static_selectorELNS0_4arch9wavefront6targetE0EEEvT1_
	.globl	_ZN7rocprim17ROCPRIM_400000_NS6detail17trampoline_kernelINS0_14default_configENS1_27scan_by_key_config_selectorIxxEEZZNS1_16scan_by_key_implILNS1_25lookback_scan_determinismE0ELb0ES3_N6thrust23THRUST_200600_302600_NS6detail15normal_iteratorINS9_10device_ptrIxEEEESE_SE_xNS9_4plusIvEENS9_8equal_toIxEExEE10hipError_tPvRmT2_T3_T4_T5_mT6_T7_P12ihipStream_tbENKUlT_T0_E_clISt17integral_constantIbLb0EESZ_EEDaSU_SV_EUlSU_E_NS1_11comp_targetILNS1_3genE4ELNS1_11target_archE910ELNS1_3gpuE8ELNS1_3repE0EEENS1_30default_config_static_selectorELNS0_4arch9wavefront6targetE0EEEvT1_
	.p2align	8
	.type	_ZN7rocprim17ROCPRIM_400000_NS6detail17trampoline_kernelINS0_14default_configENS1_27scan_by_key_config_selectorIxxEEZZNS1_16scan_by_key_implILNS1_25lookback_scan_determinismE0ELb0ES3_N6thrust23THRUST_200600_302600_NS6detail15normal_iteratorINS9_10device_ptrIxEEEESE_SE_xNS9_4plusIvEENS9_8equal_toIxEExEE10hipError_tPvRmT2_T3_T4_T5_mT6_T7_P12ihipStream_tbENKUlT_T0_E_clISt17integral_constantIbLb0EESZ_EEDaSU_SV_EUlSU_E_NS1_11comp_targetILNS1_3genE4ELNS1_11target_archE910ELNS1_3gpuE8ELNS1_3repE0EEENS1_30default_config_static_selectorELNS0_4arch9wavefront6targetE0EEEvT1_,@function
_ZN7rocprim17ROCPRIM_400000_NS6detail17trampoline_kernelINS0_14default_configENS1_27scan_by_key_config_selectorIxxEEZZNS1_16scan_by_key_implILNS1_25lookback_scan_determinismE0ELb0ES3_N6thrust23THRUST_200600_302600_NS6detail15normal_iteratorINS9_10device_ptrIxEEEESE_SE_xNS9_4plusIvEENS9_8equal_toIxEExEE10hipError_tPvRmT2_T3_T4_T5_mT6_T7_P12ihipStream_tbENKUlT_T0_E_clISt17integral_constantIbLb0EESZ_EEDaSU_SV_EUlSU_E_NS1_11comp_targetILNS1_3genE4ELNS1_11target_archE910ELNS1_3gpuE8ELNS1_3repE0EEENS1_30default_config_static_selectorELNS0_4arch9wavefront6targetE0EEEvT1_: ; @_ZN7rocprim17ROCPRIM_400000_NS6detail17trampoline_kernelINS0_14default_configENS1_27scan_by_key_config_selectorIxxEEZZNS1_16scan_by_key_implILNS1_25lookback_scan_determinismE0ELb0ES3_N6thrust23THRUST_200600_302600_NS6detail15normal_iteratorINS9_10device_ptrIxEEEESE_SE_xNS9_4plusIvEENS9_8equal_toIxEExEE10hipError_tPvRmT2_T3_T4_T5_mT6_T7_P12ihipStream_tbENKUlT_T0_E_clISt17integral_constantIbLb0EESZ_EEDaSU_SV_EUlSU_E_NS1_11comp_targetILNS1_3genE4ELNS1_11target_archE910ELNS1_3gpuE8ELNS1_3repE0EEENS1_30default_config_static_selectorELNS0_4arch9wavefront6targetE0EEEvT1_
; %bb.0:
	.section	.rodata,"a",@progbits
	.p2align	6, 0x0
	.amdhsa_kernel _ZN7rocprim17ROCPRIM_400000_NS6detail17trampoline_kernelINS0_14default_configENS1_27scan_by_key_config_selectorIxxEEZZNS1_16scan_by_key_implILNS1_25lookback_scan_determinismE0ELb0ES3_N6thrust23THRUST_200600_302600_NS6detail15normal_iteratorINS9_10device_ptrIxEEEESE_SE_xNS9_4plusIvEENS9_8equal_toIxEExEE10hipError_tPvRmT2_T3_T4_T5_mT6_T7_P12ihipStream_tbENKUlT_T0_E_clISt17integral_constantIbLb0EESZ_EEDaSU_SV_EUlSU_E_NS1_11comp_targetILNS1_3genE4ELNS1_11target_archE910ELNS1_3gpuE8ELNS1_3repE0EEENS1_30default_config_static_selectorELNS0_4arch9wavefront6targetE0EEEvT1_
		.amdhsa_group_segment_fixed_size 0
		.amdhsa_private_segment_fixed_size 0
		.amdhsa_kernarg_size 136
		.amdhsa_user_sgpr_count 2
		.amdhsa_user_sgpr_dispatch_ptr 0
		.amdhsa_user_sgpr_queue_ptr 0
		.amdhsa_user_sgpr_kernarg_segment_ptr 1
		.amdhsa_user_sgpr_dispatch_id 0
		.amdhsa_user_sgpr_kernarg_preload_length 0
		.amdhsa_user_sgpr_kernarg_preload_offset 0
		.amdhsa_user_sgpr_private_segment_size 0
		.amdhsa_wavefront_size32 1
		.amdhsa_uses_dynamic_stack 0
		.amdhsa_enable_private_segment 0
		.amdhsa_system_sgpr_workgroup_id_x 1
		.amdhsa_system_sgpr_workgroup_id_y 0
		.amdhsa_system_sgpr_workgroup_id_z 0
		.amdhsa_system_sgpr_workgroup_info 0
		.amdhsa_system_vgpr_workitem_id 0
		.amdhsa_next_free_vgpr 1
		.amdhsa_next_free_sgpr 1
		.amdhsa_named_barrier_count 0
		.amdhsa_reserve_vcc 0
		.amdhsa_float_round_mode_32 0
		.amdhsa_float_round_mode_16_64 0
		.amdhsa_float_denorm_mode_32 3
		.amdhsa_float_denorm_mode_16_64 3
		.amdhsa_fp16_overflow 0
		.amdhsa_memory_ordered 1
		.amdhsa_forward_progress 1
		.amdhsa_inst_pref_size 0
		.amdhsa_round_robin_scheduling 0
		.amdhsa_exception_fp_ieee_invalid_op 0
		.amdhsa_exception_fp_denorm_src 0
		.amdhsa_exception_fp_ieee_div_zero 0
		.amdhsa_exception_fp_ieee_overflow 0
		.amdhsa_exception_fp_ieee_underflow 0
		.amdhsa_exception_fp_ieee_inexact 0
		.amdhsa_exception_int_div_zero 0
	.end_amdhsa_kernel
	.section	.text._ZN7rocprim17ROCPRIM_400000_NS6detail17trampoline_kernelINS0_14default_configENS1_27scan_by_key_config_selectorIxxEEZZNS1_16scan_by_key_implILNS1_25lookback_scan_determinismE0ELb0ES3_N6thrust23THRUST_200600_302600_NS6detail15normal_iteratorINS9_10device_ptrIxEEEESE_SE_xNS9_4plusIvEENS9_8equal_toIxEExEE10hipError_tPvRmT2_T3_T4_T5_mT6_T7_P12ihipStream_tbENKUlT_T0_E_clISt17integral_constantIbLb0EESZ_EEDaSU_SV_EUlSU_E_NS1_11comp_targetILNS1_3genE4ELNS1_11target_archE910ELNS1_3gpuE8ELNS1_3repE0EEENS1_30default_config_static_selectorELNS0_4arch9wavefront6targetE0EEEvT1_,"axG",@progbits,_ZN7rocprim17ROCPRIM_400000_NS6detail17trampoline_kernelINS0_14default_configENS1_27scan_by_key_config_selectorIxxEEZZNS1_16scan_by_key_implILNS1_25lookback_scan_determinismE0ELb0ES3_N6thrust23THRUST_200600_302600_NS6detail15normal_iteratorINS9_10device_ptrIxEEEESE_SE_xNS9_4plusIvEENS9_8equal_toIxEExEE10hipError_tPvRmT2_T3_T4_T5_mT6_T7_P12ihipStream_tbENKUlT_T0_E_clISt17integral_constantIbLb0EESZ_EEDaSU_SV_EUlSU_E_NS1_11comp_targetILNS1_3genE4ELNS1_11target_archE910ELNS1_3gpuE8ELNS1_3repE0EEENS1_30default_config_static_selectorELNS0_4arch9wavefront6targetE0EEEvT1_,comdat
.Lfunc_end86:
	.size	_ZN7rocprim17ROCPRIM_400000_NS6detail17trampoline_kernelINS0_14default_configENS1_27scan_by_key_config_selectorIxxEEZZNS1_16scan_by_key_implILNS1_25lookback_scan_determinismE0ELb0ES3_N6thrust23THRUST_200600_302600_NS6detail15normal_iteratorINS9_10device_ptrIxEEEESE_SE_xNS9_4plusIvEENS9_8equal_toIxEExEE10hipError_tPvRmT2_T3_T4_T5_mT6_T7_P12ihipStream_tbENKUlT_T0_E_clISt17integral_constantIbLb0EESZ_EEDaSU_SV_EUlSU_E_NS1_11comp_targetILNS1_3genE4ELNS1_11target_archE910ELNS1_3gpuE8ELNS1_3repE0EEENS1_30default_config_static_selectorELNS0_4arch9wavefront6targetE0EEEvT1_, .Lfunc_end86-_ZN7rocprim17ROCPRIM_400000_NS6detail17trampoline_kernelINS0_14default_configENS1_27scan_by_key_config_selectorIxxEEZZNS1_16scan_by_key_implILNS1_25lookback_scan_determinismE0ELb0ES3_N6thrust23THRUST_200600_302600_NS6detail15normal_iteratorINS9_10device_ptrIxEEEESE_SE_xNS9_4plusIvEENS9_8equal_toIxEExEE10hipError_tPvRmT2_T3_T4_T5_mT6_T7_P12ihipStream_tbENKUlT_T0_E_clISt17integral_constantIbLb0EESZ_EEDaSU_SV_EUlSU_E_NS1_11comp_targetILNS1_3genE4ELNS1_11target_archE910ELNS1_3gpuE8ELNS1_3repE0EEENS1_30default_config_static_selectorELNS0_4arch9wavefront6targetE0EEEvT1_
                                        ; -- End function
	.set _ZN7rocprim17ROCPRIM_400000_NS6detail17trampoline_kernelINS0_14default_configENS1_27scan_by_key_config_selectorIxxEEZZNS1_16scan_by_key_implILNS1_25lookback_scan_determinismE0ELb0ES3_N6thrust23THRUST_200600_302600_NS6detail15normal_iteratorINS9_10device_ptrIxEEEESE_SE_xNS9_4plusIvEENS9_8equal_toIxEExEE10hipError_tPvRmT2_T3_T4_T5_mT6_T7_P12ihipStream_tbENKUlT_T0_E_clISt17integral_constantIbLb0EESZ_EEDaSU_SV_EUlSU_E_NS1_11comp_targetILNS1_3genE4ELNS1_11target_archE910ELNS1_3gpuE8ELNS1_3repE0EEENS1_30default_config_static_selectorELNS0_4arch9wavefront6targetE0EEEvT1_.num_vgpr, 0
	.set _ZN7rocprim17ROCPRIM_400000_NS6detail17trampoline_kernelINS0_14default_configENS1_27scan_by_key_config_selectorIxxEEZZNS1_16scan_by_key_implILNS1_25lookback_scan_determinismE0ELb0ES3_N6thrust23THRUST_200600_302600_NS6detail15normal_iteratorINS9_10device_ptrIxEEEESE_SE_xNS9_4plusIvEENS9_8equal_toIxEExEE10hipError_tPvRmT2_T3_T4_T5_mT6_T7_P12ihipStream_tbENKUlT_T0_E_clISt17integral_constantIbLb0EESZ_EEDaSU_SV_EUlSU_E_NS1_11comp_targetILNS1_3genE4ELNS1_11target_archE910ELNS1_3gpuE8ELNS1_3repE0EEENS1_30default_config_static_selectorELNS0_4arch9wavefront6targetE0EEEvT1_.num_agpr, 0
	.set _ZN7rocprim17ROCPRIM_400000_NS6detail17trampoline_kernelINS0_14default_configENS1_27scan_by_key_config_selectorIxxEEZZNS1_16scan_by_key_implILNS1_25lookback_scan_determinismE0ELb0ES3_N6thrust23THRUST_200600_302600_NS6detail15normal_iteratorINS9_10device_ptrIxEEEESE_SE_xNS9_4plusIvEENS9_8equal_toIxEExEE10hipError_tPvRmT2_T3_T4_T5_mT6_T7_P12ihipStream_tbENKUlT_T0_E_clISt17integral_constantIbLb0EESZ_EEDaSU_SV_EUlSU_E_NS1_11comp_targetILNS1_3genE4ELNS1_11target_archE910ELNS1_3gpuE8ELNS1_3repE0EEENS1_30default_config_static_selectorELNS0_4arch9wavefront6targetE0EEEvT1_.numbered_sgpr, 0
	.set _ZN7rocprim17ROCPRIM_400000_NS6detail17trampoline_kernelINS0_14default_configENS1_27scan_by_key_config_selectorIxxEEZZNS1_16scan_by_key_implILNS1_25lookback_scan_determinismE0ELb0ES3_N6thrust23THRUST_200600_302600_NS6detail15normal_iteratorINS9_10device_ptrIxEEEESE_SE_xNS9_4plusIvEENS9_8equal_toIxEExEE10hipError_tPvRmT2_T3_T4_T5_mT6_T7_P12ihipStream_tbENKUlT_T0_E_clISt17integral_constantIbLb0EESZ_EEDaSU_SV_EUlSU_E_NS1_11comp_targetILNS1_3genE4ELNS1_11target_archE910ELNS1_3gpuE8ELNS1_3repE0EEENS1_30default_config_static_selectorELNS0_4arch9wavefront6targetE0EEEvT1_.num_named_barrier, 0
	.set _ZN7rocprim17ROCPRIM_400000_NS6detail17trampoline_kernelINS0_14default_configENS1_27scan_by_key_config_selectorIxxEEZZNS1_16scan_by_key_implILNS1_25lookback_scan_determinismE0ELb0ES3_N6thrust23THRUST_200600_302600_NS6detail15normal_iteratorINS9_10device_ptrIxEEEESE_SE_xNS9_4plusIvEENS9_8equal_toIxEExEE10hipError_tPvRmT2_T3_T4_T5_mT6_T7_P12ihipStream_tbENKUlT_T0_E_clISt17integral_constantIbLb0EESZ_EEDaSU_SV_EUlSU_E_NS1_11comp_targetILNS1_3genE4ELNS1_11target_archE910ELNS1_3gpuE8ELNS1_3repE0EEENS1_30default_config_static_selectorELNS0_4arch9wavefront6targetE0EEEvT1_.private_seg_size, 0
	.set _ZN7rocprim17ROCPRIM_400000_NS6detail17trampoline_kernelINS0_14default_configENS1_27scan_by_key_config_selectorIxxEEZZNS1_16scan_by_key_implILNS1_25lookback_scan_determinismE0ELb0ES3_N6thrust23THRUST_200600_302600_NS6detail15normal_iteratorINS9_10device_ptrIxEEEESE_SE_xNS9_4plusIvEENS9_8equal_toIxEExEE10hipError_tPvRmT2_T3_T4_T5_mT6_T7_P12ihipStream_tbENKUlT_T0_E_clISt17integral_constantIbLb0EESZ_EEDaSU_SV_EUlSU_E_NS1_11comp_targetILNS1_3genE4ELNS1_11target_archE910ELNS1_3gpuE8ELNS1_3repE0EEENS1_30default_config_static_selectorELNS0_4arch9wavefront6targetE0EEEvT1_.uses_vcc, 0
	.set _ZN7rocprim17ROCPRIM_400000_NS6detail17trampoline_kernelINS0_14default_configENS1_27scan_by_key_config_selectorIxxEEZZNS1_16scan_by_key_implILNS1_25lookback_scan_determinismE0ELb0ES3_N6thrust23THRUST_200600_302600_NS6detail15normal_iteratorINS9_10device_ptrIxEEEESE_SE_xNS9_4plusIvEENS9_8equal_toIxEExEE10hipError_tPvRmT2_T3_T4_T5_mT6_T7_P12ihipStream_tbENKUlT_T0_E_clISt17integral_constantIbLb0EESZ_EEDaSU_SV_EUlSU_E_NS1_11comp_targetILNS1_3genE4ELNS1_11target_archE910ELNS1_3gpuE8ELNS1_3repE0EEENS1_30default_config_static_selectorELNS0_4arch9wavefront6targetE0EEEvT1_.uses_flat_scratch, 0
	.set _ZN7rocprim17ROCPRIM_400000_NS6detail17trampoline_kernelINS0_14default_configENS1_27scan_by_key_config_selectorIxxEEZZNS1_16scan_by_key_implILNS1_25lookback_scan_determinismE0ELb0ES3_N6thrust23THRUST_200600_302600_NS6detail15normal_iteratorINS9_10device_ptrIxEEEESE_SE_xNS9_4plusIvEENS9_8equal_toIxEExEE10hipError_tPvRmT2_T3_T4_T5_mT6_T7_P12ihipStream_tbENKUlT_T0_E_clISt17integral_constantIbLb0EESZ_EEDaSU_SV_EUlSU_E_NS1_11comp_targetILNS1_3genE4ELNS1_11target_archE910ELNS1_3gpuE8ELNS1_3repE0EEENS1_30default_config_static_selectorELNS0_4arch9wavefront6targetE0EEEvT1_.has_dyn_sized_stack, 0
	.set _ZN7rocprim17ROCPRIM_400000_NS6detail17trampoline_kernelINS0_14default_configENS1_27scan_by_key_config_selectorIxxEEZZNS1_16scan_by_key_implILNS1_25lookback_scan_determinismE0ELb0ES3_N6thrust23THRUST_200600_302600_NS6detail15normal_iteratorINS9_10device_ptrIxEEEESE_SE_xNS9_4plusIvEENS9_8equal_toIxEExEE10hipError_tPvRmT2_T3_T4_T5_mT6_T7_P12ihipStream_tbENKUlT_T0_E_clISt17integral_constantIbLb0EESZ_EEDaSU_SV_EUlSU_E_NS1_11comp_targetILNS1_3genE4ELNS1_11target_archE910ELNS1_3gpuE8ELNS1_3repE0EEENS1_30default_config_static_selectorELNS0_4arch9wavefront6targetE0EEEvT1_.has_recursion, 0
	.set _ZN7rocprim17ROCPRIM_400000_NS6detail17trampoline_kernelINS0_14default_configENS1_27scan_by_key_config_selectorIxxEEZZNS1_16scan_by_key_implILNS1_25lookback_scan_determinismE0ELb0ES3_N6thrust23THRUST_200600_302600_NS6detail15normal_iteratorINS9_10device_ptrIxEEEESE_SE_xNS9_4plusIvEENS9_8equal_toIxEExEE10hipError_tPvRmT2_T3_T4_T5_mT6_T7_P12ihipStream_tbENKUlT_T0_E_clISt17integral_constantIbLb0EESZ_EEDaSU_SV_EUlSU_E_NS1_11comp_targetILNS1_3genE4ELNS1_11target_archE910ELNS1_3gpuE8ELNS1_3repE0EEENS1_30default_config_static_selectorELNS0_4arch9wavefront6targetE0EEEvT1_.has_indirect_call, 0
	.section	.AMDGPU.csdata,"",@progbits
; Kernel info:
; codeLenInByte = 0
; TotalNumSgprs: 0
; NumVgprs: 0
; ScratchSize: 0
; MemoryBound: 0
; FloatMode: 240
; IeeeMode: 1
; LDSByteSize: 0 bytes/workgroup (compile time only)
; SGPRBlocks: 0
; VGPRBlocks: 0
; NumSGPRsForWavesPerEU: 1
; NumVGPRsForWavesPerEU: 1
; NamedBarCnt: 0
; Occupancy: 16
; WaveLimiterHint : 0
; COMPUTE_PGM_RSRC2:SCRATCH_EN: 0
; COMPUTE_PGM_RSRC2:USER_SGPR: 2
; COMPUTE_PGM_RSRC2:TRAP_HANDLER: 0
; COMPUTE_PGM_RSRC2:TGID_X_EN: 1
; COMPUTE_PGM_RSRC2:TGID_Y_EN: 0
; COMPUTE_PGM_RSRC2:TGID_Z_EN: 0
; COMPUTE_PGM_RSRC2:TIDIG_COMP_CNT: 0
	.section	.text._ZN7rocprim17ROCPRIM_400000_NS6detail17trampoline_kernelINS0_14default_configENS1_27scan_by_key_config_selectorIxxEEZZNS1_16scan_by_key_implILNS1_25lookback_scan_determinismE0ELb0ES3_N6thrust23THRUST_200600_302600_NS6detail15normal_iteratorINS9_10device_ptrIxEEEESE_SE_xNS9_4plusIvEENS9_8equal_toIxEExEE10hipError_tPvRmT2_T3_T4_T5_mT6_T7_P12ihipStream_tbENKUlT_T0_E_clISt17integral_constantIbLb0EESZ_EEDaSU_SV_EUlSU_E_NS1_11comp_targetILNS1_3genE3ELNS1_11target_archE908ELNS1_3gpuE7ELNS1_3repE0EEENS1_30default_config_static_selectorELNS0_4arch9wavefront6targetE0EEEvT1_,"axG",@progbits,_ZN7rocprim17ROCPRIM_400000_NS6detail17trampoline_kernelINS0_14default_configENS1_27scan_by_key_config_selectorIxxEEZZNS1_16scan_by_key_implILNS1_25lookback_scan_determinismE0ELb0ES3_N6thrust23THRUST_200600_302600_NS6detail15normal_iteratorINS9_10device_ptrIxEEEESE_SE_xNS9_4plusIvEENS9_8equal_toIxEExEE10hipError_tPvRmT2_T3_T4_T5_mT6_T7_P12ihipStream_tbENKUlT_T0_E_clISt17integral_constantIbLb0EESZ_EEDaSU_SV_EUlSU_E_NS1_11comp_targetILNS1_3genE3ELNS1_11target_archE908ELNS1_3gpuE7ELNS1_3repE0EEENS1_30default_config_static_selectorELNS0_4arch9wavefront6targetE0EEEvT1_,comdat
	.protected	_ZN7rocprim17ROCPRIM_400000_NS6detail17trampoline_kernelINS0_14default_configENS1_27scan_by_key_config_selectorIxxEEZZNS1_16scan_by_key_implILNS1_25lookback_scan_determinismE0ELb0ES3_N6thrust23THRUST_200600_302600_NS6detail15normal_iteratorINS9_10device_ptrIxEEEESE_SE_xNS9_4plusIvEENS9_8equal_toIxEExEE10hipError_tPvRmT2_T3_T4_T5_mT6_T7_P12ihipStream_tbENKUlT_T0_E_clISt17integral_constantIbLb0EESZ_EEDaSU_SV_EUlSU_E_NS1_11comp_targetILNS1_3genE3ELNS1_11target_archE908ELNS1_3gpuE7ELNS1_3repE0EEENS1_30default_config_static_selectorELNS0_4arch9wavefront6targetE0EEEvT1_ ; -- Begin function _ZN7rocprim17ROCPRIM_400000_NS6detail17trampoline_kernelINS0_14default_configENS1_27scan_by_key_config_selectorIxxEEZZNS1_16scan_by_key_implILNS1_25lookback_scan_determinismE0ELb0ES3_N6thrust23THRUST_200600_302600_NS6detail15normal_iteratorINS9_10device_ptrIxEEEESE_SE_xNS9_4plusIvEENS9_8equal_toIxEExEE10hipError_tPvRmT2_T3_T4_T5_mT6_T7_P12ihipStream_tbENKUlT_T0_E_clISt17integral_constantIbLb0EESZ_EEDaSU_SV_EUlSU_E_NS1_11comp_targetILNS1_3genE3ELNS1_11target_archE908ELNS1_3gpuE7ELNS1_3repE0EEENS1_30default_config_static_selectorELNS0_4arch9wavefront6targetE0EEEvT1_
	.globl	_ZN7rocprim17ROCPRIM_400000_NS6detail17trampoline_kernelINS0_14default_configENS1_27scan_by_key_config_selectorIxxEEZZNS1_16scan_by_key_implILNS1_25lookback_scan_determinismE0ELb0ES3_N6thrust23THRUST_200600_302600_NS6detail15normal_iteratorINS9_10device_ptrIxEEEESE_SE_xNS9_4plusIvEENS9_8equal_toIxEExEE10hipError_tPvRmT2_T3_T4_T5_mT6_T7_P12ihipStream_tbENKUlT_T0_E_clISt17integral_constantIbLb0EESZ_EEDaSU_SV_EUlSU_E_NS1_11comp_targetILNS1_3genE3ELNS1_11target_archE908ELNS1_3gpuE7ELNS1_3repE0EEENS1_30default_config_static_selectorELNS0_4arch9wavefront6targetE0EEEvT1_
	.p2align	8
	.type	_ZN7rocprim17ROCPRIM_400000_NS6detail17trampoline_kernelINS0_14default_configENS1_27scan_by_key_config_selectorIxxEEZZNS1_16scan_by_key_implILNS1_25lookback_scan_determinismE0ELb0ES3_N6thrust23THRUST_200600_302600_NS6detail15normal_iteratorINS9_10device_ptrIxEEEESE_SE_xNS9_4plusIvEENS9_8equal_toIxEExEE10hipError_tPvRmT2_T3_T4_T5_mT6_T7_P12ihipStream_tbENKUlT_T0_E_clISt17integral_constantIbLb0EESZ_EEDaSU_SV_EUlSU_E_NS1_11comp_targetILNS1_3genE3ELNS1_11target_archE908ELNS1_3gpuE7ELNS1_3repE0EEENS1_30default_config_static_selectorELNS0_4arch9wavefront6targetE0EEEvT1_,@function
_ZN7rocprim17ROCPRIM_400000_NS6detail17trampoline_kernelINS0_14default_configENS1_27scan_by_key_config_selectorIxxEEZZNS1_16scan_by_key_implILNS1_25lookback_scan_determinismE0ELb0ES3_N6thrust23THRUST_200600_302600_NS6detail15normal_iteratorINS9_10device_ptrIxEEEESE_SE_xNS9_4plusIvEENS9_8equal_toIxEExEE10hipError_tPvRmT2_T3_T4_T5_mT6_T7_P12ihipStream_tbENKUlT_T0_E_clISt17integral_constantIbLb0EESZ_EEDaSU_SV_EUlSU_E_NS1_11comp_targetILNS1_3genE3ELNS1_11target_archE908ELNS1_3gpuE7ELNS1_3repE0EEENS1_30default_config_static_selectorELNS0_4arch9wavefront6targetE0EEEvT1_: ; @_ZN7rocprim17ROCPRIM_400000_NS6detail17trampoline_kernelINS0_14default_configENS1_27scan_by_key_config_selectorIxxEEZZNS1_16scan_by_key_implILNS1_25lookback_scan_determinismE0ELb0ES3_N6thrust23THRUST_200600_302600_NS6detail15normal_iteratorINS9_10device_ptrIxEEEESE_SE_xNS9_4plusIvEENS9_8equal_toIxEExEE10hipError_tPvRmT2_T3_T4_T5_mT6_T7_P12ihipStream_tbENKUlT_T0_E_clISt17integral_constantIbLb0EESZ_EEDaSU_SV_EUlSU_E_NS1_11comp_targetILNS1_3genE3ELNS1_11target_archE908ELNS1_3gpuE7ELNS1_3repE0EEENS1_30default_config_static_selectorELNS0_4arch9wavefront6targetE0EEEvT1_
; %bb.0:
	.section	.rodata,"a",@progbits
	.p2align	6, 0x0
	.amdhsa_kernel _ZN7rocprim17ROCPRIM_400000_NS6detail17trampoline_kernelINS0_14default_configENS1_27scan_by_key_config_selectorIxxEEZZNS1_16scan_by_key_implILNS1_25lookback_scan_determinismE0ELb0ES3_N6thrust23THRUST_200600_302600_NS6detail15normal_iteratorINS9_10device_ptrIxEEEESE_SE_xNS9_4plusIvEENS9_8equal_toIxEExEE10hipError_tPvRmT2_T3_T4_T5_mT6_T7_P12ihipStream_tbENKUlT_T0_E_clISt17integral_constantIbLb0EESZ_EEDaSU_SV_EUlSU_E_NS1_11comp_targetILNS1_3genE3ELNS1_11target_archE908ELNS1_3gpuE7ELNS1_3repE0EEENS1_30default_config_static_selectorELNS0_4arch9wavefront6targetE0EEEvT1_
		.amdhsa_group_segment_fixed_size 0
		.amdhsa_private_segment_fixed_size 0
		.amdhsa_kernarg_size 136
		.amdhsa_user_sgpr_count 2
		.amdhsa_user_sgpr_dispatch_ptr 0
		.amdhsa_user_sgpr_queue_ptr 0
		.amdhsa_user_sgpr_kernarg_segment_ptr 1
		.amdhsa_user_sgpr_dispatch_id 0
		.amdhsa_user_sgpr_kernarg_preload_length 0
		.amdhsa_user_sgpr_kernarg_preload_offset 0
		.amdhsa_user_sgpr_private_segment_size 0
		.amdhsa_wavefront_size32 1
		.amdhsa_uses_dynamic_stack 0
		.amdhsa_enable_private_segment 0
		.amdhsa_system_sgpr_workgroup_id_x 1
		.amdhsa_system_sgpr_workgroup_id_y 0
		.amdhsa_system_sgpr_workgroup_id_z 0
		.amdhsa_system_sgpr_workgroup_info 0
		.amdhsa_system_vgpr_workitem_id 0
		.amdhsa_next_free_vgpr 1
		.amdhsa_next_free_sgpr 1
		.amdhsa_named_barrier_count 0
		.amdhsa_reserve_vcc 0
		.amdhsa_float_round_mode_32 0
		.amdhsa_float_round_mode_16_64 0
		.amdhsa_float_denorm_mode_32 3
		.amdhsa_float_denorm_mode_16_64 3
		.amdhsa_fp16_overflow 0
		.amdhsa_memory_ordered 1
		.amdhsa_forward_progress 1
		.amdhsa_inst_pref_size 0
		.amdhsa_round_robin_scheduling 0
		.amdhsa_exception_fp_ieee_invalid_op 0
		.amdhsa_exception_fp_denorm_src 0
		.amdhsa_exception_fp_ieee_div_zero 0
		.amdhsa_exception_fp_ieee_overflow 0
		.amdhsa_exception_fp_ieee_underflow 0
		.amdhsa_exception_fp_ieee_inexact 0
		.amdhsa_exception_int_div_zero 0
	.end_amdhsa_kernel
	.section	.text._ZN7rocprim17ROCPRIM_400000_NS6detail17trampoline_kernelINS0_14default_configENS1_27scan_by_key_config_selectorIxxEEZZNS1_16scan_by_key_implILNS1_25lookback_scan_determinismE0ELb0ES3_N6thrust23THRUST_200600_302600_NS6detail15normal_iteratorINS9_10device_ptrIxEEEESE_SE_xNS9_4plusIvEENS9_8equal_toIxEExEE10hipError_tPvRmT2_T3_T4_T5_mT6_T7_P12ihipStream_tbENKUlT_T0_E_clISt17integral_constantIbLb0EESZ_EEDaSU_SV_EUlSU_E_NS1_11comp_targetILNS1_3genE3ELNS1_11target_archE908ELNS1_3gpuE7ELNS1_3repE0EEENS1_30default_config_static_selectorELNS0_4arch9wavefront6targetE0EEEvT1_,"axG",@progbits,_ZN7rocprim17ROCPRIM_400000_NS6detail17trampoline_kernelINS0_14default_configENS1_27scan_by_key_config_selectorIxxEEZZNS1_16scan_by_key_implILNS1_25lookback_scan_determinismE0ELb0ES3_N6thrust23THRUST_200600_302600_NS6detail15normal_iteratorINS9_10device_ptrIxEEEESE_SE_xNS9_4plusIvEENS9_8equal_toIxEExEE10hipError_tPvRmT2_T3_T4_T5_mT6_T7_P12ihipStream_tbENKUlT_T0_E_clISt17integral_constantIbLb0EESZ_EEDaSU_SV_EUlSU_E_NS1_11comp_targetILNS1_3genE3ELNS1_11target_archE908ELNS1_3gpuE7ELNS1_3repE0EEENS1_30default_config_static_selectorELNS0_4arch9wavefront6targetE0EEEvT1_,comdat
.Lfunc_end87:
	.size	_ZN7rocprim17ROCPRIM_400000_NS6detail17trampoline_kernelINS0_14default_configENS1_27scan_by_key_config_selectorIxxEEZZNS1_16scan_by_key_implILNS1_25lookback_scan_determinismE0ELb0ES3_N6thrust23THRUST_200600_302600_NS6detail15normal_iteratorINS9_10device_ptrIxEEEESE_SE_xNS9_4plusIvEENS9_8equal_toIxEExEE10hipError_tPvRmT2_T3_T4_T5_mT6_T7_P12ihipStream_tbENKUlT_T0_E_clISt17integral_constantIbLb0EESZ_EEDaSU_SV_EUlSU_E_NS1_11comp_targetILNS1_3genE3ELNS1_11target_archE908ELNS1_3gpuE7ELNS1_3repE0EEENS1_30default_config_static_selectorELNS0_4arch9wavefront6targetE0EEEvT1_, .Lfunc_end87-_ZN7rocprim17ROCPRIM_400000_NS6detail17trampoline_kernelINS0_14default_configENS1_27scan_by_key_config_selectorIxxEEZZNS1_16scan_by_key_implILNS1_25lookback_scan_determinismE0ELb0ES3_N6thrust23THRUST_200600_302600_NS6detail15normal_iteratorINS9_10device_ptrIxEEEESE_SE_xNS9_4plusIvEENS9_8equal_toIxEExEE10hipError_tPvRmT2_T3_T4_T5_mT6_T7_P12ihipStream_tbENKUlT_T0_E_clISt17integral_constantIbLb0EESZ_EEDaSU_SV_EUlSU_E_NS1_11comp_targetILNS1_3genE3ELNS1_11target_archE908ELNS1_3gpuE7ELNS1_3repE0EEENS1_30default_config_static_selectorELNS0_4arch9wavefront6targetE0EEEvT1_
                                        ; -- End function
	.set _ZN7rocprim17ROCPRIM_400000_NS6detail17trampoline_kernelINS0_14default_configENS1_27scan_by_key_config_selectorIxxEEZZNS1_16scan_by_key_implILNS1_25lookback_scan_determinismE0ELb0ES3_N6thrust23THRUST_200600_302600_NS6detail15normal_iteratorINS9_10device_ptrIxEEEESE_SE_xNS9_4plusIvEENS9_8equal_toIxEExEE10hipError_tPvRmT2_T3_T4_T5_mT6_T7_P12ihipStream_tbENKUlT_T0_E_clISt17integral_constantIbLb0EESZ_EEDaSU_SV_EUlSU_E_NS1_11comp_targetILNS1_3genE3ELNS1_11target_archE908ELNS1_3gpuE7ELNS1_3repE0EEENS1_30default_config_static_selectorELNS0_4arch9wavefront6targetE0EEEvT1_.num_vgpr, 0
	.set _ZN7rocprim17ROCPRIM_400000_NS6detail17trampoline_kernelINS0_14default_configENS1_27scan_by_key_config_selectorIxxEEZZNS1_16scan_by_key_implILNS1_25lookback_scan_determinismE0ELb0ES3_N6thrust23THRUST_200600_302600_NS6detail15normal_iteratorINS9_10device_ptrIxEEEESE_SE_xNS9_4plusIvEENS9_8equal_toIxEExEE10hipError_tPvRmT2_T3_T4_T5_mT6_T7_P12ihipStream_tbENKUlT_T0_E_clISt17integral_constantIbLb0EESZ_EEDaSU_SV_EUlSU_E_NS1_11comp_targetILNS1_3genE3ELNS1_11target_archE908ELNS1_3gpuE7ELNS1_3repE0EEENS1_30default_config_static_selectorELNS0_4arch9wavefront6targetE0EEEvT1_.num_agpr, 0
	.set _ZN7rocprim17ROCPRIM_400000_NS6detail17trampoline_kernelINS0_14default_configENS1_27scan_by_key_config_selectorIxxEEZZNS1_16scan_by_key_implILNS1_25lookback_scan_determinismE0ELb0ES3_N6thrust23THRUST_200600_302600_NS6detail15normal_iteratorINS9_10device_ptrIxEEEESE_SE_xNS9_4plusIvEENS9_8equal_toIxEExEE10hipError_tPvRmT2_T3_T4_T5_mT6_T7_P12ihipStream_tbENKUlT_T0_E_clISt17integral_constantIbLb0EESZ_EEDaSU_SV_EUlSU_E_NS1_11comp_targetILNS1_3genE3ELNS1_11target_archE908ELNS1_3gpuE7ELNS1_3repE0EEENS1_30default_config_static_selectorELNS0_4arch9wavefront6targetE0EEEvT1_.numbered_sgpr, 0
	.set _ZN7rocprim17ROCPRIM_400000_NS6detail17trampoline_kernelINS0_14default_configENS1_27scan_by_key_config_selectorIxxEEZZNS1_16scan_by_key_implILNS1_25lookback_scan_determinismE0ELb0ES3_N6thrust23THRUST_200600_302600_NS6detail15normal_iteratorINS9_10device_ptrIxEEEESE_SE_xNS9_4plusIvEENS9_8equal_toIxEExEE10hipError_tPvRmT2_T3_T4_T5_mT6_T7_P12ihipStream_tbENKUlT_T0_E_clISt17integral_constantIbLb0EESZ_EEDaSU_SV_EUlSU_E_NS1_11comp_targetILNS1_3genE3ELNS1_11target_archE908ELNS1_3gpuE7ELNS1_3repE0EEENS1_30default_config_static_selectorELNS0_4arch9wavefront6targetE0EEEvT1_.num_named_barrier, 0
	.set _ZN7rocprim17ROCPRIM_400000_NS6detail17trampoline_kernelINS0_14default_configENS1_27scan_by_key_config_selectorIxxEEZZNS1_16scan_by_key_implILNS1_25lookback_scan_determinismE0ELb0ES3_N6thrust23THRUST_200600_302600_NS6detail15normal_iteratorINS9_10device_ptrIxEEEESE_SE_xNS9_4plusIvEENS9_8equal_toIxEExEE10hipError_tPvRmT2_T3_T4_T5_mT6_T7_P12ihipStream_tbENKUlT_T0_E_clISt17integral_constantIbLb0EESZ_EEDaSU_SV_EUlSU_E_NS1_11comp_targetILNS1_3genE3ELNS1_11target_archE908ELNS1_3gpuE7ELNS1_3repE0EEENS1_30default_config_static_selectorELNS0_4arch9wavefront6targetE0EEEvT1_.private_seg_size, 0
	.set _ZN7rocprim17ROCPRIM_400000_NS6detail17trampoline_kernelINS0_14default_configENS1_27scan_by_key_config_selectorIxxEEZZNS1_16scan_by_key_implILNS1_25lookback_scan_determinismE0ELb0ES3_N6thrust23THRUST_200600_302600_NS6detail15normal_iteratorINS9_10device_ptrIxEEEESE_SE_xNS9_4plusIvEENS9_8equal_toIxEExEE10hipError_tPvRmT2_T3_T4_T5_mT6_T7_P12ihipStream_tbENKUlT_T0_E_clISt17integral_constantIbLb0EESZ_EEDaSU_SV_EUlSU_E_NS1_11comp_targetILNS1_3genE3ELNS1_11target_archE908ELNS1_3gpuE7ELNS1_3repE0EEENS1_30default_config_static_selectorELNS0_4arch9wavefront6targetE0EEEvT1_.uses_vcc, 0
	.set _ZN7rocprim17ROCPRIM_400000_NS6detail17trampoline_kernelINS0_14default_configENS1_27scan_by_key_config_selectorIxxEEZZNS1_16scan_by_key_implILNS1_25lookback_scan_determinismE0ELb0ES3_N6thrust23THRUST_200600_302600_NS6detail15normal_iteratorINS9_10device_ptrIxEEEESE_SE_xNS9_4plusIvEENS9_8equal_toIxEExEE10hipError_tPvRmT2_T3_T4_T5_mT6_T7_P12ihipStream_tbENKUlT_T0_E_clISt17integral_constantIbLb0EESZ_EEDaSU_SV_EUlSU_E_NS1_11comp_targetILNS1_3genE3ELNS1_11target_archE908ELNS1_3gpuE7ELNS1_3repE0EEENS1_30default_config_static_selectorELNS0_4arch9wavefront6targetE0EEEvT1_.uses_flat_scratch, 0
	.set _ZN7rocprim17ROCPRIM_400000_NS6detail17trampoline_kernelINS0_14default_configENS1_27scan_by_key_config_selectorIxxEEZZNS1_16scan_by_key_implILNS1_25lookback_scan_determinismE0ELb0ES3_N6thrust23THRUST_200600_302600_NS6detail15normal_iteratorINS9_10device_ptrIxEEEESE_SE_xNS9_4plusIvEENS9_8equal_toIxEExEE10hipError_tPvRmT2_T3_T4_T5_mT6_T7_P12ihipStream_tbENKUlT_T0_E_clISt17integral_constantIbLb0EESZ_EEDaSU_SV_EUlSU_E_NS1_11comp_targetILNS1_3genE3ELNS1_11target_archE908ELNS1_3gpuE7ELNS1_3repE0EEENS1_30default_config_static_selectorELNS0_4arch9wavefront6targetE0EEEvT1_.has_dyn_sized_stack, 0
	.set _ZN7rocprim17ROCPRIM_400000_NS6detail17trampoline_kernelINS0_14default_configENS1_27scan_by_key_config_selectorIxxEEZZNS1_16scan_by_key_implILNS1_25lookback_scan_determinismE0ELb0ES3_N6thrust23THRUST_200600_302600_NS6detail15normal_iteratorINS9_10device_ptrIxEEEESE_SE_xNS9_4plusIvEENS9_8equal_toIxEExEE10hipError_tPvRmT2_T3_T4_T5_mT6_T7_P12ihipStream_tbENKUlT_T0_E_clISt17integral_constantIbLb0EESZ_EEDaSU_SV_EUlSU_E_NS1_11comp_targetILNS1_3genE3ELNS1_11target_archE908ELNS1_3gpuE7ELNS1_3repE0EEENS1_30default_config_static_selectorELNS0_4arch9wavefront6targetE0EEEvT1_.has_recursion, 0
	.set _ZN7rocprim17ROCPRIM_400000_NS6detail17trampoline_kernelINS0_14default_configENS1_27scan_by_key_config_selectorIxxEEZZNS1_16scan_by_key_implILNS1_25lookback_scan_determinismE0ELb0ES3_N6thrust23THRUST_200600_302600_NS6detail15normal_iteratorINS9_10device_ptrIxEEEESE_SE_xNS9_4plusIvEENS9_8equal_toIxEExEE10hipError_tPvRmT2_T3_T4_T5_mT6_T7_P12ihipStream_tbENKUlT_T0_E_clISt17integral_constantIbLb0EESZ_EEDaSU_SV_EUlSU_E_NS1_11comp_targetILNS1_3genE3ELNS1_11target_archE908ELNS1_3gpuE7ELNS1_3repE0EEENS1_30default_config_static_selectorELNS0_4arch9wavefront6targetE0EEEvT1_.has_indirect_call, 0
	.section	.AMDGPU.csdata,"",@progbits
; Kernel info:
; codeLenInByte = 0
; TotalNumSgprs: 0
; NumVgprs: 0
; ScratchSize: 0
; MemoryBound: 0
; FloatMode: 240
; IeeeMode: 1
; LDSByteSize: 0 bytes/workgroup (compile time only)
; SGPRBlocks: 0
; VGPRBlocks: 0
; NumSGPRsForWavesPerEU: 1
; NumVGPRsForWavesPerEU: 1
; NamedBarCnt: 0
; Occupancy: 16
; WaveLimiterHint : 0
; COMPUTE_PGM_RSRC2:SCRATCH_EN: 0
; COMPUTE_PGM_RSRC2:USER_SGPR: 2
; COMPUTE_PGM_RSRC2:TRAP_HANDLER: 0
; COMPUTE_PGM_RSRC2:TGID_X_EN: 1
; COMPUTE_PGM_RSRC2:TGID_Y_EN: 0
; COMPUTE_PGM_RSRC2:TGID_Z_EN: 0
; COMPUTE_PGM_RSRC2:TIDIG_COMP_CNT: 0
	.section	.text._ZN7rocprim17ROCPRIM_400000_NS6detail17trampoline_kernelINS0_14default_configENS1_27scan_by_key_config_selectorIxxEEZZNS1_16scan_by_key_implILNS1_25lookback_scan_determinismE0ELb0ES3_N6thrust23THRUST_200600_302600_NS6detail15normal_iteratorINS9_10device_ptrIxEEEESE_SE_xNS9_4plusIvEENS9_8equal_toIxEExEE10hipError_tPvRmT2_T3_T4_T5_mT6_T7_P12ihipStream_tbENKUlT_T0_E_clISt17integral_constantIbLb0EESZ_EEDaSU_SV_EUlSU_E_NS1_11comp_targetILNS1_3genE2ELNS1_11target_archE906ELNS1_3gpuE6ELNS1_3repE0EEENS1_30default_config_static_selectorELNS0_4arch9wavefront6targetE0EEEvT1_,"axG",@progbits,_ZN7rocprim17ROCPRIM_400000_NS6detail17trampoline_kernelINS0_14default_configENS1_27scan_by_key_config_selectorIxxEEZZNS1_16scan_by_key_implILNS1_25lookback_scan_determinismE0ELb0ES3_N6thrust23THRUST_200600_302600_NS6detail15normal_iteratorINS9_10device_ptrIxEEEESE_SE_xNS9_4plusIvEENS9_8equal_toIxEExEE10hipError_tPvRmT2_T3_T4_T5_mT6_T7_P12ihipStream_tbENKUlT_T0_E_clISt17integral_constantIbLb0EESZ_EEDaSU_SV_EUlSU_E_NS1_11comp_targetILNS1_3genE2ELNS1_11target_archE906ELNS1_3gpuE6ELNS1_3repE0EEENS1_30default_config_static_selectorELNS0_4arch9wavefront6targetE0EEEvT1_,comdat
	.protected	_ZN7rocprim17ROCPRIM_400000_NS6detail17trampoline_kernelINS0_14default_configENS1_27scan_by_key_config_selectorIxxEEZZNS1_16scan_by_key_implILNS1_25lookback_scan_determinismE0ELb0ES3_N6thrust23THRUST_200600_302600_NS6detail15normal_iteratorINS9_10device_ptrIxEEEESE_SE_xNS9_4plusIvEENS9_8equal_toIxEExEE10hipError_tPvRmT2_T3_T4_T5_mT6_T7_P12ihipStream_tbENKUlT_T0_E_clISt17integral_constantIbLb0EESZ_EEDaSU_SV_EUlSU_E_NS1_11comp_targetILNS1_3genE2ELNS1_11target_archE906ELNS1_3gpuE6ELNS1_3repE0EEENS1_30default_config_static_selectorELNS0_4arch9wavefront6targetE0EEEvT1_ ; -- Begin function _ZN7rocprim17ROCPRIM_400000_NS6detail17trampoline_kernelINS0_14default_configENS1_27scan_by_key_config_selectorIxxEEZZNS1_16scan_by_key_implILNS1_25lookback_scan_determinismE0ELb0ES3_N6thrust23THRUST_200600_302600_NS6detail15normal_iteratorINS9_10device_ptrIxEEEESE_SE_xNS9_4plusIvEENS9_8equal_toIxEExEE10hipError_tPvRmT2_T3_T4_T5_mT6_T7_P12ihipStream_tbENKUlT_T0_E_clISt17integral_constantIbLb0EESZ_EEDaSU_SV_EUlSU_E_NS1_11comp_targetILNS1_3genE2ELNS1_11target_archE906ELNS1_3gpuE6ELNS1_3repE0EEENS1_30default_config_static_selectorELNS0_4arch9wavefront6targetE0EEEvT1_
	.globl	_ZN7rocprim17ROCPRIM_400000_NS6detail17trampoline_kernelINS0_14default_configENS1_27scan_by_key_config_selectorIxxEEZZNS1_16scan_by_key_implILNS1_25lookback_scan_determinismE0ELb0ES3_N6thrust23THRUST_200600_302600_NS6detail15normal_iteratorINS9_10device_ptrIxEEEESE_SE_xNS9_4plusIvEENS9_8equal_toIxEExEE10hipError_tPvRmT2_T3_T4_T5_mT6_T7_P12ihipStream_tbENKUlT_T0_E_clISt17integral_constantIbLb0EESZ_EEDaSU_SV_EUlSU_E_NS1_11comp_targetILNS1_3genE2ELNS1_11target_archE906ELNS1_3gpuE6ELNS1_3repE0EEENS1_30default_config_static_selectorELNS0_4arch9wavefront6targetE0EEEvT1_
	.p2align	8
	.type	_ZN7rocprim17ROCPRIM_400000_NS6detail17trampoline_kernelINS0_14default_configENS1_27scan_by_key_config_selectorIxxEEZZNS1_16scan_by_key_implILNS1_25lookback_scan_determinismE0ELb0ES3_N6thrust23THRUST_200600_302600_NS6detail15normal_iteratorINS9_10device_ptrIxEEEESE_SE_xNS9_4plusIvEENS9_8equal_toIxEExEE10hipError_tPvRmT2_T3_T4_T5_mT6_T7_P12ihipStream_tbENKUlT_T0_E_clISt17integral_constantIbLb0EESZ_EEDaSU_SV_EUlSU_E_NS1_11comp_targetILNS1_3genE2ELNS1_11target_archE906ELNS1_3gpuE6ELNS1_3repE0EEENS1_30default_config_static_selectorELNS0_4arch9wavefront6targetE0EEEvT1_,@function
_ZN7rocprim17ROCPRIM_400000_NS6detail17trampoline_kernelINS0_14default_configENS1_27scan_by_key_config_selectorIxxEEZZNS1_16scan_by_key_implILNS1_25lookback_scan_determinismE0ELb0ES3_N6thrust23THRUST_200600_302600_NS6detail15normal_iteratorINS9_10device_ptrIxEEEESE_SE_xNS9_4plusIvEENS9_8equal_toIxEExEE10hipError_tPvRmT2_T3_T4_T5_mT6_T7_P12ihipStream_tbENKUlT_T0_E_clISt17integral_constantIbLb0EESZ_EEDaSU_SV_EUlSU_E_NS1_11comp_targetILNS1_3genE2ELNS1_11target_archE906ELNS1_3gpuE6ELNS1_3repE0EEENS1_30default_config_static_selectorELNS0_4arch9wavefront6targetE0EEEvT1_: ; @_ZN7rocprim17ROCPRIM_400000_NS6detail17trampoline_kernelINS0_14default_configENS1_27scan_by_key_config_selectorIxxEEZZNS1_16scan_by_key_implILNS1_25lookback_scan_determinismE0ELb0ES3_N6thrust23THRUST_200600_302600_NS6detail15normal_iteratorINS9_10device_ptrIxEEEESE_SE_xNS9_4plusIvEENS9_8equal_toIxEExEE10hipError_tPvRmT2_T3_T4_T5_mT6_T7_P12ihipStream_tbENKUlT_T0_E_clISt17integral_constantIbLb0EESZ_EEDaSU_SV_EUlSU_E_NS1_11comp_targetILNS1_3genE2ELNS1_11target_archE906ELNS1_3gpuE6ELNS1_3repE0EEENS1_30default_config_static_selectorELNS0_4arch9wavefront6targetE0EEEvT1_
; %bb.0:
	.section	.rodata,"a",@progbits
	.p2align	6, 0x0
	.amdhsa_kernel _ZN7rocprim17ROCPRIM_400000_NS6detail17trampoline_kernelINS0_14default_configENS1_27scan_by_key_config_selectorIxxEEZZNS1_16scan_by_key_implILNS1_25lookback_scan_determinismE0ELb0ES3_N6thrust23THRUST_200600_302600_NS6detail15normal_iteratorINS9_10device_ptrIxEEEESE_SE_xNS9_4plusIvEENS9_8equal_toIxEExEE10hipError_tPvRmT2_T3_T4_T5_mT6_T7_P12ihipStream_tbENKUlT_T0_E_clISt17integral_constantIbLb0EESZ_EEDaSU_SV_EUlSU_E_NS1_11comp_targetILNS1_3genE2ELNS1_11target_archE906ELNS1_3gpuE6ELNS1_3repE0EEENS1_30default_config_static_selectorELNS0_4arch9wavefront6targetE0EEEvT1_
		.amdhsa_group_segment_fixed_size 0
		.amdhsa_private_segment_fixed_size 0
		.amdhsa_kernarg_size 136
		.amdhsa_user_sgpr_count 2
		.amdhsa_user_sgpr_dispatch_ptr 0
		.amdhsa_user_sgpr_queue_ptr 0
		.amdhsa_user_sgpr_kernarg_segment_ptr 1
		.amdhsa_user_sgpr_dispatch_id 0
		.amdhsa_user_sgpr_kernarg_preload_length 0
		.amdhsa_user_sgpr_kernarg_preload_offset 0
		.amdhsa_user_sgpr_private_segment_size 0
		.amdhsa_wavefront_size32 1
		.amdhsa_uses_dynamic_stack 0
		.amdhsa_enable_private_segment 0
		.amdhsa_system_sgpr_workgroup_id_x 1
		.amdhsa_system_sgpr_workgroup_id_y 0
		.amdhsa_system_sgpr_workgroup_id_z 0
		.amdhsa_system_sgpr_workgroup_info 0
		.amdhsa_system_vgpr_workitem_id 0
		.amdhsa_next_free_vgpr 1
		.amdhsa_next_free_sgpr 1
		.amdhsa_named_barrier_count 0
		.amdhsa_reserve_vcc 0
		.amdhsa_float_round_mode_32 0
		.amdhsa_float_round_mode_16_64 0
		.amdhsa_float_denorm_mode_32 3
		.amdhsa_float_denorm_mode_16_64 3
		.amdhsa_fp16_overflow 0
		.amdhsa_memory_ordered 1
		.amdhsa_forward_progress 1
		.amdhsa_inst_pref_size 0
		.amdhsa_round_robin_scheduling 0
		.amdhsa_exception_fp_ieee_invalid_op 0
		.amdhsa_exception_fp_denorm_src 0
		.amdhsa_exception_fp_ieee_div_zero 0
		.amdhsa_exception_fp_ieee_overflow 0
		.amdhsa_exception_fp_ieee_underflow 0
		.amdhsa_exception_fp_ieee_inexact 0
		.amdhsa_exception_int_div_zero 0
	.end_amdhsa_kernel
	.section	.text._ZN7rocprim17ROCPRIM_400000_NS6detail17trampoline_kernelINS0_14default_configENS1_27scan_by_key_config_selectorIxxEEZZNS1_16scan_by_key_implILNS1_25lookback_scan_determinismE0ELb0ES3_N6thrust23THRUST_200600_302600_NS6detail15normal_iteratorINS9_10device_ptrIxEEEESE_SE_xNS9_4plusIvEENS9_8equal_toIxEExEE10hipError_tPvRmT2_T3_T4_T5_mT6_T7_P12ihipStream_tbENKUlT_T0_E_clISt17integral_constantIbLb0EESZ_EEDaSU_SV_EUlSU_E_NS1_11comp_targetILNS1_3genE2ELNS1_11target_archE906ELNS1_3gpuE6ELNS1_3repE0EEENS1_30default_config_static_selectorELNS0_4arch9wavefront6targetE0EEEvT1_,"axG",@progbits,_ZN7rocprim17ROCPRIM_400000_NS6detail17trampoline_kernelINS0_14default_configENS1_27scan_by_key_config_selectorIxxEEZZNS1_16scan_by_key_implILNS1_25lookback_scan_determinismE0ELb0ES3_N6thrust23THRUST_200600_302600_NS6detail15normal_iteratorINS9_10device_ptrIxEEEESE_SE_xNS9_4plusIvEENS9_8equal_toIxEExEE10hipError_tPvRmT2_T3_T4_T5_mT6_T7_P12ihipStream_tbENKUlT_T0_E_clISt17integral_constantIbLb0EESZ_EEDaSU_SV_EUlSU_E_NS1_11comp_targetILNS1_3genE2ELNS1_11target_archE906ELNS1_3gpuE6ELNS1_3repE0EEENS1_30default_config_static_selectorELNS0_4arch9wavefront6targetE0EEEvT1_,comdat
.Lfunc_end88:
	.size	_ZN7rocprim17ROCPRIM_400000_NS6detail17trampoline_kernelINS0_14default_configENS1_27scan_by_key_config_selectorIxxEEZZNS1_16scan_by_key_implILNS1_25lookback_scan_determinismE0ELb0ES3_N6thrust23THRUST_200600_302600_NS6detail15normal_iteratorINS9_10device_ptrIxEEEESE_SE_xNS9_4plusIvEENS9_8equal_toIxEExEE10hipError_tPvRmT2_T3_T4_T5_mT6_T7_P12ihipStream_tbENKUlT_T0_E_clISt17integral_constantIbLb0EESZ_EEDaSU_SV_EUlSU_E_NS1_11comp_targetILNS1_3genE2ELNS1_11target_archE906ELNS1_3gpuE6ELNS1_3repE0EEENS1_30default_config_static_selectorELNS0_4arch9wavefront6targetE0EEEvT1_, .Lfunc_end88-_ZN7rocprim17ROCPRIM_400000_NS6detail17trampoline_kernelINS0_14default_configENS1_27scan_by_key_config_selectorIxxEEZZNS1_16scan_by_key_implILNS1_25lookback_scan_determinismE0ELb0ES3_N6thrust23THRUST_200600_302600_NS6detail15normal_iteratorINS9_10device_ptrIxEEEESE_SE_xNS9_4plusIvEENS9_8equal_toIxEExEE10hipError_tPvRmT2_T3_T4_T5_mT6_T7_P12ihipStream_tbENKUlT_T0_E_clISt17integral_constantIbLb0EESZ_EEDaSU_SV_EUlSU_E_NS1_11comp_targetILNS1_3genE2ELNS1_11target_archE906ELNS1_3gpuE6ELNS1_3repE0EEENS1_30default_config_static_selectorELNS0_4arch9wavefront6targetE0EEEvT1_
                                        ; -- End function
	.set _ZN7rocprim17ROCPRIM_400000_NS6detail17trampoline_kernelINS0_14default_configENS1_27scan_by_key_config_selectorIxxEEZZNS1_16scan_by_key_implILNS1_25lookback_scan_determinismE0ELb0ES3_N6thrust23THRUST_200600_302600_NS6detail15normal_iteratorINS9_10device_ptrIxEEEESE_SE_xNS9_4plusIvEENS9_8equal_toIxEExEE10hipError_tPvRmT2_T3_T4_T5_mT6_T7_P12ihipStream_tbENKUlT_T0_E_clISt17integral_constantIbLb0EESZ_EEDaSU_SV_EUlSU_E_NS1_11comp_targetILNS1_3genE2ELNS1_11target_archE906ELNS1_3gpuE6ELNS1_3repE0EEENS1_30default_config_static_selectorELNS0_4arch9wavefront6targetE0EEEvT1_.num_vgpr, 0
	.set _ZN7rocprim17ROCPRIM_400000_NS6detail17trampoline_kernelINS0_14default_configENS1_27scan_by_key_config_selectorIxxEEZZNS1_16scan_by_key_implILNS1_25lookback_scan_determinismE0ELb0ES3_N6thrust23THRUST_200600_302600_NS6detail15normal_iteratorINS9_10device_ptrIxEEEESE_SE_xNS9_4plusIvEENS9_8equal_toIxEExEE10hipError_tPvRmT2_T3_T4_T5_mT6_T7_P12ihipStream_tbENKUlT_T0_E_clISt17integral_constantIbLb0EESZ_EEDaSU_SV_EUlSU_E_NS1_11comp_targetILNS1_3genE2ELNS1_11target_archE906ELNS1_3gpuE6ELNS1_3repE0EEENS1_30default_config_static_selectorELNS0_4arch9wavefront6targetE0EEEvT1_.num_agpr, 0
	.set _ZN7rocprim17ROCPRIM_400000_NS6detail17trampoline_kernelINS0_14default_configENS1_27scan_by_key_config_selectorIxxEEZZNS1_16scan_by_key_implILNS1_25lookback_scan_determinismE0ELb0ES3_N6thrust23THRUST_200600_302600_NS6detail15normal_iteratorINS9_10device_ptrIxEEEESE_SE_xNS9_4plusIvEENS9_8equal_toIxEExEE10hipError_tPvRmT2_T3_T4_T5_mT6_T7_P12ihipStream_tbENKUlT_T0_E_clISt17integral_constantIbLb0EESZ_EEDaSU_SV_EUlSU_E_NS1_11comp_targetILNS1_3genE2ELNS1_11target_archE906ELNS1_3gpuE6ELNS1_3repE0EEENS1_30default_config_static_selectorELNS0_4arch9wavefront6targetE0EEEvT1_.numbered_sgpr, 0
	.set _ZN7rocprim17ROCPRIM_400000_NS6detail17trampoline_kernelINS0_14default_configENS1_27scan_by_key_config_selectorIxxEEZZNS1_16scan_by_key_implILNS1_25lookback_scan_determinismE0ELb0ES3_N6thrust23THRUST_200600_302600_NS6detail15normal_iteratorINS9_10device_ptrIxEEEESE_SE_xNS9_4plusIvEENS9_8equal_toIxEExEE10hipError_tPvRmT2_T3_T4_T5_mT6_T7_P12ihipStream_tbENKUlT_T0_E_clISt17integral_constantIbLb0EESZ_EEDaSU_SV_EUlSU_E_NS1_11comp_targetILNS1_3genE2ELNS1_11target_archE906ELNS1_3gpuE6ELNS1_3repE0EEENS1_30default_config_static_selectorELNS0_4arch9wavefront6targetE0EEEvT1_.num_named_barrier, 0
	.set _ZN7rocprim17ROCPRIM_400000_NS6detail17trampoline_kernelINS0_14default_configENS1_27scan_by_key_config_selectorIxxEEZZNS1_16scan_by_key_implILNS1_25lookback_scan_determinismE0ELb0ES3_N6thrust23THRUST_200600_302600_NS6detail15normal_iteratorINS9_10device_ptrIxEEEESE_SE_xNS9_4plusIvEENS9_8equal_toIxEExEE10hipError_tPvRmT2_T3_T4_T5_mT6_T7_P12ihipStream_tbENKUlT_T0_E_clISt17integral_constantIbLb0EESZ_EEDaSU_SV_EUlSU_E_NS1_11comp_targetILNS1_3genE2ELNS1_11target_archE906ELNS1_3gpuE6ELNS1_3repE0EEENS1_30default_config_static_selectorELNS0_4arch9wavefront6targetE0EEEvT1_.private_seg_size, 0
	.set _ZN7rocprim17ROCPRIM_400000_NS6detail17trampoline_kernelINS0_14default_configENS1_27scan_by_key_config_selectorIxxEEZZNS1_16scan_by_key_implILNS1_25lookback_scan_determinismE0ELb0ES3_N6thrust23THRUST_200600_302600_NS6detail15normal_iteratorINS9_10device_ptrIxEEEESE_SE_xNS9_4plusIvEENS9_8equal_toIxEExEE10hipError_tPvRmT2_T3_T4_T5_mT6_T7_P12ihipStream_tbENKUlT_T0_E_clISt17integral_constantIbLb0EESZ_EEDaSU_SV_EUlSU_E_NS1_11comp_targetILNS1_3genE2ELNS1_11target_archE906ELNS1_3gpuE6ELNS1_3repE0EEENS1_30default_config_static_selectorELNS0_4arch9wavefront6targetE0EEEvT1_.uses_vcc, 0
	.set _ZN7rocprim17ROCPRIM_400000_NS6detail17trampoline_kernelINS0_14default_configENS1_27scan_by_key_config_selectorIxxEEZZNS1_16scan_by_key_implILNS1_25lookback_scan_determinismE0ELb0ES3_N6thrust23THRUST_200600_302600_NS6detail15normal_iteratorINS9_10device_ptrIxEEEESE_SE_xNS9_4plusIvEENS9_8equal_toIxEExEE10hipError_tPvRmT2_T3_T4_T5_mT6_T7_P12ihipStream_tbENKUlT_T0_E_clISt17integral_constantIbLb0EESZ_EEDaSU_SV_EUlSU_E_NS1_11comp_targetILNS1_3genE2ELNS1_11target_archE906ELNS1_3gpuE6ELNS1_3repE0EEENS1_30default_config_static_selectorELNS0_4arch9wavefront6targetE0EEEvT1_.uses_flat_scratch, 0
	.set _ZN7rocprim17ROCPRIM_400000_NS6detail17trampoline_kernelINS0_14default_configENS1_27scan_by_key_config_selectorIxxEEZZNS1_16scan_by_key_implILNS1_25lookback_scan_determinismE0ELb0ES3_N6thrust23THRUST_200600_302600_NS6detail15normal_iteratorINS9_10device_ptrIxEEEESE_SE_xNS9_4plusIvEENS9_8equal_toIxEExEE10hipError_tPvRmT2_T3_T4_T5_mT6_T7_P12ihipStream_tbENKUlT_T0_E_clISt17integral_constantIbLb0EESZ_EEDaSU_SV_EUlSU_E_NS1_11comp_targetILNS1_3genE2ELNS1_11target_archE906ELNS1_3gpuE6ELNS1_3repE0EEENS1_30default_config_static_selectorELNS0_4arch9wavefront6targetE0EEEvT1_.has_dyn_sized_stack, 0
	.set _ZN7rocprim17ROCPRIM_400000_NS6detail17trampoline_kernelINS0_14default_configENS1_27scan_by_key_config_selectorIxxEEZZNS1_16scan_by_key_implILNS1_25lookback_scan_determinismE0ELb0ES3_N6thrust23THRUST_200600_302600_NS6detail15normal_iteratorINS9_10device_ptrIxEEEESE_SE_xNS9_4plusIvEENS9_8equal_toIxEExEE10hipError_tPvRmT2_T3_T4_T5_mT6_T7_P12ihipStream_tbENKUlT_T0_E_clISt17integral_constantIbLb0EESZ_EEDaSU_SV_EUlSU_E_NS1_11comp_targetILNS1_3genE2ELNS1_11target_archE906ELNS1_3gpuE6ELNS1_3repE0EEENS1_30default_config_static_selectorELNS0_4arch9wavefront6targetE0EEEvT1_.has_recursion, 0
	.set _ZN7rocprim17ROCPRIM_400000_NS6detail17trampoline_kernelINS0_14default_configENS1_27scan_by_key_config_selectorIxxEEZZNS1_16scan_by_key_implILNS1_25lookback_scan_determinismE0ELb0ES3_N6thrust23THRUST_200600_302600_NS6detail15normal_iteratorINS9_10device_ptrIxEEEESE_SE_xNS9_4plusIvEENS9_8equal_toIxEExEE10hipError_tPvRmT2_T3_T4_T5_mT6_T7_P12ihipStream_tbENKUlT_T0_E_clISt17integral_constantIbLb0EESZ_EEDaSU_SV_EUlSU_E_NS1_11comp_targetILNS1_3genE2ELNS1_11target_archE906ELNS1_3gpuE6ELNS1_3repE0EEENS1_30default_config_static_selectorELNS0_4arch9wavefront6targetE0EEEvT1_.has_indirect_call, 0
	.section	.AMDGPU.csdata,"",@progbits
; Kernel info:
; codeLenInByte = 0
; TotalNumSgprs: 0
; NumVgprs: 0
; ScratchSize: 0
; MemoryBound: 0
; FloatMode: 240
; IeeeMode: 1
; LDSByteSize: 0 bytes/workgroup (compile time only)
; SGPRBlocks: 0
; VGPRBlocks: 0
; NumSGPRsForWavesPerEU: 1
; NumVGPRsForWavesPerEU: 1
; NamedBarCnt: 0
; Occupancy: 16
; WaveLimiterHint : 0
; COMPUTE_PGM_RSRC2:SCRATCH_EN: 0
; COMPUTE_PGM_RSRC2:USER_SGPR: 2
; COMPUTE_PGM_RSRC2:TRAP_HANDLER: 0
; COMPUTE_PGM_RSRC2:TGID_X_EN: 1
; COMPUTE_PGM_RSRC2:TGID_Y_EN: 0
; COMPUTE_PGM_RSRC2:TGID_Z_EN: 0
; COMPUTE_PGM_RSRC2:TIDIG_COMP_CNT: 0
	.section	.text._ZN7rocprim17ROCPRIM_400000_NS6detail17trampoline_kernelINS0_14default_configENS1_27scan_by_key_config_selectorIxxEEZZNS1_16scan_by_key_implILNS1_25lookback_scan_determinismE0ELb0ES3_N6thrust23THRUST_200600_302600_NS6detail15normal_iteratorINS9_10device_ptrIxEEEESE_SE_xNS9_4plusIvEENS9_8equal_toIxEExEE10hipError_tPvRmT2_T3_T4_T5_mT6_T7_P12ihipStream_tbENKUlT_T0_E_clISt17integral_constantIbLb0EESZ_EEDaSU_SV_EUlSU_E_NS1_11comp_targetILNS1_3genE10ELNS1_11target_archE1200ELNS1_3gpuE4ELNS1_3repE0EEENS1_30default_config_static_selectorELNS0_4arch9wavefront6targetE0EEEvT1_,"axG",@progbits,_ZN7rocprim17ROCPRIM_400000_NS6detail17trampoline_kernelINS0_14default_configENS1_27scan_by_key_config_selectorIxxEEZZNS1_16scan_by_key_implILNS1_25lookback_scan_determinismE0ELb0ES3_N6thrust23THRUST_200600_302600_NS6detail15normal_iteratorINS9_10device_ptrIxEEEESE_SE_xNS9_4plusIvEENS9_8equal_toIxEExEE10hipError_tPvRmT2_T3_T4_T5_mT6_T7_P12ihipStream_tbENKUlT_T0_E_clISt17integral_constantIbLb0EESZ_EEDaSU_SV_EUlSU_E_NS1_11comp_targetILNS1_3genE10ELNS1_11target_archE1200ELNS1_3gpuE4ELNS1_3repE0EEENS1_30default_config_static_selectorELNS0_4arch9wavefront6targetE0EEEvT1_,comdat
	.protected	_ZN7rocprim17ROCPRIM_400000_NS6detail17trampoline_kernelINS0_14default_configENS1_27scan_by_key_config_selectorIxxEEZZNS1_16scan_by_key_implILNS1_25lookback_scan_determinismE0ELb0ES3_N6thrust23THRUST_200600_302600_NS6detail15normal_iteratorINS9_10device_ptrIxEEEESE_SE_xNS9_4plusIvEENS9_8equal_toIxEExEE10hipError_tPvRmT2_T3_T4_T5_mT6_T7_P12ihipStream_tbENKUlT_T0_E_clISt17integral_constantIbLb0EESZ_EEDaSU_SV_EUlSU_E_NS1_11comp_targetILNS1_3genE10ELNS1_11target_archE1200ELNS1_3gpuE4ELNS1_3repE0EEENS1_30default_config_static_selectorELNS0_4arch9wavefront6targetE0EEEvT1_ ; -- Begin function _ZN7rocprim17ROCPRIM_400000_NS6detail17trampoline_kernelINS0_14default_configENS1_27scan_by_key_config_selectorIxxEEZZNS1_16scan_by_key_implILNS1_25lookback_scan_determinismE0ELb0ES3_N6thrust23THRUST_200600_302600_NS6detail15normal_iteratorINS9_10device_ptrIxEEEESE_SE_xNS9_4plusIvEENS9_8equal_toIxEExEE10hipError_tPvRmT2_T3_T4_T5_mT6_T7_P12ihipStream_tbENKUlT_T0_E_clISt17integral_constantIbLb0EESZ_EEDaSU_SV_EUlSU_E_NS1_11comp_targetILNS1_3genE10ELNS1_11target_archE1200ELNS1_3gpuE4ELNS1_3repE0EEENS1_30default_config_static_selectorELNS0_4arch9wavefront6targetE0EEEvT1_
	.globl	_ZN7rocprim17ROCPRIM_400000_NS6detail17trampoline_kernelINS0_14default_configENS1_27scan_by_key_config_selectorIxxEEZZNS1_16scan_by_key_implILNS1_25lookback_scan_determinismE0ELb0ES3_N6thrust23THRUST_200600_302600_NS6detail15normal_iteratorINS9_10device_ptrIxEEEESE_SE_xNS9_4plusIvEENS9_8equal_toIxEExEE10hipError_tPvRmT2_T3_T4_T5_mT6_T7_P12ihipStream_tbENKUlT_T0_E_clISt17integral_constantIbLb0EESZ_EEDaSU_SV_EUlSU_E_NS1_11comp_targetILNS1_3genE10ELNS1_11target_archE1200ELNS1_3gpuE4ELNS1_3repE0EEENS1_30default_config_static_selectorELNS0_4arch9wavefront6targetE0EEEvT1_
	.p2align	8
	.type	_ZN7rocprim17ROCPRIM_400000_NS6detail17trampoline_kernelINS0_14default_configENS1_27scan_by_key_config_selectorIxxEEZZNS1_16scan_by_key_implILNS1_25lookback_scan_determinismE0ELb0ES3_N6thrust23THRUST_200600_302600_NS6detail15normal_iteratorINS9_10device_ptrIxEEEESE_SE_xNS9_4plusIvEENS9_8equal_toIxEExEE10hipError_tPvRmT2_T3_T4_T5_mT6_T7_P12ihipStream_tbENKUlT_T0_E_clISt17integral_constantIbLb0EESZ_EEDaSU_SV_EUlSU_E_NS1_11comp_targetILNS1_3genE10ELNS1_11target_archE1200ELNS1_3gpuE4ELNS1_3repE0EEENS1_30default_config_static_selectorELNS0_4arch9wavefront6targetE0EEEvT1_,@function
_ZN7rocprim17ROCPRIM_400000_NS6detail17trampoline_kernelINS0_14default_configENS1_27scan_by_key_config_selectorIxxEEZZNS1_16scan_by_key_implILNS1_25lookback_scan_determinismE0ELb0ES3_N6thrust23THRUST_200600_302600_NS6detail15normal_iteratorINS9_10device_ptrIxEEEESE_SE_xNS9_4plusIvEENS9_8equal_toIxEExEE10hipError_tPvRmT2_T3_T4_T5_mT6_T7_P12ihipStream_tbENKUlT_T0_E_clISt17integral_constantIbLb0EESZ_EEDaSU_SV_EUlSU_E_NS1_11comp_targetILNS1_3genE10ELNS1_11target_archE1200ELNS1_3gpuE4ELNS1_3repE0EEENS1_30default_config_static_selectorELNS0_4arch9wavefront6targetE0EEEvT1_: ; @_ZN7rocprim17ROCPRIM_400000_NS6detail17trampoline_kernelINS0_14default_configENS1_27scan_by_key_config_selectorIxxEEZZNS1_16scan_by_key_implILNS1_25lookback_scan_determinismE0ELb0ES3_N6thrust23THRUST_200600_302600_NS6detail15normal_iteratorINS9_10device_ptrIxEEEESE_SE_xNS9_4plusIvEENS9_8equal_toIxEExEE10hipError_tPvRmT2_T3_T4_T5_mT6_T7_P12ihipStream_tbENKUlT_T0_E_clISt17integral_constantIbLb0EESZ_EEDaSU_SV_EUlSU_E_NS1_11comp_targetILNS1_3genE10ELNS1_11target_archE1200ELNS1_3gpuE4ELNS1_3repE0EEENS1_30default_config_static_selectorELNS0_4arch9wavefront6targetE0EEEvT1_
; %bb.0:
	.section	.rodata,"a",@progbits
	.p2align	6, 0x0
	.amdhsa_kernel _ZN7rocprim17ROCPRIM_400000_NS6detail17trampoline_kernelINS0_14default_configENS1_27scan_by_key_config_selectorIxxEEZZNS1_16scan_by_key_implILNS1_25lookback_scan_determinismE0ELb0ES3_N6thrust23THRUST_200600_302600_NS6detail15normal_iteratorINS9_10device_ptrIxEEEESE_SE_xNS9_4plusIvEENS9_8equal_toIxEExEE10hipError_tPvRmT2_T3_T4_T5_mT6_T7_P12ihipStream_tbENKUlT_T0_E_clISt17integral_constantIbLb0EESZ_EEDaSU_SV_EUlSU_E_NS1_11comp_targetILNS1_3genE10ELNS1_11target_archE1200ELNS1_3gpuE4ELNS1_3repE0EEENS1_30default_config_static_selectorELNS0_4arch9wavefront6targetE0EEEvT1_
		.amdhsa_group_segment_fixed_size 0
		.amdhsa_private_segment_fixed_size 0
		.amdhsa_kernarg_size 136
		.amdhsa_user_sgpr_count 2
		.amdhsa_user_sgpr_dispatch_ptr 0
		.amdhsa_user_sgpr_queue_ptr 0
		.amdhsa_user_sgpr_kernarg_segment_ptr 1
		.amdhsa_user_sgpr_dispatch_id 0
		.amdhsa_user_sgpr_kernarg_preload_length 0
		.amdhsa_user_sgpr_kernarg_preload_offset 0
		.amdhsa_user_sgpr_private_segment_size 0
		.amdhsa_wavefront_size32 1
		.amdhsa_uses_dynamic_stack 0
		.amdhsa_enable_private_segment 0
		.amdhsa_system_sgpr_workgroup_id_x 1
		.amdhsa_system_sgpr_workgroup_id_y 0
		.amdhsa_system_sgpr_workgroup_id_z 0
		.amdhsa_system_sgpr_workgroup_info 0
		.amdhsa_system_vgpr_workitem_id 0
		.amdhsa_next_free_vgpr 1
		.amdhsa_next_free_sgpr 1
		.amdhsa_named_barrier_count 0
		.amdhsa_reserve_vcc 0
		.amdhsa_float_round_mode_32 0
		.amdhsa_float_round_mode_16_64 0
		.amdhsa_float_denorm_mode_32 3
		.amdhsa_float_denorm_mode_16_64 3
		.amdhsa_fp16_overflow 0
		.amdhsa_memory_ordered 1
		.amdhsa_forward_progress 1
		.amdhsa_inst_pref_size 0
		.amdhsa_round_robin_scheduling 0
		.amdhsa_exception_fp_ieee_invalid_op 0
		.amdhsa_exception_fp_denorm_src 0
		.amdhsa_exception_fp_ieee_div_zero 0
		.amdhsa_exception_fp_ieee_overflow 0
		.amdhsa_exception_fp_ieee_underflow 0
		.amdhsa_exception_fp_ieee_inexact 0
		.amdhsa_exception_int_div_zero 0
	.end_amdhsa_kernel
	.section	.text._ZN7rocprim17ROCPRIM_400000_NS6detail17trampoline_kernelINS0_14default_configENS1_27scan_by_key_config_selectorIxxEEZZNS1_16scan_by_key_implILNS1_25lookback_scan_determinismE0ELb0ES3_N6thrust23THRUST_200600_302600_NS6detail15normal_iteratorINS9_10device_ptrIxEEEESE_SE_xNS9_4plusIvEENS9_8equal_toIxEExEE10hipError_tPvRmT2_T3_T4_T5_mT6_T7_P12ihipStream_tbENKUlT_T0_E_clISt17integral_constantIbLb0EESZ_EEDaSU_SV_EUlSU_E_NS1_11comp_targetILNS1_3genE10ELNS1_11target_archE1200ELNS1_3gpuE4ELNS1_3repE0EEENS1_30default_config_static_selectorELNS0_4arch9wavefront6targetE0EEEvT1_,"axG",@progbits,_ZN7rocprim17ROCPRIM_400000_NS6detail17trampoline_kernelINS0_14default_configENS1_27scan_by_key_config_selectorIxxEEZZNS1_16scan_by_key_implILNS1_25lookback_scan_determinismE0ELb0ES3_N6thrust23THRUST_200600_302600_NS6detail15normal_iteratorINS9_10device_ptrIxEEEESE_SE_xNS9_4plusIvEENS9_8equal_toIxEExEE10hipError_tPvRmT2_T3_T4_T5_mT6_T7_P12ihipStream_tbENKUlT_T0_E_clISt17integral_constantIbLb0EESZ_EEDaSU_SV_EUlSU_E_NS1_11comp_targetILNS1_3genE10ELNS1_11target_archE1200ELNS1_3gpuE4ELNS1_3repE0EEENS1_30default_config_static_selectorELNS0_4arch9wavefront6targetE0EEEvT1_,comdat
.Lfunc_end89:
	.size	_ZN7rocprim17ROCPRIM_400000_NS6detail17trampoline_kernelINS0_14default_configENS1_27scan_by_key_config_selectorIxxEEZZNS1_16scan_by_key_implILNS1_25lookback_scan_determinismE0ELb0ES3_N6thrust23THRUST_200600_302600_NS6detail15normal_iteratorINS9_10device_ptrIxEEEESE_SE_xNS9_4plusIvEENS9_8equal_toIxEExEE10hipError_tPvRmT2_T3_T4_T5_mT6_T7_P12ihipStream_tbENKUlT_T0_E_clISt17integral_constantIbLb0EESZ_EEDaSU_SV_EUlSU_E_NS1_11comp_targetILNS1_3genE10ELNS1_11target_archE1200ELNS1_3gpuE4ELNS1_3repE0EEENS1_30default_config_static_selectorELNS0_4arch9wavefront6targetE0EEEvT1_, .Lfunc_end89-_ZN7rocprim17ROCPRIM_400000_NS6detail17trampoline_kernelINS0_14default_configENS1_27scan_by_key_config_selectorIxxEEZZNS1_16scan_by_key_implILNS1_25lookback_scan_determinismE0ELb0ES3_N6thrust23THRUST_200600_302600_NS6detail15normal_iteratorINS9_10device_ptrIxEEEESE_SE_xNS9_4plusIvEENS9_8equal_toIxEExEE10hipError_tPvRmT2_T3_T4_T5_mT6_T7_P12ihipStream_tbENKUlT_T0_E_clISt17integral_constantIbLb0EESZ_EEDaSU_SV_EUlSU_E_NS1_11comp_targetILNS1_3genE10ELNS1_11target_archE1200ELNS1_3gpuE4ELNS1_3repE0EEENS1_30default_config_static_selectorELNS0_4arch9wavefront6targetE0EEEvT1_
                                        ; -- End function
	.set _ZN7rocprim17ROCPRIM_400000_NS6detail17trampoline_kernelINS0_14default_configENS1_27scan_by_key_config_selectorIxxEEZZNS1_16scan_by_key_implILNS1_25lookback_scan_determinismE0ELb0ES3_N6thrust23THRUST_200600_302600_NS6detail15normal_iteratorINS9_10device_ptrIxEEEESE_SE_xNS9_4plusIvEENS9_8equal_toIxEExEE10hipError_tPvRmT2_T3_T4_T5_mT6_T7_P12ihipStream_tbENKUlT_T0_E_clISt17integral_constantIbLb0EESZ_EEDaSU_SV_EUlSU_E_NS1_11comp_targetILNS1_3genE10ELNS1_11target_archE1200ELNS1_3gpuE4ELNS1_3repE0EEENS1_30default_config_static_selectorELNS0_4arch9wavefront6targetE0EEEvT1_.num_vgpr, 0
	.set _ZN7rocprim17ROCPRIM_400000_NS6detail17trampoline_kernelINS0_14default_configENS1_27scan_by_key_config_selectorIxxEEZZNS1_16scan_by_key_implILNS1_25lookback_scan_determinismE0ELb0ES3_N6thrust23THRUST_200600_302600_NS6detail15normal_iteratorINS9_10device_ptrIxEEEESE_SE_xNS9_4plusIvEENS9_8equal_toIxEExEE10hipError_tPvRmT2_T3_T4_T5_mT6_T7_P12ihipStream_tbENKUlT_T0_E_clISt17integral_constantIbLb0EESZ_EEDaSU_SV_EUlSU_E_NS1_11comp_targetILNS1_3genE10ELNS1_11target_archE1200ELNS1_3gpuE4ELNS1_3repE0EEENS1_30default_config_static_selectorELNS0_4arch9wavefront6targetE0EEEvT1_.num_agpr, 0
	.set _ZN7rocprim17ROCPRIM_400000_NS6detail17trampoline_kernelINS0_14default_configENS1_27scan_by_key_config_selectorIxxEEZZNS1_16scan_by_key_implILNS1_25lookback_scan_determinismE0ELb0ES3_N6thrust23THRUST_200600_302600_NS6detail15normal_iteratorINS9_10device_ptrIxEEEESE_SE_xNS9_4plusIvEENS9_8equal_toIxEExEE10hipError_tPvRmT2_T3_T4_T5_mT6_T7_P12ihipStream_tbENKUlT_T0_E_clISt17integral_constantIbLb0EESZ_EEDaSU_SV_EUlSU_E_NS1_11comp_targetILNS1_3genE10ELNS1_11target_archE1200ELNS1_3gpuE4ELNS1_3repE0EEENS1_30default_config_static_selectorELNS0_4arch9wavefront6targetE0EEEvT1_.numbered_sgpr, 0
	.set _ZN7rocprim17ROCPRIM_400000_NS6detail17trampoline_kernelINS0_14default_configENS1_27scan_by_key_config_selectorIxxEEZZNS1_16scan_by_key_implILNS1_25lookback_scan_determinismE0ELb0ES3_N6thrust23THRUST_200600_302600_NS6detail15normal_iteratorINS9_10device_ptrIxEEEESE_SE_xNS9_4plusIvEENS9_8equal_toIxEExEE10hipError_tPvRmT2_T3_T4_T5_mT6_T7_P12ihipStream_tbENKUlT_T0_E_clISt17integral_constantIbLb0EESZ_EEDaSU_SV_EUlSU_E_NS1_11comp_targetILNS1_3genE10ELNS1_11target_archE1200ELNS1_3gpuE4ELNS1_3repE0EEENS1_30default_config_static_selectorELNS0_4arch9wavefront6targetE0EEEvT1_.num_named_barrier, 0
	.set _ZN7rocprim17ROCPRIM_400000_NS6detail17trampoline_kernelINS0_14default_configENS1_27scan_by_key_config_selectorIxxEEZZNS1_16scan_by_key_implILNS1_25lookback_scan_determinismE0ELb0ES3_N6thrust23THRUST_200600_302600_NS6detail15normal_iteratorINS9_10device_ptrIxEEEESE_SE_xNS9_4plusIvEENS9_8equal_toIxEExEE10hipError_tPvRmT2_T3_T4_T5_mT6_T7_P12ihipStream_tbENKUlT_T0_E_clISt17integral_constantIbLb0EESZ_EEDaSU_SV_EUlSU_E_NS1_11comp_targetILNS1_3genE10ELNS1_11target_archE1200ELNS1_3gpuE4ELNS1_3repE0EEENS1_30default_config_static_selectorELNS0_4arch9wavefront6targetE0EEEvT1_.private_seg_size, 0
	.set _ZN7rocprim17ROCPRIM_400000_NS6detail17trampoline_kernelINS0_14default_configENS1_27scan_by_key_config_selectorIxxEEZZNS1_16scan_by_key_implILNS1_25lookback_scan_determinismE0ELb0ES3_N6thrust23THRUST_200600_302600_NS6detail15normal_iteratorINS9_10device_ptrIxEEEESE_SE_xNS9_4plusIvEENS9_8equal_toIxEExEE10hipError_tPvRmT2_T3_T4_T5_mT6_T7_P12ihipStream_tbENKUlT_T0_E_clISt17integral_constantIbLb0EESZ_EEDaSU_SV_EUlSU_E_NS1_11comp_targetILNS1_3genE10ELNS1_11target_archE1200ELNS1_3gpuE4ELNS1_3repE0EEENS1_30default_config_static_selectorELNS0_4arch9wavefront6targetE0EEEvT1_.uses_vcc, 0
	.set _ZN7rocprim17ROCPRIM_400000_NS6detail17trampoline_kernelINS0_14default_configENS1_27scan_by_key_config_selectorIxxEEZZNS1_16scan_by_key_implILNS1_25lookback_scan_determinismE0ELb0ES3_N6thrust23THRUST_200600_302600_NS6detail15normal_iteratorINS9_10device_ptrIxEEEESE_SE_xNS9_4plusIvEENS9_8equal_toIxEExEE10hipError_tPvRmT2_T3_T4_T5_mT6_T7_P12ihipStream_tbENKUlT_T0_E_clISt17integral_constantIbLb0EESZ_EEDaSU_SV_EUlSU_E_NS1_11comp_targetILNS1_3genE10ELNS1_11target_archE1200ELNS1_3gpuE4ELNS1_3repE0EEENS1_30default_config_static_selectorELNS0_4arch9wavefront6targetE0EEEvT1_.uses_flat_scratch, 0
	.set _ZN7rocprim17ROCPRIM_400000_NS6detail17trampoline_kernelINS0_14default_configENS1_27scan_by_key_config_selectorIxxEEZZNS1_16scan_by_key_implILNS1_25lookback_scan_determinismE0ELb0ES3_N6thrust23THRUST_200600_302600_NS6detail15normal_iteratorINS9_10device_ptrIxEEEESE_SE_xNS9_4plusIvEENS9_8equal_toIxEExEE10hipError_tPvRmT2_T3_T4_T5_mT6_T7_P12ihipStream_tbENKUlT_T0_E_clISt17integral_constantIbLb0EESZ_EEDaSU_SV_EUlSU_E_NS1_11comp_targetILNS1_3genE10ELNS1_11target_archE1200ELNS1_3gpuE4ELNS1_3repE0EEENS1_30default_config_static_selectorELNS0_4arch9wavefront6targetE0EEEvT1_.has_dyn_sized_stack, 0
	.set _ZN7rocprim17ROCPRIM_400000_NS6detail17trampoline_kernelINS0_14default_configENS1_27scan_by_key_config_selectorIxxEEZZNS1_16scan_by_key_implILNS1_25lookback_scan_determinismE0ELb0ES3_N6thrust23THRUST_200600_302600_NS6detail15normal_iteratorINS9_10device_ptrIxEEEESE_SE_xNS9_4plusIvEENS9_8equal_toIxEExEE10hipError_tPvRmT2_T3_T4_T5_mT6_T7_P12ihipStream_tbENKUlT_T0_E_clISt17integral_constantIbLb0EESZ_EEDaSU_SV_EUlSU_E_NS1_11comp_targetILNS1_3genE10ELNS1_11target_archE1200ELNS1_3gpuE4ELNS1_3repE0EEENS1_30default_config_static_selectorELNS0_4arch9wavefront6targetE0EEEvT1_.has_recursion, 0
	.set _ZN7rocprim17ROCPRIM_400000_NS6detail17trampoline_kernelINS0_14default_configENS1_27scan_by_key_config_selectorIxxEEZZNS1_16scan_by_key_implILNS1_25lookback_scan_determinismE0ELb0ES3_N6thrust23THRUST_200600_302600_NS6detail15normal_iteratorINS9_10device_ptrIxEEEESE_SE_xNS9_4plusIvEENS9_8equal_toIxEExEE10hipError_tPvRmT2_T3_T4_T5_mT6_T7_P12ihipStream_tbENKUlT_T0_E_clISt17integral_constantIbLb0EESZ_EEDaSU_SV_EUlSU_E_NS1_11comp_targetILNS1_3genE10ELNS1_11target_archE1200ELNS1_3gpuE4ELNS1_3repE0EEENS1_30default_config_static_selectorELNS0_4arch9wavefront6targetE0EEEvT1_.has_indirect_call, 0
	.section	.AMDGPU.csdata,"",@progbits
; Kernel info:
; codeLenInByte = 0
; TotalNumSgprs: 0
; NumVgprs: 0
; ScratchSize: 0
; MemoryBound: 0
; FloatMode: 240
; IeeeMode: 1
; LDSByteSize: 0 bytes/workgroup (compile time only)
; SGPRBlocks: 0
; VGPRBlocks: 0
; NumSGPRsForWavesPerEU: 1
; NumVGPRsForWavesPerEU: 1
; NamedBarCnt: 0
; Occupancy: 16
; WaveLimiterHint : 0
; COMPUTE_PGM_RSRC2:SCRATCH_EN: 0
; COMPUTE_PGM_RSRC2:USER_SGPR: 2
; COMPUTE_PGM_RSRC2:TRAP_HANDLER: 0
; COMPUTE_PGM_RSRC2:TGID_X_EN: 1
; COMPUTE_PGM_RSRC2:TGID_Y_EN: 0
; COMPUTE_PGM_RSRC2:TGID_Z_EN: 0
; COMPUTE_PGM_RSRC2:TIDIG_COMP_CNT: 0
	.section	.text._ZN7rocprim17ROCPRIM_400000_NS6detail17trampoline_kernelINS0_14default_configENS1_27scan_by_key_config_selectorIxxEEZZNS1_16scan_by_key_implILNS1_25lookback_scan_determinismE0ELb0ES3_N6thrust23THRUST_200600_302600_NS6detail15normal_iteratorINS9_10device_ptrIxEEEESE_SE_xNS9_4plusIvEENS9_8equal_toIxEExEE10hipError_tPvRmT2_T3_T4_T5_mT6_T7_P12ihipStream_tbENKUlT_T0_E_clISt17integral_constantIbLb0EESZ_EEDaSU_SV_EUlSU_E_NS1_11comp_targetILNS1_3genE9ELNS1_11target_archE1100ELNS1_3gpuE3ELNS1_3repE0EEENS1_30default_config_static_selectorELNS0_4arch9wavefront6targetE0EEEvT1_,"axG",@progbits,_ZN7rocprim17ROCPRIM_400000_NS6detail17trampoline_kernelINS0_14default_configENS1_27scan_by_key_config_selectorIxxEEZZNS1_16scan_by_key_implILNS1_25lookback_scan_determinismE0ELb0ES3_N6thrust23THRUST_200600_302600_NS6detail15normal_iteratorINS9_10device_ptrIxEEEESE_SE_xNS9_4plusIvEENS9_8equal_toIxEExEE10hipError_tPvRmT2_T3_T4_T5_mT6_T7_P12ihipStream_tbENKUlT_T0_E_clISt17integral_constantIbLb0EESZ_EEDaSU_SV_EUlSU_E_NS1_11comp_targetILNS1_3genE9ELNS1_11target_archE1100ELNS1_3gpuE3ELNS1_3repE0EEENS1_30default_config_static_selectorELNS0_4arch9wavefront6targetE0EEEvT1_,comdat
	.protected	_ZN7rocprim17ROCPRIM_400000_NS6detail17trampoline_kernelINS0_14default_configENS1_27scan_by_key_config_selectorIxxEEZZNS1_16scan_by_key_implILNS1_25lookback_scan_determinismE0ELb0ES3_N6thrust23THRUST_200600_302600_NS6detail15normal_iteratorINS9_10device_ptrIxEEEESE_SE_xNS9_4plusIvEENS9_8equal_toIxEExEE10hipError_tPvRmT2_T3_T4_T5_mT6_T7_P12ihipStream_tbENKUlT_T0_E_clISt17integral_constantIbLb0EESZ_EEDaSU_SV_EUlSU_E_NS1_11comp_targetILNS1_3genE9ELNS1_11target_archE1100ELNS1_3gpuE3ELNS1_3repE0EEENS1_30default_config_static_selectorELNS0_4arch9wavefront6targetE0EEEvT1_ ; -- Begin function _ZN7rocprim17ROCPRIM_400000_NS6detail17trampoline_kernelINS0_14default_configENS1_27scan_by_key_config_selectorIxxEEZZNS1_16scan_by_key_implILNS1_25lookback_scan_determinismE0ELb0ES3_N6thrust23THRUST_200600_302600_NS6detail15normal_iteratorINS9_10device_ptrIxEEEESE_SE_xNS9_4plusIvEENS9_8equal_toIxEExEE10hipError_tPvRmT2_T3_T4_T5_mT6_T7_P12ihipStream_tbENKUlT_T0_E_clISt17integral_constantIbLb0EESZ_EEDaSU_SV_EUlSU_E_NS1_11comp_targetILNS1_3genE9ELNS1_11target_archE1100ELNS1_3gpuE3ELNS1_3repE0EEENS1_30default_config_static_selectorELNS0_4arch9wavefront6targetE0EEEvT1_
	.globl	_ZN7rocprim17ROCPRIM_400000_NS6detail17trampoline_kernelINS0_14default_configENS1_27scan_by_key_config_selectorIxxEEZZNS1_16scan_by_key_implILNS1_25lookback_scan_determinismE0ELb0ES3_N6thrust23THRUST_200600_302600_NS6detail15normal_iteratorINS9_10device_ptrIxEEEESE_SE_xNS9_4plusIvEENS9_8equal_toIxEExEE10hipError_tPvRmT2_T3_T4_T5_mT6_T7_P12ihipStream_tbENKUlT_T0_E_clISt17integral_constantIbLb0EESZ_EEDaSU_SV_EUlSU_E_NS1_11comp_targetILNS1_3genE9ELNS1_11target_archE1100ELNS1_3gpuE3ELNS1_3repE0EEENS1_30default_config_static_selectorELNS0_4arch9wavefront6targetE0EEEvT1_
	.p2align	8
	.type	_ZN7rocprim17ROCPRIM_400000_NS6detail17trampoline_kernelINS0_14default_configENS1_27scan_by_key_config_selectorIxxEEZZNS1_16scan_by_key_implILNS1_25lookback_scan_determinismE0ELb0ES3_N6thrust23THRUST_200600_302600_NS6detail15normal_iteratorINS9_10device_ptrIxEEEESE_SE_xNS9_4plusIvEENS9_8equal_toIxEExEE10hipError_tPvRmT2_T3_T4_T5_mT6_T7_P12ihipStream_tbENKUlT_T0_E_clISt17integral_constantIbLb0EESZ_EEDaSU_SV_EUlSU_E_NS1_11comp_targetILNS1_3genE9ELNS1_11target_archE1100ELNS1_3gpuE3ELNS1_3repE0EEENS1_30default_config_static_selectorELNS0_4arch9wavefront6targetE0EEEvT1_,@function
_ZN7rocprim17ROCPRIM_400000_NS6detail17trampoline_kernelINS0_14default_configENS1_27scan_by_key_config_selectorIxxEEZZNS1_16scan_by_key_implILNS1_25lookback_scan_determinismE0ELb0ES3_N6thrust23THRUST_200600_302600_NS6detail15normal_iteratorINS9_10device_ptrIxEEEESE_SE_xNS9_4plusIvEENS9_8equal_toIxEExEE10hipError_tPvRmT2_T3_T4_T5_mT6_T7_P12ihipStream_tbENKUlT_T0_E_clISt17integral_constantIbLb0EESZ_EEDaSU_SV_EUlSU_E_NS1_11comp_targetILNS1_3genE9ELNS1_11target_archE1100ELNS1_3gpuE3ELNS1_3repE0EEENS1_30default_config_static_selectorELNS0_4arch9wavefront6targetE0EEEvT1_: ; @_ZN7rocprim17ROCPRIM_400000_NS6detail17trampoline_kernelINS0_14default_configENS1_27scan_by_key_config_selectorIxxEEZZNS1_16scan_by_key_implILNS1_25lookback_scan_determinismE0ELb0ES3_N6thrust23THRUST_200600_302600_NS6detail15normal_iteratorINS9_10device_ptrIxEEEESE_SE_xNS9_4plusIvEENS9_8equal_toIxEExEE10hipError_tPvRmT2_T3_T4_T5_mT6_T7_P12ihipStream_tbENKUlT_T0_E_clISt17integral_constantIbLb0EESZ_EEDaSU_SV_EUlSU_E_NS1_11comp_targetILNS1_3genE9ELNS1_11target_archE1100ELNS1_3gpuE3ELNS1_3repE0EEENS1_30default_config_static_selectorELNS0_4arch9wavefront6targetE0EEEvT1_
; %bb.0:
	.section	.rodata,"a",@progbits
	.p2align	6, 0x0
	.amdhsa_kernel _ZN7rocprim17ROCPRIM_400000_NS6detail17trampoline_kernelINS0_14default_configENS1_27scan_by_key_config_selectorIxxEEZZNS1_16scan_by_key_implILNS1_25lookback_scan_determinismE0ELb0ES3_N6thrust23THRUST_200600_302600_NS6detail15normal_iteratorINS9_10device_ptrIxEEEESE_SE_xNS9_4plusIvEENS9_8equal_toIxEExEE10hipError_tPvRmT2_T3_T4_T5_mT6_T7_P12ihipStream_tbENKUlT_T0_E_clISt17integral_constantIbLb0EESZ_EEDaSU_SV_EUlSU_E_NS1_11comp_targetILNS1_3genE9ELNS1_11target_archE1100ELNS1_3gpuE3ELNS1_3repE0EEENS1_30default_config_static_selectorELNS0_4arch9wavefront6targetE0EEEvT1_
		.amdhsa_group_segment_fixed_size 0
		.amdhsa_private_segment_fixed_size 0
		.amdhsa_kernarg_size 136
		.amdhsa_user_sgpr_count 2
		.amdhsa_user_sgpr_dispatch_ptr 0
		.amdhsa_user_sgpr_queue_ptr 0
		.amdhsa_user_sgpr_kernarg_segment_ptr 1
		.amdhsa_user_sgpr_dispatch_id 0
		.amdhsa_user_sgpr_kernarg_preload_length 0
		.amdhsa_user_sgpr_kernarg_preload_offset 0
		.amdhsa_user_sgpr_private_segment_size 0
		.amdhsa_wavefront_size32 1
		.amdhsa_uses_dynamic_stack 0
		.amdhsa_enable_private_segment 0
		.amdhsa_system_sgpr_workgroup_id_x 1
		.amdhsa_system_sgpr_workgroup_id_y 0
		.amdhsa_system_sgpr_workgroup_id_z 0
		.amdhsa_system_sgpr_workgroup_info 0
		.amdhsa_system_vgpr_workitem_id 0
		.amdhsa_next_free_vgpr 1
		.amdhsa_next_free_sgpr 1
		.amdhsa_named_barrier_count 0
		.amdhsa_reserve_vcc 0
		.amdhsa_float_round_mode_32 0
		.amdhsa_float_round_mode_16_64 0
		.amdhsa_float_denorm_mode_32 3
		.amdhsa_float_denorm_mode_16_64 3
		.amdhsa_fp16_overflow 0
		.amdhsa_memory_ordered 1
		.amdhsa_forward_progress 1
		.amdhsa_inst_pref_size 0
		.amdhsa_round_robin_scheduling 0
		.amdhsa_exception_fp_ieee_invalid_op 0
		.amdhsa_exception_fp_denorm_src 0
		.amdhsa_exception_fp_ieee_div_zero 0
		.amdhsa_exception_fp_ieee_overflow 0
		.amdhsa_exception_fp_ieee_underflow 0
		.amdhsa_exception_fp_ieee_inexact 0
		.amdhsa_exception_int_div_zero 0
	.end_amdhsa_kernel
	.section	.text._ZN7rocprim17ROCPRIM_400000_NS6detail17trampoline_kernelINS0_14default_configENS1_27scan_by_key_config_selectorIxxEEZZNS1_16scan_by_key_implILNS1_25lookback_scan_determinismE0ELb0ES3_N6thrust23THRUST_200600_302600_NS6detail15normal_iteratorINS9_10device_ptrIxEEEESE_SE_xNS9_4plusIvEENS9_8equal_toIxEExEE10hipError_tPvRmT2_T3_T4_T5_mT6_T7_P12ihipStream_tbENKUlT_T0_E_clISt17integral_constantIbLb0EESZ_EEDaSU_SV_EUlSU_E_NS1_11comp_targetILNS1_3genE9ELNS1_11target_archE1100ELNS1_3gpuE3ELNS1_3repE0EEENS1_30default_config_static_selectorELNS0_4arch9wavefront6targetE0EEEvT1_,"axG",@progbits,_ZN7rocprim17ROCPRIM_400000_NS6detail17trampoline_kernelINS0_14default_configENS1_27scan_by_key_config_selectorIxxEEZZNS1_16scan_by_key_implILNS1_25lookback_scan_determinismE0ELb0ES3_N6thrust23THRUST_200600_302600_NS6detail15normal_iteratorINS9_10device_ptrIxEEEESE_SE_xNS9_4plusIvEENS9_8equal_toIxEExEE10hipError_tPvRmT2_T3_T4_T5_mT6_T7_P12ihipStream_tbENKUlT_T0_E_clISt17integral_constantIbLb0EESZ_EEDaSU_SV_EUlSU_E_NS1_11comp_targetILNS1_3genE9ELNS1_11target_archE1100ELNS1_3gpuE3ELNS1_3repE0EEENS1_30default_config_static_selectorELNS0_4arch9wavefront6targetE0EEEvT1_,comdat
.Lfunc_end90:
	.size	_ZN7rocprim17ROCPRIM_400000_NS6detail17trampoline_kernelINS0_14default_configENS1_27scan_by_key_config_selectorIxxEEZZNS1_16scan_by_key_implILNS1_25lookback_scan_determinismE0ELb0ES3_N6thrust23THRUST_200600_302600_NS6detail15normal_iteratorINS9_10device_ptrIxEEEESE_SE_xNS9_4plusIvEENS9_8equal_toIxEExEE10hipError_tPvRmT2_T3_T4_T5_mT6_T7_P12ihipStream_tbENKUlT_T0_E_clISt17integral_constantIbLb0EESZ_EEDaSU_SV_EUlSU_E_NS1_11comp_targetILNS1_3genE9ELNS1_11target_archE1100ELNS1_3gpuE3ELNS1_3repE0EEENS1_30default_config_static_selectorELNS0_4arch9wavefront6targetE0EEEvT1_, .Lfunc_end90-_ZN7rocprim17ROCPRIM_400000_NS6detail17trampoline_kernelINS0_14default_configENS1_27scan_by_key_config_selectorIxxEEZZNS1_16scan_by_key_implILNS1_25lookback_scan_determinismE0ELb0ES3_N6thrust23THRUST_200600_302600_NS6detail15normal_iteratorINS9_10device_ptrIxEEEESE_SE_xNS9_4plusIvEENS9_8equal_toIxEExEE10hipError_tPvRmT2_T3_T4_T5_mT6_T7_P12ihipStream_tbENKUlT_T0_E_clISt17integral_constantIbLb0EESZ_EEDaSU_SV_EUlSU_E_NS1_11comp_targetILNS1_3genE9ELNS1_11target_archE1100ELNS1_3gpuE3ELNS1_3repE0EEENS1_30default_config_static_selectorELNS0_4arch9wavefront6targetE0EEEvT1_
                                        ; -- End function
	.set _ZN7rocprim17ROCPRIM_400000_NS6detail17trampoline_kernelINS0_14default_configENS1_27scan_by_key_config_selectorIxxEEZZNS1_16scan_by_key_implILNS1_25lookback_scan_determinismE0ELb0ES3_N6thrust23THRUST_200600_302600_NS6detail15normal_iteratorINS9_10device_ptrIxEEEESE_SE_xNS9_4plusIvEENS9_8equal_toIxEExEE10hipError_tPvRmT2_T3_T4_T5_mT6_T7_P12ihipStream_tbENKUlT_T0_E_clISt17integral_constantIbLb0EESZ_EEDaSU_SV_EUlSU_E_NS1_11comp_targetILNS1_3genE9ELNS1_11target_archE1100ELNS1_3gpuE3ELNS1_3repE0EEENS1_30default_config_static_selectorELNS0_4arch9wavefront6targetE0EEEvT1_.num_vgpr, 0
	.set _ZN7rocprim17ROCPRIM_400000_NS6detail17trampoline_kernelINS0_14default_configENS1_27scan_by_key_config_selectorIxxEEZZNS1_16scan_by_key_implILNS1_25lookback_scan_determinismE0ELb0ES3_N6thrust23THRUST_200600_302600_NS6detail15normal_iteratorINS9_10device_ptrIxEEEESE_SE_xNS9_4plusIvEENS9_8equal_toIxEExEE10hipError_tPvRmT2_T3_T4_T5_mT6_T7_P12ihipStream_tbENKUlT_T0_E_clISt17integral_constantIbLb0EESZ_EEDaSU_SV_EUlSU_E_NS1_11comp_targetILNS1_3genE9ELNS1_11target_archE1100ELNS1_3gpuE3ELNS1_3repE0EEENS1_30default_config_static_selectorELNS0_4arch9wavefront6targetE0EEEvT1_.num_agpr, 0
	.set _ZN7rocprim17ROCPRIM_400000_NS6detail17trampoline_kernelINS0_14default_configENS1_27scan_by_key_config_selectorIxxEEZZNS1_16scan_by_key_implILNS1_25lookback_scan_determinismE0ELb0ES3_N6thrust23THRUST_200600_302600_NS6detail15normal_iteratorINS9_10device_ptrIxEEEESE_SE_xNS9_4plusIvEENS9_8equal_toIxEExEE10hipError_tPvRmT2_T3_T4_T5_mT6_T7_P12ihipStream_tbENKUlT_T0_E_clISt17integral_constantIbLb0EESZ_EEDaSU_SV_EUlSU_E_NS1_11comp_targetILNS1_3genE9ELNS1_11target_archE1100ELNS1_3gpuE3ELNS1_3repE0EEENS1_30default_config_static_selectorELNS0_4arch9wavefront6targetE0EEEvT1_.numbered_sgpr, 0
	.set _ZN7rocprim17ROCPRIM_400000_NS6detail17trampoline_kernelINS0_14default_configENS1_27scan_by_key_config_selectorIxxEEZZNS1_16scan_by_key_implILNS1_25lookback_scan_determinismE0ELb0ES3_N6thrust23THRUST_200600_302600_NS6detail15normal_iteratorINS9_10device_ptrIxEEEESE_SE_xNS9_4plusIvEENS9_8equal_toIxEExEE10hipError_tPvRmT2_T3_T4_T5_mT6_T7_P12ihipStream_tbENKUlT_T0_E_clISt17integral_constantIbLb0EESZ_EEDaSU_SV_EUlSU_E_NS1_11comp_targetILNS1_3genE9ELNS1_11target_archE1100ELNS1_3gpuE3ELNS1_3repE0EEENS1_30default_config_static_selectorELNS0_4arch9wavefront6targetE0EEEvT1_.num_named_barrier, 0
	.set _ZN7rocprim17ROCPRIM_400000_NS6detail17trampoline_kernelINS0_14default_configENS1_27scan_by_key_config_selectorIxxEEZZNS1_16scan_by_key_implILNS1_25lookback_scan_determinismE0ELb0ES3_N6thrust23THRUST_200600_302600_NS6detail15normal_iteratorINS9_10device_ptrIxEEEESE_SE_xNS9_4plusIvEENS9_8equal_toIxEExEE10hipError_tPvRmT2_T3_T4_T5_mT6_T7_P12ihipStream_tbENKUlT_T0_E_clISt17integral_constantIbLb0EESZ_EEDaSU_SV_EUlSU_E_NS1_11comp_targetILNS1_3genE9ELNS1_11target_archE1100ELNS1_3gpuE3ELNS1_3repE0EEENS1_30default_config_static_selectorELNS0_4arch9wavefront6targetE0EEEvT1_.private_seg_size, 0
	.set _ZN7rocprim17ROCPRIM_400000_NS6detail17trampoline_kernelINS0_14default_configENS1_27scan_by_key_config_selectorIxxEEZZNS1_16scan_by_key_implILNS1_25lookback_scan_determinismE0ELb0ES3_N6thrust23THRUST_200600_302600_NS6detail15normal_iteratorINS9_10device_ptrIxEEEESE_SE_xNS9_4plusIvEENS9_8equal_toIxEExEE10hipError_tPvRmT2_T3_T4_T5_mT6_T7_P12ihipStream_tbENKUlT_T0_E_clISt17integral_constantIbLb0EESZ_EEDaSU_SV_EUlSU_E_NS1_11comp_targetILNS1_3genE9ELNS1_11target_archE1100ELNS1_3gpuE3ELNS1_3repE0EEENS1_30default_config_static_selectorELNS0_4arch9wavefront6targetE0EEEvT1_.uses_vcc, 0
	.set _ZN7rocprim17ROCPRIM_400000_NS6detail17trampoline_kernelINS0_14default_configENS1_27scan_by_key_config_selectorIxxEEZZNS1_16scan_by_key_implILNS1_25lookback_scan_determinismE0ELb0ES3_N6thrust23THRUST_200600_302600_NS6detail15normal_iteratorINS9_10device_ptrIxEEEESE_SE_xNS9_4plusIvEENS9_8equal_toIxEExEE10hipError_tPvRmT2_T3_T4_T5_mT6_T7_P12ihipStream_tbENKUlT_T0_E_clISt17integral_constantIbLb0EESZ_EEDaSU_SV_EUlSU_E_NS1_11comp_targetILNS1_3genE9ELNS1_11target_archE1100ELNS1_3gpuE3ELNS1_3repE0EEENS1_30default_config_static_selectorELNS0_4arch9wavefront6targetE0EEEvT1_.uses_flat_scratch, 0
	.set _ZN7rocprim17ROCPRIM_400000_NS6detail17trampoline_kernelINS0_14default_configENS1_27scan_by_key_config_selectorIxxEEZZNS1_16scan_by_key_implILNS1_25lookback_scan_determinismE0ELb0ES3_N6thrust23THRUST_200600_302600_NS6detail15normal_iteratorINS9_10device_ptrIxEEEESE_SE_xNS9_4plusIvEENS9_8equal_toIxEExEE10hipError_tPvRmT2_T3_T4_T5_mT6_T7_P12ihipStream_tbENKUlT_T0_E_clISt17integral_constantIbLb0EESZ_EEDaSU_SV_EUlSU_E_NS1_11comp_targetILNS1_3genE9ELNS1_11target_archE1100ELNS1_3gpuE3ELNS1_3repE0EEENS1_30default_config_static_selectorELNS0_4arch9wavefront6targetE0EEEvT1_.has_dyn_sized_stack, 0
	.set _ZN7rocprim17ROCPRIM_400000_NS6detail17trampoline_kernelINS0_14default_configENS1_27scan_by_key_config_selectorIxxEEZZNS1_16scan_by_key_implILNS1_25lookback_scan_determinismE0ELb0ES3_N6thrust23THRUST_200600_302600_NS6detail15normal_iteratorINS9_10device_ptrIxEEEESE_SE_xNS9_4plusIvEENS9_8equal_toIxEExEE10hipError_tPvRmT2_T3_T4_T5_mT6_T7_P12ihipStream_tbENKUlT_T0_E_clISt17integral_constantIbLb0EESZ_EEDaSU_SV_EUlSU_E_NS1_11comp_targetILNS1_3genE9ELNS1_11target_archE1100ELNS1_3gpuE3ELNS1_3repE0EEENS1_30default_config_static_selectorELNS0_4arch9wavefront6targetE0EEEvT1_.has_recursion, 0
	.set _ZN7rocprim17ROCPRIM_400000_NS6detail17trampoline_kernelINS0_14default_configENS1_27scan_by_key_config_selectorIxxEEZZNS1_16scan_by_key_implILNS1_25lookback_scan_determinismE0ELb0ES3_N6thrust23THRUST_200600_302600_NS6detail15normal_iteratorINS9_10device_ptrIxEEEESE_SE_xNS9_4plusIvEENS9_8equal_toIxEExEE10hipError_tPvRmT2_T3_T4_T5_mT6_T7_P12ihipStream_tbENKUlT_T0_E_clISt17integral_constantIbLb0EESZ_EEDaSU_SV_EUlSU_E_NS1_11comp_targetILNS1_3genE9ELNS1_11target_archE1100ELNS1_3gpuE3ELNS1_3repE0EEENS1_30default_config_static_selectorELNS0_4arch9wavefront6targetE0EEEvT1_.has_indirect_call, 0
	.section	.AMDGPU.csdata,"",@progbits
; Kernel info:
; codeLenInByte = 0
; TotalNumSgprs: 0
; NumVgprs: 0
; ScratchSize: 0
; MemoryBound: 0
; FloatMode: 240
; IeeeMode: 1
; LDSByteSize: 0 bytes/workgroup (compile time only)
; SGPRBlocks: 0
; VGPRBlocks: 0
; NumSGPRsForWavesPerEU: 1
; NumVGPRsForWavesPerEU: 1
; NamedBarCnt: 0
; Occupancy: 16
; WaveLimiterHint : 0
; COMPUTE_PGM_RSRC2:SCRATCH_EN: 0
; COMPUTE_PGM_RSRC2:USER_SGPR: 2
; COMPUTE_PGM_RSRC2:TRAP_HANDLER: 0
; COMPUTE_PGM_RSRC2:TGID_X_EN: 1
; COMPUTE_PGM_RSRC2:TGID_Y_EN: 0
; COMPUTE_PGM_RSRC2:TGID_Z_EN: 0
; COMPUTE_PGM_RSRC2:TIDIG_COMP_CNT: 0
	.section	.text._ZN7rocprim17ROCPRIM_400000_NS6detail17trampoline_kernelINS0_14default_configENS1_27scan_by_key_config_selectorIxxEEZZNS1_16scan_by_key_implILNS1_25lookback_scan_determinismE0ELb0ES3_N6thrust23THRUST_200600_302600_NS6detail15normal_iteratorINS9_10device_ptrIxEEEESE_SE_xNS9_4plusIvEENS9_8equal_toIxEExEE10hipError_tPvRmT2_T3_T4_T5_mT6_T7_P12ihipStream_tbENKUlT_T0_E_clISt17integral_constantIbLb0EESZ_EEDaSU_SV_EUlSU_E_NS1_11comp_targetILNS1_3genE8ELNS1_11target_archE1030ELNS1_3gpuE2ELNS1_3repE0EEENS1_30default_config_static_selectorELNS0_4arch9wavefront6targetE0EEEvT1_,"axG",@progbits,_ZN7rocprim17ROCPRIM_400000_NS6detail17trampoline_kernelINS0_14default_configENS1_27scan_by_key_config_selectorIxxEEZZNS1_16scan_by_key_implILNS1_25lookback_scan_determinismE0ELb0ES3_N6thrust23THRUST_200600_302600_NS6detail15normal_iteratorINS9_10device_ptrIxEEEESE_SE_xNS9_4plusIvEENS9_8equal_toIxEExEE10hipError_tPvRmT2_T3_T4_T5_mT6_T7_P12ihipStream_tbENKUlT_T0_E_clISt17integral_constantIbLb0EESZ_EEDaSU_SV_EUlSU_E_NS1_11comp_targetILNS1_3genE8ELNS1_11target_archE1030ELNS1_3gpuE2ELNS1_3repE0EEENS1_30default_config_static_selectorELNS0_4arch9wavefront6targetE0EEEvT1_,comdat
	.protected	_ZN7rocprim17ROCPRIM_400000_NS6detail17trampoline_kernelINS0_14default_configENS1_27scan_by_key_config_selectorIxxEEZZNS1_16scan_by_key_implILNS1_25lookback_scan_determinismE0ELb0ES3_N6thrust23THRUST_200600_302600_NS6detail15normal_iteratorINS9_10device_ptrIxEEEESE_SE_xNS9_4plusIvEENS9_8equal_toIxEExEE10hipError_tPvRmT2_T3_T4_T5_mT6_T7_P12ihipStream_tbENKUlT_T0_E_clISt17integral_constantIbLb0EESZ_EEDaSU_SV_EUlSU_E_NS1_11comp_targetILNS1_3genE8ELNS1_11target_archE1030ELNS1_3gpuE2ELNS1_3repE0EEENS1_30default_config_static_selectorELNS0_4arch9wavefront6targetE0EEEvT1_ ; -- Begin function _ZN7rocprim17ROCPRIM_400000_NS6detail17trampoline_kernelINS0_14default_configENS1_27scan_by_key_config_selectorIxxEEZZNS1_16scan_by_key_implILNS1_25lookback_scan_determinismE0ELb0ES3_N6thrust23THRUST_200600_302600_NS6detail15normal_iteratorINS9_10device_ptrIxEEEESE_SE_xNS9_4plusIvEENS9_8equal_toIxEExEE10hipError_tPvRmT2_T3_T4_T5_mT6_T7_P12ihipStream_tbENKUlT_T0_E_clISt17integral_constantIbLb0EESZ_EEDaSU_SV_EUlSU_E_NS1_11comp_targetILNS1_3genE8ELNS1_11target_archE1030ELNS1_3gpuE2ELNS1_3repE0EEENS1_30default_config_static_selectorELNS0_4arch9wavefront6targetE0EEEvT1_
	.globl	_ZN7rocprim17ROCPRIM_400000_NS6detail17trampoline_kernelINS0_14default_configENS1_27scan_by_key_config_selectorIxxEEZZNS1_16scan_by_key_implILNS1_25lookback_scan_determinismE0ELb0ES3_N6thrust23THRUST_200600_302600_NS6detail15normal_iteratorINS9_10device_ptrIxEEEESE_SE_xNS9_4plusIvEENS9_8equal_toIxEExEE10hipError_tPvRmT2_T3_T4_T5_mT6_T7_P12ihipStream_tbENKUlT_T0_E_clISt17integral_constantIbLb0EESZ_EEDaSU_SV_EUlSU_E_NS1_11comp_targetILNS1_3genE8ELNS1_11target_archE1030ELNS1_3gpuE2ELNS1_3repE0EEENS1_30default_config_static_selectorELNS0_4arch9wavefront6targetE0EEEvT1_
	.p2align	8
	.type	_ZN7rocprim17ROCPRIM_400000_NS6detail17trampoline_kernelINS0_14default_configENS1_27scan_by_key_config_selectorIxxEEZZNS1_16scan_by_key_implILNS1_25lookback_scan_determinismE0ELb0ES3_N6thrust23THRUST_200600_302600_NS6detail15normal_iteratorINS9_10device_ptrIxEEEESE_SE_xNS9_4plusIvEENS9_8equal_toIxEExEE10hipError_tPvRmT2_T3_T4_T5_mT6_T7_P12ihipStream_tbENKUlT_T0_E_clISt17integral_constantIbLb0EESZ_EEDaSU_SV_EUlSU_E_NS1_11comp_targetILNS1_3genE8ELNS1_11target_archE1030ELNS1_3gpuE2ELNS1_3repE0EEENS1_30default_config_static_selectorELNS0_4arch9wavefront6targetE0EEEvT1_,@function
_ZN7rocprim17ROCPRIM_400000_NS6detail17trampoline_kernelINS0_14default_configENS1_27scan_by_key_config_selectorIxxEEZZNS1_16scan_by_key_implILNS1_25lookback_scan_determinismE0ELb0ES3_N6thrust23THRUST_200600_302600_NS6detail15normal_iteratorINS9_10device_ptrIxEEEESE_SE_xNS9_4plusIvEENS9_8equal_toIxEExEE10hipError_tPvRmT2_T3_T4_T5_mT6_T7_P12ihipStream_tbENKUlT_T0_E_clISt17integral_constantIbLb0EESZ_EEDaSU_SV_EUlSU_E_NS1_11comp_targetILNS1_3genE8ELNS1_11target_archE1030ELNS1_3gpuE2ELNS1_3repE0EEENS1_30default_config_static_selectorELNS0_4arch9wavefront6targetE0EEEvT1_: ; @_ZN7rocprim17ROCPRIM_400000_NS6detail17trampoline_kernelINS0_14default_configENS1_27scan_by_key_config_selectorIxxEEZZNS1_16scan_by_key_implILNS1_25lookback_scan_determinismE0ELb0ES3_N6thrust23THRUST_200600_302600_NS6detail15normal_iteratorINS9_10device_ptrIxEEEESE_SE_xNS9_4plusIvEENS9_8equal_toIxEExEE10hipError_tPvRmT2_T3_T4_T5_mT6_T7_P12ihipStream_tbENKUlT_T0_E_clISt17integral_constantIbLb0EESZ_EEDaSU_SV_EUlSU_E_NS1_11comp_targetILNS1_3genE8ELNS1_11target_archE1030ELNS1_3gpuE2ELNS1_3repE0EEENS1_30default_config_static_selectorELNS0_4arch9wavefront6targetE0EEEvT1_
; %bb.0:
	.section	.rodata,"a",@progbits
	.p2align	6, 0x0
	.amdhsa_kernel _ZN7rocprim17ROCPRIM_400000_NS6detail17trampoline_kernelINS0_14default_configENS1_27scan_by_key_config_selectorIxxEEZZNS1_16scan_by_key_implILNS1_25lookback_scan_determinismE0ELb0ES3_N6thrust23THRUST_200600_302600_NS6detail15normal_iteratorINS9_10device_ptrIxEEEESE_SE_xNS9_4plusIvEENS9_8equal_toIxEExEE10hipError_tPvRmT2_T3_T4_T5_mT6_T7_P12ihipStream_tbENKUlT_T0_E_clISt17integral_constantIbLb0EESZ_EEDaSU_SV_EUlSU_E_NS1_11comp_targetILNS1_3genE8ELNS1_11target_archE1030ELNS1_3gpuE2ELNS1_3repE0EEENS1_30default_config_static_selectorELNS0_4arch9wavefront6targetE0EEEvT1_
		.amdhsa_group_segment_fixed_size 0
		.amdhsa_private_segment_fixed_size 0
		.amdhsa_kernarg_size 136
		.amdhsa_user_sgpr_count 2
		.amdhsa_user_sgpr_dispatch_ptr 0
		.amdhsa_user_sgpr_queue_ptr 0
		.amdhsa_user_sgpr_kernarg_segment_ptr 1
		.amdhsa_user_sgpr_dispatch_id 0
		.amdhsa_user_sgpr_kernarg_preload_length 0
		.amdhsa_user_sgpr_kernarg_preload_offset 0
		.amdhsa_user_sgpr_private_segment_size 0
		.amdhsa_wavefront_size32 1
		.amdhsa_uses_dynamic_stack 0
		.amdhsa_enable_private_segment 0
		.amdhsa_system_sgpr_workgroup_id_x 1
		.amdhsa_system_sgpr_workgroup_id_y 0
		.amdhsa_system_sgpr_workgroup_id_z 0
		.amdhsa_system_sgpr_workgroup_info 0
		.amdhsa_system_vgpr_workitem_id 0
		.amdhsa_next_free_vgpr 1
		.amdhsa_next_free_sgpr 1
		.amdhsa_named_barrier_count 0
		.amdhsa_reserve_vcc 0
		.amdhsa_float_round_mode_32 0
		.amdhsa_float_round_mode_16_64 0
		.amdhsa_float_denorm_mode_32 3
		.amdhsa_float_denorm_mode_16_64 3
		.amdhsa_fp16_overflow 0
		.amdhsa_memory_ordered 1
		.amdhsa_forward_progress 1
		.amdhsa_inst_pref_size 0
		.amdhsa_round_robin_scheduling 0
		.amdhsa_exception_fp_ieee_invalid_op 0
		.amdhsa_exception_fp_denorm_src 0
		.amdhsa_exception_fp_ieee_div_zero 0
		.amdhsa_exception_fp_ieee_overflow 0
		.amdhsa_exception_fp_ieee_underflow 0
		.amdhsa_exception_fp_ieee_inexact 0
		.amdhsa_exception_int_div_zero 0
	.end_amdhsa_kernel
	.section	.text._ZN7rocprim17ROCPRIM_400000_NS6detail17trampoline_kernelINS0_14default_configENS1_27scan_by_key_config_selectorIxxEEZZNS1_16scan_by_key_implILNS1_25lookback_scan_determinismE0ELb0ES3_N6thrust23THRUST_200600_302600_NS6detail15normal_iteratorINS9_10device_ptrIxEEEESE_SE_xNS9_4plusIvEENS9_8equal_toIxEExEE10hipError_tPvRmT2_T3_T4_T5_mT6_T7_P12ihipStream_tbENKUlT_T0_E_clISt17integral_constantIbLb0EESZ_EEDaSU_SV_EUlSU_E_NS1_11comp_targetILNS1_3genE8ELNS1_11target_archE1030ELNS1_3gpuE2ELNS1_3repE0EEENS1_30default_config_static_selectorELNS0_4arch9wavefront6targetE0EEEvT1_,"axG",@progbits,_ZN7rocprim17ROCPRIM_400000_NS6detail17trampoline_kernelINS0_14default_configENS1_27scan_by_key_config_selectorIxxEEZZNS1_16scan_by_key_implILNS1_25lookback_scan_determinismE0ELb0ES3_N6thrust23THRUST_200600_302600_NS6detail15normal_iteratorINS9_10device_ptrIxEEEESE_SE_xNS9_4plusIvEENS9_8equal_toIxEExEE10hipError_tPvRmT2_T3_T4_T5_mT6_T7_P12ihipStream_tbENKUlT_T0_E_clISt17integral_constantIbLb0EESZ_EEDaSU_SV_EUlSU_E_NS1_11comp_targetILNS1_3genE8ELNS1_11target_archE1030ELNS1_3gpuE2ELNS1_3repE0EEENS1_30default_config_static_selectorELNS0_4arch9wavefront6targetE0EEEvT1_,comdat
.Lfunc_end91:
	.size	_ZN7rocprim17ROCPRIM_400000_NS6detail17trampoline_kernelINS0_14default_configENS1_27scan_by_key_config_selectorIxxEEZZNS1_16scan_by_key_implILNS1_25lookback_scan_determinismE0ELb0ES3_N6thrust23THRUST_200600_302600_NS6detail15normal_iteratorINS9_10device_ptrIxEEEESE_SE_xNS9_4plusIvEENS9_8equal_toIxEExEE10hipError_tPvRmT2_T3_T4_T5_mT6_T7_P12ihipStream_tbENKUlT_T0_E_clISt17integral_constantIbLb0EESZ_EEDaSU_SV_EUlSU_E_NS1_11comp_targetILNS1_3genE8ELNS1_11target_archE1030ELNS1_3gpuE2ELNS1_3repE0EEENS1_30default_config_static_selectorELNS0_4arch9wavefront6targetE0EEEvT1_, .Lfunc_end91-_ZN7rocprim17ROCPRIM_400000_NS6detail17trampoline_kernelINS0_14default_configENS1_27scan_by_key_config_selectorIxxEEZZNS1_16scan_by_key_implILNS1_25lookback_scan_determinismE0ELb0ES3_N6thrust23THRUST_200600_302600_NS6detail15normal_iteratorINS9_10device_ptrIxEEEESE_SE_xNS9_4plusIvEENS9_8equal_toIxEExEE10hipError_tPvRmT2_T3_T4_T5_mT6_T7_P12ihipStream_tbENKUlT_T0_E_clISt17integral_constantIbLb0EESZ_EEDaSU_SV_EUlSU_E_NS1_11comp_targetILNS1_3genE8ELNS1_11target_archE1030ELNS1_3gpuE2ELNS1_3repE0EEENS1_30default_config_static_selectorELNS0_4arch9wavefront6targetE0EEEvT1_
                                        ; -- End function
	.set _ZN7rocprim17ROCPRIM_400000_NS6detail17trampoline_kernelINS0_14default_configENS1_27scan_by_key_config_selectorIxxEEZZNS1_16scan_by_key_implILNS1_25lookback_scan_determinismE0ELb0ES3_N6thrust23THRUST_200600_302600_NS6detail15normal_iteratorINS9_10device_ptrIxEEEESE_SE_xNS9_4plusIvEENS9_8equal_toIxEExEE10hipError_tPvRmT2_T3_T4_T5_mT6_T7_P12ihipStream_tbENKUlT_T0_E_clISt17integral_constantIbLb0EESZ_EEDaSU_SV_EUlSU_E_NS1_11comp_targetILNS1_3genE8ELNS1_11target_archE1030ELNS1_3gpuE2ELNS1_3repE0EEENS1_30default_config_static_selectorELNS0_4arch9wavefront6targetE0EEEvT1_.num_vgpr, 0
	.set _ZN7rocprim17ROCPRIM_400000_NS6detail17trampoline_kernelINS0_14default_configENS1_27scan_by_key_config_selectorIxxEEZZNS1_16scan_by_key_implILNS1_25lookback_scan_determinismE0ELb0ES3_N6thrust23THRUST_200600_302600_NS6detail15normal_iteratorINS9_10device_ptrIxEEEESE_SE_xNS9_4plusIvEENS9_8equal_toIxEExEE10hipError_tPvRmT2_T3_T4_T5_mT6_T7_P12ihipStream_tbENKUlT_T0_E_clISt17integral_constantIbLb0EESZ_EEDaSU_SV_EUlSU_E_NS1_11comp_targetILNS1_3genE8ELNS1_11target_archE1030ELNS1_3gpuE2ELNS1_3repE0EEENS1_30default_config_static_selectorELNS0_4arch9wavefront6targetE0EEEvT1_.num_agpr, 0
	.set _ZN7rocprim17ROCPRIM_400000_NS6detail17trampoline_kernelINS0_14default_configENS1_27scan_by_key_config_selectorIxxEEZZNS1_16scan_by_key_implILNS1_25lookback_scan_determinismE0ELb0ES3_N6thrust23THRUST_200600_302600_NS6detail15normal_iteratorINS9_10device_ptrIxEEEESE_SE_xNS9_4plusIvEENS9_8equal_toIxEExEE10hipError_tPvRmT2_T3_T4_T5_mT6_T7_P12ihipStream_tbENKUlT_T0_E_clISt17integral_constantIbLb0EESZ_EEDaSU_SV_EUlSU_E_NS1_11comp_targetILNS1_3genE8ELNS1_11target_archE1030ELNS1_3gpuE2ELNS1_3repE0EEENS1_30default_config_static_selectorELNS0_4arch9wavefront6targetE0EEEvT1_.numbered_sgpr, 0
	.set _ZN7rocprim17ROCPRIM_400000_NS6detail17trampoline_kernelINS0_14default_configENS1_27scan_by_key_config_selectorIxxEEZZNS1_16scan_by_key_implILNS1_25lookback_scan_determinismE0ELb0ES3_N6thrust23THRUST_200600_302600_NS6detail15normal_iteratorINS9_10device_ptrIxEEEESE_SE_xNS9_4plusIvEENS9_8equal_toIxEExEE10hipError_tPvRmT2_T3_T4_T5_mT6_T7_P12ihipStream_tbENKUlT_T0_E_clISt17integral_constantIbLb0EESZ_EEDaSU_SV_EUlSU_E_NS1_11comp_targetILNS1_3genE8ELNS1_11target_archE1030ELNS1_3gpuE2ELNS1_3repE0EEENS1_30default_config_static_selectorELNS0_4arch9wavefront6targetE0EEEvT1_.num_named_barrier, 0
	.set _ZN7rocprim17ROCPRIM_400000_NS6detail17trampoline_kernelINS0_14default_configENS1_27scan_by_key_config_selectorIxxEEZZNS1_16scan_by_key_implILNS1_25lookback_scan_determinismE0ELb0ES3_N6thrust23THRUST_200600_302600_NS6detail15normal_iteratorINS9_10device_ptrIxEEEESE_SE_xNS9_4plusIvEENS9_8equal_toIxEExEE10hipError_tPvRmT2_T3_T4_T5_mT6_T7_P12ihipStream_tbENKUlT_T0_E_clISt17integral_constantIbLb0EESZ_EEDaSU_SV_EUlSU_E_NS1_11comp_targetILNS1_3genE8ELNS1_11target_archE1030ELNS1_3gpuE2ELNS1_3repE0EEENS1_30default_config_static_selectorELNS0_4arch9wavefront6targetE0EEEvT1_.private_seg_size, 0
	.set _ZN7rocprim17ROCPRIM_400000_NS6detail17trampoline_kernelINS0_14default_configENS1_27scan_by_key_config_selectorIxxEEZZNS1_16scan_by_key_implILNS1_25lookback_scan_determinismE0ELb0ES3_N6thrust23THRUST_200600_302600_NS6detail15normal_iteratorINS9_10device_ptrIxEEEESE_SE_xNS9_4plusIvEENS9_8equal_toIxEExEE10hipError_tPvRmT2_T3_T4_T5_mT6_T7_P12ihipStream_tbENKUlT_T0_E_clISt17integral_constantIbLb0EESZ_EEDaSU_SV_EUlSU_E_NS1_11comp_targetILNS1_3genE8ELNS1_11target_archE1030ELNS1_3gpuE2ELNS1_3repE0EEENS1_30default_config_static_selectorELNS0_4arch9wavefront6targetE0EEEvT1_.uses_vcc, 0
	.set _ZN7rocprim17ROCPRIM_400000_NS6detail17trampoline_kernelINS0_14default_configENS1_27scan_by_key_config_selectorIxxEEZZNS1_16scan_by_key_implILNS1_25lookback_scan_determinismE0ELb0ES3_N6thrust23THRUST_200600_302600_NS6detail15normal_iteratorINS9_10device_ptrIxEEEESE_SE_xNS9_4plusIvEENS9_8equal_toIxEExEE10hipError_tPvRmT2_T3_T4_T5_mT6_T7_P12ihipStream_tbENKUlT_T0_E_clISt17integral_constantIbLb0EESZ_EEDaSU_SV_EUlSU_E_NS1_11comp_targetILNS1_3genE8ELNS1_11target_archE1030ELNS1_3gpuE2ELNS1_3repE0EEENS1_30default_config_static_selectorELNS0_4arch9wavefront6targetE0EEEvT1_.uses_flat_scratch, 0
	.set _ZN7rocprim17ROCPRIM_400000_NS6detail17trampoline_kernelINS0_14default_configENS1_27scan_by_key_config_selectorIxxEEZZNS1_16scan_by_key_implILNS1_25lookback_scan_determinismE0ELb0ES3_N6thrust23THRUST_200600_302600_NS6detail15normal_iteratorINS9_10device_ptrIxEEEESE_SE_xNS9_4plusIvEENS9_8equal_toIxEExEE10hipError_tPvRmT2_T3_T4_T5_mT6_T7_P12ihipStream_tbENKUlT_T0_E_clISt17integral_constantIbLb0EESZ_EEDaSU_SV_EUlSU_E_NS1_11comp_targetILNS1_3genE8ELNS1_11target_archE1030ELNS1_3gpuE2ELNS1_3repE0EEENS1_30default_config_static_selectorELNS0_4arch9wavefront6targetE0EEEvT1_.has_dyn_sized_stack, 0
	.set _ZN7rocprim17ROCPRIM_400000_NS6detail17trampoline_kernelINS0_14default_configENS1_27scan_by_key_config_selectorIxxEEZZNS1_16scan_by_key_implILNS1_25lookback_scan_determinismE0ELb0ES3_N6thrust23THRUST_200600_302600_NS6detail15normal_iteratorINS9_10device_ptrIxEEEESE_SE_xNS9_4plusIvEENS9_8equal_toIxEExEE10hipError_tPvRmT2_T3_T4_T5_mT6_T7_P12ihipStream_tbENKUlT_T0_E_clISt17integral_constantIbLb0EESZ_EEDaSU_SV_EUlSU_E_NS1_11comp_targetILNS1_3genE8ELNS1_11target_archE1030ELNS1_3gpuE2ELNS1_3repE0EEENS1_30default_config_static_selectorELNS0_4arch9wavefront6targetE0EEEvT1_.has_recursion, 0
	.set _ZN7rocprim17ROCPRIM_400000_NS6detail17trampoline_kernelINS0_14default_configENS1_27scan_by_key_config_selectorIxxEEZZNS1_16scan_by_key_implILNS1_25lookback_scan_determinismE0ELb0ES3_N6thrust23THRUST_200600_302600_NS6detail15normal_iteratorINS9_10device_ptrIxEEEESE_SE_xNS9_4plusIvEENS9_8equal_toIxEExEE10hipError_tPvRmT2_T3_T4_T5_mT6_T7_P12ihipStream_tbENKUlT_T0_E_clISt17integral_constantIbLb0EESZ_EEDaSU_SV_EUlSU_E_NS1_11comp_targetILNS1_3genE8ELNS1_11target_archE1030ELNS1_3gpuE2ELNS1_3repE0EEENS1_30default_config_static_selectorELNS0_4arch9wavefront6targetE0EEEvT1_.has_indirect_call, 0
	.section	.AMDGPU.csdata,"",@progbits
; Kernel info:
; codeLenInByte = 0
; TotalNumSgprs: 0
; NumVgprs: 0
; ScratchSize: 0
; MemoryBound: 0
; FloatMode: 240
; IeeeMode: 1
; LDSByteSize: 0 bytes/workgroup (compile time only)
; SGPRBlocks: 0
; VGPRBlocks: 0
; NumSGPRsForWavesPerEU: 1
; NumVGPRsForWavesPerEU: 1
; NamedBarCnt: 0
; Occupancy: 16
; WaveLimiterHint : 0
; COMPUTE_PGM_RSRC2:SCRATCH_EN: 0
; COMPUTE_PGM_RSRC2:USER_SGPR: 2
; COMPUTE_PGM_RSRC2:TRAP_HANDLER: 0
; COMPUTE_PGM_RSRC2:TGID_X_EN: 1
; COMPUTE_PGM_RSRC2:TGID_Y_EN: 0
; COMPUTE_PGM_RSRC2:TGID_Z_EN: 0
; COMPUTE_PGM_RSRC2:TIDIG_COMP_CNT: 0
	.section	.text._ZN7rocprim17ROCPRIM_400000_NS6detail17trampoline_kernelINS0_14default_configENS1_27scan_by_key_config_selectorIxxEEZZNS1_16scan_by_key_implILNS1_25lookback_scan_determinismE0ELb0ES3_N6thrust23THRUST_200600_302600_NS6detail15normal_iteratorINS9_10device_ptrIxEEEESE_SE_xNS9_4plusIvEENS9_8equal_toIxEExEE10hipError_tPvRmT2_T3_T4_T5_mT6_T7_P12ihipStream_tbENKUlT_T0_E_clISt17integral_constantIbLb1EESZ_EEDaSU_SV_EUlSU_E_NS1_11comp_targetILNS1_3genE0ELNS1_11target_archE4294967295ELNS1_3gpuE0ELNS1_3repE0EEENS1_30default_config_static_selectorELNS0_4arch9wavefront6targetE0EEEvT1_,"axG",@progbits,_ZN7rocprim17ROCPRIM_400000_NS6detail17trampoline_kernelINS0_14default_configENS1_27scan_by_key_config_selectorIxxEEZZNS1_16scan_by_key_implILNS1_25lookback_scan_determinismE0ELb0ES3_N6thrust23THRUST_200600_302600_NS6detail15normal_iteratorINS9_10device_ptrIxEEEESE_SE_xNS9_4plusIvEENS9_8equal_toIxEExEE10hipError_tPvRmT2_T3_T4_T5_mT6_T7_P12ihipStream_tbENKUlT_T0_E_clISt17integral_constantIbLb1EESZ_EEDaSU_SV_EUlSU_E_NS1_11comp_targetILNS1_3genE0ELNS1_11target_archE4294967295ELNS1_3gpuE0ELNS1_3repE0EEENS1_30default_config_static_selectorELNS0_4arch9wavefront6targetE0EEEvT1_,comdat
	.protected	_ZN7rocprim17ROCPRIM_400000_NS6detail17trampoline_kernelINS0_14default_configENS1_27scan_by_key_config_selectorIxxEEZZNS1_16scan_by_key_implILNS1_25lookback_scan_determinismE0ELb0ES3_N6thrust23THRUST_200600_302600_NS6detail15normal_iteratorINS9_10device_ptrIxEEEESE_SE_xNS9_4plusIvEENS9_8equal_toIxEExEE10hipError_tPvRmT2_T3_T4_T5_mT6_T7_P12ihipStream_tbENKUlT_T0_E_clISt17integral_constantIbLb1EESZ_EEDaSU_SV_EUlSU_E_NS1_11comp_targetILNS1_3genE0ELNS1_11target_archE4294967295ELNS1_3gpuE0ELNS1_3repE0EEENS1_30default_config_static_selectorELNS0_4arch9wavefront6targetE0EEEvT1_ ; -- Begin function _ZN7rocprim17ROCPRIM_400000_NS6detail17trampoline_kernelINS0_14default_configENS1_27scan_by_key_config_selectorIxxEEZZNS1_16scan_by_key_implILNS1_25lookback_scan_determinismE0ELb0ES3_N6thrust23THRUST_200600_302600_NS6detail15normal_iteratorINS9_10device_ptrIxEEEESE_SE_xNS9_4plusIvEENS9_8equal_toIxEExEE10hipError_tPvRmT2_T3_T4_T5_mT6_T7_P12ihipStream_tbENKUlT_T0_E_clISt17integral_constantIbLb1EESZ_EEDaSU_SV_EUlSU_E_NS1_11comp_targetILNS1_3genE0ELNS1_11target_archE4294967295ELNS1_3gpuE0ELNS1_3repE0EEENS1_30default_config_static_selectorELNS0_4arch9wavefront6targetE0EEEvT1_
	.globl	_ZN7rocprim17ROCPRIM_400000_NS6detail17trampoline_kernelINS0_14default_configENS1_27scan_by_key_config_selectorIxxEEZZNS1_16scan_by_key_implILNS1_25lookback_scan_determinismE0ELb0ES3_N6thrust23THRUST_200600_302600_NS6detail15normal_iteratorINS9_10device_ptrIxEEEESE_SE_xNS9_4plusIvEENS9_8equal_toIxEExEE10hipError_tPvRmT2_T3_T4_T5_mT6_T7_P12ihipStream_tbENKUlT_T0_E_clISt17integral_constantIbLb1EESZ_EEDaSU_SV_EUlSU_E_NS1_11comp_targetILNS1_3genE0ELNS1_11target_archE4294967295ELNS1_3gpuE0ELNS1_3repE0EEENS1_30default_config_static_selectorELNS0_4arch9wavefront6targetE0EEEvT1_
	.p2align	8
	.type	_ZN7rocprim17ROCPRIM_400000_NS6detail17trampoline_kernelINS0_14default_configENS1_27scan_by_key_config_selectorIxxEEZZNS1_16scan_by_key_implILNS1_25lookback_scan_determinismE0ELb0ES3_N6thrust23THRUST_200600_302600_NS6detail15normal_iteratorINS9_10device_ptrIxEEEESE_SE_xNS9_4plusIvEENS9_8equal_toIxEExEE10hipError_tPvRmT2_T3_T4_T5_mT6_T7_P12ihipStream_tbENKUlT_T0_E_clISt17integral_constantIbLb1EESZ_EEDaSU_SV_EUlSU_E_NS1_11comp_targetILNS1_3genE0ELNS1_11target_archE4294967295ELNS1_3gpuE0ELNS1_3repE0EEENS1_30default_config_static_selectorELNS0_4arch9wavefront6targetE0EEEvT1_,@function
_ZN7rocprim17ROCPRIM_400000_NS6detail17trampoline_kernelINS0_14default_configENS1_27scan_by_key_config_selectorIxxEEZZNS1_16scan_by_key_implILNS1_25lookback_scan_determinismE0ELb0ES3_N6thrust23THRUST_200600_302600_NS6detail15normal_iteratorINS9_10device_ptrIxEEEESE_SE_xNS9_4plusIvEENS9_8equal_toIxEExEE10hipError_tPvRmT2_T3_T4_T5_mT6_T7_P12ihipStream_tbENKUlT_T0_E_clISt17integral_constantIbLb1EESZ_EEDaSU_SV_EUlSU_E_NS1_11comp_targetILNS1_3genE0ELNS1_11target_archE4294967295ELNS1_3gpuE0ELNS1_3repE0EEENS1_30default_config_static_selectorELNS0_4arch9wavefront6targetE0EEEvT1_: ; @_ZN7rocprim17ROCPRIM_400000_NS6detail17trampoline_kernelINS0_14default_configENS1_27scan_by_key_config_selectorIxxEEZZNS1_16scan_by_key_implILNS1_25lookback_scan_determinismE0ELb0ES3_N6thrust23THRUST_200600_302600_NS6detail15normal_iteratorINS9_10device_ptrIxEEEESE_SE_xNS9_4plusIvEENS9_8equal_toIxEExEE10hipError_tPvRmT2_T3_T4_T5_mT6_T7_P12ihipStream_tbENKUlT_T0_E_clISt17integral_constantIbLb1EESZ_EEDaSU_SV_EUlSU_E_NS1_11comp_targetILNS1_3genE0ELNS1_11target_archE4294967295ELNS1_3gpuE0ELNS1_3repE0EEENS1_30default_config_static_selectorELNS0_4arch9wavefront6targetE0EEEvT1_
; %bb.0:
	s_endpgm
	.section	.rodata,"a",@progbits
	.p2align	6, 0x0
	.amdhsa_kernel _ZN7rocprim17ROCPRIM_400000_NS6detail17trampoline_kernelINS0_14default_configENS1_27scan_by_key_config_selectorIxxEEZZNS1_16scan_by_key_implILNS1_25lookback_scan_determinismE0ELb0ES3_N6thrust23THRUST_200600_302600_NS6detail15normal_iteratorINS9_10device_ptrIxEEEESE_SE_xNS9_4plusIvEENS9_8equal_toIxEExEE10hipError_tPvRmT2_T3_T4_T5_mT6_T7_P12ihipStream_tbENKUlT_T0_E_clISt17integral_constantIbLb1EESZ_EEDaSU_SV_EUlSU_E_NS1_11comp_targetILNS1_3genE0ELNS1_11target_archE4294967295ELNS1_3gpuE0ELNS1_3repE0EEENS1_30default_config_static_selectorELNS0_4arch9wavefront6targetE0EEEvT1_
		.amdhsa_group_segment_fixed_size 0
		.amdhsa_private_segment_fixed_size 0
		.amdhsa_kernarg_size 136
		.amdhsa_user_sgpr_count 2
		.amdhsa_user_sgpr_dispatch_ptr 0
		.amdhsa_user_sgpr_queue_ptr 0
		.amdhsa_user_sgpr_kernarg_segment_ptr 1
		.amdhsa_user_sgpr_dispatch_id 0
		.amdhsa_user_sgpr_kernarg_preload_length 0
		.amdhsa_user_sgpr_kernarg_preload_offset 0
		.amdhsa_user_sgpr_private_segment_size 0
		.amdhsa_wavefront_size32 1
		.amdhsa_uses_dynamic_stack 0
		.amdhsa_enable_private_segment 0
		.amdhsa_system_sgpr_workgroup_id_x 1
		.amdhsa_system_sgpr_workgroup_id_y 0
		.amdhsa_system_sgpr_workgroup_id_z 0
		.amdhsa_system_sgpr_workgroup_info 0
		.amdhsa_system_vgpr_workitem_id 0
		.amdhsa_next_free_vgpr 1
		.amdhsa_next_free_sgpr 1
		.amdhsa_named_barrier_count 0
		.amdhsa_reserve_vcc 0
		.amdhsa_float_round_mode_32 0
		.amdhsa_float_round_mode_16_64 0
		.amdhsa_float_denorm_mode_32 3
		.amdhsa_float_denorm_mode_16_64 3
		.amdhsa_fp16_overflow 0
		.amdhsa_memory_ordered 1
		.amdhsa_forward_progress 1
		.amdhsa_inst_pref_size 1
		.amdhsa_round_robin_scheduling 0
		.amdhsa_exception_fp_ieee_invalid_op 0
		.amdhsa_exception_fp_denorm_src 0
		.amdhsa_exception_fp_ieee_div_zero 0
		.amdhsa_exception_fp_ieee_overflow 0
		.amdhsa_exception_fp_ieee_underflow 0
		.amdhsa_exception_fp_ieee_inexact 0
		.amdhsa_exception_int_div_zero 0
	.end_amdhsa_kernel
	.section	.text._ZN7rocprim17ROCPRIM_400000_NS6detail17trampoline_kernelINS0_14default_configENS1_27scan_by_key_config_selectorIxxEEZZNS1_16scan_by_key_implILNS1_25lookback_scan_determinismE0ELb0ES3_N6thrust23THRUST_200600_302600_NS6detail15normal_iteratorINS9_10device_ptrIxEEEESE_SE_xNS9_4plusIvEENS9_8equal_toIxEExEE10hipError_tPvRmT2_T3_T4_T5_mT6_T7_P12ihipStream_tbENKUlT_T0_E_clISt17integral_constantIbLb1EESZ_EEDaSU_SV_EUlSU_E_NS1_11comp_targetILNS1_3genE0ELNS1_11target_archE4294967295ELNS1_3gpuE0ELNS1_3repE0EEENS1_30default_config_static_selectorELNS0_4arch9wavefront6targetE0EEEvT1_,"axG",@progbits,_ZN7rocprim17ROCPRIM_400000_NS6detail17trampoline_kernelINS0_14default_configENS1_27scan_by_key_config_selectorIxxEEZZNS1_16scan_by_key_implILNS1_25lookback_scan_determinismE0ELb0ES3_N6thrust23THRUST_200600_302600_NS6detail15normal_iteratorINS9_10device_ptrIxEEEESE_SE_xNS9_4plusIvEENS9_8equal_toIxEExEE10hipError_tPvRmT2_T3_T4_T5_mT6_T7_P12ihipStream_tbENKUlT_T0_E_clISt17integral_constantIbLb1EESZ_EEDaSU_SV_EUlSU_E_NS1_11comp_targetILNS1_3genE0ELNS1_11target_archE4294967295ELNS1_3gpuE0ELNS1_3repE0EEENS1_30default_config_static_selectorELNS0_4arch9wavefront6targetE0EEEvT1_,comdat
.Lfunc_end92:
	.size	_ZN7rocprim17ROCPRIM_400000_NS6detail17trampoline_kernelINS0_14default_configENS1_27scan_by_key_config_selectorIxxEEZZNS1_16scan_by_key_implILNS1_25lookback_scan_determinismE0ELb0ES3_N6thrust23THRUST_200600_302600_NS6detail15normal_iteratorINS9_10device_ptrIxEEEESE_SE_xNS9_4plusIvEENS9_8equal_toIxEExEE10hipError_tPvRmT2_T3_T4_T5_mT6_T7_P12ihipStream_tbENKUlT_T0_E_clISt17integral_constantIbLb1EESZ_EEDaSU_SV_EUlSU_E_NS1_11comp_targetILNS1_3genE0ELNS1_11target_archE4294967295ELNS1_3gpuE0ELNS1_3repE0EEENS1_30default_config_static_selectorELNS0_4arch9wavefront6targetE0EEEvT1_, .Lfunc_end92-_ZN7rocprim17ROCPRIM_400000_NS6detail17trampoline_kernelINS0_14default_configENS1_27scan_by_key_config_selectorIxxEEZZNS1_16scan_by_key_implILNS1_25lookback_scan_determinismE0ELb0ES3_N6thrust23THRUST_200600_302600_NS6detail15normal_iteratorINS9_10device_ptrIxEEEESE_SE_xNS9_4plusIvEENS9_8equal_toIxEExEE10hipError_tPvRmT2_T3_T4_T5_mT6_T7_P12ihipStream_tbENKUlT_T0_E_clISt17integral_constantIbLb1EESZ_EEDaSU_SV_EUlSU_E_NS1_11comp_targetILNS1_3genE0ELNS1_11target_archE4294967295ELNS1_3gpuE0ELNS1_3repE0EEENS1_30default_config_static_selectorELNS0_4arch9wavefront6targetE0EEEvT1_
                                        ; -- End function
	.set _ZN7rocprim17ROCPRIM_400000_NS6detail17trampoline_kernelINS0_14default_configENS1_27scan_by_key_config_selectorIxxEEZZNS1_16scan_by_key_implILNS1_25lookback_scan_determinismE0ELb0ES3_N6thrust23THRUST_200600_302600_NS6detail15normal_iteratorINS9_10device_ptrIxEEEESE_SE_xNS9_4plusIvEENS9_8equal_toIxEExEE10hipError_tPvRmT2_T3_T4_T5_mT6_T7_P12ihipStream_tbENKUlT_T0_E_clISt17integral_constantIbLb1EESZ_EEDaSU_SV_EUlSU_E_NS1_11comp_targetILNS1_3genE0ELNS1_11target_archE4294967295ELNS1_3gpuE0ELNS1_3repE0EEENS1_30default_config_static_selectorELNS0_4arch9wavefront6targetE0EEEvT1_.num_vgpr, 0
	.set _ZN7rocprim17ROCPRIM_400000_NS6detail17trampoline_kernelINS0_14default_configENS1_27scan_by_key_config_selectorIxxEEZZNS1_16scan_by_key_implILNS1_25lookback_scan_determinismE0ELb0ES3_N6thrust23THRUST_200600_302600_NS6detail15normal_iteratorINS9_10device_ptrIxEEEESE_SE_xNS9_4plusIvEENS9_8equal_toIxEExEE10hipError_tPvRmT2_T3_T4_T5_mT6_T7_P12ihipStream_tbENKUlT_T0_E_clISt17integral_constantIbLb1EESZ_EEDaSU_SV_EUlSU_E_NS1_11comp_targetILNS1_3genE0ELNS1_11target_archE4294967295ELNS1_3gpuE0ELNS1_3repE0EEENS1_30default_config_static_selectorELNS0_4arch9wavefront6targetE0EEEvT1_.num_agpr, 0
	.set _ZN7rocprim17ROCPRIM_400000_NS6detail17trampoline_kernelINS0_14default_configENS1_27scan_by_key_config_selectorIxxEEZZNS1_16scan_by_key_implILNS1_25lookback_scan_determinismE0ELb0ES3_N6thrust23THRUST_200600_302600_NS6detail15normal_iteratorINS9_10device_ptrIxEEEESE_SE_xNS9_4plusIvEENS9_8equal_toIxEExEE10hipError_tPvRmT2_T3_T4_T5_mT6_T7_P12ihipStream_tbENKUlT_T0_E_clISt17integral_constantIbLb1EESZ_EEDaSU_SV_EUlSU_E_NS1_11comp_targetILNS1_3genE0ELNS1_11target_archE4294967295ELNS1_3gpuE0ELNS1_3repE0EEENS1_30default_config_static_selectorELNS0_4arch9wavefront6targetE0EEEvT1_.numbered_sgpr, 0
	.set _ZN7rocprim17ROCPRIM_400000_NS6detail17trampoline_kernelINS0_14default_configENS1_27scan_by_key_config_selectorIxxEEZZNS1_16scan_by_key_implILNS1_25lookback_scan_determinismE0ELb0ES3_N6thrust23THRUST_200600_302600_NS6detail15normal_iteratorINS9_10device_ptrIxEEEESE_SE_xNS9_4plusIvEENS9_8equal_toIxEExEE10hipError_tPvRmT2_T3_T4_T5_mT6_T7_P12ihipStream_tbENKUlT_T0_E_clISt17integral_constantIbLb1EESZ_EEDaSU_SV_EUlSU_E_NS1_11comp_targetILNS1_3genE0ELNS1_11target_archE4294967295ELNS1_3gpuE0ELNS1_3repE0EEENS1_30default_config_static_selectorELNS0_4arch9wavefront6targetE0EEEvT1_.num_named_barrier, 0
	.set _ZN7rocprim17ROCPRIM_400000_NS6detail17trampoline_kernelINS0_14default_configENS1_27scan_by_key_config_selectorIxxEEZZNS1_16scan_by_key_implILNS1_25lookback_scan_determinismE0ELb0ES3_N6thrust23THRUST_200600_302600_NS6detail15normal_iteratorINS9_10device_ptrIxEEEESE_SE_xNS9_4plusIvEENS9_8equal_toIxEExEE10hipError_tPvRmT2_T3_T4_T5_mT6_T7_P12ihipStream_tbENKUlT_T0_E_clISt17integral_constantIbLb1EESZ_EEDaSU_SV_EUlSU_E_NS1_11comp_targetILNS1_3genE0ELNS1_11target_archE4294967295ELNS1_3gpuE0ELNS1_3repE0EEENS1_30default_config_static_selectorELNS0_4arch9wavefront6targetE0EEEvT1_.private_seg_size, 0
	.set _ZN7rocprim17ROCPRIM_400000_NS6detail17trampoline_kernelINS0_14default_configENS1_27scan_by_key_config_selectorIxxEEZZNS1_16scan_by_key_implILNS1_25lookback_scan_determinismE0ELb0ES3_N6thrust23THRUST_200600_302600_NS6detail15normal_iteratorINS9_10device_ptrIxEEEESE_SE_xNS9_4plusIvEENS9_8equal_toIxEExEE10hipError_tPvRmT2_T3_T4_T5_mT6_T7_P12ihipStream_tbENKUlT_T0_E_clISt17integral_constantIbLb1EESZ_EEDaSU_SV_EUlSU_E_NS1_11comp_targetILNS1_3genE0ELNS1_11target_archE4294967295ELNS1_3gpuE0ELNS1_3repE0EEENS1_30default_config_static_selectorELNS0_4arch9wavefront6targetE0EEEvT1_.uses_vcc, 0
	.set _ZN7rocprim17ROCPRIM_400000_NS6detail17trampoline_kernelINS0_14default_configENS1_27scan_by_key_config_selectorIxxEEZZNS1_16scan_by_key_implILNS1_25lookback_scan_determinismE0ELb0ES3_N6thrust23THRUST_200600_302600_NS6detail15normal_iteratorINS9_10device_ptrIxEEEESE_SE_xNS9_4plusIvEENS9_8equal_toIxEExEE10hipError_tPvRmT2_T3_T4_T5_mT6_T7_P12ihipStream_tbENKUlT_T0_E_clISt17integral_constantIbLb1EESZ_EEDaSU_SV_EUlSU_E_NS1_11comp_targetILNS1_3genE0ELNS1_11target_archE4294967295ELNS1_3gpuE0ELNS1_3repE0EEENS1_30default_config_static_selectorELNS0_4arch9wavefront6targetE0EEEvT1_.uses_flat_scratch, 0
	.set _ZN7rocprim17ROCPRIM_400000_NS6detail17trampoline_kernelINS0_14default_configENS1_27scan_by_key_config_selectorIxxEEZZNS1_16scan_by_key_implILNS1_25lookback_scan_determinismE0ELb0ES3_N6thrust23THRUST_200600_302600_NS6detail15normal_iteratorINS9_10device_ptrIxEEEESE_SE_xNS9_4plusIvEENS9_8equal_toIxEExEE10hipError_tPvRmT2_T3_T4_T5_mT6_T7_P12ihipStream_tbENKUlT_T0_E_clISt17integral_constantIbLb1EESZ_EEDaSU_SV_EUlSU_E_NS1_11comp_targetILNS1_3genE0ELNS1_11target_archE4294967295ELNS1_3gpuE0ELNS1_3repE0EEENS1_30default_config_static_selectorELNS0_4arch9wavefront6targetE0EEEvT1_.has_dyn_sized_stack, 0
	.set _ZN7rocprim17ROCPRIM_400000_NS6detail17trampoline_kernelINS0_14default_configENS1_27scan_by_key_config_selectorIxxEEZZNS1_16scan_by_key_implILNS1_25lookback_scan_determinismE0ELb0ES3_N6thrust23THRUST_200600_302600_NS6detail15normal_iteratorINS9_10device_ptrIxEEEESE_SE_xNS9_4plusIvEENS9_8equal_toIxEExEE10hipError_tPvRmT2_T3_T4_T5_mT6_T7_P12ihipStream_tbENKUlT_T0_E_clISt17integral_constantIbLb1EESZ_EEDaSU_SV_EUlSU_E_NS1_11comp_targetILNS1_3genE0ELNS1_11target_archE4294967295ELNS1_3gpuE0ELNS1_3repE0EEENS1_30default_config_static_selectorELNS0_4arch9wavefront6targetE0EEEvT1_.has_recursion, 0
	.set _ZN7rocprim17ROCPRIM_400000_NS6detail17trampoline_kernelINS0_14default_configENS1_27scan_by_key_config_selectorIxxEEZZNS1_16scan_by_key_implILNS1_25lookback_scan_determinismE0ELb0ES3_N6thrust23THRUST_200600_302600_NS6detail15normal_iteratorINS9_10device_ptrIxEEEESE_SE_xNS9_4plusIvEENS9_8equal_toIxEExEE10hipError_tPvRmT2_T3_T4_T5_mT6_T7_P12ihipStream_tbENKUlT_T0_E_clISt17integral_constantIbLb1EESZ_EEDaSU_SV_EUlSU_E_NS1_11comp_targetILNS1_3genE0ELNS1_11target_archE4294967295ELNS1_3gpuE0ELNS1_3repE0EEENS1_30default_config_static_selectorELNS0_4arch9wavefront6targetE0EEEvT1_.has_indirect_call, 0
	.section	.AMDGPU.csdata,"",@progbits
; Kernel info:
; codeLenInByte = 4
; TotalNumSgprs: 0
; NumVgprs: 0
; ScratchSize: 0
; MemoryBound: 0
; FloatMode: 240
; IeeeMode: 1
; LDSByteSize: 0 bytes/workgroup (compile time only)
; SGPRBlocks: 0
; VGPRBlocks: 0
; NumSGPRsForWavesPerEU: 1
; NumVGPRsForWavesPerEU: 1
; NamedBarCnt: 0
; Occupancy: 16
; WaveLimiterHint : 0
; COMPUTE_PGM_RSRC2:SCRATCH_EN: 0
; COMPUTE_PGM_RSRC2:USER_SGPR: 2
; COMPUTE_PGM_RSRC2:TRAP_HANDLER: 0
; COMPUTE_PGM_RSRC2:TGID_X_EN: 1
; COMPUTE_PGM_RSRC2:TGID_Y_EN: 0
; COMPUTE_PGM_RSRC2:TGID_Z_EN: 0
; COMPUTE_PGM_RSRC2:TIDIG_COMP_CNT: 0
	.section	.text._ZN7rocprim17ROCPRIM_400000_NS6detail17trampoline_kernelINS0_14default_configENS1_27scan_by_key_config_selectorIxxEEZZNS1_16scan_by_key_implILNS1_25lookback_scan_determinismE0ELb0ES3_N6thrust23THRUST_200600_302600_NS6detail15normal_iteratorINS9_10device_ptrIxEEEESE_SE_xNS9_4plusIvEENS9_8equal_toIxEExEE10hipError_tPvRmT2_T3_T4_T5_mT6_T7_P12ihipStream_tbENKUlT_T0_E_clISt17integral_constantIbLb1EESZ_EEDaSU_SV_EUlSU_E_NS1_11comp_targetILNS1_3genE10ELNS1_11target_archE1201ELNS1_3gpuE5ELNS1_3repE0EEENS1_30default_config_static_selectorELNS0_4arch9wavefront6targetE0EEEvT1_,"axG",@progbits,_ZN7rocprim17ROCPRIM_400000_NS6detail17trampoline_kernelINS0_14default_configENS1_27scan_by_key_config_selectorIxxEEZZNS1_16scan_by_key_implILNS1_25lookback_scan_determinismE0ELb0ES3_N6thrust23THRUST_200600_302600_NS6detail15normal_iteratorINS9_10device_ptrIxEEEESE_SE_xNS9_4plusIvEENS9_8equal_toIxEExEE10hipError_tPvRmT2_T3_T4_T5_mT6_T7_P12ihipStream_tbENKUlT_T0_E_clISt17integral_constantIbLb1EESZ_EEDaSU_SV_EUlSU_E_NS1_11comp_targetILNS1_3genE10ELNS1_11target_archE1201ELNS1_3gpuE5ELNS1_3repE0EEENS1_30default_config_static_selectorELNS0_4arch9wavefront6targetE0EEEvT1_,comdat
	.protected	_ZN7rocprim17ROCPRIM_400000_NS6detail17trampoline_kernelINS0_14default_configENS1_27scan_by_key_config_selectorIxxEEZZNS1_16scan_by_key_implILNS1_25lookback_scan_determinismE0ELb0ES3_N6thrust23THRUST_200600_302600_NS6detail15normal_iteratorINS9_10device_ptrIxEEEESE_SE_xNS9_4plusIvEENS9_8equal_toIxEExEE10hipError_tPvRmT2_T3_T4_T5_mT6_T7_P12ihipStream_tbENKUlT_T0_E_clISt17integral_constantIbLb1EESZ_EEDaSU_SV_EUlSU_E_NS1_11comp_targetILNS1_3genE10ELNS1_11target_archE1201ELNS1_3gpuE5ELNS1_3repE0EEENS1_30default_config_static_selectorELNS0_4arch9wavefront6targetE0EEEvT1_ ; -- Begin function _ZN7rocprim17ROCPRIM_400000_NS6detail17trampoline_kernelINS0_14default_configENS1_27scan_by_key_config_selectorIxxEEZZNS1_16scan_by_key_implILNS1_25lookback_scan_determinismE0ELb0ES3_N6thrust23THRUST_200600_302600_NS6detail15normal_iteratorINS9_10device_ptrIxEEEESE_SE_xNS9_4plusIvEENS9_8equal_toIxEExEE10hipError_tPvRmT2_T3_T4_T5_mT6_T7_P12ihipStream_tbENKUlT_T0_E_clISt17integral_constantIbLb1EESZ_EEDaSU_SV_EUlSU_E_NS1_11comp_targetILNS1_3genE10ELNS1_11target_archE1201ELNS1_3gpuE5ELNS1_3repE0EEENS1_30default_config_static_selectorELNS0_4arch9wavefront6targetE0EEEvT1_
	.globl	_ZN7rocprim17ROCPRIM_400000_NS6detail17trampoline_kernelINS0_14default_configENS1_27scan_by_key_config_selectorIxxEEZZNS1_16scan_by_key_implILNS1_25lookback_scan_determinismE0ELb0ES3_N6thrust23THRUST_200600_302600_NS6detail15normal_iteratorINS9_10device_ptrIxEEEESE_SE_xNS9_4plusIvEENS9_8equal_toIxEExEE10hipError_tPvRmT2_T3_T4_T5_mT6_T7_P12ihipStream_tbENKUlT_T0_E_clISt17integral_constantIbLb1EESZ_EEDaSU_SV_EUlSU_E_NS1_11comp_targetILNS1_3genE10ELNS1_11target_archE1201ELNS1_3gpuE5ELNS1_3repE0EEENS1_30default_config_static_selectorELNS0_4arch9wavefront6targetE0EEEvT1_
	.p2align	8
	.type	_ZN7rocprim17ROCPRIM_400000_NS6detail17trampoline_kernelINS0_14default_configENS1_27scan_by_key_config_selectorIxxEEZZNS1_16scan_by_key_implILNS1_25lookback_scan_determinismE0ELb0ES3_N6thrust23THRUST_200600_302600_NS6detail15normal_iteratorINS9_10device_ptrIxEEEESE_SE_xNS9_4plusIvEENS9_8equal_toIxEExEE10hipError_tPvRmT2_T3_T4_T5_mT6_T7_P12ihipStream_tbENKUlT_T0_E_clISt17integral_constantIbLb1EESZ_EEDaSU_SV_EUlSU_E_NS1_11comp_targetILNS1_3genE10ELNS1_11target_archE1201ELNS1_3gpuE5ELNS1_3repE0EEENS1_30default_config_static_selectorELNS0_4arch9wavefront6targetE0EEEvT1_,@function
_ZN7rocprim17ROCPRIM_400000_NS6detail17trampoline_kernelINS0_14default_configENS1_27scan_by_key_config_selectorIxxEEZZNS1_16scan_by_key_implILNS1_25lookback_scan_determinismE0ELb0ES3_N6thrust23THRUST_200600_302600_NS6detail15normal_iteratorINS9_10device_ptrIxEEEESE_SE_xNS9_4plusIvEENS9_8equal_toIxEExEE10hipError_tPvRmT2_T3_T4_T5_mT6_T7_P12ihipStream_tbENKUlT_T0_E_clISt17integral_constantIbLb1EESZ_EEDaSU_SV_EUlSU_E_NS1_11comp_targetILNS1_3genE10ELNS1_11target_archE1201ELNS1_3gpuE5ELNS1_3repE0EEENS1_30default_config_static_selectorELNS0_4arch9wavefront6targetE0EEEvT1_: ; @_ZN7rocprim17ROCPRIM_400000_NS6detail17trampoline_kernelINS0_14default_configENS1_27scan_by_key_config_selectorIxxEEZZNS1_16scan_by_key_implILNS1_25lookback_scan_determinismE0ELb0ES3_N6thrust23THRUST_200600_302600_NS6detail15normal_iteratorINS9_10device_ptrIxEEEESE_SE_xNS9_4plusIvEENS9_8equal_toIxEExEE10hipError_tPvRmT2_T3_T4_T5_mT6_T7_P12ihipStream_tbENKUlT_T0_E_clISt17integral_constantIbLb1EESZ_EEDaSU_SV_EUlSU_E_NS1_11comp_targetILNS1_3genE10ELNS1_11target_archE1201ELNS1_3gpuE5ELNS1_3repE0EEENS1_30default_config_static_selectorELNS0_4arch9wavefront6targetE0EEEvT1_
; %bb.0:
	.section	.rodata,"a",@progbits
	.p2align	6, 0x0
	.amdhsa_kernel _ZN7rocprim17ROCPRIM_400000_NS6detail17trampoline_kernelINS0_14default_configENS1_27scan_by_key_config_selectorIxxEEZZNS1_16scan_by_key_implILNS1_25lookback_scan_determinismE0ELb0ES3_N6thrust23THRUST_200600_302600_NS6detail15normal_iteratorINS9_10device_ptrIxEEEESE_SE_xNS9_4plusIvEENS9_8equal_toIxEExEE10hipError_tPvRmT2_T3_T4_T5_mT6_T7_P12ihipStream_tbENKUlT_T0_E_clISt17integral_constantIbLb1EESZ_EEDaSU_SV_EUlSU_E_NS1_11comp_targetILNS1_3genE10ELNS1_11target_archE1201ELNS1_3gpuE5ELNS1_3repE0EEENS1_30default_config_static_selectorELNS0_4arch9wavefront6targetE0EEEvT1_
		.amdhsa_group_segment_fixed_size 0
		.amdhsa_private_segment_fixed_size 0
		.amdhsa_kernarg_size 136
		.amdhsa_user_sgpr_count 2
		.amdhsa_user_sgpr_dispatch_ptr 0
		.amdhsa_user_sgpr_queue_ptr 0
		.amdhsa_user_sgpr_kernarg_segment_ptr 1
		.amdhsa_user_sgpr_dispatch_id 0
		.amdhsa_user_sgpr_kernarg_preload_length 0
		.amdhsa_user_sgpr_kernarg_preload_offset 0
		.amdhsa_user_sgpr_private_segment_size 0
		.amdhsa_wavefront_size32 1
		.amdhsa_uses_dynamic_stack 0
		.amdhsa_enable_private_segment 0
		.amdhsa_system_sgpr_workgroup_id_x 1
		.amdhsa_system_sgpr_workgroup_id_y 0
		.amdhsa_system_sgpr_workgroup_id_z 0
		.amdhsa_system_sgpr_workgroup_info 0
		.amdhsa_system_vgpr_workitem_id 0
		.amdhsa_next_free_vgpr 1
		.amdhsa_next_free_sgpr 1
		.amdhsa_named_barrier_count 0
		.amdhsa_reserve_vcc 0
		.amdhsa_float_round_mode_32 0
		.amdhsa_float_round_mode_16_64 0
		.amdhsa_float_denorm_mode_32 3
		.amdhsa_float_denorm_mode_16_64 3
		.amdhsa_fp16_overflow 0
		.amdhsa_memory_ordered 1
		.amdhsa_forward_progress 1
		.amdhsa_inst_pref_size 0
		.amdhsa_round_robin_scheduling 0
		.amdhsa_exception_fp_ieee_invalid_op 0
		.amdhsa_exception_fp_denorm_src 0
		.amdhsa_exception_fp_ieee_div_zero 0
		.amdhsa_exception_fp_ieee_overflow 0
		.amdhsa_exception_fp_ieee_underflow 0
		.amdhsa_exception_fp_ieee_inexact 0
		.amdhsa_exception_int_div_zero 0
	.end_amdhsa_kernel
	.section	.text._ZN7rocprim17ROCPRIM_400000_NS6detail17trampoline_kernelINS0_14default_configENS1_27scan_by_key_config_selectorIxxEEZZNS1_16scan_by_key_implILNS1_25lookback_scan_determinismE0ELb0ES3_N6thrust23THRUST_200600_302600_NS6detail15normal_iteratorINS9_10device_ptrIxEEEESE_SE_xNS9_4plusIvEENS9_8equal_toIxEExEE10hipError_tPvRmT2_T3_T4_T5_mT6_T7_P12ihipStream_tbENKUlT_T0_E_clISt17integral_constantIbLb1EESZ_EEDaSU_SV_EUlSU_E_NS1_11comp_targetILNS1_3genE10ELNS1_11target_archE1201ELNS1_3gpuE5ELNS1_3repE0EEENS1_30default_config_static_selectorELNS0_4arch9wavefront6targetE0EEEvT1_,"axG",@progbits,_ZN7rocprim17ROCPRIM_400000_NS6detail17trampoline_kernelINS0_14default_configENS1_27scan_by_key_config_selectorIxxEEZZNS1_16scan_by_key_implILNS1_25lookback_scan_determinismE0ELb0ES3_N6thrust23THRUST_200600_302600_NS6detail15normal_iteratorINS9_10device_ptrIxEEEESE_SE_xNS9_4plusIvEENS9_8equal_toIxEExEE10hipError_tPvRmT2_T3_T4_T5_mT6_T7_P12ihipStream_tbENKUlT_T0_E_clISt17integral_constantIbLb1EESZ_EEDaSU_SV_EUlSU_E_NS1_11comp_targetILNS1_3genE10ELNS1_11target_archE1201ELNS1_3gpuE5ELNS1_3repE0EEENS1_30default_config_static_selectorELNS0_4arch9wavefront6targetE0EEEvT1_,comdat
.Lfunc_end93:
	.size	_ZN7rocprim17ROCPRIM_400000_NS6detail17trampoline_kernelINS0_14default_configENS1_27scan_by_key_config_selectorIxxEEZZNS1_16scan_by_key_implILNS1_25lookback_scan_determinismE0ELb0ES3_N6thrust23THRUST_200600_302600_NS6detail15normal_iteratorINS9_10device_ptrIxEEEESE_SE_xNS9_4plusIvEENS9_8equal_toIxEExEE10hipError_tPvRmT2_T3_T4_T5_mT6_T7_P12ihipStream_tbENKUlT_T0_E_clISt17integral_constantIbLb1EESZ_EEDaSU_SV_EUlSU_E_NS1_11comp_targetILNS1_3genE10ELNS1_11target_archE1201ELNS1_3gpuE5ELNS1_3repE0EEENS1_30default_config_static_selectorELNS0_4arch9wavefront6targetE0EEEvT1_, .Lfunc_end93-_ZN7rocprim17ROCPRIM_400000_NS6detail17trampoline_kernelINS0_14default_configENS1_27scan_by_key_config_selectorIxxEEZZNS1_16scan_by_key_implILNS1_25lookback_scan_determinismE0ELb0ES3_N6thrust23THRUST_200600_302600_NS6detail15normal_iteratorINS9_10device_ptrIxEEEESE_SE_xNS9_4plusIvEENS9_8equal_toIxEExEE10hipError_tPvRmT2_T3_T4_T5_mT6_T7_P12ihipStream_tbENKUlT_T0_E_clISt17integral_constantIbLb1EESZ_EEDaSU_SV_EUlSU_E_NS1_11comp_targetILNS1_3genE10ELNS1_11target_archE1201ELNS1_3gpuE5ELNS1_3repE0EEENS1_30default_config_static_selectorELNS0_4arch9wavefront6targetE0EEEvT1_
                                        ; -- End function
	.set _ZN7rocprim17ROCPRIM_400000_NS6detail17trampoline_kernelINS0_14default_configENS1_27scan_by_key_config_selectorIxxEEZZNS1_16scan_by_key_implILNS1_25lookback_scan_determinismE0ELb0ES3_N6thrust23THRUST_200600_302600_NS6detail15normal_iteratorINS9_10device_ptrIxEEEESE_SE_xNS9_4plusIvEENS9_8equal_toIxEExEE10hipError_tPvRmT2_T3_T4_T5_mT6_T7_P12ihipStream_tbENKUlT_T0_E_clISt17integral_constantIbLb1EESZ_EEDaSU_SV_EUlSU_E_NS1_11comp_targetILNS1_3genE10ELNS1_11target_archE1201ELNS1_3gpuE5ELNS1_3repE0EEENS1_30default_config_static_selectorELNS0_4arch9wavefront6targetE0EEEvT1_.num_vgpr, 0
	.set _ZN7rocprim17ROCPRIM_400000_NS6detail17trampoline_kernelINS0_14default_configENS1_27scan_by_key_config_selectorIxxEEZZNS1_16scan_by_key_implILNS1_25lookback_scan_determinismE0ELb0ES3_N6thrust23THRUST_200600_302600_NS6detail15normal_iteratorINS9_10device_ptrIxEEEESE_SE_xNS9_4plusIvEENS9_8equal_toIxEExEE10hipError_tPvRmT2_T3_T4_T5_mT6_T7_P12ihipStream_tbENKUlT_T0_E_clISt17integral_constantIbLb1EESZ_EEDaSU_SV_EUlSU_E_NS1_11comp_targetILNS1_3genE10ELNS1_11target_archE1201ELNS1_3gpuE5ELNS1_3repE0EEENS1_30default_config_static_selectorELNS0_4arch9wavefront6targetE0EEEvT1_.num_agpr, 0
	.set _ZN7rocprim17ROCPRIM_400000_NS6detail17trampoline_kernelINS0_14default_configENS1_27scan_by_key_config_selectorIxxEEZZNS1_16scan_by_key_implILNS1_25lookback_scan_determinismE0ELb0ES3_N6thrust23THRUST_200600_302600_NS6detail15normal_iteratorINS9_10device_ptrIxEEEESE_SE_xNS9_4plusIvEENS9_8equal_toIxEExEE10hipError_tPvRmT2_T3_T4_T5_mT6_T7_P12ihipStream_tbENKUlT_T0_E_clISt17integral_constantIbLb1EESZ_EEDaSU_SV_EUlSU_E_NS1_11comp_targetILNS1_3genE10ELNS1_11target_archE1201ELNS1_3gpuE5ELNS1_3repE0EEENS1_30default_config_static_selectorELNS0_4arch9wavefront6targetE0EEEvT1_.numbered_sgpr, 0
	.set _ZN7rocprim17ROCPRIM_400000_NS6detail17trampoline_kernelINS0_14default_configENS1_27scan_by_key_config_selectorIxxEEZZNS1_16scan_by_key_implILNS1_25lookback_scan_determinismE0ELb0ES3_N6thrust23THRUST_200600_302600_NS6detail15normal_iteratorINS9_10device_ptrIxEEEESE_SE_xNS9_4plusIvEENS9_8equal_toIxEExEE10hipError_tPvRmT2_T3_T4_T5_mT6_T7_P12ihipStream_tbENKUlT_T0_E_clISt17integral_constantIbLb1EESZ_EEDaSU_SV_EUlSU_E_NS1_11comp_targetILNS1_3genE10ELNS1_11target_archE1201ELNS1_3gpuE5ELNS1_3repE0EEENS1_30default_config_static_selectorELNS0_4arch9wavefront6targetE0EEEvT1_.num_named_barrier, 0
	.set _ZN7rocprim17ROCPRIM_400000_NS6detail17trampoline_kernelINS0_14default_configENS1_27scan_by_key_config_selectorIxxEEZZNS1_16scan_by_key_implILNS1_25lookback_scan_determinismE0ELb0ES3_N6thrust23THRUST_200600_302600_NS6detail15normal_iteratorINS9_10device_ptrIxEEEESE_SE_xNS9_4plusIvEENS9_8equal_toIxEExEE10hipError_tPvRmT2_T3_T4_T5_mT6_T7_P12ihipStream_tbENKUlT_T0_E_clISt17integral_constantIbLb1EESZ_EEDaSU_SV_EUlSU_E_NS1_11comp_targetILNS1_3genE10ELNS1_11target_archE1201ELNS1_3gpuE5ELNS1_3repE0EEENS1_30default_config_static_selectorELNS0_4arch9wavefront6targetE0EEEvT1_.private_seg_size, 0
	.set _ZN7rocprim17ROCPRIM_400000_NS6detail17trampoline_kernelINS0_14default_configENS1_27scan_by_key_config_selectorIxxEEZZNS1_16scan_by_key_implILNS1_25lookback_scan_determinismE0ELb0ES3_N6thrust23THRUST_200600_302600_NS6detail15normal_iteratorINS9_10device_ptrIxEEEESE_SE_xNS9_4plusIvEENS9_8equal_toIxEExEE10hipError_tPvRmT2_T3_T4_T5_mT6_T7_P12ihipStream_tbENKUlT_T0_E_clISt17integral_constantIbLb1EESZ_EEDaSU_SV_EUlSU_E_NS1_11comp_targetILNS1_3genE10ELNS1_11target_archE1201ELNS1_3gpuE5ELNS1_3repE0EEENS1_30default_config_static_selectorELNS0_4arch9wavefront6targetE0EEEvT1_.uses_vcc, 0
	.set _ZN7rocprim17ROCPRIM_400000_NS6detail17trampoline_kernelINS0_14default_configENS1_27scan_by_key_config_selectorIxxEEZZNS1_16scan_by_key_implILNS1_25lookback_scan_determinismE0ELb0ES3_N6thrust23THRUST_200600_302600_NS6detail15normal_iteratorINS9_10device_ptrIxEEEESE_SE_xNS9_4plusIvEENS9_8equal_toIxEExEE10hipError_tPvRmT2_T3_T4_T5_mT6_T7_P12ihipStream_tbENKUlT_T0_E_clISt17integral_constantIbLb1EESZ_EEDaSU_SV_EUlSU_E_NS1_11comp_targetILNS1_3genE10ELNS1_11target_archE1201ELNS1_3gpuE5ELNS1_3repE0EEENS1_30default_config_static_selectorELNS0_4arch9wavefront6targetE0EEEvT1_.uses_flat_scratch, 0
	.set _ZN7rocprim17ROCPRIM_400000_NS6detail17trampoline_kernelINS0_14default_configENS1_27scan_by_key_config_selectorIxxEEZZNS1_16scan_by_key_implILNS1_25lookback_scan_determinismE0ELb0ES3_N6thrust23THRUST_200600_302600_NS6detail15normal_iteratorINS9_10device_ptrIxEEEESE_SE_xNS9_4plusIvEENS9_8equal_toIxEExEE10hipError_tPvRmT2_T3_T4_T5_mT6_T7_P12ihipStream_tbENKUlT_T0_E_clISt17integral_constantIbLb1EESZ_EEDaSU_SV_EUlSU_E_NS1_11comp_targetILNS1_3genE10ELNS1_11target_archE1201ELNS1_3gpuE5ELNS1_3repE0EEENS1_30default_config_static_selectorELNS0_4arch9wavefront6targetE0EEEvT1_.has_dyn_sized_stack, 0
	.set _ZN7rocprim17ROCPRIM_400000_NS6detail17trampoline_kernelINS0_14default_configENS1_27scan_by_key_config_selectorIxxEEZZNS1_16scan_by_key_implILNS1_25lookback_scan_determinismE0ELb0ES3_N6thrust23THRUST_200600_302600_NS6detail15normal_iteratorINS9_10device_ptrIxEEEESE_SE_xNS9_4plusIvEENS9_8equal_toIxEExEE10hipError_tPvRmT2_T3_T4_T5_mT6_T7_P12ihipStream_tbENKUlT_T0_E_clISt17integral_constantIbLb1EESZ_EEDaSU_SV_EUlSU_E_NS1_11comp_targetILNS1_3genE10ELNS1_11target_archE1201ELNS1_3gpuE5ELNS1_3repE0EEENS1_30default_config_static_selectorELNS0_4arch9wavefront6targetE0EEEvT1_.has_recursion, 0
	.set _ZN7rocprim17ROCPRIM_400000_NS6detail17trampoline_kernelINS0_14default_configENS1_27scan_by_key_config_selectorIxxEEZZNS1_16scan_by_key_implILNS1_25lookback_scan_determinismE0ELb0ES3_N6thrust23THRUST_200600_302600_NS6detail15normal_iteratorINS9_10device_ptrIxEEEESE_SE_xNS9_4plusIvEENS9_8equal_toIxEExEE10hipError_tPvRmT2_T3_T4_T5_mT6_T7_P12ihipStream_tbENKUlT_T0_E_clISt17integral_constantIbLb1EESZ_EEDaSU_SV_EUlSU_E_NS1_11comp_targetILNS1_3genE10ELNS1_11target_archE1201ELNS1_3gpuE5ELNS1_3repE0EEENS1_30default_config_static_selectorELNS0_4arch9wavefront6targetE0EEEvT1_.has_indirect_call, 0
	.section	.AMDGPU.csdata,"",@progbits
; Kernel info:
; codeLenInByte = 0
; TotalNumSgprs: 0
; NumVgprs: 0
; ScratchSize: 0
; MemoryBound: 0
; FloatMode: 240
; IeeeMode: 1
; LDSByteSize: 0 bytes/workgroup (compile time only)
; SGPRBlocks: 0
; VGPRBlocks: 0
; NumSGPRsForWavesPerEU: 1
; NumVGPRsForWavesPerEU: 1
; NamedBarCnt: 0
; Occupancy: 16
; WaveLimiterHint : 0
; COMPUTE_PGM_RSRC2:SCRATCH_EN: 0
; COMPUTE_PGM_RSRC2:USER_SGPR: 2
; COMPUTE_PGM_RSRC2:TRAP_HANDLER: 0
; COMPUTE_PGM_RSRC2:TGID_X_EN: 1
; COMPUTE_PGM_RSRC2:TGID_Y_EN: 0
; COMPUTE_PGM_RSRC2:TGID_Z_EN: 0
; COMPUTE_PGM_RSRC2:TIDIG_COMP_CNT: 0
	.section	.text._ZN7rocprim17ROCPRIM_400000_NS6detail17trampoline_kernelINS0_14default_configENS1_27scan_by_key_config_selectorIxxEEZZNS1_16scan_by_key_implILNS1_25lookback_scan_determinismE0ELb0ES3_N6thrust23THRUST_200600_302600_NS6detail15normal_iteratorINS9_10device_ptrIxEEEESE_SE_xNS9_4plusIvEENS9_8equal_toIxEExEE10hipError_tPvRmT2_T3_T4_T5_mT6_T7_P12ihipStream_tbENKUlT_T0_E_clISt17integral_constantIbLb1EESZ_EEDaSU_SV_EUlSU_E_NS1_11comp_targetILNS1_3genE5ELNS1_11target_archE942ELNS1_3gpuE9ELNS1_3repE0EEENS1_30default_config_static_selectorELNS0_4arch9wavefront6targetE0EEEvT1_,"axG",@progbits,_ZN7rocprim17ROCPRIM_400000_NS6detail17trampoline_kernelINS0_14default_configENS1_27scan_by_key_config_selectorIxxEEZZNS1_16scan_by_key_implILNS1_25lookback_scan_determinismE0ELb0ES3_N6thrust23THRUST_200600_302600_NS6detail15normal_iteratorINS9_10device_ptrIxEEEESE_SE_xNS9_4plusIvEENS9_8equal_toIxEExEE10hipError_tPvRmT2_T3_T4_T5_mT6_T7_P12ihipStream_tbENKUlT_T0_E_clISt17integral_constantIbLb1EESZ_EEDaSU_SV_EUlSU_E_NS1_11comp_targetILNS1_3genE5ELNS1_11target_archE942ELNS1_3gpuE9ELNS1_3repE0EEENS1_30default_config_static_selectorELNS0_4arch9wavefront6targetE0EEEvT1_,comdat
	.protected	_ZN7rocprim17ROCPRIM_400000_NS6detail17trampoline_kernelINS0_14default_configENS1_27scan_by_key_config_selectorIxxEEZZNS1_16scan_by_key_implILNS1_25lookback_scan_determinismE0ELb0ES3_N6thrust23THRUST_200600_302600_NS6detail15normal_iteratorINS9_10device_ptrIxEEEESE_SE_xNS9_4plusIvEENS9_8equal_toIxEExEE10hipError_tPvRmT2_T3_T4_T5_mT6_T7_P12ihipStream_tbENKUlT_T0_E_clISt17integral_constantIbLb1EESZ_EEDaSU_SV_EUlSU_E_NS1_11comp_targetILNS1_3genE5ELNS1_11target_archE942ELNS1_3gpuE9ELNS1_3repE0EEENS1_30default_config_static_selectorELNS0_4arch9wavefront6targetE0EEEvT1_ ; -- Begin function _ZN7rocprim17ROCPRIM_400000_NS6detail17trampoline_kernelINS0_14default_configENS1_27scan_by_key_config_selectorIxxEEZZNS1_16scan_by_key_implILNS1_25lookback_scan_determinismE0ELb0ES3_N6thrust23THRUST_200600_302600_NS6detail15normal_iteratorINS9_10device_ptrIxEEEESE_SE_xNS9_4plusIvEENS9_8equal_toIxEExEE10hipError_tPvRmT2_T3_T4_T5_mT6_T7_P12ihipStream_tbENKUlT_T0_E_clISt17integral_constantIbLb1EESZ_EEDaSU_SV_EUlSU_E_NS1_11comp_targetILNS1_3genE5ELNS1_11target_archE942ELNS1_3gpuE9ELNS1_3repE0EEENS1_30default_config_static_selectorELNS0_4arch9wavefront6targetE0EEEvT1_
	.globl	_ZN7rocprim17ROCPRIM_400000_NS6detail17trampoline_kernelINS0_14default_configENS1_27scan_by_key_config_selectorIxxEEZZNS1_16scan_by_key_implILNS1_25lookback_scan_determinismE0ELb0ES3_N6thrust23THRUST_200600_302600_NS6detail15normal_iteratorINS9_10device_ptrIxEEEESE_SE_xNS9_4plusIvEENS9_8equal_toIxEExEE10hipError_tPvRmT2_T3_T4_T5_mT6_T7_P12ihipStream_tbENKUlT_T0_E_clISt17integral_constantIbLb1EESZ_EEDaSU_SV_EUlSU_E_NS1_11comp_targetILNS1_3genE5ELNS1_11target_archE942ELNS1_3gpuE9ELNS1_3repE0EEENS1_30default_config_static_selectorELNS0_4arch9wavefront6targetE0EEEvT1_
	.p2align	8
	.type	_ZN7rocprim17ROCPRIM_400000_NS6detail17trampoline_kernelINS0_14default_configENS1_27scan_by_key_config_selectorIxxEEZZNS1_16scan_by_key_implILNS1_25lookback_scan_determinismE0ELb0ES3_N6thrust23THRUST_200600_302600_NS6detail15normal_iteratorINS9_10device_ptrIxEEEESE_SE_xNS9_4plusIvEENS9_8equal_toIxEExEE10hipError_tPvRmT2_T3_T4_T5_mT6_T7_P12ihipStream_tbENKUlT_T0_E_clISt17integral_constantIbLb1EESZ_EEDaSU_SV_EUlSU_E_NS1_11comp_targetILNS1_3genE5ELNS1_11target_archE942ELNS1_3gpuE9ELNS1_3repE0EEENS1_30default_config_static_selectorELNS0_4arch9wavefront6targetE0EEEvT1_,@function
_ZN7rocprim17ROCPRIM_400000_NS6detail17trampoline_kernelINS0_14default_configENS1_27scan_by_key_config_selectorIxxEEZZNS1_16scan_by_key_implILNS1_25lookback_scan_determinismE0ELb0ES3_N6thrust23THRUST_200600_302600_NS6detail15normal_iteratorINS9_10device_ptrIxEEEESE_SE_xNS9_4plusIvEENS9_8equal_toIxEExEE10hipError_tPvRmT2_T3_T4_T5_mT6_T7_P12ihipStream_tbENKUlT_T0_E_clISt17integral_constantIbLb1EESZ_EEDaSU_SV_EUlSU_E_NS1_11comp_targetILNS1_3genE5ELNS1_11target_archE942ELNS1_3gpuE9ELNS1_3repE0EEENS1_30default_config_static_selectorELNS0_4arch9wavefront6targetE0EEEvT1_: ; @_ZN7rocprim17ROCPRIM_400000_NS6detail17trampoline_kernelINS0_14default_configENS1_27scan_by_key_config_selectorIxxEEZZNS1_16scan_by_key_implILNS1_25lookback_scan_determinismE0ELb0ES3_N6thrust23THRUST_200600_302600_NS6detail15normal_iteratorINS9_10device_ptrIxEEEESE_SE_xNS9_4plusIvEENS9_8equal_toIxEExEE10hipError_tPvRmT2_T3_T4_T5_mT6_T7_P12ihipStream_tbENKUlT_T0_E_clISt17integral_constantIbLb1EESZ_EEDaSU_SV_EUlSU_E_NS1_11comp_targetILNS1_3genE5ELNS1_11target_archE942ELNS1_3gpuE9ELNS1_3repE0EEENS1_30default_config_static_selectorELNS0_4arch9wavefront6targetE0EEEvT1_
; %bb.0:
	.section	.rodata,"a",@progbits
	.p2align	6, 0x0
	.amdhsa_kernel _ZN7rocprim17ROCPRIM_400000_NS6detail17trampoline_kernelINS0_14default_configENS1_27scan_by_key_config_selectorIxxEEZZNS1_16scan_by_key_implILNS1_25lookback_scan_determinismE0ELb0ES3_N6thrust23THRUST_200600_302600_NS6detail15normal_iteratorINS9_10device_ptrIxEEEESE_SE_xNS9_4plusIvEENS9_8equal_toIxEExEE10hipError_tPvRmT2_T3_T4_T5_mT6_T7_P12ihipStream_tbENKUlT_T0_E_clISt17integral_constantIbLb1EESZ_EEDaSU_SV_EUlSU_E_NS1_11comp_targetILNS1_3genE5ELNS1_11target_archE942ELNS1_3gpuE9ELNS1_3repE0EEENS1_30default_config_static_selectorELNS0_4arch9wavefront6targetE0EEEvT1_
		.amdhsa_group_segment_fixed_size 0
		.amdhsa_private_segment_fixed_size 0
		.amdhsa_kernarg_size 136
		.amdhsa_user_sgpr_count 2
		.amdhsa_user_sgpr_dispatch_ptr 0
		.amdhsa_user_sgpr_queue_ptr 0
		.amdhsa_user_sgpr_kernarg_segment_ptr 1
		.amdhsa_user_sgpr_dispatch_id 0
		.amdhsa_user_sgpr_kernarg_preload_length 0
		.amdhsa_user_sgpr_kernarg_preload_offset 0
		.amdhsa_user_sgpr_private_segment_size 0
		.amdhsa_wavefront_size32 1
		.amdhsa_uses_dynamic_stack 0
		.amdhsa_enable_private_segment 0
		.amdhsa_system_sgpr_workgroup_id_x 1
		.amdhsa_system_sgpr_workgroup_id_y 0
		.amdhsa_system_sgpr_workgroup_id_z 0
		.amdhsa_system_sgpr_workgroup_info 0
		.amdhsa_system_vgpr_workitem_id 0
		.amdhsa_next_free_vgpr 1
		.amdhsa_next_free_sgpr 1
		.amdhsa_named_barrier_count 0
		.amdhsa_reserve_vcc 0
		.amdhsa_float_round_mode_32 0
		.amdhsa_float_round_mode_16_64 0
		.amdhsa_float_denorm_mode_32 3
		.amdhsa_float_denorm_mode_16_64 3
		.amdhsa_fp16_overflow 0
		.amdhsa_memory_ordered 1
		.amdhsa_forward_progress 1
		.amdhsa_inst_pref_size 0
		.amdhsa_round_robin_scheduling 0
		.amdhsa_exception_fp_ieee_invalid_op 0
		.amdhsa_exception_fp_denorm_src 0
		.amdhsa_exception_fp_ieee_div_zero 0
		.amdhsa_exception_fp_ieee_overflow 0
		.amdhsa_exception_fp_ieee_underflow 0
		.amdhsa_exception_fp_ieee_inexact 0
		.amdhsa_exception_int_div_zero 0
	.end_amdhsa_kernel
	.section	.text._ZN7rocprim17ROCPRIM_400000_NS6detail17trampoline_kernelINS0_14default_configENS1_27scan_by_key_config_selectorIxxEEZZNS1_16scan_by_key_implILNS1_25lookback_scan_determinismE0ELb0ES3_N6thrust23THRUST_200600_302600_NS6detail15normal_iteratorINS9_10device_ptrIxEEEESE_SE_xNS9_4plusIvEENS9_8equal_toIxEExEE10hipError_tPvRmT2_T3_T4_T5_mT6_T7_P12ihipStream_tbENKUlT_T0_E_clISt17integral_constantIbLb1EESZ_EEDaSU_SV_EUlSU_E_NS1_11comp_targetILNS1_3genE5ELNS1_11target_archE942ELNS1_3gpuE9ELNS1_3repE0EEENS1_30default_config_static_selectorELNS0_4arch9wavefront6targetE0EEEvT1_,"axG",@progbits,_ZN7rocprim17ROCPRIM_400000_NS6detail17trampoline_kernelINS0_14default_configENS1_27scan_by_key_config_selectorIxxEEZZNS1_16scan_by_key_implILNS1_25lookback_scan_determinismE0ELb0ES3_N6thrust23THRUST_200600_302600_NS6detail15normal_iteratorINS9_10device_ptrIxEEEESE_SE_xNS9_4plusIvEENS9_8equal_toIxEExEE10hipError_tPvRmT2_T3_T4_T5_mT6_T7_P12ihipStream_tbENKUlT_T0_E_clISt17integral_constantIbLb1EESZ_EEDaSU_SV_EUlSU_E_NS1_11comp_targetILNS1_3genE5ELNS1_11target_archE942ELNS1_3gpuE9ELNS1_3repE0EEENS1_30default_config_static_selectorELNS0_4arch9wavefront6targetE0EEEvT1_,comdat
.Lfunc_end94:
	.size	_ZN7rocprim17ROCPRIM_400000_NS6detail17trampoline_kernelINS0_14default_configENS1_27scan_by_key_config_selectorIxxEEZZNS1_16scan_by_key_implILNS1_25lookback_scan_determinismE0ELb0ES3_N6thrust23THRUST_200600_302600_NS6detail15normal_iteratorINS9_10device_ptrIxEEEESE_SE_xNS9_4plusIvEENS9_8equal_toIxEExEE10hipError_tPvRmT2_T3_T4_T5_mT6_T7_P12ihipStream_tbENKUlT_T0_E_clISt17integral_constantIbLb1EESZ_EEDaSU_SV_EUlSU_E_NS1_11comp_targetILNS1_3genE5ELNS1_11target_archE942ELNS1_3gpuE9ELNS1_3repE0EEENS1_30default_config_static_selectorELNS0_4arch9wavefront6targetE0EEEvT1_, .Lfunc_end94-_ZN7rocprim17ROCPRIM_400000_NS6detail17trampoline_kernelINS0_14default_configENS1_27scan_by_key_config_selectorIxxEEZZNS1_16scan_by_key_implILNS1_25lookback_scan_determinismE0ELb0ES3_N6thrust23THRUST_200600_302600_NS6detail15normal_iteratorINS9_10device_ptrIxEEEESE_SE_xNS9_4plusIvEENS9_8equal_toIxEExEE10hipError_tPvRmT2_T3_T4_T5_mT6_T7_P12ihipStream_tbENKUlT_T0_E_clISt17integral_constantIbLb1EESZ_EEDaSU_SV_EUlSU_E_NS1_11comp_targetILNS1_3genE5ELNS1_11target_archE942ELNS1_3gpuE9ELNS1_3repE0EEENS1_30default_config_static_selectorELNS0_4arch9wavefront6targetE0EEEvT1_
                                        ; -- End function
	.set _ZN7rocprim17ROCPRIM_400000_NS6detail17trampoline_kernelINS0_14default_configENS1_27scan_by_key_config_selectorIxxEEZZNS1_16scan_by_key_implILNS1_25lookback_scan_determinismE0ELb0ES3_N6thrust23THRUST_200600_302600_NS6detail15normal_iteratorINS9_10device_ptrIxEEEESE_SE_xNS9_4plusIvEENS9_8equal_toIxEExEE10hipError_tPvRmT2_T3_T4_T5_mT6_T7_P12ihipStream_tbENKUlT_T0_E_clISt17integral_constantIbLb1EESZ_EEDaSU_SV_EUlSU_E_NS1_11comp_targetILNS1_3genE5ELNS1_11target_archE942ELNS1_3gpuE9ELNS1_3repE0EEENS1_30default_config_static_selectorELNS0_4arch9wavefront6targetE0EEEvT1_.num_vgpr, 0
	.set _ZN7rocprim17ROCPRIM_400000_NS6detail17trampoline_kernelINS0_14default_configENS1_27scan_by_key_config_selectorIxxEEZZNS1_16scan_by_key_implILNS1_25lookback_scan_determinismE0ELb0ES3_N6thrust23THRUST_200600_302600_NS6detail15normal_iteratorINS9_10device_ptrIxEEEESE_SE_xNS9_4plusIvEENS9_8equal_toIxEExEE10hipError_tPvRmT2_T3_T4_T5_mT6_T7_P12ihipStream_tbENKUlT_T0_E_clISt17integral_constantIbLb1EESZ_EEDaSU_SV_EUlSU_E_NS1_11comp_targetILNS1_3genE5ELNS1_11target_archE942ELNS1_3gpuE9ELNS1_3repE0EEENS1_30default_config_static_selectorELNS0_4arch9wavefront6targetE0EEEvT1_.num_agpr, 0
	.set _ZN7rocprim17ROCPRIM_400000_NS6detail17trampoline_kernelINS0_14default_configENS1_27scan_by_key_config_selectorIxxEEZZNS1_16scan_by_key_implILNS1_25lookback_scan_determinismE0ELb0ES3_N6thrust23THRUST_200600_302600_NS6detail15normal_iteratorINS9_10device_ptrIxEEEESE_SE_xNS9_4plusIvEENS9_8equal_toIxEExEE10hipError_tPvRmT2_T3_T4_T5_mT6_T7_P12ihipStream_tbENKUlT_T0_E_clISt17integral_constantIbLb1EESZ_EEDaSU_SV_EUlSU_E_NS1_11comp_targetILNS1_3genE5ELNS1_11target_archE942ELNS1_3gpuE9ELNS1_3repE0EEENS1_30default_config_static_selectorELNS0_4arch9wavefront6targetE0EEEvT1_.numbered_sgpr, 0
	.set _ZN7rocprim17ROCPRIM_400000_NS6detail17trampoline_kernelINS0_14default_configENS1_27scan_by_key_config_selectorIxxEEZZNS1_16scan_by_key_implILNS1_25lookback_scan_determinismE0ELb0ES3_N6thrust23THRUST_200600_302600_NS6detail15normal_iteratorINS9_10device_ptrIxEEEESE_SE_xNS9_4plusIvEENS9_8equal_toIxEExEE10hipError_tPvRmT2_T3_T4_T5_mT6_T7_P12ihipStream_tbENKUlT_T0_E_clISt17integral_constantIbLb1EESZ_EEDaSU_SV_EUlSU_E_NS1_11comp_targetILNS1_3genE5ELNS1_11target_archE942ELNS1_3gpuE9ELNS1_3repE0EEENS1_30default_config_static_selectorELNS0_4arch9wavefront6targetE0EEEvT1_.num_named_barrier, 0
	.set _ZN7rocprim17ROCPRIM_400000_NS6detail17trampoline_kernelINS0_14default_configENS1_27scan_by_key_config_selectorIxxEEZZNS1_16scan_by_key_implILNS1_25lookback_scan_determinismE0ELb0ES3_N6thrust23THRUST_200600_302600_NS6detail15normal_iteratorINS9_10device_ptrIxEEEESE_SE_xNS9_4plusIvEENS9_8equal_toIxEExEE10hipError_tPvRmT2_T3_T4_T5_mT6_T7_P12ihipStream_tbENKUlT_T0_E_clISt17integral_constantIbLb1EESZ_EEDaSU_SV_EUlSU_E_NS1_11comp_targetILNS1_3genE5ELNS1_11target_archE942ELNS1_3gpuE9ELNS1_3repE0EEENS1_30default_config_static_selectorELNS0_4arch9wavefront6targetE0EEEvT1_.private_seg_size, 0
	.set _ZN7rocprim17ROCPRIM_400000_NS6detail17trampoline_kernelINS0_14default_configENS1_27scan_by_key_config_selectorIxxEEZZNS1_16scan_by_key_implILNS1_25lookback_scan_determinismE0ELb0ES3_N6thrust23THRUST_200600_302600_NS6detail15normal_iteratorINS9_10device_ptrIxEEEESE_SE_xNS9_4plusIvEENS9_8equal_toIxEExEE10hipError_tPvRmT2_T3_T4_T5_mT6_T7_P12ihipStream_tbENKUlT_T0_E_clISt17integral_constantIbLb1EESZ_EEDaSU_SV_EUlSU_E_NS1_11comp_targetILNS1_3genE5ELNS1_11target_archE942ELNS1_3gpuE9ELNS1_3repE0EEENS1_30default_config_static_selectorELNS0_4arch9wavefront6targetE0EEEvT1_.uses_vcc, 0
	.set _ZN7rocprim17ROCPRIM_400000_NS6detail17trampoline_kernelINS0_14default_configENS1_27scan_by_key_config_selectorIxxEEZZNS1_16scan_by_key_implILNS1_25lookback_scan_determinismE0ELb0ES3_N6thrust23THRUST_200600_302600_NS6detail15normal_iteratorINS9_10device_ptrIxEEEESE_SE_xNS9_4plusIvEENS9_8equal_toIxEExEE10hipError_tPvRmT2_T3_T4_T5_mT6_T7_P12ihipStream_tbENKUlT_T0_E_clISt17integral_constantIbLb1EESZ_EEDaSU_SV_EUlSU_E_NS1_11comp_targetILNS1_3genE5ELNS1_11target_archE942ELNS1_3gpuE9ELNS1_3repE0EEENS1_30default_config_static_selectorELNS0_4arch9wavefront6targetE0EEEvT1_.uses_flat_scratch, 0
	.set _ZN7rocprim17ROCPRIM_400000_NS6detail17trampoline_kernelINS0_14default_configENS1_27scan_by_key_config_selectorIxxEEZZNS1_16scan_by_key_implILNS1_25lookback_scan_determinismE0ELb0ES3_N6thrust23THRUST_200600_302600_NS6detail15normal_iteratorINS9_10device_ptrIxEEEESE_SE_xNS9_4plusIvEENS9_8equal_toIxEExEE10hipError_tPvRmT2_T3_T4_T5_mT6_T7_P12ihipStream_tbENKUlT_T0_E_clISt17integral_constantIbLb1EESZ_EEDaSU_SV_EUlSU_E_NS1_11comp_targetILNS1_3genE5ELNS1_11target_archE942ELNS1_3gpuE9ELNS1_3repE0EEENS1_30default_config_static_selectorELNS0_4arch9wavefront6targetE0EEEvT1_.has_dyn_sized_stack, 0
	.set _ZN7rocprim17ROCPRIM_400000_NS6detail17trampoline_kernelINS0_14default_configENS1_27scan_by_key_config_selectorIxxEEZZNS1_16scan_by_key_implILNS1_25lookback_scan_determinismE0ELb0ES3_N6thrust23THRUST_200600_302600_NS6detail15normal_iteratorINS9_10device_ptrIxEEEESE_SE_xNS9_4plusIvEENS9_8equal_toIxEExEE10hipError_tPvRmT2_T3_T4_T5_mT6_T7_P12ihipStream_tbENKUlT_T0_E_clISt17integral_constantIbLb1EESZ_EEDaSU_SV_EUlSU_E_NS1_11comp_targetILNS1_3genE5ELNS1_11target_archE942ELNS1_3gpuE9ELNS1_3repE0EEENS1_30default_config_static_selectorELNS0_4arch9wavefront6targetE0EEEvT1_.has_recursion, 0
	.set _ZN7rocprim17ROCPRIM_400000_NS6detail17trampoline_kernelINS0_14default_configENS1_27scan_by_key_config_selectorIxxEEZZNS1_16scan_by_key_implILNS1_25lookback_scan_determinismE0ELb0ES3_N6thrust23THRUST_200600_302600_NS6detail15normal_iteratorINS9_10device_ptrIxEEEESE_SE_xNS9_4plusIvEENS9_8equal_toIxEExEE10hipError_tPvRmT2_T3_T4_T5_mT6_T7_P12ihipStream_tbENKUlT_T0_E_clISt17integral_constantIbLb1EESZ_EEDaSU_SV_EUlSU_E_NS1_11comp_targetILNS1_3genE5ELNS1_11target_archE942ELNS1_3gpuE9ELNS1_3repE0EEENS1_30default_config_static_selectorELNS0_4arch9wavefront6targetE0EEEvT1_.has_indirect_call, 0
	.section	.AMDGPU.csdata,"",@progbits
; Kernel info:
; codeLenInByte = 0
; TotalNumSgprs: 0
; NumVgprs: 0
; ScratchSize: 0
; MemoryBound: 0
; FloatMode: 240
; IeeeMode: 1
; LDSByteSize: 0 bytes/workgroup (compile time only)
; SGPRBlocks: 0
; VGPRBlocks: 0
; NumSGPRsForWavesPerEU: 1
; NumVGPRsForWavesPerEU: 1
; NamedBarCnt: 0
; Occupancy: 16
; WaveLimiterHint : 0
; COMPUTE_PGM_RSRC2:SCRATCH_EN: 0
; COMPUTE_PGM_RSRC2:USER_SGPR: 2
; COMPUTE_PGM_RSRC2:TRAP_HANDLER: 0
; COMPUTE_PGM_RSRC2:TGID_X_EN: 1
; COMPUTE_PGM_RSRC2:TGID_Y_EN: 0
; COMPUTE_PGM_RSRC2:TGID_Z_EN: 0
; COMPUTE_PGM_RSRC2:TIDIG_COMP_CNT: 0
	.section	.text._ZN7rocprim17ROCPRIM_400000_NS6detail17trampoline_kernelINS0_14default_configENS1_27scan_by_key_config_selectorIxxEEZZNS1_16scan_by_key_implILNS1_25lookback_scan_determinismE0ELb0ES3_N6thrust23THRUST_200600_302600_NS6detail15normal_iteratorINS9_10device_ptrIxEEEESE_SE_xNS9_4plusIvEENS9_8equal_toIxEExEE10hipError_tPvRmT2_T3_T4_T5_mT6_T7_P12ihipStream_tbENKUlT_T0_E_clISt17integral_constantIbLb1EESZ_EEDaSU_SV_EUlSU_E_NS1_11comp_targetILNS1_3genE4ELNS1_11target_archE910ELNS1_3gpuE8ELNS1_3repE0EEENS1_30default_config_static_selectorELNS0_4arch9wavefront6targetE0EEEvT1_,"axG",@progbits,_ZN7rocprim17ROCPRIM_400000_NS6detail17trampoline_kernelINS0_14default_configENS1_27scan_by_key_config_selectorIxxEEZZNS1_16scan_by_key_implILNS1_25lookback_scan_determinismE0ELb0ES3_N6thrust23THRUST_200600_302600_NS6detail15normal_iteratorINS9_10device_ptrIxEEEESE_SE_xNS9_4plusIvEENS9_8equal_toIxEExEE10hipError_tPvRmT2_T3_T4_T5_mT6_T7_P12ihipStream_tbENKUlT_T0_E_clISt17integral_constantIbLb1EESZ_EEDaSU_SV_EUlSU_E_NS1_11comp_targetILNS1_3genE4ELNS1_11target_archE910ELNS1_3gpuE8ELNS1_3repE0EEENS1_30default_config_static_selectorELNS0_4arch9wavefront6targetE0EEEvT1_,comdat
	.protected	_ZN7rocprim17ROCPRIM_400000_NS6detail17trampoline_kernelINS0_14default_configENS1_27scan_by_key_config_selectorIxxEEZZNS1_16scan_by_key_implILNS1_25lookback_scan_determinismE0ELb0ES3_N6thrust23THRUST_200600_302600_NS6detail15normal_iteratorINS9_10device_ptrIxEEEESE_SE_xNS9_4plusIvEENS9_8equal_toIxEExEE10hipError_tPvRmT2_T3_T4_T5_mT6_T7_P12ihipStream_tbENKUlT_T0_E_clISt17integral_constantIbLb1EESZ_EEDaSU_SV_EUlSU_E_NS1_11comp_targetILNS1_3genE4ELNS1_11target_archE910ELNS1_3gpuE8ELNS1_3repE0EEENS1_30default_config_static_selectorELNS0_4arch9wavefront6targetE0EEEvT1_ ; -- Begin function _ZN7rocprim17ROCPRIM_400000_NS6detail17trampoline_kernelINS0_14default_configENS1_27scan_by_key_config_selectorIxxEEZZNS1_16scan_by_key_implILNS1_25lookback_scan_determinismE0ELb0ES3_N6thrust23THRUST_200600_302600_NS6detail15normal_iteratorINS9_10device_ptrIxEEEESE_SE_xNS9_4plusIvEENS9_8equal_toIxEExEE10hipError_tPvRmT2_T3_T4_T5_mT6_T7_P12ihipStream_tbENKUlT_T0_E_clISt17integral_constantIbLb1EESZ_EEDaSU_SV_EUlSU_E_NS1_11comp_targetILNS1_3genE4ELNS1_11target_archE910ELNS1_3gpuE8ELNS1_3repE0EEENS1_30default_config_static_selectorELNS0_4arch9wavefront6targetE0EEEvT1_
	.globl	_ZN7rocprim17ROCPRIM_400000_NS6detail17trampoline_kernelINS0_14default_configENS1_27scan_by_key_config_selectorIxxEEZZNS1_16scan_by_key_implILNS1_25lookback_scan_determinismE0ELb0ES3_N6thrust23THRUST_200600_302600_NS6detail15normal_iteratorINS9_10device_ptrIxEEEESE_SE_xNS9_4plusIvEENS9_8equal_toIxEExEE10hipError_tPvRmT2_T3_T4_T5_mT6_T7_P12ihipStream_tbENKUlT_T0_E_clISt17integral_constantIbLb1EESZ_EEDaSU_SV_EUlSU_E_NS1_11comp_targetILNS1_3genE4ELNS1_11target_archE910ELNS1_3gpuE8ELNS1_3repE0EEENS1_30default_config_static_selectorELNS0_4arch9wavefront6targetE0EEEvT1_
	.p2align	8
	.type	_ZN7rocprim17ROCPRIM_400000_NS6detail17trampoline_kernelINS0_14default_configENS1_27scan_by_key_config_selectorIxxEEZZNS1_16scan_by_key_implILNS1_25lookback_scan_determinismE0ELb0ES3_N6thrust23THRUST_200600_302600_NS6detail15normal_iteratorINS9_10device_ptrIxEEEESE_SE_xNS9_4plusIvEENS9_8equal_toIxEExEE10hipError_tPvRmT2_T3_T4_T5_mT6_T7_P12ihipStream_tbENKUlT_T0_E_clISt17integral_constantIbLb1EESZ_EEDaSU_SV_EUlSU_E_NS1_11comp_targetILNS1_3genE4ELNS1_11target_archE910ELNS1_3gpuE8ELNS1_3repE0EEENS1_30default_config_static_selectorELNS0_4arch9wavefront6targetE0EEEvT1_,@function
_ZN7rocprim17ROCPRIM_400000_NS6detail17trampoline_kernelINS0_14default_configENS1_27scan_by_key_config_selectorIxxEEZZNS1_16scan_by_key_implILNS1_25lookback_scan_determinismE0ELb0ES3_N6thrust23THRUST_200600_302600_NS6detail15normal_iteratorINS9_10device_ptrIxEEEESE_SE_xNS9_4plusIvEENS9_8equal_toIxEExEE10hipError_tPvRmT2_T3_T4_T5_mT6_T7_P12ihipStream_tbENKUlT_T0_E_clISt17integral_constantIbLb1EESZ_EEDaSU_SV_EUlSU_E_NS1_11comp_targetILNS1_3genE4ELNS1_11target_archE910ELNS1_3gpuE8ELNS1_3repE0EEENS1_30default_config_static_selectorELNS0_4arch9wavefront6targetE0EEEvT1_: ; @_ZN7rocprim17ROCPRIM_400000_NS6detail17trampoline_kernelINS0_14default_configENS1_27scan_by_key_config_selectorIxxEEZZNS1_16scan_by_key_implILNS1_25lookback_scan_determinismE0ELb0ES3_N6thrust23THRUST_200600_302600_NS6detail15normal_iteratorINS9_10device_ptrIxEEEESE_SE_xNS9_4plusIvEENS9_8equal_toIxEExEE10hipError_tPvRmT2_T3_T4_T5_mT6_T7_P12ihipStream_tbENKUlT_T0_E_clISt17integral_constantIbLb1EESZ_EEDaSU_SV_EUlSU_E_NS1_11comp_targetILNS1_3genE4ELNS1_11target_archE910ELNS1_3gpuE8ELNS1_3repE0EEENS1_30default_config_static_selectorELNS0_4arch9wavefront6targetE0EEEvT1_
; %bb.0:
	.section	.rodata,"a",@progbits
	.p2align	6, 0x0
	.amdhsa_kernel _ZN7rocprim17ROCPRIM_400000_NS6detail17trampoline_kernelINS0_14default_configENS1_27scan_by_key_config_selectorIxxEEZZNS1_16scan_by_key_implILNS1_25lookback_scan_determinismE0ELb0ES3_N6thrust23THRUST_200600_302600_NS6detail15normal_iteratorINS9_10device_ptrIxEEEESE_SE_xNS9_4plusIvEENS9_8equal_toIxEExEE10hipError_tPvRmT2_T3_T4_T5_mT6_T7_P12ihipStream_tbENKUlT_T0_E_clISt17integral_constantIbLb1EESZ_EEDaSU_SV_EUlSU_E_NS1_11comp_targetILNS1_3genE4ELNS1_11target_archE910ELNS1_3gpuE8ELNS1_3repE0EEENS1_30default_config_static_selectorELNS0_4arch9wavefront6targetE0EEEvT1_
		.amdhsa_group_segment_fixed_size 0
		.amdhsa_private_segment_fixed_size 0
		.amdhsa_kernarg_size 136
		.amdhsa_user_sgpr_count 2
		.amdhsa_user_sgpr_dispatch_ptr 0
		.amdhsa_user_sgpr_queue_ptr 0
		.amdhsa_user_sgpr_kernarg_segment_ptr 1
		.amdhsa_user_sgpr_dispatch_id 0
		.amdhsa_user_sgpr_kernarg_preload_length 0
		.amdhsa_user_sgpr_kernarg_preload_offset 0
		.amdhsa_user_sgpr_private_segment_size 0
		.amdhsa_wavefront_size32 1
		.amdhsa_uses_dynamic_stack 0
		.amdhsa_enable_private_segment 0
		.amdhsa_system_sgpr_workgroup_id_x 1
		.amdhsa_system_sgpr_workgroup_id_y 0
		.amdhsa_system_sgpr_workgroup_id_z 0
		.amdhsa_system_sgpr_workgroup_info 0
		.amdhsa_system_vgpr_workitem_id 0
		.amdhsa_next_free_vgpr 1
		.amdhsa_next_free_sgpr 1
		.amdhsa_named_barrier_count 0
		.amdhsa_reserve_vcc 0
		.amdhsa_float_round_mode_32 0
		.amdhsa_float_round_mode_16_64 0
		.amdhsa_float_denorm_mode_32 3
		.amdhsa_float_denorm_mode_16_64 3
		.amdhsa_fp16_overflow 0
		.amdhsa_memory_ordered 1
		.amdhsa_forward_progress 1
		.amdhsa_inst_pref_size 0
		.amdhsa_round_robin_scheduling 0
		.amdhsa_exception_fp_ieee_invalid_op 0
		.amdhsa_exception_fp_denorm_src 0
		.amdhsa_exception_fp_ieee_div_zero 0
		.amdhsa_exception_fp_ieee_overflow 0
		.amdhsa_exception_fp_ieee_underflow 0
		.amdhsa_exception_fp_ieee_inexact 0
		.amdhsa_exception_int_div_zero 0
	.end_amdhsa_kernel
	.section	.text._ZN7rocprim17ROCPRIM_400000_NS6detail17trampoline_kernelINS0_14default_configENS1_27scan_by_key_config_selectorIxxEEZZNS1_16scan_by_key_implILNS1_25lookback_scan_determinismE0ELb0ES3_N6thrust23THRUST_200600_302600_NS6detail15normal_iteratorINS9_10device_ptrIxEEEESE_SE_xNS9_4plusIvEENS9_8equal_toIxEExEE10hipError_tPvRmT2_T3_T4_T5_mT6_T7_P12ihipStream_tbENKUlT_T0_E_clISt17integral_constantIbLb1EESZ_EEDaSU_SV_EUlSU_E_NS1_11comp_targetILNS1_3genE4ELNS1_11target_archE910ELNS1_3gpuE8ELNS1_3repE0EEENS1_30default_config_static_selectorELNS0_4arch9wavefront6targetE0EEEvT1_,"axG",@progbits,_ZN7rocprim17ROCPRIM_400000_NS6detail17trampoline_kernelINS0_14default_configENS1_27scan_by_key_config_selectorIxxEEZZNS1_16scan_by_key_implILNS1_25lookback_scan_determinismE0ELb0ES3_N6thrust23THRUST_200600_302600_NS6detail15normal_iteratorINS9_10device_ptrIxEEEESE_SE_xNS9_4plusIvEENS9_8equal_toIxEExEE10hipError_tPvRmT2_T3_T4_T5_mT6_T7_P12ihipStream_tbENKUlT_T0_E_clISt17integral_constantIbLb1EESZ_EEDaSU_SV_EUlSU_E_NS1_11comp_targetILNS1_3genE4ELNS1_11target_archE910ELNS1_3gpuE8ELNS1_3repE0EEENS1_30default_config_static_selectorELNS0_4arch9wavefront6targetE0EEEvT1_,comdat
.Lfunc_end95:
	.size	_ZN7rocprim17ROCPRIM_400000_NS6detail17trampoline_kernelINS0_14default_configENS1_27scan_by_key_config_selectorIxxEEZZNS1_16scan_by_key_implILNS1_25lookback_scan_determinismE0ELb0ES3_N6thrust23THRUST_200600_302600_NS6detail15normal_iteratorINS9_10device_ptrIxEEEESE_SE_xNS9_4plusIvEENS9_8equal_toIxEExEE10hipError_tPvRmT2_T3_T4_T5_mT6_T7_P12ihipStream_tbENKUlT_T0_E_clISt17integral_constantIbLb1EESZ_EEDaSU_SV_EUlSU_E_NS1_11comp_targetILNS1_3genE4ELNS1_11target_archE910ELNS1_3gpuE8ELNS1_3repE0EEENS1_30default_config_static_selectorELNS0_4arch9wavefront6targetE0EEEvT1_, .Lfunc_end95-_ZN7rocprim17ROCPRIM_400000_NS6detail17trampoline_kernelINS0_14default_configENS1_27scan_by_key_config_selectorIxxEEZZNS1_16scan_by_key_implILNS1_25lookback_scan_determinismE0ELb0ES3_N6thrust23THRUST_200600_302600_NS6detail15normal_iteratorINS9_10device_ptrIxEEEESE_SE_xNS9_4plusIvEENS9_8equal_toIxEExEE10hipError_tPvRmT2_T3_T4_T5_mT6_T7_P12ihipStream_tbENKUlT_T0_E_clISt17integral_constantIbLb1EESZ_EEDaSU_SV_EUlSU_E_NS1_11comp_targetILNS1_3genE4ELNS1_11target_archE910ELNS1_3gpuE8ELNS1_3repE0EEENS1_30default_config_static_selectorELNS0_4arch9wavefront6targetE0EEEvT1_
                                        ; -- End function
	.set _ZN7rocprim17ROCPRIM_400000_NS6detail17trampoline_kernelINS0_14default_configENS1_27scan_by_key_config_selectorIxxEEZZNS1_16scan_by_key_implILNS1_25lookback_scan_determinismE0ELb0ES3_N6thrust23THRUST_200600_302600_NS6detail15normal_iteratorINS9_10device_ptrIxEEEESE_SE_xNS9_4plusIvEENS9_8equal_toIxEExEE10hipError_tPvRmT2_T3_T4_T5_mT6_T7_P12ihipStream_tbENKUlT_T0_E_clISt17integral_constantIbLb1EESZ_EEDaSU_SV_EUlSU_E_NS1_11comp_targetILNS1_3genE4ELNS1_11target_archE910ELNS1_3gpuE8ELNS1_3repE0EEENS1_30default_config_static_selectorELNS0_4arch9wavefront6targetE0EEEvT1_.num_vgpr, 0
	.set _ZN7rocprim17ROCPRIM_400000_NS6detail17trampoline_kernelINS0_14default_configENS1_27scan_by_key_config_selectorIxxEEZZNS1_16scan_by_key_implILNS1_25lookback_scan_determinismE0ELb0ES3_N6thrust23THRUST_200600_302600_NS6detail15normal_iteratorINS9_10device_ptrIxEEEESE_SE_xNS9_4plusIvEENS9_8equal_toIxEExEE10hipError_tPvRmT2_T3_T4_T5_mT6_T7_P12ihipStream_tbENKUlT_T0_E_clISt17integral_constantIbLb1EESZ_EEDaSU_SV_EUlSU_E_NS1_11comp_targetILNS1_3genE4ELNS1_11target_archE910ELNS1_3gpuE8ELNS1_3repE0EEENS1_30default_config_static_selectorELNS0_4arch9wavefront6targetE0EEEvT1_.num_agpr, 0
	.set _ZN7rocprim17ROCPRIM_400000_NS6detail17trampoline_kernelINS0_14default_configENS1_27scan_by_key_config_selectorIxxEEZZNS1_16scan_by_key_implILNS1_25lookback_scan_determinismE0ELb0ES3_N6thrust23THRUST_200600_302600_NS6detail15normal_iteratorINS9_10device_ptrIxEEEESE_SE_xNS9_4plusIvEENS9_8equal_toIxEExEE10hipError_tPvRmT2_T3_T4_T5_mT6_T7_P12ihipStream_tbENKUlT_T0_E_clISt17integral_constantIbLb1EESZ_EEDaSU_SV_EUlSU_E_NS1_11comp_targetILNS1_3genE4ELNS1_11target_archE910ELNS1_3gpuE8ELNS1_3repE0EEENS1_30default_config_static_selectorELNS0_4arch9wavefront6targetE0EEEvT1_.numbered_sgpr, 0
	.set _ZN7rocprim17ROCPRIM_400000_NS6detail17trampoline_kernelINS0_14default_configENS1_27scan_by_key_config_selectorIxxEEZZNS1_16scan_by_key_implILNS1_25lookback_scan_determinismE0ELb0ES3_N6thrust23THRUST_200600_302600_NS6detail15normal_iteratorINS9_10device_ptrIxEEEESE_SE_xNS9_4plusIvEENS9_8equal_toIxEExEE10hipError_tPvRmT2_T3_T4_T5_mT6_T7_P12ihipStream_tbENKUlT_T0_E_clISt17integral_constantIbLb1EESZ_EEDaSU_SV_EUlSU_E_NS1_11comp_targetILNS1_3genE4ELNS1_11target_archE910ELNS1_3gpuE8ELNS1_3repE0EEENS1_30default_config_static_selectorELNS0_4arch9wavefront6targetE0EEEvT1_.num_named_barrier, 0
	.set _ZN7rocprim17ROCPRIM_400000_NS6detail17trampoline_kernelINS0_14default_configENS1_27scan_by_key_config_selectorIxxEEZZNS1_16scan_by_key_implILNS1_25lookback_scan_determinismE0ELb0ES3_N6thrust23THRUST_200600_302600_NS6detail15normal_iteratorINS9_10device_ptrIxEEEESE_SE_xNS9_4plusIvEENS9_8equal_toIxEExEE10hipError_tPvRmT2_T3_T4_T5_mT6_T7_P12ihipStream_tbENKUlT_T0_E_clISt17integral_constantIbLb1EESZ_EEDaSU_SV_EUlSU_E_NS1_11comp_targetILNS1_3genE4ELNS1_11target_archE910ELNS1_3gpuE8ELNS1_3repE0EEENS1_30default_config_static_selectorELNS0_4arch9wavefront6targetE0EEEvT1_.private_seg_size, 0
	.set _ZN7rocprim17ROCPRIM_400000_NS6detail17trampoline_kernelINS0_14default_configENS1_27scan_by_key_config_selectorIxxEEZZNS1_16scan_by_key_implILNS1_25lookback_scan_determinismE0ELb0ES3_N6thrust23THRUST_200600_302600_NS6detail15normal_iteratorINS9_10device_ptrIxEEEESE_SE_xNS9_4plusIvEENS9_8equal_toIxEExEE10hipError_tPvRmT2_T3_T4_T5_mT6_T7_P12ihipStream_tbENKUlT_T0_E_clISt17integral_constantIbLb1EESZ_EEDaSU_SV_EUlSU_E_NS1_11comp_targetILNS1_3genE4ELNS1_11target_archE910ELNS1_3gpuE8ELNS1_3repE0EEENS1_30default_config_static_selectorELNS0_4arch9wavefront6targetE0EEEvT1_.uses_vcc, 0
	.set _ZN7rocprim17ROCPRIM_400000_NS6detail17trampoline_kernelINS0_14default_configENS1_27scan_by_key_config_selectorIxxEEZZNS1_16scan_by_key_implILNS1_25lookback_scan_determinismE0ELb0ES3_N6thrust23THRUST_200600_302600_NS6detail15normal_iteratorINS9_10device_ptrIxEEEESE_SE_xNS9_4plusIvEENS9_8equal_toIxEExEE10hipError_tPvRmT2_T3_T4_T5_mT6_T7_P12ihipStream_tbENKUlT_T0_E_clISt17integral_constantIbLb1EESZ_EEDaSU_SV_EUlSU_E_NS1_11comp_targetILNS1_3genE4ELNS1_11target_archE910ELNS1_3gpuE8ELNS1_3repE0EEENS1_30default_config_static_selectorELNS0_4arch9wavefront6targetE0EEEvT1_.uses_flat_scratch, 0
	.set _ZN7rocprim17ROCPRIM_400000_NS6detail17trampoline_kernelINS0_14default_configENS1_27scan_by_key_config_selectorIxxEEZZNS1_16scan_by_key_implILNS1_25lookback_scan_determinismE0ELb0ES3_N6thrust23THRUST_200600_302600_NS6detail15normal_iteratorINS9_10device_ptrIxEEEESE_SE_xNS9_4plusIvEENS9_8equal_toIxEExEE10hipError_tPvRmT2_T3_T4_T5_mT6_T7_P12ihipStream_tbENKUlT_T0_E_clISt17integral_constantIbLb1EESZ_EEDaSU_SV_EUlSU_E_NS1_11comp_targetILNS1_3genE4ELNS1_11target_archE910ELNS1_3gpuE8ELNS1_3repE0EEENS1_30default_config_static_selectorELNS0_4arch9wavefront6targetE0EEEvT1_.has_dyn_sized_stack, 0
	.set _ZN7rocprim17ROCPRIM_400000_NS6detail17trampoline_kernelINS0_14default_configENS1_27scan_by_key_config_selectorIxxEEZZNS1_16scan_by_key_implILNS1_25lookback_scan_determinismE0ELb0ES3_N6thrust23THRUST_200600_302600_NS6detail15normal_iteratorINS9_10device_ptrIxEEEESE_SE_xNS9_4plusIvEENS9_8equal_toIxEExEE10hipError_tPvRmT2_T3_T4_T5_mT6_T7_P12ihipStream_tbENKUlT_T0_E_clISt17integral_constantIbLb1EESZ_EEDaSU_SV_EUlSU_E_NS1_11comp_targetILNS1_3genE4ELNS1_11target_archE910ELNS1_3gpuE8ELNS1_3repE0EEENS1_30default_config_static_selectorELNS0_4arch9wavefront6targetE0EEEvT1_.has_recursion, 0
	.set _ZN7rocprim17ROCPRIM_400000_NS6detail17trampoline_kernelINS0_14default_configENS1_27scan_by_key_config_selectorIxxEEZZNS1_16scan_by_key_implILNS1_25lookback_scan_determinismE0ELb0ES3_N6thrust23THRUST_200600_302600_NS6detail15normal_iteratorINS9_10device_ptrIxEEEESE_SE_xNS9_4plusIvEENS9_8equal_toIxEExEE10hipError_tPvRmT2_T3_T4_T5_mT6_T7_P12ihipStream_tbENKUlT_T0_E_clISt17integral_constantIbLb1EESZ_EEDaSU_SV_EUlSU_E_NS1_11comp_targetILNS1_3genE4ELNS1_11target_archE910ELNS1_3gpuE8ELNS1_3repE0EEENS1_30default_config_static_selectorELNS0_4arch9wavefront6targetE0EEEvT1_.has_indirect_call, 0
	.section	.AMDGPU.csdata,"",@progbits
; Kernel info:
; codeLenInByte = 0
; TotalNumSgprs: 0
; NumVgprs: 0
; ScratchSize: 0
; MemoryBound: 0
; FloatMode: 240
; IeeeMode: 1
; LDSByteSize: 0 bytes/workgroup (compile time only)
; SGPRBlocks: 0
; VGPRBlocks: 0
; NumSGPRsForWavesPerEU: 1
; NumVGPRsForWavesPerEU: 1
; NamedBarCnt: 0
; Occupancy: 16
; WaveLimiterHint : 0
; COMPUTE_PGM_RSRC2:SCRATCH_EN: 0
; COMPUTE_PGM_RSRC2:USER_SGPR: 2
; COMPUTE_PGM_RSRC2:TRAP_HANDLER: 0
; COMPUTE_PGM_RSRC2:TGID_X_EN: 1
; COMPUTE_PGM_RSRC2:TGID_Y_EN: 0
; COMPUTE_PGM_RSRC2:TGID_Z_EN: 0
; COMPUTE_PGM_RSRC2:TIDIG_COMP_CNT: 0
	.section	.text._ZN7rocprim17ROCPRIM_400000_NS6detail17trampoline_kernelINS0_14default_configENS1_27scan_by_key_config_selectorIxxEEZZNS1_16scan_by_key_implILNS1_25lookback_scan_determinismE0ELb0ES3_N6thrust23THRUST_200600_302600_NS6detail15normal_iteratorINS9_10device_ptrIxEEEESE_SE_xNS9_4plusIvEENS9_8equal_toIxEExEE10hipError_tPvRmT2_T3_T4_T5_mT6_T7_P12ihipStream_tbENKUlT_T0_E_clISt17integral_constantIbLb1EESZ_EEDaSU_SV_EUlSU_E_NS1_11comp_targetILNS1_3genE3ELNS1_11target_archE908ELNS1_3gpuE7ELNS1_3repE0EEENS1_30default_config_static_selectorELNS0_4arch9wavefront6targetE0EEEvT1_,"axG",@progbits,_ZN7rocprim17ROCPRIM_400000_NS6detail17trampoline_kernelINS0_14default_configENS1_27scan_by_key_config_selectorIxxEEZZNS1_16scan_by_key_implILNS1_25lookback_scan_determinismE0ELb0ES3_N6thrust23THRUST_200600_302600_NS6detail15normal_iteratorINS9_10device_ptrIxEEEESE_SE_xNS9_4plusIvEENS9_8equal_toIxEExEE10hipError_tPvRmT2_T3_T4_T5_mT6_T7_P12ihipStream_tbENKUlT_T0_E_clISt17integral_constantIbLb1EESZ_EEDaSU_SV_EUlSU_E_NS1_11comp_targetILNS1_3genE3ELNS1_11target_archE908ELNS1_3gpuE7ELNS1_3repE0EEENS1_30default_config_static_selectorELNS0_4arch9wavefront6targetE0EEEvT1_,comdat
	.protected	_ZN7rocprim17ROCPRIM_400000_NS6detail17trampoline_kernelINS0_14default_configENS1_27scan_by_key_config_selectorIxxEEZZNS1_16scan_by_key_implILNS1_25lookback_scan_determinismE0ELb0ES3_N6thrust23THRUST_200600_302600_NS6detail15normal_iteratorINS9_10device_ptrIxEEEESE_SE_xNS9_4plusIvEENS9_8equal_toIxEExEE10hipError_tPvRmT2_T3_T4_T5_mT6_T7_P12ihipStream_tbENKUlT_T0_E_clISt17integral_constantIbLb1EESZ_EEDaSU_SV_EUlSU_E_NS1_11comp_targetILNS1_3genE3ELNS1_11target_archE908ELNS1_3gpuE7ELNS1_3repE0EEENS1_30default_config_static_selectorELNS0_4arch9wavefront6targetE0EEEvT1_ ; -- Begin function _ZN7rocprim17ROCPRIM_400000_NS6detail17trampoline_kernelINS0_14default_configENS1_27scan_by_key_config_selectorIxxEEZZNS1_16scan_by_key_implILNS1_25lookback_scan_determinismE0ELb0ES3_N6thrust23THRUST_200600_302600_NS6detail15normal_iteratorINS9_10device_ptrIxEEEESE_SE_xNS9_4plusIvEENS9_8equal_toIxEExEE10hipError_tPvRmT2_T3_T4_T5_mT6_T7_P12ihipStream_tbENKUlT_T0_E_clISt17integral_constantIbLb1EESZ_EEDaSU_SV_EUlSU_E_NS1_11comp_targetILNS1_3genE3ELNS1_11target_archE908ELNS1_3gpuE7ELNS1_3repE0EEENS1_30default_config_static_selectorELNS0_4arch9wavefront6targetE0EEEvT1_
	.globl	_ZN7rocprim17ROCPRIM_400000_NS6detail17trampoline_kernelINS0_14default_configENS1_27scan_by_key_config_selectorIxxEEZZNS1_16scan_by_key_implILNS1_25lookback_scan_determinismE0ELb0ES3_N6thrust23THRUST_200600_302600_NS6detail15normal_iteratorINS9_10device_ptrIxEEEESE_SE_xNS9_4plusIvEENS9_8equal_toIxEExEE10hipError_tPvRmT2_T3_T4_T5_mT6_T7_P12ihipStream_tbENKUlT_T0_E_clISt17integral_constantIbLb1EESZ_EEDaSU_SV_EUlSU_E_NS1_11comp_targetILNS1_3genE3ELNS1_11target_archE908ELNS1_3gpuE7ELNS1_3repE0EEENS1_30default_config_static_selectorELNS0_4arch9wavefront6targetE0EEEvT1_
	.p2align	8
	.type	_ZN7rocprim17ROCPRIM_400000_NS6detail17trampoline_kernelINS0_14default_configENS1_27scan_by_key_config_selectorIxxEEZZNS1_16scan_by_key_implILNS1_25lookback_scan_determinismE0ELb0ES3_N6thrust23THRUST_200600_302600_NS6detail15normal_iteratorINS9_10device_ptrIxEEEESE_SE_xNS9_4plusIvEENS9_8equal_toIxEExEE10hipError_tPvRmT2_T3_T4_T5_mT6_T7_P12ihipStream_tbENKUlT_T0_E_clISt17integral_constantIbLb1EESZ_EEDaSU_SV_EUlSU_E_NS1_11comp_targetILNS1_3genE3ELNS1_11target_archE908ELNS1_3gpuE7ELNS1_3repE0EEENS1_30default_config_static_selectorELNS0_4arch9wavefront6targetE0EEEvT1_,@function
_ZN7rocprim17ROCPRIM_400000_NS6detail17trampoline_kernelINS0_14default_configENS1_27scan_by_key_config_selectorIxxEEZZNS1_16scan_by_key_implILNS1_25lookback_scan_determinismE0ELb0ES3_N6thrust23THRUST_200600_302600_NS6detail15normal_iteratorINS9_10device_ptrIxEEEESE_SE_xNS9_4plusIvEENS9_8equal_toIxEExEE10hipError_tPvRmT2_T3_T4_T5_mT6_T7_P12ihipStream_tbENKUlT_T0_E_clISt17integral_constantIbLb1EESZ_EEDaSU_SV_EUlSU_E_NS1_11comp_targetILNS1_3genE3ELNS1_11target_archE908ELNS1_3gpuE7ELNS1_3repE0EEENS1_30default_config_static_selectorELNS0_4arch9wavefront6targetE0EEEvT1_: ; @_ZN7rocprim17ROCPRIM_400000_NS6detail17trampoline_kernelINS0_14default_configENS1_27scan_by_key_config_selectorIxxEEZZNS1_16scan_by_key_implILNS1_25lookback_scan_determinismE0ELb0ES3_N6thrust23THRUST_200600_302600_NS6detail15normal_iteratorINS9_10device_ptrIxEEEESE_SE_xNS9_4plusIvEENS9_8equal_toIxEExEE10hipError_tPvRmT2_T3_T4_T5_mT6_T7_P12ihipStream_tbENKUlT_T0_E_clISt17integral_constantIbLb1EESZ_EEDaSU_SV_EUlSU_E_NS1_11comp_targetILNS1_3genE3ELNS1_11target_archE908ELNS1_3gpuE7ELNS1_3repE0EEENS1_30default_config_static_selectorELNS0_4arch9wavefront6targetE0EEEvT1_
; %bb.0:
	.section	.rodata,"a",@progbits
	.p2align	6, 0x0
	.amdhsa_kernel _ZN7rocprim17ROCPRIM_400000_NS6detail17trampoline_kernelINS0_14default_configENS1_27scan_by_key_config_selectorIxxEEZZNS1_16scan_by_key_implILNS1_25lookback_scan_determinismE0ELb0ES3_N6thrust23THRUST_200600_302600_NS6detail15normal_iteratorINS9_10device_ptrIxEEEESE_SE_xNS9_4plusIvEENS9_8equal_toIxEExEE10hipError_tPvRmT2_T3_T4_T5_mT6_T7_P12ihipStream_tbENKUlT_T0_E_clISt17integral_constantIbLb1EESZ_EEDaSU_SV_EUlSU_E_NS1_11comp_targetILNS1_3genE3ELNS1_11target_archE908ELNS1_3gpuE7ELNS1_3repE0EEENS1_30default_config_static_selectorELNS0_4arch9wavefront6targetE0EEEvT1_
		.amdhsa_group_segment_fixed_size 0
		.amdhsa_private_segment_fixed_size 0
		.amdhsa_kernarg_size 136
		.amdhsa_user_sgpr_count 2
		.amdhsa_user_sgpr_dispatch_ptr 0
		.amdhsa_user_sgpr_queue_ptr 0
		.amdhsa_user_sgpr_kernarg_segment_ptr 1
		.amdhsa_user_sgpr_dispatch_id 0
		.amdhsa_user_sgpr_kernarg_preload_length 0
		.amdhsa_user_sgpr_kernarg_preload_offset 0
		.amdhsa_user_sgpr_private_segment_size 0
		.amdhsa_wavefront_size32 1
		.amdhsa_uses_dynamic_stack 0
		.amdhsa_enable_private_segment 0
		.amdhsa_system_sgpr_workgroup_id_x 1
		.amdhsa_system_sgpr_workgroup_id_y 0
		.amdhsa_system_sgpr_workgroup_id_z 0
		.amdhsa_system_sgpr_workgroup_info 0
		.amdhsa_system_vgpr_workitem_id 0
		.amdhsa_next_free_vgpr 1
		.amdhsa_next_free_sgpr 1
		.amdhsa_named_barrier_count 0
		.amdhsa_reserve_vcc 0
		.amdhsa_float_round_mode_32 0
		.amdhsa_float_round_mode_16_64 0
		.amdhsa_float_denorm_mode_32 3
		.amdhsa_float_denorm_mode_16_64 3
		.amdhsa_fp16_overflow 0
		.amdhsa_memory_ordered 1
		.amdhsa_forward_progress 1
		.amdhsa_inst_pref_size 0
		.amdhsa_round_robin_scheduling 0
		.amdhsa_exception_fp_ieee_invalid_op 0
		.amdhsa_exception_fp_denorm_src 0
		.amdhsa_exception_fp_ieee_div_zero 0
		.amdhsa_exception_fp_ieee_overflow 0
		.amdhsa_exception_fp_ieee_underflow 0
		.amdhsa_exception_fp_ieee_inexact 0
		.amdhsa_exception_int_div_zero 0
	.end_amdhsa_kernel
	.section	.text._ZN7rocprim17ROCPRIM_400000_NS6detail17trampoline_kernelINS0_14default_configENS1_27scan_by_key_config_selectorIxxEEZZNS1_16scan_by_key_implILNS1_25lookback_scan_determinismE0ELb0ES3_N6thrust23THRUST_200600_302600_NS6detail15normal_iteratorINS9_10device_ptrIxEEEESE_SE_xNS9_4plusIvEENS9_8equal_toIxEExEE10hipError_tPvRmT2_T3_T4_T5_mT6_T7_P12ihipStream_tbENKUlT_T0_E_clISt17integral_constantIbLb1EESZ_EEDaSU_SV_EUlSU_E_NS1_11comp_targetILNS1_3genE3ELNS1_11target_archE908ELNS1_3gpuE7ELNS1_3repE0EEENS1_30default_config_static_selectorELNS0_4arch9wavefront6targetE0EEEvT1_,"axG",@progbits,_ZN7rocprim17ROCPRIM_400000_NS6detail17trampoline_kernelINS0_14default_configENS1_27scan_by_key_config_selectorIxxEEZZNS1_16scan_by_key_implILNS1_25lookback_scan_determinismE0ELb0ES3_N6thrust23THRUST_200600_302600_NS6detail15normal_iteratorINS9_10device_ptrIxEEEESE_SE_xNS9_4plusIvEENS9_8equal_toIxEExEE10hipError_tPvRmT2_T3_T4_T5_mT6_T7_P12ihipStream_tbENKUlT_T0_E_clISt17integral_constantIbLb1EESZ_EEDaSU_SV_EUlSU_E_NS1_11comp_targetILNS1_3genE3ELNS1_11target_archE908ELNS1_3gpuE7ELNS1_3repE0EEENS1_30default_config_static_selectorELNS0_4arch9wavefront6targetE0EEEvT1_,comdat
.Lfunc_end96:
	.size	_ZN7rocprim17ROCPRIM_400000_NS6detail17trampoline_kernelINS0_14default_configENS1_27scan_by_key_config_selectorIxxEEZZNS1_16scan_by_key_implILNS1_25lookback_scan_determinismE0ELb0ES3_N6thrust23THRUST_200600_302600_NS6detail15normal_iteratorINS9_10device_ptrIxEEEESE_SE_xNS9_4plusIvEENS9_8equal_toIxEExEE10hipError_tPvRmT2_T3_T4_T5_mT6_T7_P12ihipStream_tbENKUlT_T0_E_clISt17integral_constantIbLb1EESZ_EEDaSU_SV_EUlSU_E_NS1_11comp_targetILNS1_3genE3ELNS1_11target_archE908ELNS1_3gpuE7ELNS1_3repE0EEENS1_30default_config_static_selectorELNS0_4arch9wavefront6targetE0EEEvT1_, .Lfunc_end96-_ZN7rocprim17ROCPRIM_400000_NS6detail17trampoline_kernelINS0_14default_configENS1_27scan_by_key_config_selectorIxxEEZZNS1_16scan_by_key_implILNS1_25lookback_scan_determinismE0ELb0ES3_N6thrust23THRUST_200600_302600_NS6detail15normal_iteratorINS9_10device_ptrIxEEEESE_SE_xNS9_4plusIvEENS9_8equal_toIxEExEE10hipError_tPvRmT2_T3_T4_T5_mT6_T7_P12ihipStream_tbENKUlT_T0_E_clISt17integral_constantIbLb1EESZ_EEDaSU_SV_EUlSU_E_NS1_11comp_targetILNS1_3genE3ELNS1_11target_archE908ELNS1_3gpuE7ELNS1_3repE0EEENS1_30default_config_static_selectorELNS0_4arch9wavefront6targetE0EEEvT1_
                                        ; -- End function
	.set _ZN7rocprim17ROCPRIM_400000_NS6detail17trampoline_kernelINS0_14default_configENS1_27scan_by_key_config_selectorIxxEEZZNS1_16scan_by_key_implILNS1_25lookback_scan_determinismE0ELb0ES3_N6thrust23THRUST_200600_302600_NS6detail15normal_iteratorINS9_10device_ptrIxEEEESE_SE_xNS9_4plusIvEENS9_8equal_toIxEExEE10hipError_tPvRmT2_T3_T4_T5_mT6_T7_P12ihipStream_tbENKUlT_T0_E_clISt17integral_constantIbLb1EESZ_EEDaSU_SV_EUlSU_E_NS1_11comp_targetILNS1_3genE3ELNS1_11target_archE908ELNS1_3gpuE7ELNS1_3repE0EEENS1_30default_config_static_selectorELNS0_4arch9wavefront6targetE0EEEvT1_.num_vgpr, 0
	.set _ZN7rocprim17ROCPRIM_400000_NS6detail17trampoline_kernelINS0_14default_configENS1_27scan_by_key_config_selectorIxxEEZZNS1_16scan_by_key_implILNS1_25lookback_scan_determinismE0ELb0ES3_N6thrust23THRUST_200600_302600_NS6detail15normal_iteratorINS9_10device_ptrIxEEEESE_SE_xNS9_4plusIvEENS9_8equal_toIxEExEE10hipError_tPvRmT2_T3_T4_T5_mT6_T7_P12ihipStream_tbENKUlT_T0_E_clISt17integral_constantIbLb1EESZ_EEDaSU_SV_EUlSU_E_NS1_11comp_targetILNS1_3genE3ELNS1_11target_archE908ELNS1_3gpuE7ELNS1_3repE0EEENS1_30default_config_static_selectorELNS0_4arch9wavefront6targetE0EEEvT1_.num_agpr, 0
	.set _ZN7rocprim17ROCPRIM_400000_NS6detail17trampoline_kernelINS0_14default_configENS1_27scan_by_key_config_selectorIxxEEZZNS1_16scan_by_key_implILNS1_25lookback_scan_determinismE0ELb0ES3_N6thrust23THRUST_200600_302600_NS6detail15normal_iteratorINS9_10device_ptrIxEEEESE_SE_xNS9_4plusIvEENS9_8equal_toIxEExEE10hipError_tPvRmT2_T3_T4_T5_mT6_T7_P12ihipStream_tbENKUlT_T0_E_clISt17integral_constantIbLb1EESZ_EEDaSU_SV_EUlSU_E_NS1_11comp_targetILNS1_3genE3ELNS1_11target_archE908ELNS1_3gpuE7ELNS1_3repE0EEENS1_30default_config_static_selectorELNS0_4arch9wavefront6targetE0EEEvT1_.numbered_sgpr, 0
	.set _ZN7rocprim17ROCPRIM_400000_NS6detail17trampoline_kernelINS0_14default_configENS1_27scan_by_key_config_selectorIxxEEZZNS1_16scan_by_key_implILNS1_25lookback_scan_determinismE0ELb0ES3_N6thrust23THRUST_200600_302600_NS6detail15normal_iteratorINS9_10device_ptrIxEEEESE_SE_xNS9_4plusIvEENS9_8equal_toIxEExEE10hipError_tPvRmT2_T3_T4_T5_mT6_T7_P12ihipStream_tbENKUlT_T0_E_clISt17integral_constantIbLb1EESZ_EEDaSU_SV_EUlSU_E_NS1_11comp_targetILNS1_3genE3ELNS1_11target_archE908ELNS1_3gpuE7ELNS1_3repE0EEENS1_30default_config_static_selectorELNS0_4arch9wavefront6targetE0EEEvT1_.num_named_barrier, 0
	.set _ZN7rocprim17ROCPRIM_400000_NS6detail17trampoline_kernelINS0_14default_configENS1_27scan_by_key_config_selectorIxxEEZZNS1_16scan_by_key_implILNS1_25lookback_scan_determinismE0ELb0ES3_N6thrust23THRUST_200600_302600_NS6detail15normal_iteratorINS9_10device_ptrIxEEEESE_SE_xNS9_4plusIvEENS9_8equal_toIxEExEE10hipError_tPvRmT2_T3_T4_T5_mT6_T7_P12ihipStream_tbENKUlT_T0_E_clISt17integral_constantIbLb1EESZ_EEDaSU_SV_EUlSU_E_NS1_11comp_targetILNS1_3genE3ELNS1_11target_archE908ELNS1_3gpuE7ELNS1_3repE0EEENS1_30default_config_static_selectorELNS0_4arch9wavefront6targetE0EEEvT1_.private_seg_size, 0
	.set _ZN7rocprim17ROCPRIM_400000_NS6detail17trampoline_kernelINS0_14default_configENS1_27scan_by_key_config_selectorIxxEEZZNS1_16scan_by_key_implILNS1_25lookback_scan_determinismE0ELb0ES3_N6thrust23THRUST_200600_302600_NS6detail15normal_iteratorINS9_10device_ptrIxEEEESE_SE_xNS9_4plusIvEENS9_8equal_toIxEExEE10hipError_tPvRmT2_T3_T4_T5_mT6_T7_P12ihipStream_tbENKUlT_T0_E_clISt17integral_constantIbLb1EESZ_EEDaSU_SV_EUlSU_E_NS1_11comp_targetILNS1_3genE3ELNS1_11target_archE908ELNS1_3gpuE7ELNS1_3repE0EEENS1_30default_config_static_selectorELNS0_4arch9wavefront6targetE0EEEvT1_.uses_vcc, 0
	.set _ZN7rocprim17ROCPRIM_400000_NS6detail17trampoline_kernelINS0_14default_configENS1_27scan_by_key_config_selectorIxxEEZZNS1_16scan_by_key_implILNS1_25lookback_scan_determinismE0ELb0ES3_N6thrust23THRUST_200600_302600_NS6detail15normal_iteratorINS9_10device_ptrIxEEEESE_SE_xNS9_4plusIvEENS9_8equal_toIxEExEE10hipError_tPvRmT2_T3_T4_T5_mT6_T7_P12ihipStream_tbENKUlT_T0_E_clISt17integral_constantIbLb1EESZ_EEDaSU_SV_EUlSU_E_NS1_11comp_targetILNS1_3genE3ELNS1_11target_archE908ELNS1_3gpuE7ELNS1_3repE0EEENS1_30default_config_static_selectorELNS0_4arch9wavefront6targetE0EEEvT1_.uses_flat_scratch, 0
	.set _ZN7rocprim17ROCPRIM_400000_NS6detail17trampoline_kernelINS0_14default_configENS1_27scan_by_key_config_selectorIxxEEZZNS1_16scan_by_key_implILNS1_25lookback_scan_determinismE0ELb0ES3_N6thrust23THRUST_200600_302600_NS6detail15normal_iteratorINS9_10device_ptrIxEEEESE_SE_xNS9_4plusIvEENS9_8equal_toIxEExEE10hipError_tPvRmT2_T3_T4_T5_mT6_T7_P12ihipStream_tbENKUlT_T0_E_clISt17integral_constantIbLb1EESZ_EEDaSU_SV_EUlSU_E_NS1_11comp_targetILNS1_3genE3ELNS1_11target_archE908ELNS1_3gpuE7ELNS1_3repE0EEENS1_30default_config_static_selectorELNS0_4arch9wavefront6targetE0EEEvT1_.has_dyn_sized_stack, 0
	.set _ZN7rocprim17ROCPRIM_400000_NS6detail17trampoline_kernelINS0_14default_configENS1_27scan_by_key_config_selectorIxxEEZZNS1_16scan_by_key_implILNS1_25lookback_scan_determinismE0ELb0ES3_N6thrust23THRUST_200600_302600_NS6detail15normal_iteratorINS9_10device_ptrIxEEEESE_SE_xNS9_4plusIvEENS9_8equal_toIxEExEE10hipError_tPvRmT2_T3_T4_T5_mT6_T7_P12ihipStream_tbENKUlT_T0_E_clISt17integral_constantIbLb1EESZ_EEDaSU_SV_EUlSU_E_NS1_11comp_targetILNS1_3genE3ELNS1_11target_archE908ELNS1_3gpuE7ELNS1_3repE0EEENS1_30default_config_static_selectorELNS0_4arch9wavefront6targetE0EEEvT1_.has_recursion, 0
	.set _ZN7rocprim17ROCPRIM_400000_NS6detail17trampoline_kernelINS0_14default_configENS1_27scan_by_key_config_selectorIxxEEZZNS1_16scan_by_key_implILNS1_25lookback_scan_determinismE0ELb0ES3_N6thrust23THRUST_200600_302600_NS6detail15normal_iteratorINS9_10device_ptrIxEEEESE_SE_xNS9_4plusIvEENS9_8equal_toIxEExEE10hipError_tPvRmT2_T3_T4_T5_mT6_T7_P12ihipStream_tbENKUlT_T0_E_clISt17integral_constantIbLb1EESZ_EEDaSU_SV_EUlSU_E_NS1_11comp_targetILNS1_3genE3ELNS1_11target_archE908ELNS1_3gpuE7ELNS1_3repE0EEENS1_30default_config_static_selectorELNS0_4arch9wavefront6targetE0EEEvT1_.has_indirect_call, 0
	.section	.AMDGPU.csdata,"",@progbits
; Kernel info:
; codeLenInByte = 0
; TotalNumSgprs: 0
; NumVgprs: 0
; ScratchSize: 0
; MemoryBound: 0
; FloatMode: 240
; IeeeMode: 1
; LDSByteSize: 0 bytes/workgroup (compile time only)
; SGPRBlocks: 0
; VGPRBlocks: 0
; NumSGPRsForWavesPerEU: 1
; NumVGPRsForWavesPerEU: 1
; NamedBarCnt: 0
; Occupancy: 16
; WaveLimiterHint : 0
; COMPUTE_PGM_RSRC2:SCRATCH_EN: 0
; COMPUTE_PGM_RSRC2:USER_SGPR: 2
; COMPUTE_PGM_RSRC2:TRAP_HANDLER: 0
; COMPUTE_PGM_RSRC2:TGID_X_EN: 1
; COMPUTE_PGM_RSRC2:TGID_Y_EN: 0
; COMPUTE_PGM_RSRC2:TGID_Z_EN: 0
; COMPUTE_PGM_RSRC2:TIDIG_COMP_CNT: 0
	.section	.text._ZN7rocprim17ROCPRIM_400000_NS6detail17trampoline_kernelINS0_14default_configENS1_27scan_by_key_config_selectorIxxEEZZNS1_16scan_by_key_implILNS1_25lookback_scan_determinismE0ELb0ES3_N6thrust23THRUST_200600_302600_NS6detail15normal_iteratorINS9_10device_ptrIxEEEESE_SE_xNS9_4plusIvEENS9_8equal_toIxEExEE10hipError_tPvRmT2_T3_T4_T5_mT6_T7_P12ihipStream_tbENKUlT_T0_E_clISt17integral_constantIbLb1EESZ_EEDaSU_SV_EUlSU_E_NS1_11comp_targetILNS1_3genE2ELNS1_11target_archE906ELNS1_3gpuE6ELNS1_3repE0EEENS1_30default_config_static_selectorELNS0_4arch9wavefront6targetE0EEEvT1_,"axG",@progbits,_ZN7rocprim17ROCPRIM_400000_NS6detail17trampoline_kernelINS0_14default_configENS1_27scan_by_key_config_selectorIxxEEZZNS1_16scan_by_key_implILNS1_25lookback_scan_determinismE0ELb0ES3_N6thrust23THRUST_200600_302600_NS6detail15normal_iteratorINS9_10device_ptrIxEEEESE_SE_xNS9_4plusIvEENS9_8equal_toIxEExEE10hipError_tPvRmT2_T3_T4_T5_mT6_T7_P12ihipStream_tbENKUlT_T0_E_clISt17integral_constantIbLb1EESZ_EEDaSU_SV_EUlSU_E_NS1_11comp_targetILNS1_3genE2ELNS1_11target_archE906ELNS1_3gpuE6ELNS1_3repE0EEENS1_30default_config_static_selectorELNS0_4arch9wavefront6targetE0EEEvT1_,comdat
	.protected	_ZN7rocprim17ROCPRIM_400000_NS6detail17trampoline_kernelINS0_14default_configENS1_27scan_by_key_config_selectorIxxEEZZNS1_16scan_by_key_implILNS1_25lookback_scan_determinismE0ELb0ES3_N6thrust23THRUST_200600_302600_NS6detail15normal_iteratorINS9_10device_ptrIxEEEESE_SE_xNS9_4plusIvEENS9_8equal_toIxEExEE10hipError_tPvRmT2_T3_T4_T5_mT6_T7_P12ihipStream_tbENKUlT_T0_E_clISt17integral_constantIbLb1EESZ_EEDaSU_SV_EUlSU_E_NS1_11comp_targetILNS1_3genE2ELNS1_11target_archE906ELNS1_3gpuE6ELNS1_3repE0EEENS1_30default_config_static_selectorELNS0_4arch9wavefront6targetE0EEEvT1_ ; -- Begin function _ZN7rocprim17ROCPRIM_400000_NS6detail17trampoline_kernelINS0_14default_configENS1_27scan_by_key_config_selectorIxxEEZZNS1_16scan_by_key_implILNS1_25lookback_scan_determinismE0ELb0ES3_N6thrust23THRUST_200600_302600_NS6detail15normal_iteratorINS9_10device_ptrIxEEEESE_SE_xNS9_4plusIvEENS9_8equal_toIxEExEE10hipError_tPvRmT2_T3_T4_T5_mT6_T7_P12ihipStream_tbENKUlT_T0_E_clISt17integral_constantIbLb1EESZ_EEDaSU_SV_EUlSU_E_NS1_11comp_targetILNS1_3genE2ELNS1_11target_archE906ELNS1_3gpuE6ELNS1_3repE0EEENS1_30default_config_static_selectorELNS0_4arch9wavefront6targetE0EEEvT1_
	.globl	_ZN7rocprim17ROCPRIM_400000_NS6detail17trampoline_kernelINS0_14default_configENS1_27scan_by_key_config_selectorIxxEEZZNS1_16scan_by_key_implILNS1_25lookback_scan_determinismE0ELb0ES3_N6thrust23THRUST_200600_302600_NS6detail15normal_iteratorINS9_10device_ptrIxEEEESE_SE_xNS9_4plusIvEENS9_8equal_toIxEExEE10hipError_tPvRmT2_T3_T4_T5_mT6_T7_P12ihipStream_tbENKUlT_T0_E_clISt17integral_constantIbLb1EESZ_EEDaSU_SV_EUlSU_E_NS1_11comp_targetILNS1_3genE2ELNS1_11target_archE906ELNS1_3gpuE6ELNS1_3repE0EEENS1_30default_config_static_selectorELNS0_4arch9wavefront6targetE0EEEvT1_
	.p2align	8
	.type	_ZN7rocprim17ROCPRIM_400000_NS6detail17trampoline_kernelINS0_14default_configENS1_27scan_by_key_config_selectorIxxEEZZNS1_16scan_by_key_implILNS1_25lookback_scan_determinismE0ELb0ES3_N6thrust23THRUST_200600_302600_NS6detail15normal_iteratorINS9_10device_ptrIxEEEESE_SE_xNS9_4plusIvEENS9_8equal_toIxEExEE10hipError_tPvRmT2_T3_T4_T5_mT6_T7_P12ihipStream_tbENKUlT_T0_E_clISt17integral_constantIbLb1EESZ_EEDaSU_SV_EUlSU_E_NS1_11comp_targetILNS1_3genE2ELNS1_11target_archE906ELNS1_3gpuE6ELNS1_3repE0EEENS1_30default_config_static_selectorELNS0_4arch9wavefront6targetE0EEEvT1_,@function
_ZN7rocprim17ROCPRIM_400000_NS6detail17trampoline_kernelINS0_14default_configENS1_27scan_by_key_config_selectorIxxEEZZNS1_16scan_by_key_implILNS1_25lookback_scan_determinismE0ELb0ES3_N6thrust23THRUST_200600_302600_NS6detail15normal_iteratorINS9_10device_ptrIxEEEESE_SE_xNS9_4plusIvEENS9_8equal_toIxEExEE10hipError_tPvRmT2_T3_T4_T5_mT6_T7_P12ihipStream_tbENKUlT_T0_E_clISt17integral_constantIbLb1EESZ_EEDaSU_SV_EUlSU_E_NS1_11comp_targetILNS1_3genE2ELNS1_11target_archE906ELNS1_3gpuE6ELNS1_3repE0EEENS1_30default_config_static_selectorELNS0_4arch9wavefront6targetE0EEEvT1_: ; @_ZN7rocprim17ROCPRIM_400000_NS6detail17trampoline_kernelINS0_14default_configENS1_27scan_by_key_config_selectorIxxEEZZNS1_16scan_by_key_implILNS1_25lookback_scan_determinismE0ELb0ES3_N6thrust23THRUST_200600_302600_NS6detail15normal_iteratorINS9_10device_ptrIxEEEESE_SE_xNS9_4plusIvEENS9_8equal_toIxEExEE10hipError_tPvRmT2_T3_T4_T5_mT6_T7_P12ihipStream_tbENKUlT_T0_E_clISt17integral_constantIbLb1EESZ_EEDaSU_SV_EUlSU_E_NS1_11comp_targetILNS1_3genE2ELNS1_11target_archE906ELNS1_3gpuE6ELNS1_3repE0EEENS1_30default_config_static_selectorELNS0_4arch9wavefront6targetE0EEEvT1_
; %bb.0:
	.section	.rodata,"a",@progbits
	.p2align	6, 0x0
	.amdhsa_kernel _ZN7rocprim17ROCPRIM_400000_NS6detail17trampoline_kernelINS0_14default_configENS1_27scan_by_key_config_selectorIxxEEZZNS1_16scan_by_key_implILNS1_25lookback_scan_determinismE0ELb0ES3_N6thrust23THRUST_200600_302600_NS6detail15normal_iteratorINS9_10device_ptrIxEEEESE_SE_xNS9_4plusIvEENS9_8equal_toIxEExEE10hipError_tPvRmT2_T3_T4_T5_mT6_T7_P12ihipStream_tbENKUlT_T0_E_clISt17integral_constantIbLb1EESZ_EEDaSU_SV_EUlSU_E_NS1_11comp_targetILNS1_3genE2ELNS1_11target_archE906ELNS1_3gpuE6ELNS1_3repE0EEENS1_30default_config_static_selectorELNS0_4arch9wavefront6targetE0EEEvT1_
		.amdhsa_group_segment_fixed_size 0
		.amdhsa_private_segment_fixed_size 0
		.amdhsa_kernarg_size 136
		.amdhsa_user_sgpr_count 2
		.amdhsa_user_sgpr_dispatch_ptr 0
		.amdhsa_user_sgpr_queue_ptr 0
		.amdhsa_user_sgpr_kernarg_segment_ptr 1
		.amdhsa_user_sgpr_dispatch_id 0
		.amdhsa_user_sgpr_kernarg_preload_length 0
		.amdhsa_user_sgpr_kernarg_preload_offset 0
		.amdhsa_user_sgpr_private_segment_size 0
		.amdhsa_wavefront_size32 1
		.amdhsa_uses_dynamic_stack 0
		.amdhsa_enable_private_segment 0
		.amdhsa_system_sgpr_workgroup_id_x 1
		.amdhsa_system_sgpr_workgroup_id_y 0
		.amdhsa_system_sgpr_workgroup_id_z 0
		.amdhsa_system_sgpr_workgroup_info 0
		.amdhsa_system_vgpr_workitem_id 0
		.amdhsa_next_free_vgpr 1
		.amdhsa_next_free_sgpr 1
		.amdhsa_named_barrier_count 0
		.amdhsa_reserve_vcc 0
		.amdhsa_float_round_mode_32 0
		.amdhsa_float_round_mode_16_64 0
		.amdhsa_float_denorm_mode_32 3
		.amdhsa_float_denorm_mode_16_64 3
		.amdhsa_fp16_overflow 0
		.amdhsa_memory_ordered 1
		.amdhsa_forward_progress 1
		.amdhsa_inst_pref_size 0
		.amdhsa_round_robin_scheduling 0
		.amdhsa_exception_fp_ieee_invalid_op 0
		.amdhsa_exception_fp_denorm_src 0
		.amdhsa_exception_fp_ieee_div_zero 0
		.amdhsa_exception_fp_ieee_overflow 0
		.amdhsa_exception_fp_ieee_underflow 0
		.amdhsa_exception_fp_ieee_inexact 0
		.amdhsa_exception_int_div_zero 0
	.end_amdhsa_kernel
	.section	.text._ZN7rocprim17ROCPRIM_400000_NS6detail17trampoline_kernelINS0_14default_configENS1_27scan_by_key_config_selectorIxxEEZZNS1_16scan_by_key_implILNS1_25lookback_scan_determinismE0ELb0ES3_N6thrust23THRUST_200600_302600_NS6detail15normal_iteratorINS9_10device_ptrIxEEEESE_SE_xNS9_4plusIvEENS9_8equal_toIxEExEE10hipError_tPvRmT2_T3_T4_T5_mT6_T7_P12ihipStream_tbENKUlT_T0_E_clISt17integral_constantIbLb1EESZ_EEDaSU_SV_EUlSU_E_NS1_11comp_targetILNS1_3genE2ELNS1_11target_archE906ELNS1_3gpuE6ELNS1_3repE0EEENS1_30default_config_static_selectorELNS0_4arch9wavefront6targetE0EEEvT1_,"axG",@progbits,_ZN7rocprim17ROCPRIM_400000_NS6detail17trampoline_kernelINS0_14default_configENS1_27scan_by_key_config_selectorIxxEEZZNS1_16scan_by_key_implILNS1_25lookback_scan_determinismE0ELb0ES3_N6thrust23THRUST_200600_302600_NS6detail15normal_iteratorINS9_10device_ptrIxEEEESE_SE_xNS9_4plusIvEENS9_8equal_toIxEExEE10hipError_tPvRmT2_T3_T4_T5_mT6_T7_P12ihipStream_tbENKUlT_T0_E_clISt17integral_constantIbLb1EESZ_EEDaSU_SV_EUlSU_E_NS1_11comp_targetILNS1_3genE2ELNS1_11target_archE906ELNS1_3gpuE6ELNS1_3repE0EEENS1_30default_config_static_selectorELNS0_4arch9wavefront6targetE0EEEvT1_,comdat
.Lfunc_end97:
	.size	_ZN7rocprim17ROCPRIM_400000_NS6detail17trampoline_kernelINS0_14default_configENS1_27scan_by_key_config_selectorIxxEEZZNS1_16scan_by_key_implILNS1_25lookback_scan_determinismE0ELb0ES3_N6thrust23THRUST_200600_302600_NS6detail15normal_iteratorINS9_10device_ptrIxEEEESE_SE_xNS9_4plusIvEENS9_8equal_toIxEExEE10hipError_tPvRmT2_T3_T4_T5_mT6_T7_P12ihipStream_tbENKUlT_T0_E_clISt17integral_constantIbLb1EESZ_EEDaSU_SV_EUlSU_E_NS1_11comp_targetILNS1_3genE2ELNS1_11target_archE906ELNS1_3gpuE6ELNS1_3repE0EEENS1_30default_config_static_selectorELNS0_4arch9wavefront6targetE0EEEvT1_, .Lfunc_end97-_ZN7rocprim17ROCPRIM_400000_NS6detail17trampoline_kernelINS0_14default_configENS1_27scan_by_key_config_selectorIxxEEZZNS1_16scan_by_key_implILNS1_25lookback_scan_determinismE0ELb0ES3_N6thrust23THRUST_200600_302600_NS6detail15normal_iteratorINS9_10device_ptrIxEEEESE_SE_xNS9_4plusIvEENS9_8equal_toIxEExEE10hipError_tPvRmT2_T3_T4_T5_mT6_T7_P12ihipStream_tbENKUlT_T0_E_clISt17integral_constantIbLb1EESZ_EEDaSU_SV_EUlSU_E_NS1_11comp_targetILNS1_3genE2ELNS1_11target_archE906ELNS1_3gpuE6ELNS1_3repE0EEENS1_30default_config_static_selectorELNS0_4arch9wavefront6targetE0EEEvT1_
                                        ; -- End function
	.set _ZN7rocprim17ROCPRIM_400000_NS6detail17trampoline_kernelINS0_14default_configENS1_27scan_by_key_config_selectorIxxEEZZNS1_16scan_by_key_implILNS1_25lookback_scan_determinismE0ELb0ES3_N6thrust23THRUST_200600_302600_NS6detail15normal_iteratorINS9_10device_ptrIxEEEESE_SE_xNS9_4plusIvEENS9_8equal_toIxEExEE10hipError_tPvRmT2_T3_T4_T5_mT6_T7_P12ihipStream_tbENKUlT_T0_E_clISt17integral_constantIbLb1EESZ_EEDaSU_SV_EUlSU_E_NS1_11comp_targetILNS1_3genE2ELNS1_11target_archE906ELNS1_3gpuE6ELNS1_3repE0EEENS1_30default_config_static_selectorELNS0_4arch9wavefront6targetE0EEEvT1_.num_vgpr, 0
	.set _ZN7rocprim17ROCPRIM_400000_NS6detail17trampoline_kernelINS0_14default_configENS1_27scan_by_key_config_selectorIxxEEZZNS1_16scan_by_key_implILNS1_25lookback_scan_determinismE0ELb0ES3_N6thrust23THRUST_200600_302600_NS6detail15normal_iteratorINS9_10device_ptrIxEEEESE_SE_xNS9_4plusIvEENS9_8equal_toIxEExEE10hipError_tPvRmT2_T3_T4_T5_mT6_T7_P12ihipStream_tbENKUlT_T0_E_clISt17integral_constantIbLb1EESZ_EEDaSU_SV_EUlSU_E_NS1_11comp_targetILNS1_3genE2ELNS1_11target_archE906ELNS1_3gpuE6ELNS1_3repE0EEENS1_30default_config_static_selectorELNS0_4arch9wavefront6targetE0EEEvT1_.num_agpr, 0
	.set _ZN7rocprim17ROCPRIM_400000_NS6detail17trampoline_kernelINS0_14default_configENS1_27scan_by_key_config_selectorIxxEEZZNS1_16scan_by_key_implILNS1_25lookback_scan_determinismE0ELb0ES3_N6thrust23THRUST_200600_302600_NS6detail15normal_iteratorINS9_10device_ptrIxEEEESE_SE_xNS9_4plusIvEENS9_8equal_toIxEExEE10hipError_tPvRmT2_T3_T4_T5_mT6_T7_P12ihipStream_tbENKUlT_T0_E_clISt17integral_constantIbLb1EESZ_EEDaSU_SV_EUlSU_E_NS1_11comp_targetILNS1_3genE2ELNS1_11target_archE906ELNS1_3gpuE6ELNS1_3repE0EEENS1_30default_config_static_selectorELNS0_4arch9wavefront6targetE0EEEvT1_.numbered_sgpr, 0
	.set _ZN7rocprim17ROCPRIM_400000_NS6detail17trampoline_kernelINS0_14default_configENS1_27scan_by_key_config_selectorIxxEEZZNS1_16scan_by_key_implILNS1_25lookback_scan_determinismE0ELb0ES3_N6thrust23THRUST_200600_302600_NS6detail15normal_iteratorINS9_10device_ptrIxEEEESE_SE_xNS9_4plusIvEENS9_8equal_toIxEExEE10hipError_tPvRmT2_T3_T4_T5_mT6_T7_P12ihipStream_tbENKUlT_T0_E_clISt17integral_constantIbLb1EESZ_EEDaSU_SV_EUlSU_E_NS1_11comp_targetILNS1_3genE2ELNS1_11target_archE906ELNS1_3gpuE6ELNS1_3repE0EEENS1_30default_config_static_selectorELNS0_4arch9wavefront6targetE0EEEvT1_.num_named_barrier, 0
	.set _ZN7rocprim17ROCPRIM_400000_NS6detail17trampoline_kernelINS0_14default_configENS1_27scan_by_key_config_selectorIxxEEZZNS1_16scan_by_key_implILNS1_25lookback_scan_determinismE0ELb0ES3_N6thrust23THRUST_200600_302600_NS6detail15normal_iteratorINS9_10device_ptrIxEEEESE_SE_xNS9_4plusIvEENS9_8equal_toIxEExEE10hipError_tPvRmT2_T3_T4_T5_mT6_T7_P12ihipStream_tbENKUlT_T0_E_clISt17integral_constantIbLb1EESZ_EEDaSU_SV_EUlSU_E_NS1_11comp_targetILNS1_3genE2ELNS1_11target_archE906ELNS1_3gpuE6ELNS1_3repE0EEENS1_30default_config_static_selectorELNS0_4arch9wavefront6targetE0EEEvT1_.private_seg_size, 0
	.set _ZN7rocprim17ROCPRIM_400000_NS6detail17trampoline_kernelINS0_14default_configENS1_27scan_by_key_config_selectorIxxEEZZNS1_16scan_by_key_implILNS1_25lookback_scan_determinismE0ELb0ES3_N6thrust23THRUST_200600_302600_NS6detail15normal_iteratorINS9_10device_ptrIxEEEESE_SE_xNS9_4plusIvEENS9_8equal_toIxEExEE10hipError_tPvRmT2_T3_T4_T5_mT6_T7_P12ihipStream_tbENKUlT_T0_E_clISt17integral_constantIbLb1EESZ_EEDaSU_SV_EUlSU_E_NS1_11comp_targetILNS1_3genE2ELNS1_11target_archE906ELNS1_3gpuE6ELNS1_3repE0EEENS1_30default_config_static_selectorELNS0_4arch9wavefront6targetE0EEEvT1_.uses_vcc, 0
	.set _ZN7rocprim17ROCPRIM_400000_NS6detail17trampoline_kernelINS0_14default_configENS1_27scan_by_key_config_selectorIxxEEZZNS1_16scan_by_key_implILNS1_25lookback_scan_determinismE0ELb0ES3_N6thrust23THRUST_200600_302600_NS6detail15normal_iteratorINS9_10device_ptrIxEEEESE_SE_xNS9_4plusIvEENS9_8equal_toIxEExEE10hipError_tPvRmT2_T3_T4_T5_mT6_T7_P12ihipStream_tbENKUlT_T0_E_clISt17integral_constantIbLb1EESZ_EEDaSU_SV_EUlSU_E_NS1_11comp_targetILNS1_3genE2ELNS1_11target_archE906ELNS1_3gpuE6ELNS1_3repE0EEENS1_30default_config_static_selectorELNS0_4arch9wavefront6targetE0EEEvT1_.uses_flat_scratch, 0
	.set _ZN7rocprim17ROCPRIM_400000_NS6detail17trampoline_kernelINS0_14default_configENS1_27scan_by_key_config_selectorIxxEEZZNS1_16scan_by_key_implILNS1_25lookback_scan_determinismE0ELb0ES3_N6thrust23THRUST_200600_302600_NS6detail15normal_iteratorINS9_10device_ptrIxEEEESE_SE_xNS9_4plusIvEENS9_8equal_toIxEExEE10hipError_tPvRmT2_T3_T4_T5_mT6_T7_P12ihipStream_tbENKUlT_T0_E_clISt17integral_constantIbLb1EESZ_EEDaSU_SV_EUlSU_E_NS1_11comp_targetILNS1_3genE2ELNS1_11target_archE906ELNS1_3gpuE6ELNS1_3repE0EEENS1_30default_config_static_selectorELNS0_4arch9wavefront6targetE0EEEvT1_.has_dyn_sized_stack, 0
	.set _ZN7rocprim17ROCPRIM_400000_NS6detail17trampoline_kernelINS0_14default_configENS1_27scan_by_key_config_selectorIxxEEZZNS1_16scan_by_key_implILNS1_25lookback_scan_determinismE0ELb0ES3_N6thrust23THRUST_200600_302600_NS6detail15normal_iteratorINS9_10device_ptrIxEEEESE_SE_xNS9_4plusIvEENS9_8equal_toIxEExEE10hipError_tPvRmT2_T3_T4_T5_mT6_T7_P12ihipStream_tbENKUlT_T0_E_clISt17integral_constantIbLb1EESZ_EEDaSU_SV_EUlSU_E_NS1_11comp_targetILNS1_3genE2ELNS1_11target_archE906ELNS1_3gpuE6ELNS1_3repE0EEENS1_30default_config_static_selectorELNS0_4arch9wavefront6targetE0EEEvT1_.has_recursion, 0
	.set _ZN7rocprim17ROCPRIM_400000_NS6detail17trampoline_kernelINS0_14default_configENS1_27scan_by_key_config_selectorIxxEEZZNS1_16scan_by_key_implILNS1_25lookback_scan_determinismE0ELb0ES3_N6thrust23THRUST_200600_302600_NS6detail15normal_iteratorINS9_10device_ptrIxEEEESE_SE_xNS9_4plusIvEENS9_8equal_toIxEExEE10hipError_tPvRmT2_T3_T4_T5_mT6_T7_P12ihipStream_tbENKUlT_T0_E_clISt17integral_constantIbLb1EESZ_EEDaSU_SV_EUlSU_E_NS1_11comp_targetILNS1_3genE2ELNS1_11target_archE906ELNS1_3gpuE6ELNS1_3repE0EEENS1_30default_config_static_selectorELNS0_4arch9wavefront6targetE0EEEvT1_.has_indirect_call, 0
	.section	.AMDGPU.csdata,"",@progbits
; Kernel info:
; codeLenInByte = 0
; TotalNumSgprs: 0
; NumVgprs: 0
; ScratchSize: 0
; MemoryBound: 0
; FloatMode: 240
; IeeeMode: 1
; LDSByteSize: 0 bytes/workgroup (compile time only)
; SGPRBlocks: 0
; VGPRBlocks: 0
; NumSGPRsForWavesPerEU: 1
; NumVGPRsForWavesPerEU: 1
; NamedBarCnt: 0
; Occupancy: 16
; WaveLimiterHint : 0
; COMPUTE_PGM_RSRC2:SCRATCH_EN: 0
; COMPUTE_PGM_RSRC2:USER_SGPR: 2
; COMPUTE_PGM_RSRC2:TRAP_HANDLER: 0
; COMPUTE_PGM_RSRC2:TGID_X_EN: 1
; COMPUTE_PGM_RSRC2:TGID_Y_EN: 0
; COMPUTE_PGM_RSRC2:TGID_Z_EN: 0
; COMPUTE_PGM_RSRC2:TIDIG_COMP_CNT: 0
	.section	.text._ZN7rocprim17ROCPRIM_400000_NS6detail17trampoline_kernelINS0_14default_configENS1_27scan_by_key_config_selectorIxxEEZZNS1_16scan_by_key_implILNS1_25lookback_scan_determinismE0ELb0ES3_N6thrust23THRUST_200600_302600_NS6detail15normal_iteratorINS9_10device_ptrIxEEEESE_SE_xNS9_4plusIvEENS9_8equal_toIxEExEE10hipError_tPvRmT2_T3_T4_T5_mT6_T7_P12ihipStream_tbENKUlT_T0_E_clISt17integral_constantIbLb1EESZ_EEDaSU_SV_EUlSU_E_NS1_11comp_targetILNS1_3genE10ELNS1_11target_archE1200ELNS1_3gpuE4ELNS1_3repE0EEENS1_30default_config_static_selectorELNS0_4arch9wavefront6targetE0EEEvT1_,"axG",@progbits,_ZN7rocprim17ROCPRIM_400000_NS6detail17trampoline_kernelINS0_14default_configENS1_27scan_by_key_config_selectorIxxEEZZNS1_16scan_by_key_implILNS1_25lookback_scan_determinismE0ELb0ES3_N6thrust23THRUST_200600_302600_NS6detail15normal_iteratorINS9_10device_ptrIxEEEESE_SE_xNS9_4plusIvEENS9_8equal_toIxEExEE10hipError_tPvRmT2_T3_T4_T5_mT6_T7_P12ihipStream_tbENKUlT_T0_E_clISt17integral_constantIbLb1EESZ_EEDaSU_SV_EUlSU_E_NS1_11comp_targetILNS1_3genE10ELNS1_11target_archE1200ELNS1_3gpuE4ELNS1_3repE0EEENS1_30default_config_static_selectorELNS0_4arch9wavefront6targetE0EEEvT1_,comdat
	.protected	_ZN7rocprim17ROCPRIM_400000_NS6detail17trampoline_kernelINS0_14default_configENS1_27scan_by_key_config_selectorIxxEEZZNS1_16scan_by_key_implILNS1_25lookback_scan_determinismE0ELb0ES3_N6thrust23THRUST_200600_302600_NS6detail15normal_iteratorINS9_10device_ptrIxEEEESE_SE_xNS9_4plusIvEENS9_8equal_toIxEExEE10hipError_tPvRmT2_T3_T4_T5_mT6_T7_P12ihipStream_tbENKUlT_T0_E_clISt17integral_constantIbLb1EESZ_EEDaSU_SV_EUlSU_E_NS1_11comp_targetILNS1_3genE10ELNS1_11target_archE1200ELNS1_3gpuE4ELNS1_3repE0EEENS1_30default_config_static_selectorELNS0_4arch9wavefront6targetE0EEEvT1_ ; -- Begin function _ZN7rocprim17ROCPRIM_400000_NS6detail17trampoline_kernelINS0_14default_configENS1_27scan_by_key_config_selectorIxxEEZZNS1_16scan_by_key_implILNS1_25lookback_scan_determinismE0ELb0ES3_N6thrust23THRUST_200600_302600_NS6detail15normal_iteratorINS9_10device_ptrIxEEEESE_SE_xNS9_4plusIvEENS9_8equal_toIxEExEE10hipError_tPvRmT2_T3_T4_T5_mT6_T7_P12ihipStream_tbENKUlT_T0_E_clISt17integral_constantIbLb1EESZ_EEDaSU_SV_EUlSU_E_NS1_11comp_targetILNS1_3genE10ELNS1_11target_archE1200ELNS1_3gpuE4ELNS1_3repE0EEENS1_30default_config_static_selectorELNS0_4arch9wavefront6targetE0EEEvT1_
	.globl	_ZN7rocprim17ROCPRIM_400000_NS6detail17trampoline_kernelINS0_14default_configENS1_27scan_by_key_config_selectorIxxEEZZNS1_16scan_by_key_implILNS1_25lookback_scan_determinismE0ELb0ES3_N6thrust23THRUST_200600_302600_NS6detail15normal_iteratorINS9_10device_ptrIxEEEESE_SE_xNS9_4plusIvEENS9_8equal_toIxEExEE10hipError_tPvRmT2_T3_T4_T5_mT6_T7_P12ihipStream_tbENKUlT_T0_E_clISt17integral_constantIbLb1EESZ_EEDaSU_SV_EUlSU_E_NS1_11comp_targetILNS1_3genE10ELNS1_11target_archE1200ELNS1_3gpuE4ELNS1_3repE0EEENS1_30default_config_static_selectorELNS0_4arch9wavefront6targetE0EEEvT1_
	.p2align	8
	.type	_ZN7rocprim17ROCPRIM_400000_NS6detail17trampoline_kernelINS0_14default_configENS1_27scan_by_key_config_selectorIxxEEZZNS1_16scan_by_key_implILNS1_25lookback_scan_determinismE0ELb0ES3_N6thrust23THRUST_200600_302600_NS6detail15normal_iteratorINS9_10device_ptrIxEEEESE_SE_xNS9_4plusIvEENS9_8equal_toIxEExEE10hipError_tPvRmT2_T3_T4_T5_mT6_T7_P12ihipStream_tbENKUlT_T0_E_clISt17integral_constantIbLb1EESZ_EEDaSU_SV_EUlSU_E_NS1_11comp_targetILNS1_3genE10ELNS1_11target_archE1200ELNS1_3gpuE4ELNS1_3repE0EEENS1_30default_config_static_selectorELNS0_4arch9wavefront6targetE0EEEvT1_,@function
_ZN7rocprim17ROCPRIM_400000_NS6detail17trampoline_kernelINS0_14default_configENS1_27scan_by_key_config_selectorIxxEEZZNS1_16scan_by_key_implILNS1_25lookback_scan_determinismE0ELb0ES3_N6thrust23THRUST_200600_302600_NS6detail15normal_iteratorINS9_10device_ptrIxEEEESE_SE_xNS9_4plusIvEENS9_8equal_toIxEExEE10hipError_tPvRmT2_T3_T4_T5_mT6_T7_P12ihipStream_tbENKUlT_T0_E_clISt17integral_constantIbLb1EESZ_EEDaSU_SV_EUlSU_E_NS1_11comp_targetILNS1_3genE10ELNS1_11target_archE1200ELNS1_3gpuE4ELNS1_3repE0EEENS1_30default_config_static_selectorELNS0_4arch9wavefront6targetE0EEEvT1_: ; @_ZN7rocprim17ROCPRIM_400000_NS6detail17trampoline_kernelINS0_14default_configENS1_27scan_by_key_config_selectorIxxEEZZNS1_16scan_by_key_implILNS1_25lookback_scan_determinismE0ELb0ES3_N6thrust23THRUST_200600_302600_NS6detail15normal_iteratorINS9_10device_ptrIxEEEESE_SE_xNS9_4plusIvEENS9_8equal_toIxEExEE10hipError_tPvRmT2_T3_T4_T5_mT6_T7_P12ihipStream_tbENKUlT_T0_E_clISt17integral_constantIbLb1EESZ_EEDaSU_SV_EUlSU_E_NS1_11comp_targetILNS1_3genE10ELNS1_11target_archE1200ELNS1_3gpuE4ELNS1_3repE0EEENS1_30default_config_static_selectorELNS0_4arch9wavefront6targetE0EEEvT1_
; %bb.0:
	.section	.rodata,"a",@progbits
	.p2align	6, 0x0
	.amdhsa_kernel _ZN7rocprim17ROCPRIM_400000_NS6detail17trampoline_kernelINS0_14default_configENS1_27scan_by_key_config_selectorIxxEEZZNS1_16scan_by_key_implILNS1_25lookback_scan_determinismE0ELb0ES3_N6thrust23THRUST_200600_302600_NS6detail15normal_iteratorINS9_10device_ptrIxEEEESE_SE_xNS9_4plusIvEENS9_8equal_toIxEExEE10hipError_tPvRmT2_T3_T4_T5_mT6_T7_P12ihipStream_tbENKUlT_T0_E_clISt17integral_constantIbLb1EESZ_EEDaSU_SV_EUlSU_E_NS1_11comp_targetILNS1_3genE10ELNS1_11target_archE1200ELNS1_3gpuE4ELNS1_3repE0EEENS1_30default_config_static_selectorELNS0_4arch9wavefront6targetE0EEEvT1_
		.amdhsa_group_segment_fixed_size 0
		.amdhsa_private_segment_fixed_size 0
		.amdhsa_kernarg_size 136
		.amdhsa_user_sgpr_count 2
		.amdhsa_user_sgpr_dispatch_ptr 0
		.amdhsa_user_sgpr_queue_ptr 0
		.amdhsa_user_sgpr_kernarg_segment_ptr 1
		.amdhsa_user_sgpr_dispatch_id 0
		.amdhsa_user_sgpr_kernarg_preload_length 0
		.amdhsa_user_sgpr_kernarg_preload_offset 0
		.amdhsa_user_sgpr_private_segment_size 0
		.amdhsa_wavefront_size32 1
		.amdhsa_uses_dynamic_stack 0
		.amdhsa_enable_private_segment 0
		.amdhsa_system_sgpr_workgroup_id_x 1
		.amdhsa_system_sgpr_workgroup_id_y 0
		.amdhsa_system_sgpr_workgroup_id_z 0
		.amdhsa_system_sgpr_workgroup_info 0
		.amdhsa_system_vgpr_workitem_id 0
		.amdhsa_next_free_vgpr 1
		.amdhsa_next_free_sgpr 1
		.amdhsa_named_barrier_count 0
		.amdhsa_reserve_vcc 0
		.amdhsa_float_round_mode_32 0
		.amdhsa_float_round_mode_16_64 0
		.amdhsa_float_denorm_mode_32 3
		.amdhsa_float_denorm_mode_16_64 3
		.amdhsa_fp16_overflow 0
		.amdhsa_memory_ordered 1
		.amdhsa_forward_progress 1
		.amdhsa_inst_pref_size 0
		.amdhsa_round_robin_scheduling 0
		.amdhsa_exception_fp_ieee_invalid_op 0
		.amdhsa_exception_fp_denorm_src 0
		.amdhsa_exception_fp_ieee_div_zero 0
		.amdhsa_exception_fp_ieee_overflow 0
		.amdhsa_exception_fp_ieee_underflow 0
		.amdhsa_exception_fp_ieee_inexact 0
		.amdhsa_exception_int_div_zero 0
	.end_amdhsa_kernel
	.section	.text._ZN7rocprim17ROCPRIM_400000_NS6detail17trampoline_kernelINS0_14default_configENS1_27scan_by_key_config_selectorIxxEEZZNS1_16scan_by_key_implILNS1_25lookback_scan_determinismE0ELb0ES3_N6thrust23THRUST_200600_302600_NS6detail15normal_iteratorINS9_10device_ptrIxEEEESE_SE_xNS9_4plusIvEENS9_8equal_toIxEExEE10hipError_tPvRmT2_T3_T4_T5_mT6_T7_P12ihipStream_tbENKUlT_T0_E_clISt17integral_constantIbLb1EESZ_EEDaSU_SV_EUlSU_E_NS1_11comp_targetILNS1_3genE10ELNS1_11target_archE1200ELNS1_3gpuE4ELNS1_3repE0EEENS1_30default_config_static_selectorELNS0_4arch9wavefront6targetE0EEEvT1_,"axG",@progbits,_ZN7rocprim17ROCPRIM_400000_NS6detail17trampoline_kernelINS0_14default_configENS1_27scan_by_key_config_selectorIxxEEZZNS1_16scan_by_key_implILNS1_25lookback_scan_determinismE0ELb0ES3_N6thrust23THRUST_200600_302600_NS6detail15normal_iteratorINS9_10device_ptrIxEEEESE_SE_xNS9_4plusIvEENS9_8equal_toIxEExEE10hipError_tPvRmT2_T3_T4_T5_mT6_T7_P12ihipStream_tbENKUlT_T0_E_clISt17integral_constantIbLb1EESZ_EEDaSU_SV_EUlSU_E_NS1_11comp_targetILNS1_3genE10ELNS1_11target_archE1200ELNS1_3gpuE4ELNS1_3repE0EEENS1_30default_config_static_selectorELNS0_4arch9wavefront6targetE0EEEvT1_,comdat
.Lfunc_end98:
	.size	_ZN7rocprim17ROCPRIM_400000_NS6detail17trampoline_kernelINS0_14default_configENS1_27scan_by_key_config_selectorIxxEEZZNS1_16scan_by_key_implILNS1_25lookback_scan_determinismE0ELb0ES3_N6thrust23THRUST_200600_302600_NS6detail15normal_iteratorINS9_10device_ptrIxEEEESE_SE_xNS9_4plusIvEENS9_8equal_toIxEExEE10hipError_tPvRmT2_T3_T4_T5_mT6_T7_P12ihipStream_tbENKUlT_T0_E_clISt17integral_constantIbLb1EESZ_EEDaSU_SV_EUlSU_E_NS1_11comp_targetILNS1_3genE10ELNS1_11target_archE1200ELNS1_3gpuE4ELNS1_3repE0EEENS1_30default_config_static_selectorELNS0_4arch9wavefront6targetE0EEEvT1_, .Lfunc_end98-_ZN7rocprim17ROCPRIM_400000_NS6detail17trampoline_kernelINS0_14default_configENS1_27scan_by_key_config_selectorIxxEEZZNS1_16scan_by_key_implILNS1_25lookback_scan_determinismE0ELb0ES3_N6thrust23THRUST_200600_302600_NS6detail15normal_iteratorINS9_10device_ptrIxEEEESE_SE_xNS9_4plusIvEENS9_8equal_toIxEExEE10hipError_tPvRmT2_T3_T4_T5_mT6_T7_P12ihipStream_tbENKUlT_T0_E_clISt17integral_constantIbLb1EESZ_EEDaSU_SV_EUlSU_E_NS1_11comp_targetILNS1_3genE10ELNS1_11target_archE1200ELNS1_3gpuE4ELNS1_3repE0EEENS1_30default_config_static_selectorELNS0_4arch9wavefront6targetE0EEEvT1_
                                        ; -- End function
	.set _ZN7rocprim17ROCPRIM_400000_NS6detail17trampoline_kernelINS0_14default_configENS1_27scan_by_key_config_selectorIxxEEZZNS1_16scan_by_key_implILNS1_25lookback_scan_determinismE0ELb0ES3_N6thrust23THRUST_200600_302600_NS6detail15normal_iteratorINS9_10device_ptrIxEEEESE_SE_xNS9_4plusIvEENS9_8equal_toIxEExEE10hipError_tPvRmT2_T3_T4_T5_mT6_T7_P12ihipStream_tbENKUlT_T0_E_clISt17integral_constantIbLb1EESZ_EEDaSU_SV_EUlSU_E_NS1_11comp_targetILNS1_3genE10ELNS1_11target_archE1200ELNS1_3gpuE4ELNS1_3repE0EEENS1_30default_config_static_selectorELNS0_4arch9wavefront6targetE0EEEvT1_.num_vgpr, 0
	.set _ZN7rocprim17ROCPRIM_400000_NS6detail17trampoline_kernelINS0_14default_configENS1_27scan_by_key_config_selectorIxxEEZZNS1_16scan_by_key_implILNS1_25lookback_scan_determinismE0ELb0ES3_N6thrust23THRUST_200600_302600_NS6detail15normal_iteratorINS9_10device_ptrIxEEEESE_SE_xNS9_4plusIvEENS9_8equal_toIxEExEE10hipError_tPvRmT2_T3_T4_T5_mT6_T7_P12ihipStream_tbENKUlT_T0_E_clISt17integral_constantIbLb1EESZ_EEDaSU_SV_EUlSU_E_NS1_11comp_targetILNS1_3genE10ELNS1_11target_archE1200ELNS1_3gpuE4ELNS1_3repE0EEENS1_30default_config_static_selectorELNS0_4arch9wavefront6targetE0EEEvT1_.num_agpr, 0
	.set _ZN7rocprim17ROCPRIM_400000_NS6detail17trampoline_kernelINS0_14default_configENS1_27scan_by_key_config_selectorIxxEEZZNS1_16scan_by_key_implILNS1_25lookback_scan_determinismE0ELb0ES3_N6thrust23THRUST_200600_302600_NS6detail15normal_iteratorINS9_10device_ptrIxEEEESE_SE_xNS9_4plusIvEENS9_8equal_toIxEExEE10hipError_tPvRmT2_T3_T4_T5_mT6_T7_P12ihipStream_tbENKUlT_T0_E_clISt17integral_constantIbLb1EESZ_EEDaSU_SV_EUlSU_E_NS1_11comp_targetILNS1_3genE10ELNS1_11target_archE1200ELNS1_3gpuE4ELNS1_3repE0EEENS1_30default_config_static_selectorELNS0_4arch9wavefront6targetE0EEEvT1_.numbered_sgpr, 0
	.set _ZN7rocprim17ROCPRIM_400000_NS6detail17trampoline_kernelINS0_14default_configENS1_27scan_by_key_config_selectorIxxEEZZNS1_16scan_by_key_implILNS1_25lookback_scan_determinismE0ELb0ES3_N6thrust23THRUST_200600_302600_NS6detail15normal_iteratorINS9_10device_ptrIxEEEESE_SE_xNS9_4plusIvEENS9_8equal_toIxEExEE10hipError_tPvRmT2_T3_T4_T5_mT6_T7_P12ihipStream_tbENKUlT_T0_E_clISt17integral_constantIbLb1EESZ_EEDaSU_SV_EUlSU_E_NS1_11comp_targetILNS1_3genE10ELNS1_11target_archE1200ELNS1_3gpuE4ELNS1_3repE0EEENS1_30default_config_static_selectorELNS0_4arch9wavefront6targetE0EEEvT1_.num_named_barrier, 0
	.set _ZN7rocprim17ROCPRIM_400000_NS6detail17trampoline_kernelINS0_14default_configENS1_27scan_by_key_config_selectorIxxEEZZNS1_16scan_by_key_implILNS1_25lookback_scan_determinismE0ELb0ES3_N6thrust23THRUST_200600_302600_NS6detail15normal_iteratorINS9_10device_ptrIxEEEESE_SE_xNS9_4plusIvEENS9_8equal_toIxEExEE10hipError_tPvRmT2_T3_T4_T5_mT6_T7_P12ihipStream_tbENKUlT_T0_E_clISt17integral_constantIbLb1EESZ_EEDaSU_SV_EUlSU_E_NS1_11comp_targetILNS1_3genE10ELNS1_11target_archE1200ELNS1_3gpuE4ELNS1_3repE0EEENS1_30default_config_static_selectorELNS0_4arch9wavefront6targetE0EEEvT1_.private_seg_size, 0
	.set _ZN7rocprim17ROCPRIM_400000_NS6detail17trampoline_kernelINS0_14default_configENS1_27scan_by_key_config_selectorIxxEEZZNS1_16scan_by_key_implILNS1_25lookback_scan_determinismE0ELb0ES3_N6thrust23THRUST_200600_302600_NS6detail15normal_iteratorINS9_10device_ptrIxEEEESE_SE_xNS9_4plusIvEENS9_8equal_toIxEExEE10hipError_tPvRmT2_T3_T4_T5_mT6_T7_P12ihipStream_tbENKUlT_T0_E_clISt17integral_constantIbLb1EESZ_EEDaSU_SV_EUlSU_E_NS1_11comp_targetILNS1_3genE10ELNS1_11target_archE1200ELNS1_3gpuE4ELNS1_3repE0EEENS1_30default_config_static_selectorELNS0_4arch9wavefront6targetE0EEEvT1_.uses_vcc, 0
	.set _ZN7rocprim17ROCPRIM_400000_NS6detail17trampoline_kernelINS0_14default_configENS1_27scan_by_key_config_selectorIxxEEZZNS1_16scan_by_key_implILNS1_25lookback_scan_determinismE0ELb0ES3_N6thrust23THRUST_200600_302600_NS6detail15normal_iteratorINS9_10device_ptrIxEEEESE_SE_xNS9_4plusIvEENS9_8equal_toIxEExEE10hipError_tPvRmT2_T3_T4_T5_mT6_T7_P12ihipStream_tbENKUlT_T0_E_clISt17integral_constantIbLb1EESZ_EEDaSU_SV_EUlSU_E_NS1_11comp_targetILNS1_3genE10ELNS1_11target_archE1200ELNS1_3gpuE4ELNS1_3repE0EEENS1_30default_config_static_selectorELNS0_4arch9wavefront6targetE0EEEvT1_.uses_flat_scratch, 0
	.set _ZN7rocprim17ROCPRIM_400000_NS6detail17trampoline_kernelINS0_14default_configENS1_27scan_by_key_config_selectorIxxEEZZNS1_16scan_by_key_implILNS1_25lookback_scan_determinismE0ELb0ES3_N6thrust23THRUST_200600_302600_NS6detail15normal_iteratorINS9_10device_ptrIxEEEESE_SE_xNS9_4plusIvEENS9_8equal_toIxEExEE10hipError_tPvRmT2_T3_T4_T5_mT6_T7_P12ihipStream_tbENKUlT_T0_E_clISt17integral_constantIbLb1EESZ_EEDaSU_SV_EUlSU_E_NS1_11comp_targetILNS1_3genE10ELNS1_11target_archE1200ELNS1_3gpuE4ELNS1_3repE0EEENS1_30default_config_static_selectorELNS0_4arch9wavefront6targetE0EEEvT1_.has_dyn_sized_stack, 0
	.set _ZN7rocprim17ROCPRIM_400000_NS6detail17trampoline_kernelINS0_14default_configENS1_27scan_by_key_config_selectorIxxEEZZNS1_16scan_by_key_implILNS1_25lookback_scan_determinismE0ELb0ES3_N6thrust23THRUST_200600_302600_NS6detail15normal_iteratorINS9_10device_ptrIxEEEESE_SE_xNS9_4plusIvEENS9_8equal_toIxEExEE10hipError_tPvRmT2_T3_T4_T5_mT6_T7_P12ihipStream_tbENKUlT_T0_E_clISt17integral_constantIbLb1EESZ_EEDaSU_SV_EUlSU_E_NS1_11comp_targetILNS1_3genE10ELNS1_11target_archE1200ELNS1_3gpuE4ELNS1_3repE0EEENS1_30default_config_static_selectorELNS0_4arch9wavefront6targetE0EEEvT1_.has_recursion, 0
	.set _ZN7rocprim17ROCPRIM_400000_NS6detail17trampoline_kernelINS0_14default_configENS1_27scan_by_key_config_selectorIxxEEZZNS1_16scan_by_key_implILNS1_25lookback_scan_determinismE0ELb0ES3_N6thrust23THRUST_200600_302600_NS6detail15normal_iteratorINS9_10device_ptrIxEEEESE_SE_xNS9_4plusIvEENS9_8equal_toIxEExEE10hipError_tPvRmT2_T3_T4_T5_mT6_T7_P12ihipStream_tbENKUlT_T0_E_clISt17integral_constantIbLb1EESZ_EEDaSU_SV_EUlSU_E_NS1_11comp_targetILNS1_3genE10ELNS1_11target_archE1200ELNS1_3gpuE4ELNS1_3repE0EEENS1_30default_config_static_selectorELNS0_4arch9wavefront6targetE0EEEvT1_.has_indirect_call, 0
	.section	.AMDGPU.csdata,"",@progbits
; Kernel info:
; codeLenInByte = 0
; TotalNumSgprs: 0
; NumVgprs: 0
; ScratchSize: 0
; MemoryBound: 0
; FloatMode: 240
; IeeeMode: 1
; LDSByteSize: 0 bytes/workgroup (compile time only)
; SGPRBlocks: 0
; VGPRBlocks: 0
; NumSGPRsForWavesPerEU: 1
; NumVGPRsForWavesPerEU: 1
; NamedBarCnt: 0
; Occupancy: 16
; WaveLimiterHint : 0
; COMPUTE_PGM_RSRC2:SCRATCH_EN: 0
; COMPUTE_PGM_RSRC2:USER_SGPR: 2
; COMPUTE_PGM_RSRC2:TRAP_HANDLER: 0
; COMPUTE_PGM_RSRC2:TGID_X_EN: 1
; COMPUTE_PGM_RSRC2:TGID_Y_EN: 0
; COMPUTE_PGM_RSRC2:TGID_Z_EN: 0
; COMPUTE_PGM_RSRC2:TIDIG_COMP_CNT: 0
	.section	.text._ZN7rocprim17ROCPRIM_400000_NS6detail17trampoline_kernelINS0_14default_configENS1_27scan_by_key_config_selectorIxxEEZZNS1_16scan_by_key_implILNS1_25lookback_scan_determinismE0ELb0ES3_N6thrust23THRUST_200600_302600_NS6detail15normal_iteratorINS9_10device_ptrIxEEEESE_SE_xNS9_4plusIvEENS9_8equal_toIxEExEE10hipError_tPvRmT2_T3_T4_T5_mT6_T7_P12ihipStream_tbENKUlT_T0_E_clISt17integral_constantIbLb1EESZ_EEDaSU_SV_EUlSU_E_NS1_11comp_targetILNS1_3genE9ELNS1_11target_archE1100ELNS1_3gpuE3ELNS1_3repE0EEENS1_30default_config_static_selectorELNS0_4arch9wavefront6targetE0EEEvT1_,"axG",@progbits,_ZN7rocprim17ROCPRIM_400000_NS6detail17trampoline_kernelINS0_14default_configENS1_27scan_by_key_config_selectorIxxEEZZNS1_16scan_by_key_implILNS1_25lookback_scan_determinismE0ELb0ES3_N6thrust23THRUST_200600_302600_NS6detail15normal_iteratorINS9_10device_ptrIxEEEESE_SE_xNS9_4plusIvEENS9_8equal_toIxEExEE10hipError_tPvRmT2_T3_T4_T5_mT6_T7_P12ihipStream_tbENKUlT_T0_E_clISt17integral_constantIbLb1EESZ_EEDaSU_SV_EUlSU_E_NS1_11comp_targetILNS1_3genE9ELNS1_11target_archE1100ELNS1_3gpuE3ELNS1_3repE0EEENS1_30default_config_static_selectorELNS0_4arch9wavefront6targetE0EEEvT1_,comdat
	.protected	_ZN7rocprim17ROCPRIM_400000_NS6detail17trampoline_kernelINS0_14default_configENS1_27scan_by_key_config_selectorIxxEEZZNS1_16scan_by_key_implILNS1_25lookback_scan_determinismE0ELb0ES3_N6thrust23THRUST_200600_302600_NS6detail15normal_iteratorINS9_10device_ptrIxEEEESE_SE_xNS9_4plusIvEENS9_8equal_toIxEExEE10hipError_tPvRmT2_T3_T4_T5_mT6_T7_P12ihipStream_tbENKUlT_T0_E_clISt17integral_constantIbLb1EESZ_EEDaSU_SV_EUlSU_E_NS1_11comp_targetILNS1_3genE9ELNS1_11target_archE1100ELNS1_3gpuE3ELNS1_3repE0EEENS1_30default_config_static_selectorELNS0_4arch9wavefront6targetE0EEEvT1_ ; -- Begin function _ZN7rocprim17ROCPRIM_400000_NS6detail17trampoline_kernelINS0_14default_configENS1_27scan_by_key_config_selectorIxxEEZZNS1_16scan_by_key_implILNS1_25lookback_scan_determinismE0ELb0ES3_N6thrust23THRUST_200600_302600_NS6detail15normal_iteratorINS9_10device_ptrIxEEEESE_SE_xNS9_4plusIvEENS9_8equal_toIxEExEE10hipError_tPvRmT2_T3_T4_T5_mT6_T7_P12ihipStream_tbENKUlT_T0_E_clISt17integral_constantIbLb1EESZ_EEDaSU_SV_EUlSU_E_NS1_11comp_targetILNS1_3genE9ELNS1_11target_archE1100ELNS1_3gpuE3ELNS1_3repE0EEENS1_30default_config_static_selectorELNS0_4arch9wavefront6targetE0EEEvT1_
	.globl	_ZN7rocprim17ROCPRIM_400000_NS6detail17trampoline_kernelINS0_14default_configENS1_27scan_by_key_config_selectorIxxEEZZNS1_16scan_by_key_implILNS1_25lookback_scan_determinismE0ELb0ES3_N6thrust23THRUST_200600_302600_NS6detail15normal_iteratorINS9_10device_ptrIxEEEESE_SE_xNS9_4plusIvEENS9_8equal_toIxEExEE10hipError_tPvRmT2_T3_T4_T5_mT6_T7_P12ihipStream_tbENKUlT_T0_E_clISt17integral_constantIbLb1EESZ_EEDaSU_SV_EUlSU_E_NS1_11comp_targetILNS1_3genE9ELNS1_11target_archE1100ELNS1_3gpuE3ELNS1_3repE0EEENS1_30default_config_static_selectorELNS0_4arch9wavefront6targetE0EEEvT1_
	.p2align	8
	.type	_ZN7rocprim17ROCPRIM_400000_NS6detail17trampoline_kernelINS0_14default_configENS1_27scan_by_key_config_selectorIxxEEZZNS1_16scan_by_key_implILNS1_25lookback_scan_determinismE0ELb0ES3_N6thrust23THRUST_200600_302600_NS6detail15normal_iteratorINS9_10device_ptrIxEEEESE_SE_xNS9_4plusIvEENS9_8equal_toIxEExEE10hipError_tPvRmT2_T3_T4_T5_mT6_T7_P12ihipStream_tbENKUlT_T0_E_clISt17integral_constantIbLb1EESZ_EEDaSU_SV_EUlSU_E_NS1_11comp_targetILNS1_3genE9ELNS1_11target_archE1100ELNS1_3gpuE3ELNS1_3repE0EEENS1_30default_config_static_selectorELNS0_4arch9wavefront6targetE0EEEvT1_,@function
_ZN7rocprim17ROCPRIM_400000_NS6detail17trampoline_kernelINS0_14default_configENS1_27scan_by_key_config_selectorIxxEEZZNS1_16scan_by_key_implILNS1_25lookback_scan_determinismE0ELb0ES3_N6thrust23THRUST_200600_302600_NS6detail15normal_iteratorINS9_10device_ptrIxEEEESE_SE_xNS9_4plusIvEENS9_8equal_toIxEExEE10hipError_tPvRmT2_T3_T4_T5_mT6_T7_P12ihipStream_tbENKUlT_T0_E_clISt17integral_constantIbLb1EESZ_EEDaSU_SV_EUlSU_E_NS1_11comp_targetILNS1_3genE9ELNS1_11target_archE1100ELNS1_3gpuE3ELNS1_3repE0EEENS1_30default_config_static_selectorELNS0_4arch9wavefront6targetE0EEEvT1_: ; @_ZN7rocprim17ROCPRIM_400000_NS6detail17trampoline_kernelINS0_14default_configENS1_27scan_by_key_config_selectorIxxEEZZNS1_16scan_by_key_implILNS1_25lookback_scan_determinismE0ELb0ES3_N6thrust23THRUST_200600_302600_NS6detail15normal_iteratorINS9_10device_ptrIxEEEESE_SE_xNS9_4plusIvEENS9_8equal_toIxEExEE10hipError_tPvRmT2_T3_T4_T5_mT6_T7_P12ihipStream_tbENKUlT_T0_E_clISt17integral_constantIbLb1EESZ_EEDaSU_SV_EUlSU_E_NS1_11comp_targetILNS1_3genE9ELNS1_11target_archE1100ELNS1_3gpuE3ELNS1_3repE0EEENS1_30default_config_static_selectorELNS0_4arch9wavefront6targetE0EEEvT1_
; %bb.0:
	.section	.rodata,"a",@progbits
	.p2align	6, 0x0
	.amdhsa_kernel _ZN7rocprim17ROCPRIM_400000_NS6detail17trampoline_kernelINS0_14default_configENS1_27scan_by_key_config_selectorIxxEEZZNS1_16scan_by_key_implILNS1_25lookback_scan_determinismE0ELb0ES3_N6thrust23THRUST_200600_302600_NS6detail15normal_iteratorINS9_10device_ptrIxEEEESE_SE_xNS9_4plusIvEENS9_8equal_toIxEExEE10hipError_tPvRmT2_T3_T4_T5_mT6_T7_P12ihipStream_tbENKUlT_T0_E_clISt17integral_constantIbLb1EESZ_EEDaSU_SV_EUlSU_E_NS1_11comp_targetILNS1_3genE9ELNS1_11target_archE1100ELNS1_3gpuE3ELNS1_3repE0EEENS1_30default_config_static_selectorELNS0_4arch9wavefront6targetE0EEEvT1_
		.amdhsa_group_segment_fixed_size 0
		.amdhsa_private_segment_fixed_size 0
		.amdhsa_kernarg_size 136
		.amdhsa_user_sgpr_count 2
		.amdhsa_user_sgpr_dispatch_ptr 0
		.amdhsa_user_sgpr_queue_ptr 0
		.amdhsa_user_sgpr_kernarg_segment_ptr 1
		.amdhsa_user_sgpr_dispatch_id 0
		.amdhsa_user_sgpr_kernarg_preload_length 0
		.amdhsa_user_sgpr_kernarg_preload_offset 0
		.amdhsa_user_sgpr_private_segment_size 0
		.amdhsa_wavefront_size32 1
		.amdhsa_uses_dynamic_stack 0
		.amdhsa_enable_private_segment 0
		.amdhsa_system_sgpr_workgroup_id_x 1
		.amdhsa_system_sgpr_workgroup_id_y 0
		.amdhsa_system_sgpr_workgroup_id_z 0
		.amdhsa_system_sgpr_workgroup_info 0
		.amdhsa_system_vgpr_workitem_id 0
		.amdhsa_next_free_vgpr 1
		.amdhsa_next_free_sgpr 1
		.amdhsa_named_barrier_count 0
		.amdhsa_reserve_vcc 0
		.amdhsa_float_round_mode_32 0
		.amdhsa_float_round_mode_16_64 0
		.amdhsa_float_denorm_mode_32 3
		.amdhsa_float_denorm_mode_16_64 3
		.amdhsa_fp16_overflow 0
		.amdhsa_memory_ordered 1
		.amdhsa_forward_progress 1
		.amdhsa_inst_pref_size 0
		.amdhsa_round_robin_scheduling 0
		.amdhsa_exception_fp_ieee_invalid_op 0
		.amdhsa_exception_fp_denorm_src 0
		.amdhsa_exception_fp_ieee_div_zero 0
		.amdhsa_exception_fp_ieee_overflow 0
		.amdhsa_exception_fp_ieee_underflow 0
		.amdhsa_exception_fp_ieee_inexact 0
		.amdhsa_exception_int_div_zero 0
	.end_amdhsa_kernel
	.section	.text._ZN7rocprim17ROCPRIM_400000_NS6detail17trampoline_kernelINS0_14default_configENS1_27scan_by_key_config_selectorIxxEEZZNS1_16scan_by_key_implILNS1_25lookback_scan_determinismE0ELb0ES3_N6thrust23THRUST_200600_302600_NS6detail15normal_iteratorINS9_10device_ptrIxEEEESE_SE_xNS9_4plusIvEENS9_8equal_toIxEExEE10hipError_tPvRmT2_T3_T4_T5_mT6_T7_P12ihipStream_tbENKUlT_T0_E_clISt17integral_constantIbLb1EESZ_EEDaSU_SV_EUlSU_E_NS1_11comp_targetILNS1_3genE9ELNS1_11target_archE1100ELNS1_3gpuE3ELNS1_3repE0EEENS1_30default_config_static_selectorELNS0_4arch9wavefront6targetE0EEEvT1_,"axG",@progbits,_ZN7rocprim17ROCPRIM_400000_NS6detail17trampoline_kernelINS0_14default_configENS1_27scan_by_key_config_selectorIxxEEZZNS1_16scan_by_key_implILNS1_25lookback_scan_determinismE0ELb0ES3_N6thrust23THRUST_200600_302600_NS6detail15normal_iteratorINS9_10device_ptrIxEEEESE_SE_xNS9_4plusIvEENS9_8equal_toIxEExEE10hipError_tPvRmT2_T3_T4_T5_mT6_T7_P12ihipStream_tbENKUlT_T0_E_clISt17integral_constantIbLb1EESZ_EEDaSU_SV_EUlSU_E_NS1_11comp_targetILNS1_3genE9ELNS1_11target_archE1100ELNS1_3gpuE3ELNS1_3repE0EEENS1_30default_config_static_selectorELNS0_4arch9wavefront6targetE0EEEvT1_,comdat
.Lfunc_end99:
	.size	_ZN7rocprim17ROCPRIM_400000_NS6detail17trampoline_kernelINS0_14default_configENS1_27scan_by_key_config_selectorIxxEEZZNS1_16scan_by_key_implILNS1_25lookback_scan_determinismE0ELb0ES3_N6thrust23THRUST_200600_302600_NS6detail15normal_iteratorINS9_10device_ptrIxEEEESE_SE_xNS9_4plusIvEENS9_8equal_toIxEExEE10hipError_tPvRmT2_T3_T4_T5_mT6_T7_P12ihipStream_tbENKUlT_T0_E_clISt17integral_constantIbLb1EESZ_EEDaSU_SV_EUlSU_E_NS1_11comp_targetILNS1_3genE9ELNS1_11target_archE1100ELNS1_3gpuE3ELNS1_3repE0EEENS1_30default_config_static_selectorELNS0_4arch9wavefront6targetE0EEEvT1_, .Lfunc_end99-_ZN7rocprim17ROCPRIM_400000_NS6detail17trampoline_kernelINS0_14default_configENS1_27scan_by_key_config_selectorIxxEEZZNS1_16scan_by_key_implILNS1_25lookback_scan_determinismE0ELb0ES3_N6thrust23THRUST_200600_302600_NS6detail15normal_iteratorINS9_10device_ptrIxEEEESE_SE_xNS9_4plusIvEENS9_8equal_toIxEExEE10hipError_tPvRmT2_T3_T4_T5_mT6_T7_P12ihipStream_tbENKUlT_T0_E_clISt17integral_constantIbLb1EESZ_EEDaSU_SV_EUlSU_E_NS1_11comp_targetILNS1_3genE9ELNS1_11target_archE1100ELNS1_3gpuE3ELNS1_3repE0EEENS1_30default_config_static_selectorELNS0_4arch9wavefront6targetE0EEEvT1_
                                        ; -- End function
	.set _ZN7rocprim17ROCPRIM_400000_NS6detail17trampoline_kernelINS0_14default_configENS1_27scan_by_key_config_selectorIxxEEZZNS1_16scan_by_key_implILNS1_25lookback_scan_determinismE0ELb0ES3_N6thrust23THRUST_200600_302600_NS6detail15normal_iteratorINS9_10device_ptrIxEEEESE_SE_xNS9_4plusIvEENS9_8equal_toIxEExEE10hipError_tPvRmT2_T3_T4_T5_mT6_T7_P12ihipStream_tbENKUlT_T0_E_clISt17integral_constantIbLb1EESZ_EEDaSU_SV_EUlSU_E_NS1_11comp_targetILNS1_3genE9ELNS1_11target_archE1100ELNS1_3gpuE3ELNS1_3repE0EEENS1_30default_config_static_selectorELNS0_4arch9wavefront6targetE0EEEvT1_.num_vgpr, 0
	.set _ZN7rocprim17ROCPRIM_400000_NS6detail17trampoline_kernelINS0_14default_configENS1_27scan_by_key_config_selectorIxxEEZZNS1_16scan_by_key_implILNS1_25lookback_scan_determinismE0ELb0ES3_N6thrust23THRUST_200600_302600_NS6detail15normal_iteratorINS9_10device_ptrIxEEEESE_SE_xNS9_4plusIvEENS9_8equal_toIxEExEE10hipError_tPvRmT2_T3_T4_T5_mT6_T7_P12ihipStream_tbENKUlT_T0_E_clISt17integral_constantIbLb1EESZ_EEDaSU_SV_EUlSU_E_NS1_11comp_targetILNS1_3genE9ELNS1_11target_archE1100ELNS1_3gpuE3ELNS1_3repE0EEENS1_30default_config_static_selectorELNS0_4arch9wavefront6targetE0EEEvT1_.num_agpr, 0
	.set _ZN7rocprim17ROCPRIM_400000_NS6detail17trampoline_kernelINS0_14default_configENS1_27scan_by_key_config_selectorIxxEEZZNS1_16scan_by_key_implILNS1_25lookback_scan_determinismE0ELb0ES3_N6thrust23THRUST_200600_302600_NS6detail15normal_iteratorINS9_10device_ptrIxEEEESE_SE_xNS9_4plusIvEENS9_8equal_toIxEExEE10hipError_tPvRmT2_T3_T4_T5_mT6_T7_P12ihipStream_tbENKUlT_T0_E_clISt17integral_constantIbLb1EESZ_EEDaSU_SV_EUlSU_E_NS1_11comp_targetILNS1_3genE9ELNS1_11target_archE1100ELNS1_3gpuE3ELNS1_3repE0EEENS1_30default_config_static_selectorELNS0_4arch9wavefront6targetE0EEEvT1_.numbered_sgpr, 0
	.set _ZN7rocprim17ROCPRIM_400000_NS6detail17trampoline_kernelINS0_14default_configENS1_27scan_by_key_config_selectorIxxEEZZNS1_16scan_by_key_implILNS1_25lookback_scan_determinismE0ELb0ES3_N6thrust23THRUST_200600_302600_NS6detail15normal_iteratorINS9_10device_ptrIxEEEESE_SE_xNS9_4plusIvEENS9_8equal_toIxEExEE10hipError_tPvRmT2_T3_T4_T5_mT6_T7_P12ihipStream_tbENKUlT_T0_E_clISt17integral_constantIbLb1EESZ_EEDaSU_SV_EUlSU_E_NS1_11comp_targetILNS1_3genE9ELNS1_11target_archE1100ELNS1_3gpuE3ELNS1_3repE0EEENS1_30default_config_static_selectorELNS0_4arch9wavefront6targetE0EEEvT1_.num_named_barrier, 0
	.set _ZN7rocprim17ROCPRIM_400000_NS6detail17trampoline_kernelINS0_14default_configENS1_27scan_by_key_config_selectorIxxEEZZNS1_16scan_by_key_implILNS1_25lookback_scan_determinismE0ELb0ES3_N6thrust23THRUST_200600_302600_NS6detail15normal_iteratorINS9_10device_ptrIxEEEESE_SE_xNS9_4plusIvEENS9_8equal_toIxEExEE10hipError_tPvRmT2_T3_T4_T5_mT6_T7_P12ihipStream_tbENKUlT_T0_E_clISt17integral_constantIbLb1EESZ_EEDaSU_SV_EUlSU_E_NS1_11comp_targetILNS1_3genE9ELNS1_11target_archE1100ELNS1_3gpuE3ELNS1_3repE0EEENS1_30default_config_static_selectorELNS0_4arch9wavefront6targetE0EEEvT1_.private_seg_size, 0
	.set _ZN7rocprim17ROCPRIM_400000_NS6detail17trampoline_kernelINS0_14default_configENS1_27scan_by_key_config_selectorIxxEEZZNS1_16scan_by_key_implILNS1_25lookback_scan_determinismE0ELb0ES3_N6thrust23THRUST_200600_302600_NS6detail15normal_iteratorINS9_10device_ptrIxEEEESE_SE_xNS9_4plusIvEENS9_8equal_toIxEExEE10hipError_tPvRmT2_T3_T4_T5_mT6_T7_P12ihipStream_tbENKUlT_T0_E_clISt17integral_constantIbLb1EESZ_EEDaSU_SV_EUlSU_E_NS1_11comp_targetILNS1_3genE9ELNS1_11target_archE1100ELNS1_3gpuE3ELNS1_3repE0EEENS1_30default_config_static_selectorELNS0_4arch9wavefront6targetE0EEEvT1_.uses_vcc, 0
	.set _ZN7rocprim17ROCPRIM_400000_NS6detail17trampoline_kernelINS0_14default_configENS1_27scan_by_key_config_selectorIxxEEZZNS1_16scan_by_key_implILNS1_25lookback_scan_determinismE0ELb0ES3_N6thrust23THRUST_200600_302600_NS6detail15normal_iteratorINS9_10device_ptrIxEEEESE_SE_xNS9_4plusIvEENS9_8equal_toIxEExEE10hipError_tPvRmT2_T3_T4_T5_mT6_T7_P12ihipStream_tbENKUlT_T0_E_clISt17integral_constantIbLb1EESZ_EEDaSU_SV_EUlSU_E_NS1_11comp_targetILNS1_3genE9ELNS1_11target_archE1100ELNS1_3gpuE3ELNS1_3repE0EEENS1_30default_config_static_selectorELNS0_4arch9wavefront6targetE0EEEvT1_.uses_flat_scratch, 0
	.set _ZN7rocprim17ROCPRIM_400000_NS6detail17trampoline_kernelINS0_14default_configENS1_27scan_by_key_config_selectorIxxEEZZNS1_16scan_by_key_implILNS1_25lookback_scan_determinismE0ELb0ES3_N6thrust23THRUST_200600_302600_NS6detail15normal_iteratorINS9_10device_ptrIxEEEESE_SE_xNS9_4plusIvEENS9_8equal_toIxEExEE10hipError_tPvRmT2_T3_T4_T5_mT6_T7_P12ihipStream_tbENKUlT_T0_E_clISt17integral_constantIbLb1EESZ_EEDaSU_SV_EUlSU_E_NS1_11comp_targetILNS1_3genE9ELNS1_11target_archE1100ELNS1_3gpuE3ELNS1_3repE0EEENS1_30default_config_static_selectorELNS0_4arch9wavefront6targetE0EEEvT1_.has_dyn_sized_stack, 0
	.set _ZN7rocprim17ROCPRIM_400000_NS6detail17trampoline_kernelINS0_14default_configENS1_27scan_by_key_config_selectorIxxEEZZNS1_16scan_by_key_implILNS1_25lookback_scan_determinismE0ELb0ES3_N6thrust23THRUST_200600_302600_NS6detail15normal_iteratorINS9_10device_ptrIxEEEESE_SE_xNS9_4plusIvEENS9_8equal_toIxEExEE10hipError_tPvRmT2_T3_T4_T5_mT6_T7_P12ihipStream_tbENKUlT_T0_E_clISt17integral_constantIbLb1EESZ_EEDaSU_SV_EUlSU_E_NS1_11comp_targetILNS1_3genE9ELNS1_11target_archE1100ELNS1_3gpuE3ELNS1_3repE0EEENS1_30default_config_static_selectorELNS0_4arch9wavefront6targetE0EEEvT1_.has_recursion, 0
	.set _ZN7rocprim17ROCPRIM_400000_NS6detail17trampoline_kernelINS0_14default_configENS1_27scan_by_key_config_selectorIxxEEZZNS1_16scan_by_key_implILNS1_25lookback_scan_determinismE0ELb0ES3_N6thrust23THRUST_200600_302600_NS6detail15normal_iteratorINS9_10device_ptrIxEEEESE_SE_xNS9_4plusIvEENS9_8equal_toIxEExEE10hipError_tPvRmT2_T3_T4_T5_mT6_T7_P12ihipStream_tbENKUlT_T0_E_clISt17integral_constantIbLb1EESZ_EEDaSU_SV_EUlSU_E_NS1_11comp_targetILNS1_3genE9ELNS1_11target_archE1100ELNS1_3gpuE3ELNS1_3repE0EEENS1_30default_config_static_selectorELNS0_4arch9wavefront6targetE0EEEvT1_.has_indirect_call, 0
	.section	.AMDGPU.csdata,"",@progbits
; Kernel info:
; codeLenInByte = 0
; TotalNumSgprs: 0
; NumVgprs: 0
; ScratchSize: 0
; MemoryBound: 0
; FloatMode: 240
; IeeeMode: 1
; LDSByteSize: 0 bytes/workgroup (compile time only)
; SGPRBlocks: 0
; VGPRBlocks: 0
; NumSGPRsForWavesPerEU: 1
; NumVGPRsForWavesPerEU: 1
; NamedBarCnt: 0
; Occupancy: 16
; WaveLimiterHint : 0
; COMPUTE_PGM_RSRC2:SCRATCH_EN: 0
; COMPUTE_PGM_RSRC2:USER_SGPR: 2
; COMPUTE_PGM_RSRC2:TRAP_HANDLER: 0
; COMPUTE_PGM_RSRC2:TGID_X_EN: 1
; COMPUTE_PGM_RSRC2:TGID_Y_EN: 0
; COMPUTE_PGM_RSRC2:TGID_Z_EN: 0
; COMPUTE_PGM_RSRC2:TIDIG_COMP_CNT: 0
	.section	.text._ZN7rocprim17ROCPRIM_400000_NS6detail17trampoline_kernelINS0_14default_configENS1_27scan_by_key_config_selectorIxxEEZZNS1_16scan_by_key_implILNS1_25lookback_scan_determinismE0ELb0ES3_N6thrust23THRUST_200600_302600_NS6detail15normal_iteratorINS9_10device_ptrIxEEEESE_SE_xNS9_4plusIvEENS9_8equal_toIxEExEE10hipError_tPvRmT2_T3_T4_T5_mT6_T7_P12ihipStream_tbENKUlT_T0_E_clISt17integral_constantIbLb1EESZ_EEDaSU_SV_EUlSU_E_NS1_11comp_targetILNS1_3genE8ELNS1_11target_archE1030ELNS1_3gpuE2ELNS1_3repE0EEENS1_30default_config_static_selectorELNS0_4arch9wavefront6targetE0EEEvT1_,"axG",@progbits,_ZN7rocprim17ROCPRIM_400000_NS6detail17trampoline_kernelINS0_14default_configENS1_27scan_by_key_config_selectorIxxEEZZNS1_16scan_by_key_implILNS1_25lookback_scan_determinismE0ELb0ES3_N6thrust23THRUST_200600_302600_NS6detail15normal_iteratorINS9_10device_ptrIxEEEESE_SE_xNS9_4plusIvEENS9_8equal_toIxEExEE10hipError_tPvRmT2_T3_T4_T5_mT6_T7_P12ihipStream_tbENKUlT_T0_E_clISt17integral_constantIbLb1EESZ_EEDaSU_SV_EUlSU_E_NS1_11comp_targetILNS1_3genE8ELNS1_11target_archE1030ELNS1_3gpuE2ELNS1_3repE0EEENS1_30default_config_static_selectorELNS0_4arch9wavefront6targetE0EEEvT1_,comdat
	.protected	_ZN7rocprim17ROCPRIM_400000_NS6detail17trampoline_kernelINS0_14default_configENS1_27scan_by_key_config_selectorIxxEEZZNS1_16scan_by_key_implILNS1_25lookback_scan_determinismE0ELb0ES3_N6thrust23THRUST_200600_302600_NS6detail15normal_iteratorINS9_10device_ptrIxEEEESE_SE_xNS9_4plusIvEENS9_8equal_toIxEExEE10hipError_tPvRmT2_T3_T4_T5_mT6_T7_P12ihipStream_tbENKUlT_T0_E_clISt17integral_constantIbLb1EESZ_EEDaSU_SV_EUlSU_E_NS1_11comp_targetILNS1_3genE8ELNS1_11target_archE1030ELNS1_3gpuE2ELNS1_3repE0EEENS1_30default_config_static_selectorELNS0_4arch9wavefront6targetE0EEEvT1_ ; -- Begin function _ZN7rocprim17ROCPRIM_400000_NS6detail17trampoline_kernelINS0_14default_configENS1_27scan_by_key_config_selectorIxxEEZZNS1_16scan_by_key_implILNS1_25lookback_scan_determinismE0ELb0ES3_N6thrust23THRUST_200600_302600_NS6detail15normal_iteratorINS9_10device_ptrIxEEEESE_SE_xNS9_4plusIvEENS9_8equal_toIxEExEE10hipError_tPvRmT2_T3_T4_T5_mT6_T7_P12ihipStream_tbENKUlT_T0_E_clISt17integral_constantIbLb1EESZ_EEDaSU_SV_EUlSU_E_NS1_11comp_targetILNS1_3genE8ELNS1_11target_archE1030ELNS1_3gpuE2ELNS1_3repE0EEENS1_30default_config_static_selectorELNS0_4arch9wavefront6targetE0EEEvT1_
	.globl	_ZN7rocprim17ROCPRIM_400000_NS6detail17trampoline_kernelINS0_14default_configENS1_27scan_by_key_config_selectorIxxEEZZNS1_16scan_by_key_implILNS1_25lookback_scan_determinismE0ELb0ES3_N6thrust23THRUST_200600_302600_NS6detail15normal_iteratorINS9_10device_ptrIxEEEESE_SE_xNS9_4plusIvEENS9_8equal_toIxEExEE10hipError_tPvRmT2_T3_T4_T5_mT6_T7_P12ihipStream_tbENKUlT_T0_E_clISt17integral_constantIbLb1EESZ_EEDaSU_SV_EUlSU_E_NS1_11comp_targetILNS1_3genE8ELNS1_11target_archE1030ELNS1_3gpuE2ELNS1_3repE0EEENS1_30default_config_static_selectorELNS0_4arch9wavefront6targetE0EEEvT1_
	.p2align	8
	.type	_ZN7rocprim17ROCPRIM_400000_NS6detail17trampoline_kernelINS0_14default_configENS1_27scan_by_key_config_selectorIxxEEZZNS1_16scan_by_key_implILNS1_25lookback_scan_determinismE0ELb0ES3_N6thrust23THRUST_200600_302600_NS6detail15normal_iteratorINS9_10device_ptrIxEEEESE_SE_xNS9_4plusIvEENS9_8equal_toIxEExEE10hipError_tPvRmT2_T3_T4_T5_mT6_T7_P12ihipStream_tbENKUlT_T0_E_clISt17integral_constantIbLb1EESZ_EEDaSU_SV_EUlSU_E_NS1_11comp_targetILNS1_3genE8ELNS1_11target_archE1030ELNS1_3gpuE2ELNS1_3repE0EEENS1_30default_config_static_selectorELNS0_4arch9wavefront6targetE0EEEvT1_,@function
_ZN7rocprim17ROCPRIM_400000_NS6detail17trampoline_kernelINS0_14default_configENS1_27scan_by_key_config_selectorIxxEEZZNS1_16scan_by_key_implILNS1_25lookback_scan_determinismE0ELb0ES3_N6thrust23THRUST_200600_302600_NS6detail15normal_iteratorINS9_10device_ptrIxEEEESE_SE_xNS9_4plusIvEENS9_8equal_toIxEExEE10hipError_tPvRmT2_T3_T4_T5_mT6_T7_P12ihipStream_tbENKUlT_T0_E_clISt17integral_constantIbLb1EESZ_EEDaSU_SV_EUlSU_E_NS1_11comp_targetILNS1_3genE8ELNS1_11target_archE1030ELNS1_3gpuE2ELNS1_3repE0EEENS1_30default_config_static_selectorELNS0_4arch9wavefront6targetE0EEEvT1_: ; @_ZN7rocprim17ROCPRIM_400000_NS6detail17trampoline_kernelINS0_14default_configENS1_27scan_by_key_config_selectorIxxEEZZNS1_16scan_by_key_implILNS1_25lookback_scan_determinismE0ELb0ES3_N6thrust23THRUST_200600_302600_NS6detail15normal_iteratorINS9_10device_ptrIxEEEESE_SE_xNS9_4plusIvEENS9_8equal_toIxEExEE10hipError_tPvRmT2_T3_T4_T5_mT6_T7_P12ihipStream_tbENKUlT_T0_E_clISt17integral_constantIbLb1EESZ_EEDaSU_SV_EUlSU_E_NS1_11comp_targetILNS1_3genE8ELNS1_11target_archE1030ELNS1_3gpuE2ELNS1_3repE0EEENS1_30default_config_static_selectorELNS0_4arch9wavefront6targetE0EEEvT1_
; %bb.0:
	.section	.rodata,"a",@progbits
	.p2align	6, 0x0
	.amdhsa_kernel _ZN7rocprim17ROCPRIM_400000_NS6detail17trampoline_kernelINS0_14default_configENS1_27scan_by_key_config_selectorIxxEEZZNS1_16scan_by_key_implILNS1_25lookback_scan_determinismE0ELb0ES3_N6thrust23THRUST_200600_302600_NS6detail15normal_iteratorINS9_10device_ptrIxEEEESE_SE_xNS9_4plusIvEENS9_8equal_toIxEExEE10hipError_tPvRmT2_T3_T4_T5_mT6_T7_P12ihipStream_tbENKUlT_T0_E_clISt17integral_constantIbLb1EESZ_EEDaSU_SV_EUlSU_E_NS1_11comp_targetILNS1_3genE8ELNS1_11target_archE1030ELNS1_3gpuE2ELNS1_3repE0EEENS1_30default_config_static_selectorELNS0_4arch9wavefront6targetE0EEEvT1_
		.amdhsa_group_segment_fixed_size 0
		.amdhsa_private_segment_fixed_size 0
		.amdhsa_kernarg_size 136
		.amdhsa_user_sgpr_count 2
		.amdhsa_user_sgpr_dispatch_ptr 0
		.amdhsa_user_sgpr_queue_ptr 0
		.amdhsa_user_sgpr_kernarg_segment_ptr 1
		.amdhsa_user_sgpr_dispatch_id 0
		.amdhsa_user_sgpr_kernarg_preload_length 0
		.amdhsa_user_sgpr_kernarg_preload_offset 0
		.amdhsa_user_sgpr_private_segment_size 0
		.amdhsa_wavefront_size32 1
		.amdhsa_uses_dynamic_stack 0
		.amdhsa_enable_private_segment 0
		.amdhsa_system_sgpr_workgroup_id_x 1
		.amdhsa_system_sgpr_workgroup_id_y 0
		.amdhsa_system_sgpr_workgroup_id_z 0
		.amdhsa_system_sgpr_workgroup_info 0
		.amdhsa_system_vgpr_workitem_id 0
		.amdhsa_next_free_vgpr 1
		.amdhsa_next_free_sgpr 1
		.amdhsa_named_barrier_count 0
		.amdhsa_reserve_vcc 0
		.amdhsa_float_round_mode_32 0
		.amdhsa_float_round_mode_16_64 0
		.amdhsa_float_denorm_mode_32 3
		.amdhsa_float_denorm_mode_16_64 3
		.amdhsa_fp16_overflow 0
		.amdhsa_memory_ordered 1
		.amdhsa_forward_progress 1
		.amdhsa_inst_pref_size 0
		.amdhsa_round_robin_scheduling 0
		.amdhsa_exception_fp_ieee_invalid_op 0
		.amdhsa_exception_fp_denorm_src 0
		.amdhsa_exception_fp_ieee_div_zero 0
		.amdhsa_exception_fp_ieee_overflow 0
		.amdhsa_exception_fp_ieee_underflow 0
		.amdhsa_exception_fp_ieee_inexact 0
		.amdhsa_exception_int_div_zero 0
	.end_amdhsa_kernel
	.section	.text._ZN7rocprim17ROCPRIM_400000_NS6detail17trampoline_kernelINS0_14default_configENS1_27scan_by_key_config_selectorIxxEEZZNS1_16scan_by_key_implILNS1_25lookback_scan_determinismE0ELb0ES3_N6thrust23THRUST_200600_302600_NS6detail15normal_iteratorINS9_10device_ptrIxEEEESE_SE_xNS9_4plusIvEENS9_8equal_toIxEExEE10hipError_tPvRmT2_T3_T4_T5_mT6_T7_P12ihipStream_tbENKUlT_T0_E_clISt17integral_constantIbLb1EESZ_EEDaSU_SV_EUlSU_E_NS1_11comp_targetILNS1_3genE8ELNS1_11target_archE1030ELNS1_3gpuE2ELNS1_3repE0EEENS1_30default_config_static_selectorELNS0_4arch9wavefront6targetE0EEEvT1_,"axG",@progbits,_ZN7rocprim17ROCPRIM_400000_NS6detail17trampoline_kernelINS0_14default_configENS1_27scan_by_key_config_selectorIxxEEZZNS1_16scan_by_key_implILNS1_25lookback_scan_determinismE0ELb0ES3_N6thrust23THRUST_200600_302600_NS6detail15normal_iteratorINS9_10device_ptrIxEEEESE_SE_xNS9_4plusIvEENS9_8equal_toIxEExEE10hipError_tPvRmT2_T3_T4_T5_mT6_T7_P12ihipStream_tbENKUlT_T0_E_clISt17integral_constantIbLb1EESZ_EEDaSU_SV_EUlSU_E_NS1_11comp_targetILNS1_3genE8ELNS1_11target_archE1030ELNS1_3gpuE2ELNS1_3repE0EEENS1_30default_config_static_selectorELNS0_4arch9wavefront6targetE0EEEvT1_,comdat
.Lfunc_end100:
	.size	_ZN7rocprim17ROCPRIM_400000_NS6detail17trampoline_kernelINS0_14default_configENS1_27scan_by_key_config_selectorIxxEEZZNS1_16scan_by_key_implILNS1_25lookback_scan_determinismE0ELb0ES3_N6thrust23THRUST_200600_302600_NS6detail15normal_iteratorINS9_10device_ptrIxEEEESE_SE_xNS9_4plusIvEENS9_8equal_toIxEExEE10hipError_tPvRmT2_T3_T4_T5_mT6_T7_P12ihipStream_tbENKUlT_T0_E_clISt17integral_constantIbLb1EESZ_EEDaSU_SV_EUlSU_E_NS1_11comp_targetILNS1_3genE8ELNS1_11target_archE1030ELNS1_3gpuE2ELNS1_3repE0EEENS1_30default_config_static_selectorELNS0_4arch9wavefront6targetE0EEEvT1_, .Lfunc_end100-_ZN7rocprim17ROCPRIM_400000_NS6detail17trampoline_kernelINS0_14default_configENS1_27scan_by_key_config_selectorIxxEEZZNS1_16scan_by_key_implILNS1_25lookback_scan_determinismE0ELb0ES3_N6thrust23THRUST_200600_302600_NS6detail15normal_iteratorINS9_10device_ptrIxEEEESE_SE_xNS9_4plusIvEENS9_8equal_toIxEExEE10hipError_tPvRmT2_T3_T4_T5_mT6_T7_P12ihipStream_tbENKUlT_T0_E_clISt17integral_constantIbLb1EESZ_EEDaSU_SV_EUlSU_E_NS1_11comp_targetILNS1_3genE8ELNS1_11target_archE1030ELNS1_3gpuE2ELNS1_3repE0EEENS1_30default_config_static_selectorELNS0_4arch9wavefront6targetE0EEEvT1_
                                        ; -- End function
	.set _ZN7rocprim17ROCPRIM_400000_NS6detail17trampoline_kernelINS0_14default_configENS1_27scan_by_key_config_selectorIxxEEZZNS1_16scan_by_key_implILNS1_25lookback_scan_determinismE0ELb0ES3_N6thrust23THRUST_200600_302600_NS6detail15normal_iteratorINS9_10device_ptrIxEEEESE_SE_xNS9_4plusIvEENS9_8equal_toIxEExEE10hipError_tPvRmT2_T3_T4_T5_mT6_T7_P12ihipStream_tbENKUlT_T0_E_clISt17integral_constantIbLb1EESZ_EEDaSU_SV_EUlSU_E_NS1_11comp_targetILNS1_3genE8ELNS1_11target_archE1030ELNS1_3gpuE2ELNS1_3repE0EEENS1_30default_config_static_selectorELNS0_4arch9wavefront6targetE0EEEvT1_.num_vgpr, 0
	.set _ZN7rocprim17ROCPRIM_400000_NS6detail17trampoline_kernelINS0_14default_configENS1_27scan_by_key_config_selectorIxxEEZZNS1_16scan_by_key_implILNS1_25lookback_scan_determinismE0ELb0ES3_N6thrust23THRUST_200600_302600_NS6detail15normal_iteratorINS9_10device_ptrIxEEEESE_SE_xNS9_4plusIvEENS9_8equal_toIxEExEE10hipError_tPvRmT2_T3_T4_T5_mT6_T7_P12ihipStream_tbENKUlT_T0_E_clISt17integral_constantIbLb1EESZ_EEDaSU_SV_EUlSU_E_NS1_11comp_targetILNS1_3genE8ELNS1_11target_archE1030ELNS1_3gpuE2ELNS1_3repE0EEENS1_30default_config_static_selectorELNS0_4arch9wavefront6targetE0EEEvT1_.num_agpr, 0
	.set _ZN7rocprim17ROCPRIM_400000_NS6detail17trampoline_kernelINS0_14default_configENS1_27scan_by_key_config_selectorIxxEEZZNS1_16scan_by_key_implILNS1_25lookback_scan_determinismE0ELb0ES3_N6thrust23THRUST_200600_302600_NS6detail15normal_iteratorINS9_10device_ptrIxEEEESE_SE_xNS9_4plusIvEENS9_8equal_toIxEExEE10hipError_tPvRmT2_T3_T4_T5_mT6_T7_P12ihipStream_tbENKUlT_T0_E_clISt17integral_constantIbLb1EESZ_EEDaSU_SV_EUlSU_E_NS1_11comp_targetILNS1_3genE8ELNS1_11target_archE1030ELNS1_3gpuE2ELNS1_3repE0EEENS1_30default_config_static_selectorELNS0_4arch9wavefront6targetE0EEEvT1_.numbered_sgpr, 0
	.set _ZN7rocprim17ROCPRIM_400000_NS6detail17trampoline_kernelINS0_14default_configENS1_27scan_by_key_config_selectorIxxEEZZNS1_16scan_by_key_implILNS1_25lookback_scan_determinismE0ELb0ES3_N6thrust23THRUST_200600_302600_NS6detail15normal_iteratorINS9_10device_ptrIxEEEESE_SE_xNS9_4plusIvEENS9_8equal_toIxEExEE10hipError_tPvRmT2_T3_T4_T5_mT6_T7_P12ihipStream_tbENKUlT_T0_E_clISt17integral_constantIbLb1EESZ_EEDaSU_SV_EUlSU_E_NS1_11comp_targetILNS1_3genE8ELNS1_11target_archE1030ELNS1_3gpuE2ELNS1_3repE0EEENS1_30default_config_static_selectorELNS0_4arch9wavefront6targetE0EEEvT1_.num_named_barrier, 0
	.set _ZN7rocprim17ROCPRIM_400000_NS6detail17trampoline_kernelINS0_14default_configENS1_27scan_by_key_config_selectorIxxEEZZNS1_16scan_by_key_implILNS1_25lookback_scan_determinismE0ELb0ES3_N6thrust23THRUST_200600_302600_NS6detail15normal_iteratorINS9_10device_ptrIxEEEESE_SE_xNS9_4plusIvEENS9_8equal_toIxEExEE10hipError_tPvRmT2_T3_T4_T5_mT6_T7_P12ihipStream_tbENKUlT_T0_E_clISt17integral_constantIbLb1EESZ_EEDaSU_SV_EUlSU_E_NS1_11comp_targetILNS1_3genE8ELNS1_11target_archE1030ELNS1_3gpuE2ELNS1_3repE0EEENS1_30default_config_static_selectorELNS0_4arch9wavefront6targetE0EEEvT1_.private_seg_size, 0
	.set _ZN7rocprim17ROCPRIM_400000_NS6detail17trampoline_kernelINS0_14default_configENS1_27scan_by_key_config_selectorIxxEEZZNS1_16scan_by_key_implILNS1_25lookback_scan_determinismE0ELb0ES3_N6thrust23THRUST_200600_302600_NS6detail15normal_iteratorINS9_10device_ptrIxEEEESE_SE_xNS9_4plusIvEENS9_8equal_toIxEExEE10hipError_tPvRmT2_T3_T4_T5_mT6_T7_P12ihipStream_tbENKUlT_T0_E_clISt17integral_constantIbLb1EESZ_EEDaSU_SV_EUlSU_E_NS1_11comp_targetILNS1_3genE8ELNS1_11target_archE1030ELNS1_3gpuE2ELNS1_3repE0EEENS1_30default_config_static_selectorELNS0_4arch9wavefront6targetE0EEEvT1_.uses_vcc, 0
	.set _ZN7rocprim17ROCPRIM_400000_NS6detail17trampoline_kernelINS0_14default_configENS1_27scan_by_key_config_selectorIxxEEZZNS1_16scan_by_key_implILNS1_25lookback_scan_determinismE0ELb0ES3_N6thrust23THRUST_200600_302600_NS6detail15normal_iteratorINS9_10device_ptrIxEEEESE_SE_xNS9_4plusIvEENS9_8equal_toIxEExEE10hipError_tPvRmT2_T3_T4_T5_mT6_T7_P12ihipStream_tbENKUlT_T0_E_clISt17integral_constantIbLb1EESZ_EEDaSU_SV_EUlSU_E_NS1_11comp_targetILNS1_3genE8ELNS1_11target_archE1030ELNS1_3gpuE2ELNS1_3repE0EEENS1_30default_config_static_selectorELNS0_4arch9wavefront6targetE0EEEvT1_.uses_flat_scratch, 0
	.set _ZN7rocprim17ROCPRIM_400000_NS6detail17trampoline_kernelINS0_14default_configENS1_27scan_by_key_config_selectorIxxEEZZNS1_16scan_by_key_implILNS1_25lookback_scan_determinismE0ELb0ES3_N6thrust23THRUST_200600_302600_NS6detail15normal_iteratorINS9_10device_ptrIxEEEESE_SE_xNS9_4plusIvEENS9_8equal_toIxEExEE10hipError_tPvRmT2_T3_T4_T5_mT6_T7_P12ihipStream_tbENKUlT_T0_E_clISt17integral_constantIbLb1EESZ_EEDaSU_SV_EUlSU_E_NS1_11comp_targetILNS1_3genE8ELNS1_11target_archE1030ELNS1_3gpuE2ELNS1_3repE0EEENS1_30default_config_static_selectorELNS0_4arch9wavefront6targetE0EEEvT1_.has_dyn_sized_stack, 0
	.set _ZN7rocprim17ROCPRIM_400000_NS6detail17trampoline_kernelINS0_14default_configENS1_27scan_by_key_config_selectorIxxEEZZNS1_16scan_by_key_implILNS1_25lookback_scan_determinismE0ELb0ES3_N6thrust23THRUST_200600_302600_NS6detail15normal_iteratorINS9_10device_ptrIxEEEESE_SE_xNS9_4plusIvEENS9_8equal_toIxEExEE10hipError_tPvRmT2_T3_T4_T5_mT6_T7_P12ihipStream_tbENKUlT_T0_E_clISt17integral_constantIbLb1EESZ_EEDaSU_SV_EUlSU_E_NS1_11comp_targetILNS1_3genE8ELNS1_11target_archE1030ELNS1_3gpuE2ELNS1_3repE0EEENS1_30default_config_static_selectorELNS0_4arch9wavefront6targetE0EEEvT1_.has_recursion, 0
	.set _ZN7rocprim17ROCPRIM_400000_NS6detail17trampoline_kernelINS0_14default_configENS1_27scan_by_key_config_selectorIxxEEZZNS1_16scan_by_key_implILNS1_25lookback_scan_determinismE0ELb0ES3_N6thrust23THRUST_200600_302600_NS6detail15normal_iteratorINS9_10device_ptrIxEEEESE_SE_xNS9_4plusIvEENS9_8equal_toIxEExEE10hipError_tPvRmT2_T3_T4_T5_mT6_T7_P12ihipStream_tbENKUlT_T0_E_clISt17integral_constantIbLb1EESZ_EEDaSU_SV_EUlSU_E_NS1_11comp_targetILNS1_3genE8ELNS1_11target_archE1030ELNS1_3gpuE2ELNS1_3repE0EEENS1_30default_config_static_selectorELNS0_4arch9wavefront6targetE0EEEvT1_.has_indirect_call, 0
	.section	.AMDGPU.csdata,"",@progbits
; Kernel info:
; codeLenInByte = 0
; TotalNumSgprs: 0
; NumVgprs: 0
; ScratchSize: 0
; MemoryBound: 0
; FloatMode: 240
; IeeeMode: 1
; LDSByteSize: 0 bytes/workgroup (compile time only)
; SGPRBlocks: 0
; VGPRBlocks: 0
; NumSGPRsForWavesPerEU: 1
; NumVGPRsForWavesPerEU: 1
; NamedBarCnt: 0
; Occupancy: 16
; WaveLimiterHint : 0
; COMPUTE_PGM_RSRC2:SCRATCH_EN: 0
; COMPUTE_PGM_RSRC2:USER_SGPR: 2
; COMPUTE_PGM_RSRC2:TRAP_HANDLER: 0
; COMPUTE_PGM_RSRC2:TGID_X_EN: 1
; COMPUTE_PGM_RSRC2:TGID_Y_EN: 0
; COMPUTE_PGM_RSRC2:TGID_Z_EN: 0
; COMPUTE_PGM_RSRC2:TIDIG_COMP_CNT: 0
	.section	.text._ZN7rocprim17ROCPRIM_400000_NS6detail17trampoline_kernelINS0_14default_configENS1_27scan_by_key_config_selectorIxxEEZZNS1_16scan_by_key_implILNS1_25lookback_scan_determinismE0ELb0ES3_N6thrust23THRUST_200600_302600_NS6detail15normal_iteratorINS9_10device_ptrIxEEEESE_SE_xNS9_4plusIvEENS9_8equal_toIxEExEE10hipError_tPvRmT2_T3_T4_T5_mT6_T7_P12ihipStream_tbENKUlT_T0_E_clISt17integral_constantIbLb1EESY_IbLb0EEEEDaSU_SV_EUlSU_E_NS1_11comp_targetILNS1_3genE0ELNS1_11target_archE4294967295ELNS1_3gpuE0ELNS1_3repE0EEENS1_30default_config_static_selectorELNS0_4arch9wavefront6targetE0EEEvT1_,"axG",@progbits,_ZN7rocprim17ROCPRIM_400000_NS6detail17trampoline_kernelINS0_14default_configENS1_27scan_by_key_config_selectorIxxEEZZNS1_16scan_by_key_implILNS1_25lookback_scan_determinismE0ELb0ES3_N6thrust23THRUST_200600_302600_NS6detail15normal_iteratorINS9_10device_ptrIxEEEESE_SE_xNS9_4plusIvEENS9_8equal_toIxEExEE10hipError_tPvRmT2_T3_T4_T5_mT6_T7_P12ihipStream_tbENKUlT_T0_E_clISt17integral_constantIbLb1EESY_IbLb0EEEEDaSU_SV_EUlSU_E_NS1_11comp_targetILNS1_3genE0ELNS1_11target_archE4294967295ELNS1_3gpuE0ELNS1_3repE0EEENS1_30default_config_static_selectorELNS0_4arch9wavefront6targetE0EEEvT1_,comdat
	.protected	_ZN7rocprim17ROCPRIM_400000_NS6detail17trampoline_kernelINS0_14default_configENS1_27scan_by_key_config_selectorIxxEEZZNS1_16scan_by_key_implILNS1_25lookback_scan_determinismE0ELb0ES3_N6thrust23THRUST_200600_302600_NS6detail15normal_iteratorINS9_10device_ptrIxEEEESE_SE_xNS9_4plusIvEENS9_8equal_toIxEExEE10hipError_tPvRmT2_T3_T4_T5_mT6_T7_P12ihipStream_tbENKUlT_T0_E_clISt17integral_constantIbLb1EESY_IbLb0EEEEDaSU_SV_EUlSU_E_NS1_11comp_targetILNS1_3genE0ELNS1_11target_archE4294967295ELNS1_3gpuE0ELNS1_3repE0EEENS1_30default_config_static_selectorELNS0_4arch9wavefront6targetE0EEEvT1_ ; -- Begin function _ZN7rocprim17ROCPRIM_400000_NS6detail17trampoline_kernelINS0_14default_configENS1_27scan_by_key_config_selectorIxxEEZZNS1_16scan_by_key_implILNS1_25lookback_scan_determinismE0ELb0ES3_N6thrust23THRUST_200600_302600_NS6detail15normal_iteratorINS9_10device_ptrIxEEEESE_SE_xNS9_4plusIvEENS9_8equal_toIxEExEE10hipError_tPvRmT2_T3_T4_T5_mT6_T7_P12ihipStream_tbENKUlT_T0_E_clISt17integral_constantIbLb1EESY_IbLb0EEEEDaSU_SV_EUlSU_E_NS1_11comp_targetILNS1_3genE0ELNS1_11target_archE4294967295ELNS1_3gpuE0ELNS1_3repE0EEENS1_30default_config_static_selectorELNS0_4arch9wavefront6targetE0EEEvT1_
	.globl	_ZN7rocprim17ROCPRIM_400000_NS6detail17trampoline_kernelINS0_14default_configENS1_27scan_by_key_config_selectorIxxEEZZNS1_16scan_by_key_implILNS1_25lookback_scan_determinismE0ELb0ES3_N6thrust23THRUST_200600_302600_NS6detail15normal_iteratorINS9_10device_ptrIxEEEESE_SE_xNS9_4plusIvEENS9_8equal_toIxEExEE10hipError_tPvRmT2_T3_T4_T5_mT6_T7_P12ihipStream_tbENKUlT_T0_E_clISt17integral_constantIbLb1EESY_IbLb0EEEEDaSU_SV_EUlSU_E_NS1_11comp_targetILNS1_3genE0ELNS1_11target_archE4294967295ELNS1_3gpuE0ELNS1_3repE0EEENS1_30default_config_static_selectorELNS0_4arch9wavefront6targetE0EEEvT1_
	.p2align	8
	.type	_ZN7rocprim17ROCPRIM_400000_NS6detail17trampoline_kernelINS0_14default_configENS1_27scan_by_key_config_selectorIxxEEZZNS1_16scan_by_key_implILNS1_25lookback_scan_determinismE0ELb0ES3_N6thrust23THRUST_200600_302600_NS6detail15normal_iteratorINS9_10device_ptrIxEEEESE_SE_xNS9_4plusIvEENS9_8equal_toIxEExEE10hipError_tPvRmT2_T3_T4_T5_mT6_T7_P12ihipStream_tbENKUlT_T0_E_clISt17integral_constantIbLb1EESY_IbLb0EEEEDaSU_SV_EUlSU_E_NS1_11comp_targetILNS1_3genE0ELNS1_11target_archE4294967295ELNS1_3gpuE0ELNS1_3repE0EEENS1_30default_config_static_selectorELNS0_4arch9wavefront6targetE0EEEvT1_,@function
_ZN7rocprim17ROCPRIM_400000_NS6detail17trampoline_kernelINS0_14default_configENS1_27scan_by_key_config_selectorIxxEEZZNS1_16scan_by_key_implILNS1_25lookback_scan_determinismE0ELb0ES3_N6thrust23THRUST_200600_302600_NS6detail15normal_iteratorINS9_10device_ptrIxEEEESE_SE_xNS9_4plusIvEENS9_8equal_toIxEExEE10hipError_tPvRmT2_T3_T4_T5_mT6_T7_P12ihipStream_tbENKUlT_T0_E_clISt17integral_constantIbLb1EESY_IbLb0EEEEDaSU_SV_EUlSU_E_NS1_11comp_targetILNS1_3genE0ELNS1_11target_archE4294967295ELNS1_3gpuE0ELNS1_3repE0EEENS1_30default_config_static_selectorELNS0_4arch9wavefront6targetE0EEEvT1_: ; @_ZN7rocprim17ROCPRIM_400000_NS6detail17trampoline_kernelINS0_14default_configENS1_27scan_by_key_config_selectorIxxEEZZNS1_16scan_by_key_implILNS1_25lookback_scan_determinismE0ELb0ES3_N6thrust23THRUST_200600_302600_NS6detail15normal_iteratorINS9_10device_ptrIxEEEESE_SE_xNS9_4plusIvEENS9_8equal_toIxEExEE10hipError_tPvRmT2_T3_T4_T5_mT6_T7_P12ihipStream_tbENKUlT_T0_E_clISt17integral_constantIbLb1EESY_IbLb0EEEEDaSU_SV_EUlSU_E_NS1_11comp_targetILNS1_3genE0ELNS1_11target_archE4294967295ELNS1_3gpuE0ELNS1_3repE0EEENS1_30default_config_static_selectorELNS0_4arch9wavefront6targetE0EEEvT1_
; %bb.0:
	s_endpgm
	.section	.rodata,"a",@progbits
	.p2align	6, 0x0
	.amdhsa_kernel _ZN7rocprim17ROCPRIM_400000_NS6detail17trampoline_kernelINS0_14default_configENS1_27scan_by_key_config_selectorIxxEEZZNS1_16scan_by_key_implILNS1_25lookback_scan_determinismE0ELb0ES3_N6thrust23THRUST_200600_302600_NS6detail15normal_iteratorINS9_10device_ptrIxEEEESE_SE_xNS9_4plusIvEENS9_8equal_toIxEExEE10hipError_tPvRmT2_T3_T4_T5_mT6_T7_P12ihipStream_tbENKUlT_T0_E_clISt17integral_constantIbLb1EESY_IbLb0EEEEDaSU_SV_EUlSU_E_NS1_11comp_targetILNS1_3genE0ELNS1_11target_archE4294967295ELNS1_3gpuE0ELNS1_3repE0EEENS1_30default_config_static_selectorELNS0_4arch9wavefront6targetE0EEEvT1_
		.amdhsa_group_segment_fixed_size 0
		.amdhsa_private_segment_fixed_size 0
		.amdhsa_kernarg_size 136
		.amdhsa_user_sgpr_count 2
		.amdhsa_user_sgpr_dispatch_ptr 0
		.amdhsa_user_sgpr_queue_ptr 0
		.amdhsa_user_sgpr_kernarg_segment_ptr 1
		.amdhsa_user_sgpr_dispatch_id 0
		.amdhsa_user_sgpr_kernarg_preload_length 0
		.amdhsa_user_sgpr_kernarg_preload_offset 0
		.amdhsa_user_sgpr_private_segment_size 0
		.amdhsa_wavefront_size32 1
		.amdhsa_uses_dynamic_stack 0
		.amdhsa_enable_private_segment 0
		.amdhsa_system_sgpr_workgroup_id_x 1
		.amdhsa_system_sgpr_workgroup_id_y 0
		.amdhsa_system_sgpr_workgroup_id_z 0
		.amdhsa_system_sgpr_workgroup_info 0
		.amdhsa_system_vgpr_workitem_id 0
		.amdhsa_next_free_vgpr 1
		.amdhsa_next_free_sgpr 1
		.amdhsa_named_barrier_count 0
		.amdhsa_reserve_vcc 0
		.amdhsa_float_round_mode_32 0
		.amdhsa_float_round_mode_16_64 0
		.amdhsa_float_denorm_mode_32 3
		.amdhsa_float_denorm_mode_16_64 3
		.amdhsa_fp16_overflow 0
		.amdhsa_memory_ordered 1
		.amdhsa_forward_progress 1
		.amdhsa_inst_pref_size 1
		.amdhsa_round_robin_scheduling 0
		.amdhsa_exception_fp_ieee_invalid_op 0
		.amdhsa_exception_fp_denorm_src 0
		.amdhsa_exception_fp_ieee_div_zero 0
		.amdhsa_exception_fp_ieee_overflow 0
		.amdhsa_exception_fp_ieee_underflow 0
		.amdhsa_exception_fp_ieee_inexact 0
		.amdhsa_exception_int_div_zero 0
	.end_amdhsa_kernel
	.section	.text._ZN7rocprim17ROCPRIM_400000_NS6detail17trampoline_kernelINS0_14default_configENS1_27scan_by_key_config_selectorIxxEEZZNS1_16scan_by_key_implILNS1_25lookback_scan_determinismE0ELb0ES3_N6thrust23THRUST_200600_302600_NS6detail15normal_iteratorINS9_10device_ptrIxEEEESE_SE_xNS9_4plusIvEENS9_8equal_toIxEExEE10hipError_tPvRmT2_T3_T4_T5_mT6_T7_P12ihipStream_tbENKUlT_T0_E_clISt17integral_constantIbLb1EESY_IbLb0EEEEDaSU_SV_EUlSU_E_NS1_11comp_targetILNS1_3genE0ELNS1_11target_archE4294967295ELNS1_3gpuE0ELNS1_3repE0EEENS1_30default_config_static_selectorELNS0_4arch9wavefront6targetE0EEEvT1_,"axG",@progbits,_ZN7rocprim17ROCPRIM_400000_NS6detail17trampoline_kernelINS0_14default_configENS1_27scan_by_key_config_selectorIxxEEZZNS1_16scan_by_key_implILNS1_25lookback_scan_determinismE0ELb0ES3_N6thrust23THRUST_200600_302600_NS6detail15normal_iteratorINS9_10device_ptrIxEEEESE_SE_xNS9_4plusIvEENS9_8equal_toIxEExEE10hipError_tPvRmT2_T3_T4_T5_mT6_T7_P12ihipStream_tbENKUlT_T0_E_clISt17integral_constantIbLb1EESY_IbLb0EEEEDaSU_SV_EUlSU_E_NS1_11comp_targetILNS1_3genE0ELNS1_11target_archE4294967295ELNS1_3gpuE0ELNS1_3repE0EEENS1_30default_config_static_selectorELNS0_4arch9wavefront6targetE0EEEvT1_,comdat
.Lfunc_end101:
	.size	_ZN7rocprim17ROCPRIM_400000_NS6detail17trampoline_kernelINS0_14default_configENS1_27scan_by_key_config_selectorIxxEEZZNS1_16scan_by_key_implILNS1_25lookback_scan_determinismE0ELb0ES3_N6thrust23THRUST_200600_302600_NS6detail15normal_iteratorINS9_10device_ptrIxEEEESE_SE_xNS9_4plusIvEENS9_8equal_toIxEExEE10hipError_tPvRmT2_T3_T4_T5_mT6_T7_P12ihipStream_tbENKUlT_T0_E_clISt17integral_constantIbLb1EESY_IbLb0EEEEDaSU_SV_EUlSU_E_NS1_11comp_targetILNS1_3genE0ELNS1_11target_archE4294967295ELNS1_3gpuE0ELNS1_3repE0EEENS1_30default_config_static_selectorELNS0_4arch9wavefront6targetE0EEEvT1_, .Lfunc_end101-_ZN7rocprim17ROCPRIM_400000_NS6detail17trampoline_kernelINS0_14default_configENS1_27scan_by_key_config_selectorIxxEEZZNS1_16scan_by_key_implILNS1_25lookback_scan_determinismE0ELb0ES3_N6thrust23THRUST_200600_302600_NS6detail15normal_iteratorINS9_10device_ptrIxEEEESE_SE_xNS9_4plusIvEENS9_8equal_toIxEExEE10hipError_tPvRmT2_T3_T4_T5_mT6_T7_P12ihipStream_tbENKUlT_T0_E_clISt17integral_constantIbLb1EESY_IbLb0EEEEDaSU_SV_EUlSU_E_NS1_11comp_targetILNS1_3genE0ELNS1_11target_archE4294967295ELNS1_3gpuE0ELNS1_3repE0EEENS1_30default_config_static_selectorELNS0_4arch9wavefront6targetE0EEEvT1_
                                        ; -- End function
	.set _ZN7rocprim17ROCPRIM_400000_NS6detail17trampoline_kernelINS0_14default_configENS1_27scan_by_key_config_selectorIxxEEZZNS1_16scan_by_key_implILNS1_25lookback_scan_determinismE0ELb0ES3_N6thrust23THRUST_200600_302600_NS6detail15normal_iteratorINS9_10device_ptrIxEEEESE_SE_xNS9_4plusIvEENS9_8equal_toIxEExEE10hipError_tPvRmT2_T3_T4_T5_mT6_T7_P12ihipStream_tbENKUlT_T0_E_clISt17integral_constantIbLb1EESY_IbLb0EEEEDaSU_SV_EUlSU_E_NS1_11comp_targetILNS1_3genE0ELNS1_11target_archE4294967295ELNS1_3gpuE0ELNS1_3repE0EEENS1_30default_config_static_selectorELNS0_4arch9wavefront6targetE0EEEvT1_.num_vgpr, 0
	.set _ZN7rocprim17ROCPRIM_400000_NS6detail17trampoline_kernelINS0_14default_configENS1_27scan_by_key_config_selectorIxxEEZZNS1_16scan_by_key_implILNS1_25lookback_scan_determinismE0ELb0ES3_N6thrust23THRUST_200600_302600_NS6detail15normal_iteratorINS9_10device_ptrIxEEEESE_SE_xNS9_4plusIvEENS9_8equal_toIxEExEE10hipError_tPvRmT2_T3_T4_T5_mT6_T7_P12ihipStream_tbENKUlT_T0_E_clISt17integral_constantIbLb1EESY_IbLb0EEEEDaSU_SV_EUlSU_E_NS1_11comp_targetILNS1_3genE0ELNS1_11target_archE4294967295ELNS1_3gpuE0ELNS1_3repE0EEENS1_30default_config_static_selectorELNS0_4arch9wavefront6targetE0EEEvT1_.num_agpr, 0
	.set _ZN7rocprim17ROCPRIM_400000_NS6detail17trampoline_kernelINS0_14default_configENS1_27scan_by_key_config_selectorIxxEEZZNS1_16scan_by_key_implILNS1_25lookback_scan_determinismE0ELb0ES3_N6thrust23THRUST_200600_302600_NS6detail15normal_iteratorINS9_10device_ptrIxEEEESE_SE_xNS9_4plusIvEENS9_8equal_toIxEExEE10hipError_tPvRmT2_T3_T4_T5_mT6_T7_P12ihipStream_tbENKUlT_T0_E_clISt17integral_constantIbLb1EESY_IbLb0EEEEDaSU_SV_EUlSU_E_NS1_11comp_targetILNS1_3genE0ELNS1_11target_archE4294967295ELNS1_3gpuE0ELNS1_3repE0EEENS1_30default_config_static_selectorELNS0_4arch9wavefront6targetE0EEEvT1_.numbered_sgpr, 0
	.set _ZN7rocprim17ROCPRIM_400000_NS6detail17trampoline_kernelINS0_14default_configENS1_27scan_by_key_config_selectorIxxEEZZNS1_16scan_by_key_implILNS1_25lookback_scan_determinismE0ELb0ES3_N6thrust23THRUST_200600_302600_NS6detail15normal_iteratorINS9_10device_ptrIxEEEESE_SE_xNS9_4plusIvEENS9_8equal_toIxEExEE10hipError_tPvRmT2_T3_T4_T5_mT6_T7_P12ihipStream_tbENKUlT_T0_E_clISt17integral_constantIbLb1EESY_IbLb0EEEEDaSU_SV_EUlSU_E_NS1_11comp_targetILNS1_3genE0ELNS1_11target_archE4294967295ELNS1_3gpuE0ELNS1_3repE0EEENS1_30default_config_static_selectorELNS0_4arch9wavefront6targetE0EEEvT1_.num_named_barrier, 0
	.set _ZN7rocprim17ROCPRIM_400000_NS6detail17trampoline_kernelINS0_14default_configENS1_27scan_by_key_config_selectorIxxEEZZNS1_16scan_by_key_implILNS1_25lookback_scan_determinismE0ELb0ES3_N6thrust23THRUST_200600_302600_NS6detail15normal_iteratorINS9_10device_ptrIxEEEESE_SE_xNS9_4plusIvEENS9_8equal_toIxEExEE10hipError_tPvRmT2_T3_T4_T5_mT6_T7_P12ihipStream_tbENKUlT_T0_E_clISt17integral_constantIbLb1EESY_IbLb0EEEEDaSU_SV_EUlSU_E_NS1_11comp_targetILNS1_3genE0ELNS1_11target_archE4294967295ELNS1_3gpuE0ELNS1_3repE0EEENS1_30default_config_static_selectorELNS0_4arch9wavefront6targetE0EEEvT1_.private_seg_size, 0
	.set _ZN7rocprim17ROCPRIM_400000_NS6detail17trampoline_kernelINS0_14default_configENS1_27scan_by_key_config_selectorIxxEEZZNS1_16scan_by_key_implILNS1_25lookback_scan_determinismE0ELb0ES3_N6thrust23THRUST_200600_302600_NS6detail15normal_iteratorINS9_10device_ptrIxEEEESE_SE_xNS9_4plusIvEENS9_8equal_toIxEExEE10hipError_tPvRmT2_T3_T4_T5_mT6_T7_P12ihipStream_tbENKUlT_T0_E_clISt17integral_constantIbLb1EESY_IbLb0EEEEDaSU_SV_EUlSU_E_NS1_11comp_targetILNS1_3genE0ELNS1_11target_archE4294967295ELNS1_3gpuE0ELNS1_3repE0EEENS1_30default_config_static_selectorELNS0_4arch9wavefront6targetE0EEEvT1_.uses_vcc, 0
	.set _ZN7rocprim17ROCPRIM_400000_NS6detail17trampoline_kernelINS0_14default_configENS1_27scan_by_key_config_selectorIxxEEZZNS1_16scan_by_key_implILNS1_25lookback_scan_determinismE0ELb0ES3_N6thrust23THRUST_200600_302600_NS6detail15normal_iteratorINS9_10device_ptrIxEEEESE_SE_xNS9_4plusIvEENS9_8equal_toIxEExEE10hipError_tPvRmT2_T3_T4_T5_mT6_T7_P12ihipStream_tbENKUlT_T0_E_clISt17integral_constantIbLb1EESY_IbLb0EEEEDaSU_SV_EUlSU_E_NS1_11comp_targetILNS1_3genE0ELNS1_11target_archE4294967295ELNS1_3gpuE0ELNS1_3repE0EEENS1_30default_config_static_selectorELNS0_4arch9wavefront6targetE0EEEvT1_.uses_flat_scratch, 0
	.set _ZN7rocprim17ROCPRIM_400000_NS6detail17trampoline_kernelINS0_14default_configENS1_27scan_by_key_config_selectorIxxEEZZNS1_16scan_by_key_implILNS1_25lookback_scan_determinismE0ELb0ES3_N6thrust23THRUST_200600_302600_NS6detail15normal_iteratorINS9_10device_ptrIxEEEESE_SE_xNS9_4plusIvEENS9_8equal_toIxEExEE10hipError_tPvRmT2_T3_T4_T5_mT6_T7_P12ihipStream_tbENKUlT_T0_E_clISt17integral_constantIbLb1EESY_IbLb0EEEEDaSU_SV_EUlSU_E_NS1_11comp_targetILNS1_3genE0ELNS1_11target_archE4294967295ELNS1_3gpuE0ELNS1_3repE0EEENS1_30default_config_static_selectorELNS0_4arch9wavefront6targetE0EEEvT1_.has_dyn_sized_stack, 0
	.set _ZN7rocprim17ROCPRIM_400000_NS6detail17trampoline_kernelINS0_14default_configENS1_27scan_by_key_config_selectorIxxEEZZNS1_16scan_by_key_implILNS1_25lookback_scan_determinismE0ELb0ES3_N6thrust23THRUST_200600_302600_NS6detail15normal_iteratorINS9_10device_ptrIxEEEESE_SE_xNS9_4plusIvEENS9_8equal_toIxEExEE10hipError_tPvRmT2_T3_T4_T5_mT6_T7_P12ihipStream_tbENKUlT_T0_E_clISt17integral_constantIbLb1EESY_IbLb0EEEEDaSU_SV_EUlSU_E_NS1_11comp_targetILNS1_3genE0ELNS1_11target_archE4294967295ELNS1_3gpuE0ELNS1_3repE0EEENS1_30default_config_static_selectorELNS0_4arch9wavefront6targetE0EEEvT1_.has_recursion, 0
	.set _ZN7rocprim17ROCPRIM_400000_NS6detail17trampoline_kernelINS0_14default_configENS1_27scan_by_key_config_selectorIxxEEZZNS1_16scan_by_key_implILNS1_25lookback_scan_determinismE0ELb0ES3_N6thrust23THRUST_200600_302600_NS6detail15normal_iteratorINS9_10device_ptrIxEEEESE_SE_xNS9_4plusIvEENS9_8equal_toIxEExEE10hipError_tPvRmT2_T3_T4_T5_mT6_T7_P12ihipStream_tbENKUlT_T0_E_clISt17integral_constantIbLb1EESY_IbLb0EEEEDaSU_SV_EUlSU_E_NS1_11comp_targetILNS1_3genE0ELNS1_11target_archE4294967295ELNS1_3gpuE0ELNS1_3repE0EEENS1_30default_config_static_selectorELNS0_4arch9wavefront6targetE0EEEvT1_.has_indirect_call, 0
	.section	.AMDGPU.csdata,"",@progbits
; Kernel info:
; codeLenInByte = 4
; TotalNumSgprs: 0
; NumVgprs: 0
; ScratchSize: 0
; MemoryBound: 0
; FloatMode: 240
; IeeeMode: 1
; LDSByteSize: 0 bytes/workgroup (compile time only)
; SGPRBlocks: 0
; VGPRBlocks: 0
; NumSGPRsForWavesPerEU: 1
; NumVGPRsForWavesPerEU: 1
; NamedBarCnt: 0
; Occupancy: 16
; WaveLimiterHint : 0
; COMPUTE_PGM_RSRC2:SCRATCH_EN: 0
; COMPUTE_PGM_RSRC2:USER_SGPR: 2
; COMPUTE_PGM_RSRC2:TRAP_HANDLER: 0
; COMPUTE_PGM_RSRC2:TGID_X_EN: 1
; COMPUTE_PGM_RSRC2:TGID_Y_EN: 0
; COMPUTE_PGM_RSRC2:TGID_Z_EN: 0
; COMPUTE_PGM_RSRC2:TIDIG_COMP_CNT: 0
	.section	.text._ZN7rocprim17ROCPRIM_400000_NS6detail17trampoline_kernelINS0_14default_configENS1_27scan_by_key_config_selectorIxxEEZZNS1_16scan_by_key_implILNS1_25lookback_scan_determinismE0ELb0ES3_N6thrust23THRUST_200600_302600_NS6detail15normal_iteratorINS9_10device_ptrIxEEEESE_SE_xNS9_4plusIvEENS9_8equal_toIxEExEE10hipError_tPvRmT2_T3_T4_T5_mT6_T7_P12ihipStream_tbENKUlT_T0_E_clISt17integral_constantIbLb1EESY_IbLb0EEEEDaSU_SV_EUlSU_E_NS1_11comp_targetILNS1_3genE10ELNS1_11target_archE1201ELNS1_3gpuE5ELNS1_3repE0EEENS1_30default_config_static_selectorELNS0_4arch9wavefront6targetE0EEEvT1_,"axG",@progbits,_ZN7rocprim17ROCPRIM_400000_NS6detail17trampoline_kernelINS0_14default_configENS1_27scan_by_key_config_selectorIxxEEZZNS1_16scan_by_key_implILNS1_25lookback_scan_determinismE0ELb0ES3_N6thrust23THRUST_200600_302600_NS6detail15normal_iteratorINS9_10device_ptrIxEEEESE_SE_xNS9_4plusIvEENS9_8equal_toIxEExEE10hipError_tPvRmT2_T3_T4_T5_mT6_T7_P12ihipStream_tbENKUlT_T0_E_clISt17integral_constantIbLb1EESY_IbLb0EEEEDaSU_SV_EUlSU_E_NS1_11comp_targetILNS1_3genE10ELNS1_11target_archE1201ELNS1_3gpuE5ELNS1_3repE0EEENS1_30default_config_static_selectorELNS0_4arch9wavefront6targetE0EEEvT1_,comdat
	.protected	_ZN7rocprim17ROCPRIM_400000_NS6detail17trampoline_kernelINS0_14default_configENS1_27scan_by_key_config_selectorIxxEEZZNS1_16scan_by_key_implILNS1_25lookback_scan_determinismE0ELb0ES3_N6thrust23THRUST_200600_302600_NS6detail15normal_iteratorINS9_10device_ptrIxEEEESE_SE_xNS9_4plusIvEENS9_8equal_toIxEExEE10hipError_tPvRmT2_T3_T4_T5_mT6_T7_P12ihipStream_tbENKUlT_T0_E_clISt17integral_constantIbLb1EESY_IbLb0EEEEDaSU_SV_EUlSU_E_NS1_11comp_targetILNS1_3genE10ELNS1_11target_archE1201ELNS1_3gpuE5ELNS1_3repE0EEENS1_30default_config_static_selectorELNS0_4arch9wavefront6targetE0EEEvT1_ ; -- Begin function _ZN7rocprim17ROCPRIM_400000_NS6detail17trampoline_kernelINS0_14default_configENS1_27scan_by_key_config_selectorIxxEEZZNS1_16scan_by_key_implILNS1_25lookback_scan_determinismE0ELb0ES3_N6thrust23THRUST_200600_302600_NS6detail15normal_iteratorINS9_10device_ptrIxEEEESE_SE_xNS9_4plusIvEENS9_8equal_toIxEExEE10hipError_tPvRmT2_T3_T4_T5_mT6_T7_P12ihipStream_tbENKUlT_T0_E_clISt17integral_constantIbLb1EESY_IbLb0EEEEDaSU_SV_EUlSU_E_NS1_11comp_targetILNS1_3genE10ELNS1_11target_archE1201ELNS1_3gpuE5ELNS1_3repE0EEENS1_30default_config_static_selectorELNS0_4arch9wavefront6targetE0EEEvT1_
	.globl	_ZN7rocprim17ROCPRIM_400000_NS6detail17trampoline_kernelINS0_14default_configENS1_27scan_by_key_config_selectorIxxEEZZNS1_16scan_by_key_implILNS1_25lookback_scan_determinismE0ELb0ES3_N6thrust23THRUST_200600_302600_NS6detail15normal_iteratorINS9_10device_ptrIxEEEESE_SE_xNS9_4plusIvEENS9_8equal_toIxEExEE10hipError_tPvRmT2_T3_T4_T5_mT6_T7_P12ihipStream_tbENKUlT_T0_E_clISt17integral_constantIbLb1EESY_IbLb0EEEEDaSU_SV_EUlSU_E_NS1_11comp_targetILNS1_3genE10ELNS1_11target_archE1201ELNS1_3gpuE5ELNS1_3repE0EEENS1_30default_config_static_selectorELNS0_4arch9wavefront6targetE0EEEvT1_
	.p2align	8
	.type	_ZN7rocprim17ROCPRIM_400000_NS6detail17trampoline_kernelINS0_14default_configENS1_27scan_by_key_config_selectorIxxEEZZNS1_16scan_by_key_implILNS1_25lookback_scan_determinismE0ELb0ES3_N6thrust23THRUST_200600_302600_NS6detail15normal_iteratorINS9_10device_ptrIxEEEESE_SE_xNS9_4plusIvEENS9_8equal_toIxEExEE10hipError_tPvRmT2_T3_T4_T5_mT6_T7_P12ihipStream_tbENKUlT_T0_E_clISt17integral_constantIbLb1EESY_IbLb0EEEEDaSU_SV_EUlSU_E_NS1_11comp_targetILNS1_3genE10ELNS1_11target_archE1201ELNS1_3gpuE5ELNS1_3repE0EEENS1_30default_config_static_selectorELNS0_4arch9wavefront6targetE0EEEvT1_,@function
_ZN7rocprim17ROCPRIM_400000_NS6detail17trampoline_kernelINS0_14default_configENS1_27scan_by_key_config_selectorIxxEEZZNS1_16scan_by_key_implILNS1_25lookback_scan_determinismE0ELb0ES3_N6thrust23THRUST_200600_302600_NS6detail15normal_iteratorINS9_10device_ptrIxEEEESE_SE_xNS9_4plusIvEENS9_8equal_toIxEExEE10hipError_tPvRmT2_T3_T4_T5_mT6_T7_P12ihipStream_tbENKUlT_T0_E_clISt17integral_constantIbLb1EESY_IbLb0EEEEDaSU_SV_EUlSU_E_NS1_11comp_targetILNS1_3genE10ELNS1_11target_archE1201ELNS1_3gpuE5ELNS1_3repE0EEENS1_30default_config_static_selectorELNS0_4arch9wavefront6targetE0EEEvT1_: ; @_ZN7rocprim17ROCPRIM_400000_NS6detail17trampoline_kernelINS0_14default_configENS1_27scan_by_key_config_selectorIxxEEZZNS1_16scan_by_key_implILNS1_25lookback_scan_determinismE0ELb0ES3_N6thrust23THRUST_200600_302600_NS6detail15normal_iteratorINS9_10device_ptrIxEEEESE_SE_xNS9_4plusIvEENS9_8equal_toIxEExEE10hipError_tPvRmT2_T3_T4_T5_mT6_T7_P12ihipStream_tbENKUlT_T0_E_clISt17integral_constantIbLb1EESY_IbLb0EEEEDaSU_SV_EUlSU_E_NS1_11comp_targetILNS1_3genE10ELNS1_11target_archE1201ELNS1_3gpuE5ELNS1_3repE0EEENS1_30default_config_static_selectorELNS0_4arch9wavefront6targetE0EEEvT1_
; %bb.0:
	.section	.rodata,"a",@progbits
	.p2align	6, 0x0
	.amdhsa_kernel _ZN7rocprim17ROCPRIM_400000_NS6detail17trampoline_kernelINS0_14default_configENS1_27scan_by_key_config_selectorIxxEEZZNS1_16scan_by_key_implILNS1_25lookback_scan_determinismE0ELb0ES3_N6thrust23THRUST_200600_302600_NS6detail15normal_iteratorINS9_10device_ptrIxEEEESE_SE_xNS9_4plusIvEENS9_8equal_toIxEExEE10hipError_tPvRmT2_T3_T4_T5_mT6_T7_P12ihipStream_tbENKUlT_T0_E_clISt17integral_constantIbLb1EESY_IbLb0EEEEDaSU_SV_EUlSU_E_NS1_11comp_targetILNS1_3genE10ELNS1_11target_archE1201ELNS1_3gpuE5ELNS1_3repE0EEENS1_30default_config_static_selectorELNS0_4arch9wavefront6targetE0EEEvT1_
		.amdhsa_group_segment_fixed_size 0
		.amdhsa_private_segment_fixed_size 0
		.amdhsa_kernarg_size 136
		.amdhsa_user_sgpr_count 2
		.amdhsa_user_sgpr_dispatch_ptr 0
		.amdhsa_user_sgpr_queue_ptr 0
		.amdhsa_user_sgpr_kernarg_segment_ptr 1
		.amdhsa_user_sgpr_dispatch_id 0
		.amdhsa_user_sgpr_kernarg_preload_length 0
		.amdhsa_user_sgpr_kernarg_preload_offset 0
		.amdhsa_user_sgpr_private_segment_size 0
		.amdhsa_wavefront_size32 1
		.amdhsa_uses_dynamic_stack 0
		.amdhsa_enable_private_segment 0
		.amdhsa_system_sgpr_workgroup_id_x 1
		.amdhsa_system_sgpr_workgroup_id_y 0
		.amdhsa_system_sgpr_workgroup_id_z 0
		.amdhsa_system_sgpr_workgroup_info 0
		.amdhsa_system_vgpr_workitem_id 0
		.amdhsa_next_free_vgpr 1
		.amdhsa_next_free_sgpr 1
		.amdhsa_named_barrier_count 0
		.amdhsa_reserve_vcc 0
		.amdhsa_float_round_mode_32 0
		.amdhsa_float_round_mode_16_64 0
		.amdhsa_float_denorm_mode_32 3
		.amdhsa_float_denorm_mode_16_64 3
		.amdhsa_fp16_overflow 0
		.amdhsa_memory_ordered 1
		.amdhsa_forward_progress 1
		.amdhsa_inst_pref_size 0
		.amdhsa_round_robin_scheduling 0
		.amdhsa_exception_fp_ieee_invalid_op 0
		.amdhsa_exception_fp_denorm_src 0
		.amdhsa_exception_fp_ieee_div_zero 0
		.amdhsa_exception_fp_ieee_overflow 0
		.amdhsa_exception_fp_ieee_underflow 0
		.amdhsa_exception_fp_ieee_inexact 0
		.amdhsa_exception_int_div_zero 0
	.end_amdhsa_kernel
	.section	.text._ZN7rocprim17ROCPRIM_400000_NS6detail17trampoline_kernelINS0_14default_configENS1_27scan_by_key_config_selectorIxxEEZZNS1_16scan_by_key_implILNS1_25lookback_scan_determinismE0ELb0ES3_N6thrust23THRUST_200600_302600_NS6detail15normal_iteratorINS9_10device_ptrIxEEEESE_SE_xNS9_4plusIvEENS9_8equal_toIxEExEE10hipError_tPvRmT2_T3_T4_T5_mT6_T7_P12ihipStream_tbENKUlT_T0_E_clISt17integral_constantIbLb1EESY_IbLb0EEEEDaSU_SV_EUlSU_E_NS1_11comp_targetILNS1_3genE10ELNS1_11target_archE1201ELNS1_3gpuE5ELNS1_3repE0EEENS1_30default_config_static_selectorELNS0_4arch9wavefront6targetE0EEEvT1_,"axG",@progbits,_ZN7rocprim17ROCPRIM_400000_NS6detail17trampoline_kernelINS0_14default_configENS1_27scan_by_key_config_selectorIxxEEZZNS1_16scan_by_key_implILNS1_25lookback_scan_determinismE0ELb0ES3_N6thrust23THRUST_200600_302600_NS6detail15normal_iteratorINS9_10device_ptrIxEEEESE_SE_xNS9_4plusIvEENS9_8equal_toIxEExEE10hipError_tPvRmT2_T3_T4_T5_mT6_T7_P12ihipStream_tbENKUlT_T0_E_clISt17integral_constantIbLb1EESY_IbLb0EEEEDaSU_SV_EUlSU_E_NS1_11comp_targetILNS1_3genE10ELNS1_11target_archE1201ELNS1_3gpuE5ELNS1_3repE0EEENS1_30default_config_static_selectorELNS0_4arch9wavefront6targetE0EEEvT1_,comdat
.Lfunc_end102:
	.size	_ZN7rocprim17ROCPRIM_400000_NS6detail17trampoline_kernelINS0_14default_configENS1_27scan_by_key_config_selectorIxxEEZZNS1_16scan_by_key_implILNS1_25lookback_scan_determinismE0ELb0ES3_N6thrust23THRUST_200600_302600_NS6detail15normal_iteratorINS9_10device_ptrIxEEEESE_SE_xNS9_4plusIvEENS9_8equal_toIxEExEE10hipError_tPvRmT2_T3_T4_T5_mT6_T7_P12ihipStream_tbENKUlT_T0_E_clISt17integral_constantIbLb1EESY_IbLb0EEEEDaSU_SV_EUlSU_E_NS1_11comp_targetILNS1_3genE10ELNS1_11target_archE1201ELNS1_3gpuE5ELNS1_3repE0EEENS1_30default_config_static_selectorELNS0_4arch9wavefront6targetE0EEEvT1_, .Lfunc_end102-_ZN7rocprim17ROCPRIM_400000_NS6detail17trampoline_kernelINS0_14default_configENS1_27scan_by_key_config_selectorIxxEEZZNS1_16scan_by_key_implILNS1_25lookback_scan_determinismE0ELb0ES3_N6thrust23THRUST_200600_302600_NS6detail15normal_iteratorINS9_10device_ptrIxEEEESE_SE_xNS9_4plusIvEENS9_8equal_toIxEExEE10hipError_tPvRmT2_T3_T4_T5_mT6_T7_P12ihipStream_tbENKUlT_T0_E_clISt17integral_constantIbLb1EESY_IbLb0EEEEDaSU_SV_EUlSU_E_NS1_11comp_targetILNS1_3genE10ELNS1_11target_archE1201ELNS1_3gpuE5ELNS1_3repE0EEENS1_30default_config_static_selectorELNS0_4arch9wavefront6targetE0EEEvT1_
                                        ; -- End function
	.set _ZN7rocprim17ROCPRIM_400000_NS6detail17trampoline_kernelINS0_14default_configENS1_27scan_by_key_config_selectorIxxEEZZNS1_16scan_by_key_implILNS1_25lookback_scan_determinismE0ELb0ES3_N6thrust23THRUST_200600_302600_NS6detail15normal_iteratorINS9_10device_ptrIxEEEESE_SE_xNS9_4plusIvEENS9_8equal_toIxEExEE10hipError_tPvRmT2_T3_T4_T5_mT6_T7_P12ihipStream_tbENKUlT_T0_E_clISt17integral_constantIbLb1EESY_IbLb0EEEEDaSU_SV_EUlSU_E_NS1_11comp_targetILNS1_3genE10ELNS1_11target_archE1201ELNS1_3gpuE5ELNS1_3repE0EEENS1_30default_config_static_selectorELNS0_4arch9wavefront6targetE0EEEvT1_.num_vgpr, 0
	.set _ZN7rocprim17ROCPRIM_400000_NS6detail17trampoline_kernelINS0_14default_configENS1_27scan_by_key_config_selectorIxxEEZZNS1_16scan_by_key_implILNS1_25lookback_scan_determinismE0ELb0ES3_N6thrust23THRUST_200600_302600_NS6detail15normal_iteratorINS9_10device_ptrIxEEEESE_SE_xNS9_4plusIvEENS9_8equal_toIxEExEE10hipError_tPvRmT2_T3_T4_T5_mT6_T7_P12ihipStream_tbENKUlT_T0_E_clISt17integral_constantIbLb1EESY_IbLb0EEEEDaSU_SV_EUlSU_E_NS1_11comp_targetILNS1_3genE10ELNS1_11target_archE1201ELNS1_3gpuE5ELNS1_3repE0EEENS1_30default_config_static_selectorELNS0_4arch9wavefront6targetE0EEEvT1_.num_agpr, 0
	.set _ZN7rocprim17ROCPRIM_400000_NS6detail17trampoline_kernelINS0_14default_configENS1_27scan_by_key_config_selectorIxxEEZZNS1_16scan_by_key_implILNS1_25lookback_scan_determinismE0ELb0ES3_N6thrust23THRUST_200600_302600_NS6detail15normal_iteratorINS9_10device_ptrIxEEEESE_SE_xNS9_4plusIvEENS9_8equal_toIxEExEE10hipError_tPvRmT2_T3_T4_T5_mT6_T7_P12ihipStream_tbENKUlT_T0_E_clISt17integral_constantIbLb1EESY_IbLb0EEEEDaSU_SV_EUlSU_E_NS1_11comp_targetILNS1_3genE10ELNS1_11target_archE1201ELNS1_3gpuE5ELNS1_3repE0EEENS1_30default_config_static_selectorELNS0_4arch9wavefront6targetE0EEEvT1_.numbered_sgpr, 0
	.set _ZN7rocprim17ROCPRIM_400000_NS6detail17trampoline_kernelINS0_14default_configENS1_27scan_by_key_config_selectorIxxEEZZNS1_16scan_by_key_implILNS1_25lookback_scan_determinismE0ELb0ES3_N6thrust23THRUST_200600_302600_NS6detail15normal_iteratorINS9_10device_ptrIxEEEESE_SE_xNS9_4plusIvEENS9_8equal_toIxEExEE10hipError_tPvRmT2_T3_T4_T5_mT6_T7_P12ihipStream_tbENKUlT_T0_E_clISt17integral_constantIbLb1EESY_IbLb0EEEEDaSU_SV_EUlSU_E_NS1_11comp_targetILNS1_3genE10ELNS1_11target_archE1201ELNS1_3gpuE5ELNS1_3repE0EEENS1_30default_config_static_selectorELNS0_4arch9wavefront6targetE0EEEvT1_.num_named_barrier, 0
	.set _ZN7rocprim17ROCPRIM_400000_NS6detail17trampoline_kernelINS0_14default_configENS1_27scan_by_key_config_selectorIxxEEZZNS1_16scan_by_key_implILNS1_25lookback_scan_determinismE0ELb0ES3_N6thrust23THRUST_200600_302600_NS6detail15normal_iteratorINS9_10device_ptrIxEEEESE_SE_xNS9_4plusIvEENS9_8equal_toIxEExEE10hipError_tPvRmT2_T3_T4_T5_mT6_T7_P12ihipStream_tbENKUlT_T0_E_clISt17integral_constantIbLb1EESY_IbLb0EEEEDaSU_SV_EUlSU_E_NS1_11comp_targetILNS1_3genE10ELNS1_11target_archE1201ELNS1_3gpuE5ELNS1_3repE0EEENS1_30default_config_static_selectorELNS0_4arch9wavefront6targetE0EEEvT1_.private_seg_size, 0
	.set _ZN7rocprim17ROCPRIM_400000_NS6detail17trampoline_kernelINS0_14default_configENS1_27scan_by_key_config_selectorIxxEEZZNS1_16scan_by_key_implILNS1_25lookback_scan_determinismE0ELb0ES3_N6thrust23THRUST_200600_302600_NS6detail15normal_iteratorINS9_10device_ptrIxEEEESE_SE_xNS9_4plusIvEENS9_8equal_toIxEExEE10hipError_tPvRmT2_T3_T4_T5_mT6_T7_P12ihipStream_tbENKUlT_T0_E_clISt17integral_constantIbLb1EESY_IbLb0EEEEDaSU_SV_EUlSU_E_NS1_11comp_targetILNS1_3genE10ELNS1_11target_archE1201ELNS1_3gpuE5ELNS1_3repE0EEENS1_30default_config_static_selectorELNS0_4arch9wavefront6targetE0EEEvT1_.uses_vcc, 0
	.set _ZN7rocprim17ROCPRIM_400000_NS6detail17trampoline_kernelINS0_14default_configENS1_27scan_by_key_config_selectorIxxEEZZNS1_16scan_by_key_implILNS1_25lookback_scan_determinismE0ELb0ES3_N6thrust23THRUST_200600_302600_NS6detail15normal_iteratorINS9_10device_ptrIxEEEESE_SE_xNS9_4plusIvEENS9_8equal_toIxEExEE10hipError_tPvRmT2_T3_T4_T5_mT6_T7_P12ihipStream_tbENKUlT_T0_E_clISt17integral_constantIbLb1EESY_IbLb0EEEEDaSU_SV_EUlSU_E_NS1_11comp_targetILNS1_3genE10ELNS1_11target_archE1201ELNS1_3gpuE5ELNS1_3repE0EEENS1_30default_config_static_selectorELNS0_4arch9wavefront6targetE0EEEvT1_.uses_flat_scratch, 0
	.set _ZN7rocprim17ROCPRIM_400000_NS6detail17trampoline_kernelINS0_14default_configENS1_27scan_by_key_config_selectorIxxEEZZNS1_16scan_by_key_implILNS1_25lookback_scan_determinismE0ELb0ES3_N6thrust23THRUST_200600_302600_NS6detail15normal_iteratorINS9_10device_ptrIxEEEESE_SE_xNS9_4plusIvEENS9_8equal_toIxEExEE10hipError_tPvRmT2_T3_T4_T5_mT6_T7_P12ihipStream_tbENKUlT_T0_E_clISt17integral_constantIbLb1EESY_IbLb0EEEEDaSU_SV_EUlSU_E_NS1_11comp_targetILNS1_3genE10ELNS1_11target_archE1201ELNS1_3gpuE5ELNS1_3repE0EEENS1_30default_config_static_selectorELNS0_4arch9wavefront6targetE0EEEvT1_.has_dyn_sized_stack, 0
	.set _ZN7rocprim17ROCPRIM_400000_NS6detail17trampoline_kernelINS0_14default_configENS1_27scan_by_key_config_selectorIxxEEZZNS1_16scan_by_key_implILNS1_25lookback_scan_determinismE0ELb0ES3_N6thrust23THRUST_200600_302600_NS6detail15normal_iteratorINS9_10device_ptrIxEEEESE_SE_xNS9_4plusIvEENS9_8equal_toIxEExEE10hipError_tPvRmT2_T3_T4_T5_mT6_T7_P12ihipStream_tbENKUlT_T0_E_clISt17integral_constantIbLb1EESY_IbLb0EEEEDaSU_SV_EUlSU_E_NS1_11comp_targetILNS1_3genE10ELNS1_11target_archE1201ELNS1_3gpuE5ELNS1_3repE0EEENS1_30default_config_static_selectorELNS0_4arch9wavefront6targetE0EEEvT1_.has_recursion, 0
	.set _ZN7rocprim17ROCPRIM_400000_NS6detail17trampoline_kernelINS0_14default_configENS1_27scan_by_key_config_selectorIxxEEZZNS1_16scan_by_key_implILNS1_25lookback_scan_determinismE0ELb0ES3_N6thrust23THRUST_200600_302600_NS6detail15normal_iteratorINS9_10device_ptrIxEEEESE_SE_xNS9_4plusIvEENS9_8equal_toIxEExEE10hipError_tPvRmT2_T3_T4_T5_mT6_T7_P12ihipStream_tbENKUlT_T0_E_clISt17integral_constantIbLb1EESY_IbLb0EEEEDaSU_SV_EUlSU_E_NS1_11comp_targetILNS1_3genE10ELNS1_11target_archE1201ELNS1_3gpuE5ELNS1_3repE0EEENS1_30default_config_static_selectorELNS0_4arch9wavefront6targetE0EEEvT1_.has_indirect_call, 0
	.section	.AMDGPU.csdata,"",@progbits
; Kernel info:
; codeLenInByte = 0
; TotalNumSgprs: 0
; NumVgprs: 0
; ScratchSize: 0
; MemoryBound: 0
; FloatMode: 240
; IeeeMode: 1
; LDSByteSize: 0 bytes/workgroup (compile time only)
; SGPRBlocks: 0
; VGPRBlocks: 0
; NumSGPRsForWavesPerEU: 1
; NumVGPRsForWavesPerEU: 1
; NamedBarCnt: 0
; Occupancy: 16
; WaveLimiterHint : 0
; COMPUTE_PGM_RSRC2:SCRATCH_EN: 0
; COMPUTE_PGM_RSRC2:USER_SGPR: 2
; COMPUTE_PGM_RSRC2:TRAP_HANDLER: 0
; COMPUTE_PGM_RSRC2:TGID_X_EN: 1
; COMPUTE_PGM_RSRC2:TGID_Y_EN: 0
; COMPUTE_PGM_RSRC2:TGID_Z_EN: 0
; COMPUTE_PGM_RSRC2:TIDIG_COMP_CNT: 0
	.section	.text._ZN7rocprim17ROCPRIM_400000_NS6detail17trampoline_kernelINS0_14default_configENS1_27scan_by_key_config_selectorIxxEEZZNS1_16scan_by_key_implILNS1_25lookback_scan_determinismE0ELb0ES3_N6thrust23THRUST_200600_302600_NS6detail15normal_iteratorINS9_10device_ptrIxEEEESE_SE_xNS9_4plusIvEENS9_8equal_toIxEExEE10hipError_tPvRmT2_T3_T4_T5_mT6_T7_P12ihipStream_tbENKUlT_T0_E_clISt17integral_constantIbLb1EESY_IbLb0EEEEDaSU_SV_EUlSU_E_NS1_11comp_targetILNS1_3genE5ELNS1_11target_archE942ELNS1_3gpuE9ELNS1_3repE0EEENS1_30default_config_static_selectorELNS0_4arch9wavefront6targetE0EEEvT1_,"axG",@progbits,_ZN7rocprim17ROCPRIM_400000_NS6detail17trampoline_kernelINS0_14default_configENS1_27scan_by_key_config_selectorIxxEEZZNS1_16scan_by_key_implILNS1_25lookback_scan_determinismE0ELb0ES3_N6thrust23THRUST_200600_302600_NS6detail15normal_iteratorINS9_10device_ptrIxEEEESE_SE_xNS9_4plusIvEENS9_8equal_toIxEExEE10hipError_tPvRmT2_T3_T4_T5_mT6_T7_P12ihipStream_tbENKUlT_T0_E_clISt17integral_constantIbLb1EESY_IbLb0EEEEDaSU_SV_EUlSU_E_NS1_11comp_targetILNS1_3genE5ELNS1_11target_archE942ELNS1_3gpuE9ELNS1_3repE0EEENS1_30default_config_static_selectorELNS0_4arch9wavefront6targetE0EEEvT1_,comdat
	.protected	_ZN7rocprim17ROCPRIM_400000_NS6detail17trampoline_kernelINS0_14default_configENS1_27scan_by_key_config_selectorIxxEEZZNS1_16scan_by_key_implILNS1_25lookback_scan_determinismE0ELb0ES3_N6thrust23THRUST_200600_302600_NS6detail15normal_iteratorINS9_10device_ptrIxEEEESE_SE_xNS9_4plusIvEENS9_8equal_toIxEExEE10hipError_tPvRmT2_T3_T4_T5_mT6_T7_P12ihipStream_tbENKUlT_T0_E_clISt17integral_constantIbLb1EESY_IbLb0EEEEDaSU_SV_EUlSU_E_NS1_11comp_targetILNS1_3genE5ELNS1_11target_archE942ELNS1_3gpuE9ELNS1_3repE0EEENS1_30default_config_static_selectorELNS0_4arch9wavefront6targetE0EEEvT1_ ; -- Begin function _ZN7rocprim17ROCPRIM_400000_NS6detail17trampoline_kernelINS0_14default_configENS1_27scan_by_key_config_selectorIxxEEZZNS1_16scan_by_key_implILNS1_25lookback_scan_determinismE0ELb0ES3_N6thrust23THRUST_200600_302600_NS6detail15normal_iteratorINS9_10device_ptrIxEEEESE_SE_xNS9_4plusIvEENS9_8equal_toIxEExEE10hipError_tPvRmT2_T3_T4_T5_mT6_T7_P12ihipStream_tbENKUlT_T0_E_clISt17integral_constantIbLb1EESY_IbLb0EEEEDaSU_SV_EUlSU_E_NS1_11comp_targetILNS1_3genE5ELNS1_11target_archE942ELNS1_3gpuE9ELNS1_3repE0EEENS1_30default_config_static_selectorELNS0_4arch9wavefront6targetE0EEEvT1_
	.globl	_ZN7rocprim17ROCPRIM_400000_NS6detail17trampoline_kernelINS0_14default_configENS1_27scan_by_key_config_selectorIxxEEZZNS1_16scan_by_key_implILNS1_25lookback_scan_determinismE0ELb0ES3_N6thrust23THRUST_200600_302600_NS6detail15normal_iteratorINS9_10device_ptrIxEEEESE_SE_xNS9_4plusIvEENS9_8equal_toIxEExEE10hipError_tPvRmT2_T3_T4_T5_mT6_T7_P12ihipStream_tbENKUlT_T0_E_clISt17integral_constantIbLb1EESY_IbLb0EEEEDaSU_SV_EUlSU_E_NS1_11comp_targetILNS1_3genE5ELNS1_11target_archE942ELNS1_3gpuE9ELNS1_3repE0EEENS1_30default_config_static_selectorELNS0_4arch9wavefront6targetE0EEEvT1_
	.p2align	8
	.type	_ZN7rocprim17ROCPRIM_400000_NS6detail17trampoline_kernelINS0_14default_configENS1_27scan_by_key_config_selectorIxxEEZZNS1_16scan_by_key_implILNS1_25lookback_scan_determinismE0ELb0ES3_N6thrust23THRUST_200600_302600_NS6detail15normal_iteratorINS9_10device_ptrIxEEEESE_SE_xNS9_4plusIvEENS9_8equal_toIxEExEE10hipError_tPvRmT2_T3_T4_T5_mT6_T7_P12ihipStream_tbENKUlT_T0_E_clISt17integral_constantIbLb1EESY_IbLb0EEEEDaSU_SV_EUlSU_E_NS1_11comp_targetILNS1_3genE5ELNS1_11target_archE942ELNS1_3gpuE9ELNS1_3repE0EEENS1_30default_config_static_selectorELNS0_4arch9wavefront6targetE0EEEvT1_,@function
_ZN7rocprim17ROCPRIM_400000_NS6detail17trampoline_kernelINS0_14default_configENS1_27scan_by_key_config_selectorIxxEEZZNS1_16scan_by_key_implILNS1_25lookback_scan_determinismE0ELb0ES3_N6thrust23THRUST_200600_302600_NS6detail15normal_iteratorINS9_10device_ptrIxEEEESE_SE_xNS9_4plusIvEENS9_8equal_toIxEExEE10hipError_tPvRmT2_T3_T4_T5_mT6_T7_P12ihipStream_tbENKUlT_T0_E_clISt17integral_constantIbLb1EESY_IbLb0EEEEDaSU_SV_EUlSU_E_NS1_11comp_targetILNS1_3genE5ELNS1_11target_archE942ELNS1_3gpuE9ELNS1_3repE0EEENS1_30default_config_static_selectorELNS0_4arch9wavefront6targetE0EEEvT1_: ; @_ZN7rocprim17ROCPRIM_400000_NS6detail17trampoline_kernelINS0_14default_configENS1_27scan_by_key_config_selectorIxxEEZZNS1_16scan_by_key_implILNS1_25lookback_scan_determinismE0ELb0ES3_N6thrust23THRUST_200600_302600_NS6detail15normal_iteratorINS9_10device_ptrIxEEEESE_SE_xNS9_4plusIvEENS9_8equal_toIxEExEE10hipError_tPvRmT2_T3_T4_T5_mT6_T7_P12ihipStream_tbENKUlT_T0_E_clISt17integral_constantIbLb1EESY_IbLb0EEEEDaSU_SV_EUlSU_E_NS1_11comp_targetILNS1_3genE5ELNS1_11target_archE942ELNS1_3gpuE9ELNS1_3repE0EEENS1_30default_config_static_selectorELNS0_4arch9wavefront6targetE0EEEvT1_
; %bb.0:
	.section	.rodata,"a",@progbits
	.p2align	6, 0x0
	.amdhsa_kernel _ZN7rocprim17ROCPRIM_400000_NS6detail17trampoline_kernelINS0_14default_configENS1_27scan_by_key_config_selectorIxxEEZZNS1_16scan_by_key_implILNS1_25lookback_scan_determinismE0ELb0ES3_N6thrust23THRUST_200600_302600_NS6detail15normal_iteratorINS9_10device_ptrIxEEEESE_SE_xNS9_4plusIvEENS9_8equal_toIxEExEE10hipError_tPvRmT2_T3_T4_T5_mT6_T7_P12ihipStream_tbENKUlT_T0_E_clISt17integral_constantIbLb1EESY_IbLb0EEEEDaSU_SV_EUlSU_E_NS1_11comp_targetILNS1_3genE5ELNS1_11target_archE942ELNS1_3gpuE9ELNS1_3repE0EEENS1_30default_config_static_selectorELNS0_4arch9wavefront6targetE0EEEvT1_
		.amdhsa_group_segment_fixed_size 0
		.amdhsa_private_segment_fixed_size 0
		.amdhsa_kernarg_size 136
		.amdhsa_user_sgpr_count 2
		.amdhsa_user_sgpr_dispatch_ptr 0
		.amdhsa_user_sgpr_queue_ptr 0
		.amdhsa_user_sgpr_kernarg_segment_ptr 1
		.amdhsa_user_sgpr_dispatch_id 0
		.amdhsa_user_sgpr_kernarg_preload_length 0
		.amdhsa_user_sgpr_kernarg_preload_offset 0
		.amdhsa_user_sgpr_private_segment_size 0
		.amdhsa_wavefront_size32 1
		.amdhsa_uses_dynamic_stack 0
		.amdhsa_enable_private_segment 0
		.amdhsa_system_sgpr_workgroup_id_x 1
		.amdhsa_system_sgpr_workgroup_id_y 0
		.amdhsa_system_sgpr_workgroup_id_z 0
		.amdhsa_system_sgpr_workgroup_info 0
		.amdhsa_system_vgpr_workitem_id 0
		.amdhsa_next_free_vgpr 1
		.amdhsa_next_free_sgpr 1
		.amdhsa_named_barrier_count 0
		.amdhsa_reserve_vcc 0
		.amdhsa_float_round_mode_32 0
		.amdhsa_float_round_mode_16_64 0
		.amdhsa_float_denorm_mode_32 3
		.amdhsa_float_denorm_mode_16_64 3
		.amdhsa_fp16_overflow 0
		.amdhsa_memory_ordered 1
		.amdhsa_forward_progress 1
		.amdhsa_inst_pref_size 0
		.amdhsa_round_robin_scheduling 0
		.amdhsa_exception_fp_ieee_invalid_op 0
		.amdhsa_exception_fp_denorm_src 0
		.amdhsa_exception_fp_ieee_div_zero 0
		.amdhsa_exception_fp_ieee_overflow 0
		.amdhsa_exception_fp_ieee_underflow 0
		.amdhsa_exception_fp_ieee_inexact 0
		.amdhsa_exception_int_div_zero 0
	.end_amdhsa_kernel
	.section	.text._ZN7rocprim17ROCPRIM_400000_NS6detail17trampoline_kernelINS0_14default_configENS1_27scan_by_key_config_selectorIxxEEZZNS1_16scan_by_key_implILNS1_25lookback_scan_determinismE0ELb0ES3_N6thrust23THRUST_200600_302600_NS6detail15normal_iteratorINS9_10device_ptrIxEEEESE_SE_xNS9_4plusIvEENS9_8equal_toIxEExEE10hipError_tPvRmT2_T3_T4_T5_mT6_T7_P12ihipStream_tbENKUlT_T0_E_clISt17integral_constantIbLb1EESY_IbLb0EEEEDaSU_SV_EUlSU_E_NS1_11comp_targetILNS1_3genE5ELNS1_11target_archE942ELNS1_3gpuE9ELNS1_3repE0EEENS1_30default_config_static_selectorELNS0_4arch9wavefront6targetE0EEEvT1_,"axG",@progbits,_ZN7rocprim17ROCPRIM_400000_NS6detail17trampoline_kernelINS0_14default_configENS1_27scan_by_key_config_selectorIxxEEZZNS1_16scan_by_key_implILNS1_25lookback_scan_determinismE0ELb0ES3_N6thrust23THRUST_200600_302600_NS6detail15normal_iteratorINS9_10device_ptrIxEEEESE_SE_xNS9_4plusIvEENS9_8equal_toIxEExEE10hipError_tPvRmT2_T3_T4_T5_mT6_T7_P12ihipStream_tbENKUlT_T0_E_clISt17integral_constantIbLb1EESY_IbLb0EEEEDaSU_SV_EUlSU_E_NS1_11comp_targetILNS1_3genE5ELNS1_11target_archE942ELNS1_3gpuE9ELNS1_3repE0EEENS1_30default_config_static_selectorELNS0_4arch9wavefront6targetE0EEEvT1_,comdat
.Lfunc_end103:
	.size	_ZN7rocprim17ROCPRIM_400000_NS6detail17trampoline_kernelINS0_14default_configENS1_27scan_by_key_config_selectorIxxEEZZNS1_16scan_by_key_implILNS1_25lookback_scan_determinismE0ELb0ES3_N6thrust23THRUST_200600_302600_NS6detail15normal_iteratorINS9_10device_ptrIxEEEESE_SE_xNS9_4plusIvEENS9_8equal_toIxEExEE10hipError_tPvRmT2_T3_T4_T5_mT6_T7_P12ihipStream_tbENKUlT_T0_E_clISt17integral_constantIbLb1EESY_IbLb0EEEEDaSU_SV_EUlSU_E_NS1_11comp_targetILNS1_3genE5ELNS1_11target_archE942ELNS1_3gpuE9ELNS1_3repE0EEENS1_30default_config_static_selectorELNS0_4arch9wavefront6targetE0EEEvT1_, .Lfunc_end103-_ZN7rocprim17ROCPRIM_400000_NS6detail17trampoline_kernelINS0_14default_configENS1_27scan_by_key_config_selectorIxxEEZZNS1_16scan_by_key_implILNS1_25lookback_scan_determinismE0ELb0ES3_N6thrust23THRUST_200600_302600_NS6detail15normal_iteratorINS9_10device_ptrIxEEEESE_SE_xNS9_4plusIvEENS9_8equal_toIxEExEE10hipError_tPvRmT2_T3_T4_T5_mT6_T7_P12ihipStream_tbENKUlT_T0_E_clISt17integral_constantIbLb1EESY_IbLb0EEEEDaSU_SV_EUlSU_E_NS1_11comp_targetILNS1_3genE5ELNS1_11target_archE942ELNS1_3gpuE9ELNS1_3repE0EEENS1_30default_config_static_selectorELNS0_4arch9wavefront6targetE0EEEvT1_
                                        ; -- End function
	.set _ZN7rocprim17ROCPRIM_400000_NS6detail17trampoline_kernelINS0_14default_configENS1_27scan_by_key_config_selectorIxxEEZZNS1_16scan_by_key_implILNS1_25lookback_scan_determinismE0ELb0ES3_N6thrust23THRUST_200600_302600_NS6detail15normal_iteratorINS9_10device_ptrIxEEEESE_SE_xNS9_4plusIvEENS9_8equal_toIxEExEE10hipError_tPvRmT2_T3_T4_T5_mT6_T7_P12ihipStream_tbENKUlT_T0_E_clISt17integral_constantIbLb1EESY_IbLb0EEEEDaSU_SV_EUlSU_E_NS1_11comp_targetILNS1_3genE5ELNS1_11target_archE942ELNS1_3gpuE9ELNS1_3repE0EEENS1_30default_config_static_selectorELNS0_4arch9wavefront6targetE0EEEvT1_.num_vgpr, 0
	.set _ZN7rocprim17ROCPRIM_400000_NS6detail17trampoline_kernelINS0_14default_configENS1_27scan_by_key_config_selectorIxxEEZZNS1_16scan_by_key_implILNS1_25lookback_scan_determinismE0ELb0ES3_N6thrust23THRUST_200600_302600_NS6detail15normal_iteratorINS9_10device_ptrIxEEEESE_SE_xNS9_4plusIvEENS9_8equal_toIxEExEE10hipError_tPvRmT2_T3_T4_T5_mT6_T7_P12ihipStream_tbENKUlT_T0_E_clISt17integral_constantIbLb1EESY_IbLb0EEEEDaSU_SV_EUlSU_E_NS1_11comp_targetILNS1_3genE5ELNS1_11target_archE942ELNS1_3gpuE9ELNS1_3repE0EEENS1_30default_config_static_selectorELNS0_4arch9wavefront6targetE0EEEvT1_.num_agpr, 0
	.set _ZN7rocprim17ROCPRIM_400000_NS6detail17trampoline_kernelINS0_14default_configENS1_27scan_by_key_config_selectorIxxEEZZNS1_16scan_by_key_implILNS1_25lookback_scan_determinismE0ELb0ES3_N6thrust23THRUST_200600_302600_NS6detail15normal_iteratorINS9_10device_ptrIxEEEESE_SE_xNS9_4plusIvEENS9_8equal_toIxEExEE10hipError_tPvRmT2_T3_T4_T5_mT6_T7_P12ihipStream_tbENKUlT_T0_E_clISt17integral_constantIbLb1EESY_IbLb0EEEEDaSU_SV_EUlSU_E_NS1_11comp_targetILNS1_3genE5ELNS1_11target_archE942ELNS1_3gpuE9ELNS1_3repE0EEENS1_30default_config_static_selectorELNS0_4arch9wavefront6targetE0EEEvT1_.numbered_sgpr, 0
	.set _ZN7rocprim17ROCPRIM_400000_NS6detail17trampoline_kernelINS0_14default_configENS1_27scan_by_key_config_selectorIxxEEZZNS1_16scan_by_key_implILNS1_25lookback_scan_determinismE0ELb0ES3_N6thrust23THRUST_200600_302600_NS6detail15normal_iteratorINS9_10device_ptrIxEEEESE_SE_xNS9_4plusIvEENS9_8equal_toIxEExEE10hipError_tPvRmT2_T3_T4_T5_mT6_T7_P12ihipStream_tbENKUlT_T0_E_clISt17integral_constantIbLb1EESY_IbLb0EEEEDaSU_SV_EUlSU_E_NS1_11comp_targetILNS1_3genE5ELNS1_11target_archE942ELNS1_3gpuE9ELNS1_3repE0EEENS1_30default_config_static_selectorELNS0_4arch9wavefront6targetE0EEEvT1_.num_named_barrier, 0
	.set _ZN7rocprim17ROCPRIM_400000_NS6detail17trampoline_kernelINS0_14default_configENS1_27scan_by_key_config_selectorIxxEEZZNS1_16scan_by_key_implILNS1_25lookback_scan_determinismE0ELb0ES3_N6thrust23THRUST_200600_302600_NS6detail15normal_iteratorINS9_10device_ptrIxEEEESE_SE_xNS9_4plusIvEENS9_8equal_toIxEExEE10hipError_tPvRmT2_T3_T4_T5_mT6_T7_P12ihipStream_tbENKUlT_T0_E_clISt17integral_constantIbLb1EESY_IbLb0EEEEDaSU_SV_EUlSU_E_NS1_11comp_targetILNS1_3genE5ELNS1_11target_archE942ELNS1_3gpuE9ELNS1_3repE0EEENS1_30default_config_static_selectorELNS0_4arch9wavefront6targetE0EEEvT1_.private_seg_size, 0
	.set _ZN7rocprim17ROCPRIM_400000_NS6detail17trampoline_kernelINS0_14default_configENS1_27scan_by_key_config_selectorIxxEEZZNS1_16scan_by_key_implILNS1_25lookback_scan_determinismE0ELb0ES3_N6thrust23THRUST_200600_302600_NS6detail15normal_iteratorINS9_10device_ptrIxEEEESE_SE_xNS9_4plusIvEENS9_8equal_toIxEExEE10hipError_tPvRmT2_T3_T4_T5_mT6_T7_P12ihipStream_tbENKUlT_T0_E_clISt17integral_constantIbLb1EESY_IbLb0EEEEDaSU_SV_EUlSU_E_NS1_11comp_targetILNS1_3genE5ELNS1_11target_archE942ELNS1_3gpuE9ELNS1_3repE0EEENS1_30default_config_static_selectorELNS0_4arch9wavefront6targetE0EEEvT1_.uses_vcc, 0
	.set _ZN7rocprim17ROCPRIM_400000_NS6detail17trampoline_kernelINS0_14default_configENS1_27scan_by_key_config_selectorIxxEEZZNS1_16scan_by_key_implILNS1_25lookback_scan_determinismE0ELb0ES3_N6thrust23THRUST_200600_302600_NS6detail15normal_iteratorINS9_10device_ptrIxEEEESE_SE_xNS9_4plusIvEENS9_8equal_toIxEExEE10hipError_tPvRmT2_T3_T4_T5_mT6_T7_P12ihipStream_tbENKUlT_T0_E_clISt17integral_constantIbLb1EESY_IbLb0EEEEDaSU_SV_EUlSU_E_NS1_11comp_targetILNS1_3genE5ELNS1_11target_archE942ELNS1_3gpuE9ELNS1_3repE0EEENS1_30default_config_static_selectorELNS0_4arch9wavefront6targetE0EEEvT1_.uses_flat_scratch, 0
	.set _ZN7rocprim17ROCPRIM_400000_NS6detail17trampoline_kernelINS0_14default_configENS1_27scan_by_key_config_selectorIxxEEZZNS1_16scan_by_key_implILNS1_25lookback_scan_determinismE0ELb0ES3_N6thrust23THRUST_200600_302600_NS6detail15normal_iteratorINS9_10device_ptrIxEEEESE_SE_xNS9_4plusIvEENS9_8equal_toIxEExEE10hipError_tPvRmT2_T3_T4_T5_mT6_T7_P12ihipStream_tbENKUlT_T0_E_clISt17integral_constantIbLb1EESY_IbLb0EEEEDaSU_SV_EUlSU_E_NS1_11comp_targetILNS1_3genE5ELNS1_11target_archE942ELNS1_3gpuE9ELNS1_3repE0EEENS1_30default_config_static_selectorELNS0_4arch9wavefront6targetE0EEEvT1_.has_dyn_sized_stack, 0
	.set _ZN7rocprim17ROCPRIM_400000_NS6detail17trampoline_kernelINS0_14default_configENS1_27scan_by_key_config_selectorIxxEEZZNS1_16scan_by_key_implILNS1_25lookback_scan_determinismE0ELb0ES3_N6thrust23THRUST_200600_302600_NS6detail15normal_iteratorINS9_10device_ptrIxEEEESE_SE_xNS9_4plusIvEENS9_8equal_toIxEExEE10hipError_tPvRmT2_T3_T4_T5_mT6_T7_P12ihipStream_tbENKUlT_T0_E_clISt17integral_constantIbLb1EESY_IbLb0EEEEDaSU_SV_EUlSU_E_NS1_11comp_targetILNS1_3genE5ELNS1_11target_archE942ELNS1_3gpuE9ELNS1_3repE0EEENS1_30default_config_static_selectorELNS0_4arch9wavefront6targetE0EEEvT1_.has_recursion, 0
	.set _ZN7rocprim17ROCPRIM_400000_NS6detail17trampoline_kernelINS0_14default_configENS1_27scan_by_key_config_selectorIxxEEZZNS1_16scan_by_key_implILNS1_25lookback_scan_determinismE0ELb0ES3_N6thrust23THRUST_200600_302600_NS6detail15normal_iteratorINS9_10device_ptrIxEEEESE_SE_xNS9_4plusIvEENS9_8equal_toIxEExEE10hipError_tPvRmT2_T3_T4_T5_mT6_T7_P12ihipStream_tbENKUlT_T0_E_clISt17integral_constantIbLb1EESY_IbLb0EEEEDaSU_SV_EUlSU_E_NS1_11comp_targetILNS1_3genE5ELNS1_11target_archE942ELNS1_3gpuE9ELNS1_3repE0EEENS1_30default_config_static_selectorELNS0_4arch9wavefront6targetE0EEEvT1_.has_indirect_call, 0
	.section	.AMDGPU.csdata,"",@progbits
; Kernel info:
; codeLenInByte = 0
; TotalNumSgprs: 0
; NumVgprs: 0
; ScratchSize: 0
; MemoryBound: 0
; FloatMode: 240
; IeeeMode: 1
; LDSByteSize: 0 bytes/workgroup (compile time only)
; SGPRBlocks: 0
; VGPRBlocks: 0
; NumSGPRsForWavesPerEU: 1
; NumVGPRsForWavesPerEU: 1
; NamedBarCnt: 0
; Occupancy: 16
; WaveLimiterHint : 0
; COMPUTE_PGM_RSRC2:SCRATCH_EN: 0
; COMPUTE_PGM_RSRC2:USER_SGPR: 2
; COMPUTE_PGM_RSRC2:TRAP_HANDLER: 0
; COMPUTE_PGM_RSRC2:TGID_X_EN: 1
; COMPUTE_PGM_RSRC2:TGID_Y_EN: 0
; COMPUTE_PGM_RSRC2:TGID_Z_EN: 0
; COMPUTE_PGM_RSRC2:TIDIG_COMP_CNT: 0
	.section	.text._ZN7rocprim17ROCPRIM_400000_NS6detail17trampoline_kernelINS0_14default_configENS1_27scan_by_key_config_selectorIxxEEZZNS1_16scan_by_key_implILNS1_25lookback_scan_determinismE0ELb0ES3_N6thrust23THRUST_200600_302600_NS6detail15normal_iteratorINS9_10device_ptrIxEEEESE_SE_xNS9_4plusIvEENS9_8equal_toIxEExEE10hipError_tPvRmT2_T3_T4_T5_mT6_T7_P12ihipStream_tbENKUlT_T0_E_clISt17integral_constantIbLb1EESY_IbLb0EEEEDaSU_SV_EUlSU_E_NS1_11comp_targetILNS1_3genE4ELNS1_11target_archE910ELNS1_3gpuE8ELNS1_3repE0EEENS1_30default_config_static_selectorELNS0_4arch9wavefront6targetE0EEEvT1_,"axG",@progbits,_ZN7rocprim17ROCPRIM_400000_NS6detail17trampoline_kernelINS0_14default_configENS1_27scan_by_key_config_selectorIxxEEZZNS1_16scan_by_key_implILNS1_25lookback_scan_determinismE0ELb0ES3_N6thrust23THRUST_200600_302600_NS6detail15normal_iteratorINS9_10device_ptrIxEEEESE_SE_xNS9_4plusIvEENS9_8equal_toIxEExEE10hipError_tPvRmT2_T3_T4_T5_mT6_T7_P12ihipStream_tbENKUlT_T0_E_clISt17integral_constantIbLb1EESY_IbLb0EEEEDaSU_SV_EUlSU_E_NS1_11comp_targetILNS1_3genE4ELNS1_11target_archE910ELNS1_3gpuE8ELNS1_3repE0EEENS1_30default_config_static_selectorELNS0_4arch9wavefront6targetE0EEEvT1_,comdat
	.protected	_ZN7rocprim17ROCPRIM_400000_NS6detail17trampoline_kernelINS0_14default_configENS1_27scan_by_key_config_selectorIxxEEZZNS1_16scan_by_key_implILNS1_25lookback_scan_determinismE0ELb0ES3_N6thrust23THRUST_200600_302600_NS6detail15normal_iteratorINS9_10device_ptrIxEEEESE_SE_xNS9_4plusIvEENS9_8equal_toIxEExEE10hipError_tPvRmT2_T3_T4_T5_mT6_T7_P12ihipStream_tbENKUlT_T0_E_clISt17integral_constantIbLb1EESY_IbLb0EEEEDaSU_SV_EUlSU_E_NS1_11comp_targetILNS1_3genE4ELNS1_11target_archE910ELNS1_3gpuE8ELNS1_3repE0EEENS1_30default_config_static_selectorELNS0_4arch9wavefront6targetE0EEEvT1_ ; -- Begin function _ZN7rocprim17ROCPRIM_400000_NS6detail17trampoline_kernelINS0_14default_configENS1_27scan_by_key_config_selectorIxxEEZZNS1_16scan_by_key_implILNS1_25lookback_scan_determinismE0ELb0ES3_N6thrust23THRUST_200600_302600_NS6detail15normal_iteratorINS9_10device_ptrIxEEEESE_SE_xNS9_4plusIvEENS9_8equal_toIxEExEE10hipError_tPvRmT2_T3_T4_T5_mT6_T7_P12ihipStream_tbENKUlT_T0_E_clISt17integral_constantIbLb1EESY_IbLb0EEEEDaSU_SV_EUlSU_E_NS1_11comp_targetILNS1_3genE4ELNS1_11target_archE910ELNS1_3gpuE8ELNS1_3repE0EEENS1_30default_config_static_selectorELNS0_4arch9wavefront6targetE0EEEvT1_
	.globl	_ZN7rocprim17ROCPRIM_400000_NS6detail17trampoline_kernelINS0_14default_configENS1_27scan_by_key_config_selectorIxxEEZZNS1_16scan_by_key_implILNS1_25lookback_scan_determinismE0ELb0ES3_N6thrust23THRUST_200600_302600_NS6detail15normal_iteratorINS9_10device_ptrIxEEEESE_SE_xNS9_4plusIvEENS9_8equal_toIxEExEE10hipError_tPvRmT2_T3_T4_T5_mT6_T7_P12ihipStream_tbENKUlT_T0_E_clISt17integral_constantIbLb1EESY_IbLb0EEEEDaSU_SV_EUlSU_E_NS1_11comp_targetILNS1_3genE4ELNS1_11target_archE910ELNS1_3gpuE8ELNS1_3repE0EEENS1_30default_config_static_selectorELNS0_4arch9wavefront6targetE0EEEvT1_
	.p2align	8
	.type	_ZN7rocprim17ROCPRIM_400000_NS6detail17trampoline_kernelINS0_14default_configENS1_27scan_by_key_config_selectorIxxEEZZNS1_16scan_by_key_implILNS1_25lookback_scan_determinismE0ELb0ES3_N6thrust23THRUST_200600_302600_NS6detail15normal_iteratorINS9_10device_ptrIxEEEESE_SE_xNS9_4plusIvEENS9_8equal_toIxEExEE10hipError_tPvRmT2_T3_T4_T5_mT6_T7_P12ihipStream_tbENKUlT_T0_E_clISt17integral_constantIbLb1EESY_IbLb0EEEEDaSU_SV_EUlSU_E_NS1_11comp_targetILNS1_3genE4ELNS1_11target_archE910ELNS1_3gpuE8ELNS1_3repE0EEENS1_30default_config_static_selectorELNS0_4arch9wavefront6targetE0EEEvT1_,@function
_ZN7rocprim17ROCPRIM_400000_NS6detail17trampoline_kernelINS0_14default_configENS1_27scan_by_key_config_selectorIxxEEZZNS1_16scan_by_key_implILNS1_25lookback_scan_determinismE0ELb0ES3_N6thrust23THRUST_200600_302600_NS6detail15normal_iteratorINS9_10device_ptrIxEEEESE_SE_xNS9_4plusIvEENS9_8equal_toIxEExEE10hipError_tPvRmT2_T3_T4_T5_mT6_T7_P12ihipStream_tbENKUlT_T0_E_clISt17integral_constantIbLb1EESY_IbLb0EEEEDaSU_SV_EUlSU_E_NS1_11comp_targetILNS1_3genE4ELNS1_11target_archE910ELNS1_3gpuE8ELNS1_3repE0EEENS1_30default_config_static_selectorELNS0_4arch9wavefront6targetE0EEEvT1_: ; @_ZN7rocprim17ROCPRIM_400000_NS6detail17trampoline_kernelINS0_14default_configENS1_27scan_by_key_config_selectorIxxEEZZNS1_16scan_by_key_implILNS1_25lookback_scan_determinismE0ELb0ES3_N6thrust23THRUST_200600_302600_NS6detail15normal_iteratorINS9_10device_ptrIxEEEESE_SE_xNS9_4plusIvEENS9_8equal_toIxEExEE10hipError_tPvRmT2_T3_T4_T5_mT6_T7_P12ihipStream_tbENKUlT_T0_E_clISt17integral_constantIbLb1EESY_IbLb0EEEEDaSU_SV_EUlSU_E_NS1_11comp_targetILNS1_3genE4ELNS1_11target_archE910ELNS1_3gpuE8ELNS1_3repE0EEENS1_30default_config_static_selectorELNS0_4arch9wavefront6targetE0EEEvT1_
; %bb.0:
	.section	.rodata,"a",@progbits
	.p2align	6, 0x0
	.amdhsa_kernel _ZN7rocprim17ROCPRIM_400000_NS6detail17trampoline_kernelINS0_14default_configENS1_27scan_by_key_config_selectorIxxEEZZNS1_16scan_by_key_implILNS1_25lookback_scan_determinismE0ELb0ES3_N6thrust23THRUST_200600_302600_NS6detail15normal_iteratorINS9_10device_ptrIxEEEESE_SE_xNS9_4plusIvEENS9_8equal_toIxEExEE10hipError_tPvRmT2_T3_T4_T5_mT6_T7_P12ihipStream_tbENKUlT_T0_E_clISt17integral_constantIbLb1EESY_IbLb0EEEEDaSU_SV_EUlSU_E_NS1_11comp_targetILNS1_3genE4ELNS1_11target_archE910ELNS1_3gpuE8ELNS1_3repE0EEENS1_30default_config_static_selectorELNS0_4arch9wavefront6targetE0EEEvT1_
		.amdhsa_group_segment_fixed_size 0
		.amdhsa_private_segment_fixed_size 0
		.amdhsa_kernarg_size 136
		.amdhsa_user_sgpr_count 2
		.amdhsa_user_sgpr_dispatch_ptr 0
		.amdhsa_user_sgpr_queue_ptr 0
		.amdhsa_user_sgpr_kernarg_segment_ptr 1
		.amdhsa_user_sgpr_dispatch_id 0
		.amdhsa_user_sgpr_kernarg_preload_length 0
		.amdhsa_user_sgpr_kernarg_preload_offset 0
		.amdhsa_user_sgpr_private_segment_size 0
		.amdhsa_wavefront_size32 1
		.amdhsa_uses_dynamic_stack 0
		.amdhsa_enable_private_segment 0
		.amdhsa_system_sgpr_workgroup_id_x 1
		.amdhsa_system_sgpr_workgroup_id_y 0
		.amdhsa_system_sgpr_workgroup_id_z 0
		.amdhsa_system_sgpr_workgroup_info 0
		.amdhsa_system_vgpr_workitem_id 0
		.amdhsa_next_free_vgpr 1
		.amdhsa_next_free_sgpr 1
		.amdhsa_named_barrier_count 0
		.amdhsa_reserve_vcc 0
		.amdhsa_float_round_mode_32 0
		.amdhsa_float_round_mode_16_64 0
		.amdhsa_float_denorm_mode_32 3
		.amdhsa_float_denorm_mode_16_64 3
		.amdhsa_fp16_overflow 0
		.amdhsa_memory_ordered 1
		.amdhsa_forward_progress 1
		.amdhsa_inst_pref_size 0
		.amdhsa_round_robin_scheduling 0
		.amdhsa_exception_fp_ieee_invalid_op 0
		.amdhsa_exception_fp_denorm_src 0
		.amdhsa_exception_fp_ieee_div_zero 0
		.amdhsa_exception_fp_ieee_overflow 0
		.amdhsa_exception_fp_ieee_underflow 0
		.amdhsa_exception_fp_ieee_inexact 0
		.amdhsa_exception_int_div_zero 0
	.end_amdhsa_kernel
	.section	.text._ZN7rocprim17ROCPRIM_400000_NS6detail17trampoline_kernelINS0_14default_configENS1_27scan_by_key_config_selectorIxxEEZZNS1_16scan_by_key_implILNS1_25lookback_scan_determinismE0ELb0ES3_N6thrust23THRUST_200600_302600_NS6detail15normal_iteratorINS9_10device_ptrIxEEEESE_SE_xNS9_4plusIvEENS9_8equal_toIxEExEE10hipError_tPvRmT2_T3_T4_T5_mT6_T7_P12ihipStream_tbENKUlT_T0_E_clISt17integral_constantIbLb1EESY_IbLb0EEEEDaSU_SV_EUlSU_E_NS1_11comp_targetILNS1_3genE4ELNS1_11target_archE910ELNS1_3gpuE8ELNS1_3repE0EEENS1_30default_config_static_selectorELNS0_4arch9wavefront6targetE0EEEvT1_,"axG",@progbits,_ZN7rocprim17ROCPRIM_400000_NS6detail17trampoline_kernelINS0_14default_configENS1_27scan_by_key_config_selectorIxxEEZZNS1_16scan_by_key_implILNS1_25lookback_scan_determinismE0ELb0ES3_N6thrust23THRUST_200600_302600_NS6detail15normal_iteratorINS9_10device_ptrIxEEEESE_SE_xNS9_4plusIvEENS9_8equal_toIxEExEE10hipError_tPvRmT2_T3_T4_T5_mT6_T7_P12ihipStream_tbENKUlT_T0_E_clISt17integral_constantIbLb1EESY_IbLb0EEEEDaSU_SV_EUlSU_E_NS1_11comp_targetILNS1_3genE4ELNS1_11target_archE910ELNS1_3gpuE8ELNS1_3repE0EEENS1_30default_config_static_selectorELNS0_4arch9wavefront6targetE0EEEvT1_,comdat
.Lfunc_end104:
	.size	_ZN7rocprim17ROCPRIM_400000_NS6detail17trampoline_kernelINS0_14default_configENS1_27scan_by_key_config_selectorIxxEEZZNS1_16scan_by_key_implILNS1_25lookback_scan_determinismE0ELb0ES3_N6thrust23THRUST_200600_302600_NS6detail15normal_iteratorINS9_10device_ptrIxEEEESE_SE_xNS9_4plusIvEENS9_8equal_toIxEExEE10hipError_tPvRmT2_T3_T4_T5_mT6_T7_P12ihipStream_tbENKUlT_T0_E_clISt17integral_constantIbLb1EESY_IbLb0EEEEDaSU_SV_EUlSU_E_NS1_11comp_targetILNS1_3genE4ELNS1_11target_archE910ELNS1_3gpuE8ELNS1_3repE0EEENS1_30default_config_static_selectorELNS0_4arch9wavefront6targetE0EEEvT1_, .Lfunc_end104-_ZN7rocprim17ROCPRIM_400000_NS6detail17trampoline_kernelINS0_14default_configENS1_27scan_by_key_config_selectorIxxEEZZNS1_16scan_by_key_implILNS1_25lookback_scan_determinismE0ELb0ES3_N6thrust23THRUST_200600_302600_NS6detail15normal_iteratorINS9_10device_ptrIxEEEESE_SE_xNS9_4plusIvEENS9_8equal_toIxEExEE10hipError_tPvRmT2_T3_T4_T5_mT6_T7_P12ihipStream_tbENKUlT_T0_E_clISt17integral_constantIbLb1EESY_IbLb0EEEEDaSU_SV_EUlSU_E_NS1_11comp_targetILNS1_3genE4ELNS1_11target_archE910ELNS1_3gpuE8ELNS1_3repE0EEENS1_30default_config_static_selectorELNS0_4arch9wavefront6targetE0EEEvT1_
                                        ; -- End function
	.set _ZN7rocprim17ROCPRIM_400000_NS6detail17trampoline_kernelINS0_14default_configENS1_27scan_by_key_config_selectorIxxEEZZNS1_16scan_by_key_implILNS1_25lookback_scan_determinismE0ELb0ES3_N6thrust23THRUST_200600_302600_NS6detail15normal_iteratorINS9_10device_ptrIxEEEESE_SE_xNS9_4plusIvEENS9_8equal_toIxEExEE10hipError_tPvRmT2_T3_T4_T5_mT6_T7_P12ihipStream_tbENKUlT_T0_E_clISt17integral_constantIbLb1EESY_IbLb0EEEEDaSU_SV_EUlSU_E_NS1_11comp_targetILNS1_3genE4ELNS1_11target_archE910ELNS1_3gpuE8ELNS1_3repE0EEENS1_30default_config_static_selectorELNS0_4arch9wavefront6targetE0EEEvT1_.num_vgpr, 0
	.set _ZN7rocprim17ROCPRIM_400000_NS6detail17trampoline_kernelINS0_14default_configENS1_27scan_by_key_config_selectorIxxEEZZNS1_16scan_by_key_implILNS1_25lookback_scan_determinismE0ELb0ES3_N6thrust23THRUST_200600_302600_NS6detail15normal_iteratorINS9_10device_ptrIxEEEESE_SE_xNS9_4plusIvEENS9_8equal_toIxEExEE10hipError_tPvRmT2_T3_T4_T5_mT6_T7_P12ihipStream_tbENKUlT_T0_E_clISt17integral_constantIbLb1EESY_IbLb0EEEEDaSU_SV_EUlSU_E_NS1_11comp_targetILNS1_3genE4ELNS1_11target_archE910ELNS1_3gpuE8ELNS1_3repE0EEENS1_30default_config_static_selectorELNS0_4arch9wavefront6targetE0EEEvT1_.num_agpr, 0
	.set _ZN7rocprim17ROCPRIM_400000_NS6detail17trampoline_kernelINS0_14default_configENS1_27scan_by_key_config_selectorIxxEEZZNS1_16scan_by_key_implILNS1_25lookback_scan_determinismE0ELb0ES3_N6thrust23THRUST_200600_302600_NS6detail15normal_iteratorINS9_10device_ptrIxEEEESE_SE_xNS9_4plusIvEENS9_8equal_toIxEExEE10hipError_tPvRmT2_T3_T4_T5_mT6_T7_P12ihipStream_tbENKUlT_T0_E_clISt17integral_constantIbLb1EESY_IbLb0EEEEDaSU_SV_EUlSU_E_NS1_11comp_targetILNS1_3genE4ELNS1_11target_archE910ELNS1_3gpuE8ELNS1_3repE0EEENS1_30default_config_static_selectorELNS0_4arch9wavefront6targetE0EEEvT1_.numbered_sgpr, 0
	.set _ZN7rocprim17ROCPRIM_400000_NS6detail17trampoline_kernelINS0_14default_configENS1_27scan_by_key_config_selectorIxxEEZZNS1_16scan_by_key_implILNS1_25lookback_scan_determinismE0ELb0ES3_N6thrust23THRUST_200600_302600_NS6detail15normal_iteratorINS9_10device_ptrIxEEEESE_SE_xNS9_4plusIvEENS9_8equal_toIxEExEE10hipError_tPvRmT2_T3_T4_T5_mT6_T7_P12ihipStream_tbENKUlT_T0_E_clISt17integral_constantIbLb1EESY_IbLb0EEEEDaSU_SV_EUlSU_E_NS1_11comp_targetILNS1_3genE4ELNS1_11target_archE910ELNS1_3gpuE8ELNS1_3repE0EEENS1_30default_config_static_selectorELNS0_4arch9wavefront6targetE0EEEvT1_.num_named_barrier, 0
	.set _ZN7rocprim17ROCPRIM_400000_NS6detail17trampoline_kernelINS0_14default_configENS1_27scan_by_key_config_selectorIxxEEZZNS1_16scan_by_key_implILNS1_25lookback_scan_determinismE0ELb0ES3_N6thrust23THRUST_200600_302600_NS6detail15normal_iteratorINS9_10device_ptrIxEEEESE_SE_xNS9_4plusIvEENS9_8equal_toIxEExEE10hipError_tPvRmT2_T3_T4_T5_mT6_T7_P12ihipStream_tbENKUlT_T0_E_clISt17integral_constantIbLb1EESY_IbLb0EEEEDaSU_SV_EUlSU_E_NS1_11comp_targetILNS1_3genE4ELNS1_11target_archE910ELNS1_3gpuE8ELNS1_3repE0EEENS1_30default_config_static_selectorELNS0_4arch9wavefront6targetE0EEEvT1_.private_seg_size, 0
	.set _ZN7rocprim17ROCPRIM_400000_NS6detail17trampoline_kernelINS0_14default_configENS1_27scan_by_key_config_selectorIxxEEZZNS1_16scan_by_key_implILNS1_25lookback_scan_determinismE0ELb0ES3_N6thrust23THRUST_200600_302600_NS6detail15normal_iteratorINS9_10device_ptrIxEEEESE_SE_xNS9_4plusIvEENS9_8equal_toIxEExEE10hipError_tPvRmT2_T3_T4_T5_mT6_T7_P12ihipStream_tbENKUlT_T0_E_clISt17integral_constantIbLb1EESY_IbLb0EEEEDaSU_SV_EUlSU_E_NS1_11comp_targetILNS1_3genE4ELNS1_11target_archE910ELNS1_3gpuE8ELNS1_3repE0EEENS1_30default_config_static_selectorELNS0_4arch9wavefront6targetE0EEEvT1_.uses_vcc, 0
	.set _ZN7rocprim17ROCPRIM_400000_NS6detail17trampoline_kernelINS0_14default_configENS1_27scan_by_key_config_selectorIxxEEZZNS1_16scan_by_key_implILNS1_25lookback_scan_determinismE0ELb0ES3_N6thrust23THRUST_200600_302600_NS6detail15normal_iteratorINS9_10device_ptrIxEEEESE_SE_xNS9_4plusIvEENS9_8equal_toIxEExEE10hipError_tPvRmT2_T3_T4_T5_mT6_T7_P12ihipStream_tbENKUlT_T0_E_clISt17integral_constantIbLb1EESY_IbLb0EEEEDaSU_SV_EUlSU_E_NS1_11comp_targetILNS1_3genE4ELNS1_11target_archE910ELNS1_3gpuE8ELNS1_3repE0EEENS1_30default_config_static_selectorELNS0_4arch9wavefront6targetE0EEEvT1_.uses_flat_scratch, 0
	.set _ZN7rocprim17ROCPRIM_400000_NS6detail17trampoline_kernelINS0_14default_configENS1_27scan_by_key_config_selectorIxxEEZZNS1_16scan_by_key_implILNS1_25lookback_scan_determinismE0ELb0ES3_N6thrust23THRUST_200600_302600_NS6detail15normal_iteratorINS9_10device_ptrIxEEEESE_SE_xNS9_4plusIvEENS9_8equal_toIxEExEE10hipError_tPvRmT2_T3_T4_T5_mT6_T7_P12ihipStream_tbENKUlT_T0_E_clISt17integral_constantIbLb1EESY_IbLb0EEEEDaSU_SV_EUlSU_E_NS1_11comp_targetILNS1_3genE4ELNS1_11target_archE910ELNS1_3gpuE8ELNS1_3repE0EEENS1_30default_config_static_selectorELNS0_4arch9wavefront6targetE0EEEvT1_.has_dyn_sized_stack, 0
	.set _ZN7rocprim17ROCPRIM_400000_NS6detail17trampoline_kernelINS0_14default_configENS1_27scan_by_key_config_selectorIxxEEZZNS1_16scan_by_key_implILNS1_25lookback_scan_determinismE0ELb0ES3_N6thrust23THRUST_200600_302600_NS6detail15normal_iteratorINS9_10device_ptrIxEEEESE_SE_xNS9_4plusIvEENS9_8equal_toIxEExEE10hipError_tPvRmT2_T3_T4_T5_mT6_T7_P12ihipStream_tbENKUlT_T0_E_clISt17integral_constantIbLb1EESY_IbLb0EEEEDaSU_SV_EUlSU_E_NS1_11comp_targetILNS1_3genE4ELNS1_11target_archE910ELNS1_3gpuE8ELNS1_3repE0EEENS1_30default_config_static_selectorELNS0_4arch9wavefront6targetE0EEEvT1_.has_recursion, 0
	.set _ZN7rocprim17ROCPRIM_400000_NS6detail17trampoline_kernelINS0_14default_configENS1_27scan_by_key_config_selectorIxxEEZZNS1_16scan_by_key_implILNS1_25lookback_scan_determinismE0ELb0ES3_N6thrust23THRUST_200600_302600_NS6detail15normal_iteratorINS9_10device_ptrIxEEEESE_SE_xNS9_4plusIvEENS9_8equal_toIxEExEE10hipError_tPvRmT2_T3_T4_T5_mT6_T7_P12ihipStream_tbENKUlT_T0_E_clISt17integral_constantIbLb1EESY_IbLb0EEEEDaSU_SV_EUlSU_E_NS1_11comp_targetILNS1_3genE4ELNS1_11target_archE910ELNS1_3gpuE8ELNS1_3repE0EEENS1_30default_config_static_selectorELNS0_4arch9wavefront6targetE0EEEvT1_.has_indirect_call, 0
	.section	.AMDGPU.csdata,"",@progbits
; Kernel info:
; codeLenInByte = 0
; TotalNumSgprs: 0
; NumVgprs: 0
; ScratchSize: 0
; MemoryBound: 0
; FloatMode: 240
; IeeeMode: 1
; LDSByteSize: 0 bytes/workgroup (compile time only)
; SGPRBlocks: 0
; VGPRBlocks: 0
; NumSGPRsForWavesPerEU: 1
; NumVGPRsForWavesPerEU: 1
; NamedBarCnt: 0
; Occupancy: 16
; WaveLimiterHint : 0
; COMPUTE_PGM_RSRC2:SCRATCH_EN: 0
; COMPUTE_PGM_RSRC2:USER_SGPR: 2
; COMPUTE_PGM_RSRC2:TRAP_HANDLER: 0
; COMPUTE_PGM_RSRC2:TGID_X_EN: 1
; COMPUTE_PGM_RSRC2:TGID_Y_EN: 0
; COMPUTE_PGM_RSRC2:TGID_Z_EN: 0
; COMPUTE_PGM_RSRC2:TIDIG_COMP_CNT: 0
	.section	.text._ZN7rocprim17ROCPRIM_400000_NS6detail17trampoline_kernelINS0_14default_configENS1_27scan_by_key_config_selectorIxxEEZZNS1_16scan_by_key_implILNS1_25lookback_scan_determinismE0ELb0ES3_N6thrust23THRUST_200600_302600_NS6detail15normal_iteratorINS9_10device_ptrIxEEEESE_SE_xNS9_4plusIvEENS9_8equal_toIxEExEE10hipError_tPvRmT2_T3_T4_T5_mT6_T7_P12ihipStream_tbENKUlT_T0_E_clISt17integral_constantIbLb1EESY_IbLb0EEEEDaSU_SV_EUlSU_E_NS1_11comp_targetILNS1_3genE3ELNS1_11target_archE908ELNS1_3gpuE7ELNS1_3repE0EEENS1_30default_config_static_selectorELNS0_4arch9wavefront6targetE0EEEvT1_,"axG",@progbits,_ZN7rocprim17ROCPRIM_400000_NS6detail17trampoline_kernelINS0_14default_configENS1_27scan_by_key_config_selectorIxxEEZZNS1_16scan_by_key_implILNS1_25lookback_scan_determinismE0ELb0ES3_N6thrust23THRUST_200600_302600_NS6detail15normal_iteratorINS9_10device_ptrIxEEEESE_SE_xNS9_4plusIvEENS9_8equal_toIxEExEE10hipError_tPvRmT2_T3_T4_T5_mT6_T7_P12ihipStream_tbENKUlT_T0_E_clISt17integral_constantIbLb1EESY_IbLb0EEEEDaSU_SV_EUlSU_E_NS1_11comp_targetILNS1_3genE3ELNS1_11target_archE908ELNS1_3gpuE7ELNS1_3repE0EEENS1_30default_config_static_selectorELNS0_4arch9wavefront6targetE0EEEvT1_,comdat
	.protected	_ZN7rocprim17ROCPRIM_400000_NS6detail17trampoline_kernelINS0_14default_configENS1_27scan_by_key_config_selectorIxxEEZZNS1_16scan_by_key_implILNS1_25lookback_scan_determinismE0ELb0ES3_N6thrust23THRUST_200600_302600_NS6detail15normal_iteratorINS9_10device_ptrIxEEEESE_SE_xNS9_4plusIvEENS9_8equal_toIxEExEE10hipError_tPvRmT2_T3_T4_T5_mT6_T7_P12ihipStream_tbENKUlT_T0_E_clISt17integral_constantIbLb1EESY_IbLb0EEEEDaSU_SV_EUlSU_E_NS1_11comp_targetILNS1_3genE3ELNS1_11target_archE908ELNS1_3gpuE7ELNS1_3repE0EEENS1_30default_config_static_selectorELNS0_4arch9wavefront6targetE0EEEvT1_ ; -- Begin function _ZN7rocprim17ROCPRIM_400000_NS6detail17trampoline_kernelINS0_14default_configENS1_27scan_by_key_config_selectorIxxEEZZNS1_16scan_by_key_implILNS1_25lookback_scan_determinismE0ELb0ES3_N6thrust23THRUST_200600_302600_NS6detail15normal_iteratorINS9_10device_ptrIxEEEESE_SE_xNS9_4plusIvEENS9_8equal_toIxEExEE10hipError_tPvRmT2_T3_T4_T5_mT6_T7_P12ihipStream_tbENKUlT_T0_E_clISt17integral_constantIbLb1EESY_IbLb0EEEEDaSU_SV_EUlSU_E_NS1_11comp_targetILNS1_3genE3ELNS1_11target_archE908ELNS1_3gpuE7ELNS1_3repE0EEENS1_30default_config_static_selectorELNS0_4arch9wavefront6targetE0EEEvT1_
	.globl	_ZN7rocprim17ROCPRIM_400000_NS6detail17trampoline_kernelINS0_14default_configENS1_27scan_by_key_config_selectorIxxEEZZNS1_16scan_by_key_implILNS1_25lookback_scan_determinismE0ELb0ES3_N6thrust23THRUST_200600_302600_NS6detail15normal_iteratorINS9_10device_ptrIxEEEESE_SE_xNS9_4plusIvEENS9_8equal_toIxEExEE10hipError_tPvRmT2_T3_T4_T5_mT6_T7_P12ihipStream_tbENKUlT_T0_E_clISt17integral_constantIbLb1EESY_IbLb0EEEEDaSU_SV_EUlSU_E_NS1_11comp_targetILNS1_3genE3ELNS1_11target_archE908ELNS1_3gpuE7ELNS1_3repE0EEENS1_30default_config_static_selectorELNS0_4arch9wavefront6targetE0EEEvT1_
	.p2align	8
	.type	_ZN7rocprim17ROCPRIM_400000_NS6detail17trampoline_kernelINS0_14default_configENS1_27scan_by_key_config_selectorIxxEEZZNS1_16scan_by_key_implILNS1_25lookback_scan_determinismE0ELb0ES3_N6thrust23THRUST_200600_302600_NS6detail15normal_iteratorINS9_10device_ptrIxEEEESE_SE_xNS9_4plusIvEENS9_8equal_toIxEExEE10hipError_tPvRmT2_T3_T4_T5_mT6_T7_P12ihipStream_tbENKUlT_T0_E_clISt17integral_constantIbLb1EESY_IbLb0EEEEDaSU_SV_EUlSU_E_NS1_11comp_targetILNS1_3genE3ELNS1_11target_archE908ELNS1_3gpuE7ELNS1_3repE0EEENS1_30default_config_static_selectorELNS0_4arch9wavefront6targetE0EEEvT1_,@function
_ZN7rocprim17ROCPRIM_400000_NS6detail17trampoline_kernelINS0_14default_configENS1_27scan_by_key_config_selectorIxxEEZZNS1_16scan_by_key_implILNS1_25lookback_scan_determinismE0ELb0ES3_N6thrust23THRUST_200600_302600_NS6detail15normal_iteratorINS9_10device_ptrIxEEEESE_SE_xNS9_4plusIvEENS9_8equal_toIxEExEE10hipError_tPvRmT2_T3_T4_T5_mT6_T7_P12ihipStream_tbENKUlT_T0_E_clISt17integral_constantIbLb1EESY_IbLb0EEEEDaSU_SV_EUlSU_E_NS1_11comp_targetILNS1_3genE3ELNS1_11target_archE908ELNS1_3gpuE7ELNS1_3repE0EEENS1_30default_config_static_selectorELNS0_4arch9wavefront6targetE0EEEvT1_: ; @_ZN7rocprim17ROCPRIM_400000_NS6detail17trampoline_kernelINS0_14default_configENS1_27scan_by_key_config_selectorIxxEEZZNS1_16scan_by_key_implILNS1_25lookback_scan_determinismE0ELb0ES3_N6thrust23THRUST_200600_302600_NS6detail15normal_iteratorINS9_10device_ptrIxEEEESE_SE_xNS9_4plusIvEENS9_8equal_toIxEExEE10hipError_tPvRmT2_T3_T4_T5_mT6_T7_P12ihipStream_tbENKUlT_T0_E_clISt17integral_constantIbLb1EESY_IbLb0EEEEDaSU_SV_EUlSU_E_NS1_11comp_targetILNS1_3genE3ELNS1_11target_archE908ELNS1_3gpuE7ELNS1_3repE0EEENS1_30default_config_static_selectorELNS0_4arch9wavefront6targetE0EEEvT1_
; %bb.0:
	.section	.rodata,"a",@progbits
	.p2align	6, 0x0
	.amdhsa_kernel _ZN7rocprim17ROCPRIM_400000_NS6detail17trampoline_kernelINS0_14default_configENS1_27scan_by_key_config_selectorIxxEEZZNS1_16scan_by_key_implILNS1_25lookback_scan_determinismE0ELb0ES3_N6thrust23THRUST_200600_302600_NS6detail15normal_iteratorINS9_10device_ptrIxEEEESE_SE_xNS9_4plusIvEENS9_8equal_toIxEExEE10hipError_tPvRmT2_T3_T4_T5_mT6_T7_P12ihipStream_tbENKUlT_T0_E_clISt17integral_constantIbLb1EESY_IbLb0EEEEDaSU_SV_EUlSU_E_NS1_11comp_targetILNS1_3genE3ELNS1_11target_archE908ELNS1_3gpuE7ELNS1_3repE0EEENS1_30default_config_static_selectorELNS0_4arch9wavefront6targetE0EEEvT1_
		.amdhsa_group_segment_fixed_size 0
		.amdhsa_private_segment_fixed_size 0
		.amdhsa_kernarg_size 136
		.amdhsa_user_sgpr_count 2
		.amdhsa_user_sgpr_dispatch_ptr 0
		.amdhsa_user_sgpr_queue_ptr 0
		.amdhsa_user_sgpr_kernarg_segment_ptr 1
		.amdhsa_user_sgpr_dispatch_id 0
		.amdhsa_user_sgpr_kernarg_preload_length 0
		.amdhsa_user_sgpr_kernarg_preload_offset 0
		.amdhsa_user_sgpr_private_segment_size 0
		.amdhsa_wavefront_size32 1
		.amdhsa_uses_dynamic_stack 0
		.amdhsa_enable_private_segment 0
		.amdhsa_system_sgpr_workgroup_id_x 1
		.amdhsa_system_sgpr_workgroup_id_y 0
		.amdhsa_system_sgpr_workgroup_id_z 0
		.amdhsa_system_sgpr_workgroup_info 0
		.amdhsa_system_vgpr_workitem_id 0
		.amdhsa_next_free_vgpr 1
		.amdhsa_next_free_sgpr 1
		.amdhsa_named_barrier_count 0
		.amdhsa_reserve_vcc 0
		.amdhsa_float_round_mode_32 0
		.amdhsa_float_round_mode_16_64 0
		.amdhsa_float_denorm_mode_32 3
		.amdhsa_float_denorm_mode_16_64 3
		.amdhsa_fp16_overflow 0
		.amdhsa_memory_ordered 1
		.amdhsa_forward_progress 1
		.amdhsa_inst_pref_size 0
		.amdhsa_round_robin_scheduling 0
		.amdhsa_exception_fp_ieee_invalid_op 0
		.amdhsa_exception_fp_denorm_src 0
		.amdhsa_exception_fp_ieee_div_zero 0
		.amdhsa_exception_fp_ieee_overflow 0
		.amdhsa_exception_fp_ieee_underflow 0
		.amdhsa_exception_fp_ieee_inexact 0
		.amdhsa_exception_int_div_zero 0
	.end_amdhsa_kernel
	.section	.text._ZN7rocprim17ROCPRIM_400000_NS6detail17trampoline_kernelINS0_14default_configENS1_27scan_by_key_config_selectorIxxEEZZNS1_16scan_by_key_implILNS1_25lookback_scan_determinismE0ELb0ES3_N6thrust23THRUST_200600_302600_NS6detail15normal_iteratorINS9_10device_ptrIxEEEESE_SE_xNS9_4plusIvEENS9_8equal_toIxEExEE10hipError_tPvRmT2_T3_T4_T5_mT6_T7_P12ihipStream_tbENKUlT_T0_E_clISt17integral_constantIbLb1EESY_IbLb0EEEEDaSU_SV_EUlSU_E_NS1_11comp_targetILNS1_3genE3ELNS1_11target_archE908ELNS1_3gpuE7ELNS1_3repE0EEENS1_30default_config_static_selectorELNS0_4arch9wavefront6targetE0EEEvT1_,"axG",@progbits,_ZN7rocprim17ROCPRIM_400000_NS6detail17trampoline_kernelINS0_14default_configENS1_27scan_by_key_config_selectorIxxEEZZNS1_16scan_by_key_implILNS1_25lookback_scan_determinismE0ELb0ES3_N6thrust23THRUST_200600_302600_NS6detail15normal_iteratorINS9_10device_ptrIxEEEESE_SE_xNS9_4plusIvEENS9_8equal_toIxEExEE10hipError_tPvRmT2_T3_T4_T5_mT6_T7_P12ihipStream_tbENKUlT_T0_E_clISt17integral_constantIbLb1EESY_IbLb0EEEEDaSU_SV_EUlSU_E_NS1_11comp_targetILNS1_3genE3ELNS1_11target_archE908ELNS1_3gpuE7ELNS1_3repE0EEENS1_30default_config_static_selectorELNS0_4arch9wavefront6targetE0EEEvT1_,comdat
.Lfunc_end105:
	.size	_ZN7rocprim17ROCPRIM_400000_NS6detail17trampoline_kernelINS0_14default_configENS1_27scan_by_key_config_selectorIxxEEZZNS1_16scan_by_key_implILNS1_25lookback_scan_determinismE0ELb0ES3_N6thrust23THRUST_200600_302600_NS6detail15normal_iteratorINS9_10device_ptrIxEEEESE_SE_xNS9_4plusIvEENS9_8equal_toIxEExEE10hipError_tPvRmT2_T3_T4_T5_mT6_T7_P12ihipStream_tbENKUlT_T0_E_clISt17integral_constantIbLb1EESY_IbLb0EEEEDaSU_SV_EUlSU_E_NS1_11comp_targetILNS1_3genE3ELNS1_11target_archE908ELNS1_3gpuE7ELNS1_3repE0EEENS1_30default_config_static_selectorELNS0_4arch9wavefront6targetE0EEEvT1_, .Lfunc_end105-_ZN7rocprim17ROCPRIM_400000_NS6detail17trampoline_kernelINS0_14default_configENS1_27scan_by_key_config_selectorIxxEEZZNS1_16scan_by_key_implILNS1_25lookback_scan_determinismE0ELb0ES3_N6thrust23THRUST_200600_302600_NS6detail15normal_iteratorINS9_10device_ptrIxEEEESE_SE_xNS9_4plusIvEENS9_8equal_toIxEExEE10hipError_tPvRmT2_T3_T4_T5_mT6_T7_P12ihipStream_tbENKUlT_T0_E_clISt17integral_constantIbLb1EESY_IbLb0EEEEDaSU_SV_EUlSU_E_NS1_11comp_targetILNS1_3genE3ELNS1_11target_archE908ELNS1_3gpuE7ELNS1_3repE0EEENS1_30default_config_static_selectorELNS0_4arch9wavefront6targetE0EEEvT1_
                                        ; -- End function
	.set _ZN7rocprim17ROCPRIM_400000_NS6detail17trampoline_kernelINS0_14default_configENS1_27scan_by_key_config_selectorIxxEEZZNS1_16scan_by_key_implILNS1_25lookback_scan_determinismE0ELb0ES3_N6thrust23THRUST_200600_302600_NS6detail15normal_iteratorINS9_10device_ptrIxEEEESE_SE_xNS9_4plusIvEENS9_8equal_toIxEExEE10hipError_tPvRmT2_T3_T4_T5_mT6_T7_P12ihipStream_tbENKUlT_T0_E_clISt17integral_constantIbLb1EESY_IbLb0EEEEDaSU_SV_EUlSU_E_NS1_11comp_targetILNS1_3genE3ELNS1_11target_archE908ELNS1_3gpuE7ELNS1_3repE0EEENS1_30default_config_static_selectorELNS0_4arch9wavefront6targetE0EEEvT1_.num_vgpr, 0
	.set _ZN7rocprim17ROCPRIM_400000_NS6detail17trampoline_kernelINS0_14default_configENS1_27scan_by_key_config_selectorIxxEEZZNS1_16scan_by_key_implILNS1_25lookback_scan_determinismE0ELb0ES3_N6thrust23THRUST_200600_302600_NS6detail15normal_iteratorINS9_10device_ptrIxEEEESE_SE_xNS9_4plusIvEENS9_8equal_toIxEExEE10hipError_tPvRmT2_T3_T4_T5_mT6_T7_P12ihipStream_tbENKUlT_T0_E_clISt17integral_constantIbLb1EESY_IbLb0EEEEDaSU_SV_EUlSU_E_NS1_11comp_targetILNS1_3genE3ELNS1_11target_archE908ELNS1_3gpuE7ELNS1_3repE0EEENS1_30default_config_static_selectorELNS0_4arch9wavefront6targetE0EEEvT1_.num_agpr, 0
	.set _ZN7rocprim17ROCPRIM_400000_NS6detail17trampoline_kernelINS0_14default_configENS1_27scan_by_key_config_selectorIxxEEZZNS1_16scan_by_key_implILNS1_25lookback_scan_determinismE0ELb0ES3_N6thrust23THRUST_200600_302600_NS6detail15normal_iteratorINS9_10device_ptrIxEEEESE_SE_xNS9_4plusIvEENS9_8equal_toIxEExEE10hipError_tPvRmT2_T3_T4_T5_mT6_T7_P12ihipStream_tbENKUlT_T0_E_clISt17integral_constantIbLb1EESY_IbLb0EEEEDaSU_SV_EUlSU_E_NS1_11comp_targetILNS1_3genE3ELNS1_11target_archE908ELNS1_3gpuE7ELNS1_3repE0EEENS1_30default_config_static_selectorELNS0_4arch9wavefront6targetE0EEEvT1_.numbered_sgpr, 0
	.set _ZN7rocprim17ROCPRIM_400000_NS6detail17trampoline_kernelINS0_14default_configENS1_27scan_by_key_config_selectorIxxEEZZNS1_16scan_by_key_implILNS1_25lookback_scan_determinismE0ELb0ES3_N6thrust23THRUST_200600_302600_NS6detail15normal_iteratorINS9_10device_ptrIxEEEESE_SE_xNS9_4plusIvEENS9_8equal_toIxEExEE10hipError_tPvRmT2_T3_T4_T5_mT6_T7_P12ihipStream_tbENKUlT_T0_E_clISt17integral_constantIbLb1EESY_IbLb0EEEEDaSU_SV_EUlSU_E_NS1_11comp_targetILNS1_3genE3ELNS1_11target_archE908ELNS1_3gpuE7ELNS1_3repE0EEENS1_30default_config_static_selectorELNS0_4arch9wavefront6targetE0EEEvT1_.num_named_barrier, 0
	.set _ZN7rocprim17ROCPRIM_400000_NS6detail17trampoline_kernelINS0_14default_configENS1_27scan_by_key_config_selectorIxxEEZZNS1_16scan_by_key_implILNS1_25lookback_scan_determinismE0ELb0ES3_N6thrust23THRUST_200600_302600_NS6detail15normal_iteratorINS9_10device_ptrIxEEEESE_SE_xNS9_4plusIvEENS9_8equal_toIxEExEE10hipError_tPvRmT2_T3_T4_T5_mT6_T7_P12ihipStream_tbENKUlT_T0_E_clISt17integral_constantIbLb1EESY_IbLb0EEEEDaSU_SV_EUlSU_E_NS1_11comp_targetILNS1_3genE3ELNS1_11target_archE908ELNS1_3gpuE7ELNS1_3repE0EEENS1_30default_config_static_selectorELNS0_4arch9wavefront6targetE0EEEvT1_.private_seg_size, 0
	.set _ZN7rocprim17ROCPRIM_400000_NS6detail17trampoline_kernelINS0_14default_configENS1_27scan_by_key_config_selectorIxxEEZZNS1_16scan_by_key_implILNS1_25lookback_scan_determinismE0ELb0ES3_N6thrust23THRUST_200600_302600_NS6detail15normal_iteratorINS9_10device_ptrIxEEEESE_SE_xNS9_4plusIvEENS9_8equal_toIxEExEE10hipError_tPvRmT2_T3_T4_T5_mT6_T7_P12ihipStream_tbENKUlT_T0_E_clISt17integral_constantIbLb1EESY_IbLb0EEEEDaSU_SV_EUlSU_E_NS1_11comp_targetILNS1_3genE3ELNS1_11target_archE908ELNS1_3gpuE7ELNS1_3repE0EEENS1_30default_config_static_selectorELNS0_4arch9wavefront6targetE0EEEvT1_.uses_vcc, 0
	.set _ZN7rocprim17ROCPRIM_400000_NS6detail17trampoline_kernelINS0_14default_configENS1_27scan_by_key_config_selectorIxxEEZZNS1_16scan_by_key_implILNS1_25lookback_scan_determinismE0ELb0ES3_N6thrust23THRUST_200600_302600_NS6detail15normal_iteratorINS9_10device_ptrIxEEEESE_SE_xNS9_4plusIvEENS9_8equal_toIxEExEE10hipError_tPvRmT2_T3_T4_T5_mT6_T7_P12ihipStream_tbENKUlT_T0_E_clISt17integral_constantIbLb1EESY_IbLb0EEEEDaSU_SV_EUlSU_E_NS1_11comp_targetILNS1_3genE3ELNS1_11target_archE908ELNS1_3gpuE7ELNS1_3repE0EEENS1_30default_config_static_selectorELNS0_4arch9wavefront6targetE0EEEvT1_.uses_flat_scratch, 0
	.set _ZN7rocprim17ROCPRIM_400000_NS6detail17trampoline_kernelINS0_14default_configENS1_27scan_by_key_config_selectorIxxEEZZNS1_16scan_by_key_implILNS1_25lookback_scan_determinismE0ELb0ES3_N6thrust23THRUST_200600_302600_NS6detail15normal_iteratorINS9_10device_ptrIxEEEESE_SE_xNS9_4plusIvEENS9_8equal_toIxEExEE10hipError_tPvRmT2_T3_T4_T5_mT6_T7_P12ihipStream_tbENKUlT_T0_E_clISt17integral_constantIbLb1EESY_IbLb0EEEEDaSU_SV_EUlSU_E_NS1_11comp_targetILNS1_3genE3ELNS1_11target_archE908ELNS1_3gpuE7ELNS1_3repE0EEENS1_30default_config_static_selectorELNS0_4arch9wavefront6targetE0EEEvT1_.has_dyn_sized_stack, 0
	.set _ZN7rocprim17ROCPRIM_400000_NS6detail17trampoline_kernelINS0_14default_configENS1_27scan_by_key_config_selectorIxxEEZZNS1_16scan_by_key_implILNS1_25lookback_scan_determinismE0ELb0ES3_N6thrust23THRUST_200600_302600_NS6detail15normal_iteratorINS9_10device_ptrIxEEEESE_SE_xNS9_4plusIvEENS9_8equal_toIxEExEE10hipError_tPvRmT2_T3_T4_T5_mT6_T7_P12ihipStream_tbENKUlT_T0_E_clISt17integral_constantIbLb1EESY_IbLb0EEEEDaSU_SV_EUlSU_E_NS1_11comp_targetILNS1_3genE3ELNS1_11target_archE908ELNS1_3gpuE7ELNS1_3repE0EEENS1_30default_config_static_selectorELNS0_4arch9wavefront6targetE0EEEvT1_.has_recursion, 0
	.set _ZN7rocprim17ROCPRIM_400000_NS6detail17trampoline_kernelINS0_14default_configENS1_27scan_by_key_config_selectorIxxEEZZNS1_16scan_by_key_implILNS1_25lookback_scan_determinismE0ELb0ES3_N6thrust23THRUST_200600_302600_NS6detail15normal_iteratorINS9_10device_ptrIxEEEESE_SE_xNS9_4plusIvEENS9_8equal_toIxEExEE10hipError_tPvRmT2_T3_T4_T5_mT6_T7_P12ihipStream_tbENKUlT_T0_E_clISt17integral_constantIbLb1EESY_IbLb0EEEEDaSU_SV_EUlSU_E_NS1_11comp_targetILNS1_3genE3ELNS1_11target_archE908ELNS1_3gpuE7ELNS1_3repE0EEENS1_30default_config_static_selectorELNS0_4arch9wavefront6targetE0EEEvT1_.has_indirect_call, 0
	.section	.AMDGPU.csdata,"",@progbits
; Kernel info:
; codeLenInByte = 0
; TotalNumSgprs: 0
; NumVgprs: 0
; ScratchSize: 0
; MemoryBound: 0
; FloatMode: 240
; IeeeMode: 1
; LDSByteSize: 0 bytes/workgroup (compile time only)
; SGPRBlocks: 0
; VGPRBlocks: 0
; NumSGPRsForWavesPerEU: 1
; NumVGPRsForWavesPerEU: 1
; NamedBarCnt: 0
; Occupancy: 16
; WaveLimiterHint : 0
; COMPUTE_PGM_RSRC2:SCRATCH_EN: 0
; COMPUTE_PGM_RSRC2:USER_SGPR: 2
; COMPUTE_PGM_RSRC2:TRAP_HANDLER: 0
; COMPUTE_PGM_RSRC2:TGID_X_EN: 1
; COMPUTE_PGM_RSRC2:TGID_Y_EN: 0
; COMPUTE_PGM_RSRC2:TGID_Z_EN: 0
; COMPUTE_PGM_RSRC2:TIDIG_COMP_CNT: 0
	.section	.text._ZN7rocprim17ROCPRIM_400000_NS6detail17trampoline_kernelINS0_14default_configENS1_27scan_by_key_config_selectorIxxEEZZNS1_16scan_by_key_implILNS1_25lookback_scan_determinismE0ELb0ES3_N6thrust23THRUST_200600_302600_NS6detail15normal_iteratorINS9_10device_ptrIxEEEESE_SE_xNS9_4plusIvEENS9_8equal_toIxEExEE10hipError_tPvRmT2_T3_T4_T5_mT6_T7_P12ihipStream_tbENKUlT_T0_E_clISt17integral_constantIbLb1EESY_IbLb0EEEEDaSU_SV_EUlSU_E_NS1_11comp_targetILNS1_3genE2ELNS1_11target_archE906ELNS1_3gpuE6ELNS1_3repE0EEENS1_30default_config_static_selectorELNS0_4arch9wavefront6targetE0EEEvT1_,"axG",@progbits,_ZN7rocprim17ROCPRIM_400000_NS6detail17trampoline_kernelINS0_14default_configENS1_27scan_by_key_config_selectorIxxEEZZNS1_16scan_by_key_implILNS1_25lookback_scan_determinismE0ELb0ES3_N6thrust23THRUST_200600_302600_NS6detail15normal_iteratorINS9_10device_ptrIxEEEESE_SE_xNS9_4plusIvEENS9_8equal_toIxEExEE10hipError_tPvRmT2_T3_T4_T5_mT6_T7_P12ihipStream_tbENKUlT_T0_E_clISt17integral_constantIbLb1EESY_IbLb0EEEEDaSU_SV_EUlSU_E_NS1_11comp_targetILNS1_3genE2ELNS1_11target_archE906ELNS1_3gpuE6ELNS1_3repE0EEENS1_30default_config_static_selectorELNS0_4arch9wavefront6targetE0EEEvT1_,comdat
	.protected	_ZN7rocprim17ROCPRIM_400000_NS6detail17trampoline_kernelINS0_14default_configENS1_27scan_by_key_config_selectorIxxEEZZNS1_16scan_by_key_implILNS1_25lookback_scan_determinismE0ELb0ES3_N6thrust23THRUST_200600_302600_NS6detail15normal_iteratorINS9_10device_ptrIxEEEESE_SE_xNS9_4plusIvEENS9_8equal_toIxEExEE10hipError_tPvRmT2_T3_T4_T5_mT6_T7_P12ihipStream_tbENKUlT_T0_E_clISt17integral_constantIbLb1EESY_IbLb0EEEEDaSU_SV_EUlSU_E_NS1_11comp_targetILNS1_3genE2ELNS1_11target_archE906ELNS1_3gpuE6ELNS1_3repE0EEENS1_30default_config_static_selectorELNS0_4arch9wavefront6targetE0EEEvT1_ ; -- Begin function _ZN7rocprim17ROCPRIM_400000_NS6detail17trampoline_kernelINS0_14default_configENS1_27scan_by_key_config_selectorIxxEEZZNS1_16scan_by_key_implILNS1_25lookback_scan_determinismE0ELb0ES3_N6thrust23THRUST_200600_302600_NS6detail15normal_iteratorINS9_10device_ptrIxEEEESE_SE_xNS9_4plusIvEENS9_8equal_toIxEExEE10hipError_tPvRmT2_T3_T4_T5_mT6_T7_P12ihipStream_tbENKUlT_T0_E_clISt17integral_constantIbLb1EESY_IbLb0EEEEDaSU_SV_EUlSU_E_NS1_11comp_targetILNS1_3genE2ELNS1_11target_archE906ELNS1_3gpuE6ELNS1_3repE0EEENS1_30default_config_static_selectorELNS0_4arch9wavefront6targetE0EEEvT1_
	.globl	_ZN7rocprim17ROCPRIM_400000_NS6detail17trampoline_kernelINS0_14default_configENS1_27scan_by_key_config_selectorIxxEEZZNS1_16scan_by_key_implILNS1_25lookback_scan_determinismE0ELb0ES3_N6thrust23THRUST_200600_302600_NS6detail15normal_iteratorINS9_10device_ptrIxEEEESE_SE_xNS9_4plusIvEENS9_8equal_toIxEExEE10hipError_tPvRmT2_T3_T4_T5_mT6_T7_P12ihipStream_tbENKUlT_T0_E_clISt17integral_constantIbLb1EESY_IbLb0EEEEDaSU_SV_EUlSU_E_NS1_11comp_targetILNS1_3genE2ELNS1_11target_archE906ELNS1_3gpuE6ELNS1_3repE0EEENS1_30default_config_static_selectorELNS0_4arch9wavefront6targetE0EEEvT1_
	.p2align	8
	.type	_ZN7rocprim17ROCPRIM_400000_NS6detail17trampoline_kernelINS0_14default_configENS1_27scan_by_key_config_selectorIxxEEZZNS1_16scan_by_key_implILNS1_25lookback_scan_determinismE0ELb0ES3_N6thrust23THRUST_200600_302600_NS6detail15normal_iteratorINS9_10device_ptrIxEEEESE_SE_xNS9_4plusIvEENS9_8equal_toIxEExEE10hipError_tPvRmT2_T3_T4_T5_mT6_T7_P12ihipStream_tbENKUlT_T0_E_clISt17integral_constantIbLb1EESY_IbLb0EEEEDaSU_SV_EUlSU_E_NS1_11comp_targetILNS1_3genE2ELNS1_11target_archE906ELNS1_3gpuE6ELNS1_3repE0EEENS1_30default_config_static_selectorELNS0_4arch9wavefront6targetE0EEEvT1_,@function
_ZN7rocprim17ROCPRIM_400000_NS6detail17trampoline_kernelINS0_14default_configENS1_27scan_by_key_config_selectorIxxEEZZNS1_16scan_by_key_implILNS1_25lookback_scan_determinismE0ELb0ES3_N6thrust23THRUST_200600_302600_NS6detail15normal_iteratorINS9_10device_ptrIxEEEESE_SE_xNS9_4plusIvEENS9_8equal_toIxEExEE10hipError_tPvRmT2_T3_T4_T5_mT6_T7_P12ihipStream_tbENKUlT_T0_E_clISt17integral_constantIbLb1EESY_IbLb0EEEEDaSU_SV_EUlSU_E_NS1_11comp_targetILNS1_3genE2ELNS1_11target_archE906ELNS1_3gpuE6ELNS1_3repE0EEENS1_30default_config_static_selectorELNS0_4arch9wavefront6targetE0EEEvT1_: ; @_ZN7rocprim17ROCPRIM_400000_NS6detail17trampoline_kernelINS0_14default_configENS1_27scan_by_key_config_selectorIxxEEZZNS1_16scan_by_key_implILNS1_25lookback_scan_determinismE0ELb0ES3_N6thrust23THRUST_200600_302600_NS6detail15normal_iteratorINS9_10device_ptrIxEEEESE_SE_xNS9_4plusIvEENS9_8equal_toIxEExEE10hipError_tPvRmT2_T3_T4_T5_mT6_T7_P12ihipStream_tbENKUlT_T0_E_clISt17integral_constantIbLb1EESY_IbLb0EEEEDaSU_SV_EUlSU_E_NS1_11comp_targetILNS1_3genE2ELNS1_11target_archE906ELNS1_3gpuE6ELNS1_3repE0EEENS1_30default_config_static_selectorELNS0_4arch9wavefront6targetE0EEEvT1_
; %bb.0:
	.section	.rodata,"a",@progbits
	.p2align	6, 0x0
	.amdhsa_kernel _ZN7rocprim17ROCPRIM_400000_NS6detail17trampoline_kernelINS0_14default_configENS1_27scan_by_key_config_selectorIxxEEZZNS1_16scan_by_key_implILNS1_25lookback_scan_determinismE0ELb0ES3_N6thrust23THRUST_200600_302600_NS6detail15normal_iteratorINS9_10device_ptrIxEEEESE_SE_xNS9_4plusIvEENS9_8equal_toIxEExEE10hipError_tPvRmT2_T3_T4_T5_mT6_T7_P12ihipStream_tbENKUlT_T0_E_clISt17integral_constantIbLb1EESY_IbLb0EEEEDaSU_SV_EUlSU_E_NS1_11comp_targetILNS1_3genE2ELNS1_11target_archE906ELNS1_3gpuE6ELNS1_3repE0EEENS1_30default_config_static_selectorELNS0_4arch9wavefront6targetE0EEEvT1_
		.amdhsa_group_segment_fixed_size 0
		.amdhsa_private_segment_fixed_size 0
		.amdhsa_kernarg_size 136
		.amdhsa_user_sgpr_count 2
		.amdhsa_user_sgpr_dispatch_ptr 0
		.amdhsa_user_sgpr_queue_ptr 0
		.amdhsa_user_sgpr_kernarg_segment_ptr 1
		.amdhsa_user_sgpr_dispatch_id 0
		.amdhsa_user_sgpr_kernarg_preload_length 0
		.amdhsa_user_sgpr_kernarg_preload_offset 0
		.amdhsa_user_sgpr_private_segment_size 0
		.amdhsa_wavefront_size32 1
		.amdhsa_uses_dynamic_stack 0
		.amdhsa_enable_private_segment 0
		.amdhsa_system_sgpr_workgroup_id_x 1
		.amdhsa_system_sgpr_workgroup_id_y 0
		.amdhsa_system_sgpr_workgroup_id_z 0
		.amdhsa_system_sgpr_workgroup_info 0
		.amdhsa_system_vgpr_workitem_id 0
		.amdhsa_next_free_vgpr 1
		.amdhsa_next_free_sgpr 1
		.amdhsa_named_barrier_count 0
		.amdhsa_reserve_vcc 0
		.amdhsa_float_round_mode_32 0
		.amdhsa_float_round_mode_16_64 0
		.amdhsa_float_denorm_mode_32 3
		.amdhsa_float_denorm_mode_16_64 3
		.amdhsa_fp16_overflow 0
		.amdhsa_memory_ordered 1
		.amdhsa_forward_progress 1
		.amdhsa_inst_pref_size 0
		.amdhsa_round_robin_scheduling 0
		.amdhsa_exception_fp_ieee_invalid_op 0
		.amdhsa_exception_fp_denorm_src 0
		.amdhsa_exception_fp_ieee_div_zero 0
		.amdhsa_exception_fp_ieee_overflow 0
		.amdhsa_exception_fp_ieee_underflow 0
		.amdhsa_exception_fp_ieee_inexact 0
		.amdhsa_exception_int_div_zero 0
	.end_amdhsa_kernel
	.section	.text._ZN7rocprim17ROCPRIM_400000_NS6detail17trampoline_kernelINS0_14default_configENS1_27scan_by_key_config_selectorIxxEEZZNS1_16scan_by_key_implILNS1_25lookback_scan_determinismE0ELb0ES3_N6thrust23THRUST_200600_302600_NS6detail15normal_iteratorINS9_10device_ptrIxEEEESE_SE_xNS9_4plusIvEENS9_8equal_toIxEExEE10hipError_tPvRmT2_T3_T4_T5_mT6_T7_P12ihipStream_tbENKUlT_T0_E_clISt17integral_constantIbLb1EESY_IbLb0EEEEDaSU_SV_EUlSU_E_NS1_11comp_targetILNS1_3genE2ELNS1_11target_archE906ELNS1_3gpuE6ELNS1_3repE0EEENS1_30default_config_static_selectorELNS0_4arch9wavefront6targetE0EEEvT1_,"axG",@progbits,_ZN7rocprim17ROCPRIM_400000_NS6detail17trampoline_kernelINS0_14default_configENS1_27scan_by_key_config_selectorIxxEEZZNS1_16scan_by_key_implILNS1_25lookback_scan_determinismE0ELb0ES3_N6thrust23THRUST_200600_302600_NS6detail15normal_iteratorINS9_10device_ptrIxEEEESE_SE_xNS9_4plusIvEENS9_8equal_toIxEExEE10hipError_tPvRmT2_T3_T4_T5_mT6_T7_P12ihipStream_tbENKUlT_T0_E_clISt17integral_constantIbLb1EESY_IbLb0EEEEDaSU_SV_EUlSU_E_NS1_11comp_targetILNS1_3genE2ELNS1_11target_archE906ELNS1_3gpuE6ELNS1_3repE0EEENS1_30default_config_static_selectorELNS0_4arch9wavefront6targetE0EEEvT1_,comdat
.Lfunc_end106:
	.size	_ZN7rocprim17ROCPRIM_400000_NS6detail17trampoline_kernelINS0_14default_configENS1_27scan_by_key_config_selectorIxxEEZZNS1_16scan_by_key_implILNS1_25lookback_scan_determinismE0ELb0ES3_N6thrust23THRUST_200600_302600_NS6detail15normal_iteratorINS9_10device_ptrIxEEEESE_SE_xNS9_4plusIvEENS9_8equal_toIxEExEE10hipError_tPvRmT2_T3_T4_T5_mT6_T7_P12ihipStream_tbENKUlT_T0_E_clISt17integral_constantIbLb1EESY_IbLb0EEEEDaSU_SV_EUlSU_E_NS1_11comp_targetILNS1_3genE2ELNS1_11target_archE906ELNS1_3gpuE6ELNS1_3repE0EEENS1_30default_config_static_selectorELNS0_4arch9wavefront6targetE0EEEvT1_, .Lfunc_end106-_ZN7rocprim17ROCPRIM_400000_NS6detail17trampoline_kernelINS0_14default_configENS1_27scan_by_key_config_selectorIxxEEZZNS1_16scan_by_key_implILNS1_25lookback_scan_determinismE0ELb0ES3_N6thrust23THRUST_200600_302600_NS6detail15normal_iteratorINS9_10device_ptrIxEEEESE_SE_xNS9_4plusIvEENS9_8equal_toIxEExEE10hipError_tPvRmT2_T3_T4_T5_mT6_T7_P12ihipStream_tbENKUlT_T0_E_clISt17integral_constantIbLb1EESY_IbLb0EEEEDaSU_SV_EUlSU_E_NS1_11comp_targetILNS1_3genE2ELNS1_11target_archE906ELNS1_3gpuE6ELNS1_3repE0EEENS1_30default_config_static_selectorELNS0_4arch9wavefront6targetE0EEEvT1_
                                        ; -- End function
	.set _ZN7rocprim17ROCPRIM_400000_NS6detail17trampoline_kernelINS0_14default_configENS1_27scan_by_key_config_selectorIxxEEZZNS1_16scan_by_key_implILNS1_25lookback_scan_determinismE0ELb0ES3_N6thrust23THRUST_200600_302600_NS6detail15normal_iteratorINS9_10device_ptrIxEEEESE_SE_xNS9_4plusIvEENS9_8equal_toIxEExEE10hipError_tPvRmT2_T3_T4_T5_mT6_T7_P12ihipStream_tbENKUlT_T0_E_clISt17integral_constantIbLb1EESY_IbLb0EEEEDaSU_SV_EUlSU_E_NS1_11comp_targetILNS1_3genE2ELNS1_11target_archE906ELNS1_3gpuE6ELNS1_3repE0EEENS1_30default_config_static_selectorELNS0_4arch9wavefront6targetE0EEEvT1_.num_vgpr, 0
	.set _ZN7rocprim17ROCPRIM_400000_NS6detail17trampoline_kernelINS0_14default_configENS1_27scan_by_key_config_selectorIxxEEZZNS1_16scan_by_key_implILNS1_25lookback_scan_determinismE0ELb0ES3_N6thrust23THRUST_200600_302600_NS6detail15normal_iteratorINS9_10device_ptrIxEEEESE_SE_xNS9_4plusIvEENS9_8equal_toIxEExEE10hipError_tPvRmT2_T3_T4_T5_mT6_T7_P12ihipStream_tbENKUlT_T0_E_clISt17integral_constantIbLb1EESY_IbLb0EEEEDaSU_SV_EUlSU_E_NS1_11comp_targetILNS1_3genE2ELNS1_11target_archE906ELNS1_3gpuE6ELNS1_3repE0EEENS1_30default_config_static_selectorELNS0_4arch9wavefront6targetE0EEEvT1_.num_agpr, 0
	.set _ZN7rocprim17ROCPRIM_400000_NS6detail17trampoline_kernelINS0_14default_configENS1_27scan_by_key_config_selectorIxxEEZZNS1_16scan_by_key_implILNS1_25lookback_scan_determinismE0ELb0ES3_N6thrust23THRUST_200600_302600_NS6detail15normal_iteratorINS9_10device_ptrIxEEEESE_SE_xNS9_4plusIvEENS9_8equal_toIxEExEE10hipError_tPvRmT2_T3_T4_T5_mT6_T7_P12ihipStream_tbENKUlT_T0_E_clISt17integral_constantIbLb1EESY_IbLb0EEEEDaSU_SV_EUlSU_E_NS1_11comp_targetILNS1_3genE2ELNS1_11target_archE906ELNS1_3gpuE6ELNS1_3repE0EEENS1_30default_config_static_selectorELNS0_4arch9wavefront6targetE0EEEvT1_.numbered_sgpr, 0
	.set _ZN7rocprim17ROCPRIM_400000_NS6detail17trampoline_kernelINS0_14default_configENS1_27scan_by_key_config_selectorIxxEEZZNS1_16scan_by_key_implILNS1_25lookback_scan_determinismE0ELb0ES3_N6thrust23THRUST_200600_302600_NS6detail15normal_iteratorINS9_10device_ptrIxEEEESE_SE_xNS9_4plusIvEENS9_8equal_toIxEExEE10hipError_tPvRmT2_T3_T4_T5_mT6_T7_P12ihipStream_tbENKUlT_T0_E_clISt17integral_constantIbLb1EESY_IbLb0EEEEDaSU_SV_EUlSU_E_NS1_11comp_targetILNS1_3genE2ELNS1_11target_archE906ELNS1_3gpuE6ELNS1_3repE0EEENS1_30default_config_static_selectorELNS0_4arch9wavefront6targetE0EEEvT1_.num_named_barrier, 0
	.set _ZN7rocprim17ROCPRIM_400000_NS6detail17trampoline_kernelINS0_14default_configENS1_27scan_by_key_config_selectorIxxEEZZNS1_16scan_by_key_implILNS1_25lookback_scan_determinismE0ELb0ES3_N6thrust23THRUST_200600_302600_NS6detail15normal_iteratorINS9_10device_ptrIxEEEESE_SE_xNS9_4plusIvEENS9_8equal_toIxEExEE10hipError_tPvRmT2_T3_T4_T5_mT6_T7_P12ihipStream_tbENKUlT_T0_E_clISt17integral_constantIbLb1EESY_IbLb0EEEEDaSU_SV_EUlSU_E_NS1_11comp_targetILNS1_3genE2ELNS1_11target_archE906ELNS1_3gpuE6ELNS1_3repE0EEENS1_30default_config_static_selectorELNS0_4arch9wavefront6targetE0EEEvT1_.private_seg_size, 0
	.set _ZN7rocprim17ROCPRIM_400000_NS6detail17trampoline_kernelINS0_14default_configENS1_27scan_by_key_config_selectorIxxEEZZNS1_16scan_by_key_implILNS1_25lookback_scan_determinismE0ELb0ES3_N6thrust23THRUST_200600_302600_NS6detail15normal_iteratorINS9_10device_ptrIxEEEESE_SE_xNS9_4plusIvEENS9_8equal_toIxEExEE10hipError_tPvRmT2_T3_T4_T5_mT6_T7_P12ihipStream_tbENKUlT_T0_E_clISt17integral_constantIbLb1EESY_IbLb0EEEEDaSU_SV_EUlSU_E_NS1_11comp_targetILNS1_3genE2ELNS1_11target_archE906ELNS1_3gpuE6ELNS1_3repE0EEENS1_30default_config_static_selectorELNS0_4arch9wavefront6targetE0EEEvT1_.uses_vcc, 0
	.set _ZN7rocprim17ROCPRIM_400000_NS6detail17trampoline_kernelINS0_14default_configENS1_27scan_by_key_config_selectorIxxEEZZNS1_16scan_by_key_implILNS1_25lookback_scan_determinismE0ELb0ES3_N6thrust23THRUST_200600_302600_NS6detail15normal_iteratorINS9_10device_ptrIxEEEESE_SE_xNS9_4plusIvEENS9_8equal_toIxEExEE10hipError_tPvRmT2_T3_T4_T5_mT6_T7_P12ihipStream_tbENKUlT_T0_E_clISt17integral_constantIbLb1EESY_IbLb0EEEEDaSU_SV_EUlSU_E_NS1_11comp_targetILNS1_3genE2ELNS1_11target_archE906ELNS1_3gpuE6ELNS1_3repE0EEENS1_30default_config_static_selectorELNS0_4arch9wavefront6targetE0EEEvT1_.uses_flat_scratch, 0
	.set _ZN7rocprim17ROCPRIM_400000_NS6detail17trampoline_kernelINS0_14default_configENS1_27scan_by_key_config_selectorIxxEEZZNS1_16scan_by_key_implILNS1_25lookback_scan_determinismE0ELb0ES3_N6thrust23THRUST_200600_302600_NS6detail15normal_iteratorINS9_10device_ptrIxEEEESE_SE_xNS9_4plusIvEENS9_8equal_toIxEExEE10hipError_tPvRmT2_T3_T4_T5_mT6_T7_P12ihipStream_tbENKUlT_T0_E_clISt17integral_constantIbLb1EESY_IbLb0EEEEDaSU_SV_EUlSU_E_NS1_11comp_targetILNS1_3genE2ELNS1_11target_archE906ELNS1_3gpuE6ELNS1_3repE0EEENS1_30default_config_static_selectorELNS0_4arch9wavefront6targetE0EEEvT1_.has_dyn_sized_stack, 0
	.set _ZN7rocprim17ROCPRIM_400000_NS6detail17trampoline_kernelINS0_14default_configENS1_27scan_by_key_config_selectorIxxEEZZNS1_16scan_by_key_implILNS1_25lookback_scan_determinismE0ELb0ES3_N6thrust23THRUST_200600_302600_NS6detail15normal_iteratorINS9_10device_ptrIxEEEESE_SE_xNS9_4plusIvEENS9_8equal_toIxEExEE10hipError_tPvRmT2_T3_T4_T5_mT6_T7_P12ihipStream_tbENKUlT_T0_E_clISt17integral_constantIbLb1EESY_IbLb0EEEEDaSU_SV_EUlSU_E_NS1_11comp_targetILNS1_3genE2ELNS1_11target_archE906ELNS1_3gpuE6ELNS1_3repE0EEENS1_30default_config_static_selectorELNS0_4arch9wavefront6targetE0EEEvT1_.has_recursion, 0
	.set _ZN7rocprim17ROCPRIM_400000_NS6detail17trampoline_kernelINS0_14default_configENS1_27scan_by_key_config_selectorIxxEEZZNS1_16scan_by_key_implILNS1_25lookback_scan_determinismE0ELb0ES3_N6thrust23THRUST_200600_302600_NS6detail15normal_iteratorINS9_10device_ptrIxEEEESE_SE_xNS9_4plusIvEENS9_8equal_toIxEExEE10hipError_tPvRmT2_T3_T4_T5_mT6_T7_P12ihipStream_tbENKUlT_T0_E_clISt17integral_constantIbLb1EESY_IbLb0EEEEDaSU_SV_EUlSU_E_NS1_11comp_targetILNS1_3genE2ELNS1_11target_archE906ELNS1_3gpuE6ELNS1_3repE0EEENS1_30default_config_static_selectorELNS0_4arch9wavefront6targetE0EEEvT1_.has_indirect_call, 0
	.section	.AMDGPU.csdata,"",@progbits
; Kernel info:
; codeLenInByte = 0
; TotalNumSgprs: 0
; NumVgprs: 0
; ScratchSize: 0
; MemoryBound: 0
; FloatMode: 240
; IeeeMode: 1
; LDSByteSize: 0 bytes/workgroup (compile time only)
; SGPRBlocks: 0
; VGPRBlocks: 0
; NumSGPRsForWavesPerEU: 1
; NumVGPRsForWavesPerEU: 1
; NamedBarCnt: 0
; Occupancy: 16
; WaveLimiterHint : 0
; COMPUTE_PGM_RSRC2:SCRATCH_EN: 0
; COMPUTE_PGM_RSRC2:USER_SGPR: 2
; COMPUTE_PGM_RSRC2:TRAP_HANDLER: 0
; COMPUTE_PGM_RSRC2:TGID_X_EN: 1
; COMPUTE_PGM_RSRC2:TGID_Y_EN: 0
; COMPUTE_PGM_RSRC2:TGID_Z_EN: 0
; COMPUTE_PGM_RSRC2:TIDIG_COMP_CNT: 0
	.section	.text._ZN7rocprim17ROCPRIM_400000_NS6detail17trampoline_kernelINS0_14default_configENS1_27scan_by_key_config_selectorIxxEEZZNS1_16scan_by_key_implILNS1_25lookback_scan_determinismE0ELb0ES3_N6thrust23THRUST_200600_302600_NS6detail15normal_iteratorINS9_10device_ptrIxEEEESE_SE_xNS9_4plusIvEENS9_8equal_toIxEExEE10hipError_tPvRmT2_T3_T4_T5_mT6_T7_P12ihipStream_tbENKUlT_T0_E_clISt17integral_constantIbLb1EESY_IbLb0EEEEDaSU_SV_EUlSU_E_NS1_11comp_targetILNS1_3genE10ELNS1_11target_archE1200ELNS1_3gpuE4ELNS1_3repE0EEENS1_30default_config_static_selectorELNS0_4arch9wavefront6targetE0EEEvT1_,"axG",@progbits,_ZN7rocprim17ROCPRIM_400000_NS6detail17trampoline_kernelINS0_14default_configENS1_27scan_by_key_config_selectorIxxEEZZNS1_16scan_by_key_implILNS1_25lookback_scan_determinismE0ELb0ES3_N6thrust23THRUST_200600_302600_NS6detail15normal_iteratorINS9_10device_ptrIxEEEESE_SE_xNS9_4plusIvEENS9_8equal_toIxEExEE10hipError_tPvRmT2_T3_T4_T5_mT6_T7_P12ihipStream_tbENKUlT_T0_E_clISt17integral_constantIbLb1EESY_IbLb0EEEEDaSU_SV_EUlSU_E_NS1_11comp_targetILNS1_3genE10ELNS1_11target_archE1200ELNS1_3gpuE4ELNS1_3repE0EEENS1_30default_config_static_selectorELNS0_4arch9wavefront6targetE0EEEvT1_,comdat
	.protected	_ZN7rocprim17ROCPRIM_400000_NS6detail17trampoline_kernelINS0_14default_configENS1_27scan_by_key_config_selectorIxxEEZZNS1_16scan_by_key_implILNS1_25lookback_scan_determinismE0ELb0ES3_N6thrust23THRUST_200600_302600_NS6detail15normal_iteratorINS9_10device_ptrIxEEEESE_SE_xNS9_4plusIvEENS9_8equal_toIxEExEE10hipError_tPvRmT2_T3_T4_T5_mT6_T7_P12ihipStream_tbENKUlT_T0_E_clISt17integral_constantIbLb1EESY_IbLb0EEEEDaSU_SV_EUlSU_E_NS1_11comp_targetILNS1_3genE10ELNS1_11target_archE1200ELNS1_3gpuE4ELNS1_3repE0EEENS1_30default_config_static_selectorELNS0_4arch9wavefront6targetE0EEEvT1_ ; -- Begin function _ZN7rocprim17ROCPRIM_400000_NS6detail17trampoline_kernelINS0_14default_configENS1_27scan_by_key_config_selectorIxxEEZZNS1_16scan_by_key_implILNS1_25lookback_scan_determinismE0ELb0ES3_N6thrust23THRUST_200600_302600_NS6detail15normal_iteratorINS9_10device_ptrIxEEEESE_SE_xNS9_4plusIvEENS9_8equal_toIxEExEE10hipError_tPvRmT2_T3_T4_T5_mT6_T7_P12ihipStream_tbENKUlT_T0_E_clISt17integral_constantIbLb1EESY_IbLb0EEEEDaSU_SV_EUlSU_E_NS1_11comp_targetILNS1_3genE10ELNS1_11target_archE1200ELNS1_3gpuE4ELNS1_3repE0EEENS1_30default_config_static_selectorELNS0_4arch9wavefront6targetE0EEEvT1_
	.globl	_ZN7rocprim17ROCPRIM_400000_NS6detail17trampoline_kernelINS0_14default_configENS1_27scan_by_key_config_selectorIxxEEZZNS1_16scan_by_key_implILNS1_25lookback_scan_determinismE0ELb0ES3_N6thrust23THRUST_200600_302600_NS6detail15normal_iteratorINS9_10device_ptrIxEEEESE_SE_xNS9_4plusIvEENS9_8equal_toIxEExEE10hipError_tPvRmT2_T3_T4_T5_mT6_T7_P12ihipStream_tbENKUlT_T0_E_clISt17integral_constantIbLb1EESY_IbLb0EEEEDaSU_SV_EUlSU_E_NS1_11comp_targetILNS1_3genE10ELNS1_11target_archE1200ELNS1_3gpuE4ELNS1_3repE0EEENS1_30default_config_static_selectorELNS0_4arch9wavefront6targetE0EEEvT1_
	.p2align	8
	.type	_ZN7rocprim17ROCPRIM_400000_NS6detail17trampoline_kernelINS0_14default_configENS1_27scan_by_key_config_selectorIxxEEZZNS1_16scan_by_key_implILNS1_25lookback_scan_determinismE0ELb0ES3_N6thrust23THRUST_200600_302600_NS6detail15normal_iteratorINS9_10device_ptrIxEEEESE_SE_xNS9_4plusIvEENS9_8equal_toIxEExEE10hipError_tPvRmT2_T3_T4_T5_mT6_T7_P12ihipStream_tbENKUlT_T0_E_clISt17integral_constantIbLb1EESY_IbLb0EEEEDaSU_SV_EUlSU_E_NS1_11comp_targetILNS1_3genE10ELNS1_11target_archE1200ELNS1_3gpuE4ELNS1_3repE0EEENS1_30default_config_static_selectorELNS0_4arch9wavefront6targetE0EEEvT1_,@function
_ZN7rocprim17ROCPRIM_400000_NS6detail17trampoline_kernelINS0_14default_configENS1_27scan_by_key_config_selectorIxxEEZZNS1_16scan_by_key_implILNS1_25lookback_scan_determinismE0ELb0ES3_N6thrust23THRUST_200600_302600_NS6detail15normal_iteratorINS9_10device_ptrIxEEEESE_SE_xNS9_4plusIvEENS9_8equal_toIxEExEE10hipError_tPvRmT2_T3_T4_T5_mT6_T7_P12ihipStream_tbENKUlT_T0_E_clISt17integral_constantIbLb1EESY_IbLb0EEEEDaSU_SV_EUlSU_E_NS1_11comp_targetILNS1_3genE10ELNS1_11target_archE1200ELNS1_3gpuE4ELNS1_3repE0EEENS1_30default_config_static_selectorELNS0_4arch9wavefront6targetE0EEEvT1_: ; @_ZN7rocprim17ROCPRIM_400000_NS6detail17trampoline_kernelINS0_14default_configENS1_27scan_by_key_config_selectorIxxEEZZNS1_16scan_by_key_implILNS1_25lookback_scan_determinismE0ELb0ES3_N6thrust23THRUST_200600_302600_NS6detail15normal_iteratorINS9_10device_ptrIxEEEESE_SE_xNS9_4plusIvEENS9_8equal_toIxEExEE10hipError_tPvRmT2_T3_T4_T5_mT6_T7_P12ihipStream_tbENKUlT_T0_E_clISt17integral_constantIbLb1EESY_IbLb0EEEEDaSU_SV_EUlSU_E_NS1_11comp_targetILNS1_3genE10ELNS1_11target_archE1200ELNS1_3gpuE4ELNS1_3repE0EEENS1_30default_config_static_selectorELNS0_4arch9wavefront6targetE0EEEvT1_
; %bb.0:
	.section	.rodata,"a",@progbits
	.p2align	6, 0x0
	.amdhsa_kernel _ZN7rocprim17ROCPRIM_400000_NS6detail17trampoline_kernelINS0_14default_configENS1_27scan_by_key_config_selectorIxxEEZZNS1_16scan_by_key_implILNS1_25lookback_scan_determinismE0ELb0ES3_N6thrust23THRUST_200600_302600_NS6detail15normal_iteratorINS9_10device_ptrIxEEEESE_SE_xNS9_4plusIvEENS9_8equal_toIxEExEE10hipError_tPvRmT2_T3_T4_T5_mT6_T7_P12ihipStream_tbENKUlT_T0_E_clISt17integral_constantIbLb1EESY_IbLb0EEEEDaSU_SV_EUlSU_E_NS1_11comp_targetILNS1_3genE10ELNS1_11target_archE1200ELNS1_3gpuE4ELNS1_3repE0EEENS1_30default_config_static_selectorELNS0_4arch9wavefront6targetE0EEEvT1_
		.amdhsa_group_segment_fixed_size 0
		.amdhsa_private_segment_fixed_size 0
		.amdhsa_kernarg_size 136
		.amdhsa_user_sgpr_count 2
		.amdhsa_user_sgpr_dispatch_ptr 0
		.amdhsa_user_sgpr_queue_ptr 0
		.amdhsa_user_sgpr_kernarg_segment_ptr 1
		.amdhsa_user_sgpr_dispatch_id 0
		.amdhsa_user_sgpr_kernarg_preload_length 0
		.amdhsa_user_sgpr_kernarg_preload_offset 0
		.amdhsa_user_sgpr_private_segment_size 0
		.amdhsa_wavefront_size32 1
		.amdhsa_uses_dynamic_stack 0
		.amdhsa_enable_private_segment 0
		.amdhsa_system_sgpr_workgroup_id_x 1
		.amdhsa_system_sgpr_workgroup_id_y 0
		.amdhsa_system_sgpr_workgroup_id_z 0
		.amdhsa_system_sgpr_workgroup_info 0
		.amdhsa_system_vgpr_workitem_id 0
		.amdhsa_next_free_vgpr 1
		.amdhsa_next_free_sgpr 1
		.amdhsa_named_barrier_count 0
		.amdhsa_reserve_vcc 0
		.amdhsa_float_round_mode_32 0
		.amdhsa_float_round_mode_16_64 0
		.amdhsa_float_denorm_mode_32 3
		.amdhsa_float_denorm_mode_16_64 3
		.amdhsa_fp16_overflow 0
		.amdhsa_memory_ordered 1
		.amdhsa_forward_progress 1
		.amdhsa_inst_pref_size 0
		.amdhsa_round_robin_scheduling 0
		.amdhsa_exception_fp_ieee_invalid_op 0
		.amdhsa_exception_fp_denorm_src 0
		.amdhsa_exception_fp_ieee_div_zero 0
		.amdhsa_exception_fp_ieee_overflow 0
		.amdhsa_exception_fp_ieee_underflow 0
		.amdhsa_exception_fp_ieee_inexact 0
		.amdhsa_exception_int_div_zero 0
	.end_amdhsa_kernel
	.section	.text._ZN7rocprim17ROCPRIM_400000_NS6detail17trampoline_kernelINS0_14default_configENS1_27scan_by_key_config_selectorIxxEEZZNS1_16scan_by_key_implILNS1_25lookback_scan_determinismE0ELb0ES3_N6thrust23THRUST_200600_302600_NS6detail15normal_iteratorINS9_10device_ptrIxEEEESE_SE_xNS9_4plusIvEENS9_8equal_toIxEExEE10hipError_tPvRmT2_T3_T4_T5_mT6_T7_P12ihipStream_tbENKUlT_T0_E_clISt17integral_constantIbLb1EESY_IbLb0EEEEDaSU_SV_EUlSU_E_NS1_11comp_targetILNS1_3genE10ELNS1_11target_archE1200ELNS1_3gpuE4ELNS1_3repE0EEENS1_30default_config_static_selectorELNS0_4arch9wavefront6targetE0EEEvT1_,"axG",@progbits,_ZN7rocprim17ROCPRIM_400000_NS6detail17trampoline_kernelINS0_14default_configENS1_27scan_by_key_config_selectorIxxEEZZNS1_16scan_by_key_implILNS1_25lookback_scan_determinismE0ELb0ES3_N6thrust23THRUST_200600_302600_NS6detail15normal_iteratorINS9_10device_ptrIxEEEESE_SE_xNS9_4plusIvEENS9_8equal_toIxEExEE10hipError_tPvRmT2_T3_T4_T5_mT6_T7_P12ihipStream_tbENKUlT_T0_E_clISt17integral_constantIbLb1EESY_IbLb0EEEEDaSU_SV_EUlSU_E_NS1_11comp_targetILNS1_3genE10ELNS1_11target_archE1200ELNS1_3gpuE4ELNS1_3repE0EEENS1_30default_config_static_selectorELNS0_4arch9wavefront6targetE0EEEvT1_,comdat
.Lfunc_end107:
	.size	_ZN7rocprim17ROCPRIM_400000_NS6detail17trampoline_kernelINS0_14default_configENS1_27scan_by_key_config_selectorIxxEEZZNS1_16scan_by_key_implILNS1_25lookback_scan_determinismE0ELb0ES3_N6thrust23THRUST_200600_302600_NS6detail15normal_iteratorINS9_10device_ptrIxEEEESE_SE_xNS9_4plusIvEENS9_8equal_toIxEExEE10hipError_tPvRmT2_T3_T4_T5_mT6_T7_P12ihipStream_tbENKUlT_T0_E_clISt17integral_constantIbLb1EESY_IbLb0EEEEDaSU_SV_EUlSU_E_NS1_11comp_targetILNS1_3genE10ELNS1_11target_archE1200ELNS1_3gpuE4ELNS1_3repE0EEENS1_30default_config_static_selectorELNS0_4arch9wavefront6targetE0EEEvT1_, .Lfunc_end107-_ZN7rocprim17ROCPRIM_400000_NS6detail17trampoline_kernelINS0_14default_configENS1_27scan_by_key_config_selectorIxxEEZZNS1_16scan_by_key_implILNS1_25lookback_scan_determinismE0ELb0ES3_N6thrust23THRUST_200600_302600_NS6detail15normal_iteratorINS9_10device_ptrIxEEEESE_SE_xNS9_4plusIvEENS9_8equal_toIxEExEE10hipError_tPvRmT2_T3_T4_T5_mT6_T7_P12ihipStream_tbENKUlT_T0_E_clISt17integral_constantIbLb1EESY_IbLb0EEEEDaSU_SV_EUlSU_E_NS1_11comp_targetILNS1_3genE10ELNS1_11target_archE1200ELNS1_3gpuE4ELNS1_3repE0EEENS1_30default_config_static_selectorELNS0_4arch9wavefront6targetE0EEEvT1_
                                        ; -- End function
	.set _ZN7rocprim17ROCPRIM_400000_NS6detail17trampoline_kernelINS0_14default_configENS1_27scan_by_key_config_selectorIxxEEZZNS1_16scan_by_key_implILNS1_25lookback_scan_determinismE0ELb0ES3_N6thrust23THRUST_200600_302600_NS6detail15normal_iteratorINS9_10device_ptrIxEEEESE_SE_xNS9_4plusIvEENS9_8equal_toIxEExEE10hipError_tPvRmT2_T3_T4_T5_mT6_T7_P12ihipStream_tbENKUlT_T0_E_clISt17integral_constantIbLb1EESY_IbLb0EEEEDaSU_SV_EUlSU_E_NS1_11comp_targetILNS1_3genE10ELNS1_11target_archE1200ELNS1_3gpuE4ELNS1_3repE0EEENS1_30default_config_static_selectorELNS0_4arch9wavefront6targetE0EEEvT1_.num_vgpr, 0
	.set _ZN7rocprim17ROCPRIM_400000_NS6detail17trampoline_kernelINS0_14default_configENS1_27scan_by_key_config_selectorIxxEEZZNS1_16scan_by_key_implILNS1_25lookback_scan_determinismE0ELb0ES3_N6thrust23THRUST_200600_302600_NS6detail15normal_iteratorINS9_10device_ptrIxEEEESE_SE_xNS9_4plusIvEENS9_8equal_toIxEExEE10hipError_tPvRmT2_T3_T4_T5_mT6_T7_P12ihipStream_tbENKUlT_T0_E_clISt17integral_constantIbLb1EESY_IbLb0EEEEDaSU_SV_EUlSU_E_NS1_11comp_targetILNS1_3genE10ELNS1_11target_archE1200ELNS1_3gpuE4ELNS1_3repE0EEENS1_30default_config_static_selectorELNS0_4arch9wavefront6targetE0EEEvT1_.num_agpr, 0
	.set _ZN7rocprim17ROCPRIM_400000_NS6detail17trampoline_kernelINS0_14default_configENS1_27scan_by_key_config_selectorIxxEEZZNS1_16scan_by_key_implILNS1_25lookback_scan_determinismE0ELb0ES3_N6thrust23THRUST_200600_302600_NS6detail15normal_iteratorINS9_10device_ptrIxEEEESE_SE_xNS9_4plusIvEENS9_8equal_toIxEExEE10hipError_tPvRmT2_T3_T4_T5_mT6_T7_P12ihipStream_tbENKUlT_T0_E_clISt17integral_constantIbLb1EESY_IbLb0EEEEDaSU_SV_EUlSU_E_NS1_11comp_targetILNS1_3genE10ELNS1_11target_archE1200ELNS1_3gpuE4ELNS1_3repE0EEENS1_30default_config_static_selectorELNS0_4arch9wavefront6targetE0EEEvT1_.numbered_sgpr, 0
	.set _ZN7rocprim17ROCPRIM_400000_NS6detail17trampoline_kernelINS0_14default_configENS1_27scan_by_key_config_selectorIxxEEZZNS1_16scan_by_key_implILNS1_25lookback_scan_determinismE0ELb0ES3_N6thrust23THRUST_200600_302600_NS6detail15normal_iteratorINS9_10device_ptrIxEEEESE_SE_xNS9_4plusIvEENS9_8equal_toIxEExEE10hipError_tPvRmT2_T3_T4_T5_mT6_T7_P12ihipStream_tbENKUlT_T0_E_clISt17integral_constantIbLb1EESY_IbLb0EEEEDaSU_SV_EUlSU_E_NS1_11comp_targetILNS1_3genE10ELNS1_11target_archE1200ELNS1_3gpuE4ELNS1_3repE0EEENS1_30default_config_static_selectorELNS0_4arch9wavefront6targetE0EEEvT1_.num_named_barrier, 0
	.set _ZN7rocprim17ROCPRIM_400000_NS6detail17trampoline_kernelINS0_14default_configENS1_27scan_by_key_config_selectorIxxEEZZNS1_16scan_by_key_implILNS1_25lookback_scan_determinismE0ELb0ES3_N6thrust23THRUST_200600_302600_NS6detail15normal_iteratorINS9_10device_ptrIxEEEESE_SE_xNS9_4plusIvEENS9_8equal_toIxEExEE10hipError_tPvRmT2_T3_T4_T5_mT6_T7_P12ihipStream_tbENKUlT_T0_E_clISt17integral_constantIbLb1EESY_IbLb0EEEEDaSU_SV_EUlSU_E_NS1_11comp_targetILNS1_3genE10ELNS1_11target_archE1200ELNS1_3gpuE4ELNS1_3repE0EEENS1_30default_config_static_selectorELNS0_4arch9wavefront6targetE0EEEvT1_.private_seg_size, 0
	.set _ZN7rocprim17ROCPRIM_400000_NS6detail17trampoline_kernelINS0_14default_configENS1_27scan_by_key_config_selectorIxxEEZZNS1_16scan_by_key_implILNS1_25lookback_scan_determinismE0ELb0ES3_N6thrust23THRUST_200600_302600_NS6detail15normal_iteratorINS9_10device_ptrIxEEEESE_SE_xNS9_4plusIvEENS9_8equal_toIxEExEE10hipError_tPvRmT2_T3_T4_T5_mT6_T7_P12ihipStream_tbENKUlT_T0_E_clISt17integral_constantIbLb1EESY_IbLb0EEEEDaSU_SV_EUlSU_E_NS1_11comp_targetILNS1_3genE10ELNS1_11target_archE1200ELNS1_3gpuE4ELNS1_3repE0EEENS1_30default_config_static_selectorELNS0_4arch9wavefront6targetE0EEEvT1_.uses_vcc, 0
	.set _ZN7rocprim17ROCPRIM_400000_NS6detail17trampoline_kernelINS0_14default_configENS1_27scan_by_key_config_selectorIxxEEZZNS1_16scan_by_key_implILNS1_25lookback_scan_determinismE0ELb0ES3_N6thrust23THRUST_200600_302600_NS6detail15normal_iteratorINS9_10device_ptrIxEEEESE_SE_xNS9_4plusIvEENS9_8equal_toIxEExEE10hipError_tPvRmT2_T3_T4_T5_mT6_T7_P12ihipStream_tbENKUlT_T0_E_clISt17integral_constantIbLb1EESY_IbLb0EEEEDaSU_SV_EUlSU_E_NS1_11comp_targetILNS1_3genE10ELNS1_11target_archE1200ELNS1_3gpuE4ELNS1_3repE0EEENS1_30default_config_static_selectorELNS0_4arch9wavefront6targetE0EEEvT1_.uses_flat_scratch, 0
	.set _ZN7rocprim17ROCPRIM_400000_NS6detail17trampoline_kernelINS0_14default_configENS1_27scan_by_key_config_selectorIxxEEZZNS1_16scan_by_key_implILNS1_25lookback_scan_determinismE0ELb0ES3_N6thrust23THRUST_200600_302600_NS6detail15normal_iteratorINS9_10device_ptrIxEEEESE_SE_xNS9_4plusIvEENS9_8equal_toIxEExEE10hipError_tPvRmT2_T3_T4_T5_mT6_T7_P12ihipStream_tbENKUlT_T0_E_clISt17integral_constantIbLb1EESY_IbLb0EEEEDaSU_SV_EUlSU_E_NS1_11comp_targetILNS1_3genE10ELNS1_11target_archE1200ELNS1_3gpuE4ELNS1_3repE0EEENS1_30default_config_static_selectorELNS0_4arch9wavefront6targetE0EEEvT1_.has_dyn_sized_stack, 0
	.set _ZN7rocprim17ROCPRIM_400000_NS6detail17trampoline_kernelINS0_14default_configENS1_27scan_by_key_config_selectorIxxEEZZNS1_16scan_by_key_implILNS1_25lookback_scan_determinismE0ELb0ES3_N6thrust23THRUST_200600_302600_NS6detail15normal_iteratorINS9_10device_ptrIxEEEESE_SE_xNS9_4plusIvEENS9_8equal_toIxEExEE10hipError_tPvRmT2_T3_T4_T5_mT6_T7_P12ihipStream_tbENKUlT_T0_E_clISt17integral_constantIbLb1EESY_IbLb0EEEEDaSU_SV_EUlSU_E_NS1_11comp_targetILNS1_3genE10ELNS1_11target_archE1200ELNS1_3gpuE4ELNS1_3repE0EEENS1_30default_config_static_selectorELNS0_4arch9wavefront6targetE0EEEvT1_.has_recursion, 0
	.set _ZN7rocprim17ROCPRIM_400000_NS6detail17trampoline_kernelINS0_14default_configENS1_27scan_by_key_config_selectorIxxEEZZNS1_16scan_by_key_implILNS1_25lookback_scan_determinismE0ELb0ES3_N6thrust23THRUST_200600_302600_NS6detail15normal_iteratorINS9_10device_ptrIxEEEESE_SE_xNS9_4plusIvEENS9_8equal_toIxEExEE10hipError_tPvRmT2_T3_T4_T5_mT6_T7_P12ihipStream_tbENKUlT_T0_E_clISt17integral_constantIbLb1EESY_IbLb0EEEEDaSU_SV_EUlSU_E_NS1_11comp_targetILNS1_3genE10ELNS1_11target_archE1200ELNS1_3gpuE4ELNS1_3repE0EEENS1_30default_config_static_selectorELNS0_4arch9wavefront6targetE0EEEvT1_.has_indirect_call, 0
	.section	.AMDGPU.csdata,"",@progbits
; Kernel info:
; codeLenInByte = 0
; TotalNumSgprs: 0
; NumVgprs: 0
; ScratchSize: 0
; MemoryBound: 0
; FloatMode: 240
; IeeeMode: 1
; LDSByteSize: 0 bytes/workgroup (compile time only)
; SGPRBlocks: 0
; VGPRBlocks: 0
; NumSGPRsForWavesPerEU: 1
; NumVGPRsForWavesPerEU: 1
; NamedBarCnt: 0
; Occupancy: 16
; WaveLimiterHint : 0
; COMPUTE_PGM_RSRC2:SCRATCH_EN: 0
; COMPUTE_PGM_RSRC2:USER_SGPR: 2
; COMPUTE_PGM_RSRC2:TRAP_HANDLER: 0
; COMPUTE_PGM_RSRC2:TGID_X_EN: 1
; COMPUTE_PGM_RSRC2:TGID_Y_EN: 0
; COMPUTE_PGM_RSRC2:TGID_Z_EN: 0
; COMPUTE_PGM_RSRC2:TIDIG_COMP_CNT: 0
	.section	.text._ZN7rocprim17ROCPRIM_400000_NS6detail17trampoline_kernelINS0_14default_configENS1_27scan_by_key_config_selectorIxxEEZZNS1_16scan_by_key_implILNS1_25lookback_scan_determinismE0ELb0ES3_N6thrust23THRUST_200600_302600_NS6detail15normal_iteratorINS9_10device_ptrIxEEEESE_SE_xNS9_4plusIvEENS9_8equal_toIxEExEE10hipError_tPvRmT2_T3_T4_T5_mT6_T7_P12ihipStream_tbENKUlT_T0_E_clISt17integral_constantIbLb1EESY_IbLb0EEEEDaSU_SV_EUlSU_E_NS1_11comp_targetILNS1_3genE9ELNS1_11target_archE1100ELNS1_3gpuE3ELNS1_3repE0EEENS1_30default_config_static_selectorELNS0_4arch9wavefront6targetE0EEEvT1_,"axG",@progbits,_ZN7rocprim17ROCPRIM_400000_NS6detail17trampoline_kernelINS0_14default_configENS1_27scan_by_key_config_selectorIxxEEZZNS1_16scan_by_key_implILNS1_25lookback_scan_determinismE0ELb0ES3_N6thrust23THRUST_200600_302600_NS6detail15normal_iteratorINS9_10device_ptrIxEEEESE_SE_xNS9_4plusIvEENS9_8equal_toIxEExEE10hipError_tPvRmT2_T3_T4_T5_mT6_T7_P12ihipStream_tbENKUlT_T0_E_clISt17integral_constantIbLb1EESY_IbLb0EEEEDaSU_SV_EUlSU_E_NS1_11comp_targetILNS1_3genE9ELNS1_11target_archE1100ELNS1_3gpuE3ELNS1_3repE0EEENS1_30default_config_static_selectorELNS0_4arch9wavefront6targetE0EEEvT1_,comdat
	.protected	_ZN7rocprim17ROCPRIM_400000_NS6detail17trampoline_kernelINS0_14default_configENS1_27scan_by_key_config_selectorIxxEEZZNS1_16scan_by_key_implILNS1_25lookback_scan_determinismE0ELb0ES3_N6thrust23THRUST_200600_302600_NS6detail15normal_iteratorINS9_10device_ptrIxEEEESE_SE_xNS9_4plusIvEENS9_8equal_toIxEExEE10hipError_tPvRmT2_T3_T4_T5_mT6_T7_P12ihipStream_tbENKUlT_T0_E_clISt17integral_constantIbLb1EESY_IbLb0EEEEDaSU_SV_EUlSU_E_NS1_11comp_targetILNS1_3genE9ELNS1_11target_archE1100ELNS1_3gpuE3ELNS1_3repE0EEENS1_30default_config_static_selectorELNS0_4arch9wavefront6targetE0EEEvT1_ ; -- Begin function _ZN7rocprim17ROCPRIM_400000_NS6detail17trampoline_kernelINS0_14default_configENS1_27scan_by_key_config_selectorIxxEEZZNS1_16scan_by_key_implILNS1_25lookback_scan_determinismE0ELb0ES3_N6thrust23THRUST_200600_302600_NS6detail15normal_iteratorINS9_10device_ptrIxEEEESE_SE_xNS9_4plusIvEENS9_8equal_toIxEExEE10hipError_tPvRmT2_T3_T4_T5_mT6_T7_P12ihipStream_tbENKUlT_T0_E_clISt17integral_constantIbLb1EESY_IbLb0EEEEDaSU_SV_EUlSU_E_NS1_11comp_targetILNS1_3genE9ELNS1_11target_archE1100ELNS1_3gpuE3ELNS1_3repE0EEENS1_30default_config_static_selectorELNS0_4arch9wavefront6targetE0EEEvT1_
	.globl	_ZN7rocprim17ROCPRIM_400000_NS6detail17trampoline_kernelINS0_14default_configENS1_27scan_by_key_config_selectorIxxEEZZNS1_16scan_by_key_implILNS1_25lookback_scan_determinismE0ELb0ES3_N6thrust23THRUST_200600_302600_NS6detail15normal_iteratorINS9_10device_ptrIxEEEESE_SE_xNS9_4plusIvEENS9_8equal_toIxEExEE10hipError_tPvRmT2_T3_T4_T5_mT6_T7_P12ihipStream_tbENKUlT_T0_E_clISt17integral_constantIbLb1EESY_IbLb0EEEEDaSU_SV_EUlSU_E_NS1_11comp_targetILNS1_3genE9ELNS1_11target_archE1100ELNS1_3gpuE3ELNS1_3repE0EEENS1_30default_config_static_selectorELNS0_4arch9wavefront6targetE0EEEvT1_
	.p2align	8
	.type	_ZN7rocprim17ROCPRIM_400000_NS6detail17trampoline_kernelINS0_14default_configENS1_27scan_by_key_config_selectorIxxEEZZNS1_16scan_by_key_implILNS1_25lookback_scan_determinismE0ELb0ES3_N6thrust23THRUST_200600_302600_NS6detail15normal_iteratorINS9_10device_ptrIxEEEESE_SE_xNS9_4plusIvEENS9_8equal_toIxEExEE10hipError_tPvRmT2_T3_T4_T5_mT6_T7_P12ihipStream_tbENKUlT_T0_E_clISt17integral_constantIbLb1EESY_IbLb0EEEEDaSU_SV_EUlSU_E_NS1_11comp_targetILNS1_3genE9ELNS1_11target_archE1100ELNS1_3gpuE3ELNS1_3repE0EEENS1_30default_config_static_selectorELNS0_4arch9wavefront6targetE0EEEvT1_,@function
_ZN7rocprim17ROCPRIM_400000_NS6detail17trampoline_kernelINS0_14default_configENS1_27scan_by_key_config_selectorIxxEEZZNS1_16scan_by_key_implILNS1_25lookback_scan_determinismE0ELb0ES3_N6thrust23THRUST_200600_302600_NS6detail15normal_iteratorINS9_10device_ptrIxEEEESE_SE_xNS9_4plusIvEENS9_8equal_toIxEExEE10hipError_tPvRmT2_T3_T4_T5_mT6_T7_P12ihipStream_tbENKUlT_T0_E_clISt17integral_constantIbLb1EESY_IbLb0EEEEDaSU_SV_EUlSU_E_NS1_11comp_targetILNS1_3genE9ELNS1_11target_archE1100ELNS1_3gpuE3ELNS1_3repE0EEENS1_30default_config_static_selectorELNS0_4arch9wavefront6targetE0EEEvT1_: ; @_ZN7rocprim17ROCPRIM_400000_NS6detail17trampoline_kernelINS0_14default_configENS1_27scan_by_key_config_selectorIxxEEZZNS1_16scan_by_key_implILNS1_25lookback_scan_determinismE0ELb0ES3_N6thrust23THRUST_200600_302600_NS6detail15normal_iteratorINS9_10device_ptrIxEEEESE_SE_xNS9_4plusIvEENS9_8equal_toIxEExEE10hipError_tPvRmT2_T3_T4_T5_mT6_T7_P12ihipStream_tbENKUlT_T0_E_clISt17integral_constantIbLb1EESY_IbLb0EEEEDaSU_SV_EUlSU_E_NS1_11comp_targetILNS1_3genE9ELNS1_11target_archE1100ELNS1_3gpuE3ELNS1_3repE0EEENS1_30default_config_static_selectorELNS0_4arch9wavefront6targetE0EEEvT1_
; %bb.0:
	.section	.rodata,"a",@progbits
	.p2align	6, 0x0
	.amdhsa_kernel _ZN7rocprim17ROCPRIM_400000_NS6detail17trampoline_kernelINS0_14default_configENS1_27scan_by_key_config_selectorIxxEEZZNS1_16scan_by_key_implILNS1_25lookback_scan_determinismE0ELb0ES3_N6thrust23THRUST_200600_302600_NS6detail15normal_iteratorINS9_10device_ptrIxEEEESE_SE_xNS9_4plusIvEENS9_8equal_toIxEExEE10hipError_tPvRmT2_T3_T4_T5_mT6_T7_P12ihipStream_tbENKUlT_T0_E_clISt17integral_constantIbLb1EESY_IbLb0EEEEDaSU_SV_EUlSU_E_NS1_11comp_targetILNS1_3genE9ELNS1_11target_archE1100ELNS1_3gpuE3ELNS1_3repE0EEENS1_30default_config_static_selectorELNS0_4arch9wavefront6targetE0EEEvT1_
		.amdhsa_group_segment_fixed_size 0
		.amdhsa_private_segment_fixed_size 0
		.amdhsa_kernarg_size 136
		.amdhsa_user_sgpr_count 2
		.amdhsa_user_sgpr_dispatch_ptr 0
		.amdhsa_user_sgpr_queue_ptr 0
		.amdhsa_user_sgpr_kernarg_segment_ptr 1
		.amdhsa_user_sgpr_dispatch_id 0
		.amdhsa_user_sgpr_kernarg_preload_length 0
		.amdhsa_user_sgpr_kernarg_preload_offset 0
		.amdhsa_user_sgpr_private_segment_size 0
		.amdhsa_wavefront_size32 1
		.amdhsa_uses_dynamic_stack 0
		.amdhsa_enable_private_segment 0
		.amdhsa_system_sgpr_workgroup_id_x 1
		.amdhsa_system_sgpr_workgroup_id_y 0
		.amdhsa_system_sgpr_workgroup_id_z 0
		.amdhsa_system_sgpr_workgroup_info 0
		.amdhsa_system_vgpr_workitem_id 0
		.amdhsa_next_free_vgpr 1
		.amdhsa_next_free_sgpr 1
		.amdhsa_named_barrier_count 0
		.amdhsa_reserve_vcc 0
		.amdhsa_float_round_mode_32 0
		.amdhsa_float_round_mode_16_64 0
		.amdhsa_float_denorm_mode_32 3
		.amdhsa_float_denorm_mode_16_64 3
		.amdhsa_fp16_overflow 0
		.amdhsa_memory_ordered 1
		.amdhsa_forward_progress 1
		.amdhsa_inst_pref_size 0
		.amdhsa_round_robin_scheduling 0
		.amdhsa_exception_fp_ieee_invalid_op 0
		.amdhsa_exception_fp_denorm_src 0
		.amdhsa_exception_fp_ieee_div_zero 0
		.amdhsa_exception_fp_ieee_overflow 0
		.amdhsa_exception_fp_ieee_underflow 0
		.amdhsa_exception_fp_ieee_inexact 0
		.amdhsa_exception_int_div_zero 0
	.end_amdhsa_kernel
	.section	.text._ZN7rocprim17ROCPRIM_400000_NS6detail17trampoline_kernelINS0_14default_configENS1_27scan_by_key_config_selectorIxxEEZZNS1_16scan_by_key_implILNS1_25lookback_scan_determinismE0ELb0ES3_N6thrust23THRUST_200600_302600_NS6detail15normal_iteratorINS9_10device_ptrIxEEEESE_SE_xNS9_4plusIvEENS9_8equal_toIxEExEE10hipError_tPvRmT2_T3_T4_T5_mT6_T7_P12ihipStream_tbENKUlT_T0_E_clISt17integral_constantIbLb1EESY_IbLb0EEEEDaSU_SV_EUlSU_E_NS1_11comp_targetILNS1_3genE9ELNS1_11target_archE1100ELNS1_3gpuE3ELNS1_3repE0EEENS1_30default_config_static_selectorELNS0_4arch9wavefront6targetE0EEEvT1_,"axG",@progbits,_ZN7rocprim17ROCPRIM_400000_NS6detail17trampoline_kernelINS0_14default_configENS1_27scan_by_key_config_selectorIxxEEZZNS1_16scan_by_key_implILNS1_25lookback_scan_determinismE0ELb0ES3_N6thrust23THRUST_200600_302600_NS6detail15normal_iteratorINS9_10device_ptrIxEEEESE_SE_xNS9_4plusIvEENS9_8equal_toIxEExEE10hipError_tPvRmT2_T3_T4_T5_mT6_T7_P12ihipStream_tbENKUlT_T0_E_clISt17integral_constantIbLb1EESY_IbLb0EEEEDaSU_SV_EUlSU_E_NS1_11comp_targetILNS1_3genE9ELNS1_11target_archE1100ELNS1_3gpuE3ELNS1_3repE0EEENS1_30default_config_static_selectorELNS0_4arch9wavefront6targetE0EEEvT1_,comdat
.Lfunc_end108:
	.size	_ZN7rocprim17ROCPRIM_400000_NS6detail17trampoline_kernelINS0_14default_configENS1_27scan_by_key_config_selectorIxxEEZZNS1_16scan_by_key_implILNS1_25lookback_scan_determinismE0ELb0ES3_N6thrust23THRUST_200600_302600_NS6detail15normal_iteratorINS9_10device_ptrIxEEEESE_SE_xNS9_4plusIvEENS9_8equal_toIxEExEE10hipError_tPvRmT2_T3_T4_T5_mT6_T7_P12ihipStream_tbENKUlT_T0_E_clISt17integral_constantIbLb1EESY_IbLb0EEEEDaSU_SV_EUlSU_E_NS1_11comp_targetILNS1_3genE9ELNS1_11target_archE1100ELNS1_3gpuE3ELNS1_3repE0EEENS1_30default_config_static_selectorELNS0_4arch9wavefront6targetE0EEEvT1_, .Lfunc_end108-_ZN7rocprim17ROCPRIM_400000_NS6detail17trampoline_kernelINS0_14default_configENS1_27scan_by_key_config_selectorIxxEEZZNS1_16scan_by_key_implILNS1_25lookback_scan_determinismE0ELb0ES3_N6thrust23THRUST_200600_302600_NS6detail15normal_iteratorINS9_10device_ptrIxEEEESE_SE_xNS9_4plusIvEENS9_8equal_toIxEExEE10hipError_tPvRmT2_T3_T4_T5_mT6_T7_P12ihipStream_tbENKUlT_T0_E_clISt17integral_constantIbLb1EESY_IbLb0EEEEDaSU_SV_EUlSU_E_NS1_11comp_targetILNS1_3genE9ELNS1_11target_archE1100ELNS1_3gpuE3ELNS1_3repE0EEENS1_30default_config_static_selectorELNS0_4arch9wavefront6targetE0EEEvT1_
                                        ; -- End function
	.set _ZN7rocprim17ROCPRIM_400000_NS6detail17trampoline_kernelINS0_14default_configENS1_27scan_by_key_config_selectorIxxEEZZNS1_16scan_by_key_implILNS1_25lookback_scan_determinismE0ELb0ES3_N6thrust23THRUST_200600_302600_NS6detail15normal_iteratorINS9_10device_ptrIxEEEESE_SE_xNS9_4plusIvEENS9_8equal_toIxEExEE10hipError_tPvRmT2_T3_T4_T5_mT6_T7_P12ihipStream_tbENKUlT_T0_E_clISt17integral_constantIbLb1EESY_IbLb0EEEEDaSU_SV_EUlSU_E_NS1_11comp_targetILNS1_3genE9ELNS1_11target_archE1100ELNS1_3gpuE3ELNS1_3repE0EEENS1_30default_config_static_selectorELNS0_4arch9wavefront6targetE0EEEvT1_.num_vgpr, 0
	.set _ZN7rocprim17ROCPRIM_400000_NS6detail17trampoline_kernelINS0_14default_configENS1_27scan_by_key_config_selectorIxxEEZZNS1_16scan_by_key_implILNS1_25lookback_scan_determinismE0ELb0ES3_N6thrust23THRUST_200600_302600_NS6detail15normal_iteratorINS9_10device_ptrIxEEEESE_SE_xNS9_4plusIvEENS9_8equal_toIxEExEE10hipError_tPvRmT2_T3_T4_T5_mT6_T7_P12ihipStream_tbENKUlT_T0_E_clISt17integral_constantIbLb1EESY_IbLb0EEEEDaSU_SV_EUlSU_E_NS1_11comp_targetILNS1_3genE9ELNS1_11target_archE1100ELNS1_3gpuE3ELNS1_3repE0EEENS1_30default_config_static_selectorELNS0_4arch9wavefront6targetE0EEEvT1_.num_agpr, 0
	.set _ZN7rocprim17ROCPRIM_400000_NS6detail17trampoline_kernelINS0_14default_configENS1_27scan_by_key_config_selectorIxxEEZZNS1_16scan_by_key_implILNS1_25lookback_scan_determinismE0ELb0ES3_N6thrust23THRUST_200600_302600_NS6detail15normal_iteratorINS9_10device_ptrIxEEEESE_SE_xNS9_4plusIvEENS9_8equal_toIxEExEE10hipError_tPvRmT2_T3_T4_T5_mT6_T7_P12ihipStream_tbENKUlT_T0_E_clISt17integral_constantIbLb1EESY_IbLb0EEEEDaSU_SV_EUlSU_E_NS1_11comp_targetILNS1_3genE9ELNS1_11target_archE1100ELNS1_3gpuE3ELNS1_3repE0EEENS1_30default_config_static_selectorELNS0_4arch9wavefront6targetE0EEEvT1_.numbered_sgpr, 0
	.set _ZN7rocprim17ROCPRIM_400000_NS6detail17trampoline_kernelINS0_14default_configENS1_27scan_by_key_config_selectorIxxEEZZNS1_16scan_by_key_implILNS1_25lookback_scan_determinismE0ELb0ES3_N6thrust23THRUST_200600_302600_NS6detail15normal_iteratorINS9_10device_ptrIxEEEESE_SE_xNS9_4plusIvEENS9_8equal_toIxEExEE10hipError_tPvRmT2_T3_T4_T5_mT6_T7_P12ihipStream_tbENKUlT_T0_E_clISt17integral_constantIbLb1EESY_IbLb0EEEEDaSU_SV_EUlSU_E_NS1_11comp_targetILNS1_3genE9ELNS1_11target_archE1100ELNS1_3gpuE3ELNS1_3repE0EEENS1_30default_config_static_selectorELNS0_4arch9wavefront6targetE0EEEvT1_.num_named_barrier, 0
	.set _ZN7rocprim17ROCPRIM_400000_NS6detail17trampoline_kernelINS0_14default_configENS1_27scan_by_key_config_selectorIxxEEZZNS1_16scan_by_key_implILNS1_25lookback_scan_determinismE0ELb0ES3_N6thrust23THRUST_200600_302600_NS6detail15normal_iteratorINS9_10device_ptrIxEEEESE_SE_xNS9_4plusIvEENS9_8equal_toIxEExEE10hipError_tPvRmT2_T3_T4_T5_mT6_T7_P12ihipStream_tbENKUlT_T0_E_clISt17integral_constantIbLb1EESY_IbLb0EEEEDaSU_SV_EUlSU_E_NS1_11comp_targetILNS1_3genE9ELNS1_11target_archE1100ELNS1_3gpuE3ELNS1_3repE0EEENS1_30default_config_static_selectorELNS0_4arch9wavefront6targetE0EEEvT1_.private_seg_size, 0
	.set _ZN7rocprim17ROCPRIM_400000_NS6detail17trampoline_kernelINS0_14default_configENS1_27scan_by_key_config_selectorIxxEEZZNS1_16scan_by_key_implILNS1_25lookback_scan_determinismE0ELb0ES3_N6thrust23THRUST_200600_302600_NS6detail15normal_iteratorINS9_10device_ptrIxEEEESE_SE_xNS9_4plusIvEENS9_8equal_toIxEExEE10hipError_tPvRmT2_T3_T4_T5_mT6_T7_P12ihipStream_tbENKUlT_T0_E_clISt17integral_constantIbLb1EESY_IbLb0EEEEDaSU_SV_EUlSU_E_NS1_11comp_targetILNS1_3genE9ELNS1_11target_archE1100ELNS1_3gpuE3ELNS1_3repE0EEENS1_30default_config_static_selectorELNS0_4arch9wavefront6targetE0EEEvT1_.uses_vcc, 0
	.set _ZN7rocprim17ROCPRIM_400000_NS6detail17trampoline_kernelINS0_14default_configENS1_27scan_by_key_config_selectorIxxEEZZNS1_16scan_by_key_implILNS1_25lookback_scan_determinismE0ELb0ES3_N6thrust23THRUST_200600_302600_NS6detail15normal_iteratorINS9_10device_ptrIxEEEESE_SE_xNS9_4plusIvEENS9_8equal_toIxEExEE10hipError_tPvRmT2_T3_T4_T5_mT6_T7_P12ihipStream_tbENKUlT_T0_E_clISt17integral_constantIbLb1EESY_IbLb0EEEEDaSU_SV_EUlSU_E_NS1_11comp_targetILNS1_3genE9ELNS1_11target_archE1100ELNS1_3gpuE3ELNS1_3repE0EEENS1_30default_config_static_selectorELNS0_4arch9wavefront6targetE0EEEvT1_.uses_flat_scratch, 0
	.set _ZN7rocprim17ROCPRIM_400000_NS6detail17trampoline_kernelINS0_14default_configENS1_27scan_by_key_config_selectorIxxEEZZNS1_16scan_by_key_implILNS1_25lookback_scan_determinismE0ELb0ES3_N6thrust23THRUST_200600_302600_NS6detail15normal_iteratorINS9_10device_ptrIxEEEESE_SE_xNS9_4plusIvEENS9_8equal_toIxEExEE10hipError_tPvRmT2_T3_T4_T5_mT6_T7_P12ihipStream_tbENKUlT_T0_E_clISt17integral_constantIbLb1EESY_IbLb0EEEEDaSU_SV_EUlSU_E_NS1_11comp_targetILNS1_3genE9ELNS1_11target_archE1100ELNS1_3gpuE3ELNS1_3repE0EEENS1_30default_config_static_selectorELNS0_4arch9wavefront6targetE0EEEvT1_.has_dyn_sized_stack, 0
	.set _ZN7rocprim17ROCPRIM_400000_NS6detail17trampoline_kernelINS0_14default_configENS1_27scan_by_key_config_selectorIxxEEZZNS1_16scan_by_key_implILNS1_25lookback_scan_determinismE0ELb0ES3_N6thrust23THRUST_200600_302600_NS6detail15normal_iteratorINS9_10device_ptrIxEEEESE_SE_xNS9_4plusIvEENS9_8equal_toIxEExEE10hipError_tPvRmT2_T3_T4_T5_mT6_T7_P12ihipStream_tbENKUlT_T0_E_clISt17integral_constantIbLb1EESY_IbLb0EEEEDaSU_SV_EUlSU_E_NS1_11comp_targetILNS1_3genE9ELNS1_11target_archE1100ELNS1_3gpuE3ELNS1_3repE0EEENS1_30default_config_static_selectorELNS0_4arch9wavefront6targetE0EEEvT1_.has_recursion, 0
	.set _ZN7rocprim17ROCPRIM_400000_NS6detail17trampoline_kernelINS0_14default_configENS1_27scan_by_key_config_selectorIxxEEZZNS1_16scan_by_key_implILNS1_25lookback_scan_determinismE0ELb0ES3_N6thrust23THRUST_200600_302600_NS6detail15normal_iteratorINS9_10device_ptrIxEEEESE_SE_xNS9_4plusIvEENS9_8equal_toIxEExEE10hipError_tPvRmT2_T3_T4_T5_mT6_T7_P12ihipStream_tbENKUlT_T0_E_clISt17integral_constantIbLb1EESY_IbLb0EEEEDaSU_SV_EUlSU_E_NS1_11comp_targetILNS1_3genE9ELNS1_11target_archE1100ELNS1_3gpuE3ELNS1_3repE0EEENS1_30default_config_static_selectorELNS0_4arch9wavefront6targetE0EEEvT1_.has_indirect_call, 0
	.section	.AMDGPU.csdata,"",@progbits
; Kernel info:
; codeLenInByte = 0
; TotalNumSgprs: 0
; NumVgprs: 0
; ScratchSize: 0
; MemoryBound: 0
; FloatMode: 240
; IeeeMode: 1
; LDSByteSize: 0 bytes/workgroup (compile time only)
; SGPRBlocks: 0
; VGPRBlocks: 0
; NumSGPRsForWavesPerEU: 1
; NumVGPRsForWavesPerEU: 1
; NamedBarCnt: 0
; Occupancy: 16
; WaveLimiterHint : 0
; COMPUTE_PGM_RSRC2:SCRATCH_EN: 0
; COMPUTE_PGM_RSRC2:USER_SGPR: 2
; COMPUTE_PGM_RSRC2:TRAP_HANDLER: 0
; COMPUTE_PGM_RSRC2:TGID_X_EN: 1
; COMPUTE_PGM_RSRC2:TGID_Y_EN: 0
; COMPUTE_PGM_RSRC2:TGID_Z_EN: 0
; COMPUTE_PGM_RSRC2:TIDIG_COMP_CNT: 0
	.section	.text._ZN7rocprim17ROCPRIM_400000_NS6detail17trampoline_kernelINS0_14default_configENS1_27scan_by_key_config_selectorIxxEEZZNS1_16scan_by_key_implILNS1_25lookback_scan_determinismE0ELb0ES3_N6thrust23THRUST_200600_302600_NS6detail15normal_iteratorINS9_10device_ptrIxEEEESE_SE_xNS9_4plusIvEENS9_8equal_toIxEExEE10hipError_tPvRmT2_T3_T4_T5_mT6_T7_P12ihipStream_tbENKUlT_T0_E_clISt17integral_constantIbLb1EESY_IbLb0EEEEDaSU_SV_EUlSU_E_NS1_11comp_targetILNS1_3genE8ELNS1_11target_archE1030ELNS1_3gpuE2ELNS1_3repE0EEENS1_30default_config_static_selectorELNS0_4arch9wavefront6targetE0EEEvT1_,"axG",@progbits,_ZN7rocprim17ROCPRIM_400000_NS6detail17trampoline_kernelINS0_14default_configENS1_27scan_by_key_config_selectorIxxEEZZNS1_16scan_by_key_implILNS1_25lookback_scan_determinismE0ELb0ES3_N6thrust23THRUST_200600_302600_NS6detail15normal_iteratorINS9_10device_ptrIxEEEESE_SE_xNS9_4plusIvEENS9_8equal_toIxEExEE10hipError_tPvRmT2_T3_T4_T5_mT6_T7_P12ihipStream_tbENKUlT_T0_E_clISt17integral_constantIbLb1EESY_IbLb0EEEEDaSU_SV_EUlSU_E_NS1_11comp_targetILNS1_3genE8ELNS1_11target_archE1030ELNS1_3gpuE2ELNS1_3repE0EEENS1_30default_config_static_selectorELNS0_4arch9wavefront6targetE0EEEvT1_,comdat
	.protected	_ZN7rocprim17ROCPRIM_400000_NS6detail17trampoline_kernelINS0_14default_configENS1_27scan_by_key_config_selectorIxxEEZZNS1_16scan_by_key_implILNS1_25lookback_scan_determinismE0ELb0ES3_N6thrust23THRUST_200600_302600_NS6detail15normal_iteratorINS9_10device_ptrIxEEEESE_SE_xNS9_4plusIvEENS9_8equal_toIxEExEE10hipError_tPvRmT2_T3_T4_T5_mT6_T7_P12ihipStream_tbENKUlT_T0_E_clISt17integral_constantIbLb1EESY_IbLb0EEEEDaSU_SV_EUlSU_E_NS1_11comp_targetILNS1_3genE8ELNS1_11target_archE1030ELNS1_3gpuE2ELNS1_3repE0EEENS1_30default_config_static_selectorELNS0_4arch9wavefront6targetE0EEEvT1_ ; -- Begin function _ZN7rocprim17ROCPRIM_400000_NS6detail17trampoline_kernelINS0_14default_configENS1_27scan_by_key_config_selectorIxxEEZZNS1_16scan_by_key_implILNS1_25lookback_scan_determinismE0ELb0ES3_N6thrust23THRUST_200600_302600_NS6detail15normal_iteratorINS9_10device_ptrIxEEEESE_SE_xNS9_4plusIvEENS9_8equal_toIxEExEE10hipError_tPvRmT2_T3_T4_T5_mT6_T7_P12ihipStream_tbENKUlT_T0_E_clISt17integral_constantIbLb1EESY_IbLb0EEEEDaSU_SV_EUlSU_E_NS1_11comp_targetILNS1_3genE8ELNS1_11target_archE1030ELNS1_3gpuE2ELNS1_3repE0EEENS1_30default_config_static_selectorELNS0_4arch9wavefront6targetE0EEEvT1_
	.globl	_ZN7rocprim17ROCPRIM_400000_NS6detail17trampoline_kernelINS0_14default_configENS1_27scan_by_key_config_selectorIxxEEZZNS1_16scan_by_key_implILNS1_25lookback_scan_determinismE0ELb0ES3_N6thrust23THRUST_200600_302600_NS6detail15normal_iteratorINS9_10device_ptrIxEEEESE_SE_xNS9_4plusIvEENS9_8equal_toIxEExEE10hipError_tPvRmT2_T3_T4_T5_mT6_T7_P12ihipStream_tbENKUlT_T0_E_clISt17integral_constantIbLb1EESY_IbLb0EEEEDaSU_SV_EUlSU_E_NS1_11comp_targetILNS1_3genE8ELNS1_11target_archE1030ELNS1_3gpuE2ELNS1_3repE0EEENS1_30default_config_static_selectorELNS0_4arch9wavefront6targetE0EEEvT1_
	.p2align	8
	.type	_ZN7rocprim17ROCPRIM_400000_NS6detail17trampoline_kernelINS0_14default_configENS1_27scan_by_key_config_selectorIxxEEZZNS1_16scan_by_key_implILNS1_25lookback_scan_determinismE0ELb0ES3_N6thrust23THRUST_200600_302600_NS6detail15normal_iteratorINS9_10device_ptrIxEEEESE_SE_xNS9_4plusIvEENS9_8equal_toIxEExEE10hipError_tPvRmT2_T3_T4_T5_mT6_T7_P12ihipStream_tbENKUlT_T0_E_clISt17integral_constantIbLb1EESY_IbLb0EEEEDaSU_SV_EUlSU_E_NS1_11comp_targetILNS1_3genE8ELNS1_11target_archE1030ELNS1_3gpuE2ELNS1_3repE0EEENS1_30default_config_static_selectorELNS0_4arch9wavefront6targetE0EEEvT1_,@function
_ZN7rocprim17ROCPRIM_400000_NS6detail17trampoline_kernelINS0_14default_configENS1_27scan_by_key_config_selectorIxxEEZZNS1_16scan_by_key_implILNS1_25lookback_scan_determinismE0ELb0ES3_N6thrust23THRUST_200600_302600_NS6detail15normal_iteratorINS9_10device_ptrIxEEEESE_SE_xNS9_4plusIvEENS9_8equal_toIxEExEE10hipError_tPvRmT2_T3_T4_T5_mT6_T7_P12ihipStream_tbENKUlT_T0_E_clISt17integral_constantIbLb1EESY_IbLb0EEEEDaSU_SV_EUlSU_E_NS1_11comp_targetILNS1_3genE8ELNS1_11target_archE1030ELNS1_3gpuE2ELNS1_3repE0EEENS1_30default_config_static_selectorELNS0_4arch9wavefront6targetE0EEEvT1_: ; @_ZN7rocprim17ROCPRIM_400000_NS6detail17trampoline_kernelINS0_14default_configENS1_27scan_by_key_config_selectorIxxEEZZNS1_16scan_by_key_implILNS1_25lookback_scan_determinismE0ELb0ES3_N6thrust23THRUST_200600_302600_NS6detail15normal_iteratorINS9_10device_ptrIxEEEESE_SE_xNS9_4plusIvEENS9_8equal_toIxEExEE10hipError_tPvRmT2_T3_T4_T5_mT6_T7_P12ihipStream_tbENKUlT_T0_E_clISt17integral_constantIbLb1EESY_IbLb0EEEEDaSU_SV_EUlSU_E_NS1_11comp_targetILNS1_3genE8ELNS1_11target_archE1030ELNS1_3gpuE2ELNS1_3repE0EEENS1_30default_config_static_selectorELNS0_4arch9wavefront6targetE0EEEvT1_
; %bb.0:
	.section	.rodata,"a",@progbits
	.p2align	6, 0x0
	.amdhsa_kernel _ZN7rocprim17ROCPRIM_400000_NS6detail17trampoline_kernelINS0_14default_configENS1_27scan_by_key_config_selectorIxxEEZZNS1_16scan_by_key_implILNS1_25lookback_scan_determinismE0ELb0ES3_N6thrust23THRUST_200600_302600_NS6detail15normal_iteratorINS9_10device_ptrIxEEEESE_SE_xNS9_4plusIvEENS9_8equal_toIxEExEE10hipError_tPvRmT2_T3_T4_T5_mT6_T7_P12ihipStream_tbENKUlT_T0_E_clISt17integral_constantIbLb1EESY_IbLb0EEEEDaSU_SV_EUlSU_E_NS1_11comp_targetILNS1_3genE8ELNS1_11target_archE1030ELNS1_3gpuE2ELNS1_3repE0EEENS1_30default_config_static_selectorELNS0_4arch9wavefront6targetE0EEEvT1_
		.amdhsa_group_segment_fixed_size 0
		.amdhsa_private_segment_fixed_size 0
		.amdhsa_kernarg_size 136
		.amdhsa_user_sgpr_count 2
		.amdhsa_user_sgpr_dispatch_ptr 0
		.amdhsa_user_sgpr_queue_ptr 0
		.amdhsa_user_sgpr_kernarg_segment_ptr 1
		.amdhsa_user_sgpr_dispatch_id 0
		.amdhsa_user_sgpr_kernarg_preload_length 0
		.amdhsa_user_sgpr_kernarg_preload_offset 0
		.amdhsa_user_sgpr_private_segment_size 0
		.amdhsa_wavefront_size32 1
		.amdhsa_uses_dynamic_stack 0
		.amdhsa_enable_private_segment 0
		.amdhsa_system_sgpr_workgroup_id_x 1
		.amdhsa_system_sgpr_workgroup_id_y 0
		.amdhsa_system_sgpr_workgroup_id_z 0
		.amdhsa_system_sgpr_workgroup_info 0
		.amdhsa_system_vgpr_workitem_id 0
		.amdhsa_next_free_vgpr 1
		.amdhsa_next_free_sgpr 1
		.amdhsa_named_barrier_count 0
		.amdhsa_reserve_vcc 0
		.amdhsa_float_round_mode_32 0
		.amdhsa_float_round_mode_16_64 0
		.amdhsa_float_denorm_mode_32 3
		.amdhsa_float_denorm_mode_16_64 3
		.amdhsa_fp16_overflow 0
		.amdhsa_memory_ordered 1
		.amdhsa_forward_progress 1
		.amdhsa_inst_pref_size 0
		.amdhsa_round_robin_scheduling 0
		.amdhsa_exception_fp_ieee_invalid_op 0
		.amdhsa_exception_fp_denorm_src 0
		.amdhsa_exception_fp_ieee_div_zero 0
		.amdhsa_exception_fp_ieee_overflow 0
		.amdhsa_exception_fp_ieee_underflow 0
		.amdhsa_exception_fp_ieee_inexact 0
		.amdhsa_exception_int_div_zero 0
	.end_amdhsa_kernel
	.section	.text._ZN7rocprim17ROCPRIM_400000_NS6detail17trampoline_kernelINS0_14default_configENS1_27scan_by_key_config_selectorIxxEEZZNS1_16scan_by_key_implILNS1_25lookback_scan_determinismE0ELb0ES3_N6thrust23THRUST_200600_302600_NS6detail15normal_iteratorINS9_10device_ptrIxEEEESE_SE_xNS9_4plusIvEENS9_8equal_toIxEExEE10hipError_tPvRmT2_T3_T4_T5_mT6_T7_P12ihipStream_tbENKUlT_T0_E_clISt17integral_constantIbLb1EESY_IbLb0EEEEDaSU_SV_EUlSU_E_NS1_11comp_targetILNS1_3genE8ELNS1_11target_archE1030ELNS1_3gpuE2ELNS1_3repE0EEENS1_30default_config_static_selectorELNS0_4arch9wavefront6targetE0EEEvT1_,"axG",@progbits,_ZN7rocprim17ROCPRIM_400000_NS6detail17trampoline_kernelINS0_14default_configENS1_27scan_by_key_config_selectorIxxEEZZNS1_16scan_by_key_implILNS1_25lookback_scan_determinismE0ELb0ES3_N6thrust23THRUST_200600_302600_NS6detail15normal_iteratorINS9_10device_ptrIxEEEESE_SE_xNS9_4plusIvEENS9_8equal_toIxEExEE10hipError_tPvRmT2_T3_T4_T5_mT6_T7_P12ihipStream_tbENKUlT_T0_E_clISt17integral_constantIbLb1EESY_IbLb0EEEEDaSU_SV_EUlSU_E_NS1_11comp_targetILNS1_3genE8ELNS1_11target_archE1030ELNS1_3gpuE2ELNS1_3repE0EEENS1_30default_config_static_selectorELNS0_4arch9wavefront6targetE0EEEvT1_,comdat
.Lfunc_end109:
	.size	_ZN7rocprim17ROCPRIM_400000_NS6detail17trampoline_kernelINS0_14default_configENS1_27scan_by_key_config_selectorIxxEEZZNS1_16scan_by_key_implILNS1_25lookback_scan_determinismE0ELb0ES3_N6thrust23THRUST_200600_302600_NS6detail15normal_iteratorINS9_10device_ptrIxEEEESE_SE_xNS9_4plusIvEENS9_8equal_toIxEExEE10hipError_tPvRmT2_T3_T4_T5_mT6_T7_P12ihipStream_tbENKUlT_T0_E_clISt17integral_constantIbLb1EESY_IbLb0EEEEDaSU_SV_EUlSU_E_NS1_11comp_targetILNS1_3genE8ELNS1_11target_archE1030ELNS1_3gpuE2ELNS1_3repE0EEENS1_30default_config_static_selectorELNS0_4arch9wavefront6targetE0EEEvT1_, .Lfunc_end109-_ZN7rocprim17ROCPRIM_400000_NS6detail17trampoline_kernelINS0_14default_configENS1_27scan_by_key_config_selectorIxxEEZZNS1_16scan_by_key_implILNS1_25lookback_scan_determinismE0ELb0ES3_N6thrust23THRUST_200600_302600_NS6detail15normal_iteratorINS9_10device_ptrIxEEEESE_SE_xNS9_4plusIvEENS9_8equal_toIxEExEE10hipError_tPvRmT2_T3_T4_T5_mT6_T7_P12ihipStream_tbENKUlT_T0_E_clISt17integral_constantIbLb1EESY_IbLb0EEEEDaSU_SV_EUlSU_E_NS1_11comp_targetILNS1_3genE8ELNS1_11target_archE1030ELNS1_3gpuE2ELNS1_3repE0EEENS1_30default_config_static_selectorELNS0_4arch9wavefront6targetE0EEEvT1_
                                        ; -- End function
	.set _ZN7rocprim17ROCPRIM_400000_NS6detail17trampoline_kernelINS0_14default_configENS1_27scan_by_key_config_selectorIxxEEZZNS1_16scan_by_key_implILNS1_25lookback_scan_determinismE0ELb0ES3_N6thrust23THRUST_200600_302600_NS6detail15normal_iteratorINS9_10device_ptrIxEEEESE_SE_xNS9_4plusIvEENS9_8equal_toIxEExEE10hipError_tPvRmT2_T3_T4_T5_mT6_T7_P12ihipStream_tbENKUlT_T0_E_clISt17integral_constantIbLb1EESY_IbLb0EEEEDaSU_SV_EUlSU_E_NS1_11comp_targetILNS1_3genE8ELNS1_11target_archE1030ELNS1_3gpuE2ELNS1_3repE0EEENS1_30default_config_static_selectorELNS0_4arch9wavefront6targetE0EEEvT1_.num_vgpr, 0
	.set _ZN7rocprim17ROCPRIM_400000_NS6detail17trampoline_kernelINS0_14default_configENS1_27scan_by_key_config_selectorIxxEEZZNS1_16scan_by_key_implILNS1_25lookback_scan_determinismE0ELb0ES3_N6thrust23THRUST_200600_302600_NS6detail15normal_iteratorINS9_10device_ptrIxEEEESE_SE_xNS9_4plusIvEENS9_8equal_toIxEExEE10hipError_tPvRmT2_T3_T4_T5_mT6_T7_P12ihipStream_tbENKUlT_T0_E_clISt17integral_constantIbLb1EESY_IbLb0EEEEDaSU_SV_EUlSU_E_NS1_11comp_targetILNS1_3genE8ELNS1_11target_archE1030ELNS1_3gpuE2ELNS1_3repE0EEENS1_30default_config_static_selectorELNS0_4arch9wavefront6targetE0EEEvT1_.num_agpr, 0
	.set _ZN7rocprim17ROCPRIM_400000_NS6detail17trampoline_kernelINS0_14default_configENS1_27scan_by_key_config_selectorIxxEEZZNS1_16scan_by_key_implILNS1_25lookback_scan_determinismE0ELb0ES3_N6thrust23THRUST_200600_302600_NS6detail15normal_iteratorINS9_10device_ptrIxEEEESE_SE_xNS9_4plusIvEENS9_8equal_toIxEExEE10hipError_tPvRmT2_T3_T4_T5_mT6_T7_P12ihipStream_tbENKUlT_T0_E_clISt17integral_constantIbLb1EESY_IbLb0EEEEDaSU_SV_EUlSU_E_NS1_11comp_targetILNS1_3genE8ELNS1_11target_archE1030ELNS1_3gpuE2ELNS1_3repE0EEENS1_30default_config_static_selectorELNS0_4arch9wavefront6targetE0EEEvT1_.numbered_sgpr, 0
	.set _ZN7rocprim17ROCPRIM_400000_NS6detail17trampoline_kernelINS0_14default_configENS1_27scan_by_key_config_selectorIxxEEZZNS1_16scan_by_key_implILNS1_25lookback_scan_determinismE0ELb0ES3_N6thrust23THRUST_200600_302600_NS6detail15normal_iteratorINS9_10device_ptrIxEEEESE_SE_xNS9_4plusIvEENS9_8equal_toIxEExEE10hipError_tPvRmT2_T3_T4_T5_mT6_T7_P12ihipStream_tbENKUlT_T0_E_clISt17integral_constantIbLb1EESY_IbLb0EEEEDaSU_SV_EUlSU_E_NS1_11comp_targetILNS1_3genE8ELNS1_11target_archE1030ELNS1_3gpuE2ELNS1_3repE0EEENS1_30default_config_static_selectorELNS0_4arch9wavefront6targetE0EEEvT1_.num_named_barrier, 0
	.set _ZN7rocprim17ROCPRIM_400000_NS6detail17trampoline_kernelINS0_14default_configENS1_27scan_by_key_config_selectorIxxEEZZNS1_16scan_by_key_implILNS1_25lookback_scan_determinismE0ELb0ES3_N6thrust23THRUST_200600_302600_NS6detail15normal_iteratorINS9_10device_ptrIxEEEESE_SE_xNS9_4plusIvEENS9_8equal_toIxEExEE10hipError_tPvRmT2_T3_T4_T5_mT6_T7_P12ihipStream_tbENKUlT_T0_E_clISt17integral_constantIbLb1EESY_IbLb0EEEEDaSU_SV_EUlSU_E_NS1_11comp_targetILNS1_3genE8ELNS1_11target_archE1030ELNS1_3gpuE2ELNS1_3repE0EEENS1_30default_config_static_selectorELNS0_4arch9wavefront6targetE0EEEvT1_.private_seg_size, 0
	.set _ZN7rocprim17ROCPRIM_400000_NS6detail17trampoline_kernelINS0_14default_configENS1_27scan_by_key_config_selectorIxxEEZZNS1_16scan_by_key_implILNS1_25lookback_scan_determinismE0ELb0ES3_N6thrust23THRUST_200600_302600_NS6detail15normal_iteratorINS9_10device_ptrIxEEEESE_SE_xNS9_4plusIvEENS9_8equal_toIxEExEE10hipError_tPvRmT2_T3_T4_T5_mT6_T7_P12ihipStream_tbENKUlT_T0_E_clISt17integral_constantIbLb1EESY_IbLb0EEEEDaSU_SV_EUlSU_E_NS1_11comp_targetILNS1_3genE8ELNS1_11target_archE1030ELNS1_3gpuE2ELNS1_3repE0EEENS1_30default_config_static_selectorELNS0_4arch9wavefront6targetE0EEEvT1_.uses_vcc, 0
	.set _ZN7rocprim17ROCPRIM_400000_NS6detail17trampoline_kernelINS0_14default_configENS1_27scan_by_key_config_selectorIxxEEZZNS1_16scan_by_key_implILNS1_25lookback_scan_determinismE0ELb0ES3_N6thrust23THRUST_200600_302600_NS6detail15normal_iteratorINS9_10device_ptrIxEEEESE_SE_xNS9_4plusIvEENS9_8equal_toIxEExEE10hipError_tPvRmT2_T3_T4_T5_mT6_T7_P12ihipStream_tbENKUlT_T0_E_clISt17integral_constantIbLb1EESY_IbLb0EEEEDaSU_SV_EUlSU_E_NS1_11comp_targetILNS1_3genE8ELNS1_11target_archE1030ELNS1_3gpuE2ELNS1_3repE0EEENS1_30default_config_static_selectorELNS0_4arch9wavefront6targetE0EEEvT1_.uses_flat_scratch, 0
	.set _ZN7rocprim17ROCPRIM_400000_NS6detail17trampoline_kernelINS0_14default_configENS1_27scan_by_key_config_selectorIxxEEZZNS1_16scan_by_key_implILNS1_25lookback_scan_determinismE0ELb0ES3_N6thrust23THRUST_200600_302600_NS6detail15normal_iteratorINS9_10device_ptrIxEEEESE_SE_xNS9_4plusIvEENS9_8equal_toIxEExEE10hipError_tPvRmT2_T3_T4_T5_mT6_T7_P12ihipStream_tbENKUlT_T0_E_clISt17integral_constantIbLb1EESY_IbLb0EEEEDaSU_SV_EUlSU_E_NS1_11comp_targetILNS1_3genE8ELNS1_11target_archE1030ELNS1_3gpuE2ELNS1_3repE0EEENS1_30default_config_static_selectorELNS0_4arch9wavefront6targetE0EEEvT1_.has_dyn_sized_stack, 0
	.set _ZN7rocprim17ROCPRIM_400000_NS6detail17trampoline_kernelINS0_14default_configENS1_27scan_by_key_config_selectorIxxEEZZNS1_16scan_by_key_implILNS1_25lookback_scan_determinismE0ELb0ES3_N6thrust23THRUST_200600_302600_NS6detail15normal_iteratorINS9_10device_ptrIxEEEESE_SE_xNS9_4plusIvEENS9_8equal_toIxEExEE10hipError_tPvRmT2_T3_T4_T5_mT6_T7_P12ihipStream_tbENKUlT_T0_E_clISt17integral_constantIbLb1EESY_IbLb0EEEEDaSU_SV_EUlSU_E_NS1_11comp_targetILNS1_3genE8ELNS1_11target_archE1030ELNS1_3gpuE2ELNS1_3repE0EEENS1_30default_config_static_selectorELNS0_4arch9wavefront6targetE0EEEvT1_.has_recursion, 0
	.set _ZN7rocprim17ROCPRIM_400000_NS6detail17trampoline_kernelINS0_14default_configENS1_27scan_by_key_config_selectorIxxEEZZNS1_16scan_by_key_implILNS1_25lookback_scan_determinismE0ELb0ES3_N6thrust23THRUST_200600_302600_NS6detail15normal_iteratorINS9_10device_ptrIxEEEESE_SE_xNS9_4plusIvEENS9_8equal_toIxEExEE10hipError_tPvRmT2_T3_T4_T5_mT6_T7_P12ihipStream_tbENKUlT_T0_E_clISt17integral_constantIbLb1EESY_IbLb0EEEEDaSU_SV_EUlSU_E_NS1_11comp_targetILNS1_3genE8ELNS1_11target_archE1030ELNS1_3gpuE2ELNS1_3repE0EEENS1_30default_config_static_selectorELNS0_4arch9wavefront6targetE0EEEvT1_.has_indirect_call, 0
	.section	.AMDGPU.csdata,"",@progbits
; Kernel info:
; codeLenInByte = 0
; TotalNumSgprs: 0
; NumVgprs: 0
; ScratchSize: 0
; MemoryBound: 0
; FloatMode: 240
; IeeeMode: 1
; LDSByteSize: 0 bytes/workgroup (compile time only)
; SGPRBlocks: 0
; VGPRBlocks: 0
; NumSGPRsForWavesPerEU: 1
; NumVGPRsForWavesPerEU: 1
; NamedBarCnt: 0
; Occupancy: 16
; WaveLimiterHint : 0
; COMPUTE_PGM_RSRC2:SCRATCH_EN: 0
; COMPUTE_PGM_RSRC2:USER_SGPR: 2
; COMPUTE_PGM_RSRC2:TRAP_HANDLER: 0
; COMPUTE_PGM_RSRC2:TGID_X_EN: 1
; COMPUTE_PGM_RSRC2:TGID_Y_EN: 0
; COMPUTE_PGM_RSRC2:TGID_Z_EN: 0
; COMPUTE_PGM_RSRC2:TIDIG_COMP_CNT: 0
	.section	.text._ZN7rocprim17ROCPRIM_400000_NS6detail17trampoline_kernelINS0_14default_configENS1_27scan_by_key_config_selectorIxxEEZZNS1_16scan_by_key_implILNS1_25lookback_scan_determinismE0ELb0ES3_N6thrust23THRUST_200600_302600_NS6detail15normal_iteratorINS9_10device_ptrIxEEEESE_SE_xNS9_4plusIvEENS9_8equal_toIxEExEE10hipError_tPvRmT2_T3_T4_T5_mT6_T7_P12ihipStream_tbENKUlT_T0_E_clISt17integral_constantIbLb0EESY_IbLb1EEEEDaSU_SV_EUlSU_E_NS1_11comp_targetILNS1_3genE0ELNS1_11target_archE4294967295ELNS1_3gpuE0ELNS1_3repE0EEENS1_30default_config_static_selectorELNS0_4arch9wavefront6targetE0EEEvT1_,"axG",@progbits,_ZN7rocprim17ROCPRIM_400000_NS6detail17trampoline_kernelINS0_14default_configENS1_27scan_by_key_config_selectorIxxEEZZNS1_16scan_by_key_implILNS1_25lookback_scan_determinismE0ELb0ES3_N6thrust23THRUST_200600_302600_NS6detail15normal_iteratorINS9_10device_ptrIxEEEESE_SE_xNS9_4plusIvEENS9_8equal_toIxEExEE10hipError_tPvRmT2_T3_T4_T5_mT6_T7_P12ihipStream_tbENKUlT_T0_E_clISt17integral_constantIbLb0EESY_IbLb1EEEEDaSU_SV_EUlSU_E_NS1_11comp_targetILNS1_3genE0ELNS1_11target_archE4294967295ELNS1_3gpuE0ELNS1_3repE0EEENS1_30default_config_static_selectorELNS0_4arch9wavefront6targetE0EEEvT1_,comdat
	.protected	_ZN7rocprim17ROCPRIM_400000_NS6detail17trampoline_kernelINS0_14default_configENS1_27scan_by_key_config_selectorIxxEEZZNS1_16scan_by_key_implILNS1_25lookback_scan_determinismE0ELb0ES3_N6thrust23THRUST_200600_302600_NS6detail15normal_iteratorINS9_10device_ptrIxEEEESE_SE_xNS9_4plusIvEENS9_8equal_toIxEExEE10hipError_tPvRmT2_T3_T4_T5_mT6_T7_P12ihipStream_tbENKUlT_T0_E_clISt17integral_constantIbLb0EESY_IbLb1EEEEDaSU_SV_EUlSU_E_NS1_11comp_targetILNS1_3genE0ELNS1_11target_archE4294967295ELNS1_3gpuE0ELNS1_3repE0EEENS1_30default_config_static_selectorELNS0_4arch9wavefront6targetE0EEEvT1_ ; -- Begin function _ZN7rocprim17ROCPRIM_400000_NS6detail17trampoline_kernelINS0_14default_configENS1_27scan_by_key_config_selectorIxxEEZZNS1_16scan_by_key_implILNS1_25lookback_scan_determinismE0ELb0ES3_N6thrust23THRUST_200600_302600_NS6detail15normal_iteratorINS9_10device_ptrIxEEEESE_SE_xNS9_4plusIvEENS9_8equal_toIxEExEE10hipError_tPvRmT2_T3_T4_T5_mT6_T7_P12ihipStream_tbENKUlT_T0_E_clISt17integral_constantIbLb0EESY_IbLb1EEEEDaSU_SV_EUlSU_E_NS1_11comp_targetILNS1_3genE0ELNS1_11target_archE4294967295ELNS1_3gpuE0ELNS1_3repE0EEENS1_30default_config_static_selectorELNS0_4arch9wavefront6targetE0EEEvT1_
	.globl	_ZN7rocprim17ROCPRIM_400000_NS6detail17trampoline_kernelINS0_14default_configENS1_27scan_by_key_config_selectorIxxEEZZNS1_16scan_by_key_implILNS1_25lookback_scan_determinismE0ELb0ES3_N6thrust23THRUST_200600_302600_NS6detail15normal_iteratorINS9_10device_ptrIxEEEESE_SE_xNS9_4plusIvEENS9_8equal_toIxEExEE10hipError_tPvRmT2_T3_T4_T5_mT6_T7_P12ihipStream_tbENKUlT_T0_E_clISt17integral_constantIbLb0EESY_IbLb1EEEEDaSU_SV_EUlSU_E_NS1_11comp_targetILNS1_3genE0ELNS1_11target_archE4294967295ELNS1_3gpuE0ELNS1_3repE0EEENS1_30default_config_static_selectorELNS0_4arch9wavefront6targetE0EEEvT1_
	.p2align	8
	.type	_ZN7rocprim17ROCPRIM_400000_NS6detail17trampoline_kernelINS0_14default_configENS1_27scan_by_key_config_selectorIxxEEZZNS1_16scan_by_key_implILNS1_25lookback_scan_determinismE0ELb0ES3_N6thrust23THRUST_200600_302600_NS6detail15normal_iteratorINS9_10device_ptrIxEEEESE_SE_xNS9_4plusIvEENS9_8equal_toIxEExEE10hipError_tPvRmT2_T3_T4_T5_mT6_T7_P12ihipStream_tbENKUlT_T0_E_clISt17integral_constantIbLb0EESY_IbLb1EEEEDaSU_SV_EUlSU_E_NS1_11comp_targetILNS1_3genE0ELNS1_11target_archE4294967295ELNS1_3gpuE0ELNS1_3repE0EEENS1_30default_config_static_selectorELNS0_4arch9wavefront6targetE0EEEvT1_,@function
_ZN7rocprim17ROCPRIM_400000_NS6detail17trampoline_kernelINS0_14default_configENS1_27scan_by_key_config_selectorIxxEEZZNS1_16scan_by_key_implILNS1_25lookback_scan_determinismE0ELb0ES3_N6thrust23THRUST_200600_302600_NS6detail15normal_iteratorINS9_10device_ptrIxEEEESE_SE_xNS9_4plusIvEENS9_8equal_toIxEExEE10hipError_tPvRmT2_T3_T4_T5_mT6_T7_P12ihipStream_tbENKUlT_T0_E_clISt17integral_constantIbLb0EESY_IbLb1EEEEDaSU_SV_EUlSU_E_NS1_11comp_targetILNS1_3genE0ELNS1_11target_archE4294967295ELNS1_3gpuE0ELNS1_3repE0EEENS1_30default_config_static_selectorELNS0_4arch9wavefront6targetE0EEEvT1_: ; @_ZN7rocprim17ROCPRIM_400000_NS6detail17trampoline_kernelINS0_14default_configENS1_27scan_by_key_config_selectorIxxEEZZNS1_16scan_by_key_implILNS1_25lookback_scan_determinismE0ELb0ES3_N6thrust23THRUST_200600_302600_NS6detail15normal_iteratorINS9_10device_ptrIxEEEESE_SE_xNS9_4plusIvEENS9_8equal_toIxEExEE10hipError_tPvRmT2_T3_T4_T5_mT6_T7_P12ihipStream_tbENKUlT_T0_E_clISt17integral_constantIbLb0EESY_IbLb1EEEEDaSU_SV_EUlSU_E_NS1_11comp_targetILNS1_3genE0ELNS1_11target_archE4294967295ELNS1_3gpuE0ELNS1_3repE0EEENS1_30default_config_static_selectorELNS0_4arch9wavefront6targetE0EEEvT1_
; %bb.0:
	s_clause 0x1
	s_load_b256 s[24:31], s[0:1], 0x30
	s_load_b64 s[52:53], s[0:1], 0x50
	v_cmp_ne_u32_e64 s3, 0, v0
	v_cmp_eq_u32_e64 s2, 0, v0
	s_and_saveexec_b32 s4, s2
	s_cbranch_execz .LBB110_4
; %bb.1:
	s_mov_b32 s6, exec_lo
	s_mov_b32 s5, exec_lo
	v_mbcnt_lo_u32_b32 v1, s6, 0
                                        ; implicit-def: $vgpr2
	s_delay_alu instid0(VALU_DEP_1)
	v_cmpx_eq_u32_e32 0, v1
	s_cbranch_execz .LBB110_3
; %bb.2:
	s_load_b64 s[8:9], s[0:1], 0x80
	s_bcnt1_i32_b32 s6, s6
	s_delay_alu instid0(SALU_CYCLE_1)
	v_dual_mov_b32 v2, 0 :: v_dual_mov_b32 v3, s6
	s_wait_xcnt 0x0
	s_wait_kmcnt 0x0
	global_atomic_add_u32 v2, v2, v3, s[8:9] th:TH_ATOMIC_RETURN scope:SCOPE_DEV
.LBB110_3:
	s_wait_xcnt 0x0
	s_or_b32 exec_lo, exec_lo, s5
	s_wait_loadcnt 0x0
	v_readfirstlane_b32 s5, v2
	s_delay_alu instid0(VALU_DEP_1)
	v_dual_mov_b32 v2, 0 :: v_dual_add_nc_u32 v1, s5, v1
	ds_store_b32 v2, v1
.LBB110_4:
	s_or_b32 exec_lo, exec_lo, s4
	v_mov_b32_e32 v1, 0
	s_clause 0x2
	s_load_b256 s[36:43], s[0:1], 0x0
	s_load_b32 s54, s[0:1], 0x58
	s_load_b256 s[44:51], s[0:1], 0x60
	s_wait_dscnt 0x0
	s_barrier_signal -1
	s_barrier_wait -1
	ds_load_b32 v2, v1
	s_mov_b32 s55, 0
	s_wait_dscnt 0x0
	s_mov_b32 s9, s55
	s_barrier_signal -1
	s_barrier_wait -1
	s_barrier_signal -1
	s_barrier_wait -1
	s_wait_kmcnt 0x0
	s_lshl_b64 s[34:35], s[38:39], 3
	s_mul_u64 s[6:7], s[52:53], s[54:55]
	s_cmp_lg_u64 s[48:49], 0
	s_add_nc_u64 s[0:1], s[36:37], s[34:35]
	s_add_nc_u64 s[4:5], s[40:41], s[34:35]
	s_cselect_b32 s38, -1, 0
	v_readfirstlane_b32 s54, v2
	s_add_nc_u64 s[20:21], s[6:7], s[54:55]
	s_add_nc_u64 s[6:7], s[44:45], -1
	s_mul_i32 s8, s54, 0xe00
	v_cmp_ge_u64_e64 s31, s[20:21], s[6:7]
	s_lshl_b64 s[36:37], s[8:9], 3
	s_mul_i32 s33, s6, 0xfffff200
	s_add_nc_u64 s[18:19], s[0:1], s[36:37]
	s_add_nc_u64 s[16:17], s[4:5], s[36:37]
	s_and_b32 vcc_lo, exec_lo, s31
	s_cbranch_vccz .LBB110_36
; %bb.5:
	flat_load_b64 v[2:3], v1, s[18:19]
	s_add_co_i32 s39, s33, s30
	s_delay_alu instid0(SALU_CYCLE_1)
	v_cmp_gt_u32_e64 s0, s39, v0
	s_wait_loadcnt_dscnt 0x0
	v_mov_b64_e32 v[4:5], v[2:3]
	s_and_saveexec_b32 s1, s0
	s_cbranch_execz .LBB110_7
; %bb.6:
	flat_load_b64 v[4:5], v0, s[18:19] scale_offset
.LBB110_7:
	s_wait_xcnt 0x0
	s_or_b32 exec_lo, exec_lo, s1
	v_or_b32_e32 v1, 0x100, v0
	v_mov_b64_e32 v[6:7], v[2:3]
	s_delay_alu instid0(VALU_DEP_2)
	v_cmp_gt_u32_e64 s1, s39, v1
	s_and_saveexec_b32 s4, s1
	s_cbranch_execz .LBB110_9
; %bb.8:
	flat_load_b64 v[6:7], v0, s[18:19] offset:2048 scale_offset
.LBB110_9:
	s_wait_xcnt 0x0
	s_or_b32 exec_lo, exec_lo, s4
	v_or_b32_e32 v1, 0x200, v0
	v_mov_b64_e32 v[8:9], v[2:3]
	s_delay_alu instid0(VALU_DEP_2)
	v_cmp_gt_u32_e64 s4, s39, v1
	s_and_saveexec_b32 s5, s4
	s_cbranch_execz .LBB110_11
; %bb.10:
	flat_load_b64 v[8:9], v0, s[18:19] offset:4096 scale_offset
.LBB110_11:
	s_wait_xcnt 0x0
	s_or_b32 exec_lo, exec_lo, s5
	v_or_b32_e32 v1, 0x300, v0
	v_mov_b64_e32 v[10:11], v[2:3]
	s_delay_alu instid0(VALU_DEP_2)
	v_cmp_gt_u32_e64 s5, s39, v1
	s_and_saveexec_b32 s6, s5
	s_cbranch_execz .LBB110_13
; %bb.12:
	flat_load_b64 v[10:11], v0, s[18:19] offset:6144 scale_offset
.LBB110_13:
	s_wait_xcnt 0x0
	s_or_b32 exec_lo, exec_lo, s6
	v_or_b32_e32 v1, 0x400, v0
	v_mov_b64_e32 v[12:13], v[2:3]
	s_delay_alu instid0(VALU_DEP_2)
	v_cmp_gt_u32_e64 s6, s39, v1
	s_and_saveexec_b32 s7, s6
	s_cbranch_execz .LBB110_15
; %bb.14:
	flat_load_b64 v[12:13], v0, s[18:19] offset:8192 scale_offset
.LBB110_15:
	s_wait_xcnt 0x0
	s_or_b32 exec_lo, exec_lo, s7
	v_or_b32_e32 v1, 0x500, v0
	v_mov_b64_e32 v[14:15], v[2:3]
	s_delay_alu instid0(VALU_DEP_2)
	v_cmp_gt_u32_e64 s7, s39, v1
	s_and_saveexec_b32 s8, s7
	s_cbranch_execz .LBB110_17
; %bb.16:
	flat_load_b64 v[14:15], v0, s[18:19] offset:10240 scale_offset
.LBB110_17:
	s_wait_xcnt 0x0
	s_or_b32 exec_lo, exec_lo, s8
	v_or_b32_e32 v1, 0x600, v0
	v_mov_b64_e32 v[16:17], v[2:3]
	s_delay_alu instid0(VALU_DEP_2)
	v_cmp_gt_u32_e64 s8, s39, v1
	s_and_saveexec_b32 s9, s8
	s_cbranch_execz .LBB110_19
; %bb.18:
	flat_load_b64 v[16:17], v0, s[18:19] offset:12288 scale_offset
.LBB110_19:
	s_wait_xcnt 0x0
	s_or_b32 exec_lo, exec_lo, s9
	v_or_b32_e32 v1, 0x700, v0
	v_mov_b64_e32 v[18:19], v[2:3]
	s_delay_alu instid0(VALU_DEP_2)
	v_cmp_gt_u32_e64 s9, s39, v1
	s_and_saveexec_b32 s10, s9
	s_cbranch_execz .LBB110_21
; %bb.20:
	flat_load_b64 v[18:19], v0, s[18:19] offset:14336 scale_offset
.LBB110_21:
	s_wait_xcnt 0x0
	s_or_b32 exec_lo, exec_lo, s10
	v_or_b32_e32 v1, 0x800, v0
	v_mov_b64_e32 v[20:21], v[2:3]
	s_delay_alu instid0(VALU_DEP_2)
	v_cmp_gt_u32_e64 s10, s39, v1
	s_and_saveexec_b32 s11, s10
	s_cbranch_execz .LBB110_23
; %bb.22:
	flat_load_b64 v[20:21], v0, s[18:19] offset:16384 scale_offset
.LBB110_23:
	s_wait_xcnt 0x0
	s_or_b32 exec_lo, exec_lo, s11
	v_or_b32_e32 v1, 0x900, v0
	v_mov_b64_e32 v[22:23], v[2:3]
	s_delay_alu instid0(VALU_DEP_2)
	v_cmp_gt_u32_e64 s11, s39, v1
	s_and_saveexec_b32 s12, s11
	s_cbranch_execz .LBB110_25
; %bb.24:
	flat_load_b64 v[22:23], v0, s[18:19] offset:18432 scale_offset
.LBB110_25:
	s_wait_xcnt 0x0
	s_or_b32 exec_lo, exec_lo, s12
	v_or_b32_e32 v1, 0xa00, v0
	v_mov_b64_e32 v[24:25], v[2:3]
	s_delay_alu instid0(VALU_DEP_2)
	v_cmp_gt_u32_e64 s12, s39, v1
	s_and_saveexec_b32 s13, s12
	s_cbranch_execz .LBB110_27
; %bb.26:
	flat_load_b64 v[24:25], v0, s[18:19] offset:20480 scale_offset
.LBB110_27:
	s_wait_xcnt 0x0
	s_or_b32 exec_lo, exec_lo, s13
	v_or_b32_e32 v1, 0xb00, v0
	v_mov_b64_e32 v[26:27], v[2:3]
	s_delay_alu instid0(VALU_DEP_2)
	v_cmp_gt_u32_e64 s13, s39, v1
	s_and_saveexec_b32 s14, s13
	s_cbranch_execz .LBB110_29
; %bb.28:
	flat_load_b64 v[26:27], v0, s[18:19] offset:22528 scale_offset
.LBB110_29:
	s_wait_xcnt 0x0
	s_or_b32 exec_lo, exec_lo, s14
	v_or_b32_e32 v1, 0xc00, v0
	v_mov_b64_e32 v[28:29], v[2:3]
	s_delay_alu instid0(VALU_DEP_2)
	v_cmp_gt_u32_e64 s14, s39, v1
	s_and_saveexec_b32 s15, s14
	s_cbranch_execz .LBB110_31
; %bb.30:
	flat_load_b64 v[28:29], v0, s[18:19] offset:24576 scale_offset
.LBB110_31:
	s_wait_xcnt 0x0
	s_or_b32 exec_lo, exec_lo, s15
	v_or_b32_e32 v1, 0xd00, v0
	s_mov_b32 s22, exec_lo
	s_delay_alu instid0(VALU_DEP_1) | instskip(SKIP_2) | instid1(SALU_CYCLE_1)
	v_cmp_gt_u32_e64 s15, s39, v1
	v_cmpx_le_u32_e64 s39, v1
	s_xor_b32 s22, exec_lo, s22
	s_and_not1_saveexec_b32 s22, s22
	s_cbranch_execz .LBB110_33
; %bb.32:
	flat_load_b64 v[2:3], v0, s[18:19] offset:26624 scale_offset
.LBB110_33:
	s_wait_xcnt 0x0
	s_or_b32 exec_lo, exec_lo, s22
	v_lshlrev_b32_e32 v1, 3, v0
	s_cmp_eq_u64 s[20:21], 0
	s_mov_b64 s[22:23], s[18:19]
	s_wait_loadcnt_dscnt 0x0
	ds_store_2addr_stride64_b64 v1, v[4:5], v[6:7] offset1:4
	ds_store_2addr_stride64_b64 v1, v[8:9], v[10:11] offset0:8 offset1:12
	ds_store_2addr_stride64_b64 v1, v[12:13], v[14:15] offset0:16 offset1:20
	;; [unrolled: 1-line block ×6, first 2 shown]
	v_mad_u32_u24 v103, 0x68, v0, v1
	s_wait_dscnt 0x0
	s_barrier_signal -1
	s_barrier_wait -1
	ds_load_b128 v[76:79], v103 offset:16
	ds_load_2addr_b64 v[64:67], v103 offset0:3 offset1:4
	ds_load_b128 v[72:75], v103
	ds_load_2addr_b64 v[80:83], v103 offset0:1 offset1:2
	ds_load_2addr_b64 v[52:55], v103 offset0:7 offset1:8
	ds_load_2addr_b64 v[68:71], v103 offset0:5 offset1:6
	ds_load_2addr_b64 v[48:51], v103 offset0:11 offset1:12
	ds_load_2addr_b64 v[56:59], v103 offset0:9 offset1:10
	ds_load_b64 v[86:87], v103 offset:104
	s_cbranch_scc1 .LBB110_39
; %bb.34:
	s_and_not1_b32 vcc_lo, exec_lo, s38
	s_cbranch_vccnz .LBB110_37
; %bb.35:
	s_lshl_b64 s[22:23], s[20:21], 3
	s_mov_b32 s40, 0
	s_add_nc_u64 s[22:23], s[50:51], s[22:23]
	s_delay_alu instid0(SALU_CYCLE_1)
	s_add_nc_u64 s[22:23], s[22:23], -8
	s_branch .LBB110_38
.LBB110_36:
                                        ; implicit-def: $sgpr6
                                        ; implicit-def: $vgpr97
                                        ; implicit-def: $vgpr90
                                        ; implicit-def: $vgpr96
                                        ; implicit-def: $vgpr95
                                        ; implicit-def: $vgpr108
                                        ; implicit-def: $vgpr89
                                        ; implicit-def: $vgpr104
                                        ; implicit-def: $vgpr101
                                        ; implicit-def: $vgpr20_vgpr21
                                        ; implicit-def: $vgpr34_vgpr35
                                        ; implicit-def: $vgpr38_vgpr39
                                        ; implicit-def: $vgpr42_vgpr43
                                        ; implicit-def: $vgpr46_vgpr47
                                        ; implicit-def: $vgpr62_vgpr63
                                        ; implicit-def: $vgpr4_vgpr5
                                        ; implicit-def: $vgpr110
                                        ; implicit-def: $vgpr94
                                        ; implicit-def: $vgpr91
                                        ; implicit-def: $vgpr92
                                        ; implicit-def: $vgpr93
                                        ; implicit-def: $vgpr102
                                        ; implicit-def: $vgpr100
                                        ; implicit-def: $vgpr99
                                        ; implicit-def: $vgpr98
                                        ; implicit-def: $vgpr88
                                        ; implicit-def: $vgpr109
                                        ; implicit-def: $vgpr106
                                        ; implicit-def: $vgpr105
                                        ; implicit-def: $vgpr84_vgpr85
                                        ; implicit-def: $vgpr28_vgpr29
                                        ; implicit-def: $vgpr24_vgpr25
                                        ; implicit-def: $vgpr16_vgpr17
                                        ; implicit-def: $vgpr12_vgpr13
                                        ; implicit-def: $vgpr1
                                        ; implicit-def: $vgpr30_vgpr31
                                        ; implicit-def: $vgpr26_vgpr27
                                        ; implicit-def: $vgpr22_vgpr23
                                        ; implicit-def: $vgpr14_vgpr15
                                        ; implicit-def: $vgpr10_vgpr11
                                        ; implicit-def: $vgpr6_vgpr7
	v_lshlrev_b32_e32 v64, 3, v0
	s_cbranch_execnz .LBB110_83
	s_branch .LBB110_104
.LBB110_37:
	s_add_nc_u64 s[22:23], s[18:19], -8
	s_mov_b32 s40, -1
.LBB110_38:
	s_delay_alu instid0(SALU_CYCLE_1)
	s_and_not1_b32 vcc_lo, exec_lo, s40
.LBB110_39:
	v_mov_b32_e32 v2, 0
	flat_load_b64 v[8:9], v2, s[22:23]
	s_wait_xcnt 0x0
	v_mad_i32_i24 v2, 0xffffff98, v0, v103
	s_wait_dscnt 0x1
	ds_store_b64 v2, v[86:87] offset:28672
	s_wait_loadcnt_dscnt 0x0
	s_barrier_signal -1
	s_barrier_wait -1
	s_and_saveexec_b32 s22, s3
; %bb.40:
	v_mul_i32_i24_e32 v2, 0xffffff98, v0
	s_delay_alu instid0(VALU_DEP_1)
	v_add_nc_u32_e32 v2, v103, v2
	ds_load_b64 v[8:9], v2 offset:28664
; %bb.41:
	s_or_b32 exec_lo, exec_lo, s22
	s_wait_dscnt 0x0
	s_barrier_signal -1
	s_barrier_wait -1
                                        ; implicit-def: $vgpr2_vgpr3
	s_and_saveexec_b32 s22, s0
	s_cbranch_execnz .LBB110_86
; %bb.42:
	s_or_b32 exec_lo, exec_lo, s22
                                        ; implicit-def: $vgpr4_vgpr5
	s_and_saveexec_b32 s0, s1
	s_cbranch_execnz .LBB110_87
.LBB110_43:
	s_or_b32 exec_lo, exec_lo, s0
                                        ; implicit-def: $vgpr6_vgpr7
	s_and_saveexec_b32 s0, s4
	s_cbranch_execnz .LBB110_88
.LBB110_44:
	s_or_b32 exec_lo, exec_lo, s0
                                        ; implicit-def: $vgpr10_vgpr11
	s_and_saveexec_b32 s0, s5
	s_cbranch_execnz .LBB110_89
.LBB110_45:
	s_or_b32 exec_lo, exec_lo, s0
                                        ; implicit-def: $vgpr12_vgpr13
	s_and_saveexec_b32 s0, s6
	s_cbranch_execnz .LBB110_90
.LBB110_46:
	s_or_b32 exec_lo, exec_lo, s0
                                        ; implicit-def: $vgpr14_vgpr15
	s_and_saveexec_b32 s0, s7
	s_cbranch_execnz .LBB110_91
.LBB110_47:
	s_or_b32 exec_lo, exec_lo, s0
                                        ; implicit-def: $vgpr16_vgpr17
	s_and_saveexec_b32 s0, s8
	s_cbranch_execnz .LBB110_92
.LBB110_48:
	s_or_b32 exec_lo, exec_lo, s0
                                        ; implicit-def: $vgpr18_vgpr19
	s_and_saveexec_b32 s0, s9
	s_cbranch_execnz .LBB110_93
.LBB110_49:
	s_or_b32 exec_lo, exec_lo, s0
                                        ; implicit-def: $vgpr20_vgpr21
	s_and_saveexec_b32 s0, s10
	s_cbranch_execnz .LBB110_94
.LBB110_50:
	s_or_b32 exec_lo, exec_lo, s0
                                        ; implicit-def: $vgpr22_vgpr23
	s_and_saveexec_b32 s0, s11
	s_cbranch_execnz .LBB110_95
.LBB110_51:
	s_or_b32 exec_lo, exec_lo, s0
                                        ; implicit-def: $vgpr24_vgpr25
	s_and_saveexec_b32 s0, s12
	s_cbranch_execnz .LBB110_96
.LBB110_52:
	s_or_b32 exec_lo, exec_lo, s0
                                        ; implicit-def: $vgpr26_vgpr27
	s_and_saveexec_b32 s0, s13
	s_cbranch_execnz .LBB110_97
.LBB110_53:
	s_or_b32 exec_lo, exec_lo, s0
                                        ; implicit-def: $vgpr28_vgpr29
	s_and_saveexec_b32 s0, s14
	s_cbranch_execnz .LBB110_98
.LBB110_54:
	s_or_b32 exec_lo, exec_lo, s0
                                        ; implicit-def: $vgpr30_vgpr31
	s_and_saveexec_b32 s0, s15
	s_cbranch_execz .LBB110_56
.LBB110_55:
	flat_load_b64 v[30:31], v0, s[16:17] offset:26624 scale_offset
.LBB110_56:
	s_wait_xcnt 0x0
	s_or_b32 exec_lo, exec_lo, s0
	v_mul_u32_u24_e32 v107, 14, v0
	s_wait_loadcnt_dscnt 0x0
	ds_store_2addr_stride64_b64 v1, v[2:3], v[4:5] offset1:4
	ds_store_2addr_stride64_b64 v1, v[6:7], v[10:11] offset0:8 offset1:12
	ds_store_2addr_stride64_b64 v1, v[12:13], v[14:15] offset0:16 offset1:20
	;; [unrolled: 1-line block ×6, first 2 shown]
	v_mov_b64_e32 v[34:35], 0
	v_mov_b64_e32 v[32:33], 0
	;; [unrolled: 1-line block ×24, first 2 shown]
	v_cmp_gt_u32_e32 vcc_lo, s39, v107
	v_dual_mov_b32 v97, 0 :: v_dual_mov_b32 v90, 0
	v_dual_mov_b32 v96, 0 :: v_dual_mov_b32 v95, 0
	;; [unrolled: 1-line block ×11, first 2 shown]
	s_mov_b32 s5, 0
	s_wait_dscnt 0x0
	s_barrier_signal -1
	s_barrier_wait -1
                                        ; implicit-def: $sgpr6
	s_and_saveexec_b32 s7, vcc_lo
	s_cbranch_execz .LBB110_82
; %bb.57:
	ds_load_b64 v[2:3], v103
	v_dual_mov_b32 v97, 0 :: v_dual_bitop2_b32 v1, 1, v107 bitop3:0x54
	v_mov_b64_e32 v[34:35], 0
	v_mov_b64_e32 v[32:33], 0
	;; [unrolled: 1-line block ×23, first 2 shown]
	v_cmp_gt_u32_e64 s0, s39, v1
	v_dual_mov_b32 v90, 0 :: v_dual_mov_b32 v96, 0
	v_dual_mov_b32 v95, 0 :: v_dual_mov_b32 v108, 0
	;; [unrolled: 1-line block ×9, first 2 shown]
	v_mov_b32_e32 v105, 0
	s_mov_b32 s1, 0
	v_cmp_ne_u64_e32 vcc_lo, v[8:9], v[72:73]
                                        ; implicit-def: $sgpr6
	s_and_saveexec_b32 s8, s0
	s_cbranch_execz .LBB110_81
; %bb.58:
	ds_load_2addr_b64 v[6:9], v103 offset0:1 offset1:2
	v_cmp_ne_u64_e64 s0, v[74:75], v[82:83]
	v_cmp_ne_u64_e64 s4, v[72:73], v[80:81]
	v_dual_add_nc_u32 v5, 2, v107 :: v_dual_mov_b32 v97, 0
	v_cmp_ne_u64_e64 s1, v[78:79], v[66:67]
	v_mov_b64_e32 v[34:35], 0
	v_mov_b64_e32 v[32:33], 0
	v_cndmask_b32_e64 v1, 0, 1, s0
	v_cmp_ne_u64_e64 s0, v[76:77], v[64:65]
	v_mov_b64_e32 v[38:39], 0
	v_mov_b64_e32 v[36:37], 0
	;; [unrolled: 1-line block ×19, first 2 shown]
	v_lshlrev_b16 v1, 8, v1
	v_cndmask_b32_e64 v4, 0, 1, s4
	v_cmp_gt_u32_e64 s4, s39, v5
	v_dual_mov_b32 v90, 0 :: v_dual_mov_b32 v96, 0
	v_dual_mov_b32 v95, 0 :: v_dual_mov_b32 v89, 0
	;; [unrolled: 1-line block ×8, first 2 shown]
	v_mov_b32_e32 v105, 0
	s_mov_b32 s10, 0
                                        ; implicit-def: $sgpr6
	s_and_saveexec_b32 s9, s4
	s_cbranch_execz .LBB110_80
; %bb.59:
	v_cndmask_b32_e64 v5, 0, 1, s1
	v_cndmask_b32_e64 v10, 0, 1, s0
	v_and_b32_e32 v11, 0xffff, v1
	v_dual_mov_b32 v97, 0 :: v_dual_add_nc_u32 v12, 3, v107
	s_delay_alu instid0(VALU_DEP_4)
	v_lshlrev_b16 v5, 8, v5
	v_mov_b32_e32 v95, 0
	v_mov_b64_e32 v[34:35], 0
	v_mov_b64_e32 v[32:33], 0
	;; [unrolled: 1-line block ×3, first 2 shown]
	v_or_b32_e32 v5, v10, v5
	v_mov_b64_e32 v[36:37], 0
	v_mov_b64_e32 v[42:43], 0
	;; [unrolled: 1-line block ×4, first 2 shown]
	v_dual_lshlrev_b32 v60, 16, v5 :: v_dual_mov_b32 v94, 0
	v_mov_b64_e32 v[44:45], 0
	v_mov_b64_e32 v[62:63], 0
	;; [unrolled: 1-line block ×3, first 2 shown]
	s_delay_alu instid0(VALU_DEP_4) | instskip(SKIP_3) | instid1(VALU_DEP_4)
	v_dual_mov_b32 v91, 0 :: v_dual_bitop2_b32 v10, v11, v60 bitop3:0x54
	v_mov_b64_e32 v[30:31], 0
	v_mov_b64_e32 v[84:85], 0
	;; [unrolled: 1-line block ×3, first 2 shown]
	v_dual_mov_b32 v92, 0 :: v_dual_lshrrev_b32 v89, 8, v10
	v_mov_b64_e32 v[28:29], 0
	v_mov_b64_e32 v[22:23], 0
	;; [unrolled: 1-line block ×6, first 2 shown]
	v_dual_mov_b32 v90, 0 :: v_dual_mov_b32 v96, 0
	v_dual_mov_b32 v104, 0 :: v_dual_mov_b32 v101, 0
	v_cmp_gt_u32_e64 s0, s39, v12
	v_dual_mov_b32 v93, 0 :: v_dual_mov_b32 v102, 0
	v_dual_mov_b32 v100, 0 :: v_dual_mov_b32 v99, 0
	;; [unrolled: 1-line block ×3, first 2 shown]
	v_mov_b32_e32 v105, 0
	s_mov_b32 s1, 0
                                        ; implicit-def: $sgpr6
	s_and_saveexec_b32 s10, s0
	s_cbranch_execz .LBB110_79
; %bb.60:
	ds_load_2addr_b64 v[10:13], v103 offset0:3 offset1:4
	v_dual_mov_b32 v97, 0 :: v_dual_add_nc_u32 v14, 4, v107
	v_mov_b64_e32 v[34:35], 0
	v_mov_b64_e32 v[32:33], 0
	;; [unrolled: 1-line block ×3, first 2 shown]
	s_delay_alu instid0(VALU_DEP_4)
	v_cmp_gt_u32_e64 s0, s39, v14
	v_mov_b64_e32 v[36:37], 0
	v_mov_b64_e32 v[42:43], 0
	;; [unrolled: 1-line block ×14, first 2 shown]
	v_dual_mov_b32 v90, 0 :: v_dual_mov_b32 v96, 0
	v_dual_mov_b32 v95, 0 :: v_dual_mov_b32 v101, 0
	;; [unrolled: 1-line block ×6, first 2 shown]
	v_mov_b32_e32 v105, 0
                                        ; implicit-def: $sgpr6
	s_and_saveexec_b32 s11, s0
	s_cbranch_execz .LBB110_78
; %bb.61:
	v_dual_mov_b32 v97, 0 :: v_dual_add_nc_u32 v14, 5, v107
	v_mov_b64_e32 v[34:35], 0
	v_mov_b64_e32 v[32:33], 0
	;; [unrolled: 1-line block ×3, first 2 shown]
	s_delay_alu instid0(VALU_DEP_4)
	v_cmp_gt_u32_e64 s0, s39, v14
	v_mov_b64_e32 v[36:37], 0
	v_mov_b64_e32 v[42:43], 0
	;; [unrolled: 1-line block ×12, first 2 shown]
	v_dual_mov_b32 v90, 0 :: v_dual_mov_b32 v96, 0
	v_dual_mov_b32 v95, 0 :: v_dual_mov_b32 v94, 0
	;; [unrolled: 1-line block ×5, first 2 shown]
                                        ; implicit-def: $sgpr6
	s_and_saveexec_b32 s12, s0
	s_cbranch_execz .LBB110_77
; %bb.62:
	ds_load_2addr_b64 v[14:17], v103 offset0:5 offset1:6
	v_cmp_ne_u64_e64 s0, v[68:69], v[70:71]
	v_cmp_ne_u64_e64 s4, v[66:67], v[68:69]
	v_dual_mov_b32 v90, 0 :: v_dual_add_nc_u32 v19, 6, v107
	v_cmp_ne_u64_e64 s1, v[52:53], v[54:55]
	v_mov_b64_e32 v[34:35], 0
	v_mov_b64_e32 v[32:33], 0
	v_cndmask_b32_e64 v18, 0, 1, s0
	v_cmp_ne_u64_e64 s0, v[70:71], v[52:53]
	v_cndmask_b32_e64 v45, 0, 1, s4
	v_cmp_gt_u32_e64 s4, s39, v19
	v_mov_b64_e32 v[38:39], 0
	v_lshlrev_b16 v44, 8, v18
	v_mov_b64_e32 v[36:37], 0
	v_mov_b64_e32 v[42:43], 0
	;; [unrolled: 1-line block ×10, first 2 shown]
	v_dual_mov_b32 v96, 0 :: v_dual_mov_b32 v95, 0
	v_dual_mov_b32 v94, 0 :: v_dual_mov_b32 v91, 0
	;; [unrolled: 1-line block ×4, first 2 shown]
	v_mov_b32_e32 v98, 0
	s_mov_b32 s14, 0
                                        ; implicit-def: $sgpr6
	s_and_saveexec_b32 s13, s4
	s_cbranch_execz .LBB110_76
; %bb.63:
	v_cndmask_b32_e64 v18, 0, 1, s1
	v_cndmask_b32_e64 v19, 0, 1, s0
	v_and_b32_e32 v20, 0xffff, v44
	v_mov_b64_e32 v[34:35], 0
	v_mov_b64_e32 v[32:33], 0
	v_lshlrev_b16 v18, 8, v18
	v_mov_b32_e32 v95, 0
	v_mov_b64_e32 v[38:39], 0
	v_mov_b64_e32 v[36:37], 0
	;; [unrolled: 1-line block ×3, first 2 shown]
	v_or_b32_e32 v40, v19, v18
	v_mov_b64_e32 v[18:19], 0
	v_mov_b64_e32 v[30:31], 0
	;; [unrolled: 1-line block ×4, first 2 shown]
	v_dual_mov_b32 v92, 0 :: v_dual_lshlrev_b32 v41, 16, v40
	v_mov_b64_e32 v[28:29], 0
	v_mov_b64_e32 v[22:23], 0
	v_dual_mov_b32 v96, 0 :: v_dual_add_nc_u32 v21, 7, v107
	s_delay_alu instid0(VALU_DEP_4) | instskip(SKIP_1) | instid1(VALU_DEP_2)
	v_dual_mov_b32 v93, 0 :: v_dual_bitop2_b32 v20, v20, v41 bitop3:0x54
	v_dual_mov_b32 v94, 0 :: v_dual_mov_b32 v91, 0
	v_dual_mov_b32 v98, 0 :: v_dual_lshrrev_b32 v90, 8, v20
	s_mov_b32 s1, 0
	s_mov_b32 s14, exec_lo
                                        ; implicit-def: $sgpr6
	v_cmpx_gt_u32_e64 s39, v21
	s_cbranch_execz .LBB110_75
; %bb.64:
	ds_load_2addr_b64 v[22:25], v103 offset0:7 offset1:8
	v_dual_mov_b32 v95, 0 :: v_dual_add_nc_u32 v18, 8, v107
	v_mov_b64_e32 v[34:35], 0
	v_mov_b64_e32 v[32:33], 0
	;; [unrolled: 1-line block ×3, first 2 shown]
	s_delay_alu instid0(VALU_DEP_4)
	v_cmp_gt_u32_e64 s0, s39, v18
	v_mov_b64_e32 v[36:37], 0
	v_mov_b64_e32 v[18:19], 0
	;; [unrolled: 1-line block ×6, first 2 shown]
	v_dual_mov_b32 v94, 0 :: v_dual_mov_b32 v91, 0
	v_dual_mov_b32 v92, 0 :: v_dual_mov_b32 v93, 0
                                        ; implicit-def: $sgpr6
	s_and_saveexec_b32 s15, s0
	s_cbranch_execz .LBB110_74
; %bb.65:
	v_dual_add_nc_u32 v18, 9, v107 :: v_dual_mov_b32 v94, 0
	v_mov_b64_e32 v[34:35], 0
	v_mov_b64_e32 v[32:33], 0
	v_mov_b64_e32 v[38:39], 0
	s_delay_alu instid0(VALU_DEP_4)
	v_cmp_gt_u32_e64 s0, s39, v18
	v_mov_b64_e32 v[18:19], 0
	v_mov_b64_e32 v[30:31], 0
	;; [unrolled: 1-line block ×4, first 2 shown]
	v_dual_mov_b32 v91, 0 :: v_dual_mov_b32 v92, 0
	v_mov_b32_e32 v93, 0
                                        ; implicit-def: $sgpr6
	s_and_saveexec_b32 s22, s0
	s_cbranch_execz .LBB110_73
; %bb.66:
	ds_load_2addr_b64 v[26:29], v103 offset0:9 offset1:10
	v_cmp_ne_u64_e64 s0, v[56:57], v[58:59]
	v_cmp_ne_u64_e64 s4, v[54:55], v[56:57]
	v_dual_add_nc_u32 v19, 10, v107 :: v_dual_mov_b32 v91, 0
	v_cmp_ne_u64_e64 s1, v[48:49], v[50:51]
	v_mov_b64_e32 v[34:35], 0
	v_mov_b64_e32 v[32:33], 0
	v_cndmask_b32_e64 v18, 0, 1, s0
	v_cmp_ne_u64_e64 s0, v[58:59], v[48:49]
	v_cndmask_b32_e64 v37, 0, 1, s4
	v_cmp_gt_u32_e64 s4, s39, v19
	v_mov_b64_e32 v[30:31], 0
	v_lshlrev_b16 v36, 8, v18
	v_mov_b64_e32 v[18:19], 0
	v_mov_b64_e32 v[84:85], 0
	v_dual_mov_b32 v92, 0 :: v_dual_mov_b32 v93, 0
	s_mov_b32 s40, 0
                                        ; implicit-def: $sgpr6
	s_and_saveexec_b32 s23, s4
	s_cbranch_execz .LBB110_72
; %bb.67:
	v_cndmask_b32_e64 v18, 0, 1, s1
	v_cndmask_b32_e64 v19, 0, 1, s0
	v_mov_b64_e32 v[30:31], 0
	s_mov_b32 s4, 0
	s_mov_b32 s1, exec_lo
	v_lshlrev_b16 v18, 8, v18
                                        ; implicit-def: $sgpr6
	v_dual_add_nc_u32 v20, 11, v107 :: v_dual_mov_b32 v92, 0
	s_delay_alu instid0(VALU_DEP_2) | instskip(SKIP_1) | instid1(VALU_DEP_2)
	v_dual_mov_b32 v93, 0 :: v_dual_bitop2_b32 v34, v19, v18 bitop3:0x54
	v_and_b32_e32 v18, 0xffff, v36
	v_lshlrev_b32_e32 v35, 16, v34
	s_delay_alu instid0(VALU_DEP_1) | instskip(SKIP_1) | instid1(VALU_DEP_2)
	v_or_b32_e32 v21, v18, v35
	v_mov_b64_e32 v[18:19], 0
	v_lshrrev_b32_e32 v91, 8, v21
	v_cmpx_gt_u32_e64 s39, v20
	s_cbranch_execz .LBB110_71
; %bb.68:
	ds_load_2addr_b64 v[30:33], v103 offset0:11 offset1:12
	v_mov_b64_e32 v[18:19], 0
	v_dual_mov_b32 v93, 0 :: v_dual_add_nc_u32 v20, 12, v107
	s_mov_b32 s40, exec_lo
                                        ; implicit-def: $sgpr6
	s_delay_alu instid0(VALU_DEP_1)
	v_cmpx_gt_u32_e64 s39, v20
	s_xor_b32 s40, exec_lo, s40
	s_cbranch_execz .LBB110_70
; %bb.69:
	ds_load_b64 v[20:21], v103 offset:104
	v_add_nc_u32_e32 v18, 13, v107
	v_cmp_ne_u64_e64 s6, v[50:51], v[86:87]
	v_lshrrev_b32_e32 v93, 24, v35
	s_delay_alu instid0(VALU_DEP_3)
	v_cmp_gt_u32_e64 s0, s39, v18
	s_wait_dscnt 0x1
	v_mov_b64_e32 v[18:19], v[32:33]
	s_and_b32 s4, s0, exec_lo
.LBB110_70:
	s_or_b32 exec_lo, exec_lo, s40
	v_mov_b32_e32 v92, v34
	s_and_b32 s4, s4, exec_lo
.LBB110_71:
	s_or_b32 exec_lo, exec_lo, s1
	s_wait_dscnt 0x0
	v_mov_b64_e32 v[34:35], v[30:31]
	v_mov_b64_e32 v[32:33], v[28:29]
	;; [unrolled: 1-line block ×3, first 2 shown]
	s_and_b32 s40, s4, exec_lo
.LBB110_72:
	s_or_b32 exec_lo, exec_lo, s23
	s_wait_dscnt 0x0
	v_mov_b64_e32 v[38:39], v[26:27]
	v_or_b32_e32 v94, v37, v36
	s_and_b32 s1, s40, exec_lo
.LBB110_73:
	s_or_b32 exec_lo, exec_lo, s22
	s_wait_dscnt 0x0
	v_mov_b64_e32 v[36:37], v[24:25]
	v_mov_b64_e32 v[28:29], v[24:25]
	v_lshrrev_b32_e32 v95, 24, v41
	s_and_b32 s1, s1, exec_lo
.LBB110_74:
	s_or_b32 exec_lo, exec_lo, s15
	s_wait_dscnt 0x0
	v_mov_b64_e32 v[42:43], v[22:23]
	v_dual_mov_b32 v96, v40 :: v_dual_mov_b32 v98, v95
	s_and_b32 s1, s1, exec_lo
.LBB110_75:
	s_or_b32 exec_lo, exec_lo, s14
	s_wait_dscnt 0x0
	v_mov_b64_e32 v[40:41], v[16:17]
	v_mov_b64_e32 v[24:25], v[16:17]
	v_dual_mov_b32 v100, v90 :: v_dual_mov_b32 v99, v96
	s_and_b32 s14, s1, exec_lo
.LBB110_76:
	s_or_b32 exec_lo, exec_lo, s13
	s_wait_dscnt 0x0
	v_mov_b64_e32 v[46:47], v[14:15]
	v_or_b32_e32 v97, v45, v44
	s_and_b32 s1, s14, exec_lo
.LBB110_77:
	s_or_b32 exec_lo, exec_lo, s12
	s_delay_alu instid0(VALU_DEP_1)
	v_dual_mov_b32 v102, v97 :: v_dual_lshrrev_b32 v101, 24, v60
	s_wait_dscnt 0x0
	v_mov_b64_e32 v[44:45], v[12:13]
	v_mov_b64_e32 v[16:17], v[12:13]
	s_and_b32 s1, s1, exec_lo
	v_mov_b32_e32 v105, v101
.LBB110_78:
	s_or_b32 exec_lo, exec_lo, s11
	s_wait_dscnt 0x0
	v_mov_b64_e32 v[62:63], v[10:11]
	v_dual_mov_b32 v104, v5 :: v_dual_mov_b32 v106, v5
	s_and_b32 s1, s1, exec_lo
.LBB110_79:
	s_or_b32 exec_lo, exec_lo, s10
	s_wait_dscnt 0x0
	v_mov_b64_e32 v[60:61], v[8:9]
	v_mov_b64_e32 v[12:13], v[8:9]
	v_mov_b32_e32 v109, v89
	s_and_b32 s10, s1, exec_lo
.LBB110_80:
	s_or_b32 exec_lo, exec_lo, s9
	v_or_b32_e32 v108, v4, v1
	s_wait_dscnt 0x0
	v_mov_b64_e32 v[4:5], v[6:7]
	s_and_b32 s1, s10, exec_lo
	s_delay_alu instid0(VALU_DEP_2)
	v_mov_b32_e32 v88, v108
.LBB110_81:
	s_or_b32 exec_lo, exec_lo, s8
	v_cndmask_b32_e64 v110, 0, 1, vcc_lo
	s_and_b32 s55, s1, exec_lo
	s_delay_alu instid0(VALU_DEP_1)
	v_mov_b32_e32 v1, v110
.LBB110_82:
	s_or_b32 exec_lo, exec_lo, s7
	v_lshlrev_b32_e32 v64, 3, v0
	s_and_b32 vcc_lo, exec_lo, s5
	s_cbranch_vccz .LBB110_104
.LBB110_83:
	s_wait_dscnt 0x0
	s_clause 0xd
	flat_load_b64 v[2:3], v0, s[18:19] scale_offset
	flat_load_b64 v[4:5], v0, s[18:19] offset:2048 scale_offset
	flat_load_b64 v[6:7], v0, s[18:19] offset:4096 scale_offset
	;; [unrolled: 1-line block ×13, first 2 shown]
	v_mad_u32_u24 v48, 0x68, v0, v64
	v_mov_b32_e32 v1, 0
	s_cmp_eq_u64 s[20:21], 0
	s_wait_loadcnt_dscnt 0xc0c
	ds_store_2addr_stride64_b64 v64, v[2:3], v[4:5] offset1:4
	s_wait_loadcnt_dscnt 0xa0b
	ds_store_2addr_stride64_b64 v64, v[6:7], v[8:9] offset0:8 offset1:12
	s_wait_loadcnt_dscnt 0x80a
	ds_store_2addr_stride64_b64 v64, v[10:11], v[12:13] offset0:16 offset1:20
	s_wait_loadcnt_dscnt 0x609
	ds_store_2addr_stride64_b64 v64, v[14:15], v[16:17] offset0:24 offset1:28
	s_wait_loadcnt_dscnt 0x408
	ds_store_2addr_stride64_b64 v64, v[18:19], v[20:21] offset0:32 offset1:36
	s_wait_loadcnt_dscnt 0x207
	ds_store_2addr_stride64_b64 v64, v[22:23], v[24:25] offset0:40 offset1:44
	s_wait_loadcnt_dscnt 0x6
	ds_store_2addr_stride64_b64 v64, v[26:27], v[28:29] offset0:48 offset1:52
	s_wait_dscnt 0x0
	s_barrier_signal -1
	s_barrier_wait -1
	ds_load_b128 v[6:9], v48 offset:16
	ds_load_2addr_b64 v[10:13], v48 offset0:3 offset1:4
	ds_load_b128 v[2:5], v48
	ds_load_2addr_b64 v[14:17], v48 offset0:1 offset1:2
	ds_load_2addr_b64 v[18:21], v48 offset0:7 offset1:8
	;; [unrolled: 1-line block ×5, first 2 shown]
	ds_load_b64 v[34:35], v48 offset:104
	s_cbranch_scc1 .LBB110_101
; %bb.84:
	s_and_not1_b32 vcc_lo, exec_lo, s38
	s_cbranch_vccnz .LBB110_99
; %bb.85:
	s_lshl_b64 s[0:1], s[20:21], 3
	s_delay_alu instid0(SALU_CYCLE_1) | instskip(NEXT) | instid1(SALU_CYCLE_1)
	s_add_nc_u64 s[0:1], s[50:51], s[0:1]
	s_add_nc_u64 s[18:19], s[0:1], -8
	s_mov_b32 s0, 0
	s_branch .LBB110_100
.LBB110_86:
	flat_load_b64 v[2:3], v0, s[16:17] scale_offset
	s_wait_xcnt 0x0
	s_or_b32 exec_lo, exec_lo, s22
                                        ; implicit-def: $vgpr4_vgpr5
	s_and_saveexec_b32 s0, s1
	s_cbranch_execz .LBB110_43
.LBB110_87:
	flat_load_b64 v[4:5], v0, s[16:17] offset:2048 scale_offset
	s_wait_xcnt 0x0
	s_or_b32 exec_lo, exec_lo, s0
                                        ; implicit-def: $vgpr6_vgpr7
	s_and_saveexec_b32 s0, s4
	s_cbranch_execz .LBB110_44
.LBB110_88:
	flat_load_b64 v[6:7], v0, s[16:17] offset:4096 scale_offset
	s_wait_xcnt 0x0
	s_or_b32 exec_lo, exec_lo, s0
                                        ; implicit-def: $vgpr10_vgpr11
	s_and_saveexec_b32 s0, s5
	s_cbranch_execz .LBB110_45
.LBB110_89:
	flat_load_b64 v[10:11], v0, s[16:17] offset:6144 scale_offset
	s_wait_xcnt 0x0
	s_or_b32 exec_lo, exec_lo, s0
                                        ; implicit-def: $vgpr12_vgpr13
	s_and_saveexec_b32 s0, s6
	s_cbranch_execz .LBB110_46
.LBB110_90:
	flat_load_b64 v[12:13], v0, s[16:17] offset:8192 scale_offset
	s_wait_xcnt 0x0
	s_or_b32 exec_lo, exec_lo, s0
                                        ; implicit-def: $vgpr14_vgpr15
	s_and_saveexec_b32 s0, s7
	s_cbranch_execz .LBB110_47
.LBB110_91:
	flat_load_b64 v[14:15], v0, s[16:17] offset:10240 scale_offset
	s_wait_xcnt 0x0
	s_or_b32 exec_lo, exec_lo, s0
                                        ; implicit-def: $vgpr16_vgpr17
	s_and_saveexec_b32 s0, s8
	s_cbranch_execz .LBB110_48
.LBB110_92:
	flat_load_b64 v[16:17], v0, s[16:17] offset:12288 scale_offset
	s_wait_xcnt 0x0
	s_or_b32 exec_lo, exec_lo, s0
                                        ; implicit-def: $vgpr18_vgpr19
	s_and_saveexec_b32 s0, s9
	s_cbranch_execz .LBB110_49
.LBB110_93:
	flat_load_b64 v[18:19], v0, s[16:17] offset:14336 scale_offset
	s_wait_xcnt 0x0
	s_or_b32 exec_lo, exec_lo, s0
                                        ; implicit-def: $vgpr20_vgpr21
	s_and_saveexec_b32 s0, s10
	s_cbranch_execz .LBB110_50
.LBB110_94:
	flat_load_b64 v[20:21], v0, s[16:17] offset:16384 scale_offset
	s_wait_xcnt 0x0
	s_or_b32 exec_lo, exec_lo, s0
                                        ; implicit-def: $vgpr22_vgpr23
	s_and_saveexec_b32 s0, s11
	s_cbranch_execz .LBB110_51
.LBB110_95:
	flat_load_b64 v[22:23], v0, s[16:17] offset:18432 scale_offset
	s_wait_xcnt 0x0
	s_or_b32 exec_lo, exec_lo, s0
                                        ; implicit-def: $vgpr24_vgpr25
	s_and_saveexec_b32 s0, s12
	s_cbranch_execz .LBB110_52
.LBB110_96:
	flat_load_b64 v[24:25], v0, s[16:17] offset:20480 scale_offset
	s_wait_xcnt 0x0
	s_or_b32 exec_lo, exec_lo, s0
                                        ; implicit-def: $vgpr26_vgpr27
	s_and_saveexec_b32 s0, s13
	s_cbranch_execz .LBB110_53
.LBB110_97:
	flat_load_b64 v[26:27], v0, s[16:17] offset:22528 scale_offset
	s_wait_xcnt 0x0
	s_or_b32 exec_lo, exec_lo, s0
                                        ; implicit-def: $vgpr28_vgpr29
	s_and_saveexec_b32 s0, s14
	s_cbranch_execz .LBB110_54
.LBB110_98:
	flat_load_b64 v[28:29], v0, s[16:17] offset:24576 scale_offset
	s_wait_xcnt 0x0
	s_or_b32 exec_lo, exec_lo, s0
                                        ; implicit-def: $vgpr30_vgpr31
	s_and_saveexec_b32 s0, s15
	s_cbranch_execnz .LBB110_55
	s_branch .LBB110_56
.LBB110_99:
	s_add_nc_u64 s[18:19], s[18:19], -8
	s_mov_b32 s0, -1
.LBB110_100:
	s_delay_alu instid0(SALU_CYCLE_1)
	s_and_not1_b32 vcc_lo, exec_lo, s0
.LBB110_101:
	flat_load_b64 v[36:37], v1, s[18:19]
	s_wait_xcnt 0x0
	v_mad_i32_i24 v1, 0xffffff98, v0, v48
	s_wait_dscnt 0x1
	ds_store_b64 v1, v[34:35] offset:28672
	s_wait_loadcnt_dscnt 0x0
	s_barrier_signal -1
	s_barrier_wait -1
	s_and_saveexec_b32 s0, s3
; %bb.102:
	v_mul_i32_i24_e32 v1, 0xffffff98, v0
	s_delay_alu instid0(VALU_DEP_1)
	v_add_nc_u32_e32 v1, v48, v1
	ds_load_b64 v[36:37], v1 offset:28664
; %bb.103:
	s_or_b32 exec_lo, exec_lo, s0
	s_wait_dscnt 0x0
	s_barrier_signal -1
	s_barrier_wait -1
	s_clause 0xd
	flat_load_b64 v[38:39], v0, s[16:17] scale_offset
	flat_load_b64 v[40:41], v0, s[16:17] offset:2048 scale_offset
	flat_load_b64 v[42:43], v0, s[16:17] offset:4096 scale_offset
	;; [unrolled: 1-line block ×13, first 2 shown]
	v_cmp_ne_u64_e32 vcc_lo, v[30:31], v[32:33]
	v_cmp_ne_u64_e64 s6, v[28:29], v[34:35]
	s_mov_b32 s55, -1
	s_wait_loadcnt_dscnt 0xc0c
	ds_store_2addr_stride64_b64 v64, v[38:39], v[40:41] offset1:4
	s_wait_loadcnt_dscnt 0xa0b
	ds_store_2addr_stride64_b64 v64, v[42:43], v[44:45] offset0:8 offset1:12
	s_wait_loadcnt_dscnt 0x80a
	ds_store_2addr_stride64_b64 v64, v[46:47], v[50:51] offset0:16 offset1:20
	;; [unrolled: 2-line block ×6, first 2 shown]
	v_cndmask_b32_e64 v1, 0, 1, vcc_lo
	v_cmp_ne_u64_e32 vcc_lo, v[20:21], v[30:31]
	s_wait_dscnt 0x0
	s_barrier_signal -1
	s_barrier_wait -1
	v_cndmask_b32_e64 v30, 0, 1, vcc_lo
	v_cmp_ne_u64_e32 vcc_lo, v[26:27], v[28:29]
	v_cndmask_b32_e64 v28, 0, 1, vcc_lo
	v_cmp_ne_u64_e32 vcc_lo, v[32:33], v[26:27]
	;; [unrolled: 2-line block ×8, first 2 shown]
	s_delay_alu instid0(VALU_DEP_2) | instskip(SKIP_3) | instid1(VALU_DEP_3)
	v_lshlrev_b16 v4, 8, v4
	v_cndmask_b32_e64 v5, 0, 1, vcc_lo
	v_cmp_ne_u64_e32 vcc_lo, v[8:9], v[12:13]
	v_lshlrev_b16 v9, 8, v20
	v_or_b32_e32 v108, v5, v4
	v_cndmask_b32_e64 v8, 0, 1, vcc_lo
	v_cmp_ne_u64_e32 vcc_lo, v[6:7], v[10:11]
	v_lshlrev_b16 v7, 8, v27
	s_delay_alu instid0(VALU_DEP_3)
	v_lshlrev_b16 v8, 8, v8
	v_cndmask_b32_e64 v6, 0, 1, vcc_lo
	v_cmp_ne_u64_e32 vcc_lo, v[36:37], v[2:3]
	v_lshlrev_b16 v3, 8, v28
	v_lshlrev_b16 v2, 8, v1
	ds_load_b128 v[36:39], v48 offset:64
	ds_load_b128 v[32:35], v48 offset:80
	v_or_b32_e32 v104, v6, v8
	v_or_b32_e32 v97, v22, v7
	;; [unrolled: 1-line block ×3, first 2 shown]
	v_cndmask_b32_e64 v110, 0, 1, vcc_lo
	v_and_b32_e32 v6, 0xffff, v4
	s_delay_alu instid0(VALU_DEP_4) | instskip(NEXT) | instid1(VALU_DEP_4)
	v_dual_mov_b32 v102, v97 :: v_dual_lshlrev_b32 v9, 16, v104
	v_dual_lshlrev_b32 v8, 16, v96 :: v_dual_bitop2_b32 v92, v26, v3 bitop3:0x54
	v_or_b32_e32 v94, v30, v2
	v_and_b32_e32 v2, 0xffff, v2
	s_delay_alu instid0(VALU_DEP_3)
	v_dual_mov_b32 v1, v110 :: v_dual_lshlrev_b32 v3, 16, v92
	ds_load_b128 v[44:47], v48 offset:32
	ds_load_b128 v[40:43], v48 offset:48
	v_and_b32_e32 v7, 0xffff, v7
	v_dual_lshrrev_b32 v101, 24, v9 :: v_dual_bitop2_b32 v6, v6, v9 bitop3:0x54
	v_dual_lshrrev_b32 v93, 24, v3 :: v_dual_bitop2_b32 v10, v2, v3 bitop3:0x54
	ds_load_b128 v[2:5], v48
	ds_load_b128 v[60:63], v48 offset:16
	ds_load_b128 v[18:21], v48 offset:96
	v_dual_lshrrev_b32 v95, 24, v8 :: v_dual_bitop2_b32 v7, v7, v8 bitop3:0x54
	v_lshrrev_b32_e32 v91, 8, v10
	v_lshrrev_b32_e32 v89, 8, v6
	s_wait_dscnt 0x5
	v_mov_b64_e32 v[30:31], v[34:35]
	v_lshrrev_b32_e32 v90, 8, v7
	v_mov_b64_e32 v[84:85], v[32:33]
	v_mov_b64_e32 v[26:27], v[38:39]
	;; [unrolled: 1-line block ×3, first 2 shown]
	v_dual_mov_b32 v99, v96 :: v_dual_mov_b32 v88, v108
	v_mov_b32_e32 v106, v104
	s_wait_dscnt 0x3
	v_mov_b64_e32 v[22:23], v[42:43]
	v_mov_b64_e32 v[24:25], v[40:41]
	;; [unrolled: 1-line block ×4, first 2 shown]
	v_mov_b32_e32 v98, v95
	s_wait_dscnt 0x2
	v_mov_b64_e32 v[6:7], v[4:5]
	s_wait_dscnt 0x1
	v_mov_b64_e32 v[12:13], v[60:61]
	v_mov_b64_e32 v[10:11], v[62:63]
	v_dual_mov_b32 v105, v101 :: v_dual_mov_b32 v100, v90
	v_mov_b32_e32 v109, v89
.LBB110_104:
	v_mov_b64_e32 v[8:9], 0
	v_mov_b32_e32 v65, 0
	s_and_saveexec_b32 s0, s55
	s_cbranch_execz .LBB110_106
; %bb.105:
	v_mov_b64_e32 v[6:7], v[4:5]
	v_mov_b64_e32 v[12:13], v[60:61]
	;; [unrolled: 1-line block ×11, first 2 shown]
	s_wait_dscnt 0x0
	v_mov_b64_e32 v[8:9], v[20:21]
	v_cndmask_b32_e64 v65, 0, 1, s6
	v_dual_mov_b32 v1, v110 :: v_dual_mov_b32 v88, v108
	v_dual_mov_b32 v109, v89 :: v_dual_mov_b32 v106, v104
	;; [unrolled: 1-line block ×4, first 2 shown]
	v_mov_b32_e32 v98, v95
.LBB110_106:
	s_or_b32 exec_lo, exec_lo, s0
	v_dual_lshrrev_b32 v63, 1, v0 :: v_dual_bitop2_b32 v66, 1, v109 bitop3:0x40
	v_and_b32_e32 v62, 1, v102
	s_delay_alu instid0(VALU_DEP_3)
	v_and_b32_e32 v61, 1, v98
	v_and_b32_e32 v60, 1, v92
	;; [unrolled: 1-line block ×6, first 2 shown]
	v_cmp_eq_u32_e64 s15, 1, v66
	v_bitop3_b16 v68, v105, 0xff, v106 bitop3:0xc8
	v_and_b32_e32 v74, 0xff, v98
	v_and_b32_e32 v76, 0xff, v99
	;; [unrolled: 1-line block ×4, first 2 shown]
	v_cmp_eq_u32_e64 s16, 1, v62
	v_bitop3_b16 v69, v99, 0xff, v100 bitop3:0xc8
	v_cmp_eq_u32_e64 s17, 1, v61
	v_and_b32_e32 v71, 0xff, v93
	v_and_b32_e32 v72, 0xff, v92
	;; [unrolled: 1-line block ×4, first 2 shown]
	v_bitop3_b16 v70, v91, 0xff, v94 bitop3:0xc8
	v_cmp_eq_u32_e64 s18, 1, v60
	v_cmp_eq_u16_e64 s0, 0, v65
	v_bitop3_b16 v67, v65, 0xff, v93 bitop3:0xc8
	s_cmp_lg_u32 s54, 0
	s_wait_dscnt 0x0
	v_cmp_gt_u32_e32 vcc_lo, 32, v0
	s_barrier_signal -1
	s_barrier_wait -1
	s_cbranch_scc0 .LBB110_156
; %bb.107:
	v_cmp_eq_u16_e64 s1, 0, v82
	v_cmp_eq_u16_e64 s4, 0, v81
	;; [unrolled: 1-line block ×5, first 2 shown]
	v_dual_cndmask_b32 v5, 0, v3, s1 :: v_dual_cndmask_b32 v4, 0, v2, s1
	v_cmp_eq_u16_e64 s8, 0, v77
	v_cmp_eq_u16_e64 s9, 0, v76
	;; [unrolled: 1-line block ×4, first 2 shown]
	v_add_nc_u64_e32 v[4:5], v[4:5], v[6:7]
	v_cmp_eq_u16_e64 s12, 0, v73
	v_cmp_eq_u16_e64 s13, 0, v72
	;; [unrolled: 1-line block ×3, first 2 shown]
	v_cmp_ne_u16_e64 s21, 0, v70
	v_bitop3_b16 v20, v88, 0xff, v1 bitop3:0xc8
	v_cmp_ne_u16_e64 s20, 0, v69
	v_dual_cndmask_b32 v5, 0, v5, s4 :: v_dual_cndmask_b32 v4, 0, v4, s4
	v_cmp_ne_u16_e64 s22, 0, v67
	v_cmp_ne_u16_e64 s19, 0, v68
	s_or_b32 s18, s21, s18
	v_cmp_ne_u16_e64 s23, 0, v20
	v_add_nc_u64_e32 v[4:5], v[4:5], v[12:13]
	s_or_b32 s17, s20, s17
	s_or_b32 s18, s22, s18
	s_or_b32 s16, s19, s16
	s_or_b32 s17, s18, s17
	v_and_b32_e32 v21, 0x70, v63
	s_or_b32 s15, s23, s15
	v_dual_cndmask_b32 v5, 0, v5, s5 :: v_dual_cndmask_b32 v4, 0, v4, s5
	s_or_b32 s16, s17, s16
	s_delay_alu instid0(VALU_DEP_2) | instskip(SKIP_1) | instid1(VALU_DEP_2)
	v_lshl_add_u32 v20, v0, 4, v21
	s_or_b32 s18, s16, s15
	v_add_nc_u64_e32 v[4:5], v[4:5], v[10:11]
	v_cndmask_b32_e64 v35, 0, 1, s18
	s_delay_alu instid0(VALU_DEP_2) | instskip(NEXT) | instid1(VALU_DEP_1)
	v_dual_cndmask_b32 v5, 0, v5, s6 :: v_dual_cndmask_b32 v4, 0, v4, s6
	v_add_nc_u64_e32 v[4:5], v[4:5], v[16:17]
	s_delay_alu instid0(VALU_DEP_1) | instskip(NEXT) | instid1(VALU_DEP_1)
	v_dual_cndmask_b32 v5, 0, v5, s7 :: v_dual_cndmask_b32 v4, 0, v4, s7
	v_add_nc_u64_e32 v[4:5], v[4:5], v[14:15]
	s_delay_alu instid0(VALU_DEP_1) | instskip(NEXT) | instid1(VALU_DEP_1)
	v_dual_cndmask_b32 v5, 0, v5, s8 :: v_dual_cndmask_b32 v4, 0, v4, s8
	v_add_nc_u64_e32 v[4:5], v[4:5], v[24:25]
	s_delay_alu instid0(VALU_DEP_1) | instskip(NEXT) | instid1(VALU_DEP_1)
	v_dual_cndmask_b32 v5, 0, v5, s9 :: v_dual_cndmask_b32 v4, 0, v4, s9
	v_add_nc_u64_e32 v[4:5], v[4:5], v[22:23]
	s_delay_alu instid0(VALU_DEP_1) | instskip(NEXT) | instid1(VALU_DEP_1)
	v_dual_cndmask_b32 v5, 0, v5, s10 :: v_dual_cndmask_b32 v4, 0, v4, s10
	v_add_nc_u64_e32 v[4:5], v[4:5], v[28:29]
	s_delay_alu instid0(VALU_DEP_1) | instskip(NEXT) | instid1(VALU_DEP_1)
	v_dual_cndmask_b32 v5, 0, v5, s11 :: v_dual_cndmask_b32 v4, 0, v4, s11
	v_add_nc_u64_e32 v[4:5], v[4:5], v[26:27]
	s_delay_alu instid0(VALU_DEP_1) | instskip(NEXT) | instid1(VALU_DEP_1)
	v_dual_cndmask_b32 v5, 0, v5, s12 :: v_dual_cndmask_b32 v4, 0, v4, s12
	v_add_nc_u64_e32 v[4:5], v[4:5], v[84:85]
	s_delay_alu instid0(VALU_DEP_1) | instskip(NEXT) | instid1(VALU_DEP_1)
	v_dual_cndmask_b32 v5, 0, v5, s13 :: v_dual_cndmask_b32 v4, 0, v4, s13
	v_add_nc_u64_e32 v[4:5], v[4:5], v[30:31]
	s_delay_alu instid0(VALU_DEP_1) | instskip(NEXT) | instid1(VALU_DEP_1)
	v_dual_cndmask_b32 v5, 0, v5, s14 :: v_dual_cndmask_b32 v4, 0, v4, s14
	v_add_nc_u64_e32 v[4:5], v[4:5], v[18:19]
	s_delay_alu instid0(VALU_DEP_1) | instskip(NEXT) | instid1(VALU_DEP_1)
	v_dual_cndmask_b32 v5, 0, v5, s0 :: v_dual_cndmask_b32 v4, 0, v4, s0
	v_add_nc_u64_e32 v[4:5], v[4:5], v[8:9]
	ds_store_b64 v20, v[4:5]
	ds_store_b8 v20, v35 offset:8
	s_wait_dscnt 0x0
	s_barrier_signal -1
	s_barrier_wait -1
	s_and_saveexec_b32 s19, vcc_lo
	s_cbranch_execz .LBB110_119
; %bb.108:
	v_dual_lshlrev_b32 v20, 2, v0 :: v_dual_lshlrev_b32 v21, 7, v0
	s_delay_alu instid0(VALU_DEP_1) | instskip(NEXT) | instid1(VALU_DEP_1)
	v_and_b32_e32 v20, 0x3f0, v20
	v_add_nc_u32_e32 v34, v20, v21
	ds_load_u8 v37, v34 offset:24
	ds_load_b64 v[20:21], v34
	ds_load_2addr_b64 v[38:41], v34 offset0:2 offset1:4
	ds_load_u8 v46, v34 offset:40
	ds_load_b32 v36, v34 offset:8
	ds_load_u8 v47, v34 offset:56
	ds_load_u8 v48, v34 offset:72
	;; [unrolled: 1-line block ×4, first 2 shown]
	s_wait_dscnt 0x8
	v_cmp_eq_u16_e64 s15, 0, v37
	s_wait_dscnt 0x7
	s_delay_alu instid0(VALU_DEP_1)
	v_dual_cndmask_b32 v33, 0, v21, s15 :: v_dual_cndmask_b32 v32, 0, v20, s15
	s_wait_dscnt 0x5
	v_cmp_eq_u16_e64 s15, 0, v46
	ds_load_2addr_b64 v[42:45], v34 offset0:6 offset1:8
	s_wait_dscnt 0x4
	v_bitop3_b16 v37, v46, v47, v37 bitop3:0xfe
	v_add_nc_u64_e32 v[32:33], v[32:33], v[38:39]
	s_delay_alu instid0(VALU_DEP_1) | instskip(SKIP_1) | instid1(VALU_DEP_2)
	v_dual_cndmask_b32 v33, 0, v33, s15 :: v_dual_cndmask_b32 v32, 0, v32, s15
	v_cmp_eq_u16_e64 s15, 0, v47
	v_add_nc_u64_e32 v[32:33], v[32:33], v[40:41]
	ds_load_2addr_b64 v[38:41], v34 offset0:10 offset1:12
	ds_load_u8 v51, v34 offset:120
	v_dual_cndmask_b32 v33, 0, v33, s15 :: v_dual_cndmask_b32 v32, 0, v32, s15
	s_wait_dscnt 0x5
	v_cmp_eq_u16_e64 s15, 0, v48
	s_wait_dscnt 0x2
	s_delay_alu instid0(VALU_DEP_2) | instskip(SKIP_1) | instid1(VALU_DEP_2)
	v_add_nc_u64_e32 v[32:33], v[32:33], v[42:43]
	v_bitop3_b16 v42, v49, v50, v48 bitop3:0xfe
	v_dual_cndmask_b32 v33, 0, v33, s15 :: v_dual_cndmask_b32 v32, 0, v32, s15
	v_cmp_eq_u16_e64 s15, 0, v49
	s_wait_dscnt 0x0
	s_delay_alu instid0(VALU_DEP_3) | instskip(SKIP_3) | instid1(VALU_DEP_1)
	v_bitop3_b16 v37, v51, v37, v42 bitop3:0xfe
	ds_load_b64 v[42:43], v34 offset:112
	v_cmp_eq_u16_e64 s17, 0, v51
	v_add_nc_u64_e32 v[32:33], v[32:33], v[44:45]
	v_dual_cndmask_b32 v32, 0, v32, s15 :: v_dual_bitop2_b32 v37, 1, v37 bitop3:0x40
	s_delay_alu instid0(VALU_DEP_2) | instskip(SKIP_1) | instid1(VALU_DEP_3)
	v_cndmask_b32_e64 v33, 0, v33, s15
	v_cmp_eq_u16_e64 s15, 0, v50
	v_cmp_eq_u32_e64 s16, 1, v37
	v_and_b32_e32 v37, 0xffffff00, v36
	s_delay_alu instid0(VALU_DEP_4) | instskip(NEXT) | instid1(VALU_DEP_1)
	v_add_nc_u64_e32 v[32:33], v[32:33], v[38:39]
	v_dual_cndmask_b32 v33, 0, v33, s15 :: v_dual_bitop2_b32 v38, 1, v36 bitop3:0x40
	s_delay_alu instid0(VALU_DEP_2) | instskip(NEXT) | instid1(VALU_DEP_2)
	v_cndmask_b32_e64 v32, 0, v32, s15
	v_cmp_eq_u32_e64 s15, 1, v38
	v_mbcnt_lo_u32_b32 v38, -1, 0
	s_delay_alu instid0(VALU_DEP_3) | instskip(SKIP_1) | instid1(SALU_CYCLE_1)
	v_add_nc_u64_e32 v[32:33], v[32:33], v[40:41]
	s_or_b32 s16, s16, s15
	v_cndmask_b32_e64 v40, 0, 1, s16
	v_cndmask_b32_e64 v39, 0, 1, s16
	s_delay_alu instid0(VALU_DEP_3) | instskip(NEXT) | instid1(VALU_DEP_3)
	v_dual_cndmask_b32 v33, 0, v33, s17 :: v_dual_cndmask_b32 v32, 0, v32, s17
	v_or_b32_e32 v41, v37, v40
	v_and_b32_e32 v40, 15, v38
	s_mov_b32 s17, exec_lo
	s_wait_dscnt 0x0
	v_add_nc_u64_e32 v[32:33], v[32:33], v[42:43]
	v_mov_b32_dpp v43, v41 row_shr:1 row_mask:0xf bank_mask:0xf
	s_delay_alu instid0(VALU_DEP_2) | instskip(NEXT) | instid1(VALU_DEP_3)
	v_mov_b32_dpp v42, v32 row_shr:1 row_mask:0xf bank_mask:0xf
	v_mov_b32_dpp v44, v33 row_shr:1 row_mask:0xf bank_mask:0xf
	v_cmpx_ne_u32_e32 0, v40
; %bb.109:
	s_delay_alu instid0(VALU_DEP_4) | instskip(NEXT) | instid1(VALU_DEP_3)
	v_bitop3_b16 v39, v43, v39, 1 bitop3:0xec
	v_cndmask_b32_e64 v43, v44, 0, s16
	v_cndmask_b32_e64 v42, v42, 0, s16
	s_delay_alu instid0(VALU_DEP_3) | instskip(NEXT) | instid1(VALU_DEP_2)
	v_and_b32_e32 v41, 0xffff, v39
	v_add_nc_u64_e32 v[32:33], v[42:43], v[32:33]
	s_delay_alu instid0(VALU_DEP_2)
	v_or_b32_e32 v41, v37, v41
; %bb.110:
	s_or_b32 exec_lo, exec_lo, s17
	s_delay_alu instid0(VALU_DEP_2) | instskip(NEXT) | instid1(VALU_DEP_3)
	v_mov_b32_dpp v42, v32 row_shr:2 row_mask:0xf bank_mask:0xf
	v_mov_b32_dpp v43, v33 row_shr:2 row_mask:0xf bank_mask:0xf
	s_delay_alu instid0(VALU_DEP_3)
	v_mov_b32_dpp v44, v41 row_shr:2 row_mask:0xf bank_mask:0xf
	s_mov_b32 s20, exec_lo
	v_cmpx_lt_u32_e32 1, v40
	s_cbranch_execz .LBB110_112
; %bb.111:
	v_cmp_eq_u16_e64 s15, 0, v39
	v_and_b32_e32 v41, 1, v39
	s_delay_alu instid0(VALU_DEP_2) | instskip(SKIP_1) | instid1(VALU_DEP_3)
	v_dual_cndmask_b32 v43, 0, v43, s15 :: v_dual_bitop2_b32 v44, 1, v44 bitop3:0x40
	v_cndmask_b32_e64 v42, 0, v42, s15
	v_cmp_eq_u32_e64 s16, 1, v41
	s_delay_alu instid0(VALU_DEP_3) | instskip(NEXT) | instid1(VALU_DEP_3)
	v_cmp_eq_u32_e64 s17, 1, v44
	v_add_nc_u64_e32 v[32:33], v[42:43], v[32:33]
	s_or_b32 s15, s16, s17
	s_delay_alu instid0(SALU_CYCLE_1) | instskip(SKIP_1) | instid1(VALU_DEP_2)
	v_cndmask_b32_e64 v41, 0, 1, s15
	v_cndmask_b32_e64 v39, 0, 1, s15
	v_or_b32_e32 v41, v37, v41
.LBB110_112:
	s_or_b32 exec_lo, exec_lo, s20
	s_delay_alu instid0(VALU_DEP_4) | instskip(SKIP_1) | instid1(VALU_DEP_3)
	v_mov_b32_dpp v42, v32 row_shr:4 row_mask:0xf bank_mask:0xf
	v_mov_b32_dpp v43, v33 row_shr:4 row_mask:0xf bank_mask:0xf
	;; [unrolled: 1-line block ×3, first 2 shown]
	s_mov_b32 s20, exec_lo
	v_cmpx_lt_u32_e32 3, v40
	s_cbranch_execz .LBB110_114
; %bb.113:
	v_cmp_eq_u16_e64 s15, 0, v39
	v_and_b32_e32 v41, 1, v39
	s_delay_alu instid0(VALU_DEP_2) | instskip(SKIP_1) | instid1(VALU_DEP_3)
	v_dual_cndmask_b32 v43, 0, v43, s15 :: v_dual_bitop2_b32 v44, 1, v44 bitop3:0x40
	v_cndmask_b32_e64 v42, 0, v42, s15
	v_cmp_eq_u32_e64 s16, 1, v41
	s_delay_alu instid0(VALU_DEP_3) | instskip(NEXT) | instid1(VALU_DEP_3)
	v_cmp_eq_u32_e64 s17, 1, v44
	v_add_nc_u64_e32 v[32:33], v[42:43], v[32:33]
	s_or_b32 s15, s16, s17
	s_delay_alu instid0(SALU_CYCLE_1) | instskip(SKIP_1) | instid1(VALU_DEP_2)
	v_cndmask_b32_e64 v41, 0, 1, s15
	v_cndmask_b32_e64 v39, 0, 1, s15
	v_or_b32_e32 v41, v37, v41
.LBB110_114:
	s_or_b32 exec_lo, exec_lo, s20
	s_delay_alu instid0(VALU_DEP_4) | instskip(SKIP_1) | instid1(VALU_DEP_3)
	v_mov_b32_dpp v42, v32 row_shr:8 row_mask:0xf bank_mask:0xf
	v_mov_b32_dpp v43, v33 row_shr:8 row_mask:0xf bank_mask:0xf
	;; [unrolled: 1-line block ×3, first 2 shown]
	s_mov_b32 s20, exec_lo
	v_cmpx_lt_u32_e32 7, v40
	s_cbranch_execz .LBB110_116
; %bb.115:
	v_and_b32_e32 v40, 1, v39
	v_cmp_eq_u16_e64 s15, 0, v39
	v_and_b32_e32 v41, 1, v44
	s_delay_alu instid0(VALU_DEP_3) | instskip(NEXT) | instid1(VALU_DEP_3)
	v_cmp_eq_u32_e64 s16, 1, v40
	v_cndmask_b32_e64 v40, 0, v42, s15
	s_delay_alu instid0(VALU_DEP_3) | instskip(SKIP_2) | instid1(VALU_DEP_1)
	v_cmp_eq_u32_e64 s17, 1, v41
	v_cndmask_b32_e64 v41, 0, v43, s15
	s_or_b32 s15, s16, s17
	v_add_nc_u64_e32 v[32:33], v[40:41], v[32:33]
	v_cndmask_b32_e64 v42, 0, 1, s15
	v_cndmask_b32_e64 v39, 0, 1, s15
	s_delay_alu instid0(VALU_DEP_2)
	v_or_b32_e32 v41, v37, v42
.LBB110_116:
	s_or_b32 exec_lo, exec_lo, s20
	ds_swizzle_b32 v40, v32 offset:swizzle(BROADCAST,32,15)
	ds_swizzle_b32 v42, v33 offset:swizzle(BROADCAST,32,15)
	;; [unrolled: 1-line block ×3, first 2 shown]
	v_and_b32_e32 v43, 16, v38
	s_mov_b32 s17, exec_lo
	s_delay_alu instid0(VALU_DEP_1)
	v_cmpx_ne_u32_e32 0, v43
	s_cbranch_execz .LBB110_118
; %bb.117:
	v_cmp_eq_u16_e64 s15, 0, v39
	v_and_b32_e32 v39, 1, v39
	s_wait_dscnt 0x0
	s_delay_alu instid0(VALU_DEP_2) | instskip(SKIP_1) | instid1(VALU_DEP_3)
	v_dual_cndmask_b32 v40, 0, v40, s15 :: v_dual_bitop2_b32 v43, 1, v41 bitop3:0x40
	v_cndmask_b32_e64 v41, 0, v42, s15
	v_cmp_eq_u32_e64 s15, 1, v39
	s_delay_alu instid0(VALU_DEP_3) | instskip(NEXT) | instid1(VALU_DEP_3)
	v_cmp_eq_u32_e64 s16, 1, v43
	v_add_nc_u64_e32 v[32:33], v[40:41], v[32:33]
	s_or_b32 s15, s15, s16
	s_delay_alu instid0(SALU_CYCLE_1)
	v_cndmask_b32_e64 v39, 0, 1, s15
.LBB110_118:
	s_or_b32 exec_lo, exec_lo, s17
	s_wait_dscnt 0x2
	v_add_nc_u32_e32 v40, -1, v38
	s_delay_alu instid0(VALU_DEP_2) | instskip(NEXT) | instid1(VALU_DEP_2)
	v_and_b32_e32 v39, 0xffff, v39
	; wave barrier
	v_cmp_gt_i32_e64 s15, 0, v40
	s_delay_alu instid0(VALU_DEP_1) | instskip(NEXT) | instid1(VALU_DEP_1)
	v_dual_cndmask_b32 v38, v40, v38, s15 :: v_dual_bitop2_b32 v37, v37, v39 bitop3:0x54
	v_lshlrev_b32_e32 v38, 2, v38
	ds_bpermute_b32 v33, v38, v33
	ds_bpermute_b32 v32, v38, v32
	ds_bpermute_b32 v37, v38, v37
	v_and_b32_e32 v38, 0xff, v36
	s_delay_alu instid0(VALU_DEP_1) | instskip(SKIP_1) | instid1(VALU_DEP_1)
	v_cmp_eq_u32_e64 s15, 0, v38
	s_wait_dscnt 0x1
	v_dual_cndmask_b32 v33, 0, v33, s15 :: v_dual_cndmask_b32 v32, 0, v32, s15
	s_wait_dscnt 0x0
	v_or_b32_e32 v36, v37, v36
	s_delay_alu instid0(VALU_DEP_2) | instskip(NEXT) | instid1(VALU_DEP_1)
	v_add_nc_u64_e32 v[20:21], v[32:33], v[20:21]
	v_dual_cndmask_b32 v21, v21, v5, s2 :: v_dual_bitop2_b32 v32, 1, v36 bitop3:0x40
	s_delay_alu instid0(VALU_DEP_2) | instskip(NEXT) | instid1(VALU_DEP_2)
	v_cndmask_b32_e64 v20, v20, v4, s2
	v_cndmask_b32_e64 v35, v32, v35, s2
	ds_store_b64 v34, v[20:21]
	ds_store_b8 v34, v35 offset:8
	; wave barrier
	ds_load_u8 v48, v34 offset:24
	ds_load_2addr_b64 v[36:39], v34 offset0:2 offset1:4
	ds_load_u8 v49, v34 offset:40
	ds_load_u8 v50, v34 offset:56
	;; [unrolled: 1-line block ×5, first 2 shown]
	ds_load_b64 v[32:33], v34 offset:112
	ds_load_u8 v54, v34 offset:120
	s_wait_dscnt 0x8
	v_and_b32_e32 v40, 0xff, v48
	v_bitop3_b16 v56, v48, 1, v35 bitop3:0xc8
	s_wait_dscnt 0x5
	v_and_b32_e32 v46, 0xff, v50
	s_delay_alu instid0(VALU_DEP_3) | instskip(SKIP_3) | instid1(VALU_DEP_3)
	v_cmp_eq_u16_e64 s15, 0, v40
	v_and_b32_e32 v40, 0xff, v49
	s_wait_dscnt 0x3
	v_and_b32_e32 v55, 0xff, v52
	v_dual_cndmask_b32 v21, 0, v21, s15 :: v_dual_cndmask_b32 v20, 0, v20, s15
	s_delay_alu instid0(VALU_DEP_3) | instskip(SKIP_2) | instid1(VALU_DEP_1)
	v_cmp_eq_u16_e64 s15, 0, v40
	ds_load_2addr_b64 v[40:43], v34 offset0:6 offset1:8
	v_add_nc_u64_e32 v[20:21], v[20:21], v[36:37]
	v_dual_cndmask_b32 v37, 0, v21, s15 :: v_dual_cndmask_b32 v36, 0, v20, s15
	v_cmp_eq_u16_e64 s15, 0, v46
	s_delay_alu instid0(VALU_DEP_2) | instskip(SKIP_1) | instid1(VALU_DEP_2)
	v_add_nc_u64_e32 v[44:45], v[36:37], v[38:39]
	v_and_b32_e32 v38, 0xff, v51
	v_dual_cndmask_b32 v37, 0, v45, s15 :: v_dual_cndmask_b32 v36, 0, v44, s15
	s_delay_alu instid0(VALU_DEP_2) | instskip(SKIP_1) | instid1(VALU_DEP_2)
	v_cmp_eq_u16_e64 s15, 0, v38
	s_wait_dscnt 0x0
	v_add_nc_u64_e32 v[40:41], v[36:37], v[40:41]
	ds_load_2addr_b64 v[36:39], v34 offset0:10 offset1:12
	v_dual_cndmask_b32 v47, 0, v41, s15 :: v_dual_cndmask_b32 v46, 0, v40, s15
	v_cmp_eq_u16_e64 s15, 0, v55
	v_and_b32_e32 v55, 0xff, v53
	s_delay_alu instid0(VALU_DEP_3) | instskip(NEXT) | instid1(VALU_DEP_1)
	v_add_nc_u64_e32 v[42:43], v[46:47], v[42:43]
	v_dual_cndmask_b32 v47, 0, v43, s15 :: v_dual_cndmask_b32 v46, 0, v42, s15
	s_delay_alu instid0(VALU_DEP_3) | instskip(SKIP_4) | instid1(VALU_DEP_3)
	v_cmp_eq_u16_e64 s15, 0, v55
	v_or_b32_e32 v55, v48, v35
	v_bitop3_b16 v35, v49, v48, v35 bitop3:0xfe
	s_wait_dscnt 0x0
	v_add_nc_u64_e32 v[36:37], v[46:47], v[36:37]
	v_bitop3_b16 v48, v50, v49, v55 bitop3:0xfe
	v_bitop3_b16 v49, v49, 1, v55 bitop3:0xc8
	v_bitop3_b16 v55, v50, 1, v35 bitop3:0xc8
	v_bitop3_b16 v35, v51, v50, v35 bitop3:0xfe
	v_dual_cndmask_b32 v47, 0, v37, s15 :: v_dual_cndmask_b32 v46, 0, v36, s15
	v_cmp_eq_u16_e64 s15, 0, v54
	s_delay_alu instid0(VALU_DEP_3) | instskip(SKIP_1) | instid1(VALU_DEP_4)
	v_bitop3_b16 v50, v53, v52, v35 bitop3:0xfe
	v_bitop3_b16 v35, v52, 1, v35 bitop3:0xc8
	v_add_nc_u64_e32 v[38:39], v[46:47], v[38:39]
	v_bitop3_b16 v46, v52, v51, v48 bitop3:0xfe
	v_bitop3_b16 v48, v51, 1, v48 bitop3:0xc8
	ds_store_2addr_b64 v34, v[20:21], v[44:45] offset0:2 offset1:4
	ds_store_2addr_b64 v34, v[40:41], v[42:43] offset0:6 offset1:8
	;; [unrolled: 1-line block ×3, first 2 shown]
	v_bitop3_b16 v51, v53, 1, v46 bitop3:0xc8
	v_dual_cndmask_b32 v47, 0, v39, s15 :: v_dual_cndmask_b32 v46, 0, v38, s15
	v_bitop3_b16 v50, v54, 1, v50 bitop3:0xc8
	s_delay_alu instid0(VALU_DEP_2)
	v_add_nc_u64_e32 v[20:21], v[46:47], v[32:33]
	ds_store_b8 v34, v56 offset:24
	ds_store_b8 v34, v49 offset:40
	;; [unrolled: 1-line block ×6, first 2 shown]
	ds_store_b64 v34, v[20:21] offset:112
	ds_store_b8 v34, v50 offset:120
.LBB110_119:
	s_or_b32 exec_lo, exec_lo, s19
	s_wait_dscnt 0x0
	s_barrier_signal -1
	s_barrier_wait -1
	s_and_saveexec_b32 s16, s3
	s_cbranch_execz .LBB110_121
; %bb.120:
	v_add_nc_u32_e32 v4, -1, v0
	s_and_not1_b32 s17, s18, exec_lo
	s_delay_alu instid0(VALU_DEP_1) | instskip(NEXT) | instid1(VALU_DEP_1)
	v_lshrrev_b32_e32 v5, 1, v4
	v_and_b32_e32 v5, 0x7ffffff0, v5
	s_delay_alu instid0(VALU_DEP_1) | instskip(SKIP_4) | instid1(VALU_DEP_1)
	v_lshl_add_u32 v4, v4, 4, v5
	ds_load_u8 v20, v4 offset:8
	ds_load_b64 v[4:5], v4
	s_wait_dscnt 0x1
	v_and_b32_e32 v20, 1, v20
	v_cmp_eq_u32_e64 s15, 1, v20
	s_and_b32 s15, s15, exec_lo
	s_delay_alu instid0(SALU_CYCLE_1)
	s_or_b32 s18, s17, s15
.LBB110_121:
	s_or_b32 exec_lo, exec_lo, s16
	s_and_saveexec_b32 s19, vcc_lo
	s_cbranch_execz .LBB110_209
; %bb.122:
	v_mov_b32_e32 v35, 0
	v_mbcnt_lo_u32_b32 v39, -1, 0
	s_mov_b32 s17, 0
	ds_load_b64 v[20:21], v35 offset:4192
	ds_load_u8 v38, v35 offset:4200
	v_cmp_eq_u32_e64 s15, 0, v39
	s_and_saveexec_b32 s20, s15
	s_cbranch_execz .LBB110_124
; %bb.123:
	s_add_co_i32 s16, s54, 32
	s_delay_alu instid0(SALU_CYCLE_1) | instskip(SKIP_1) | instid1(SALU_CYCLE_1)
	v_dual_mov_b32 v32, 1 :: v_dual_mov_b32 v33, s16
	s_lshl_b64 s[22:23], s[16:17], 4
	s_add_nc_u64 s[16:17], s[24:25], s[22:23]
	s_wait_dscnt 0x1
	global_store_b64 v35, v[20:21], s[16:17]
	s_wait_dscnt 0x0
	global_store_b8 v35, v38, s[16:17] offset:8
	global_wb scope:SCOPE_DEV
	s_wait_storecnt 0x0
	global_inv scope:SCOPE_DEV
	s_wait_xcnt 0x0
	global_store_b8 v33, v32, s[28:29] scope:SCOPE_DEV
.LBB110_124:
	s_wait_xcnt 0x0
	s_or_b32 exec_lo, exec_lo, s20
	v_xad_u32 v32, v39, -1, s54
	s_mov_b32 s16, exec_lo
	s_delay_alu instid0(VALU_DEP_1)
	v_add_nc_u32_e32 v34, 32, v32
	global_load_u8 v40, v34, s[28:29] scope:SCOPE_DEV
	s_wait_loadcnt 0x0
	v_cmpx_eq_u16_e32 0, v40
	s_cbranch_execz .LBB110_128
; %bb.125:
	v_add_nc_u64_e32 v[36:37], s[28:29], v[34:35]
	s_mov_b32 s17, 0
.LBB110_126:                            ; =>This Inner Loop Header: Depth=1
	global_load_u8 v40, v[36:37], off scope:SCOPE_DEV
	s_wait_loadcnt 0x0
	v_cmp_ne_u16_e32 vcc_lo, 0, v40
	s_or_b32 s17, vcc_lo, s17
	s_wait_xcnt 0x0
	s_and_not1_b32 exec_lo, exec_lo, s17
	s_cbranch_execnz .LBB110_126
; %bb.127:
	s_or_b32 exec_lo, exec_lo, s17
.LBB110_128:
	s_delay_alu instid0(SALU_CYCLE_1)
	s_or_b32 exec_lo, exec_lo, s16
	v_dual_mov_b32 v33, s25 :: v_dual_mov_b32 v36, s24
	v_cmp_eq_u16_e32 vcc_lo, 1, v40
	global_wb scope:SCOPE_DEV
	s_wait_storecnt_dscnt 0x0
	global_inv scope:SCOPE_DEV
	v_lshlrev_b32_e64 v42, v39, -1
	s_mov_b32 s16, exec_lo
	v_cndmask_b32_e32 v37, s27, v33, vcc_lo
	v_cndmask_b32_e32 v36, s26, v36, vcc_lo
	v_cmp_ne_u32_e32 vcc_lo, 31, v39
	v_add_co_ci_u32_e64 v33, null, 0, v39, vcc_lo
	v_cmp_eq_u16_e32 vcc_lo, 2, v40
	s_delay_alu instid0(VALU_DEP_2)
	v_lshlrev_b32_e32 v41, 2, v33
	v_lshl_add_u64 v[34:35], v[34:35], 4, v[36:37]
	s_clause 0x1
	global_load_u8 v52, v[34:35], off offset:8
	global_load_b64 v[36:37], v[34:35], off
	v_and_or_b32 v33, vcc_lo, v42, 0x80000000
	s_delay_alu instid0(VALU_DEP_1)
	v_ctz_i32_b32_e32 v33, v33
	s_wait_loadcnt 0x1
	s_wait_xcnt 0x0
	v_and_b32_e32 v34, 1, v52
	s_wait_loadcnt 0x0
	ds_bpermute_b32 v43, v41, v36
	ds_bpermute_b32 v44, v41, v37
	;; [unrolled: 1-line block ×3, first 2 shown]
	v_cmpx_lt_u32_e64 v39, v33
	s_cbranch_execz .LBB110_130
; %bb.129:
	v_and_b32_e32 v34, 0xff, v52
	s_wait_dscnt 0x0
	v_bitop3_b16 v52, v35, v52, 1 bitop3:0xec
	s_delay_alu instid0(VALU_DEP_2) | instskip(NEXT) | instid1(VALU_DEP_2)
	v_cmp_eq_u16_e32 vcc_lo, 0, v34
	v_and_b32_e32 v34, 0xff, v52
	v_dual_cndmask_b32 v45, 0, v44 :: v_dual_cndmask_b32 v44, 0, v43
	s_delay_alu instid0(VALU_DEP_1)
	v_add_nc_u64_e32 v[36:37], v[44:45], v[36:37]
.LBB110_130:
	s_or_b32 exec_lo, exec_lo, s16
	v_cmp_gt_u32_e32 vcc_lo, 30, v39
	s_wait_dscnt 0x1
	v_add_nc_u32_e32 v44, 2, v39
	s_mov_b32 s17, exec_lo
	s_wait_dscnt 0x0
	v_cndmask_b32_e64 v35, 0, 2, vcc_lo
	s_delay_alu instid0(VALU_DEP_1)
	v_add_lshl_u32 v43, v35, v39, 2
	ds_bpermute_b32 v35, v43, v36
	ds_bpermute_b32 v45, v43, v37
	;; [unrolled: 1-line block ×3, first 2 shown]
	v_cmpx_le_u32_e64 v44, v33
	s_cbranch_execz .LBB110_132
; %bb.131:
	v_and_b32_e32 v34, 0xff, v52
	s_delay_alu instid0(VALU_DEP_1) | instskip(SKIP_4) | instid1(VALU_DEP_3)
	v_cmp_eq_u16_e32 vcc_lo, 0, v34
	v_and_b32_e32 v48, 1, v52
	s_wait_dscnt 0x0
	v_dual_cndmask_b32 v46, 0, v35, vcc_lo :: v_dual_bitop2_b32 v34, 1, v46 bitop3:0x40
	v_cndmask_b32_e32 v47, 0, v45, vcc_lo
	v_cmp_eq_u32_e64 s16, 1, v48
	s_delay_alu instid0(VALU_DEP_3) | instskip(NEXT) | instid1(VALU_DEP_3)
	v_cmp_eq_u32_e32 vcc_lo, 1, v34
	v_add_nc_u64_e32 v[36:37], v[46:47], v[36:37]
	s_or_b32 s16, s16, vcc_lo
	s_delay_alu instid0(SALU_CYCLE_1)
	v_cndmask_b32_e64 v52, 0, 1, s16
	v_cndmask_b32_e64 v34, 0, 1, s16
.LBB110_132:
	s_or_b32 exec_lo, exec_lo, s17
	v_cmp_gt_u32_e32 vcc_lo, 28, v39
	s_wait_dscnt 0x0
	v_add_nc_u32_e32 v46, 4, v39
	s_mov_b32 s17, exec_lo
	v_cndmask_b32_e64 v35, 0, 4, vcc_lo
	s_delay_alu instid0(VALU_DEP_1)
	v_add_lshl_u32 v45, v35, v39, 2
	ds_bpermute_b32 v35, v45, v36
	ds_bpermute_b32 v47, v45, v37
	;; [unrolled: 1-line block ×3, first 2 shown]
	v_cmpx_le_u32_e64 v46, v33
	s_cbranch_execz .LBB110_134
; %bb.133:
	v_and_b32_e32 v34, 0xff, v52
	s_delay_alu instid0(VALU_DEP_1) | instskip(SKIP_4) | instid1(VALU_DEP_3)
	v_cmp_eq_u16_e32 vcc_lo, 0, v34
	v_and_b32_e32 v50, 1, v52
	s_wait_dscnt 0x0
	v_dual_cndmask_b32 v48, 0, v35, vcc_lo :: v_dual_bitop2_b32 v34, 1, v48 bitop3:0x40
	v_cndmask_b32_e32 v49, 0, v47, vcc_lo
	v_cmp_eq_u32_e64 s16, 1, v50
	s_delay_alu instid0(VALU_DEP_3) | instskip(NEXT) | instid1(VALU_DEP_3)
	v_cmp_eq_u32_e32 vcc_lo, 1, v34
	v_add_nc_u64_e32 v[36:37], v[48:49], v[36:37]
	s_or_b32 s16, s16, vcc_lo
	s_delay_alu instid0(SALU_CYCLE_1)
	v_cndmask_b32_e64 v52, 0, 1, s16
	v_cndmask_b32_e64 v34, 0, 1, s16
.LBB110_134:
	s_or_b32 exec_lo, exec_lo, s17
	v_cmp_gt_u32_e32 vcc_lo, 24, v39
	s_wait_dscnt 0x0
	v_add_nc_u32_e32 v48, 8, v39
	s_mov_b32 s17, exec_lo
	v_cndmask_b32_e64 v35, 0, 8, vcc_lo
	s_delay_alu instid0(VALU_DEP_1)
	v_add_lshl_u32 v47, v35, v39, 2
	ds_bpermute_b32 v35, v47, v36
	ds_bpermute_b32 v49, v47, v37
	;; [unrolled: 1-line block ×3, first 2 shown]
	v_cmpx_le_u32_e64 v48, v33
	s_cbranch_execz .LBB110_136
; %bb.135:
	v_and_b32_e32 v34, 0xff, v52
	s_delay_alu instid0(VALU_DEP_1) | instskip(SKIP_4) | instid1(VALU_DEP_3)
	v_cmp_eq_u16_e32 vcc_lo, 0, v34
	v_and_b32_e32 v52, 1, v52
	s_wait_dscnt 0x0
	v_dual_cndmask_b32 v50, 0, v35, vcc_lo :: v_dual_bitop2_b32 v34, 1, v50 bitop3:0x40
	v_cndmask_b32_e32 v51, 0, v49, vcc_lo
	v_cmp_eq_u32_e64 s16, 1, v52
	s_delay_alu instid0(VALU_DEP_3) | instskip(NEXT) | instid1(VALU_DEP_3)
	v_cmp_eq_u32_e32 vcc_lo, 1, v34
	v_add_nc_u64_e32 v[36:37], v[50:51], v[36:37]
	s_or_b32 s16, s16, vcc_lo
	s_delay_alu instid0(SALU_CYCLE_1)
	v_cndmask_b32_e64 v52, 0, 1, s16
	v_cndmask_b32_e64 v34, 0, 1, s16
.LBB110_136:
	s_or_b32 exec_lo, exec_lo, s17
	s_wait_dscnt 0x1
	v_lshl_or_b32 v49, v39, 2, 64
	v_add_nc_u32_e32 v51, 16, v39
	s_mov_b32 s17, exec_lo
	ds_bpermute_b32 v35, v49, v36
	s_wait_dscnt 0x1
	ds_bpermute_b32 v50, v49, v37
	ds_bpermute_b32 v34, v49, v34
	v_cmpx_le_u32_e64 v51, v33
	s_cbranch_execz .LBB110_138
; %bb.137:
	v_and_b32_e32 v33, 0xff, v52
	s_delay_alu instid0(VALU_DEP_1) | instskip(SKIP_4) | instid1(VALU_DEP_3)
	v_cmp_eq_u16_e32 vcc_lo, 0, v33
	v_and_b32_e32 v33, 1, v52
	s_wait_dscnt 0x0
	v_dual_cndmask_b32 v52, 0, v35, vcc_lo :: v_dual_bitop2_b32 v34, 1, v34 bitop3:0x40
	v_cndmask_b32_e32 v53, 0, v50, vcc_lo
	v_cmp_eq_u32_e32 vcc_lo, 1, v33
	s_delay_alu instid0(VALU_DEP_3) | instskip(NEXT) | instid1(VALU_DEP_3)
	v_cmp_eq_u32_e64 s16, 1, v34
	v_add_nc_u64_e32 v[36:37], v[52:53], v[36:37]
	s_or_b32 s16, vcc_lo, s16
	s_delay_alu instid0(SALU_CYCLE_1)
	v_cndmask_b32_e64 v52, 0, 1, s16
.LBB110_138:
	s_or_b32 exec_lo, exec_lo, s17
	v_mov_b32_e32 v33, 0
	s_branch .LBB110_141
.LBB110_139:                            ;   in Loop: Header=BB110_141 Depth=1
	s_or_b32 exec_lo, exec_lo, s20
	v_and_b32_e32 v52, 0xff, v50
	v_subrev_nc_u32_e32 v32, 32, v32
	s_delay_alu instid0(VALU_DEP_2) | instskip(SKIP_2) | instid1(VALU_DEP_2)
	v_cmp_eq_u16_e32 vcc_lo, 0, v52
	v_dual_cndmask_b32 v37, 0, v37, vcc_lo :: v_dual_bitop2_b32 v52, 1, v50 bitop3:0x40
	v_cndmask_b32_e32 v36, 0, v36, vcc_lo
	v_cmp_eq_u32_e32 vcc_lo, 1, v52
	s_delay_alu instid0(VALU_DEP_2) | instskip(SKIP_1) | instid1(SALU_CYCLE_1)
	v_add_nc_u64_e32 v[36:37], v[36:37], v[34:35]
	s_or_b32 s16, vcc_lo, s17
	v_cndmask_b32_e64 v52, 0, 1, s16
	s_mov_b32 s16, 0
.LBB110_140:                            ;   in Loop: Header=BB110_141 Depth=1
	s_delay_alu instid0(SALU_CYCLE_1)
	s_and_b32 vcc_lo, exec_lo, s16
	s_cbranch_vccnz .LBB110_205
.LBB110_141:                            ; =>This Loop Header: Depth=1
                                        ;     Child Loop BB110_144 Depth 2
	s_wait_dscnt 0x0
	v_and_b32_e32 v34, 0xff, v40
	v_mov_b32_e32 v50, v52
	s_mov_b32 s16, -1
                                        ; implicit-def: $vgpr52
                                        ; implicit-def: $vgpr40
	s_delay_alu instid0(VALU_DEP_2)
	v_cmp_ne_u16_e32 vcc_lo, 2, v34
	v_mov_b64_e32 v[34:35], v[36:37]
                                        ; implicit-def: $vgpr36_vgpr37
	s_cmp_lg_u32 vcc_lo, exec_lo
	s_cbranch_scc1 .LBB110_140
; %bb.142:                              ;   in Loop: Header=BB110_141 Depth=1
	global_load_u8 v40, v32, s[28:29] scope:SCOPE_DEV
	s_mov_b32 s16, exec_lo
	s_wait_loadcnt 0x0
	v_cmpx_eq_u16_e32 0, v40
	s_cbranch_execz .LBB110_146
; %bb.143:                              ;   in Loop: Header=BB110_141 Depth=1
	v_add_nc_u64_e32 v[36:37], s[28:29], v[32:33]
	s_mov_b32 s17, 0
.LBB110_144:                            ;   Parent Loop BB110_141 Depth=1
                                        ; =>  This Inner Loop Header: Depth=2
	global_load_u8 v40, v[36:37], off scope:SCOPE_DEV
	s_wait_loadcnt 0x0
	v_cmp_ne_u16_e32 vcc_lo, 0, v40
	s_or_b32 s17, vcc_lo, s17
	s_delay_alu instid0(SALU_CYCLE_1)
	s_and_not1_b32 exec_lo, exec_lo, s17
	s_cbranch_execnz .LBB110_144
; %bb.145:                              ;   in Loop: Header=BB110_141 Depth=1
	s_or_b32 exec_lo, exec_lo, s17
.LBB110_146:                            ;   in Loop: Header=BB110_141 Depth=1
	s_delay_alu instid0(SALU_CYCLE_1)
	s_or_b32 exec_lo, exec_lo, s16
	v_dual_mov_b32 v36, s25 :: v_dual_mov_b32 v52, s24
	v_cmp_eq_u16_e32 vcc_lo, 1, v40
	global_wb scope:SCOPE_DEV
	s_wait_storecnt 0x0
	global_inv scope:SCOPE_DEV
	s_mov_b32 s16, exec_lo
	v_cndmask_b32_e32 v37, s27, v36, vcc_lo
	v_cndmask_b32_e32 v36, s26, v52, vcc_lo
	v_cmp_eq_u16_e32 vcc_lo, 2, v40
	s_delay_alu instid0(VALU_DEP_2)
	v_lshl_add_u64 v[54:55], v[32:33], 4, v[36:37]
	v_and_or_b32 v52, vcc_lo, v42, 0x80000000
	s_clause 0x1
	global_load_u8 v53, v[54:55], off offset:8
	global_load_b64 v[36:37], v[54:55], off
	v_ctz_i32_b32_e32 v52, v52
	s_wait_loadcnt 0x1
	s_wait_xcnt 0x0
	v_and_b32_e32 v54, 1, v53
	s_wait_loadcnt 0x0
	ds_bpermute_b32 v56, v41, v36
	ds_bpermute_b32 v57, v41, v37
	;; [unrolled: 1-line block ×3, first 2 shown]
	v_cmpx_lt_u32_e64 v39, v52
	s_cbranch_execz .LBB110_148
; %bb.147:                              ;   in Loop: Header=BB110_141 Depth=1
	v_and_b32_e32 v54, 0xff, v53
	s_wait_dscnt 0x0
	v_bitop3_b16 v53, v55, v53, 1 bitop3:0xec
	s_delay_alu instid0(VALU_DEP_2) | instskip(NEXT) | instid1(VALU_DEP_2)
	v_cmp_eq_u16_e32 vcc_lo, 0, v54
	v_and_b32_e32 v54, 0xff, v53
	v_dual_cndmask_b32 v57, 0, v57 :: v_dual_cndmask_b32 v56, 0, v56
	s_delay_alu instid0(VALU_DEP_1)
	v_add_nc_u64_e32 v[36:37], v[56:57], v[36:37]
.LBB110_148:                            ;   in Loop: Header=BB110_141 Depth=1
	s_or_b32 exec_lo, exec_lo, s16
	s_wait_dscnt 0x0
	ds_bpermute_b32 v55, v43, v36
	ds_bpermute_b32 v56, v43, v37
	;; [unrolled: 1-line block ×3, first 2 shown]
	v_and_b32_e32 v58, 1, v53
	s_mov_b32 s16, exec_lo
	s_delay_alu instid0(VALU_DEP_1)
	v_cmp_eq_u32_e64 s17, 1, v58
	v_cmpx_le_u32_e64 v44, v52
	s_cbranch_execz .LBB110_150
; %bb.149:                              ;   in Loop: Header=BB110_141 Depth=1
	v_and_b32_e32 v53, 0xff, v53
	s_delay_alu instid0(VALU_DEP_1) | instskip(SKIP_3) | instid1(VALU_DEP_2)
	v_cmp_eq_u16_e32 vcc_lo, 0, v53
	s_wait_dscnt 0x0
	v_dual_cndmask_b32 v57, 0, v56, vcc_lo :: v_dual_bitop2_b32 v53, 1, v57 bitop3:0x40
	v_cndmask_b32_e32 v56, 0, v55, vcc_lo
	v_cmp_eq_u32_e32 vcc_lo, 1, v53
	s_delay_alu instid0(VALU_DEP_2)
	v_add_nc_u64_e32 v[36:37], v[56:57], v[36:37]
	s_or_b32 s20, s17, vcc_lo
	s_and_not1_b32 s17, s17, exec_lo
	v_cndmask_b32_e64 v53, 0, 1, s20
	v_cndmask_b32_e64 v54, 0, 1, s20
	s_and_b32 s20, s20, exec_lo
	s_delay_alu instid0(SALU_CYCLE_1)
	s_or_b32 s17, s17, s20
.LBB110_150:                            ;   in Loop: Header=BB110_141 Depth=1
	s_or_b32 exec_lo, exec_lo, s16
	s_wait_dscnt 0x2
	ds_bpermute_b32 v55, v45, v36
	s_wait_dscnt 0x2
	ds_bpermute_b32 v56, v45, v37
	;; [unrolled: 2-line block ×3, first 2 shown]
	s_mov_b32 s20, exec_lo
	v_cmpx_le_u32_e64 v46, v52
	s_cbranch_execz .LBB110_152
; %bb.151:                              ;   in Loop: Header=BB110_141 Depth=1
	v_and_b32_e32 v54, 0xff, v53
	s_and_not1_b32 s17, s17, exec_lo
	s_delay_alu instid0(VALU_DEP_1) | instskip(SKIP_3) | instid1(VALU_DEP_2)
	v_cmp_eq_u16_e32 vcc_lo, 0, v54
	v_and_b32_e32 v53, 1, v53
	s_wait_dscnt 0x0
	v_dual_cndmask_b32 v57, 0, v56, vcc_lo :: v_dual_bitop2_b32 v54, 1, v57 bitop3:0x40
	v_cmp_eq_u32_e64 s16, 1, v53
	v_cndmask_b32_e32 v56, 0, v55, vcc_lo
	s_delay_alu instid0(VALU_DEP_3) | instskip(NEXT) | instid1(VALU_DEP_2)
	v_cmp_eq_u32_e32 vcc_lo, 1, v54
	v_add_nc_u64_e32 v[36:37], v[56:57], v[36:37]
	s_or_b32 s16, s16, vcc_lo
	s_delay_alu instid0(SALU_CYCLE_1) | instskip(SKIP_2) | instid1(SALU_CYCLE_1)
	v_cndmask_b32_e64 v53, 0, 1, s16
	v_cndmask_b32_e64 v54, 0, 1, s16
	s_and_b32 s16, s16, exec_lo
	s_or_b32 s17, s17, s16
.LBB110_152:                            ;   in Loop: Header=BB110_141 Depth=1
	s_or_b32 exec_lo, exec_lo, s20
	s_wait_dscnt 0x2
	ds_bpermute_b32 v55, v47, v36
	s_wait_dscnt 0x2
	ds_bpermute_b32 v56, v47, v37
	;; [unrolled: 2-line block ×3, first 2 shown]
	s_mov_b32 s20, exec_lo
	v_cmpx_le_u32_e64 v48, v52
	s_cbranch_execz .LBB110_154
; %bb.153:                              ;   in Loop: Header=BB110_141 Depth=1
	v_and_b32_e32 v54, 0xff, v53
	s_and_not1_b32 s17, s17, exec_lo
	s_delay_alu instid0(VALU_DEP_1) | instskip(SKIP_3) | instid1(VALU_DEP_2)
	v_cmp_eq_u16_e32 vcc_lo, 0, v54
	v_and_b32_e32 v53, 1, v53
	s_wait_dscnt 0x0
	v_dual_cndmask_b32 v57, 0, v56, vcc_lo :: v_dual_bitop2_b32 v54, 1, v57 bitop3:0x40
	v_cmp_eq_u32_e64 s16, 1, v53
	v_cndmask_b32_e32 v56, 0, v55, vcc_lo
	s_delay_alu instid0(VALU_DEP_3) | instskip(NEXT) | instid1(VALU_DEP_2)
	v_cmp_eq_u32_e32 vcc_lo, 1, v54
	v_add_nc_u64_e32 v[36:37], v[56:57], v[36:37]
	s_or_b32 s16, s16, vcc_lo
	s_delay_alu instid0(SALU_CYCLE_1) | instskip(SKIP_2) | instid1(SALU_CYCLE_1)
	v_cndmask_b32_e64 v53, 0, 1, s16
	v_cndmask_b32_e64 v54, 0, 1, s16
	s_and_b32 s16, s16, exec_lo
	s_or_b32 s17, s17, s16
.LBB110_154:                            ;   in Loop: Header=BB110_141 Depth=1
	s_or_b32 exec_lo, exec_lo, s20
	s_wait_dscnt 0x2
	ds_bpermute_b32 v55, v49, v36
	s_wait_dscnt 0x2
	ds_bpermute_b32 v56, v49, v37
	ds_bpermute_b32 v54, v49, v54
	s_mov_b32 s20, exec_lo
	v_cmpx_le_u32_e64 v51, v52
	s_cbranch_execz .LBB110_139
; %bb.155:                              ;   in Loop: Header=BB110_141 Depth=1
	v_and_b32_e32 v52, 0xff, v53
	s_and_not1_b32 s17, s17, exec_lo
	s_delay_alu instid0(VALU_DEP_1)
	v_cmp_eq_u16_e32 vcc_lo, 0, v52
	s_wait_dscnt 0x3
	v_and_b32_e32 v57, 1, v53
	s_wait_dscnt 0x0
	v_dual_cndmask_b32 v52, 0, v55, vcc_lo :: v_dual_bitop2_b32 v54, 1, v54 bitop3:0x40
	v_cndmask_b32_e32 v53, 0, v56, vcc_lo
	s_delay_alu instid0(VALU_DEP_3) | instskip(NEXT) | instid1(VALU_DEP_3)
	v_cmp_eq_u32_e32 vcc_lo, 1, v57
	v_cmp_eq_u32_e64 s16, 1, v54
	s_delay_alu instid0(VALU_DEP_3) | instskip(SKIP_1) | instid1(SALU_CYCLE_1)
	v_add_nc_u64_e32 v[36:37], v[52:53], v[36:37]
	s_or_b32 s16, vcc_lo, s16
	s_and_b32 s16, s16, exec_lo
	s_delay_alu instid0(SALU_CYCLE_1)
	s_or_b32 s17, s17, s16
	s_branch .LBB110_139
.LBB110_156:
                                        ; implicit-def: $vgpr58_vgpr59
                                        ; implicit-def: $vgpr54_vgpr55
                                        ; implicit-def: $vgpr50_vgpr51
                                        ; implicit-def: $vgpr46_vgpr47
                                        ; implicit-def: $vgpr42_vgpr43
                                        ; implicit-def: $vgpr38_vgpr39
                                        ; implicit-def: $vgpr34_vgpr35
	s_cbranch_execnz .LBB110_210
.LBB110_157:
	s_add_nc_u64 s[0:1], s[42:43], s[34:35]
	s_and_b32 vcc_lo, exec_lo, s31
	s_add_nc_u64 s[0:1], s[0:1], s[36:37]
	s_cbranch_vccz .LBB110_229
.LBB110_158:
	v_mul_u32_u24_e32 v1, 14, v0
	s_add_co_i32 s33, s33, s30
	s_mov_b32 s2, exec_lo
	s_delay_alu instid0(VALU_DEP_1)
	v_cmpx_gt_u32_e64 s33, v1
	s_cbranch_execz .LBB110_178
; %bb.159:
	v_or_b32_e32 v2, 1, v1
	s_mov_b32 s3, exec_lo
	s_delay_alu instid0(VALU_DEP_1)
	v_cmpx_gt_u32_e64 s33, v2
	s_cbranch_execz .LBB110_177
; %bb.160:
	v_add_nc_u32_e32 v2, 2, v1
	s_mov_b32 s4, exec_lo
	s_delay_alu instid0(VALU_DEP_1)
	v_cmpx_gt_u32_e64 s33, v2
	s_cbranch_execz .LBB110_176
; %bb.161:
	v_add_nc_u32_e32 v2, 3, v1
	;; [unrolled: 6-line block ×8, first 2 shown]
	s_mov_b32 s11, exec_lo
	s_delay_alu instid0(VALU_DEP_1)
	v_cmpx_gt_u32_e64 s33, v2
; %bb.168:
	v_add_nc_u32_e32 v2, 10, v1
	s_mov_b32 s12, exec_lo
	s_delay_alu instid0(VALU_DEP_1)
	v_cmpx_gt_u32_e64 s33, v2
	s_or_b32 exec_lo, exec_lo, s12
; %bb.169:
	s_delay_alu instid0(SALU_CYCLE_1)
	s_or_b32 exec_lo, exec_lo, s11
.LBB110_170:
	s_delay_alu instid0(SALU_CYCLE_1)
	s_or_b32 exec_lo, exec_lo, s10
.LBB110_171:
	s_delay_alu instid0(SALU_CYCLE_1)
	s_or_b32 exec_lo, exec_lo, s9
.LBB110_172:
	s_delay_alu instid0(SALU_CYCLE_1)
	s_or_b32 exec_lo, exec_lo, s8
.LBB110_173:
	s_delay_alu instid0(SALU_CYCLE_1)
	s_or_b32 exec_lo, exec_lo, s7
.LBB110_174:
	s_delay_alu instid0(SALU_CYCLE_1)
	s_or_b32 exec_lo, exec_lo, s6
.LBB110_175:
	s_delay_alu instid0(SALU_CYCLE_1)
	s_or_b32 exec_lo, exec_lo, s5
.LBB110_176:
	s_delay_alu instid0(SALU_CYCLE_1)
	s_or_b32 exec_lo, exec_lo, s4
.LBB110_177:
	s_delay_alu instid0(SALU_CYCLE_1)
	s_or_b32 exec_lo, exec_lo, s3
.LBB110_178:
	s_delay_alu instid0(SALU_CYCLE_1)
	s_or_b32 exec_lo, exec_lo, s2
	v_dual_lshlrev_b32 v1, 3, v1 :: v_dual_mov_b32 v65, 0
	s_wait_loadcnt 0x0
	s_wait_storecnt 0x0
	s_barrier_signal -1
	s_barrier_wait -1
	v_mad_i32_i24 v2, 0xffffff98, v0, v1
	ds_store_b128 v1, v[32:35]
	ds_store_b128 v1, v[36:39] offset:16
	ds_store_b128 v1, v[40:43] offset:32
	;; [unrolled: 1-line block ×6, first 2 shown]
	s_wait_dscnt 0x0
	s_barrier_signal -1
	s_barrier_wait -1
	ds_load_2addr_stride64_b64 v[26:29], v2 offset0:4 offset1:8
	ds_load_2addr_stride64_b64 v[22:25], v2 offset0:12 offset1:16
	;; [unrolled: 1-line block ×6, first 2 shown]
	ds_load_b64 v[4:5], v2 offset:26624
	v_add_nc_u64_e32 v[2:3], s[0:1], v[64:65]
	s_mov_b32 s2, exec_lo
	v_cmpx_gt_u32_e64 s33, v0
	s_cbranch_execz .LBB110_180
; %bb.179:
	v_mul_i32_i24_e32 v30, 0xffffff98, v0
	s_delay_alu instid0(VALU_DEP_1)
	v_add_nc_u32_e32 v1, v1, v30
	ds_load_b64 v[30:31], v1
	s_wait_dscnt 0x0
	flat_store_b64 v[2:3], v[30:31]
.LBB110_180:
	s_wait_xcnt 0x0
	s_or_b32 exec_lo, exec_lo, s2
	v_or_b32_e32 v1, 0x100, v0
	s_mov_b32 s2, exec_lo
	s_delay_alu instid0(VALU_DEP_1)
	v_cmpx_gt_u32_e64 s33, v1
	s_cbranch_execz .LBB110_182
; %bb.181:
	s_wait_dscnt 0x6
	flat_store_b64 v[2:3], v[26:27] offset:2048
.LBB110_182:
	s_wait_xcnt 0x0
	s_or_b32 exec_lo, exec_lo, s2
	v_or_b32_e32 v1, 0x200, v0
	s_mov_b32 s2, exec_lo
	s_delay_alu instid0(VALU_DEP_1)
	v_cmpx_gt_u32_e64 s33, v1
	s_cbranch_execz .LBB110_184
; %bb.183:
	s_wait_dscnt 0x6
	flat_store_b64 v[2:3], v[28:29] offset:4096
.LBB110_184:
	;; [unrolled: 11-line block ×12, first 2 shown]
	s_wait_xcnt 0x0
	s_or_b32 exec_lo, exec_lo, s2
	v_or_b32_e32 v1, 0xd00, v0
	s_delay_alu instid0(VALU_DEP_1)
	v_cmp_gt_u32_e64 s2, s33, v1
	s_branch .LBB110_231
.LBB110_205:
	s_and_saveexec_b32 s16, s15
	s_cbranch_execz .LBB110_207
; %bb.206:
	v_and_b32_e32 v32, 0xff, v38
	s_add_co_i32 s20, s54, 32
	s_mov_b32 s21, 0
	v_mov_b32_e32 v37, s20
	v_bitop3_b16 v36, v38, 1, v50 bitop3:0xc8
	v_cmp_eq_u32_e32 vcc_lo, 0, v32
	s_lshl_b64 s[22:23], s[20:21], 4
	s_delay_alu instid0(SALU_CYCLE_1) | instskip(SKIP_1) | instid1(VALU_DEP_1)
	s_add_nc_u64 s[20:21], s[26:27], s[22:23]
	v_dual_cndmask_b32 v33, 0, v35 :: v_dual_cndmask_b32 v32, 0, v34
	v_add_nc_u64_e32 v[20:21], v[32:33], v[20:21]
	v_dual_mov_b32 v32, 0 :: v_dual_mov_b32 v33, 2
	s_clause 0x1
	global_store_b64 v32, v[20:21], s[20:21]
	global_store_b8 v32, v36, s[20:21] offset:8
	global_wb scope:SCOPE_DEV
	s_wait_storecnt_dscnt 0x0
	global_inv scope:SCOPE_DEV
	s_wait_xcnt 0x0
	global_store_b8 v37, v33, s[28:29] scope:SCOPE_DEV
.LBB110_207:
	s_wait_xcnt 0x0
	s_or_b32 exec_lo, exec_lo, s16
	s_delay_alu instid0(SALU_CYCLE_1)
	s_and_b32 exec_lo, exec_lo, s2
	s_cbranch_execz .LBB110_209
; %bb.208:
	v_mov_b32_e32 v20, 0
	ds_store_b64 v20, v[34:35]
	ds_store_b8 v20, v50 offset:8
.LBB110_209:
	s_or_b32 exec_lo, exec_lo, s19
	v_dual_mov_b32 v21, 0 :: v_dual_bitop2_b32 v20, 1, v1 bitop3:0x40
	s_wait_storecnt 0x0
	s_wait_loadcnt_dscnt 0x0
	s_barrier_signal -1
	s_barrier_wait -1
	v_cmp_eq_u32_e32 vcc_lo, 1, v20
	v_and_b32_e32 v32, 0xff, v1
	ds_load_b64 v[20:21], v21
	s_or_b32 s15, vcc_lo, s18
	v_cmp_eq_u16_e32 vcc_lo, 0, v32
	v_cndmask_b32_e64 v33, 0, 1, s15
	v_cndmask_b32_e32 v5, 0, v5, vcc_lo
	s_delay_alu instid0(VALU_DEP_2) | instskip(NEXT) | instid1(VALU_DEP_1)
	v_dual_cndmask_b32 v32, v33, v1, s2 :: v_dual_cndmask_b32 v4, 0, v4, vcc_lo
	v_and_b32_e32 v32, 0xff, v32
	s_delay_alu instid0(VALU_DEP_2) | instskip(NEXT) | instid1(VALU_DEP_2)
	v_cndmask_b32_e64 v4, v4, 0, s2
	v_cmp_eq_u16_e32 vcc_lo, 0, v32
	s_wait_dscnt 0x0
	v_cndmask_b32_e32 v20, 0, v20, vcc_lo
	v_cndmask_b32_e64 v5, v5, 0, s2
	v_cndmask_b32_e32 v21, 0, v21, vcc_lo
	s_delay_alu instid0(VALU_DEP_2) | instskip(NEXT) | instid1(VALU_DEP_1)
	v_add_nc_u64_e32 v[4:5], v[4:5], v[2:3]
	v_add_nc_u64_e32 v[32:33], v[4:5], v[20:21]
	s_delay_alu instid0(VALU_DEP_1) | instskip(NEXT) | instid1(VALU_DEP_1)
	v_dual_cndmask_b32 v5, 0, v33, s1 :: v_dual_cndmask_b32 v4, 0, v32, s1
	v_add_nc_u64_e32 v[34:35], v[4:5], v[6:7]
	s_delay_alu instid0(VALU_DEP_1) | instskip(NEXT) | instid1(VALU_DEP_1)
	v_dual_cndmask_b32 v5, 0, v35, s4 :: v_dual_cndmask_b32 v4, 0, v34, s4
	;; [unrolled: 3-line block ×13, first 2 shown]
	v_add_nc_u64_e32 v[58:59], v[4:5], v[8:9]
	s_branch .LBB110_157
.LBB110_210:
	s_cmp_lg_u64 s[52:53], 0
	s_cselect_b32 s0, -1, 0
	s_cmp_lg_u64 s[46:47], 0
	s_cselect_b32 s1, -1, 0
	s_delay_alu instid0(SALU_CYCLE_1) | instskip(NEXT) | instid1(SALU_CYCLE_1)
	s_and_b32 s0, s0, s1
	s_and_b32 s1, s2, s0
	s_delay_alu instid0(SALU_CYCLE_1)
	s_and_saveexec_b32 s0, s1
	s_cbranch_execz .LBB110_212
; %bb.211:
	v_mov_b32_e32 v20, 0
	s_clause 0x1
	global_load_b64 v[4:5], v20, s[46:47]
	global_load_u8 v21, v20, s[46:47] offset:8
	s_wait_xcnt 0x0
	v_and_b32_e32 v20, 0xff, v1
	s_delay_alu instid0(VALU_DEP_1) | instskip(SKIP_4) | instid1(VALU_DEP_2)
	v_cmp_eq_u16_e32 vcc_lo, 0, v20
	s_wait_loadcnt 0x1
	v_dual_cndmask_b32 v5, 0, v5 :: v_dual_cndmask_b32 v4, 0, v4
	s_wait_loadcnt 0x0
	v_bitop3_b16 v1, v1, 1, v21 bitop3:0xc8
	v_add_nc_u64_e32 v[2:3], v[4:5], v[2:3]
.LBB110_212:
	s_or_b32 exec_lo, exec_lo, s0
	v_cmp_eq_u16_e32 vcc_lo, 0, v82
	v_cmp_eq_u16_e64 s0, 0, v81
	v_cmp_eq_u16_e64 s1, 0, v80
	;; [unrolled: 1-line block ×4, first 2 shown]
	v_dual_cndmask_b32 v5, 0, v3 :: v_dual_cndmask_b32 v4, 0, v2
	v_cmp_eq_u16_e64 s6, 0, v77
	v_cmp_eq_u16_e64 s7, 0, v76
	;; [unrolled: 1-line block ×4, first 2 shown]
	v_add_nc_u64_e32 v[34:35], v[4:5], v[6:7]
	v_cmp_eq_u16_e64 s10, 0, v73
	v_cmp_eq_u16_e64 s11, 0, v72
	;; [unrolled: 1-line block ×3, first 2 shown]
	v_cmp_ne_u16_e64 s19, 0, v70
	v_cmp_eq_u32_e64 s20, 1, v60
	v_bitop3_b16 v20, v1, 0xff, v88 bitop3:0xc8
	v_dual_cndmask_b32 v5, 0, v35, s0 :: v_dual_cndmask_b32 v4, 0, v34, s0
	v_cmp_ne_u16_e64 s17, 0, v69
	v_cmp_eq_u32_e64 s18, 1, v61
	v_cmp_ne_u16_e64 s21, 0, v67
	v_cmp_eq_u16_e64 s13, 0, v65
	v_add_nc_u64_e32 v[36:37], v[4:5], v[12:13]
	v_cmp_ne_u16_e64 s15, 0, v68
	v_cmp_eq_u32_e64 s16, 1, v62
	s_or_b32 s19, s19, s20
	v_cmp_eq_u32_e64 s14, 1, v66
	v_cmp_ne_u16_e64 s22, 0, v20
	s_or_b32 s17, s17, s18
	v_dual_cndmask_b32 v5, 0, v37, s1 :: v_dual_cndmask_b32 v4, 0, v36, s1
	s_or_b32 s18, s21, s19
	s_or_b32 s15, s15, s16
	;; [unrolled: 1-line block ×3, first 2 shown]
	v_and_b32_e32 v21, 0x70, v63
	v_add_nc_u64_e32 v[38:39], v[4:5], v[10:11]
	s_or_b32 s14, s22, s14
	s_or_b32 s15, s16, s15
	s_mov_b32 s17, exec_lo
	s_or_b32 s14, s15, s14
	s_delay_alu instid0(SALU_CYCLE_1) | instskip(NEXT) | instid1(VALU_DEP_2)
	v_cndmask_b32_e64 v33, 0, 1, s14
	v_dual_cndmask_b32 v5, 0, v39, s4 :: v_dual_cndmask_b32 v4, 0, v38, s4
	s_delay_alu instid0(VALU_DEP_1) | instskip(NEXT) | instid1(VALU_DEP_1)
	v_add_nc_u64_e32 v[40:41], v[4:5], v[16:17]
	v_dual_cndmask_b32 v5, 0, v41, s5 :: v_dual_cndmask_b32 v4, 0, v40, s5
	s_delay_alu instid0(VALU_DEP_1) | instskip(NEXT) | instid1(VALU_DEP_1)
	v_add_nc_u64_e32 v[42:43], v[4:5], v[14:15]
	;; [unrolled: 3-line block ×9, first 2 shown]
	v_dual_cndmask_b32 v5, 0, v57, s13 :: v_dual_cndmask_b32 v4, 0, v56, s13
	s_delay_alu instid0(VALU_DEP_1)
	v_add_nc_u64_e32 v[58:59], v[4:5], v[8:9]
	v_lshl_add_u32 v4, v0, 4, v21
	ds_store_b64 v4, v[58:59]
	ds_store_b8 v4, v33 offset:8
	s_wait_dscnt 0x0
	s_barrier_signal -1
	s_barrier_wait -1
	v_cmpx_gt_u32_e32 32, v0
	s_cbranch_execz .LBB110_224
; %bb.213:
	v_dual_lshlrev_b32 v4, 2, v0 :: v_dual_lshlrev_b32 v5, 7, v0
	s_delay_alu instid0(VALU_DEP_1) | instskip(NEXT) | instid1(VALU_DEP_1)
	v_and_b32_e32 v4, 0x3f0, v4
	v_add_nc_u32_e32 v32, v4, v5
	ds_load_u8 v61, v32 offset:24
	ds_load_b64 v[4:5], v32
	ds_load_2addr_b64 v[66:69], v32 offset0:2 offset1:4
	ds_load_u8 v62, v32 offset:40
	ds_load_b32 v60, v32 offset:8
	ds_load_u8 v63, v32 offset:56
	ds_load_u8 v65, v32 offset:72
	;; [unrolled: 1-line block ×4, first 2 shown]
	s_wait_dscnt 0x8
	v_cmp_eq_u16_e64 s14, 0, v61
	s_wait_dscnt 0x7
	s_delay_alu instid0(VALU_DEP_1)
	v_dual_cndmask_b32 v21, 0, v5, s14 :: v_dual_cndmask_b32 v20, 0, v4, s14
	s_wait_dscnt 0x5
	v_cmp_eq_u16_e64 s14, 0, v62
	ds_load_2addr_b64 v[70:73], v32 offset0:6 offset1:8
	s_wait_dscnt 0x4
	v_bitop3_b16 v61, v62, v63, v61 bitop3:0xfe
	s_wait_dscnt 0x1
	v_bitop3_b16 v62, v74, v75, v65 bitop3:0xfe
	v_add_nc_u64_e32 v[20:21], v[20:21], v[66:67]
	s_delay_alu instid0(VALU_DEP_1) | instskip(SKIP_1) | instid1(VALU_DEP_2)
	v_dual_cndmask_b32 v21, 0, v21, s14 :: v_dual_cndmask_b32 v20, 0, v20, s14
	v_cmp_eq_u16_e64 s14, 0, v63
	v_add_nc_u64_e32 v[20:21], v[20:21], v[68:69]
	s_delay_alu instid0(VALU_DEP_1) | instskip(SKIP_2) | instid1(VALU_DEP_2)
	v_dual_cndmask_b32 v21, 0, v21, s14 :: v_dual_cndmask_b32 v20, 0, v20, s14
	v_cmp_eq_u16_e64 s14, 0, v65
	s_wait_dscnt 0x0
	v_add_nc_u64_e32 v[20:21], v[20:21], v[70:71]
	ds_load_2addr_b64 v[66:69], v32 offset0:10 offset1:12
	ds_load_u8 v70, v32 offset:120
	v_dual_cndmask_b32 v21, 0, v21, s14 :: v_dual_cndmask_b32 v20, 0, v20, s14
	v_cmp_eq_u16_e64 s14, 0, v74
	s_delay_alu instid0(VALU_DEP_2) | instskip(NEXT) | instid1(VALU_DEP_1)
	v_add_nc_u64_e32 v[20:21], v[20:21], v[72:73]
	v_cndmask_b32_e64 v21, 0, v21, s14
	s_wait_dscnt 0x0
	v_bitop3_b16 v61, v70, v61, v62 bitop3:0xfe
	s_delay_alu instid0(VALU_DEP_3) | instskip(SKIP_2) | instid1(VALU_DEP_4)
	v_cndmask_b32_e64 v20, 0, v20, s14
	v_cmp_eq_u16_e64 s14, 0, v75
	v_cmp_eq_u16_e64 s16, 0, v70
	v_and_b32_e32 v61, 1, v61
	s_delay_alu instid0(VALU_DEP_4)
	v_add_nc_u64_e32 v[20:21], v[20:21], v[66:67]
	ds_load_b64 v[66:67], v32 offset:112
	v_and_b32_e32 v62, 1, v60
	v_cmp_eq_u32_e64 s15, 1, v61
	v_and_b32_e32 v61, 0xffffff00, v60
	v_dual_cndmask_b32 v21, 0, v21, s14 :: v_dual_cndmask_b32 v20, 0, v20, s14
	s_delay_alu instid0(VALU_DEP_4) | instskip(SKIP_1) | instid1(VALU_DEP_3)
	v_cmp_eq_u32_e64 s14, 1, v62
	v_mbcnt_lo_u32_b32 v62, -1, 0
	v_add_nc_u64_e32 v[20:21], v[20:21], v[68:69]
	s_or_b32 s15, s15, s14
	s_delay_alu instid0(SALU_CYCLE_1) | instskip(SKIP_1) | instid1(VALU_DEP_3)
	v_cndmask_b32_e64 v65, 0, 1, s15
	v_cndmask_b32_e64 v63, 0, 1, s15
	v_dual_cndmask_b32 v21, 0, v21, s16 :: v_dual_cndmask_b32 v20, 0, v20, s16
	s_mov_b32 s16, exec_lo
	s_wait_dscnt 0x0
	s_delay_alu instid0(VALU_DEP_1) | instskip(SKIP_2) | instid1(VALU_DEP_2)
	v_add_nc_u64_e32 v[20:21], v[20:21], v[66:67]
	v_or_b32_e32 v66, v61, v65
	v_and_b32_e32 v65, 15, v62
	v_mov_b32_dpp v68, v66 row_shr:1 row_mask:0xf bank_mask:0xf
	s_delay_alu instid0(VALU_DEP_4) | instskip(SKIP_1) | instid1(VALU_DEP_4)
	v_mov_b32_dpp v67, v20 row_shr:1 row_mask:0xf bank_mask:0xf
	v_mov_b32_dpp v69, v21 row_shr:1 row_mask:0xf bank_mask:0xf
	v_cmpx_ne_u32_e32 0, v65
; %bb.214:
	s_delay_alu instid0(VALU_DEP_4) | instskip(NEXT) | instid1(VALU_DEP_3)
	v_bitop3_b16 v63, v68, v63, 1 bitop3:0xec
	v_cndmask_b32_e64 v69, v69, 0, s15
	v_cndmask_b32_e64 v68, v67, 0, s15
	s_delay_alu instid0(VALU_DEP_3) | instskip(NEXT) | instid1(VALU_DEP_2)
	v_and_b32_e32 v66, 0xffff, v63
	v_add_nc_u64_e32 v[20:21], v[68:69], v[20:21]
	s_delay_alu instid0(VALU_DEP_2)
	v_or_b32_e32 v66, v61, v66
; %bb.215:
	s_or_b32 exec_lo, exec_lo, s16
	s_delay_alu instid0(VALU_DEP_2) | instskip(NEXT) | instid1(VALU_DEP_3)
	v_mov_b32_dpp v67, v20 row_shr:2 row_mask:0xf bank_mask:0xf
	v_mov_b32_dpp v68, v21 row_shr:2 row_mask:0xf bank_mask:0xf
	s_delay_alu instid0(VALU_DEP_3)
	v_mov_b32_dpp v69, v66 row_shr:2 row_mask:0xf bank_mask:0xf
	s_mov_b32 s18, exec_lo
	v_cmpx_lt_u32_e32 1, v65
	s_cbranch_execz .LBB110_217
; %bb.216:
	v_cmp_eq_u16_e64 s14, 0, v63
	v_and_b32_e32 v66, 1, v63
	v_and_b32_e32 v69, 1, v69
	s_delay_alu instid0(VALU_DEP_1) | instskip(NEXT) | instid1(VALU_DEP_4)
	v_cmp_eq_u32_e64 s16, 1, v69
	v_cndmask_b32_e64 v69, 0, v68, s14
	s_delay_alu instid0(VALU_DEP_4) | instskip(SKIP_2) | instid1(VALU_DEP_1)
	v_cmp_eq_u32_e64 s15, 1, v66
	v_cndmask_b32_e64 v68, 0, v67, s14
	s_or_b32 s14, s15, s16
	v_add_nc_u64_e32 v[20:21], v[68:69], v[20:21]
	v_cndmask_b32_e64 v66, 0, 1, s14
	v_cndmask_b32_e64 v63, 0, 1, s14
	s_delay_alu instid0(VALU_DEP_2)
	v_or_b32_e32 v66, v61, v66
.LBB110_217:
	s_or_b32 exec_lo, exec_lo, s18
	s_delay_alu instid0(VALU_DEP_4) | instskip(SKIP_1) | instid1(VALU_DEP_3)
	v_mov_b32_dpp v67, v20 row_shr:4 row_mask:0xf bank_mask:0xf
	v_mov_b32_dpp v68, v21 row_shr:4 row_mask:0xf bank_mask:0xf
	;; [unrolled: 1-line block ×3, first 2 shown]
	s_mov_b32 s18, exec_lo
	v_cmpx_lt_u32_e32 3, v65
	s_cbranch_execz .LBB110_219
; %bb.218:
	v_cmp_eq_u16_e64 s14, 0, v63
	v_and_b32_e32 v66, 1, v63
	v_and_b32_e32 v69, 1, v69
	s_delay_alu instid0(VALU_DEP_1) | instskip(NEXT) | instid1(VALU_DEP_4)
	v_cmp_eq_u32_e64 s16, 1, v69
	v_cndmask_b32_e64 v69, 0, v68, s14
	s_delay_alu instid0(VALU_DEP_4) | instskip(SKIP_2) | instid1(VALU_DEP_1)
	v_cmp_eq_u32_e64 s15, 1, v66
	v_cndmask_b32_e64 v68, 0, v67, s14
	s_or_b32 s14, s15, s16
	v_add_nc_u64_e32 v[20:21], v[68:69], v[20:21]
	v_cndmask_b32_e64 v66, 0, 1, s14
	v_cndmask_b32_e64 v63, 0, 1, s14
	s_delay_alu instid0(VALU_DEP_2)
	v_or_b32_e32 v66, v61, v66
.LBB110_219:
	s_or_b32 exec_lo, exec_lo, s18
	s_delay_alu instid0(VALU_DEP_4) | instskip(SKIP_1) | instid1(VALU_DEP_3)
	v_mov_b32_dpp v67, v20 row_shr:8 row_mask:0xf bank_mask:0xf
	v_mov_b32_dpp v68, v21 row_shr:8 row_mask:0xf bank_mask:0xf
	;; [unrolled: 1-line block ×3, first 2 shown]
	s_mov_b32 s18, exec_lo
	v_cmpx_lt_u32_e32 7, v65
	s_cbranch_execz .LBB110_221
; %bb.220:
	v_cmp_eq_u16_e64 s14, 0, v63
	v_and_b32_e32 v65, 1, v63
	s_delay_alu instid0(VALU_DEP_2) | instskip(NEXT) | instid1(VALU_DEP_2)
	v_dual_cndmask_b32 v69, 0, v68, s14 :: v_dual_bitop2_b32 v66, 1, v69 bitop3:0x40
	v_cmp_eq_u32_e64 s15, 1, v65
	v_cndmask_b32_e64 v68, 0, v67, s14
	s_delay_alu instid0(VALU_DEP_3) | instskip(NEXT) | instid1(VALU_DEP_2)
	v_cmp_eq_u32_e64 s16, 1, v66
	v_add_nc_u64_e32 v[20:21], v[68:69], v[20:21]
	s_or_b32 s14, s15, s16
	s_delay_alu instid0(SALU_CYCLE_1) | instskip(SKIP_1) | instid1(VALU_DEP_2)
	v_cndmask_b32_e64 v65, 0, 1, s14
	v_cndmask_b32_e64 v63, 0, 1, s14
	v_or_b32_e32 v66, v61, v65
.LBB110_221:
	s_or_b32 exec_lo, exec_lo, s18
	ds_swizzle_b32 v65, v20 offset:swizzle(BROADCAST,32,15)
	ds_swizzle_b32 v67, v21 offset:swizzle(BROADCAST,32,15)
	;; [unrolled: 1-line block ×3, first 2 shown]
	v_and_b32_e32 v68, 16, v62
	s_mov_b32 s16, exec_lo
	s_delay_alu instid0(VALU_DEP_1)
	v_cmpx_ne_u32_e32 0, v68
	s_cbranch_execz .LBB110_223
; %bb.222:
	v_cmp_eq_u16_e64 s14, 0, v63
	v_and_b32_e32 v63, 1, v63
	s_wait_dscnt 0x0
	s_delay_alu instid0(VALU_DEP_2) | instskip(SKIP_1) | instid1(VALU_DEP_3)
	v_dual_cndmask_b32 v67, 0, v67, s14 :: v_dual_bitop2_b32 v68, 1, v66 bitop3:0x40
	v_cndmask_b32_e64 v66, 0, v65, s14
	v_cmp_eq_u32_e64 s14, 1, v63
	s_delay_alu instid0(VALU_DEP_3) | instskip(NEXT) | instid1(VALU_DEP_3)
	v_cmp_eq_u32_e64 s15, 1, v68
	v_add_nc_u64_e32 v[20:21], v[66:67], v[20:21]
	s_or_b32 s14, s14, s15
	s_delay_alu instid0(SALU_CYCLE_1)
	v_cndmask_b32_e64 v63, 0, 1, s14
.LBB110_223:
	s_or_b32 exec_lo, exec_lo, s16
	s_wait_dscnt 0x2
	v_add_nc_u32_e32 v65, -1, v62
	s_delay_alu instid0(VALU_DEP_2) | instskip(NEXT) | instid1(VALU_DEP_2)
	v_and_b32_e32 v63, 0xffff, v63
	; wave barrier
	v_cmp_gt_i32_e64 s14, 0, v65
	s_delay_alu instid0(VALU_DEP_1) | instskip(NEXT) | instid1(VALU_DEP_1)
	v_cndmask_b32_e64 v62, v65, v62, s14
	v_lshlrev_b32_e32 v62, 2, v62
	ds_bpermute_b32 v21, v62, v21
	ds_bpermute_b32 v20, v62, v20
	v_or_b32_e32 v61, v61, v63
	ds_bpermute_b32 v61, v62, v61
	v_and_b32_e32 v62, 0xff, v60
	s_delay_alu instid0(VALU_DEP_1) | instskip(SKIP_1) | instid1(VALU_DEP_1)
	v_cmp_eq_u32_e64 s14, 0, v62
	s_wait_dscnt 0x1
	v_dual_cndmask_b32 v21, 0, v21, s14 :: v_dual_cndmask_b32 v20, 0, v20, s14
	s_delay_alu instid0(VALU_DEP_1) | instskip(SKIP_1) | instid1(VALU_DEP_1)
	v_add_nc_u64_e32 v[4:5], v[20:21], v[4:5]
	s_wait_dscnt 0x0
	v_dual_cndmask_b32 v4, v4, v58, s2 :: v_dual_bitop2_b32 v60, v61, v60 bitop3:0x54
	s_delay_alu instid0(VALU_DEP_1) | instskip(NEXT) | instid1(VALU_DEP_1)
	v_dual_cndmask_b32 v5, v5, v59, s2 :: v_dual_bitop2_b32 v20, 1, v60 bitop3:0x40
	v_cndmask_b32_e64 v33, v20, v33, s2
	ds_store_b64 v32, v[4:5]
	ds_store_b8 v32, v33 offset:8
	; wave barrier
	ds_load_u8 v65, v32 offset:24
	ds_load_2addr_b64 v[60:63], v32 offset0:2 offset1:4
	ds_load_u8 v74, v32 offset:40
	ds_load_u8 v75, v32 offset:56
	;; [unrolled: 1-line block ×5, first 2 shown]
	ds_load_b64 v[20:21], v32 offset:112
	ds_load_u8 v79, v32 offset:120
	s_wait_dscnt 0x8
	v_and_b32_e32 v66, 0xff, v65
	s_wait_dscnt 0x5
	v_and_b32_e32 v72, 0xff, v75
	s_delay_alu instid0(VALU_DEP_2) | instskip(SKIP_3) | instid1(VALU_DEP_3)
	v_cmp_eq_u16_e64 s14, 0, v66
	v_and_b32_e32 v66, 0xff, v74
	s_wait_dscnt 0x3
	v_and_b32_e32 v80, 0xff, v77
	v_dual_cndmask_b32 v5, 0, v5, s14 :: v_dual_cndmask_b32 v4, 0, v4, s14
	s_delay_alu instid0(VALU_DEP_3) | instskip(SKIP_3) | instid1(VALU_DEP_1)
	v_cmp_eq_u16_e64 s14, 0, v66
	ds_load_2addr_b64 v[66:69], v32 offset0:6 offset1:8
	v_bitop3_b16 v81, v65, 1, v33 bitop3:0xc8
	v_add_nc_u64_e32 v[4:5], v[4:5], v[60:61]
	v_dual_cndmask_b32 v61, 0, v5, s14 :: v_dual_cndmask_b32 v60, 0, v4, s14
	v_cmp_eq_u16_e64 s14, 0, v72
	s_delay_alu instid0(VALU_DEP_2) | instskip(SKIP_1) | instid1(VALU_DEP_2)
	v_add_nc_u64_e32 v[70:71], v[60:61], v[62:63]
	v_and_b32_e32 v62, 0xff, v76
	v_dual_cndmask_b32 v61, 0, v71, s14 :: v_dual_cndmask_b32 v60, 0, v70, s14
	s_delay_alu instid0(VALU_DEP_2) | instskip(SKIP_1) | instid1(VALU_DEP_2)
	v_cmp_eq_u16_e64 s14, 0, v62
	s_wait_dscnt 0x0
	v_add_nc_u64_e32 v[66:67], v[60:61], v[66:67]
	ds_load_2addr_b64 v[60:63], v32 offset0:10 offset1:12
	v_dual_cndmask_b32 v73, 0, v67, s14 :: v_dual_cndmask_b32 v72, 0, v66, s14
	v_cmp_eq_u16_e64 s14, 0, v80
	v_and_b32_e32 v80, 0xff, v78
	s_delay_alu instid0(VALU_DEP_3) | instskip(NEXT) | instid1(VALU_DEP_1)
	v_add_nc_u64_e32 v[68:69], v[72:73], v[68:69]
	v_dual_cndmask_b32 v73, 0, v69, s14 :: v_dual_cndmask_b32 v72, 0, v68, s14
	s_delay_alu instid0(VALU_DEP_3) | instskip(SKIP_1) | instid1(VALU_DEP_2)
	v_cmp_eq_u16_e64 s14, 0, v80
	s_wait_dscnt 0x0
	v_add_nc_u64_e32 v[60:61], v[72:73], v[60:61]
	s_delay_alu instid0(VALU_DEP_1) | instskip(SKIP_1) | instid1(VALU_DEP_2)
	v_dual_cndmask_b32 v73, 0, v61, s14 :: v_dual_cndmask_b32 v72, 0, v60, s14
	v_cmp_eq_u16_e64 s14, 0, v79
	v_add_nc_u64_e32 v[62:63], v[72:73], v[62:63]
	v_or_b32_e32 v80, v65, v33
	v_bitop3_b16 v33, v74, v65, v33 bitop3:0xfe
	ds_store_2addr_b64 v32, v[4:5], v[70:71] offset0:2 offset1:4
	ds_store_2addr_b64 v32, v[66:67], v[68:69] offset0:6 offset1:8
	ds_store_2addr_b64 v32, v[60:61], v[62:63] offset0:10 offset1:12
	v_cndmask_b32_e64 v73, 0, v63, s14
	v_bitop3_b16 v65, v75, v74, v80 bitop3:0xfe
	v_bitop3_b16 v74, v74, 1, v80 bitop3:0xc8
	;; [unrolled: 1-line block ×4, first 2 shown]
	s_delay_alu instid0(VALU_DEP_4) | instskip(SKIP_1) | instid1(VALU_DEP_3)
	v_bitop3_b16 v72, v77, v76, v65 bitop3:0xfe
	v_bitop3_b16 v65, v76, 1, v65 bitop3:0xc8
	;; [unrolled: 1-line block ×4, first 2 shown]
	s_delay_alu instid0(VALU_DEP_4) | instskip(SKIP_1) | instid1(VALU_DEP_4)
	v_bitop3_b16 v76, v78, 1, v72 bitop3:0xc8
	v_cndmask_b32_e64 v72, 0, v62, s14
	v_bitop3_b16 v75, v79, 1, v75 bitop3:0xc8
	s_delay_alu instid0(VALU_DEP_2)
	v_add_nc_u64_e32 v[4:5], v[72:73], v[20:21]
	ds_store_b8 v32, v81 offset:24
	ds_store_b8 v32, v74 offset:40
	;; [unrolled: 1-line block ×6, first 2 shown]
	ds_store_b64 v32, v[4:5] offset:112
	ds_store_b8 v32, v75 offset:120
.LBB110_224:
	s_or_b32 exec_lo, exec_lo, s17
	s_wait_dscnt 0x0
	s_barrier_signal -1
	s_barrier_wait -1
	s_and_saveexec_b32 s14, s3
	s_cbranch_execz .LBB110_226
; %bb.225:
	v_and_b32_e32 v1, 0xff, v1
	s_delay_alu instid0(VALU_DEP_1) | instskip(SKIP_1) | instid1(VALU_DEP_1)
	v_cmp_eq_u16_e64 s3, 0, v1
	v_add_nc_u32_e32 v4, -1, v0
	v_lshrrev_b32_e32 v5, 1, v4
	s_delay_alu instid0(VALU_DEP_1) | instskip(NEXT) | instid1(VALU_DEP_1)
	v_and_b32_e32 v5, 0x7ffffff0, v5
	v_lshl_add_u32 v4, v4, 4, v5
	ds_load_b64 v[4:5], v4
	;;#ASMSTART
	;;#ASMEND
	s_wait_dscnt 0x0
	v_dual_cndmask_b32 v5, 0, v5, s3 :: v_dual_cndmask_b32 v4, 0, v4, s3
	s_delay_alu instid0(VALU_DEP_1) | instskip(NEXT) | instid1(VALU_DEP_1)
	v_add_nc_u64_e32 v[2:3], v[4:5], v[2:3]
	v_dual_cndmask_b32 v5, 0, v3 :: v_dual_cndmask_b32 v4, 0, v2
	s_delay_alu instid0(VALU_DEP_1) | instskip(NEXT) | instid1(VALU_DEP_1)
	v_add_nc_u64_e32 v[34:35], v[4:5], v[6:7]
	v_dual_cndmask_b32 v5, 0, v35, s0 :: v_dual_cndmask_b32 v4, 0, v34, s0
	s_delay_alu instid0(VALU_DEP_1) | instskip(NEXT) | instid1(VALU_DEP_1)
	v_add_nc_u64_e32 v[36:37], v[4:5], v[12:13]
	v_dual_cndmask_b32 v5, 0, v37, s1 :: v_dual_cndmask_b32 v4, 0, v36, s1
	;; [unrolled: 3-line block ×12, first 2 shown]
	s_delay_alu instid0(VALU_DEP_1)
	v_add_nc_u64_e32 v[58:59], v[4:5], v[8:9]
.LBB110_226:
	s_or_b32 exec_lo, exec_lo, s14
	s_and_saveexec_b32 s0, s2
	s_cbranch_execz .LBB110_228
; %bb.227:
	v_dual_mov_b32 v1, 0 :: v_dual_mov_b32 v7, 2
	ds_load_b64 v[4:5], v1 offset:4192
	ds_load_u8 v6, v1 offset:4200
	s_wait_dscnt 0x1
	global_store_b64 v1, v[4:5], s[26:27] offset:512
	s_wait_dscnt 0x0
	global_store_b8 v1, v6, s[26:27] offset:520
	global_wb scope:SCOPE_DEV
	s_wait_storecnt 0x0
	global_inv scope:SCOPE_DEV
	s_wait_xcnt 0x0
	global_store_b8 v1, v7, s[28:29] offset:32 scope:SCOPE_DEV
.LBB110_228:
	s_wait_xcnt 0x0
	s_or_b32 exec_lo, exec_lo, s0
	v_mov_b64_e32 v[32:33], v[2:3]
	s_add_nc_u64 s[0:1], s[42:43], s[34:35]
	s_and_b32 vcc_lo, exec_lo, s31
	s_add_nc_u64 s[0:1], s[0:1], s[36:37]
	s_cbranch_vccnz .LBB110_158
.LBB110_229:
	s_mov_b32 s2, 0
                                        ; implicit-def: $vgpr4_vgpr5
	s_cbranch_execz .LBB110_231
; %bb.230:
	v_mul_u32_u24_e32 v1, 0x70, v0
	v_mul_i32_i24_e32 v2, 0xffffff98, v0
	s_wait_storecnt 0x0
	s_wait_loadcnt_dscnt 0x0
	s_barrier_signal -1
	s_barrier_wait -1
	ds_store_b128 v1, v[32:35]
	ds_store_b128 v1, v[36:39] offset:16
	ds_store_b128 v1, v[40:43] offset:32
	ds_store_b128 v1, v[44:47] offset:48
	ds_store_b128 v1, v[48:51] offset:64
	ds_store_b128 v1, v[52:55] offset:80
	ds_store_b128 v1, v[56:59] offset:96
	v_mad_u32_u24 v1, 0x70, v0, v2
	s_wait_dscnt 0x0
	s_barrier_signal -1
	s_barrier_wait -1
	ds_load_2addr_stride64_b64 v[6:9], v1 offset1:4
	ds_load_2addr_stride64_b64 v[10:13], v1 offset0:8 offset1:12
	ds_load_2addr_stride64_b64 v[14:17], v1 offset0:16 offset1:20
	;; [unrolled: 1-line block ×6, first 2 shown]
	s_or_b32 s2, s2, exec_lo
	s_wait_dscnt 0x6
	s_clause 0x1
	flat_store_b64 v0, v[6:7], s[0:1] scale_offset
	flat_store_b64 v0, v[8:9], s[0:1] offset:2048 scale_offset
	s_wait_dscnt 0x7
	s_clause 0x1
	flat_store_b64 v0, v[10:11], s[0:1] offset:4096 scale_offset
	flat_store_b64 v0, v[12:13], s[0:1] offset:6144 scale_offset
	s_wait_dscnt 0x8
	s_clause 0x1
	flat_store_b64 v0, v[14:15], s[0:1] offset:8192 scale_offset
	;; [unrolled: 4-line block ×5, first 2 shown]
	flat_store_b64 v0, v[28:29], s[0:1] offset:22528 scale_offset
	s_wait_dscnt 0xc
	flat_store_b64 v0, v[2:3], s[0:1] offset:24576 scale_offset
.LBB110_231:
	s_wait_xcnt 0x0
	s_delay_alu instid0(VALU_DEP_1)
	s_and_saveexec_b32 s3, s2
	s_cbranch_execnz .LBB110_233
; %bb.232:
	s_sendmsg sendmsg(MSG_DEALLOC_VGPRS)
	s_endpgm
.LBB110_233:
	s_wait_dscnt 0x0
	flat_store_b64 v0, v[4:5], s[0:1] offset:26624 scale_offset
	s_sendmsg sendmsg(MSG_DEALLOC_VGPRS)
	s_endpgm
	.section	.rodata,"a",@progbits
	.p2align	6, 0x0
	.amdhsa_kernel _ZN7rocprim17ROCPRIM_400000_NS6detail17trampoline_kernelINS0_14default_configENS1_27scan_by_key_config_selectorIxxEEZZNS1_16scan_by_key_implILNS1_25lookback_scan_determinismE0ELb0ES3_N6thrust23THRUST_200600_302600_NS6detail15normal_iteratorINS9_10device_ptrIxEEEESE_SE_xNS9_4plusIvEENS9_8equal_toIxEExEE10hipError_tPvRmT2_T3_T4_T5_mT6_T7_P12ihipStream_tbENKUlT_T0_E_clISt17integral_constantIbLb0EESY_IbLb1EEEEDaSU_SV_EUlSU_E_NS1_11comp_targetILNS1_3genE0ELNS1_11target_archE4294967295ELNS1_3gpuE0ELNS1_3repE0EEENS1_30default_config_static_selectorELNS0_4arch9wavefront6targetE0EEEvT1_
		.amdhsa_group_segment_fixed_size 32768
		.amdhsa_private_segment_fixed_size 0
		.amdhsa_kernarg_size 136
		.amdhsa_user_sgpr_count 2
		.amdhsa_user_sgpr_dispatch_ptr 0
		.amdhsa_user_sgpr_queue_ptr 0
		.amdhsa_user_sgpr_kernarg_segment_ptr 1
		.amdhsa_user_sgpr_dispatch_id 0
		.amdhsa_user_sgpr_kernarg_preload_length 0
		.amdhsa_user_sgpr_kernarg_preload_offset 0
		.amdhsa_user_sgpr_private_segment_size 0
		.amdhsa_wavefront_size32 1
		.amdhsa_uses_dynamic_stack 0
		.amdhsa_enable_private_segment 0
		.amdhsa_system_sgpr_workgroup_id_x 1
		.amdhsa_system_sgpr_workgroup_id_y 0
		.amdhsa_system_sgpr_workgroup_id_z 0
		.amdhsa_system_sgpr_workgroup_info 0
		.amdhsa_system_vgpr_workitem_id 0
		.amdhsa_next_free_vgpr 111
		.amdhsa_next_free_sgpr 56
		.amdhsa_named_barrier_count 0
		.amdhsa_reserve_vcc 1
		.amdhsa_float_round_mode_32 0
		.amdhsa_float_round_mode_16_64 0
		.amdhsa_float_denorm_mode_32 3
		.amdhsa_float_denorm_mode_16_64 3
		.amdhsa_fp16_overflow 0
		.amdhsa_memory_ordered 1
		.amdhsa_forward_progress 1
		.amdhsa_inst_pref_size 124
		.amdhsa_round_robin_scheduling 0
		.amdhsa_exception_fp_ieee_invalid_op 0
		.amdhsa_exception_fp_denorm_src 0
		.amdhsa_exception_fp_ieee_div_zero 0
		.amdhsa_exception_fp_ieee_overflow 0
		.amdhsa_exception_fp_ieee_underflow 0
		.amdhsa_exception_fp_ieee_inexact 0
		.amdhsa_exception_int_div_zero 0
	.end_amdhsa_kernel
	.section	.text._ZN7rocprim17ROCPRIM_400000_NS6detail17trampoline_kernelINS0_14default_configENS1_27scan_by_key_config_selectorIxxEEZZNS1_16scan_by_key_implILNS1_25lookback_scan_determinismE0ELb0ES3_N6thrust23THRUST_200600_302600_NS6detail15normal_iteratorINS9_10device_ptrIxEEEESE_SE_xNS9_4plusIvEENS9_8equal_toIxEExEE10hipError_tPvRmT2_T3_T4_T5_mT6_T7_P12ihipStream_tbENKUlT_T0_E_clISt17integral_constantIbLb0EESY_IbLb1EEEEDaSU_SV_EUlSU_E_NS1_11comp_targetILNS1_3genE0ELNS1_11target_archE4294967295ELNS1_3gpuE0ELNS1_3repE0EEENS1_30default_config_static_selectorELNS0_4arch9wavefront6targetE0EEEvT1_,"axG",@progbits,_ZN7rocprim17ROCPRIM_400000_NS6detail17trampoline_kernelINS0_14default_configENS1_27scan_by_key_config_selectorIxxEEZZNS1_16scan_by_key_implILNS1_25lookback_scan_determinismE0ELb0ES3_N6thrust23THRUST_200600_302600_NS6detail15normal_iteratorINS9_10device_ptrIxEEEESE_SE_xNS9_4plusIvEENS9_8equal_toIxEExEE10hipError_tPvRmT2_T3_T4_T5_mT6_T7_P12ihipStream_tbENKUlT_T0_E_clISt17integral_constantIbLb0EESY_IbLb1EEEEDaSU_SV_EUlSU_E_NS1_11comp_targetILNS1_3genE0ELNS1_11target_archE4294967295ELNS1_3gpuE0ELNS1_3repE0EEENS1_30default_config_static_selectorELNS0_4arch9wavefront6targetE0EEEvT1_,comdat
.Lfunc_end110:
	.size	_ZN7rocprim17ROCPRIM_400000_NS6detail17trampoline_kernelINS0_14default_configENS1_27scan_by_key_config_selectorIxxEEZZNS1_16scan_by_key_implILNS1_25lookback_scan_determinismE0ELb0ES3_N6thrust23THRUST_200600_302600_NS6detail15normal_iteratorINS9_10device_ptrIxEEEESE_SE_xNS9_4plusIvEENS9_8equal_toIxEExEE10hipError_tPvRmT2_T3_T4_T5_mT6_T7_P12ihipStream_tbENKUlT_T0_E_clISt17integral_constantIbLb0EESY_IbLb1EEEEDaSU_SV_EUlSU_E_NS1_11comp_targetILNS1_3genE0ELNS1_11target_archE4294967295ELNS1_3gpuE0ELNS1_3repE0EEENS1_30default_config_static_selectorELNS0_4arch9wavefront6targetE0EEEvT1_, .Lfunc_end110-_ZN7rocprim17ROCPRIM_400000_NS6detail17trampoline_kernelINS0_14default_configENS1_27scan_by_key_config_selectorIxxEEZZNS1_16scan_by_key_implILNS1_25lookback_scan_determinismE0ELb0ES3_N6thrust23THRUST_200600_302600_NS6detail15normal_iteratorINS9_10device_ptrIxEEEESE_SE_xNS9_4plusIvEENS9_8equal_toIxEExEE10hipError_tPvRmT2_T3_T4_T5_mT6_T7_P12ihipStream_tbENKUlT_T0_E_clISt17integral_constantIbLb0EESY_IbLb1EEEEDaSU_SV_EUlSU_E_NS1_11comp_targetILNS1_3genE0ELNS1_11target_archE4294967295ELNS1_3gpuE0ELNS1_3repE0EEENS1_30default_config_static_selectorELNS0_4arch9wavefront6targetE0EEEvT1_
                                        ; -- End function
	.set _ZN7rocprim17ROCPRIM_400000_NS6detail17trampoline_kernelINS0_14default_configENS1_27scan_by_key_config_selectorIxxEEZZNS1_16scan_by_key_implILNS1_25lookback_scan_determinismE0ELb0ES3_N6thrust23THRUST_200600_302600_NS6detail15normal_iteratorINS9_10device_ptrIxEEEESE_SE_xNS9_4plusIvEENS9_8equal_toIxEExEE10hipError_tPvRmT2_T3_T4_T5_mT6_T7_P12ihipStream_tbENKUlT_T0_E_clISt17integral_constantIbLb0EESY_IbLb1EEEEDaSU_SV_EUlSU_E_NS1_11comp_targetILNS1_3genE0ELNS1_11target_archE4294967295ELNS1_3gpuE0ELNS1_3repE0EEENS1_30default_config_static_selectorELNS0_4arch9wavefront6targetE0EEEvT1_.num_vgpr, 111
	.set _ZN7rocprim17ROCPRIM_400000_NS6detail17trampoline_kernelINS0_14default_configENS1_27scan_by_key_config_selectorIxxEEZZNS1_16scan_by_key_implILNS1_25lookback_scan_determinismE0ELb0ES3_N6thrust23THRUST_200600_302600_NS6detail15normal_iteratorINS9_10device_ptrIxEEEESE_SE_xNS9_4plusIvEENS9_8equal_toIxEExEE10hipError_tPvRmT2_T3_T4_T5_mT6_T7_P12ihipStream_tbENKUlT_T0_E_clISt17integral_constantIbLb0EESY_IbLb1EEEEDaSU_SV_EUlSU_E_NS1_11comp_targetILNS1_3genE0ELNS1_11target_archE4294967295ELNS1_3gpuE0ELNS1_3repE0EEENS1_30default_config_static_selectorELNS0_4arch9wavefront6targetE0EEEvT1_.num_agpr, 0
	.set _ZN7rocprim17ROCPRIM_400000_NS6detail17trampoline_kernelINS0_14default_configENS1_27scan_by_key_config_selectorIxxEEZZNS1_16scan_by_key_implILNS1_25lookback_scan_determinismE0ELb0ES3_N6thrust23THRUST_200600_302600_NS6detail15normal_iteratorINS9_10device_ptrIxEEEESE_SE_xNS9_4plusIvEENS9_8equal_toIxEExEE10hipError_tPvRmT2_T3_T4_T5_mT6_T7_P12ihipStream_tbENKUlT_T0_E_clISt17integral_constantIbLb0EESY_IbLb1EEEEDaSU_SV_EUlSU_E_NS1_11comp_targetILNS1_3genE0ELNS1_11target_archE4294967295ELNS1_3gpuE0ELNS1_3repE0EEENS1_30default_config_static_selectorELNS0_4arch9wavefront6targetE0EEEvT1_.numbered_sgpr, 56
	.set _ZN7rocprim17ROCPRIM_400000_NS6detail17trampoline_kernelINS0_14default_configENS1_27scan_by_key_config_selectorIxxEEZZNS1_16scan_by_key_implILNS1_25lookback_scan_determinismE0ELb0ES3_N6thrust23THRUST_200600_302600_NS6detail15normal_iteratorINS9_10device_ptrIxEEEESE_SE_xNS9_4plusIvEENS9_8equal_toIxEExEE10hipError_tPvRmT2_T3_T4_T5_mT6_T7_P12ihipStream_tbENKUlT_T0_E_clISt17integral_constantIbLb0EESY_IbLb1EEEEDaSU_SV_EUlSU_E_NS1_11comp_targetILNS1_3genE0ELNS1_11target_archE4294967295ELNS1_3gpuE0ELNS1_3repE0EEENS1_30default_config_static_selectorELNS0_4arch9wavefront6targetE0EEEvT1_.num_named_barrier, 0
	.set _ZN7rocprim17ROCPRIM_400000_NS6detail17trampoline_kernelINS0_14default_configENS1_27scan_by_key_config_selectorIxxEEZZNS1_16scan_by_key_implILNS1_25lookback_scan_determinismE0ELb0ES3_N6thrust23THRUST_200600_302600_NS6detail15normal_iteratorINS9_10device_ptrIxEEEESE_SE_xNS9_4plusIvEENS9_8equal_toIxEExEE10hipError_tPvRmT2_T3_T4_T5_mT6_T7_P12ihipStream_tbENKUlT_T0_E_clISt17integral_constantIbLb0EESY_IbLb1EEEEDaSU_SV_EUlSU_E_NS1_11comp_targetILNS1_3genE0ELNS1_11target_archE4294967295ELNS1_3gpuE0ELNS1_3repE0EEENS1_30default_config_static_selectorELNS0_4arch9wavefront6targetE0EEEvT1_.private_seg_size, 0
	.set _ZN7rocprim17ROCPRIM_400000_NS6detail17trampoline_kernelINS0_14default_configENS1_27scan_by_key_config_selectorIxxEEZZNS1_16scan_by_key_implILNS1_25lookback_scan_determinismE0ELb0ES3_N6thrust23THRUST_200600_302600_NS6detail15normal_iteratorINS9_10device_ptrIxEEEESE_SE_xNS9_4plusIvEENS9_8equal_toIxEExEE10hipError_tPvRmT2_T3_T4_T5_mT6_T7_P12ihipStream_tbENKUlT_T0_E_clISt17integral_constantIbLb0EESY_IbLb1EEEEDaSU_SV_EUlSU_E_NS1_11comp_targetILNS1_3genE0ELNS1_11target_archE4294967295ELNS1_3gpuE0ELNS1_3repE0EEENS1_30default_config_static_selectorELNS0_4arch9wavefront6targetE0EEEvT1_.uses_vcc, 1
	.set _ZN7rocprim17ROCPRIM_400000_NS6detail17trampoline_kernelINS0_14default_configENS1_27scan_by_key_config_selectorIxxEEZZNS1_16scan_by_key_implILNS1_25lookback_scan_determinismE0ELb0ES3_N6thrust23THRUST_200600_302600_NS6detail15normal_iteratorINS9_10device_ptrIxEEEESE_SE_xNS9_4plusIvEENS9_8equal_toIxEExEE10hipError_tPvRmT2_T3_T4_T5_mT6_T7_P12ihipStream_tbENKUlT_T0_E_clISt17integral_constantIbLb0EESY_IbLb1EEEEDaSU_SV_EUlSU_E_NS1_11comp_targetILNS1_3genE0ELNS1_11target_archE4294967295ELNS1_3gpuE0ELNS1_3repE0EEENS1_30default_config_static_selectorELNS0_4arch9wavefront6targetE0EEEvT1_.uses_flat_scratch, 1
	.set _ZN7rocprim17ROCPRIM_400000_NS6detail17trampoline_kernelINS0_14default_configENS1_27scan_by_key_config_selectorIxxEEZZNS1_16scan_by_key_implILNS1_25lookback_scan_determinismE0ELb0ES3_N6thrust23THRUST_200600_302600_NS6detail15normal_iteratorINS9_10device_ptrIxEEEESE_SE_xNS9_4plusIvEENS9_8equal_toIxEExEE10hipError_tPvRmT2_T3_T4_T5_mT6_T7_P12ihipStream_tbENKUlT_T0_E_clISt17integral_constantIbLb0EESY_IbLb1EEEEDaSU_SV_EUlSU_E_NS1_11comp_targetILNS1_3genE0ELNS1_11target_archE4294967295ELNS1_3gpuE0ELNS1_3repE0EEENS1_30default_config_static_selectorELNS0_4arch9wavefront6targetE0EEEvT1_.has_dyn_sized_stack, 0
	.set _ZN7rocprim17ROCPRIM_400000_NS6detail17trampoline_kernelINS0_14default_configENS1_27scan_by_key_config_selectorIxxEEZZNS1_16scan_by_key_implILNS1_25lookback_scan_determinismE0ELb0ES3_N6thrust23THRUST_200600_302600_NS6detail15normal_iteratorINS9_10device_ptrIxEEEESE_SE_xNS9_4plusIvEENS9_8equal_toIxEExEE10hipError_tPvRmT2_T3_T4_T5_mT6_T7_P12ihipStream_tbENKUlT_T0_E_clISt17integral_constantIbLb0EESY_IbLb1EEEEDaSU_SV_EUlSU_E_NS1_11comp_targetILNS1_3genE0ELNS1_11target_archE4294967295ELNS1_3gpuE0ELNS1_3repE0EEENS1_30default_config_static_selectorELNS0_4arch9wavefront6targetE0EEEvT1_.has_recursion, 0
	.set _ZN7rocprim17ROCPRIM_400000_NS6detail17trampoline_kernelINS0_14default_configENS1_27scan_by_key_config_selectorIxxEEZZNS1_16scan_by_key_implILNS1_25lookback_scan_determinismE0ELb0ES3_N6thrust23THRUST_200600_302600_NS6detail15normal_iteratorINS9_10device_ptrIxEEEESE_SE_xNS9_4plusIvEENS9_8equal_toIxEExEE10hipError_tPvRmT2_T3_T4_T5_mT6_T7_P12ihipStream_tbENKUlT_T0_E_clISt17integral_constantIbLb0EESY_IbLb1EEEEDaSU_SV_EUlSU_E_NS1_11comp_targetILNS1_3genE0ELNS1_11target_archE4294967295ELNS1_3gpuE0ELNS1_3repE0EEENS1_30default_config_static_selectorELNS0_4arch9wavefront6targetE0EEEvT1_.has_indirect_call, 0
	.section	.AMDGPU.csdata,"",@progbits
; Kernel info:
; codeLenInByte = 15828
; TotalNumSgprs: 58
; NumVgprs: 111
; ScratchSize: 0
; MemoryBound: 0
; FloatMode: 240
; IeeeMode: 1
; LDSByteSize: 32768 bytes/workgroup (compile time only)
; SGPRBlocks: 0
; VGPRBlocks: 6
; NumSGPRsForWavesPerEU: 58
; NumVGPRsForWavesPerEU: 111
; NamedBarCnt: 0
; Occupancy: 9
; WaveLimiterHint : 1
; COMPUTE_PGM_RSRC2:SCRATCH_EN: 0
; COMPUTE_PGM_RSRC2:USER_SGPR: 2
; COMPUTE_PGM_RSRC2:TRAP_HANDLER: 0
; COMPUTE_PGM_RSRC2:TGID_X_EN: 1
; COMPUTE_PGM_RSRC2:TGID_Y_EN: 0
; COMPUTE_PGM_RSRC2:TGID_Z_EN: 0
; COMPUTE_PGM_RSRC2:TIDIG_COMP_CNT: 0
	.section	.text._ZN7rocprim17ROCPRIM_400000_NS6detail17trampoline_kernelINS0_14default_configENS1_27scan_by_key_config_selectorIxxEEZZNS1_16scan_by_key_implILNS1_25lookback_scan_determinismE0ELb0ES3_N6thrust23THRUST_200600_302600_NS6detail15normal_iteratorINS9_10device_ptrIxEEEESE_SE_xNS9_4plusIvEENS9_8equal_toIxEExEE10hipError_tPvRmT2_T3_T4_T5_mT6_T7_P12ihipStream_tbENKUlT_T0_E_clISt17integral_constantIbLb0EESY_IbLb1EEEEDaSU_SV_EUlSU_E_NS1_11comp_targetILNS1_3genE10ELNS1_11target_archE1201ELNS1_3gpuE5ELNS1_3repE0EEENS1_30default_config_static_selectorELNS0_4arch9wavefront6targetE0EEEvT1_,"axG",@progbits,_ZN7rocprim17ROCPRIM_400000_NS6detail17trampoline_kernelINS0_14default_configENS1_27scan_by_key_config_selectorIxxEEZZNS1_16scan_by_key_implILNS1_25lookback_scan_determinismE0ELb0ES3_N6thrust23THRUST_200600_302600_NS6detail15normal_iteratorINS9_10device_ptrIxEEEESE_SE_xNS9_4plusIvEENS9_8equal_toIxEExEE10hipError_tPvRmT2_T3_T4_T5_mT6_T7_P12ihipStream_tbENKUlT_T0_E_clISt17integral_constantIbLb0EESY_IbLb1EEEEDaSU_SV_EUlSU_E_NS1_11comp_targetILNS1_3genE10ELNS1_11target_archE1201ELNS1_3gpuE5ELNS1_3repE0EEENS1_30default_config_static_selectorELNS0_4arch9wavefront6targetE0EEEvT1_,comdat
	.protected	_ZN7rocprim17ROCPRIM_400000_NS6detail17trampoline_kernelINS0_14default_configENS1_27scan_by_key_config_selectorIxxEEZZNS1_16scan_by_key_implILNS1_25lookback_scan_determinismE0ELb0ES3_N6thrust23THRUST_200600_302600_NS6detail15normal_iteratorINS9_10device_ptrIxEEEESE_SE_xNS9_4plusIvEENS9_8equal_toIxEExEE10hipError_tPvRmT2_T3_T4_T5_mT6_T7_P12ihipStream_tbENKUlT_T0_E_clISt17integral_constantIbLb0EESY_IbLb1EEEEDaSU_SV_EUlSU_E_NS1_11comp_targetILNS1_3genE10ELNS1_11target_archE1201ELNS1_3gpuE5ELNS1_3repE0EEENS1_30default_config_static_selectorELNS0_4arch9wavefront6targetE0EEEvT1_ ; -- Begin function _ZN7rocprim17ROCPRIM_400000_NS6detail17trampoline_kernelINS0_14default_configENS1_27scan_by_key_config_selectorIxxEEZZNS1_16scan_by_key_implILNS1_25lookback_scan_determinismE0ELb0ES3_N6thrust23THRUST_200600_302600_NS6detail15normal_iteratorINS9_10device_ptrIxEEEESE_SE_xNS9_4plusIvEENS9_8equal_toIxEExEE10hipError_tPvRmT2_T3_T4_T5_mT6_T7_P12ihipStream_tbENKUlT_T0_E_clISt17integral_constantIbLb0EESY_IbLb1EEEEDaSU_SV_EUlSU_E_NS1_11comp_targetILNS1_3genE10ELNS1_11target_archE1201ELNS1_3gpuE5ELNS1_3repE0EEENS1_30default_config_static_selectorELNS0_4arch9wavefront6targetE0EEEvT1_
	.globl	_ZN7rocprim17ROCPRIM_400000_NS6detail17trampoline_kernelINS0_14default_configENS1_27scan_by_key_config_selectorIxxEEZZNS1_16scan_by_key_implILNS1_25lookback_scan_determinismE0ELb0ES3_N6thrust23THRUST_200600_302600_NS6detail15normal_iteratorINS9_10device_ptrIxEEEESE_SE_xNS9_4plusIvEENS9_8equal_toIxEExEE10hipError_tPvRmT2_T3_T4_T5_mT6_T7_P12ihipStream_tbENKUlT_T0_E_clISt17integral_constantIbLb0EESY_IbLb1EEEEDaSU_SV_EUlSU_E_NS1_11comp_targetILNS1_3genE10ELNS1_11target_archE1201ELNS1_3gpuE5ELNS1_3repE0EEENS1_30default_config_static_selectorELNS0_4arch9wavefront6targetE0EEEvT1_
	.p2align	8
	.type	_ZN7rocprim17ROCPRIM_400000_NS6detail17trampoline_kernelINS0_14default_configENS1_27scan_by_key_config_selectorIxxEEZZNS1_16scan_by_key_implILNS1_25lookback_scan_determinismE0ELb0ES3_N6thrust23THRUST_200600_302600_NS6detail15normal_iteratorINS9_10device_ptrIxEEEESE_SE_xNS9_4plusIvEENS9_8equal_toIxEExEE10hipError_tPvRmT2_T3_T4_T5_mT6_T7_P12ihipStream_tbENKUlT_T0_E_clISt17integral_constantIbLb0EESY_IbLb1EEEEDaSU_SV_EUlSU_E_NS1_11comp_targetILNS1_3genE10ELNS1_11target_archE1201ELNS1_3gpuE5ELNS1_3repE0EEENS1_30default_config_static_selectorELNS0_4arch9wavefront6targetE0EEEvT1_,@function
_ZN7rocprim17ROCPRIM_400000_NS6detail17trampoline_kernelINS0_14default_configENS1_27scan_by_key_config_selectorIxxEEZZNS1_16scan_by_key_implILNS1_25lookback_scan_determinismE0ELb0ES3_N6thrust23THRUST_200600_302600_NS6detail15normal_iteratorINS9_10device_ptrIxEEEESE_SE_xNS9_4plusIvEENS9_8equal_toIxEExEE10hipError_tPvRmT2_T3_T4_T5_mT6_T7_P12ihipStream_tbENKUlT_T0_E_clISt17integral_constantIbLb0EESY_IbLb1EEEEDaSU_SV_EUlSU_E_NS1_11comp_targetILNS1_3genE10ELNS1_11target_archE1201ELNS1_3gpuE5ELNS1_3repE0EEENS1_30default_config_static_selectorELNS0_4arch9wavefront6targetE0EEEvT1_: ; @_ZN7rocprim17ROCPRIM_400000_NS6detail17trampoline_kernelINS0_14default_configENS1_27scan_by_key_config_selectorIxxEEZZNS1_16scan_by_key_implILNS1_25lookback_scan_determinismE0ELb0ES3_N6thrust23THRUST_200600_302600_NS6detail15normal_iteratorINS9_10device_ptrIxEEEESE_SE_xNS9_4plusIvEENS9_8equal_toIxEExEE10hipError_tPvRmT2_T3_T4_T5_mT6_T7_P12ihipStream_tbENKUlT_T0_E_clISt17integral_constantIbLb0EESY_IbLb1EEEEDaSU_SV_EUlSU_E_NS1_11comp_targetILNS1_3genE10ELNS1_11target_archE1201ELNS1_3gpuE5ELNS1_3repE0EEENS1_30default_config_static_selectorELNS0_4arch9wavefront6targetE0EEEvT1_
; %bb.0:
	.section	.rodata,"a",@progbits
	.p2align	6, 0x0
	.amdhsa_kernel _ZN7rocprim17ROCPRIM_400000_NS6detail17trampoline_kernelINS0_14default_configENS1_27scan_by_key_config_selectorIxxEEZZNS1_16scan_by_key_implILNS1_25lookback_scan_determinismE0ELb0ES3_N6thrust23THRUST_200600_302600_NS6detail15normal_iteratorINS9_10device_ptrIxEEEESE_SE_xNS9_4plusIvEENS9_8equal_toIxEExEE10hipError_tPvRmT2_T3_T4_T5_mT6_T7_P12ihipStream_tbENKUlT_T0_E_clISt17integral_constantIbLb0EESY_IbLb1EEEEDaSU_SV_EUlSU_E_NS1_11comp_targetILNS1_3genE10ELNS1_11target_archE1201ELNS1_3gpuE5ELNS1_3repE0EEENS1_30default_config_static_selectorELNS0_4arch9wavefront6targetE0EEEvT1_
		.amdhsa_group_segment_fixed_size 0
		.amdhsa_private_segment_fixed_size 0
		.amdhsa_kernarg_size 136
		.amdhsa_user_sgpr_count 2
		.amdhsa_user_sgpr_dispatch_ptr 0
		.amdhsa_user_sgpr_queue_ptr 0
		.amdhsa_user_sgpr_kernarg_segment_ptr 1
		.amdhsa_user_sgpr_dispatch_id 0
		.amdhsa_user_sgpr_kernarg_preload_length 0
		.amdhsa_user_sgpr_kernarg_preload_offset 0
		.amdhsa_user_sgpr_private_segment_size 0
		.amdhsa_wavefront_size32 1
		.amdhsa_uses_dynamic_stack 0
		.amdhsa_enable_private_segment 0
		.amdhsa_system_sgpr_workgroup_id_x 1
		.amdhsa_system_sgpr_workgroup_id_y 0
		.amdhsa_system_sgpr_workgroup_id_z 0
		.amdhsa_system_sgpr_workgroup_info 0
		.amdhsa_system_vgpr_workitem_id 0
		.amdhsa_next_free_vgpr 1
		.amdhsa_next_free_sgpr 1
		.amdhsa_named_barrier_count 0
		.amdhsa_reserve_vcc 0
		.amdhsa_float_round_mode_32 0
		.amdhsa_float_round_mode_16_64 0
		.amdhsa_float_denorm_mode_32 3
		.amdhsa_float_denorm_mode_16_64 3
		.amdhsa_fp16_overflow 0
		.amdhsa_memory_ordered 1
		.amdhsa_forward_progress 1
		.amdhsa_inst_pref_size 0
		.amdhsa_round_robin_scheduling 0
		.amdhsa_exception_fp_ieee_invalid_op 0
		.amdhsa_exception_fp_denorm_src 0
		.amdhsa_exception_fp_ieee_div_zero 0
		.amdhsa_exception_fp_ieee_overflow 0
		.amdhsa_exception_fp_ieee_underflow 0
		.amdhsa_exception_fp_ieee_inexact 0
		.amdhsa_exception_int_div_zero 0
	.end_amdhsa_kernel
	.section	.text._ZN7rocprim17ROCPRIM_400000_NS6detail17trampoline_kernelINS0_14default_configENS1_27scan_by_key_config_selectorIxxEEZZNS1_16scan_by_key_implILNS1_25lookback_scan_determinismE0ELb0ES3_N6thrust23THRUST_200600_302600_NS6detail15normal_iteratorINS9_10device_ptrIxEEEESE_SE_xNS9_4plusIvEENS9_8equal_toIxEExEE10hipError_tPvRmT2_T3_T4_T5_mT6_T7_P12ihipStream_tbENKUlT_T0_E_clISt17integral_constantIbLb0EESY_IbLb1EEEEDaSU_SV_EUlSU_E_NS1_11comp_targetILNS1_3genE10ELNS1_11target_archE1201ELNS1_3gpuE5ELNS1_3repE0EEENS1_30default_config_static_selectorELNS0_4arch9wavefront6targetE0EEEvT1_,"axG",@progbits,_ZN7rocprim17ROCPRIM_400000_NS6detail17trampoline_kernelINS0_14default_configENS1_27scan_by_key_config_selectorIxxEEZZNS1_16scan_by_key_implILNS1_25lookback_scan_determinismE0ELb0ES3_N6thrust23THRUST_200600_302600_NS6detail15normal_iteratorINS9_10device_ptrIxEEEESE_SE_xNS9_4plusIvEENS9_8equal_toIxEExEE10hipError_tPvRmT2_T3_T4_T5_mT6_T7_P12ihipStream_tbENKUlT_T0_E_clISt17integral_constantIbLb0EESY_IbLb1EEEEDaSU_SV_EUlSU_E_NS1_11comp_targetILNS1_3genE10ELNS1_11target_archE1201ELNS1_3gpuE5ELNS1_3repE0EEENS1_30default_config_static_selectorELNS0_4arch9wavefront6targetE0EEEvT1_,comdat
.Lfunc_end111:
	.size	_ZN7rocprim17ROCPRIM_400000_NS6detail17trampoline_kernelINS0_14default_configENS1_27scan_by_key_config_selectorIxxEEZZNS1_16scan_by_key_implILNS1_25lookback_scan_determinismE0ELb0ES3_N6thrust23THRUST_200600_302600_NS6detail15normal_iteratorINS9_10device_ptrIxEEEESE_SE_xNS9_4plusIvEENS9_8equal_toIxEExEE10hipError_tPvRmT2_T3_T4_T5_mT6_T7_P12ihipStream_tbENKUlT_T0_E_clISt17integral_constantIbLb0EESY_IbLb1EEEEDaSU_SV_EUlSU_E_NS1_11comp_targetILNS1_3genE10ELNS1_11target_archE1201ELNS1_3gpuE5ELNS1_3repE0EEENS1_30default_config_static_selectorELNS0_4arch9wavefront6targetE0EEEvT1_, .Lfunc_end111-_ZN7rocprim17ROCPRIM_400000_NS6detail17trampoline_kernelINS0_14default_configENS1_27scan_by_key_config_selectorIxxEEZZNS1_16scan_by_key_implILNS1_25lookback_scan_determinismE0ELb0ES3_N6thrust23THRUST_200600_302600_NS6detail15normal_iteratorINS9_10device_ptrIxEEEESE_SE_xNS9_4plusIvEENS9_8equal_toIxEExEE10hipError_tPvRmT2_T3_T4_T5_mT6_T7_P12ihipStream_tbENKUlT_T0_E_clISt17integral_constantIbLb0EESY_IbLb1EEEEDaSU_SV_EUlSU_E_NS1_11comp_targetILNS1_3genE10ELNS1_11target_archE1201ELNS1_3gpuE5ELNS1_3repE0EEENS1_30default_config_static_selectorELNS0_4arch9wavefront6targetE0EEEvT1_
                                        ; -- End function
	.set _ZN7rocprim17ROCPRIM_400000_NS6detail17trampoline_kernelINS0_14default_configENS1_27scan_by_key_config_selectorIxxEEZZNS1_16scan_by_key_implILNS1_25lookback_scan_determinismE0ELb0ES3_N6thrust23THRUST_200600_302600_NS6detail15normal_iteratorINS9_10device_ptrIxEEEESE_SE_xNS9_4plusIvEENS9_8equal_toIxEExEE10hipError_tPvRmT2_T3_T4_T5_mT6_T7_P12ihipStream_tbENKUlT_T0_E_clISt17integral_constantIbLb0EESY_IbLb1EEEEDaSU_SV_EUlSU_E_NS1_11comp_targetILNS1_3genE10ELNS1_11target_archE1201ELNS1_3gpuE5ELNS1_3repE0EEENS1_30default_config_static_selectorELNS0_4arch9wavefront6targetE0EEEvT1_.num_vgpr, 0
	.set _ZN7rocprim17ROCPRIM_400000_NS6detail17trampoline_kernelINS0_14default_configENS1_27scan_by_key_config_selectorIxxEEZZNS1_16scan_by_key_implILNS1_25lookback_scan_determinismE0ELb0ES3_N6thrust23THRUST_200600_302600_NS6detail15normal_iteratorINS9_10device_ptrIxEEEESE_SE_xNS9_4plusIvEENS9_8equal_toIxEExEE10hipError_tPvRmT2_T3_T4_T5_mT6_T7_P12ihipStream_tbENKUlT_T0_E_clISt17integral_constantIbLb0EESY_IbLb1EEEEDaSU_SV_EUlSU_E_NS1_11comp_targetILNS1_3genE10ELNS1_11target_archE1201ELNS1_3gpuE5ELNS1_3repE0EEENS1_30default_config_static_selectorELNS0_4arch9wavefront6targetE0EEEvT1_.num_agpr, 0
	.set _ZN7rocprim17ROCPRIM_400000_NS6detail17trampoline_kernelINS0_14default_configENS1_27scan_by_key_config_selectorIxxEEZZNS1_16scan_by_key_implILNS1_25lookback_scan_determinismE0ELb0ES3_N6thrust23THRUST_200600_302600_NS6detail15normal_iteratorINS9_10device_ptrIxEEEESE_SE_xNS9_4plusIvEENS9_8equal_toIxEExEE10hipError_tPvRmT2_T3_T4_T5_mT6_T7_P12ihipStream_tbENKUlT_T0_E_clISt17integral_constantIbLb0EESY_IbLb1EEEEDaSU_SV_EUlSU_E_NS1_11comp_targetILNS1_3genE10ELNS1_11target_archE1201ELNS1_3gpuE5ELNS1_3repE0EEENS1_30default_config_static_selectorELNS0_4arch9wavefront6targetE0EEEvT1_.numbered_sgpr, 0
	.set _ZN7rocprim17ROCPRIM_400000_NS6detail17trampoline_kernelINS0_14default_configENS1_27scan_by_key_config_selectorIxxEEZZNS1_16scan_by_key_implILNS1_25lookback_scan_determinismE0ELb0ES3_N6thrust23THRUST_200600_302600_NS6detail15normal_iteratorINS9_10device_ptrIxEEEESE_SE_xNS9_4plusIvEENS9_8equal_toIxEExEE10hipError_tPvRmT2_T3_T4_T5_mT6_T7_P12ihipStream_tbENKUlT_T0_E_clISt17integral_constantIbLb0EESY_IbLb1EEEEDaSU_SV_EUlSU_E_NS1_11comp_targetILNS1_3genE10ELNS1_11target_archE1201ELNS1_3gpuE5ELNS1_3repE0EEENS1_30default_config_static_selectorELNS0_4arch9wavefront6targetE0EEEvT1_.num_named_barrier, 0
	.set _ZN7rocprim17ROCPRIM_400000_NS6detail17trampoline_kernelINS0_14default_configENS1_27scan_by_key_config_selectorIxxEEZZNS1_16scan_by_key_implILNS1_25lookback_scan_determinismE0ELb0ES3_N6thrust23THRUST_200600_302600_NS6detail15normal_iteratorINS9_10device_ptrIxEEEESE_SE_xNS9_4plusIvEENS9_8equal_toIxEExEE10hipError_tPvRmT2_T3_T4_T5_mT6_T7_P12ihipStream_tbENKUlT_T0_E_clISt17integral_constantIbLb0EESY_IbLb1EEEEDaSU_SV_EUlSU_E_NS1_11comp_targetILNS1_3genE10ELNS1_11target_archE1201ELNS1_3gpuE5ELNS1_3repE0EEENS1_30default_config_static_selectorELNS0_4arch9wavefront6targetE0EEEvT1_.private_seg_size, 0
	.set _ZN7rocprim17ROCPRIM_400000_NS6detail17trampoline_kernelINS0_14default_configENS1_27scan_by_key_config_selectorIxxEEZZNS1_16scan_by_key_implILNS1_25lookback_scan_determinismE0ELb0ES3_N6thrust23THRUST_200600_302600_NS6detail15normal_iteratorINS9_10device_ptrIxEEEESE_SE_xNS9_4plusIvEENS9_8equal_toIxEExEE10hipError_tPvRmT2_T3_T4_T5_mT6_T7_P12ihipStream_tbENKUlT_T0_E_clISt17integral_constantIbLb0EESY_IbLb1EEEEDaSU_SV_EUlSU_E_NS1_11comp_targetILNS1_3genE10ELNS1_11target_archE1201ELNS1_3gpuE5ELNS1_3repE0EEENS1_30default_config_static_selectorELNS0_4arch9wavefront6targetE0EEEvT1_.uses_vcc, 0
	.set _ZN7rocprim17ROCPRIM_400000_NS6detail17trampoline_kernelINS0_14default_configENS1_27scan_by_key_config_selectorIxxEEZZNS1_16scan_by_key_implILNS1_25lookback_scan_determinismE0ELb0ES3_N6thrust23THRUST_200600_302600_NS6detail15normal_iteratorINS9_10device_ptrIxEEEESE_SE_xNS9_4plusIvEENS9_8equal_toIxEExEE10hipError_tPvRmT2_T3_T4_T5_mT6_T7_P12ihipStream_tbENKUlT_T0_E_clISt17integral_constantIbLb0EESY_IbLb1EEEEDaSU_SV_EUlSU_E_NS1_11comp_targetILNS1_3genE10ELNS1_11target_archE1201ELNS1_3gpuE5ELNS1_3repE0EEENS1_30default_config_static_selectorELNS0_4arch9wavefront6targetE0EEEvT1_.uses_flat_scratch, 0
	.set _ZN7rocprim17ROCPRIM_400000_NS6detail17trampoline_kernelINS0_14default_configENS1_27scan_by_key_config_selectorIxxEEZZNS1_16scan_by_key_implILNS1_25lookback_scan_determinismE0ELb0ES3_N6thrust23THRUST_200600_302600_NS6detail15normal_iteratorINS9_10device_ptrIxEEEESE_SE_xNS9_4plusIvEENS9_8equal_toIxEExEE10hipError_tPvRmT2_T3_T4_T5_mT6_T7_P12ihipStream_tbENKUlT_T0_E_clISt17integral_constantIbLb0EESY_IbLb1EEEEDaSU_SV_EUlSU_E_NS1_11comp_targetILNS1_3genE10ELNS1_11target_archE1201ELNS1_3gpuE5ELNS1_3repE0EEENS1_30default_config_static_selectorELNS0_4arch9wavefront6targetE0EEEvT1_.has_dyn_sized_stack, 0
	.set _ZN7rocprim17ROCPRIM_400000_NS6detail17trampoline_kernelINS0_14default_configENS1_27scan_by_key_config_selectorIxxEEZZNS1_16scan_by_key_implILNS1_25lookback_scan_determinismE0ELb0ES3_N6thrust23THRUST_200600_302600_NS6detail15normal_iteratorINS9_10device_ptrIxEEEESE_SE_xNS9_4plusIvEENS9_8equal_toIxEExEE10hipError_tPvRmT2_T3_T4_T5_mT6_T7_P12ihipStream_tbENKUlT_T0_E_clISt17integral_constantIbLb0EESY_IbLb1EEEEDaSU_SV_EUlSU_E_NS1_11comp_targetILNS1_3genE10ELNS1_11target_archE1201ELNS1_3gpuE5ELNS1_3repE0EEENS1_30default_config_static_selectorELNS0_4arch9wavefront6targetE0EEEvT1_.has_recursion, 0
	.set _ZN7rocprim17ROCPRIM_400000_NS6detail17trampoline_kernelINS0_14default_configENS1_27scan_by_key_config_selectorIxxEEZZNS1_16scan_by_key_implILNS1_25lookback_scan_determinismE0ELb0ES3_N6thrust23THRUST_200600_302600_NS6detail15normal_iteratorINS9_10device_ptrIxEEEESE_SE_xNS9_4plusIvEENS9_8equal_toIxEExEE10hipError_tPvRmT2_T3_T4_T5_mT6_T7_P12ihipStream_tbENKUlT_T0_E_clISt17integral_constantIbLb0EESY_IbLb1EEEEDaSU_SV_EUlSU_E_NS1_11comp_targetILNS1_3genE10ELNS1_11target_archE1201ELNS1_3gpuE5ELNS1_3repE0EEENS1_30default_config_static_selectorELNS0_4arch9wavefront6targetE0EEEvT1_.has_indirect_call, 0
	.section	.AMDGPU.csdata,"",@progbits
; Kernel info:
; codeLenInByte = 0
; TotalNumSgprs: 0
; NumVgprs: 0
; ScratchSize: 0
; MemoryBound: 0
; FloatMode: 240
; IeeeMode: 1
; LDSByteSize: 0 bytes/workgroup (compile time only)
; SGPRBlocks: 0
; VGPRBlocks: 0
; NumSGPRsForWavesPerEU: 1
; NumVGPRsForWavesPerEU: 1
; NamedBarCnt: 0
; Occupancy: 16
; WaveLimiterHint : 0
; COMPUTE_PGM_RSRC2:SCRATCH_EN: 0
; COMPUTE_PGM_RSRC2:USER_SGPR: 2
; COMPUTE_PGM_RSRC2:TRAP_HANDLER: 0
; COMPUTE_PGM_RSRC2:TGID_X_EN: 1
; COMPUTE_PGM_RSRC2:TGID_Y_EN: 0
; COMPUTE_PGM_RSRC2:TGID_Z_EN: 0
; COMPUTE_PGM_RSRC2:TIDIG_COMP_CNT: 0
	.section	.text._ZN7rocprim17ROCPRIM_400000_NS6detail17trampoline_kernelINS0_14default_configENS1_27scan_by_key_config_selectorIxxEEZZNS1_16scan_by_key_implILNS1_25lookback_scan_determinismE0ELb0ES3_N6thrust23THRUST_200600_302600_NS6detail15normal_iteratorINS9_10device_ptrIxEEEESE_SE_xNS9_4plusIvEENS9_8equal_toIxEExEE10hipError_tPvRmT2_T3_T4_T5_mT6_T7_P12ihipStream_tbENKUlT_T0_E_clISt17integral_constantIbLb0EESY_IbLb1EEEEDaSU_SV_EUlSU_E_NS1_11comp_targetILNS1_3genE5ELNS1_11target_archE942ELNS1_3gpuE9ELNS1_3repE0EEENS1_30default_config_static_selectorELNS0_4arch9wavefront6targetE0EEEvT1_,"axG",@progbits,_ZN7rocprim17ROCPRIM_400000_NS6detail17trampoline_kernelINS0_14default_configENS1_27scan_by_key_config_selectorIxxEEZZNS1_16scan_by_key_implILNS1_25lookback_scan_determinismE0ELb0ES3_N6thrust23THRUST_200600_302600_NS6detail15normal_iteratorINS9_10device_ptrIxEEEESE_SE_xNS9_4plusIvEENS9_8equal_toIxEExEE10hipError_tPvRmT2_T3_T4_T5_mT6_T7_P12ihipStream_tbENKUlT_T0_E_clISt17integral_constantIbLb0EESY_IbLb1EEEEDaSU_SV_EUlSU_E_NS1_11comp_targetILNS1_3genE5ELNS1_11target_archE942ELNS1_3gpuE9ELNS1_3repE0EEENS1_30default_config_static_selectorELNS0_4arch9wavefront6targetE0EEEvT1_,comdat
	.protected	_ZN7rocprim17ROCPRIM_400000_NS6detail17trampoline_kernelINS0_14default_configENS1_27scan_by_key_config_selectorIxxEEZZNS1_16scan_by_key_implILNS1_25lookback_scan_determinismE0ELb0ES3_N6thrust23THRUST_200600_302600_NS6detail15normal_iteratorINS9_10device_ptrIxEEEESE_SE_xNS9_4plusIvEENS9_8equal_toIxEExEE10hipError_tPvRmT2_T3_T4_T5_mT6_T7_P12ihipStream_tbENKUlT_T0_E_clISt17integral_constantIbLb0EESY_IbLb1EEEEDaSU_SV_EUlSU_E_NS1_11comp_targetILNS1_3genE5ELNS1_11target_archE942ELNS1_3gpuE9ELNS1_3repE0EEENS1_30default_config_static_selectorELNS0_4arch9wavefront6targetE0EEEvT1_ ; -- Begin function _ZN7rocprim17ROCPRIM_400000_NS6detail17trampoline_kernelINS0_14default_configENS1_27scan_by_key_config_selectorIxxEEZZNS1_16scan_by_key_implILNS1_25lookback_scan_determinismE0ELb0ES3_N6thrust23THRUST_200600_302600_NS6detail15normal_iteratorINS9_10device_ptrIxEEEESE_SE_xNS9_4plusIvEENS9_8equal_toIxEExEE10hipError_tPvRmT2_T3_T4_T5_mT6_T7_P12ihipStream_tbENKUlT_T0_E_clISt17integral_constantIbLb0EESY_IbLb1EEEEDaSU_SV_EUlSU_E_NS1_11comp_targetILNS1_3genE5ELNS1_11target_archE942ELNS1_3gpuE9ELNS1_3repE0EEENS1_30default_config_static_selectorELNS0_4arch9wavefront6targetE0EEEvT1_
	.globl	_ZN7rocprim17ROCPRIM_400000_NS6detail17trampoline_kernelINS0_14default_configENS1_27scan_by_key_config_selectorIxxEEZZNS1_16scan_by_key_implILNS1_25lookback_scan_determinismE0ELb0ES3_N6thrust23THRUST_200600_302600_NS6detail15normal_iteratorINS9_10device_ptrIxEEEESE_SE_xNS9_4plusIvEENS9_8equal_toIxEExEE10hipError_tPvRmT2_T3_T4_T5_mT6_T7_P12ihipStream_tbENKUlT_T0_E_clISt17integral_constantIbLb0EESY_IbLb1EEEEDaSU_SV_EUlSU_E_NS1_11comp_targetILNS1_3genE5ELNS1_11target_archE942ELNS1_3gpuE9ELNS1_3repE0EEENS1_30default_config_static_selectorELNS0_4arch9wavefront6targetE0EEEvT1_
	.p2align	8
	.type	_ZN7rocprim17ROCPRIM_400000_NS6detail17trampoline_kernelINS0_14default_configENS1_27scan_by_key_config_selectorIxxEEZZNS1_16scan_by_key_implILNS1_25lookback_scan_determinismE0ELb0ES3_N6thrust23THRUST_200600_302600_NS6detail15normal_iteratorINS9_10device_ptrIxEEEESE_SE_xNS9_4plusIvEENS9_8equal_toIxEExEE10hipError_tPvRmT2_T3_T4_T5_mT6_T7_P12ihipStream_tbENKUlT_T0_E_clISt17integral_constantIbLb0EESY_IbLb1EEEEDaSU_SV_EUlSU_E_NS1_11comp_targetILNS1_3genE5ELNS1_11target_archE942ELNS1_3gpuE9ELNS1_3repE0EEENS1_30default_config_static_selectorELNS0_4arch9wavefront6targetE0EEEvT1_,@function
_ZN7rocprim17ROCPRIM_400000_NS6detail17trampoline_kernelINS0_14default_configENS1_27scan_by_key_config_selectorIxxEEZZNS1_16scan_by_key_implILNS1_25lookback_scan_determinismE0ELb0ES3_N6thrust23THRUST_200600_302600_NS6detail15normal_iteratorINS9_10device_ptrIxEEEESE_SE_xNS9_4plusIvEENS9_8equal_toIxEExEE10hipError_tPvRmT2_T3_T4_T5_mT6_T7_P12ihipStream_tbENKUlT_T0_E_clISt17integral_constantIbLb0EESY_IbLb1EEEEDaSU_SV_EUlSU_E_NS1_11comp_targetILNS1_3genE5ELNS1_11target_archE942ELNS1_3gpuE9ELNS1_3repE0EEENS1_30default_config_static_selectorELNS0_4arch9wavefront6targetE0EEEvT1_: ; @_ZN7rocprim17ROCPRIM_400000_NS6detail17trampoline_kernelINS0_14default_configENS1_27scan_by_key_config_selectorIxxEEZZNS1_16scan_by_key_implILNS1_25lookback_scan_determinismE0ELb0ES3_N6thrust23THRUST_200600_302600_NS6detail15normal_iteratorINS9_10device_ptrIxEEEESE_SE_xNS9_4plusIvEENS9_8equal_toIxEExEE10hipError_tPvRmT2_T3_T4_T5_mT6_T7_P12ihipStream_tbENKUlT_T0_E_clISt17integral_constantIbLb0EESY_IbLb1EEEEDaSU_SV_EUlSU_E_NS1_11comp_targetILNS1_3genE5ELNS1_11target_archE942ELNS1_3gpuE9ELNS1_3repE0EEENS1_30default_config_static_selectorELNS0_4arch9wavefront6targetE0EEEvT1_
; %bb.0:
	.section	.rodata,"a",@progbits
	.p2align	6, 0x0
	.amdhsa_kernel _ZN7rocprim17ROCPRIM_400000_NS6detail17trampoline_kernelINS0_14default_configENS1_27scan_by_key_config_selectorIxxEEZZNS1_16scan_by_key_implILNS1_25lookback_scan_determinismE0ELb0ES3_N6thrust23THRUST_200600_302600_NS6detail15normal_iteratorINS9_10device_ptrIxEEEESE_SE_xNS9_4plusIvEENS9_8equal_toIxEExEE10hipError_tPvRmT2_T3_T4_T5_mT6_T7_P12ihipStream_tbENKUlT_T0_E_clISt17integral_constantIbLb0EESY_IbLb1EEEEDaSU_SV_EUlSU_E_NS1_11comp_targetILNS1_3genE5ELNS1_11target_archE942ELNS1_3gpuE9ELNS1_3repE0EEENS1_30default_config_static_selectorELNS0_4arch9wavefront6targetE0EEEvT1_
		.amdhsa_group_segment_fixed_size 0
		.amdhsa_private_segment_fixed_size 0
		.amdhsa_kernarg_size 136
		.amdhsa_user_sgpr_count 2
		.amdhsa_user_sgpr_dispatch_ptr 0
		.amdhsa_user_sgpr_queue_ptr 0
		.amdhsa_user_sgpr_kernarg_segment_ptr 1
		.amdhsa_user_sgpr_dispatch_id 0
		.amdhsa_user_sgpr_kernarg_preload_length 0
		.amdhsa_user_sgpr_kernarg_preload_offset 0
		.amdhsa_user_sgpr_private_segment_size 0
		.amdhsa_wavefront_size32 1
		.amdhsa_uses_dynamic_stack 0
		.amdhsa_enable_private_segment 0
		.amdhsa_system_sgpr_workgroup_id_x 1
		.amdhsa_system_sgpr_workgroup_id_y 0
		.amdhsa_system_sgpr_workgroup_id_z 0
		.amdhsa_system_sgpr_workgroup_info 0
		.amdhsa_system_vgpr_workitem_id 0
		.amdhsa_next_free_vgpr 1
		.amdhsa_next_free_sgpr 1
		.amdhsa_named_barrier_count 0
		.amdhsa_reserve_vcc 0
		.amdhsa_float_round_mode_32 0
		.amdhsa_float_round_mode_16_64 0
		.amdhsa_float_denorm_mode_32 3
		.amdhsa_float_denorm_mode_16_64 3
		.amdhsa_fp16_overflow 0
		.amdhsa_memory_ordered 1
		.amdhsa_forward_progress 1
		.amdhsa_inst_pref_size 0
		.amdhsa_round_robin_scheduling 0
		.amdhsa_exception_fp_ieee_invalid_op 0
		.amdhsa_exception_fp_denorm_src 0
		.amdhsa_exception_fp_ieee_div_zero 0
		.amdhsa_exception_fp_ieee_overflow 0
		.amdhsa_exception_fp_ieee_underflow 0
		.amdhsa_exception_fp_ieee_inexact 0
		.amdhsa_exception_int_div_zero 0
	.end_amdhsa_kernel
	.section	.text._ZN7rocprim17ROCPRIM_400000_NS6detail17trampoline_kernelINS0_14default_configENS1_27scan_by_key_config_selectorIxxEEZZNS1_16scan_by_key_implILNS1_25lookback_scan_determinismE0ELb0ES3_N6thrust23THRUST_200600_302600_NS6detail15normal_iteratorINS9_10device_ptrIxEEEESE_SE_xNS9_4plusIvEENS9_8equal_toIxEExEE10hipError_tPvRmT2_T3_T4_T5_mT6_T7_P12ihipStream_tbENKUlT_T0_E_clISt17integral_constantIbLb0EESY_IbLb1EEEEDaSU_SV_EUlSU_E_NS1_11comp_targetILNS1_3genE5ELNS1_11target_archE942ELNS1_3gpuE9ELNS1_3repE0EEENS1_30default_config_static_selectorELNS0_4arch9wavefront6targetE0EEEvT1_,"axG",@progbits,_ZN7rocprim17ROCPRIM_400000_NS6detail17trampoline_kernelINS0_14default_configENS1_27scan_by_key_config_selectorIxxEEZZNS1_16scan_by_key_implILNS1_25lookback_scan_determinismE0ELb0ES3_N6thrust23THRUST_200600_302600_NS6detail15normal_iteratorINS9_10device_ptrIxEEEESE_SE_xNS9_4plusIvEENS9_8equal_toIxEExEE10hipError_tPvRmT2_T3_T4_T5_mT6_T7_P12ihipStream_tbENKUlT_T0_E_clISt17integral_constantIbLb0EESY_IbLb1EEEEDaSU_SV_EUlSU_E_NS1_11comp_targetILNS1_3genE5ELNS1_11target_archE942ELNS1_3gpuE9ELNS1_3repE0EEENS1_30default_config_static_selectorELNS0_4arch9wavefront6targetE0EEEvT1_,comdat
.Lfunc_end112:
	.size	_ZN7rocprim17ROCPRIM_400000_NS6detail17trampoline_kernelINS0_14default_configENS1_27scan_by_key_config_selectorIxxEEZZNS1_16scan_by_key_implILNS1_25lookback_scan_determinismE0ELb0ES3_N6thrust23THRUST_200600_302600_NS6detail15normal_iteratorINS9_10device_ptrIxEEEESE_SE_xNS9_4plusIvEENS9_8equal_toIxEExEE10hipError_tPvRmT2_T3_T4_T5_mT6_T7_P12ihipStream_tbENKUlT_T0_E_clISt17integral_constantIbLb0EESY_IbLb1EEEEDaSU_SV_EUlSU_E_NS1_11comp_targetILNS1_3genE5ELNS1_11target_archE942ELNS1_3gpuE9ELNS1_3repE0EEENS1_30default_config_static_selectorELNS0_4arch9wavefront6targetE0EEEvT1_, .Lfunc_end112-_ZN7rocprim17ROCPRIM_400000_NS6detail17trampoline_kernelINS0_14default_configENS1_27scan_by_key_config_selectorIxxEEZZNS1_16scan_by_key_implILNS1_25lookback_scan_determinismE0ELb0ES3_N6thrust23THRUST_200600_302600_NS6detail15normal_iteratorINS9_10device_ptrIxEEEESE_SE_xNS9_4plusIvEENS9_8equal_toIxEExEE10hipError_tPvRmT2_T3_T4_T5_mT6_T7_P12ihipStream_tbENKUlT_T0_E_clISt17integral_constantIbLb0EESY_IbLb1EEEEDaSU_SV_EUlSU_E_NS1_11comp_targetILNS1_3genE5ELNS1_11target_archE942ELNS1_3gpuE9ELNS1_3repE0EEENS1_30default_config_static_selectorELNS0_4arch9wavefront6targetE0EEEvT1_
                                        ; -- End function
	.set _ZN7rocprim17ROCPRIM_400000_NS6detail17trampoline_kernelINS0_14default_configENS1_27scan_by_key_config_selectorIxxEEZZNS1_16scan_by_key_implILNS1_25lookback_scan_determinismE0ELb0ES3_N6thrust23THRUST_200600_302600_NS6detail15normal_iteratorINS9_10device_ptrIxEEEESE_SE_xNS9_4plusIvEENS9_8equal_toIxEExEE10hipError_tPvRmT2_T3_T4_T5_mT6_T7_P12ihipStream_tbENKUlT_T0_E_clISt17integral_constantIbLb0EESY_IbLb1EEEEDaSU_SV_EUlSU_E_NS1_11comp_targetILNS1_3genE5ELNS1_11target_archE942ELNS1_3gpuE9ELNS1_3repE0EEENS1_30default_config_static_selectorELNS0_4arch9wavefront6targetE0EEEvT1_.num_vgpr, 0
	.set _ZN7rocprim17ROCPRIM_400000_NS6detail17trampoline_kernelINS0_14default_configENS1_27scan_by_key_config_selectorIxxEEZZNS1_16scan_by_key_implILNS1_25lookback_scan_determinismE0ELb0ES3_N6thrust23THRUST_200600_302600_NS6detail15normal_iteratorINS9_10device_ptrIxEEEESE_SE_xNS9_4plusIvEENS9_8equal_toIxEExEE10hipError_tPvRmT2_T3_T4_T5_mT6_T7_P12ihipStream_tbENKUlT_T0_E_clISt17integral_constantIbLb0EESY_IbLb1EEEEDaSU_SV_EUlSU_E_NS1_11comp_targetILNS1_3genE5ELNS1_11target_archE942ELNS1_3gpuE9ELNS1_3repE0EEENS1_30default_config_static_selectorELNS0_4arch9wavefront6targetE0EEEvT1_.num_agpr, 0
	.set _ZN7rocprim17ROCPRIM_400000_NS6detail17trampoline_kernelINS0_14default_configENS1_27scan_by_key_config_selectorIxxEEZZNS1_16scan_by_key_implILNS1_25lookback_scan_determinismE0ELb0ES3_N6thrust23THRUST_200600_302600_NS6detail15normal_iteratorINS9_10device_ptrIxEEEESE_SE_xNS9_4plusIvEENS9_8equal_toIxEExEE10hipError_tPvRmT2_T3_T4_T5_mT6_T7_P12ihipStream_tbENKUlT_T0_E_clISt17integral_constantIbLb0EESY_IbLb1EEEEDaSU_SV_EUlSU_E_NS1_11comp_targetILNS1_3genE5ELNS1_11target_archE942ELNS1_3gpuE9ELNS1_3repE0EEENS1_30default_config_static_selectorELNS0_4arch9wavefront6targetE0EEEvT1_.numbered_sgpr, 0
	.set _ZN7rocprim17ROCPRIM_400000_NS6detail17trampoline_kernelINS0_14default_configENS1_27scan_by_key_config_selectorIxxEEZZNS1_16scan_by_key_implILNS1_25lookback_scan_determinismE0ELb0ES3_N6thrust23THRUST_200600_302600_NS6detail15normal_iteratorINS9_10device_ptrIxEEEESE_SE_xNS9_4plusIvEENS9_8equal_toIxEExEE10hipError_tPvRmT2_T3_T4_T5_mT6_T7_P12ihipStream_tbENKUlT_T0_E_clISt17integral_constantIbLb0EESY_IbLb1EEEEDaSU_SV_EUlSU_E_NS1_11comp_targetILNS1_3genE5ELNS1_11target_archE942ELNS1_3gpuE9ELNS1_3repE0EEENS1_30default_config_static_selectorELNS0_4arch9wavefront6targetE0EEEvT1_.num_named_barrier, 0
	.set _ZN7rocprim17ROCPRIM_400000_NS6detail17trampoline_kernelINS0_14default_configENS1_27scan_by_key_config_selectorIxxEEZZNS1_16scan_by_key_implILNS1_25lookback_scan_determinismE0ELb0ES3_N6thrust23THRUST_200600_302600_NS6detail15normal_iteratorINS9_10device_ptrIxEEEESE_SE_xNS9_4plusIvEENS9_8equal_toIxEExEE10hipError_tPvRmT2_T3_T4_T5_mT6_T7_P12ihipStream_tbENKUlT_T0_E_clISt17integral_constantIbLb0EESY_IbLb1EEEEDaSU_SV_EUlSU_E_NS1_11comp_targetILNS1_3genE5ELNS1_11target_archE942ELNS1_3gpuE9ELNS1_3repE0EEENS1_30default_config_static_selectorELNS0_4arch9wavefront6targetE0EEEvT1_.private_seg_size, 0
	.set _ZN7rocprim17ROCPRIM_400000_NS6detail17trampoline_kernelINS0_14default_configENS1_27scan_by_key_config_selectorIxxEEZZNS1_16scan_by_key_implILNS1_25lookback_scan_determinismE0ELb0ES3_N6thrust23THRUST_200600_302600_NS6detail15normal_iteratorINS9_10device_ptrIxEEEESE_SE_xNS9_4plusIvEENS9_8equal_toIxEExEE10hipError_tPvRmT2_T3_T4_T5_mT6_T7_P12ihipStream_tbENKUlT_T0_E_clISt17integral_constantIbLb0EESY_IbLb1EEEEDaSU_SV_EUlSU_E_NS1_11comp_targetILNS1_3genE5ELNS1_11target_archE942ELNS1_3gpuE9ELNS1_3repE0EEENS1_30default_config_static_selectorELNS0_4arch9wavefront6targetE0EEEvT1_.uses_vcc, 0
	.set _ZN7rocprim17ROCPRIM_400000_NS6detail17trampoline_kernelINS0_14default_configENS1_27scan_by_key_config_selectorIxxEEZZNS1_16scan_by_key_implILNS1_25lookback_scan_determinismE0ELb0ES3_N6thrust23THRUST_200600_302600_NS6detail15normal_iteratorINS9_10device_ptrIxEEEESE_SE_xNS9_4plusIvEENS9_8equal_toIxEExEE10hipError_tPvRmT2_T3_T4_T5_mT6_T7_P12ihipStream_tbENKUlT_T0_E_clISt17integral_constantIbLb0EESY_IbLb1EEEEDaSU_SV_EUlSU_E_NS1_11comp_targetILNS1_3genE5ELNS1_11target_archE942ELNS1_3gpuE9ELNS1_3repE0EEENS1_30default_config_static_selectorELNS0_4arch9wavefront6targetE0EEEvT1_.uses_flat_scratch, 0
	.set _ZN7rocprim17ROCPRIM_400000_NS6detail17trampoline_kernelINS0_14default_configENS1_27scan_by_key_config_selectorIxxEEZZNS1_16scan_by_key_implILNS1_25lookback_scan_determinismE0ELb0ES3_N6thrust23THRUST_200600_302600_NS6detail15normal_iteratorINS9_10device_ptrIxEEEESE_SE_xNS9_4plusIvEENS9_8equal_toIxEExEE10hipError_tPvRmT2_T3_T4_T5_mT6_T7_P12ihipStream_tbENKUlT_T0_E_clISt17integral_constantIbLb0EESY_IbLb1EEEEDaSU_SV_EUlSU_E_NS1_11comp_targetILNS1_3genE5ELNS1_11target_archE942ELNS1_3gpuE9ELNS1_3repE0EEENS1_30default_config_static_selectorELNS0_4arch9wavefront6targetE0EEEvT1_.has_dyn_sized_stack, 0
	.set _ZN7rocprim17ROCPRIM_400000_NS6detail17trampoline_kernelINS0_14default_configENS1_27scan_by_key_config_selectorIxxEEZZNS1_16scan_by_key_implILNS1_25lookback_scan_determinismE0ELb0ES3_N6thrust23THRUST_200600_302600_NS6detail15normal_iteratorINS9_10device_ptrIxEEEESE_SE_xNS9_4plusIvEENS9_8equal_toIxEExEE10hipError_tPvRmT2_T3_T4_T5_mT6_T7_P12ihipStream_tbENKUlT_T0_E_clISt17integral_constantIbLb0EESY_IbLb1EEEEDaSU_SV_EUlSU_E_NS1_11comp_targetILNS1_3genE5ELNS1_11target_archE942ELNS1_3gpuE9ELNS1_3repE0EEENS1_30default_config_static_selectorELNS0_4arch9wavefront6targetE0EEEvT1_.has_recursion, 0
	.set _ZN7rocprim17ROCPRIM_400000_NS6detail17trampoline_kernelINS0_14default_configENS1_27scan_by_key_config_selectorIxxEEZZNS1_16scan_by_key_implILNS1_25lookback_scan_determinismE0ELb0ES3_N6thrust23THRUST_200600_302600_NS6detail15normal_iteratorINS9_10device_ptrIxEEEESE_SE_xNS9_4plusIvEENS9_8equal_toIxEExEE10hipError_tPvRmT2_T3_T4_T5_mT6_T7_P12ihipStream_tbENKUlT_T0_E_clISt17integral_constantIbLb0EESY_IbLb1EEEEDaSU_SV_EUlSU_E_NS1_11comp_targetILNS1_3genE5ELNS1_11target_archE942ELNS1_3gpuE9ELNS1_3repE0EEENS1_30default_config_static_selectorELNS0_4arch9wavefront6targetE0EEEvT1_.has_indirect_call, 0
	.section	.AMDGPU.csdata,"",@progbits
; Kernel info:
; codeLenInByte = 0
; TotalNumSgprs: 0
; NumVgprs: 0
; ScratchSize: 0
; MemoryBound: 0
; FloatMode: 240
; IeeeMode: 1
; LDSByteSize: 0 bytes/workgroup (compile time only)
; SGPRBlocks: 0
; VGPRBlocks: 0
; NumSGPRsForWavesPerEU: 1
; NumVGPRsForWavesPerEU: 1
; NamedBarCnt: 0
; Occupancy: 16
; WaveLimiterHint : 0
; COMPUTE_PGM_RSRC2:SCRATCH_EN: 0
; COMPUTE_PGM_RSRC2:USER_SGPR: 2
; COMPUTE_PGM_RSRC2:TRAP_HANDLER: 0
; COMPUTE_PGM_RSRC2:TGID_X_EN: 1
; COMPUTE_PGM_RSRC2:TGID_Y_EN: 0
; COMPUTE_PGM_RSRC2:TGID_Z_EN: 0
; COMPUTE_PGM_RSRC2:TIDIG_COMP_CNT: 0
	.section	.text._ZN7rocprim17ROCPRIM_400000_NS6detail17trampoline_kernelINS0_14default_configENS1_27scan_by_key_config_selectorIxxEEZZNS1_16scan_by_key_implILNS1_25lookback_scan_determinismE0ELb0ES3_N6thrust23THRUST_200600_302600_NS6detail15normal_iteratorINS9_10device_ptrIxEEEESE_SE_xNS9_4plusIvEENS9_8equal_toIxEExEE10hipError_tPvRmT2_T3_T4_T5_mT6_T7_P12ihipStream_tbENKUlT_T0_E_clISt17integral_constantIbLb0EESY_IbLb1EEEEDaSU_SV_EUlSU_E_NS1_11comp_targetILNS1_3genE4ELNS1_11target_archE910ELNS1_3gpuE8ELNS1_3repE0EEENS1_30default_config_static_selectorELNS0_4arch9wavefront6targetE0EEEvT1_,"axG",@progbits,_ZN7rocprim17ROCPRIM_400000_NS6detail17trampoline_kernelINS0_14default_configENS1_27scan_by_key_config_selectorIxxEEZZNS1_16scan_by_key_implILNS1_25lookback_scan_determinismE0ELb0ES3_N6thrust23THRUST_200600_302600_NS6detail15normal_iteratorINS9_10device_ptrIxEEEESE_SE_xNS9_4plusIvEENS9_8equal_toIxEExEE10hipError_tPvRmT2_T3_T4_T5_mT6_T7_P12ihipStream_tbENKUlT_T0_E_clISt17integral_constantIbLb0EESY_IbLb1EEEEDaSU_SV_EUlSU_E_NS1_11comp_targetILNS1_3genE4ELNS1_11target_archE910ELNS1_3gpuE8ELNS1_3repE0EEENS1_30default_config_static_selectorELNS0_4arch9wavefront6targetE0EEEvT1_,comdat
	.protected	_ZN7rocprim17ROCPRIM_400000_NS6detail17trampoline_kernelINS0_14default_configENS1_27scan_by_key_config_selectorIxxEEZZNS1_16scan_by_key_implILNS1_25lookback_scan_determinismE0ELb0ES3_N6thrust23THRUST_200600_302600_NS6detail15normal_iteratorINS9_10device_ptrIxEEEESE_SE_xNS9_4plusIvEENS9_8equal_toIxEExEE10hipError_tPvRmT2_T3_T4_T5_mT6_T7_P12ihipStream_tbENKUlT_T0_E_clISt17integral_constantIbLb0EESY_IbLb1EEEEDaSU_SV_EUlSU_E_NS1_11comp_targetILNS1_3genE4ELNS1_11target_archE910ELNS1_3gpuE8ELNS1_3repE0EEENS1_30default_config_static_selectorELNS0_4arch9wavefront6targetE0EEEvT1_ ; -- Begin function _ZN7rocprim17ROCPRIM_400000_NS6detail17trampoline_kernelINS0_14default_configENS1_27scan_by_key_config_selectorIxxEEZZNS1_16scan_by_key_implILNS1_25lookback_scan_determinismE0ELb0ES3_N6thrust23THRUST_200600_302600_NS6detail15normal_iteratorINS9_10device_ptrIxEEEESE_SE_xNS9_4plusIvEENS9_8equal_toIxEExEE10hipError_tPvRmT2_T3_T4_T5_mT6_T7_P12ihipStream_tbENKUlT_T0_E_clISt17integral_constantIbLb0EESY_IbLb1EEEEDaSU_SV_EUlSU_E_NS1_11comp_targetILNS1_3genE4ELNS1_11target_archE910ELNS1_3gpuE8ELNS1_3repE0EEENS1_30default_config_static_selectorELNS0_4arch9wavefront6targetE0EEEvT1_
	.globl	_ZN7rocprim17ROCPRIM_400000_NS6detail17trampoline_kernelINS0_14default_configENS1_27scan_by_key_config_selectorIxxEEZZNS1_16scan_by_key_implILNS1_25lookback_scan_determinismE0ELb0ES3_N6thrust23THRUST_200600_302600_NS6detail15normal_iteratorINS9_10device_ptrIxEEEESE_SE_xNS9_4plusIvEENS9_8equal_toIxEExEE10hipError_tPvRmT2_T3_T4_T5_mT6_T7_P12ihipStream_tbENKUlT_T0_E_clISt17integral_constantIbLb0EESY_IbLb1EEEEDaSU_SV_EUlSU_E_NS1_11comp_targetILNS1_3genE4ELNS1_11target_archE910ELNS1_3gpuE8ELNS1_3repE0EEENS1_30default_config_static_selectorELNS0_4arch9wavefront6targetE0EEEvT1_
	.p2align	8
	.type	_ZN7rocprim17ROCPRIM_400000_NS6detail17trampoline_kernelINS0_14default_configENS1_27scan_by_key_config_selectorIxxEEZZNS1_16scan_by_key_implILNS1_25lookback_scan_determinismE0ELb0ES3_N6thrust23THRUST_200600_302600_NS6detail15normal_iteratorINS9_10device_ptrIxEEEESE_SE_xNS9_4plusIvEENS9_8equal_toIxEExEE10hipError_tPvRmT2_T3_T4_T5_mT6_T7_P12ihipStream_tbENKUlT_T0_E_clISt17integral_constantIbLb0EESY_IbLb1EEEEDaSU_SV_EUlSU_E_NS1_11comp_targetILNS1_3genE4ELNS1_11target_archE910ELNS1_3gpuE8ELNS1_3repE0EEENS1_30default_config_static_selectorELNS0_4arch9wavefront6targetE0EEEvT1_,@function
_ZN7rocprim17ROCPRIM_400000_NS6detail17trampoline_kernelINS0_14default_configENS1_27scan_by_key_config_selectorIxxEEZZNS1_16scan_by_key_implILNS1_25lookback_scan_determinismE0ELb0ES3_N6thrust23THRUST_200600_302600_NS6detail15normal_iteratorINS9_10device_ptrIxEEEESE_SE_xNS9_4plusIvEENS9_8equal_toIxEExEE10hipError_tPvRmT2_T3_T4_T5_mT6_T7_P12ihipStream_tbENKUlT_T0_E_clISt17integral_constantIbLb0EESY_IbLb1EEEEDaSU_SV_EUlSU_E_NS1_11comp_targetILNS1_3genE4ELNS1_11target_archE910ELNS1_3gpuE8ELNS1_3repE0EEENS1_30default_config_static_selectorELNS0_4arch9wavefront6targetE0EEEvT1_: ; @_ZN7rocprim17ROCPRIM_400000_NS6detail17trampoline_kernelINS0_14default_configENS1_27scan_by_key_config_selectorIxxEEZZNS1_16scan_by_key_implILNS1_25lookback_scan_determinismE0ELb0ES3_N6thrust23THRUST_200600_302600_NS6detail15normal_iteratorINS9_10device_ptrIxEEEESE_SE_xNS9_4plusIvEENS9_8equal_toIxEExEE10hipError_tPvRmT2_T3_T4_T5_mT6_T7_P12ihipStream_tbENKUlT_T0_E_clISt17integral_constantIbLb0EESY_IbLb1EEEEDaSU_SV_EUlSU_E_NS1_11comp_targetILNS1_3genE4ELNS1_11target_archE910ELNS1_3gpuE8ELNS1_3repE0EEENS1_30default_config_static_selectorELNS0_4arch9wavefront6targetE0EEEvT1_
; %bb.0:
	.section	.rodata,"a",@progbits
	.p2align	6, 0x0
	.amdhsa_kernel _ZN7rocprim17ROCPRIM_400000_NS6detail17trampoline_kernelINS0_14default_configENS1_27scan_by_key_config_selectorIxxEEZZNS1_16scan_by_key_implILNS1_25lookback_scan_determinismE0ELb0ES3_N6thrust23THRUST_200600_302600_NS6detail15normal_iteratorINS9_10device_ptrIxEEEESE_SE_xNS9_4plusIvEENS9_8equal_toIxEExEE10hipError_tPvRmT2_T3_T4_T5_mT6_T7_P12ihipStream_tbENKUlT_T0_E_clISt17integral_constantIbLb0EESY_IbLb1EEEEDaSU_SV_EUlSU_E_NS1_11comp_targetILNS1_3genE4ELNS1_11target_archE910ELNS1_3gpuE8ELNS1_3repE0EEENS1_30default_config_static_selectorELNS0_4arch9wavefront6targetE0EEEvT1_
		.amdhsa_group_segment_fixed_size 0
		.amdhsa_private_segment_fixed_size 0
		.amdhsa_kernarg_size 136
		.amdhsa_user_sgpr_count 2
		.amdhsa_user_sgpr_dispatch_ptr 0
		.amdhsa_user_sgpr_queue_ptr 0
		.amdhsa_user_sgpr_kernarg_segment_ptr 1
		.amdhsa_user_sgpr_dispatch_id 0
		.amdhsa_user_sgpr_kernarg_preload_length 0
		.amdhsa_user_sgpr_kernarg_preload_offset 0
		.amdhsa_user_sgpr_private_segment_size 0
		.amdhsa_wavefront_size32 1
		.amdhsa_uses_dynamic_stack 0
		.amdhsa_enable_private_segment 0
		.amdhsa_system_sgpr_workgroup_id_x 1
		.amdhsa_system_sgpr_workgroup_id_y 0
		.amdhsa_system_sgpr_workgroup_id_z 0
		.amdhsa_system_sgpr_workgroup_info 0
		.amdhsa_system_vgpr_workitem_id 0
		.amdhsa_next_free_vgpr 1
		.amdhsa_next_free_sgpr 1
		.amdhsa_named_barrier_count 0
		.amdhsa_reserve_vcc 0
		.amdhsa_float_round_mode_32 0
		.amdhsa_float_round_mode_16_64 0
		.amdhsa_float_denorm_mode_32 3
		.amdhsa_float_denorm_mode_16_64 3
		.amdhsa_fp16_overflow 0
		.amdhsa_memory_ordered 1
		.amdhsa_forward_progress 1
		.amdhsa_inst_pref_size 0
		.amdhsa_round_robin_scheduling 0
		.amdhsa_exception_fp_ieee_invalid_op 0
		.amdhsa_exception_fp_denorm_src 0
		.amdhsa_exception_fp_ieee_div_zero 0
		.amdhsa_exception_fp_ieee_overflow 0
		.amdhsa_exception_fp_ieee_underflow 0
		.amdhsa_exception_fp_ieee_inexact 0
		.amdhsa_exception_int_div_zero 0
	.end_amdhsa_kernel
	.section	.text._ZN7rocprim17ROCPRIM_400000_NS6detail17trampoline_kernelINS0_14default_configENS1_27scan_by_key_config_selectorIxxEEZZNS1_16scan_by_key_implILNS1_25lookback_scan_determinismE0ELb0ES3_N6thrust23THRUST_200600_302600_NS6detail15normal_iteratorINS9_10device_ptrIxEEEESE_SE_xNS9_4plusIvEENS9_8equal_toIxEExEE10hipError_tPvRmT2_T3_T4_T5_mT6_T7_P12ihipStream_tbENKUlT_T0_E_clISt17integral_constantIbLb0EESY_IbLb1EEEEDaSU_SV_EUlSU_E_NS1_11comp_targetILNS1_3genE4ELNS1_11target_archE910ELNS1_3gpuE8ELNS1_3repE0EEENS1_30default_config_static_selectorELNS0_4arch9wavefront6targetE0EEEvT1_,"axG",@progbits,_ZN7rocprim17ROCPRIM_400000_NS6detail17trampoline_kernelINS0_14default_configENS1_27scan_by_key_config_selectorIxxEEZZNS1_16scan_by_key_implILNS1_25lookback_scan_determinismE0ELb0ES3_N6thrust23THRUST_200600_302600_NS6detail15normal_iteratorINS9_10device_ptrIxEEEESE_SE_xNS9_4plusIvEENS9_8equal_toIxEExEE10hipError_tPvRmT2_T3_T4_T5_mT6_T7_P12ihipStream_tbENKUlT_T0_E_clISt17integral_constantIbLb0EESY_IbLb1EEEEDaSU_SV_EUlSU_E_NS1_11comp_targetILNS1_3genE4ELNS1_11target_archE910ELNS1_3gpuE8ELNS1_3repE0EEENS1_30default_config_static_selectorELNS0_4arch9wavefront6targetE0EEEvT1_,comdat
.Lfunc_end113:
	.size	_ZN7rocprim17ROCPRIM_400000_NS6detail17trampoline_kernelINS0_14default_configENS1_27scan_by_key_config_selectorIxxEEZZNS1_16scan_by_key_implILNS1_25lookback_scan_determinismE0ELb0ES3_N6thrust23THRUST_200600_302600_NS6detail15normal_iteratorINS9_10device_ptrIxEEEESE_SE_xNS9_4plusIvEENS9_8equal_toIxEExEE10hipError_tPvRmT2_T3_T4_T5_mT6_T7_P12ihipStream_tbENKUlT_T0_E_clISt17integral_constantIbLb0EESY_IbLb1EEEEDaSU_SV_EUlSU_E_NS1_11comp_targetILNS1_3genE4ELNS1_11target_archE910ELNS1_3gpuE8ELNS1_3repE0EEENS1_30default_config_static_selectorELNS0_4arch9wavefront6targetE0EEEvT1_, .Lfunc_end113-_ZN7rocprim17ROCPRIM_400000_NS6detail17trampoline_kernelINS0_14default_configENS1_27scan_by_key_config_selectorIxxEEZZNS1_16scan_by_key_implILNS1_25lookback_scan_determinismE0ELb0ES3_N6thrust23THRUST_200600_302600_NS6detail15normal_iteratorINS9_10device_ptrIxEEEESE_SE_xNS9_4plusIvEENS9_8equal_toIxEExEE10hipError_tPvRmT2_T3_T4_T5_mT6_T7_P12ihipStream_tbENKUlT_T0_E_clISt17integral_constantIbLb0EESY_IbLb1EEEEDaSU_SV_EUlSU_E_NS1_11comp_targetILNS1_3genE4ELNS1_11target_archE910ELNS1_3gpuE8ELNS1_3repE0EEENS1_30default_config_static_selectorELNS0_4arch9wavefront6targetE0EEEvT1_
                                        ; -- End function
	.set _ZN7rocprim17ROCPRIM_400000_NS6detail17trampoline_kernelINS0_14default_configENS1_27scan_by_key_config_selectorIxxEEZZNS1_16scan_by_key_implILNS1_25lookback_scan_determinismE0ELb0ES3_N6thrust23THRUST_200600_302600_NS6detail15normal_iteratorINS9_10device_ptrIxEEEESE_SE_xNS9_4plusIvEENS9_8equal_toIxEExEE10hipError_tPvRmT2_T3_T4_T5_mT6_T7_P12ihipStream_tbENKUlT_T0_E_clISt17integral_constantIbLb0EESY_IbLb1EEEEDaSU_SV_EUlSU_E_NS1_11comp_targetILNS1_3genE4ELNS1_11target_archE910ELNS1_3gpuE8ELNS1_3repE0EEENS1_30default_config_static_selectorELNS0_4arch9wavefront6targetE0EEEvT1_.num_vgpr, 0
	.set _ZN7rocprim17ROCPRIM_400000_NS6detail17trampoline_kernelINS0_14default_configENS1_27scan_by_key_config_selectorIxxEEZZNS1_16scan_by_key_implILNS1_25lookback_scan_determinismE0ELb0ES3_N6thrust23THRUST_200600_302600_NS6detail15normal_iteratorINS9_10device_ptrIxEEEESE_SE_xNS9_4plusIvEENS9_8equal_toIxEExEE10hipError_tPvRmT2_T3_T4_T5_mT6_T7_P12ihipStream_tbENKUlT_T0_E_clISt17integral_constantIbLb0EESY_IbLb1EEEEDaSU_SV_EUlSU_E_NS1_11comp_targetILNS1_3genE4ELNS1_11target_archE910ELNS1_3gpuE8ELNS1_3repE0EEENS1_30default_config_static_selectorELNS0_4arch9wavefront6targetE0EEEvT1_.num_agpr, 0
	.set _ZN7rocprim17ROCPRIM_400000_NS6detail17trampoline_kernelINS0_14default_configENS1_27scan_by_key_config_selectorIxxEEZZNS1_16scan_by_key_implILNS1_25lookback_scan_determinismE0ELb0ES3_N6thrust23THRUST_200600_302600_NS6detail15normal_iteratorINS9_10device_ptrIxEEEESE_SE_xNS9_4plusIvEENS9_8equal_toIxEExEE10hipError_tPvRmT2_T3_T4_T5_mT6_T7_P12ihipStream_tbENKUlT_T0_E_clISt17integral_constantIbLb0EESY_IbLb1EEEEDaSU_SV_EUlSU_E_NS1_11comp_targetILNS1_3genE4ELNS1_11target_archE910ELNS1_3gpuE8ELNS1_3repE0EEENS1_30default_config_static_selectorELNS0_4arch9wavefront6targetE0EEEvT1_.numbered_sgpr, 0
	.set _ZN7rocprim17ROCPRIM_400000_NS6detail17trampoline_kernelINS0_14default_configENS1_27scan_by_key_config_selectorIxxEEZZNS1_16scan_by_key_implILNS1_25lookback_scan_determinismE0ELb0ES3_N6thrust23THRUST_200600_302600_NS6detail15normal_iteratorINS9_10device_ptrIxEEEESE_SE_xNS9_4plusIvEENS9_8equal_toIxEExEE10hipError_tPvRmT2_T3_T4_T5_mT6_T7_P12ihipStream_tbENKUlT_T0_E_clISt17integral_constantIbLb0EESY_IbLb1EEEEDaSU_SV_EUlSU_E_NS1_11comp_targetILNS1_3genE4ELNS1_11target_archE910ELNS1_3gpuE8ELNS1_3repE0EEENS1_30default_config_static_selectorELNS0_4arch9wavefront6targetE0EEEvT1_.num_named_barrier, 0
	.set _ZN7rocprim17ROCPRIM_400000_NS6detail17trampoline_kernelINS0_14default_configENS1_27scan_by_key_config_selectorIxxEEZZNS1_16scan_by_key_implILNS1_25lookback_scan_determinismE0ELb0ES3_N6thrust23THRUST_200600_302600_NS6detail15normal_iteratorINS9_10device_ptrIxEEEESE_SE_xNS9_4plusIvEENS9_8equal_toIxEExEE10hipError_tPvRmT2_T3_T4_T5_mT6_T7_P12ihipStream_tbENKUlT_T0_E_clISt17integral_constantIbLb0EESY_IbLb1EEEEDaSU_SV_EUlSU_E_NS1_11comp_targetILNS1_3genE4ELNS1_11target_archE910ELNS1_3gpuE8ELNS1_3repE0EEENS1_30default_config_static_selectorELNS0_4arch9wavefront6targetE0EEEvT1_.private_seg_size, 0
	.set _ZN7rocprim17ROCPRIM_400000_NS6detail17trampoline_kernelINS0_14default_configENS1_27scan_by_key_config_selectorIxxEEZZNS1_16scan_by_key_implILNS1_25lookback_scan_determinismE0ELb0ES3_N6thrust23THRUST_200600_302600_NS6detail15normal_iteratorINS9_10device_ptrIxEEEESE_SE_xNS9_4plusIvEENS9_8equal_toIxEExEE10hipError_tPvRmT2_T3_T4_T5_mT6_T7_P12ihipStream_tbENKUlT_T0_E_clISt17integral_constantIbLb0EESY_IbLb1EEEEDaSU_SV_EUlSU_E_NS1_11comp_targetILNS1_3genE4ELNS1_11target_archE910ELNS1_3gpuE8ELNS1_3repE0EEENS1_30default_config_static_selectorELNS0_4arch9wavefront6targetE0EEEvT1_.uses_vcc, 0
	.set _ZN7rocprim17ROCPRIM_400000_NS6detail17trampoline_kernelINS0_14default_configENS1_27scan_by_key_config_selectorIxxEEZZNS1_16scan_by_key_implILNS1_25lookback_scan_determinismE0ELb0ES3_N6thrust23THRUST_200600_302600_NS6detail15normal_iteratorINS9_10device_ptrIxEEEESE_SE_xNS9_4plusIvEENS9_8equal_toIxEExEE10hipError_tPvRmT2_T3_T4_T5_mT6_T7_P12ihipStream_tbENKUlT_T0_E_clISt17integral_constantIbLb0EESY_IbLb1EEEEDaSU_SV_EUlSU_E_NS1_11comp_targetILNS1_3genE4ELNS1_11target_archE910ELNS1_3gpuE8ELNS1_3repE0EEENS1_30default_config_static_selectorELNS0_4arch9wavefront6targetE0EEEvT1_.uses_flat_scratch, 0
	.set _ZN7rocprim17ROCPRIM_400000_NS6detail17trampoline_kernelINS0_14default_configENS1_27scan_by_key_config_selectorIxxEEZZNS1_16scan_by_key_implILNS1_25lookback_scan_determinismE0ELb0ES3_N6thrust23THRUST_200600_302600_NS6detail15normal_iteratorINS9_10device_ptrIxEEEESE_SE_xNS9_4plusIvEENS9_8equal_toIxEExEE10hipError_tPvRmT2_T3_T4_T5_mT6_T7_P12ihipStream_tbENKUlT_T0_E_clISt17integral_constantIbLb0EESY_IbLb1EEEEDaSU_SV_EUlSU_E_NS1_11comp_targetILNS1_3genE4ELNS1_11target_archE910ELNS1_3gpuE8ELNS1_3repE0EEENS1_30default_config_static_selectorELNS0_4arch9wavefront6targetE0EEEvT1_.has_dyn_sized_stack, 0
	.set _ZN7rocprim17ROCPRIM_400000_NS6detail17trampoline_kernelINS0_14default_configENS1_27scan_by_key_config_selectorIxxEEZZNS1_16scan_by_key_implILNS1_25lookback_scan_determinismE0ELb0ES3_N6thrust23THRUST_200600_302600_NS6detail15normal_iteratorINS9_10device_ptrIxEEEESE_SE_xNS9_4plusIvEENS9_8equal_toIxEExEE10hipError_tPvRmT2_T3_T4_T5_mT6_T7_P12ihipStream_tbENKUlT_T0_E_clISt17integral_constantIbLb0EESY_IbLb1EEEEDaSU_SV_EUlSU_E_NS1_11comp_targetILNS1_3genE4ELNS1_11target_archE910ELNS1_3gpuE8ELNS1_3repE0EEENS1_30default_config_static_selectorELNS0_4arch9wavefront6targetE0EEEvT1_.has_recursion, 0
	.set _ZN7rocprim17ROCPRIM_400000_NS6detail17trampoline_kernelINS0_14default_configENS1_27scan_by_key_config_selectorIxxEEZZNS1_16scan_by_key_implILNS1_25lookback_scan_determinismE0ELb0ES3_N6thrust23THRUST_200600_302600_NS6detail15normal_iteratorINS9_10device_ptrIxEEEESE_SE_xNS9_4plusIvEENS9_8equal_toIxEExEE10hipError_tPvRmT2_T3_T4_T5_mT6_T7_P12ihipStream_tbENKUlT_T0_E_clISt17integral_constantIbLb0EESY_IbLb1EEEEDaSU_SV_EUlSU_E_NS1_11comp_targetILNS1_3genE4ELNS1_11target_archE910ELNS1_3gpuE8ELNS1_3repE0EEENS1_30default_config_static_selectorELNS0_4arch9wavefront6targetE0EEEvT1_.has_indirect_call, 0
	.section	.AMDGPU.csdata,"",@progbits
; Kernel info:
; codeLenInByte = 0
; TotalNumSgprs: 0
; NumVgprs: 0
; ScratchSize: 0
; MemoryBound: 0
; FloatMode: 240
; IeeeMode: 1
; LDSByteSize: 0 bytes/workgroup (compile time only)
; SGPRBlocks: 0
; VGPRBlocks: 0
; NumSGPRsForWavesPerEU: 1
; NumVGPRsForWavesPerEU: 1
; NamedBarCnt: 0
; Occupancy: 16
; WaveLimiterHint : 0
; COMPUTE_PGM_RSRC2:SCRATCH_EN: 0
; COMPUTE_PGM_RSRC2:USER_SGPR: 2
; COMPUTE_PGM_RSRC2:TRAP_HANDLER: 0
; COMPUTE_PGM_RSRC2:TGID_X_EN: 1
; COMPUTE_PGM_RSRC2:TGID_Y_EN: 0
; COMPUTE_PGM_RSRC2:TGID_Z_EN: 0
; COMPUTE_PGM_RSRC2:TIDIG_COMP_CNT: 0
	.section	.text._ZN7rocprim17ROCPRIM_400000_NS6detail17trampoline_kernelINS0_14default_configENS1_27scan_by_key_config_selectorIxxEEZZNS1_16scan_by_key_implILNS1_25lookback_scan_determinismE0ELb0ES3_N6thrust23THRUST_200600_302600_NS6detail15normal_iteratorINS9_10device_ptrIxEEEESE_SE_xNS9_4plusIvEENS9_8equal_toIxEExEE10hipError_tPvRmT2_T3_T4_T5_mT6_T7_P12ihipStream_tbENKUlT_T0_E_clISt17integral_constantIbLb0EESY_IbLb1EEEEDaSU_SV_EUlSU_E_NS1_11comp_targetILNS1_3genE3ELNS1_11target_archE908ELNS1_3gpuE7ELNS1_3repE0EEENS1_30default_config_static_selectorELNS0_4arch9wavefront6targetE0EEEvT1_,"axG",@progbits,_ZN7rocprim17ROCPRIM_400000_NS6detail17trampoline_kernelINS0_14default_configENS1_27scan_by_key_config_selectorIxxEEZZNS1_16scan_by_key_implILNS1_25lookback_scan_determinismE0ELb0ES3_N6thrust23THRUST_200600_302600_NS6detail15normal_iteratorINS9_10device_ptrIxEEEESE_SE_xNS9_4plusIvEENS9_8equal_toIxEExEE10hipError_tPvRmT2_T3_T4_T5_mT6_T7_P12ihipStream_tbENKUlT_T0_E_clISt17integral_constantIbLb0EESY_IbLb1EEEEDaSU_SV_EUlSU_E_NS1_11comp_targetILNS1_3genE3ELNS1_11target_archE908ELNS1_3gpuE7ELNS1_3repE0EEENS1_30default_config_static_selectorELNS0_4arch9wavefront6targetE0EEEvT1_,comdat
	.protected	_ZN7rocprim17ROCPRIM_400000_NS6detail17trampoline_kernelINS0_14default_configENS1_27scan_by_key_config_selectorIxxEEZZNS1_16scan_by_key_implILNS1_25lookback_scan_determinismE0ELb0ES3_N6thrust23THRUST_200600_302600_NS6detail15normal_iteratorINS9_10device_ptrIxEEEESE_SE_xNS9_4plusIvEENS9_8equal_toIxEExEE10hipError_tPvRmT2_T3_T4_T5_mT6_T7_P12ihipStream_tbENKUlT_T0_E_clISt17integral_constantIbLb0EESY_IbLb1EEEEDaSU_SV_EUlSU_E_NS1_11comp_targetILNS1_3genE3ELNS1_11target_archE908ELNS1_3gpuE7ELNS1_3repE0EEENS1_30default_config_static_selectorELNS0_4arch9wavefront6targetE0EEEvT1_ ; -- Begin function _ZN7rocprim17ROCPRIM_400000_NS6detail17trampoline_kernelINS0_14default_configENS1_27scan_by_key_config_selectorIxxEEZZNS1_16scan_by_key_implILNS1_25lookback_scan_determinismE0ELb0ES3_N6thrust23THRUST_200600_302600_NS6detail15normal_iteratorINS9_10device_ptrIxEEEESE_SE_xNS9_4plusIvEENS9_8equal_toIxEExEE10hipError_tPvRmT2_T3_T4_T5_mT6_T7_P12ihipStream_tbENKUlT_T0_E_clISt17integral_constantIbLb0EESY_IbLb1EEEEDaSU_SV_EUlSU_E_NS1_11comp_targetILNS1_3genE3ELNS1_11target_archE908ELNS1_3gpuE7ELNS1_3repE0EEENS1_30default_config_static_selectorELNS0_4arch9wavefront6targetE0EEEvT1_
	.globl	_ZN7rocprim17ROCPRIM_400000_NS6detail17trampoline_kernelINS0_14default_configENS1_27scan_by_key_config_selectorIxxEEZZNS1_16scan_by_key_implILNS1_25lookback_scan_determinismE0ELb0ES3_N6thrust23THRUST_200600_302600_NS6detail15normal_iteratorINS9_10device_ptrIxEEEESE_SE_xNS9_4plusIvEENS9_8equal_toIxEExEE10hipError_tPvRmT2_T3_T4_T5_mT6_T7_P12ihipStream_tbENKUlT_T0_E_clISt17integral_constantIbLb0EESY_IbLb1EEEEDaSU_SV_EUlSU_E_NS1_11comp_targetILNS1_3genE3ELNS1_11target_archE908ELNS1_3gpuE7ELNS1_3repE0EEENS1_30default_config_static_selectorELNS0_4arch9wavefront6targetE0EEEvT1_
	.p2align	8
	.type	_ZN7rocprim17ROCPRIM_400000_NS6detail17trampoline_kernelINS0_14default_configENS1_27scan_by_key_config_selectorIxxEEZZNS1_16scan_by_key_implILNS1_25lookback_scan_determinismE0ELb0ES3_N6thrust23THRUST_200600_302600_NS6detail15normal_iteratorINS9_10device_ptrIxEEEESE_SE_xNS9_4plusIvEENS9_8equal_toIxEExEE10hipError_tPvRmT2_T3_T4_T5_mT6_T7_P12ihipStream_tbENKUlT_T0_E_clISt17integral_constantIbLb0EESY_IbLb1EEEEDaSU_SV_EUlSU_E_NS1_11comp_targetILNS1_3genE3ELNS1_11target_archE908ELNS1_3gpuE7ELNS1_3repE0EEENS1_30default_config_static_selectorELNS0_4arch9wavefront6targetE0EEEvT1_,@function
_ZN7rocprim17ROCPRIM_400000_NS6detail17trampoline_kernelINS0_14default_configENS1_27scan_by_key_config_selectorIxxEEZZNS1_16scan_by_key_implILNS1_25lookback_scan_determinismE0ELb0ES3_N6thrust23THRUST_200600_302600_NS6detail15normal_iteratorINS9_10device_ptrIxEEEESE_SE_xNS9_4plusIvEENS9_8equal_toIxEExEE10hipError_tPvRmT2_T3_T4_T5_mT6_T7_P12ihipStream_tbENKUlT_T0_E_clISt17integral_constantIbLb0EESY_IbLb1EEEEDaSU_SV_EUlSU_E_NS1_11comp_targetILNS1_3genE3ELNS1_11target_archE908ELNS1_3gpuE7ELNS1_3repE0EEENS1_30default_config_static_selectorELNS0_4arch9wavefront6targetE0EEEvT1_: ; @_ZN7rocprim17ROCPRIM_400000_NS6detail17trampoline_kernelINS0_14default_configENS1_27scan_by_key_config_selectorIxxEEZZNS1_16scan_by_key_implILNS1_25lookback_scan_determinismE0ELb0ES3_N6thrust23THRUST_200600_302600_NS6detail15normal_iteratorINS9_10device_ptrIxEEEESE_SE_xNS9_4plusIvEENS9_8equal_toIxEExEE10hipError_tPvRmT2_T3_T4_T5_mT6_T7_P12ihipStream_tbENKUlT_T0_E_clISt17integral_constantIbLb0EESY_IbLb1EEEEDaSU_SV_EUlSU_E_NS1_11comp_targetILNS1_3genE3ELNS1_11target_archE908ELNS1_3gpuE7ELNS1_3repE0EEENS1_30default_config_static_selectorELNS0_4arch9wavefront6targetE0EEEvT1_
; %bb.0:
	.section	.rodata,"a",@progbits
	.p2align	6, 0x0
	.amdhsa_kernel _ZN7rocprim17ROCPRIM_400000_NS6detail17trampoline_kernelINS0_14default_configENS1_27scan_by_key_config_selectorIxxEEZZNS1_16scan_by_key_implILNS1_25lookback_scan_determinismE0ELb0ES3_N6thrust23THRUST_200600_302600_NS6detail15normal_iteratorINS9_10device_ptrIxEEEESE_SE_xNS9_4plusIvEENS9_8equal_toIxEExEE10hipError_tPvRmT2_T3_T4_T5_mT6_T7_P12ihipStream_tbENKUlT_T0_E_clISt17integral_constantIbLb0EESY_IbLb1EEEEDaSU_SV_EUlSU_E_NS1_11comp_targetILNS1_3genE3ELNS1_11target_archE908ELNS1_3gpuE7ELNS1_3repE0EEENS1_30default_config_static_selectorELNS0_4arch9wavefront6targetE0EEEvT1_
		.amdhsa_group_segment_fixed_size 0
		.amdhsa_private_segment_fixed_size 0
		.amdhsa_kernarg_size 136
		.amdhsa_user_sgpr_count 2
		.amdhsa_user_sgpr_dispatch_ptr 0
		.amdhsa_user_sgpr_queue_ptr 0
		.amdhsa_user_sgpr_kernarg_segment_ptr 1
		.amdhsa_user_sgpr_dispatch_id 0
		.amdhsa_user_sgpr_kernarg_preload_length 0
		.amdhsa_user_sgpr_kernarg_preload_offset 0
		.amdhsa_user_sgpr_private_segment_size 0
		.amdhsa_wavefront_size32 1
		.amdhsa_uses_dynamic_stack 0
		.amdhsa_enable_private_segment 0
		.amdhsa_system_sgpr_workgroup_id_x 1
		.amdhsa_system_sgpr_workgroup_id_y 0
		.amdhsa_system_sgpr_workgroup_id_z 0
		.amdhsa_system_sgpr_workgroup_info 0
		.amdhsa_system_vgpr_workitem_id 0
		.amdhsa_next_free_vgpr 1
		.amdhsa_next_free_sgpr 1
		.amdhsa_named_barrier_count 0
		.amdhsa_reserve_vcc 0
		.amdhsa_float_round_mode_32 0
		.amdhsa_float_round_mode_16_64 0
		.amdhsa_float_denorm_mode_32 3
		.amdhsa_float_denorm_mode_16_64 3
		.amdhsa_fp16_overflow 0
		.amdhsa_memory_ordered 1
		.amdhsa_forward_progress 1
		.amdhsa_inst_pref_size 0
		.amdhsa_round_robin_scheduling 0
		.amdhsa_exception_fp_ieee_invalid_op 0
		.amdhsa_exception_fp_denorm_src 0
		.amdhsa_exception_fp_ieee_div_zero 0
		.amdhsa_exception_fp_ieee_overflow 0
		.amdhsa_exception_fp_ieee_underflow 0
		.amdhsa_exception_fp_ieee_inexact 0
		.amdhsa_exception_int_div_zero 0
	.end_amdhsa_kernel
	.section	.text._ZN7rocprim17ROCPRIM_400000_NS6detail17trampoline_kernelINS0_14default_configENS1_27scan_by_key_config_selectorIxxEEZZNS1_16scan_by_key_implILNS1_25lookback_scan_determinismE0ELb0ES3_N6thrust23THRUST_200600_302600_NS6detail15normal_iteratorINS9_10device_ptrIxEEEESE_SE_xNS9_4plusIvEENS9_8equal_toIxEExEE10hipError_tPvRmT2_T3_T4_T5_mT6_T7_P12ihipStream_tbENKUlT_T0_E_clISt17integral_constantIbLb0EESY_IbLb1EEEEDaSU_SV_EUlSU_E_NS1_11comp_targetILNS1_3genE3ELNS1_11target_archE908ELNS1_3gpuE7ELNS1_3repE0EEENS1_30default_config_static_selectorELNS0_4arch9wavefront6targetE0EEEvT1_,"axG",@progbits,_ZN7rocprim17ROCPRIM_400000_NS6detail17trampoline_kernelINS0_14default_configENS1_27scan_by_key_config_selectorIxxEEZZNS1_16scan_by_key_implILNS1_25lookback_scan_determinismE0ELb0ES3_N6thrust23THRUST_200600_302600_NS6detail15normal_iteratorINS9_10device_ptrIxEEEESE_SE_xNS9_4plusIvEENS9_8equal_toIxEExEE10hipError_tPvRmT2_T3_T4_T5_mT6_T7_P12ihipStream_tbENKUlT_T0_E_clISt17integral_constantIbLb0EESY_IbLb1EEEEDaSU_SV_EUlSU_E_NS1_11comp_targetILNS1_3genE3ELNS1_11target_archE908ELNS1_3gpuE7ELNS1_3repE0EEENS1_30default_config_static_selectorELNS0_4arch9wavefront6targetE0EEEvT1_,comdat
.Lfunc_end114:
	.size	_ZN7rocprim17ROCPRIM_400000_NS6detail17trampoline_kernelINS0_14default_configENS1_27scan_by_key_config_selectorIxxEEZZNS1_16scan_by_key_implILNS1_25lookback_scan_determinismE0ELb0ES3_N6thrust23THRUST_200600_302600_NS6detail15normal_iteratorINS9_10device_ptrIxEEEESE_SE_xNS9_4plusIvEENS9_8equal_toIxEExEE10hipError_tPvRmT2_T3_T4_T5_mT6_T7_P12ihipStream_tbENKUlT_T0_E_clISt17integral_constantIbLb0EESY_IbLb1EEEEDaSU_SV_EUlSU_E_NS1_11comp_targetILNS1_3genE3ELNS1_11target_archE908ELNS1_3gpuE7ELNS1_3repE0EEENS1_30default_config_static_selectorELNS0_4arch9wavefront6targetE0EEEvT1_, .Lfunc_end114-_ZN7rocprim17ROCPRIM_400000_NS6detail17trampoline_kernelINS0_14default_configENS1_27scan_by_key_config_selectorIxxEEZZNS1_16scan_by_key_implILNS1_25lookback_scan_determinismE0ELb0ES3_N6thrust23THRUST_200600_302600_NS6detail15normal_iteratorINS9_10device_ptrIxEEEESE_SE_xNS9_4plusIvEENS9_8equal_toIxEExEE10hipError_tPvRmT2_T3_T4_T5_mT6_T7_P12ihipStream_tbENKUlT_T0_E_clISt17integral_constantIbLb0EESY_IbLb1EEEEDaSU_SV_EUlSU_E_NS1_11comp_targetILNS1_3genE3ELNS1_11target_archE908ELNS1_3gpuE7ELNS1_3repE0EEENS1_30default_config_static_selectorELNS0_4arch9wavefront6targetE0EEEvT1_
                                        ; -- End function
	.set _ZN7rocprim17ROCPRIM_400000_NS6detail17trampoline_kernelINS0_14default_configENS1_27scan_by_key_config_selectorIxxEEZZNS1_16scan_by_key_implILNS1_25lookback_scan_determinismE0ELb0ES3_N6thrust23THRUST_200600_302600_NS6detail15normal_iteratorINS9_10device_ptrIxEEEESE_SE_xNS9_4plusIvEENS9_8equal_toIxEExEE10hipError_tPvRmT2_T3_T4_T5_mT6_T7_P12ihipStream_tbENKUlT_T0_E_clISt17integral_constantIbLb0EESY_IbLb1EEEEDaSU_SV_EUlSU_E_NS1_11comp_targetILNS1_3genE3ELNS1_11target_archE908ELNS1_3gpuE7ELNS1_3repE0EEENS1_30default_config_static_selectorELNS0_4arch9wavefront6targetE0EEEvT1_.num_vgpr, 0
	.set _ZN7rocprim17ROCPRIM_400000_NS6detail17trampoline_kernelINS0_14default_configENS1_27scan_by_key_config_selectorIxxEEZZNS1_16scan_by_key_implILNS1_25lookback_scan_determinismE0ELb0ES3_N6thrust23THRUST_200600_302600_NS6detail15normal_iteratorINS9_10device_ptrIxEEEESE_SE_xNS9_4plusIvEENS9_8equal_toIxEExEE10hipError_tPvRmT2_T3_T4_T5_mT6_T7_P12ihipStream_tbENKUlT_T0_E_clISt17integral_constantIbLb0EESY_IbLb1EEEEDaSU_SV_EUlSU_E_NS1_11comp_targetILNS1_3genE3ELNS1_11target_archE908ELNS1_3gpuE7ELNS1_3repE0EEENS1_30default_config_static_selectorELNS0_4arch9wavefront6targetE0EEEvT1_.num_agpr, 0
	.set _ZN7rocprim17ROCPRIM_400000_NS6detail17trampoline_kernelINS0_14default_configENS1_27scan_by_key_config_selectorIxxEEZZNS1_16scan_by_key_implILNS1_25lookback_scan_determinismE0ELb0ES3_N6thrust23THRUST_200600_302600_NS6detail15normal_iteratorINS9_10device_ptrIxEEEESE_SE_xNS9_4plusIvEENS9_8equal_toIxEExEE10hipError_tPvRmT2_T3_T4_T5_mT6_T7_P12ihipStream_tbENKUlT_T0_E_clISt17integral_constantIbLb0EESY_IbLb1EEEEDaSU_SV_EUlSU_E_NS1_11comp_targetILNS1_3genE3ELNS1_11target_archE908ELNS1_3gpuE7ELNS1_3repE0EEENS1_30default_config_static_selectorELNS0_4arch9wavefront6targetE0EEEvT1_.numbered_sgpr, 0
	.set _ZN7rocprim17ROCPRIM_400000_NS6detail17trampoline_kernelINS0_14default_configENS1_27scan_by_key_config_selectorIxxEEZZNS1_16scan_by_key_implILNS1_25lookback_scan_determinismE0ELb0ES3_N6thrust23THRUST_200600_302600_NS6detail15normal_iteratorINS9_10device_ptrIxEEEESE_SE_xNS9_4plusIvEENS9_8equal_toIxEExEE10hipError_tPvRmT2_T3_T4_T5_mT6_T7_P12ihipStream_tbENKUlT_T0_E_clISt17integral_constantIbLb0EESY_IbLb1EEEEDaSU_SV_EUlSU_E_NS1_11comp_targetILNS1_3genE3ELNS1_11target_archE908ELNS1_3gpuE7ELNS1_3repE0EEENS1_30default_config_static_selectorELNS0_4arch9wavefront6targetE0EEEvT1_.num_named_barrier, 0
	.set _ZN7rocprim17ROCPRIM_400000_NS6detail17trampoline_kernelINS0_14default_configENS1_27scan_by_key_config_selectorIxxEEZZNS1_16scan_by_key_implILNS1_25lookback_scan_determinismE0ELb0ES3_N6thrust23THRUST_200600_302600_NS6detail15normal_iteratorINS9_10device_ptrIxEEEESE_SE_xNS9_4plusIvEENS9_8equal_toIxEExEE10hipError_tPvRmT2_T3_T4_T5_mT6_T7_P12ihipStream_tbENKUlT_T0_E_clISt17integral_constantIbLb0EESY_IbLb1EEEEDaSU_SV_EUlSU_E_NS1_11comp_targetILNS1_3genE3ELNS1_11target_archE908ELNS1_3gpuE7ELNS1_3repE0EEENS1_30default_config_static_selectorELNS0_4arch9wavefront6targetE0EEEvT1_.private_seg_size, 0
	.set _ZN7rocprim17ROCPRIM_400000_NS6detail17trampoline_kernelINS0_14default_configENS1_27scan_by_key_config_selectorIxxEEZZNS1_16scan_by_key_implILNS1_25lookback_scan_determinismE0ELb0ES3_N6thrust23THRUST_200600_302600_NS6detail15normal_iteratorINS9_10device_ptrIxEEEESE_SE_xNS9_4plusIvEENS9_8equal_toIxEExEE10hipError_tPvRmT2_T3_T4_T5_mT6_T7_P12ihipStream_tbENKUlT_T0_E_clISt17integral_constantIbLb0EESY_IbLb1EEEEDaSU_SV_EUlSU_E_NS1_11comp_targetILNS1_3genE3ELNS1_11target_archE908ELNS1_3gpuE7ELNS1_3repE0EEENS1_30default_config_static_selectorELNS0_4arch9wavefront6targetE0EEEvT1_.uses_vcc, 0
	.set _ZN7rocprim17ROCPRIM_400000_NS6detail17trampoline_kernelINS0_14default_configENS1_27scan_by_key_config_selectorIxxEEZZNS1_16scan_by_key_implILNS1_25lookback_scan_determinismE0ELb0ES3_N6thrust23THRUST_200600_302600_NS6detail15normal_iteratorINS9_10device_ptrIxEEEESE_SE_xNS9_4plusIvEENS9_8equal_toIxEExEE10hipError_tPvRmT2_T3_T4_T5_mT6_T7_P12ihipStream_tbENKUlT_T0_E_clISt17integral_constantIbLb0EESY_IbLb1EEEEDaSU_SV_EUlSU_E_NS1_11comp_targetILNS1_3genE3ELNS1_11target_archE908ELNS1_3gpuE7ELNS1_3repE0EEENS1_30default_config_static_selectorELNS0_4arch9wavefront6targetE0EEEvT1_.uses_flat_scratch, 0
	.set _ZN7rocprim17ROCPRIM_400000_NS6detail17trampoline_kernelINS0_14default_configENS1_27scan_by_key_config_selectorIxxEEZZNS1_16scan_by_key_implILNS1_25lookback_scan_determinismE0ELb0ES3_N6thrust23THRUST_200600_302600_NS6detail15normal_iteratorINS9_10device_ptrIxEEEESE_SE_xNS9_4plusIvEENS9_8equal_toIxEExEE10hipError_tPvRmT2_T3_T4_T5_mT6_T7_P12ihipStream_tbENKUlT_T0_E_clISt17integral_constantIbLb0EESY_IbLb1EEEEDaSU_SV_EUlSU_E_NS1_11comp_targetILNS1_3genE3ELNS1_11target_archE908ELNS1_3gpuE7ELNS1_3repE0EEENS1_30default_config_static_selectorELNS0_4arch9wavefront6targetE0EEEvT1_.has_dyn_sized_stack, 0
	.set _ZN7rocprim17ROCPRIM_400000_NS6detail17trampoline_kernelINS0_14default_configENS1_27scan_by_key_config_selectorIxxEEZZNS1_16scan_by_key_implILNS1_25lookback_scan_determinismE0ELb0ES3_N6thrust23THRUST_200600_302600_NS6detail15normal_iteratorINS9_10device_ptrIxEEEESE_SE_xNS9_4plusIvEENS9_8equal_toIxEExEE10hipError_tPvRmT2_T3_T4_T5_mT6_T7_P12ihipStream_tbENKUlT_T0_E_clISt17integral_constantIbLb0EESY_IbLb1EEEEDaSU_SV_EUlSU_E_NS1_11comp_targetILNS1_3genE3ELNS1_11target_archE908ELNS1_3gpuE7ELNS1_3repE0EEENS1_30default_config_static_selectorELNS0_4arch9wavefront6targetE0EEEvT1_.has_recursion, 0
	.set _ZN7rocprim17ROCPRIM_400000_NS6detail17trampoline_kernelINS0_14default_configENS1_27scan_by_key_config_selectorIxxEEZZNS1_16scan_by_key_implILNS1_25lookback_scan_determinismE0ELb0ES3_N6thrust23THRUST_200600_302600_NS6detail15normal_iteratorINS9_10device_ptrIxEEEESE_SE_xNS9_4plusIvEENS9_8equal_toIxEExEE10hipError_tPvRmT2_T3_T4_T5_mT6_T7_P12ihipStream_tbENKUlT_T0_E_clISt17integral_constantIbLb0EESY_IbLb1EEEEDaSU_SV_EUlSU_E_NS1_11comp_targetILNS1_3genE3ELNS1_11target_archE908ELNS1_3gpuE7ELNS1_3repE0EEENS1_30default_config_static_selectorELNS0_4arch9wavefront6targetE0EEEvT1_.has_indirect_call, 0
	.section	.AMDGPU.csdata,"",@progbits
; Kernel info:
; codeLenInByte = 0
; TotalNumSgprs: 0
; NumVgprs: 0
; ScratchSize: 0
; MemoryBound: 0
; FloatMode: 240
; IeeeMode: 1
; LDSByteSize: 0 bytes/workgroup (compile time only)
; SGPRBlocks: 0
; VGPRBlocks: 0
; NumSGPRsForWavesPerEU: 1
; NumVGPRsForWavesPerEU: 1
; NamedBarCnt: 0
; Occupancy: 16
; WaveLimiterHint : 0
; COMPUTE_PGM_RSRC2:SCRATCH_EN: 0
; COMPUTE_PGM_RSRC2:USER_SGPR: 2
; COMPUTE_PGM_RSRC2:TRAP_HANDLER: 0
; COMPUTE_PGM_RSRC2:TGID_X_EN: 1
; COMPUTE_PGM_RSRC2:TGID_Y_EN: 0
; COMPUTE_PGM_RSRC2:TGID_Z_EN: 0
; COMPUTE_PGM_RSRC2:TIDIG_COMP_CNT: 0
	.section	.text._ZN7rocprim17ROCPRIM_400000_NS6detail17trampoline_kernelINS0_14default_configENS1_27scan_by_key_config_selectorIxxEEZZNS1_16scan_by_key_implILNS1_25lookback_scan_determinismE0ELb0ES3_N6thrust23THRUST_200600_302600_NS6detail15normal_iteratorINS9_10device_ptrIxEEEESE_SE_xNS9_4plusIvEENS9_8equal_toIxEExEE10hipError_tPvRmT2_T3_T4_T5_mT6_T7_P12ihipStream_tbENKUlT_T0_E_clISt17integral_constantIbLb0EESY_IbLb1EEEEDaSU_SV_EUlSU_E_NS1_11comp_targetILNS1_3genE2ELNS1_11target_archE906ELNS1_3gpuE6ELNS1_3repE0EEENS1_30default_config_static_selectorELNS0_4arch9wavefront6targetE0EEEvT1_,"axG",@progbits,_ZN7rocprim17ROCPRIM_400000_NS6detail17trampoline_kernelINS0_14default_configENS1_27scan_by_key_config_selectorIxxEEZZNS1_16scan_by_key_implILNS1_25lookback_scan_determinismE0ELb0ES3_N6thrust23THRUST_200600_302600_NS6detail15normal_iteratorINS9_10device_ptrIxEEEESE_SE_xNS9_4plusIvEENS9_8equal_toIxEExEE10hipError_tPvRmT2_T3_T4_T5_mT6_T7_P12ihipStream_tbENKUlT_T0_E_clISt17integral_constantIbLb0EESY_IbLb1EEEEDaSU_SV_EUlSU_E_NS1_11comp_targetILNS1_3genE2ELNS1_11target_archE906ELNS1_3gpuE6ELNS1_3repE0EEENS1_30default_config_static_selectorELNS0_4arch9wavefront6targetE0EEEvT1_,comdat
	.protected	_ZN7rocprim17ROCPRIM_400000_NS6detail17trampoline_kernelINS0_14default_configENS1_27scan_by_key_config_selectorIxxEEZZNS1_16scan_by_key_implILNS1_25lookback_scan_determinismE0ELb0ES3_N6thrust23THRUST_200600_302600_NS6detail15normal_iteratorINS9_10device_ptrIxEEEESE_SE_xNS9_4plusIvEENS9_8equal_toIxEExEE10hipError_tPvRmT2_T3_T4_T5_mT6_T7_P12ihipStream_tbENKUlT_T0_E_clISt17integral_constantIbLb0EESY_IbLb1EEEEDaSU_SV_EUlSU_E_NS1_11comp_targetILNS1_3genE2ELNS1_11target_archE906ELNS1_3gpuE6ELNS1_3repE0EEENS1_30default_config_static_selectorELNS0_4arch9wavefront6targetE0EEEvT1_ ; -- Begin function _ZN7rocprim17ROCPRIM_400000_NS6detail17trampoline_kernelINS0_14default_configENS1_27scan_by_key_config_selectorIxxEEZZNS1_16scan_by_key_implILNS1_25lookback_scan_determinismE0ELb0ES3_N6thrust23THRUST_200600_302600_NS6detail15normal_iteratorINS9_10device_ptrIxEEEESE_SE_xNS9_4plusIvEENS9_8equal_toIxEExEE10hipError_tPvRmT2_T3_T4_T5_mT6_T7_P12ihipStream_tbENKUlT_T0_E_clISt17integral_constantIbLb0EESY_IbLb1EEEEDaSU_SV_EUlSU_E_NS1_11comp_targetILNS1_3genE2ELNS1_11target_archE906ELNS1_3gpuE6ELNS1_3repE0EEENS1_30default_config_static_selectorELNS0_4arch9wavefront6targetE0EEEvT1_
	.globl	_ZN7rocprim17ROCPRIM_400000_NS6detail17trampoline_kernelINS0_14default_configENS1_27scan_by_key_config_selectorIxxEEZZNS1_16scan_by_key_implILNS1_25lookback_scan_determinismE0ELb0ES3_N6thrust23THRUST_200600_302600_NS6detail15normal_iteratorINS9_10device_ptrIxEEEESE_SE_xNS9_4plusIvEENS9_8equal_toIxEExEE10hipError_tPvRmT2_T3_T4_T5_mT6_T7_P12ihipStream_tbENKUlT_T0_E_clISt17integral_constantIbLb0EESY_IbLb1EEEEDaSU_SV_EUlSU_E_NS1_11comp_targetILNS1_3genE2ELNS1_11target_archE906ELNS1_3gpuE6ELNS1_3repE0EEENS1_30default_config_static_selectorELNS0_4arch9wavefront6targetE0EEEvT1_
	.p2align	8
	.type	_ZN7rocprim17ROCPRIM_400000_NS6detail17trampoline_kernelINS0_14default_configENS1_27scan_by_key_config_selectorIxxEEZZNS1_16scan_by_key_implILNS1_25lookback_scan_determinismE0ELb0ES3_N6thrust23THRUST_200600_302600_NS6detail15normal_iteratorINS9_10device_ptrIxEEEESE_SE_xNS9_4plusIvEENS9_8equal_toIxEExEE10hipError_tPvRmT2_T3_T4_T5_mT6_T7_P12ihipStream_tbENKUlT_T0_E_clISt17integral_constantIbLb0EESY_IbLb1EEEEDaSU_SV_EUlSU_E_NS1_11comp_targetILNS1_3genE2ELNS1_11target_archE906ELNS1_3gpuE6ELNS1_3repE0EEENS1_30default_config_static_selectorELNS0_4arch9wavefront6targetE0EEEvT1_,@function
_ZN7rocprim17ROCPRIM_400000_NS6detail17trampoline_kernelINS0_14default_configENS1_27scan_by_key_config_selectorIxxEEZZNS1_16scan_by_key_implILNS1_25lookback_scan_determinismE0ELb0ES3_N6thrust23THRUST_200600_302600_NS6detail15normal_iteratorINS9_10device_ptrIxEEEESE_SE_xNS9_4plusIvEENS9_8equal_toIxEExEE10hipError_tPvRmT2_T3_T4_T5_mT6_T7_P12ihipStream_tbENKUlT_T0_E_clISt17integral_constantIbLb0EESY_IbLb1EEEEDaSU_SV_EUlSU_E_NS1_11comp_targetILNS1_3genE2ELNS1_11target_archE906ELNS1_3gpuE6ELNS1_3repE0EEENS1_30default_config_static_selectorELNS0_4arch9wavefront6targetE0EEEvT1_: ; @_ZN7rocprim17ROCPRIM_400000_NS6detail17trampoline_kernelINS0_14default_configENS1_27scan_by_key_config_selectorIxxEEZZNS1_16scan_by_key_implILNS1_25lookback_scan_determinismE0ELb0ES3_N6thrust23THRUST_200600_302600_NS6detail15normal_iteratorINS9_10device_ptrIxEEEESE_SE_xNS9_4plusIvEENS9_8equal_toIxEExEE10hipError_tPvRmT2_T3_T4_T5_mT6_T7_P12ihipStream_tbENKUlT_T0_E_clISt17integral_constantIbLb0EESY_IbLb1EEEEDaSU_SV_EUlSU_E_NS1_11comp_targetILNS1_3genE2ELNS1_11target_archE906ELNS1_3gpuE6ELNS1_3repE0EEENS1_30default_config_static_selectorELNS0_4arch9wavefront6targetE0EEEvT1_
; %bb.0:
	.section	.rodata,"a",@progbits
	.p2align	6, 0x0
	.amdhsa_kernel _ZN7rocprim17ROCPRIM_400000_NS6detail17trampoline_kernelINS0_14default_configENS1_27scan_by_key_config_selectorIxxEEZZNS1_16scan_by_key_implILNS1_25lookback_scan_determinismE0ELb0ES3_N6thrust23THRUST_200600_302600_NS6detail15normal_iteratorINS9_10device_ptrIxEEEESE_SE_xNS9_4plusIvEENS9_8equal_toIxEExEE10hipError_tPvRmT2_T3_T4_T5_mT6_T7_P12ihipStream_tbENKUlT_T0_E_clISt17integral_constantIbLb0EESY_IbLb1EEEEDaSU_SV_EUlSU_E_NS1_11comp_targetILNS1_3genE2ELNS1_11target_archE906ELNS1_3gpuE6ELNS1_3repE0EEENS1_30default_config_static_selectorELNS0_4arch9wavefront6targetE0EEEvT1_
		.amdhsa_group_segment_fixed_size 0
		.amdhsa_private_segment_fixed_size 0
		.amdhsa_kernarg_size 136
		.amdhsa_user_sgpr_count 2
		.amdhsa_user_sgpr_dispatch_ptr 0
		.amdhsa_user_sgpr_queue_ptr 0
		.amdhsa_user_sgpr_kernarg_segment_ptr 1
		.amdhsa_user_sgpr_dispatch_id 0
		.amdhsa_user_sgpr_kernarg_preload_length 0
		.amdhsa_user_sgpr_kernarg_preload_offset 0
		.amdhsa_user_sgpr_private_segment_size 0
		.amdhsa_wavefront_size32 1
		.amdhsa_uses_dynamic_stack 0
		.amdhsa_enable_private_segment 0
		.amdhsa_system_sgpr_workgroup_id_x 1
		.amdhsa_system_sgpr_workgroup_id_y 0
		.amdhsa_system_sgpr_workgroup_id_z 0
		.amdhsa_system_sgpr_workgroup_info 0
		.amdhsa_system_vgpr_workitem_id 0
		.amdhsa_next_free_vgpr 1
		.amdhsa_next_free_sgpr 1
		.amdhsa_named_barrier_count 0
		.amdhsa_reserve_vcc 0
		.amdhsa_float_round_mode_32 0
		.amdhsa_float_round_mode_16_64 0
		.amdhsa_float_denorm_mode_32 3
		.amdhsa_float_denorm_mode_16_64 3
		.amdhsa_fp16_overflow 0
		.amdhsa_memory_ordered 1
		.amdhsa_forward_progress 1
		.amdhsa_inst_pref_size 0
		.amdhsa_round_robin_scheduling 0
		.amdhsa_exception_fp_ieee_invalid_op 0
		.amdhsa_exception_fp_denorm_src 0
		.amdhsa_exception_fp_ieee_div_zero 0
		.amdhsa_exception_fp_ieee_overflow 0
		.amdhsa_exception_fp_ieee_underflow 0
		.amdhsa_exception_fp_ieee_inexact 0
		.amdhsa_exception_int_div_zero 0
	.end_amdhsa_kernel
	.section	.text._ZN7rocprim17ROCPRIM_400000_NS6detail17trampoline_kernelINS0_14default_configENS1_27scan_by_key_config_selectorIxxEEZZNS1_16scan_by_key_implILNS1_25lookback_scan_determinismE0ELb0ES3_N6thrust23THRUST_200600_302600_NS6detail15normal_iteratorINS9_10device_ptrIxEEEESE_SE_xNS9_4plusIvEENS9_8equal_toIxEExEE10hipError_tPvRmT2_T3_T4_T5_mT6_T7_P12ihipStream_tbENKUlT_T0_E_clISt17integral_constantIbLb0EESY_IbLb1EEEEDaSU_SV_EUlSU_E_NS1_11comp_targetILNS1_3genE2ELNS1_11target_archE906ELNS1_3gpuE6ELNS1_3repE0EEENS1_30default_config_static_selectorELNS0_4arch9wavefront6targetE0EEEvT1_,"axG",@progbits,_ZN7rocprim17ROCPRIM_400000_NS6detail17trampoline_kernelINS0_14default_configENS1_27scan_by_key_config_selectorIxxEEZZNS1_16scan_by_key_implILNS1_25lookback_scan_determinismE0ELb0ES3_N6thrust23THRUST_200600_302600_NS6detail15normal_iteratorINS9_10device_ptrIxEEEESE_SE_xNS9_4plusIvEENS9_8equal_toIxEExEE10hipError_tPvRmT2_T3_T4_T5_mT6_T7_P12ihipStream_tbENKUlT_T0_E_clISt17integral_constantIbLb0EESY_IbLb1EEEEDaSU_SV_EUlSU_E_NS1_11comp_targetILNS1_3genE2ELNS1_11target_archE906ELNS1_3gpuE6ELNS1_3repE0EEENS1_30default_config_static_selectorELNS0_4arch9wavefront6targetE0EEEvT1_,comdat
.Lfunc_end115:
	.size	_ZN7rocprim17ROCPRIM_400000_NS6detail17trampoline_kernelINS0_14default_configENS1_27scan_by_key_config_selectorIxxEEZZNS1_16scan_by_key_implILNS1_25lookback_scan_determinismE0ELb0ES3_N6thrust23THRUST_200600_302600_NS6detail15normal_iteratorINS9_10device_ptrIxEEEESE_SE_xNS9_4plusIvEENS9_8equal_toIxEExEE10hipError_tPvRmT2_T3_T4_T5_mT6_T7_P12ihipStream_tbENKUlT_T0_E_clISt17integral_constantIbLb0EESY_IbLb1EEEEDaSU_SV_EUlSU_E_NS1_11comp_targetILNS1_3genE2ELNS1_11target_archE906ELNS1_3gpuE6ELNS1_3repE0EEENS1_30default_config_static_selectorELNS0_4arch9wavefront6targetE0EEEvT1_, .Lfunc_end115-_ZN7rocprim17ROCPRIM_400000_NS6detail17trampoline_kernelINS0_14default_configENS1_27scan_by_key_config_selectorIxxEEZZNS1_16scan_by_key_implILNS1_25lookback_scan_determinismE0ELb0ES3_N6thrust23THRUST_200600_302600_NS6detail15normal_iteratorINS9_10device_ptrIxEEEESE_SE_xNS9_4plusIvEENS9_8equal_toIxEExEE10hipError_tPvRmT2_T3_T4_T5_mT6_T7_P12ihipStream_tbENKUlT_T0_E_clISt17integral_constantIbLb0EESY_IbLb1EEEEDaSU_SV_EUlSU_E_NS1_11comp_targetILNS1_3genE2ELNS1_11target_archE906ELNS1_3gpuE6ELNS1_3repE0EEENS1_30default_config_static_selectorELNS0_4arch9wavefront6targetE0EEEvT1_
                                        ; -- End function
	.set _ZN7rocprim17ROCPRIM_400000_NS6detail17trampoline_kernelINS0_14default_configENS1_27scan_by_key_config_selectorIxxEEZZNS1_16scan_by_key_implILNS1_25lookback_scan_determinismE0ELb0ES3_N6thrust23THRUST_200600_302600_NS6detail15normal_iteratorINS9_10device_ptrIxEEEESE_SE_xNS9_4plusIvEENS9_8equal_toIxEExEE10hipError_tPvRmT2_T3_T4_T5_mT6_T7_P12ihipStream_tbENKUlT_T0_E_clISt17integral_constantIbLb0EESY_IbLb1EEEEDaSU_SV_EUlSU_E_NS1_11comp_targetILNS1_3genE2ELNS1_11target_archE906ELNS1_3gpuE6ELNS1_3repE0EEENS1_30default_config_static_selectorELNS0_4arch9wavefront6targetE0EEEvT1_.num_vgpr, 0
	.set _ZN7rocprim17ROCPRIM_400000_NS6detail17trampoline_kernelINS0_14default_configENS1_27scan_by_key_config_selectorIxxEEZZNS1_16scan_by_key_implILNS1_25lookback_scan_determinismE0ELb0ES3_N6thrust23THRUST_200600_302600_NS6detail15normal_iteratorINS9_10device_ptrIxEEEESE_SE_xNS9_4plusIvEENS9_8equal_toIxEExEE10hipError_tPvRmT2_T3_T4_T5_mT6_T7_P12ihipStream_tbENKUlT_T0_E_clISt17integral_constantIbLb0EESY_IbLb1EEEEDaSU_SV_EUlSU_E_NS1_11comp_targetILNS1_3genE2ELNS1_11target_archE906ELNS1_3gpuE6ELNS1_3repE0EEENS1_30default_config_static_selectorELNS0_4arch9wavefront6targetE0EEEvT1_.num_agpr, 0
	.set _ZN7rocprim17ROCPRIM_400000_NS6detail17trampoline_kernelINS0_14default_configENS1_27scan_by_key_config_selectorIxxEEZZNS1_16scan_by_key_implILNS1_25lookback_scan_determinismE0ELb0ES3_N6thrust23THRUST_200600_302600_NS6detail15normal_iteratorINS9_10device_ptrIxEEEESE_SE_xNS9_4plusIvEENS9_8equal_toIxEExEE10hipError_tPvRmT2_T3_T4_T5_mT6_T7_P12ihipStream_tbENKUlT_T0_E_clISt17integral_constantIbLb0EESY_IbLb1EEEEDaSU_SV_EUlSU_E_NS1_11comp_targetILNS1_3genE2ELNS1_11target_archE906ELNS1_3gpuE6ELNS1_3repE0EEENS1_30default_config_static_selectorELNS0_4arch9wavefront6targetE0EEEvT1_.numbered_sgpr, 0
	.set _ZN7rocprim17ROCPRIM_400000_NS6detail17trampoline_kernelINS0_14default_configENS1_27scan_by_key_config_selectorIxxEEZZNS1_16scan_by_key_implILNS1_25lookback_scan_determinismE0ELb0ES3_N6thrust23THRUST_200600_302600_NS6detail15normal_iteratorINS9_10device_ptrIxEEEESE_SE_xNS9_4plusIvEENS9_8equal_toIxEExEE10hipError_tPvRmT2_T3_T4_T5_mT6_T7_P12ihipStream_tbENKUlT_T0_E_clISt17integral_constantIbLb0EESY_IbLb1EEEEDaSU_SV_EUlSU_E_NS1_11comp_targetILNS1_3genE2ELNS1_11target_archE906ELNS1_3gpuE6ELNS1_3repE0EEENS1_30default_config_static_selectorELNS0_4arch9wavefront6targetE0EEEvT1_.num_named_barrier, 0
	.set _ZN7rocprim17ROCPRIM_400000_NS6detail17trampoline_kernelINS0_14default_configENS1_27scan_by_key_config_selectorIxxEEZZNS1_16scan_by_key_implILNS1_25lookback_scan_determinismE0ELb0ES3_N6thrust23THRUST_200600_302600_NS6detail15normal_iteratorINS9_10device_ptrIxEEEESE_SE_xNS9_4plusIvEENS9_8equal_toIxEExEE10hipError_tPvRmT2_T3_T4_T5_mT6_T7_P12ihipStream_tbENKUlT_T0_E_clISt17integral_constantIbLb0EESY_IbLb1EEEEDaSU_SV_EUlSU_E_NS1_11comp_targetILNS1_3genE2ELNS1_11target_archE906ELNS1_3gpuE6ELNS1_3repE0EEENS1_30default_config_static_selectorELNS0_4arch9wavefront6targetE0EEEvT1_.private_seg_size, 0
	.set _ZN7rocprim17ROCPRIM_400000_NS6detail17trampoline_kernelINS0_14default_configENS1_27scan_by_key_config_selectorIxxEEZZNS1_16scan_by_key_implILNS1_25lookback_scan_determinismE0ELb0ES3_N6thrust23THRUST_200600_302600_NS6detail15normal_iteratorINS9_10device_ptrIxEEEESE_SE_xNS9_4plusIvEENS9_8equal_toIxEExEE10hipError_tPvRmT2_T3_T4_T5_mT6_T7_P12ihipStream_tbENKUlT_T0_E_clISt17integral_constantIbLb0EESY_IbLb1EEEEDaSU_SV_EUlSU_E_NS1_11comp_targetILNS1_3genE2ELNS1_11target_archE906ELNS1_3gpuE6ELNS1_3repE0EEENS1_30default_config_static_selectorELNS0_4arch9wavefront6targetE0EEEvT1_.uses_vcc, 0
	.set _ZN7rocprim17ROCPRIM_400000_NS6detail17trampoline_kernelINS0_14default_configENS1_27scan_by_key_config_selectorIxxEEZZNS1_16scan_by_key_implILNS1_25lookback_scan_determinismE0ELb0ES3_N6thrust23THRUST_200600_302600_NS6detail15normal_iteratorINS9_10device_ptrIxEEEESE_SE_xNS9_4plusIvEENS9_8equal_toIxEExEE10hipError_tPvRmT2_T3_T4_T5_mT6_T7_P12ihipStream_tbENKUlT_T0_E_clISt17integral_constantIbLb0EESY_IbLb1EEEEDaSU_SV_EUlSU_E_NS1_11comp_targetILNS1_3genE2ELNS1_11target_archE906ELNS1_3gpuE6ELNS1_3repE0EEENS1_30default_config_static_selectorELNS0_4arch9wavefront6targetE0EEEvT1_.uses_flat_scratch, 0
	.set _ZN7rocprim17ROCPRIM_400000_NS6detail17trampoline_kernelINS0_14default_configENS1_27scan_by_key_config_selectorIxxEEZZNS1_16scan_by_key_implILNS1_25lookback_scan_determinismE0ELb0ES3_N6thrust23THRUST_200600_302600_NS6detail15normal_iteratorINS9_10device_ptrIxEEEESE_SE_xNS9_4plusIvEENS9_8equal_toIxEExEE10hipError_tPvRmT2_T3_T4_T5_mT6_T7_P12ihipStream_tbENKUlT_T0_E_clISt17integral_constantIbLb0EESY_IbLb1EEEEDaSU_SV_EUlSU_E_NS1_11comp_targetILNS1_3genE2ELNS1_11target_archE906ELNS1_3gpuE6ELNS1_3repE0EEENS1_30default_config_static_selectorELNS0_4arch9wavefront6targetE0EEEvT1_.has_dyn_sized_stack, 0
	.set _ZN7rocprim17ROCPRIM_400000_NS6detail17trampoline_kernelINS0_14default_configENS1_27scan_by_key_config_selectorIxxEEZZNS1_16scan_by_key_implILNS1_25lookback_scan_determinismE0ELb0ES3_N6thrust23THRUST_200600_302600_NS6detail15normal_iteratorINS9_10device_ptrIxEEEESE_SE_xNS9_4plusIvEENS9_8equal_toIxEExEE10hipError_tPvRmT2_T3_T4_T5_mT6_T7_P12ihipStream_tbENKUlT_T0_E_clISt17integral_constantIbLb0EESY_IbLb1EEEEDaSU_SV_EUlSU_E_NS1_11comp_targetILNS1_3genE2ELNS1_11target_archE906ELNS1_3gpuE6ELNS1_3repE0EEENS1_30default_config_static_selectorELNS0_4arch9wavefront6targetE0EEEvT1_.has_recursion, 0
	.set _ZN7rocprim17ROCPRIM_400000_NS6detail17trampoline_kernelINS0_14default_configENS1_27scan_by_key_config_selectorIxxEEZZNS1_16scan_by_key_implILNS1_25lookback_scan_determinismE0ELb0ES3_N6thrust23THRUST_200600_302600_NS6detail15normal_iteratorINS9_10device_ptrIxEEEESE_SE_xNS9_4plusIvEENS9_8equal_toIxEExEE10hipError_tPvRmT2_T3_T4_T5_mT6_T7_P12ihipStream_tbENKUlT_T0_E_clISt17integral_constantIbLb0EESY_IbLb1EEEEDaSU_SV_EUlSU_E_NS1_11comp_targetILNS1_3genE2ELNS1_11target_archE906ELNS1_3gpuE6ELNS1_3repE0EEENS1_30default_config_static_selectorELNS0_4arch9wavefront6targetE0EEEvT1_.has_indirect_call, 0
	.section	.AMDGPU.csdata,"",@progbits
; Kernel info:
; codeLenInByte = 0
; TotalNumSgprs: 0
; NumVgprs: 0
; ScratchSize: 0
; MemoryBound: 0
; FloatMode: 240
; IeeeMode: 1
; LDSByteSize: 0 bytes/workgroup (compile time only)
; SGPRBlocks: 0
; VGPRBlocks: 0
; NumSGPRsForWavesPerEU: 1
; NumVGPRsForWavesPerEU: 1
; NamedBarCnt: 0
; Occupancy: 16
; WaveLimiterHint : 0
; COMPUTE_PGM_RSRC2:SCRATCH_EN: 0
; COMPUTE_PGM_RSRC2:USER_SGPR: 2
; COMPUTE_PGM_RSRC2:TRAP_HANDLER: 0
; COMPUTE_PGM_RSRC2:TGID_X_EN: 1
; COMPUTE_PGM_RSRC2:TGID_Y_EN: 0
; COMPUTE_PGM_RSRC2:TGID_Z_EN: 0
; COMPUTE_PGM_RSRC2:TIDIG_COMP_CNT: 0
	.section	.text._ZN7rocprim17ROCPRIM_400000_NS6detail17trampoline_kernelINS0_14default_configENS1_27scan_by_key_config_selectorIxxEEZZNS1_16scan_by_key_implILNS1_25lookback_scan_determinismE0ELb0ES3_N6thrust23THRUST_200600_302600_NS6detail15normal_iteratorINS9_10device_ptrIxEEEESE_SE_xNS9_4plusIvEENS9_8equal_toIxEExEE10hipError_tPvRmT2_T3_T4_T5_mT6_T7_P12ihipStream_tbENKUlT_T0_E_clISt17integral_constantIbLb0EESY_IbLb1EEEEDaSU_SV_EUlSU_E_NS1_11comp_targetILNS1_3genE10ELNS1_11target_archE1200ELNS1_3gpuE4ELNS1_3repE0EEENS1_30default_config_static_selectorELNS0_4arch9wavefront6targetE0EEEvT1_,"axG",@progbits,_ZN7rocprim17ROCPRIM_400000_NS6detail17trampoline_kernelINS0_14default_configENS1_27scan_by_key_config_selectorIxxEEZZNS1_16scan_by_key_implILNS1_25lookback_scan_determinismE0ELb0ES3_N6thrust23THRUST_200600_302600_NS6detail15normal_iteratorINS9_10device_ptrIxEEEESE_SE_xNS9_4plusIvEENS9_8equal_toIxEExEE10hipError_tPvRmT2_T3_T4_T5_mT6_T7_P12ihipStream_tbENKUlT_T0_E_clISt17integral_constantIbLb0EESY_IbLb1EEEEDaSU_SV_EUlSU_E_NS1_11comp_targetILNS1_3genE10ELNS1_11target_archE1200ELNS1_3gpuE4ELNS1_3repE0EEENS1_30default_config_static_selectorELNS0_4arch9wavefront6targetE0EEEvT1_,comdat
	.protected	_ZN7rocprim17ROCPRIM_400000_NS6detail17trampoline_kernelINS0_14default_configENS1_27scan_by_key_config_selectorIxxEEZZNS1_16scan_by_key_implILNS1_25lookback_scan_determinismE0ELb0ES3_N6thrust23THRUST_200600_302600_NS6detail15normal_iteratorINS9_10device_ptrIxEEEESE_SE_xNS9_4plusIvEENS9_8equal_toIxEExEE10hipError_tPvRmT2_T3_T4_T5_mT6_T7_P12ihipStream_tbENKUlT_T0_E_clISt17integral_constantIbLb0EESY_IbLb1EEEEDaSU_SV_EUlSU_E_NS1_11comp_targetILNS1_3genE10ELNS1_11target_archE1200ELNS1_3gpuE4ELNS1_3repE0EEENS1_30default_config_static_selectorELNS0_4arch9wavefront6targetE0EEEvT1_ ; -- Begin function _ZN7rocprim17ROCPRIM_400000_NS6detail17trampoline_kernelINS0_14default_configENS1_27scan_by_key_config_selectorIxxEEZZNS1_16scan_by_key_implILNS1_25lookback_scan_determinismE0ELb0ES3_N6thrust23THRUST_200600_302600_NS6detail15normal_iteratorINS9_10device_ptrIxEEEESE_SE_xNS9_4plusIvEENS9_8equal_toIxEExEE10hipError_tPvRmT2_T3_T4_T5_mT6_T7_P12ihipStream_tbENKUlT_T0_E_clISt17integral_constantIbLb0EESY_IbLb1EEEEDaSU_SV_EUlSU_E_NS1_11comp_targetILNS1_3genE10ELNS1_11target_archE1200ELNS1_3gpuE4ELNS1_3repE0EEENS1_30default_config_static_selectorELNS0_4arch9wavefront6targetE0EEEvT1_
	.globl	_ZN7rocprim17ROCPRIM_400000_NS6detail17trampoline_kernelINS0_14default_configENS1_27scan_by_key_config_selectorIxxEEZZNS1_16scan_by_key_implILNS1_25lookback_scan_determinismE0ELb0ES3_N6thrust23THRUST_200600_302600_NS6detail15normal_iteratorINS9_10device_ptrIxEEEESE_SE_xNS9_4plusIvEENS9_8equal_toIxEExEE10hipError_tPvRmT2_T3_T4_T5_mT6_T7_P12ihipStream_tbENKUlT_T0_E_clISt17integral_constantIbLb0EESY_IbLb1EEEEDaSU_SV_EUlSU_E_NS1_11comp_targetILNS1_3genE10ELNS1_11target_archE1200ELNS1_3gpuE4ELNS1_3repE0EEENS1_30default_config_static_selectorELNS0_4arch9wavefront6targetE0EEEvT1_
	.p2align	8
	.type	_ZN7rocprim17ROCPRIM_400000_NS6detail17trampoline_kernelINS0_14default_configENS1_27scan_by_key_config_selectorIxxEEZZNS1_16scan_by_key_implILNS1_25lookback_scan_determinismE0ELb0ES3_N6thrust23THRUST_200600_302600_NS6detail15normal_iteratorINS9_10device_ptrIxEEEESE_SE_xNS9_4plusIvEENS9_8equal_toIxEExEE10hipError_tPvRmT2_T3_T4_T5_mT6_T7_P12ihipStream_tbENKUlT_T0_E_clISt17integral_constantIbLb0EESY_IbLb1EEEEDaSU_SV_EUlSU_E_NS1_11comp_targetILNS1_3genE10ELNS1_11target_archE1200ELNS1_3gpuE4ELNS1_3repE0EEENS1_30default_config_static_selectorELNS0_4arch9wavefront6targetE0EEEvT1_,@function
_ZN7rocprim17ROCPRIM_400000_NS6detail17trampoline_kernelINS0_14default_configENS1_27scan_by_key_config_selectorIxxEEZZNS1_16scan_by_key_implILNS1_25lookback_scan_determinismE0ELb0ES3_N6thrust23THRUST_200600_302600_NS6detail15normal_iteratorINS9_10device_ptrIxEEEESE_SE_xNS9_4plusIvEENS9_8equal_toIxEExEE10hipError_tPvRmT2_T3_T4_T5_mT6_T7_P12ihipStream_tbENKUlT_T0_E_clISt17integral_constantIbLb0EESY_IbLb1EEEEDaSU_SV_EUlSU_E_NS1_11comp_targetILNS1_3genE10ELNS1_11target_archE1200ELNS1_3gpuE4ELNS1_3repE0EEENS1_30default_config_static_selectorELNS0_4arch9wavefront6targetE0EEEvT1_: ; @_ZN7rocprim17ROCPRIM_400000_NS6detail17trampoline_kernelINS0_14default_configENS1_27scan_by_key_config_selectorIxxEEZZNS1_16scan_by_key_implILNS1_25lookback_scan_determinismE0ELb0ES3_N6thrust23THRUST_200600_302600_NS6detail15normal_iteratorINS9_10device_ptrIxEEEESE_SE_xNS9_4plusIvEENS9_8equal_toIxEExEE10hipError_tPvRmT2_T3_T4_T5_mT6_T7_P12ihipStream_tbENKUlT_T0_E_clISt17integral_constantIbLb0EESY_IbLb1EEEEDaSU_SV_EUlSU_E_NS1_11comp_targetILNS1_3genE10ELNS1_11target_archE1200ELNS1_3gpuE4ELNS1_3repE0EEENS1_30default_config_static_selectorELNS0_4arch9wavefront6targetE0EEEvT1_
; %bb.0:
	.section	.rodata,"a",@progbits
	.p2align	6, 0x0
	.amdhsa_kernel _ZN7rocprim17ROCPRIM_400000_NS6detail17trampoline_kernelINS0_14default_configENS1_27scan_by_key_config_selectorIxxEEZZNS1_16scan_by_key_implILNS1_25lookback_scan_determinismE0ELb0ES3_N6thrust23THRUST_200600_302600_NS6detail15normal_iteratorINS9_10device_ptrIxEEEESE_SE_xNS9_4plusIvEENS9_8equal_toIxEExEE10hipError_tPvRmT2_T3_T4_T5_mT6_T7_P12ihipStream_tbENKUlT_T0_E_clISt17integral_constantIbLb0EESY_IbLb1EEEEDaSU_SV_EUlSU_E_NS1_11comp_targetILNS1_3genE10ELNS1_11target_archE1200ELNS1_3gpuE4ELNS1_3repE0EEENS1_30default_config_static_selectorELNS0_4arch9wavefront6targetE0EEEvT1_
		.amdhsa_group_segment_fixed_size 0
		.amdhsa_private_segment_fixed_size 0
		.amdhsa_kernarg_size 136
		.amdhsa_user_sgpr_count 2
		.amdhsa_user_sgpr_dispatch_ptr 0
		.amdhsa_user_sgpr_queue_ptr 0
		.amdhsa_user_sgpr_kernarg_segment_ptr 1
		.amdhsa_user_sgpr_dispatch_id 0
		.amdhsa_user_sgpr_kernarg_preload_length 0
		.amdhsa_user_sgpr_kernarg_preload_offset 0
		.amdhsa_user_sgpr_private_segment_size 0
		.amdhsa_wavefront_size32 1
		.amdhsa_uses_dynamic_stack 0
		.amdhsa_enable_private_segment 0
		.amdhsa_system_sgpr_workgroup_id_x 1
		.amdhsa_system_sgpr_workgroup_id_y 0
		.amdhsa_system_sgpr_workgroup_id_z 0
		.amdhsa_system_sgpr_workgroup_info 0
		.amdhsa_system_vgpr_workitem_id 0
		.amdhsa_next_free_vgpr 1
		.amdhsa_next_free_sgpr 1
		.amdhsa_named_barrier_count 0
		.amdhsa_reserve_vcc 0
		.amdhsa_float_round_mode_32 0
		.amdhsa_float_round_mode_16_64 0
		.amdhsa_float_denorm_mode_32 3
		.amdhsa_float_denorm_mode_16_64 3
		.amdhsa_fp16_overflow 0
		.amdhsa_memory_ordered 1
		.amdhsa_forward_progress 1
		.amdhsa_inst_pref_size 0
		.amdhsa_round_robin_scheduling 0
		.amdhsa_exception_fp_ieee_invalid_op 0
		.amdhsa_exception_fp_denorm_src 0
		.amdhsa_exception_fp_ieee_div_zero 0
		.amdhsa_exception_fp_ieee_overflow 0
		.amdhsa_exception_fp_ieee_underflow 0
		.amdhsa_exception_fp_ieee_inexact 0
		.amdhsa_exception_int_div_zero 0
	.end_amdhsa_kernel
	.section	.text._ZN7rocprim17ROCPRIM_400000_NS6detail17trampoline_kernelINS0_14default_configENS1_27scan_by_key_config_selectorIxxEEZZNS1_16scan_by_key_implILNS1_25lookback_scan_determinismE0ELb0ES3_N6thrust23THRUST_200600_302600_NS6detail15normal_iteratorINS9_10device_ptrIxEEEESE_SE_xNS9_4plusIvEENS9_8equal_toIxEExEE10hipError_tPvRmT2_T3_T4_T5_mT6_T7_P12ihipStream_tbENKUlT_T0_E_clISt17integral_constantIbLb0EESY_IbLb1EEEEDaSU_SV_EUlSU_E_NS1_11comp_targetILNS1_3genE10ELNS1_11target_archE1200ELNS1_3gpuE4ELNS1_3repE0EEENS1_30default_config_static_selectorELNS0_4arch9wavefront6targetE0EEEvT1_,"axG",@progbits,_ZN7rocprim17ROCPRIM_400000_NS6detail17trampoline_kernelINS0_14default_configENS1_27scan_by_key_config_selectorIxxEEZZNS1_16scan_by_key_implILNS1_25lookback_scan_determinismE0ELb0ES3_N6thrust23THRUST_200600_302600_NS6detail15normal_iteratorINS9_10device_ptrIxEEEESE_SE_xNS9_4plusIvEENS9_8equal_toIxEExEE10hipError_tPvRmT2_T3_T4_T5_mT6_T7_P12ihipStream_tbENKUlT_T0_E_clISt17integral_constantIbLb0EESY_IbLb1EEEEDaSU_SV_EUlSU_E_NS1_11comp_targetILNS1_3genE10ELNS1_11target_archE1200ELNS1_3gpuE4ELNS1_3repE0EEENS1_30default_config_static_selectorELNS0_4arch9wavefront6targetE0EEEvT1_,comdat
.Lfunc_end116:
	.size	_ZN7rocprim17ROCPRIM_400000_NS6detail17trampoline_kernelINS0_14default_configENS1_27scan_by_key_config_selectorIxxEEZZNS1_16scan_by_key_implILNS1_25lookback_scan_determinismE0ELb0ES3_N6thrust23THRUST_200600_302600_NS6detail15normal_iteratorINS9_10device_ptrIxEEEESE_SE_xNS9_4plusIvEENS9_8equal_toIxEExEE10hipError_tPvRmT2_T3_T4_T5_mT6_T7_P12ihipStream_tbENKUlT_T0_E_clISt17integral_constantIbLb0EESY_IbLb1EEEEDaSU_SV_EUlSU_E_NS1_11comp_targetILNS1_3genE10ELNS1_11target_archE1200ELNS1_3gpuE4ELNS1_3repE0EEENS1_30default_config_static_selectorELNS0_4arch9wavefront6targetE0EEEvT1_, .Lfunc_end116-_ZN7rocprim17ROCPRIM_400000_NS6detail17trampoline_kernelINS0_14default_configENS1_27scan_by_key_config_selectorIxxEEZZNS1_16scan_by_key_implILNS1_25lookback_scan_determinismE0ELb0ES3_N6thrust23THRUST_200600_302600_NS6detail15normal_iteratorINS9_10device_ptrIxEEEESE_SE_xNS9_4plusIvEENS9_8equal_toIxEExEE10hipError_tPvRmT2_T3_T4_T5_mT6_T7_P12ihipStream_tbENKUlT_T0_E_clISt17integral_constantIbLb0EESY_IbLb1EEEEDaSU_SV_EUlSU_E_NS1_11comp_targetILNS1_3genE10ELNS1_11target_archE1200ELNS1_3gpuE4ELNS1_3repE0EEENS1_30default_config_static_selectorELNS0_4arch9wavefront6targetE0EEEvT1_
                                        ; -- End function
	.set _ZN7rocprim17ROCPRIM_400000_NS6detail17trampoline_kernelINS0_14default_configENS1_27scan_by_key_config_selectorIxxEEZZNS1_16scan_by_key_implILNS1_25lookback_scan_determinismE0ELb0ES3_N6thrust23THRUST_200600_302600_NS6detail15normal_iteratorINS9_10device_ptrIxEEEESE_SE_xNS9_4plusIvEENS9_8equal_toIxEExEE10hipError_tPvRmT2_T3_T4_T5_mT6_T7_P12ihipStream_tbENKUlT_T0_E_clISt17integral_constantIbLb0EESY_IbLb1EEEEDaSU_SV_EUlSU_E_NS1_11comp_targetILNS1_3genE10ELNS1_11target_archE1200ELNS1_3gpuE4ELNS1_3repE0EEENS1_30default_config_static_selectorELNS0_4arch9wavefront6targetE0EEEvT1_.num_vgpr, 0
	.set _ZN7rocprim17ROCPRIM_400000_NS6detail17trampoline_kernelINS0_14default_configENS1_27scan_by_key_config_selectorIxxEEZZNS1_16scan_by_key_implILNS1_25lookback_scan_determinismE0ELb0ES3_N6thrust23THRUST_200600_302600_NS6detail15normal_iteratorINS9_10device_ptrIxEEEESE_SE_xNS9_4plusIvEENS9_8equal_toIxEExEE10hipError_tPvRmT2_T3_T4_T5_mT6_T7_P12ihipStream_tbENKUlT_T0_E_clISt17integral_constantIbLb0EESY_IbLb1EEEEDaSU_SV_EUlSU_E_NS1_11comp_targetILNS1_3genE10ELNS1_11target_archE1200ELNS1_3gpuE4ELNS1_3repE0EEENS1_30default_config_static_selectorELNS0_4arch9wavefront6targetE0EEEvT1_.num_agpr, 0
	.set _ZN7rocprim17ROCPRIM_400000_NS6detail17trampoline_kernelINS0_14default_configENS1_27scan_by_key_config_selectorIxxEEZZNS1_16scan_by_key_implILNS1_25lookback_scan_determinismE0ELb0ES3_N6thrust23THRUST_200600_302600_NS6detail15normal_iteratorINS9_10device_ptrIxEEEESE_SE_xNS9_4plusIvEENS9_8equal_toIxEExEE10hipError_tPvRmT2_T3_T4_T5_mT6_T7_P12ihipStream_tbENKUlT_T0_E_clISt17integral_constantIbLb0EESY_IbLb1EEEEDaSU_SV_EUlSU_E_NS1_11comp_targetILNS1_3genE10ELNS1_11target_archE1200ELNS1_3gpuE4ELNS1_3repE0EEENS1_30default_config_static_selectorELNS0_4arch9wavefront6targetE0EEEvT1_.numbered_sgpr, 0
	.set _ZN7rocprim17ROCPRIM_400000_NS6detail17trampoline_kernelINS0_14default_configENS1_27scan_by_key_config_selectorIxxEEZZNS1_16scan_by_key_implILNS1_25lookback_scan_determinismE0ELb0ES3_N6thrust23THRUST_200600_302600_NS6detail15normal_iteratorINS9_10device_ptrIxEEEESE_SE_xNS9_4plusIvEENS9_8equal_toIxEExEE10hipError_tPvRmT2_T3_T4_T5_mT6_T7_P12ihipStream_tbENKUlT_T0_E_clISt17integral_constantIbLb0EESY_IbLb1EEEEDaSU_SV_EUlSU_E_NS1_11comp_targetILNS1_3genE10ELNS1_11target_archE1200ELNS1_3gpuE4ELNS1_3repE0EEENS1_30default_config_static_selectorELNS0_4arch9wavefront6targetE0EEEvT1_.num_named_barrier, 0
	.set _ZN7rocprim17ROCPRIM_400000_NS6detail17trampoline_kernelINS0_14default_configENS1_27scan_by_key_config_selectorIxxEEZZNS1_16scan_by_key_implILNS1_25lookback_scan_determinismE0ELb0ES3_N6thrust23THRUST_200600_302600_NS6detail15normal_iteratorINS9_10device_ptrIxEEEESE_SE_xNS9_4plusIvEENS9_8equal_toIxEExEE10hipError_tPvRmT2_T3_T4_T5_mT6_T7_P12ihipStream_tbENKUlT_T0_E_clISt17integral_constantIbLb0EESY_IbLb1EEEEDaSU_SV_EUlSU_E_NS1_11comp_targetILNS1_3genE10ELNS1_11target_archE1200ELNS1_3gpuE4ELNS1_3repE0EEENS1_30default_config_static_selectorELNS0_4arch9wavefront6targetE0EEEvT1_.private_seg_size, 0
	.set _ZN7rocprim17ROCPRIM_400000_NS6detail17trampoline_kernelINS0_14default_configENS1_27scan_by_key_config_selectorIxxEEZZNS1_16scan_by_key_implILNS1_25lookback_scan_determinismE0ELb0ES3_N6thrust23THRUST_200600_302600_NS6detail15normal_iteratorINS9_10device_ptrIxEEEESE_SE_xNS9_4plusIvEENS9_8equal_toIxEExEE10hipError_tPvRmT2_T3_T4_T5_mT6_T7_P12ihipStream_tbENKUlT_T0_E_clISt17integral_constantIbLb0EESY_IbLb1EEEEDaSU_SV_EUlSU_E_NS1_11comp_targetILNS1_3genE10ELNS1_11target_archE1200ELNS1_3gpuE4ELNS1_3repE0EEENS1_30default_config_static_selectorELNS0_4arch9wavefront6targetE0EEEvT1_.uses_vcc, 0
	.set _ZN7rocprim17ROCPRIM_400000_NS6detail17trampoline_kernelINS0_14default_configENS1_27scan_by_key_config_selectorIxxEEZZNS1_16scan_by_key_implILNS1_25lookback_scan_determinismE0ELb0ES3_N6thrust23THRUST_200600_302600_NS6detail15normal_iteratorINS9_10device_ptrIxEEEESE_SE_xNS9_4plusIvEENS9_8equal_toIxEExEE10hipError_tPvRmT2_T3_T4_T5_mT6_T7_P12ihipStream_tbENKUlT_T0_E_clISt17integral_constantIbLb0EESY_IbLb1EEEEDaSU_SV_EUlSU_E_NS1_11comp_targetILNS1_3genE10ELNS1_11target_archE1200ELNS1_3gpuE4ELNS1_3repE0EEENS1_30default_config_static_selectorELNS0_4arch9wavefront6targetE0EEEvT1_.uses_flat_scratch, 0
	.set _ZN7rocprim17ROCPRIM_400000_NS6detail17trampoline_kernelINS0_14default_configENS1_27scan_by_key_config_selectorIxxEEZZNS1_16scan_by_key_implILNS1_25lookback_scan_determinismE0ELb0ES3_N6thrust23THRUST_200600_302600_NS6detail15normal_iteratorINS9_10device_ptrIxEEEESE_SE_xNS9_4plusIvEENS9_8equal_toIxEExEE10hipError_tPvRmT2_T3_T4_T5_mT6_T7_P12ihipStream_tbENKUlT_T0_E_clISt17integral_constantIbLb0EESY_IbLb1EEEEDaSU_SV_EUlSU_E_NS1_11comp_targetILNS1_3genE10ELNS1_11target_archE1200ELNS1_3gpuE4ELNS1_3repE0EEENS1_30default_config_static_selectorELNS0_4arch9wavefront6targetE0EEEvT1_.has_dyn_sized_stack, 0
	.set _ZN7rocprim17ROCPRIM_400000_NS6detail17trampoline_kernelINS0_14default_configENS1_27scan_by_key_config_selectorIxxEEZZNS1_16scan_by_key_implILNS1_25lookback_scan_determinismE0ELb0ES3_N6thrust23THRUST_200600_302600_NS6detail15normal_iteratorINS9_10device_ptrIxEEEESE_SE_xNS9_4plusIvEENS9_8equal_toIxEExEE10hipError_tPvRmT2_T3_T4_T5_mT6_T7_P12ihipStream_tbENKUlT_T0_E_clISt17integral_constantIbLb0EESY_IbLb1EEEEDaSU_SV_EUlSU_E_NS1_11comp_targetILNS1_3genE10ELNS1_11target_archE1200ELNS1_3gpuE4ELNS1_3repE0EEENS1_30default_config_static_selectorELNS0_4arch9wavefront6targetE0EEEvT1_.has_recursion, 0
	.set _ZN7rocprim17ROCPRIM_400000_NS6detail17trampoline_kernelINS0_14default_configENS1_27scan_by_key_config_selectorIxxEEZZNS1_16scan_by_key_implILNS1_25lookback_scan_determinismE0ELb0ES3_N6thrust23THRUST_200600_302600_NS6detail15normal_iteratorINS9_10device_ptrIxEEEESE_SE_xNS9_4plusIvEENS9_8equal_toIxEExEE10hipError_tPvRmT2_T3_T4_T5_mT6_T7_P12ihipStream_tbENKUlT_T0_E_clISt17integral_constantIbLb0EESY_IbLb1EEEEDaSU_SV_EUlSU_E_NS1_11comp_targetILNS1_3genE10ELNS1_11target_archE1200ELNS1_3gpuE4ELNS1_3repE0EEENS1_30default_config_static_selectorELNS0_4arch9wavefront6targetE0EEEvT1_.has_indirect_call, 0
	.section	.AMDGPU.csdata,"",@progbits
; Kernel info:
; codeLenInByte = 0
; TotalNumSgprs: 0
; NumVgprs: 0
; ScratchSize: 0
; MemoryBound: 0
; FloatMode: 240
; IeeeMode: 1
; LDSByteSize: 0 bytes/workgroup (compile time only)
; SGPRBlocks: 0
; VGPRBlocks: 0
; NumSGPRsForWavesPerEU: 1
; NumVGPRsForWavesPerEU: 1
; NamedBarCnt: 0
; Occupancy: 16
; WaveLimiterHint : 0
; COMPUTE_PGM_RSRC2:SCRATCH_EN: 0
; COMPUTE_PGM_RSRC2:USER_SGPR: 2
; COMPUTE_PGM_RSRC2:TRAP_HANDLER: 0
; COMPUTE_PGM_RSRC2:TGID_X_EN: 1
; COMPUTE_PGM_RSRC2:TGID_Y_EN: 0
; COMPUTE_PGM_RSRC2:TGID_Z_EN: 0
; COMPUTE_PGM_RSRC2:TIDIG_COMP_CNT: 0
	.section	.text._ZN7rocprim17ROCPRIM_400000_NS6detail17trampoline_kernelINS0_14default_configENS1_27scan_by_key_config_selectorIxxEEZZNS1_16scan_by_key_implILNS1_25lookback_scan_determinismE0ELb0ES3_N6thrust23THRUST_200600_302600_NS6detail15normal_iteratorINS9_10device_ptrIxEEEESE_SE_xNS9_4plusIvEENS9_8equal_toIxEExEE10hipError_tPvRmT2_T3_T4_T5_mT6_T7_P12ihipStream_tbENKUlT_T0_E_clISt17integral_constantIbLb0EESY_IbLb1EEEEDaSU_SV_EUlSU_E_NS1_11comp_targetILNS1_3genE9ELNS1_11target_archE1100ELNS1_3gpuE3ELNS1_3repE0EEENS1_30default_config_static_selectorELNS0_4arch9wavefront6targetE0EEEvT1_,"axG",@progbits,_ZN7rocprim17ROCPRIM_400000_NS6detail17trampoline_kernelINS0_14default_configENS1_27scan_by_key_config_selectorIxxEEZZNS1_16scan_by_key_implILNS1_25lookback_scan_determinismE0ELb0ES3_N6thrust23THRUST_200600_302600_NS6detail15normal_iteratorINS9_10device_ptrIxEEEESE_SE_xNS9_4plusIvEENS9_8equal_toIxEExEE10hipError_tPvRmT2_T3_T4_T5_mT6_T7_P12ihipStream_tbENKUlT_T0_E_clISt17integral_constantIbLb0EESY_IbLb1EEEEDaSU_SV_EUlSU_E_NS1_11comp_targetILNS1_3genE9ELNS1_11target_archE1100ELNS1_3gpuE3ELNS1_3repE0EEENS1_30default_config_static_selectorELNS0_4arch9wavefront6targetE0EEEvT1_,comdat
	.protected	_ZN7rocprim17ROCPRIM_400000_NS6detail17trampoline_kernelINS0_14default_configENS1_27scan_by_key_config_selectorIxxEEZZNS1_16scan_by_key_implILNS1_25lookback_scan_determinismE0ELb0ES3_N6thrust23THRUST_200600_302600_NS6detail15normal_iteratorINS9_10device_ptrIxEEEESE_SE_xNS9_4plusIvEENS9_8equal_toIxEExEE10hipError_tPvRmT2_T3_T4_T5_mT6_T7_P12ihipStream_tbENKUlT_T0_E_clISt17integral_constantIbLb0EESY_IbLb1EEEEDaSU_SV_EUlSU_E_NS1_11comp_targetILNS1_3genE9ELNS1_11target_archE1100ELNS1_3gpuE3ELNS1_3repE0EEENS1_30default_config_static_selectorELNS0_4arch9wavefront6targetE0EEEvT1_ ; -- Begin function _ZN7rocprim17ROCPRIM_400000_NS6detail17trampoline_kernelINS0_14default_configENS1_27scan_by_key_config_selectorIxxEEZZNS1_16scan_by_key_implILNS1_25lookback_scan_determinismE0ELb0ES3_N6thrust23THRUST_200600_302600_NS6detail15normal_iteratorINS9_10device_ptrIxEEEESE_SE_xNS9_4plusIvEENS9_8equal_toIxEExEE10hipError_tPvRmT2_T3_T4_T5_mT6_T7_P12ihipStream_tbENKUlT_T0_E_clISt17integral_constantIbLb0EESY_IbLb1EEEEDaSU_SV_EUlSU_E_NS1_11comp_targetILNS1_3genE9ELNS1_11target_archE1100ELNS1_3gpuE3ELNS1_3repE0EEENS1_30default_config_static_selectorELNS0_4arch9wavefront6targetE0EEEvT1_
	.globl	_ZN7rocprim17ROCPRIM_400000_NS6detail17trampoline_kernelINS0_14default_configENS1_27scan_by_key_config_selectorIxxEEZZNS1_16scan_by_key_implILNS1_25lookback_scan_determinismE0ELb0ES3_N6thrust23THRUST_200600_302600_NS6detail15normal_iteratorINS9_10device_ptrIxEEEESE_SE_xNS9_4plusIvEENS9_8equal_toIxEExEE10hipError_tPvRmT2_T3_T4_T5_mT6_T7_P12ihipStream_tbENKUlT_T0_E_clISt17integral_constantIbLb0EESY_IbLb1EEEEDaSU_SV_EUlSU_E_NS1_11comp_targetILNS1_3genE9ELNS1_11target_archE1100ELNS1_3gpuE3ELNS1_3repE0EEENS1_30default_config_static_selectorELNS0_4arch9wavefront6targetE0EEEvT1_
	.p2align	8
	.type	_ZN7rocprim17ROCPRIM_400000_NS6detail17trampoline_kernelINS0_14default_configENS1_27scan_by_key_config_selectorIxxEEZZNS1_16scan_by_key_implILNS1_25lookback_scan_determinismE0ELb0ES3_N6thrust23THRUST_200600_302600_NS6detail15normal_iteratorINS9_10device_ptrIxEEEESE_SE_xNS9_4plusIvEENS9_8equal_toIxEExEE10hipError_tPvRmT2_T3_T4_T5_mT6_T7_P12ihipStream_tbENKUlT_T0_E_clISt17integral_constantIbLb0EESY_IbLb1EEEEDaSU_SV_EUlSU_E_NS1_11comp_targetILNS1_3genE9ELNS1_11target_archE1100ELNS1_3gpuE3ELNS1_3repE0EEENS1_30default_config_static_selectorELNS0_4arch9wavefront6targetE0EEEvT1_,@function
_ZN7rocprim17ROCPRIM_400000_NS6detail17trampoline_kernelINS0_14default_configENS1_27scan_by_key_config_selectorIxxEEZZNS1_16scan_by_key_implILNS1_25lookback_scan_determinismE0ELb0ES3_N6thrust23THRUST_200600_302600_NS6detail15normal_iteratorINS9_10device_ptrIxEEEESE_SE_xNS9_4plusIvEENS9_8equal_toIxEExEE10hipError_tPvRmT2_T3_T4_T5_mT6_T7_P12ihipStream_tbENKUlT_T0_E_clISt17integral_constantIbLb0EESY_IbLb1EEEEDaSU_SV_EUlSU_E_NS1_11comp_targetILNS1_3genE9ELNS1_11target_archE1100ELNS1_3gpuE3ELNS1_3repE0EEENS1_30default_config_static_selectorELNS0_4arch9wavefront6targetE0EEEvT1_: ; @_ZN7rocprim17ROCPRIM_400000_NS6detail17trampoline_kernelINS0_14default_configENS1_27scan_by_key_config_selectorIxxEEZZNS1_16scan_by_key_implILNS1_25lookback_scan_determinismE0ELb0ES3_N6thrust23THRUST_200600_302600_NS6detail15normal_iteratorINS9_10device_ptrIxEEEESE_SE_xNS9_4plusIvEENS9_8equal_toIxEExEE10hipError_tPvRmT2_T3_T4_T5_mT6_T7_P12ihipStream_tbENKUlT_T0_E_clISt17integral_constantIbLb0EESY_IbLb1EEEEDaSU_SV_EUlSU_E_NS1_11comp_targetILNS1_3genE9ELNS1_11target_archE1100ELNS1_3gpuE3ELNS1_3repE0EEENS1_30default_config_static_selectorELNS0_4arch9wavefront6targetE0EEEvT1_
; %bb.0:
	.section	.rodata,"a",@progbits
	.p2align	6, 0x0
	.amdhsa_kernel _ZN7rocprim17ROCPRIM_400000_NS6detail17trampoline_kernelINS0_14default_configENS1_27scan_by_key_config_selectorIxxEEZZNS1_16scan_by_key_implILNS1_25lookback_scan_determinismE0ELb0ES3_N6thrust23THRUST_200600_302600_NS6detail15normal_iteratorINS9_10device_ptrIxEEEESE_SE_xNS9_4plusIvEENS9_8equal_toIxEExEE10hipError_tPvRmT2_T3_T4_T5_mT6_T7_P12ihipStream_tbENKUlT_T0_E_clISt17integral_constantIbLb0EESY_IbLb1EEEEDaSU_SV_EUlSU_E_NS1_11comp_targetILNS1_3genE9ELNS1_11target_archE1100ELNS1_3gpuE3ELNS1_3repE0EEENS1_30default_config_static_selectorELNS0_4arch9wavefront6targetE0EEEvT1_
		.amdhsa_group_segment_fixed_size 0
		.amdhsa_private_segment_fixed_size 0
		.amdhsa_kernarg_size 136
		.amdhsa_user_sgpr_count 2
		.amdhsa_user_sgpr_dispatch_ptr 0
		.amdhsa_user_sgpr_queue_ptr 0
		.amdhsa_user_sgpr_kernarg_segment_ptr 1
		.amdhsa_user_sgpr_dispatch_id 0
		.amdhsa_user_sgpr_kernarg_preload_length 0
		.amdhsa_user_sgpr_kernarg_preload_offset 0
		.amdhsa_user_sgpr_private_segment_size 0
		.amdhsa_wavefront_size32 1
		.amdhsa_uses_dynamic_stack 0
		.amdhsa_enable_private_segment 0
		.amdhsa_system_sgpr_workgroup_id_x 1
		.amdhsa_system_sgpr_workgroup_id_y 0
		.amdhsa_system_sgpr_workgroup_id_z 0
		.amdhsa_system_sgpr_workgroup_info 0
		.amdhsa_system_vgpr_workitem_id 0
		.amdhsa_next_free_vgpr 1
		.amdhsa_next_free_sgpr 1
		.amdhsa_named_barrier_count 0
		.amdhsa_reserve_vcc 0
		.amdhsa_float_round_mode_32 0
		.amdhsa_float_round_mode_16_64 0
		.amdhsa_float_denorm_mode_32 3
		.amdhsa_float_denorm_mode_16_64 3
		.amdhsa_fp16_overflow 0
		.amdhsa_memory_ordered 1
		.amdhsa_forward_progress 1
		.amdhsa_inst_pref_size 0
		.amdhsa_round_robin_scheduling 0
		.amdhsa_exception_fp_ieee_invalid_op 0
		.amdhsa_exception_fp_denorm_src 0
		.amdhsa_exception_fp_ieee_div_zero 0
		.amdhsa_exception_fp_ieee_overflow 0
		.amdhsa_exception_fp_ieee_underflow 0
		.amdhsa_exception_fp_ieee_inexact 0
		.amdhsa_exception_int_div_zero 0
	.end_amdhsa_kernel
	.section	.text._ZN7rocprim17ROCPRIM_400000_NS6detail17trampoline_kernelINS0_14default_configENS1_27scan_by_key_config_selectorIxxEEZZNS1_16scan_by_key_implILNS1_25lookback_scan_determinismE0ELb0ES3_N6thrust23THRUST_200600_302600_NS6detail15normal_iteratorINS9_10device_ptrIxEEEESE_SE_xNS9_4plusIvEENS9_8equal_toIxEExEE10hipError_tPvRmT2_T3_T4_T5_mT6_T7_P12ihipStream_tbENKUlT_T0_E_clISt17integral_constantIbLb0EESY_IbLb1EEEEDaSU_SV_EUlSU_E_NS1_11comp_targetILNS1_3genE9ELNS1_11target_archE1100ELNS1_3gpuE3ELNS1_3repE0EEENS1_30default_config_static_selectorELNS0_4arch9wavefront6targetE0EEEvT1_,"axG",@progbits,_ZN7rocprim17ROCPRIM_400000_NS6detail17trampoline_kernelINS0_14default_configENS1_27scan_by_key_config_selectorIxxEEZZNS1_16scan_by_key_implILNS1_25lookback_scan_determinismE0ELb0ES3_N6thrust23THRUST_200600_302600_NS6detail15normal_iteratorINS9_10device_ptrIxEEEESE_SE_xNS9_4plusIvEENS9_8equal_toIxEExEE10hipError_tPvRmT2_T3_T4_T5_mT6_T7_P12ihipStream_tbENKUlT_T0_E_clISt17integral_constantIbLb0EESY_IbLb1EEEEDaSU_SV_EUlSU_E_NS1_11comp_targetILNS1_3genE9ELNS1_11target_archE1100ELNS1_3gpuE3ELNS1_3repE0EEENS1_30default_config_static_selectorELNS0_4arch9wavefront6targetE0EEEvT1_,comdat
.Lfunc_end117:
	.size	_ZN7rocprim17ROCPRIM_400000_NS6detail17trampoline_kernelINS0_14default_configENS1_27scan_by_key_config_selectorIxxEEZZNS1_16scan_by_key_implILNS1_25lookback_scan_determinismE0ELb0ES3_N6thrust23THRUST_200600_302600_NS6detail15normal_iteratorINS9_10device_ptrIxEEEESE_SE_xNS9_4plusIvEENS9_8equal_toIxEExEE10hipError_tPvRmT2_T3_T4_T5_mT6_T7_P12ihipStream_tbENKUlT_T0_E_clISt17integral_constantIbLb0EESY_IbLb1EEEEDaSU_SV_EUlSU_E_NS1_11comp_targetILNS1_3genE9ELNS1_11target_archE1100ELNS1_3gpuE3ELNS1_3repE0EEENS1_30default_config_static_selectorELNS0_4arch9wavefront6targetE0EEEvT1_, .Lfunc_end117-_ZN7rocprim17ROCPRIM_400000_NS6detail17trampoline_kernelINS0_14default_configENS1_27scan_by_key_config_selectorIxxEEZZNS1_16scan_by_key_implILNS1_25lookback_scan_determinismE0ELb0ES3_N6thrust23THRUST_200600_302600_NS6detail15normal_iteratorINS9_10device_ptrIxEEEESE_SE_xNS9_4plusIvEENS9_8equal_toIxEExEE10hipError_tPvRmT2_T3_T4_T5_mT6_T7_P12ihipStream_tbENKUlT_T0_E_clISt17integral_constantIbLb0EESY_IbLb1EEEEDaSU_SV_EUlSU_E_NS1_11comp_targetILNS1_3genE9ELNS1_11target_archE1100ELNS1_3gpuE3ELNS1_3repE0EEENS1_30default_config_static_selectorELNS0_4arch9wavefront6targetE0EEEvT1_
                                        ; -- End function
	.set _ZN7rocprim17ROCPRIM_400000_NS6detail17trampoline_kernelINS0_14default_configENS1_27scan_by_key_config_selectorIxxEEZZNS1_16scan_by_key_implILNS1_25lookback_scan_determinismE0ELb0ES3_N6thrust23THRUST_200600_302600_NS6detail15normal_iteratorINS9_10device_ptrIxEEEESE_SE_xNS9_4plusIvEENS9_8equal_toIxEExEE10hipError_tPvRmT2_T3_T4_T5_mT6_T7_P12ihipStream_tbENKUlT_T0_E_clISt17integral_constantIbLb0EESY_IbLb1EEEEDaSU_SV_EUlSU_E_NS1_11comp_targetILNS1_3genE9ELNS1_11target_archE1100ELNS1_3gpuE3ELNS1_3repE0EEENS1_30default_config_static_selectorELNS0_4arch9wavefront6targetE0EEEvT1_.num_vgpr, 0
	.set _ZN7rocprim17ROCPRIM_400000_NS6detail17trampoline_kernelINS0_14default_configENS1_27scan_by_key_config_selectorIxxEEZZNS1_16scan_by_key_implILNS1_25lookback_scan_determinismE0ELb0ES3_N6thrust23THRUST_200600_302600_NS6detail15normal_iteratorINS9_10device_ptrIxEEEESE_SE_xNS9_4plusIvEENS9_8equal_toIxEExEE10hipError_tPvRmT2_T3_T4_T5_mT6_T7_P12ihipStream_tbENKUlT_T0_E_clISt17integral_constantIbLb0EESY_IbLb1EEEEDaSU_SV_EUlSU_E_NS1_11comp_targetILNS1_3genE9ELNS1_11target_archE1100ELNS1_3gpuE3ELNS1_3repE0EEENS1_30default_config_static_selectorELNS0_4arch9wavefront6targetE0EEEvT1_.num_agpr, 0
	.set _ZN7rocprim17ROCPRIM_400000_NS6detail17trampoline_kernelINS0_14default_configENS1_27scan_by_key_config_selectorIxxEEZZNS1_16scan_by_key_implILNS1_25lookback_scan_determinismE0ELb0ES3_N6thrust23THRUST_200600_302600_NS6detail15normal_iteratorINS9_10device_ptrIxEEEESE_SE_xNS9_4plusIvEENS9_8equal_toIxEExEE10hipError_tPvRmT2_T3_T4_T5_mT6_T7_P12ihipStream_tbENKUlT_T0_E_clISt17integral_constantIbLb0EESY_IbLb1EEEEDaSU_SV_EUlSU_E_NS1_11comp_targetILNS1_3genE9ELNS1_11target_archE1100ELNS1_3gpuE3ELNS1_3repE0EEENS1_30default_config_static_selectorELNS0_4arch9wavefront6targetE0EEEvT1_.numbered_sgpr, 0
	.set _ZN7rocprim17ROCPRIM_400000_NS6detail17trampoline_kernelINS0_14default_configENS1_27scan_by_key_config_selectorIxxEEZZNS1_16scan_by_key_implILNS1_25lookback_scan_determinismE0ELb0ES3_N6thrust23THRUST_200600_302600_NS6detail15normal_iteratorINS9_10device_ptrIxEEEESE_SE_xNS9_4plusIvEENS9_8equal_toIxEExEE10hipError_tPvRmT2_T3_T4_T5_mT6_T7_P12ihipStream_tbENKUlT_T0_E_clISt17integral_constantIbLb0EESY_IbLb1EEEEDaSU_SV_EUlSU_E_NS1_11comp_targetILNS1_3genE9ELNS1_11target_archE1100ELNS1_3gpuE3ELNS1_3repE0EEENS1_30default_config_static_selectorELNS0_4arch9wavefront6targetE0EEEvT1_.num_named_barrier, 0
	.set _ZN7rocprim17ROCPRIM_400000_NS6detail17trampoline_kernelINS0_14default_configENS1_27scan_by_key_config_selectorIxxEEZZNS1_16scan_by_key_implILNS1_25lookback_scan_determinismE0ELb0ES3_N6thrust23THRUST_200600_302600_NS6detail15normal_iteratorINS9_10device_ptrIxEEEESE_SE_xNS9_4plusIvEENS9_8equal_toIxEExEE10hipError_tPvRmT2_T3_T4_T5_mT6_T7_P12ihipStream_tbENKUlT_T0_E_clISt17integral_constantIbLb0EESY_IbLb1EEEEDaSU_SV_EUlSU_E_NS1_11comp_targetILNS1_3genE9ELNS1_11target_archE1100ELNS1_3gpuE3ELNS1_3repE0EEENS1_30default_config_static_selectorELNS0_4arch9wavefront6targetE0EEEvT1_.private_seg_size, 0
	.set _ZN7rocprim17ROCPRIM_400000_NS6detail17trampoline_kernelINS0_14default_configENS1_27scan_by_key_config_selectorIxxEEZZNS1_16scan_by_key_implILNS1_25lookback_scan_determinismE0ELb0ES3_N6thrust23THRUST_200600_302600_NS6detail15normal_iteratorINS9_10device_ptrIxEEEESE_SE_xNS9_4plusIvEENS9_8equal_toIxEExEE10hipError_tPvRmT2_T3_T4_T5_mT6_T7_P12ihipStream_tbENKUlT_T0_E_clISt17integral_constantIbLb0EESY_IbLb1EEEEDaSU_SV_EUlSU_E_NS1_11comp_targetILNS1_3genE9ELNS1_11target_archE1100ELNS1_3gpuE3ELNS1_3repE0EEENS1_30default_config_static_selectorELNS0_4arch9wavefront6targetE0EEEvT1_.uses_vcc, 0
	.set _ZN7rocprim17ROCPRIM_400000_NS6detail17trampoline_kernelINS0_14default_configENS1_27scan_by_key_config_selectorIxxEEZZNS1_16scan_by_key_implILNS1_25lookback_scan_determinismE0ELb0ES3_N6thrust23THRUST_200600_302600_NS6detail15normal_iteratorINS9_10device_ptrIxEEEESE_SE_xNS9_4plusIvEENS9_8equal_toIxEExEE10hipError_tPvRmT2_T3_T4_T5_mT6_T7_P12ihipStream_tbENKUlT_T0_E_clISt17integral_constantIbLb0EESY_IbLb1EEEEDaSU_SV_EUlSU_E_NS1_11comp_targetILNS1_3genE9ELNS1_11target_archE1100ELNS1_3gpuE3ELNS1_3repE0EEENS1_30default_config_static_selectorELNS0_4arch9wavefront6targetE0EEEvT1_.uses_flat_scratch, 0
	.set _ZN7rocprim17ROCPRIM_400000_NS6detail17trampoline_kernelINS0_14default_configENS1_27scan_by_key_config_selectorIxxEEZZNS1_16scan_by_key_implILNS1_25lookback_scan_determinismE0ELb0ES3_N6thrust23THRUST_200600_302600_NS6detail15normal_iteratorINS9_10device_ptrIxEEEESE_SE_xNS9_4plusIvEENS9_8equal_toIxEExEE10hipError_tPvRmT2_T3_T4_T5_mT6_T7_P12ihipStream_tbENKUlT_T0_E_clISt17integral_constantIbLb0EESY_IbLb1EEEEDaSU_SV_EUlSU_E_NS1_11comp_targetILNS1_3genE9ELNS1_11target_archE1100ELNS1_3gpuE3ELNS1_3repE0EEENS1_30default_config_static_selectorELNS0_4arch9wavefront6targetE0EEEvT1_.has_dyn_sized_stack, 0
	.set _ZN7rocprim17ROCPRIM_400000_NS6detail17trampoline_kernelINS0_14default_configENS1_27scan_by_key_config_selectorIxxEEZZNS1_16scan_by_key_implILNS1_25lookback_scan_determinismE0ELb0ES3_N6thrust23THRUST_200600_302600_NS6detail15normal_iteratorINS9_10device_ptrIxEEEESE_SE_xNS9_4plusIvEENS9_8equal_toIxEExEE10hipError_tPvRmT2_T3_T4_T5_mT6_T7_P12ihipStream_tbENKUlT_T0_E_clISt17integral_constantIbLb0EESY_IbLb1EEEEDaSU_SV_EUlSU_E_NS1_11comp_targetILNS1_3genE9ELNS1_11target_archE1100ELNS1_3gpuE3ELNS1_3repE0EEENS1_30default_config_static_selectorELNS0_4arch9wavefront6targetE0EEEvT1_.has_recursion, 0
	.set _ZN7rocprim17ROCPRIM_400000_NS6detail17trampoline_kernelINS0_14default_configENS1_27scan_by_key_config_selectorIxxEEZZNS1_16scan_by_key_implILNS1_25lookback_scan_determinismE0ELb0ES3_N6thrust23THRUST_200600_302600_NS6detail15normal_iteratorINS9_10device_ptrIxEEEESE_SE_xNS9_4plusIvEENS9_8equal_toIxEExEE10hipError_tPvRmT2_T3_T4_T5_mT6_T7_P12ihipStream_tbENKUlT_T0_E_clISt17integral_constantIbLb0EESY_IbLb1EEEEDaSU_SV_EUlSU_E_NS1_11comp_targetILNS1_3genE9ELNS1_11target_archE1100ELNS1_3gpuE3ELNS1_3repE0EEENS1_30default_config_static_selectorELNS0_4arch9wavefront6targetE0EEEvT1_.has_indirect_call, 0
	.section	.AMDGPU.csdata,"",@progbits
; Kernel info:
; codeLenInByte = 0
; TotalNumSgprs: 0
; NumVgprs: 0
; ScratchSize: 0
; MemoryBound: 0
; FloatMode: 240
; IeeeMode: 1
; LDSByteSize: 0 bytes/workgroup (compile time only)
; SGPRBlocks: 0
; VGPRBlocks: 0
; NumSGPRsForWavesPerEU: 1
; NumVGPRsForWavesPerEU: 1
; NamedBarCnt: 0
; Occupancy: 16
; WaveLimiterHint : 0
; COMPUTE_PGM_RSRC2:SCRATCH_EN: 0
; COMPUTE_PGM_RSRC2:USER_SGPR: 2
; COMPUTE_PGM_RSRC2:TRAP_HANDLER: 0
; COMPUTE_PGM_RSRC2:TGID_X_EN: 1
; COMPUTE_PGM_RSRC2:TGID_Y_EN: 0
; COMPUTE_PGM_RSRC2:TGID_Z_EN: 0
; COMPUTE_PGM_RSRC2:TIDIG_COMP_CNT: 0
	.section	.text._ZN7rocprim17ROCPRIM_400000_NS6detail17trampoline_kernelINS0_14default_configENS1_27scan_by_key_config_selectorIxxEEZZNS1_16scan_by_key_implILNS1_25lookback_scan_determinismE0ELb0ES3_N6thrust23THRUST_200600_302600_NS6detail15normal_iteratorINS9_10device_ptrIxEEEESE_SE_xNS9_4plusIvEENS9_8equal_toIxEExEE10hipError_tPvRmT2_T3_T4_T5_mT6_T7_P12ihipStream_tbENKUlT_T0_E_clISt17integral_constantIbLb0EESY_IbLb1EEEEDaSU_SV_EUlSU_E_NS1_11comp_targetILNS1_3genE8ELNS1_11target_archE1030ELNS1_3gpuE2ELNS1_3repE0EEENS1_30default_config_static_selectorELNS0_4arch9wavefront6targetE0EEEvT1_,"axG",@progbits,_ZN7rocprim17ROCPRIM_400000_NS6detail17trampoline_kernelINS0_14default_configENS1_27scan_by_key_config_selectorIxxEEZZNS1_16scan_by_key_implILNS1_25lookback_scan_determinismE0ELb0ES3_N6thrust23THRUST_200600_302600_NS6detail15normal_iteratorINS9_10device_ptrIxEEEESE_SE_xNS9_4plusIvEENS9_8equal_toIxEExEE10hipError_tPvRmT2_T3_T4_T5_mT6_T7_P12ihipStream_tbENKUlT_T0_E_clISt17integral_constantIbLb0EESY_IbLb1EEEEDaSU_SV_EUlSU_E_NS1_11comp_targetILNS1_3genE8ELNS1_11target_archE1030ELNS1_3gpuE2ELNS1_3repE0EEENS1_30default_config_static_selectorELNS0_4arch9wavefront6targetE0EEEvT1_,comdat
	.protected	_ZN7rocprim17ROCPRIM_400000_NS6detail17trampoline_kernelINS0_14default_configENS1_27scan_by_key_config_selectorIxxEEZZNS1_16scan_by_key_implILNS1_25lookback_scan_determinismE0ELb0ES3_N6thrust23THRUST_200600_302600_NS6detail15normal_iteratorINS9_10device_ptrIxEEEESE_SE_xNS9_4plusIvEENS9_8equal_toIxEExEE10hipError_tPvRmT2_T3_T4_T5_mT6_T7_P12ihipStream_tbENKUlT_T0_E_clISt17integral_constantIbLb0EESY_IbLb1EEEEDaSU_SV_EUlSU_E_NS1_11comp_targetILNS1_3genE8ELNS1_11target_archE1030ELNS1_3gpuE2ELNS1_3repE0EEENS1_30default_config_static_selectorELNS0_4arch9wavefront6targetE0EEEvT1_ ; -- Begin function _ZN7rocprim17ROCPRIM_400000_NS6detail17trampoline_kernelINS0_14default_configENS1_27scan_by_key_config_selectorIxxEEZZNS1_16scan_by_key_implILNS1_25lookback_scan_determinismE0ELb0ES3_N6thrust23THRUST_200600_302600_NS6detail15normal_iteratorINS9_10device_ptrIxEEEESE_SE_xNS9_4plusIvEENS9_8equal_toIxEExEE10hipError_tPvRmT2_T3_T4_T5_mT6_T7_P12ihipStream_tbENKUlT_T0_E_clISt17integral_constantIbLb0EESY_IbLb1EEEEDaSU_SV_EUlSU_E_NS1_11comp_targetILNS1_3genE8ELNS1_11target_archE1030ELNS1_3gpuE2ELNS1_3repE0EEENS1_30default_config_static_selectorELNS0_4arch9wavefront6targetE0EEEvT1_
	.globl	_ZN7rocprim17ROCPRIM_400000_NS6detail17trampoline_kernelINS0_14default_configENS1_27scan_by_key_config_selectorIxxEEZZNS1_16scan_by_key_implILNS1_25lookback_scan_determinismE0ELb0ES3_N6thrust23THRUST_200600_302600_NS6detail15normal_iteratorINS9_10device_ptrIxEEEESE_SE_xNS9_4plusIvEENS9_8equal_toIxEExEE10hipError_tPvRmT2_T3_T4_T5_mT6_T7_P12ihipStream_tbENKUlT_T0_E_clISt17integral_constantIbLb0EESY_IbLb1EEEEDaSU_SV_EUlSU_E_NS1_11comp_targetILNS1_3genE8ELNS1_11target_archE1030ELNS1_3gpuE2ELNS1_3repE0EEENS1_30default_config_static_selectorELNS0_4arch9wavefront6targetE0EEEvT1_
	.p2align	8
	.type	_ZN7rocprim17ROCPRIM_400000_NS6detail17trampoline_kernelINS0_14default_configENS1_27scan_by_key_config_selectorIxxEEZZNS1_16scan_by_key_implILNS1_25lookback_scan_determinismE0ELb0ES3_N6thrust23THRUST_200600_302600_NS6detail15normal_iteratorINS9_10device_ptrIxEEEESE_SE_xNS9_4plusIvEENS9_8equal_toIxEExEE10hipError_tPvRmT2_T3_T4_T5_mT6_T7_P12ihipStream_tbENKUlT_T0_E_clISt17integral_constantIbLb0EESY_IbLb1EEEEDaSU_SV_EUlSU_E_NS1_11comp_targetILNS1_3genE8ELNS1_11target_archE1030ELNS1_3gpuE2ELNS1_3repE0EEENS1_30default_config_static_selectorELNS0_4arch9wavefront6targetE0EEEvT1_,@function
_ZN7rocprim17ROCPRIM_400000_NS6detail17trampoline_kernelINS0_14default_configENS1_27scan_by_key_config_selectorIxxEEZZNS1_16scan_by_key_implILNS1_25lookback_scan_determinismE0ELb0ES3_N6thrust23THRUST_200600_302600_NS6detail15normal_iteratorINS9_10device_ptrIxEEEESE_SE_xNS9_4plusIvEENS9_8equal_toIxEExEE10hipError_tPvRmT2_T3_T4_T5_mT6_T7_P12ihipStream_tbENKUlT_T0_E_clISt17integral_constantIbLb0EESY_IbLb1EEEEDaSU_SV_EUlSU_E_NS1_11comp_targetILNS1_3genE8ELNS1_11target_archE1030ELNS1_3gpuE2ELNS1_3repE0EEENS1_30default_config_static_selectorELNS0_4arch9wavefront6targetE0EEEvT1_: ; @_ZN7rocprim17ROCPRIM_400000_NS6detail17trampoline_kernelINS0_14default_configENS1_27scan_by_key_config_selectorIxxEEZZNS1_16scan_by_key_implILNS1_25lookback_scan_determinismE0ELb0ES3_N6thrust23THRUST_200600_302600_NS6detail15normal_iteratorINS9_10device_ptrIxEEEESE_SE_xNS9_4plusIvEENS9_8equal_toIxEExEE10hipError_tPvRmT2_T3_T4_T5_mT6_T7_P12ihipStream_tbENKUlT_T0_E_clISt17integral_constantIbLb0EESY_IbLb1EEEEDaSU_SV_EUlSU_E_NS1_11comp_targetILNS1_3genE8ELNS1_11target_archE1030ELNS1_3gpuE2ELNS1_3repE0EEENS1_30default_config_static_selectorELNS0_4arch9wavefront6targetE0EEEvT1_
; %bb.0:
	.section	.rodata,"a",@progbits
	.p2align	6, 0x0
	.amdhsa_kernel _ZN7rocprim17ROCPRIM_400000_NS6detail17trampoline_kernelINS0_14default_configENS1_27scan_by_key_config_selectorIxxEEZZNS1_16scan_by_key_implILNS1_25lookback_scan_determinismE0ELb0ES3_N6thrust23THRUST_200600_302600_NS6detail15normal_iteratorINS9_10device_ptrIxEEEESE_SE_xNS9_4plusIvEENS9_8equal_toIxEExEE10hipError_tPvRmT2_T3_T4_T5_mT6_T7_P12ihipStream_tbENKUlT_T0_E_clISt17integral_constantIbLb0EESY_IbLb1EEEEDaSU_SV_EUlSU_E_NS1_11comp_targetILNS1_3genE8ELNS1_11target_archE1030ELNS1_3gpuE2ELNS1_3repE0EEENS1_30default_config_static_selectorELNS0_4arch9wavefront6targetE0EEEvT1_
		.amdhsa_group_segment_fixed_size 0
		.amdhsa_private_segment_fixed_size 0
		.amdhsa_kernarg_size 136
		.amdhsa_user_sgpr_count 2
		.amdhsa_user_sgpr_dispatch_ptr 0
		.amdhsa_user_sgpr_queue_ptr 0
		.amdhsa_user_sgpr_kernarg_segment_ptr 1
		.amdhsa_user_sgpr_dispatch_id 0
		.amdhsa_user_sgpr_kernarg_preload_length 0
		.amdhsa_user_sgpr_kernarg_preload_offset 0
		.amdhsa_user_sgpr_private_segment_size 0
		.amdhsa_wavefront_size32 1
		.amdhsa_uses_dynamic_stack 0
		.amdhsa_enable_private_segment 0
		.amdhsa_system_sgpr_workgroup_id_x 1
		.amdhsa_system_sgpr_workgroup_id_y 0
		.amdhsa_system_sgpr_workgroup_id_z 0
		.amdhsa_system_sgpr_workgroup_info 0
		.amdhsa_system_vgpr_workitem_id 0
		.amdhsa_next_free_vgpr 1
		.amdhsa_next_free_sgpr 1
		.amdhsa_named_barrier_count 0
		.amdhsa_reserve_vcc 0
		.amdhsa_float_round_mode_32 0
		.amdhsa_float_round_mode_16_64 0
		.amdhsa_float_denorm_mode_32 3
		.amdhsa_float_denorm_mode_16_64 3
		.amdhsa_fp16_overflow 0
		.amdhsa_memory_ordered 1
		.amdhsa_forward_progress 1
		.amdhsa_inst_pref_size 0
		.amdhsa_round_robin_scheduling 0
		.amdhsa_exception_fp_ieee_invalid_op 0
		.amdhsa_exception_fp_denorm_src 0
		.amdhsa_exception_fp_ieee_div_zero 0
		.amdhsa_exception_fp_ieee_overflow 0
		.amdhsa_exception_fp_ieee_underflow 0
		.amdhsa_exception_fp_ieee_inexact 0
		.amdhsa_exception_int_div_zero 0
	.end_amdhsa_kernel
	.section	.text._ZN7rocprim17ROCPRIM_400000_NS6detail17trampoline_kernelINS0_14default_configENS1_27scan_by_key_config_selectorIxxEEZZNS1_16scan_by_key_implILNS1_25lookback_scan_determinismE0ELb0ES3_N6thrust23THRUST_200600_302600_NS6detail15normal_iteratorINS9_10device_ptrIxEEEESE_SE_xNS9_4plusIvEENS9_8equal_toIxEExEE10hipError_tPvRmT2_T3_T4_T5_mT6_T7_P12ihipStream_tbENKUlT_T0_E_clISt17integral_constantIbLb0EESY_IbLb1EEEEDaSU_SV_EUlSU_E_NS1_11comp_targetILNS1_3genE8ELNS1_11target_archE1030ELNS1_3gpuE2ELNS1_3repE0EEENS1_30default_config_static_selectorELNS0_4arch9wavefront6targetE0EEEvT1_,"axG",@progbits,_ZN7rocprim17ROCPRIM_400000_NS6detail17trampoline_kernelINS0_14default_configENS1_27scan_by_key_config_selectorIxxEEZZNS1_16scan_by_key_implILNS1_25lookback_scan_determinismE0ELb0ES3_N6thrust23THRUST_200600_302600_NS6detail15normal_iteratorINS9_10device_ptrIxEEEESE_SE_xNS9_4plusIvEENS9_8equal_toIxEExEE10hipError_tPvRmT2_T3_T4_T5_mT6_T7_P12ihipStream_tbENKUlT_T0_E_clISt17integral_constantIbLb0EESY_IbLb1EEEEDaSU_SV_EUlSU_E_NS1_11comp_targetILNS1_3genE8ELNS1_11target_archE1030ELNS1_3gpuE2ELNS1_3repE0EEENS1_30default_config_static_selectorELNS0_4arch9wavefront6targetE0EEEvT1_,comdat
.Lfunc_end118:
	.size	_ZN7rocprim17ROCPRIM_400000_NS6detail17trampoline_kernelINS0_14default_configENS1_27scan_by_key_config_selectorIxxEEZZNS1_16scan_by_key_implILNS1_25lookback_scan_determinismE0ELb0ES3_N6thrust23THRUST_200600_302600_NS6detail15normal_iteratorINS9_10device_ptrIxEEEESE_SE_xNS9_4plusIvEENS9_8equal_toIxEExEE10hipError_tPvRmT2_T3_T4_T5_mT6_T7_P12ihipStream_tbENKUlT_T0_E_clISt17integral_constantIbLb0EESY_IbLb1EEEEDaSU_SV_EUlSU_E_NS1_11comp_targetILNS1_3genE8ELNS1_11target_archE1030ELNS1_3gpuE2ELNS1_3repE0EEENS1_30default_config_static_selectorELNS0_4arch9wavefront6targetE0EEEvT1_, .Lfunc_end118-_ZN7rocprim17ROCPRIM_400000_NS6detail17trampoline_kernelINS0_14default_configENS1_27scan_by_key_config_selectorIxxEEZZNS1_16scan_by_key_implILNS1_25lookback_scan_determinismE0ELb0ES3_N6thrust23THRUST_200600_302600_NS6detail15normal_iteratorINS9_10device_ptrIxEEEESE_SE_xNS9_4plusIvEENS9_8equal_toIxEExEE10hipError_tPvRmT2_T3_T4_T5_mT6_T7_P12ihipStream_tbENKUlT_T0_E_clISt17integral_constantIbLb0EESY_IbLb1EEEEDaSU_SV_EUlSU_E_NS1_11comp_targetILNS1_3genE8ELNS1_11target_archE1030ELNS1_3gpuE2ELNS1_3repE0EEENS1_30default_config_static_selectorELNS0_4arch9wavefront6targetE0EEEvT1_
                                        ; -- End function
	.set _ZN7rocprim17ROCPRIM_400000_NS6detail17trampoline_kernelINS0_14default_configENS1_27scan_by_key_config_selectorIxxEEZZNS1_16scan_by_key_implILNS1_25lookback_scan_determinismE0ELb0ES3_N6thrust23THRUST_200600_302600_NS6detail15normal_iteratorINS9_10device_ptrIxEEEESE_SE_xNS9_4plusIvEENS9_8equal_toIxEExEE10hipError_tPvRmT2_T3_T4_T5_mT6_T7_P12ihipStream_tbENKUlT_T0_E_clISt17integral_constantIbLb0EESY_IbLb1EEEEDaSU_SV_EUlSU_E_NS1_11comp_targetILNS1_3genE8ELNS1_11target_archE1030ELNS1_3gpuE2ELNS1_3repE0EEENS1_30default_config_static_selectorELNS0_4arch9wavefront6targetE0EEEvT1_.num_vgpr, 0
	.set _ZN7rocprim17ROCPRIM_400000_NS6detail17trampoline_kernelINS0_14default_configENS1_27scan_by_key_config_selectorIxxEEZZNS1_16scan_by_key_implILNS1_25lookback_scan_determinismE0ELb0ES3_N6thrust23THRUST_200600_302600_NS6detail15normal_iteratorINS9_10device_ptrIxEEEESE_SE_xNS9_4plusIvEENS9_8equal_toIxEExEE10hipError_tPvRmT2_T3_T4_T5_mT6_T7_P12ihipStream_tbENKUlT_T0_E_clISt17integral_constantIbLb0EESY_IbLb1EEEEDaSU_SV_EUlSU_E_NS1_11comp_targetILNS1_3genE8ELNS1_11target_archE1030ELNS1_3gpuE2ELNS1_3repE0EEENS1_30default_config_static_selectorELNS0_4arch9wavefront6targetE0EEEvT1_.num_agpr, 0
	.set _ZN7rocprim17ROCPRIM_400000_NS6detail17trampoline_kernelINS0_14default_configENS1_27scan_by_key_config_selectorIxxEEZZNS1_16scan_by_key_implILNS1_25lookback_scan_determinismE0ELb0ES3_N6thrust23THRUST_200600_302600_NS6detail15normal_iteratorINS9_10device_ptrIxEEEESE_SE_xNS9_4plusIvEENS9_8equal_toIxEExEE10hipError_tPvRmT2_T3_T4_T5_mT6_T7_P12ihipStream_tbENKUlT_T0_E_clISt17integral_constantIbLb0EESY_IbLb1EEEEDaSU_SV_EUlSU_E_NS1_11comp_targetILNS1_3genE8ELNS1_11target_archE1030ELNS1_3gpuE2ELNS1_3repE0EEENS1_30default_config_static_selectorELNS0_4arch9wavefront6targetE0EEEvT1_.numbered_sgpr, 0
	.set _ZN7rocprim17ROCPRIM_400000_NS6detail17trampoline_kernelINS0_14default_configENS1_27scan_by_key_config_selectorIxxEEZZNS1_16scan_by_key_implILNS1_25lookback_scan_determinismE0ELb0ES3_N6thrust23THRUST_200600_302600_NS6detail15normal_iteratorINS9_10device_ptrIxEEEESE_SE_xNS9_4plusIvEENS9_8equal_toIxEExEE10hipError_tPvRmT2_T3_T4_T5_mT6_T7_P12ihipStream_tbENKUlT_T0_E_clISt17integral_constantIbLb0EESY_IbLb1EEEEDaSU_SV_EUlSU_E_NS1_11comp_targetILNS1_3genE8ELNS1_11target_archE1030ELNS1_3gpuE2ELNS1_3repE0EEENS1_30default_config_static_selectorELNS0_4arch9wavefront6targetE0EEEvT1_.num_named_barrier, 0
	.set _ZN7rocprim17ROCPRIM_400000_NS6detail17trampoline_kernelINS0_14default_configENS1_27scan_by_key_config_selectorIxxEEZZNS1_16scan_by_key_implILNS1_25lookback_scan_determinismE0ELb0ES3_N6thrust23THRUST_200600_302600_NS6detail15normal_iteratorINS9_10device_ptrIxEEEESE_SE_xNS9_4plusIvEENS9_8equal_toIxEExEE10hipError_tPvRmT2_T3_T4_T5_mT6_T7_P12ihipStream_tbENKUlT_T0_E_clISt17integral_constantIbLb0EESY_IbLb1EEEEDaSU_SV_EUlSU_E_NS1_11comp_targetILNS1_3genE8ELNS1_11target_archE1030ELNS1_3gpuE2ELNS1_3repE0EEENS1_30default_config_static_selectorELNS0_4arch9wavefront6targetE0EEEvT1_.private_seg_size, 0
	.set _ZN7rocprim17ROCPRIM_400000_NS6detail17trampoline_kernelINS0_14default_configENS1_27scan_by_key_config_selectorIxxEEZZNS1_16scan_by_key_implILNS1_25lookback_scan_determinismE0ELb0ES3_N6thrust23THRUST_200600_302600_NS6detail15normal_iteratorINS9_10device_ptrIxEEEESE_SE_xNS9_4plusIvEENS9_8equal_toIxEExEE10hipError_tPvRmT2_T3_T4_T5_mT6_T7_P12ihipStream_tbENKUlT_T0_E_clISt17integral_constantIbLb0EESY_IbLb1EEEEDaSU_SV_EUlSU_E_NS1_11comp_targetILNS1_3genE8ELNS1_11target_archE1030ELNS1_3gpuE2ELNS1_3repE0EEENS1_30default_config_static_selectorELNS0_4arch9wavefront6targetE0EEEvT1_.uses_vcc, 0
	.set _ZN7rocprim17ROCPRIM_400000_NS6detail17trampoline_kernelINS0_14default_configENS1_27scan_by_key_config_selectorIxxEEZZNS1_16scan_by_key_implILNS1_25lookback_scan_determinismE0ELb0ES3_N6thrust23THRUST_200600_302600_NS6detail15normal_iteratorINS9_10device_ptrIxEEEESE_SE_xNS9_4plusIvEENS9_8equal_toIxEExEE10hipError_tPvRmT2_T3_T4_T5_mT6_T7_P12ihipStream_tbENKUlT_T0_E_clISt17integral_constantIbLb0EESY_IbLb1EEEEDaSU_SV_EUlSU_E_NS1_11comp_targetILNS1_3genE8ELNS1_11target_archE1030ELNS1_3gpuE2ELNS1_3repE0EEENS1_30default_config_static_selectorELNS0_4arch9wavefront6targetE0EEEvT1_.uses_flat_scratch, 0
	.set _ZN7rocprim17ROCPRIM_400000_NS6detail17trampoline_kernelINS0_14default_configENS1_27scan_by_key_config_selectorIxxEEZZNS1_16scan_by_key_implILNS1_25lookback_scan_determinismE0ELb0ES3_N6thrust23THRUST_200600_302600_NS6detail15normal_iteratorINS9_10device_ptrIxEEEESE_SE_xNS9_4plusIvEENS9_8equal_toIxEExEE10hipError_tPvRmT2_T3_T4_T5_mT6_T7_P12ihipStream_tbENKUlT_T0_E_clISt17integral_constantIbLb0EESY_IbLb1EEEEDaSU_SV_EUlSU_E_NS1_11comp_targetILNS1_3genE8ELNS1_11target_archE1030ELNS1_3gpuE2ELNS1_3repE0EEENS1_30default_config_static_selectorELNS0_4arch9wavefront6targetE0EEEvT1_.has_dyn_sized_stack, 0
	.set _ZN7rocprim17ROCPRIM_400000_NS6detail17trampoline_kernelINS0_14default_configENS1_27scan_by_key_config_selectorIxxEEZZNS1_16scan_by_key_implILNS1_25lookback_scan_determinismE0ELb0ES3_N6thrust23THRUST_200600_302600_NS6detail15normal_iteratorINS9_10device_ptrIxEEEESE_SE_xNS9_4plusIvEENS9_8equal_toIxEExEE10hipError_tPvRmT2_T3_T4_T5_mT6_T7_P12ihipStream_tbENKUlT_T0_E_clISt17integral_constantIbLb0EESY_IbLb1EEEEDaSU_SV_EUlSU_E_NS1_11comp_targetILNS1_3genE8ELNS1_11target_archE1030ELNS1_3gpuE2ELNS1_3repE0EEENS1_30default_config_static_selectorELNS0_4arch9wavefront6targetE0EEEvT1_.has_recursion, 0
	.set _ZN7rocprim17ROCPRIM_400000_NS6detail17trampoline_kernelINS0_14default_configENS1_27scan_by_key_config_selectorIxxEEZZNS1_16scan_by_key_implILNS1_25lookback_scan_determinismE0ELb0ES3_N6thrust23THRUST_200600_302600_NS6detail15normal_iteratorINS9_10device_ptrIxEEEESE_SE_xNS9_4plusIvEENS9_8equal_toIxEExEE10hipError_tPvRmT2_T3_T4_T5_mT6_T7_P12ihipStream_tbENKUlT_T0_E_clISt17integral_constantIbLb0EESY_IbLb1EEEEDaSU_SV_EUlSU_E_NS1_11comp_targetILNS1_3genE8ELNS1_11target_archE1030ELNS1_3gpuE2ELNS1_3repE0EEENS1_30default_config_static_selectorELNS0_4arch9wavefront6targetE0EEEvT1_.has_indirect_call, 0
	.section	.AMDGPU.csdata,"",@progbits
; Kernel info:
; codeLenInByte = 0
; TotalNumSgprs: 0
; NumVgprs: 0
; ScratchSize: 0
; MemoryBound: 0
; FloatMode: 240
; IeeeMode: 1
; LDSByteSize: 0 bytes/workgroup (compile time only)
; SGPRBlocks: 0
; VGPRBlocks: 0
; NumSGPRsForWavesPerEU: 1
; NumVGPRsForWavesPerEU: 1
; NamedBarCnt: 0
; Occupancy: 16
; WaveLimiterHint : 0
; COMPUTE_PGM_RSRC2:SCRATCH_EN: 0
; COMPUTE_PGM_RSRC2:USER_SGPR: 2
; COMPUTE_PGM_RSRC2:TRAP_HANDLER: 0
; COMPUTE_PGM_RSRC2:TGID_X_EN: 1
; COMPUTE_PGM_RSRC2:TGID_Y_EN: 0
; COMPUTE_PGM_RSRC2:TGID_Z_EN: 0
; COMPUTE_PGM_RSRC2:TIDIG_COMP_CNT: 0
	.section	.text._ZN6thrust23THRUST_200600_302600_NS11hip_rocprim14__parallel_for6kernelILj256ENS1_20__uninitialized_fill7functorINS0_10device_ptrIiEEiEEmLj1EEEvT0_T1_SA_,"axG",@progbits,_ZN6thrust23THRUST_200600_302600_NS11hip_rocprim14__parallel_for6kernelILj256ENS1_20__uninitialized_fill7functorINS0_10device_ptrIiEEiEEmLj1EEEvT0_T1_SA_,comdat
	.protected	_ZN6thrust23THRUST_200600_302600_NS11hip_rocprim14__parallel_for6kernelILj256ENS1_20__uninitialized_fill7functorINS0_10device_ptrIiEEiEEmLj1EEEvT0_T1_SA_ ; -- Begin function _ZN6thrust23THRUST_200600_302600_NS11hip_rocprim14__parallel_for6kernelILj256ENS1_20__uninitialized_fill7functorINS0_10device_ptrIiEEiEEmLj1EEEvT0_T1_SA_
	.globl	_ZN6thrust23THRUST_200600_302600_NS11hip_rocprim14__parallel_for6kernelILj256ENS1_20__uninitialized_fill7functorINS0_10device_ptrIiEEiEEmLj1EEEvT0_T1_SA_
	.p2align	8
	.type	_ZN6thrust23THRUST_200600_302600_NS11hip_rocprim14__parallel_for6kernelILj256ENS1_20__uninitialized_fill7functorINS0_10device_ptrIiEEiEEmLj1EEEvT0_T1_SA_,@function
_ZN6thrust23THRUST_200600_302600_NS11hip_rocprim14__parallel_for6kernelILj256ENS1_20__uninitialized_fill7functorINS0_10device_ptrIiEEiEEmLj1EEEvT0_T1_SA_: ; @_ZN6thrust23THRUST_200600_302600_NS11hip_rocprim14__parallel_for6kernelILj256ENS1_20__uninitialized_fill7functorINS0_10device_ptrIiEEiEEmLj1EEEvT0_T1_SA_
; %bb.0:
	s_load_b128 s[8:11], s[0:1], 0x10
	s_bfe_u32 s2, ttmp6, 0x4000c
	s_and_b32 s3, ttmp6, 15
	s_add_co_i32 s2, s2, 1
	s_getreg_b32 s4, hwreg(HW_REG_IB_STS2, 6, 4)
	s_mul_i32 s2, ttmp9, s2
	s_delay_alu instid0(SALU_CYCLE_1)
	s_add_co_i32 s3, s3, s2
	s_cmp_eq_u32 s4, 0
	s_load_b96 s[4:6], s[0:1], 0x0
	s_wait_xcnt 0x0
	s_cselect_b32 s0, ttmp9, s3
	s_mov_b32 s1, 0
	s_lshl_b32 s0, s0, 8
	s_wait_kmcnt 0x0
	s_add_nc_u64 s[0:1], s[10:11], s[0:1]
	s_delay_alu instid0(SALU_CYCLE_1) | instskip(NEXT) | instid1(SALU_CYCLE_1)
	s_sub_nc_u64 s[2:3], s[8:9], s[0:1]
	v_cmp_lt_u64_e64 s3, 0xff, s[2:3]
	s_and_b32 vcc_lo, exec_lo, s3
	s_mov_b32 s3, -1
	s_cbranch_vccz .LBB119_3
; %bb.1:
	s_and_not1_b32 vcc_lo, exec_lo, s3
	s_cbranch_vccz .LBB119_6
.LBB119_2:
	s_endpgm
.LBB119_3:
	v_cmp_gt_u32_e32 vcc_lo, s2, v0
	s_and_saveexec_b32 s2, vcc_lo
	s_cbranch_execz .LBB119_5
; %bb.4:
	v_mov_b32_e32 v1, s6
	s_lshl_b64 s[8:9], s[0:1], 2
	s_delay_alu instid0(SALU_CYCLE_1)
	s_add_nc_u64 s[8:9], s[4:5], s[8:9]
	flat_store_b32 v0, v1, s[8:9] scale_offset
.LBB119_5:
	s_wait_xcnt 0x0
	s_or_b32 exec_lo, exec_lo, s2
	s_cbranch_execnz .LBB119_2
.LBB119_6:
	v_mov_b32_e32 v1, s6
	s_lshl_b64 s[0:1], s[0:1], 2
	s_delay_alu instid0(SALU_CYCLE_1)
	s_add_nc_u64 s[0:1], s[4:5], s[0:1]
	flat_store_b32 v0, v1, s[0:1] scale_offset
	s_endpgm
	.section	.rodata,"a",@progbits
	.p2align	6, 0x0
	.amdhsa_kernel _ZN6thrust23THRUST_200600_302600_NS11hip_rocprim14__parallel_for6kernelILj256ENS1_20__uninitialized_fill7functorINS0_10device_ptrIiEEiEEmLj1EEEvT0_T1_SA_
		.amdhsa_group_segment_fixed_size 0
		.amdhsa_private_segment_fixed_size 0
		.amdhsa_kernarg_size 32
		.amdhsa_user_sgpr_count 2
		.amdhsa_user_sgpr_dispatch_ptr 0
		.amdhsa_user_sgpr_queue_ptr 0
		.amdhsa_user_sgpr_kernarg_segment_ptr 1
		.amdhsa_user_sgpr_dispatch_id 0
		.amdhsa_user_sgpr_kernarg_preload_length 0
		.amdhsa_user_sgpr_kernarg_preload_offset 0
		.amdhsa_user_sgpr_private_segment_size 0
		.amdhsa_wavefront_size32 1
		.amdhsa_uses_dynamic_stack 0
		.amdhsa_enable_private_segment 0
		.amdhsa_system_sgpr_workgroup_id_x 1
		.amdhsa_system_sgpr_workgroup_id_y 0
		.amdhsa_system_sgpr_workgroup_id_z 0
		.amdhsa_system_sgpr_workgroup_info 0
		.amdhsa_system_vgpr_workitem_id 0
		.amdhsa_next_free_vgpr 2
		.amdhsa_next_free_sgpr 12
		.amdhsa_named_barrier_count 0
		.amdhsa_reserve_vcc 1
		.amdhsa_float_round_mode_32 0
		.amdhsa_float_round_mode_16_64 0
		.amdhsa_float_denorm_mode_32 3
		.amdhsa_float_denorm_mode_16_64 3
		.amdhsa_fp16_overflow 0
		.amdhsa_memory_ordered 1
		.amdhsa_forward_progress 1
		.amdhsa_inst_pref_size 2
		.amdhsa_round_robin_scheduling 0
		.amdhsa_exception_fp_ieee_invalid_op 0
		.amdhsa_exception_fp_denorm_src 0
		.amdhsa_exception_fp_ieee_div_zero 0
		.amdhsa_exception_fp_ieee_overflow 0
		.amdhsa_exception_fp_ieee_underflow 0
		.amdhsa_exception_fp_ieee_inexact 0
		.amdhsa_exception_int_div_zero 0
	.end_amdhsa_kernel
	.section	.text._ZN6thrust23THRUST_200600_302600_NS11hip_rocprim14__parallel_for6kernelILj256ENS1_20__uninitialized_fill7functorINS0_10device_ptrIiEEiEEmLj1EEEvT0_T1_SA_,"axG",@progbits,_ZN6thrust23THRUST_200600_302600_NS11hip_rocprim14__parallel_for6kernelILj256ENS1_20__uninitialized_fill7functorINS0_10device_ptrIiEEiEEmLj1EEEvT0_T1_SA_,comdat
.Lfunc_end119:
	.size	_ZN6thrust23THRUST_200600_302600_NS11hip_rocprim14__parallel_for6kernelILj256ENS1_20__uninitialized_fill7functorINS0_10device_ptrIiEEiEEmLj1EEEvT0_T1_SA_, .Lfunc_end119-_ZN6thrust23THRUST_200600_302600_NS11hip_rocprim14__parallel_for6kernelILj256ENS1_20__uninitialized_fill7functorINS0_10device_ptrIiEEiEEmLj1EEEvT0_T1_SA_
                                        ; -- End function
	.set _ZN6thrust23THRUST_200600_302600_NS11hip_rocprim14__parallel_for6kernelILj256ENS1_20__uninitialized_fill7functorINS0_10device_ptrIiEEiEEmLj1EEEvT0_T1_SA_.num_vgpr, 2
	.set _ZN6thrust23THRUST_200600_302600_NS11hip_rocprim14__parallel_for6kernelILj256ENS1_20__uninitialized_fill7functorINS0_10device_ptrIiEEiEEmLj1EEEvT0_T1_SA_.num_agpr, 0
	.set _ZN6thrust23THRUST_200600_302600_NS11hip_rocprim14__parallel_for6kernelILj256ENS1_20__uninitialized_fill7functorINS0_10device_ptrIiEEiEEmLj1EEEvT0_T1_SA_.numbered_sgpr, 12
	.set _ZN6thrust23THRUST_200600_302600_NS11hip_rocprim14__parallel_for6kernelILj256ENS1_20__uninitialized_fill7functorINS0_10device_ptrIiEEiEEmLj1EEEvT0_T1_SA_.num_named_barrier, 0
	.set _ZN6thrust23THRUST_200600_302600_NS11hip_rocprim14__parallel_for6kernelILj256ENS1_20__uninitialized_fill7functorINS0_10device_ptrIiEEiEEmLj1EEEvT0_T1_SA_.private_seg_size, 0
	.set _ZN6thrust23THRUST_200600_302600_NS11hip_rocprim14__parallel_for6kernelILj256ENS1_20__uninitialized_fill7functorINS0_10device_ptrIiEEiEEmLj1EEEvT0_T1_SA_.uses_vcc, 1
	.set _ZN6thrust23THRUST_200600_302600_NS11hip_rocprim14__parallel_for6kernelILj256ENS1_20__uninitialized_fill7functorINS0_10device_ptrIiEEiEEmLj1EEEvT0_T1_SA_.uses_flat_scratch, 0
	.set _ZN6thrust23THRUST_200600_302600_NS11hip_rocprim14__parallel_for6kernelILj256ENS1_20__uninitialized_fill7functorINS0_10device_ptrIiEEiEEmLj1EEEvT0_T1_SA_.has_dyn_sized_stack, 0
	.set _ZN6thrust23THRUST_200600_302600_NS11hip_rocprim14__parallel_for6kernelILj256ENS1_20__uninitialized_fill7functorINS0_10device_ptrIiEEiEEmLj1EEEvT0_T1_SA_.has_recursion, 0
	.set _ZN6thrust23THRUST_200600_302600_NS11hip_rocprim14__parallel_for6kernelILj256ENS1_20__uninitialized_fill7functorINS0_10device_ptrIiEEiEEmLj1EEEvT0_T1_SA_.has_indirect_call, 0
	.section	.AMDGPU.csdata,"",@progbits
; Kernel info:
; codeLenInByte = 204
; TotalNumSgprs: 14
; NumVgprs: 2
; ScratchSize: 0
; MemoryBound: 0
; FloatMode: 240
; IeeeMode: 1
; LDSByteSize: 0 bytes/workgroup (compile time only)
; SGPRBlocks: 0
; VGPRBlocks: 0
; NumSGPRsForWavesPerEU: 14
; NumVGPRsForWavesPerEU: 2
; NamedBarCnt: 0
; Occupancy: 16
; WaveLimiterHint : 0
; COMPUTE_PGM_RSRC2:SCRATCH_EN: 0
; COMPUTE_PGM_RSRC2:USER_SGPR: 2
; COMPUTE_PGM_RSRC2:TRAP_HANDLER: 0
; COMPUTE_PGM_RSRC2:TGID_X_EN: 1
; COMPUTE_PGM_RSRC2:TGID_Y_EN: 0
; COMPUTE_PGM_RSRC2:TGID_Z_EN: 0
; COMPUTE_PGM_RSRC2:TIDIG_COMP_CNT: 0
	.section	.text._ZN7rocprim17ROCPRIM_400000_NS6detail30init_device_scan_by_key_kernelINS1_19lookback_scan_stateINS0_5tupleIJibEEELb0ELb1EEEN6thrust23THRUST_200600_302600_NS6detail15normal_iteratorINS8_10device_ptrIiEEEEjNS1_16block_id_wrapperIjLb0EEEEEvT_jjPNSG_10value_typeET0_PNSt15iterator_traitsISJ_E10value_typeEmT1_T2_,"axG",@progbits,_ZN7rocprim17ROCPRIM_400000_NS6detail30init_device_scan_by_key_kernelINS1_19lookback_scan_stateINS0_5tupleIJibEEELb0ELb1EEEN6thrust23THRUST_200600_302600_NS6detail15normal_iteratorINS8_10device_ptrIiEEEEjNS1_16block_id_wrapperIjLb0EEEEEvT_jjPNSG_10value_typeET0_PNSt15iterator_traitsISJ_E10value_typeEmT1_T2_,comdat
	.protected	_ZN7rocprim17ROCPRIM_400000_NS6detail30init_device_scan_by_key_kernelINS1_19lookback_scan_stateINS0_5tupleIJibEEELb0ELb1EEEN6thrust23THRUST_200600_302600_NS6detail15normal_iteratorINS8_10device_ptrIiEEEEjNS1_16block_id_wrapperIjLb0EEEEEvT_jjPNSG_10value_typeET0_PNSt15iterator_traitsISJ_E10value_typeEmT1_T2_ ; -- Begin function _ZN7rocprim17ROCPRIM_400000_NS6detail30init_device_scan_by_key_kernelINS1_19lookback_scan_stateINS0_5tupleIJibEEELb0ELb1EEEN6thrust23THRUST_200600_302600_NS6detail15normal_iteratorINS8_10device_ptrIiEEEEjNS1_16block_id_wrapperIjLb0EEEEEvT_jjPNSG_10value_typeET0_PNSt15iterator_traitsISJ_E10value_typeEmT1_T2_
	.globl	_ZN7rocprim17ROCPRIM_400000_NS6detail30init_device_scan_by_key_kernelINS1_19lookback_scan_stateINS0_5tupleIJibEEELb0ELb1EEEN6thrust23THRUST_200600_302600_NS6detail15normal_iteratorINS8_10device_ptrIiEEEEjNS1_16block_id_wrapperIjLb0EEEEEvT_jjPNSG_10value_typeET0_PNSt15iterator_traitsISJ_E10value_typeEmT1_T2_
	.p2align	8
	.type	_ZN7rocprim17ROCPRIM_400000_NS6detail30init_device_scan_by_key_kernelINS1_19lookback_scan_stateINS0_5tupleIJibEEELb0ELb1EEEN6thrust23THRUST_200600_302600_NS6detail15normal_iteratorINS8_10device_ptrIiEEEEjNS1_16block_id_wrapperIjLb0EEEEEvT_jjPNSG_10value_typeET0_PNSt15iterator_traitsISJ_E10value_typeEmT1_T2_,@function
_ZN7rocprim17ROCPRIM_400000_NS6detail30init_device_scan_by_key_kernelINS1_19lookback_scan_stateINS0_5tupleIJibEEELb0ELb1EEEN6thrust23THRUST_200600_302600_NS6detail15normal_iteratorINS8_10device_ptrIiEEEEjNS1_16block_id_wrapperIjLb0EEEEEvT_jjPNSG_10value_typeET0_PNSt15iterator_traitsISJ_E10value_typeEmT1_T2_: ; @_ZN7rocprim17ROCPRIM_400000_NS6detail30init_device_scan_by_key_kernelINS1_19lookback_scan_stateINS0_5tupleIJibEEELb0ELb1EEEN6thrust23THRUST_200600_302600_NS6detail15normal_iteratorINS8_10device_ptrIiEEEEjNS1_16block_id_wrapperIjLb0EEEEEvT_jjPNSG_10value_typeET0_PNSt15iterator_traitsISJ_E10value_typeEmT1_T2_
; %bb.0:
	s_clause 0x2
	s_load_b32 s2, s[0:1], 0x44
	s_load_b32 s14, s[0:1], 0x38
	s_load_b256 s[4:11], s[0:1], 0x0
	s_bfe_u32 s3, ttmp6, 0x4000c
	s_and_b32 s12, ttmp6, 15
	s_add_co_i32 s3, s3, 1
	s_getreg_b32 s13, hwreg(HW_REG_IB_STS2, 6, 4)
	s_mul_i32 s3, ttmp9, s3
	s_delay_alu instid0(SALU_CYCLE_1)
	s_add_co_i32 s12, s12, s3
	s_wait_kmcnt 0x0
	s_and_b32 s15, s2, 0xffff
	s_cmp_eq_u32 s13, 0
	s_cselect_b32 s2, ttmp9, s12
	s_cmp_eq_u64 s[8:9], 0
	v_mad_u32 v4, s2, s15, v0
	s_cbranch_scc1 .LBB120_8
; %bb.1:
	s_cmp_lt_u32 s7, s6
	s_mov_b32 s16, exec_lo
	s_cselect_b32 s2, s7, 0
	s_delay_alu instid0(VALU_DEP_1) | instid1(SALU_CYCLE_1)
	v_cmpx_eq_u32_e64 s2, v4
	s_cbranch_execz .LBB120_7
; %bb.2:
	s_add_co_i32 s2, s7, 32
	s_mov_b32 s3, 0
	v_mov_b32_e32 v7, 0
	s_lshl_b64 s[12:13], s[2:3], 4
	s_mov_b32 s2, exec_lo
	s_add_nc_u64 s[12:13], s[4:5], s[12:13]
	s_delay_alu instid0(SALU_CYCLE_1) | instskip(SKIP_2) | instid1(VALU_DEP_1)
	v_mov_b64_e32 v[0:1], s[12:13]
	;;#ASMSTART
	global_load_b128 v[0:3], v[0:1] off scope:SCOPE_DEV	
s_wait_loadcnt 0x0
	;;#ASMEND
	v_and_b32_e32 v6, 0xff, v2
	v_cmpx_eq_u64_e32 0, v[6:7]
	s_cbranch_execz .LBB120_6
; %bb.3:
	v_mov_b64_e32 v[8:9], s[12:13]
.LBB120_4:                              ; =>This Inner Loop Header: Depth=1
	;;#ASMSTART
	global_load_b128 v[0:3], v[8:9] off scope:SCOPE_DEV	
s_wait_loadcnt 0x0
	;;#ASMEND
	v_and_b32_e32 v6, 0xff, v2
	s_delay_alu instid0(VALU_DEP_1) | instskip(SKIP_1) | instid1(SALU_CYCLE_1)
	v_cmp_ne_u64_e32 vcc_lo, 0, v[6:7]
	s_or_b32 s3, vcc_lo, s3
	s_and_not1_b32 exec_lo, exec_lo, s3
	s_cbranch_execnz .LBB120_4
; %bb.5:
	s_or_b32 exec_lo, exec_lo, s3
.LBB120_6:
	s_delay_alu instid0(SALU_CYCLE_1)
	s_or_b32 exec_lo, exec_lo, s2
	v_mov_b32_e32 v2, 0
	s_clause 0x1
	global_store_b32 v2, v0, s[8:9]
	global_store_b8 v2, v1, s[8:9] offset:4
.LBB120_7:
	s_wait_xcnt 0x0
	s_or_b32 exec_lo, exec_lo, s16
.LBB120_8:
	s_delay_alu instid0(SALU_CYCLE_1) | instskip(NEXT) | instid1(VALU_DEP_1)
	s_mov_b32 s2, exec_lo
	v_cmpx_gt_u32_e64 s6, v4
	s_cbranch_execz .LBB120_10
; %bb.9:
	v_dual_mov_b32 v0, 0 :: v_dual_add_nc_u32 v5, 32, v4
	s_delay_alu instid0(VALU_DEP_1)
	v_dual_mov_b32 v1, v0 :: v_dual_mov_b32 v2, v0
	v_mov_b32_e32 v3, v0
	global_store_b128 v5, v[0:3], s[4:5] scale_offset
.LBB120_10:
	s_wait_xcnt 0x0
	s_or_b32 exec_lo, exec_lo, s2
	v_mov_b32_e32 v5, 0
	s_mov_b32 s2, exec_lo
	v_cmpx_gt_u32_e32 32, v4
	s_cbranch_execz .LBB120_12
; %bb.11:
	s_delay_alu instid0(VALU_DEP_2)
	v_lshl_add_u64 v[6:7], v[4:5], 4, s[4:5]
	v_dual_mov_b32 v2, 0xff :: v_dual_mov_b32 v1, v5
	v_dual_mov_b32 v0, v5 :: v_dual_mov_b32 v3, v5
	global_store_b128 v[6:7], v[0:3], off
.LBB120_12:
	s_wait_xcnt 0x0
	s_or_b32 exec_lo, exec_lo, s2
	s_load_b64 s[2:3], s[0:1], 0x28
	s_mov_b32 s4, exec_lo
	s_wait_kmcnt 0x0
	v_cmpx_gt_u64_e64 s[2:3], v[4:5]
	s_cbranch_execz .LBB120_15
; %bb.13:
	s_clause 0x1
	s_load_b32 s4, s[0:1], 0x30
	s_load_b64 s[6:7], s[0:1], 0x20
	s_mov_b32 s5, 0
	s_wait_xcnt 0x0
	s_mul_i32 s0, s14, s15
	s_mov_b32 s9, s5
	s_mov_b32 s1, s5
	s_wait_kmcnt 0x0
	v_mul_u64_e32 v[0:1], s[4:5], v[4:5]
	s_add_co_i32 s8, s4, -1
	v_lshl_add_u64 v[2:3], v[4:5], 2, s[6:7]
	s_lshl_b64 s[8:9], s[8:9], 2
	s_delay_alu instid0(SALU_CYCLE_1) | instskip(SKIP_1) | instid1(SALU_CYCLE_1)
	s_add_nc_u64 s[8:9], s[10:11], s[8:9]
	s_mul_u64 s[10:11], s[4:5], s[0:1]
	s_lshl_b64 s[6:7], s[10:11], 2
	s_delay_alu instid0(VALU_DEP_2)
	v_lshl_add_u64 v[0:1], v[0:1], 2, s[8:9]
	s_lshl_b64 s[8:9], s[0:1], 2
.LBB120_14:                             ; =>This Inner Loop Header: Depth=1
	global_load_b32 v6, v[0:1], off
	v_add_nc_u64_e32 v[4:5], s[0:1], v[4:5]
	s_wait_xcnt 0x0
	v_add_nc_u64_e32 v[0:1], s[6:7], v[0:1]
	s_delay_alu instid0(VALU_DEP_2)
	v_cmp_le_u64_e32 vcc_lo, s[2:3], v[4:5]
	s_or_b32 s5, vcc_lo, s5
	s_wait_loadcnt 0x0
	global_store_b32 v[2:3], v6, off
	s_wait_xcnt 0x0
	v_add_nc_u64_e32 v[2:3], s[8:9], v[2:3]
	s_and_not1_b32 exec_lo, exec_lo, s5
	s_cbranch_execnz .LBB120_14
.LBB120_15:
	s_endpgm
	.section	.rodata,"a",@progbits
	.p2align	6, 0x0
	.amdhsa_kernel _ZN7rocprim17ROCPRIM_400000_NS6detail30init_device_scan_by_key_kernelINS1_19lookback_scan_stateINS0_5tupleIJibEEELb0ELb1EEEN6thrust23THRUST_200600_302600_NS6detail15normal_iteratorINS8_10device_ptrIiEEEEjNS1_16block_id_wrapperIjLb0EEEEEvT_jjPNSG_10value_typeET0_PNSt15iterator_traitsISJ_E10value_typeEmT1_T2_
		.amdhsa_group_segment_fixed_size 0
		.amdhsa_private_segment_fixed_size 0
		.amdhsa_kernarg_size 312
		.amdhsa_user_sgpr_count 2
		.amdhsa_user_sgpr_dispatch_ptr 0
		.amdhsa_user_sgpr_queue_ptr 0
		.amdhsa_user_sgpr_kernarg_segment_ptr 1
		.amdhsa_user_sgpr_dispatch_id 0
		.amdhsa_user_sgpr_kernarg_preload_length 0
		.amdhsa_user_sgpr_kernarg_preload_offset 0
		.amdhsa_user_sgpr_private_segment_size 0
		.amdhsa_wavefront_size32 1
		.amdhsa_uses_dynamic_stack 0
		.amdhsa_enable_private_segment 0
		.amdhsa_system_sgpr_workgroup_id_x 1
		.amdhsa_system_sgpr_workgroup_id_y 0
		.amdhsa_system_sgpr_workgroup_id_z 0
		.amdhsa_system_sgpr_workgroup_info 0
		.amdhsa_system_vgpr_workitem_id 0
		.amdhsa_next_free_vgpr 10
		.amdhsa_next_free_sgpr 17
		.amdhsa_named_barrier_count 0
		.amdhsa_reserve_vcc 1
		.amdhsa_float_round_mode_32 0
		.amdhsa_float_round_mode_16_64 0
		.amdhsa_float_denorm_mode_32 3
		.amdhsa_float_denorm_mode_16_64 3
		.amdhsa_fp16_overflow 0
		.amdhsa_memory_ordered 1
		.amdhsa_forward_progress 1
		.amdhsa_inst_pref_size 5
		.amdhsa_round_robin_scheduling 0
		.amdhsa_exception_fp_ieee_invalid_op 0
		.amdhsa_exception_fp_denorm_src 0
		.amdhsa_exception_fp_ieee_div_zero 0
		.amdhsa_exception_fp_ieee_overflow 0
		.amdhsa_exception_fp_ieee_underflow 0
		.amdhsa_exception_fp_ieee_inexact 0
		.amdhsa_exception_int_div_zero 0
	.end_amdhsa_kernel
	.section	.text._ZN7rocprim17ROCPRIM_400000_NS6detail30init_device_scan_by_key_kernelINS1_19lookback_scan_stateINS0_5tupleIJibEEELb0ELb1EEEN6thrust23THRUST_200600_302600_NS6detail15normal_iteratorINS8_10device_ptrIiEEEEjNS1_16block_id_wrapperIjLb0EEEEEvT_jjPNSG_10value_typeET0_PNSt15iterator_traitsISJ_E10value_typeEmT1_T2_,"axG",@progbits,_ZN7rocprim17ROCPRIM_400000_NS6detail30init_device_scan_by_key_kernelINS1_19lookback_scan_stateINS0_5tupleIJibEEELb0ELb1EEEN6thrust23THRUST_200600_302600_NS6detail15normal_iteratorINS8_10device_ptrIiEEEEjNS1_16block_id_wrapperIjLb0EEEEEvT_jjPNSG_10value_typeET0_PNSt15iterator_traitsISJ_E10value_typeEmT1_T2_,comdat
.Lfunc_end120:
	.size	_ZN7rocprim17ROCPRIM_400000_NS6detail30init_device_scan_by_key_kernelINS1_19lookback_scan_stateINS0_5tupleIJibEEELb0ELb1EEEN6thrust23THRUST_200600_302600_NS6detail15normal_iteratorINS8_10device_ptrIiEEEEjNS1_16block_id_wrapperIjLb0EEEEEvT_jjPNSG_10value_typeET0_PNSt15iterator_traitsISJ_E10value_typeEmT1_T2_, .Lfunc_end120-_ZN7rocprim17ROCPRIM_400000_NS6detail30init_device_scan_by_key_kernelINS1_19lookback_scan_stateINS0_5tupleIJibEEELb0ELb1EEEN6thrust23THRUST_200600_302600_NS6detail15normal_iteratorINS8_10device_ptrIiEEEEjNS1_16block_id_wrapperIjLb0EEEEEvT_jjPNSG_10value_typeET0_PNSt15iterator_traitsISJ_E10value_typeEmT1_T2_
                                        ; -- End function
	.set _ZN7rocprim17ROCPRIM_400000_NS6detail30init_device_scan_by_key_kernelINS1_19lookback_scan_stateINS0_5tupleIJibEEELb0ELb1EEEN6thrust23THRUST_200600_302600_NS6detail15normal_iteratorINS8_10device_ptrIiEEEEjNS1_16block_id_wrapperIjLb0EEEEEvT_jjPNSG_10value_typeET0_PNSt15iterator_traitsISJ_E10value_typeEmT1_T2_.num_vgpr, 10
	.set _ZN7rocprim17ROCPRIM_400000_NS6detail30init_device_scan_by_key_kernelINS1_19lookback_scan_stateINS0_5tupleIJibEEELb0ELb1EEEN6thrust23THRUST_200600_302600_NS6detail15normal_iteratorINS8_10device_ptrIiEEEEjNS1_16block_id_wrapperIjLb0EEEEEvT_jjPNSG_10value_typeET0_PNSt15iterator_traitsISJ_E10value_typeEmT1_T2_.num_agpr, 0
	.set _ZN7rocprim17ROCPRIM_400000_NS6detail30init_device_scan_by_key_kernelINS1_19lookback_scan_stateINS0_5tupleIJibEEELb0ELb1EEEN6thrust23THRUST_200600_302600_NS6detail15normal_iteratorINS8_10device_ptrIiEEEEjNS1_16block_id_wrapperIjLb0EEEEEvT_jjPNSG_10value_typeET0_PNSt15iterator_traitsISJ_E10value_typeEmT1_T2_.numbered_sgpr, 17
	.set _ZN7rocprim17ROCPRIM_400000_NS6detail30init_device_scan_by_key_kernelINS1_19lookback_scan_stateINS0_5tupleIJibEEELb0ELb1EEEN6thrust23THRUST_200600_302600_NS6detail15normal_iteratorINS8_10device_ptrIiEEEEjNS1_16block_id_wrapperIjLb0EEEEEvT_jjPNSG_10value_typeET0_PNSt15iterator_traitsISJ_E10value_typeEmT1_T2_.num_named_barrier, 0
	.set _ZN7rocprim17ROCPRIM_400000_NS6detail30init_device_scan_by_key_kernelINS1_19lookback_scan_stateINS0_5tupleIJibEEELb0ELb1EEEN6thrust23THRUST_200600_302600_NS6detail15normal_iteratorINS8_10device_ptrIiEEEEjNS1_16block_id_wrapperIjLb0EEEEEvT_jjPNSG_10value_typeET0_PNSt15iterator_traitsISJ_E10value_typeEmT1_T2_.private_seg_size, 0
	.set _ZN7rocprim17ROCPRIM_400000_NS6detail30init_device_scan_by_key_kernelINS1_19lookback_scan_stateINS0_5tupleIJibEEELb0ELb1EEEN6thrust23THRUST_200600_302600_NS6detail15normal_iteratorINS8_10device_ptrIiEEEEjNS1_16block_id_wrapperIjLb0EEEEEvT_jjPNSG_10value_typeET0_PNSt15iterator_traitsISJ_E10value_typeEmT1_T2_.uses_vcc, 1
	.set _ZN7rocprim17ROCPRIM_400000_NS6detail30init_device_scan_by_key_kernelINS1_19lookback_scan_stateINS0_5tupleIJibEEELb0ELb1EEEN6thrust23THRUST_200600_302600_NS6detail15normal_iteratorINS8_10device_ptrIiEEEEjNS1_16block_id_wrapperIjLb0EEEEEvT_jjPNSG_10value_typeET0_PNSt15iterator_traitsISJ_E10value_typeEmT1_T2_.uses_flat_scratch, 0
	.set _ZN7rocprim17ROCPRIM_400000_NS6detail30init_device_scan_by_key_kernelINS1_19lookback_scan_stateINS0_5tupleIJibEEELb0ELb1EEEN6thrust23THRUST_200600_302600_NS6detail15normal_iteratorINS8_10device_ptrIiEEEEjNS1_16block_id_wrapperIjLb0EEEEEvT_jjPNSG_10value_typeET0_PNSt15iterator_traitsISJ_E10value_typeEmT1_T2_.has_dyn_sized_stack, 0
	.set _ZN7rocprim17ROCPRIM_400000_NS6detail30init_device_scan_by_key_kernelINS1_19lookback_scan_stateINS0_5tupleIJibEEELb0ELb1EEEN6thrust23THRUST_200600_302600_NS6detail15normal_iteratorINS8_10device_ptrIiEEEEjNS1_16block_id_wrapperIjLb0EEEEEvT_jjPNSG_10value_typeET0_PNSt15iterator_traitsISJ_E10value_typeEmT1_T2_.has_recursion, 0
	.set _ZN7rocprim17ROCPRIM_400000_NS6detail30init_device_scan_by_key_kernelINS1_19lookback_scan_stateINS0_5tupleIJibEEELb0ELb1EEEN6thrust23THRUST_200600_302600_NS6detail15normal_iteratorINS8_10device_ptrIiEEEEjNS1_16block_id_wrapperIjLb0EEEEEvT_jjPNSG_10value_typeET0_PNSt15iterator_traitsISJ_E10value_typeEmT1_T2_.has_indirect_call, 0
	.section	.AMDGPU.csdata,"",@progbits
; Kernel info:
; codeLenInByte = 584
; TotalNumSgprs: 19
; NumVgprs: 10
; ScratchSize: 0
; MemoryBound: 0
; FloatMode: 240
; IeeeMode: 1
; LDSByteSize: 0 bytes/workgroup (compile time only)
; SGPRBlocks: 0
; VGPRBlocks: 0
; NumSGPRsForWavesPerEU: 19
; NumVGPRsForWavesPerEU: 10
; NamedBarCnt: 0
; Occupancy: 16
; WaveLimiterHint : 0
; COMPUTE_PGM_RSRC2:SCRATCH_EN: 0
; COMPUTE_PGM_RSRC2:USER_SGPR: 2
; COMPUTE_PGM_RSRC2:TRAP_HANDLER: 0
; COMPUTE_PGM_RSRC2:TGID_X_EN: 1
; COMPUTE_PGM_RSRC2:TGID_Y_EN: 0
; COMPUTE_PGM_RSRC2:TGID_Z_EN: 0
; COMPUTE_PGM_RSRC2:TIDIG_COMP_CNT: 0
	.section	.text._ZN7rocprim17ROCPRIM_400000_NS6detail30init_device_scan_by_key_kernelINS1_19lookback_scan_stateINS0_5tupleIJibEEELb0ELb1EEENS1_16block_id_wrapperIjLb0EEEEEvT_jjPNS9_10value_typeET0_,"axG",@progbits,_ZN7rocprim17ROCPRIM_400000_NS6detail30init_device_scan_by_key_kernelINS1_19lookback_scan_stateINS0_5tupleIJibEEELb0ELb1EEENS1_16block_id_wrapperIjLb0EEEEEvT_jjPNS9_10value_typeET0_,comdat
	.protected	_ZN7rocprim17ROCPRIM_400000_NS6detail30init_device_scan_by_key_kernelINS1_19lookback_scan_stateINS0_5tupleIJibEEELb0ELb1EEENS1_16block_id_wrapperIjLb0EEEEEvT_jjPNS9_10value_typeET0_ ; -- Begin function _ZN7rocprim17ROCPRIM_400000_NS6detail30init_device_scan_by_key_kernelINS1_19lookback_scan_stateINS0_5tupleIJibEEELb0ELb1EEENS1_16block_id_wrapperIjLb0EEEEEvT_jjPNS9_10value_typeET0_
	.globl	_ZN7rocprim17ROCPRIM_400000_NS6detail30init_device_scan_by_key_kernelINS1_19lookback_scan_stateINS0_5tupleIJibEEELb0ELb1EEENS1_16block_id_wrapperIjLb0EEEEEvT_jjPNS9_10value_typeET0_
	.p2align	8
	.type	_ZN7rocprim17ROCPRIM_400000_NS6detail30init_device_scan_by_key_kernelINS1_19lookback_scan_stateINS0_5tupleIJibEEELb0ELb1EEENS1_16block_id_wrapperIjLb0EEEEEvT_jjPNS9_10value_typeET0_,@function
_ZN7rocprim17ROCPRIM_400000_NS6detail30init_device_scan_by_key_kernelINS1_19lookback_scan_stateINS0_5tupleIJibEEELb0ELb1EEENS1_16block_id_wrapperIjLb0EEEEEvT_jjPNS9_10value_typeET0_: ; @_ZN7rocprim17ROCPRIM_400000_NS6detail30init_device_scan_by_key_kernelINS1_19lookback_scan_stateINS0_5tupleIJibEEELb0ELb1EEENS1_16block_id_wrapperIjLb0EEEEEvT_jjPNS9_10value_typeET0_
; %bb.0:
	s_clause 0x2
	s_load_b32 s8, s[0:1], 0x2c
	s_load_b128 s[4:7], s[0:1], 0x0
	s_load_b64 s[2:3], s[0:1], 0x10
	s_wait_xcnt 0x0
	s_bfe_u32 s0, ttmp6, 0x4000c
	s_and_b32 s1, ttmp6, 15
	s_add_co_i32 s0, s0, 1
	s_getreg_b32 s9, hwreg(HW_REG_IB_STS2, 6, 4)
	s_mul_i32 s0, ttmp9, s0
	s_delay_alu instid0(SALU_CYCLE_1)
	s_add_co_i32 s1, s1, s0
	s_wait_kmcnt 0x0
	s_and_b32 s8, s8, 0xffff
	s_cmp_eq_u32 s9, 0
	s_cselect_b32 s0, ttmp9, s1
	s_cmp_eq_u64 s[2:3], 0
	v_mad_u32 v8, s0, s8, v0
	s_cbranch_scc1 .LBB121_8
; %bb.1:
	s_cmp_lt_u32 s7, s6
	s_mov_b32 s10, exec_lo
	s_cselect_b32 s0, s7, 0
	s_delay_alu instid0(VALU_DEP_1) | instid1(SALU_CYCLE_1)
	v_cmpx_eq_u32_e64 s0, v8
	s_cbranch_execz .LBB121_7
; %bb.2:
	s_add_co_i32 s0, s7, 32
	s_mov_b32 s1, 0
	v_mov_b32_e32 v5, 0
	s_lshl_b64 s[8:9], s[0:1], 4
	s_mov_b32 s0, exec_lo
	s_add_nc_u64 s[8:9], s[4:5], s[8:9]
	s_delay_alu instid0(SALU_CYCLE_1) | instskip(SKIP_2) | instid1(VALU_DEP_1)
	v_mov_b64_e32 v[0:1], s[8:9]
	;;#ASMSTART
	global_load_b128 v[0:3], v[0:1] off scope:SCOPE_DEV	
s_wait_loadcnt 0x0
	;;#ASMEND
	v_and_b32_e32 v4, 0xff, v2
	v_cmpx_eq_u64_e32 0, v[4:5]
	s_cbranch_execz .LBB121_6
; %bb.3:
	v_mov_b64_e32 v[6:7], s[8:9]
.LBB121_4:                              ; =>This Inner Loop Header: Depth=1
	;;#ASMSTART
	global_load_b128 v[0:3], v[6:7] off scope:SCOPE_DEV	
s_wait_loadcnt 0x0
	;;#ASMEND
	v_and_b32_e32 v4, 0xff, v2
	s_delay_alu instid0(VALU_DEP_1) | instskip(SKIP_1) | instid1(SALU_CYCLE_1)
	v_cmp_ne_u64_e32 vcc_lo, 0, v[4:5]
	s_or_b32 s1, vcc_lo, s1
	s_and_not1_b32 exec_lo, exec_lo, s1
	s_cbranch_execnz .LBB121_4
; %bb.5:
	s_or_b32 exec_lo, exec_lo, s1
.LBB121_6:
	s_delay_alu instid0(SALU_CYCLE_1)
	s_or_b32 exec_lo, exec_lo, s0
	v_mov_b32_e32 v2, 0
	s_clause 0x1
	global_store_b32 v2, v0, s[2:3]
	global_store_b8 v2, v1, s[2:3] offset:4
.LBB121_7:
	s_wait_xcnt 0x0
	s_or_b32 exec_lo, exec_lo, s10
.LBB121_8:
	s_delay_alu instid0(SALU_CYCLE_1) | instskip(NEXT) | instid1(VALU_DEP_1)
	s_mov_b32 s0, exec_lo
	v_cmpx_gt_u32_e64 s6, v8
	s_cbranch_execz .LBB121_10
; %bb.9:
	v_dual_mov_b32 v0, 0 :: v_dual_add_nc_u32 v4, 32, v8
	s_delay_alu instid0(VALU_DEP_1)
	v_dual_mov_b32 v1, v0 :: v_dual_mov_b32 v2, v0
	v_mov_b32_e32 v3, v0
	global_store_b128 v4, v[0:3], s[4:5] scale_offset
.LBB121_10:
	s_wait_xcnt 0x0
	s_or_b32 exec_lo, exec_lo, s0
	s_delay_alu instid0(SALU_CYCLE_1)
	s_mov_b32 s0, exec_lo
	v_cmpx_gt_u32_e32 32, v8
	s_cbranch_execz .LBB121_12
; %bb.11:
	v_mov_b32_e32 v0, 0
	s_delay_alu instid0(VALU_DEP_1)
	v_dual_mov_b32 v2, 0xff :: v_dual_mov_b32 v1, v0
	v_mov_b32_e32 v3, v0
	global_store_b128 v8, v[0:3], s[4:5] scale_offset
.LBB121_12:
	s_endpgm
	.section	.rodata,"a",@progbits
	.p2align	6, 0x0
	.amdhsa_kernel _ZN7rocprim17ROCPRIM_400000_NS6detail30init_device_scan_by_key_kernelINS1_19lookback_scan_stateINS0_5tupleIJibEEELb0ELb1EEENS1_16block_id_wrapperIjLb0EEEEEvT_jjPNS9_10value_typeET0_
		.amdhsa_group_segment_fixed_size 0
		.amdhsa_private_segment_fixed_size 0
		.amdhsa_kernarg_size 288
		.amdhsa_user_sgpr_count 2
		.amdhsa_user_sgpr_dispatch_ptr 0
		.amdhsa_user_sgpr_queue_ptr 0
		.amdhsa_user_sgpr_kernarg_segment_ptr 1
		.amdhsa_user_sgpr_dispatch_id 0
		.amdhsa_user_sgpr_kernarg_preload_length 0
		.amdhsa_user_sgpr_kernarg_preload_offset 0
		.amdhsa_user_sgpr_private_segment_size 0
		.amdhsa_wavefront_size32 1
		.amdhsa_uses_dynamic_stack 0
		.amdhsa_enable_private_segment 0
		.amdhsa_system_sgpr_workgroup_id_x 1
		.amdhsa_system_sgpr_workgroup_id_y 0
		.amdhsa_system_sgpr_workgroup_id_z 0
		.amdhsa_system_sgpr_workgroup_info 0
		.amdhsa_system_vgpr_workitem_id 0
		.amdhsa_next_free_vgpr 9
		.amdhsa_next_free_sgpr 11
		.amdhsa_named_barrier_count 0
		.amdhsa_reserve_vcc 1
		.amdhsa_float_round_mode_32 0
		.amdhsa_float_round_mode_16_64 0
		.amdhsa_float_denorm_mode_32 3
		.amdhsa_float_denorm_mode_16_64 3
		.amdhsa_fp16_overflow 0
		.amdhsa_memory_ordered 1
		.amdhsa_forward_progress 1
		.amdhsa_inst_pref_size 3
		.amdhsa_round_robin_scheduling 0
		.amdhsa_exception_fp_ieee_invalid_op 0
		.amdhsa_exception_fp_denorm_src 0
		.amdhsa_exception_fp_ieee_div_zero 0
		.amdhsa_exception_fp_ieee_overflow 0
		.amdhsa_exception_fp_ieee_underflow 0
		.amdhsa_exception_fp_ieee_inexact 0
		.amdhsa_exception_int_div_zero 0
	.end_amdhsa_kernel
	.section	.text._ZN7rocprim17ROCPRIM_400000_NS6detail30init_device_scan_by_key_kernelINS1_19lookback_scan_stateINS0_5tupleIJibEEELb0ELb1EEENS1_16block_id_wrapperIjLb0EEEEEvT_jjPNS9_10value_typeET0_,"axG",@progbits,_ZN7rocprim17ROCPRIM_400000_NS6detail30init_device_scan_by_key_kernelINS1_19lookback_scan_stateINS0_5tupleIJibEEELb0ELb1EEENS1_16block_id_wrapperIjLb0EEEEEvT_jjPNS9_10value_typeET0_,comdat
.Lfunc_end121:
	.size	_ZN7rocprim17ROCPRIM_400000_NS6detail30init_device_scan_by_key_kernelINS1_19lookback_scan_stateINS0_5tupleIJibEEELb0ELb1EEENS1_16block_id_wrapperIjLb0EEEEEvT_jjPNS9_10value_typeET0_, .Lfunc_end121-_ZN7rocprim17ROCPRIM_400000_NS6detail30init_device_scan_by_key_kernelINS1_19lookback_scan_stateINS0_5tupleIJibEEELb0ELb1EEENS1_16block_id_wrapperIjLb0EEEEEvT_jjPNS9_10value_typeET0_
                                        ; -- End function
	.set _ZN7rocprim17ROCPRIM_400000_NS6detail30init_device_scan_by_key_kernelINS1_19lookback_scan_stateINS0_5tupleIJibEEELb0ELb1EEENS1_16block_id_wrapperIjLb0EEEEEvT_jjPNS9_10value_typeET0_.num_vgpr, 9
	.set _ZN7rocprim17ROCPRIM_400000_NS6detail30init_device_scan_by_key_kernelINS1_19lookback_scan_stateINS0_5tupleIJibEEELb0ELb1EEENS1_16block_id_wrapperIjLb0EEEEEvT_jjPNS9_10value_typeET0_.num_agpr, 0
	.set _ZN7rocprim17ROCPRIM_400000_NS6detail30init_device_scan_by_key_kernelINS1_19lookback_scan_stateINS0_5tupleIJibEEELb0ELb1EEENS1_16block_id_wrapperIjLb0EEEEEvT_jjPNS9_10value_typeET0_.numbered_sgpr, 11
	.set _ZN7rocprim17ROCPRIM_400000_NS6detail30init_device_scan_by_key_kernelINS1_19lookback_scan_stateINS0_5tupleIJibEEELb0ELb1EEENS1_16block_id_wrapperIjLb0EEEEEvT_jjPNS9_10value_typeET0_.num_named_barrier, 0
	.set _ZN7rocprim17ROCPRIM_400000_NS6detail30init_device_scan_by_key_kernelINS1_19lookback_scan_stateINS0_5tupleIJibEEELb0ELb1EEENS1_16block_id_wrapperIjLb0EEEEEvT_jjPNS9_10value_typeET0_.private_seg_size, 0
	.set _ZN7rocprim17ROCPRIM_400000_NS6detail30init_device_scan_by_key_kernelINS1_19lookback_scan_stateINS0_5tupleIJibEEELb0ELb1EEENS1_16block_id_wrapperIjLb0EEEEEvT_jjPNS9_10value_typeET0_.uses_vcc, 1
	.set _ZN7rocprim17ROCPRIM_400000_NS6detail30init_device_scan_by_key_kernelINS1_19lookback_scan_stateINS0_5tupleIJibEEELb0ELb1EEENS1_16block_id_wrapperIjLb0EEEEEvT_jjPNS9_10value_typeET0_.uses_flat_scratch, 0
	.set _ZN7rocprim17ROCPRIM_400000_NS6detail30init_device_scan_by_key_kernelINS1_19lookback_scan_stateINS0_5tupleIJibEEELb0ELb1EEENS1_16block_id_wrapperIjLb0EEEEEvT_jjPNS9_10value_typeET0_.has_dyn_sized_stack, 0
	.set _ZN7rocprim17ROCPRIM_400000_NS6detail30init_device_scan_by_key_kernelINS1_19lookback_scan_stateINS0_5tupleIJibEEELb0ELb1EEENS1_16block_id_wrapperIjLb0EEEEEvT_jjPNS9_10value_typeET0_.has_recursion, 0
	.set _ZN7rocprim17ROCPRIM_400000_NS6detail30init_device_scan_by_key_kernelINS1_19lookback_scan_stateINS0_5tupleIJibEEELb0ELb1EEENS1_16block_id_wrapperIjLb0EEEEEvT_jjPNS9_10value_typeET0_.has_indirect_call, 0
	.section	.AMDGPU.csdata,"",@progbits
; Kernel info:
; codeLenInByte = 384
; TotalNumSgprs: 13
; NumVgprs: 9
; ScratchSize: 0
; MemoryBound: 0
; FloatMode: 240
; IeeeMode: 1
; LDSByteSize: 0 bytes/workgroup (compile time only)
; SGPRBlocks: 0
; VGPRBlocks: 0
; NumSGPRsForWavesPerEU: 13
; NumVGPRsForWavesPerEU: 9
; NamedBarCnt: 0
; Occupancy: 16
; WaveLimiterHint : 0
; COMPUTE_PGM_RSRC2:SCRATCH_EN: 0
; COMPUTE_PGM_RSRC2:USER_SGPR: 2
; COMPUTE_PGM_RSRC2:TRAP_HANDLER: 0
; COMPUTE_PGM_RSRC2:TGID_X_EN: 1
; COMPUTE_PGM_RSRC2:TGID_Y_EN: 0
; COMPUTE_PGM_RSRC2:TGID_Z_EN: 0
; COMPUTE_PGM_RSRC2:TIDIG_COMP_CNT: 0
	.section	.text._ZN7rocprim17ROCPRIM_400000_NS6detail17trampoline_kernelINS0_14default_configENS1_27scan_by_key_config_selectorIiiEEZZNS1_16scan_by_key_implILNS1_25lookback_scan_determinismE0ELb0ES3_N6thrust23THRUST_200600_302600_NS6detail15normal_iteratorINS9_10device_ptrIiEEEESE_SE_iNS9_4plusIvEENS9_8equal_toIvEEiEE10hipError_tPvRmT2_T3_T4_T5_mT6_T7_P12ihipStream_tbENKUlT_T0_E_clISt17integral_constantIbLb0EESZ_EEDaSU_SV_EUlSU_E_NS1_11comp_targetILNS1_3genE0ELNS1_11target_archE4294967295ELNS1_3gpuE0ELNS1_3repE0EEENS1_30default_config_static_selectorELNS0_4arch9wavefront6targetE0EEEvT1_,"axG",@progbits,_ZN7rocprim17ROCPRIM_400000_NS6detail17trampoline_kernelINS0_14default_configENS1_27scan_by_key_config_selectorIiiEEZZNS1_16scan_by_key_implILNS1_25lookback_scan_determinismE0ELb0ES3_N6thrust23THRUST_200600_302600_NS6detail15normal_iteratorINS9_10device_ptrIiEEEESE_SE_iNS9_4plusIvEENS9_8equal_toIvEEiEE10hipError_tPvRmT2_T3_T4_T5_mT6_T7_P12ihipStream_tbENKUlT_T0_E_clISt17integral_constantIbLb0EESZ_EEDaSU_SV_EUlSU_E_NS1_11comp_targetILNS1_3genE0ELNS1_11target_archE4294967295ELNS1_3gpuE0ELNS1_3repE0EEENS1_30default_config_static_selectorELNS0_4arch9wavefront6targetE0EEEvT1_,comdat
	.protected	_ZN7rocprim17ROCPRIM_400000_NS6detail17trampoline_kernelINS0_14default_configENS1_27scan_by_key_config_selectorIiiEEZZNS1_16scan_by_key_implILNS1_25lookback_scan_determinismE0ELb0ES3_N6thrust23THRUST_200600_302600_NS6detail15normal_iteratorINS9_10device_ptrIiEEEESE_SE_iNS9_4plusIvEENS9_8equal_toIvEEiEE10hipError_tPvRmT2_T3_T4_T5_mT6_T7_P12ihipStream_tbENKUlT_T0_E_clISt17integral_constantIbLb0EESZ_EEDaSU_SV_EUlSU_E_NS1_11comp_targetILNS1_3genE0ELNS1_11target_archE4294967295ELNS1_3gpuE0ELNS1_3repE0EEENS1_30default_config_static_selectorELNS0_4arch9wavefront6targetE0EEEvT1_ ; -- Begin function _ZN7rocprim17ROCPRIM_400000_NS6detail17trampoline_kernelINS0_14default_configENS1_27scan_by_key_config_selectorIiiEEZZNS1_16scan_by_key_implILNS1_25lookback_scan_determinismE0ELb0ES3_N6thrust23THRUST_200600_302600_NS6detail15normal_iteratorINS9_10device_ptrIiEEEESE_SE_iNS9_4plusIvEENS9_8equal_toIvEEiEE10hipError_tPvRmT2_T3_T4_T5_mT6_T7_P12ihipStream_tbENKUlT_T0_E_clISt17integral_constantIbLb0EESZ_EEDaSU_SV_EUlSU_E_NS1_11comp_targetILNS1_3genE0ELNS1_11target_archE4294967295ELNS1_3gpuE0ELNS1_3repE0EEENS1_30default_config_static_selectorELNS0_4arch9wavefront6targetE0EEEvT1_
	.globl	_ZN7rocprim17ROCPRIM_400000_NS6detail17trampoline_kernelINS0_14default_configENS1_27scan_by_key_config_selectorIiiEEZZNS1_16scan_by_key_implILNS1_25lookback_scan_determinismE0ELb0ES3_N6thrust23THRUST_200600_302600_NS6detail15normal_iteratorINS9_10device_ptrIiEEEESE_SE_iNS9_4plusIvEENS9_8equal_toIvEEiEE10hipError_tPvRmT2_T3_T4_T5_mT6_T7_P12ihipStream_tbENKUlT_T0_E_clISt17integral_constantIbLb0EESZ_EEDaSU_SV_EUlSU_E_NS1_11comp_targetILNS1_3genE0ELNS1_11target_archE4294967295ELNS1_3gpuE0ELNS1_3repE0EEENS1_30default_config_static_selectorELNS0_4arch9wavefront6targetE0EEEvT1_
	.p2align	8
	.type	_ZN7rocprim17ROCPRIM_400000_NS6detail17trampoline_kernelINS0_14default_configENS1_27scan_by_key_config_selectorIiiEEZZNS1_16scan_by_key_implILNS1_25lookback_scan_determinismE0ELb0ES3_N6thrust23THRUST_200600_302600_NS6detail15normal_iteratorINS9_10device_ptrIiEEEESE_SE_iNS9_4plusIvEENS9_8equal_toIvEEiEE10hipError_tPvRmT2_T3_T4_T5_mT6_T7_P12ihipStream_tbENKUlT_T0_E_clISt17integral_constantIbLb0EESZ_EEDaSU_SV_EUlSU_E_NS1_11comp_targetILNS1_3genE0ELNS1_11target_archE4294967295ELNS1_3gpuE0ELNS1_3repE0EEENS1_30default_config_static_selectorELNS0_4arch9wavefront6targetE0EEEvT1_,@function
_ZN7rocprim17ROCPRIM_400000_NS6detail17trampoline_kernelINS0_14default_configENS1_27scan_by_key_config_selectorIiiEEZZNS1_16scan_by_key_implILNS1_25lookback_scan_determinismE0ELb0ES3_N6thrust23THRUST_200600_302600_NS6detail15normal_iteratorINS9_10device_ptrIiEEEESE_SE_iNS9_4plusIvEENS9_8equal_toIvEEiEE10hipError_tPvRmT2_T3_T4_T5_mT6_T7_P12ihipStream_tbENKUlT_T0_E_clISt17integral_constantIbLb0EESZ_EEDaSU_SV_EUlSU_E_NS1_11comp_targetILNS1_3genE0ELNS1_11target_archE4294967295ELNS1_3gpuE0ELNS1_3repE0EEENS1_30default_config_static_selectorELNS0_4arch9wavefront6targetE0EEEvT1_: ; @_ZN7rocprim17ROCPRIM_400000_NS6detail17trampoline_kernelINS0_14default_configENS1_27scan_by_key_config_selectorIiiEEZZNS1_16scan_by_key_implILNS1_25lookback_scan_determinismE0ELb0ES3_N6thrust23THRUST_200600_302600_NS6detail15normal_iteratorINS9_10device_ptrIiEEEESE_SE_iNS9_4plusIvEENS9_8equal_toIvEEiEE10hipError_tPvRmT2_T3_T4_T5_mT6_T7_P12ihipStream_tbENKUlT_T0_E_clISt17integral_constantIbLb0EESZ_EEDaSU_SV_EUlSU_E_NS1_11comp_targetILNS1_3genE0ELNS1_11target_archE4294967295ELNS1_3gpuE0ELNS1_3repE0EEENS1_30default_config_static_selectorELNS0_4arch9wavefront6targetE0EEEvT1_
; %bb.0:
	s_clause 0x3
	s_load_b256 s[8:15], s[0:1], 0x0
	s_load_b256 s[16:23], s[0:1], 0x48
	s_load_b96 s[28:30], s[0:1], 0x38
	s_load_b128 s[24:27], s[0:1], 0x28
	s_getreg_b32 s4, hwreg(HW_REG_IB_STS2, 6, 4)
	s_wait_xcnt 0x0
	s_mov_b32 s1, 0
	s_barrier_signal -1
	s_barrier_wait -1
	s_wait_kmcnt 0x0
	s_lshl_b64 s[34:35], s[10:11], 2
	s_cmp_lg_u64 s[20:21], 0
	s_mov_b32 s0, s30
	s_cselect_b32 s33, -1, 0
	s_bfe_u32 s2, ttmp6, 0x4000c
	s_and_b32 s5, ttmp6, 15
	s_add_co_i32 s2, s2, 1
	s_mov_b32 s21, s1
	s_mul_i32 s6, ttmp9, s2
	s_add_nc_u64 s[2:3], s[8:9], s[34:35]
	s_add_co_i32 s6, s5, s6
	s_cmp_eq_u32 s4, 0
	s_mul_u64 s[4:5], s[28:29], s[0:1]
	s_cselect_b32 s20, ttmp9, s6
	s_add_nc_u64 s[6:7], s[12:13], s[34:35]
	s_add_nc_u64 s[36:37], s[4:5], s[20:21]
	s_add_nc_u64 s[4:5], s[16:17], -1
	s_mul_i32 s0, s20, 0xc00
	v_cmp_ge_u64_e64 s21, s[36:37], s[4:5]
	s_lshl_b64 s[16:17], s[0:1], 2
	s_mul_i32 s27, s4, 0xfffff400
	s_add_nc_u64 s[30:31], s[2:3], s[16:17]
	s_add_nc_u64 s[12:13], s[6:7], s[16:17]
	s_and_b32 vcc_lo, exec_lo, s21
	s_cbranch_vccz .LBB122_28
; %bb.1:
	v_mov_b32_e32 v1, 0
	s_add_co_i32 s40, s27, s26
	s_delay_alu instid0(SALU_CYCLE_1)
	v_cmp_gt_u32_e64 s0, s40, v0
	flat_load_b32 v1, v1, s[30:31]
	s_wait_loadcnt_dscnt 0x0
	v_mov_b32_e32 v2, v1
	s_and_saveexec_b32 s1, s0
	s_cbranch_execz .LBB122_3
; %bb.2:
	flat_load_b32 v2, v0, s[30:31] scale_offset
.LBB122_3:
	s_wait_xcnt 0x0
	s_or_b32 exec_lo, exec_lo, s1
	v_or_b32_e32 v3, 0x100, v0
	v_mov_b32_e32 v4, v1
	s_delay_alu instid0(VALU_DEP_2)
	v_cmp_gt_u32_e64 s1, s40, v3
	s_and_saveexec_b32 s2, s1
	s_cbranch_execz .LBB122_5
; %bb.4:
	flat_load_b32 v4, v0, s[30:31] offset:1024 scale_offset
.LBB122_5:
	s_wait_xcnt 0x0
	s_or_b32 exec_lo, exec_lo, s2
	v_or_b32_e32 v3, 0x200, v0
	v_mov_b32_e32 v5, v1
	s_delay_alu instid0(VALU_DEP_2)
	v_cmp_gt_u32_e64 s2, s40, v3
	s_and_saveexec_b32 s3, s2
	s_cbranch_execz .LBB122_7
; %bb.6:
	flat_load_b32 v5, v0, s[30:31] offset:2048 scale_offset
.LBB122_7:
	;; [unrolled: 11-line block ×10, first 2 shown]
	s_wait_xcnt 0x0
	s_or_b32 exec_lo, exec_lo, s11
	v_or_b32_e32 v3, 0xb00, v0
	s_mov_b32 s38, exec_lo
	s_delay_alu instid0(VALU_DEP_1) | instskip(SKIP_2) | instid1(SALU_CYCLE_1)
	v_cmp_gt_u32_e64 s11, s40, v3
	v_cmpx_le_u32_e64 s40, v3
	s_xor_b32 s38, exec_lo, s38
	s_and_not1_saveexec_b32 s38, s38
	s_cbranch_execz .LBB122_25
; %bb.24:
	flat_load_b32 v1, v0, s[30:31] offset:11264 scale_offset
.LBB122_25:
	s_wait_xcnt 0x0
	s_or_b32 exec_lo, exec_lo, s38
	v_lshlrev_b32_e32 v3, 2, v0
	s_cmp_eq_u64 s[36:37], 0
	s_mov_b64 s[38:39], s[30:31]
	s_wait_loadcnt_dscnt 0x0
	ds_store_2addr_stride64_b32 v3, v2, v4 offset1:4
	ds_store_2addr_stride64_b32 v3, v5, v6 offset0:8 offset1:12
	ds_store_2addr_stride64_b32 v3, v7, v8 offset0:16 offset1:20
	;; [unrolled: 1-line block ×5, first 2 shown]
	v_mad_u32_u24 v1, v0, 44, v3
	s_wait_dscnt 0x0
	s_barrier_signal -1
	s_barrier_wait -1
	ds_load_b128 v[14:17], v1
	ds_load_b128 v[10:13], v1 offset:16
	ds_load_b128 v[6:9], v1 offset:32
	s_cbranch_scc1 .LBB122_31
; %bb.26:
	s_and_not1_b32 vcc_lo, exec_lo, s33
	s_cbranch_vccnz .LBB122_29
; %bb.27:
	s_lshl_b64 s[38:39], s[36:37], 2
	s_mov_b32 s41, 0
	s_add_nc_u64 s[38:39], s[22:23], s[38:39]
	s_delay_alu instid0(SALU_CYCLE_1)
	s_add_nc_u64 s[38:39], s[38:39], -4
	s_branch .LBB122_30
.LBB122_28:
                                        ; implicit-def: $sgpr3
                                        ; implicit-def: $vgpr5
                                        ; implicit-def: $vgpr18_vgpr19
                                        ; implicit-def: $vgpr42_vgpr43
                                        ; implicit-def: $vgpr46_vgpr47
                                        ; implicit-def: $vgpr44_vgpr45
                                        ; implicit-def: $vgpr48_vgpr49
                                        ; implicit-def: $vgpr50_vgpr51
                                        ; implicit-def: $vgpr52_vgpr53
                                        ; implicit-def: $vgpr54_vgpr55
                                        ; implicit-def: $vgpr56_vgpr57
                                        ; implicit-def: $vgpr58_vgpr59
                                        ; implicit-def: $vgpr38_vgpr39
                                        ; implicit-def: $vgpr36_vgpr37
                                        ; implicit-def: $vgpr34_vgpr35
                                        ; implicit-def: $vgpr32_vgpr33
                                        ; implicit-def: $vgpr30_vgpr31
                                        ; implicit-def: $vgpr28_vgpr29
                                        ; implicit-def: $vgpr26_vgpr27
                                        ; implicit-def: $vgpr24_vgpr25
                                        ; implicit-def: $vgpr22_vgpr23
                                        ; implicit-def: $vgpr20_vgpr21
	v_lshlrev_b32_e32 v16, 2, v0
	s_cbranch_execnz .LBB122_69
	s_branch .LBB122_88
.LBB122_29:
	s_add_nc_u64 s[38:39], s[30:31], -4
	s_mov_b32 s41, -1
.LBB122_30:
	s_delay_alu instid0(SALU_CYCLE_1)
	s_and_not1_b32 vcc_lo, exec_lo, s41
.LBB122_31:
	v_mov_b32_e32 v2, 0
	v_mad_i32_i24 v4, 0xffffffd4, v0, v1
	flat_load_b32 v2, v2, s[38:39]
	s_wait_xcnt 0x0
	s_mov_b32 s38, exec_lo
	s_wait_dscnt 0x1
	ds_store_b32 v4, v9 offset:12288
	s_wait_loadcnt_dscnt 0x0
	s_barrier_signal -1
	s_barrier_wait -1
	v_cmpx_ne_u32_e32 0, v0
; %bb.32:
	v_mul_i32_i24_e32 v2, 0xffffffd4, v0
	s_delay_alu instid0(VALU_DEP_1)
	v_add_nc_u32_e32 v2, v1, v2
	ds_load_b32 v2, v2 offset:12284
; %bb.33:
	s_or_b32 exec_lo, exec_lo, s38
	s_wait_dscnt 0x0
	s_barrier_signal -1
	s_barrier_wait -1
                                        ; implicit-def: $vgpr5
	s_and_saveexec_b32 s38, s0
	s_cbranch_execnz .LBB122_72
; %bb.34:
	s_or_b32 exec_lo, exec_lo, s38
                                        ; implicit-def: $vgpr18
	s_and_saveexec_b32 s0, s1
	s_cbranch_execnz .LBB122_73
.LBB122_35:
	s_or_b32 exec_lo, exec_lo, s0
                                        ; implicit-def: $vgpr19
	s_and_saveexec_b32 s0, s2
	s_cbranch_execnz .LBB122_74
.LBB122_36:
	s_or_b32 exec_lo, exec_lo, s0
                                        ; implicit-def: $vgpr20
	s_and_saveexec_b32 s0, s3
	s_cbranch_execnz .LBB122_75
.LBB122_37:
	s_or_b32 exec_lo, exec_lo, s0
                                        ; implicit-def: $vgpr21
	s_and_saveexec_b32 s0, s4
	s_cbranch_execnz .LBB122_76
.LBB122_38:
	s_or_b32 exec_lo, exec_lo, s0
                                        ; implicit-def: $vgpr22
	s_and_saveexec_b32 s0, s5
	s_cbranch_execnz .LBB122_77
.LBB122_39:
	s_or_b32 exec_lo, exec_lo, s0
                                        ; implicit-def: $vgpr23
	s_and_saveexec_b32 s0, s6
	s_cbranch_execnz .LBB122_78
.LBB122_40:
	s_or_b32 exec_lo, exec_lo, s0
                                        ; implicit-def: $vgpr24
	s_and_saveexec_b32 s0, s7
	s_cbranch_execnz .LBB122_79
.LBB122_41:
	s_or_b32 exec_lo, exec_lo, s0
                                        ; implicit-def: $vgpr25
	s_and_saveexec_b32 s0, s8
	s_cbranch_execnz .LBB122_80
.LBB122_42:
	s_or_b32 exec_lo, exec_lo, s0
                                        ; implicit-def: $vgpr26
	s_and_saveexec_b32 s0, s9
	s_cbranch_execnz .LBB122_81
.LBB122_43:
	s_or_b32 exec_lo, exec_lo, s0
                                        ; implicit-def: $vgpr27
	s_and_saveexec_b32 s0, s10
	s_cbranch_execnz .LBB122_82
.LBB122_44:
	s_or_b32 exec_lo, exec_lo, s0
                                        ; implicit-def: $vgpr28
	s_and_saveexec_b32 s0, s11
	s_cbranch_execz .LBB122_46
.LBB122_45:
	flat_load_b32 v28, v0, s[12:13] offset:11264 scale_offset
.LBB122_46:
	s_wait_xcnt 0x0
	s_or_b32 exec_lo, exec_lo, s0
	s_wait_loadcnt_dscnt 0x0
	ds_store_2addr_stride64_b32 v3, v5, v18 offset1:4
	ds_store_2addr_stride64_b32 v3, v19, v20 offset0:8 offset1:12
	ds_store_2addr_stride64_b32 v3, v21, v22 offset0:16 offset1:20
	;; [unrolled: 1-line block ×5, first 2 shown]
	v_mov_b64_e32 v[18:19], 0
	v_mov_b64_e32 v[42:43], 0
	;; [unrolled: 1-line block ×20, first 2 shown]
	v_mul_u32_u24_e32 v4, 12, v0
	s_mov_b32 s2, 0
	s_mov_b32 s1, 0
	s_mov_b32 s4, exec_lo
	s_wait_dscnt 0x0
	s_barrier_signal -1
	s_barrier_wait -1
                                        ; implicit-def: $sgpr3
                                        ; implicit-def: $vgpr5
	v_cmpx_gt_u32_e64 s40, v4
	s_cbranch_execz .LBB122_68
; %bb.47:
	ds_load_b32 v18, v1
	v_cmp_ne_u32_e32 vcc_lo, v2, v14
	v_mov_b64_e32 v[42:43], 0
	v_mov_b64_e32 v[46:47], 0
	;; [unrolled: 1-line block ×18, first 2 shown]
	v_or_b32_e32 v3, 1, v4
	v_cndmask_b32_e64 v19, 0, 1, vcc_lo
	s_mov_b32 s0, 0
	s_mov_b32 s1, exec_lo
                                        ; implicit-def: $sgpr3
                                        ; implicit-def: $vgpr5
	s_delay_alu instid0(VALU_DEP_2)
	v_cmpx_gt_u32_e64 s40, v3
	s_cbranch_execz .LBB122_67
; %bb.48:
	ds_load_2addr_b32 v[42:43], v1 offset0:1 offset1:2
	v_cmp_ne_u32_e32 vcc_lo, v14, v15
	v_mov_b64_e32 v[46:47], 0
	v_mov_b64_e32 v[44:45], 0
	;; [unrolled: 1-line block ×16, first 2 shown]
	v_or_b32_e32 v3, 2, v4
	v_cndmask_b32_e64 v2, 0, 1, vcc_lo
	s_mov_b32 s5, exec_lo
                                        ; implicit-def: $sgpr3
                                        ; implicit-def: $vgpr5
	s_delay_alu instid0(VALU_DEP_2)
	v_cmpx_gt_u32_e64 s40, v3
	s_cbranch_execz .LBB122_66
; %bb.49:
	v_cmp_ne_u32_e32 vcc_lo, v15, v16
	v_mov_b64_e32 v[44:45], 0
	v_mov_b64_e32 v[48:49], 0
	;; [unrolled: 1-line block ×14, first 2 shown]
	v_or_b32_e32 v3, 3, v4
	v_cndmask_b32_e64 v47, 0, 1, vcc_lo
	s_mov_b32 s6, exec_lo
                                        ; implicit-def: $sgpr3
                                        ; implicit-def: $vgpr5
	s_delay_alu instid0(VALU_DEP_2)
	v_cmpx_gt_u32_e64 s40, v3
	s_cbranch_execz .LBB122_65
; %bb.50:
	ds_load_2addr_b32 v[44:45], v1 offset0:3 offset1:4
	v_add_nc_u32_e32 v5, 4, v4
	v_cmp_ne_u32_e32 vcc_lo, v16, v17
	v_mov_b64_e32 v[48:49], 0
	v_mov_b64_e32 v[50:51], 0
	;; [unrolled: 1-line block ×12, first 2 shown]
	v_cndmask_b32_e64 v3, 0, 1, vcc_lo
	v_cmp_gt_u32_e32 vcc_lo, s40, v5
                                        ; implicit-def: $sgpr3
                                        ; implicit-def: $vgpr5
	s_and_saveexec_b32 s7, vcc_lo
	s_cbranch_execz .LBB122_64
; %bb.51:
	v_add_nc_u32_e32 v5, 5, v4
	v_cmp_ne_u32_e32 vcc_lo, v17, v10
	v_mov_b64_e32 v[50:51], 0
	v_mov_b64_e32 v[52:53], 0
	;; [unrolled: 1-line block ×10, first 2 shown]
	v_cndmask_b32_e64 v49, 0, 1, vcc_lo
	v_cmp_gt_u32_e32 vcc_lo, s40, v5
                                        ; implicit-def: $sgpr3
                                        ; implicit-def: $vgpr5
	s_and_saveexec_b32 s8, vcc_lo
	s_cbranch_execz .LBB122_63
; %bb.52:
	ds_load_2addr_b32 v[50:51], v1 offset0:5 offset1:6
	v_add_nc_u32_e32 v5, 6, v4
	v_cmp_ne_u32_e32 vcc_lo, v10, v11
	v_mov_b64_e32 v[52:53], 0
	v_mov_b64_e32 v[54:55], 0
	;; [unrolled: 1-line block ×8, first 2 shown]
	v_cndmask_b32_e64 v10, 0, 1, vcc_lo
	v_cmp_gt_u32_e32 vcc_lo, s40, v5
                                        ; implicit-def: $sgpr3
                                        ; implicit-def: $vgpr5
	s_and_saveexec_b32 s9, vcc_lo
	s_cbranch_execz .LBB122_62
; %bb.53:
	v_add_nc_u32_e32 v5, 7, v4
	v_cmp_ne_u32_e32 vcc_lo, v11, v12
	v_mov_b64_e32 v[54:55], 0
	v_mov_b64_e32 v[56:57], 0
	;; [unrolled: 1-line block ×6, first 2 shown]
	v_cndmask_b32_e64 v53, 0, 1, vcc_lo
	v_cmp_gt_u32_e32 vcc_lo, s40, v5
                                        ; implicit-def: $sgpr3
                                        ; implicit-def: $vgpr5
	s_and_saveexec_b32 s10, vcc_lo
	s_cbranch_execz .LBB122_61
; %bb.54:
	ds_load_2addr_b32 v[54:55], v1 offset0:7 offset1:8
	v_add_nc_u32_e32 v5, 8, v4
	v_cmp_ne_u32_e32 vcc_lo, v12, v13
	v_mov_b64_e32 v[56:57], 0
	v_mov_b64_e32 v[58:59], 0
	;; [unrolled: 1-line block ×4, first 2 shown]
	v_cndmask_b32_e64 v11, 0, 1, vcc_lo
	v_cmp_gt_u32_e32 vcc_lo, s40, v5
                                        ; implicit-def: $sgpr3
                                        ; implicit-def: $vgpr5
	s_and_saveexec_b32 s11, vcc_lo
	s_cbranch_execz .LBB122_60
; %bb.55:
	v_add_nc_u32_e32 v5, 9, v4
	v_cmp_ne_u32_e32 vcc_lo, v13, v6
	v_mov_b64_e32 v[58:59], 0
	v_mov_b64_e32 v[20:21], 0
                                        ; implicit-def: $sgpr3
	v_cndmask_b32_e64 v57, 0, 1, vcc_lo
	v_cmp_gt_u32_e32 vcc_lo, s40, v5
                                        ; implicit-def: $vgpr5
	s_and_saveexec_b32 s38, vcc_lo
	s_cbranch_execz .LBB122_59
; %bb.56:
	ds_load_2addr_b32 v[58:59], v1 offset0:9 offset1:10
	v_add_nc_u32_e32 v5, 10, v4
	v_cmp_ne_u32_e32 vcc_lo, v6, v7
	v_mov_b64_e32 v[20:21], 0
                                        ; implicit-def: $sgpr3
	v_cndmask_b32_e64 v6, 0, 1, vcc_lo
	s_delay_alu instid0(VALU_DEP_4) | instskip(SKIP_1) | instid1(SALU_CYCLE_1)
	v_cmp_gt_u32_e32 vcc_lo, s40, v5
                                        ; implicit-def: $vgpr5
	s_and_saveexec_b32 s39, vcc_lo
	s_xor_b32 s39, exec_lo, s39
	s_cbranch_execz .LBB122_58
; %bb.57:
	ds_load_b32 v5, v1 offset:44
	s_wait_dscnt 0x1
	v_dual_mov_b32 v20, v59 :: v_dual_add_nc_u32 v1, 11, v4
	v_cmp_ne_u32_e64 s0, v7, v8
	v_cmp_ne_u32_e64 s3, v8, v9
	s_delay_alu instid0(VALU_DEP_3) | instskip(NEXT) | instid1(VALU_DEP_3)
	v_cmp_gt_u32_e32 vcc_lo, s40, v1
	v_cndmask_b32_e64 v21, 0, 1, s0
	s_and_b32 s0, vcc_lo, exec_lo
.LBB122_58:
	s_or_b32 exec_lo, exec_lo, s39
	s_wait_dscnt 0x0
	v_mov_b32_e32 v59, v6
	s_and_b32 s0, s0, exec_lo
.LBB122_59:
	s_or_b32 exec_lo, exec_lo, s38
	s_delay_alu instid0(VALU_DEP_1)
	v_mov_b64_e32 v[22:23], v[58:59]
	s_wait_dscnt 0x0
	v_mov_b32_e32 v56, v55
	s_and_b32 s0, s0, exec_lo
.LBB122_60:
	s_or_b32 exec_lo, exec_lo, s11
	s_delay_alu instid0(VALU_DEP_1)
	v_mov_b64_e32 v[24:25], v[56:57]
	s_wait_dscnt 0x0
	v_mov_b32_e32 v55, v11
	s_and_b32 s0, s0, exec_lo
.LBB122_61:
	s_or_b32 exec_lo, exec_lo, s10
	s_delay_alu instid0(VALU_DEP_1)
	v_mov_b64_e32 v[26:27], v[54:55]
	s_wait_dscnt 0x0
	v_mov_b32_e32 v52, v51
	s_and_b32 s0, s0, exec_lo
.LBB122_62:
	s_or_b32 exec_lo, exec_lo, s9
	s_delay_alu instid0(VALU_DEP_1)
	v_mov_b64_e32 v[28:29], v[52:53]
	s_wait_dscnt 0x0
	v_mov_b32_e32 v51, v10
	s_and_b32 s0, s0, exec_lo
.LBB122_63:
	s_or_b32 exec_lo, exec_lo, s8
	s_delay_alu instid0(VALU_DEP_1)
	v_mov_b64_e32 v[30:31], v[50:51]
	s_wait_dscnt 0x0
	v_mov_b32_e32 v48, v45
	s_and_b32 s0, s0, exec_lo
.LBB122_64:
	s_or_b32 exec_lo, exec_lo, s7
	s_delay_alu instid0(VALU_DEP_1)
	v_mov_b64_e32 v[32:33], v[48:49]
	s_wait_dscnt 0x0
	v_mov_b32_e32 v45, v3
	s_and_b32 s0, s0, exec_lo
.LBB122_65:
	s_or_b32 exec_lo, exec_lo, s6
	s_delay_alu instid0(VALU_DEP_1)
	v_mov_b64_e32 v[34:35], v[44:45]
	s_wait_dscnt 0x0
	v_mov_b32_e32 v46, v43
	s_and_b32 s0, s0, exec_lo
.LBB122_66:
	s_or_b32 exec_lo, exec_lo, s5
	s_delay_alu instid0(VALU_DEP_1)
	v_mov_b64_e32 v[36:37], v[46:47]
	s_wait_dscnt 0x0
	v_mov_b32_e32 v43, v2
	s_and_b32 s0, s0, exec_lo
.LBB122_67:
	s_or_b32 exec_lo, exec_lo, s1
	s_delay_alu instid0(VALU_DEP_1)
	v_mov_b64_e32 v[38:39], v[42:43]
	s_and_b32 s1, s0, exec_lo
.LBB122_68:
	s_or_b32 exec_lo, exec_lo, s4
	v_lshlrev_b32_e32 v16, 2, v0
	s_and_b32 vcc_lo, exec_lo, s2
	s_cbranch_vccz .LBB122_88
.LBB122_69:
	s_clause 0xb
	flat_load_b32 v2, v0, s[30:31] scale_offset
	flat_load_b32 v3, v0, s[30:31] offset:1024 scale_offset
	flat_load_b32 v4, v0, s[30:31] offset:2048 scale_offset
	;; [unrolled: 1-line block ×11, first 2 shown]
	v_mad_u32_u24 v1, v0, 44, v16
	v_mov_b32_e32 v14, 0
	s_cmp_eq_u64 s[36:37], 0
	s_wait_loadcnt_dscnt 0xa0a
	ds_store_2addr_stride64_b32 v16, v2, v3 offset1:4
	s_wait_loadcnt_dscnt 0x809
	ds_store_2addr_stride64_b32 v16, v4, v5 offset0:8 offset1:12
	s_wait_loadcnt_dscnt 0x608
	ds_store_2addr_stride64_b32 v16, v6, v7 offset0:16 offset1:20
	s_wait_loadcnt_dscnt 0x407
	ds_store_2addr_stride64_b32 v16, v8, v9 offset0:24 offset1:28
	s_wait_loadcnt_dscnt 0x206
	ds_store_2addr_stride64_b32 v16, v10, v11 offset0:32 offset1:36
	s_wait_loadcnt_dscnt 0x5
	ds_store_2addr_stride64_b32 v16, v12, v13 offset0:40 offset1:44
	s_wait_dscnt 0x0
	s_barrier_signal -1
	s_barrier_wait -1
	ds_load_b128 v[2:5], v1
	ds_load_b128 v[10:13], v1 offset:16
	ds_load_b128 v[6:9], v1 offset:32
	s_cbranch_scc1 .LBB122_85
; %bb.70:
	s_and_not1_b32 vcc_lo, exec_lo, s33
	s_cbranch_vccnz .LBB122_83
; %bb.71:
	s_lshl_b64 s[0:1], s[36:37], 2
	s_delay_alu instid0(SALU_CYCLE_1) | instskip(NEXT) | instid1(SALU_CYCLE_1)
	s_add_nc_u64 s[0:1], s[22:23], s[0:1]
	s_add_nc_u64 s[30:31], s[0:1], -4
	s_mov_b32 s0, 0
	s_branch .LBB122_84
.LBB122_72:
	flat_load_b32 v5, v0, s[12:13] scale_offset
	s_wait_xcnt 0x0
	s_or_b32 exec_lo, exec_lo, s38
                                        ; implicit-def: $vgpr18
	s_and_saveexec_b32 s0, s1
	s_cbranch_execz .LBB122_35
.LBB122_73:
	flat_load_b32 v18, v0, s[12:13] offset:1024 scale_offset
	s_wait_xcnt 0x0
	s_or_b32 exec_lo, exec_lo, s0
                                        ; implicit-def: $vgpr19
	s_and_saveexec_b32 s0, s2
	s_cbranch_execz .LBB122_36
.LBB122_74:
	flat_load_b32 v19, v0, s[12:13] offset:2048 scale_offset
	s_wait_xcnt 0x0
	s_or_b32 exec_lo, exec_lo, s0
                                        ; implicit-def: $vgpr20
	s_and_saveexec_b32 s0, s3
	s_cbranch_execz .LBB122_37
.LBB122_75:
	flat_load_b32 v20, v0, s[12:13] offset:3072 scale_offset
	s_wait_xcnt 0x0
	s_or_b32 exec_lo, exec_lo, s0
                                        ; implicit-def: $vgpr21
	s_and_saveexec_b32 s0, s4
	s_cbranch_execz .LBB122_38
.LBB122_76:
	flat_load_b32 v21, v0, s[12:13] offset:4096 scale_offset
	s_wait_xcnt 0x0
	s_or_b32 exec_lo, exec_lo, s0
                                        ; implicit-def: $vgpr22
	s_and_saveexec_b32 s0, s5
	s_cbranch_execz .LBB122_39
.LBB122_77:
	flat_load_b32 v22, v0, s[12:13] offset:5120 scale_offset
	s_wait_xcnt 0x0
	s_or_b32 exec_lo, exec_lo, s0
                                        ; implicit-def: $vgpr23
	s_and_saveexec_b32 s0, s6
	s_cbranch_execz .LBB122_40
.LBB122_78:
	flat_load_b32 v23, v0, s[12:13] offset:6144 scale_offset
	s_wait_xcnt 0x0
	s_or_b32 exec_lo, exec_lo, s0
                                        ; implicit-def: $vgpr24
	s_and_saveexec_b32 s0, s7
	s_cbranch_execz .LBB122_41
.LBB122_79:
	flat_load_b32 v24, v0, s[12:13] offset:7168 scale_offset
	s_wait_xcnt 0x0
	s_or_b32 exec_lo, exec_lo, s0
                                        ; implicit-def: $vgpr25
	s_and_saveexec_b32 s0, s8
	s_cbranch_execz .LBB122_42
.LBB122_80:
	flat_load_b32 v25, v0, s[12:13] offset:8192 scale_offset
	s_wait_xcnt 0x0
	s_or_b32 exec_lo, exec_lo, s0
                                        ; implicit-def: $vgpr26
	s_and_saveexec_b32 s0, s9
	s_cbranch_execz .LBB122_43
.LBB122_81:
	flat_load_b32 v26, v0, s[12:13] offset:9216 scale_offset
	s_wait_xcnt 0x0
	s_or_b32 exec_lo, exec_lo, s0
                                        ; implicit-def: $vgpr27
	s_and_saveexec_b32 s0, s10
	s_cbranch_execz .LBB122_44
.LBB122_82:
	flat_load_b32 v27, v0, s[12:13] offset:10240 scale_offset
	s_wait_xcnt 0x0
	s_or_b32 exec_lo, exec_lo, s0
                                        ; implicit-def: $vgpr28
	s_and_saveexec_b32 s0, s11
	s_cbranch_execnz .LBB122_45
	s_branch .LBB122_46
.LBB122_83:
	s_add_nc_u64 s[30:31], s[30:31], -4
	s_mov_b32 s0, -1
.LBB122_84:
	s_delay_alu instid0(SALU_CYCLE_1)
	s_and_not1_b32 vcc_lo, exec_lo, s0
.LBB122_85:
	flat_load_b32 v14, v14, s[30:31]
	v_mad_i32_i24 v15, 0xffffffd4, v0, v1
	s_mov_b32 s0, exec_lo
	s_wait_dscnt 0x1
	ds_store_b32 v15, v9 offset:12288
	s_wait_loadcnt_dscnt 0x0
	s_barrier_signal -1
	s_barrier_wait -1
	v_cmpx_ne_u32_e32 0, v0
; %bb.86:
	v_mul_i32_i24_e32 v14, 0xffffffd4, v0
	s_delay_alu instid0(VALU_DEP_1)
	v_add_nc_u32_e32 v14, v1, v14
	ds_load_b32 v14, v14 offset:12284
; %bb.87:
	s_or_b32 exec_lo, exec_lo, s0
	s_wait_dscnt 0x0
	s_barrier_signal -1
	s_barrier_wait -1
	s_clause 0xb
	flat_load_b32 v15, v0, s[12:13] scale_offset
	flat_load_b32 v17, v0, s[12:13] offset:1024 scale_offset
	flat_load_b32 v18, v0, s[12:13] offset:2048 scale_offset
	;; [unrolled: 1-line block ×11, first 2 shown]
	v_cmp_ne_u32_e32 vcc_lo, v14, v2
	v_cmp_ne_u32_e64 s3, v8, v9
	s_mov_b32 s1, -1
	s_wait_loadcnt_dscnt 0xa0a
	ds_store_2addr_stride64_b32 v16, v15, v17 offset1:4
	s_wait_loadcnt_dscnt 0x809
	ds_store_2addr_stride64_b32 v16, v18, v20 offset0:8 offset1:12
	s_wait_loadcnt_dscnt 0x608
	ds_store_2addr_stride64_b32 v16, v21, v22 offset0:16 offset1:20
	;; [unrolled: 2-line block ×5, first 2 shown]
	v_cndmask_b32_e64 v19, 0, 1, vcc_lo
	v_cmp_ne_u32_e32 vcc_lo, v2, v3
	s_wait_dscnt 0x0
	s_barrier_signal -1
	s_barrier_wait -1
	v_cndmask_b32_e64 v43, 0, 1, vcc_lo
	v_cmp_ne_u32_e32 vcc_lo, v3, v4
	ds_load_b128 v[22:25], v1
	ds_load_b128 v[26:29], v1 offset:16
	v_cndmask_b32_e64 v47, 0, 1, vcc_lo
	v_cmp_ne_u32_e32 vcc_lo, v4, v5
	v_cndmask_b32_e64 v45, 0, 1, vcc_lo
	v_cmp_ne_u32_e32 vcc_lo, v5, v10
	ds_load_b128 v[2:5], v1 offset:32
	v_cndmask_b32_e64 v49, 0, 1, vcc_lo
	v_cmp_ne_u32_e32 vcc_lo, v10, v11
	s_wait_dscnt 0x2
	v_dual_mov_b32 v18, v22 :: v_dual_mov_b32 v42, v23
	v_cndmask_b32_e64 v51, 0, 1, vcc_lo
	v_cmp_ne_u32_e32 vcc_lo, v11, v12
	v_dual_mov_b32 v46, v24 :: v_dual_mov_b32 v44, v25
	s_wait_dscnt 0x1
	v_dual_mov_b32 v48, v26 :: v_dual_mov_b32 v50, v27
	v_cndmask_b32_e64 v53, 0, 1, vcc_lo
	v_cmp_ne_u32_e32 vcc_lo, v12, v13
	v_dual_mov_b32 v52, v28 :: v_dual_mov_b32 v54, v29
	s_wait_dscnt 0x0
	v_dual_mov_b32 v56, v2 :: v_dual_mov_b32 v58, v3
	v_cndmask_b32_e64 v55, 0, 1, vcc_lo
	v_cmp_ne_u32_e32 vcc_lo, v13, v6
	v_mov_b64_e32 v[38:39], v[42:43]
	v_mov_b64_e32 v[36:37], v[46:47]
	;; [unrolled: 1-line block ×4, first 2 shown]
	v_cndmask_b32_e64 v57, 0, 1, vcc_lo
	v_cmp_ne_u32_e32 vcc_lo, v6, v7
	v_mov_b64_e32 v[30:31], v[50:51]
	v_mov_b64_e32 v[28:29], v[52:53]
	;; [unrolled: 1-line block ×4, first 2 shown]
	v_cndmask_b32_e64 v59, 0, 1, vcc_lo
	v_cmp_ne_u32_e32 vcc_lo, v7, v8
	v_mov_b32_e32 v20, v4
	s_delay_alu instid0(VALU_DEP_3)
	v_mov_b64_e32 v[22:23], v[58:59]
	v_cndmask_b32_e64 v21, 0, 1, vcc_lo
.LBB122_88:
	v_mov_b64_e32 v[40:41], 0
	s_and_saveexec_b32 s0, s1
	s_cbranch_execz .LBB122_90
; %bb.89:
	v_mov_b64_e32 v[22:23], v[58:59]
	v_mov_b64_e32 v[24:25], v[56:57]
	;; [unrolled: 1-line block ×9, first 2 shown]
	v_cndmask_b32_e64 v41, 0, 1, s3
	v_mov_b32_e32 v40, v5
.LBB122_90:
	s_or_b32 exec_lo, exec_lo, s0
	v_dual_lshrrev_b32 v1, 2, v0 :: v_dual_bitop2_b32 v42, v27, v25 bitop3:0x54
	v_or_b32_e32 v17, v23, v21
	s_cmp_lg_u32 s20, 0
	s_wait_dscnt 0x0
	v_cmp_gt_u32_e32 vcc_lo, 32, v0
	s_barrier_signal -1
	s_barrier_wait -1
	s_cbranch_scc0 .LBB122_118
; %bb.91:
	s_mov_b64 s[10:11], 0x100000000
	v_or3_b32 v3, v42, v29, v31
	v_cmp_gt_u64_e64 s0, s[10:11], v[38:39]
	v_cmp_gt_u64_e64 s1, s[10:11], v[36:37]
	;; [unrolled: 1-line block ×7, first 2 shown]
	v_dual_cndmask_b32 v2, 0, v18, s0 :: v_dual_bitop2_b32 v5, 56, v1 bitop3:0x40
	v_cmp_gt_u64_e64 s7, s[10:11], v[24:25]
	v_cmp_gt_u64_e64 s8, s[10:11], v[22:23]
	v_cmp_gt_u64_e64 s9, s[10:11], v[20:21]
	v_cmp_gt_u64_e64 s10, s[10:11], v[40:41]
	v_add_nc_u32_e32 v2, v2, v38
	v_or3_b32 v3, v3, v33, v35
	v_lshl_add_u32 v5, v0, 3, v5
	s_delay_alu instid0(VALU_DEP_3) | instskip(NEXT) | instid1(VALU_DEP_3)
	v_cndmask_b32_e64 v2, 0, v2, s1
	v_or3_b32 v3, v3, v37, v39
	s_delay_alu instid0(VALU_DEP_2) | instskip(NEXT) | instid1(VALU_DEP_2)
	v_add_nc_u32_e32 v2, v2, v36
	v_or3_b32 v3, v41, v17, v3
	s_delay_alu instid0(VALU_DEP_2) | instskip(NEXT) | instid1(VALU_DEP_2)
	v_cndmask_b32_e64 v2, 0, v2, s2
	v_and_b32_e32 v3, 0xff, v3
	s_delay_alu instid0(VALU_DEP_2) | instskip(NEXT) | instid1(VALU_DEP_1)
	v_add_nc_u32_e32 v2, v2, v34
	v_cndmask_b32_e64 v2, 0, v2, s3
	s_delay_alu instid0(VALU_DEP_1) | instskip(NEXT) | instid1(VALU_DEP_1)
	v_add_nc_u32_e32 v2, v2, v32
	v_cndmask_b32_e64 v2, 0, v2, s4
	s_delay_alu instid0(VALU_DEP_1) | instskip(NEXT) | instid1(VALU_DEP_1)
	;; [unrolled: 3-line block ×7, first 2 shown]
	v_dual_add_nc_u32 v4, v2, v20 :: v_dual_mov_b32 v2, 0
	v_cndmask_b32_e64 v4, 0, v4, s10
	s_delay_alu instid0(VALU_DEP_2) | instskip(NEXT) | instid1(VALU_DEP_1)
	v_cmp_eq_u64_e64 s11, 0, v[2:3]
	v_dual_add_nc_u32 v12, v4, v40 :: v_dual_cndmask_b32 v13, 1, v19, s11
	ds_store_b32 v5, v12
	ds_store_b8 v5, v13 offset:4
	s_wait_dscnt 0x0
	s_barrier_signal -1
	s_barrier_wait -1
	s_and_saveexec_b32 s12, vcc_lo
	s_cbranch_execz .LBB122_101
; %bb.92:
	v_dual_lshlrev_b32 v2, 1, v0 :: v_dual_lshlrev_b32 v3, 6, v0
	s_mov_b32 s13, exec_lo
	s_delay_alu instid0(VALU_DEP_1) | instskip(NEXT) | instid1(VALU_DEP_1)
	v_and_b32_e32 v2, 0x1f8, v2
	v_add_nc_u32_e32 v4, v2, v3
	ds_load_u8 v5, v4 offset:12
	ds_load_b64 v[2:3], v4
	ds_load_2addr_b32 v[6:7], v4 offset0:2 offset1:4
	ds_load_u8 v10, v4 offset:20
	ds_load_u8 v11, v4 offset:28
	;; [unrolled: 1-line block ×5, first 2 shown]
	ds_load_b32 v44, v4 offset:56
	s_wait_dscnt 0x8
	v_cmp_eq_u16_e64 s11, 0, v5
	s_wait_dscnt 0x5
	s_delay_alu instid0(VALU_DEP_1)
	v_dual_cndmask_b32 v45, 0, v2, s11 :: v_dual_bitop2_b32 v5, v10, v5 bitop3:0x54
	ds_load_2addr_b32 v[8:9], v4 offset0:6 offset1:8
	v_cmp_eq_u16_e64 s11, 0, v10
	s_wait_dscnt 0x4
	v_bitop3_b16 v5, v5, v14, v11 bitop3:0xfe
	v_add_nc_u32_e32 v6, v45, v6
	s_delay_alu instid0(VALU_DEP_1) | instskip(SKIP_1) | instid1(VALU_DEP_2)
	v_cndmask_b32_e64 v6, 0, v6, s11
	v_cmp_eq_u16_e64 s11, 0, v11
	v_add_nc_u32_e32 v6, v6, v7
	s_delay_alu instid0(VALU_DEP_1)
	v_cndmask_b32_e64 v45, 0, v6, s11
	ds_load_2addr_b32 v[6:7], v4 offset0:10 offset1:12
	v_cmp_eq_u16_e64 s11, 0, v14
	s_wait_dscnt 0x1
	v_add_nc_u32_e32 v8, v45, v8
	ds_load_u8 v45, v4 offset:60
	v_cndmask_b32_e64 v8, 0, v8, s11
	v_cmp_eq_u16_e64 s11, 0, v15
	s_delay_alu instid0(VALU_DEP_2) | instskip(SKIP_1) | instid1(VALU_DEP_2)
	v_add_nc_u32_e32 v8, v8, v9
	v_bitop3_b16 v9, v5, v43, v15 bitop3:0xfe
	v_dual_cndmask_b32 v8, 0, v8, s11 :: v_dual_bitop2_b32 v5, 1, v3 bitop3:0x40
	s_delay_alu instid0(VALU_DEP_2) | instskip(SKIP_1) | instid1(VALU_DEP_2)
	v_cmp_eq_u16_e64 s11, 0, v9
	s_wait_dscnt 0x0
	v_dual_add_nc_u32 v6, v8, v6 :: v_dual_bitop2_b32 v8, 1, v45 bitop3:0x40
	s_delay_alu instid0(VALU_DEP_2) | instskip(SKIP_1) | instid1(VALU_DEP_1)
	v_cndmask_b32_e64 v9, 1, v5, s11
	v_cmp_eq_u16_e64 s11, 0, v43
	v_cndmask_b32_e64 v6, 0, v6, s11
	s_delay_alu instid0(VALU_DEP_4) | instskip(SKIP_1) | instid1(VALU_DEP_2)
	v_cmp_eq_u32_e64 s11, 1, v8
	v_mbcnt_lo_u32_b32 v8, -1, 0
	v_cndmask_b32_e64 v9, v9, 1, s11
	v_cmp_eq_u16_e64 s11, 0, v45
	s_delay_alu instid0(VALU_DEP_2) | instskip(SKIP_2) | instid1(VALU_DEP_1)
	v_and_b32_e32 v10, 0xffff, v9
	v_add_nc_u32_e32 v7, v6, v7
	v_and_b32_e32 v6, 0xffffff00, v3
	v_dual_cndmask_b32 v7, 0, v7, s11 :: v_dual_bitop2_b32 v11, v6, v10 bitop3:0x54
	v_and_b32_e32 v10, 15, v8
	s_delay_alu instid0(VALU_DEP_2) | instskip(NEXT) | instid1(VALU_DEP_3)
	v_mov_b32_dpp v15, v11 row_shr:1 row_mask:0xf bank_mask:0xf
	v_add_nc_u32_e32 v7, v7, v44
	s_delay_alu instid0(VALU_DEP_1) | instskip(NEXT) | instid1(VALU_DEP_4)
	v_mov_b32_dpp v14, v7 row_shr:1 row_mask:0xf bank_mask:0xf
	v_cmpx_ne_u32_e32 0, v10
	s_cbranch_execz .LBB122_94
; %bb.93:
	v_and_b32_e32 v11, 1, v9
	v_and_b32_e32 v15, 1, v15
	s_delay_alu instid0(VALU_DEP_2) | instskip(NEXT) | instid1(VALU_DEP_1)
	v_cmp_eq_u32_e64 s11, 1, v11
	v_cndmask_b32_e64 v15, v15, 1, s11
	v_cmp_eq_u16_e64 s11, 0, v9
	s_delay_alu instid0(VALU_DEP_2) | instskip(NEXT) | instid1(VALU_DEP_1)
	v_and_b32_e32 v11, 0xffff, v15
	v_dual_cndmask_b32 v9, 0, v14, s11 :: v_dual_bitop2_b32 v11, v6, v11 bitop3:0x54
	s_delay_alu instid0(VALU_DEP_1)
	v_dual_add_nc_u32 v7, v9, v7 :: v_dual_mov_b32 v9, v15
.LBB122_94:
	s_or_b32 exec_lo, exec_lo, s13
	s_delay_alu instid0(VALU_DEP_1) | instskip(NEXT) | instid1(VALU_DEP_3)
	v_mov_b32_dpp v14, v7 row_shr:2 row_mask:0xf bank_mask:0xf
	v_mov_b32_dpp v15, v11 row_shr:2 row_mask:0xf bank_mask:0xf
	s_mov_b32 s13, exec_lo
	v_cmpx_lt_u32_e32 1, v10
	s_cbranch_execz .LBB122_96
; %bb.95:
	v_and_b32_e32 v11, 1, v9
	v_and_b32_e32 v15, 1, v15
	s_delay_alu instid0(VALU_DEP_2) | instskip(NEXT) | instid1(VALU_DEP_1)
	v_cmp_eq_u32_e64 s11, 1, v11
	v_cndmask_b32_e64 v15, v15, 1, s11
	v_cmp_eq_u16_e64 s11, 0, v9
	s_delay_alu instid0(VALU_DEP_2) | instskip(NEXT) | instid1(VALU_DEP_1)
	v_and_b32_e32 v11, 0xffff, v15
	v_dual_cndmask_b32 v9, 0, v14, s11 :: v_dual_bitop2_b32 v11, v6, v11 bitop3:0x54
	s_delay_alu instid0(VALU_DEP_1)
	v_dual_add_nc_u32 v7, v9, v7 :: v_dual_mov_b32 v9, v15
.LBB122_96:
	s_or_b32 exec_lo, exec_lo, s13
	s_delay_alu instid0(VALU_DEP_1) | instskip(NEXT) | instid1(VALU_DEP_3)
	v_mov_b32_dpp v14, v7 row_shr:4 row_mask:0xf bank_mask:0xf
	v_mov_b32_dpp v15, v11 row_shr:4 row_mask:0xf bank_mask:0xf
	s_mov_b32 s13, exec_lo
	v_cmpx_lt_u32_e32 3, v10
	;; [unrolled: 20-line block ×3, first 2 shown]
	s_cbranch_execz .LBB122_100
; %bb.99:
	v_and_b32_e32 v10, 1, v9
	v_and_b32_e32 v11, 1, v15
	s_delay_alu instid0(VALU_DEP_2) | instskip(NEXT) | instid1(VALU_DEP_1)
	v_cmp_eq_u32_e64 s11, 1, v10
	v_cndmask_b32_e64 v10, v11, 1, s11
	v_cmp_eq_u16_e64 s11, 0, v9
	s_delay_alu instid0(VALU_DEP_2) | instskip(NEXT) | instid1(VALU_DEP_1)
	v_and_b32_e32 v11, 0xffff, v10
	v_dual_cndmask_b32 v9, 0, v14, s11 :: v_dual_bitop2_b32 v11, v6, v11 bitop3:0x54
	s_delay_alu instid0(VALU_DEP_1)
	v_dual_add_nc_u32 v7, v9, v7 :: v_dual_mov_b32 v9, v10
.LBB122_100:
	s_or_b32 exec_lo, exec_lo, s13
	ds_swizzle_b32 v10, v11 offset:swizzle(BROADCAST,32,15)
	ds_swizzle_b32 v11, v7 offset:swizzle(BROADCAST,32,15)
	v_and_b32_e32 v14, 1, v9
	v_bfe_i32 v43, v8, 4, 1
	v_and_b32_e32 v3, 0xff, v3
	; wave barrier
	s_delay_alu instid0(VALU_DEP_3) | instskip(SKIP_2) | instid1(VALU_DEP_1)
	v_cmp_eq_u32_e64 s11, 1, v14
	s_wait_dscnt 0x1
	v_dual_add_nc_u32 v14, -1, v8 :: v_dual_bitop2_b32 v10, 1, v10 bitop3:0x40
	v_cndmask_b32_e64 v10, v10, 1, s11
	v_and_b32_e32 v15, 16, v8
	v_cmp_eq_u16_e64 s11, 0, v9
	s_wait_dscnt 0x0
	s_delay_alu instid0(VALU_DEP_1) | instskip(NEXT) | instid1(VALU_DEP_3)
	v_cndmask_b32_e64 v11, 0, v11, s11
	v_cmp_eq_u32_e64 s11, 0, v15
	s_delay_alu instid0(VALU_DEP_1) | instskip(SKIP_1) | instid1(VALU_DEP_4)
	v_cndmask_b32_e64 v9, v10, v9, s11
	v_cmp_gt_i32_e64 s11, 0, v14
	v_and_b32_e32 v10, v43, v11
	s_delay_alu instid0(VALU_DEP_3) | instskip(NEXT) | instid1(VALU_DEP_3)
	v_and_b32_e32 v9, 0xffff, v9
	v_cndmask_b32_e64 v8, v14, v8, s11
	s_delay_alu instid0(VALU_DEP_3) | instskip(SKIP_1) | instid1(VALU_DEP_3)
	v_add_nc_u32_e32 v7, v10, v7
	v_cmp_eq_u16_e64 s11, 0, v3
	v_lshlrev_b32_e32 v8, 2, v8
	ds_bpermute_b32 v7, v8, v7
	s_wait_dscnt 0x0
	v_dual_cndmask_b32 v3, 0, v7, s11 :: v_dual_bitop2_b32 v6, v6, v9 bitop3:0x54
	ds_bpermute_b32 v6, v8, v6
	v_cmp_eq_u32_e64 s11, 1, v5
	v_add_nc_u32_e32 v2, v3, v2
	s_wait_dscnt 0x0
	v_and_b32_e32 v6, 1, v6
	s_delay_alu instid0(VALU_DEP_1) | instskip(SKIP_1) | instid1(VALU_DEP_1)
	v_cndmask_b32_e64 v3, v6, 1, s11
	v_cmp_eq_u32_e64 s11, 0, v0
	v_dual_cndmask_b32 v8, v3, v13, s11 :: v_dual_cndmask_b32 v5, v2, v12, s11
	ds_store_b32 v4, v5
	ds_store_b8 v4, v8 offset:4
	; wave barrier
	ds_load_u8 v9, v4 offset:12
	ds_load_2addr_b32 v[2:3], v4 offset0:2 offset1:4
	ds_load_u8 v10, v4 offset:20
	ds_load_u8 v11, v4 offset:28
	;; [unrolled: 1-line block ×5, first 2 shown]
	ds_load_b32 v44, v4 offset:56
	ds_load_u8 v45, v4 offset:60
	ds_load_2addr_b32 v[6:7], v4 offset0:6 offset1:8
	s_wait_dscnt 0x9
	v_cmp_eq_u16_e64 s11, 0, v9
	v_and_b32_e32 v9, 1, v9
	s_delay_alu instid0(VALU_DEP_2) | instskip(SKIP_2) | instid1(VALU_DEP_2)
	v_cndmask_b32_e64 v5, 0, v5, s11
	s_wait_dscnt 0x7
	v_cmp_eq_u16_e64 s11, 0, v10
	v_add_nc_u32_e32 v5, v5, v2
	s_delay_alu instid0(VALU_DEP_1) | instskip(SKIP_2) | instid1(VALU_DEP_2)
	v_cndmask_b32_e64 v2, 0, v5, s11
	s_wait_dscnt 0x6
	v_cmp_eq_u16_e64 s11, 0, v11
	v_add_nc_u32_e32 v46, v2, v3
	ds_load_2addr_b32 v[2:3], v4 offset0:10 offset1:12
	v_cndmask_b32_e64 v47, 0, v46, s11
	s_wait_dscnt 0x6
	v_cmp_eq_u16_e64 s11, 0, v14
	ds_store_2addr_b32 v4, v5, v46 offset0:2 offset1:4
	s_wait_dscnt 0x2
	v_add_nc_u32_e32 v6, v47, v6
	s_delay_alu instid0(VALU_DEP_1) | instskip(SKIP_3) | instid1(VALU_DEP_4)
	v_cndmask_b32_e64 v47, 0, v6, s11
	v_and_b32_e32 v10, 1, v10
	v_cmp_eq_u32_e64 s11, 1, v9
	v_and_b32_e32 v9, 1, v11
	v_dual_add_nc_u32 v7, v47, v7 :: v_dual_bitop2_b32 v11, 1, v14 bitop3:0x40
	s_delay_alu instid0(VALU_DEP_3) | instskip(SKIP_1) | instid1(VALU_DEP_1)
	v_cndmask_b32_e64 v8, v8, 1, s11
	v_cmp_eq_u32_e64 s11, 1, v10
	v_cndmask_b32_e64 v10, v8, 1, s11
	v_cmp_eq_u16_e64 s11, 0, v15
	s_delay_alu instid0(VALU_DEP_1) | instskip(SKIP_2) | instid1(VALU_DEP_2)
	v_cndmask_b32_e64 v14, 0, v7, s11
	v_cmp_eq_u32_e64 s11, 1, v9
	s_wait_dscnt 0x1
	v_dual_add_nc_u32 v2, v14, v2 :: v_dual_bitop2_b32 v15, 1, v15 bitop3:0x40
	s_delay_alu instid0(VALU_DEP_2) | instskip(SKIP_1) | instid1(VALU_DEP_1)
	v_cndmask_b32_e64 v9, v10, 1, s11
	v_cmp_eq_u32_e64 s11, 1, v11
	v_cndmask_b32_e64 v11, v9, 1, s11
	v_cmp_eq_u16_e64 s11, 0, v43
	s_delay_alu instid0(VALU_DEP_1) | instskip(SKIP_1) | instid1(VALU_DEP_2)
	v_dual_cndmask_b32 v43, 0, v2, s11 :: v_dual_bitop2_b32 v14, 1, v43 bitop3:0x40
	v_cmp_eq_u32_e64 s11, 1, v15
	v_add_nc_u32_e32 v3, v43, v3
	s_delay_alu instid0(VALU_DEP_2) | instskip(NEXT) | instid1(VALU_DEP_4)
	v_cndmask_b32_e64 v15, v11, 1, s11
	v_cmp_eq_u32_e64 s11, 1, v14
	ds_store_2addr_b32 v4, v6, v7 offset0:6 offset1:8
	ds_store_2addr_b32 v4, v2, v3 offset0:10 offset1:12
	v_cndmask_b32_e64 v14, v15, 1, s11
	v_cmp_eq_u16_e64 s11, 0, v45
	s_delay_alu instid0(VALU_DEP_1) | instskip(NEXT) | instid1(VALU_DEP_1)
	v_dual_cndmask_b32 v5, 0, v3, s11 :: v_dual_bitop2_b32 v47, 1, v45 bitop3:0x40
	v_cmp_eq_u32_e64 s11, 1, v47
	s_delay_alu instid0(VALU_DEP_2) | instskip(NEXT) | instid1(VALU_DEP_2)
	v_add_nc_u32_e32 v2, v5, v44
	v_cndmask_b32_e64 v43, v14, 1, s11
	ds_store_b8 v4, v8 offset:12
	ds_store_b8 v4, v10 offset:20
	ds_store_b8 v4, v9 offset:28
	ds_store_b8 v4, v11 offset:36
	ds_store_b8 v4, v15 offset:44
	ds_store_b8 v4, v14 offset:52
	ds_store_b32 v4, v2 offset:56
	ds_store_b8 v4, v43 offset:60
.LBB122_101:
	s_or_b32 exec_lo, exec_lo, s12
	v_cmp_eq_u32_e64 s11, 0, v0
	s_mov_b32 s13, exec_lo
	s_wait_dscnt 0x0
	s_barrier_signal -1
	s_barrier_wait -1
	v_cmpx_ne_u32_e32 0, v0
	s_cbranch_execz .LBB122_103
; %bb.102:
	v_add_nc_u32_e32 v2, -1, v0
	s_delay_alu instid0(VALU_DEP_1) | instskip(NEXT) | instid1(VALU_DEP_1)
	v_lshrrev_b32_e32 v3, 2, v2
	v_and_b32_e32 v3, 0x3ffffff8, v3
	s_delay_alu instid0(VALU_DEP_1)
	v_lshl_add_u32 v2, v2, 3, v3
	ds_load_b32 v12, v2
	ds_load_u8 v13, v2 offset:4
.LBB122_103:
	s_or_b32 exec_lo, exec_lo, s13
	s_and_saveexec_b32 s30, vcc_lo
	s_cbranch_execz .LBB122_163
; %bb.104:
	v_mov_b32_e32 v5, 0
	v_mbcnt_lo_u32_b32 v14, -1, 0
	s_mov_b32 s23, 0
	ds_load_b64 v[2:3], v5 offset:2096
	v_cmp_eq_u32_e64 s12, 0, v14
	s_and_saveexec_b32 s13, s12
	s_cbranch_execz .LBB122_106
; %bb.105:
	s_add_co_i32 s22, s20, 32
	v_mov_b32_e32 v4, 1
	s_lshl_b64 s[22:23], s[22:23], 4
	s_delay_alu instid0(SALU_CYCLE_1) | instskip(NEXT) | instid1(SALU_CYCLE_1)
	s_add_nc_u64 s[22:23], s[24:25], s[22:23]
	v_mov_b64_e32 v[6:7], s[22:23]
	s_wait_dscnt 0x0
	;;#ASMSTART
	global_store_b128 v[6:7], v[2:5] off scope:SCOPE_DEV	
s_wait_storecnt 0x0
	;;#ASMEND
.LBB122_106:
	s_or_b32 exec_lo, exec_lo, s13
	v_xad_u32 v8, v14, -1, s20
	s_mov_b32 s13, exec_lo
	s_delay_alu instid0(VALU_DEP_1) | instskip(NEXT) | instid1(VALU_DEP_1)
	v_add_nc_u32_e32 v4, 32, v8
	v_lshl_add_u64 v[10:11], v[4:5], 4, s[24:25]
	;;#ASMSTART
	global_load_b128 v[4:7], v[10:11] off scope:SCOPE_DEV	
s_wait_loadcnt 0x0
	;;#ASMEND
	v_and_b32_e32 v7, 0xff, v6
	v_and_b32_e32 v5, 0xff, v5
	s_delay_alu instid0(VALU_DEP_2)
	v_cmpx_eq_u16_e32 0, v7
	s_cbranch_execz .LBB122_110
; %bb.107:
	s_mov_b32 s22, 0
.LBB122_108:                            ; =>This Inner Loop Header: Depth=1
	;;#ASMSTART
	global_load_b128 v[4:7], v[10:11] off scope:SCOPE_DEV	
s_wait_loadcnt 0x0
	;;#ASMEND
	v_and_b32_e32 v7, 0xff, v6
	s_delay_alu instid0(VALU_DEP_1) | instskip(SKIP_1) | instid1(SALU_CYCLE_1)
	v_cmp_ne_u16_e32 vcc_lo, 0, v7
	s_or_b32 s22, vcc_lo, s22
	s_and_not1_b32 exec_lo, exec_lo, s22
	s_cbranch_execnz .LBB122_108
; %bb.109:
	s_or_b32 exec_lo, exec_lo, s22
	v_and_b32_e32 v5, 0xff, v5
.LBB122_110:
	s_or_b32 exec_lo, exec_lo, s13
	v_cmp_ne_u32_e32 vcc_lo, 31, v14
	v_and_b32_e32 v9, 0xff, v6
	v_lshlrev_b32_e64 v43, v14, -1
	s_mov_b64 s[22:23], 0x100000000
	v_lshl_or_b32 v52, v14, 2, 64
	v_add_co_ci_u32_e64 v7, null, 0, v14, vcc_lo
	v_cmp_eq_u16_e32 vcc_lo, 2, v9
	v_cmp_gt_u64_e64 s13, s[22:23], v[4:5]
	s_delay_alu instid0(VALU_DEP_3) | instskip(SKIP_1) | instid1(VALU_DEP_2)
	v_dual_lshlrev_b32 v15, 2, v7 :: v_dual_bitop2_b32 v10, 1, v5 bitop3:0x40
	v_and_or_b32 v9, vcc_lo, v43, 0x80000000
	v_cmp_eq_u32_e32 vcc_lo, 1, v10
	ds_bpermute_b32 v7, v15, v5
	ds_bpermute_b32 v10, v15, v4
	v_ctz_i32_b32_e32 v9, v9
	s_wait_dscnt 0x1
	v_and_b32_e32 v7, 1, v7
	s_delay_alu instid0(VALU_DEP_1) | instskip(SKIP_1) | instid1(VALU_DEP_2)
	v_cndmask_b32_e64 v7, v7, 1, vcc_lo
	v_cmp_gt_u32_e32 vcc_lo, 30, v14
	v_and_b32_e32 v45, 0xffff, v7
	v_cndmask_b32_e64 v11, 0, 2, vcc_lo
	v_cmp_lt_u32_e32 vcc_lo, v14, v9
	s_delay_alu instid0(VALU_DEP_2) | instskip(NEXT) | instid1(VALU_DEP_4)
	v_add_lshl_u32 v44, v11, v14, 2
	v_dual_cndmask_b32 v11, v5, v45, vcc_lo :: v_dual_cndmask_b32 v7, v5, v7, vcc_lo
	s_and_b32 vcc_lo, vcc_lo, s13
	v_add_nc_u32_e32 v45, 2, v14
	s_wait_dscnt 0x0
	v_cndmask_b32_e32 v10, 0, v10, vcc_lo
	ds_bpermute_b32 v5, v44, v11
	v_and_b32_e32 v46, 1, v7
	v_and_b32_e32 v48, 0xff, v7
	v_add_nc_u32_e32 v4, v10, v4
	s_delay_alu instid0(VALU_DEP_3) | instskip(NEXT) | instid1(VALU_DEP_3)
	v_cmp_eq_u32_e32 vcc_lo, 1, v46
	v_cmp_eq_u16_e64 s13, 0, v48
	ds_bpermute_b32 v10, v44, v4
	s_wait_dscnt 0x1
	v_and_b32_e32 v5, 1, v5
	s_delay_alu instid0(VALU_DEP_1) | instskip(SKIP_3) | instid1(VALU_DEP_3)
	v_cndmask_b32_e64 v5, v5, 1, vcc_lo
	v_cmp_gt_u32_e32 vcc_lo, 28, v14
	s_wait_dscnt 0x0
	v_cndmask_b32_e64 v10, 0, v10, s13
	v_and_b32_e32 v47, 0xffff, v5
	v_cndmask_b32_e64 v46, 0, 4, vcc_lo
	v_cmp_gt_u32_e32 vcc_lo, v45, v9
	s_delay_alu instid0(VALU_DEP_2) | instskip(SKIP_3) | instid1(VALU_DEP_2)
	v_add_lshl_u32 v46, v46, v14, 2
	v_cndmask_b32_e32 v5, v5, v7, vcc_lo
	v_cndmask_b32_e64 v10, v10, 0, vcc_lo
	v_dual_cndmask_b32 v7, v47, v11, vcc_lo :: v_dual_add_nc_u32 v47, 4, v14
	v_dual_add_nc_u32 v4, v10, v4 :: v_dual_bitop2_b32 v48, 1, v5 bitop3:0x40
	ds_bpermute_b32 v11, v46, v7
	v_cmp_eq_u32_e32 vcc_lo, 1, v48
	ds_bpermute_b32 v10, v46, v4
	v_and_b32_e32 v48, 0xff, v5
	s_delay_alu instid0(VALU_DEP_1) | instskip(SKIP_1) | instid1(VALU_DEP_1)
	v_cmp_eq_u16_e64 s13, 0, v48
	s_wait_dscnt 0x0
	v_dual_cndmask_b32 v10, 0, v10, s13 :: v_dual_bitop2_b32 v11, 1, v11 bitop3:0x40
	s_delay_alu instid0(VALU_DEP_1) | instskip(SKIP_1) | instid1(VALU_DEP_2)
	v_cndmask_b32_e64 v11, v11, 1, vcc_lo
	v_cmp_gt_u32_e32 vcc_lo, 24, v14
	v_and_b32_e32 v50, 0xffff, v11
	v_cndmask_b32_e64 v49, 0, 8, vcc_lo
	v_cmp_gt_u32_e32 vcc_lo, v47, v9
	s_delay_alu instid0(VALU_DEP_2) | instskip(NEXT) | instid1(VALU_DEP_4)
	v_add_lshl_u32 v48, v49, v14, 2
	v_dual_cndmask_b32 v5, v11, v5, vcc_lo :: v_dual_cndmask_b32 v7, v50, v7, vcc_lo
	v_cndmask_b32_e64 v10, v10, 0, vcc_lo
	s_delay_alu instid0(VALU_DEP_2)
	v_dual_add_nc_u32 v49, 8, v14 :: v_dual_bitop2_b32 v50, 1, v5 bitop3:0x40
	ds_bpermute_b32 v11, v48, v7
	v_add_nc_u32_e32 v4, v10, v4
	v_and_b32_e32 v51, 0xff, v5
	v_cmp_eq_u32_e32 vcc_lo, 1, v50
	ds_bpermute_b32 v10, v48, v4
	s_wait_dscnt 0x1
	v_and_b32_e32 v11, 1, v11
	s_delay_alu instid0(VALU_DEP_1) | instskip(SKIP_1) | instid1(VALU_DEP_2)
	v_cndmask_b32_e64 v11, v11, 1, vcc_lo
	v_cmp_eq_u16_e32 vcc_lo, 0, v51
	v_and_b32_e32 v50, 0xffff, v11
	s_wait_dscnt 0x0
	v_cndmask_b32_e32 v10, 0, v10, vcc_lo
	v_cmp_gt_u32_e32 vcc_lo, v49, v9
	s_delay_alu instid0(VALU_DEP_3) | instskip(NEXT) | instid1(VALU_DEP_3)
	v_dual_cndmask_b32 v5, v11, v5, vcc_lo :: v_dual_cndmask_b32 v7, v50, v7, vcc_lo
	v_cndmask_b32_e64 v10, v10, 0, vcc_lo
	s_delay_alu instid0(VALU_DEP_2) | instskip(SKIP_3) | instid1(VALU_DEP_1)
	v_and_b32_e32 v50, 1, v5
	ds_bpermute_b32 v7, v52, v7
	v_add_nc_u32_e32 v4, v10, v4
	v_and_b32_e32 v11, 0xff, v5
	v_cmp_eq_u16_e32 vcc_lo, 0, v11
	s_wait_dscnt 0x0
	v_and_b32_e32 v7, 1, v7
	ds_bpermute_b32 v10, v52, v4
	s_wait_dscnt 0x0
	v_cndmask_b32_e32 v10, 0, v10, vcc_lo
	v_cmp_eq_u32_e32 vcc_lo, 1, v50
	v_cndmask_b32_e64 v7, v7, 1, vcc_lo
	v_add_nc_u32_e32 v53, 16, v14
	s_delay_alu instid0(VALU_DEP_1) | instskip(NEXT) | instid1(VALU_DEP_3)
	v_cmp_gt_u32_e32 vcc_lo, v53, v9
	v_dual_mov_b32 v9, 0 :: v_dual_cndmask_b32 v5, v7, v5, vcc_lo
	v_cndmask_b32_e64 v7, v10, 0, vcc_lo
	s_delay_alu instid0(VALU_DEP_1)
	v_add_nc_u32_e32 v4, v7, v4
	s_branch .LBB122_114
.LBB122_111:                            ;   in Loop: Header=BB122_114 Depth=1
	s_or_b32 exec_lo, exec_lo, s31
	v_and_b32_e32 v5, 0xff, v5
.LBB122_112:                            ;   in Loop: Header=BB122_114 Depth=1
	s_or_b32 exec_lo, exec_lo, s13
	ds_bpermute_b32 v7, v15, v5
	v_and_b32_e32 v10, 0xff, v6
	v_cmp_gt_u64_e64 s13, s[22:23], v[4:5]
	v_subrev_nc_u32_e32 v8, 32, v8
	s_delay_alu instid0(VALU_DEP_3) | instskip(SKIP_2) | instid1(VALU_DEP_2)
	v_cmp_eq_u16_e32 vcc_lo, 2, v10
	v_and_b32_e32 v10, 1, v5
	v_and_or_b32 v11, vcc_lo, v43, 0x80000000
	v_cmp_eq_u32_e32 vcc_lo, 1, v10
	s_delay_alu instid0(VALU_DEP_2) | instskip(SKIP_3) | instid1(VALU_DEP_1)
	v_ctz_i32_b32_e32 v10, v11
	ds_bpermute_b32 v11, v15, v4
	s_wait_dscnt 0x1
	v_and_b32_e32 v7, 1, v7
	v_cndmask_b32_e64 v7, v7, 1, vcc_lo
	v_cmp_lt_u32_e32 vcc_lo, v14, v10
	s_delay_alu instid0(VALU_DEP_2) | instskip(NEXT) | instid1(VALU_DEP_1)
	v_and_b32_e32 v54, 0xffff, v7
	v_dual_cndmask_b32 v7, v5, v7 :: v_dual_cndmask_b32 v54, v5, v54
	s_and_b32 vcc_lo, vcc_lo, s13
	s_delay_alu instid0(VALU_DEP_1)
	v_and_b32_e32 v56, 0xff, v7
	v_and_b32_e32 v55, 1, v7
	ds_bpermute_b32 v5, v44, v54
	s_wait_dscnt 0x1
	v_cndmask_b32_e32 v11, 0, v11, vcc_lo
	v_cmp_eq_u16_e64 s13, 0, v56
	v_cmp_eq_u32_e32 vcc_lo, 1, v55
	s_wait_dscnt 0x0
	s_delay_alu instid0(VALU_DEP_3) | instskip(NEXT) | instid1(VALU_DEP_1)
	v_dual_add_nc_u32 v4, v11, v4 :: v_dual_bitop2_b32 v5, 1, v5 bitop3:0x40
	v_cndmask_b32_e64 v5, v5, 1, vcc_lo
	ds_bpermute_b32 v11, v44, v4
	v_cmp_gt_u32_e32 vcc_lo, v45, v10
	v_and_b32_e32 v55, 0xffff, v5
	s_delay_alu instid0(VALU_DEP_1) | instskip(NEXT) | instid1(VALU_DEP_1)
	v_dual_cndmask_b32 v5, v5, v7, vcc_lo :: v_dual_cndmask_b32 v7, v55, v54, vcc_lo
	v_and_b32_e32 v55, 1, v5
	ds_bpermute_b32 v54, v46, v7
	s_wait_dscnt 0x1
	v_cndmask_b32_e64 v11, 0, v11, s13
	s_delay_alu instid0(VALU_DEP_1) | instskip(SKIP_2) | instid1(VALU_DEP_3)
	v_cndmask_b32_e64 v11, v11, 0, vcc_lo
	v_cmp_eq_u32_e32 vcc_lo, 1, v55
	v_and_b32_e32 v55, 0xff, v5
	v_add_nc_u32_e32 v4, v11, v4
	s_delay_alu instid0(VALU_DEP_2)
	v_cmp_eq_u16_e64 s13, 0, v55
	s_wait_dscnt 0x0
	v_and_b32_e32 v54, 1, v54
	ds_bpermute_b32 v11, v46, v4
	v_cndmask_b32_e64 v54, v54, 1, vcc_lo
	v_cmp_gt_u32_e32 vcc_lo, v47, v10
	s_delay_alu instid0(VALU_DEP_2) | instskip(SKIP_3) | instid1(VALU_DEP_1)
	v_and_b32_e32 v56, 0xffff, v54
	s_wait_dscnt 0x0
	v_dual_cndmask_b32 v5, v54, v5, vcc_lo :: v_dual_cndmask_b32 v11, 0, v11, s13
	s_mov_b32 s13, 0
	v_cndmask_b32_e64 v11, v11, 0, vcc_lo
	v_cndmask_b32_e32 v7, v56, v7, vcc_lo
	s_delay_alu instid0(VALU_DEP_3) | instskip(NEXT) | instid1(VALU_DEP_3)
	v_and_b32_e32 v56, 0xff, v5
	v_add_nc_u32_e32 v4, v11, v4
	ds_bpermute_b32 v54, v48, v7
	ds_bpermute_b32 v11, v48, v4
	v_and_b32_e32 v55, 1, v5
	s_delay_alu instid0(VALU_DEP_1) | instskip(SKIP_2) | instid1(VALU_DEP_1)
	v_cmp_eq_u32_e32 vcc_lo, 1, v55
	s_wait_dscnt 0x1
	v_and_b32_e32 v54, 1, v54
	v_cndmask_b32_e64 v54, v54, 1, vcc_lo
	v_cmp_eq_u16_e32 vcc_lo, 0, v56
	s_delay_alu instid0(VALU_DEP_2) | instskip(SKIP_3) | instid1(VALU_DEP_2)
	v_and_b32_e32 v55, 0xffff, v54
	s_wait_dscnt 0x0
	v_cndmask_b32_e32 v11, 0, v11, vcc_lo
	v_cmp_gt_u32_e32 vcc_lo, v49, v10
	v_cndmask_b32_e64 v11, v11, 0, vcc_lo
	v_dual_cndmask_b32 v7, v55, v7, vcc_lo :: v_dual_cndmask_b32 v5, v54, v5, vcc_lo
	s_delay_alu instid0(VALU_DEP_2) | instskip(SKIP_4) | instid1(VALU_DEP_1)
	v_add_nc_u32_e32 v4, v11, v4
	ds_bpermute_b32 v7, v52, v7
	v_and_b32_e32 v55, 0xff, v5
	ds_bpermute_b32 v11, v52, v4
	v_and_b32_e32 v54, 1, v5
	v_cmp_eq_u32_e32 vcc_lo, 1, v54
	s_wait_dscnt 0x1
	v_cndmask_b32_e64 v7, v7, 1, vcc_lo
	v_cmp_eq_u16_e32 vcc_lo, 0, v55
	s_wait_dscnt 0x0
	v_cndmask_b32_e32 v11, 0, v11, vcc_lo
	v_cmp_gt_u32_e32 vcc_lo, v53, v10
	v_and_b32_e32 v10, 0xff, v50
	v_cndmask_b32_e32 v5, v7, v5, vcc_lo
	s_delay_alu instid0(VALU_DEP_4) | instskip(NEXT) | instid1(VALU_DEP_3)
	v_cndmask_b32_e64 v7, v11, 0, vcc_lo
	v_cmp_eq_u16_e32 vcc_lo, 0, v10
	s_delay_alu instid0(VALU_DEP_2) | instskip(NEXT) | instid1(VALU_DEP_1)
	v_dual_add_nc_u32 v4, v7, v4 :: v_dual_bitop2_b32 v7, 1, v50 bitop3:0x40
	v_dual_cndmask_b32 v4, 0, v4, vcc_lo :: v_dual_bitop2_b32 v5, 1, v5 bitop3:0x40
	s_delay_alu instid0(VALU_DEP_2) | instskip(NEXT) | instid1(VALU_DEP_2)
	v_cmp_eq_u32_e32 vcc_lo, 1, v7
	v_add_nc_u32_e32 v4, v4, v51
	s_delay_alu instid0(VALU_DEP_3)
	v_cndmask_b32_e64 v5, v5, 1, vcc_lo
.LBB122_113:                            ;   in Loop: Header=BB122_114 Depth=1
	s_and_b32 vcc_lo, exec_lo, s13
	s_cbranch_vccnz .LBB122_159
.LBB122_114:                            ; =>This Loop Header: Depth=1
                                        ;     Child Loop BB122_117 Depth 2
	v_and_b32_e32 v6, 0xff, v6
	s_delay_alu instid0(VALU_DEP_2) | instskip(SKIP_1) | instid1(VALU_DEP_2)
	v_dual_mov_b32 v50, v5 :: v_dual_mov_b32 v51, v4
	s_mov_b32 s13, -1
                                        ; implicit-def: $vgpr5
                                        ; implicit-def: $vgpr4
	v_cmp_ne_u16_e32 vcc_lo, 2, v6
                                        ; implicit-def: $vgpr6
	s_cmp_lg_u32 vcc_lo, exec_lo
	s_cbranch_scc1 .LBB122_113
; %bb.115:                              ;   in Loop: Header=BB122_114 Depth=1
	v_lshl_add_u64 v[10:11], v[8:9], 4, s[24:25]
	;;#ASMSTART
	global_load_b128 v[4:7], v[10:11] off scope:SCOPE_DEV	
s_wait_loadcnt 0x0
	;;#ASMEND
	v_and_b32_e32 v7, 0xff, v6
	v_and_b32_e32 v5, 0xff, v5
	s_mov_b32 s13, exec_lo
	s_delay_alu instid0(VALU_DEP_2)
	v_cmpx_eq_u16_e32 0, v7
	s_cbranch_execz .LBB122_112
; %bb.116:                              ;   in Loop: Header=BB122_114 Depth=1
	s_mov_b32 s31, 0
.LBB122_117:                            ;   Parent Loop BB122_114 Depth=1
                                        ; =>  This Inner Loop Header: Depth=2
	;;#ASMSTART
	global_load_b128 v[4:7], v[10:11] off scope:SCOPE_DEV	
s_wait_loadcnt 0x0
	;;#ASMEND
	v_and_b32_e32 v7, 0xff, v6
	s_delay_alu instid0(VALU_DEP_1) | instskip(SKIP_1) | instid1(SALU_CYCLE_1)
	v_cmp_ne_u16_e32 vcc_lo, 0, v7
	s_or_b32 s31, vcc_lo, s31
	s_and_not1_b32 exec_lo, exec_lo, s31
	s_cbranch_execnz .LBB122_117
	s_branch .LBB122_111
.LBB122_118:
                                        ; implicit-def: $vgpr13
                                        ; implicit-def: $vgpr5
                                        ; implicit-def: $vgpr9
                                        ; implicit-def: $vgpr14_vgpr15
	s_cbranch_execnz .LBB122_164
.LBB122_119:
	s_add_nc_u64 s[0:1], s[14:15], s[34:35]
	s_and_b32 vcc_lo, exec_lo, s21
	s_add_nc_u64 s[0:1], s[0:1], s[16:17]
	s_cbranch_vccz .LBB122_181
.LBB122_120:
	v_mul_u32_u24_e32 v1, 12, v0
	s_add_co_i32 s27, s27, s26
	s_mov_b32 s2, exec_lo
	s_delay_alu instid0(VALU_DEP_1)
	v_cmpx_gt_u32_e64 s27, v1
	s_cbranch_execz .LBB122_136
; %bb.121:
	v_or_b32_e32 v17, 1, v1
	s_mov_b32 s3, exec_lo
	s_delay_alu instid0(VALU_DEP_1)
	v_cmpx_gt_u32_e64 s27, v17
	s_cbranch_execz .LBB122_135
; %bb.122:
	v_or_b32_e32 v17, 2, v1
	;; [unrolled: 6-line block ×3, first 2 shown]
	s_mov_b32 s5, exec_lo
	s_delay_alu instid0(VALU_DEP_1)
	v_cmpx_gt_u32_e64 s27, v17
	s_cbranch_execz .LBB122_133
; %bb.124:
	v_add_nc_u32_e32 v17, 4, v1
	s_mov_b32 s6, exec_lo
	s_delay_alu instid0(VALU_DEP_1)
	v_cmpx_gt_u32_e64 s27, v17
	s_cbranch_execz .LBB122_132
; %bb.125:
	v_add_nc_u32_e32 v17, 5, v1
	;; [unrolled: 6-line block ×4, first 2 shown]
	s_mov_b32 s9, exec_lo
	s_delay_alu instid0(VALU_DEP_1)
	v_cmpx_gt_u32_e64 s27, v17
; %bb.128:
	v_add_nc_u32_e32 v17, 8, v1
	s_mov_b32 s10, exec_lo
	s_delay_alu instid0(VALU_DEP_1)
	v_cmpx_gt_u32_e64 s27, v17
	s_or_b32 exec_lo, exec_lo, s10
; %bb.129:
	s_delay_alu instid0(SALU_CYCLE_1)
	s_or_b32 exec_lo, exec_lo, s9
.LBB122_130:
	s_delay_alu instid0(SALU_CYCLE_1)
	s_or_b32 exec_lo, exec_lo, s8
.LBB122_131:
	s_delay_alu instid0(SALU_CYCLE_1)
	s_or_b32 exec_lo, exec_lo, s7
.LBB122_132:
	s_delay_alu instid0(SALU_CYCLE_1)
	s_or_b32 exec_lo, exec_lo, s6
.LBB122_133:
	s_delay_alu instid0(SALU_CYCLE_1)
	s_or_b32 exec_lo, exec_lo, s5
.LBB122_134:
	s_delay_alu instid0(SALU_CYCLE_1)
	s_or_b32 exec_lo, exec_lo, s4
.LBB122_135:
	s_delay_alu instid0(SALU_CYCLE_1)
	s_or_b32 exec_lo, exec_lo, s3
.LBB122_136:
	s_delay_alu instid0(SALU_CYCLE_1)
	s_or_b32 exec_lo, exec_lo, s2
	v_dual_lshlrev_b32 v1, 2, v1 :: v_dual_mov_b32 v17, 0
	s_barrier_signal -1
	s_barrier_wait -1
	ds_store_b128 v1, v[6:9]
	ds_store_b128 v1, v[2:5] offset:16
	ds_store_b128 v1, v[10:13] offset:32
	v_mad_i32_i24 v6, 0xffffffd4, v0, v1
	s_wait_dscnt 0x0
	s_barrier_signal -1
	s_barrier_wait -1
	ds_load_2addr_stride64_b32 v[26:27], v6 offset0:4 offset1:8
	ds_load_2addr_stride64_b32 v[24:25], v6 offset0:12 offset1:16
	;; [unrolled: 1-line block ×5, first 2 shown]
	ds_load_b32 v7, v6 offset:11264
	v_add_nc_u64_e32 v[16:17], s[0:1], v[16:17]
	s_mov_b32 s2, exec_lo
	v_cmpx_gt_u32_e64 s27, v0
	s_cbranch_execz .LBB122_138
; %bb.137:
	v_mul_i32_i24_e32 v6, 0xffffffd4, v0
	s_delay_alu instid0(VALU_DEP_1)
	v_add_nc_u32_e32 v1, v1, v6
	ds_load_b32 v1, v1
	s_wait_dscnt 0x0
	flat_store_b32 v[16:17], v1
.LBB122_138:
	s_wait_xcnt 0x0
	s_or_b32 exec_lo, exec_lo, s2
	v_or_b32_e32 v1, 0x100, v0
	s_mov_b32 s2, exec_lo
	s_delay_alu instid0(VALU_DEP_1)
	v_cmpx_gt_u32_e64 s27, v1
	s_cbranch_execz .LBB122_140
; %bb.139:
	s_wait_dscnt 0x5
	flat_store_b32 v[16:17], v26 offset:1024
.LBB122_140:
	s_wait_xcnt 0x0
	s_or_b32 exec_lo, exec_lo, s2
	v_or_b32_e32 v1, 0x200, v0
	s_mov_b32 s2, exec_lo
	s_delay_alu instid0(VALU_DEP_1)
	v_cmpx_gt_u32_e64 s27, v1
	s_cbranch_execz .LBB122_142
; %bb.141:
	s_wait_dscnt 0x5
	flat_store_b32 v[16:17], v27 offset:2048
.LBB122_142:
	;; [unrolled: 11-line block ×10, first 2 shown]
	s_wait_xcnt 0x0
	s_or_b32 exec_lo, exec_lo, s2
	v_or_b32_e32 v1, 0xb00, v0
	s_delay_alu instid0(VALU_DEP_1)
	v_cmp_gt_u32_e64 s2, s27, v1
	s_branch .LBB122_183
.LBB122_159:
	s_and_saveexec_b32 s13, s12
	s_cbranch_execz .LBB122_161
; %bb.160:
	v_and_b32_e32 v4, 0xff, v3
	s_mov_b32 s23, 0
	s_add_co_i32 s22, s20, 32
	v_and_b32_e32 v5, 1, v50
	s_lshl_b64 s[22:23], s[22:23], 4
	v_cmp_eq_u32_e32 vcc_lo, 0, v4
	s_add_nc_u64 s[22:23], s[24:25], s[22:23]
	s_delay_alu instid0(SALU_CYCLE_1) | instskip(SKIP_1) | instid1(VALU_DEP_1)
	v_mov_b64_e32 v[6:7], s[22:23]
	v_cndmask_b32_e32 v4, 0, v51, vcc_lo
	v_dual_add_nc_u32 v2, v4, v2 :: v_dual_bitop2_b32 v3, 1, v3 bitop3:0x40
	s_delay_alu instid0(VALU_DEP_1)
	v_cmp_eq_u32_e32 vcc_lo, 1, v3
	v_mov_b32_e32 v4, 2
	v_cndmask_b32_e64 v3, v5, 1, vcc_lo
	v_mov_b32_e32 v5, 0
	;;#ASMSTART
	global_store_b128 v[6:7], v[2:5] off scope:SCOPE_DEV	
s_wait_storecnt 0x0
	;;#ASMEND
.LBB122_161:
	s_or_b32 exec_lo, exec_lo, s13
	s_delay_alu instid0(SALU_CYCLE_1)
	s_and_b32 exec_lo, exec_lo, s11
	s_cbranch_execz .LBB122_163
; %bb.162:
	v_mov_b32_e32 v2, 0
	ds_store_b32 v2, v51
	ds_store_b8 v2, v50 offset:4
.LBB122_163:
	s_or_b32 exec_lo, exec_lo, s30
	v_dual_mov_b32 v2, 0 :: v_dual_bitop2_b32 v3, 1, v19 bitop3:0x40
	s_wait_dscnt 0x0
	s_barrier_signal -1
	s_barrier_wait -1
	s_delay_alu instid0(VALU_DEP_1) | instskip(SKIP_4) | instid1(VALU_DEP_2)
	v_cmp_eq_u32_e32 vcc_lo, 1, v3
	ds_load_b32 v2, v2
	s_mov_b64 s[12:13], 0x100000000
	v_cndmask_b32_e64 v3, v13, 1, vcc_lo
	v_cmp_gt_u64_e32 vcc_lo, s[12:13], v[18:19]
	v_dual_cndmask_b32 v3, v3, v19, s11 :: v_dual_cndmask_b32 v4, 0, v12, vcc_lo
	s_delay_alu instid0(VALU_DEP_1) | instskip(NEXT) | instid1(VALU_DEP_2)
	v_and_b32_e32 v3, 0xff, v3
	v_cndmask_b32_e64 v4, v4, 0, s11
	s_delay_alu instid0(VALU_DEP_2) | instskip(SKIP_2) | instid1(VALU_DEP_1)
	v_cmp_eq_u16_e32 vcc_lo, 0, v3
	s_wait_dscnt 0x0
	v_cndmask_b32_e32 v2, 0, v2, vcc_lo
	v_add3_u32 v6, v4, v18, v2
	s_delay_alu instid0(VALU_DEP_1) | instskip(NEXT) | instid1(VALU_DEP_1)
	v_cndmask_b32_e64 v2, 0, v6, s0
	v_add_nc_u32_e32 v7, v2, v38
	s_delay_alu instid0(VALU_DEP_1) | instskip(NEXT) | instid1(VALU_DEP_1)
	v_cndmask_b32_e64 v2, 0, v7, s1
	v_add_nc_u32_e32 v8, v2, v36
	v_mov_b64_e32 v[14:15], v[6:7]
	s_delay_alu instid0(VALU_DEP_2) | instskip(NEXT) | instid1(VALU_DEP_1)
	v_cndmask_b32_e64 v2, 0, v8, s2
	v_add_nc_u32_e32 v9, v2, v34
	s_delay_alu instid0(VALU_DEP_1) | instskip(NEXT) | instid1(VALU_DEP_1)
	v_cndmask_b32_e64 v2, 0, v9, s3
	v_add_nc_u32_e32 v2, v2, v32
	s_delay_alu instid0(VALU_DEP_1) | instskip(NEXT) | instid1(VALU_DEP_1)
	;; [unrolled: 3-line block ×8, first 2 shown]
	v_cndmask_b32_e64 v13, 0, v12, s10
	v_add_nc_u32_e32 v13, v13, v40
	s_branch .LBB122_119
.LBB122_164:
	s_cmp_lg_u64 s[28:29], 0
	v_cmp_eq_u32_e32 vcc_lo, 0, v0
	s_cselect_b32 s1, -1, 0
	s_cmp_lg_u64 s[18:19], 0
	v_cmp_ne_u32_e64 s0, 0, v0
	s_cselect_b32 s2, -1, 0
	s_delay_alu instid0(SALU_CYCLE_1) | instskip(NEXT) | instid1(SALU_CYCLE_1)
	s_and_b32 s1, s1, s2
	s_and_b32 s1, vcc_lo, s1
	s_delay_alu instid0(SALU_CYCLE_1)
	s_and_saveexec_b32 s2, s1
	s_cbranch_execz .LBB122_166
; %bb.165:
	s_mov_b64 s[4:5], 0x100000000
	s_delay_alu instid0(SALU_CYCLE_1)
	v_cmp_gt_u64_e64 s1, s[4:5], v[18:19]
	v_mov_b32_e32 v2, 0
	s_clause 0x1
	global_load_b32 v3, v2, s[18:19]
	global_load_u8 v4, v2, s[18:19] offset:4
	s_wait_loadcnt 0x1
	v_cndmask_b32_e64 v5, 0, v3, s1
	v_and_b32_e32 v3, 1, v19
	s_wait_loadcnt 0x0
	s_delay_alu instid0(VALU_DEP_2) | instskip(NEXT) | instid1(VALU_DEP_2)
	v_dual_add_nc_u32 v18, v5, v18 :: v_dual_bitop2_b32 v4, 1, v4 bitop3:0x40
	v_cmp_eq_u64_e64 s1, 0, v[2:3]
	s_delay_alu instid0(VALU_DEP_1)
	v_cndmask_b32_e64 v19, 1, v4, s1
.LBB122_166:
	s_or_b32 exec_lo, exec_lo, s2
	s_mov_b64 s[12:13], 0x100000000
	v_or3_b32 v12, v42, v29, v31
	v_cmp_gt_u64_e64 s1, s[12:13], v[38:39]
	v_cmp_gt_u64_e64 s6, s[12:13], v[28:29]
	;; [unrolled: 1-line block ×7, first 2 shown]
	v_cndmask_b32_e64 v2, 0, v18, s1
	v_cmp_gt_u64_e64 s8, s[12:13], v[24:25]
	v_cmp_gt_u64_e64 s10, s[12:13], v[20:21]
	;; [unrolled: 1-line block ×3, first 2 shown]
	v_dual_mov_b32 v14, 0 :: v_dual_bitop2_b32 v1, 56, v1 bitop3:0x40
	v_add_nc_u32_e32 v7, v2, v38
	v_cmp_gt_u64_e64 s11, s[12:13], v[40:41]
	s_mov_b32 s13, exec_lo
	v_lshl_add_u32 v1, v0, 3, v1
	v_cndmask_b32_e64 v2, 0, v7, s2
	s_delay_alu instid0(VALU_DEP_1) | instskip(NEXT) | instid1(VALU_DEP_1)
	v_add_nc_u32_e32 v8, v2, v36
	v_cndmask_b32_e64 v2, 0, v8, s3
	s_delay_alu instid0(VALU_DEP_1) | instskip(NEXT) | instid1(VALU_DEP_1)
	v_add_nc_u32_e32 v9, v2, v34
	;; [unrolled: 3-line block ×7, first 2 shown]
	v_cndmask_b32_e64 v6, 0, v10, s9
	s_delay_alu instid0(VALU_DEP_1) | instskip(SKIP_1) | instid1(VALU_DEP_2)
	v_add_nc_u32_e32 v11, v6, v22
	v_or3_b32 v6, v12, v33, v35
	v_cndmask_b32_e64 v12, 0, v11, s10
	s_delay_alu instid0(VALU_DEP_2) | instskip(NEXT) | instid1(VALU_DEP_2)
	v_or3_b32 v6, v6, v37, v39
	v_add_nc_u32_e32 v12, v12, v20
	s_delay_alu instid0(VALU_DEP_2) | instskip(NEXT) | instid1(VALU_DEP_1)
	v_or3_b32 v6, v41, v17, v6
	v_and_b32_e32 v15, 0xff, v6
	s_delay_alu instid0(VALU_DEP_1) | instskip(NEXT) | instid1(VALU_DEP_1)
	v_cmp_eq_u64_e64 s12, 0, v[14:15]
	v_dual_cndmask_b32 v13, 0, v12, s11 :: v_dual_cndmask_b32 v6, 1, v19, s12
	s_delay_alu instid0(VALU_DEP_1)
	v_add_nc_u32_e32 v13, v13, v40
	ds_store_b32 v1, v13
	ds_store_b8 v1, v6 offset:4
	s_wait_dscnt 0x0
	s_barrier_signal -1
	s_barrier_wait -1
	v_cmpx_gt_u32_e32 32, v0
	s_cbranch_execz .LBB122_176
; %bb.167:
	v_dual_lshlrev_b32 v1, 1, v0 :: v_dual_lshlrev_b32 v14, 6, v0
	s_mov_b32 s18, exec_lo
	s_delay_alu instid0(VALU_DEP_1) | instskip(NEXT) | instid1(VALU_DEP_1)
	v_and_b32_e32 v1, 0x1f8, v1
	v_add_nc_u32_e32 v1, v1, v14
	ds_load_u8 v17, v1 offset:12
	ds_load_b64 v[14:15], v1
	ds_load_2addr_b32 v[42:43], v1 offset0:2 offset1:4
	ds_load_u8 v21, v1 offset:20
	ds_load_u8 v23, v1 offset:28
	;; [unrolled: 1-line block ×5, first 2 shown]
	ds_load_b32 v33, v1 offset:56
	s_wait_dscnt 0x8
	v_cmp_eq_u16_e64 s12, 0, v17
	s_wait_dscnt 0x5
	s_delay_alu instid0(VALU_DEP_1)
	v_dual_cndmask_b32 v31, 0, v14, s12 :: v_dual_bitop2_b32 v17, v21, v17 bitop3:0x54
	ds_load_2addr_b32 v[44:45], v1 offset0:6 offset1:8
	v_cmp_eq_u16_e64 s12, 0, v21
	ds_load_u8 v35, v1 offset:60
	s_wait_dscnt 0x5
	v_bitop3_b16 v17, v17, v25, v23 bitop3:0xfe
	v_add_nc_u32_e32 v31, v31, v42
	s_delay_alu instid0(VALU_DEP_1)
	v_cndmask_b32_e64 v31, 0, v31, s12
	v_cmp_eq_u16_e64 s12, 0, v23
	s_wait_dscnt 0x3
	v_bitop3_b16 v23, v17, v29, v27 bitop3:0xfe
	v_and_b32_e32 v17, 1, v15
	v_add_nc_u32_e32 v31, v31, v43
	ds_load_2addr_b32 v[42:43], v1 offset0:10 offset1:12
	v_cndmask_b32_e64 v31, 0, v31, s12
	v_cmp_eq_u16_e64 s12, 0, v25
	s_wait_dscnt 0x1
	s_delay_alu instid0(VALU_DEP_2) | instskip(NEXT) | instid1(VALU_DEP_1)
	v_dual_add_nc_u32 v31, v31, v44 :: v_dual_bitop2_b32 v25, 1, v35 bitop3:0x40
	v_cndmask_b32_e64 v31, 0, v31, s12
	v_cmp_eq_u16_e64 s12, 0, v27
	s_delay_alu instid0(VALU_DEP_2) | instskip(NEXT) | instid1(VALU_DEP_1)
	v_add_nc_u32_e32 v21, v31, v45
	v_cndmask_b32_e64 v21, 0, v21, s12
	v_cmp_eq_u16_e64 s12, 0, v23
	s_wait_dscnt 0x0
	s_delay_alu instid0(VALU_DEP_1) | instskip(SKIP_1) | instid1(VALU_DEP_1)
	v_dual_add_nc_u32 v21, v21, v42 :: v_dual_cndmask_b32 v23, 1, v17, s12
	v_cmp_eq_u16_e64 s12, 0, v29
	v_cndmask_b32_e64 v21, 0, v21, s12
	v_cmp_eq_u32_e64 s12, 1, v25
	v_mbcnt_lo_u32_b32 v25, -1, 0
	s_delay_alu instid0(VALU_DEP_2) | instskip(SKIP_1) | instid1(VALU_DEP_2)
	v_cndmask_b32_e64 v27, v23, 1, s12
	v_cmp_eq_u16_e64 s12, 0, v35
	v_and_b32_e32 v29, 0xffff, v27
	v_add_nc_u32_e32 v23, v21, v43
	v_and_b32_e32 v21, 0xffffff00, v15
	s_delay_alu instid0(VALU_DEP_1) | instskip(SKIP_1) | instid1(VALU_DEP_2)
	v_dual_cndmask_b32 v23, 0, v23, s12 :: v_dual_bitop2_b32 v31, v21, v29 bitop3:0x54
	v_and_b32_e32 v29, 15, v25
	v_mov_b32_dpp v35, v31 row_shr:1 row_mask:0xf bank_mask:0xf
	s_delay_alu instid0(VALU_DEP_3) | instskip(NEXT) | instid1(VALU_DEP_1)
	v_add_nc_u32_e32 v23, v23, v33
	v_mov_b32_dpp v33, v23 row_shr:1 row_mask:0xf bank_mask:0xf
	s_delay_alu instid0(VALU_DEP_4)
	v_cmpx_ne_u32_e32 0, v29
	s_cbranch_execz .LBB122_169
; %bb.168:
	v_and_b32_e32 v31, 1, v27
	v_and_b32_e32 v35, 1, v35
	s_delay_alu instid0(VALU_DEP_2) | instskip(NEXT) | instid1(VALU_DEP_1)
	v_cmp_eq_u32_e64 s12, 1, v31
	v_cndmask_b32_e64 v35, v35, 1, s12
	v_cmp_eq_u16_e64 s12, 0, v27
	s_delay_alu instid0(VALU_DEP_2) | instskip(NEXT) | instid1(VALU_DEP_1)
	v_and_b32_e32 v31, 0xffff, v35
	v_dual_cndmask_b32 v27, 0, v33, s12 :: v_dual_bitop2_b32 v31, v21, v31 bitop3:0x54
	s_delay_alu instid0(VALU_DEP_1)
	v_add_nc_u32_e32 v23, v27, v23
	v_mov_b32_e32 v27, v35
.LBB122_169:
	s_or_b32 exec_lo, exec_lo, s18
	s_delay_alu instid0(VALU_DEP_2)
	v_mov_b32_dpp v33, v23 row_shr:2 row_mask:0xf bank_mask:0xf
	v_mov_b32_dpp v35, v31 row_shr:2 row_mask:0xf bank_mask:0xf
	s_mov_b32 s18, exec_lo
	v_cmpx_lt_u32_e32 1, v29
	s_cbranch_execz .LBB122_171
; %bb.170:
	v_and_b32_e32 v31, 1, v27
	v_and_b32_e32 v35, 1, v35
	s_delay_alu instid0(VALU_DEP_2) | instskip(NEXT) | instid1(VALU_DEP_1)
	v_cmp_eq_u32_e64 s12, 1, v31
	v_cndmask_b32_e64 v35, v35, 1, s12
	v_cmp_eq_u16_e64 s12, 0, v27
	s_delay_alu instid0(VALU_DEP_2) | instskip(NEXT) | instid1(VALU_DEP_1)
	v_and_b32_e32 v31, 0xffff, v35
	v_dual_cndmask_b32 v27, 0, v33, s12 :: v_dual_bitop2_b32 v31, v21, v31 bitop3:0x54
	s_delay_alu instid0(VALU_DEP_1)
	v_add_nc_u32_e32 v23, v27, v23
	v_mov_b32_e32 v27, v35
.LBB122_171:
	s_or_b32 exec_lo, exec_lo, s18
	s_delay_alu instid0(VALU_DEP_2)
	v_mov_b32_dpp v33, v23 row_shr:4 row_mask:0xf bank_mask:0xf
	v_mov_b32_dpp v35, v31 row_shr:4 row_mask:0xf bank_mask:0xf
	s_mov_b32 s18, exec_lo
	v_cmpx_lt_u32_e32 3, v29
	;; [unrolled: 21-line block ×3, first 2 shown]
	s_cbranch_execz .LBB122_175
; %bb.174:
	v_and_b32_e32 v29, 1, v27
	v_and_b32_e32 v31, 1, v35
	s_delay_alu instid0(VALU_DEP_2) | instskip(NEXT) | instid1(VALU_DEP_1)
	v_cmp_eq_u32_e64 s12, 1, v29
	v_cndmask_b32_e64 v29, v31, 1, s12
	v_cmp_eq_u16_e64 s12, 0, v27
	s_delay_alu instid0(VALU_DEP_2) | instskip(NEXT) | instid1(VALU_DEP_1)
	v_and_b32_e32 v31, 0xffff, v29
	v_dual_cndmask_b32 v27, 0, v33, s12 :: v_dual_bitop2_b32 v31, v21, v31 bitop3:0x54
	s_delay_alu instid0(VALU_DEP_1)
	v_dual_add_nc_u32 v23, v27, v23 :: v_dual_mov_b32 v27, v29
.LBB122_175:
	s_or_b32 exec_lo, exec_lo, s18
	ds_swizzle_b32 v29, v31 offset:swizzle(BROADCAST,32,15)
	ds_swizzle_b32 v31, v23 offset:swizzle(BROADCAST,32,15)
	v_and_b32_e32 v33, 1, v27
	v_and_b32_e32 v35, 16, v25
	v_bfe_i32 v37, v25, 4, 1
	v_and_b32_e32 v15, 0xff, v15
	s_delay_alu instid0(VALU_DEP_4) | instskip(SKIP_3) | instid1(VALU_DEP_1)
	v_cmp_eq_u32_e64 s12, 1, v33
	v_add_nc_u32_e32 v33, -1, v25
	; wave barrier
	s_wait_dscnt 0x1
	v_and_b32_e32 v29, 1, v29
	v_cndmask_b32_e64 v29, v29, 1, s12
	v_cmp_eq_u16_e64 s12, 0, v27
	s_wait_dscnt 0x0
	s_delay_alu instid0(VALU_DEP_1) | instskip(SKIP_1) | instid1(VALU_DEP_1)
	v_cndmask_b32_e64 v31, 0, v31, s12
	v_cmp_eq_u32_e64 s12, 0, v35
	v_cndmask_b32_e64 v27, v29, v27, s12
	v_cmp_gt_i32_e64 s12, 0, v33
	s_delay_alu instid0(VALU_DEP_2) | instskip(NEXT) | instid1(VALU_DEP_2)
	v_and_b32_e32 v27, 0xffff, v27
	v_cndmask_b32_e64 v25, v33, v25, s12
	v_and_b32_e32 v29, v37, v31
	v_cmp_eq_u16_e64 s12, 0, v15
	s_delay_alu instid0(VALU_DEP_3)
	v_dual_lshlrev_b32 v25, 2, v25 :: v_dual_bitop2_b32 v21, v21, v27 bitop3:0x54
	ds_bpermute_b32 v21, v25, v21
	s_wait_dscnt 0x0
	v_dual_add_nc_u32 v23, v29, v23 :: v_dual_bitop2_b32 v21, 1, v21 bitop3:0x40
	ds_bpermute_b32 v23, v25, v23
	s_wait_dscnt 0x0
	v_cndmask_b32_e64 v15, 0, v23, s12
	v_cmp_eq_u32_e64 s12, 1, v17
	s_delay_alu instid0(VALU_DEP_2) | instskip(NEXT) | instid1(VALU_DEP_2)
	v_add_nc_u32_e32 v14, v15, v14
	v_cndmask_b32_e64 v15, v21, 1, s12
	s_delay_alu instid0(VALU_DEP_1)
	v_dual_cndmask_b32 v17, v14, v13 :: v_dual_cndmask_b32 v6, v15, v6
	ds_store_b32 v1, v17
	ds_store_b8 v1, v6 offset:4
	; wave barrier
	ds_load_u8 v21, v1 offset:12
	ds_load_2addr_b32 v[14:15], v1 offset0:2 offset1:4
	ds_load_u8 v23, v1 offset:20
	ds_load_u8 v25, v1 offset:28
	;; [unrolled: 1-line block ×5, first 2 shown]
	ds_load_b32 v33, v1 offset:56
	ds_load_u8 v35, v1 offset:60
	ds_load_2addr_b32 v[42:43], v1 offset0:6 offset1:8
	s_wait_dscnt 0x9
	v_cmp_eq_u16_e64 s12, 0, v21
	s_delay_alu instid0(VALU_DEP_1) | instskip(SKIP_2) | instid1(VALU_DEP_2)
	v_cndmask_b32_e64 v17, 0, v17, s12
	s_wait_dscnt 0x7
	v_cmp_eq_u16_e64 s12, 0, v23
	v_add_nc_u32_e32 v17, v17, v14
	s_delay_alu instid0(VALU_DEP_1) | instskip(SKIP_2) | instid1(VALU_DEP_2)
	v_cndmask_b32_e64 v14, 0, v17, s12
	s_wait_dscnt 0x6
	v_cmp_eq_u16_e64 s12, 0, v25
	v_add_nc_u32_e32 v37, v14, v15
	ds_load_2addr_b32 v[14:15], v1 offset0:10 offset1:12
	v_cndmask_b32_e64 v39, 0, v37, s12
	s_wait_dscnt 0x6
	v_cmp_eq_u16_e64 s12, 0, v27
	ds_store_2addr_b32 v1, v17, v37 offset0:2 offset1:4
	s_wait_dscnt 0x2
	v_dual_add_nc_u32 v39, v39, v42 :: v_dual_bitop2_b32 v21, 1, v21 bitop3:0x40
	v_and_b32_e32 v42, 1, v35
	s_delay_alu instid0(VALU_DEP_2) | instskip(NEXT) | instid1(VALU_DEP_3)
	v_cndmask_b32_e64 v41, 0, v39, s12
	v_cmp_eq_u32_e64 s12, 1, v21
	s_delay_alu instid0(VALU_DEP_2) | instskip(SKIP_1) | instid1(VALU_DEP_3)
	v_dual_add_nc_u32 v25, v41, v43 :: v_dual_bitop2_b32 v21, 1, v25 bitop3:0x40
	v_and_b32_e32 v23, 1, v23
	v_cndmask_b32_e64 v6, v6, 1, s12
	s_delay_alu instid0(VALU_DEP_2) | instskip(NEXT) | instid1(VALU_DEP_1)
	v_cmp_eq_u32_e64 s12, 1, v23
	v_cndmask_b32_e64 v23, v6, 1, s12
	v_cmp_eq_u16_e64 s12, 0, v29
	s_delay_alu instid0(VALU_DEP_1) | instskip(SKIP_2) | instid1(VALU_DEP_2)
	v_dual_cndmask_b32 v41, 0, v25, s12 :: v_dual_bitop2_b32 v27, 1, v27 bitop3:0x40
	v_cmp_eq_u32_e64 s12, 1, v21
	s_wait_dscnt 0x1
	v_dual_add_nc_u32 v14, v41, v14 :: v_dual_bitop2_b32 v41, 1, v31 bitop3:0x40
	s_delay_alu instid0(VALU_DEP_2) | instskip(SKIP_1) | instid1(VALU_DEP_1)
	v_cndmask_b32_e64 v21, v23, 1, s12
	v_cmp_eq_u32_e64 s12, 1, v27
	v_cndmask_b32_e64 v27, v21, 1, s12
	v_cmp_eq_u16_e64 s12, 0, v31
	s_delay_alu instid0(VALU_DEP_1) | instskip(NEXT) | instid1(VALU_DEP_1)
	v_dual_cndmask_b32 v31, 0, v14, s12 :: v_dual_bitop2_b32 v29, 1, v29 bitop3:0x40
	v_cmp_eq_u32_e64 s12, 1, v29
	s_delay_alu instid0(VALU_DEP_2) | instskip(NEXT) | instid1(VALU_DEP_2)
	v_add_nc_u32_e32 v15, v31, v15
	v_cndmask_b32_e64 v29, v27, 1, s12
	v_cmp_eq_u32_e64 s12, 1, v41
	ds_store_2addr_b32 v1, v39, v25 offset0:6 offset1:8
	ds_store_2addr_b32 v1, v14, v15 offset0:10 offset1:12
	v_cndmask_b32_e64 v31, v29, 1, s12
	v_cmp_eq_u16_e64 s12, 0, v35
	s_delay_alu instid0(VALU_DEP_1) | instskip(SKIP_1) | instid1(VALU_DEP_2)
	v_cndmask_b32_e64 v17, 0, v15, s12
	v_cmp_eq_u32_e64 s12, 1, v42
	v_add_nc_u32_e32 v14, v17, v33
	s_delay_alu instid0(VALU_DEP_2)
	v_cndmask_b32_e64 v35, v31, 1, s12
	ds_store_b8 v1, v6 offset:12
	ds_store_b8 v1, v23 offset:20
	;; [unrolled: 1-line block ×6, first 2 shown]
	ds_store_b32 v1, v14 offset:56
	ds_store_b8 v1, v35 offset:60
.LBB122_176:
	s_or_b32 exec_lo, exec_lo, s13
	v_mov_b32_e32 v6, v18
	s_wait_dscnt 0x0
	s_barrier_signal -1
	s_barrier_wait -1
	s_delay_alu instid0(VALU_DEP_1)
	v_mov_b64_e32 v[14:15], v[6:7]
	s_and_saveexec_b32 s12, s0
	s_cbranch_execz .LBB122_178
; %bb.177:
	v_add_nc_u32_e32 v1, -1, v0
	v_and_b32_e32 v3, 0xff, v19
	s_delay_alu instid0(VALU_DEP_2) | instskip(NEXT) | instid1(VALU_DEP_1)
	v_lshrrev_b32_e32 v2, 2, v1
	v_and_b32_e32 v2, 0x3ffffff8, v2
	s_delay_alu instid0(VALU_DEP_1)
	v_lshl_add_u32 v1, v1, 3, v2
	v_mov_b32_e32 v2, 0
	ds_load_b32 v1, v1
	v_cmp_eq_u64_e64 s0, 0, v[2:3]
	;;#ASMSTART
	;;#ASMEND
	s_wait_dscnt 0x0
	s_delay_alu instid0(VALU_DEP_1) | instskip(NEXT) | instid1(VALU_DEP_1)
	v_cndmask_b32_e64 v1, 0, v1, s0
	v_add_nc_u32_e32 v14, v1, v18
	s_delay_alu instid0(VALU_DEP_1) | instskip(NEXT) | instid1(VALU_DEP_1)
	v_cndmask_b32_e64 v1, 0, v14, s1
	v_add_nc_u32_e32 v15, v1, v38
	s_delay_alu instid0(VALU_DEP_1) | instskip(NEXT) | instid1(VALU_DEP_1)
	v_dual_cndmask_b32 v1, 0, v15, s2 :: v_dual_mov_b32 v18, v14
	v_dual_mov_b32 v7, v15 :: v_dual_add_nc_u32 v8, v1, v36
	s_delay_alu instid0(VALU_DEP_1) | instskip(NEXT) | instid1(VALU_DEP_1)
	v_cndmask_b32_e64 v1, 0, v8, s3
	v_add_nc_u32_e32 v9, v1, v34
	s_delay_alu instid0(VALU_DEP_1) | instskip(NEXT) | instid1(VALU_DEP_1)
	v_cndmask_b32_e64 v1, 0, v9, s4
	v_add_nc_u32_e32 v2, v1, v32
	s_delay_alu instid0(VALU_DEP_1) | instskip(NEXT) | instid1(VALU_DEP_1)
	v_cndmask_b32_e64 v1, 0, v2, s5
	v_add_nc_u32_e32 v3, v1, v30
	s_delay_alu instid0(VALU_DEP_1) | instskip(NEXT) | instid1(VALU_DEP_1)
	v_cndmask_b32_e64 v1, 0, v3, s6
	v_add_nc_u32_e32 v4, v1, v28
	s_delay_alu instid0(VALU_DEP_1) | instskip(NEXT) | instid1(VALU_DEP_1)
	v_cndmask_b32_e64 v1, 0, v4, s7
	v_add_nc_u32_e32 v5, v1, v26
	s_delay_alu instid0(VALU_DEP_1) | instskip(NEXT) | instid1(VALU_DEP_1)
	v_cndmask_b32_e64 v1, 0, v5, s8
	v_add_nc_u32_e32 v10, v1, v24
	s_delay_alu instid0(VALU_DEP_1) | instskip(NEXT) | instid1(VALU_DEP_1)
	v_cndmask_b32_e64 v1, 0, v10, s9
	v_add_nc_u32_e32 v11, v1, v22
	s_delay_alu instid0(VALU_DEP_1) | instskip(NEXT) | instid1(VALU_DEP_1)
	v_cndmask_b32_e64 v1, 0, v11, s10
	v_add_nc_u32_e32 v12, v1, v20
	s_delay_alu instid0(VALU_DEP_1) | instskip(NEXT) | instid1(VALU_DEP_1)
	v_cndmask_b32_e64 v1, 0, v12, s11
	v_add_nc_u32_e32 v13, v1, v40
.LBB122_178:
	s_or_b32 exec_lo, exec_lo, s12
	s_and_saveexec_b32 s0, vcc_lo
	s_cbranch_execz .LBB122_180
; %bb.179:
	v_dual_mov_b32 v23, 0 :: v_dual_mov_b32 v22, 2
	s_add_nc_u64 s[2:3], s[24:25], 0x200
	ds_load_b32 v20, v23 offset:2096
	ds_load_u8 v21, v23 offset:2100
	v_mov_b64_e32 v[24:25], s[2:3]
	s_wait_dscnt 0x0
	;;#ASMSTART
	global_store_b128 v[24:25], v[20:23] off scope:SCOPE_DEV	
s_wait_storecnt 0x0
	;;#ASMEND
.LBB122_180:
	s_or_b32 exec_lo, exec_lo, s0
	v_mov_b32_e32 v6, v18
	s_add_nc_u64 s[0:1], s[14:15], s[34:35]
	s_and_b32 vcc_lo, exec_lo, s21
	s_add_nc_u64 s[0:1], s[0:1], s[16:17]
	s_cbranch_vccnz .LBB122_120
.LBB122_181:
	s_mov_b32 s2, 0
                                        ; implicit-def: $vgpr7
	s_cbranch_execz .LBB122_183
; %bb.182:
	v_mul_u32_u24_e32 v1, 48, v0
	v_dual_mov_b32 v16, v8 :: v_dual_mov_b32 v17, v9
	v_mul_i32_i24_e32 v6, 0xffffffd4, v0
	s_wait_storecnt_dscnt 0x0
	s_barrier_signal -1
	s_barrier_wait -1
	ds_store_b128 v1, v[14:17]
	ds_store_b128 v1, v[2:5] offset:16
	ds_store_b128 v1, v[10:13] offset:32
	v_mad_u32_u24 v1, v0, 48, v6
	s_wait_dscnt 0x0
	s_barrier_signal -1
	s_barrier_wait -1
	ds_load_2addr_stride64_b32 v[2:3], v1 offset1:4
	ds_load_2addr_stride64_b32 v[4:5], v1 offset0:8 offset1:12
	ds_load_2addr_stride64_b32 v[8:9], v1 offset0:16 offset1:20
	;; [unrolled: 1-line block ×5, first 2 shown]
	s_or_b32 s2, s2, exec_lo
	s_wait_dscnt 0x5
	s_clause 0x1
	flat_store_b32 v0, v2, s[0:1] scale_offset
	flat_store_b32 v0, v3, s[0:1] offset:1024 scale_offset
	s_wait_dscnt 0x6
	s_clause 0x1
	flat_store_b32 v0, v4, s[0:1] offset:2048 scale_offset
	flat_store_b32 v0, v5, s[0:1] offset:3072 scale_offset
	s_wait_dscnt 0x7
	s_clause 0x1
	flat_store_b32 v0, v8, s[0:1] offset:4096 scale_offset
	;; [unrolled: 4-line block ×4, first 2 shown]
	flat_store_b32 v0, v13, s[0:1] offset:9216 scale_offset
	s_wait_dscnt 0xa
	flat_store_b32 v0, v6, s[0:1] offset:10240 scale_offset
.LBB122_183:
	s_wait_xcnt 0x0
	s_delay_alu instid0(VALU_DEP_1)
	s_and_saveexec_b32 s3, s2
	s_cbranch_execnz .LBB122_185
; %bb.184:
	s_endpgm
.LBB122_185:
	s_wait_dscnt 0x0
	flat_store_b32 v0, v7, s[0:1] offset:11264 scale_offset
	s_endpgm
	.section	.rodata,"a",@progbits
	.p2align	6, 0x0
	.amdhsa_kernel _ZN7rocprim17ROCPRIM_400000_NS6detail17trampoline_kernelINS0_14default_configENS1_27scan_by_key_config_selectorIiiEEZZNS1_16scan_by_key_implILNS1_25lookback_scan_determinismE0ELb0ES3_N6thrust23THRUST_200600_302600_NS6detail15normal_iteratorINS9_10device_ptrIiEEEESE_SE_iNS9_4plusIvEENS9_8equal_toIvEEiEE10hipError_tPvRmT2_T3_T4_T5_mT6_T7_P12ihipStream_tbENKUlT_T0_E_clISt17integral_constantIbLb0EESZ_EEDaSU_SV_EUlSU_E_NS1_11comp_targetILNS1_3genE0ELNS1_11target_archE4294967295ELNS1_3gpuE0ELNS1_3repE0EEENS1_30default_config_static_selectorELNS0_4arch9wavefront6targetE0EEEvT1_
		.amdhsa_group_segment_fixed_size 14336
		.amdhsa_private_segment_fixed_size 0
		.amdhsa_kernarg_size 112
		.amdhsa_user_sgpr_count 2
		.amdhsa_user_sgpr_dispatch_ptr 0
		.amdhsa_user_sgpr_queue_ptr 0
		.amdhsa_user_sgpr_kernarg_segment_ptr 1
		.amdhsa_user_sgpr_dispatch_id 0
		.amdhsa_user_sgpr_kernarg_preload_length 0
		.amdhsa_user_sgpr_kernarg_preload_offset 0
		.amdhsa_user_sgpr_private_segment_size 0
		.amdhsa_wavefront_size32 1
		.amdhsa_uses_dynamic_stack 0
		.amdhsa_enable_private_segment 0
		.amdhsa_system_sgpr_workgroup_id_x 1
		.amdhsa_system_sgpr_workgroup_id_y 0
		.amdhsa_system_sgpr_workgroup_id_z 0
		.amdhsa_system_sgpr_workgroup_info 0
		.amdhsa_system_vgpr_workitem_id 0
		.amdhsa_next_free_vgpr 60
		.amdhsa_next_free_sgpr 42
		.amdhsa_named_barrier_count 0
		.amdhsa_reserve_vcc 1
		.amdhsa_float_round_mode_32 0
		.amdhsa_float_round_mode_16_64 0
		.amdhsa_float_denorm_mode_32 3
		.amdhsa_float_denorm_mode_16_64 3
		.amdhsa_fp16_overflow 0
		.amdhsa_memory_ordered 1
		.amdhsa_forward_progress 1
		.amdhsa_inst_pref_size 94
		.amdhsa_round_robin_scheduling 0
		.amdhsa_exception_fp_ieee_invalid_op 0
		.amdhsa_exception_fp_denorm_src 0
		.amdhsa_exception_fp_ieee_div_zero 0
		.amdhsa_exception_fp_ieee_overflow 0
		.amdhsa_exception_fp_ieee_underflow 0
		.amdhsa_exception_fp_ieee_inexact 0
		.amdhsa_exception_int_div_zero 0
	.end_amdhsa_kernel
	.section	.text._ZN7rocprim17ROCPRIM_400000_NS6detail17trampoline_kernelINS0_14default_configENS1_27scan_by_key_config_selectorIiiEEZZNS1_16scan_by_key_implILNS1_25lookback_scan_determinismE0ELb0ES3_N6thrust23THRUST_200600_302600_NS6detail15normal_iteratorINS9_10device_ptrIiEEEESE_SE_iNS9_4plusIvEENS9_8equal_toIvEEiEE10hipError_tPvRmT2_T3_T4_T5_mT6_T7_P12ihipStream_tbENKUlT_T0_E_clISt17integral_constantIbLb0EESZ_EEDaSU_SV_EUlSU_E_NS1_11comp_targetILNS1_3genE0ELNS1_11target_archE4294967295ELNS1_3gpuE0ELNS1_3repE0EEENS1_30default_config_static_selectorELNS0_4arch9wavefront6targetE0EEEvT1_,"axG",@progbits,_ZN7rocprim17ROCPRIM_400000_NS6detail17trampoline_kernelINS0_14default_configENS1_27scan_by_key_config_selectorIiiEEZZNS1_16scan_by_key_implILNS1_25lookback_scan_determinismE0ELb0ES3_N6thrust23THRUST_200600_302600_NS6detail15normal_iteratorINS9_10device_ptrIiEEEESE_SE_iNS9_4plusIvEENS9_8equal_toIvEEiEE10hipError_tPvRmT2_T3_T4_T5_mT6_T7_P12ihipStream_tbENKUlT_T0_E_clISt17integral_constantIbLb0EESZ_EEDaSU_SV_EUlSU_E_NS1_11comp_targetILNS1_3genE0ELNS1_11target_archE4294967295ELNS1_3gpuE0ELNS1_3repE0EEENS1_30default_config_static_selectorELNS0_4arch9wavefront6targetE0EEEvT1_,comdat
.Lfunc_end122:
	.size	_ZN7rocprim17ROCPRIM_400000_NS6detail17trampoline_kernelINS0_14default_configENS1_27scan_by_key_config_selectorIiiEEZZNS1_16scan_by_key_implILNS1_25lookback_scan_determinismE0ELb0ES3_N6thrust23THRUST_200600_302600_NS6detail15normal_iteratorINS9_10device_ptrIiEEEESE_SE_iNS9_4plusIvEENS9_8equal_toIvEEiEE10hipError_tPvRmT2_T3_T4_T5_mT6_T7_P12ihipStream_tbENKUlT_T0_E_clISt17integral_constantIbLb0EESZ_EEDaSU_SV_EUlSU_E_NS1_11comp_targetILNS1_3genE0ELNS1_11target_archE4294967295ELNS1_3gpuE0ELNS1_3repE0EEENS1_30default_config_static_selectorELNS0_4arch9wavefront6targetE0EEEvT1_, .Lfunc_end122-_ZN7rocprim17ROCPRIM_400000_NS6detail17trampoline_kernelINS0_14default_configENS1_27scan_by_key_config_selectorIiiEEZZNS1_16scan_by_key_implILNS1_25lookback_scan_determinismE0ELb0ES3_N6thrust23THRUST_200600_302600_NS6detail15normal_iteratorINS9_10device_ptrIiEEEESE_SE_iNS9_4plusIvEENS9_8equal_toIvEEiEE10hipError_tPvRmT2_T3_T4_T5_mT6_T7_P12ihipStream_tbENKUlT_T0_E_clISt17integral_constantIbLb0EESZ_EEDaSU_SV_EUlSU_E_NS1_11comp_targetILNS1_3genE0ELNS1_11target_archE4294967295ELNS1_3gpuE0ELNS1_3repE0EEENS1_30default_config_static_selectorELNS0_4arch9wavefront6targetE0EEEvT1_
                                        ; -- End function
	.set _ZN7rocprim17ROCPRIM_400000_NS6detail17trampoline_kernelINS0_14default_configENS1_27scan_by_key_config_selectorIiiEEZZNS1_16scan_by_key_implILNS1_25lookback_scan_determinismE0ELb0ES3_N6thrust23THRUST_200600_302600_NS6detail15normal_iteratorINS9_10device_ptrIiEEEESE_SE_iNS9_4plusIvEENS9_8equal_toIvEEiEE10hipError_tPvRmT2_T3_T4_T5_mT6_T7_P12ihipStream_tbENKUlT_T0_E_clISt17integral_constantIbLb0EESZ_EEDaSU_SV_EUlSU_E_NS1_11comp_targetILNS1_3genE0ELNS1_11target_archE4294967295ELNS1_3gpuE0ELNS1_3repE0EEENS1_30default_config_static_selectorELNS0_4arch9wavefront6targetE0EEEvT1_.num_vgpr, 60
	.set _ZN7rocprim17ROCPRIM_400000_NS6detail17trampoline_kernelINS0_14default_configENS1_27scan_by_key_config_selectorIiiEEZZNS1_16scan_by_key_implILNS1_25lookback_scan_determinismE0ELb0ES3_N6thrust23THRUST_200600_302600_NS6detail15normal_iteratorINS9_10device_ptrIiEEEESE_SE_iNS9_4plusIvEENS9_8equal_toIvEEiEE10hipError_tPvRmT2_T3_T4_T5_mT6_T7_P12ihipStream_tbENKUlT_T0_E_clISt17integral_constantIbLb0EESZ_EEDaSU_SV_EUlSU_E_NS1_11comp_targetILNS1_3genE0ELNS1_11target_archE4294967295ELNS1_3gpuE0ELNS1_3repE0EEENS1_30default_config_static_selectorELNS0_4arch9wavefront6targetE0EEEvT1_.num_agpr, 0
	.set _ZN7rocprim17ROCPRIM_400000_NS6detail17trampoline_kernelINS0_14default_configENS1_27scan_by_key_config_selectorIiiEEZZNS1_16scan_by_key_implILNS1_25lookback_scan_determinismE0ELb0ES3_N6thrust23THRUST_200600_302600_NS6detail15normal_iteratorINS9_10device_ptrIiEEEESE_SE_iNS9_4plusIvEENS9_8equal_toIvEEiEE10hipError_tPvRmT2_T3_T4_T5_mT6_T7_P12ihipStream_tbENKUlT_T0_E_clISt17integral_constantIbLb0EESZ_EEDaSU_SV_EUlSU_E_NS1_11comp_targetILNS1_3genE0ELNS1_11target_archE4294967295ELNS1_3gpuE0ELNS1_3repE0EEENS1_30default_config_static_selectorELNS0_4arch9wavefront6targetE0EEEvT1_.numbered_sgpr, 42
	.set _ZN7rocprim17ROCPRIM_400000_NS6detail17trampoline_kernelINS0_14default_configENS1_27scan_by_key_config_selectorIiiEEZZNS1_16scan_by_key_implILNS1_25lookback_scan_determinismE0ELb0ES3_N6thrust23THRUST_200600_302600_NS6detail15normal_iteratorINS9_10device_ptrIiEEEESE_SE_iNS9_4plusIvEENS9_8equal_toIvEEiEE10hipError_tPvRmT2_T3_T4_T5_mT6_T7_P12ihipStream_tbENKUlT_T0_E_clISt17integral_constantIbLb0EESZ_EEDaSU_SV_EUlSU_E_NS1_11comp_targetILNS1_3genE0ELNS1_11target_archE4294967295ELNS1_3gpuE0ELNS1_3repE0EEENS1_30default_config_static_selectorELNS0_4arch9wavefront6targetE0EEEvT1_.num_named_barrier, 0
	.set _ZN7rocprim17ROCPRIM_400000_NS6detail17trampoline_kernelINS0_14default_configENS1_27scan_by_key_config_selectorIiiEEZZNS1_16scan_by_key_implILNS1_25lookback_scan_determinismE0ELb0ES3_N6thrust23THRUST_200600_302600_NS6detail15normal_iteratorINS9_10device_ptrIiEEEESE_SE_iNS9_4plusIvEENS9_8equal_toIvEEiEE10hipError_tPvRmT2_T3_T4_T5_mT6_T7_P12ihipStream_tbENKUlT_T0_E_clISt17integral_constantIbLb0EESZ_EEDaSU_SV_EUlSU_E_NS1_11comp_targetILNS1_3genE0ELNS1_11target_archE4294967295ELNS1_3gpuE0ELNS1_3repE0EEENS1_30default_config_static_selectorELNS0_4arch9wavefront6targetE0EEEvT1_.private_seg_size, 0
	.set _ZN7rocprim17ROCPRIM_400000_NS6detail17trampoline_kernelINS0_14default_configENS1_27scan_by_key_config_selectorIiiEEZZNS1_16scan_by_key_implILNS1_25lookback_scan_determinismE0ELb0ES3_N6thrust23THRUST_200600_302600_NS6detail15normal_iteratorINS9_10device_ptrIiEEEESE_SE_iNS9_4plusIvEENS9_8equal_toIvEEiEE10hipError_tPvRmT2_T3_T4_T5_mT6_T7_P12ihipStream_tbENKUlT_T0_E_clISt17integral_constantIbLb0EESZ_EEDaSU_SV_EUlSU_E_NS1_11comp_targetILNS1_3genE0ELNS1_11target_archE4294967295ELNS1_3gpuE0ELNS1_3repE0EEENS1_30default_config_static_selectorELNS0_4arch9wavefront6targetE0EEEvT1_.uses_vcc, 1
	.set _ZN7rocprim17ROCPRIM_400000_NS6detail17trampoline_kernelINS0_14default_configENS1_27scan_by_key_config_selectorIiiEEZZNS1_16scan_by_key_implILNS1_25lookback_scan_determinismE0ELb0ES3_N6thrust23THRUST_200600_302600_NS6detail15normal_iteratorINS9_10device_ptrIiEEEESE_SE_iNS9_4plusIvEENS9_8equal_toIvEEiEE10hipError_tPvRmT2_T3_T4_T5_mT6_T7_P12ihipStream_tbENKUlT_T0_E_clISt17integral_constantIbLb0EESZ_EEDaSU_SV_EUlSU_E_NS1_11comp_targetILNS1_3genE0ELNS1_11target_archE4294967295ELNS1_3gpuE0ELNS1_3repE0EEENS1_30default_config_static_selectorELNS0_4arch9wavefront6targetE0EEEvT1_.uses_flat_scratch, 1
	.set _ZN7rocprim17ROCPRIM_400000_NS6detail17trampoline_kernelINS0_14default_configENS1_27scan_by_key_config_selectorIiiEEZZNS1_16scan_by_key_implILNS1_25lookback_scan_determinismE0ELb0ES3_N6thrust23THRUST_200600_302600_NS6detail15normal_iteratorINS9_10device_ptrIiEEEESE_SE_iNS9_4plusIvEENS9_8equal_toIvEEiEE10hipError_tPvRmT2_T3_T4_T5_mT6_T7_P12ihipStream_tbENKUlT_T0_E_clISt17integral_constantIbLb0EESZ_EEDaSU_SV_EUlSU_E_NS1_11comp_targetILNS1_3genE0ELNS1_11target_archE4294967295ELNS1_3gpuE0ELNS1_3repE0EEENS1_30default_config_static_selectorELNS0_4arch9wavefront6targetE0EEEvT1_.has_dyn_sized_stack, 0
	.set _ZN7rocprim17ROCPRIM_400000_NS6detail17trampoline_kernelINS0_14default_configENS1_27scan_by_key_config_selectorIiiEEZZNS1_16scan_by_key_implILNS1_25lookback_scan_determinismE0ELb0ES3_N6thrust23THRUST_200600_302600_NS6detail15normal_iteratorINS9_10device_ptrIiEEEESE_SE_iNS9_4plusIvEENS9_8equal_toIvEEiEE10hipError_tPvRmT2_T3_T4_T5_mT6_T7_P12ihipStream_tbENKUlT_T0_E_clISt17integral_constantIbLb0EESZ_EEDaSU_SV_EUlSU_E_NS1_11comp_targetILNS1_3genE0ELNS1_11target_archE4294967295ELNS1_3gpuE0ELNS1_3repE0EEENS1_30default_config_static_selectorELNS0_4arch9wavefront6targetE0EEEvT1_.has_recursion, 0
	.set _ZN7rocprim17ROCPRIM_400000_NS6detail17trampoline_kernelINS0_14default_configENS1_27scan_by_key_config_selectorIiiEEZZNS1_16scan_by_key_implILNS1_25lookback_scan_determinismE0ELb0ES3_N6thrust23THRUST_200600_302600_NS6detail15normal_iteratorINS9_10device_ptrIiEEEESE_SE_iNS9_4plusIvEENS9_8equal_toIvEEiEE10hipError_tPvRmT2_T3_T4_T5_mT6_T7_P12ihipStream_tbENKUlT_T0_E_clISt17integral_constantIbLb0EESZ_EEDaSU_SV_EUlSU_E_NS1_11comp_targetILNS1_3genE0ELNS1_11target_archE4294967295ELNS1_3gpuE0ELNS1_3repE0EEENS1_30default_config_static_selectorELNS0_4arch9wavefront6targetE0EEEvT1_.has_indirect_call, 0
	.section	.AMDGPU.csdata,"",@progbits
; Kernel info:
; codeLenInByte = 11992
; TotalNumSgprs: 44
; NumVgprs: 60
; ScratchSize: 0
; MemoryBound: 0
; FloatMode: 240
; IeeeMode: 1
; LDSByteSize: 14336 bytes/workgroup (compile time only)
; SGPRBlocks: 0
; VGPRBlocks: 3
; NumSGPRsForWavesPerEU: 44
; NumVGPRsForWavesPerEU: 60
; NamedBarCnt: 0
; Occupancy: 16
; WaveLimiterHint : 1
; COMPUTE_PGM_RSRC2:SCRATCH_EN: 0
; COMPUTE_PGM_RSRC2:USER_SGPR: 2
; COMPUTE_PGM_RSRC2:TRAP_HANDLER: 0
; COMPUTE_PGM_RSRC2:TGID_X_EN: 1
; COMPUTE_PGM_RSRC2:TGID_Y_EN: 0
; COMPUTE_PGM_RSRC2:TGID_Z_EN: 0
; COMPUTE_PGM_RSRC2:TIDIG_COMP_CNT: 0
	.section	.text._ZN7rocprim17ROCPRIM_400000_NS6detail17trampoline_kernelINS0_14default_configENS1_27scan_by_key_config_selectorIiiEEZZNS1_16scan_by_key_implILNS1_25lookback_scan_determinismE0ELb0ES3_N6thrust23THRUST_200600_302600_NS6detail15normal_iteratorINS9_10device_ptrIiEEEESE_SE_iNS9_4plusIvEENS9_8equal_toIvEEiEE10hipError_tPvRmT2_T3_T4_T5_mT6_T7_P12ihipStream_tbENKUlT_T0_E_clISt17integral_constantIbLb0EESZ_EEDaSU_SV_EUlSU_E_NS1_11comp_targetILNS1_3genE10ELNS1_11target_archE1201ELNS1_3gpuE5ELNS1_3repE0EEENS1_30default_config_static_selectorELNS0_4arch9wavefront6targetE0EEEvT1_,"axG",@progbits,_ZN7rocprim17ROCPRIM_400000_NS6detail17trampoline_kernelINS0_14default_configENS1_27scan_by_key_config_selectorIiiEEZZNS1_16scan_by_key_implILNS1_25lookback_scan_determinismE0ELb0ES3_N6thrust23THRUST_200600_302600_NS6detail15normal_iteratorINS9_10device_ptrIiEEEESE_SE_iNS9_4plusIvEENS9_8equal_toIvEEiEE10hipError_tPvRmT2_T3_T4_T5_mT6_T7_P12ihipStream_tbENKUlT_T0_E_clISt17integral_constantIbLb0EESZ_EEDaSU_SV_EUlSU_E_NS1_11comp_targetILNS1_3genE10ELNS1_11target_archE1201ELNS1_3gpuE5ELNS1_3repE0EEENS1_30default_config_static_selectorELNS0_4arch9wavefront6targetE0EEEvT1_,comdat
	.protected	_ZN7rocprim17ROCPRIM_400000_NS6detail17trampoline_kernelINS0_14default_configENS1_27scan_by_key_config_selectorIiiEEZZNS1_16scan_by_key_implILNS1_25lookback_scan_determinismE0ELb0ES3_N6thrust23THRUST_200600_302600_NS6detail15normal_iteratorINS9_10device_ptrIiEEEESE_SE_iNS9_4plusIvEENS9_8equal_toIvEEiEE10hipError_tPvRmT2_T3_T4_T5_mT6_T7_P12ihipStream_tbENKUlT_T0_E_clISt17integral_constantIbLb0EESZ_EEDaSU_SV_EUlSU_E_NS1_11comp_targetILNS1_3genE10ELNS1_11target_archE1201ELNS1_3gpuE5ELNS1_3repE0EEENS1_30default_config_static_selectorELNS0_4arch9wavefront6targetE0EEEvT1_ ; -- Begin function _ZN7rocprim17ROCPRIM_400000_NS6detail17trampoline_kernelINS0_14default_configENS1_27scan_by_key_config_selectorIiiEEZZNS1_16scan_by_key_implILNS1_25lookback_scan_determinismE0ELb0ES3_N6thrust23THRUST_200600_302600_NS6detail15normal_iteratorINS9_10device_ptrIiEEEESE_SE_iNS9_4plusIvEENS9_8equal_toIvEEiEE10hipError_tPvRmT2_T3_T4_T5_mT6_T7_P12ihipStream_tbENKUlT_T0_E_clISt17integral_constantIbLb0EESZ_EEDaSU_SV_EUlSU_E_NS1_11comp_targetILNS1_3genE10ELNS1_11target_archE1201ELNS1_3gpuE5ELNS1_3repE0EEENS1_30default_config_static_selectorELNS0_4arch9wavefront6targetE0EEEvT1_
	.globl	_ZN7rocprim17ROCPRIM_400000_NS6detail17trampoline_kernelINS0_14default_configENS1_27scan_by_key_config_selectorIiiEEZZNS1_16scan_by_key_implILNS1_25lookback_scan_determinismE0ELb0ES3_N6thrust23THRUST_200600_302600_NS6detail15normal_iteratorINS9_10device_ptrIiEEEESE_SE_iNS9_4plusIvEENS9_8equal_toIvEEiEE10hipError_tPvRmT2_T3_T4_T5_mT6_T7_P12ihipStream_tbENKUlT_T0_E_clISt17integral_constantIbLb0EESZ_EEDaSU_SV_EUlSU_E_NS1_11comp_targetILNS1_3genE10ELNS1_11target_archE1201ELNS1_3gpuE5ELNS1_3repE0EEENS1_30default_config_static_selectorELNS0_4arch9wavefront6targetE0EEEvT1_
	.p2align	8
	.type	_ZN7rocprim17ROCPRIM_400000_NS6detail17trampoline_kernelINS0_14default_configENS1_27scan_by_key_config_selectorIiiEEZZNS1_16scan_by_key_implILNS1_25lookback_scan_determinismE0ELb0ES3_N6thrust23THRUST_200600_302600_NS6detail15normal_iteratorINS9_10device_ptrIiEEEESE_SE_iNS9_4plusIvEENS9_8equal_toIvEEiEE10hipError_tPvRmT2_T3_T4_T5_mT6_T7_P12ihipStream_tbENKUlT_T0_E_clISt17integral_constantIbLb0EESZ_EEDaSU_SV_EUlSU_E_NS1_11comp_targetILNS1_3genE10ELNS1_11target_archE1201ELNS1_3gpuE5ELNS1_3repE0EEENS1_30default_config_static_selectorELNS0_4arch9wavefront6targetE0EEEvT1_,@function
_ZN7rocprim17ROCPRIM_400000_NS6detail17trampoline_kernelINS0_14default_configENS1_27scan_by_key_config_selectorIiiEEZZNS1_16scan_by_key_implILNS1_25lookback_scan_determinismE0ELb0ES3_N6thrust23THRUST_200600_302600_NS6detail15normal_iteratorINS9_10device_ptrIiEEEESE_SE_iNS9_4plusIvEENS9_8equal_toIvEEiEE10hipError_tPvRmT2_T3_T4_T5_mT6_T7_P12ihipStream_tbENKUlT_T0_E_clISt17integral_constantIbLb0EESZ_EEDaSU_SV_EUlSU_E_NS1_11comp_targetILNS1_3genE10ELNS1_11target_archE1201ELNS1_3gpuE5ELNS1_3repE0EEENS1_30default_config_static_selectorELNS0_4arch9wavefront6targetE0EEEvT1_: ; @_ZN7rocprim17ROCPRIM_400000_NS6detail17trampoline_kernelINS0_14default_configENS1_27scan_by_key_config_selectorIiiEEZZNS1_16scan_by_key_implILNS1_25lookback_scan_determinismE0ELb0ES3_N6thrust23THRUST_200600_302600_NS6detail15normal_iteratorINS9_10device_ptrIiEEEESE_SE_iNS9_4plusIvEENS9_8equal_toIvEEiEE10hipError_tPvRmT2_T3_T4_T5_mT6_T7_P12ihipStream_tbENKUlT_T0_E_clISt17integral_constantIbLb0EESZ_EEDaSU_SV_EUlSU_E_NS1_11comp_targetILNS1_3genE10ELNS1_11target_archE1201ELNS1_3gpuE5ELNS1_3repE0EEENS1_30default_config_static_selectorELNS0_4arch9wavefront6targetE0EEEvT1_
; %bb.0:
	.section	.rodata,"a",@progbits
	.p2align	6, 0x0
	.amdhsa_kernel _ZN7rocprim17ROCPRIM_400000_NS6detail17trampoline_kernelINS0_14default_configENS1_27scan_by_key_config_selectorIiiEEZZNS1_16scan_by_key_implILNS1_25lookback_scan_determinismE0ELb0ES3_N6thrust23THRUST_200600_302600_NS6detail15normal_iteratorINS9_10device_ptrIiEEEESE_SE_iNS9_4plusIvEENS9_8equal_toIvEEiEE10hipError_tPvRmT2_T3_T4_T5_mT6_T7_P12ihipStream_tbENKUlT_T0_E_clISt17integral_constantIbLb0EESZ_EEDaSU_SV_EUlSU_E_NS1_11comp_targetILNS1_3genE10ELNS1_11target_archE1201ELNS1_3gpuE5ELNS1_3repE0EEENS1_30default_config_static_selectorELNS0_4arch9wavefront6targetE0EEEvT1_
		.amdhsa_group_segment_fixed_size 0
		.amdhsa_private_segment_fixed_size 0
		.amdhsa_kernarg_size 112
		.amdhsa_user_sgpr_count 2
		.amdhsa_user_sgpr_dispatch_ptr 0
		.amdhsa_user_sgpr_queue_ptr 0
		.amdhsa_user_sgpr_kernarg_segment_ptr 1
		.amdhsa_user_sgpr_dispatch_id 0
		.amdhsa_user_sgpr_kernarg_preload_length 0
		.amdhsa_user_sgpr_kernarg_preload_offset 0
		.amdhsa_user_sgpr_private_segment_size 0
		.amdhsa_wavefront_size32 1
		.amdhsa_uses_dynamic_stack 0
		.amdhsa_enable_private_segment 0
		.amdhsa_system_sgpr_workgroup_id_x 1
		.amdhsa_system_sgpr_workgroup_id_y 0
		.amdhsa_system_sgpr_workgroup_id_z 0
		.amdhsa_system_sgpr_workgroup_info 0
		.amdhsa_system_vgpr_workitem_id 0
		.amdhsa_next_free_vgpr 1
		.amdhsa_next_free_sgpr 1
		.amdhsa_named_barrier_count 0
		.amdhsa_reserve_vcc 0
		.amdhsa_float_round_mode_32 0
		.amdhsa_float_round_mode_16_64 0
		.amdhsa_float_denorm_mode_32 3
		.amdhsa_float_denorm_mode_16_64 3
		.amdhsa_fp16_overflow 0
		.amdhsa_memory_ordered 1
		.amdhsa_forward_progress 1
		.amdhsa_inst_pref_size 0
		.amdhsa_round_robin_scheduling 0
		.amdhsa_exception_fp_ieee_invalid_op 0
		.amdhsa_exception_fp_denorm_src 0
		.amdhsa_exception_fp_ieee_div_zero 0
		.amdhsa_exception_fp_ieee_overflow 0
		.amdhsa_exception_fp_ieee_underflow 0
		.amdhsa_exception_fp_ieee_inexact 0
		.amdhsa_exception_int_div_zero 0
	.end_amdhsa_kernel
	.section	.text._ZN7rocprim17ROCPRIM_400000_NS6detail17trampoline_kernelINS0_14default_configENS1_27scan_by_key_config_selectorIiiEEZZNS1_16scan_by_key_implILNS1_25lookback_scan_determinismE0ELb0ES3_N6thrust23THRUST_200600_302600_NS6detail15normal_iteratorINS9_10device_ptrIiEEEESE_SE_iNS9_4plusIvEENS9_8equal_toIvEEiEE10hipError_tPvRmT2_T3_T4_T5_mT6_T7_P12ihipStream_tbENKUlT_T0_E_clISt17integral_constantIbLb0EESZ_EEDaSU_SV_EUlSU_E_NS1_11comp_targetILNS1_3genE10ELNS1_11target_archE1201ELNS1_3gpuE5ELNS1_3repE0EEENS1_30default_config_static_selectorELNS0_4arch9wavefront6targetE0EEEvT1_,"axG",@progbits,_ZN7rocprim17ROCPRIM_400000_NS6detail17trampoline_kernelINS0_14default_configENS1_27scan_by_key_config_selectorIiiEEZZNS1_16scan_by_key_implILNS1_25lookback_scan_determinismE0ELb0ES3_N6thrust23THRUST_200600_302600_NS6detail15normal_iteratorINS9_10device_ptrIiEEEESE_SE_iNS9_4plusIvEENS9_8equal_toIvEEiEE10hipError_tPvRmT2_T3_T4_T5_mT6_T7_P12ihipStream_tbENKUlT_T0_E_clISt17integral_constantIbLb0EESZ_EEDaSU_SV_EUlSU_E_NS1_11comp_targetILNS1_3genE10ELNS1_11target_archE1201ELNS1_3gpuE5ELNS1_3repE0EEENS1_30default_config_static_selectorELNS0_4arch9wavefront6targetE0EEEvT1_,comdat
.Lfunc_end123:
	.size	_ZN7rocprim17ROCPRIM_400000_NS6detail17trampoline_kernelINS0_14default_configENS1_27scan_by_key_config_selectorIiiEEZZNS1_16scan_by_key_implILNS1_25lookback_scan_determinismE0ELb0ES3_N6thrust23THRUST_200600_302600_NS6detail15normal_iteratorINS9_10device_ptrIiEEEESE_SE_iNS9_4plusIvEENS9_8equal_toIvEEiEE10hipError_tPvRmT2_T3_T4_T5_mT6_T7_P12ihipStream_tbENKUlT_T0_E_clISt17integral_constantIbLb0EESZ_EEDaSU_SV_EUlSU_E_NS1_11comp_targetILNS1_3genE10ELNS1_11target_archE1201ELNS1_3gpuE5ELNS1_3repE0EEENS1_30default_config_static_selectorELNS0_4arch9wavefront6targetE0EEEvT1_, .Lfunc_end123-_ZN7rocprim17ROCPRIM_400000_NS6detail17trampoline_kernelINS0_14default_configENS1_27scan_by_key_config_selectorIiiEEZZNS1_16scan_by_key_implILNS1_25lookback_scan_determinismE0ELb0ES3_N6thrust23THRUST_200600_302600_NS6detail15normal_iteratorINS9_10device_ptrIiEEEESE_SE_iNS9_4plusIvEENS9_8equal_toIvEEiEE10hipError_tPvRmT2_T3_T4_T5_mT6_T7_P12ihipStream_tbENKUlT_T0_E_clISt17integral_constantIbLb0EESZ_EEDaSU_SV_EUlSU_E_NS1_11comp_targetILNS1_3genE10ELNS1_11target_archE1201ELNS1_3gpuE5ELNS1_3repE0EEENS1_30default_config_static_selectorELNS0_4arch9wavefront6targetE0EEEvT1_
                                        ; -- End function
	.set _ZN7rocprim17ROCPRIM_400000_NS6detail17trampoline_kernelINS0_14default_configENS1_27scan_by_key_config_selectorIiiEEZZNS1_16scan_by_key_implILNS1_25lookback_scan_determinismE0ELb0ES3_N6thrust23THRUST_200600_302600_NS6detail15normal_iteratorINS9_10device_ptrIiEEEESE_SE_iNS9_4plusIvEENS9_8equal_toIvEEiEE10hipError_tPvRmT2_T3_T4_T5_mT6_T7_P12ihipStream_tbENKUlT_T0_E_clISt17integral_constantIbLb0EESZ_EEDaSU_SV_EUlSU_E_NS1_11comp_targetILNS1_3genE10ELNS1_11target_archE1201ELNS1_3gpuE5ELNS1_3repE0EEENS1_30default_config_static_selectorELNS0_4arch9wavefront6targetE0EEEvT1_.num_vgpr, 0
	.set _ZN7rocprim17ROCPRIM_400000_NS6detail17trampoline_kernelINS0_14default_configENS1_27scan_by_key_config_selectorIiiEEZZNS1_16scan_by_key_implILNS1_25lookback_scan_determinismE0ELb0ES3_N6thrust23THRUST_200600_302600_NS6detail15normal_iteratorINS9_10device_ptrIiEEEESE_SE_iNS9_4plusIvEENS9_8equal_toIvEEiEE10hipError_tPvRmT2_T3_T4_T5_mT6_T7_P12ihipStream_tbENKUlT_T0_E_clISt17integral_constantIbLb0EESZ_EEDaSU_SV_EUlSU_E_NS1_11comp_targetILNS1_3genE10ELNS1_11target_archE1201ELNS1_3gpuE5ELNS1_3repE0EEENS1_30default_config_static_selectorELNS0_4arch9wavefront6targetE0EEEvT1_.num_agpr, 0
	.set _ZN7rocprim17ROCPRIM_400000_NS6detail17trampoline_kernelINS0_14default_configENS1_27scan_by_key_config_selectorIiiEEZZNS1_16scan_by_key_implILNS1_25lookback_scan_determinismE0ELb0ES3_N6thrust23THRUST_200600_302600_NS6detail15normal_iteratorINS9_10device_ptrIiEEEESE_SE_iNS9_4plusIvEENS9_8equal_toIvEEiEE10hipError_tPvRmT2_T3_T4_T5_mT6_T7_P12ihipStream_tbENKUlT_T0_E_clISt17integral_constantIbLb0EESZ_EEDaSU_SV_EUlSU_E_NS1_11comp_targetILNS1_3genE10ELNS1_11target_archE1201ELNS1_3gpuE5ELNS1_3repE0EEENS1_30default_config_static_selectorELNS0_4arch9wavefront6targetE0EEEvT1_.numbered_sgpr, 0
	.set _ZN7rocprim17ROCPRIM_400000_NS6detail17trampoline_kernelINS0_14default_configENS1_27scan_by_key_config_selectorIiiEEZZNS1_16scan_by_key_implILNS1_25lookback_scan_determinismE0ELb0ES3_N6thrust23THRUST_200600_302600_NS6detail15normal_iteratorINS9_10device_ptrIiEEEESE_SE_iNS9_4plusIvEENS9_8equal_toIvEEiEE10hipError_tPvRmT2_T3_T4_T5_mT6_T7_P12ihipStream_tbENKUlT_T0_E_clISt17integral_constantIbLb0EESZ_EEDaSU_SV_EUlSU_E_NS1_11comp_targetILNS1_3genE10ELNS1_11target_archE1201ELNS1_3gpuE5ELNS1_3repE0EEENS1_30default_config_static_selectorELNS0_4arch9wavefront6targetE0EEEvT1_.num_named_barrier, 0
	.set _ZN7rocprim17ROCPRIM_400000_NS6detail17trampoline_kernelINS0_14default_configENS1_27scan_by_key_config_selectorIiiEEZZNS1_16scan_by_key_implILNS1_25lookback_scan_determinismE0ELb0ES3_N6thrust23THRUST_200600_302600_NS6detail15normal_iteratorINS9_10device_ptrIiEEEESE_SE_iNS9_4plusIvEENS9_8equal_toIvEEiEE10hipError_tPvRmT2_T3_T4_T5_mT6_T7_P12ihipStream_tbENKUlT_T0_E_clISt17integral_constantIbLb0EESZ_EEDaSU_SV_EUlSU_E_NS1_11comp_targetILNS1_3genE10ELNS1_11target_archE1201ELNS1_3gpuE5ELNS1_3repE0EEENS1_30default_config_static_selectorELNS0_4arch9wavefront6targetE0EEEvT1_.private_seg_size, 0
	.set _ZN7rocprim17ROCPRIM_400000_NS6detail17trampoline_kernelINS0_14default_configENS1_27scan_by_key_config_selectorIiiEEZZNS1_16scan_by_key_implILNS1_25lookback_scan_determinismE0ELb0ES3_N6thrust23THRUST_200600_302600_NS6detail15normal_iteratorINS9_10device_ptrIiEEEESE_SE_iNS9_4plusIvEENS9_8equal_toIvEEiEE10hipError_tPvRmT2_T3_T4_T5_mT6_T7_P12ihipStream_tbENKUlT_T0_E_clISt17integral_constantIbLb0EESZ_EEDaSU_SV_EUlSU_E_NS1_11comp_targetILNS1_3genE10ELNS1_11target_archE1201ELNS1_3gpuE5ELNS1_3repE0EEENS1_30default_config_static_selectorELNS0_4arch9wavefront6targetE0EEEvT1_.uses_vcc, 0
	.set _ZN7rocprim17ROCPRIM_400000_NS6detail17trampoline_kernelINS0_14default_configENS1_27scan_by_key_config_selectorIiiEEZZNS1_16scan_by_key_implILNS1_25lookback_scan_determinismE0ELb0ES3_N6thrust23THRUST_200600_302600_NS6detail15normal_iteratorINS9_10device_ptrIiEEEESE_SE_iNS9_4plusIvEENS9_8equal_toIvEEiEE10hipError_tPvRmT2_T3_T4_T5_mT6_T7_P12ihipStream_tbENKUlT_T0_E_clISt17integral_constantIbLb0EESZ_EEDaSU_SV_EUlSU_E_NS1_11comp_targetILNS1_3genE10ELNS1_11target_archE1201ELNS1_3gpuE5ELNS1_3repE0EEENS1_30default_config_static_selectorELNS0_4arch9wavefront6targetE0EEEvT1_.uses_flat_scratch, 0
	.set _ZN7rocprim17ROCPRIM_400000_NS6detail17trampoline_kernelINS0_14default_configENS1_27scan_by_key_config_selectorIiiEEZZNS1_16scan_by_key_implILNS1_25lookback_scan_determinismE0ELb0ES3_N6thrust23THRUST_200600_302600_NS6detail15normal_iteratorINS9_10device_ptrIiEEEESE_SE_iNS9_4plusIvEENS9_8equal_toIvEEiEE10hipError_tPvRmT2_T3_T4_T5_mT6_T7_P12ihipStream_tbENKUlT_T0_E_clISt17integral_constantIbLb0EESZ_EEDaSU_SV_EUlSU_E_NS1_11comp_targetILNS1_3genE10ELNS1_11target_archE1201ELNS1_3gpuE5ELNS1_3repE0EEENS1_30default_config_static_selectorELNS0_4arch9wavefront6targetE0EEEvT1_.has_dyn_sized_stack, 0
	.set _ZN7rocprim17ROCPRIM_400000_NS6detail17trampoline_kernelINS0_14default_configENS1_27scan_by_key_config_selectorIiiEEZZNS1_16scan_by_key_implILNS1_25lookback_scan_determinismE0ELb0ES3_N6thrust23THRUST_200600_302600_NS6detail15normal_iteratorINS9_10device_ptrIiEEEESE_SE_iNS9_4plusIvEENS9_8equal_toIvEEiEE10hipError_tPvRmT2_T3_T4_T5_mT6_T7_P12ihipStream_tbENKUlT_T0_E_clISt17integral_constantIbLb0EESZ_EEDaSU_SV_EUlSU_E_NS1_11comp_targetILNS1_3genE10ELNS1_11target_archE1201ELNS1_3gpuE5ELNS1_3repE0EEENS1_30default_config_static_selectorELNS0_4arch9wavefront6targetE0EEEvT1_.has_recursion, 0
	.set _ZN7rocprim17ROCPRIM_400000_NS6detail17trampoline_kernelINS0_14default_configENS1_27scan_by_key_config_selectorIiiEEZZNS1_16scan_by_key_implILNS1_25lookback_scan_determinismE0ELb0ES3_N6thrust23THRUST_200600_302600_NS6detail15normal_iteratorINS9_10device_ptrIiEEEESE_SE_iNS9_4plusIvEENS9_8equal_toIvEEiEE10hipError_tPvRmT2_T3_T4_T5_mT6_T7_P12ihipStream_tbENKUlT_T0_E_clISt17integral_constantIbLb0EESZ_EEDaSU_SV_EUlSU_E_NS1_11comp_targetILNS1_3genE10ELNS1_11target_archE1201ELNS1_3gpuE5ELNS1_3repE0EEENS1_30default_config_static_selectorELNS0_4arch9wavefront6targetE0EEEvT1_.has_indirect_call, 0
	.section	.AMDGPU.csdata,"",@progbits
; Kernel info:
; codeLenInByte = 0
; TotalNumSgprs: 0
; NumVgprs: 0
; ScratchSize: 0
; MemoryBound: 0
; FloatMode: 240
; IeeeMode: 1
; LDSByteSize: 0 bytes/workgroup (compile time only)
; SGPRBlocks: 0
; VGPRBlocks: 0
; NumSGPRsForWavesPerEU: 1
; NumVGPRsForWavesPerEU: 1
; NamedBarCnt: 0
; Occupancy: 16
; WaveLimiterHint : 0
; COMPUTE_PGM_RSRC2:SCRATCH_EN: 0
; COMPUTE_PGM_RSRC2:USER_SGPR: 2
; COMPUTE_PGM_RSRC2:TRAP_HANDLER: 0
; COMPUTE_PGM_RSRC2:TGID_X_EN: 1
; COMPUTE_PGM_RSRC2:TGID_Y_EN: 0
; COMPUTE_PGM_RSRC2:TGID_Z_EN: 0
; COMPUTE_PGM_RSRC2:TIDIG_COMP_CNT: 0
	.section	.text._ZN7rocprim17ROCPRIM_400000_NS6detail17trampoline_kernelINS0_14default_configENS1_27scan_by_key_config_selectorIiiEEZZNS1_16scan_by_key_implILNS1_25lookback_scan_determinismE0ELb0ES3_N6thrust23THRUST_200600_302600_NS6detail15normal_iteratorINS9_10device_ptrIiEEEESE_SE_iNS9_4plusIvEENS9_8equal_toIvEEiEE10hipError_tPvRmT2_T3_T4_T5_mT6_T7_P12ihipStream_tbENKUlT_T0_E_clISt17integral_constantIbLb0EESZ_EEDaSU_SV_EUlSU_E_NS1_11comp_targetILNS1_3genE5ELNS1_11target_archE942ELNS1_3gpuE9ELNS1_3repE0EEENS1_30default_config_static_selectorELNS0_4arch9wavefront6targetE0EEEvT1_,"axG",@progbits,_ZN7rocprim17ROCPRIM_400000_NS6detail17trampoline_kernelINS0_14default_configENS1_27scan_by_key_config_selectorIiiEEZZNS1_16scan_by_key_implILNS1_25lookback_scan_determinismE0ELb0ES3_N6thrust23THRUST_200600_302600_NS6detail15normal_iteratorINS9_10device_ptrIiEEEESE_SE_iNS9_4plusIvEENS9_8equal_toIvEEiEE10hipError_tPvRmT2_T3_T4_T5_mT6_T7_P12ihipStream_tbENKUlT_T0_E_clISt17integral_constantIbLb0EESZ_EEDaSU_SV_EUlSU_E_NS1_11comp_targetILNS1_3genE5ELNS1_11target_archE942ELNS1_3gpuE9ELNS1_3repE0EEENS1_30default_config_static_selectorELNS0_4arch9wavefront6targetE0EEEvT1_,comdat
	.protected	_ZN7rocprim17ROCPRIM_400000_NS6detail17trampoline_kernelINS0_14default_configENS1_27scan_by_key_config_selectorIiiEEZZNS1_16scan_by_key_implILNS1_25lookback_scan_determinismE0ELb0ES3_N6thrust23THRUST_200600_302600_NS6detail15normal_iteratorINS9_10device_ptrIiEEEESE_SE_iNS9_4plusIvEENS9_8equal_toIvEEiEE10hipError_tPvRmT2_T3_T4_T5_mT6_T7_P12ihipStream_tbENKUlT_T0_E_clISt17integral_constantIbLb0EESZ_EEDaSU_SV_EUlSU_E_NS1_11comp_targetILNS1_3genE5ELNS1_11target_archE942ELNS1_3gpuE9ELNS1_3repE0EEENS1_30default_config_static_selectorELNS0_4arch9wavefront6targetE0EEEvT1_ ; -- Begin function _ZN7rocprim17ROCPRIM_400000_NS6detail17trampoline_kernelINS0_14default_configENS1_27scan_by_key_config_selectorIiiEEZZNS1_16scan_by_key_implILNS1_25lookback_scan_determinismE0ELb0ES3_N6thrust23THRUST_200600_302600_NS6detail15normal_iteratorINS9_10device_ptrIiEEEESE_SE_iNS9_4plusIvEENS9_8equal_toIvEEiEE10hipError_tPvRmT2_T3_T4_T5_mT6_T7_P12ihipStream_tbENKUlT_T0_E_clISt17integral_constantIbLb0EESZ_EEDaSU_SV_EUlSU_E_NS1_11comp_targetILNS1_3genE5ELNS1_11target_archE942ELNS1_3gpuE9ELNS1_3repE0EEENS1_30default_config_static_selectorELNS0_4arch9wavefront6targetE0EEEvT1_
	.globl	_ZN7rocprim17ROCPRIM_400000_NS6detail17trampoline_kernelINS0_14default_configENS1_27scan_by_key_config_selectorIiiEEZZNS1_16scan_by_key_implILNS1_25lookback_scan_determinismE0ELb0ES3_N6thrust23THRUST_200600_302600_NS6detail15normal_iteratorINS9_10device_ptrIiEEEESE_SE_iNS9_4plusIvEENS9_8equal_toIvEEiEE10hipError_tPvRmT2_T3_T4_T5_mT6_T7_P12ihipStream_tbENKUlT_T0_E_clISt17integral_constantIbLb0EESZ_EEDaSU_SV_EUlSU_E_NS1_11comp_targetILNS1_3genE5ELNS1_11target_archE942ELNS1_3gpuE9ELNS1_3repE0EEENS1_30default_config_static_selectorELNS0_4arch9wavefront6targetE0EEEvT1_
	.p2align	8
	.type	_ZN7rocprim17ROCPRIM_400000_NS6detail17trampoline_kernelINS0_14default_configENS1_27scan_by_key_config_selectorIiiEEZZNS1_16scan_by_key_implILNS1_25lookback_scan_determinismE0ELb0ES3_N6thrust23THRUST_200600_302600_NS6detail15normal_iteratorINS9_10device_ptrIiEEEESE_SE_iNS9_4plusIvEENS9_8equal_toIvEEiEE10hipError_tPvRmT2_T3_T4_T5_mT6_T7_P12ihipStream_tbENKUlT_T0_E_clISt17integral_constantIbLb0EESZ_EEDaSU_SV_EUlSU_E_NS1_11comp_targetILNS1_3genE5ELNS1_11target_archE942ELNS1_3gpuE9ELNS1_3repE0EEENS1_30default_config_static_selectorELNS0_4arch9wavefront6targetE0EEEvT1_,@function
_ZN7rocprim17ROCPRIM_400000_NS6detail17trampoline_kernelINS0_14default_configENS1_27scan_by_key_config_selectorIiiEEZZNS1_16scan_by_key_implILNS1_25lookback_scan_determinismE0ELb0ES3_N6thrust23THRUST_200600_302600_NS6detail15normal_iteratorINS9_10device_ptrIiEEEESE_SE_iNS9_4plusIvEENS9_8equal_toIvEEiEE10hipError_tPvRmT2_T3_T4_T5_mT6_T7_P12ihipStream_tbENKUlT_T0_E_clISt17integral_constantIbLb0EESZ_EEDaSU_SV_EUlSU_E_NS1_11comp_targetILNS1_3genE5ELNS1_11target_archE942ELNS1_3gpuE9ELNS1_3repE0EEENS1_30default_config_static_selectorELNS0_4arch9wavefront6targetE0EEEvT1_: ; @_ZN7rocprim17ROCPRIM_400000_NS6detail17trampoline_kernelINS0_14default_configENS1_27scan_by_key_config_selectorIiiEEZZNS1_16scan_by_key_implILNS1_25lookback_scan_determinismE0ELb0ES3_N6thrust23THRUST_200600_302600_NS6detail15normal_iteratorINS9_10device_ptrIiEEEESE_SE_iNS9_4plusIvEENS9_8equal_toIvEEiEE10hipError_tPvRmT2_T3_T4_T5_mT6_T7_P12ihipStream_tbENKUlT_T0_E_clISt17integral_constantIbLb0EESZ_EEDaSU_SV_EUlSU_E_NS1_11comp_targetILNS1_3genE5ELNS1_11target_archE942ELNS1_3gpuE9ELNS1_3repE0EEENS1_30default_config_static_selectorELNS0_4arch9wavefront6targetE0EEEvT1_
; %bb.0:
	.section	.rodata,"a",@progbits
	.p2align	6, 0x0
	.amdhsa_kernel _ZN7rocprim17ROCPRIM_400000_NS6detail17trampoline_kernelINS0_14default_configENS1_27scan_by_key_config_selectorIiiEEZZNS1_16scan_by_key_implILNS1_25lookback_scan_determinismE0ELb0ES3_N6thrust23THRUST_200600_302600_NS6detail15normal_iteratorINS9_10device_ptrIiEEEESE_SE_iNS9_4plusIvEENS9_8equal_toIvEEiEE10hipError_tPvRmT2_T3_T4_T5_mT6_T7_P12ihipStream_tbENKUlT_T0_E_clISt17integral_constantIbLb0EESZ_EEDaSU_SV_EUlSU_E_NS1_11comp_targetILNS1_3genE5ELNS1_11target_archE942ELNS1_3gpuE9ELNS1_3repE0EEENS1_30default_config_static_selectorELNS0_4arch9wavefront6targetE0EEEvT1_
		.amdhsa_group_segment_fixed_size 0
		.amdhsa_private_segment_fixed_size 0
		.amdhsa_kernarg_size 112
		.amdhsa_user_sgpr_count 2
		.amdhsa_user_sgpr_dispatch_ptr 0
		.amdhsa_user_sgpr_queue_ptr 0
		.amdhsa_user_sgpr_kernarg_segment_ptr 1
		.amdhsa_user_sgpr_dispatch_id 0
		.amdhsa_user_sgpr_kernarg_preload_length 0
		.amdhsa_user_sgpr_kernarg_preload_offset 0
		.amdhsa_user_sgpr_private_segment_size 0
		.amdhsa_wavefront_size32 1
		.amdhsa_uses_dynamic_stack 0
		.amdhsa_enable_private_segment 0
		.amdhsa_system_sgpr_workgroup_id_x 1
		.amdhsa_system_sgpr_workgroup_id_y 0
		.amdhsa_system_sgpr_workgroup_id_z 0
		.amdhsa_system_sgpr_workgroup_info 0
		.amdhsa_system_vgpr_workitem_id 0
		.amdhsa_next_free_vgpr 1
		.amdhsa_next_free_sgpr 1
		.amdhsa_named_barrier_count 0
		.amdhsa_reserve_vcc 0
		.amdhsa_float_round_mode_32 0
		.amdhsa_float_round_mode_16_64 0
		.amdhsa_float_denorm_mode_32 3
		.amdhsa_float_denorm_mode_16_64 3
		.amdhsa_fp16_overflow 0
		.amdhsa_memory_ordered 1
		.amdhsa_forward_progress 1
		.amdhsa_inst_pref_size 0
		.amdhsa_round_robin_scheduling 0
		.amdhsa_exception_fp_ieee_invalid_op 0
		.amdhsa_exception_fp_denorm_src 0
		.amdhsa_exception_fp_ieee_div_zero 0
		.amdhsa_exception_fp_ieee_overflow 0
		.amdhsa_exception_fp_ieee_underflow 0
		.amdhsa_exception_fp_ieee_inexact 0
		.amdhsa_exception_int_div_zero 0
	.end_amdhsa_kernel
	.section	.text._ZN7rocprim17ROCPRIM_400000_NS6detail17trampoline_kernelINS0_14default_configENS1_27scan_by_key_config_selectorIiiEEZZNS1_16scan_by_key_implILNS1_25lookback_scan_determinismE0ELb0ES3_N6thrust23THRUST_200600_302600_NS6detail15normal_iteratorINS9_10device_ptrIiEEEESE_SE_iNS9_4plusIvEENS9_8equal_toIvEEiEE10hipError_tPvRmT2_T3_T4_T5_mT6_T7_P12ihipStream_tbENKUlT_T0_E_clISt17integral_constantIbLb0EESZ_EEDaSU_SV_EUlSU_E_NS1_11comp_targetILNS1_3genE5ELNS1_11target_archE942ELNS1_3gpuE9ELNS1_3repE0EEENS1_30default_config_static_selectorELNS0_4arch9wavefront6targetE0EEEvT1_,"axG",@progbits,_ZN7rocprim17ROCPRIM_400000_NS6detail17trampoline_kernelINS0_14default_configENS1_27scan_by_key_config_selectorIiiEEZZNS1_16scan_by_key_implILNS1_25lookback_scan_determinismE0ELb0ES3_N6thrust23THRUST_200600_302600_NS6detail15normal_iteratorINS9_10device_ptrIiEEEESE_SE_iNS9_4plusIvEENS9_8equal_toIvEEiEE10hipError_tPvRmT2_T3_T4_T5_mT6_T7_P12ihipStream_tbENKUlT_T0_E_clISt17integral_constantIbLb0EESZ_EEDaSU_SV_EUlSU_E_NS1_11comp_targetILNS1_3genE5ELNS1_11target_archE942ELNS1_3gpuE9ELNS1_3repE0EEENS1_30default_config_static_selectorELNS0_4arch9wavefront6targetE0EEEvT1_,comdat
.Lfunc_end124:
	.size	_ZN7rocprim17ROCPRIM_400000_NS6detail17trampoline_kernelINS0_14default_configENS1_27scan_by_key_config_selectorIiiEEZZNS1_16scan_by_key_implILNS1_25lookback_scan_determinismE0ELb0ES3_N6thrust23THRUST_200600_302600_NS6detail15normal_iteratorINS9_10device_ptrIiEEEESE_SE_iNS9_4plusIvEENS9_8equal_toIvEEiEE10hipError_tPvRmT2_T3_T4_T5_mT6_T7_P12ihipStream_tbENKUlT_T0_E_clISt17integral_constantIbLb0EESZ_EEDaSU_SV_EUlSU_E_NS1_11comp_targetILNS1_3genE5ELNS1_11target_archE942ELNS1_3gpuE9ELNS1_3repE0EEENS1_30default_config_static_selectorELNS0_4arch9wavefront6targetE0EEEvT1_, .Lfunc_end124-_ZN7rocprim17ROCPRIM_400000_NS6detail17trampoline_kernelINS0_14default_configENS1_27scan_by_key_config_selectorIiiEEZZNS1_16scan_by_key_implILNS1_25lookback_scan_determinismE0ELb0ES3_N6thrust23THRUST_200600_302600_NS6detail15normal_iteratorINS9_10device_ptrIiEEEESE_SE_iNS9_4plusIvEENS9_8equal_toIvEEiEE10hipError_tPvRmT2_T3_T4_T5_mT6_T7_P12ihipStream_tbENKUlT_T0_E_clISt17integral_constantIbLb0EESZ_EEDaSU_SV_EUlSU_E_NS1_11comp_targetILNS1_3genE5ELNS1_11target_archE942ELNS1_3gpuE9ELNS1_3repE0EEENS1_30default_config_static_selectorELNS0_4arch9wavefront6targetE0EEEvT1_
                                        ; -- End function
	.set _ZN7rocprim17ROCPRIM_400000_NS6detail17trampoline_kernelINS0_14default_configENS1_27scan_by_key_config_selectorIiiEEZZNS1_16scan_by_key_implILNS1_25lookback_scan_determinismE0ELb0ES3_N6thrust23THRUST_200600_302600_NS6detail15normal_iteratorINS9_10device_ptrIiEEEESE_SE_iNS9_4plusIvEENS9_8equal_toIvEEiEE10hipError_tPvRmT2_T3_T4_T5_mT6_T7_P12ihipStream_tbENKUlT_T0_E_clISt17integral_constantIbLb0EESZ_EEDaSU_SV_EUlSU_E_NS1_11comp_targetILNS1_3genE5ELNS1_11target_archE942ELNS1_3gpuE9ELNS1_3repE0EEENS1_30default_config_static_selectorELNS0_4arch9wavefront6targetE0EEEvT1_.num_vgpr, 0
	.set _ZN7rocprim17ROCPRIM_400000_NS6detail17trampoline_kernelINS0_14default_configENS1_27scan_by_key_config_selectorIiiEEZZNS1_16scan_by_key_implILNS1_25lookback_scan_determinismE0ELb0ES3_N6thrust23THRUST_200600_302600_NS6detail15normal_iteratorINS9_10device_ptrIiEEEESE_SE_iNS9_4plusIvEENS9_8equal_toIvEEiEE10hipError_tPvRmT2_T3_T4_T5_mT6_T7_P12ihipStream_tbENKUlT_T0_E_clISt17integral_constantIbLb0EESZ_EEDaSU_SV_EUlSU_E_NS1_11comp_targetILNS1_3genE5ELNS1_11target_archE942ELNS1_3gpuE9ELNS1_3repE0EEENS1_30default_config_static_selectorELNS0_4arch9wavefront6targetE0EEEvT1_.num_agpr, 0
	.set _ZN7rocprim17ROCPRIM_400000_NS6detail17trampoline_kernelINS0_14default_configENS1_27scan_by_key_config_selectorIiiEEZZNS1_16scan_by_key_implILNS1_25lookback_scan_determinismE0ELb0ES3_N6thrust23THRUST_200600_302600_NS6detail15normal_iteratorINS9_10device_ptrIiEEEESE_SE_iNS9_4plusIvEENS9_8equal_toIvEEiEE10hipError_tPvRmT2_T3_T4_T5_mT6_T7_P12ihipStream_tbENKUlT_T0_E_clISt17integral_constantIbLb0EESZ_EEDaSU_SV_EUlSU_E_NS1_11comp_targetILNS1_3genE5ELNS1_11target_archE942ELNS1_3gpuE9ELNS1_3repE0EEENS1_30default_config_static_selectorELNS0_4arch9wavefront6targetE0EEEvT1_.numbered_sgpr, 0
	.set _ZN7rocprim17ROCPRIM_400000_NS6detail17trampoline_kernelINS0_14default_configENS1_27scan_by_key_config_selectorIiiEEZZNS1_16scan_by_key_implILNS1_25lookback_scan_determinismE0ELb0ES3_N6thrust23THRUST_200600_302600_NS6detail15normal_iteratorINS9_10device_ptrIiEEEESE_SE_iNS9_4plusIvEENS9_8equal_toIvEEiEE10hipError_tPvRmT2_T3_T4_T5_mT6_T7_P12ihipStream_tbENKUlT_T0_E_clISt17integral_constantIbLb0EESZ_EEDaSU_SV_EUlSU_E_NS1_11comp_targetILNS1_3genE5ELNS1_11target_archE942ELNS1_3gpuE9ELNS1_3repE0EEENS1_30default_config_static_selectorELNS0_4arch9wavefront6targetE0EEEvT1_.num_named_barrier, 0
	.set _ZN7rocprim17ROCPRIM_400000_NS6detail17trampoline_kernelINS0_14default_configENS1_27scan_by_key_config_selectorIiiEEZZNS1_16scan_by_key_implILNS1_25lookback_scan_determinismE0ELb0ES3_N6thrust23THRUST_200600_302600_NS6detail15normal_iteratorINS9_10device_ptrIiEEEESE_SE_iNS9_4plusIvEENS9_8equal_toIvEEiEE10hipError_tPvRmT2_T3_T4_T5_mT6_T7_P12ihipStream_tbENKUlT_T0_E_clISt17integral_constantIbLb0EESZ_EEDaSU_SV_EUlSU_E_NS1_11comp_targetILNS1_3genE5ELNS1_11target_archE942ELNS1_3gpuE9ELNS1_3repE0EEENS1_30default_config_static_selectorELNS0_4arch9wavefront6targetE0EEEvT1_.private_seg_size, 0
	.set _ZN7rocprim17ROCPRIM_400000_NS6detail17trampoline_kernelINS0_14default_configENS1_27scan_by_key_config_selectorIiiEEZZNS1_16scan_by_key_implILNS1_25lookback_scan_determinismE0ELb0ES3_N6thrust23THRUST_200600_302600_NS6detail15normal_iteratorINS9_10device_ptrIiEEEESE_SE_iNS9_4plusIvEENS9_8equal_toIvEEiEE10hipError_tPvRmT2_T3_T4_T5_mT6_T7_P12ihipStream_tbENKUlT_T0_E_clISt17integral_constantIbLb0EESZ_EEDaSU_SV_EUlSU_E_NS1_11comp_targetILNS1_3genE5ELNS1_11target_archE942ELNS1_3gpuE9ELNS1_3repE0EEENS1_30default_config_static_selectorELNS0_4arch9wavefront6targetE0EEEvT1_.uses_vcc, 0
	.set _ZN7rocprim17ROCPRIM_400000_NS6detail17trampoline_kernelINS0_14default_configENS1_27scan_by_key_config_selectorIiiEEZZNS1_16scan_by_key_implILNS1_25lookback_scan_determinismE0ELb0ES3_N6thrust23THRUST_200600_302600_NS6detail15normal_iteratorINS9_10device_ptrIiEEEESE_SE_iNS9_4plusIvEENS9_8equal_toIvEEiEE10hipError_tPvRmT2_T3_T4_T5_mT6_T7_P12ihipStream_tbENKUlT_T0_E_clISt17integral_constantIbLb0EESZ_EEDaSU_SV_EUlSU_E_NS1_11comp_targetILNS1_3genE5ELNS1_11target_archE942ELNS1_3gpuE9ELNS1_3repE0EEENS1_30default_config_static_selectorELNS0_4arch9wavefront6targetE0EEEvT1_.uses_flat_scratch, 0
	.set _ZN7rocprim17ROCPRIM_400000_NS6detail17trampoline_kernelINS0_14default_configENS1_27scan_by_key_config_selectorIiiEEZZNS1_16scan_by_key_implILNS1_25lookback_scan_determinismE0ELb0ES3_N6thrust23THRUST_200600_302600_NS6detail15normal_iteratorINS9_10device_ptrIiEEEESE_SE_iNS9_4plusIvEENS9_8equal_toIvEEiEE10hipError_tPvRmT2_T3_T4_T5_mT6_T7_P12ihipStream_tbENKUlT_T0_E_clISt17integral_constantIbLb0EESZ_EEDaSU_SV_EUlSU_E_NS1_11comp_targetILNS1_3genE5ELNS1_11target_archE942ELNS1_3gpuE9ELNS1_3repE0EEENS1_30default_config_static_selectorELNS0_4arch9wavefront6targetE0EEEvT1_.has_dyn_sized_stack, 0
	.set _ZN7rocprim17ROCPRIM_400000_NS6detail17trampoline_kernelINS0_14default_configENS1_27scan_by_key_config_selectorIiiEEZZNS1_16scan_by_key_implILNS1_25lookback_scan_determinismE0ELb0ES3_N6thrust23THRUST_200600_302600_NS6detail15normal_iteratorINS9_10device_ptrIiEEEESE_SE_iNS9_4plusIvEENS9_8equal_toIvEEiEE10hipError_tPvRmT2_T3_T4_T5_mT6_T7_P12ihipStream_tbENKUlT_T0_E_clISt17integral_constantIbLb0EESZ_EEDaSU_SV_EUlSU_E_NS1_11comp_targetILNS1_3genE5ELNS1_11target_archE942ELNS1_3gpuE9ELNS1_3repE0EEENS1_30default_config_static_selectorELNS0_4arch9wavefront6targetE0EEEvT1_.has_recursion, 0
	.set _ZN7rocprim17ROCPRIM_400000_NS6detail17trampoline_kernelINS0_14default_configENS1_27scan_by_key_config_selectorIiiEEZZNS1_16scan_by_key_implILNS1_25lookback_scan_determinismE0ELb0ES3_N6thrust23THRUST_200600_302600_NS6detail15normal_iteratorINS9_10device_ptrIiEEEESE_SE_iNS9_4plusIvEENS9_8equal_toIvEEiEE10hipError_tPvRmT2_T3_T4_T5_mT6_T7_P12ihipStream_tbENKUlT_T0_E_clISt17integral_constantIbLb0EESZ_EEDaSU_SV_EUlSU_E_NS1_11comp_targetILNS1_3genE5ELNS1_11target_archE942ELNS1_3gpuE9ELNS1_3repE0EEENS1_30default_config_static_selectorELNS0_4arch9wavefront6targetE0EEEvT1_.has_indirect_call, 0
	.section	.AMDGPU.csdata,"",@progbits
; Kernel info:
; codeLenInByte = 0
; TotalNumSgprs: 0
; NumVgprs: 0
; ScratchSize: 0
; MemoryBound: 0
; FloatMode: 240
; IeeeMode: 1
; LDSByteSize: 0 bytes/workgroup (compile time only)
; SGPRBlocks: 0
; VGPRBlocks: 0
; NumSGPRsForWavesPerEU: 1
; NumVGPRsForWavesPerEU: 1
; NamedBarCnt: 0
; Occupancy: 16
; WaveLimiterHint : 0
; COMPUTE_PGM_RSRC2:SCRATCH_EN: 0
; COMPUTE_PGM_RSRC2:USER_SGPR: 2
; COMPUTE_PGM_RSRC2:TRAP_HANDLER: 0
; COMPUTE_PGM_RSRC2:TGID_X_EN: 1
; COMPUTE_PGM_RSRC2:TGID_Y_EN: 0
; COMPUTE_PGM_RSRC2:TGID_Z_EN: 0
; COMPUTE_PGM_RSRC2:TIDIG_COMP_CNT: 0
	.section	.text._ZN7rocprim17ROCPRIM_400000_NS6detail17trampoline_kernelINS0_14default_configENS1_27scan_by_key_config_selectorIiiEEZZNS1_16scan_by_key_implILNS1_25lookback_scan_determinismE0ELb0ES3_N6thrust23THRUST_200600_302600_NS6detail15normal_iteratorINS9_10device_ptrIiEEEESE_SE_iNS9_4plusIvEENS9_8equal_toIvEEiEE10hipError_tPvRmT2_T3_T4_T5_mT6_T7_P12ihipStream_tbENKUlT_T0_E_clISt17integral_constantIbLb0EESZ_EEDaSU_SV_EUlSU_E_NS1_11comp_targetILNS1_3genE4ELNS1_11target_archE910ELNS1_3gpuE8ELNS1_3repE0EEENS1_30default_config_static_selectorELNS0_4arch9wavefront6targetE0EEEvT1_,"axG",@progbits,_ZN7rocprim17ROCPRIM_400000_NS6detail17trampoline_kernelINS0_14default_configENS1_27scan_by_key_config_selectorIiiEEZZNS1_16scan_by_key_implILNS1_25lookback_scan_determinismE0ELb0ES3_N6thrust23THRUST_200600_302600_NS6detail15normal_iteratorINS9_10device_ptrIiEEEESE_SE_iNS9_4plusIvEENS9_8equal_toIvEEiEE10hipError_tPvRmT2_T3_T4_T5_mT6_T7_P12ihipStream_tbENKUlT_T0_E_clISt17integral_constantIbLb0EESZ_EEDaSU_SV_EUlSU_E_NS1_11comp_targetILNS1_3genE4ELNS1_11target_archE910ELNS1_3gpuE8ELNS1_3repE0EEENS1_30default_config_static_selectorELNS0_4arch9wavefront6targetE0EEEvT1_,comdat
	.protected	_ZN7rocprim17ROCPRIM_400000_NS6detail17trampoline_kernelINS0_14default_configENS1_27scan_by_key_config_selectorIiiEEZZNS1_16scan_by_key_implILNS1_25lookback_scan_determinismE0ELb0ES3_N6thrust23THRUST_200600_302600_NS6detail15normal_iteratorINS9_10device_ptrIiEEEESE_SE_iNS9_4plusIvEENS9_8equal_toIvEEiEE10hipError_tPvRmT2_T3_T4_T5_mT6_T7_P12ihipStream_tbENKUlT_T0_E_clISt17integral_constantIbLb0EESZ_EEDaSU_SV_EUlSU_E_NS1_11comp_targetILNS1_3genE4ELNS1_11target_archE910ELNS1_3gpuE8ELNS1_3repE0EEENS1_30default_config_static_selectorELNS0_4arch9wavefront6targetE0EEEvT1_ ; -- Begin function _ZN7rocprim17ROCPRIM_400000_NS6detail17trampoline_kernelINS0_14default_configENS1_27scan_by_key_config_selectorIiiEEZZNS1_16scan_by_key_implILNS1_25lookback_scan_determinismE0ELb0ES3_N6thrust23THRUST_200600_302600_NS6detail15normal_iteratorINS9_10device_ptrIiEEEESE_SE_iNS9_4plusIvEENS9_8equal_toIvEEiEE10hipError_tPvRmT2_T3_T4_T5_mT6_T7_P12ihipStream_tbENKUlT_T0_E_clISt17integral_constantIbLb0EESZ_EEDaSU_SV_EUlSU_E_NS1_11comp_targetILNS1_3genE4ELNS1_11target_archE910ELNS1_3gpuE8ELNS1_3repE0EEENS1_30default_config_static_selectorELNS0_4arch9wavefront6targetE0EEEvT1_
	.globl	_ZN7rocprim17ROCPRIM_400000_NS6detail17trampoline_kernelINS0_14default_configENS1_27scan_by_key_config_selectorIiiEEZZNS1_16scan_by_key_implILNS1_25lookback_scan_determinismE0ELb0ES3_N6thrust23THRUST_200600_302600_NS6detail15normal_iteratorINS9_10device_ptrIiEEEESE_SE_iNS9_4plusIvEENS9_8equal_toIvEEiEE10hipError_tPvRmT2_T3_T4_T5_mT6_T7_P12ihipStream_tbENKUlT_T0_E_clISt17integral_constantIbLb0EESZ_EEDaSU_SV_EUlSU_E_NS1_11comp_targetILNS1_3genE4ELNS1_11target_archE910ELNS1_3gpuE8ELNS1_3repE0EEENS1_30default_config_static_selectorELNS0_4arch9wavefront6targetE0EEEvT1_
	.p2align	8
	.type	_ZN7rocprim17ROCPRIM_400000_NS6detail17trampoline_kernelINS0_14default_configENS1_27scan_by_key_config_selectorIiiEEZZNS1_16scan_by_key_implILNS1_25lookback_scan_determinismE0ELb0ES3_N6thrust23THRUST_200600_302600_NS6detail15normal_iteratorINS9_10device_ptrIiEEEESE_SE_iNS9_4plusIvEENS9_8equal_toIvEEiEE10hipError_tPvRmT2_T3_T4_T5_mT6_T7_P12ihipStream_tbENKUlT_T0_E_clISt17integral_constantIbLb0EESZ_EEDaSU_SV_EUlSU_E_NS1_11comp_targetILNS1_3genE4ELNS1_11target_archE910ELNS1_3gpuE8ELNS1_3repE0EEENS1_30default_config_static_selectorELNS0_4arch9wavefront6targetE0EEEvT1_,@function
_ZN7rocprim17ROCPRIM_400000_NS6detail17trampoline_kernelINS0_14default_configENS1_27scan_by_key_config_selectorIiiEEZZNS1_16scan_by_key_implILNS1_25lookback_scan_determinismE0ELb0ES3_N6thrust23THRUST_200600_302600_NS6detail15normal_iteratorINS9_10device_ptrIiEEEESE_SE_iNS9_4plusIvEENS9_8equal_toIvEEiEE10hipError_tPvRmT2_T3_T4_T5_mT6_T7_P12ihipStream_tbENKUlT_T0_E_clISt17integral_constantIbLb0EESZ_EEDaSU_SV_EUlSU_E_NS1_11comp_targetILNS1_3genE4ELNS1_11target_archE910ELNS1_3gpuE8ELNS1_3repE0EEENS1_30default_config_static_selectorELNS0_4arch9wavefront6targetE0EEEvT1_: ; @_ZN7rocprim17ROCPRIM_400000_NS6detail17trampoline_kernelINS0_14default_configENS1_27scan_by_key_config_selectorIiiEEZZNS1_16scan_by_key_implILNS1_25lookback_scan_determinismE0ELb0ES3_N6thrust23THRUST_200600_302600_NS6detail15normal_iteratorINS9_10device_ptrIiEEEESE_SE_iNS9_4plusIvEENS9_8equal_toIvEEiEE10hipError_tPvRmT2_T3_T4_T5_mT6_T7_P12ihipStream_tbENKUlT_T0_E_clISt17integral_constantIbLb0EESZ_EEDaSU_SV_EUlSU_E_NS1_11comp_targetILNS1_3genE4ELNS1_11target_archE910ELNS1_3gpuE8ELNS1_3repE0EEENS1_30default_config_static_selectorELNS0_4arch9wavefront6targetE0EEEvT1_
; %bb.0:
	.section	.rodata,"a",@progbits
	.p2align	6, 0x0
	.amdhsa_kernel _ZN7rocprim17ROCPRIM_400000_NS6detail17trampoline_kernelINS0_14default_configENS1_27scan_by_key_config_selectorIiiEEZZNS1_16scan_by_key_implILNS1_25lookback_scan_determinismE0ELb0ES3_N6thrust23THRUST_200600_302600_NS6detail15normal_iteratorINS9_10device_ptrIiEEEESE_SE_iNS9_4plusIvEENS9_8equal_toIvEEiEE10hipError_tPvRmT2_T3_T4_T5_mT6_T7_P12ihipStream_tbENKUlT_T0_E_clISt17integral_constantIbLb0EESZ_EEDaSU_SV_EUlSU_E_NS1_11comp_targetILNS1_3genE4ELNS1_11target_archE910ELNS1_3gpuE8ELNS1_3repE0EEENS1_30default_config_static_selectorELNS0_4arch9wavefront6targetE0EEEvT1_
		.amdhsa_group_segment_fixed_size 0
		.amdhsa_private_segment_fixed_size 0
		.amdhsa_kernarg_size 112
		.amdhsa_user_sgpr_count 2
		.amdhsa_user_sgpr_dispatch_ptr 0
		.amdhsa_user_sgpr_queue_ptr 0
		.amdhsa_user_sgpr_kernarg_segment_ptr 1
		.amdhsa_user_sgpr_dispatch_id 0
		.amdhsa_user_sgpr_kernarg_preload_length 0
		.amdhsa_user_sgpr_kernarg_preload_offset 0
		.amdhsa_user_sgpr_private_segment_size 0
		.amdhsa_wavefront_size32 1
		.amdhsa_uses_dynamic_stack 0
		.amdhsa_enable_private_segment 0
		.amdhsa_system_sgpr_workgroup_id_x 1
		.amdhsa_system_sgpr_workgroup_id_y 0
		.amdhsa_system_sgpr_workgroup_id_z 0
		.amdhsa_system_sgpr_workgroup_info 0
		.amdhsa_system_vgpr_workitem_id 0
		.amdhsa_next_free_vgpr 1
		.amdhsa_next_free_sgpr 1
		.amdhsa_named_barrier_count 0
		.amdhsa_reserve_vcc 0
		.amdhsa_float_round_mode_32 0
		.amdhsa_float_round_mode_16_64 0
		.amdhsa_float_denorm_mode_32 3
		.amdhsa_float_denorm_mode_16_64 3
		.amdhsa_fp16_overflow 0
		.amdhsa_memory_ordered 1
		.amdhsa_forward_progress 1
		.amdhsa_inst_pref_size 0
		.amdhsa_round_robin_scheduling 0
		.amdhsa_exception_fp_ieee_invalid_op 0
		.amdhsa_exception_fp_denorm_src 0
		.amdhsa_exception_fp_ieee_div_zero 0
		.amdhsa_exception_fp_ieee_overflow 0
		.amdhsa_exception_fp_ieee_underflow 0
		.amdhsa_exception_fp_ieee_inexact 0
		.amdhsa_exception_int_div_zero 0
	.end_amdhsa_kernel
	.section	.text._ZN7rocprim17ROCPRIM_400000_NS6detail17trampoline_kernelINS0_14default_configENS1_27scan_by_key_config_selectorIiiEEZZNS1_16scan_by_key_implILNS1_25lookback_scan_determinismE0ELb0ES3_N6thrust23THRUST_200600_302600_NS6detail15normal_iteratorINS9_10device_ptrIiEEEESE_SE_iNS9_4plusIvEENS9_8equal_toIvEEiEE10hipError_tPvRmT2_T3_T4_T5_mT6_T7_P12ihipStream_tbENKUlT_T0_E_clISt17integral_constantIbLb0EESZ_EEDaSU_SV_EUlSU_E_NS1_11comp_targetILNS1_3genE4ELNS1_11target_archE910ELNS1_3gpuE8ELNS1_3repE0EEENS1_30default_config_static_selectorELNS0_4arch9wavefront6targetE0EEEvT1_,"axG",@progbits,_ZN7rocprim17ROCPRIM_400000_NS6detail17trampoline_kernelINS0_14default_configENS1_27scan_by_key_config_selectorIiiEEZZNS1_16scan_by_key_implILNS1_25lookback_scan_determinismE0ELb0ES3_N6thrust23THRUST_200600_302600_NS6detail15normal_iteratorINS9_10device_ptrIiEEEESE_SE_iNS9_4plusIvEENS9_8equal_toIvEEiEE10hipError_tPvRmT2_T3_T4_T5_mT6_T7_P12ihipStream_tbENKUlT_T0_E_clISt17integral_constantIbLb0EESZ_EEDaSU_SV_EUlSU_E_NS1_11comp_targetILNS1_3genE4ELNS1_11target_archE910ELNS1_3gpuE8ELNS1_3repE0EEENS1_30default_config_static_selectorELNS0_4arch9wavefront6targetE0EEEvT1_,comdat
.Lfunc_end125:
	.size	_ZN7rocprim17ROCPRIM_400000_NS6detail17trampoline_kernelINS0_14default_configENS1_27scan_by_key_config_selectorIiiEEZZNS1_16scan_by_key_implILNS1_25lookback_scan_determinismE0ELb0ES3_N6thrust23THRUST_200600_302600_NS6detail15normal_iteratorINS9_10device_ptrIiEEEESE_SE_iNS9_4plusIvEENS9_8equal_toIvEEiEE10hipError_tPvRmT2_T3_T4_T5_mT6_T7_P12ihipStream_tbENKUlT_T0_E_clISt17integral_constantIbLb0EESZ_EEDaSU_SV_EUlSU_E_NS1_11comp_targetILNS1_3genE4ELNS1_11target_archE910ELNS1_3gpuE8ELNS1_3repE0EEENS1_30default_config_static_selectorELNS0_4arch9wavefront6targetE0EEEvT1_, .Lfunc_end125-_ZN7rocprim17ROCPRIM_400000_NS6detail17trampoline_kernelINS0_14default_configENS1_27scan_by_key_config_selectorIiiEEZZNS1_16scan_by_key_implILNS1_25lookback_scan_determinismE0ELb0ES3_N6thrust23THRUST_200600_302600_NS6detail15normal_iteratorINS9_10device_ptrIiEEEESE_SE_iNS9_4plusIvEENS9_8equal_toIvEEiEE10hipError_tPvRmT2_T3_T4_T5_mT6_T7_P12ihipStream_tbENKUlT_T0_E_clISt17integral_constantIbLb0EESZ_EEDaSU_SV_EUlSU_E_NS1_11comp_targetILNS1_3genE4ELNS1_11target_archE910ELNS1_3gpuE8ELNS1_3repE0EEENS1_30default_config_static_selectorELNS0_4arch9wavefront6targetE0EEEvT1_
                                        ; -- End function
	.set _ZN7rocprim17ROCPRIM_400000_NS6detail17trampoline_kernelINS0_14default_configENS1_27scan_by_key_config_selectorIiiEEZZNS1_16scan_by_key_implILNS1_25lookback_scan_determinismE0ELb0ES3_N6thrust23THRUST_200600_302600_NS6detail15normal_iteratorINS9_10device_ptrIiEEEESE_SE_iNS9_4plusIvEENS9_8equal_toIvEEiEE10hipError_tPvRmT2_T3_T4_T5_mT6_T7_P12ihipStream_tbENKUlT_T0_E_clISt17integral_constantIbLb0EESZ_EEDaSU_SV_EUlSU_E_NS1_11comp_targetILNS1_3genE4ELNS1_11target_archE910ELNS1_3gpuE8ELNS1_3repE0EEENS1_30default_config_static_selectorELNS0_4arch9wavefront6targetE0EEEvT1_.num_vgpr, 0
	.set _ZN7rocprim17ROCPRIM_400000_NS6detail17trampoline_kernelINS0_14default_configENS1_27scan_by_key_config_selectorIiiEEZZNS1_16scan_by_key_implILNS1_25lookback_scan_determinismE0ELb0ES3_N6thrust23THRUST_200600_302600_NS6detail15normal_iteratorINS9_10device_ptrIiEEEESE_SE_iNS9_4plusIvEENS9_8equal_toIvEEiEE10hipError_tPvRmT2_T3_T4_T5_mT6_T7_P12ihipStream_tbENKUlT_T0_E_clISt17integral_constantIbLb0EESZ_EEDaSU_SV_EUlSU_E_NS1_11comp_targetILNS1_3genE4ELNS1_11target_archE910ELNS1_3gpuE8ELNS1_3repE0EEENS1_30default_config_static_selectorELNS0_4arch9wavefront6targetE0EEEvT1_.num_agpr, 0
	.set _ZN7rocprim17ROCPRIM_400000_NS6detail17trampoline_kernelINS0_14default_configENS1_27scan_by_key_config_selectorIiiEEZZNS1_16scan_by_key_implILNS1_25lookback_scan_determinismE0ELb0ES3_N6thrust23THRUST_200600_302600_NS6detail15normal_iteratorINS9_10device_ptrIiEEEESE_SE_iNS9_4plusIvEENS9_8equal_toIvEEiEE10hipError_tPvRmT2_T3_T4_T5_mT6_T7_P12ihipStream_tbENKUlT_T0_E_clISt17integral_constantIbLb0EESZ_EEDaSU_SV_EUlSU_E_NS1_11comp_targetILNS1_3genE4ELNS1_11target_archE910ELNS1_3gpuE8ELNS1_3repE0EEENS1_30default_config_static_selectorELNS0_4arch9wavefront6targetE0EEEvT1_.numbered_sgpr, 0
	.set _ZN7rocprim17ROCPRIM_400000_NS6detail17trampoline_kernelINS0_14default_configENS1_27scan_by_key_config_selectorIiiEEZZNS1_16scan_by_key_implILNS1_25lookback_scan_determinismE0ELb0ES3_N6thrust23THRUST_200600_302600_NS6detail15normal_iteratorINS9_10device_ptrIiEEEESE_SE_iNS9_4plusIvEENS9_8equal_toIvEEiEE10hipError_tPvRmT2_T3_T4_T5_mT6_T7_P12ihipStream_tbENKUlT_T0_E_clISt17integral_constantIbLb0EESZ_EEDaSU_SV_EUlSU_E_NS1_11comp_targetILNS1_3genE4ELNS1_11target_archE910ELNS1_3gpuE8ELNS1_3repE0EEENS1_30default_config_static_selectorELNS0_4arch9wavefront6targetE0EEEvT1_.num_named_barrier, 0
	.set _ZN7rocprim17ROCPRIM_400000_NS6detail17trampoline_kernelINS0_14default_configENS1_27scan_by_key_config_selectorIiiEEZZNS1_16scan_by_key_implILNS1_25lookback_scan_determinismE0ELb0ES3_N6thrust23THRUST_200600_302600_NS6detail15normal_iteratorINS9_10device_ptrIiEEEESE_SE_iNS9_4plusIvEENS9_8equal_toIvEEiEE10hipError_tPvRmT2_T3_T4_T5_mT6_T7_P12ihipStream_tbENKUlT_T0_E_clISt17integral_constantIbLb0EESZ_EEDaSU_SV_EUlSU_E_NS1_11comp_targetILNS1_3genE4ELNS1_11target_archE910ELNS1_3gpuE8ELNS1_3repE0EEENS1_30default_config_static_selectorELNS0_4arch9wavefront6targetE0EEEvT1_.private_seg_size, 0
	.set _ZN7rocprim17ROCPRIM_400000_NS6detail17trampoline_kernelINS0_14default_configENS1_27scan_by_key_config_selectorIiiEEZZNS1_16scan_by_key_implILNS1_25lookback_scan_determinismE0ELb0ES3_N6thrust23THRUST_200600_302600_NS6detail15normal_iteratorINS9_10device_ptrIiEEEESE_SE_iNS9_4plusIvEENS9_8equal_toIvEEiEE10hipError_tPvRmT2_T3_T4_T5_mT6_T7_P12ihipStream_tbENKUlT_T0_E_clISt17integral_constantIbLb0EESZ_EEDaSU_SV_EUlSU_E_NS1_11comp_targetILNS1_3genE4ELNS1_11target_archE910ELNS1_3gpuE8ELNS1_3repE0EEENS1_30default_config_static_selectorELNS0_4arch9wavefront6targetE0EEEvT1_.uses_vcc, 0
	.set _ZN7rocprim17ROCPRIM_400000_NS6detail17trampoline_kernelINS0_14default_configENS1_27scan_by_key_config_selectorIiiEEZZNS1_16scan_by_key_implILNS1_25lookback_scan_determinismE0ELb0ES3_N6thrust23THRUST_200600_302600_NS6detail15normal_iteratorINS9_10device_ptrIiEEEESE_SE_iNS9_4plusIvEENS9_8equal_toIvEEiEE10hipError_tPvRmT2_T3_T4_T5_mT6_T7_P12ihipStream_tbENKUlT_T0_E_clISt17integral_constantIbLb0EESZ_EEDaSU_SV_EUlSU_E_NS1_11comp_targetILNS1_3genE4ELNS1_11target_archE910ELNS1_3gpuE8ELNS1_3repE0EEENS1_30default_config_static_selectorELNS0_4arch9wavefront6targetE0EEEvT1_.uses_flat_scratch, 0
	.set _ZN7rocprim17ROCPRIM_400000_NS6detail17trampoline_kernelINS0_14default_configENS1_27scan_by_key_config_selectorIiiEEZZNS1_16scan_by_key_implILNS1_25lookback_scan_determinismE0ELb0ES3_N6thrust23THRUST_200600_302600_NS6detail15normal_iteratorINS9_10device_ptrIiEEEESE_SE_iNS9_4plusIvEENS9_8equal_toIvEEiEE10hipError_tPvRmT2_T3_T4_T5_mT6_T7_P12ihipStream_tbENKUlT_T0_E_clISt17integral_constantIbLb0EESZ_EEDaSU_SV_EUlSU_E_NS1_11comp_targetILNS1_3genE4ELNS1_11target_archE910ELNS1_3gpuE8ELNS1_3repE0EEENS1_30default_config_static_selectorELNS0_4arch9wavefront6targetE0EEEvT1_.has_dyn_sized_stack, 0
	.set _ZN7rocprim17ROCPRIM_400000_NS6detail17trampoline_kernelINS0_14default_configENS1_27scan_by_key_config_selectorIiiEEZZNS1_16scan_by_key_implILNS1_25lookback_scan_determinismE0ELb0ES3_N6thrust23THRUST_200600_302600_NS6detail15normal_iteratorINS9_10device_ptrIiEEEESE_SE_iNS9_4plusIvEENS9_8equal_toIvEEiEE10hipError_tPvRmT2_T3_T4_T5_mT6_T7_P12ihipStream_tbENKUlT_T0_E_clISt17integral_constantIbLb0EESZ_EEDaSU_SV_EUlSU_E_NS1_11comp_targetILNS1_3genE4ELNS1_11target_archE910ELNS1_3gpuE8ELNS1_3repE0EEENS1_30default_config_static_selectorELNS0_4arch9wavefront6targetE0EEEvT1_.has_recursion, 0
	.set _ZN7rocprim17ROCPRIM_400000_NS6detail17trampoline_kernelINS0_14default_configENS1_27scan_by_key_config_selectorIiiEEZZNS1_16scan_by_key_implILNS1_25lookback_scan_determinismE0ELb0ES3_N6thrust23THRUST_200600_302600_NS6detail15normal_iteratorINS9_10device_ptrIiEEEESE_SE_iNS9_4plusIvEENS9_8equal_toIvEEiEE10hipError_tPvRmT2_T3_T4_T5_mT6_T7_P12ihipStream_tbENKUlT_T0_E_clISt17integral_constantIbLb0EESZ_EEDaSU_SV_EUlSU_E_NS1_11comp_targetILNS1_3genE4ELNS1_11target_archE910ELNS1_3gpuE8ELNS1_3repE0EEENS1_30default_config_static_selectorELNS0_4arch9wavefront6targetE0EEEvT1_.has_indirect_call, 0
	.section	.AMDGPU.csdata,"",@progbits
; Kernel info:
; codeLenInByte = 0
; TotalNumSgprs: 0
; NumVgprs: 0
; ScratchSize: 0
; MemoryBound: 0
; FloatMode: 240
; IeeeMode: 1
; LDSByteSize: 0 bytes/workgroup (compile time only)
; SGPRBlocks: 0
; VGPRBlocks: 0
; NumSGPRsForWavesPerEU: 1
; NumVGPRsForWavesPerEU: 1
; NamedBarCnt: 0
; Occupancy: 16
; WaveLimiterHint : 0
; COMPUTE_PGM_RSRC2:SCRATCH_EN: 0
; COMPUTE_PGM_RSRC2:USER_SGPR: 2
; COMPUTE_PGM_RSRC2:TRAP_HANDLER: 0
; COMPUTE_PGM_RSRC2:TGID_X_EN: 1
; COMPUTE_PGM_RSRC2:TGID_Y_EN: 0
; COMPUTE_PGM_RSRC2:TGID_Z_EN: 0
; COMPUTE_PGM_RSRC2:TIDIG_COMP_CNT: 0
	.section	.text._ZN7rocprim17ROCPRIM_400000_NS6detail17trampoline_kernelINS0_14default_configENS1_27scan_by_key_config_selectorIiiEEZZNS1_16scan_by_key_implILNS1_25lookback_scan_determinismE0ELb0ES3_N6thrust23THRUST_200600_302600_NS6detail15normal_iteratorINS9_10device_ptrIiEEEESE_SE_iNS9_4plusIvEENS9_8equal_toIvEEiEE10hipError_tPvRmT2_T3_T4_T5_mT6_T7_P12ihipStream_tbENKUlT_T0_E_clISt17integral_constantIbLb0EESZ_EEDaSU_SV_EUlSU_E_NS1_11comp_targetILNS1_3genE3ELNS1_11target_archE908ELNS1_3gpuE7ELNS1_3repE0EEENS1_30default_config_static_selectorELNS0_4arch9wavefront6targetE0EEEvT1_,"axG",@progbits,_ZN7rocprim17ROCPRIM_400000_NS6detail17trampoline_kernelINS0_14default_configENS1_27scan_by_key_config_selectorIiiEEZZNS1_16scan_by_key_implILNS1_25lookback_scan_determinismE0ELb0ES3_N6thrust23THRUST_200600_302600_NS6detail15normal_iteratorINS9_10device_ptrIiEEEESE_SE_iNS9_4plusIvEENS9_8equal_toIvEEiEE10hipError_tPvRmT2_T3_T4_T5_mT6_T7_P12ihipStream_tbENKUlT_T0_E_clISt17integral_constantIbLb0EESZ_EEDaSU_SV_EUlSU_E_NS1_11comp_targetILNS1_3genE3ELNS1_11target_archE908ELNS1_3gpuE7ELNS1_3repE0EEENS1_30default_config_static_selectorELNS0_4arch9wavefront6targetE0EEEvT1_,comdat
	.protected	_ZN7rocprim17ROCPRIM_400000_NS6detail17trampoline_kernelINS0_14default_configENS1_27scan_by_key_config_selectorIiiEEZZNS1_16scan_by_key_implILNS1_25lookback_scan_determinismE0ELb0ES3_N6thrust23THRUST_200600_302600_NS6detail15normal_iteratorINS9_10device_ptrIiEEEESE_SE_iNS9_4plusIvEENS9_8equal_toIvEEiEE10hipError_tPvRmT2_T3_T4_T5_mT6_T7_P12ihipStream_tbENKUlT_T0_E_clISt17integral_constantIbLb0EESZ_EEDaSU_SV_EUlSU_E_NS1_11comp_targetILNS1_3genE3ELNS1_11target_archE908ELNS1_3gpuE7ELNS1_3repE0EEENS1_30default_config_static_selectorELNS0_4arch9wavefront6targetE0EEEvT1_ ; -- Begin function _ZN7rocprim17ROCPRIM_400000_NS6detail17trampoline_kernelINS0_14default_configENS1_27scan_by_key_config_selectorIiiEEZZNS1_16scan_by_key_implILNS1_25lookback_scan_determinismE0ELb0ES3_N6thrust23THRUST_200600_302600_NS6detail15normal_iteratorINS9_10device_ptrIiEEEESE_SE_iNS9_4plusIvEENS9_8equal_toIvEEiEE10hipError_tPvRmT2_T3_T4_T5_mT6_T7_P12ihipStream_tbENKUlT_T0_E_clISt17integral_constantIbLb0EESZ_EEDaSU_SV_EUlSU_E_NS1_11comp_targetILNS1_3genE3ELNS1_11target_archE908ELNS1_3gpuE7ELNS1_3repE0EEENS1_30default_config_static_selectorELNS0_4arch9wavefront6targetE0EEEvT1_
	.globl	_ZN7rocprim17ROCPRIM_400000_NS6detail17trampoline_kernelINS0_14default_configENS1_27scan_by_key_config_selectorIiiEEZZNS1_16scan_by_key_implILNS1_25lookback_scan_determinismE0ELb0ES3_N6thrust23THRUST_200600_302600_NS6detail15normal_iteratorINS9_10device_ptrIiEEEESE_SE_iNS9_4plusIvEENS9_8equal_toIvEEiEE10hipError_tPvRmT2_T3_T4_T5_mT6_T7_P12ihipStream_tbENKUlT_T0_E_clISt17integral_constantIbLb0EESZ_EEDaSU_SV_EUlSU_E_NS1_11comp_targetILNS1_3genE3ELNS1_11target_archE908ELNS1_3gpuE7ELNS1_3repE0EEENS1_30default_config_static_selectorELNS0_4arch9wavefront6targetE0EEEvT1_
	.p2align	8
	.type	_ZN7rocprim17ROCPRIM_400000_NS6detail17trampoline_kernelINS0_14default_configENS1_27scan_by_key_config_selectorIiiEEZZNS1_16scan_by_key_implILNS1_25lookback_scan_determinismE0ELb0ES3_N6thrust23THRUST_200600_302600_NS6detail15normal_iteratorINS9_10device_ptrIiEEEESE_SE_iNS9_4plusIvEENS9_8equal_toIvEEiEE10hipError_tPvRmT2_T3_T4_T5_mT6_T7_P12ihipStream_tbENKUlT_T0_E_clISt17integral_constantIbLb0EESZ_EEDaSU_SV_EUlSU_E_NS1_11comp_targetILNS1_3genE3ELNS1_11target_archE908ELNS1_3gpuE7ELNS1_3repE0EEENS1_30default_config_static_selectorELNS0_4arch9wavefront6targetE0EEEvT1_,@function
_ZN7rocprim17ROCPRIM_400000_NS6detail17trampoline_kernelINS0_14default_configENS1_27scan_by_key_config_selectorIiiEEZZNS1_16scan_by_key_implILNS1_25lookback_scan_determinismE0ELb0ES3_N6thrust23THRUST_200600_302600_NS6detail15normal_iteratorINS9_10device_ptrIiEEEESE_SE_iNS9_4plusIvEENS9_8equal_toIvEEiEE10hipError_tPvRmT2_T3_T4_T5_mT6_T7_P12ihipStream_tbENKUlT_T0_E_clISt17integral_constantIbLb0EESZ_EEDaSU_SV_EUlSU_E_NS1_11comp_targetILNS1_3genE3ELNS1_11target_archE908ELNS1_3gpuE7ELNS1_3repE0EEENS1_30default_config_static_selectorELNS0_4arch9wavefront6targetE0EEEvT1_: ; @_ZN7rocprim17ROCPRIM_400000_NS6detail17trampoline_kernelINS0_14default_configENS1_27scan_by_key_config_selectorIiiEEZZNS1_16scan_by_key_implILNS1_25lookback_scan_determinismE0ELb0ES3_N6thrust23THRUST_200600_302600_NS6detail15normal_iteratorINS9_10device_ptrIiEEEESE_SE_iNS9_4plusIvEENS9_8equal_toIvEEiEE10hipError_tPvRmT2_T3_T4_T5_mT6_T7_P12ihipStream_tbENKUlT_T0_E_clISt17integral_constantIbLb0EESZ_EEDaSU_SV_EUlSU_E_NS1_11comp_targetILNS1_3genE3ELNS1_11target_archE908ELNS1_3gpuE7ELNS1_3repE0EEENS1_30default_config_static_selectorELNS0_4arch9wavefront6targetE0EEEvT1_
; %bb.0:
	.section	.rodata,"a",@progbits
	.p2align	6, 0x0
	.amdhsa_kernel _ZN7rocprim17ROCPRIM_400000_NS6detail17trampoline_kernelINS0_14default_configENS1_27scan_by_key_config_selectorIiiEEZZNS1_16scan_by_key_implILNS1_25lookback_scan_determinismE0ELb0ES3_N6thrust23THRUST_200600_302600_NS6detail15normal_iteratorINS9_10device_ptrIiEEEESE_SE_iNS9_4plusIvEENS9_8equal_toIvEEiEE10hipError_tPvRmT2_T3_T4_T5_mT6_T7_P12ihipStream_tbENKUlT_T0_E_clISt17integral_constantIbLb0EESZ_EEDaSU_SV_EUlSU_E_NS1_11comp_targetILNS1_3genE3ELNS1_11target_archE908ELNS1_3gpuE7ELNS1_3repE0EEENS1_30default_config_static_selectorELNS0_4arch9wavefront6targetE0EEEvT1_
		.amdhsa_group_segment_fixed_size 0
		.amdhsa_private_segment_fixed_size 0
		.amdhsa_kernarg_size 112
		.amdhsa_user_sgpr_count 2
		.amdhsa_user_sgpr_dispatch_ptr 0
		.amdhsa_user_sgpr_queue_ptr 0
		.amdhsa_user_sgpr_kernarg_segment_ptr 1
		.amdhsa_user_sgpr_dispatch_id 0
		.amdhsa_user_sgpr_kernarg_preload_length 0
		.amdhsa_user_sgpr_kernarg_preload_offset 0
		.amdhsa_user_sgpr_private_segment_size 0
		.amdhsa_wavefront_size32 1
		.amdhsa_uses_dynamic_stack 0
		.amdhsa_enable_private_segment 0
		.amdhsa_system_sgpr_workgroup_id_x 1
		.amdhsa_system_sgpr_workgroup_id_y 0
		.amdhsa_system_sgpr_workgroup_id_z 0
		.amdhsa_system_sgpr_workgroup_info 0
		.amdhsa_system_vgpr_workitem_id 0
		.amdhsa_next_free_vgpr 1
		.amdhsa_next_free_sgpr 1
		.amdhsa_named_barrier_count 0
		.amdhsa_reserve_vcc 0
		.amdhsa_float_round_mode_32 0
		.amdhsa_float_round_mode_16_64 0
		.amdhsa_float_denorm_mode_32 3
		.amdhsa_float_denorm_mode_16_64 3
		.amdhsa_fp16_overflow 0
		.amdhsa_memory_ordered 1
		.amdhsa_forward_progress 1
		.amdhsa_inst_pref_size 0
		.amdhsa_round_robin_scheduling 0
		.amdhsa_exception_fp_ieee_invalid_op 0
		.amdhsa_exception_fp_denorm_src 0
		.amdhsa_exception_fp_ieee_div_zero 0
		.amdhsa_exception_fp_ieee_overflow 0
		.amdhsa_exception_fp_ieee_underflow 0
		.amdhsa_exception_fp_ieee_inexact 0
		.amdhsa_exception_int_div_zero 0
	.end_amdhsa_kernel
	.section	.text._ZN7rocprim17ROCPRIM_400000_NS6detail17trampoline_kernelINS0_14default_configENS1_27scan_by_key_config_selectorIiiEEZZNS1_16scan_by_key_implILNS1_25lookback_scan_determinismE0ELb0ES3_N6thrust23THRUST_200600_302600_NS6detail15normal_iteratorINS9_10device_ptrIiEEEESE_SE_iNS9_4plusIvEENS9_8equal_toIvEEiEE10hipError_tPvRmT2_T3_T4_T5_mT6_T7_P12ihipStream_tbENKUlT_T0_E_clISt17integral_constantIbLb0EESZ_EEDaSU_SV_EUlSU_E_NS1_11comp_targetILNS1_3genE3ELNS1_11target_archE908ELNS1_3gpuE7ELNS1_3repE0EEENS1_30default_config_static_selectorELNS0_4arch9wavefront6targetE0EEEvT1_,"axG",@progbits,_ZN7rocprim17ROCPRIM_400000_NS6detail17trampoline_kernelINS0_14default_configENS1_27scan_by_key_config_selectorIiiEEZZNS1_16scan_by_key_implILNS1_25lookback_scan_determinismE0ELb0ES3_N6thrust23THRUST_200600_302600_NS6detail15normal_iteratorINS9_10device_ptrIiEEEESE_SE_iNS9_4plusIvEENS9_8equal_toIvEEiEE10hipError_tPvRmT2_T3_T4_T5_mT6_T7_P12ihipStream_tbENKUlT_T0_E_clISt17integral_constantIbLb0EESZ_EEDaSU_SV_EUlSU_E_NS1_11comp_targetILNS1_3genE3ELNS1_11target_archE908ELNS1_3gpuE7ELNS1_3repE0EEENS1_30default_config_static_selectorELNS0_4arch9wavefront6targetE0EEEvT1_,comdat
.Lfunc_end126:
	.size	_ZN7rocprim17ROCPRIM_400000_NS6detail17trampoline_kernelINS0_14default_configENS1_27scan_by_key_config_selectorIiiEEZZNS1_16scan_by_key_implILNS1_25lookback_scan_determinismE0ELb0ES3_N6thrust23THRUST_200600_302600_NS6detail15normal_iteratorINS9_10device_ptrIiEEEESE_SE_iNS9_4plusIvEENS9_8equal_toIvEEiEE10hipError_tPvRmT2_T3_T4_T5_mT6_T7_P12ihipStream_tbENKUlT_T0_E_clISt17integral_constantIbLb0EESZ_EEDaSU_SV_EUlSU_E_NS1_11comp_targetILNS1_3genE3ELNS1_11target_archE908ELNS1_3gpuE7ELNS1_3repE0EEENS1_30default_config_static_selectorELNS0_4arch9wavefront6targetE0EEEvT1_, .Lfunc_end126-_ZN7rocprim17ROCPRIM_400000_NS6detail17trampoline_kernelINS0_14default_configENS1_27scan_by_key_config_selectorIiiEEZZNS1_16scan_by_key_implILNS1_25lookback_scan_determinismE0ELb0ES3_N6thrust23THRUST_200600_302600_NS6detail15normal_iteratorINS9_10device_ptrIiEEEESE_SE_iNS9_4plusIvEENS9_8equal_toIvEEiEE10hipError_tPvRmT2_T3_T4_T5_mT6_T7_P12ihipStream_tbENKUlT_T0_E_clISt17integral_constantIbLb0EESZ_EEDaSU_SV_EUlSU_E_NS1_11comp_targetILNS1_3genE3ELNS1_11target_archE908ELNS1_3gpuE7ELNS1_3repE0EEENS1_30default_config_static_selectorELNS0_4arch9wavefront6targetE0EEEvT1_
                                        ; -- End function
	.set _ZN7rocprim17ROCPRIM_400000_NS6detail17trampoline_kernelINS0_14default_configENS1_27scan_by_key_config_selectorIiiEEZZNS1_16scan_by_key_implILNS1_25lookback_scan_determinismE0ELb0ES3_N6thrust23THRUST_200600_302600_NS6detail15normal_iteratorINS9_10device_ptrIiEEEESE_SE_iNS9_4plusIvEENS9_8equal_toIvEEiEE10hipError_tPvRmT2_T3_T4_T5_mT6_T7_P12ihipStream_tbENKUlT_T0_E_clISt17integral_constantIbLb0EESZ_EEDaSU_SV_EUlSU_E_NS1_11comp_targetILNS1_3genE3ELNS1_11target_archE908ELNS1_3gpuE7ELNS1_3repE0EEENS1_30default_config_static_selectorELNS0_4arch9wavefront6targetE0EEEvT1_.num_vgpr, 0
	.set _ZN7rocprim17ROCPRIM_400000_NS6detail17trampoline_kernelINS0_14default_configENS1_27scan_by_key_config_selectorIiiEEZZNS1_16scan_by_key_implILNS1_25lookback_scan_determinismE0ELb0ES3_N6thrust23THRUST_200600_302600_NS6detail15normal_iteratorINS9_10device_ptrIiEEEESE_SE_iNS9_4plusIvEENS9_8equal_toIvEEiEE10hipError_tPvRmT2_T3_T4_T5_mT6_T7_P12ihipStream_tbENKUlT_T0_E_clISt17integral_constantIbLb0EESZ_EEDaSU_SV_EUlSU_E_NS1_11comp_targetILNS1_3genE3ELNS1_11target_archE908ELNS1_3gpuE7ELNS1_3repE0EEENS1_30default_config_static_selectorELNS0_4arch9wavefront6targetE0EEEvT1_.num_agpr, 0
	.set _ZN7rocprim17ROCPRIM_400000_NS6detail17trampoline_kernelINS0_14default_configENS1_27scan_by_key_config_selectorIiiEEZZNS1_16scan_by_key_implILNS1_25lookback_scan_determinismE0ELb0ES3_N6thrust23THRUST_200600_302600_NS6detail15normal_iteratorINS9_10device_ptrIiEEEESE_SE_iNS9_4plusIvEENS9_8equal_toIvEEiEE10hipError_tPvRmT2_T3_T4_T5_mT6_T7_P12ihipStream_tbENKUlT_T0_E_clISt17integral_constantIbLb0EESZ_EEDaSU_SV_EUlSU_E_NS1_11comp_targetILNS1_3genE3ELNS1_11target_archE908ELNS1_3gpuE7ELNS1_3repE0EEENS1_30default_config_static_selectorELNS0_4arch9wavefront6targetE0EEEvT1_.numbered_sgpr, 0
	.set _ZN7rocprim17ROCPRIM_400000_NS6detail17trampoline_kernelINS0_14default_configENS1_27scan_by_key_config_selectorIiiEEZZNS1_16scan_by_key_implILNS1_25lookback_scan_determinismE0ELb0ES3_N6thrust23THRUST_200600_302600_NS6detail15normal_iteratorINS9_10device_ptrIiEEEESE_SE_iNS9_4plusIvEENS9_8equal_toIvEEiEE10hipError_tPvRmT2_T3_T4_T5_mT6_T7_P12ihipStream_tbENKUlT_T0_E_clISt17integral_constantIbLb0EESZ_EEDaSU_SV_EUlSU_E_NS1_11comp_targetILNS1_3genE3ELNS1_11target_archE908ELNS1_3gpuE7ELNS1_3repE0EEENS1_30default_config_static_selectorELNS0_4arch9wavefront6targetE0EEEvT1_.num_named_barrier, 0
	.set _ZN7rocprim17ROCPRIM_400000_NS6detail17trampoline_kernelINS0_14default_configENS1_27scan_by_key_config_selectorIiiEEZZNS1_16scan_by_key_implILNS1_25lookback_scan_determinismE0ELb0ES3_N6thrust23THRUST_200600_302600_NS6detail15normal_iteratorINS9_10device_ptrIiEEEESE_SE_iNS9_4plusIvEENS9_8equal_toIvEEiEE10hipError_tPvRmT2_T3_T4_T5_mT6_T7_P12ihipStream_tbENKUlT_T0_E_clISt17integral_constantIbLb0EESZ_EEDaSU_SV_EUlSU_E_NS1_11comp_targetILNS1_3genE3ELNS1_11target_archE908ELNS1_3gpuE7ELNS1_3repE0EEENS1_30default_config_static_selectorELNS0_4arch9wavefront6targetE0EEEvT1_.private_seg_size, 0
	.set _ZN7rocprim17ROCPRIM_400000_NS6detail17trampoline_kernelINS0_14default_configENS1_27scan_by_key_config_selectorIiiEEZZNS1_16scan_by_key_implILNS1_25lookback_scan_determinismE0ELb0ES3_N6thrust23THRUST_200600_302600_NS6detail15normal_iteratorINS9_10device_ptrIiEEEESE_SE_iNS9_4plusIvEENS9_8equal_toIvEEiEE10hipError_tPvRmT2_T3_T4_T5_mT6_T7_P12ihipStream_tbENKUlT_T0_E_clISt17integral_constantIbLb0EESZ_EEDaSU_SV_EUlSU_E_NS1_11comp_targetILNS1_3genE3ELNS1_11target_archE908ELNS1_3gpuE7ELNS1_3repE0EEENS1_30default_config_static_selectorELNS0_4arch9wavefront6targetE0EEEvT1_.uses_vcc, 0
	.set _ZN7rocprim17ROCPRIM_400000_NS6detail17trampoline_kernelINS0_14default_configENS1_27scan_by_key_config_selectorIiiEEZZNS1_16scan_by_key_implILNS1_25lookback_scan_determinismE0ELb0ES3_N6thrust23THRUST_200600_302600_NS6detail15normal_iteratorINS9_10device_ptrIiEEEESE_SE_iNS9_4plusIvEENS9_8equal_toIvEEiEE10hipError_tPvRmT2_T3_T4_T5_mT6_T7_P12ihipStream_tbENKUlT_T0_E_clISt17integral_constantIbLb0EESZ_EEDaSU_SV_EUlSU_E_NS1_11comp_targetILNS1_3genE3ELNS1_11target_archE908ELNS1_3gpuE7ELNS1_3repE0EEENS1_30default_config_static_selectorELNS0_4arch9wavefront6targetE0EEEvT1_.uses_flat_scratch, 0
	.set _ZN7rocprim17ROCPRIM_400000_NS6detail17trampoline_kernelINS0_14default_configENS1_27scan_by_key_config_selectorIiiEEZZNS1_16scan_by_key_implILNS1_25lookback_scan_determinismE0ELb0ES3_N6thrust23THRUST_200600_302600_NS6detail15normal_iteratorINS9_10device_ptrIiEEEESE_SE_iNS9_4plusIvEENS9_8equal_toIvEEiEE10hipError_tPvRmT2_T3_T4_T5_mT6_T7_P12ihipStream_tbENKUlT_T0_E_clISt17integral_constantIbLb0EESZ_EEDaSU_SV_EUlSU_E_NS1_11comp_targetILNS1_3genE3ELNS1_11target_archE908ELNS1_3gpuE7ELNS1_3repE0EEENS1_30default_config_static_selectorELNS0_4arch9wavefront6targetE0EEEvT1_.has_dyn_sized_stack, 0
	.set _ZN7rocprim17ROCPRIM_400000_NS6detail17trampoline_kernelINS0_14default_configENS1_27scan_by_key_config_selectorIiiEEZZNS1_16scan_by_key_implILNS1_25lookback_scan_determinismE0ELb0ES3_N6thrust23THRUST_200600_302600_NS6detail15normal_iteratorINS9_10device_ptrIiEEEESE_SE_iNS9_4plusIvEENS9_8equal_toIvEEiEE10hipError_tPvRmT2_T3_T4_T5_mT6_T7_P12ihipStream_tbENKUlT_T0_E_clISt17integral_constantIbLb0EESZ_EEDaSU_SV_EUlSU_E_NS1_11comp_targetILNS1_3genE3ELNS1_11target_archE908ELNS1_3gpuE7ELNS1_3repE0EEENS1_30default_config_static_selectorELNS0_4arch9wavefront6targetE0EEEvT1_.has_recursion, 0
	.set _ZN7rocprim17ROCPRIM_400000_NS6detail17trampoline_kernelINS0_14default_configENS1_27scan_by_key_config_selectorIiiEEZZNS1_16scan_by_key_implILNS1_25lookback_scan_determinismE0ELb0ES3_N6thrust23THRUST_200600_302600_NS6detail15normal_iteratorINS9_10device_ptrIiEEEESE_SE_iNS9_4plusIvEENS9_8equal_toIvEEiEE10hipError_tPvRmT2_T3_T4_T5_mT6_T7_P12ihipStream_tbENKUlT_T0_E_clISt17integral_constantIbLb0EESZ_EEDaSU_SV_EUlSU_E_NS1_11comp_targetILNS1_3genE3ELNS1_11target_archE908ELNS1_3gpuE7ELNS1_3repE0EEENS1_30default_config_static_selectorELNS0_4arch9wavefront6targetE0EEEvT1_.has_indirect_call, 0
	.section	.AMDGPU.csdata,"",@progbits
; Kernel info:
; codeLenInByte = 0
; TotalNumSgprs: 0
; NumVgprs: 0
; ScratchSize: 0
; MemoryBound: 0
; FloatMode: 240
; IeeeMode: 1
; LDSByteSize: 0 bytes/workgroup (compile time only)
; SGPRBlocks: 0
; VGPRBlocks: 0
; NumSGPRsForWavesPerEU: 1
; NumVGPRsForWavesPerEU: 1
; NamedBarCnt: 0
; Occupancy: 16
; WaveLimiterHint : 0
; COMPUTE_PGM_RSRC2:SCRATCH_EN: 0
; COMPUTE_PGM_RSRC2:USER_SGPR: 2
; COMPUTE_PGM_RSRC2:TRAP_HANDLER: 0
; COMPUTE_PGM_RSRC2:TGID_X_EN: 1
; COMPUTE_PGM_RSRC2:TGID_Y_EN: 0
; COMPUTE_PGM_RSRC2:TGID_Z_EN: 0
; COMPUTE_PGM_RSRC2:TIDIG_COMP_CNT: 0
	.section	.text._ZN7rocprim17ROCPRIM_400000_NS6detail17trampoline_kernelINS0_14default_configENS1_27scan_by_key_config_selectorIiiEEZZNS1_16scan_by_key_implILNS1_25lookback_scan_determinismE0ELb0ES3_N6thrust23THRUST_200600_302600_NS6detail15normal_iteratorINS9_10device_ptrIiEEEESE_SE_iNS9_4plusIvEENS9_8equal_toIvEEiEE10hipError_tPvRmT2_T3_T4_T5_mT6_T7_P12ihipStream_tbENKUlT_T0_E_clISt17integral_constantIbLb0EESZ_EEDaSU_SV_EUlSU_E_NS1_11comp_targetILNS1_3genE2ELNS1_11target_archE906ELNS1_3gpuE6ELNS1_3repE0EEENS1_30default_config_static_selectorELNS0_4arch9wavefront6targetE0EEEvT1_,"axG",@progbits,_ZN7rocprim17ROCPRIM_400000_NS6detail17trampoline_kernelINS0_14default_configENS1_27scan_by_key_config_selectorIiiEEZZNS1_16scan_by_key_implILNS1_25lookback_scan_determinismE0ELb0ES3_N6thrust23THRUST_200600_302600_NS6detail15normal_iteratorINS9_10device_ptrIiEEEESE_SE_iNS9_4plusIvEENS9_8equal_toIvEEiEE10hipError_tPvRmT2_T3_T4_T5_mT6_T7_P12ihipStream_tbENKUlT_T0_E_clISt17integral_constantIbLb0EESZ_EEDaSU_SV_EUlSU_E_NS1_11comp_targetILNS1_3genE2ELNS1_11target_archE906ELNS1_3gpuE6ELNS1_3repE0EEENS1_30default_config_static_selectorELNS0_4arch9wavefront6targetE0EEEvT1_,comdat
	.protected	_ZN7rocprim17ROCPRIM_400000_NS6detail17trampoline_kernelINS0_14default_configENS1_27scan_by_key_config_selectorIiiEEZZNS1_16scan_by_key_implILNS1_25lookback_scan_determinismE0ELb0ES3_N6thrust23THRUST_200600_302600_NS6detail15normal_iteratorINS9_10device_ptrIiEEEESE_SE_iNS9_4plusIvEENS9_8equal_toIvEEiEE10hipError_tPvRmT2_T3_T4_T5_mT6_T7_P12ihipStream_tbENKUlT_T0_E_clISt17integral_constantIbLb0EESZ_EEDaSU_SV_EUlSU_E_NS1_11comp_targetILNS1_3genE2ELNS1_11target_archE906ELNS1_3gpuE6ELNS1_3repE0EEENS1_30default_config_static_selectorELNS0_4arch9wavefront6targetE0EEEvT1_ ; -- Begin function _ZN7rocprim17ROCPRIM_400000_NS6detail17trampoline_kernelINS0_14default_configENS1_27scan_by_key_config_selectorIiiEEZZNS1_16scan_by_key_implILNS1_25lookback_scan_determinismE0ELb0ES3_N6thrust23THRUST_200600_302600_NS6detail15normal_iteratorINS9_10device_ptrIiEEEESE_SE_iNS9_4plusIvEENS9_8equal_toIvEEiEE10hipError_tPvRmT2_T3_T4_T5_mT6_T7_P12ihipStream_tbENKUlT_T0_E_clISt17integral_constantIbLb0EESZ_EEDaSU_SV_EUlSU_E_NS1_11comp_targetILNS1_3genE2ELNS1_11target_archE906ELNS1_3gpuE6ELNS1_3repE0EEENS1_30default_config_static_selectorELNS0_4arch9wavefront6targetE0EEEvT1_
	.globl	_ZN7rocprim17ROCPRIM_400000_NS6detail17trampoline_kernelINS0_14default_configENS1_27scan_by_key_config_selectorIiiEEZZNS1_16scan_by_key_implILNS1_25lookback_scan_determinismE0ELb0ES3_N6thrust23THRUST_200600_302600_NS6detail15normal_iteratorINS9_10device_ptrIiEEEESE_SE_iNS9_4plusIvEENS9_8equal_toIvEEiEE10hipError_tPvRmT2_T3_T4_T5_mT6_T7_P12ihipStream_tbENKUlT_T0_E_clISt17integral_constantIbLb0EESZ_EEDaSU_SV_EUlSU_E_NS1_11comp_targetILNS1_3genE2ELNS1_11target_archE906ELNS1_3gpuE6ELNS1_3repE0EEENS1_30default_config_static_selectorELNS0_4arch9wavefront6targetE0EEEvT1_
	.p2align	8
	.type	_ZN7rocprim17ROCPRIM_400000_NS6detail17trampoline_kernelINS0_14default_configENS1_27scan_by_key_config_selectorIiiEEZZNS1_16scan_by_key_implILNS1_25lookback_scan_determinismE0ELb0ES3_N6thrust23THRUST_200600_302600_NS6detail15normal_iteratorINS9_10device_ptrIiEEEESE_SE_iNS9_4plusIvEENS9_8equal_toIvEEiEE10hipError_tPvRmT2_T3_T4_T5_mT6_T7_P12ihipStream_tbENKUlT_T0_E_clISt17integral_constantIbLb0EESZ_EEDaSU_SV_EUlSU_E_NS1_11comp_targetILNS1_3genE2ELNS1_11target_archE906ELNS1_3gpuE6ELNS1_3repE0EEENS1_30default_config_static_selectorELNS0_4arch9wavefront6targetE0EEEvT1_,@function
_ZN7rocprim17ROCPRIM_400000_NS6detail17trampoline_kernelINS0_14default_configENS1_27scan_by_key_config_selectorIiiEEZZNS1_16scan_by_key_implILNS1_25lookback_scan_determinismE0ELb0ES3_N6thrust23THRUST_200600_302600_NS6detail15normal_iteratorINS9_10device_ptrIiEEEESE_SE_iNS9_4plusIvEENS9_8equal_toIvEEiEE10hipError_tPvRmT2_T3_T4_T5_mT6_T7_P12ihipStream_tbENKUlT_T0_E_clISt17integral_constantIbLb0EESZ_EEDaSU_SV_EUlSU_E_NS1_11comp_targetILNS1_3genE2ELNS1_11target_archE906ELNS1_3gpuE6ELNS1_3repE0EEENS1_30default_config_static_selectorELNS0_4arch9wavefront6targetE0EEEvT1_: ; @_ZN7rocprim17ROCPRIM_400000_NS6detail17trampoline_kernelINS0_14default_configENS1_27scan_by_key_config_selectorIiiEEZZNS1_16scan_by_key_implILNS1_25lookback_scan_determinismE0ELb0ES3_N6thrust23THRUST_200600_302600_NS6detail15normal_iteratorINS9_10device_ptrIiEEEESE_SE_iNS9_4plusIvEENS9_8equal_toIvEEiEE10hipError_tPvRmT2_T3_T4_T5_mT6_T7_P12ihipStream_tbENKUlT_T0_E_clISt17integral_constantIbLb0EESZ_EEDaSU_SV_EUlSU_E_NS1_11comp_targetILNS1_3genE2ELNS1_11target_archE906ELNS1_3gpuE6ELNS1_3repE0EEENS1_30default_config_static_selectorELNS0_4arch9wavefront6targetE0EEEvT1_
; %bb.0:
	.section	.rodata,"a",@progbits
	.p2align	6, 0x0
	.amdhsa_kernel _ZN7rocprim17ROCPRIM_400000_NS6detail17trampoline_kernelINS0_14default_configENS1_27scan_by_key_config_selectorIiiEEZZNS1_16scan_by_key_implILNS1_25lookback_scan_determinismE0ELb0ES3_N6thrust23THRUST_200600_302600_NS6detail15normal_iteratorINS9_10device_ptrIiEEEESE_SE_iNS9_4plusIvEENS9_8equal_toIvEEiEE10hipError_tPvRmT2_T3_T4_T5_mT6_T7_P12ihipStream_tbENKUlT_T0_E_clISt17integral_constantIbLb0EESZ_EEDaSU_SV_EUlSU_E_NS1_11comp_targetILNS1_3genE2ELNS1_11target_archE906ELNS1_3gpuE6ELNS1_3repE0EEENS1_30default_config_static_selectorELNS0_4arch9wavefront6targetE0EEEvT1_
		.amdhsa_group_segment_fixed_size 0
		.amdhsa_private_segment_fixed_size 0
		.amdhsa_kernarg_size 112
		.amdhsa_user_sgpr_count 2
		.amdhsa_user_sgpr_dispatch_ptr 0
		.amdhsa_user_sgpr_queue_ptr 0
		.amdhsa_user_sgpr_kernarg_segment_ptr 1
		.amdhsa_user_sgpr_dispatch_id 0
		.amdhsa_user_sgpr_kernarg_preload_length 0
		.amdhsa_user_sgpr_kernarg_preload_offset 0
		.amdhsa_user_sgpr_private_segment_size 0
		.amdhsa_wavefront_size32 1
		.amdhsa_uses_dynamic_stack 0
		.amdhsa_enable_private_segment 0
		.amdhsa_system_sgpr_workgroup_id_x 1
		.amdhsa_system_sgpr_workgroup_id_y 0
		.amdhsa_system_sgpr_workgroup_id_z 0
		.amdhsa_system_sgpr_workgroup_info 0
		.amdhsa_system_vgpr_workitem_id 0
		.amdhsa_next_free_vgpr 1
		.amdhsa_next_free_sgpr 1
		.amdhsa_named_barrier_count 0
		.amdhsa_reserve_vcc 0
		.amdhsa_float_round_mode_32 0
		.amdhsa_float_round_mode_16_64 0
		.amdhsa_float_denorm_mode_32 3
		.amdhsa_float_denorm_mode_16_64 3
		.amdhsa_fp16_overflow 0
		.amdhsa_memory_ordered 1
		.amdhsa_forward_progress 1
		.amdhsa_inst_pref_size 0
		.amdhsa_round_robin_scheduling 0
		.amdhsa_exception_fp_ieee_invalid_op 0
		.amdhsa_exception_fp_denorm_src 0
		.amdhsa_exception_fp_ieee_div_zero 0
		.amdhsa_exception_fp_ieee_overflow 0
		.amdhsa_exception_fp_ieee_underflow 0
		.amdhsa_exception_fp_ieee_inexact 0
		.amdhsa_exception_int_div_zero 0
	.end_amdhsa_kernel
	.section	.text._ZN7rocprim17ROCPRIM_400000_NS6detail17trampoline_kernelINS0_14default_configENS1_27scan_by_key_config_selectorIiiEEZZNS1_16scan_by_key_implILNS1_25lookback_scan_determinismE0ELb0ES3_N6thrust23THRUST_200600_302600_NS6detail15normal_iteratorINS9_10device_ptrIiEEEESE_SE_iNS9_4plusIvEENS9_8equal_toIvEEiEE10hipError_tPvRmT2_T3_T4_T5_mT6_T7_P12ihipStream_tbENKUlT_T0_E_clISt17integral_constantIbLb0EESZ_EEDaSU_SV_EUlSU_E_NS1_11comp_targetILNS1_3genE2ELNS1_11target_archE906ELNS1_3gpuE6ELNS1_3repE0EEENS1_30default_config_static_selectorELNS0_4arch9wavefront6targetE0EEEvT1_,"axG",@progbits,_ZN7rocprim17ROCPRIM_400000_NS6detail17trampoline_kernelINS0_14default_configENS1_27scan_by_key_config_selectorIiiEEZZNS1_16scan_by_key_implILNS1_25lookback_scan_determinismE0ELb0ES3_N6thrust23THRUST_200600_302600_NS6detail15normal_iteratorINS9_10device_ptrIiEEEESE_SE_iNS9_4plusIvEENS9_8equal_toIvEEiEE10hipError_tPvRmT2_T3_T4_T5_mT6_T7_P12ihipStream_tbENKUlT_T0_E_clISt17integral_constantIbLb0EESZ_EEDaSU_SV_EUlSU_E_NS1_11comp_targetILNS1_3genE2ELNS1_11target_archE906ELNS1_3gpuE6ELNS1_3repE0EEENS1_30default_config_static_selectorELNS0_4arch9wavefront6targetE0EEEvT1_,comdat
.Lfunc_end127:
	.size	_ZN7rocprim17ROCPRIM_400000_NS6detail17trampoline_kernelINS0_14default_configENS1_27scan_by_key_config_selectorIiiEEZZNS1_16scan_by_key_implILNS1_25lookback_scan_determinismE0ELb0ES3_N6thrust23THRUST_200600_302600_NS6detail15normal_iteratorINS9_10device_ptrIiEEEESE_SE_iNS9_4plusIvEENS9_8equal_toIvEEiEE10hipError_tPvRmT2_T3_T4_T5_mT6_T7_P12ihipStream_tbENKUlT_T0_E_clISt17integral_constantIbLb0EESZ_EEDaSU_SV_EUlSU_E_NS1_11comp_targetILNS1_3genE2ELNS1_11target_archE906ELNS1_3gpuE6ELNS1_3repE0EEENS1_30default_config_static_selectorELNS0_4arch9wavefront6targetE0EEEvT1_, .Lfunc_end127-_ZN7rocprim17ROCPRIM_400000_NS6detail17trampoline_kernelINS0_14default_configENS1_27scan_by_key_config_selectorIiiEEZZNS1_16scan_by_key_implILNS1_25lookback_scan_determinismE0ELb0ES3_N6thrust23THRUST_200600_302600_NS6detail15normal_iteratorINS9_10device_ptrIiEEEESE_SE_iNS9_4plusIvEENS9_8equal_toIvEEiEE10hipError_tPvRmT2_T3_T4_T5_mT6_T7_P12ihipStream_tbENKUlT_T0_E_clISt17integral_constantIbLb0EESZ_EEDaSU_SV_EUlSU_E_NS1_11comp_targetILNS1_3genE2ELNS1_11target_archE906ELNS1_3gpuE6ELNS1_3repE0EEENS1_30default_config_static_selectorELNS0_4arch9wavefront6targetE0EEEvT1_
                                        ; -- End function
	.set _ZN7rocprim17ROCPRIM_400000_NS6detail17trampoline_kernelINS0_14default_configENS1_27scan_by_key_config_selectorIiiEEZZNS1_16scan_by_key_implILNS1_25lookback_scan_determinismE0ELb0ES3_N6thrust23THRUST_200600_302600_NS6detail15normal_iteratorINS9_10device_ptrIiEEEESE_SE_iNS9_4plusIvEENS9_8equal_toIvEEiEE10hipError_tPvRmT2_T3_T4_T5_mT6_T7_P12ihipStream_tbENKUlT_T0_E_clISt17integral_constantIbLb0EESZ_EEDaSU_SV_EUlSU_E_NS1_11comp_targetILNS1_3genE2ELNS1_11target_archE906ELNS1_3gpuE6ELNS1_3repE0EEENS1_30default_config_static_selectorELNS0_4arch9wavefront6targetE0EEEvT1_.num_vgpr, 0
	.set _ZN7rocprim17ROCPRIM_400000_NS6detail17trampoline_kernelINS0_14default_configENS1_27scan_by_key_config_selectorIiiEEZZNS1_16scan_by_key_implILNS1_25lookback_scan_determinismE0ELb0ES3_N6thrust23THRUST_200600_302600_NS6detail15normal_iteratorINS9_10device_ptrIiEEEESE_SE_iNS9_4plusIvEENS9_8equal_toIvEEiEE10hipError_tPvRmT2_T3_T4_T5_mT6_T7_P12ihipStream_tbENKUlT_T0_E_clISt17integral_constantIbLb0EESZ_EEDaSU_SV_EUlSU_E_NS1_11comp_targetILNS1_3genE2ELNS1_11target_archE906ELNS1_3gpuE6ELNS1_3repE0EEENS1_30default_config_static_selectorELNS0_4arch9wavefront6targetE0EEEvT1_.num_agpr, 0
	.set _ZN7rocprim17ROCPRIM_400000_NS6detail17trampoline_kernelINS0_14default_configENS1_27scan_by_key_config_selectorIiiEEZZNS1_16scan_by_key_implILNS1_25lookback_scan_determinismE0ELb0ES3_N6thrust23THRUST_200600_302600_NS6detail15normal_iteratorINS9_10device_ptrIiEEEESE_SE_iNS9_4plusIvEENS9_8equal_toIvEEiEE10hipError_tPvRmT2_T3_T4_T5_mT6_T7_P12ihipStream_tbENKUlT_T0_E_clISt17integral_constantIbLb0EESZ_EEDaSU_SV_EUlSU_E_NS1_11comp_targetILNS1_3genE2ELNS1_11target_archE906ELNS1_3gpuE6ELNS1_3repE0EEENS1_30default_config_static_selectorELNS0_4arch9wavefront6targetE0EEEvT1_.numbered_sgpr, 0
	.set _ZN7rocprim17ROCPRIM_400000_NS6detail17trampoline_kernelINS0_14default_configENS1_27scan_by_key_config_selectorIiiEEZZNS1_16scan_by_key_implILNS1_25lookback_scan_determinismE0ELb0ES3_N6thrust23THRUST_200600_302600_NS6detail15normal_iteratorINS9_10device_ptrIiEEEESE_SE_iNS9_4plusIvEENS9_8equal_toIvEEiEE10hipError_tPvRmT2_T3_T4_T5_mT6_T7_P12ihipStream_tbENKUlT_T0_E_clISt17integral_constantIbLb0EESZ_EEDaSU_SV_EUlSU_E_NS1_11comp_targetILNS1_3genE2ELNS1_11target_archE906ELNS1_3gpuE6ELNS1_3repE0EEENS1_30default_config_static_selectorELNS0_4arch9wavefront6targetE0EEEvT1_.num_named_barrier, 0
	.set _ZN7rocprim17ROCPRIM_400000_NS6detail17trampoline_kernelINS0_14default_configENS1_27scan_by_key_config_selectorIiiEEZZNS1_16scan_by_key_implILNS1_25lookback_scan_determinismE0ELb0ES3_N6thrust23THRUST_200600_302600_NS6detail15normal_iteratorINS9_10device_ptrIiEEEESE_SE_iNS9_4plusIvEENS9_8equal_toIvEEiEE10hipError_tPvRmT2_T3_T4_T5_mT6_T7_P12ihipStream_tbENKUlT_T0_E_clISt17integral_constantIbLb0EESZ_EEDaSU_SV_EUlSU_E_NS1_11comp_targetILNS1_3genE2ELNS1_11target_archE906ELNS1_3gpuE6ELNS1_3repE0EEENS1_30default_config_static_selectorELNS0_4arch9wavefront6targetE0EEEvT1_.private_seg_size, 0
	.set _ZN7rocprim17ROCPRIM_400000_NS6detail17trampoline_kernelINS0_14default_configENS1_27scan_by_key_config_selectorIiiEEZZNS1_16scan_by_key_implILNS1_25lookback_scan_determinismE0ELb0ES3_N6thrust23THRUST_200600_302600_NS6detail15normal_iteratorINS9_10device_ptrIiEEEESE_SE_iNS9_4plusIvEENS9_8equal_toIvEEiEE10hipError_tPvRmT2_T3_T4_T5_mT6_T7_P12ihipStream_tbENKUlT_T0_E_clISt17integral_constantIbLb0EESZ_EEDaSU_SV_EUlSU_E_NS1_11comp_targetILNS1_3genE2ELNS1_11target_archE906ELNS1_3gpuE6ELNS1_3repE0EEENS1_30default_config_static_selectorELNS0_4arch9wavefront6targetE0EEEvT1_.uses_vcc, 0
	.set _ZN7rocprim17ROCPRIM_400000_NS6detail17trampoline_kernelINS0_14default_configENS1_27scan_by_key_config_selectorIiiEEZZNS1_16scan_by_key_implILNS1_25lookback_scan_determinismE0ELb0ES3_N6thrust23THRUST_200600_302600_NS6detail15normal_iteratorINS9_10device_ptrIiEEEESE_SE_iNS9_4plusIvEENS9_8equal_toIvEEiEE10hipError_tPvRmT2_T3_T4_T5_mT6_T7_P12ihipStream_tbENKUlT_T0_E_clISt17integral_constantIbLb0EESZ_EEDaSU_SV_EUlSU_E_NS1_11comp_targetILNS1_3genE2ELNS1_11target_archE906ELNS1_3gpuE6ELNS1_3repE0EEENS1_30default_config_static_selectorELNS0_4arch9wavefront6targetE0EEEvT1_.uses_flat_scratch, 0
	.set _ZN7rocprim17ROCPRIM_400000_NS6detail17trampoline_kernelINS0_14default_configENS1_27scan_by_key_config_selectorIiiEEZZNS1_16scan_by_key_implILNS1_25lookback_scan_determinismE0ELb0ES3_N6thrust23THRUST_200600_302600_NS6detail15normal_iteratorINS9_10device_ptrIiEEEESE_SE_iNS9_4plusIvEENS9_8equal_toIvEEiEE10hipError_tPvRmT2_T3_T4_T5_mT6_T7_P12ihipStream_tbENKUlT_T0_E_clISt17integral_constantIbLb0EESZ_EEDaSU_SV_EUlSU_E_NS1_11comp_targetILNS1_3genE2ELNS1_11target_archE906ELNS1_3gpuE6ELNS1_3repE0EEENS1_30default_config_static_selectorELNS0_4arch9wavefront6targetE0EEEvT1_.has_dyn_sized_stack, 0
	.set _ZN7rocprim17ROCPRIM_400000_NS6detail17trampoline_kernelINS0_14default_configENS1_27scan_by_key_config_selectorIiiEEZZNS1_16scan_by_key_implILNS1_25lookback_scan_determinismE0ELb0ES3_N6thrust23THRUST_200600_302600_NS6detail15normal_iteratorINS9_10device_ptrIiEEEESE_SE_iNS9_4plusIvEENS9_8equal_toIvEEiEE10hipError_tPvRmT2_T3_T4_T5_mT6_T7_P12ihipStream_tbENKUlT_T0_E_clISt17integral_constantIbLb0EESZ_EEDaSU_SV_EUlSU_E_NS1_11comp_targetILNS1_3genE2ELNS1_11target_archE906ELNS1_3gpuE6ELNS1_3repE0EEENS1_30default_config_static_selectorELNS0_4arch9wavefront6targetE0EEEvT1_.has_recursion, 0
	.set _ZN7rocprim17ROCPRIM_400000_NS6detail17trampoline_kernelINS0_14default_configENS1_27scan_by_key_config_selectorIiiEEZZNS1_16scan_by_key_implILNS1_25lookback_scan_determinismE0ELb0ES3_N6thrust23THRUST_200600_302600_NS6detail15normal_iteratorINS9_10device_ptrIiEEEESE_SE_iNS9_4plusIvEENS9_8equal_toIvEEiEE10hipError_tPvRmT2_T3_T4_T5_mT6_T7_P12ihipStream_tbENKUlT_T0_E_clISt17integral_constantIbLb0EESZ_EEDaSU_SV_EUlSU_E_NS1_11comp_targetILNS1_3genE2ELNS1_11target_archE906ELNS1_3gpuE6ELNS1_3repE0EEENS1_30default_config_static_selectorELNS0_4arch9wavefront6targetE0EEEvT1_.has_indirect_call, 0
	.section	.AMDGPU.csdata,"",@progbits
; Kernel info:
; codeLenInByte = 0
; TotalNumSgprs: 0
; NumVgprs: 0
; ScratchSize: 0
; MemoryBound: 0
; FloatMode: 240
; IeeeMode: 1
; LDSByteSize: 0 bytes/workgroup (compile time only)
; SGPRBlocks: 0
; VGPRBlocks: 0
; NumSGPRsForWavesPerEU: 1
; NumVGPRsForWavesPerEU: 1
; NamedBarCnt: 0
; Occupancy: 16
; WaveLimiterHint : 0
; COMPUTE_PGM_RSRC2:SCRATCH_EN: 0
; COMPUTE_PGM_RSRC2:USER_SGPR: 2
; COMPUTE_PGM_RSRC2:TRAP_HANDLER: 0
; COMPUTE_PGM_RSRC2:TGID_X_EN: 1
; COMPUTE_PGM_RSRC2:TGID_Y_EN: 0
; COMPUTE_PGM_RSRC2:TGID_Z_EN: 0
; COMPUTE_PGM_RSRC2:TIDIG_COMP_CNT: 0
	.section	.text._ZN7rocprim17ROCPRIM_400000_NS6detail17trampoline_kernelINS0_14default_configENS1_27scan_by_key_config_selectorIiiEEZZNS1_16scan_by_key_implILNS1_25lookback_scan_determinismE0ELb0ES3_N6thrust23THRUST_200600_302600_NS6detail15normal_iteratorINS9_10device_ptrIiEEEESE_SE_iNS9_4plusIvEENS9_8equal_toIvEEiEE10hipError_tPvRmT2_T3_T4_T5_mT6_T7_P12ihipStream_tbENKUlT_T0_E_clISt17integral_constantIbLb0EESZ_EEDaSU_SV_EUlSU_E_NS1_11comp_targetILNS1_3genE10ELNS1_11target_archE1200ELNS1_3gpuE4ELNS1_3repE0EEENS1_30default_config_static_selectorELNS0_4arch9wavefront6targetE0EEEvT1_,"axG",@progbits,_ZN7rocprim17ROCPRIM_400000_NS6detail17trampoline_kernelINS0_14default_configENS1_27scan_by_key_config_selectorIiiEEZZNS1_16scan_by_key_implILNS1_25lookback_scan_determinismE0ELb0ES3_N6thrust23THRUST_200600_302600_NS6detail15normal_iteratorINS9_10device_ptrIiEEEESE_SE_iNS9_4plusIvEENS9_8equal_toIvEEiEE10hipError_tPvRmT2_T3_T4_T5_mT6_T7_P12ihipStream_tbENKUlT_T0_E_clISt17integral_constantIbLb0EESZ_EEDaSU_SV_EUlSU_E_NS1_11comp_targetILNS1_3genE10ELNS1_11target_archE1200ELNS1_3gpuE4ELNS1_3repE0EEENS1_30default_config_static_selectorELNS0_4arch9wavefront6targetE0EEEvT1_,comdat
	.protected	_ZN7rocprim17ROCPRIM_400000_NS6detail17trampoline_kernelINS0_14default_configENS1_27scan_by_key_config_selectorIiiEEZZNS1_16scan_by_key_implILNS1_25lookback_scan_determinismE0ELb0ES3_N6thrust23THRUST_200600_302600_NS6detail15normal_iteratorINS9_10device_ptrIiEEEESE_SE_iNS9_4plusIvEENS9_8equal_toIvEEiEE10hipError_tPvRmT2_T3_T4_T5_mT6_T7_P12ihipStream_tbENKUlT_T0_E_clISt17integral_constantIbLb0EESZ_EEDaSU_SV_EUlSU_E_NS1_11comp_targetILNS1_3genE10ELNS1_11target_archE1200ELNS1_3gpuE4ELNS1_3repE0EEENS1_30default_config_static_selectorELNS0_4arch9wavefront6targetE0EEEvT1_ ; -- Begin function _ZN7rocprim17ROCPRIM_400000_NS6detail17trampoline_kernelINS0_14default_configENS1_27scan_by_key_config_selectorIiiEEZZNS1_16scan_by_key_implILNS1_25lookback_scan_determinismE0ELb0ES3_N6thrust23THRUST_200600_302600_NS6detail15normal_iteratorINS9_10device_ptrIiEEEESE_SE_iNS9_4plusIvEENS9_8equal_toIvEEiEE10hipError_tPvRmT2_T3_T4_T5_mT6_T7_P12ihipStream_tbENKUlT_T0_E_clISt17integral_constantIbLb0EESZ_EEDaSU_SV_EUlSU_E_NS1_11comp_targetILNS1_3genE10ELNS1_11target_archE1200ELNS1_3gpuE4ELNS1_3repE0EEENS1_30default_config_static_selectorELNS0_4arch9wavefront6targetE0EEEvT1_
	.globl	_ZN7rocprim17ROCPRIM_400000_NS6detail17trampoline_kernelINS0_14default_configENS1_27scan_by_key_config_selectorIiiEEZZNS1_16scan_by_key_implILNS1_25lookback_scan_determinismE0ELb0ES3_N6thrust23THRUST_200600_302600_NS6detail15normal_iteratorINS9_10device_ptrIiEEEESE_SE_iNS9_4plusIvEENS9_8equal_toIvEEiEE10hipError_tPvRmT2_T3_T4_T5_mT6_T7_P12ihipStream_tbENKUlT_T0_E_clISt17integral_constantIbLb0EESZ_EEDaSU_SV_EUlSU_E_NS1_11comp_targetILNS1_3genE10ELNS1_11target_archE1200ELNS1_3gpuE4ELNS1_3repE0EEENS1_30default_config_static_selectorELNS0_4arch9wavefront6targetE0EEEvT1_
	.p2align	8
	.type	_ZN7rocprim17ROCPRIM_400000_NS6detail17trampoline_kernelINS0_14default_configENS1_27scan_by_key_config_selectorIiiEEZZNS1_16scan_by_key_implILNS1_25lookback_scan_determinismE0ELb0ES3_N6thrust23THRUST_200600_302600_NS6detail15normal_iteratorINS9_10device_ptrIiEEEESE_SE_iNS9_4plusIvEENS9_8equal_toIvEEiEE10hipError_tPvRmT2_T3_T4_T5_mT6_T7_P12ihipStream_tbENKUlT_T0_E_clISt17integral_constantIbLb0EESZ_EEDaSU_SV_EUlSU_E_NS1_11comp_targetILNS1_3genE10ELNS1_11target_archE1200ELNS1_3gpuE4ELNS1_3repE0EEENS1_30default_config_static_selectorELNS0_4arch9wavefront6targetE0EEEvT1_,@function
_ZN7rocprim17ROCPRIM_400000_NS6detail17trampoline_kernelINS0_14default_configENS1_27scan_by_key_config_selectorIiiEEZZNS1_16scan_by_key_implILNS1_25lookback_scan_determinismE0ELb0ES3_N6thrust23THRUST_200600_302600_NS6detail15normal_iteratorINS9_10device_ptrIiEEEESE_SE_iNS9_4plusIvEENS9_8equal_toIvEEiEE10hipError_tPvRmT2_T3_T4_T5_mT6_T7_P12ihipStream_tbENKUlT_T0_E_clISt17integral_constantIbLb0EESZ_EEDaSU_SV_EUlSU_E_NS1_11comp_targetILNS1_3genE10ELNS1_11target_archE1200ELNS1_3gpuE4ELNS1_3repE0EEENS1_30default_config_static_selectorELNS0_4arch9wavefront6targetE0EEEvT1_: ; @_ZN7rocprim17ROCPRIM_400000_NS6detail17trampoline_kernelINS0_14default_configENS1_27scan_by_key_config_selectorIiiEEZZNS1_16scan_by_key_implILNS1_25lookback_scan_determinismE0ELb0ES3_N6thrust23THRUST_200600_302600_NS6detail15normal_iteratorINS9_10device_ptrIiEEEESE_SE_iNS9_4plusIvEENS9_8equal_toIvEEiEE10hipError_tPvRmT2_T3_T4_T5_mT6_T7_P12ihipStream_tbENKUlT_T0_E_clISt17integral_constantIbLb0EESZ_EEDaSU_SV_EUlSU_E_NS1_11comp_targetILNS1_3genE10ELNS1_11target_archE1200ELNS1_3gpuE4ELNS1_3repE0EEENS1_30default_config_static_selectorELNS0_4arch9wavefront6targetE0EEEvT1_
; %bb.0:
	.section	.rodata,"a",@progbits
	.p2align	6, 0x0
	.amdhsa_kernel _ZN7rocprim17ROCPRIM_400000_NS6detail17trampoline_kernelINS0_14default_configENS1_27scan_by_key_config_selectorIiiEEZZNS1_16scan_by_key_implILNS1_25lookback_scan_determinismE0ELb0ES3_N6thrust23THRUST_200600_302600_NS6detail15normal_iteratorINS9_10device_ptrIiEEEESE_SE_iNS9_4plusIvEENS9_8equal_toIvEEiEE10hipError_tPvRmT2_T3_T4_T5_mT6_T7_P12ihipStream_tbENKUlT_T0_E_clISt17integral_constantIbLb0EESZ_EEDaSU_SV_EUlSU_E_NS1_11comp_targetILNS1_3genE10ELNS1_11target_archE1200ELNS1_3gpuE4ELNS1_3repE0EEENS1_30default_config_static_selectorELNS0_4arch9wavefront6targetE0EEEvT1_
		.amdhsa_group_segment_fixed_size 0
		.amdhsa_private_segment_fixed_size 0
		.amdhsa_kernarg_size 112
		.amdhsa_user_sgpr_count 2
		.amdhsa_user_sgpr_dispatch_ptr 0
		.amdhsa_user_sgpr_queue_ptr 0
		.amdhsa_user_sgpr_kernarg_segment_ptr 1
		.amdhsa_user_sgpr_dispatch_id 0
		.amdhsa_user_sgpr_kernarg_preload_length 0
		.amdhsa_user_sgpr_kernarg_preload_offset 0
		.amdhsa_user_sgpr_private_segment_size 0
		.amdhsa_wavefront_size32 1
		.amdhsa_uses_dynamic_stack 0
		.amdhsa_enable_private_segment 0
		.amdhsa_system_sgpr_workgroup_id_x 1
		.amdhsa_system_sgpr_workgroup_id_y 0
		.amdhsa_system_sgpr_workgroup_id_z 0
		.amdhsa_system_sgpr_workgroup_info 0
		.amdhsa_system_vgpr_workitem_id 0
		.amdhsa_next_free_vgpr 1
		.amdhsa_next_free_sgpr 1
		.amdhsa_named_barrier_count 0
		.amdhsa_reserve_vcc 0
		.amdhsa_float_round_mode_32 0
		.amdhsa_float_round_mode_16_64 0
		.amdhsa_float_denorm_mode_32 3
		.amdhsa_float_denorm_mode_16_64 3
		.amdhsa_fp16_overflow 0
		.amdhsa_memory_ordered 1
		.amdhsa_forward_progress 1
		.amdhsa_inst_pref_size 0
		.amdhsa_round_robin_scheduling 0
		.amdhsa_exception_fp_ieee_invalid_op 0
		.amdhsa_exception_fp_denorm_src 0
		.amdhsa_exception_fp_ieee_div_zero 0
		.amdhsa_exception_fp_ieee_overflow 0
		.amdhsa_exception_fp_ieee_underflow 0
		.amdhsa_exception_fp_ieee_inexact 0
		.amdhsa_exception_int_div_zero 0
	.end_amdhsa_kernel
	.section	.text._ZN7rocprim17ROCPRIM_400000_NS6detail17trampoline_kernelINS0_14default_configENS1_27scan_by_key_config_selectorIiiEEZZNS1_16scan_by_key_implILNS1_25lookback_scan_determinismE0ELb0ES3_N6thrust23THRUST_200600_302600_NS6detail15normal_iteratorINS9_10device_ptrIiEEEESE_SE_iNS9_4plusIvEENS9_8equal_toIvEEiEE10hipError_tPvRmT2_T3_T4_T5_mT6_T7_P12ihipStream_tbENKUlT_T0_E_clISt17integral_constantIbLb0EESZ_EEDaSU_SV_EUlSU_E_NS1_11comp_targetILNS1_3genE10ELNS1_11target_archE1200ELNS1_3gpuE4ELNS1_3repE0EEENS1_30default_config_static_selectorELNS0_4arch9wavefront6targetE0EEEvT1_,"axG",@progbits,_ZN7rocprim17ROCPRIM_400000_NS6detail17trampoline_kernelINS0_14default_configENS1_27scan_by_key_config_selectorIiiEEZZNS1_16scan_by_key_implILNS1_25lookback_scan_determinismE0ELb0ES3_N6thrust23THRUST_200600_302600_NS6detail15normal_iteratorINS9_10device_ptrIiEEEESE_SE_iNS9_4plusIvEENS9_8equal_toIvEEiEE10hipError_tPvRmT2_T3_T4_T5_mT6_T7_P12ihipStream_tbENKUlT_T0_E_clISt17integral_constantIbLb0EESZ_EEDaSU_SV_EUlSU_E_NS1_11comp_targetILNS1_3genE10ELNS1_11target_archE1200ELNS1_3gpuE4ELNS1_3repE0EEENS1_30default_config_static_selectorELNS0_4arch9wavefront6targetE0EEEvT1_,comdat
.Lfunc_end128:
	.size	_ZN7rocprim17ROCPRIM_400000_NS6detail17trampoline_kernelINS0_14default_configENS1_27scan_by_key_config_selectorIiiEEZZNS1_16scan_by_key_implILNS1_25lookback_scan_determinismE0ELb0ES3_N6thrust23THRUST_200600_302600_NS6detail15normal_iteratorINS9_10device_ptrIiEEEESE_SE_iNS9_4plusIvEENS9_8equal_toIvEEiEE10hipError_tPvRmT2_T3_T4_T5_mT6_T7_P12ihipStream_tbENKUlT_T0_E_clISt17integral_constantIbLb0EESZ_EEDaSU_SV_EUlSU_E_NS1_11comp_targetILNS1_3genE10ELNS1_11target_archE1200ELNS1_3gpuE4ELNS1_3repE0EEENS1_30default_config_static_selectorELNS0_4arch9wavefront6targetE0EEEvT1_, .Lfunc_end128-_ZN7rocprim17ROCPRIM_400000_NS6detail17trampoline_kernelINS0_14default_configENS1_27scan_by_key_config_selectorIiiEEZZNS1_16scan_by_key_implILNS1_25lookback_scan_determinismE0ELb0ES3_N6thrust23THRUST_200600_302600_NS6detail15normal_iteratorINS9_10device_ptrIiEEEESE_SE_iNS9_4plusIvEENS9_8equal_toIvEEiEE10hipError_tPvRmT2_T3_T4_T5_mT6_T7_P12ihipStream_tbENKUlT_T0_E_clISt17integral_constantIbLb0EESZ_EEDaSU_SV_EUlSU_E_NS1_11comp_targetILNS1_3genE10ELNS1_11target_archE1200ELNS1_3gpuE4ELNS1_3repE0EEENS1_30default_config_static_selectorELNS0_4arch9wavefront6targetE0EEEvT1_
                                        ; -- End function
	.set _ZN7rocprim17ROCPRIM_400000_NS6detail17trampoline_kernelINS0_14default_configENS1_27scan_by_key_config_selectorIiiEEZZNS1_16scan_by_key_implILNS1_25lookback_scan_determinismE0ELb0ES3_N6thrust23THRUST_200600_302600_NS6detail15normal_iteratorINS9_10device_ptrIiEEEESE_SE_iNS9_4plusIvEENS9_8equal_toIvEEiEE10hipError_tPvRmT2_T3_T4_T5_mT6_T7_P12ihipStream_tbENKUlT_T0_E_clISt17integral_constantIbLb0EESZ_EEDaSU_SV_EUlSU_E_NS1_11comp_targetILNS1_3genE10ELNS1_11target_archE1200ELNS1_3gpuE4ELNS1_3repE0EEENS1_30default_config_static_selectorELNS0_4arch9wavefront6targetE0EEEvT1_.num_vgpr, 0
	.set _ZN7rocprim17ROCPRIM_400000_NS6detail17trampoline_kernelINS0_14default_configENS1_27scan_by_key_config_selectorIiiEEZZNS1_16scan_by_key_implILNS1_25lookback_scan_determinismE0ELb0ES3_N6thrust23THRUST_200600_302600_NS6detail15normal_iteratorINS9_10device_ptrIiEEEESE_SE_iNS9_4plusIvEENS9_8equal_toIvEEiEE10hipError_tPvRmT2_T3_T4_T5_mT6_T7_P12ihipStream_tbENKUlT_T0_E_clISt17integral_constantIbLb0EESZ_EEDaSU_SV_EUlSU_E_NS1_11comp_targetILNS1_3genE10ELNS1_11target_archE1200ELNS1_3gpuE4ELNS1_3repE0EEENS1_30default_config_static_selectorELNS0_4arch9wavefront6targetE0EEEvT1_.num_agpr, 0
	.set _ZN7rocprim17ROCPRIM_400000_NS6detail17trampoline_kernelINS0_14default_configENS1_27scan_by_key_config_selectorIiiEEZZNS1_16scan_by_key_implILNS1_25lookback_scan_determinismE0ELb0ES3_N6thrust23THRUST_200600_302600_NS6detail15normal_iteratorINS9_10device_ptrIiEEEESE_SE_iNS9_4plusIvEENS9_8equal_toIvEEiEE10hipError_tPvRmT2_T3_T4_T5_mT6_T7_P12ihipStream_tbENKUlT_T0_E_clISt17integral_constantIbLb0EESZ_EEDaSU_SV_EUlSU_E_NS1_11comp_targetILNS1_3genE10ELNS1_11target_archE1200ELNS1_3gpuE4ELNS1_3repE0EEENS1_30default_config_static_selectorELNS0_4arch9wavefront6targetE0EEEvT1_.numbered_sgpr, 0
	.set _ZN7rocprim17ROCPRIM_400000_NS6detail17trampoline_kernelINS0_14default_configENS1_27scan_by_key_config_selectorIiiEEZZNS1_16scan_by_key_implILNS1_25lookback_scan_determinismE0ELb0ES3_N6thrust23THRUST_200600_302600_NS6detail15normal_iteratorINS9_10device_ptrIiEEEESE_SE_iNS9_4plusIvEENS9_8equal_toIvEEiEE10hipError_tPvRmT2_T3_T4_T5_mT6_T7_P12ihipStream_tbENKUlT_T0_E_clISt17integral_constantIbLb0EESZ_EEDaSU_SV_EUlSU_E_NS1_11comp_targetILNS1_3genE10ELNS1_11target_archE1200ELNS1_3gpuE4ELNS1_3repE0EEENS1_30default_config_static_selectorELNS0_4arch9wavefront6targetE0EEEvT1_.num_named_barrier, 0
	.set _ZN7rocprim17ROCPRIM_400000_NS6detail17trampoline_kernelINS0_14default_configENS1_27scan_by_key_config_selectorIiiEEZZNS1_16scan_by_key_implILNS1_25lookback_scan_determinismE0ELb0ES3_N6thrust23THRUST_200600_302600_NS6detail15normal_iteratorINS9_10device_ptrIiEEEESE_SE_iNS9_4plusIvEENS9_8equal_toIvEEiEE10hipError_tPvRmT2_T3_T4_T5_mT6_T7_P12ihipStream_tbENKUlT_T0_E_clISt17integral_constantIbLb0EESZ_EEDaSU_SV_EUlSU_E_NS1_11comp_targetILNS1_3genE10ELNS1_11target_archE1200ELNS1_3gpuE4ELNS1_3repE0EEENS1_30default_config_static_selectorELNS0_4arch9wavefront6targetE0EEEvT1_.private_seg_size, 0
	.set _ZN7rocprim17ROCPRIM_400000_NS6detail17trampoline_kernelINS0_14default_configENS1_27scan_by_key_config_selectorIiiEEZZNS1_16scan_by_key_implILNS1_25lookback_scan_determinismE0ELb0ES3_N6thrust23THRUST_200600_302600_NS6detail15normal_iteratorINS9_10device_ptrIiEEEESE_SE_iNS9_4plusIvEENS9_8equal_toIvEEiEE10hipError_tPvRmT2_T3_T4_T5_mT6_T7_P12ihipStream_tbENKUlT_T0_E_clISt17integral_constantIbLb0EESZ_EEDaSU_SV_EUlSU_E_NS1_11comp_targetILNS1_3genE10ELNS1_11target_archE1200ELNS1_3gpuE4ELNS1_3repE0EEENS1_30default_config_static_selectorELNS0_4arch9wavefront6targetE0EEEvT1_.uses_vcc, 0
	.set _ZN7rocprim17ROCPRIM_400000_NS6detail17trampoline_kernelINS0_14default_configENS1_27scan_by_key_config_selectorIiiEEZZNS1_16scan_by_key_implILNS1_25lookback_scan_determinismE0ELb0ES3_N6thrust23THRUST_200600_302600_NS6detail15normal_iteratorINS9_10device_ptrIiEEEESE_SE_iNS9_4plusIvEENS9_8equal_toIvEEiEE10hipError_tPvRmT2_T3_T4_T5_mT6_T7_P12ihipStream_tbENKUlT_T0_E_clISt17integral_constantIbLb0EESZ_EEDaSU_SV_EUlSU_E_NS1_11comp_targetILNS1_3genE10ELNS1_11target_archE1200ELNS1_3gpuE4ELNS1_3repE0EEENS1_30default_config_static_selectorELNS0_4arch9wavefront6targetE0EEEvT1_.uses_flat_scratch, 0
	.set _ZN7rocprim17ROCPRIM_400000_NS6detail17trampoline_kernelINS0_14default_configENS1_27scan_by_key_config_selectorIiiEEZZNS1_16scan_by_key_implILNS1_25lookback_scan_determinismE0ELb0ES3_N6thrust23THRUST_200600_302600_NS6detail15normal_iteratorINS9_10device_ptrIiEEEESE_SE_iNS9_4plusIvEENS9_8equal_toIvEEiEE10hipError_tPvRmT2_T3_T4_T5_mT6_T7_P12ihipStream_tbENKUlT_T0_E_clISt17integral_constantIbLb0EESZ_EEDaSU_SV_EUlSU_E_NS1_11comp_targetILNS1_3genE10ELNS1_11target_archE1200ELNS1_3gpuE4ELNS1_3repE0EEENS1_30default_config_static_selectorELNS0_4arch9wavefront6targetE0EEEvT1_.has_dyn_sized_stack, 0
	.set _ZN7rocprim17ROCPRIM_400000_NS6detail17trampoline_kernelINS0_14default_configENS1_27scan_by_key_config_selectorIiiEEZZNS1_16scan_by_key_implILNS1_25lookback_scan_determinismE0ELb0ES3_N6thrust23THRUST_200600_302600_NS6detail15normal_iteratorINS9_10device_ptrIiEEEESE_SE_iNS9_4plusIvEENS9_8equal_toIvEEiEE10hipError_tPvRmT2_T3_T4_T5_mT6_T7_P12ihipStream_tbENKUlT_T0_E_clISt17integral_constantIbLb0EESZ_EEDaSU_SV_EUlSU_E_NS1_11comp_targetILNS1_3genE10ELNS1_11target_archE1200ELNS1_3gpuE4ELNS1_3repE0EEENS1_30default_config_static_selectorELNS0_4arch9wavefront6targetE0EEEvT1_.has_recursion, 0
	.set _ZN7rocprim17ROCPRIM_400000_NS6detail17trampoline_kernelINS0_14default_configENS1_27scan_by_key_config_selectorIiiEEZZNS1_16scan_by_key_implILNS1_25lookback_scan_determinismE0ELb0ES3_N6thrust23THRUST_200600_302600_NS6detail15normal_iteratorINS9_10device_ptrIiEEEESE_SE_iNS9_4plusIvEENS9_8equal_toIvEEiEE10hipError_tPvRmT2_T3_T4_T5_mT6_T7_P12ihipStream_tbENKUlT_T0_E_clISt17integral_constantIbLb0EESZ_EEDaSU_SV_EUlSU_E_NS1_11comp_targetILNS1_3genE10ELNS1_11target_archE1200ELNS1_3gpuE4ELNS1_3repE0EEENS1_30default_config_static_selectorELNS0_4arch9wavefront6targetE0EEEvT1_.has_indirect_call, 0
	.section	.AMDGPU.csdata,"",@progbits
; Kernel info:
; codeLenInByte = 0
; TotalNumSgprs: 0
; NumVgprs: 0
; ScratchSize: 0
; MemoryBound: 0
; FloatMode: 240
; IeeeMode: 1
; LDSByteSize: 0 bytes/workgroup (compile time only)
; SGPRBlocks: 0
; VGPRBlocks: 0
; NumSGPRsForWavesPerEU: 1
; NumVGPRsForWavesPerEU: 1
; NamedBarCnt: 0
; Occupancy: 16
; WaveLimiterHint : 0
; COMPUTE_PGM_RSRC2:SCRATCH_EN: 0
; COMPUTE_PGM_RSRC2:USER_SGPR: 2
; COMPUTE_PGM_RSRC2:TRAP_HANDLER: 0
; COMPUTE_PGM_RSRC2:TGID_X_EN: 1
; COMPUTE_PGM_RSRC2:TGID_Y_EN: 0
; COMPUTE_PGM_RSRC2:TGID_Z_EN: 0
; COMPUTE_PGM_RSRC2:TIDIG_COMP_CNT: 0
	.section	.text._ZN7rocprim17ROCPRIM_400000_NS6detail17trampoline_kernelINS0_14default_configENS1_27scan_by_key_config_selectorIiiEEZZNS1_16scan_by_key_implILNS1_25lookback_scan_determinismE0ELb0ES3_N6thrust23THRUST_200600_302600_NS6detail15normal_iteratorINS9_10device_ptrIiEEEESE_SE_iNS9_4plusIvEENS9_8equal_toIvEEiEE10hipError_tPvRmT2_T3_T4_T5_mT6_T7_P12ihipStream_tbENKUlT_T0_E_clISt17integral_constantIbLb0EESZ_EEDaSU_SV_EUlSU_E_NS1_11comp_targetILNS1_3genE9ELNS1_11target_archE1100ELNS1_3gpuE3ELNS1_3repE0EEENS1_30default_config_static_selectorELNS0_4arch9wavefront6targetE0EEEvT1_,"axG",@progbits,_ZN7rocprim17ROCPRIM_400000_NS6detail17trampoline_kernelINS0_14default_configENS1_27scan_by_key_config_selectorIiiEEZZNS1_16scan_by_key_implILNS1_25lookback_scan_determinismE0ELb0ES3_N6thrust23THRUST_200600_302600_NS6detail15normal_iteratorINS9_10device_ptrIiEEEESE_SE_iNS9_4plusIvEENS9_8equal_toIvEEiEE10hipError_tPvRmT2_T3_T4_T5_mT6_T7_P12ihipStream_tbENKUlT_T0_E_clISt17integral_constantIbLb0EESZ_EEDaSU_SV_EUlSU_E_NS1_11comp_targetILNS1_3genE9ELNS1_11target_archE1100ELNS1_3gpuE3ELNS1_3repE0EEENS1_30default_config_static_selectorELNS0_4arch9wavefront6targetE0EEEvT1_,comdat
	.protected	_ZN7rocprim17ROCPRIM_400000_NS6detail17trampoline_kernelINS0_14default_configENS1_27scan_by_key_config_selectorIiiEEZZNS1_16scan_by_key_implILNS1_25lookback_scan_determinismE0ELb0ES3_N6thrust23THRUST_200600_302600_NS6detail15normal_iteratorINS9_10device_ptrIiEEEESE_SE_iNS9_4plusIvEENS9_8equal_toIvEEiEE10hipError_tPvRmT2_T3_T4_T5_mT6_T7_P12ihipStream_tbENKUlT_T0_E_clISt17integral_constantIbLb0EESZ_EEDaSU_SV_EUlSU_E_NS1_11comp_targetILNS1_3genE9ELNS1_11target_archE1100ELNS1_3gpuE3ELNS1_3repE0EEENS1_30default_config_static_selectorELNS0_4arch9wavefront6targetE0EEEvT1_ ; -- Begin function _ZN7rocprim17ROCPRIM_400000_NS6detail17trampoline_kernelINS0_14default_configENS1_27scan_by_key_config_selectorIiiEEZZNS1_16scan_by_key_implILNS1_25lookback_scan_determinismE0ELb0ES3_N6thrust23THRUST_200600_302600_NS6detail15normal_iteratorINS9_10device_ptrIiEEEESE_SE_iNS9_4plusIvEENS9_8equal_toIvEEiEE10hipError_tPvRmT2_T3_T4_T5_mT6_T7_P12ihipStream_tbENKUlT_T0_E_clISt17integral_constantIbLb0EESZ_EEDaSU_SV_EUlSU_E_NS1_11comp_targetILNS1_3genE9ELNS1_11target_archE1100ELNS1_3gpuE3ELNS1_3repE0EEENS1_30default_config_static_selectorELNS0_4arch9wavefront6targetE0EEEvT1_
	.globl	_ZN7rocprim17ROCPRIM_400000_NS6detail17trampoline_kernelINS0_14default_configENS1_27scan_by_key_config_selectorIiiEEZZNS1_16scan_by_key_implILNS1_25lookback_scan_determinismE0ELb0ES3_N6thrust23THRUST_200600_302600_NS6detail15normal_iteratorINS9_10device_ptrIiEEEESE_SE_iNS9_4plusIvEENS9_8equal_toIvEEiEE10hipError_tPvRmT2_T3_T4_T5_mT6_T7_P12ihipStream_tbENKUlT_T0_E_clISt17integral_constantIbLb0EESZ_EEDaSU_SV_EUlSU_E_NS1_11comp_targetILNS1_3genE9ELNS1_11target_archE1100ELNS1_3gpuE3ELNS1_3repE0EEENS1_30default_config_static_selectorELNS0_4arch9wavefront6targetE0EEEvT1_
	.p2align	8
	.type	_ZN7rocprim17ROCPRIM_400000_NS6detail17trampoline_kernelINS0_14default_configENS1_27scan_by_key_config_selectorIiiEEZZNS1_16scan_by_key_implILNS1_25lookback_scan_determinismE0ELb0ES3_N6thrust23THRUST_200600_302600_NS6detail15normal_iteratorINS9_10device_ptrIiEEEESE_SE_iNS9_4plusIvEENS9_8equal_toIvEEiEE10hipError_tPvRmT2_T3_T4_T5_mT6_T7_P12ihipStream_tbENKUlT_T0_E_clISt17integral_constantIbLb0EESZ_EEDaSU_SV_EUlSU_E_NS1_11comp_targetILNS1_3genE9ELNS1_11target_archE1100ELNS1_3gpuE3ELNS1_3repE0EEENS1_30default_config_static_selectorELNS0_4arch9wavefront6targetE0EEEvT1_,@function
_ZN7rocprim17ROCPRIM_400000_NS6detail17trampoline_kernelINS0_14default_configENS1_27scan_by_key_config_selectorIiiEEZZNS1_16scan_by_key_implILNS1_25lookback_scan_determinismE0ELb0ES3_N6thrust23THRUST_200600_302600_NS6detail15normal_iteratorINS9_10device_ptrIiEEEESE_SE_iNS9_4plusIvEENS9_8equal_toIvEEiEE10hipError_tPvRmT2_T3_T4_T5_mT6_T7_P12ihipStream_tbENKUlT_T0_E_clISt17integral_constantIbLb0EESZ_EEDaSU_SV_EUlSU_E_NS1_11comp_targetILNS1_3genE9ELNS1_11target_archE1100ELNS1_3gpuE3ELNS1_3repE0EEENS1_30default_config_static_selectorELNS0_4arch9wavefront6targetE0EEEvT1_: ; @_ZN7rocprim17ROCPRIM_400000_NS6detail17trampoline_kernelINS0_14default_configENS1_27scan_by_key_config_selectorIiiEEZZNS1_16scan_by_key_implILNS1_25lookback_scan_determinismE0ELb0ES3_N6thrust23THRUST_200600_302600_NS6detail15normal_iteratorINS9_10device_ptrIiEEEESE_SE_iNS9_4plusIvEENS9_8equal_toIvEEiEE10hipError_tPvRmT2_T3_T4_T5_mT6_T7_P12ihipStream_tbENKUlT_T0_E_clISt17integral_constantIbLb0EESZ_EEDaSU_SV_EUlSU_E_NS1_11comp_targetILNS1_3genE9ELNS1_11target_archE1100ELNS1_3gpuE3ELNS1_3repE0EEENS1_30default_config_static_selectorELNS0_4arch9wavefront6targetE0EEEvT1_
; %bb.0:
	.section	.rodata,"a",@progbits
	.p2align	6, 0x0
	.amdhsa_kernel _ZN7rocprim17ROCPRIM_400000_NS6detail17trampoline_kernelINS0_14default_configENS1_27scan_by_key_config_selectorIiiEEZZNS1_16scan_by_key_implILNS1_25lookback_scan_determinismE0ELb0ES3_N6thrust23THRUST_200600_302600_NS6detail15normal_iteratorINS9_10device_ptrIiEEEESE_SE_iNS9_4plusIvEENS9_8equal_toIvEEiEE10hipError_tPvRmT2_T3_T4_T5_mT6_T7_P12ihipStream_tbENKUlT_T0_E_clISt17integral_constantIbLb0EESZ_EEDaSU_SV_EUlSU_E_NS1_11comp_targetILNS1_3genE9ELNS1_11target_archE1100ELNS1_3gpuE3ELNS1_3repE0EEENS1_30default_config_static_selectorELNS0_4arch9wavefront6targetE0EEEvT1_
		.amdhsa_group_segment_fixed_size 0
		.amdhsa_private_segment_fixed_size 0
		.amdhsa_kernarg_size 112
		.amdhsa_user_sgpr_count 2
		.amdhsa_user_sgpr_dispatch_ptr 0
		.amdhsa_user_sgpr_queue_ptr 0
		.amdhsa_user_sgpr_kernarg_segment_ptr 1
		.amdhsa_user_sgpr_dispatch_id 0
		.amdhsa_user_sgpr_kernarg_preload_length 0
		.amdhsa_user_sgpr_kernarg_preload_offset 0
		.amdhsa_user_sgpr_private_segment_size 0
		.amdhsa_wavefront_size32 1
		.amdhsa_uses_dynamic_stack 0
		.amdhsa_enable_private_segment 0
		.amdhsa_system_sgpr_workgroup_id_x 1
		.amdhsa_system_sgpr_workgroup_id_y 0
		.amdhsa_system_sgpr_workgroup_id_z 0
		.amdhsa_system_sgpr_workgroup_info 0
		.amdhsa_system_vgpr_workitem_id 0
		.amdhsa_next_free_vgpr 1
		.amdhsa_next_free_sgpr 1
		.amdhsa_named_barrier_count 0
		.amdhsa_reserve_vcc 0
		.amdhsa_float_round_mode_32 0
		.amdhsa_float_round_mode_16_64 0
		.amdhsa_float_denorm_mode_32 3
		.amdhsa_float_denorm_mode_16_64 3
		.amdhsa_fp16_overflow 0
		.amdhsa_memory_ordered 1
		.amdhsa_forward_progress 1
		.amdhsa_inst_pref_size 0
		.amdhsa_round_robin_scheduling 0
		.amdhsa_exception_fp_ieee_invalid_op 0
		.amdhsa_exception_fp_denorm_src 0
		.amdhsa_exception_fp_ieee_div_zero 0
		.amdhsa_exception_fp_ieee_overflow 0
		.amdhsa_exception_fp_ieee_underflow 0
		.amdhsa_exception_fp_ieee_inexact 0
		.amdhsa_exception_int_div_zero 0
	.end_amdhsa_kernel
	.section	.text._ZN7rocprim17ROCPRIM_400000_NS6detail17trampoline_kernelINS0_14default_configENS1_27scan_by_key_config_selectorIiiEEZZNS1_16scan_by_key_implILNS1_25lookback_scan_determinismE0ELb0ES3_N6thrust23THRUST_200600_302600_NS6detail15normal_iteratorINS9_10device_ptrIiEEEESE_SE_iNS9_4plusIvEENS9_8equal_toIvEEiEE10hipError_tPvRmT2_T3_T4_T5_mT6_T7_P12ihipStream_tbENKUlT_T0_E_clISt17integral_constantIbLb0EESZ_EEDaSU_SV_EUlSU_E_NS1_11comp_targetILNS1_3genE9ELNS1_11target_archE1100ELNS1_3gpuE3ELNS1_3repE0EEENS1_30default_config_static_selectorELNS0_4arch9wavefront6targetE0EEEvT1_,"axG",@progbits,_ZN7rocprim17ROCPRIM_400000_NS6detail17trampoline_kernelINS0_14default_configENS1_27scan_by_key_config_selectorIiiEEZZNS1_16scan_by_key_implILNS1_25lookback_scan_determinismE0ELb0ES3_N6thrust23THRUST_200600_302600_NS6detail15normal_iteratorINS9_10device_ptrIiEEEESE_SE_iNS9_4plusIvEENS9_8equal_toIvEEiEE10hipError_tPvRmT2_T3_T4_T5_mT6_T7_P12ihipStream_tbENKUlT_T0_E_clISt17integral_constantIbLb0EESZ_EEDaSU_SV_EUlSU_E_NS1_11comp_targetILNS1_3genE9ELNS1_11target_archE1100ELNS1_3gpuE3ELNS1_3repE0EEENS1_30default_config_static_selectorELNS0_4arch9wavefront6targetE0EEEvT1_,comdat
.Lfunc_end129:
	.size	_ZN7rocprim17ROCPRIM_400000_NS6detail17trampoline_kernelINS0_14default_configENS1_27scan_by_key_config_selectorIiiEEZZNS1_16scan_by_key_implILNS1_25lookback_scan_determinismE0ELb0ES3_N6thrust23THRUST_200600_302600_NS6detail15normal_iteratorINS9_10device_ptrIiEEEESE_SE_iNS9_4plusIvEENS9_8equal_toIvEEiEE10hipError_tPvRmT2_T3_T4_T5_mT6_T7_P12ihipStream_tbENKUlT_T0_E_clISt17integral_constantIbLb0EESZ_EEDaSU_SV_EUlSU_E_NS1_11comp_targetILNS1_3genE9ELNS1_11target_archE1100ELNS1_3gpuE3ELNS1_3repE0EEENS1_30default_config_static_selectorELNS0_4arch9wavefront6targetE0EEEvT1_, .Lfunc_end129-_ZN7rocprim17ROCPRIM_400000_NS6detail17trampoline_kernelINS0_14default_configENS1_27scan_by_key_config_selectorIiiEEZZNS1_16scan_by_key_implILNS1_25lookback_scan_determinismE0ELb0ES3_N6thrust23THRUST_200600_302600_NS6detail15normal_iteratorINS9_10device_ptrIiEEEESE_SE_iNS9_4plusIvEENS9_8equal_toIvEEiEE10hipError_tPvRmT2_T3_T4_T5_mT6_T7_P12ihipStream_tbENKUlT_T0_E_clISt17integral_constantIbLb0EESZ_EEDaSU_SV_EUlSU_E_NS1_11comp_targetILNS1_3genE9ELNS1_11target_archE1100ELNS1_3gpuE3ELNS1_3repE0EEENS1_30default_config_static_selectorELNS0_4arch9wavefront6targetE0EEEvT1_
                                        ; -- End function
	.set _ZN7rocprim17ROCPRIM_400000_NS6detail17trampoline_kernelINS0_14default_configENS1_27scan_by_key_config_selectorIiiEEZZNS1_16scan_by_key_implILNS1_25lookback_scan_determinismE0ELb0ES3_N6thrust23THRUST_200600_302600_NS6detail15normal_iteratorINS9_10device_ptrIiEEEESE_SE_iNS9_4plusIvEENS9_8equal_toIvEEiEE10hipError_tPvRmT2_T3_T4_T5_mT6_T7_P12ihipStream_tbENKUlT_T0_E_clISt17integral_constantIbLb0EESZ_EEDaSU_SV_EUlSU_E_NS1_11comp_targetILNS1_3genE9ELNS1_11target_archE1100ELNS1_3gpuE3ELNS1_3repE0EEENS1_30default_config_static_selectorELNS0_4arch9wavefront6targetE0EEEvT1_.num_vgpr, 0
	.set _ZN7rocprim17ROCPRIM_400000_NS6detail17trampoline_kernelINS0_14default_configENS1_27scan_by_key_config_selectorIiiEEZZNS1_16scan_by_key_implILNS1_25lookback_scan_determinismE0ELb0ES3_N6thrust23THRUST_200600_302600_NS6detail15normal_iteratorINS9_10device_ptrIiEEEESE_SE_iNS9_4plusIvEENS9_8equal_toIvEEiEE10hipError_tPvRmT2_T3_T4_T5_mT6_T7_P12ihipStream_tbENKUlT_T0_E_clISt17integral_constantIbLb0EESZ_EEDaSU_SV_EUlSU_E_NS1_11comp_targetILNS1_3genE9ELNS1_11target_archE1100ELNS1_3gpuE3ELNS1_3repE0EEENS1_30default_config_static_selectorELNS0_4arch9wavefront6targetE0EEEvT1_.num_agpr, 0
	.set _ZN7rocprim17ROCPRIM_400000_NS6detail17trampoline_kernelINS0_14default_configENS1_27scan_by_key_config_selectorIiiEEZZNS1_16scan_by_key_implILNS1_25lookback_scan_determinismE0ELb0ES3_N6thrust23THRUST_200600_302600_NS6detail15normal_iteratorINS9_10device_ptrIiEEEESE_SE_iNS9_4plusIvEENS9_8equal_toIvEEiEE10hipError_tPvRmT2_T3_T4_T5_mT6_T7_P12ihipStream_tbENKUlT_T0_E_clISt17integral_constantIbLb0EESZ_EEDaSU_SV_EUlSU_E_NS1_11comp_targetILNS1_3genE9ELNS1_11target_archE1100ELNS1_3gpuE3ELNS1_3repE0EEENS1_30default_config_static_selectorELNS0_4arch9wavefront6targetE0EEEvT1_.numbered_sgpr, 0
	.set _ZN7rocprim17ROCPRIM_400000_NS6detail17trampoline_kernelINS0_14default_configENS1_27scan_by_key_config_selectorIiiEEZZNS1_16scan_by_key_implILNS1_25lookback_scan_determinismE0ELb0ES3_N6thrust23THRUST_200600_302600_NS6detail15normal_iteratorINS9_10device_ptrIiEEEESE_SE_iNS9_4plusIvEENS9_8equal_toIvEEiEE10hipError_tPvRmT2_T3_T4_T5_mT6_T7_P12ihipStream_tbENKUlT_T0_E_clISt17integral_constantIbLb0EESZ_EEDaSU_SV_EUlSU_E_NS1_11comp_targetILNS1_3genE9ELNS1_11target_archE1100ELNS1_3gpuE3ELNS1_3repE0EEENS1_30default_config_static_selectorELNS0_4arch9wavefront6targetE0EEEvT1_.num_named_barrier, 0
	.set _ZN7rocprim17ROCPRIM_400000_NS6detail17trampoline_kernelINS0_14default_configENS1_27scan_by_key_config_selectorIiiEEZZNS1_16scan_by_key_implILNS1_25lookback_scan_determinismE0ELb0ES3_N6thrust23THRUST_200600_302600_NS6detail15normal_iteratorINS9_10device_ptrIiEEEESE_SE_iNS9_4plusIvEENS9_8equal_toIvEEiEE10hipError_tPvRmT2_T3_T4_T5_mT6_T7_P12ihipStream_tbENKUlT_T0_E_clISt17integral_constantIbLb0EESZ_EEDaSU_SV_EUlSU_E_NS1_11comp_targetILNS1_3genE9ELNS1_11target_archE1100ELNS1_3gpuE3ELNS1_3repE0EEENS1_30default_config_static_selectorELNS0_4arch9wavefront6targetE0EEEvT1_.private_seg_size, 0
	.set _ZN7rocprim17ROCPRIM_400000_NS6detail17trampoline_kernelINS0_14default_configENS1_27scan_by_key_config_selectorIiiEEZZNS1_16scan_by_key_implILNS1_25lookback_scan_determinismE0ELb0ES3_N6thrust23THRUST_200600_302600_NS6detail15normal_iteratorINS9_10device_ptrIiEEEESE_SE_iNS9_4plusIvEENS9_8equal_toIvEEiEE10hipError_tPvRmT2_T3_T4_T5_mT6_T7_P12ihipStream_tbENKUlT_T0_E_clISt17integral_constantIbLb0EESZ_EEDaSU_SV_EUlSU_E_NS1_11comp_targetILNS1_3genE9ELNS1_11target_archE1100ELNS1_3gpuE3ELNS1_3repE0EEENS1_30default_config_static_selectorELNS0_4arch9wavefront6targetE0EEEvT1_.uses_vcc, 0
	.set _ZN7rocprim17ROCPRIM_400000_NS6detail17trampoline_kernelINS0_14default_configENS1_27scan_by_key_config_selectorIiiEEZZNS1_16scan_by_key_implILNS1_25lookback_scan_determinismE0ELb0ES3_N6thrust23THRUST_200600_302600_NS6detail15normal_iteratorINS9_10device_ptrIiEEEESE_SE_iNS9_4plusIvEENS9_8equal_toIvEEiEE10hipError_tPvRmT2_T3_T4_T5_mT6_T7_P12ihipStream_tbENKUlT_T0_E_clISt17integral_constantIbLb0EESZ_EEDaSU_SV_EUlSU_E_NS1_11comp_targetILNS1_3genE9ELNS1_11target_archE1100ELNS1_3gpuE3ELNS1_3repE0EEENS1_30default_config_static_selectorELNS0_4arch9wavefront6targetE0EEEvT1_.uses_flat_scratch, 0
	.set _ZN7rocprim17ROCPRIM_400000_NS6detail17trampoline_kernelINS0_14default_configENS1_27scan_by_key_config_selectorIiiEEZZNS1_16scan_by_key_implILNS1_25lookback_scan_determinismE0ELb0ES3_N6thrust23THRUST_200600_302600_NS6detail15normal_iteratorINS9_10device_ptrIiEEEESE_SE_iNS9_4plusIvEENS9_8equal_toIvEEiEE10hipError_tPvRmT2_T3_T4_T5_mT6_T7_P12ihipStream_tbENKUlT_T0_E_clISt17integral_constantIbLb0EESZ_EEDaSU_SV_EUlSU_E_NS1_11comp_targetILNS1_3genE9ELNS1_11target_archE1100ELNS1_3gpuE3ELNS1_3repE0EEENS1_30default_config_static_selectorELNS0_4arch9wavefront6targetE0EEEvT1_.has_dyn_sized_stack, 0
	.set _ZN7rocprim17ROCPRIM_400000_NS6detail17trampoline_kernelINS0_14default_configENS1_27scan_by_key_config_selectorIiiEEZZNS1_16scan_by_key_implILNS1_25lookback_scan_determinismE0ELb0ES3_N6thrust23THRUST_200600_302600_NS6detail15normal_iteratorINS9_10device_ptrIiEEEESE_SE_iNS9_4plusIvEENS9_8equal_toIvEEiEE10hipError_tPvRmT2_T3_T4_T5_mT6_T7_P12ihipStream_tbENKUlT_T0_E_clISt17integral_constantIbLb0EESZ_EEDaSU_SV_EUlSU_E_NS1_11comp_targetILNS1_3genE9ELNS1_11target_archE1100ELNS1_3gpuE3ELNS1_3repE0EEENS1_30default_config_static_selectorELNS0_4arch9wavefront6targetE0EEEvT1_.has_recursion, 0
	.set _ZN7rocprim17ROCPRIM_400000_NS6detail17trampoline_kernelINS0_14default_configENS1_27scan_by_key_config_selectorIiiEEZZNS1_16scan_by_key_implILNS1_25lookback_scan_determinismE0ELb0ES3_N6thrust23THRUST_200600_302600_NS6detail15normal_iteratorINS9_10device_ptrIiEEEESE_SE_iNS9_4plusIvEENS9_8equal_toIvEEiEE10hipError_tPvRmT2_T3_T4_T5_mT6_T7_P12ihipStream_tbENKUlT_T0_E_clISt17integral_constantIbLb0EESZ_EEDaSU_SV_EUlSU_E_NS1_11comp_targetILNS1_3genE9ELNS1_11target_archE1100ELNS1_3gpuE3ELNS1_3repE0EEENS1_30default_config_static_selectorELNS0_4arch9wavefront6targetE0EEEvT1_.has_indirect_call, 0
	.section	.AMDGPU.csdata,"",@progbits
; Kernel info:
; codeLenInByte = 0
; TotalNumSgprs: 0
; NumVgprs: 0
; ScratchSize: 0
; MemoryBound: 0
; FloatMode: 240
; IeeeMode: 1
; LDSByteSize: 0 bytes/workgroup (compile time only)
; SGPRBlocks: 0
; VGPRBlocks: 0
; NumSGPRsForWavesPerEU: 1
; NumVGPRsForWavesPerEU: 1
; NamedBarCnt: 0
; Occupancy: 16
; WaveLimiterHint : 0
; COMPUTE_PGM_RSRC2:SCRATCH_EN: 0
; COMPUTE_PGM_RSRC2:USER_SGPR: 2
; COMPUTE_PGM_RSRC2:TRAP_HANDLER: 0
; COMPUTE_PGM_RSRC2:TGID_X_EN: 1
; COMPUTE_PGM_RSRC2:TGID_Y_EN: 0
; COMPUTE_PGM_RSRC2:TGID_Z_EN: 0
; COMPUTE_PGM_RSRC2:TIDIG_COMP_CNT: 0
	.section	.text._ZN7rocprim17ROCPRIM_400000_NS6detail17trampoline_kernelINS0_14default_configENS1_27scan_by_key_config_selectorIiiEEZZNS1_16scan_by_key_implILNS1_25lookback_scan_determinismE0ELb0ES3_N6thrust23THRUST_200600_302600_NS6detail15normal_iteratorINS9_10device_ptrIiEEEESE_SE_iNS9_4plusIvEENS9_8equal_toIvEEiEE10hipError_tPvRmT2_T3_T4_T5_mT6_T7_P12ihipStream_tbENKUlT_T0_E_clISt17integral_constantIbLb0EESZ_EEDaSU_SV_EUlSU_E_NS1_11comp_targetILNS1_3genE8ELNS1_11target_archE1030ELNS1_3gpuE2ELNS1_3repE0EEENS1_30default_config_static_selectorELNS0_4arch9wavefront6targetE0EEEvT1_,"axG",@progbits,_ZN7rocprim17ROCPRIM_400000_NS6detail17trampoline_kernelINS0_14default_configENS1_27scan_by_key_config_selectorIiiEEZZNS1_16scan_by_key_implILNS1_25lookback_scan_determinismE0ELb0ES3_N6thrust23THRUST_200600_302600_NS6detail15normal_iteratorINS9_10device_ptrIiEEEESE_SE_iNS9_4plusIvEENS9_8equal_toIvEEiEE10hipError_tPvRmT2_T3_T4_T5_mT6_T7_P12ihipStream_tbENKUlT_T0_E_clISt17integral_constantIbLb0EESZ_EEDaSU_SV_EUlSU_E_NS1_11comp_targetILNS1_3genE8ELNS1_11target_archE1030ELNS1_3gpuE2ELNS1_3repE0EEENS1_30default_config_static_selectorELNS0_4arch9wavefront6targetE0EEEvT1_,comdat
	.protected	_ZN7rocprim17ROCPRIM_400000_NS6detail17trampoline_kernelINS0_14default_configENS1_27scan_by_key_config_selectorIiiEEZZNS1_16scan_by_key_implILNS1_25lookback_scan_determinismE0ELb0ES3_N6thrust23THRUST_200600_302600_NS6detail15normal_iteratorINS9_10device_ptrIiEEEESE_SE_iNS9_4plusIvEENS9_8equal_toIvEEiEE10hipError_tPvRmT2_T3_T4_T5_mT6_T7_P12ihipStream_tbENKUlT_T0_E_clISt17integral_constantIbLb0EESZ_EEDaSU_SV_EUlSU_E_NS1_11comp_targetILNS1_3genE8ELNS1_11target_archE1030ELNS1_3gpuE2ELNS1_3repE0EEENS1_30default_config_static_selectorELNS0_4arch9wavefront6targetE0EEEvT1_ ; -- Begin function _ZN7rocprim17ROCPRIM_400000_NS6detail17trampoline_kernelINS0_14default_configENS1_27scan_by_key_config_selectorIiiEEZZNS1_16scan_by_key_implILNS1_25lookback_scan_determinismE0ELb0ES3_N6thrust23THRUST_200600_302600_NS6detail15normal_iteratorINS9_10device_ptrIiEEEESE_SE_iNS9_4plusIvEENS9_8equal_toIvEEiEE10hipError_tPvRmT2_T3_T4_T5_mT6_T7_P12ihipStream_tbENKUlT_T0_E_clISt17integral_constantIbLb0EESZ_EEDaSU_SV_EUlSU_E_NS1_11comp_targetILNS1_3genE8ELNS1_11target_archE1030ELNS1_3gpuE2ELNS1_3repE0EEENS1_30default_config_static_selectorELNS0_4arch9wavefront6targetE0EEEvT1_
	.globl	_ZN7rocprim17ROCPRIM_400000_NS6detail17trampoline_kernelINS0_14default_configENS1_27scan_by_key_config_selectorIiiEEZZNS1_16scan_by_key_implILNS1_25lookback_scan_determinismE0ELb0ES3_N6thrust23THRUST_200600_302600_NS6detail15normal_iteratorINS9_10device_ptrIiEEEESE_SE_iNS9_4plusIvEENS9_8equal_toIvEEiEE10hipError_tPvRmT2_T3_T4_T5_mT6_T7_P12ihipStream_tbENKUlT_T0_E_clISt17integral_constantIbLb0EESZ_EEDaSU_SV_EUlSU_E_NS1_11comp_targetILNS1_3genE8ELNS1_11target_archE1030ELNS1_3gpuE2ELNS1_3repE0EEENS1_30default_config_static_selectorELNS0_4arch9wavefront6targetE0EEEvT1_
	.p2align	8
	.type	_ZN7rocprim17ROCPRIM_400000_NS6detail17trampoline_kernelINS0_14default_configENS1_27scan_by_key_config_selectorIiiEEZZNS1_16scan_by_key_implILNS1_25lookback_scan_determinismE0ELb0ES3_N6thrust23THRUST_200600_302600_NS6detail15normal_iteratorINS9_10device_ptrIiEEEESE_SE_iNS9_4plusIvEENS9_8equal_toIvEEiEE10hipError_tPvRmT2_T3_T4_T5_mT6_T7_P12ihipStream_tbENKUlT_T0_E_clISt17integral_constantIbLb0EESZ_EEDaSU_SV_EUlSU_E_NS1_11comp_targetILNS1_3genE8ELNS1_11target_archE1030ELNS1_3gpuE2ELNS1_3repE0EEENS1_30default_config_static_selectorELNS0_4arch9wavefront6targetE0EEEvT1_,@function
_ZN7rocprim17ROCPRIM_400000_NS6detail17trampoline_kernelINS0_14default_configENS1_27scan_by_key_config_selectorIiiEEZZNS1_16scan_by_key_implILNS1_25lookback_scan_determinismE0ELb0ES3_N6thrust23THRUST_200600_302600_NS6detail15normal_iteratorINS9_10device_ptrIiEEEESE_SE_iNS9_4plusIvEENS9_8equal_toIvEEiEE10hipError_tPvRmT2_T3_T4_T5_mT6_T7_P12ihipStream_tbENKUlT_T0_E_clISt17integral_constantIbLb0EESZ_EEDaSU_SV_EUlSU_E_NS1_11comp_targetILNS1_3genE8ELNS1_11target_archE1030ELNS1_3gpuE2ELNS1_3repE0EEENS1_30default_config_static_selectorELNS0_4arch9wavefront6targetE0EEEvT1_: ; @_ZN7rocprim17ROCPRIM_400000_NS6detail17trampoline_kernelINS0_14default_configENS1_27scan_by_key_config_selectorIiiEEZZNS1_16scan_by_key_implILNS1_25lookback_scan_determinismE0ELb0ES3_N6thrust23THRUST_200600_302600_NS6detail15normal_iteratorINS9_10device_ptrIiEEEESE_SE_iNS9_4plusIvEENS9_8equal_toIvEEiEE10hipError_tPvRmT2_T3_T4_T5_mT6_T7_P12ihipStream_tbENKUlT_T0_E_clISt17integral_constantIbLb0EESZ_EEDaSU_SV_EUlSU_E_NS1_11comp_targetILNS1_3genE8ELNS1_11target_archE1030ELNS1_3gpuE2ELNS1_3repE0EEENS1_30default_config_static_selectorELNS0_4arch9wavefront6targetE0EEEvT1_
; %bb.0:
	.section	.rodata,"a",@progbits
	.p2align	6, 0x0
	.amdhsa_kernel _ZN7rocprim17ROCPRIM_400000_NS6detail17trampoline_kernelINS0_14default_configENS1_27scan_by_key_config_selectorIiiEEZZNS1_16scan_by_key_implILNS1_25lookback_scan_determinismE0ELb0ES3_N6thrust23THRUST_200600_302600_NS6detail15normal_iteratorINS9_10device_ptrIiEEEESE_SE_iNS9_4plusIvEENS9_8equal_toIvEEiEE10hipError_tPvRmT2_T3_T4_T5_mT6_T7_P12ihipStream_tbENKUlT_T0_E_clISt17integral_constantIbLb0EESZ_EEDaSU_SV_EUlSU_E_NS1_11comp_targetILNS1_3genE8ELNS1_11target_archE1030ELNS1_3gpuE2ELNS1_3repE0EEENS1_30default_config_static_selectorELNS0_4arch9wavefront6targetE0EEEvT1_
		.amdhsa_group_segment_fixed_size 0
		.amdhsa_private_segment_fixed_size 0
		.amdhsa_kernarg_size 112
		.amdhsa_user_sgpr_count 2
		.amdhsa_user_sgpr_dispatch_ptr 0
		.amdhsa_user_sgpr_queue_ptr 0
		.amdhsa_user_sgpr_kernarg_segment_ptr 1
		.amdhsa_user_sgpr_dispatch_id 0
		.amdhsa_user_sgpr_kernarg_preload_length 0
		.amdhsa_user_sgpr_kernarg_preload_offset 0
		.amdhsa_user_sgpr_private_segment_size 0
		.amdhsa_wavefront_size32 1
		.amdhsa_uses_dynamic_stack 0
		.amdhsa_enable_private_segment 0
		.amdhsa_system_sgpr_workgroup_id_x 1
		.amdhsa_system_sgpr_workgroup_id_y 0
		.amdhsa_system_sgpr_workgroup_id_z 0
		.amdhsa_system_sgpr_workgroup_info 0
		.amdhsa_system_vgpr_workitem_id 0
		.amdhsa_next_free_vgpr 1
		.amdhsa_next_free_sgpr 1
		.amdhsa_named_barrier_count 0
		.amdhsa_reserve_vcc 0
		.amdhsa_float_round_mode_32 0
		.amdhsa_float_round_mode_16_64 0
		.amdhsa_float_denorm_mode_32 3
		.amdhsa_float_denorm_mode_16_64 3
		.amdhsa_fp16_overflow 0
		.amdhsa_memory_ordered 1
		.amdhsa_forward_progress 1
		.amdhsa_inst_pref_size 0
		.amdhsa_round_robin_scheduling 0
		.amdhsa_exception_fp_ieee_invalid_op 0
		.amdhsa_exception_fp_denorm_src 0
		.amdhsa_exception_fp_ieee_div_zero 0
		.amdhsa_exception_fp_ieee_overflow 0
		.amdhsa_exception_fp_ieee_underflow 0
		.amdhsa_exception_fp_ieee_inexact 0
		.amdhsa_exception_int_div_zero 0
	.end_amdhsa_kernel
	.section	.text._ZN7rocprim17ROCPRIM_400000_NS6detail17trampoline_kernelINS0_14default_configENS1_27scan_by_key_config_selectorIiiEEZZNS1_16scan_by_key_implILNS1_25lookback_scan_determinismE0ELb0ES3_N6thrust23THRUST_200600_302600_NS6detail15normal_iteratorINS9_10device_ptrIiEEEESE_SE_iNS9_4plusIvEENS9_8equal_toIvEEiEE10hipError_tPvRmT2_T3_T4_T5_mT6_T7_P12ihipStream_tbENKUlT_T0_E_clISt17integral_constantIbLb0EESZ_EEDaSU_SV_EUlSU_E_NS1_11comp_targetILNS1_3genE8ELNS1_11target_archE1030ELNS1_3gpuE2ELNS1_3repE0EEENS1_30default_config_static_selectorELNS0_4arch9wavefront6targetE0EEEvT1_,"axG",@progbits,_ZN7rocprim17ROCPRIM_400000_NS6detail17trampoline_kernelINS0_14default_configENS1_27scan_by_key_config_selectorIiiEEZZNS1_16scan_by_key_implILNS1_25lookback_scan_determinismE0ELb0ES3_N6thrust23THRUST_200600_302600_NS6detail15normal_iteratorINS9_10device_ptrIiEEEESE_SE_iNS9_4plusIvEENS9_8equal_toIvEEiEE10hipError_tPvRmT2_T3_T4_T5_mT6_T7_P12ihipStream_tbENKUlT_T0_E_clISt17integral_constantIbLb0EESZ_EEDaSU_SV_EUlSU_E_NS1_11comp_targetILNS1_3genE8ELNS1_11target_archE1030ELNS1_3gpuE2ELNS1_3repE0EEENS1_30default_config_static_selectorELNS0_4arch9wavefront6targetE0EEEvT1_,comdat
.Lfunc_end130:
	.size	_ZN7rocprim17ROCPRIM_400000_NS6detail17trampoline_kernelINS0_14default_configENS1_27scan_by_key_config_selectorIiiEEZZNS1_16scan_by_key_implILNS1_25lookback_scan_determinismE0ELb0ES3_N6thrust23THRUST_200600_302600_NS6detail15normal_iteratorINS9_10device_ptrIiEEEESE_SE_iNS9_4plusIvEENS9_8equal_toIvEEiEE10hipError_tPvRmT2_T3_T4_T5_mT6_T7_P12ihipStream_tbENKUlT_T0_E_clISt17integral_constantIbLb0EESZ_EEDaSU_SV_EUlSU_E_NS1_11comp_targetILNS1_3genE8ELNS1_11target_archE1030ELNS1_3gpuE2ELNS1_3repE0EEENS1_30default_config_static_selectorELNS0_4arch9wavefront6targetE0EEEvT1_, .Lfunc_end130-_ZN7rocprim17ROCPRIM_400000_NS6detail17trampoline_kernelINS0_14default_configENS1_27scan_by_key_config_selectorIiiEEZZNS1_16scan_by_key_implILNS1_25lookback_scan_determinismE0ELb0ES3_N6thrust23THRUST_200600_302600_NS6detail15normal_iteratorINS9_10device_ptrIiEEEESE_SE_iNS9_4plusIvEENS9_8equal_toIvEEiEE10hipError_tPvRmT2_T3_T4_T5_mT6_T7_P12ihipStream_tbENKUlT_T0_E_clISt17integral_constantIbLb0EESZ_EEDaSU_SV_EUlSU_E_NS1_11comp_targetILNS1_3genE8ELNS1_11target_archE1030ELNS1_3gpuE2ELNS1_3repE0EEENS1_30default_config_static_selectorELNS0_4arch9wavefront6targetE0EEEvT1_
                                        ; -- End function
	.set _ZN7rocprim17ROCPRIM_400000_NS6detail17trampoline_kernelINS0_14default_configENS1_27scan_by_key_config_selectorIiiEEZZNS1_16scan_by_key_implILNS1_25lookback_scan_determinismE0ELb0ES3_N6thrust23THRUST_200600_302600_NS6detail15normal_iteratorINS9_10device_ptrIiEEEESE_SE_iNS9_4plusIvEENS9_8equal_toIvEEiEE10hipError_tPvRmT2_T3_T4_T5_mT6_T7_P12ihipStream_tbENKUlT_T0_E_clISt17integral_constantIbLb0EESZ_EEDaSU_SV_EUlSU_E_NS1_11comp_targetILNS1_3genE8ELNS1_11target_archE1030ELNS1_3gpuE2ELNS1_3repE0EEENS1_30default_config_static_selectorELNS0_4arch9wavefront6targetE0EEEvT1_.num_vgpr, 0
	.set _ZN7rocprim17ROCPRIM_400000_NS6detail17trampoline_kernelINS0_14default_configENS1_27scan_by_key_config_selectorIiiEEZZNS1_16scan_by_key_implILNS1_25lookback_scan_determinismE0ELb0ES3_N6thrust23THRUST_200600_302600_NS6detail15normal_iteratorINS9_10device_ptrIiEEEESE_SE_iNS9_4plusIvEENS9_8equal_toIvEEiEE10hipError_tPvRmT2_T3_T4_T5_mT6_T7_P12ihipStream_tbENKUlT_T0_E_clISt17integral_constantIbLb0EESZ_EEDaSU_SV_EUlSU_E_NS1_11comp_targetILNS1_3genE8ELNS1_11target_archE1030ELNS1_3gpuE2ELNS1_3repE0EEENS1_30default_config_static_selectorELNS0_4arch9wavefront6targetE0EEEvT1_.num_agpr, 0
	.set _ZN7rocprim17ROCPRIM_400000_NS6detail17trampoline_kernelINS0_14default_configENS1_27scan_by_key_config_selectorIiiEEZZNS1_16scan_by_key_implILNS1_25lookback_scan_determinismE0ELb0ES3_N6thrust23THRUST_200600_302600_NS6detail15normal_iteratorINS9_10device_ptrIiEEEESE_SE_iNS9_4plusIvEENS9_8equal_toIvEEiEE10hipError_tPvRmT2_T3_T4_T5_mT6_T7_P12ihipStream_tbENKUlT_T0_E_clISt17integral_constantIbLb0EESZ_EEDaSU_SV_EUlSU_E_NS1_11comp_targetILNS1_3genE8ELNS1_11target_archE1030ELNS1_3gpuE2ELNS1_3repE0EEENS1_30default_config_static_selectorELNS0_4arch9wavefront6targetE0EEEvT1_.numbered_sgpr, 0
	.set _ZN7rocprim17ROCPRIM_400000_NS6detail17trampoline_kernelINS0_14default_configENS1_27scan_by_key_config_selectorIiiEEZZNS1_16scan_by_key_implILNS1_25lookback_scan_determinismE0ELb0ES3_N6thrust23THRUST_200600_302600_NS6detail15normal_iteratorINS9_10device_ptrIiEEEESE_SE_iNS9_4plusIvEENS9_8equal_toIvEEiEE10hipError_tPvRmT2_T3_T4_T5_mT6_T7_P12ihipStream_tbENKUlT_T0_E_clISt17integral_constantIbLb0EESZ_EEDaSU_SV_EUlSU_E_NS1_11comp_targetILNS1_3genE8ELNS1_11target_archE1030ELNS1_3gpuE2ELNS1_3repE0EEENS1_30default_config_static_selectorELNS0_4arch9wavefront6targetE0EEEvT1_.num_named_barrier, 0
	.set _ZN7rocprim17ROCPRIM_400000_NS6detail17trampoline_kernelINS0_14default_configENS1_27scan_by_key_config_selectorIiiEEZZNS1_16scan_by_key_implILNS1_25lookback_scan_determinismE0ELb0ES3_N6thrust23THRUST_200600_302600_NS6detail15normal_iteratorINS9_10device_ptrIiEEEESE_SE_iNS9_4plusIvEENS9_8equal_toIvEEiEE10hipError_tPvRmT2_T3_T4_T5_mT6_T7_P12ihipStream_tbENKUlT_T0_E_clISt17integral_constantIbLb0EESZ_EEDaSU_SV_EUlSU_E_NS1_11comp_targetILNS1_3genE8ELNS1_11target_archE1030ELNS1_3gpuE2ELNS1_3repE0EEENS1_30default_config_static_selectorELNS0_4arch9wavefront6targetE0EEEvT1_.private_seg_size, 0
	.set _ZN7rocprim17ROCPRIM_400000_NS6detail17trampoline_kernelINS0_14default_configENS1_27scan_by_key_config_selectorIiiEEZZNS1_16scan_by_key_implILNS1_25lookback_scan_determinismE0ELb0ES3_N6thrust23THRUST_200600_302600_NS6detail15normal_iteratorINS9_10device_ptrIiEEEESE_SE_iNS9_4plusIvEENS9_8equal_toIvEEiEE10hipError_tPvRmT2_T3_T4_T5_mT6_T7_P12ihipStream_tbENKUlT_T0_E_clISt17integral_constantIbLb0EESZ_EEDaSU_SV_EUlSU_E_NS1_11comp_targetILNS1_3genE8ELNS1_11target_archE1030ELNS1_3gpuE2ELNS1_3repE0EEENS1_30default_config_static_selectorELNS0_4arch9wavefront6targetE0EEEvT1_.uses_vcc, 0
	.set _ZN7rocprim17ROCPRIM_400000_NS6detail17trampoline_kernelINS0_14default_configENS1_27scan_by_key_config_selectorIiiEEZZNS1_16scan_by_key_implILNS1_25lookback_scan_determinismE0ELb0ES3_N6thrust23THRUST_200600_302600_NS6detail15normal_iteratorINS9_10device_ptrIiEEEESE_SE_iNS9_4plusIvEENS9_8equal_toIvEEiEE10hipError_tPvRmT2_T3_T4_T5_mT6_T7_P12ihipStream_tbENKUlT_T0_E_clISt17integral_constantIbLb0EESZ_EEDaSU_SV_EUlSU_E_NS1_11comp_targetILNS1_3genE8ELNS1_11target_archE1030ELNS1_3gpuE2ELNS1_3repE0EEENS1_30default_config_static_selectorELNS0_4arch9wavefront6targetE0EEEvT1_.uses_flat_scratch, 0
	.set _ZN7rocprim17ROCPRIM_400000_NS6detail17trampoline_kernelINS0_14default_configENS1_27scan_by_key_config_selectorIiiEEZZNS1_16scan_by_key_implILNS1_25lookback_scan_determinismE0ELb0ES3_N6thrust23THRUST_200600_302600_NS6detail15normal_iteratorINS9_10device_ptrIiEEEESE_SE_iNS9_4plusIvEENS9_8equal_toIvEEiEE10hipError_tPvRmT2_T3_T4_T5_mT6_T7_P12ihipStream_tbENKUlT_T0_E_clISt17integral_constantIbLb0EESZ_EEDaSU_SV_EUlSU_E_NS1_11comp_targetILNS1_3genE8ELNS1_11target_archE1030ELNS1_3gpuE2ELNS1_3repE0EEENS1_30default_config_static_selectorELNS0_4arch9wavefront6targetE0EEEvT1_.has_dyn_sized_stack, 0
	.set _ZN7rocprim17ROCPRIM_400000_NS6detail17trampoline_kernelINS0_14default_configENS1_27scan_by_key_config_selectorIiiEEZZNS1_16scan_by_key_implILNS1_25lookback_scan_determinismE0ELb0ES3_N6thrust23THRUST_200600_302600_NS6detail15normal_iteratorINS9_10device_ptrIiEEEESE_SE_iNS9_4plusIvEENS9_8equal_toIvEEiEE10hipError_tPvRmT2_T3_T4_T5_mT6_T7_P12ihipStream_tbENKUlT_T0_E_clISt17integral_constantIbLb0EESZ_EEDaSU_SV_EUlSU_E_NS1_11comp_targetILNS1_3genE8ELNS1_11target_archE1030ELNS1_3gpuE2ELNS1_3repE0EEENS1_30default_config_static_selectorELNS0_4arch9wavefront6targetE0EEEvT1_.has_recursion, 0
	.set _ZN7rocprim17ROCPRIM_400000_NS6detail17trampoline_kernelINS0_14default_configENS1_27scan_by_key_config_selectorIiiEEZZNS1_16scan_by_key_implILNS1_25lookback_scan_determinismE0ELb0ES3_N6thrust23THRUST_200600_302600_NS6detail15normal_iteratorINS9_10device_ptrIiEEEESE_SE_iNS9_4plusIvEENS9_8equal_toIvEEiEE10hipError_tPvRmT2_T3_T4_T5_mT6_T7_P12ihipStream_tbENKUlT_T0_E_clISt17integral_constantIbLb0EESZ_EEDaSU_SV_EUlSU_E_NS1_11comp_targetILNS1_3genE8ELNS1_11target_archE1030ELNS1_3gpuE2ELNS1_3repE0EEENS1_30default_config_static_selectorELNS0_4arch9wavefront6targetE0EEEvT1_.has_indirect_call, 0
	.section	.AMDGPU.csdata,"",@progbits
; Kernel info:
; codeLenInByte = 0
; TotalNumSgprs: 0
; NumVgprs: 0
; ScratchSize: 0
; MemoryBound: 0
; FloatMode: 240
; IeeeMode: 1
; LDSByteSize: 0 bytes/workgroup (compile time only)
; SGPRBlocks: 0
; VGPRBlocks: 0
; NumSGPRsForWavesPerEU: 1
; NumVGPRsForWavesPerEU: 1
; NamedBarCnt: 0
; Occupancy: 16
; WaveLimiterHint : 0
; COMPUTE_PGM_RSRC2:SCRATCH_EN: 0
; COMPUTE_PGM_RSRC2:USER_SGPR: 2
; COMPUTE_PGM_RSRC2:TRAP_HANDLER: 0
; COMPUTE_PGM_RSRC2:TGID_X_EN: 1
; COMPUTE_PGM_RSRC2:TGID_Y_EN: 0
; COMPUTE_PGM_RSRC2:TGID_Z_EN: 0
; COMPUTE_PGM_RSRC2:TIDIG_COMP_CNT: 0
	.section	.text._ZN7rocprim17ROCPRIM_400000_NS6detail30init_device_scan_by_key_kernelINS1_19lookback_scan_stateINS0_5tupleIJibEEELb1ELb1EEEN6thrust23THRUST_200600_302600_NS6detail15normal_iteratorINS8_10device_ptrIiEEEEjNS1_16block_id_wrapperIjLb1EEEEEvT_jjPNSG_10value_typeET0_PNSt15iterator_traitsISJ_E10value_typeEmT1_T2_,"axG",@progbits,_ZN7rocprim17ROCPRIM_400000_NS6detail30init_device_scan_by_key_kernelINS1_19lookback_scan_stateINS0_5tupleIJibEEELb1ELb1EEEN6thrust23THRUST_200600_302600_NS6detail15normal_iteratorINS8_10device_ptrIiEEEEjNS1_16block_id_wrapperIjLb1EEEEEvT_jjPNSG_10value_typeET0_PNSt15iterator_traitsISJ_E10value_typeEmT1_T2_,comdat
	.protected	_ZN7rocprim17ROCPRIM_400000_NS6detail30init_device_scan_by_key_kernelINS1_19lookback_scan_stateINS0_5tupleIJibEEELb1ELb1EEEN6thrust23THRUST_200600_302600_NS6detail15normal_iteratorINS8_10device_ptrIiEEEEjNS1_16block_id_wrapperIjLb1EEEEEvT_jjPNSG_10value_typeET0_PNSt15iterator_traitsISJ_E10value_typeEmT1_T2_ ; -- Begin function _ZN7rocprim17ROCPRIM_400000_NS6detail30init_device_scan_by_key_kernelINS1_19lookback_scan_stateINS0_5tupleIJibEEELb1ELb1EEEN6thrust23THRUST_200600_302600_NS6detail15normal_iteratorINS8_10device_ptrIiEEEEjNS1_16block_id_wrapperIjLb1EEEEEvT_jjPNSG_10value_typeET0_PNSt15iterator_traitsISJ_E10value_typeEmT1_T2_
	.globl	_ZN7rocprim17ROCPRIM_400000_NS6detail30init_device_scan_by_key_kernelINS1_19lookback_scan_stateINS0_5tupleIJibEEELb1ELb1EEEN6thrust23THRUST_200600_302600_NS6detail15normal_iteratorINS8_10device_ptrIiEEEEjNS1_16block_id_wrapperIjLb1EEEEEvT_jjPNSG_10value_typeET0_PNSt15iterator_traitsISJ_E10value_typeEmT1_T2_
	.p2align	8
	.type	_ZN7rocprim17ROCPRIM_400000_NS6detail30init_device_scan_by_key_kernelINS1_19lookback_scan_stateINS0_5tupleIJibEEELb1ELb1EEEN6thrust23THRUST_200600_302600_NS6detail15normal_iteratorINS8_10device_ptrIiEEEEjNS1_16block_id_wrapperIjLb1EEEEEvT_jjPNSG_10value_typeET0_PNSt15iterator_traitsISJ_E10value_typeEmT1_T2_,@function
_ZN7rocprim17ROCPRIM_400000_NS6detail30init_device_scan_by_key_kernelINS1_19lookback_scan_stateINS0_5tupleIJibEEELb1ELb1EEEN6thrust23THRUST_200600_302600_NS6detail15normal_iteratorINS8_10device_ptrIiEEEEjNS1_16block_id_wrapperIjLb1EEEEEvT_jjPNSG_10value_typeET0_PNSt15iterator_traitsISJ_E10value_typeEmT1_T2_: ; @_ZN7rocprim17ROCPRIM_400000_NS6detail30init_device_scan_by_key_kernelINS1_19lookback_scan_stateINS0_5tupleIJibEEELb1ELb1EEEN6thrust23THRUST_200600_302600_NS6detail15normal_iteratorINS8_10device_ptrIiEEEEjNS1_16block_id_wrapperIjLb1EEEEEvT_jjPNSG_10value_typeET0_PNSt15iterator_traitsISJ_E10value_typeEmT1_T2_
; %bb.0:
	s_clause 0x2
	s_load_b32 s2, s[0:1], 0x4c
	s_load_b32 s14, s[0:1], 0x40
	s_load_b256 s[4:11], s[0:1], 0x0
	s_bfe_u32 s3, ttmp6, 0x4000c
	s_and_b32 s12, ttmp6, 15
	s_add_co_i32 s3, s3, 1
	s_getreg_b32 s13, hwreg(HW_REG_IB_STS2, 6, 4)
	s_mul_i32 s3, ttmp9, s3
	s_delay_alu instid0(SALU_CYCLE_1)
	s_add_co_i32 s12, s12, s3
	s_wait_kmcnt 0x0
	s_and_b32 s15, s2, 0xffff
	s_cmp_eq_u32 s13, 0
	s_cselect_b32 s2, ttmp9, s12
	s_cmp_eq_u64 s[8:9], 0
	v_mad_u32 v4, s2, s15, v0
	s_cbranch_scc1 .LBB131_10
; %bb.1:
	s_cmp_lt_u32 s7, s6
	s_mov_b32 s16, exec_lo
	s_cselect_b32 s2, s7, 0
	s_delay_alu instid0(VALU_DEP_1) | instid1(SALU_CYCLE_1)
	v_cmpx_eq_u32_e64 s2, v4
	s_cbranch_execz .LBB131_9
; %bb.2:
	s_add_co_i32 s2, s7, 32
	s_mov_b32 s3, 0
	v_mov_b32_e32 v7, 0
	s_lshl_b64 s[12:13], s[2:3], 4
	s_mov_b32 s2, exec_lo
	s_add_nc_u64 s[12:13], s[4:5], s[12:13]
	s_delay_alu instid0(SALU_CYCLE_1) | instskip(SKIP_2) | instid1(VALU_DEP_1)
	v_mov_b64_e32 v[0:1], s[12:13]
	;;#ASMSTART
	global_load_b128 v[0:3], v[0:1] off scope:SCOPE_DEV	
s_wait_loadcnt 0x0
	;;#ASMEND
	v_and_b32_e32 v6, 0xff, v2
	v_cmpx_eq_u64_e32 0, v[6:7]
	s_cbranch_execz .LBB131_8
; %bb.3:
	v_mov_b64_e32 v[8:9], s[12:13]
	s_mov_b32 s7, 1
.LBB131_4:                              ; =>This Loop Header: Depth=1
                                        ;     Child Loop BB131_5 Depth 2
	s_delay_alu instid0(SALU_CYCLE_1)
	s_mov_b32 s12, s7
.LBB131_5:                              ;   Parent Loop BB131_4 Depth=1
                                        ; =>  This Inner Loop Header: Depth=2
	s_delay_alu instid0(SALU_CYCLE_1)
	s_add_co_i32 s12, s12, -1
	s_sleep 1
	s_cmp_eq_u32 s12, 0
	s_cbranch_scc0 .LBB131_5
; %bb.6:                                ;   in Loop: Header=BB131_4 Depth=1
	;;#ASMSTART
	global_load_b128 v[0:3], v[8:9] off scope:SCOPE_DEV	
s_wait_loadcnt 0x0
	;;#ASMEND
	v_and_b32_e32 v6, 0xff, v2
	s_cmp_lt_u32 s7, 32
	s_cselect_b32 s12, -1, 0
	s_delay_alu instid0(VALU_DEP_1) | instskip(SKIP_3) | instid1(SALU_CYCLE_1)
	v_cmp_ne_u64_e32 vcc_lo, 0, v[6:7]
	s_cmp_lg_u32 s12, 0
	s_add_co_ci_u32 s7, s7, 0
	s_or_b32 s3, vcc_lo, s3
	s_and_not1_b32 exec_lo, exec_lo, s3
	s_cbranch_execnz .LBB131_4
; %bb.7:
	s_or_b32 exec_lo, exec_lo, s3
.LBB131_8:
	s_delay_alu instid0(SALU_CYCLE_1)
	s_or_b32 exec_lo, exec_lo, s2
	v_mov_b32_e32 v2, 0
	s_clause 0x1
	global_store_b32 v2, v0, s[8:9]
	global_store_b8 v2, v1, s[8:9] offset:4
.LBB131_9:
	s_wait_xcnt 0x0
	s_or_b32 exec_lo, exec_lo, s16
.LBB131_10:
	s_delay_alu instid0(SALU_CYCLE_1) | instskip(NEXT) | instid1(VALU_DEP_1)
	s_mov_b32 s2, exec_lo
	v_cmpx_eq_u32_e32 0, v4
	s_cbranch_execz .LBB131_12
; %bb.11:
	s_load_b64 s[8:9], s[0:1], 0x38
	v_mov_b32_e32 v0, 0
	s_wait_kmcnt 0x0
	global_store_b32 v0, v0, s[8:9]
.LBB131_12:
	s_wait_xcnt 0x0
	s_or_b32 exec_lo, exec_lo, s2
	s_delay_alu instid0(SALU_CYCLE_1)
	s_mov_b32 s2, exec_lo
	v_cmpx_gt_u32_e64 s6, v4
	s_cbranch_execz .LBB131_14
; %bb.13:
	v_dual_mov_b32 v0, 0 :: v_dual_add_nc_u32 v5, 32, v4
	s_delay_alu instid0(VALU_DEP_1)
	v_dual_mov_b32 v1, v0 :: v_dual_mov_b32 v2, v0
	v_mov_b32_e32 v3, v0
	global_store_b128 v5, v[0:3], s[4:5] scale_offset
.LBB131_14:
	s_wait_xcnt 0x0
	s_or_b32 exec_lo, exec_lo, s2
	v_mov_b32_e32 v5, 0
	s_mov_b32 s2, exec_lo
	v_cmpx_gt_u32_e32 32, v4
	s_cbranch_execz .LBB131_16
; %bb.15:
	s_delay_alu instid0(VALU_DEP_2)
	v_lshl_add_u64 v[6:7], v[4:5], 4, s[4:5]
	v_dual_mov_b32 v2, 0xff :: v_dual_mov_b32 v1, v5
	v_dual_mov_b32 v0, v5 :: v_dual_mov_b32 v3, v5
	global_store_b128 v[6:7], v[0:3], off
.LBB131_16:
	s_wait_xcnt 0x0
	s_or_b32 exec_lo, exec_lo, s2
	s_load_b64 s[2:3], s[0:1], 0x28
	s_mov_b32 s4, exec_lo
	s_wait_kmcnt 0x0
	v_cmpx_gt_u64_e64 s[2:3], v[4:5]
	s_cbranch_execz .LBB131_19
; %bb.17:
	s_clause 0x1
	s_load_b32 s4, s[0:1], 0x30
	s_load_b64 s[6:7], s[0:1], 0x20
	s_mov_b32 s5, 0
	s_wait_xcnt 0x0
	s_mul_i32 s0, s14, s15
	s_mov_b32 s9, s5
	s_mov_b32 s1, s5
	s_wait_kmcnt 0x0
	v_mul_u64_e32 v[0:1], s[4:5], v[4:5]
	s_add_co_i32 s8, s4, -1
	v_lshl_add_u64 v[2:3], v[4:5], 2, s[6:7]
	s_lshl_b64 s[8:9], s[8:9], 2
	s_delay_alu instid0(SALU_CYCLE_1) | instskip(SKIP_1) | instid1(SALU_CYCLE_1)
	s_add_nc_u64 s[8:9], s[10:11], s[8:9]
	s_mul_u64 s[10:11], s[4:5], s[0:1]
	s_lshl_b64 s[6:7], s[10:11], 2
	s_delay_alu instid0(VALU_DEP_2)
	v_lshl_add_u64 v[0:1], v[0:1], 2, s[8:9]
	s_lshl_b64 s[8:9], s[0:1], 2
.LBB131_18:                             ; =>This Inner Loop Header: Depth=1
	global_load_b32 v6, v[0:1], off
	v_add_nc_u64_e32 v[4:5], s[0:1], v[4:5]
	s_wait_xcnt 0x0
	v_add_nc_u64_e32 v[0:1], s[6:7], v[0:1]
	s_delay_alu instid0(VALU_DEP_2)
	v_cmp_le_u64_e32 vcc_lo, s[2:3], v[4:5]
	s_or_b32 s5, vcc_lo, s5
	s_wait_loadcnt 0x0
	global_store_b32 v[2:3], v6, off
	s_wait_xcnt 0x0
	v_add_nc_u64_e32 v[2:3], s[8:9], v[2:3]
	s_and_not1_b32 exec_lo, exec_lo, s5
	s_cbranch_execnz .LBB131_18
.LBB131_19:
	s_endpgm
	.section	.rodata,"a",@progbits
	.p2align	6, 0x0
	.amdhsa_kernel _ZN7rocprim17ROCPRIM_400000_NS6detail30init_device_scan_by_key_kernelINS1_19lookback_scan_stateINS0_5tupleIJibEEELb1ELb1EEEN6thrust23THRUST_200600_302600_NS6detail15normal_iteratorINS8_10device_ptrIiEEEEjNS1_16block_id_wrapperIjLb1EEEEEvT_jjPNSG_10value_typeET0_PNSt15iterator_traitsISJ_E10value_typeEmT1_T2_
		.amdhsa_group_segment_fixed_size 0
		.amdhsa_private_segment_fixed_size 0
		.amdhsa_kernarg_size 320
		.amdhsa_user_sgpr_count 2
		.amdhsa_user_sgpr_dispatch_ptr 0
		.amdhsa_user_sgpr_queue_ptr 0
		.amdhsa_user_sgpr_kernarg_segment_ptr 1
		.amdhsa_user_sgpr_dispatch_id 0
		.amdhsa_user_sgpr_kernarg_preload_length 0
		.amdhsa_user_sgpr_kernarg_preload_offset 0
		.amdhsa_user_sgpr_private_segment_size 0
		.amdhsa_wavefront_size32 1
		.amdhsa_uses_dynamic_stack 0
		.amdhsa_enable_private_segment 0
		.amdhsa_system_sgpr_workgroup_id_x 1
		.amdhsa_system_sgpr_workgroup_id_y 0
		.amdhsa_system_sgpr_workgroup_id_z 0
		.amdhsa_system_sgpr_workgroup_info 0
		.amdhsa_system_vgpr_workitem_id 0
		.amdhsa_next_free_vgpr 10
		.amdhsa_next_free_sgpr 17
		.amdhsa_named_barrier_count 0
		.amdhsa_reserve_vcc 1
		.amdhsa_float_round_mode_32 0
		.amdhsa_float_round_mode_16_64 0
		.amdhsa_float_denorm_mode_32 3
		.amdhsa_float_denorm_mode_16_64 3
		.amdhsa_fp16_overflow 0
		.amdhsa_memory_ordered 1
		.amdhsa_forward_progress 1
		.amdhsa_inst_pref_size 6
		.amdhsa_round_robin_scheduling 0
		.amdhsa_exception_fp_ieee_invalid_op 0
		.amdhsa_exception_fp_denorm_src 0
		.amdhsa_exception_fp_ieee_div_zero 0
		.amdhsa_exception_fp_ieee_overflow 0
		.amdhsa_exception_fp_ieee_underflow 0
		.amdhsa_exception_fp_ieee_inexact 0
		.amdhsa_exception_int_div_zero 0
	.end_amdhsa_kernel
	.section	.text._ZN7rocprim17ROCPRIM_400000_NS6detail30init_device_scan_by_key_kernelINS1_19lookback_scan_stateINS0_5tupleIJibEEELb1ELb1EEEN6thrust23THRUST_200600_302600_NS6detail15normal_iteratorINS8_10device_ptrIiEEEEjNS1_16block_id_wrapperIjLb1EEEEEvT_jjPNSG_10value_typeET0_PNSt15iterator_traitsISJ_E10value_typeEmT1_T2_,"axG",@progbits,_ZN7rocprim17ROCPRIM_400000_NS6detail30init_device_scan_by_key_kernelINS1_19lookback_scan_stateINS0_5tupleIJibEEELb1ELb1EEEN6thrust23THRUST_200600_302600_NS6detail15normal_iteratorINS8_10device_ptrIiEEEEjNS1_16block_id_wrapperIjLb1EEEEEvT_jjPNSG_10value_typeET0_PNSt15iterator_traitsISJ_E10value_typeEmT1_T2_,comdat
.Lfunc_end131:
	.size	_ZN7rocprim17ROCPRIM_400000_NS6detail30init_device_scan_by_key_kernelINS1_19lookback_scan_stateINS0_5tupleIJibEEELb1ELb1EEEN6thrust23THRUST_200600_302600_NS6detail15normal_iteratorINS8_10device_ptrIiEEEEjNS1_16block_id_wrapperIjLb1EEEEEvT_jjPNSG_10value_typeET0_PNSt15iterator_traitsISJ_E10value_typeEmT1_T2_, .Lfunc_end131-_ZN7rocprim17ROCPRIM_400000_NS6detail30init_device_scan_by_key_kernelINS1_19lookback_scan_stateINS0_5tupleIJibEEELb1ELb1EEEN6thrust23THRUST_200600_302600_NS6detail15normal_iteratorINS8_10device_ptrIiEEEEjNS1_16block_id_wrapperIjLb1EEEEEvT_jjPNSG_10value_typeET0_PNSt15iterator_traitsISJ_E10value_typeEmT1_T2_
                                        ; -- End function
	.set _ZN7rocprim17ROCPRIM_400000_NS6detail30init_device_scan_by_key_kernelINS1_19lookback_scan_stateINS0_5tupleIJibEEELb1ELb1EEEN6thrust23THRUST_200600_302600_NS6detail15normal_iteratorINS8_10device_ptrIiEEEEjNS1_16block_id_wrapperIjLb1EEEEEvT_jjPNSG_10value_typeET0_PNSt15iterator_traitsISJ_E10value_typeEmT1_T2_.num_vgpr, 10
	.set _ZN7rocprim17ROCPRIM_400000_NS6detail30init_device_scan_by_key_kernelINS1_19lookback_scan_stateINS0_5tupleIJibEEELb1ELb1EEEN6thrust23THRUST_200600_302600_NS6detail15normal_iteratorINS8_10device_ptrIiEEEEjNS1_16block_id_wrapperIjLb1EEEEEvT_jjPNSG_10value_typeET0_PNSt15iterator_traitsISJ_E10value_typeEmT1_T2_.num_agpr, 0
	.set _ZN7rocprim17ROCPRIM_400000_NS6detail30init_device_scan_by_key_kernelINS1_19lookback_scan_stateINS0_5tupleIJibEEELb1ELb1EEEN6thrust23THRUST_200600_302600_NS6detail15normal_iteratorINS8_10device_ptrIiEEEEjNS1_16block_id_wrapperIjLb1EEEEEvT_jjPNSG_10value_typeET0_PNSt15iterator_traitsISJ_E10value_typeEmT1_T2_.numbered_sgpr, 17
	.set _ZN7rocprim17ROCPRIM_400000_NS6detail30init_device_scan_by_key_kernelINS1_19lookback_scan_stateINS0_5tupleIJibEEELb1ELb1EEEN6thrust23THRUST_200600_302600_NS6detail15normal_iteratorINS8_10device_ptrIiEEEEjNS1_16block_id_wrapperIjLb1EEEEEvT_jjPNSG_10value_typeET0_PNSt15iterator_traitsISJ_E10value_typeEmT1_T2_.num_named_barrier, 0
	.set _ZN7rocprim17ROCPRIM_400000_NS6detail30init_device_scan_by_key_kernelINS1_19lookback_scan_stateINS0_5tupleIJibEEELb1ELb1EEEN6thrust23THRUST_200600_302600_NS6detail15normal_iteratorINS8_10device_ptrIiEEEEjNS1_16block_id_wrapperIjLb1EEEEEvT_jjPNSG_10value_typeET0_PNSt15iterator_traitsISJ_E10value_typeEmT1_T2_.private_seg_size, 0
	.set _ZN7rocprim17ROCPRIM_400000_NS6detail30init_device_scan_by_key_kernelINS1_19lookback_scan_stateINS0_5tupleIJibEEELb1ELb1EEEN6thrust23THRUST_200600_302600_NS6detail15normal_iteratorINS8_10device_ptrIiEEEEjNS1_16block_id_wrapperIjLb1EEEEEvT_jjPNSG_10value_typeET0_PNSt15iterator_traitsISJ_E10value_typeEmT1_T2_.uses_vcc, 1
	.set _ZN7rocprim17ROCPRIM_400000_NS6detail30init_device_scan_by_key_kernelINS1_19lookback_scan_stateINS0_5tupleIJibEEELb1ELb1EEEN6thrust23THRUST_200600_302600_NS6detail15normal_iteratorINS8_10device_ptrIiEEEEjNS1_16block_id_wrapperIjLb1EEEEEvT_jjPNSG_10value_typeET0_PNSt15iterator_traitsISJ_E10value_typeEmT1_T2_.uses_flat_scratch, 0
	.set _ZN7rocprim17ROCPRIM_400000_NS6detail30init_device_scan_by_key_kernelINS1_19lookback_scan_stateINS0_5tupleIJibEEELb1ELb1EEEN6thrust23THRUST_200600_302600_NS6detail15normal_iteratorINS8_10device_ptrIiEEEEjNS1_16block_id_wrapperIjLb1EEEEEvT_jjPNSG_10value_typeET0_PNSt15iterator_traitsISJ_E10value_typeEmT1_T2_.has_dyn_sized_stack, 0
	.set _ZN7rocprim17ROCPRIM_400000_NS6detail30init_device_scan_by_key_kernelINS1_19lookback_scan_stateINS0_5tupleIJibEEELb1ELb1EEEN6thrust23THRUST_200600_302600_NS6detail15normal_iteratorINS8_10device_ptrIiEEEEjNS1_16block_id_wrapperIjLb1EEEEEvT_jjPNSG_10value_typeET0_PNSt15iterator_traitsISJ_E10value_typeEmT1_T2_.has_recursion, 0
	.set _ZN7rocprim17ROCPRIM_400000_NS6detail30init_device_scan_by_key_kernelINS1_19lookback_scan_stateINS0_5tupleIJibEEELb1ELb1EEEN6thrust23THRUST_200600_302600_NS6detail15normal_iteratorINS8_10device_ptrIiEEEEjNS1_16block_id_wrapperIjLb1EEEEEvT_jjPNSG_10value_typeET0_PNSt15iterator_traitsISJ_E10value_typeEmT1_T2_.has_indirect_call, 0
	.section	.AMDGPU.csdata,"",@progbits
; Kernel info:
; codeLenInByte = 684
; TotalNumSgprs: 19
; NumVgprs: 10
; ScratchSize: 0
; MemoryBound: 0
; FloatMode: 240
; IeeeMode: 1
; LDSByteSize: 0 bytes/workgroup (compile time only)
; SGPRBlocks: 0
; VGPRBlocks: 0
; NumSGPRsForWavesPerEU: 19
; NumVGPRsForWavesPerEU: 10
; NamedBarCnt: 0
; Occupancy: 16
; WaveLimiterHint : 0
; COMPUTE_PGM_RSRC2:SCRATCH_EN: 0
; COMPUTE_PGM_RSRC2:USER_SGPR: 2
; COMPUTE_PGM_RSRC2:TRAP_HANDLER: 0
; COMPUTE_PGM_RSRC2:TGID_X_EN: 1
; COMPUTE_PGM_RSRC2:TGID_Y_EN: 0
; COMPUTE_PGM_RSRC2:TGID_Z_EN: 0
; COMPUTE_PGM_RSRC2:TIDIG_COMP_CNT: 0
	.section	.text._ZN7rocprim17ROCPRIM_400000_NS6detail30init_device_scan_by_key_kernelINS1_19lookback_scan_stateINS0_5tupleIJibEEELb1ELb1EEENS1_16block_id_wrapperIjLb1EEEEEvT_jjPNS9_10value_typeET0_,"axG",@progbits,_ZN7rocprim17ROCPRIM_400000_NS6detail30init_device_scan_by_key_kernelINS1_19lookback_scan_stateINS0_5tupleIJibEEELb1ELb1EEENS1_16block_id_wrapperIjLb1EEEEEvT_jjPNS9_10value_typeET0_,comdat
	.protected	_ZN7rocprim17ROCPRIM_400000_NS6detail30init_device_scan_by_key_kernelINS1_19lookback_scan_stateINS0_5tupleIJibEEELb1ELb1EEENS1_16block_id_wrapperIjLb1EEEEEvT_jjPNS9_10value_typeET0_ ; -- Begin function _ZN7rocprim17ROCPRIM_400000_NS6detail30init_device_scan_by_key_kernelINS1_19lookback_scan_stateINS0_5tupleIJibEEELb1ELb1EEENS1_16block_id_wrapperIjLb1EEEEEvT_jjPNS9_10value_typeET0_
	.globl	_ZN7rocprim17ROCPRIM_400000_NS6detail30init_device_scan_by_key_kernelINS1_19lookback_scan_stateINS0_5tupleIJibEEELb1ELb1EEENS1_16block_id_wrapperIjLb1EEEEEvT_jjPNS9_10value_typeET0_
	.p2align	8
	.type	_ZN7rocprim17ROCPRIM_400000_NS6detail30init_device_scan_by_key_kernelINS1_19lookback_scan_stateINS0_5tupleIJibEEELb1ELb1EEENS1_16block_id_wrapperIjLb1EEEEEvT_jjPNS9_10value_typeET0_,@function
_ZN7rocprim17ROCPRIM_400000_NS6detail30init_device_scan_by_key_kernelINS1_19lookback_scan_stateINS0_5tupleIJibEEELb1ELb1EEENS1_16block_id_wrapperIjLb1EEEEEvT_jjPNS9_10value_typeET0_: ; @_ZN7rocprim17ROCPRIM_400000_NS6detail30init_device_scan_by_key_kernelINS1_19lookback_scan_stateINS0_5tupleIJibEEELb1ELb1EEENS1_16block_id_wrapperIjLb1EEEEEvT_jjPNS9_10value_typeET0_
; %bb.0:
	s_clause 0x1
	s_load_b32 s2, s[0:1], 0x2c
	s_load_b256 s[4:11], s[0:1], 0x0
	s_wait_xcnt 0x0
	s_bfe_u32 s0, ttmp6, 0x4000c
	s_and_b32 s1, ttmp6, 15
	s_add_co_i32 s0, s0, 1
	s_getreg_b32 s3, hwreg(HW_REG_IB_STS2, 6, 4)
	s_mul_i32 s0, ttmp9, s0
	s_delay_alu instid0(SALU_CYCLE_1)
	s_add_co_i32 s1, s1, s0
	s_wait_kmcnt 0x0
	s_and_b32 s2, s2, 0xffff
	s_cmp_eq_u32 s3, 0
	s_cselect_b32 s0, ttmp9, s1
	s_cmp_eq_u64 s[8:9], 0
	v_mad_u32 v8, s0, s2, v0
	s_cbranch_scc1 .LBB132_10
; %bb.1:
	s_cmp_lt_u32 s7, s6
	s_mov_b32 s12, exec_lo
	s_cselect_b32 s0, s7, 0
	s_delay_alu instid0(VALU_DEP_1) | instid1(SALU_CYCLE_1)
	v_cmpx_eq_u32_e64 s0, v8
	s_cbranch_execz .LBB132_9
; %bb.2:
	s_add_co_i32 s0, s7, 32
	s_mov_b32 s1, 0
	v_mov_b32_e32 v5, 0
	s_lshl_b64 s[2:3], s[0:1], 4
	s_mov_b32 s0, exec_lo
	s_add_nc_u64 s[2:3], s[4:5], s[2:3]
	s_delay_alu instid0(SALU_CYCLE_1) | instskip(SKIP_2) | instid1(VALU_DEP_1)
	v_mov_b64_e32 v[0:1], s[2:3]
	;;#ASMSTART
	global_load_b128 v[0:3], v[0:1] off scope:SCOPE_DEV	
s_wait_loadcnt 0x0
	;;#ASMEND
	v_and_b32_e32 v4, 0xff, v2
	v_cmpx_eq_u64_e32 0, v[4:5]
	s_cbranch_execz .LBB132_8
; %bb.3:
	v_mov_b64_e32 v[6:7], s[2:3]
	s_mov_b32 s2, 1
.LBB132_4:                              ; =>This Loop Header: Depth=1
                                        ;     Child Loop BB132_5 Depth 2
	s_delay_alu instid0(SALU_CYCLE_1)
	s_mov_b32 s3, s2
.LBB132_5:                              ;   Parent Loop BB132_4 Depth=1
                                        ; =>  This Inner Loop Header: Depth=2
	s_delay_alu instid0(SALU_CYCLE_1)
	s_add_co_i32 s3, s3, -1
	s_sleep 1
	s_cmp_eq_u32 s3, 0
	s_cbranch_scc0 .LBB132_5
; %bb.6:                                ;   in Loop: Header=BB132_4 Depth=1
	;;#ASMSTART
	global_load_b128 v[0:3], v[6:7] off scope:SCOPE_DEV	
s_wait_loadcnt 0x0
	;;#ASMEND
	v_and_b32_e32 v4, 0xff, v2
	s_cmp_lt_u32 s2, 32
	s_cselect_b32 s3, -1, 0
	s_delay_alu instid0(VALU_DEP_1) | instskip(SKIP_3) | instid1(SALU_CYCLE_1)
	v_cmp_ne_u64_e32 vcc_lo, 0, v[4:5]
	s_cmp_lg_u32 s3, 0
	s_add_co_ci_u32 s2, s2, 0
	s_or_b32 s1, vcc_lo, s1
	s_and_not1_b32 exec_lo, exec_lo, s1
	s_cbranch_execnz .LBB132_4
; %bb.7:
	s_or_b32 exec_lo, exec_lo, s1
.LBB132_8:
	s_delay_alu instid0(SALU_CYCLE_1)
	s_or_b32 exec_lo, exec_lo, s0
	v_mov_b32_e32 v2, 0
	s_clause 0x1
	global_store_b32 v2, v0, s[8:9]
	global_store_b8 v2, v1, s[8:9] offset:4
.LBB132_9:
	s_wait_xcnt 0x0
	s_or_b32 exec_lo, exec_lo, s12
.LBB132_10:
	s_delay_alu instid0(SALU_CYCLE_1) | instskip(NEXT) | instid1(VALU_DEP_1)
	s_mov_b32 s0, exec_lo
	v_cmpx_eq_u32_e32 0, v8
	s_cbranch_execz .LBB132_12
; %bb.11:
	v_mov_b32_e32 v0, 0
	global_store_b32 v0, v0, s[10:11]
.LBB132_12:
	s_wait_xcnt 0x0
	s_or_b32 exec_lo, exec_lo, s0
	s_delay_alu instid0(SALU_CYCLE_1)
	s_mov_b32 s0, exec_lo
	v_cmpx_gt_u32_e64 s6, v8
	s_cbranch_execz .LBB132_14
; %bb.13:
	v_dual_mov_b32 v0, 0 :: v_dual_add_nc_u32 v4, 32, v8
	s_delay_alu instid0(VALU_DEP_1)
	v_dual_mov_b32 v1, v0 :: v_dual_mov_b32 v2, v0
	v_mov_b32_e32 v3, v0
	global_store_b128 v4, v[0:3], s[4:5] scale_offset
.LBB132_14:
	s_wait_xcnt 0x0
	s_or_b32 exec_lo, exec_lo, s0
	s_delay_alu instid0(SALU_CYCLE_1)
	s_mov_b32 s0, exec_lo
	v_cmpx_gt_u32_e32 32, v8
	s_cbranch_execz .LBB132_16
; %bb.15:
	v_mov_b32_e32 v0, 0
	s_delay_alu instid0(VALU_DEP_1)
	v_dual_mov_b32 v2, 0xff :: v_dual_mov_b32 v1, v0
	v_mov_b32_e32 v3, v0
	global_store_b128 v8, v[0:3], s[4:5] scale_offset
.LBB132_16:
	s_endpgm
	.section	.rodata,"a",@progbits
	.p2align	6, 0x0
	.amdhsa_kernel _ZN7rocprim17ROCPRIM_400000_NS6detail30init_device_scan_by_key_kernelINS1_19lookback_scan_stateINS0_5tupleIJibEEELb1ELb1EEENS1_16block_id_wrapperIjLb1EEEEEvT_jjPNS9_10value_typeET0_
		.amdhsa_group_segment_fixed_size 0
		.amdhsa_private_segment_fixed_size 0
		.amdhsa_kernarg_size 288
		.amdhsa_user_sgpr_count 2
		.amdhsa_user_sgpr_dispatch_ptr 0
		.amdhsa_user_sgpr_queue_ptr 0
		.amdhsa_user_sgpr_kernarg_segment_ptr 1
		.amdhsa_user_sgpr_dispatch_id 0
		.amdhsa_user_sgpr_kernarg_preload_length 0
		.amdhsa_user_sgpr_kernarg_preload_offset 0
		.amdhsa_user_sgpr_private_segment_size 0
		.amdhsa_wavefront_size32 1
		.amdhsa_uses_dynamic_stack 0
		.amdhsa_enable_private_segment 0
		.amdhsa_system_sgpr_workgroup_id_x 1
		.amdhsa_system_sgpr_workgroup_id_y 0
		.amdhsa_system_sgpr_workgroup_id_z 0
		.amdhsa_system_sgpr_workgroup_info 0
		.amdhsa_system_vgpr_workitem_id 0
		.amdhsa_next_free_vgpr 9
		.amdhsa_next_free_sgpr 13
		.amdhsa_named_barrier_count 0
		.amdhsa_reserve_vcc 1
		.amdhsa_float_round_mode_32 0
		.amdhsa_float_round_mode_16_64 0
		.amdhsa_float_denorm_mode_32 3
		.amdhsa_float_denorm_mode_16_64 3
		.amdhsa_fp16_overflow 0
		.amdhsa_memory_ordered 1
		.amdhsa_forward_progress 1
		.amdhsa_inst_pref_size 4
		.amdhsa_round_robin_scheduling 0
		.amdhsa_exception_fp_ieee_invalid_op 0
		.amdhsa_exception_fp_denorm_src 0
		.amdhsa_exception_fp_ieee_div_zero 0
		.amdhsa_exception_fp_ieee_overflow 0
		.amdhsa_exception_fp_ieee_underflow 0
		.amdhsa_exception_fp_ieee_inexact 0
		.amdhsa_exception_int_div_zero 0
	.end_amdhsa_kernel
	.section	.text._ZN7rocprim17ROCPRIM_400000_NS6detail30init_device_scan_by_key_kernelINS1_19lookback_scan_stateINS0_5tupleIJibEEELb1ELb1EEENS1_16block_id_wrapperIjLb1EEEEEvT_jjPNS9_10value_typeET0_,"axG",@progbits,_ZN7rocprim17ROCPRIM_400000_NS6detail30init_device_scan_by_key_kernelINS1_19lookback_scan_stateINS0_5tupleIJibEEELb1ELb1EEENS1_16block_id_wrapperIjLb1EEEEEvT_jjPNS9_10value_typeET0_,comdat
.Lfunc_end132:
	.size	_ZN7rocprim17ROCPRIM_400000_NS6detail30init_device_scan_by_key_kernelINS1_19lookback_scan_stateINS0_5tupleIJibEEELb1ELb1EEENS1_16block_id_wrapperIjLb1EEEEEvT_jjPNS9_10value_typeET0_, .Lfunc_end132-_ZN7rocprim17ROCPRIM_400000_NS6detail30init_device_scan_by_key_kernelINS1_19lookback_scan_stateINS0_5tupleIJibEEELb1ELb1EEENS1_16block_id_wrapperIjLb1EEEEEvT_jjPNS9_10value_typeET0_
                                        ; -- End function
	.set _ZN7rocprim17ROCPRIM_400000_NS6detail30init_device_scan_by_key_kernelINS1_19lookback_scan_stateINS0_5tupleIJibEEELb1ELb1EEENS1_16block_id_wrapperIjLb1EEEEEvT_jjPNS9_10value_typeET0_.num_vgpr, 9
	.set _ZN7rocprim17ROCPRIM_400000_NS6detail30init_device_scan_by_key_kernelINS1_19lookback_scan_stateINS0_5tupleIJibEEELb1ELb1EEENS1_16block_id_wrapperIjLb1EEEEEvT_jjPNS9_10value_typeET0_.num_agpr, 0
	.set _ZN7rocprim17ROCPRIM_400000_NS6detail30init_device_scan_by_key_kernelINS1_19lookback_scan_stateINS0_5tupleIJibEEELb1ELb1EEENS1_16block_id_wrapperIjLb1EEEEEvT_jjPNS9_10value_typeET0_.numbered_sgpr, 13
	.set _ZN7rocprim17ROCPRIM_400000_NS6detail30init_device_scan_by_key_kernelINS1_19lookback_scan_stateINS0_5tupleIJibEEELb1ELb1EEENS1_16block_id_wrapperIjLb1EEEEEvT_jjPNS9_10value_typeET0_.num_named_barrier, 0
	.set _ZN7rocprim17ROCPRIM_400000_NS6detail30init_device_scan_by_key_kernelINS1_19lookback_scan_stateINS0_5tupleIJibEEELb1ELb1EEENS1_16block_id_wrapperIjLb1EEEEEvT_jjPNS9_10value_typeET0_.private_seg_size, 0
	.set _ZN7rocprim17ROCPRIM_400000_NS6detail30init_device_scan_by_key_kernelINS1_19lookback_scan_stateINS0_5tupleIJibEEELb1ELb1EEENS1_16block_id_wrapperIjLb1EEEEEvT_jjPNS9_10value_typeET0_.uses_vcc, 1
	.set _ZN7rocprim17ROCPRIM_400000_NS6detail30init_device_scan_by_key_kernelINS1_19lookback_scan_stateINS0_5tupleIJibEEELb1ELb1EEENS1_16block_id_wrapperIjLb1EEEEEvT_jjPNS9_10value_typeET0_.uses_flat_scratch, 0
	.set _ZN7rocprim17ROCPRIM_400000_NS6detail30init_device_scan_by_key_kernelINS1_19lookback_scan_stateINS0_5tupleIJibEEELb1ELb1EEENS1_16block_id_wrapperIjLb1EEEEEvT_jjPNS9_10value_typeET0_.has_dyn_sized_stack, 0
	.set _ZN7rocprim17ROCPRIM_400000_NS6detail30init_device_scan_by_key_kernelINS1_19lookback_scan_stateINS0_5tupleIJibEEELb1ELb1EEENS1_16block_id_wrapperIjLb1EEEEEvT_jjPNS9_10value_typeET0_.has_recursion, 0
	.set _ZN7rocprim17ROCPRIM_400000_NS6detail30init_device_scan_by_key_kernelINS1_19lookback_scan_stateINS0_5tupleIJibEEELb1ELb1EEENS1_16block_id_wrapperIjLb1EEEEEvT_jjPNS9_10value_typeET0_.has_indirect_call, 0
	.section	.AMDGPU.csdata,"",@progbits
; Kernel info:
; codeLenInByte = 464
; TotalNumSgprs: 15
; NumVgprs: 9
; ScratchSize: 0
; MemoryBound: 0
; FloatMode: 240
; IeeeMode: 1
; LDSByteSize: 0 bytes/workgroup (compile time only)
; SGPRBlocks: 0
; VGPRBlocks: 0
; NumSGPRsForWavesPerEU: 15
; NumVGPRsForWavesPerEU: 9
; NamedBarCnt: 0
; Occupancy: 16
; WaveLimiterHint : 0
; COMPUTE_PGM_RSRC2:SCRATCH_EN: 0
; COMPUTE_PGM_RSRC2:USER_SGPR: 2
; COMPUTE_PGM_RSRC2:TRAP_HANDLER: 0
; COMPUTE_PGM_RSRC2:TGID_X_EN: 1
; COMPUTE_PGM_RSRC2:TGID_Y_EN: 0
; COMPUTE_PGM_RSRC2:TGID_Z_EN: 0
; COMPUTE_PGM_RSRC2:TIDIG_COMP_CNT: 0
	.section	.text._ZN7rocprim17ROCPRIM_400000_NS6detail17trampoline_kernelINS0_14default_configENS1_27scan_by_key_config_selectorIiiEEZZNS1_16scan_by_key_implILNS1_25lookback_scan_determinismE0ELb0ES3_N6thrust23THRUST_200600_302600_NS6detail15normal_iteratorINS9_10device_ptrIiEEEESE_SE_iNS9_4plusIvEENS9_8equal_toIvEEiEE10hipError_tPvRmT2_T3_T4_T5_mT6_T7_P12ihipStream_tbENKUlT_T0_E_clISt17integral_constantIbLb1EESZ_EEDaSU_SV_EUlSU_E_NS1_11comp_targetILNS1_3genE0ELNS1_11target_archE4294967295ELNS1_3gpuE0ELNS1_3repE0EEENS1_30default_config_static_selectorELNS0_4arch9wavefront6targetE0EEEvT1_,"axG",@progbits,_ZN7rocprim17ROCPRIM_400000_NS6detail17trampoline_kernelINS0_14default_configENS1_27scan_by_key_config_selectorIiiEEZZNS1_16scan_by_key_implILNS1_25lookback_scan_determinismE0ELb0ES3_N6thrust23THRUST_200600_302600_NS6detail15normal_iteratorINS9_10device_ptrIiEEEESE_SE_iNS9_4plusIvEENS9_8equal_toIvEEiEE10hipError_tPvRmT2_T3_T4_T5_mT6_T7_P12ihipStream_tbENKUlT_T0_E_clISt17integral_constantIbLb1EESZ_EEDaSU_SV_EUlSU_E_NS1_11comp_targetILNS1_3genE0ELNS1_11target_archE4294967295ELNS1_3gpuE0ELNS1_3repE0EEENS1_30default_config_static_selectorELNS0_4arch9wavefront6targetE0EEEvT1_,comdat
	.protected	_ZN7rocprim17ROCPRIM_400000_NS6detail17trampoline_kernelINS0_14default_configENS1_27scan_by_key_config_selectorIiiEEZZNS1_16scan_by_key_implILNS1_25lookback_scan_determinismE0ELb0ES3_N6thrust23THRUST_200600_302600_NS6detail15normal_iteratorINS9_10device_ptrIiEEEESE_SE_iNS9_4plusIvEENS9_8equal_toIvEEiEE10hipError_tPvRmT2_T3_T4_T5_mT6_T7_P12ihipStream_tbENKUlT_T0_E_clISt17integral_constantIbLb1EESZ_EEDaSU_SV_EUlSU_E_NS1_11comp_targetILNS1_3genE0ELNS1_11target_archE4294967295ELNS1_3gpuE0ELNS1_3repE0EEENS1_30default_config_static_selectorELNS0_4arch9wavefront6targetE0EEEvT1_ ; -- Begin function _ZN7rocprim17ROCPRIM_400000_NS6detail17trampoline_kernelINS0_14default_configENS1_27scan_by_key_config_selectorIiiEEZZNS1_16scan_by_key_implILNS1_25lookback_scan_determinismE0ELb0ES3_N6thrust23THRUST_200600_302600_NS6detail15normal_iteratorINS9_10device_ptrIiEEEESE_SE_iNS9_4plusIvEENS9_8equal_toIvEEiEE10hipError_tPvRmT2_T3_T4_T5_mT6_T7_P12ihipStream_tbENKUlT_T0_E_clISt17integral_constantIbLb1EESZ_EEDaSU_SV_EUlSU_E_NS1_11comp_targetILNS1_3genE0ELNS1_11target_archE4294967295ELNS1_3gpuE0ELNS1_3repE0EEENS1_30default_config_static_selectorELNS0_4arch9wavefront6targetE0EEEvT1_
	.globl	_ZN7rocprim17ROCPRIM_400000_NS6detail17trampoline_kernelINS0_14default_configENS1_27scan_by_key_config_selectorIiiEEZZNS1_16scan_by_key_implILNS1_25lookback_scan_determinismE0ELb0ES3_N6thrust23THRUST_200600_302600_NS6detail15normal_iteratorINS9_10device_ptrIiEEEESE_SE_iNS9_4plusIvEENS9_8equal_toIvEEiEE10hipError_tPvRmT2_T3_T4_T5_mT6_T7_P12ihipStream_tbENKUlT_T0_E_clISt17integral_constantIbLb1EESZ_EEDaSU_SV_EUlSU_E_NS1_11comp_targetILNS1_3genE0ELNS1_11target_archE4294967295ELNS1_3gpuE0ELNS1_3repE0EEENS1_30default_config_static_selectorELNS0_4arch9wavefront6targetE0EEEvT1_
	.p2align	8
	.type	_ZN7rocprim17ROCPRIM_400000_NS6detail17trampoline_kernelINS0_14default_configENS1_27scan_by_key_config_selectorIiiEEZZNS1_16scan_by_key_implILNS1_25lookback_scan_determinismE0ELb0ES3_N6thrust23THRUST_200600_302600_NS6detail15normal_iteratorINS9_10device_ptrIiEEEESE_SE_iNS9_4plusIvEENS9_8equal_toIvEEiEE10hipError_tPvRmT2_T3_T4_T5_mT6_T7_P12ihipStream_tbENKUlT_T0_E_clISt17integral_constantIbLb1EESZ_EEDaSU_SV_EUlSU_E_NS1_11comp_targetILNS1_3genE0ELNS1_11target_archE4294967295ELNS1_3gpuE0ELNS1_3repE0EEENS1_30default_config_static_selectorELNS0_4arch9wavefront6targetE0EEEvT1_,@function
_ZN7rocprim17ROCPRIM_400000_NS6detail17trampoline_kernelINS0_14default_configENS1_27scan_by_key_config_selectorIiiEEZZNS1_16scan_by_key_implILNS1_25lookback_scan_determinismE0ELb0ES3_N6thrust23THRUST_200600_302600_NS6detail15normal_iteratorINS9_10device_ptrIiEEEESE_SE_iNS9_4plusIvEENS9_8equal_toIvEEiEE10hipError_tPvRmT2_T3_T4_T5_mT6_T7_P12ihipStream_tbENKUlT_T0_E_clISt17integral_constantIbLb1EESZ_EEDaSU_SV_EUlSU_E_NS1_11comp_targetILNS1_3genE0ELNS1_11target_archE4294967295ELNS1_3gpuE0ELNS1_3repE0EEENS1_30default_config_static_selectorELNS0_4arch9wavefront6targetE0EEEvT1_: ; @_ZN7rocprim17ROCPRIM_400000_NS6detail17trampoline_kernelINS0_14default_configENS1_27scan_by_key_config_selectorIiiEEZZNS1_16scan_by_key_implILNS1_25lookback_scan_determinismE0ELb0ES3_N6thrust23THRUST_200600_302600_NS6detail15normal_iteratorINS9_10device_ptrIiEEEESE_SE_iNS9_4plusIvEENS9_8equal_toIvEEiEE10hipError_tPvRmT2_T3_T4_T5_mT6_T7_P12ihipStream_tbENKUlT_T0_E_clISt17integral_constantIbLb1EESZ_EEDaSU_SV_EUlSU_E_NS1_11comp_targetILNS1_3genE0ELNS1_11target_archE4294967295ELNS1_3gpuE0ELNS1_3repE0EEENS1_30default_config_static_selectorELNS0_4arch9wavefront6targetE0EEEvT1_
; %bb.0:
	s_endpgm
	.section	.rodata,"a",@progbits
	.p2align	6, 0x0
	.amdhsa_kernel _ZN7rocprim17ROCPRIM_400000_NS6detail17trampoline_kernelINS0_14default_configENS1_27scan_by_key_config_selectorIiiEEZZNS1_16scan_by_key_implILNS1_25lookback_scan_determinismE0ELb0ES3_N6thrust23THRUST_200600_302600_NS6detail15normal_iteratorINS9_10device_ptrIiEEEESE_SE_iNS9_4plusIvEENS9_8equal_toIvEEiEE10hipError_tPvRmT2_T3_T4_T5_mT6_T7_P12ihipStream_tbENKUlT_T0_E_clISt17integral_constantIbLb1EESZ_EEDaSU_SV_EUlSU_E_NS1_11comp_targetILNS1_3genE0ELNS1_11target_archE4294967295ELNS1_3gpuE0ELNS1_3repE0EEENS1_30default_config_static_selectorELNS0_4arch9wavefront6targetE0EEEvT1_
		.amdhsa_group_segment_fixed_size 0
		.amdhsa_private_segment_fixed_size 0
		.amdhsa_kernarg_size 112
		.amdhsa_user_sgpr_count 2
		.amdhsa_user_sgpr_dispatch_ptr 0
		.amdhsa_user_sgpr_queue_ptr 0
		.amdhsa_user_sgpr_kernarg_segment_ptr 1
		.amdhsa_user_sgpr_dispatch_id 0
		.amdhsa_user_sgpr_kernarg_preload_length 0
		.amdhsa_user_sgpr_kernarg_preload_offset 0
		.amdhsa_user_sgpr_private_segment_size 0
		.amdhsa_wavefront_size32 1
		.amdhsa_uses_dynamic_stack 0
		.amdhsa_enable_private_segment 0
		.amdhsa_system_sgpr_workgroup_id_x 1
		.amdhsa_system_sgpr_workgroup_id_y 0
		.amdhsa_system_sgpr_workgroup_id_z 0
		.amdhsa_system_sgpr_workgroup_info 0
		.amdhsa_system_vgpr_workitem_id 0
		.amdhsa_next_free_vgpr 1
		.amdhsa_next_free_sgpr 1
		.amdhsa_named_barrier_count 0
		.amdhsa_reserve_vcc 0
		.amdhsa_float_round_mode_32 0
		.amdhsa_float_round_mode_16_64 0
		.amdhsa_float_denorm_mode_32 3
		.amdhsa_float_denorm_mode_16_64 3
		.amdhsa_fp16_overflow 0
		.amdhsa_memory_ordered 1
		.amdhsa_forward_progress 1
		.amdhsa_inst_pref_size 1
		.amdhsa_round_robin_scheduling 0
		.amdhsa_exception_fp_ieee_invalid_op 0
		.amdhsa_exception_fp_denorm_src 0
		.amdhsa_exception_fp_ieee_div_zero 0
		.amdhsa_exception_fp_ieee_overflow 0
		.amdhsa_exception_fp_ieee_underflow 0
		.amdhsa_exception_fp_ieee_inexact 0
		.amdhsa_exception_int_div_zero 0
	.end_amdhsa_kernel
	.section	.text._ZN7rocprim17ROCPRIM_400000_NS6detail17trampoline_kernelINS0_14default_configENS1_27scan_by_key_config_selectorIiiEEZZNS1_16scan_by_key_implILNS1_25lookback_scan_determinismE0ELb0ES3_N6thrust23THRUST_200600_302600_NS6detail15normal_iteratorINS9_10device_ptrIiEEEESE_SE_iNS9_4plusIvEENS9_8equal_toIvEEiEE10hipError_tPvRmT2_T3_T4_T5_mT6_T7_P12ihipStream_tbENKUlT_T0_E_clISt17integral_constantIbLb1EESZ_EEDaSU_SV_EUlSU_E_NS1_11comp_targetILNS1_3genE0ELNS1_11target_archE4294967295ELNS1_3gpuE0ELNS1_3repE0EEENS1_30default_config_static_selectorELNS0_4arch9wavefront6targetE0EEEvT1_,"axG",@progbits,_ZN7rocprim17ROCPRIM_400000_NS6detail17trampoline_kernelINS0_14default_configENS1_27scan_by_key_config_selectorIiiEEZZNS1_16scan_by_key_implILNS1_25lookback_scan_determinismE0ELb0ES3_N6thrust23THRUST_200600_302600_NS6detail15normal_iteratorINS9_10device_ptrIiEEEESE_SE_iNS9_4plusIvEENS9_8equal_toIvEEiEE10hipError_tPvRmT2_T3_T4_T5_mT6_T7_P12ihipStream_tbENKUlT_T0_E_clISt17integral_constantIbLb1EESZ_EEDaSU_SV_EUlSU_E_NS1_11comp_targetILNS1_3genE0ELNS1_11target_archE4294967295ELNS1_3gpuE0ELNS1_3repE0EEENS1_30default_config_static_selectorELNS0_4arch9wavefront6targetE0EEEvT1_,comdat
.Lfunc_end133:
	.size	_ZN7rocprim17ROCPRIM_400000_NS6detail17trampoline_kernelINS0_14default_configENS1_27scan_by_key_config_selectorIiiEEZZNS1_16scan_by_key_implILNS1_25lookback_scan_determinismE0ELb0ES3_N6thrust23THRUST_200600_302600_NS6detail15normal_iteratorINS9_10device_ptrIiEEEESE_SE_iNS9_4plusIvEENS9_8equal_toIvEEiEE10hipError_tPvRmT2_T3_T4_T5_mT6_T7_P12ihipStream_tbENKUlT_T0_E_clISt17integral_constantIbLb1EESZ_EEDaSU_SV_EUlSU_E_NS1_11comp_targetILNS1_3genE0ELNS1_11target_archE4294967295ELNS1_3gpuE0ELNS1_3repE0EEENS1_30default_config_static_selectorELNS0_4arch9wavefront6targetE0EEEvT1_, .Lfunc_end133-_ZN7rocprim17ROCPRIM_400000_NS6detail17trampoline_kernelINS0_14default_configENS1_27scan_by_key_config_selectorIiiEEZZNS1_16scan_by_key_implILNS1_25lookback_scan_determinismE0ELb0ES3_N6thrust23THRUST_200600_302600_NS6detail15normal_iteratorINS9_10device_ptrIiEEEESE_SE_iNS9_4plusIvEENS9_8equal_toIvEEiEE10hipError_tPvRmT2_T3_T4_T5_mT6_T7_P12ihipStream_tbENKUlT_T0_E_clISt17integral_constantIbLb1EESZ_EEDaSU_SV_EUlSU_E_NS1_11comp_targetILNS1_3genE0ELNS1_11target_archE4294967295ELNS1_3gpuE0ELNS1_3repE0EEENS1_30default_config_static_selectorELNS0_4arch9wavefront6targetE0EEEvT1_
                                        ; -- End function
	.set _ZN7rocprim17ROCPRIM_400000_NS6detail17trampoline_kernelINS0_14default_configENS1_27scan_by_key_config_selectorIiiEEZZNS1_16scan_by_key_implILNS1_25lookback_scan_determinismE0ELb0ES3_N6thrust23THRUST_200600_302600_NS6detail15normal_iteratorINS9_10device_ptrIiEEEESE_SE_iNS9_4plusIvEENS9_8equal_toIvEEiEE10hipError_tPvRmT2_T3_T4_T5_mT6_T7_P12ihipStream_tbENKUlT_T0_E_clISt17integral_constantIbLb1EESZ_EEDaSU_SV_EUlSU_E_NS1_11comp_targetILNS1_3genE0ELNS1_11target_archE4294967295ELNS1_3gpuE0ELNS1_3repE0EEENS1_30default_config_static_selectorELNS0_4arch9wavefront6targetE0EEEvT1_.num_vgpr, 0
	.set _ZN7rocprim17ROCPRIM_400000_NS6detail17trampoline_kernelINS0_14default_configENS1_27scan_by_key_config_selectorIiiEEZZNS1_16scan_by_key_implILNS1_25lookback_scan_determinismE0ELb0ES3_N6thrust23THRUST_200600_302600_NS6detail15normal_iteratorINS9_10device_ptrIiEEEESE_SE_iNS9_4plusIvEENS9_8equal_toIvEEiEE10hipError_tPvRmT2_T3_T4_T5_mT6_T7_P12ihipStream_tbENKUlT_T0_E_clISt17integral_constantIbLb1EESZ_EEDaSU_SV_EUlSU_E_NS1_11comp_targetILNS1_3genE0ELNS1_11target_archE4294967295ELNS1_3gpuE0ELNS1_3repE0EEENS1_30default_config_static_selectorELNS0_4arch9wavefront6targetE0EEEvT1_.num_agpr, 0
	.set _ZN7rocprim17ROCPRIM_400000_NS6detail17trampoline_kernelINS0_14default_configENS1_27scan_by_key_config_selectorIiiEEZZNS1_16scan_by_key_implILNS1_25lookback_scan_determinismE0ELb0ES3_N6thrust23THRUST_200600_302600_NS6detail15normal_iteratorINS9_10device_ptrIiEEEESE_SE_iNS9_4plusIvEENS9_8equal_toIvEEiEE10hipError_tPvRmT2_T3_T4_T5_mT6_T7_P12ihipStream_tbENKUlT_T0_E_clISt17integral_constantIbLb1EESZ_EEDaSU_SV_EUlSU_E_NS1_11comp_targetILNS1_3genE0ELNS1_11target_archE4294967295ELNS1_3gpuE0ELNS1_3repE0EEENS1_30default_config_static_selectorELNS0_4arch9wavefront6targetE0EEEvT1_.numbered_sgpr, 0
	.set _ZN7rocprim17ROCPRIM_400000_NS6detail17trampoline_kernelINS0_14default_configENS1_27scan_by_key_config_selectorIiiEEZZNS1_16scan_by_key_implILNS1_25lookback_scan_determinismE0ELb0ES3_N6thrust23THRUST_200600_302600_NS6detail15normal_iteratorINS9_10device_ptrIiEEEESE_SE_iNS9_4plusIvEENS9_8equal_toIvEEiEE10hipError_tPvRmT2_T3_T4_T5_mT6_T7_P12ihipStream_tbENKUlT_T0_E_clISt17integral_constantIbLb1EESZ_EEDaSU_SV_EUlSU_E_NS1_11comp_targetILNS1_3genE0ELNS1_11target_archE4294967295ELNS1_3gpuE0ELNS1_3repE0EEENS1_30default_config_static_selectorELNS0_4arch9wavefront6targetE0EEEvT1_.num_named_barrier, 0
	.set _ZN7rocprim17ROCPRIM_400000_NS6detail17trampoline_kernelINS0_14default_configENS1_27scan_by_key_config_selectorIiiEEZZNS1_16scan_by_key_implILNS1_25lookback_scan_determinismE0ELb0ES3_N6thrust23THRUST_200600_302600_NS6detail15normal_iteratorINS9_10device_ptrIiEEEESE_SE_iNS9_4plusIvEENS9_8equal_toIvEEiEE10hipError_tPvRmT2_T3_T4_T5_mT6_T7_P12ihipStream_tbENKUlT_T0_E_clISt17integral_constantIbLb1EESZ_EEDaSU_SV_EUlSU_E_NS1_11comp_targetILNS1_3genE0ELNS1_11target_archE4294967295ELNS1_3gpuE0ELNS1_3repE0EEENS1_30default_config_static_selectorELNS0_4arch9wavefront6targetE0EEEvT1_.private_seg_size, 0
	.set _ZN7rocprim17ROCPRIM_400000_NS6detail17trampoline_kernelINS0_14default_configENS1_27scan_by_key_config_selectorIiiEEZZNS1_16scan_by_key_implILNS1_25lookback_scan_determinismE0ELb0ES3_N6thrust23THRUST_200600_302600_NS6detail15normal_iteratorINS9_10device_ptrIiEEEESE_SE_iNS9_4plusIvEENS9_8equal_toIvEEiEE10hipError_tPvRmT2_T3_T4_T5_mT6_T7_P12ihipStream_tbENKUlT_T0_E_clISt17integral_constantIbLb1EESZ_EEDaSU_SV_EUlSU_E_NS1_11comp_targetILNS1_3genE0ELNS1_11target_archE4294967295ELNS1_3gpuE0ELNS1_3repE0EEENS1_30default_config_static_selectorELNS0_4arch9wavefront6targetE0EEEvT1_.uses_vcc, 0
	.set _ZN7rocprim17ROCPRIM_400000_NS6detail17trampoline_kernelINS0_14default_configENS1_27scan_by_key_config_selectorIiiEEZZNS1_16scan_by_key_implILNS1_25lookback_scan_determinismE0ELb0ES3_N6thrust23THRUST_200600_302600_NS6detail15normal_iteratorINS9_10device_ptrIiEEEESE_SE_iNS9_4plusIvEENS9_8equal_toIvEEiEE10hipError_tPvRmT2_T3_T4_T5_mT6_T7_P12ihipStream_tbENKUlT_T0_E_clISt17integral_constantIbLb1EESZ_EEDaSU_SV_EUlSU_E_NS1_11comp_targetILNS1_3genE0ELNS1_11target_archE4294967295ELNS1_3gpuE0ELNS1_3repE0EEENS1_30default_config_static_selectorELNS0_4arch9wavefront6targetE0EEEvT1_.uses_flat_scratch, 0
	.set _ZN7rocprim17ROCPRIM_400000_NS6detail17trampoline_kernelINS0_14default_configENS1_27scan_by_key_config_selectorIiiEEZZNS1_16scan_by_key_implILNS1_25lookback_scan_determinismE0ELb0ES3_N6thrust23THRUST_200600_302600_NS6detail15normal_iteratorINS9_10device_ptrIiEEEESE_SE_iNS9_4plusIvEENS9_8equal_toIvEEiEE10hipError_tPvRmT2_T3_T4_T5_mT6_T7_P12ihipStream_tbENKUlT_T0_E_clISt17integral_constantIbLb1EESZ_EEDaSU_SV_EUlSU_E_NS1_11comp_targetILNS1_3genE0ELNS1_11target_archE4294967295ELNS1_3gpuE0ELNS1_3repE0EEENS1_30default_config_static_selectorELNS0_4arch9wavefront6targetE0EEEvT1_.has_dyn_sized_stack, 0
	.set _ZN7rocprim17ROCPRIM_400000_NS6detail17trampoline_kernelINS0_14default_configENS1_27scan_by_key_config_selectorIiiEEZZNS1_16scan_by_key_implILNS1_25lookback_scan_determinismE0ELb0ES3_N6thrust23THRUST_200600_302600_NS6detail15normal_iteratorINS9_10device_ptrIiEEEESE_SE_iNS9_4plusIvEENS9_8equal_toIvEEiEE10hipError_tPvRmT2_T3_T4_T5_mT6_T7_P12ihipStream_tbENKUlT_T0_E_clISt17integral_constantIbLb1EESZ_EEDaSU_SV_EUlSU_E_NS1_11comp_targetILNS1_3genE0ELNS1_11target_archE4294967295ELNS1_3gpuE0ELNS1_3repE0EEENS1_30default_config_static_selectorELNS0_4arch9wavefront6targetE0EEEvT1_.has_recursion, 0
	.set _ZN7rocprim17ROCPRIM_400000_NS6detail17trampoline_kernelINS0_14default_configENS1_27scan_by_key_config_selectorIiiEEZZNS1_16scan_by_key_implILNS1_25lookback_scan_determinismE0ELb0ES3_N6thrust23THRUST_200600_302600_NS6detail15normal_iteratorINS9_10device_ptrIiEEEESE_SE_iNS9_4plusIvEENS9_8equal_toIvEEiEE10hipError_tPvRmT2_T3_T4_T5_mT6_T7_P12ihipStream_tbENKUlT_T0_E_clISt17integral_constantIbLb1EESZ_EEDaSU_SV_EUlSU_E_NS1_11comp_targetILNS1_3genE0ELNS1_11target_archE4294967295ELNS1_3gpuE0ELNS1_3repE0EEENS1_30default_config_static_selectorELNS0_4arch9wavefront6targetE0EEEvT1_.has_indirect_call, 0
	.section	.AMDGPU.csdata,"",@progbits
; Kernel info:
; codeLenInByte = 4
; TotalNumSgprs: 0
; NumVgprs: 0
; ScratchSize: 0
; MemoryBound: 0
; FloatMode: 240
; IeeeMode: 1
; LDSByteSize: 0 bytes/workgroup (compile time only)
; SGPRBlocks: 0
; VGPRBlocks: 0
; NumSGPRsForWavesPerEU: 1
; NumVGPRsForWavesPerEU: 1
; NamedBarCnt: 0
; Occupancy: 16
; WaveLimiterHint : 0
; COMPUTE_PGM_RSRC2:SCRATCH_EN: 0
; COMPUTE_PGM_RSRC2:USER_SGPR: 2
; COMPUTE_PGM_RSRC2:TRAP_HANDLER: 0
; COMPUTE_PGM_RSRC2:TGID_X_EN: 1
; COMPUTE_PGM_RSRC2:TGID_Y_EN: 0
; COMPUTE_PGM_RSRC2:TGID_Z_EN: 0
; COMPUTE_PGM_RSRC2:TIDIG_COMP_CNT: 0
	.section	.text._ZN7rocprim17ROCPRIM_400000_NS6detail17trampoline_kernelINS0_14default_configENS1_27scan_by_key_config_selectorIiiEEZZNS1_16scan_by_key_implILNS1_25lookback_scan_determinismE0ELb0ES3_N6thrust23THRUST_200600_302600_NS6detail15normal_iteratorINS9_10device_ptrIiEEEESE_SE_iNS9_4plusIvEENS9_8equal_toIvEEiEE10hipError_tPvRmT2_T3_T4_T5_mT6_T7_P12ihipStream_tbENKUlT_T0_E_clISt17integral_constantIbLb1EESZ_EEDaSU_SV_EUlSU_E_NS1_11comp_targetILNS1_3genE10ELNS1_11target_archE1201ELNS1_3gpuE5ELNS1_3repE0EEENS1_30default_config_static_selectorELNS0_4arch9wavefront6targetE0EEEvT1_,"axG",@progbits,_ZN7rocprim17ROCPRIM_400000_NS6detail17trampoline_kernelINS0_14default_configENS1_27scan_by_key_config_selectorIiiEEZZNS1_16scan_by_key_implILNS1_25lookback_scan_determinismE0ELb0ES3_N6thrust23THRUST_200600_302600_NS6detail15normal_iteratorINS9_10device_ptrIiEEEESE_SE_iNS9_4plusIvEENS9_8equal_toIvEEiEE10hipError_tPvRmT2_T3_T4_T5_mT6_T7_P12ihipStream_tbENKUlT_T0_E_clISt17integral_constantIbLb1EESZ_EEDaSU_SV_EUlSU_E_NS1_11comp_targetILNS1_3genE10ELNS1_11target_archE1201ELNS1_3gpuE5ELNS1_3repE0EEENS1_30default_config_static_selectorELNS0_4arch9wavefront6targetE0EEEvT1_,comdat
	.protected	_ZN7rocprim17ROCPRIM_400000_NS6detail17trampoline_kernelINS0_14default_configENS1_27scan_by_key_config_selectorIiiEEZZNS1_16scan_by_key_implILNS1_25lookback_scan_determinismE0ELb0ES3_N6thrust23THRUST_200600_302600_NS6detail15normal_iteratorINS9_10device_ptrIiEEEESE_SE_iNS9_4plusIvEENS9_8equal_toIvEEiEE10hipError_tPvRmT2_T3_T4_T5_mT6_T7_P12ihipStream_tbENKUlT_T0_E_clISt17integral_constantIbLb1EESZ_EEDaSU_SV_EUlSU_E_NS1_11comp_targetILNS1_3genE10ELNS1_11target_archE1201ELNS1_3gpuE5ELNS1_3repE0EEENS1_30default_config_static_selectorELNS0_4arch9wavefront6targetE0EEEvT1_ ; -- Begin function _ZN7rocprim17ROCPRIM_400000_NS6detail17trampoline_kernelINS0_14default_configENS1_27scan_by_key_config_selectorIiiEEZZNS1_16scan_by_key_implILNS1_25lookback_scan_determinismE0ELb0ES3_N6thrust23THRUST_200600_302600_NS6detail15normal_iteratorINS9_10device_ptrIiEEEESE_SE_iNS9_4plusIvEENS9_8equal_toIvEEiEE10hipError_tPvRmT2_T3_T4_T5_mT6_T7_P12ihipStream_tbENKUlT_T0_E_clISt17integral_constantIbLb1EESZ_EEDaSU_SV_EUlSU_E_NS1_11comp_targetILNS1_3genE10ELNS1_11target_archE1201ELNS1_3gpuE5ELNS1_3repE0EEENS1_30default_config_static_selectorELNS0_4arch9wavefront6targetE0EEEvT1_
	.globl	_ZN7rocprim17ROCPRIM_400000_NS6detail17trampoline_kernelINS0_14default_configENS1_27scan_by_key_config_selectorIiiEEZZNS1_16scan_by_key_implILNS1_25lookback_scan_determinismE0ELb0ES3_N6thrust23THRUST_200600_302600_NS6detail15normal_iteratorINS9_10device_ptrIiEEEESE_SE_iNS9_4plusIvEENS9_8equal_toIvEEiEE10hipError_tPvRmT2_T3_T4_T5_mT6_T7_P12ihipStream_tbENKUlT_T0_E_clISt17integral_constantIbLb1EESZ_EEDaSU_SV_EUlSU_E_NS1_11comp_targetILNS1_3genE10ELNS1_11target_archE1201ELNS1_3gpuE5ELNS1_3repE0EEENS1_30default_config_static_selectorELNS0_4arch9wavefront6targetE0EEEvT1_
	.p2align	8
	.type	_ZN7rocprim17ROCPRIM_400000_NS6detail17trampoline_kernelINS0_14default_configENS1_27scan_by_key_config_selectorIiiEEZZNS1_16scan_by_key_implILNS1_25lookback_scan_determinismE0ELb0ES3_N6thrust23THRUST_200600_302600_NS6detail15normal_iteratorINS9_10device_ptrIiEEEESE_SE_iNS9_4plusIvEENS9_8equal_toIvEEiEE10hipError_tPvRmT2_T3_T4_T5_mT6_T7_P12ihipStream_tbENKUlT_T0_E_clISt17integral_constantIbLb1EESZ_EEDaSU_SV_EUlSU_E_NS1_11comp_targetILNS1_3genE10ELNS1_11target_archE1201ELNS1_3gpuE5ELNS1_3repE0EEENS1_30default_config_static_selectorELNS0_4arch9wavefront6targetE0EEEvT1_,@function
_ZN7rocprim17ROCPRIM_400000_NS6detail17trampoline_kernelINS0_14default_configENS1_27scan_by_key_config_selectorIiiEEZZNS1_16scan_by_key_implILNS1_25lookback_scan_determinismE0ELb0ES3_N6thrust23THRUST_200600_302600_NS6detail15normal_iteratorINS9_10device_ptrIiEEEESE_SE_iNS9_4plusIvEENS9_8equal_toIvEEiEE10hipError_tPvRmT2_T3_T4_T5_mT6_T7_P12ihipStream_tbENKUlT_T0_E_clISt17integral_constantIbLb1EESZ_EEDaSU_SV_EUlSU_E_NS1_11comp_targetILNS1_3genE10ELNS1_11target_archE1201ELNS1_3gpuE5ELNS1_3repE0EEENS1_30default_config_static_selectorELNS0_4arch9wavefront6targetE0EEEvT1_: ; @_ZN7rocprim17ROCPRIM_400000_NS6detail17trampoline_kernelINS0_14default_configENS1_27scan_by_key_config_selectorIiiEEZZNS1_16scan_by_key_implILNS1_25lookback_scan_determinismE0ELb0ES3_N6thrust23THRUST_200600_302600_NS6detail15normal_iteratorINS9_10device_ptrIiEEEESE_SE_iNS9_4plusIvEENS9_8equal_toIvEEiEE10hipError_tPvRmT2_T3_T4_T5_mT6_T7_P12ihipStream_tbENKUlT_T0_E_clISt17integral_constantIbLb1EESZ_EEDaSU_SV_EUlSU_E_NS1_11comp_targetILNS1_3genE10ELNS1_11target_archE1201ELNS1_3gpuE5ELNS1_3repE0EEENS1_30default_config_static_selectorELNS0_4arch9wavefront6targetE0EEEvT1_
; %bb.0:
	.section	.rodata,"a",@progbits
	.p2align	6, 0x0
	.amdhsa_kernel _ZN7rocprim17ROCPRIM_400000_NS6detail17trampoline_kernelINS0_14default_configENS1_27scan_by_key_config_selectorIiiEEZZNS1_16scan_by_key_implILNS1_25lookback_scan_determinismE0ELb0ES3_N6thrust23THRUST_200600_302600_NS6detail15normal_iteratorINS9_10device_ptrIiEEEESE_SE_iNS9_4plusIvEENS9_8equal_toIvEEiEE10hipError_tPvRmT2_T3_T4_T5_mT6_T7_P12ihipStream_tbENKUlT_T0_E_clISt17integral_constantIbLb1EESZ_EEDaSU_SV_EUlSU_E_NS1_11comp_targetILNS1_3genE10ELNS1_11target_archE1201ELNS1_3gpuE5ELNS1_3repE0EEENS1_30default_config_static_selectorELNS0_4arch9wavefront6targetE0EEEvT1_
		.amdhsa_group_segment_fixed_size 0
		.amdhsa_private_segment_fixed_size 0
		.amdhsa_kernarg_size 112
		.amdhsa_user_sgpr_count 2
		.amdhsa_user_sgpr_dispatch_ptr 0
		.amdhsa_user_sgpr_queue_ptr 0
		.amdhsa_user_sgpr_kernarg_segment_ptr 1
		.amdhsa_user_sgpr_dispatch_id 0
		.amdhsa_user_sgpr_kernarg_preload_length 0
		.amdhsa_user_sgpr_kernarg_preload_offset 0
		.amdhsa_user_sgpr_private_segment_size 0
		.amdhsa_wavefront_size32 1
		.amdhsa_uses_dynamic_stack 0
		.amdhsa_enable_private_segment 0
		.amdhsa_system_sgpr_workgroup_id_x 1
		.amdhsa_system_sgpr_workgroup_id_y 0
		.amdhsa_system_sgpr_workgroup_id_z 0
		.amdhsa_system_sgpr_workgroup_info 0
		.amdhsa_system_vgpr_workitem_id 0
		.amdhsa_next_free_vgpr 1
		.amdhsa_next_free_sgpr 1
		.amdhsa_named_barrier_count 0
		.amdhsa_reserve_vcc 0
		.amdhsa_float_round_mode_32 0
		.amdhsa_float_round_mode_16_64 0
		.amdhsa_float_denorm_mode_32 3
		.amdhsa_float_denorm_mode_16_64 3
		.amdhsa_fp16_overflow 0
		.amdhsa_memory_ordered 1
		.amdhsa_forward_progress 1
		.amdhsa_inst_pref_size 0
		.amdhsa_round_robin_scheduling 0
		.amdhsa_exception_fp_ieee_invalid_op 0
		.amdhsa_exception_fp_denorm_src 0
		.amdhsa_exception_fp_ieee_div_zero 0
		.amdhsa_exception_fp_ieee_overflow 0
		.amdhsa_exception_fp_ieee_underflow 0
		.amdhsa_exception_fp_ieee_inexact 0
		.amdhsa_exception_int_div_zero 0
	.end_amdhsa_kernel
	.section	.text._ZN7rocprim17ROCPRIM_400000_NS6detail17trampoline_kernelINS0_14default_configENS1_27scan_by_key_config_selectorIiiEEZZNS1_16scan_by_key_implILNS1_25lookback_scan_determinismE0ELb0ES3_N6thrust23THRUST_200600_302600_NS6detail15normal_iteratorINS9_10device_ptrIiEEEESE_SE_iNS9_4plusIvEENS9_8equal_toIvEEiEE10hipError_tPvRmT2_T3_T4_T5_mT6_T7_P12ihipStream_tbENKUlT_T0_E_clISt17integral_constantIbLb1EESZ_EEDaSU_SV_EUlSU_E_NS1_11comp_targetILNS1_3genE10ELNS1_11target_archE1201ELNS1_3gpuE5ELNS1_3repE0EEENS1_30default_config_static_selectorELNS0_4arch9wavefront6targetE0EEEvT1_,"axG",@progbits,_ZN7rocprim17ROCPRIM_400000_NS6detail17trampoline_kernelINS0_14default_configENS1_27scan_by_key_config_selectorIiiEEZZNS1_16scan_by_key_implILNS1_25lookback_scan_determinismE0ELb0ES3_N6thrust23THRUST_200600_302600_NS6detail15normal_iteratorINS9_10device_ptrIiEEEESE_SE_iNS9_4plusIvEENS9_8equal_toIvEEiEE10hipError_tPvRmT2_T3_T4_T5_mT6_T7_P12ihipStream_tbENKUlT_T0_E_clISt17integral_constantIbLb1EESZ_EEDaSU_SV_EUlSU_E_NS1_11comp_targetILNS1_3genE10ELNS1_11target_archE1201ELNS1_3gpuE5ELNS1_3repE0EEENS1_30default_config_static_selectorELNS0_4arch9wavefront6targetE0EEEvT1_,comdat
.Lfunc_end134:
	.size	_ZN7rocprim17ROCPRIM_400000_NS6detail17trampoline_kernelINS0_14default_configENS1_27scan_by_key_config_selectorIiiEEZZNS1_16scan_by_key_implILNS1_25lookback_scan_determinismE0ELb0ES3_N6thrust23THRUST_200600_302600_NS6detail15normal_iteratorINS9_10device_ptrIiEEEESE_SE_iNS9_4plusIvEENS9_8equal_toIvEEiEE10hipError_tPvRmT2_T3_T4_T5_mT6_T7_P12ihipStream_tbENKUlT_T0_E_clISt17integral_constantIbLb1EESZ_EEDaSU_SV_EUlSU_E_NS1_11comp_targetILNS1_3genE10ELNS1_11target_archE1201ELNS1_3gpuE5ELNS1_3repE0EEENS1_30default_config_static_selectorELNS0_4arch9wavefront6targetE0EEEvT1_, .Lfunc_end134-_ZN7rocprim17ROCPRIM_400000_NS6detail17trampoline_kernelINS0_14default_configENS1_27scan_by_key_config_selectorIiiEEZZNS1_16scan_by_key_implILNS1_25lookback_scan_determinismE0ELb0ES3_N6thrust23THRUST_200600_302600_NS6detail15normal_iteratorINS9_10device_ptrIiEEEESE_SE_iNS9_4plusIvEENS9_8equal_toIvEEiEE10hipError_tPvRmT2_T3_T4_T5_mT6_T7_P12ihipStream_tbENKUlT_T0_E_clISt17integral_constantIbLb1EESZ_EEDaSU_SV_EUlSU_E_NS1_11comp_targetILNS1_3genE10ELNS1_11target_archE1201ELNS1_3gpuE5ELNS1_3repE0EEENS1_30default_config_static_selectorELNS0_4arch9wavefront6targetE0EEEvT1_
                                        ; -- End function
	.set _ZN7rocprim17ROCPRIM_400000_NS6detail17trampoline_kernelINS0_14default_configENS1_27scan_by_key_config_selectorIiiEEZZNS1_16scan_by_key_implILNS1_25lookback_scan_determinismE0ELb0ES3_N6thrust23THRUST_200600_302600_NS6detail15normal_iteratorINS9_10device_ptrIiEEEESE_SE_iNS9_4plusIvEENS9_8equal_toIvEEiEE10hipError_tPvRmT2_T3_T4_T5_mT6_T7_P12ihipStream_tbENKUlT_T0_E_clISt17integral_constantIbLb1EESZ_EEDaSU_SV_EUlSU_E_NS1_11comp_targetILNS1_3genE10ELNS1_11target_archE1201ELNS1_3gpuE5ELNS1_3repE0EEENS1_30default_config_static_selectorELNS0_4arch9wavefront6targetE0EEEvT1_.num_vgpr, 0
	.set _ZN7rocprim17ROCPRIM_400000_NS6detail17trampoline_kernelINS0_14default_configENS1_27scan_by_key_config_selectorIiiEEZZNS1_16scan_by_key_implILNS1_25lookback_scan_determinismE0ELb0ES3_N6thrust23THRUST_200600_302600_NS6detail15normal_iteratorINS9_10device_ptrIiEEEESE_SE_iNS9_4plusIvEENS9_8equal_toIvEEiEE10hipError_tPvRmT2_T3_T4_T5_mT6_T7_P12ihipStream_tbENKUlT_T0_E_clISt17integral_constantIbLb1EESZ_EEDaSU_SV_EUlSU_E_NS1_11comp_targetILNS1_3genE10ELNS1_11target_archE1201ELNS1_3gpuE5ELNS1_3repE0EEENS1_30default_config_static_selectorELNS0_4arch9wavefront6targetE0EEEvT1_.num_agpr, 0
	.set _ZN7rocprim17ROCPRIM_400000_NS6detail17trampoline_kernelINS0_14default_configENS1_27scan_by_key_config_selectorIiiEEZZNS1_16scan_by_key_implILNS1_25lookback_scan_determinismE0ELb0ES3_N6thrust23THRUST_200600_302600_NS6detail15normal_iteratorINS9_10device_ptrIiEEEESE_SE_iNS9_4plusIvEENS9_8equal_toIvEEiEE10hipError_tPvRmT2_T3_T4_T5_mT6_T7_P12ihipStream_tbENKUlT_T0_E_clISt17integral_constantIbLb1EESZ_EEDaSU_SV_EUlSU_E_NS1_11comp_targetILNS1_3genE10ELNS1_11target_archE1201ELNS1_3gpuE5ELNS1_3repE0EEENS1_30default_config_static_selectorELNS0_4arch9wavefront6targetE0EEEvT1_.numbered_sgpr, 0
	.set _ZN7rocprim17ROCPRIM_400000_NS6detail17trampoline_kernelINS0_14default_configENS1_27scan_by_key_config_selectorIiiEEZZNS1_16scan_by_key_implILNS1_25lookback_scan_determinismE0ELb0ES3_N6thrust23THRUST_200600_302600_NS6detail15normal_iteratorINS9_10device_ptrIiEEEESE_SE_iNS9_4plusIvEENS9_8equal_toIvEEiEE10hipError_tPvRmT2_T3_T4_T5_mT6_T7_P12ihipStream_tbENKUlT_T0_E_clISt17integral_constantIbLb1EESZ_EEDaSU_SV_EUlSU_E_NS1_11comp_targetILNS1_3genE10ELNS1_11target_archE1201ELNS1_3gpuE5ELNS1_3repE0EEENS1_30default_config_static_selectorELNS0_4arch9wavefront6targetE0EEEvT1_.num_named_barrier, 0
	.set _ZN7rocprim17ROCPRIM_400000_NS6detail17trampoline_kernelINS0_14default_configENS1_27scan_by_key_config_selectorIiiEEZZNS1_16scan_by_key_implILNS1_25lookback_scan_determinismE0ELb0ES3_N6thrust23THRUST_200600_302600_NS6detail15normal_iteratorINS9_10device_ptrIiEEEESE_SE_iNS9_4plusIvEENS9_8equal_toIvEEiEE10hipError_tPvRmT2_T3_T4_T5_mT6_T7_P12ihipStream_tbENKUlT_T0_E_clISt17integral_constantIbLb1EESZ_EEDaSU_SV_EUlSU_E_NS1_11comp_targetILNS1_3genE10ELNS1_11target_archE1201ELNS1_3gpuE5ELNS1_3repE0EEENS1_30default_config_static_selectorELNS0_4arch9wavefront6targetE0EEEvT1_.private_seg_size, 0
	.set _ZN7rocprim17ROCPRIM_400000_NS6detail17trampoline_kernelINS0_14default_configENS1_27scan_by_key_config_selectorIiiEEZZNS1_16scan_by_key_implILNS1_25lookback_scan_determinismE0ELb0ES3_N6thrust23THRUST_200600_302600_NS6detail15normal_iteratorINS9_10device_ptrIiEEEESE_SE_iNS9_4plusIvEENS9_8equal_toIvEEiEE10hipError_tPvRmT2_T3_T4_T5_mT6_T7_P12ihipStream_tbENKUlT_T0_E_clISt17integral_constantIbLb1EESZ_EEDaSU_SV_EUlSU_E_NS1_11comp_targetILNS1_3genE10ELNS1_11target_archE1201ELNS1_3gpuE5ELNS1_3repE0EEENS1_30default_config_static_selectorELNS0_4arch9wavefront6targetE0EEEvT1_.uses_vcc, 0
	.set _ZN7rocprim17ROCPRIM_400000_NS6detail17trampoline_kernelINS0_14default_configENS1_27scan_by_key_config_selectorIiiEEZZNS1_16scan_by_key_implILNS1_25lookback_scan_determinismE0ELb0ES3_N6thrust23THRUST_200600_302600_NS6detail15normal_iteratorINS9_10device_ptrIiEEEESE_SE_iNS9_4plusIvEENS9_8equal_toIvEEiEE10hipError_tPvRmT2_T3_T4_T5_mT6_T7_P12ihipStream_tbENKUlT_T0_E_clISt17integral_constantIbLb1EESZ_EEDaSU_SV_EUlSU_E_NS1_11comp_targetILNS1_3genE10ELNS1_11target_archE1201ELNS1_3gpuE5ELNS1_3repE0EEENS1_30default_config_static_selectorELNS0_4arch9wavefront6targetE0EEEvT1_.uses_flat_scratch, 0
	.set _ZN7rocprim17ROCPRIM_400000_NS6detail17trampoline_kernelINS0_14default_configENS1_27scan_by_key_config_selectorIiiEEZZNS1_16scan_by_key_implILNS1_25lookback_scan_determinismE0ELb0ES3_N6thrust23THRUST_200600_302600_NS6detail15normal_iteratorINS9_10device_ptrIiEEEESE_SE_iNS9_4plusIvEENS9_8equal_toIvEEiEE10hipError_tPvRmT2_T3_T4_T5_mT6_T7_P12ihipStream_tbENKUlT_T0_E_clISt17integral_constantIbLb1EESZ_EEDaSU_SV_EUlSU_E_NS1_11comp_targetILNS1_3genE10ELNS1_11target_archE1201ELNS1_3gpuE5ELNS1_3repE0EEENS1_30default_config_static_selectorELNS0_4arch9wavefront6targetE0EEEvT1_.has_dyn_sized_stack, 0
	.set _ZN7rocprim17ROCPRIM_400000_NS6detail17trampoline_kernelINS0_14default_configENS1_27scan_by_key_config_selectorIiiEEZZNS1_16scan_by_key_implILNS1_25lookback_scan_determinismE0ELb0ES3_N6thrust23THRUST_200600_302600_NS6detail15normal_iteratorINS9_10device_ptrIiEEEESE_SE_iNS9_4plusIvEENS9_8equal_toIvEEiEE10hipError_tPvRmT2_T3_T4_T5_mT6_T7_P12ihipStream_tbENKUlT_T0_E_clISt17integral_constantIbLb1EESZ_EEDaSU_SV_EUlSU_E_NS1_11comp_targetILNS1_3genE10ELNS1_11target_archE1201ELNS1_3gpuE5ELNS1_3repE0EEENS1_30default_config_static_selectorELNS0_4arch9wavefront6targetE0EEEvT1_.has_recursion, 0
	.set _ZN7rocprim17ROCPRIM_400000_NS6detail17trampoline_kernelINS0_14default_configENS1_27scan_by_key_config_selectorIiiEEZZNS1_16scan_by_key_implILNS1_25lookback_scan_determinismE0ELb0ES3_N6thrust23THRUST_200600_302600_NS6detail15normal_iteratorINS9_10device_ptrIiEEEESE_SE_iNS9_4plusIvEENS9_8equal_toIvEEiEE10hipError_tPvRmT2_T3_T4_T5_mT6_T7_P12ihipStream_tbENKUlT_T0_E_clISt17integral_constantIbLb1EESZ_EEDaSU_SV_EUlSU_E_NS1_11comp_targetILNS1_3genE10ELNS1_11target_archE1201ELNS1_3gpuE5ELNS1_3repE0EEENS1_30default_config_static_selectorELNS0_4arch9wavefront6targetE0EEEvT1_.has_indirect_call, 0
	.section	.AMDGPU.csdata,"",@progbits
; Kernel info:
; codeLenInByte = 0
; TotalNumSgprs: 0
; NumVgprs: 0
; ScratchSize: 0
; MemoryBound: 0
; FloatMode: 240
; IeeeMode: 1
; LDSByteSize: 0 bytes/workgroup (compile time only)
; SGPRBlocks: 0
; VGPRBlocks: 0
; NumSGPRsForWavesPerEU: 1
; NumVGPRsForWavesPerEU: 1
; NamedBarCnt: 0
; Occupancy: 16
; WaveLimiterHint : 0
; COMPUTE_PGM_RSRC2:SCRATCH_EN: 0
; COMPUTE_PGM_RSRC2:USER_SGPR: 2
; COMPUTE_PGM_RSRC2:TRAP_HANDLER: 0
; COMPUTE_PGM_RSRC2:TGID_X_EN: 1
; COMPUTE_PGM_RSRC2:TGID_Y_EN: 0
; COMPUTE_PGM_RSRC2:TGID_Z_EN: 0
; COMPUTE_PGM_RSRC2:TIDIG_COMP_CNT: 0
	.section	.text._ZN7rocprim17ROCPRIM_400000_NS6detail17trampoline_kernelINS0_14default_configENS1_27scan_by_key_config_selectorIiiEEZZNS1_16scan_by_key_implILNS1_25lookback_scan_determinismE0ELb0ES3_N6thrust23THRUST_200600_302600_NS6detail15normal_iteratorINS9_10device_ptrIiEEEESE_SE_iNS9_4plusIvEENS9_8equal_toIvEEiEE10hipError_tPvRmT2_T3_T4_T5_mT6_T7_P12ihipStream_tbENKUlT_T0_E_clISt17integral_constantIbLb1EESZ_EEDaSU_SV_EUlSU_E_NS1_11comp_targetILNS1_3genE5ELNS1_11target_archE942ELNS1_3gpuE9ELNS1_3repE0EEENS1_30default_config_static_selectorELNS0_4arch9wavefront6targetE0EEEvT1_,"axG",@progbits,_ZN7rocprim17ROCPRIM_400000_NS6detail17trampoline_kernelINS0_14default_configENS1_27scan_by_key_config_selectorIiiEEZZNS1_16scan_by_key_implILNS1_25lookback_scan_determinismE0ELb0ES3_N6thrust23THRUST_200600_302600_NS6detail15normal_iteratorINS9_10device_ptrIiEEEESE_SE_iNS9_4plusIvEENS9_8equal_toIvEEiEE10hipError_tPvRmT2_T3_T4_T5_mT6_T7_P12ihipStream_tbENKUlT_T0_E_clISt17integral_constantIbLb1EESZ_EEDaSU_SV_EUlSU_E_NS1_11comp_targetILNS1_3genE5ELNS1_11target_archE942ELNS1_3gpuE9ELNS1_3repE0EEENS1_30default_config_static_selectorELNS0_4arch9wavefront6targetE0EEEvT1_,comdat
	.protected	_ZN7rocprim17ROCPRIM_400000_NS6detail17trampoline_kernelINS0_14default_configENS1_27scan_by_key_config_selectorIiiEEZZNS1_16scan_by_key_implILNS1_25lookback_scan_determinismE0ELb0ES3_N6thrust23THRUST_200600_302600_NS6detail15normal_iteratorINS9_10device_ptrIiEEEESE_SE_iNS9_4plusIvEENS9_8equal_toIvEEiEE10hipError_tPvRmT2_T3_T4_T5_mT6_T7_P12ihipStream_tbENKUlT_T0_E_clISt17integral_constantIbLb1EESZ_EEDaSU_SV_EUlSU_E_NS1_11comp_targetILNS1_3genE5ELNS1_11target_archE942ELNS1_3gpuE9ELNS1_3repE0EEENS1_30default_config_static_selectorELNS0_4arch9wavefront6targetE0EEEvT1_ ; -- Begin function _ZN7rocprim17ROCPRIM_400000_NS6detail17trampoline_kernelINS0_14default_configENS1_27scan_by_key_config_selectorIiiEEZZNS1_16scan_by_key_implILNS1_25lookback_scan_determinismE0ELb0ES3_N6thrust23THRUST_200600_302600_NS6detail15normal_iteratorINS9_10device_ptrIiEEEESE_SE_iNS9_4plusIvEENS9_8equal_toIvEEiEE10hipError_tPvRmT2_T3_T4_T5_mT6_T7_P12ihipStream_tbENKUlT_T0_E_clISt17integral_constantIbLb1EESZ_EEDaSU_SV_EUlSU_E_NS1_11comp_targetILNS1_3genE5ELNS1_11target_archE942ELNS1_3gpuE9ELNS1_3repE0EEENS1_30default_config_static_selectorELNS0_4arch9wavefront6targetE0EEEvT1_
	.globl	_ZN7rocprim17ROCPRIM_400000_NS6detail17trampoline_kernelINS0_14default_configENS1_27scan_by_key_config_selectorIiiEEZZNS1_16scan_by_key_implILNS1_25lookback_scan_determinismE0ELb0ES3_N6thrust23THRUST_200600_302600_NS6detail15normal_iteratorINS9_10device_ptrIiEEEESE_SE_iNS9_4plusIvEENS9_8equal_toIvEEiEE10hipError_tPvRmT2_T3_T4_T5_mT6_T7_P12ihipStream_tbENKUlT_T0_E_clISt17integral_constantIbLb1EESZ_EEDaSU_SV_EUlSU_E_NS1_11comp_targetILNS1_3genE5ELNS1_11target_archE942ELNS1_3gpuE9ELNS1_3repE0EEENS1_30default_config_static_selectorELNS0_4arch9wavefront6targetE0EEEvT1_
	.p2align	8
	.type	_ZN7rocprim17ROCPRIM_400000_NS6detail17trampoline_kernelINS0_14default_configENS1_27scan_by_key_config_selectorIiiEEZZNS1_16scan_by_key_implILNS1_25lookback_scan_determinismE0ELb0ES3_N6thrust23THRUST_200600_302600_NS6detail15normal_iteratorINS9_10device_ptrIiEEEESE_SE_iNS9_4plusIvEENS9_8equal_toIvEEiEE10hipError_tPvRmT2_T3_T4_T5_mT6_T7_P12ihipStream_tbENKUlT_T0_E_clISt17integral_constantIbLb1EESZ_EEDaSU_SV_EUlSU_E_NS1_11comp_targetILNS1_3genE5ELNS1_11target_archE942ELNS1_3gpuE9ELNS1_3repE0EEENS1_30default_config_static_selectorELNS0_4arch9wavefront6targetE0EEEvT1_,@function
_ZN7rocprim17ROCPRIM_400000_NS6detail17trampoline_kernelINS0_14default_configENS1_27scan_by_key_config_selectorIiiEEZZNS1_16scan_by_key_implILNS1_25lookback_scan_determinismE0ELb0ES3_N6thrust23THRUST_200600_302600_NS6detail15normal_iteratorINS9_10device_ptrIiEEEESE_SE_iNS9_4plusIvEENS9_8equal_toIvEEiEE10hipError_tPvRmT2_T3_T4_T5_mT6_T7_P12ihipStream_tbENKUlT_T0_E_clISt17integral_constantIbLb1EESZ_EEDaSU_SV_EUlSU_E_NS1_11comp_targetILNS1_3genE5ELNS1_11target_archE942ELNS1_3gpuE9ELNS1_3repE0EEENS1_30default_config_static_selectorELNS0_4arch9wavefront6targetE0EEEvT1_: ; @_ZN7rocprim17ROCPRIM_400000_NS6detail17trampoline_kernelINS0_14default_configENS1_27scan_by_key_config_selectorIiiEEZZNS1_16scan_by_key_implILNS1_25lookback_scan_determinismE0ELb0ES3_N6thrust23THRUST_200600_302600_NS6detail15normal_iteratorINS9_10device_ptrIiEEEESE_SE_iNS9_4plusIvEENS9_8equal_toIvEEiEE10hipError_tPvRmT2_T3_T4_T5_mT6_T7_P12ihipStream_tbENKUlT_T0_E_clISt17integral_constantIbLb1EESZ_EEDaSU_SV_EUlSU_E_NS1_11comp_targetILNS1_3genE5ELNS1_11target_archE942ELNS1_3gpuE9ELNS1_3repE0EEENS1_30default_config_static_selectorELNS0_4arch9wavefront6targetE0EEEvT1_
; %bb.0:
	.section	.rodata,"a",@progbits
	.p2align	6, 0x0
	.amdhsa_kernel _ZN7rocprim17ROCPRIM_400000_NS6detail17trampoline_kernelINS0_14default_configENS1_27scan_by_key_config_selectorIiiEEZZNS1_16scan_by_key_implILNS1_25lookback_scan_determinismE0ELb0ES3_N6thrust23THRUST_200600_302600_NS6detail15normal_iteratorINS9_10device_ptrIiEEEESE_SE_iNS9_4plusIvEENS9_8equal_toIvEEiEE10hipError_tPvRmT2_T3_T4_T5_mT6_T7_P12ihipStream_tbENKUlT_T0_E_clISt17integral_constantIbLb1EESZ_EEDaSU_SV_EUlSU_E_NS1_11comp_targetILNS1_3genE5ELNS1_11target_archE942ELNS1_3gpuE9ELNS1_3repE0EEENS1_30default_config_static_selectorELNS0_4arch9wavefront6targetE0EEEvT1_
		.amdhsa_group_segment_fixed_size 0
		.amdhsa_private_segment_fixed_size 0
		.amdhsa_kernarg_size 112
		.amdhsa_user_sgpr_count 2
		.amdhsa_user_sgpr_dispatch_ptr 0
		.amdhsa_user_sgpr_queue_ptr 0
		.amdhsa_user_sgpr_kernarg_segment_ptr 1
		.amdhsa_user_sgpr_dispatch_id 0
		.amdhsa_user_sgpr_kernarg_preload_length 0
		.amdhsa_user_sgpr_kernarg_preload_offset 0
		.amdhsa_user_sgpr_private_segment_size 0
		.amdhsa_wavefront_size32 1
		.amdhsa_uses_dynamic_stack 0
		.amdhsa_enable_private_segment 0
		.amdhsa_system_sgpr_workgroup_id_x 1
		.amdhsa_system_sgpr_workgroup_id_y 0
		.amdhsa_system_sgpr_workgroup_id_z 0
		.amdhsa_system_sgpr_workgroup_info 0
		.amdhsa_system_vgpr_workitem_id 0
		.amdhsa_next_free_vgpr 1
		.amdhsa_next_free_sgpr 1
		.amdhsa_named_barrier_count 0
		.amdhsa_reserve_vcc 0
		.amdhsa_float_round_mode_32 0
		.amdhsa_float_round_mode_16_64 0
		.amdhsa_float_denorm_mode_32 3
		.amdhsa_float_denorm_mode_16_64 3
		.amdhsa_fp16_overflow 0
		.amdhsa_memory_ordered 1
		.amdhsa_forward_progress 1
		.amdhsa_inst_pref_size 0
		.amdhsa_round_robin_scheduling 0
		.amdhsa_exception_fp_ieee_invalid_op 0
		.amdhsa_exception_fp_denorm_src 0
		.amdhsa_exception_fp_ieee_div_zero 0
		.amdhsa_exception_fp_ieee_overflow 0
		.amdhsa_exception_fp_ieee_underflow 0
		.amdhsa_exception_fp_ieee_inexact 0
		.amdhsa_exception_int_div_zero 0
	.end_amdhsa_kernel
	.section	.text._ZN7rocprim17ROCPRIM_400000_NS6detail17trampoline_kernelINS0_14default_configENS1_27scan_by_key_config_selectorIiiEEZZNS1_16scan_by_key_implILNS1_25lookback_scan_determinismE0ELb0ES3_N6thrust23THRUST_200600_302600_NS6detail15normal_iteratorINS9_10device_ptrIiEEEESE_SE_iNS9_4plusIvEENS9_8equal_toIvEEiEE10hipError_tPvRmT2_T3_T4_T5_mT6_T7_P12ihipStream_tbENKUlT_T0_E_clISt17integral_constantIbLb1EESZ_EEDaSU_SV_EUlSU_E_NS1_11comp_targetILNS1_3genE5ELNS1_11target_archE942ELNS1_3gpuE9ELNS1_3repE0EEENS1_30default_config_static_selectorELNS0_4arch9wavefront6targetE0EEEvT1_,"axG",@progbits,_ZN7rocprim17ROCPRIM_400000_NS6detail17trampoline_kernelINS0_14default_configENS1_27scan_by_key_config_selectorIiiEEZZNS1_16scan_by_key_implILNS1_25lookback_scan_determinismE0ELb0ES3_N6thrust23THRUST_200600_302600_NS6detail15normal_iteratorINS9_10device_ptrIiEEEESE_SE_iNS9_4plusIvEENS9_8equal_toIvEEiEE10hipError_tPvRmT2_T3_T4_T5_mT6_T7_P12ihipStream_tbENKUlT_T0_E_clISt17integral_constantIbLb1EESZ_EEDaSU_SV_EUlSU_E_NS1_11comp_targetILNS1_3genE5ELNS1_11target_archE942ELNS1_3gpuE9ELNS1_3repE0EEENS1_30default_config_static_selectorELNS0_4arch9wavefront6targetE0EEEvT1_,comdat
.Lfunc_end135:
	.size	_ZN7rocprim17ROCPRIM_400000_NS6detail17trampoline_kernelINS0_14default_configENS1_27scan_by_key_config_selectorIiiEEZZNS1_16scan_by_key_implILNS1_25lookback_scan_determinismE0ELb0ES3_N6thrust23THRUST_200600_302600_NS6detail15normal_iteratorINS9_10device_ptrIiEEEESE_SE_iNS9_4plusIvEENS9_8equal_toIvEEiEE10hipError_tPvRmT2_T3_T4_T5_mT6_T7_P12ihipStream_tbENKUlT_T0_E_clISt17integral_constantIbLb1EESZ_EEDaSU_SV_EUlSU_E_NS1_11comp_targetILNS1_3genE5ELNS1_11target_archE942ELNS1_3gpuE9ELNS1_3repE0EEENS1_30default_config_static_selectorELNS0_4arch9wavefront6targetE0EEEvT1_, .Lfunc_end135-_ZN7rocprim17ROCPRIM_400000_NS6detail17trampoline_kernelINS0_14default_configENS1_27scan_by_key_config_selectorIiiEEZZNS1_16scan_by_key_implILNS1_25lookback_scan_determinismE0ELb0ES3_N6thrust23THRUST_200600_302600_NS6detail15normal_iteratorINS9_10device_ptrIiEEEESE_SE_iNS9_4plusIvEENS9_8equal_toIvEEiEE10hipError_tPvRmT2_T3_T4_T5_mT6_T7_P12ihipStream_tbENKUlT_T0_E_clISt17integral_constantIbLb1EESZ_EEDaSU_SV_EUlSU_E_NS1_11comp_targetILNS1_3genE5ELNS1_11target_archE942ELNS1_3gpuE9ELNS1_3repE0EEENS1_30default_config_static_selectorELNS0_4arch9wavefront6targetE0EEEvT1_
                                        ; -- End function
	.set _ZN7rocprim17ROCPRIM_400000_NS6detail17trampoline_kernelINS0_14default_configENS1_27scan_by_key_config_selectorIiiEEZZNS1_16scan_by_key_implILNS1_25lookback_scan_determinismE0ELb0ES3_N6thrust23THRUST_200600_302600_NS6detail15normal_iteratorINS9_10device_ptrIiEEEESE_SE_iNS9_4plusIvEENS9_8equal_toIvEEiEE10hipError_tPvRmT2_T3_T4_T5_mT6_T7_P12ihipStream_tbENKUlT_T0_E_clISt17integral_constantIbLb1EESZ_EEDaSU_SV_EUlSU_E_NS1_11comp_targetILNS1_3genE5ELNS1_11target_archE942ELNS1_3gpuE9ELNS1_3repE0EEENS1_30default_config_static_selectorELNS0_4arch9wavefront6targetE0EEEvT1_.num_vgpr, 0
	.set _ZN7rocprim17ROCPRIM_400000_NS6detail17trampoline_kernelINS0_14default_configENS1_27scan_by_key_config_selectorIiiEEZZNS1_16scan_by_key_implILNS1_25lookback_scan_determinismE0ELb0ES3_N6thrust23THRUST_200600_302600_NS6detail15normal_iteratorINS9_10device_ptrIiEEEESE_SE_iNS9_4plusIvEENS9_8equal_toIvEEiEE10hipError_tPvRmT2_T3_T4_T5_mT6_T7_P12ihipStream_tbENKUlT_T0_E_clISt17integral_constantIbLb1EESZ_EEDaSU_SV_EUlSU_E_NS1_11comp_targetILNS1_3genE5ELNS1_11target_archE942ELNS1_3gpuE9ELNS1_3repE0EEENS1_30default_config_static_selectorELNS0_4arch9wavefront6targetE0EEEvT1_.num_agpr, 0
	.set _ZN7rocprim17ROCPRIM_400000_NS6detail17trampoline_kernelINS0_14default_configENS1_27scan_by_key_config_selectorIiiEEZZNS1_16scan_by_key_implILNS1_25lookback_scan_determinismE0ELb0ES3_N6thrust23THRUST_200600_302600_NS6detail15normal_iteratorINS9_10device_ptrIiEEEESE_SE_iNS9_4plusIvEENS9_8equal_toIvEEiEE10hipError_tPvRmT2_T3_T4_T5_mT6_T7_P12ihipStream_tbENKUlT_T0_E_clISt17integral_constantIbLb1EESZ_EEDaSU_SV_EUlSU_E_NS1_11comp_targetILNS1_3genE5ELNS1_11target_archE942ELNS1_3gpuE9ELNS1_3repE0EEENS1_30default_config_static_selectorELNS0_4arch9wavefront6targetE0EEEvT1_.numbered_sgpr, 0
	.set _ZN7rocprim17ROCPRIM_400000_NS6detail17trampoline_kernelINS0_14default_configENS1_27scan_by_key_config_selectorIiiEEZZNS1_16scan_by_key_implILNS1_25lookback_scan_determinismE0ELb0ES3_N6thrust23THRUST_200600_302600_NS6detail15normal_iteratorINS9_10device_ptrIiEEEESE_SE_iNS9_4plusIvEENS9_8equal_toIvEEiEE10hipError_tPvRmT2_T3_T4_T5_mT6_T7_P12ihipStream_tbENKUlT_T0_E_clISt17integral_constantIbLb1EESZ_EEDaSU_SV_EUlSU_E_NS1_11comp_targetILNS1_3genE5ELNS1_11target_archE942ELNS1_3gpuE9ELNS1_3repE0EEENS1_30default_config_static_selectorELNS0_4arch9wavefront6targetE0EEEvT1_.num_named_barrier, 0
	.set _ZN7rocprim17ROCPRIM_400000_NS6detail17trampoline_kernelINS0_14default_configENS1_27scan_by_key_config_selectorIiiEEZZNS1_16scan_by_key_implILNS1_25lookback_scan_determinismE0ELb0ES3_N6thrust23THRUST_200600_302600_NS6detail15normal_iteratorINS9_10device_ptrIiEEEESE_SE_iNS9_4plusIvEENS9_8equal_toIvEEiEE10hipError_tPvRmT2_T3_T4_T5_mT6_T7_P12ihipStream_tbENKUlT_T0_E_clISt17integral_constantIbLb1EESZ_EEDaSU_SV_EUlSU_E_NS1_11comp_targetILNS1_3genE5ELNS1_11target_archE942ELNS1_3gpuE9ELNS1_3repE0EEENS1_30default_config_static_selectorELNS0_4arch9wavefront6targetE0EEEvT1_.private_seg_size, 0
	.set _ZN7rocprim17ROCPRIM_400000_NS6detail17trampoline_kernelINS0_14default_configENS1_27scan_by_key_config_selectorIiiEEZZNS1_16scan_by_key_implILNS1_25lookback_scan_determinismE0ELb0ES3_N6thrust23THRUST_200600_302600_NS6detail15normal_iteratorINS9_10device_ptrIiEEEESE_SE_iNS9_4plusIvEENS9_8equal_toIvEEiEE10hipError_tPvRmT2_T3_T4_T5_mT6_T7_P12ihipStream_tbENKUlT_T0_E_clISt17integral_constantIbLb1EESZ_EEDaSU_SV_EUlSU_E_NS1_11comp_targetILNS1_3genE5ELNS1_11target_archE942ELNS1_3gpuE9ELNS1_3repE0EEENS1_30default_config_static_selectorELNS0_4arch9wavefront6targetE0EEEvT1_.uses_vcc, 0
	.set _ZN7rocprim17ROCPRIM_400000_NS6detail17trampoline_kernelINS0_14default_configENS1_27scan_by_key_config_selectorIiiEEZZNS1_16scan_by_key_implILNS1_25lookback_scan_determinismE0ELb0ES3_N6thrust23THRUST_200600_302600_NS6detail15normal_iteratorINS9_10device_ptrIiEEEESE_SE_iNS9_4plusIvEENS9_8equal_toIvEEiEE10hipError_tPvRmT2_T3_T4_T5_mT6_T7_P12ihipStream_tbENKUlT_T0_E_clISt17integral_constantIbLb1EESZ_EEDaSU_SV_EUlSU_E_NS1_11comp_targetILNS1_3genE5ELNS1_11target_archE942ELNS1_3gpuE9ELNS1_3repE0EEENS1_30default_config_static_selectorELNS0_4arch9wavefront6targetE0EEEvT1_.uses_flat_scratch, 0
	.set _ZN7rocprim17ROCPRIM_400000_NS6detail17trampoline_kernelINS0_14default_configENS1_27scan_by_key_config_selectorIiiEEZZNS1_16scan_by_key_implILNS1_25lookback_scan_determinismE0ELb0ES3_N6thrust23THRUST_200600_302600_NS6detail15normal_iteratorINS9_10device_ptrIiEEEESE_SE_iNS9_4plusIvEENS9_8equal_toIvEEiEE10hipError_tPvRmT2_T3_T4_T5_mT6_T7_P12ihipStream_tbENKUlT_T0_E_clISt17integral_constantIbLb1EESZ_EEDaSU_SV_EUlSU_E_NS1_11comp_targetILNS1_3genE5ELNS1_11target_archE942ELNS1_3gpuE9ELNS1_3repE0EEENS1_30default_config_static_selectorELNS0_4arch9wavefront6targetE0EEEvT1_.has_dyn_sized_stack, 0
	.set _ZN7rocprim17ROCPRIM_400000_NS6detail17trampoline_kernelINS0_14default_configENS1_27scan_by_key_config_selectorIiiEEZZNS1_16scan_by_key_implILNS1_25lookback_scan_determinismE0ELb0ES3_N6thrust23THRUST_200600_302600_NS6detail15normal_iteratorINS9_10device_ptrIiEEEESE_SE_iNS9_4plusIvEENS9_8equal_toIvEEiEE10hipError_tPvRmT2_T3_T4_T5_mT6_T7_P12ihipStream_tbENKUlT_T0_E_clISt17integral_constantIbLb1EESZ_EEDaSU_SV_EUlSU_E_NS1_11comp_targetILNS1_3genE5ELNS1_11target_archE942ELNS1_3gpuE9ELNS1_3repE0EEENS1_30default_config_static_selectorELNS0_4arch9wavefront6targetE0EEEvT1_.has_recursion, 0
	.set _ZN7rocprim17ROCPRIM_400000_NS6detail17trampoline_kernelINS0_14default_configENS1_27scan_by_key_config_selectorIiiEEZZNS1_16scan_by_key_implILNS1_25lookback_scan_determinismE0ELb0ES3_N6thrust23THRUST_200600_302600_NS6detail15normal_iteratorINS9_10device_ptrIiEEEESE_SE_iNS9_4plusIvEENS9_8equal_toIvEEiEE10hipError_tPvRmT2_T3_T4_T5_mT6_T7_P12ihipStream_tbENKUlT_T0_E_clISt17integral_constantIbLb1EESZ_EEDaSU_SV_EUlSU_E_NS1_11comp_targetILNS1_3genE5ELNS1_11target_archE942ELNS1_3gpuE9ELNS1_3repE0EEENS1_30default_config_static_selectorELNS0_4arch9wavefront6targetE0EEEvT1_.has_indirect_call, 0
	.section	.AMDGPU.csdata,"",@progbits
; Kernel info:
; codeLenInByte = 0
; TotalNumSgprs: 0
; NumVgprs: 0
; ScratchSize: 0
; MemoryBound: 0
; FloatMode: 240
; IeeeMode: 1
; LDSByteSize: 0 bytes/workgroup (compile time only)
; SGPRBlocks: 0
; VGPRBlocks: 0
; NumSGPRsForWavesPerEU: 1
; NumVGPRsForWavesPerEU: 1
; NamedBarCnt: 0
; Occupancy: 16
; WaveLimiterHint : 0
; COMPUTE_PGM_RSRC2:SCRATCH_EN: 0
; COMPUTE_PGM_RSRC2:USER_SGPR: 2
; COMPUTE_PGM_RSRC2:TRAP_HANDLER: 0
; COMPUTE_PGM_RSRC2:TGID_X_EN: 1
; COMPUTE_PGM_RSRC2:TGID_Y_EN: 0
; COMPUTE_PGM_RSRC2:TGID_Z_EN: 0
; COMPUTE_PGM_RSRC2:TIDIG_COMP_CNT: 0
	.section	.text._ZN7rocprim17ROCPRIM_400000_NS6detail17trampoline_kernelINS0_14default_configENS1_27scan_by_key_config_selectorIiiEEZZNS1_16scan_by_key_implILNS1_25lookback_scan_determinismE0ELb0ES3_N6thrust23THRUST_200600_302600_NS6detail15normal_iteratorINS9_10device_ptrIiEEEESE_SE_iNS9_4plusIvEENS9_8equal_toIvEEiEE10hipError_tPvRmT2_T3_T4_T5_mT6_T7_P12ihipStream_tbENKUlT_T0_E_clISt17integral_constantIbLb1EESZ_EEDaSU_SV_EUlSU_E_NS1_11comp_targetILNS1_3genE4ELNS1_11target_archE910ELNS1_3gpuE8ELNS1_3repE0EEENS1_30default_config_static_selectorELNS0_4arch9wavefront6targetE0EEEvT1_,"axG",@progbits,_ZN7rocprim17ROCPRIM_400000_NS6detail17trampoline_kernelINS0_14default_configENS1_27scan_by_key_config_selectorIiiEEZZNS1_16scan_by_key_implILNS1_25lookback_scan_determinismE0ELb0ES3_N6thrust23THRUST_200600_302600_NS6detail15normal_iteratorINS9_10device_ptrIiEEEESE_SE_iNS9_4plusIvEENS9_8equal_toIvEEiEE10hipError_tPvRmT2_T3_T4_T5_mT6_T7_P12ihipStream_tbENKUlT_T0_E_clISt17integral_constantIbLb1EESZ_EEDaSU_SV_EUlSU_E_NS1_11comp_targetILNS1_3genE4ELNS1_11target_archE910ELNS1_3gpuE8ELNS1_3repE0EEENS1_30default_config_static_selectorELNS0_4arch9wavefront6targetE0EEEvT1_,comdat
	.protected	_ZN7rocprim17ROCPRIM_400000_NS6detail17trampoline_kernelINS0_14default_configENS1_27scan_by_key_config_selectorIiiEEZZNS1_16scan_by_key_implILNS1_25lookback_scan_determinismE0ELb0ES3_N6thrust23THRUST_200600_302600_NS6detail15normal_iteratorINS9_10device_ptrIiEEEESE_SE_iNS9_4plusIvEENS9_8equal_toIvEEiEE10hipError_tPvRmT2_T3_T4_T5_mT6_T7_P12ihipStream_tbENKUlT_T0_E_clISt17integral_constantIbLb1EESZ_EEDaSU_SV_EUlSU_E_NS1_11comp_targetILNS1_3genE4ELNS1_11target_archE910ELNS1_3gpuE8ELNS1_3repE0EEENS1_30default_config_static_selectorELNS0_4arch9wavefront6targetE0EEEvT1_ ; -- Begin function _ZN7rocprim17ROCPRIM_400000_NS6detail17trampoline_kernelINS0_14default_configENS1_27scan_by_key_config_selectorIiiEEZZNS1_16scan_by_key_implILNS1_25lookback_scan_determinismE0ELb0ES3_N6thrust23THRUST_200600_302600_NS6detail15normal_iteratorINS9_10device_ptrIiEEEESE_SE_iNS9_4plusIvEENS9_8equal_toIvEEiEE10hipError_tPvRmT2_T3_T4_T5_mT6_T7_P12ihipStream_tbENKUlT_T0_E_clISt17integral_constantIbLb1EESZ_EEDaSU_SV_EUlSU_E_NS1_11comp_targetILNS1_3genE4ELNS1_11target_archE910ELNS1_3gpuE8ELNS1_3repE0EEENS1_30default_config_static_selectorELNS0_4arch9wavefront6targetE0EEEvT1_
	.globl	_ZN7rocprim17ROCPRIM_400000_NS6detail17trampoline_kernelINS0_14default_configENS1_27scan_by_key_config_selectorIiiEEZZNS1_16scan_by_key_implILNS1_25lookback_scan_determinismE0ELb0ES3_N6thrust23THRUST_200600_302600_NS6detail15normal_iteratorINS9_10device_ptrIiEEEESE_SE_iNS9_4plusIvEENS9_8equal_toIvEEiEE10hipError_tPvRmT2_T3_T4_T5_mT6_T7_P12ihipStream_tbENKUlT_T0_E_clISt17integral_constantIbLb1EESZ_EEDaSU_SV_EUlSU_E_NS1_11comp_targetILNS1_3genE4ELNS1_11target_archE910ELNS1_3gpuE8ELNS1_3repE0EEENS1_30default_config_static_selectorELNS0_4arch9wavefront6targetE0EEEvT1_
	.p2align	8
	.type	_ZN7rocprim17ROCPRIM_400000_NS6detail17trampoline_kernelINS0_14default_configENS1_27scan_by_key_config_selectorIiiEEZZNS1_16scan_by_key_implILNS1_25lookback_scan_determinismE0ELb0ES3_N6thrust23THRUST_200600_302600_NS6detail15normal_iteratorINS9_10device_ptrIiEEEESE_SE_iNS9_4plusIvEENS9_8equal_toIvEEiEE10hipError_tPvRmT2_T3_T4_T5_mT6_T7_P12ihipStream_tbENKUlT_T0_E_clISt17integral_constantIbLb1EESZ_EEDaSU_SV_EUlSU_E_NS1_11comp_targetILNS1_3genE4ELNS1_11target_archE910ELNS1_3gpuE8ELNS1_3repE0EEENS1_30default_config_static_selectorELNS0_4arch9wavefront6targetE0EEEvT1_,@function
_ZN7rocprim17ROCPRIM_400000_NS6detail17trampoline_kernelINS0_14default_configENS1_27scan_by_key_config_selectorIiiEEZZNS1_16scan_by_key_implILNS1_25lookback_scan_determinismE0ELb0ES3_N6thrust23THRUST_200600_302600_NS6detail15normal_iteratorINS9_10device_ptrIiEEEESE_SE_iNS9_4plusIvEENS9_8equal_toIvEEiEE10hipError_tPvRmT2_T3_T4_T5_mT6_T7_P12ihipStream_tbENKUlT_T0_E_clISt17integral_constantIbLb1EESZ_EEDaSU_SV_EUlSU_E_NS1_11comp_targetILNS1_3genE4ELNS1_11target_archE910ELNS1_3gpuE8ELNS1_3repE0EEENS1_30default_config_static_selectorELNS0_4arch9wavefront6targetE0EEEvT1_: ; @_ZN7rocprim17ROCPRIM_400000_NS6detail17trampoline_kernelINS0_14default_configENS1_27scan_by_key_config_selectorIiiEEZZNS1_16scan_by_key_implILNS1_25lookback_scan_determinismE0ELb0ES3_N6thrust23THRUST_200600_302600_NS6detail15normal_iteratorINS9_10device_ptrIiEEEESE_SE_iNS9_4plusIvEENS9_8equal_toIvEEiEE10hipError_tPvRmT2_T3_T4_T5_mT6_T7_P12ihipStream_tbENKUlT_T0_E_clISt17integral_constantIbLb1EESZ_EEDaSU_SV_EUlSU_E_NS1_11comp_targetILNS1_3genE4ELNS1_11target_archE910ELNS1_3gpuE8ELNS1_3repE0EEENS1_30default_config_static_selectorELNS0_4arch9wavefront6targetE0EEEvT1_
; %bb.0:
	.section	.rodata,"a",@progbits
	.p2align	6, 0x0
	.amdhsa_kernel _ZN7rocprim17ROCPRIM_400000_NS6detail17trampoline_kernelINS0_14default_configENS1_27scan_by_key_config_selectorIiiEEZZNS1_16scan_by_key_implILNS1_25lookback_scan_determinismE0ELb0ES3_N6thrust23THRUST_200600_302600_NS6detail15normal_iteratorINS9_10device_ptrIiEEEESE_SE_iNS9_4plusIvEENS9_8equal_toIvEEiEE10hipError_tPvRmT2_T3_T4_T5_mT6_T7_P12ihipStream_tbENKUlT_T0_E_clISt17integral_constantIbLb1EESZ_EEDaSU_SV_EUlSU_E_NS1_11comp_targetILNS1_3genE4ELNS1_11target_archE910ELNS1_3gpuE8ELNS1_3repE0EEENS1_30default_config_static_selectorELNS0_4arch9wavefront6targetE0EEEvT1_
		.amdhsa_group_segment_fixed_size 0
		.amdhsa_private_segment_fixed_size 0
		.amdhsa_kernarg_size 112
		.amdhsa_user_sgpr_count 2
		.amdhsa_user_sgpr_dispatch_ptr 0
		.amdhsa_user_sgpr_queue_ptr 0
		.amdhsa_user_sgpr_kernarg_segment_ptr 1
		.amdhsa_user_sgpr_dispatch_id 0
		.amdhsa_user_sgpr_kernarg_preload_length 0
		.amdhsa_user_sgpr_kernarg_preload_offset 0
		.amdhsa_user_sgpr_private_segment_size 0
		.amdhsa_wavefront_size32 1
		.amdhsa_uses_dynamic_stack 0
		.amdhsa_enable_private_segment 0
		.amdhsa_system_sgpr_workgroup_id_x 1
		.amdhsa_system_sgpr_workgroup_id_y 0
		.amdhsa_system_sgpr_workgroup_id_z 0
		.amdhsa_system_sgpr_workgroup_info 0
		.amdhsa_system_vgpr_workitem_id 0
		.amdhsa_next_free_vgpr 1
		.amdhsa_next_free_sgpr 1
		.amdhsa_named_barrier_count 0
		.amdhsa_reserve_vcc 0
		.amdhsa_float_round_mode_32 0
		.amdhsa_float_round_mode_16_64 0
		.amdhsa_float_denorm_mode_32 3
		.amdhsa_float_denorm_mode_16_64 3
		.amdhsa_fp16_overflow 0
		.amdhsa_memory_ordered 1
		.amdhsa_forward_progress 1
		.amdhsa_inst_pref_size 0
		.amdhsa_round_robin_scheduling 0
		.amdhsa_exception_fp_ieee_invalid_op 0
		.amdhsa_exception_fp_denorm_src 0
		.amdhsa_exception_fp_ieee_div_zero 0
		.amdhsa_exception_fp_ieee_overflow 0
		.amdhsa_exception_fp_ieee_underflow 0
		.amdhsa_exception_fp_ieee_inexact 0
		.amdhsa_exception_int_div_zero 0
	.end_amdhsa_kernel
	.section	.text._ZN7rocprim17ROCPRIM_400000_NS6detail17trampoline_kernelINS0_14default_configENS1_27scan_by_key_config_selectorIiiEEZZNS1_16scan_by_key_implILNS1_25lookback_scan_determinismE0ELb0ES3_N6thrust23THRUST_200600_302600_NS6detail15normal_iteratorINS9_10device_ptrIiEEEESE_SE_iNS9_4plusIvEENS9_8equal_toIvEEiEE10hipError_tPvRmT2_T3_T4_T5_mT6_T7_P12ihipStream_tbENKUlT_T0_E_clISt17integral_constantIbLb1EESZ_EEDaSU_SV_EUlSU_E_NS1_11comp_targetILNS1_3genE4ELNS1_11target_archE910ELNS1_3gpuE8ELNS1_3repE0EEENS1_30default_config_static_selectorELNS0_4arch9wavefront6targetE0EEEvT1_,"axG",@progbits,_ZN7rocprim17ROCPRIM_400000_NS6detail17trampoline_kernelINS0_14default_configENS1_27scan_by_key_config_selectorIiiEEZZNS1_16scan_by_key_implILNS1_25lookback_scan_determinismE0ELb0ES3_N6thrust23THRUST_200600_302600_NS6detail15normal_iteratorINS9_10device_ptrIiEEEESE_SE_iNS9_4plusIvEENS9_8equal_toIvEEiEE10hipError_tPvRmT2_T3_T4_T5_mT6_T7_P12ihipStream_tbENKUlT_T0_E_clISt17integral_constantIbLb1EESZ_EEDaSU_SV_EUlSU_E_NS1_11comp_targetILNS1_3genE4ELNS1_11target_archE910ELNS1_3gpuE8ELNS1_3repE0EEENS1_30default_config_static_selectorELNS0_4arch9wavefront6targetE0EEEvT1_,comdat
.Lfunc_end136:
	.size	_ZN7rocprim17ROCPRIM_400000_NS6detail17trampoline_kernelINS0_14default_configENS1_27scan_by_key_config_selectorIiiEEZZNS1_16scan_by_key_implILNS1_25lookback_scan_determinismE0ELb0ES3_N6thrust23THRUST_200600_302600_NS6detail15normal_iteratorINS9_10device_ptrIiEEEESE_SE_iNS9_4plusIvEENS9_8equal_toIvEEiEE10hipError_tPvRmT2_T3_T4_T5_mT6_T7_P12ihipStream_tbENKUlT_T0_E_clISt17integral_constantIbLb1EESZ_EEDaSU_SV_EUlSU_E_NS1_11comp_targetILNS1_3genE4ELNS1_11target_archE910ELNS1_3gpuE8ELNS1_3repE0EEENS1_30default_config_static_selectorELNS0_4arch9wavefront6targetE0EEEvT1_, .Lfunc_end136-_ZN7rocprim17ROCPRIM_400000_NS6detail17trampoline_kernelINS0_14default_configENS1_27scan_by_key_config_selectorIiiEEZZNS1_16scan_by_key_implILNS1_25lookback_scan_determinismE0ELb0ES3_N6thrust23THRUST_200600_302600_NS6detail15normal_iteratorINS9_10device_ptrIiEEEESE_SE_iNS9_4plusIvEENS9_8equal_toIvEEiEE10hipError_tPvRmT2_T3_T4_T5_mT6_T7_P12ihipStream_tbENKUlT_T0_E_clISt17integral_constantIbLb1EESZ_EEDaSU_SV_EUlSU_E_NS1_11comp_targetILNS1_3genE4ELNS1_11target_archE910ELNS1_3gpuE8ELNS1_3repE0EEENS1_30default_config_static_selectorELNS0_4arch9wavefront6targetE0EEEvT1_
                                        ; -- End function
	.set _ZN7rocprim17ROCPRIM_400000_NS6detail17trampoline_kernelINS0_14default_configENS1_27scan_by_key_config_selectorIiiEEZZNS1_16scan_by_key_implILNS1_25lookback_scan_determinismE0ELb0ES3_N6thrust23THRUST_200600_302600_NS6detail15normal_iteratorINS9_10device_ptrIiEEEESE_SE_iNS9_4plusIvEENS9_8equal_toIvEEiEE10hipError_tPvRmT2_T3_T4_T5_mT6_T7_P12ihipStream_tbENKUlT_T0_E_clISt17integral_constantIbLb1EESZ_EEDaSU_SV_EUlSU_E_NS1_11comp_targetILNS1_3genE4ELNS1_11target_archE910ELNS1_3gpuE8ELNS1_3repE0EEENS1_30default_config_static_selectorELNS0_4arch9wavefront6targetE0EEEvT1_.num_vgpr, 0
	.set _ZN7rocprim17ROCPRIM_400000_NS6detail17trampoline_kernelINS0_14default_configENS1_27scan_by_key_config_selectorIiiEEZZNS1_16scan_by_key_implILNS1_25lookback_scan_determinismE0ELb0ES3_N6thrust23THRUST_200600_302600_NS6detail15normal_iteratorINS9_10device_ptrIiEEEESE_SE_iNS9_4plusIvEENS9_8equal_toIvEEiEE10hipError_tPvRmT2_T3_T4_T5_mT6_T7_P12ihipStream_tbENKUlT_T0_E_clISt17integral_constantIbLb1EESZ_EEDaSU_SV_EUlSU_E_NS1_11comp_targetILNS1_3genE4ELNS1_11target_archE910ELNS1_3gpuE8ELNS1_3repE0EEENS1_30default_config_static_selectorELNS0_4arch9wavefront6targetE0EEEvT1_.num_agpr, 0
	.set _ZN7rocprim17ROCPRIM_400000_NS6detail17trampoline_kernelINS0_14default_configENS1_27scan_by_key_config_selectorIiiEEZZNS1_16scan_by_key_implILNS1_25lookback_scan_determinismE0ELb0ES3_N6thrust23THRUST_200600_302600_NS6detail15normal_iteratorINS9_10device_ptrIiEEEESE_SE_iNS9_4plusIvEENS9_8equal_toIvEEiEE10hipError_tPvRmT2_T3_T4_T5_mT6_T7_P12ihipStream_tbENKUlT_T0_E_clISt17integral_constantIbLb1EESZ_EEDaSU_SV_EUlSU_E_NS1_11comp_targetILNS1_3genE4ELNS1_11target_archE910ELNS1_3gpuE8ELNS1_3repE0EEENS1_30default_config_static_selectorELNS0_4arch9wavefront6targetE0EEEvT1_.numbered_sgpr, 0
	.set _ZN7rocprim17ROCPRIM_400000_NS6detail17trampoline_kernelINS0_14default_configENS1_27scan_by_key_config_selectorIiiEEZZNS1_16scan_by_key_implILNS1_25lookback_scan_determinismE0ELb0ES3_N6thrust23THRUST_200600_302600_NS6detail15normal_iteratorINS9_10device_ptrIiEEEESE_SE_iNS9_4plusIvEENS9_8equal_toIvEEiEE10hipError_tPvRmT2_T3_T4_T5_mT6_T7_P12ihipStream_tbENKUlT_T0_E_clISt17integral_constantIbLb1EESZ_EEDaSU_SV_EUlSU_E_NS1_11comp_targetILNS1_3genE4ELNS1_11target_archE910ELNS1_3gpuE8ELNS1_3repE0EEENS1_30default_config_static_selectorELNS0_4arch9wavefront6targetE0EEEvT1_.num_named_barrier, 0
	.set _ZN7rocprim17ROCPRIM_400000_NS6detail17trampoline_kernelINS0_14default_configENS1_27scan_by_key_config_selectorIiiEEZZNS1_16scan_by_key_implILNS1_25lookback_scan_determinismE0ELb0ES3_N6thrust23THRUST_200600_302600_NS6detail15normal_iteratorINS9_10device_ptrIiEEEESE_SE_iNS9_4plusIvEENS9_8equal_toIvEEiEE10hipError_tPvRmT2_T3_T4_T5_mT6_T7_P12ihipStream_tbENKUlT_T0_E_clISt17integral_constantIbLb1EESZ_EEDaSU_SV_EUlSU_E_NS1_11comp_targetILNS1_3genE4ELNS1_11target_archE910ELNS1_3gpuE8ELNS1_3repE0EEENS1_30default_config_static_selectorELNS0_4arch9wavefront6targetE0EEEvT1_.private_seg_size, 0
	.set _ZN7rocprim17ROCPRIM_400000_NS6detail17trampoline_kernelINS0_14default_configENS1_27scan_by_key_config_selectorIiiEEZZNS1_16scan_by_key_implILNS1_25lookback_scan_determinismE0ELb0ES3_N6thrust23THRUST_200600_302600_NS6detail15normal_iteratorINS9_10device_ptrIiEEEESE_SE_iNS9_4plusIvEENS9_8equal_toIvEEiEE10hipError_tPvRmT2_T3_T4_T5_mT6_T7_P12ihipStream_tbENKUlT_T0_E_clISt17integral_constantIbLb1EESZ_EEDaSU_SV_EUlSU_E_NS1_11comp_targetILNS1_3genE4ELNS1_11target_archE910ELNS1_3gpuE8ELNS1_3repE0EEENS1_30default_config_static_selectorELNS0_4arch9wavefront6targetE0EEEvT1_.uses_vcc, 0
	.set _ZN7rocprim17ROCPRIM_400000_NS6detail17trampoline_kernelINS0_14default_configENS1_27scan_by_key_config_selectorIiiEEZZNS1_16scan_by_key_implILNS1_25lookback_scan_determinismE0ELb0ES3_N6thrust23THRUST_200600_302600_NS6detail15normal_iteratorINS9_10device_ptrIiEEEESE_SE_iNS9_4plusIvEENS9_8equal_toIvEEiEE10hipError_tPvRmT2_T3_T4_T5_mT6_T7_P12ihipStream_tbENKUlT_T0_E_clISt17integral_constantIbLb1EESZ_EEDaSU_SV_EUlSU_E_NS1_11comp_targetILNS1_3genE4ELNS1_11target_archE910ELNS1_3gpuE8ELNS1_3repE0EEENS1_30default_config_static_selectorELNS0_4arch9wavefront6targetE0EEEvT1_.uses_flat_scratch, 0
	.set _ZN7rocprim17ROCPRIM_400000_NS6detail17trampoline_kernelINS0_14default_configENS1_27scan_by_key_config_selectorIiiEEZZNS1_16scan_by_key_implILNS1_25lookback_scan_determinismE0ELb0ES3_N6thrust23THRUST_200600_302600_NS6detail15normal_iteratorINS9_10device_ptrIiEEEESE_SE_iNS9_4plusIvEENS9_8equal_toIvEEiEE10hipError_tPvRmT2_T3_T4_T5_mT6_T7_P12ihipStream_tbENKUlT_T0_E_clISt17integral_constantIbLb1EESZ_EEDaSU_SV_EUlSU_E_NS1_11comp_targetILNS1_3genE4ELNS1_11target_archE910ELNS1_3gpuE8ELNS1_3repE0EEENS1_30default_config_static_selectorELNS0_4arch9wavefront6targetE0EEEvT1_.has_dyn_sized_stack, 0
	.set _ZN7rocprim17ROCPRIM_400000_NS6detail17trampoline_kernelINS0_14default_configENS1_27scan_by_key_config_selectorIiiEEZZNS1_16scan_by_key_implILNS1_25lookback_scan_determinismE0ELb0ES3_N6thrust23THRUST_200600_302600_NS6detail15normal_iteratorINS9_10device_ptrIiEEEESE_SE_iNS9_4plusIvEENS9_8equal_toIvEEiEE10hipError_tPvRmT2_T3_T4_T5_mT6_T7_P12ihipStream_tbENKUlT_T0_E_clISt17integral_constantIbLb1EESZ_EEDaSU_SV_EUlSU_E_NS1_11comp_targetILNS1_3genE4ELNS1_11target_archE910ELNS1_3gpuE8ELNS1_3repE0EEENS1_30default_config_static_selectorELNS0_4arch9wavefront6targetE0EEEvT1_.has_recursion, 0
	.set _ZN7rocprim17ROCPRIM_400000_NS6detail17trampoline_kernelINS0_14default_configENS1_27scan_by_key_config_selectorIiiEEZZNS1_16scan_by_key_implILNS1_25lookback_scan_determinismE0ELb0ES3_N6thrust23THRUST_200600_302600_NS6detail15normal_iteratorINS9_10device_ptrIiEEEESE_SE_iNS9_4plusIvEENS9_8equal_toIvEEiEE10hipError_tPvRmT2_T3_T4_T5_mT6_T7_P12ihipStream_tbENKUlT_T0_E_clISt17integral_constantIbLb1EESZ_EEDaSU_SV_EUlSU_E_NS1_11comp_targetILNS1_3genE4ELNS1_11target_archE910ELNS1_3gpuE8ELNS1_3repE0EEENS1_30default_config_static_selectorELNS0_4arch9wavefront6targetE0EEEvT1_.has_indirect_call, 0
	.section	.AMDGPU.csdata,"",@progbits
; Kernel info:
; codeLenInByte = 0
; TotalNumSgprs: 0
; NumVgprs: 0
; ScratchSize: 0
; MemoryBound: 0
; FloatMode: 240
; IeeeMode: 1
; LDSByteSize: 0 bytes/workgroup (compile time only)
; SGPRBlocks: 0
; VGPRBlocks: 0
; NumSGPRsForWavesPerEU: 1
; NumVGPRsForWavesPerEU: 1
; NamedBarCnt: 0
; Occupancy: 16
; WaveLimiterHint : 0
; COMPUTE_PGM_RSRC2:SCRATCH_EN: 0
; COMPUTE_PGM_RSRC2:USER_SGPR: 2
; COMPUTE_PGM_RSRC2:TRAP_HANDLER: 0
; COMPUTE_PGM_RSRC2:TGID_X_EN: 1
; COMPUTE_PGM_RSRC2:TGID_Y_EN: 0
; COMPUTE_PGM_RSRC2:TGID_Z_EN: 0
; COMPUTE_PGM_RSRC2:TIDIG_COMP_CNT: 0
	.section	.text._ZN7rocprim17ROCPRIM_400000_NS6detail17trampoline_kernelINS0_14default_configENS1_27scan_by_key_config_selectorIiiEEZZNS1_16scan_by_key_implILNS1_25lookback_scan_determinismE0ELb0ES3_N6thrust23THRUST_200600_302600_NS6detail15normal_iteratorINS9_10device_ptrIiEEEESE_SE_iNS9_4plusIvEENS9_8equal_toIvEEiEE10hipError_tPvRmT2_T3_T4_T5_mT6_T7_P12ihipStream_tbENKUlT_T0_E_clISt17integral_constantIbLb1EESZ_EEDaSU_SV_EUlSU_E_NS1_11comp_targetILNS1_3genE3ELNS1_11target_archE908ELNS1_3gpuE7ELNS1_3repE0EEENS1_30default_config_static_selectorELNS0_4arch9wavefront6targetE0EEEvT1_,"axG",@progbits,_ZN7rocprim17ROCPRIM_400000_NS6detail17trampoline_kernelINS0_14default_configENS1_27scan_by_key_config_selectorIiiEEZZNS1_16scan_by_key_implILNS1_25lookback_scan_determinismE0ELb0ES3_N6thrust23THRUST_200600_302600_NS6detail15normal_iteratorINS9_10device_ptrIiEEEESE_SE_iNS9_4plusIvEENS9_8equal_toIvEEiEE10hipError_tPvRmT2_T3_T4_T5_mT6_T7_P12ihipStream_tbENKUlT_T0_E_clISt17integral_constantIbLb1EESZ_EEDaSU_SV_EUlSU_E_NS1_11comp_targetILNS1_3genE3ELNS1_11target_archE908ELNS1_3gpuE7ELNS1_3repE0EEENS1_30default_config_static_selectorELNS0_4arch9wavefront6targetE0EEEvT1_,comdat
	.protected	_ZN7rocprim17ROCPRIM_400000_NS6detail17trampoline_kernelINS0_14default_configENS1_27scan_by_key_config_selectorIiiEEZZNS1_16scan_by_key_implILNS1_25lookback_scan_determinismE0ELb0ES3_N6thrust23THRUST_200600_302600_NS6detail15normal_iteratorINS9_10device_ptrIiEEEESE_SE_iNS9_4plusIvEENS9_8equal_toIvEEiEE10hipError_tPvRmT2_T3_T4_T5_mT6_T7_P12ihipStream_tbENKUlT_T0_E_clISt17integral_constantIbLb1EESZ_EEDaSU_SV_EUlSU_E_NS1_11comp_targetILNS1_3genE3ELNS1_11target_archE908ELNS1_3gpuE7ELNS1_3repE0EEENS1_30default_config_static_selectorELNS0_4arch9wavefront6targetE0EEEvT1_ ; -- Begin function _ZN7rocprim17ROCPRIM_400000_NS6detail17trampoline_kernelINS0_14default_configENS1_27scan_by_key_config_selectorIiiEEZZNS1_16scan_by_key_implILNS1_25lookback_scan_determinismE0ELb0ES3_N6thrust23THRUST_200600_302600_NS6detail15normal_iteratorINS9_10device_ptrIiEEEESE_SE_iNS9_4plusIvEENS9_8equal_toIvEEiEE10hipError_tPvRmT2_T3_T4_T5_mT6_T7_P12ihipStream_tbENKUlT_T0_E_clISt17integral_constantIbLb1EESZ_EEDaSU_SV_EUlSU_E_NS1_11comp_targetILNS1_3genE3ELNS1_11target_archE908ELNS1_3gpuE7ELNS1_3repE0EEENS1_30default_config_static_selectorELNS0_4arch9wavefront6targetE0EEEvT1_
	.globl	_ZN7rocprim17ROCPRIM_400000_NS6detail17trampoline_kernelINS0_14default_configENS1_27scan_by_key_config_selectorIiiEEZZNS1_16scan_by_key_implILNS1_25lookback_scan_determinismE0ELb0ES3_N6thrust23THRUST_200600_302600_NS6detail15normal_iteratorINS9_10device_ptrIiEEEESE_SE_iNS9_4plusIvEENS9_8equal_toIvEEiEE10hipError_tPvRmT2_T3_T4_T5_mT6_T7_P12ihipStream_tbENKUlT_T0_E_clISt17integral_constantIbLb1EESZ_EEDaSU_SV_EUlSU_E_NS1_11comp_targetILNS1_3genE3ELNS1_11target_archE908ELNS1_3gpuE7ELNS1_3repE0EEENS1_30default_config_static_selectorELNS0_4arch9wavefront6targetE0EEEvT1_
	.p2align	8
	.type	_ZN7rocprim17ROCPRIM_400000_NS6detail17trampoline_kernelINS0_14default_configENS1_27scan_by_key_config_selectorIiiEEZZNS1_16scan_by_key_implILNS1_25lookback_scan_determinismE0ELb0ES3_N6thrust23THRUST_200600_302600_NS6detail15normal_iteratorINS9_10device_ptrIiEEEESE_SE_iNS9_4plusIvEENS9_8equal_toIvEEiEE10hipError_tPvRmT2_T3_T4_T5_mT6_T7_P12ihipStream_tbENKUlT_T0_E_clISt17integral_constantIbLb1EESZ_EEDaSU_SV_EUlSU_E_NS1_11comp_targetILNS1_3genE3ELNS1_11target_archE908ELNS1_3gpuE7ELNS1_3repE0EEENS1_30default_config_static_selectorELNS0_4arch9wavefront6targetE0EEEvT1_,@function
_ZN7rocprim17ROCPRIM_400000_NS6detail17trampoline_kernelINS0_14default_configENS1_27scan_by_key_config_selectorIiiEEZZNS1_16scan_by_key_implILNS1_25lookback_scan_determinismE0ELb0ES3_N6thrust23THRUST_200600_302600_NS6detail15normal_iteratorINS9_10device_ptrIiEEEESE_SE_iNS9_4plusIvEENS9_8equal_toIvEEiEE10hipError_tPvRmT2_T3_T4_T5_mT6_T7_P12ihipStream_tbENKUlT_T0_E_clISt17integral_constantIbLb1EESZ_EEDaSU_SV_EUlSU_E_NS1_11comp_targetILNS1_3genE3ELNS1_11target_archE908ELNS1_3gpuE7ELNS1_3repE0EEENS1_30default_config_static_selectorELNS0_4arch9wavefront6targetE0EEEvT1_: ; @_ZN7rocprim17ROCPRIM_400000_NS6detail17trampoline_kernelINS0_14default_configENS1_27scan_by_key_config_selectorIiiEEZZNS1_16scan_by_key_implILNS1_25lookback_scan_determinismE0ELb0ES3_N6thrust23THRUST_200600_302600_NS6detail15normal_iteratorINS9_10device_ptrIiEEEESE_SE_iNS9_4plusIvEENS9_8equal_toIvEEiEE10hipError_tPvRmT2_T3_T4_T5_mT6_T7_P12ihipStream_tbENKUlT_T0_E_clISt17integral_constantIbLb1EESZ_EEDaSU_SV_EUlSU_E_NS1_11comp_targetILNS1_3genE3ELNS1_11target_archE908ELNS1_3gpuE7ELNS1_3repE0EEENS1_30default_config_static_selectorELNS0_4arch9wavefront6targetE0EEEvT1_
; %bb.0:
	.section	.rodata,"a",@progbits
	.p2align	6, 0x0
	.amdhsa_kernel _ZN7rocprim17ROCPRIM_400000_NS6detail17trampoline_kernelINS0_14default_configENS1_27scan_by_key_config_selectorIiiEEZZNS1_16scan_by_key_implILNS1_25lookback_scan_determinismE0ELb0ES3_N6thrust23THRUST_200600_302600_NS6detail15normal_iteratorINS9_10device_ptrIiEEEESE_SE_iNS9_4plusIvEENS9_8equal_toIvEEiEE10hipError_tPvRmT2_T3_T4_T5_mT6_T7_P12ihipStream_tbENKUlT_T0_E_clISt17integral_constantIbLb1EESZ_EEDaSU_SV_EUlSU_E_NS1_11comp_targetILNS1_3genE3ELNS1_11target_archE908ELNS1_3gpuE7ELNS1_3repE0EEENS1_30default_config_static_selectorELNS0_4arch9wavefront6targetE0EEEvT1_
		.amdhsa_group_segment_fixed_size 0
		.amdhsa_private_segment_fixed_size 0
		.amdhsa_kernarg_size 112
		.amdhsa_user_sgpr_count 2
		.amdhsa_user_sgpr_dispatch_ptr 0
		.amdhsa_user_sgpr_queue_ptr 0
		.amdhsa_user_sgpr_kernarg_segment_ptr 1
		.amdhsa_user_sgpr_dispatch_id 0
		.amdhsa_user_sgpr_kernarg_preload_length 0
		.amdhsa_user_sgpr_kernarg_preload_offset 0
		.amdhsa_user_sgpr_private_segment_size 0
		.amdhsa_wavefront_size32 1
		.amdhsa_uses_dynamic_stack 0
		.amdhsa_enable_private_segment 0
		.amdhsa_system_sgpr_workgroup_id_x 1
		.amdhsa_system_sgpr_workgroup_id_y 0
		.amdhsa_system_sgpr_workgroup_id_z 0
		.amdhsa_system_sgpr_workgroup_info 0
		.amdhsa_system_vgpr_workitem_id 0
		.amdhsa_next_free_vgpr 1
		.amdhsa_next_free_sgpr 1
		.amdhsa_named_barrier_count 0
		.amdhsa_reserve_vcc 0
		.amdhsa_float_round_mode_32 0
		.amdhsa_float_round_mode_16_64 0
		.amdhsa_float_denorm_mode_32 3
		.amdhsa_float_denorm_mode_16_64 3
		.amdhsa_fp16_overflow 0
		.amdhsa_memory_ordered 1
		.amdhsa_forward_progress 1
		.amdhsa_inst_pref_size 0
		.amdhsa_round_robin_scheduling 0
		.amdhsa_exception_fp_ieee_invalid_op 0
		.amdhsa_exception_fp_denorm_src 0
		.amdhsa_exception_fp_ieee_div_zero 0
		.amdhsa_exception_fp_ieee_overflow 0
		.amdhsa_exception_fp_ieee_underflow 0
		.amdhsa_exception_fp_ieee_inexact 0
		.amdhsa_exception_int_div_zero 0
	.end_amdhsa_kernel
	.section	.text._ZN7rocprim17ROCPRIM_400000_NS6detail17trampoline_kernelINS0_14default_configENS1_27scan_by_key_config_selectorIiiEEZZNS1_16scan_by_key_implILNS1_25lookback_scan_determinismE0ELb0ES3_N6thrust23THRUST_200600_302600_NS6detail15normal_iteratorINS9_10device_ptrIiEEEESE_SE_iNS9_4plusIvEENS9_8equal_toIvEEiEE10hipError_tPvRmT2_T3_T4_T5_mT6_T7_P12ihipStream_tbENKUlT_T0_E_clISt17integral_constantIbLb1EESZ_EEDaSU_SV_EUlSU_E_NS1_11comp_targetILNS1_3genE3ELNS1_11target_archE908ELNS1_3gpuE7ELNS1_3repE0EEENS1_30default_config_static_selectorELNS0_4arch9wavefront6targetE0EEEvT1_,"axG",@progbits,_ZN7rocprim17ROCPRIM_400000_NS6detail17trampoline_kernelINS0_14default_configENS1_27scan_by_key_config_selectorIiiEEZZNS1_16scan_by_key_implILNS1_25lookback_scan_determinismE0ELb0ES3_N6thrust23THRUST_200600_302600_NS6detail15normal_iteratorINS9_10device_ptrIiEEEESE_SE_iNS9_4plusIvEENS9_8equal_toIvEEiEE10hipError_tPvRmT2_T3_T4_T5_mT6_T7_P12ihipStream_tbENKUlT_T0_E_clISt17integral_constantIbLb1EESZ_EEDaSU_SV_EUlSU_E_NS1_11comp_targetILNS1_3genE3ELNS1_11target_archE908ELNS1_3gpuE7ELNS1_3repE0EEENS1_30default_config_static_selectorELNS0_4arch9wavefront6targetE0EEEvT1_,comdat
.Lfunc_end137:
	.size	_ZN7rocprim17ROCPRIM_400000_NS6detail17trampoline_kernelINS0_14default_configENS1_27scan_by_key_config_selectorIiiEEZZNS1_16scan_by_key_implILNS1_25lookback_scan_determinismE0ELb0ES3_N6thrust23THRUST_200600_302600_NS6detail15normal_iteratorINS9_10device_ptrIiEEEESE_SE_iNS9_4plusIvEENS9_8equal_toIvEEiEE10hipError_tPvRmT2_T3_T4_T5_mT6_T7_P12ihipStream_tbENKUlT_T0_E_clISt17integral_constantIbLb1EESZ_EEDaSU_SV_EUlSU_E_NS1_11comp_targetILNS1_3genE3ELNS1_11target_archE908ELNS1_3gpuE7ELNS1_3repE0EEENS1_30default_config_static_selectorELNS0_4arch9wavefront6targetE0EEEvT1_, .Lfunc_end137-_ZN7rocprim17ROCPRIM_400000_NS6detail17trampoline_kernelINS0_14default_configENS1_27scan_by_key_config_selectorIiiEEZZNS1_16scan_by_key_implILNS1_25lookback_scan_determinismE0ELb0ES3_N6thrust23THRUST_200600_302600_NS6detail15normal_iteratorINS9_10device_ptrIiEEEESE_SE_iNS9_4plusIvEENS9_8equal_toIvEEiEE10hipError_tPvRmT2_T3_T4_T5_mT6_T7_P12ihipStream_tbENKUlT_T0_E_clISt17integral_constantIbLb1EESZ_EEDaSU_SV_EUlSU_E_NS1_11comp_targetILNS1_3genE3ELNS1_11target_archE908ELNS1_3gpuE7ELNS1_3repE0EEENS1_30default_config_static_selectorELNS0_4arch9wavefront6targetE0EEEvT1_
                                        ; -- End function
	.set _ZN7rocprim17ROCPRIM_400000_NS6detail17trampoline_kernelINS0_14default_configENS1_27scan_by_key_config_selectorIiiEEZZNS1_16scan_by_key_implILNS1_25lookback_scan_determinismE0ELb0ES3_N6thrust23THRUST_200600_302600_NS6detail15normal_iteratorINS9_10device_ptrIiEEEESE_SE_iNS9_4plusIvEENS9_8equal_toIvEEiEE10hipError_tPvRmT2_T3_T4_T5_mT6_T7_P12ihipStream_tbENKUlT_T0_E_clISt17integral_constantIbLb1EESZ_EEDaSU_SV_EUlSU_E_NS1_11comp_targetILNS1_3genE3ELNS1_11target_archE908ELNS1_3gpuE7ELNS1_3repE0EEENS1_30default_config_static_selectorELNS0_4arch9wavefront6targetE0EEEvT1_.num_vgpr, 0
	.set _ZN7rocprim17ROCPRIM_400000_NS6detail17trampoline_kernelINS0_14default_configENS1_27scan_by_key_config_selectorIiiEEZZNS1_16scan_by_key_implILNS1_25lookback_scan_determinismE0ELb0ES3_N6thrust23THRUST_200600_302600_NS6detail15normal_iteratorINS9_10device_ptrIiEEEESE_SE_iNS9_4plusIvEENS9_8equal_toIvEEiEE10hipError_tPvRmT2_T3_T4_T5_mT6_T7_P12ihipStream_tbENKUlT_T0_E_clISt17integral_constantIbLb1EESZ_EEDaSU_SV_EUlSU_E_NS1_11comp_targetILNS1_3genE3ELNS1_11target_archE908ELNS1_3gpuE7ELNS1_3repE0EEENS1_30default_config_static_selectorELNS0_4arch9wavefront6targetE0EEEvT1_.num_agpr, 0
	.set _ZN7rocprim17ROCPRIM_400000_NS6detail17trampoline_kernelINS0_14default_configENS1_27scan_by_key_config_selectorIiiEEZZNS1_16scan_by_key_implILNS1_25lookback_scan_determinismE0ELb0ES3_N6thrust23THRUST_200600_302600_NS6detail15normal_iteratorINS9_10device_ptrIiEEEESE_SE_iNS9_4plusIvEENS9_8equal_toIvEEiEE10hipError_tPvRmT2_T3_T4_T5_mT6_T7_P12ihipStream_tbENKUlT_T0_E_clISt17integral_constantIbLb1EESZ_EEDaSU_SV_EUlSU_E_NS1_11comp_targetILNS1_3genE3ELNS1_11target_archE908ELNS1_3gpuE7ELNS1_3repE0EEENS1_30default_config_static_selectorELNS0_4arch9wavefront6targetE0EEEvT1_.numbered_sgpr, 0
	.set _ZN7rocprim17ROCPRIM_400000_NS6detail17trampoline_kernelINS0_14default_configENS1_27scan_by_key_config_selectorIiiEEZZNS1_16scan_by_key_implILNS1_25lookback_scan_determinismE0ELb0ES3_N6thrust23THRUST_200600_302600_NS6detail15normal_iteratorINS9_10device_ptrIiEEEESE_SE_iNS9_4plusIvEENS9_8equal_toIvEEiEE10hipError_tPvRmT2_T3_T4_T5_mT6_T7_P12ihipStream_tbENKUlT_T0_E_clISt17integral_constantIbLb1EESZ_EEDaSU_SV_EUlSU_E_NS1_11comp_targetILNS1_3genE3ELNS1_11target_archE908ELNS1_3gpuE7ELNS1_3repE0EEENS1_30default_config_static_selectorELNS0_4arch9wavefront6targetE0EEEvT1_.num_named_barrier, 0
	.set _ZN7rocprim17ROCPRIM_400000_NS6detail17trampoline_kernelINS0_14default_configENS1_27scan_by_key_config_selectorIiiEEZZNS1_16scan_by_key_implILNS1_25lookback_scan_determinismE0ELb0ES3_N6thrust23THRUST_200600_302600_NS6detail15normal_iteratorINS9_10device_ptrIiEEEESE_SE_iNS9_4plusIvEENS9_8equal_toIvEEiEE10hipError_tPvRmT2_T3_T4_T5_mT6_T7_P12ihipStream_tbENKUlT_T0_E_clISt17integral_constantIbLb1EESZ_EEDaSU_SV_EUlSU_E_NS1_11comp_targetILNS1_3genE3ELNS1_11target_archE908ELNS1_3gpuE7ELNS1_3repE0EEENS1_30default_config_static_selectorELNS0_4arch9wavefront6targetE0EEEvT1_.private_seg_size, 0
	.set _ZN7rocprim17ROCPRIM_400000_NS6detail17trampoline_kernelINS0_14default_configENS1_27scan_by_key_config_selectorIiiEEZZNS1_16scan_by_key_implILNS1_25lookback_scan_determinismE0ELb0ES3_N6thrust23THRUST_200600_302600_NS6detail15normal_iteratorINS9_10device_ptrIiEEEESE_SE_iNS9_4plusIvEENS9_8equal_toIvEEiEE10hipError_tPvRmT2_T3_T4_T5_mT6_T7_P12ihipStream_tbENKUlT_T0_E_clISt17integral_constantIbLb1EESZ_EEDaSU_SV_EUlSU_E_NS1_11comp_targetILNS1_3genE3ELNS1_11target_archE908ELNS1_3gpuE7ELNS1_3repE0EEENS1_30default_config_static_selectorELNS0_4arch9wavefront6targetE0EEEvT1_.uses_vcc, 0
	.set _ZN7rocprim17ROCPRIM_400000_NS6detail17trampoline_kernelINS0_14default_configENS1_27scan_by_key_config_selectorIiiEEZZNS1_16scan_by_key_implILNS1_25lookback_scan_determinismE0ELb0ES3_N6thrust23THRUST_200600_302600_NS6detail15normal_iteratorINS9_10device_ptrIiEEEESE_SE_iNS9_4plusIvEENS9_8equal_toIvEEiEE10hipError_tPvRmT2_T3_T4_T5_mT6_T7_P12ihipStream_tbENKUlT_T0_E_clISt17integral_constantIbLb1EESZ_EEDaSU_SV_EUlSU_E_NS1_11comp_targetILNS1_3genE3ELNS1_11target_archE908ELNS1_3gpuE7ELNS1_3repE0EEENS1_30default_config_static_selectorELNS0_4arch9wavefront6targetE0EEEvT1_.uses_flat_scratch, 0
	.set _ZN7rocprim17ROCPRIM_400000_NS6detail17trampoline_kernelINS0_14default_configENS1_27scan_by_key_config_selectorIiiEEZZNS1_16scan_by_key_implILNS1_25lookback_scan_determinismE0ELb0ES3_N6thrust23THRUST_200600_302600_NS6detail15normal_iteratorINS9_10device_ptrIiEEEESE_SE_iNS9_4plusIvEENS9_8equal_toIvEEiEE10hipError_tPvRmT2_T3_T4_T5_mT6_T7_P12ihipStream_tbENKUlT_T0_E_clISt17integral_constantIbLb1EESZ_EEDaSU_SV_EUlSU_E_NS1_11comp_targetILNS1_3genE3ELNS1_11target_archE908ELNS1_3gpuE7ELNS1_3repE0EEENS1_30default_config_static_selectorELNS0_4arch9wavefront6targetE0EEEvT1_.has_dyn_sized_stack, 0
	.set _ZN7rocprim17ROCPRIM_400000_NS6detail17trampoline_kernelINS0_14default_configENS1_27scan_by_key_config_selectorIiiEEZZNS1_16scan_by_key_implILNS1_25lookback_scan_determinismE0ELb0ES3_N6thrust23THRUST_200600_302600_NS6detail15normal_iteratorINS9_10device_ptrIiEEEESE_SE_iNS9_4plusIvEENS9_8equal_toIvEEiEE10hipError_tPvRmT2_T3_T4_T5_mT6_T7_P12ihipStream_tbENKUlT_T0_E_clISt17integral_constantIbLb1EESZ_EEDaSU_SV_EUlSU_E_NS1_11comp_targetILNS1_3genE3ELNS1_11target_archE908ELNS1_3gpuE7ELNS1_3repE0EEENS1_30default_config_static_selectorELNS0_4arch9wavefront6targetE0EEEvT1_.has_recursion, 0
	.set _ZN7rocprim17ROCPRIM_400000_NS6detail17trampoline_kernelINS0_14default_configENS1_27scan_by_key_config_selectorIiiEEZZNS1_16scan_by_key_implILNS1_25lookback_scan_determinismE0ELb0ES3_N6thrust23THRUST_200600_302600_NS6detail15normal_iteratorINS9_10device_ptrIiEEEESE_SE_iNS9_4plusIvEENS9_8equal_toIvEEiEE10hipError_tPvRmT2_T3_T4_T5_mT6_T7_P12ihipStream_tbENKUlT_T0_E_clISt17integral_constantIbLb1EESZ_EEDaSU_SV_EUlSU_E_NS1_11comp_targetILNS1_3genE3ELNS1_11target_archE908ELNS1_3gpuE7ELNS1_3repE0EEENS1_30default_config_static_selectorELNS0_4arch9wavefront6targetE0EEEvT1_.has_indirect_call, 0
	.section	.AMDGPU.csdata,"",@progbits
; Kernel info:
; codeLenInByte = 0
; TotalNumSgprs: 0
; NumVgprs: 0
; ScratchSize: 0
; MemoryBound: 0
; FloatMode: 240
; IeeeMode: 1
; LDSByteSize: 0 bytes/workgroup (compile time only)
; SGPRBlocks: 0
; VGPRBlocks: 0
; NumSGPRsForWavesPerEU: 1
; NumVGPRsForWavesPerEU: 1
; NamedBarCnt: 0
; Occupancy: 16
; WaveLimiterHint : 0
; COMPUTE_PGM_RSRC2:SCRATCH_EN: 0
; COMPUTE_PGM_RSRC2:USER_SGPR: 2
; COMPUTE_PGM_RSRC2:TRAP_HANDLER: 0
; COMPUTE_PGM_RSRC2:TGID_X_EN: 1
; COMPUTE_PGM_RSRC2:TGID_Y_EN: 0
; COMPUTE_PGM_RSRC2:TGID_Z_EN: 0
; COMPUTE_PGM_RSRC2:TIDIG_COMP_CNT: 0
	.section	.text._ZN7rocprim17ROCPRIM_400000_NS6detail17trampoline_kernelINS0_14default_configENS1_27scan_by_key_config_selectorIiiEEZZNS1_16scan_by_key_implILNS1_25lookback_scan_determinismE0ELb0ES3_N6thrust23THRUST_200600_302600_NS6detail15normal_iteratorINS9_10device_ptrIiEEEESE_SE_iNS9_4plusIvEENS9_8equal_toIvEEiEE10hipError_tPvRmT2_T3_T4_T5_mT6_T7_P12ihipStream_tbENKUlT_T0_E_clISt17integral_constantIbLb1EESZ_EEDaSU_SV_EUlSU_E_NS1_11comp_targetILNS1_3genE2ELNS1_11target_archE906ELNS1_3gpuE6ELNS1_3repE0EEENS1_30default_config_static_selectorELNS0_4arch9wavefront6targetE0EEEvT1_,"axG",@progbits,_ZN7rocprim17ROCPRIM_400000_NS6detail17trampoline_kernelINS0_14default_configENS1_27scan_by_key_config_selectorIiiEEZZNS1_16scan_by_key_implILNS1_25lookback_scan_determinismE0ELb0ES3_N6thrust23THRUST_200600_302600_NS6detail15normal_iteratorINS9_10device_ptrIiEEEESE_SE_iNS9_4plusIvEENS9_8equal_toIvEEiEE10hipError_tPvRmT2_T3_T4_T5_mT6_T7_P12ihipStream_tbENKUlT_T0_E_clISt17integral_constantIbLb1EESZ_EEDaSU_SV_EUlSU_E_NS1_11comp_targetILNS1_3genE2ELNS1_11target_archE906ELNS1_3gpuE6ELNS1_3repE0EEENS1_30default_config_static_selectorELNS0_4arch9wavefront6targetE0EEEvT1_,comdat
	.protected	_ZN7rocprim17ROCPRIM_400000_NS6detail17trampoline_kernelINS0_14default_configENS1_27scan_by_key_config_selectorIiiEEZZNS1_16scan_by_key_implILNS1_25lookback_scan_determinismE0ELb0ES3_N6thrust23THRUST_200600_302600_NS6detail15normal_iteratorINS9_10device_ptrIiEEEESE_SE_iNS9_4plusIvEENS9_8equal_toIvEEiEE10hipError_tPvRmT2_T3_T4_T5_mT6_T7_P12ihipStream_tbENKUlT_T0_E_clISt17integral_constantIbLb1EESZ_EEDaSU_SV_EUlSU_E_NS1_11comp_targetILNS1_3genE2ELNS1_11target_archE906ELNS1_3gpuE6ELNS1_3repE0EEENS1_30default_config_static_selectorELNS0_4arch9wavefront6targetE0EEEvT1_ ; -- Begin function _ZN7rocprim17ROCPRIM_400000_NS6detail17trampoline_kernelINS0_14default_configENS1_27scan_by_key_config_selectorIiiEEZZNS1_16scan_by_key_implILNS1_25lookback_scan_determinismE0ELb0ES3_N6thrust23THRUST_200600_302600_NS6detail15normal_iteratorINS9_10device_ptrIiEEEESE_SE_iNS9_4plusIvEENS9_8equal_toIvEEiEE10hipError_tPvRmT2_T3_T4_T5_mT6_T7_P12ihipStream_tbENKUlT_T0_E_clISt17integral_constantIbLb1EESZ_EEDaSU_SV_EUlSU_E_NS1_11comp_targetILNS1_3genE2ELNS1_11target_archE906ELNS1_3gpuE6ELNS1_3repE0EEENS1_30default_config_static_selectorELNS0_4arch9wavefront6targetE0EEEvT1_
	.globl	_ZN7rocprim17ROCPRIM_400000_NS6detail17trampoline_kernelINS0_14default_configENS1_27scan_by_key_config_selectorIiiEEZZNS1_16scan_by_key_implILNS1_25lookback_scan_determinismE0ELb0ES3_N6thrust23THRUST_200600_302600_NS6detail15normal_iteratorINS9_10device_ptrIiEEEESE_SE_iNS9_4plusIvEENS9_8equal_toIvEEiEE10hipError_tPvRmT2_T3_T4_T5_mT6_T7_P12ihipStream_tbENKUlT_T0_E_clISt17integral_constantIbLb1EESZ_EEDaSU_SV_EUlSU_E_NS1_11comp_targetILNS1_3genE2ELNS1_11target_archE906ELNS1_3gpuE6ELNS1_3repE0EEENS1_30default_config_static_selectorELNS0_4arch9wavefront6targetE0EEEvT1_
	.p2align	8
	.type	_ZN7rocprim17ROCPRIM_400000_NS6detail17trampoline_kernelINS0_14default_configENS1_27scan_by_key_config_selectorIiiEEZZNS1_16scan_by_key_implILNS1_25lookback_scan_determinismE0ELb0ES3_N6thrust23THRUST_200600_302600_NS6detail15normal_iteratorINS9_10device_ptrIiEEEESE_SE_iNS9_4plusIvEENS9_8equal_toIvEEiEE10hipError_tPvRmT2_T3_T4_T5_mT6_T7_P12ihipStream_tbENKUlT_T0_E_clISt17integral_constantIbLb1EESZ_EEDaSU_SV_EUlSU_E_NS1_11comp_targetILNS1_3genE2ELNS1_11target_archE906ELNS1_3gpuE6ELNS1_3repE0EEENS1_30default_config_static_selectorELNS0_4arch9wavefront6targetE0EEEvT1_,@function
_ZN7rocprim17ROCPRIM_400000_NS6detail17trampoline_kernelINS0_14default_configENS1_27scan_by_key_config_selectorIiiEEZZNS1_16scan_by_key_implILNS1_25lookback_scan_determinismE0ELb0ES3_N6thrust23THRUST_200600_302600_NS6detail15normal_iteratorINS9_10device_ptrIiEEEESE_SE_iNS9_4plusIvEENS9_8equal_toIvEEiEE10hipError_tPvRmT2_T3_T4_T5_mT6_T7_P12ihipStream_tbENKUlT_T0_E_clISt17integral_constantIbLb1EESZ_EEDaSU_SV_EUlSU_E_NS1_11comp_targetILNS1_3genE2ELNS1_11target_archE906ELNS1_3gpuE6ELNS1_3repE0EEENS1_30default_config_static_selectorELNS0_4arch9wavefront6targetE0EEEvT1_: ; @_ZN7rocprim17ROCPRIM_400000_NS6detail17trampoline_kernelINS0_14default_configENS1_27scan_by_key_config_selectorIiiEEZZNS1_16scan_by_key_implILNS1_25lookback_scan_determinismE0ELb0ES3_N6thrust23THRUST_200600_302600_NS6detail15normal_iteratorINS9_10device_ptrIiEEEESE_SE_iNS9_4plusIvEENS9_8equal_toIvEEiEE10hipError_tPvRmT2_T3_T4_T5_mT6_T7_P12ihipStream_tbENKUlT_T0_E_clISt17integral_constantIbLb1EESZ_EEDaSU_SV_EUlSU_E_NS1_11comp_targetILNS1_3genE2ELNS1_11target_archE906ELNS1_3gpuE6ELNS1_3repE0EEENS1_30default_config_static_selectorELNS0_4arch9wavefront6targetE0EEEvT1_
; %bb.0:
	.section	.rodata,"a",@progbits
	.p2align	6, 0x0
	.amdhsa_kernel _ZN7rocprim17ROCPRIM_400000_NS6detail17trampoline_kernelINS0_14default_configENS1_27scan_by_key_config_selectorIiiEEZZNS1_16scan_by_key_implILNS1_25lookback_scan_determinismE0ELb0ES3_N6thrust23THRUST_200600_302600_NS6detail15normal_iteratorINS9_10device_ptrIiEEEESE_SE_iNS9_4plusIvEENS9_8equal_toIvEEiEE10hipError_tPvRmT2_T3_T4_T5_mT6_T7_P12ihipStream_tbENKUlT_T0_E_clISt17integral_constantIbLb1EESZ_EEDaSU_SV_EUlSU_E_NS1_11comp_targetILNS1_3genE2ELNS1_11target_archE906ELNS1_3gpuE6ELNS1_3repE0EEENS1_30default_config_static_selectorELNS0_4arch9wavefront6targetE0EEEvT1_
		.amdhsa_group_segment_fixed_size 0
		.amdhsa_private_segment_fixed_size 0
		.amdhsa_kernarg_size 112
		.amdhsa_user_sgpr_count 2
		.amdhsa_user_sgpr_dispatch_ptr 0
		.amdhsa_user_sgpr_queue_ptr 0
		.amdhsa_user_sgpr_kernarg_segment_ptr 1
		.amdhsa_user_sgpr_dispatch_id 0
		.amdhsa_user_sgpr_kernarg_preload_length 0
		.amdhsa_user_sgpr_kernarg_preload_offset 0
		.amdhsa_user_sgpr_private_segment_size 0
		.amdhsa_wavefront_size32 1
		.amdhsa_uses_dynamic_stack 0
		.amdhsa_enable_private_segment 0
		.amdhsa_system_sgpr_workgroup_id_x 1
		.amdhsa_system_sgpr_workgroup_id_y 0
		.amdhsa_system_sgpr_workgroup_id_z 0
		.amdhsa_system_sgpr_workgroup_info 0
		.amdhsa_system_vgpr_workitem_id 0
		.amdhsa_next_free_vgpr 1
		.amdhsa_next_free_sgpr 1
		.amdhsa_named_barrier_count 0
		.amdhsa_reserve_vcc 0
		.amdhsa_float_round_mode_32 0
		.amdhsa_float_round_mode_16_64 0
		.amdhsa_float_denorm_mode_32 3
		.amdhsa_float_denorm_mode_16_64 3
		.amdhsa_fp16_overflow 0
		.amdhsa_memory_ordered 1
		.amdhsa_forward_progress 1
		.amdhsa_inst_pref_size 0
		.amdhsa_round_robin_scheduling 0
		.amdhsa_exception_fp_ieee_invalid_op 0
		.amdhsa_exception_fp_denorm_src 0
		.amdhsa_exception_fp_ieee_div_zero 0
		.amdhsa_exception_fp_ieee_overflow 0
		.amdhsa_exception_fp_ieee_underflow 0
		.amdhsa_exception_fp_ieee_inexact 0
		.amdhsa_exception_int_div_zero 0
	.end_amdhsa_kernel
	.section	.text._ZN7rocprim17ROCPRIM_400000_NS6detail17trampoline_kernelINS0_14default_configENS1_27scan_by_key_config_selectorIiiEEZZNS1_16scan_by_key_implILNS1_25lookback_scan_determinismE0ELb0ES3_N6thrust23THRUST_200600_302600_NS6detail15normal_iteratorINS9_10device_ptrIiEEEESE_SE_iNS9_4plusIvEENS9_8equal_toIvEEiEE10hipError_tPvRmT2_T3_T4_T5_mT6_T7_P12ihipStream_tbENKUlT_T0_E_clISt17integral_constantIbLb1EESZ_EEDaSU_SV_EUlSU_E_NS1_11comp_targetILNS1_3genE2ELNS1_11target_archE906ELNS1_3gpuE6ELNS1_3repE0EEENS1_30default_config_static_selectorELNS0_4arch9wavefront6targetE0EEEvT1_,"axG",@progbits,_ZN7rocprim17ROCPRIM_400000_NS6detail17trampoline_kernelINS0_14default_configENS1_27scan_by_key_config_selectorIiiEEZZNS1_16scan_by_key_implILNS1_25lookback_scan_determinismE0ELb0ES3_N6thrust23THRUST_200600_302600_NS6detail15normal_iteratorINS9_10device_ptrIiEEEESE_SE_iNS9_4plusIvEENS9_8equal_toIvEEiEE10hipError_tPvRmT2_T3_T4_T5_mT6_T7_P12ihipStream_tbENKUlT_T0_E_clISt17integral_constantIbLb1EESZ_EEDaSU_SV_EUlSU_E_NS1_11comp_targetILNS1_3genE2ELNS1_11target_archE906ELNS1_3gpuE6ELNS1_3repE0EEENS1_30default_config_static_selectorELNS0_4arch9wavefront6targetE0EEEvT1_,comdat
.Lfunc_end138:
	.size	_ZN7rocprim17ROCPRIM_400000_NS6detail17trampoline_kernelINS0_14default_configENS1_27scan_by_key_config_selectorIiiEEZZNS1_16scan_by_key_implILNS1_25lookback_scan_determinismE0ELb0ES3_N6thrust23THRUST_200600_302600_NS6detail15normal_iteratorINS9_10device_ptrIiEEEESE_SE_iNS9_4plusIvEENS9_8equal_toIvEEiEE10hipError_tPvRmT2_T3_T4_T5_mT6_T7_P12ihipStream_tbENKUlT_T0_E_clISt17integral_constantIbLb1EESZ_EEDaSU_SV_EUlSU_E_NS1_11comp_targetILNS1_3genE2ELNS1_11target_archE906ELNS1_3gpuE6ELNS1_3repE0EEENS1_30default_config_static_selectorELNS0_4arch9wavefront6targetE0EEEvT1_, .Lfunc_end138-_ZN7rocprim17ROCPRIM_400000_NS6detail17trampoline_kernelINS0_14default_configENS1_27scan_by_key_config_selectorIiiEEZZNS1_16scan_by_key_implILNS1_25lookback_scan_determinismE0ELb0ES3_N6thrust23THRUST_200600_302600_NS6detail15normal_iteratorINS9_10device_ptrIiEEEESE_SE_iNS9_4plusIvEENS9_8equal_toIvEEiEE10hipError_tPvRmT2_T3_T4_T5_mT6_T7_P12ihipStream_tbENKUlT_T0_E_clISt17integral_constantIbLb1EESZ_EEDaSU_SV_EUlSU_E_NS1_11comp_targetILNS1_3genE2ELNS1_11target_archE906ELNS1_3gpuE6ELNS1_3repE0EEENS1_30default_config_static_selectorELNS0_4arch9wavefront6targetE0EEEvT1_
                                        ; -- End function
	.set _ZN7rocprim17ROCPRIM_400000_NS6detail17trampoline_kernelINS0_14default_configENS1_27scan_by_key_config_selectorIiiEEZZNS1_16scan_by_key_implILNS1_25lookback_scan_determinismE0ELb0ES3_N6thrust23THRUST_200600_302600_NS6detail15normal_iteratorINS9_10device_ptrIiEEEESE_SE_iNS9_4plusIvEENS9_8equal_toIvEEiEE10hipError_tPvRmT2_T3_T4_T5_mT6_T7_P12ihipStream_tbENKUlT_T0_E_clISt17integral_constantIbLb1EESZ_EEDaSU_SV_EUlSU_E_NS1_11comp_targetILNS1_3genE2ELNS1_11target_archE906ELNS1_3gpuE6ELNS1_3repE0EEENS1_30default_config_static_selectorELNS0_4arch9wavefront6targetE0EEEvT1_.num_vgpr, 0
	.set _ZN7rocprim17ROCPRIM_400000_NS6detail17trampoline_kernelINS0_14default_configENS1_27scan_by_key_config_selectorIiiEEZZNS1_16scan_by_key_implILNS1_25lookback_scan_determinismE0ELb0ES3_N6thrust23THRUST_200600_302600_NS6detail15normal_iteratorINS9_10device_ptrIiEEEESE_SE_iNS9_4plusIvEENS9_8equal_toIvEEiEE10hipError_tPvRmT2_T3_T4_T5_mT6_T7_P12ihipStream_tbENKUlT_T0_E_clISt17integral_constantIbLb1EESZ_EEDaSU_SV_EUlSU_E_NS1_11comp_targetILNS1_3genE2ELNS1_11target_archE906ELNS1_3gpuE6ELNS1_3repE0EEENS1_30default_config_static_selectorELNS0_4arch9wavefront6targetE0EEEvT1_.num_agpr, 0
	.set _ZN7rocprim17ROCPRIM_400000_NS6detail17trampoline_kernelINS0_14default_configENS1_27scan_by_key_config_selectorIiiEEZZNS1_16scan_by_key_implILNS1_25lookback_scan_determinismE0ELb0ES3_N6thrust23THRUST_200600_302600_NS6detail15normal_iteratorINS9_10device_ptrIiEEEESE_SE_iNS9_4plusIvEENS9_8equal_toIvEEiEE10hipError_tPvRmT2_T3_T4_T5_mT6_T7_P12ihipStream_tbENKUlT_T0_E_clISt17integral_constantIbLb1EESZ_EEDaSU_SV_EUlSU_E_NS1_11comp_targetILNS1_3genE2ELNS1_11target_archE906ELNS1_3gpuE6ELNS1_3repE0EEENS1_30default_config_static_selectorELNS0_4arch9wavefront6targetE0EEEvT1_.numbered_sgpr, 0
	.set _ZN7rocprim17ROCPRIM_400000_NS6detail17trampoline_kernelINS0_14default_configENS1_27scan_by_key_config_selectorIiiEEZZNS1_16scan_by_key_implILNS1_25lookback_scan_determinismE0ELb0ES3_N6thrust23THRUST_200600_302600_NS6detail15normal_iteratorINS9_10device_ptrIiEEEESE_SE_iNS9_4plusIvEENS9_8equal_toIvEEiEE10hipError_tPvRmT2_T3_T4_T5_mT6_T7_P12ihipStream_tbENKUlT_T0_E_clISt17integral_constantIbLb1EESZ_EEDaSU_SV_EUlSU_E_NS1_11comp_targetILNS1_3genE2ELNS1_11target_archE906ELNS1_3gpuE6ELNS1_3repE0EEENS1_30default_config_static_selectorELNS0_4arch9wavefront6targetE0EEEvT1_.num_named_barrier, 0
	.set _ZN7rocprim17ROCPRIM_400000_NS6detail17trampoline_kernelINS0_14default_configENS1_27scan_by_key_config_selectorIiiEEZZNS1_16scan_by_key_implILNS1_25lookback_scan_determinismE0ELb0ES3_N6thrust23THRUST_200600_302600_NS6detail15normal_iteratorINS9_10device_ptrIiEEEESE_SE_iNS9_4plusIvEENS9_8equal_toIvEEiEE10hipError_tPvRmT2_T3_T4_T5_mT6_T7_P12ihipStream_tbENKUlT_T0_E_clISt17integral_constantIbLb1EESZ_EEDaSU_SV_EUlSU_E_NS1_11comp_targetILNS1_3genE2ELNS1_11target_archE906ELNS1_3gpuE6ELNS1_3repE0EEENS1_30default_config_static_selectorELNS0_4arch9wavefront6targetE0EEEvT1_.private_seg_size, 0
	.set _ZN7rocprim17ROCPRIM_400000_NS6detail17trampoline_kernelINS0_14default_configENS1_27scan_by_key_config_selectorIiiEEZZNS1_16scan_by_key_implILNS1_25lookback_scan_determinismE0ELb0ES3_N6thrust23THRUST_200600_302600_NS6detail15normal_iteratorINS9_10device_ptrIiEEEESE_SE_iNS9_4plusIvEENS9_8equal_toIvEEiEE10hipError_tPvRmT2_T3_T4_T5_mT6_T7_P12ihipStream_tbENKUlT_T0_E_clISt17integral_constantIbLb1EESZ_EEDaSU_SV_EUlSU_E_NS1_11comp_targetILNS1_3genE2ELNS1_11target_archE906ELNS1_3gpuE6ELNS1_3repE0EEENS1_30default_config_static_selectorELNS0_4arch9wavefront6targetE0EEEvT1_.uses_vcc, 0
	.set _ZN7rocprim17ROCPRIM_400000_NS6detail17trampoline_kernelINS0_14default_configENS1_27scan_by_key_config_selectorIiiEEZZNS1_16scan_by_key_implILNS1_25lookback_scan_determinismE0ELb0ES3_N6thrust23THRUST_200600_302600_NS6detail15normal_iteratorINS9_10device_ptrIiEEEESE_SE_iNS9_4plusIvEENS9_8equal_toIvEEiEE10hipError_tPvRmT2_T3_T4_T5_mT6_T7_P12ihipStream_tbENKUlT_T0_E_clISt17integral_constantIbLb1EESZ_EEDaSU_SV_EUlSU_E_NS1_11comp_targetILNS1_3genE2ELNS1_11target_archE906ELNS1_3gpuE6ELNS1_3repE0EEENS1_30default_config_static_selectorELNS0_4arch9wavefront6targetE0EEEvT1_.uses_flat_scratch, 0
	.set _ZN7rocprim17ROCPRIM_400000_NS6detail17trampoline_kernelINS0_14default_configENS1_27scan_by_key_config_selectorIiiEEZZNS1_16scan_by_key_implILNS1_25lookback_scan_determinismE0ELb0ES3_N6thrust23THRUST_200600_302600_NS6detail15normal_iteratorINS9_10device_ptrIiEEEESE_SE_iNS9_4plusIvEENS9_8equal_toIvEEiEE10hipError_tPvRmT2_T3_T4_T5_mT6_T7_P12ihipStream_tbENKUlT_T0_E_clISt17integral_constantIbLb1EESZ_EEDaSU_SV_EUlSU_E_NS1_11comp_targetILNS1_3genE2ELNS1_11target_archE906ELNS1_3gpuE6ELNS1_3repE0EEENS1_30default_config_static_selectorELNS0_4arch9wavefront6targetE0EEEvT1_.has_dyn_sized_stack, 0
	.set _ZN7rocprim17ROCPRIM_400000_NS6detail17trampoline_kernelINS0_14default_configENS1_27scan_by_key_config_selectorIiiEEZZNS1_16scan_by_key_implILNS1_25lookback_scan_determinismE0ELb0ES3_N6thrust23THRUST_200600_302600_NS6detail15normal_iteratorINS9_10device_ptrIiEEEESE_SE_iNS9_4plusIvEENS9_8equal_toIvEEiEE10hipError_tPvRmT2_T3_T4_T5_mT6_T7_P12ihipStream_tbENKUlT_T0_E_clISt17integral_constantIbLb1EESZ_EEDaSU_SV_EUlSU_E_NS1_11comp_targetILNS1_3genE2ELNS1_11target_archE906ELNS1_3gpuE6ELNS1_3repE0EEENS1_30default_config_static_selectorELNS0_4arch9wavefront6targetE0EEEvT1_.has_recursion, 0
	.set _ZN7rocprim17ROCPRIM_400000_NS6detail17trampoline_kernelINS0_14default_configENS1_27scan_by_key_config_selectorIiiEEZZNS1_16scan_by_key_implILNS1_25lookback_scan_determinismE0ELb0ES3_N6thrust23THRUST_200600_302600_NS6detail15normal_iteratorINS9_10device_ptrIiEEEESE_SE_iNS9_4plusIvEENS9_8equal_toIvEEiEE10hipError_tPvRmT2_T3_T4_T5_mT6_T7_P12ihipStream_tbENKUlT_T0_E_clISt17integral_constantIbLb1EESZ_EEDaSU_SV_EUlSU_E_NS1_11comp_targetILNS1_3genE2ELNS1_11target_archE906ELNS1_3gpuE6ELNS1_3repE0EEENS1_30default_config_static_selectorELNS0_4arch9wavefront6targetE0EEEvT1_.has_indirect_call, 0
	.section	.AMDGPU.csdata,"",@progbits
; Kernel info:
; codeLenInByte = 0
; TotalNumSgprs: 0
; NumVgprs: 0
; ScratchSize: 0
; MemoryBound: 0
; FloatMode: 240
; IeeeMode: 1
; LDSByteSize: 0 bytes/workgroup (compile time only)
; SGPRBlocks: 0
; VGPRBlocks: 0
; NumSGPRsForWavesPerEU: 1
; NumVGPRsForWavesPerEU: 1
; NamedBarCnt: 0
; Occupancy: 16
; WaveLimiterHint : 0
; COMPUTE_PGM_RSRC2:SCRATCH_EN: 0
; COMPUTE_PGM_RSRC2:USER_SGPR: 2
; COMPUTE_PGM_RSRC2:TRAP_HANDLER: 0
; COMPUTE_PGM_RSRC2:TGID_X_EN: 1
; COMPUTE_PGM_RSRC2:TGID_Y_EN: 0
; COMPUTE_PGM_RSRC2:TGID_Z_EN: 0
; COMPUTE_PGM_RSRC2:TIDIG_COMP_CNT: 0
	.section	.text._ZN7rocprim17ROCPRIM_400000_NS6detail17trampoline_kernelINS0_14default_configENS1_27scan_by_key_config_selectorIiiEEZZNS1_16scan_by_key_implILNS1_25lookback_scan_determinismE0ELb0ES3_N6thrust23THRUST_200600_302600_NS6detail15normal_iteratorINS9_10device_ptrIiEEEESE_SE_iNS9_4plusIvEENS9_8equal_toIvEEiEE10hipError_tPvRmT2_T3_T4_T5_mT6_T7_P12ihipStream_tbENKUlT_T0_E_clISt17integral_constantIbLb1EESZ_EEDaSU_SV_EUlSU_E_NS1_11comp_targetILNS1_3genE10ELNS1_11target_archE1200ELNS1_3gpuE4ELNS1_3repE0EEENS1_30default_config_static_selectorELNS0_4arch9wavefront6targetE0EEEvT1_,"axG",@progbits,_ZN7rocprim17ROCPRIM_400000_NS6detail17trampoline_kernelINS0_14default_configENS1_27scan_by_key_config_selectorIiiEEZZNS1_16scan_by_key_implILNS1_25lookback_scan_determinismE0ELb0ES3_N6thrust23THRUST_200600_302600_NS6detail15normal_iteratorINS9_10device_ptrIiEEEESE_SE_iNS9_4plusIvEENS9_8equal_toIvEEiEE10hipError_tPvRmT2_T3_T4_T5_mT6_T7_P12ihipStream_tbENKUlT_T0_E_clISt17integral_constantIbLb1EESZ_EEDaSU_SV_EUlSU_E_NS1_11comp_targetILNS1_3genE10ELNS1_11target_archE1200ELNS1_3gpuE4ELNS1_3repE0EEENS1_30default_config_static_selectorELNS0_4arch9wavefront6targetE0EEEvT1_,comdat
	.protected	_ZN7rocprim17ROCPRIM_400000_NS6detail17trampoline_kernelINS0_14default_configENS1_27scan_by_key_config_selectorIiiEEZZNS1_16scan_by_key_implILNS1_25lookback_scan_determinismE0ELb0ES3_N6thrust23THRUST_200600_302600_NS6detail15normal_iteratorINS9_10device_ptrIiEEEESE_SE_iNS9_4plusIvEENS9_8equal_toIvEEiEE10hipError_tPvRmT2_T3_T4_T5_mT6_T7_P12ihipStream_tbENKUlT_T0_E_clISt17integral_constantIbLb1EESZ_EEDaSU_SV_EUlSU_E_NS1_11comp_targetILNS1_3genE10ELNS1_11target_archE1200ELNS1_3gpuE4ELNS1_3repE0EEENS1_30default_config_static_selectorELNS0_4arch9wavefront6targetE0EEEvT1_ ; -- Begin function _ZN7rocprim17ROCPRIM_400000_NS6detail17trampoline_kernelINS0_14default_configENS1_27scan_by_key_config_selectorIiiEEZZNS1_16scan_by_key_implILNS1_25lookback_scan_determinismE0ELb0ES3_N6thrust23THRUST_200600_302600_NS6detail15normal_iteratorINS9_10device_ptrIiEEEESE_SE_iNS9_4plusIvEENS9_8equal_toIvEEiEE10hipError_tPvRmT2_T3_T4_T5_mT6_T7_P12ihipStream_tbENKUlT_T0_E_clISt17integral_constantIbLb1EESZ_EEDaSU_SV_EUlSU_E_NS1_11comp_targetILNS1_3genE10ELNS1_11target_archE1200ELNS1_3gpuE4ELNS1_3repE0EEENS1_30default_config_static_selectorELNS0_4arch9wavefront6targetE0EEEvT1_
	.globl	_ZN7rocprim17ROCPRIM_400000_NS6detail17trampoline_kernelINS0_14default_configENS1_27scan_by_key_config_selectorIiiEEZZNS1_16scan_by_key_implILNS1_25lookback_scan_determinismE0ELb0ES3_N6thrust23THRUST_200600_302600_NS6detail15normal_iteratorINS9_10device_ptrIiEEEESE_SE_iNS9_4plusIvEENS9_8equal_toIvEEiEE10hipError_tPvRmT2_T3_T4_T5_mT6_T7_P12ihipStream_tbENKUlT_T0_E_clISt17integral_constantIbLb1EESZ_EEDaSU_SV_EUlSU_E_NS1_11comp_targetILNS1_3genE10ELNS1_11target_archE1200ELNS1_3gpuE4ELNS1_3repE0EEENS1_30default_config_static_selectorELNS0_4arch9wavefront6targetE0EEEvT1_
	.p2align	8
	.type	_ZN7rocprim17ROCPRIM_400000_NS6detail17trampoline_kernelINS0_14default_configENS1_27scan_by_key_config_selectorIiiEEZZNS1_16scan_by_key_implILNS1_25lookback_scan_determinismE0ELb0ES3_N6thrust23THRUST_200600_302600_NS6detail15normal_iteratorINS9_10device_ptrIiEEEESE_SE_iNS9_4plusIvEENS9_8equal_toIvEEiEE10hipError_tPvRmT2_T3_T4_T5_mT6_T7_P12ihipStream_tbENKUlT_T0_E_clISt17integral_constantIbLb1EESZ_EEDaSU_SV_EUlSU_E_NS1_11comp_targetILNS1_3genE10ELNS1_11target_archE1200ELNS1_3gpuE4ELNS1_3repE0EEENS1_30default_config_static_selectorELNS0_4arch9wavefront6targetE0EEEvT1_,@function
_ZN7rocprim17ROCPRIM_400000_NS6detail17trampoline_kernelINS0_14default_configENS1_27scan_by_key_config_selectorIiiEEZZNS1_16scan_by_key_implILNS1_25lookback_scan_determinismE0ELb0ES3_N6thrust23THRUST_200600_302600_NS6detail15normal_iteratorINS9_10device_ptrIiEEEESE_SE_iNS9_4plusIvEENS9_8equal_toIvEEiEE10hipError_tPvRmT2_T3_T4_T5_mT6_T7_P12ihipStream_tbENKUlT_T0_E_clISt17integral_constantIbLb1EESZ_EEDaSU_SV_EUlSU_E_NS1_11comp_targetILNS1_3genE10ELNS1_11target_archE1200ELNS1_3gpuE4ELNS1_3repE0EEENS1_30default_config_static_selectorELNS0_4arch9wavefront6targetE0EEEvT1_: ; @_ZN7rocprim17ROCPRIM_400000_NS6detail17trampoline_kernelINS0_14default_configENS1_27scan_by_key_config_selectorIiiEEZZNS1_16scan_by_key_implILNS1_25lookback_scan_determinismE0ELb0ES3_N6thrust23THRUST_200600_302600_NS6detail15normal_iteratorINS9_10device_ptrIiEEEESE_SE_iNS9_4plusIvEENS9_8equal_toIvEEiEE10hipError_tPvRmT2_T3_T4_T5_mT6_T7_P12ihipStream_tbENKUlT_T0_E_clISt17integral_constantIbLb1EESZ_EEDaSU_SV_EUlSU_E_NS1_11comp_targetILNS1_3genE10ELNS1_11target_archE1200ELNS1_3gpuE4ELNS1_3repE0EEENS1_30default_config_static_selectorELNS0_4arch9wavefront6targetE0EEEvT1_
; %bb.0:
	.section	.rodata,"a",@progbits
	.p2align	6, 0x0
	.amdhsa_kernel _ZN7rocprim17ROCPRIM_400000_NS6detail17trampoline_kernelINS0_14default_configENS1_27scan_by_key_config_selectorIiiEEZZNS1_16scan_by_key_implILNS1_25lookback_scan_determinismE0ELb0ES3_N6thrust23THRUST_200600_302600_NS6detail15normal_iteratorINS9_10device_ptrIiEEEESE_SE_iNS9_4plusIvEENS9_8equal_toIvEEiEE10hipError_tPvRmT2_T3_T4_T5_mT6_T7_P12ihipStream_tbENKUlT_T0_E_clISt17integral_constantIbLb1EESZ_EEDaSU_SV_EUlSU_E_NS1_11comp_targetILNS1_3genE10ELNS1_11target_archE1200ELNS1_3gpuE4ELNS1_3repE0EEENS1_30default_config_static_selectorELNS0_4arch9wavefront6targetE0EEEvT1_
		.amdhsa_group_segment_fixed_size 0
		.amdhsa_private_segment_fixed_size 0
		.amdhsa_kernarg_size 112
		.amdhsa_user_sgpr_count 2
		.amdhsa_user_sgpr_dispatch_ptr 0
		.amdhsa_user_sgpr_queue_ptr 0
		.amdhsa_user_sgpr_kernarg_segment_ptr 1
		.amdhsa_user_sgpr_dispatch_id 0
		.amdhsa_user_sgpr_kernarg_preload_length 0
		.amdhsa_user_sgpr_kernarg_preload_offset 0
		.amdhsa_user_sgpr_private_segment_size 0
		.amdhsa_wavefront_size32 1
		.amdhsa_uses_dynamic_stack 0
		.amdhsa_enable_private_segment 0
		.amdhsa_system_sgpr_workgroup_id_x 1
		.amdhsa_system_sgpr_workgroup_id_y 0
		.amdhsa_system_sgpr_workgroup_id_z 0
		.amdhsa_system_sgpr_workgroup_info 0
		.amdhsa_system_vgpr_workitem_id 0
		.amdhsa_next_free_vgpr 1
		.amdhsa_next_free_sgpr 1
		.amdhsa_named_barrier_count 0
		.amdhsa_reserve_vcc 0
		.amdhsa_float_round_mode_32 0
		.amdhsa_float_round_mode_16_64 0
		.amdhsa_float_denorm_mode_32 3
		.amdhsa_float_denorm_mode_16_64 3
		.amdhsa_fp16_overflow 0
		.amdhsa_memory_ordered 1
		.amdhsa_forward_progress 1
		.amdhsa_inst_pref_size 0
		.amdhsa_round_robin_scheduling 0
		.amdhsa_exception_fp_ieee_invalid_op 0
		.amdhsa_exception_fp_denorm_src 0
		.amdhsa_exception_fp_ieee_div_zero 0
		.amdhsa_exception_fp_ieee_overflow 0
		.amdhsa_exception_fp_ieee_underflow 0
		.amdhsa_exception_fp_ieee_inexact 0
		.amdhsa_exception_int_div_zero 0
	.end_amdhsa_kernel
	.section	.text._ZN7rocprim17ROCPRIM_400000_NS6detail17trampoline_kernelINS0_14default_configENS1_27scan_by_key_config_selectorIiiEEZZNS1_16scan_by_key_implILNS1_25lookback_scan_determinismE0ELb0ES3_N6thrust23THRUST_200600_302600_NS6detail15normal_iteratorINS9_10device_ptrIiEEEESE_SE_iNS9_4plusIvEENS9_8equal_toIvEEiEE10hipError_tPvRmT2_T3_T4_T5_mT6_T7_P12ihipStream_tbENKUlT_T0_E_clISt17integral_constantIbLb1EESZ_EEDaSU_SV_EUlSU_E_NS1_11comp_targetILNS1_3genE10ELNS1_11target_archE1200ELNS1_3gpuE4ELNS1_3repE0EEENS1_30default_config_static_selectorELNS0_4arch9wavefront6targetE0EEEvT1_,"axG",@progbits,_ZN7rocprim17ROCPRIM_400000_NS6detail17trampoline_kernelINS0_14default_configENS1_27scan_by_key_config_selectorIiiEEZZNS1_16scan_by_key_implILNS1_25lookback_scan_determinismE0ELb0ES3_N6thrust23THRUST_200600_302600_NS6detail15normal_iteratorINS9_10device_ptrIiEEEESE_SE_iNS9_4plusIvEENS9_8equal_toIvEEiEE10hipError_tPvRmT2_T3_T4_T5_mT6_T7_P12ihipStream_tbENKUlT_T0_E_clISt17integral_constantIbLb1EESZ_EEDaSU_SV_EUlSU_E_NS1_11comp_targetILNS1_3genE10ELNS1_11target_archE1200ELNS1_3gpuE4ELNS1_3repE0EEENS1_30default_config_static_selectorELNS0_4arch9wavefront6targetE0EEEvT1_,comdat
.Lfunc_end139:
	.size	_ZN7rocprim17ROCPRIM_400000_NS6detail17trampoline_kernelINS0_14default_configENS1_27scan_by_key_config_selectorIiiEEZZNS1_16scan_by_key_implILNS1_25lookback_scan_determinismE0ELb0ES3_N6thrust23THRUST_200600_302600_NS6detail15normal_iteratorINS9_10device_ptrIiEEEESE_SE_iNS9_4plusIvEENS9_8equal_toIvEEiEE10hipError_tPvRmT2_T3_T4_T5_mT6_T7_P12ihipStream_tbENKUlT_T0_E_clISt17integral_constantIbLb1EESZ_EEDaSU_SV_EUlSU_E_NS1_11comp_targetILNS1_3genE10ELNS1_11target_archE1200ELNS1_3gpuE4ELNS1_3repE0EEENS1_30default_config_static_selectorELNS0_4arch9wavefront6targetE0EEEvT1_, .Lfunc_end139-_ZN7rocprim17ROCPRIM_400000_NS6detail17trampoline_kernelINS0_14default_configENS1_27scan_by_key_config_selectorIiiEEZZNS1_16scan_by_key_implILNS1_25lookback_scan_determinismE0ELb0ES3_N6thrust23THRUST_200600_302600_NS6detail15normal_iteratorINS9_10device_ptrIiEEEESE_SE_iNS9_4plusIvEENS9_8equal_toIvEEiEE10hipError_tPvRmT2_T3_T4_T5_mT6_T7_P12ihipStream_tbENKUlT_T0_E_clISt17integral_constantIbLb1EESZ_EEDaSU_SV_EUlSU_E_NS1_11comp_targetILNS1_3genE10ELNS1_11target_archE1200ELNS1_3gpuE4ELNS1_3repE0EEENS1_30default_config_static_selectorELNS0_4arch9wavefront6targetE0EEEvT1_
                                        ; -- End function
	.set _ZN7rocprim17ROCPRIM_400000_NS6detail17trampoline_kernelINS0_14default_configENS1_27scan_by_key_config_selectorIiiEEZZNS1_16scan_by_key_implILNS1_25lookback_scan_determinismE0ELb0ES3_N6thrust23THRUST_200600_302600_NS6detail15normal_iteratorINS9_10device_ptrIiEEEESE_SE_iNS9_4plusIvEENS9_8equal_toIvEEiEE10hipError_tPvRmT2_T3_T4_T5_mT6_T7_P12ihipStream_tbENKUlT_T0_E_clISt17integral_constantIbLb1EESZ_EEDaSU_SV_EUlSU_E_NS1_11comp_targetILNS1_3genE10ELNS1_11target_archE1200ELNS1_3gpuE4ELNS1_3repE0EEENS1_30default_config_static_selectorELNS0_4arch9wavefront6targetE0EEEvT1_.num_vgpr, 0
	.set _ZN7rocprim17ROCPRIM_400000_NS6detail17trampoline_kernelINS0_14default_configENS1_27scan_by_key_config_selectorIiiEEZZNS1_16scan_by_key_implILNS1_25lookback_scan_determinismE0ELb0ES3_N6thrust23THRUST_200600_302600_NS6detail15normal_iteratorINS9_10device_ptrIiEEEESE_SE_iNS9_4plusIvEENS9_8equal_toIvEEiEE10hipError_tPvRmT2_T3_T4_T5_mT6_T7_P12ihipStream_tbENKUlT_T0_E_clISt17integral_constantIbLb1EESZ_EEDaSU_SV_EUlSU_E_NS1_11comp_targetILNS1_3genE10ELNS1_11target_archE1200ELNS1_3gpuE4ELNS1_3repE0EEENS1_30default_config_static_selectorELNS0_4arch9wavefront6targetE0EEEvT1_.num_agpr, 0
	.set _ZN7rocprim17ROCPRIM_400000_NS6detail17trampoline_kernelINS0_14default_configENS1_27scan_by_key_config_selectorIiiEEZZNS1_16scan_by_key_implILNS1_25lookback_scan_determinismE0ELb0ES3_N6thrust23THRUST_200600_302600_NS6detail15normal_iteratorINS9_10device_ptrIiEEEESE_SE_iNS9_4plusIvEENS9_8equal_toIvEEiEE10hipError_tPvRmT2_T3_T4_T5_mT6_T7_P12ihipStream_tbENKUlT_T0_E_clISt17integral_constantIbLb1EESZ_EEDaSU_SV_EUlSU_E_NS1_11comp_targetILNS1_3genE10ELNS1_11target_archE1200ELNS1_3gpuE4ELNS1_3repE0EEENS1_30default_config_static_selectorELNS0_4arch9wavefront6targetE0EEEvT1_.numbered_sgpr, 0
	.set _ZN7rocprim17ROCPRIM_400000_NS6detail17trampoline_kernelINS0_14default_configENS1_27scan_by_key_config_selectorIiiEEZZNS1_16scan_by_key_implILNS1_25lookback_scan_determinismE0ELb0ES3_N6thrust23THRUST_200600_302600_NS6detail15normal_iteratorINS9_10device_ptrIiEEEESE_SE_iNS9_4plusIvEENS9_8equal_toIvEEiEE10hipError_tPvRmT2_T3_T4_T5_mT6_T7_P12ihipStream_tbENKUlT_T0_E_clISt17integral_constantIbLb1EESZ_EEDaSU_SV_EUlSU_E_NS1_11comp_targetILNS1_3genE10ELNS1_11target_archE1200ELNS1_3gpuE4ELNS1_3repE0EEENS1_30default_config_static_selectorELNS0_4arch9wavefront6targetE0EEEvT1_.num_named_barrier, 0
	.set _ZN7rocprim17ROCPRIM_400000_NS6detail17trampoline_kernelINS0_14default_configENS1_27scan_by_key_config_selectorIiiEEZZNS1_16scan_by_key_implILNS1_25lookback_scan_determinismE0ELb0ES3_N6thrust23THRUST_200600_302600_NS6detail15normal_iteratorINS9_10device_ptrIiEEEESE_SE_iNS9_4plusIvEENS9_8equal_toIvEEiEE10hipError_tPvRmT2_T3_T4_T5_mT6_T7_P12ihipStream_tbENKUlT_T0_E_clISt17integral_constantIbLb1EESZ_EEDaSU_SV_EUlSU_E_NS1_11comp_targetILNS1_3genE10ELNS1_11target_archE1200ELNS1_3gpuE4ELNS1_3repE0EEENS1_30default_config_static_selectorELNS0_4arch9wavefront6targetE0EEEvT1_.private_seg_size, 0
	.set _ZN7rocprim17ROCPRIM_400000_NS6detail17trampoline_kernelINS0_14default_configENS1_27scan_by_key_config_selectorIiiEEZZNS1_16scan_by_key_implILNS1_25lookback_scan_determinismE0ELb0ES3_N6thrust23THRUST_200600_302600_NS6detail15normal_iteratorINS9_10device_ptrIiEEEESE_SE_iNS9_4plusIvEENS9_8equal_toIvEEiEE10hipError_tPvRmT2_T3_T4_T5_mT6_T7_P12ihipStream_tbENKUlT_T0_E_clISt17integral_constantIbLb1EESZ_EEDaSU_SV_EUlSU_E_NS1_11comp_targetILNS1_3genE10ELNS1_11target_archE1200ELNS1_3gpuE4ELNS1_3repE0EEENS1_30default_config_static_selectorELNS0_4arch9wavefront6targetE0EEEvT1_.uses_vcc, 0
	.set _ZN7rocprim17ROCPRIM_400000_NS6detail17trampoline_kernelINS0_14default_configENS1_27scan_by_key_config_selectorIiiEEZZNS1_16scan_by_key_implILNS1_25lookback_scan_determinismE0ELb0ES3_N6thrust23THRUST_200600_302600_NS6detail15normal_iteratorINS9_10device_ptrIiEEEESE_SE_iNS9_4plusIvEENS9_8equal_toIvEEiEE10hipError_tPvRmT2_T3_T4_T5_mT6_T7_P12ihipStream_tbENKUlT_T0_E_clISt17integral_constantIbLb1EESZ_EEDaSU_SV_EUlSU_E_NS1_11comp_targetILNS1_3genE10ELNS1_11target_archE1200ELNS1_3gpuE4ELNS1_3repE0EEENS1_30default_config_static_selectorELNS0_4arch9wavefront6targetE0EEEvT1_.uses_flat_scratch, 0
	.set _ZN7rocprim17ROCPRIM_400000_NS6detail17trampoline_kernelINS0_14default_configENS1_27scan_by_key_config_selectorIiiEEZZNS1_16scan_by_key_implILNS1_25lookback_scan_determinismE0ELb0ES3_N6thrust23THRUST_200600_302600_NS6detail15normal_iteratorINS9_10device_ptrIiEEEESE_SE_iNS9_4plusIvEENS9_8equal_toIvEEiEE10hipError_tPvRmT2_T3_T4_T5_mT6_T7_P12ihipStream_tbENKUlT_T0_E_clISt17integral_constantIbLb1EESZ_EEDaSU_SV_EUlSU_E_NS1_11comp_targetILNS1_3genE10ELNS1_11target_archE1200ELNS1_3gpuE4ELNS1_3repE0EEENS1_30default_config_static_selectorELNS0_4arch9wavefront6targetE0EEEvT1_.has_dyn_sized_stack, 0
	.set _ZN7rocprim17ROCPRIM_400000_NS6detail17trampoline_kernelINS0_14default_configENS1_27scan_by_key_config_selectorIiiEEZZNS1_16scan_by_key_implILNS1_25lookback_scan_determinismE0ELb0ES3_N6thrust23THRUST_200600_302600_NS6detail15normal_iteratorINS9_10device_ptrIiEEEESE_SE_iNS9_4plusIvEENS9_8equal_toIvEEiEE10hipError_tPvRmT2_T3_T4_T5_mT6_T7_P12ihipStream_tbENKUlT_T0_E_clISt17integral_constantIbLb1EESZ_EEDaSU_SV_EUlSU_E_NS1_11comp_targetILNS1_3genE10ELNS1_11target_archE1200ELNS1_3gpuE4ELNS1_3repE0EEENS1_30default_config_static_selectorELNS0_4arch9wavefront6targetE0EEEvT1_.has_recursion, 0
	.set _ZN7rocprim17ROCPRIM_400000_NS6detail17trampoline_kernelINS0_14default_configENS1_27scan_by_key_config_selectorIiiEEZZNS1_16scan_by_key_implILNS1_25lookback_scan_determinismE0ELb0ES3_N6thrust23THRUST_200600_302600_NS6detail15normal_iteratorINS9_10device_ptrIiEEEESE_SE_iNS9_4plusIvEENS9_8equal_toIvEEiEE10hipError_tPvRmT2_T3_T4_T5_mT6_T7_P12ihipStream_tbENKUlT_T0_E_clISt17integral_constantIbLb1EESZ_EEDaSU_SV_EUlSU_E_NS1_11comp_targetILNS1_3genE10ELNS1_11target_archE1200ELNS1_3gpuE4ELNS1_3repE0EEENS1_30default_config_static_selectorELNS0_4arch9wavefront6targetE0EEEvT1_.has_indirect_call, 0
	.section	.AMDGPU.csdata,"",@progbits
; Kernel info:
; codeLenInByte = 0
; TotalNumSgprs: 0
; NumVgprs: 0
; ScratchSize: 0
; MemoryBound: 0
; FloatMode: 240
; IeeeMode: 1
; LDSByteSize: 0 bytes/workgroup (compile time only)
; SGPRBlocks: 0
; VGPRBlocks: 0
; NumSGPRsForWavesPerEU: 1
; NumVGPRsForWavesPerEU: 1
; NamedBarCnt: 0
; Occupancy: 16
; WaveLimiterHint : 0
; COMPUTE_PGM_RSRC2:SCRATCH_EN: 0
; COMPUTE_PGM_RSRC2:USER_SGPR: 2
; COMPUTE_PGM_RSRC2:TRAP_HANDLER: 0
; COMPUTE_PGM_RSRC2:TGID_X_EN: 1
; COMPUTE_PGM_RSRC2:TGID_Y_EN: 0
; COMPUTE_PGM_RSRC2:TGID_Z_EN: 0
; COMPUTE_PGM_RSRC2:TIDIG_COMP_CNT: 0
	.section	.text._ZN7rocprim17ROCPRIM_400000_NS6detail17trampoline_kernelINS0_14default_configENS1_27scan_by_key_config_selectorIiiEEZZNS1_16scan_by_key_implILNS1_25lookback_scan_determinismE0ELb0ES3_N6thrust23THRUST_200600_302600_NS6detail15normal_iteratorINS9_10device_ptrIiEEEESE_SE_iNS9_4plusIvEENS9_8equal_toIvEEiEE10hipError_tPvRmT2_T3_T4_T5_mT6_T7_P12ihipStream_tbENKUlT_T0_E_clISt17integral_constantIbLb1EESZ_EEDaSU_SV_EUlSU_E_NS1_11comp_targetILNS1_3genE9ELNS1_11target_archE1100ELNS1_3gpuE3ELNS1_3repE0EEENS1_30default_config_static_selectorELNS0_4arch9wavefront6targetE0EEEvT1_,"axG",@progbits,_ZN7rocprim17ROCPRIM_400000_NS6detail17trampoline_kernelINS0_14default_configENS1_27scan_by_key_config_selectorIiiEEZZNS1_16scan_by_key_implILNS1_25lookback_scan_determinismE0ELb0ES3_N6thrust23THRUST_200600_302600_NS6detail15normal_iteratorINS9_10device_ptrIiEEEESE_SE_iNS9_4plusIvEENS9_8equal_toIvEEiEE10hipError_tPvRmT2_T3_T4_T5_mT6_T7_P12ihipStream_tbENKUlT_T0_E_clISt17integral_constantIbLb1EESZ_EEDaSU_SV_EUlSU_E_NS1_11comp_targetILNS1_3genE9ELNS1_11target_archE1100ELNS1_3gpuE3ELNS1_3repE0EEENS1_30default_config_static_selectorELNS0_4arch9wavefront6targetE0EEEvT1_,comdat
	.protected	_ZN7rocprim17ROCPRIM_400000_NS6detail17trampoline_kernelINS0_14default_configENS1_27scan_by_key_config_selectorIiiEEZZNS1_16scan_by_key_implILNS1_25lookback_scan_determinismE0ELb0ES3_N6thrust23THRUST_200600_302600_NS6detail15normal_iteratorINS9_10device_ptrIiEEEESE_SE_iNS9_4plusIvEENS9_8equal_toIvEEiEE10hipError_tPvRmT2_T3_T4_T5_mT6_T7_P12ihipStream_tbENKUlT_T0_E_clISt17integral_constantIbLb1EESZ_EEDaSU_SV_EUlSU_E_NS1_11comp_targetILNS1_3genE9ELNS1_11target_archE1100ELNS1_3gpuE3ELNS1_3repE0EEENS1_30default_config_static_selectorELNS0_4arch9wavefront6targetE0EEEvT1_ ; -- Begin function _ZN7rocprim17ROCPRIM_400000_NS6detail17trampoline_kernelINS0_14default_configENS1_27scan_by_key_config_selectorIiiEEZZNS1_16scan_by_key_implILNS1_25lookback_scan_determinismE0ELb0ES3_N6thrust23THRUST_200600_302600_NS6detail15normal_iteratorINS9_10device_ptrIiEEEESE_SE_iNS9_4plusIvEENS9_8equal_toIvEEiEE10hipError_tPvRmT2_T3_T4_T5_mT6_T7_P12ihipStream_tbENKUlT_T0_E_clISt17integral_constantIbLb1EESZ_EEDaSU_SV_EUlSU_E_NS1_11comp_targetILNS1_3genE9ELNS1_11target_archE1100ELNS1_3gpuE3ELNS1_3repE0EEENS1_30default_config_static_selectorELNS0_4arch9wavefront6targetE0EEEvT1_
	.globl	_ZN7rocprim17ROCPRIM_400000_NS6detail17trampoline_kernelINS0_14default_configENS1_27scan_by_key_config_selectorIiiEEZZNS1_16scan_by_key_implILNS1_25lookback_scan_determinismE0ELb0ES3_N6thrust23THRUST_200600_302600_NS6detail15normal_iteratorINS9_10device_ptrIiEEEESE_SE_iNS9_4plusIvEENS9_8equal_toIvEEiEE10hipError_tPvRmT2_T3_T4_T5_mT6_T7_P12ihipStream_tbENKUlT_T0_E_clISt17integral_constantIbLb1EESZ_EEDaSU_SV_EUlSU_E_NS1_11comp_targetILNS1_3genE9ELNS1_11target_archE1100ELNS1_3gpuE3ELNS1_3repE0EEENS1_30default_config_static_selectorELNS0_4arch9wavefront6targetE0EEEvT1_
	.p2align	8
	.type	_ZN7rocprim17ROCPRIM_400000_NS6detail17trampoline_kernelINS0_14default_configENS1_27scan_by_key_config_selectorIiiEEZZNS1_16scan_by_key_implILNS1_25lookback_scan_determinismE0ELb0ES3_N6thrust23THRUST_200600_302600_NS6detail15normal_iteratorINS9_10device_ptrIiEEEESE_SE_iNS9_4plusIvEENS9_8equal_toIvEEiEE10hipError_tPvRmT2_T3_T4_T5_mT6_T7_P12ihipStream_tbENKUlT_T0_E_clISt17integral_constantIbLb1EESZ_EEDaSU_SV_EUlSU_E_NS1_11comp_targetILNS1_3genE9ELNS1_11target_archE1100ELNS1_3gpuE3ELNS1_3repE0EEENS1_30default_config_static_selectorELNS0_4arch9wavefront6targetE0EEEvT1_,@function
_ZN7rocprim17ROCPRIM_400000_NS6detail17trampoline_kernelINS0_14default_configENS1_27scan_by_key_config_selectorIiiEEZZNS1_16scan_by_key_implILNS1_25lookback_scan_determinismE0ELb0ES3_N6thrust23THRUST_200600_302600_NS6detail15normal_iteratorINS9_10device_ptrIiEEEESE_SE_iNS9_4plusIvEENS9_8equal_toIvEEiEE10hipError_tPvRmT2_T3_T4_T5_mT6_T7_P12ihipStream_tbENKUlT_T0_E_clISt17integral_constantIbLb1EESZ_EEDaSU_SV_EUlSU_E_NS1_11comp_targetILNS1_3genE9ELNS1_11target_archE1100ELNS1_3gpuE3ELNS1_3repE0EEENS1_30default_config_static_selectorELNS0_4arch9wavefront6targetE0EEEvT1_: ; @_ZN7rocprim17ROCPRIM_400000_NS6detail17trampoline_kernelINS0_14default_configENS1_27scan_by_key_config_selectorIiiEEZZNS1_16scan_by_key_implILNS1_25lookback_scan_determinismE0ELb0ES3_N6thrust23THRUST_200600_302600_NS6detail15normal_iteratorINS9_10device_ptrIiEEEESE_SE_iNS9_4plusIvEENS9_8equal_toIvEEiEE10hipError_tPvRmT2_T3_T4_T5_mT6_T7_P12ihipStream_tbENKUlT_T0_E_clISt17integral_constantIbLb1EESZ_EEDaSU_SV_EUlSU_E_NS1_11comp_targetILNS1_3genE9ELNS1_11target_archE1100ELNS1_3gpuE3ELNS1_3repE0EEENS1_30default_config_static_selectorELNS0_4arch9wavefront6targetE0EEEvT1_
; %bb.0:
	.section	.rodata,"a",@progbits
	.p2align	6, 0x0
	.amdhsa_kernel _ZN7rocprim17ROCPRIM_400000_NS6detail17trampoline_kernelINS0_14default_configENS1_27scan_by_key_config_selectorIiiEEZZNS1_16scan_by_key_implILNS1_25lookback_scan_determinismE0ELb0ES3_N6thrust23THRUST_200600_302600_NS6detail15normal_iteratorINS9_10device_ptrIiEEEESE_SE_iNS9_4plusIvEENS9_8equal_toIvEEiEE10hipError_tPvRmT2_T3_T4_T5_mT6_T7_P12ihipStream_tbENKUlT_T0_E_clISt17integral_constantIbLb1EESZ_EEDaSU_SV_EUlSU_E_NS1_11comp_targetILNS1_3genE9ELNS1_11target_archE1100ELNS1_3gpuE3ELNS1_3repE0EEENS1_30default_config_static_selectorELNS0_4arch9wavefront6targetE0EEEvT1_
		.amdhsa_group_segment_fixed_size 0
		.amdhsa_private_segment_fixed_size 0
		.amdhsa_kernarg_size 112
		.amdhsa_user_sgpr_count 2
		.amdhsa_user_sgpr_dispatch_ptr 0
		.amdhsa_user_sgpr_queue_ptr 0
		.amdhsa_user_sgpr_kernarg_segment_ptr 1
		.amdhsa_user_sgpr_dispatch_id 0
		.amdhsa_user_sgpr_kernarg_preload_length 0
		.amdhsa_user_sgpr_kernarg_preload_offset 0
		.amdhsa_user_sgpr_private_segment_size 0
		.amdhsa_wavefront_size32 1
		.amdhsa_uses_dynamic_stack 0
		.amdhsa_enable_private_segment 0
		.amdhsa_system_sgpr_workgroup_id_x 1
		.amdhsa_system_sgpr_workgroup_id_y 0
		.amdhsa_system_sgpr_workgroup_id_z 0
		.amdhsa_system_sgpr_workgroup_info 0
		.amdhsa_system_vgpr_workitem_id 0
		.amdhsa_next_free_vgpr 1
		.amdhsa_next_free_sgpr 1
		.amdhsa_named_barrier_count 0
		.amdhsa_reserve_vcc 0
		.amdhsa_float_round_mode_32 0
		.amdhsa_float_round_mode_16_64 0
		.amdhsa_float_denorm_mode_32 3
		.amdhsa_float_denorm_mode_16_64 3
		.amdhsa_fp16_overflow 0
		.amdhsa_memory_ordered 1
		.amdhsa_forward_progress 1
		.amdhsa_inst_pref_size 0
		.amdhsa_round_robin_scheduling 0
		.amdhsa_exception_fp_ieee_invalid_op 0
		.amdhsa_exception_fp_denorm_src 0
		.amdhsa_exception_fp_ieee_div_zero 0
		.amdhsa_exception_fp_ieee_overflow 0
		.amdhsa_exception_fp_ieee_underflow 0
		.amdhsa_exception_fp_ieee_inexact 0
		.amdhsa_exception_int_div_zero 0
	.end_amdhsa_kernel
	.section	.text._ZN7rocprim17ROCPRIM_400000_NS6detail17trampoline_kernelINS0_14default_configENS1_27scan_by_key_config_selectorIiiEEZZNS1_16scan_by_key_implILNS1_25lookback_scan_determinismE0ELb0ES3_N6thrust23THRUST_200600_302600_NS6detail15normal_iteratorINS9_10device_ptrIiEEEESE_SE_iNS9_4plusIvEENS9_8equal_toIvEEiEE10hipError_tPvRmT2_T3_T4_T5_mT6_T7_P12ihipStream_tbENKUlT_T0_E_clISt17integral_constantIbLb1EESZ_EEDaSU_SV_EUlSU_E_NS1_11comp_targetILNS1_3genE9ELNS1_11target_archE1100ELNS1_3gpuE3ELNS1_3repE0EEENS1_30default_config_static_selectorELNS0_4arch9wavefront6targetE0EEEvT1_,"axG",@progbits,_ZN7rocprim17ROCPRIM_400000_NS6detail17trampoline_kernelINS0_14default_configENS1_27scan_by_key_config_selectorIiiEEZZNS1_16scan_by_key_implILNS1_25lookback_scan_determinismE0ELb0ES3_N6thrust23THRUST_200600_302600_NS6detail15normal_iteratorINS9_10device_ptrIiEEEESE_SE_iNS9_4plusIvEENS9_8equal_toIvEEiEE10hipError_tPvRmT2_T3_T4_T5_mT6_T7_P12ihipStream_tbENKUlT_T0_E_clISt17integral_constantIbLb1EESZ_EEDaSU_SV_EUlSU_E_NS1_11comp_targetILNS1_3genE9ELNS1_11target_archE1100ELNS1_3gpuE3ELNS1_3repE0EEENS1_30default_config_static_selectorELNS0_4arch9wavefront6targetE0EEEvT1_,comdat
.Lfunc_end140:
	.size	_ZN7rocprim17ROCPRIM_400000_NS6detail17trampoline_kernelINS0_14default_configENS1_27scan_by_key_config_selectorIiiEEZZNS1_16scan_by_key_implILNS1_25lookback_scan_determinismE0ELb0ES3_N6thrust23THRUST_200600_302600_NS6detail15normal_iteratorINS9_10device_ptrIiEEEESE_SE_iNS9_4plusIvEENS9_8equal_toIvEEiEE10hipError_tPvRmT2_T3_T4_T5_mT6_T7_P12ihipStream_tbENKUlT_T0_E_clISt17integral_constantIbLb1EESZ_EEDaSU_SV_EUlSU_E_NS1_11comp_targetILNS1_3genE9ELNS1_11target_archE1100ELNS1_3gpuE3ELNS1_3repE0EEENS1_30default_config_static_selectorELNS0_4arch9wavefront6targetE0EEEvT1_, .Lfunc_end140-_ZN7rocprim17ROCPRIM_400000_NS6detail17trampoline_kernelINS0_14default_configENS1_27scan_by_key_config_selectorIiiEEZZNS1_16scan_by_key_implILNS1_25lookback_scan_determinismE0ELb0ES3_N6thrust23THRUST_200600_302600_NS6detail15normal_iteratorINS9_10device_ptrIiEEEESE_SE_iNS9_4plusIvEENS9_8equal_toIvEEiEE10hipError_tPvRmT2_T3_T4_T5_mT6_T7_P12ihipStream_tbENKUlT_T0_E_clISt17integral_constantIbLb1EESZ_EEDaSU_SV_EUlSU_E_NS1_11comp_targetILNS1_3genE9ELNS1_11target_archE1100ELNS1_3gpuE3ELNS1_3repE0EEENS1_30default_config_static_selectorELNS0_4arch9wavefront6targetE0EEEvT1_
                                        ; -- End function
	.set _ZN7rocprim17ROCPRIM_400000_NS6detail17trampoline_kernelINS0_14default_configENS1_27scan_by_key_config_selectorIiiEEZZNS1_16scan_by_key_implILNS1_25lookback_scan_determinismE0ELb0ES3_N6thrust23THRUST_200600_302600_NS6detail15normal_iteratorINS9_10device_ptrIiEEEESE_SE_iNS9_4plusIvEENS9_8equal_toIvEEiEE10hipError_tPvRmT2_T3_T4_T5_mT6_T7_P12ihipStream_tbENKUlT_T0_E_clISt17integral_constantIbLb1EESZ_EEDaSU_SV_EUlSU_E_NS1_11comp_targetILNS1_3genE9ELNS1_11target_archE1100ELNS1_3gpuE3ELNS1_3repE0EEENS1_30default_config_static_selectorELNS0_4arch9wavefront6targetE0EEEvT1_.num_vgpr, 0
	.set _ZN7rocprim17ROCPRIM_400000_NS6detail17trampoline_kernelINS0_14default_configENS1_27scan_by_key_config_selectorIiiEEZZNS1_16scan_by_key_implILNS1_25lookback_scan_determinismE0ELb0ES3_N6thrust23THRUST_200600_302600_NS6detail15normal_iteratorINS9_10device_ptrIiEEEESE_SE_iNS9_4plusIvEENS9_8equal_toIvEEiEE10hipError_tPvRmT2_T3_T4_T5_mT6_T7_P12ihipStream_tbENKUlT_T0_E_clISt17integral_constantIbLb1EESZ_EEDaSU_SV_EUlSU_E_NS1_11comp_targetILNS1_3genE9ELNS1_11target_archE1100ELNS1_3gpuE3ELNS1_3repE0EEENS1_30default_config_static_selectorELNS0_4arch9wavefront6targetE0EEEvT1_.num_agpr, 0
	.set _ZN7rocprim17ROCPRIM_400000_NS6detail17trampoline_kernelINS0_14default_configENS1_27scan_by_key_config_selectorIiiEEZZNS1_16scan_by_key_implILNS1_25lookback_scan_determinismE0ELb0ES3_N6thrust23THRUST_200600_302600_NS6detail15normal_iteratorINS9_10device_ptrIiEEEESE_SE_iNS9_4plusIvEENS9_8equal_toIvEEiEE10hipError_tPvRmT2_T3_T4_T5_mT6_T7_P12ihipStream_tbENKUlT_T0_E_clISt17integral_constantIbLb1EESZ_EEDaSU_SV_EUlSU_E_NS1_11comp_targetILNS1_3genE9ELNS1_11target_archE1100ELNS1_3gpuE3ELNS1_3repE0EEENS1_30default_config_static_selectorELNS0_4arch9wavefront6targetE0EEEvT1_.numbered_sgpr, 0
	.set _ZN7rocprim17ROCPRIM_400000_NS6detail17trampoline_kernelINS0_14default_configENS1_27scan_by_key_config_selectorIiiEEZZNS1_16scan_by_key_implILNS1_25lookback_scan_determinismE0ELb0ES3_N6thrust23THRUST_200600_302600_NS6detail15normal_iteratorINS9_10device_ptrIiEEEESE_SE_iNS9_4plusIvEENS9_8equal_toIvEEiEE10hipError_tPvRmT2_T3_T4_T5_mT6_T7_P12ihipStream_tbENKUlT_T0_E_clISt17integral_constantIbLb1EESZ_EEDaSU_SV_EUlSU_E_NS1_11comp_targetILNS1_3genE9ELNS1_11target_archE1100ELNS1_3gpuE3ELNS1_3repE0EEENS1_30default_config_static_selectorELNS0_4arch9wavefront6targetE0EEEvT1_.num_named_barrier, 0
	.set _ZN7rocprim17ROCPRIM_400000_NS6detail17trampoline_kernelINS0_14default_configENS1_27scan_by_key_config_selectorIiiEEZZNS1_16scan_by_key_implILNS1_25lookback_scan_determinismE0ELb0ES3_N6thrust23THRUST_200600_302600_NS6detail15normal_iteratorINS9_10device_ptrIiEEEESE_SE_iNS9_4plusIvEENS9_8equal_toIvEEiEE10hipError_tPvRmT2_T3_T4_T5_mT6_T7_P12ihipStream_tbENKUlT_T0_E_clISt17integral_constantIbLb1EESZ_EEDaSU_SV_EUlSU_E_NS1_11comp_targetILNS1_3genE9ELNS1_11target_archE1100ELNS1_3gpuE3ELNS1_3repE0EEENS1_30default_config_static_selectorELNS0_4arch9wavefront6targetE0EEEvT1_.private_seg_size, 0
	.set _ZN7rocprim17ROCPRIM_400000_NS6detail17trampoline_kernelINS0_14default_configENS1_27scan_by_key_config_selectorIiiEEZZNS1_16scan_by_key_implILNS1_25lookback_scan_determinismE0ELb0ES3_N6thrust23THRUST_200600_302600_NS6detail15normal_iteratorINS9_10device_ptrIiEEEESE_SE_iNS9_4plusIvEENS9_8equal_toIvEEiEE10hipError_tPvRmT2_T3_T4_T5_mT6_T7_P12ihipStream_tbENKUlT_T0_E_clISt17integral_constantIbLb1EESZ_EEDaSU_SV_EUlSU_E_NS1_11comp_targetILNS1_3genE9ELNS1_11target_archE1100ELNS1_3gpuE3ELNS1_3repE0EEENS1_30default_config_static_selectorELNS0_4arch9wavefront6targetE0EEEvT1_.uses_vcc, 0
	.set _ZN7rocprim17ROCPRIM_400000_NS6detail17trampoline_kernelINS0_14default_configENS1_27scan_by_key_config_selectorIiiEEZZNS1_16scan_by_key_implILNS1_25lookback_scan_determinismE0ELb0ES3_N6thrust23THRUST_200600_302600_NS6detail15normal_iteratorINS9_10device_ptrIiEEEESE_SE_iNS9_4plusIvEENS9_8equal_toIvEEiEE10hipError_tPvRmT2_T3_T4_T5_mT6_T7_P12ihipStream_tbENKUlT_T0_E_clISt17integral_constantIbLb1EESZ_EEDaSU_SV_EUlSU_E_NS1_11comp_targetILNS1_3genE9ELNS1_11target_archE1100ELNS1_3gpuE3ELNS1_3repE0EEENS1_30default_config_static_selectorELNS0_4arch9wavefront6targetE0EEEvT1_.uses_flat_scratch, 0
	.set _ZN7rocprim17ROCPRIM_400000_NS6detail17trampoline_kernelINS0_14default_configENS1_27scan_by_key_config_selectorIiiEEZZNS1_16scan_by_key_implILNS1_25lookback_scan_determinismE0ELb0ES3_N6thrust23THRUST_200600_302600_NS6detail15normal_iteratorINS9_10device_ptrIiEEEESE_SE_iNS9_4plusIvEENS9_8equal_toIvEEiEE10hipError_tPvRmT2_T3_T4_T5_mT6_T7_P12ihipStream_tbENKUlT_T0_E_clISt17integral_constantIbLb1EESZ_EEDaSU_SV_EUlSU_E_NS1_11comp_targetILNS1_3genE9ELNS1_11target_archE1100ELNS1_3gpuE3ELNS1_3repE0EEENS1_30default_config_static_selectorELNS0_4arch9wavefront6targetE0EEEvT1_.has_dyn_sized_stack, 0
	.set _ZN7rocprim17ROCPRIM_400000_NS6detail17trampoline_kernelINS0_14default_configENS1_27scan_by_key_config_selectorIiiEEZZNS1_16scan_by_key_implILNS1_25lookback_scan_determinismE0ELb0ES3_N6thrust23THRUST_200600_302600_NS6detail15normal_iteratorINS9_10device_ptrIiEEEESE_SE_iNS9_4plusIvEENS9_8equal_toIvEEiEE10hipError_tPvRmT2_T3_T4_T5_mT6_T7_P12ihipStream_tbENKUlT_T0_E_clISt17integral_constantIbLb1EESZ_EEDaSU_SV_EUlSU_E_NS1_11comp_targetILNS1_3genE9ELNS1_11target_archE1100ELNS1_3gpuE3ELNS1_3repE0EEENS1_30default_config_static_selectorELNS0_4arch9wavefront6targetE0EEEvT1_.has_recursion, 0
	.set _ZN7rocprim17ROCPRIM_400000_NS6detail17trampoline_kernelINS0_14default_configENS1_27scan_by_key_config_selectorIiiEEZZNS1_16scan_by_key_implILNS1_25lookback_scan_determinismE0ELb0ES3_N6thrust23THRUST_200600_302600_NS6detail15normal_iteratorINS9_10device_ptrIiEEEESE_SE_iNS9_4plusIvEENS9_8equal_toIvEEiEE10hipError_tPvRmT2_T3_T4_T5_mT6_T7_P12ihipStream_tbENKUlT_T0_E_clISt17integral_constantIbLb1EESZ_EEDaSU_SV_EUlSU_E_NS1_11comp_targetILNS1_3genE9ELNS1_11target_archE1100ELNS1_3gpuE3ELNS1_3repE0EEENS1_30default_config_static_selectorELNS0_4arch9wavefront6targetE0EEEvT1_.has_indirect_call, 0
	.section	.AMDGPU.csdata,"",@progbits
; Kernel info:
; codeLenInByte = 0
; TotalNumSgprs: 0
; NumVgprs: 0
; ScratchSize: 0
; MemoryBound: 0
; FloatMode: 240
; IeeeMode: 1
; LDSByteSize: 0 bytes/workgroup (compile time only)
; SGPRBlocks: 0
; VGPRBlocks: 0
; NumSGPRsForWavesPerEU: 1
; NumVGPRsForWavesPerEU: 1
; NamedBarCnt: 0
; Occupancy: 16
; WaveLimiterHint : 0
; COMPUTE_PGM_RSRC2:SCRATCH_EN: 0
; COMPUTE_PGM_RSRC2:USER_SGPR: 2
; COMPUTE_PGM_RSRC2:TRAP_HANDLER: 0
; COMPUTE_PGM_RSRC2:TGID_X_EN: 1
; COMPUTE_PGM_RSRC2:TGID_Y_EN: 0
; COMPUTE_PGM_RSRC2:TGID_Z_EN: 0
; COMPUTE_PGM_RSRC2:TIDIG_COMP_CNT: 0
	.section	.text._ZN7rocprim17ROCPRIM_400000_NS6detail17trampoline_kernelINS0_14default_configENS1_27scan_by_key_config_selectorIiiEEZZNS1_16scan_by_key_implILNS1_25lookback_scan_determinismE0ELb0ES3_N6thrust23THRUST_200600_302600_NS6detail15normal_iteratorINS9_10device_ptrIiEEEESE_SE_iNS9_4plusIvEENS9_8equal_toIvEEiEE10hipError_tPvRmT2_T3_T4_T5_mT6_T7_P12ihipStream_tbENKUlT_T0_E_clISt17integral_constantIbLb1EESZ_EEDaSU_SV_EUlSU_E_NS1_11comp_targetILNS1_3genE8ELNS1_11target_archE1030ELNS1_3gpuE2ELNS1_3repE0EEENS1_30default_config_static_selectorELNS0_4arch9wavefront6targetE0EEEvT1_,"axG",@progbits,_ZN7rocprim17ROCPRIM_400000_NS6detail17trampoline_kernelINS0_14default_configENS1_27scan_by_key_config_selectorIiiEEZZNS1_16scan_by_key_implILNS1_25lookback_scan_determinismE0ELb0ES3_N6thrust23THRUST_200600_302600_NS6detail15normal_iteratorINS9_10device_ptrIiEEEESE_SE_iNS9_4plusIvEENS9_8equal_toIvEEiEE10hipError_tPvRmT2_T3_T4_T5_mT6_T7_P12ihipStream_tbENKUlT_T0_E_clISt17integral_constantIbLb1EESZ_EEDaSU_SV_EUlSU_E_NS1_11comp_targetILNS1_3genE8ELNS1_11target_archE1030ELNS1_3gpuE2ELNS1_3repE0EEENS1_30default_config_static_selectorELNS0_4arch9wavefront6targetE0EEEvT1_,comdat
	.protected	_ZN7rocprim17ROCPRIM_400000_NS6detail17trampoline_kernelINS0_14default_configENS1_27scan_by_key_config_selectorIiiEEZZNS1_16scan_by_key_implILNS1_25lookback_scan_determinismE0ELb0ES3_N6thrust23THRUST_200600_302600_NS6detail15normal_iteratorINS9_10device_ptrIiEEEESE_SE_iNS9_4plusIvEENS9_8equal_toIvEEiEE10hipError_tPvRmT2_T3_T4_T5_mT6_T7_P12ihipStream_tbENKUlT_T0_E_clISt17integral_constantIbLb1EESZ_EEDaSU_SV_EUlSU_E_NS1_11comp_targetILNS1_3genE8ELNS1_11target_archE1030ELNS1_3gpuE2ELNS1_3repE0EEENS1_30default_config_static_selectorELNS0_4arch9wavefront6targetE0EEEvT1_ ; -- Begin function _ZN7rocprim17ROCPRIM_400000_NS6detail17trampoline_kernelINS0_14default_configENS1_27scan_by_key_config_selectorIiiEEZZNS1_16scan_by_key_implILNS1_25lookback_scan_determinismE0ELb0ES3_N6thrust23THRUST_200600_302600_NS6detail15normal_iteratorINS9_10device_ptrIiEEEESE_SE_iNS9_4plusIvEENS9_8equal_toIvEEiEE10hipError_tPvRmT2_T3_T4_T5_mT6_T7_P12ihipStream_tbENKUlT_T0_E_clISt17integral_constantIbLb1EESZ_EEDaSU_SV_EUlSU_E_NS1_11comp_targetILNS1_3genE8ELNS1_11target_archE1030ELNS1_3gpuE2ELNS1_3repE0EEENS1_30default_config_static_selectorELNS0_4arch9wavefront6targetE0EEEvT1_
	.globl	_ZN7rocprim17ROCPRIM_400000_NS6detail17trampoline_kernelINS0_14default_configENS1_27scan_by_key_config_selectorIiiEEZZNS1_16scan_by_key_implILNS1_25lookback_scan_determinismE0ELb0ES3_N6thrust23THRUST_200600_302600_NS6detail15normal_iteratorINS9_10device_ptrIiEEEESE_SE_iNS9_4plusIvEENS9_8equal_toIvEEiEE10hipError_tPvRmT2_T3_T4_T5_mT6_T7_P12ihipStream_tbENKUlT_T0_E_clISt17integral_constantIbLb1EESZ_EEDaSU_SV_EUlSU_E_NS1_11comp_targetILNS1_3genE8ELNS1_11target_archE1030ELNS1_3gpuE2ELNS1_3repE0EEENS1_30default_config_static_selectorELNS0_4arch9wavefront6targetE0EEEvT1_
	.p2align	8
	.type	_ZN7rocprim17ROCPRIM_400000_NS6detail17trampoline_kernelINS0_14default_configENS1_27scan_by_key_config_selectorIiiEEZZNS1_16scan_by_key_implILNS1_25lookback_scan_determinismE0ELb0ES3_N6thrust23THRUST_200600_302600_NS6detail15normal_iteratorINS9_10device_ptrIiEEEESE_SE_iNS9_4plusIvEENS9_8equal_toIvEEiEE10hipError_tPvRmT2_T3_T4_T5_mT6_T7_P12ihipStream_tbENKUlT_T0_E_clISt17integral_constantIbLb1EESZ_EEDaSU_SV_EUlSU_E_NS1_11comp_targetILNS1_3genE8ELNS1_11target_archE1030ELNS1_3gpuE2ELNS1_3repE0EEENS1_30default_config_static_selectorELNS0_4arch9wavefront6targetE0EEEvT1_,@function
_ZN7rocprim17ROCPRIM_400000_NS6detail17trampoline_kernelINS0_14default_configENS1_27scan_by_key_config_selectorIiiEEZZNS1_16scan_by_key_implILNS1_25lookback_scan_determinismE0ELb0ES3_N6thrust23THRUST_200600_302600_NS6detail15normal_iteratorINS9_10device_ptrIiEEEESE_SE_iNS9_4plusIvEENS9_8equal_toIvEEiEE10hipError_tPvRmT2_T3_T4_T5_mT6_T7_P12ihipStream_tbENKUlT_T0_E_clISt17integral_constantIbLb1EESZ_EEDaSU_SV_EUlSU_E_NS1_11comp_targetILNS1_3genE8ELNS1_11target_archE1030ELNS1_3gpuE2ELNS1_3repE0EEENS1_30default_config_static_selectorELNS0_4arch9wavefront6targetE0EEEvT1_: ; @_ZN7rocprim17ROCPRIM_400000_NS6detail17trampoline_kernelINS0_14default_configENS1_27scan_by_key_config_selectorIiiEEZZNS1_16scan_by_key_implILNS1_25lookback_scan_determinismE0ELb0ES3_N6thrust23THRUST_200600_302600_NS6detail15normal_iteratorINS9_10device_ptrIiEEEESE_SE_iNS9_4plusIvEENS9_8equal_toIvEEiEE10hipError_tPvRmT2_T3_T4_T5_mT6_T7_P12ihipStream_tbENKUlT_T0_E_clISt17integral_constantIbLb1EESZ_EEDaSU_SV_EUlSU_E_NS1_11comp_targetILNS1_3genE8ELNS1_11target_archE1030ELNS1_3gpuE2ELNS1_3repE0EEENS1_30default_config_static_selectorELNS0_4arch9wavefront6targetE0EEEvT1_
; %bb.0:
	.section	.rodata,"a",@progbits
	.p2align	6, 0x0
	.amdhsa_kernel _ZN7rocprim17ROCPRIM_400000_NS6detail17trampoline_kernelINS0_14default_configENS1_27scan_by_key_config_selectorIiiEEZZNS1_16scan_by_key_implILNS1_25lookback_scan_determinismE0ELb0ES3_N6thrust23THRUST_200600_302600_NS6detail15normal_iteratorINS9_10device_ptrIiEEEESE_SE_iNS9_4plusIvEENS9_8equal_toIvEEiEE10hipError_tPvRmT2_T3_T4_T5_mT6_T7_P12ihipStream_tbENKUlT_T0_E_clISt17integral_constantIbLb1EESZ_EEDaSU_SV_EUlSU_E_NS1_11comp_targetILNS1_3genE8ELNS1_11target_archE1030ELNS1_3gpuE2ELNS1_3repE0EEENS1_30default_config_static_selectorELNS0_4arch9wavefront6targetE0EEEvT1_
		.amdhsa_group_segment_fixed_size 0
		.amdhsa_private_segment_fixed_size 0
		.amdhsa_kernarg_size 112
		.amdhsa_user_sgpr_count 2
		.amdhsa_user_sgpr_dispatch_ptr 0
		.amdhsa_user_sgpr_queue_ptr 0
		.amdhsa_user_sgpr_kernarg_segment_ptr 1
		.amdhsa_user_sgpr_dispatch_id 0
		.amdhsa_user_sgpr_kernarg_preload_length 0
		.amdhsa_user_sgpr_kernarg_preload_offset 0
		.amdhsa_user_sgpr_private_segment_size 0
		.amdhsa_wavefront_size32 1
		.amdhsa_uses_dynamic_stack 0
		.amdhsa_enable_private_segment 0
		.amdhsa_system_sgpr_workgroup_id_x 1
		.amdhsa_system_sgpr_workgroup_id_y 0
		.amdhsa_system_sgpr_workgroup_id_z 0
		.amdhsa_system_sgpr_workgroup_info 0
		.amdhsa_system_vgpr_workitem_id 0
		.amdhsa_next_free_vgpr 1
		.amdhsa_next_free_sgpr 1
		.amdhsa_named_barrier_count 0
		.amdhsa_reserve_vcc 0
		.amdhsa_float_round_mode_32 0
		.amdhsa_float_round_mode_16_64 0
		.amdhsa_float_denorm_mode_32 3
		.amdhsa_float_denorm_mode_16_64 3
		.amdhsa_fp16_overflow 0
		.amdhsa_memory_ordered 1
		.amdhsa_forward_progress 1
		.amdhsa_inst_pref_size 0
		.amdhsa_round_robin_scheduling 0
		.amdhsa_exception_fp_ieee_invalid_op 0
		.amdhsa_exception_fp_denorm_src 0
		.amdhsa_exception_fp_ieee_div_zero 0
		.amdhsa_exception_fp_ieee_overflow 0
		.amdhsa_exception_fp_ieee_underflow 0
		.amdhsa_exception_fp_ieee_inexact 0
		.amdhsa_exception_int_div_zero 0
	.end_amdhsa_kernel
	.section	.text._ZN7rocprim17ROCPRIM_400000_NS6detail17trampoline_kernelINS0_14default_configENS1_27scan_by_key_config_selectorIiiEEZZNS1_16scan_by_key_implILNS1_25lookback_scan_determinismE0ELb0ES3_N6thrust23THRUST_200600_302600_NS6detail15normal_iteratorINS9_10device_ptrIiEEEESE_SE_iNS9_4plusIvEENS9_8equal_toIvEEiEE10hipError_tPvRmT2_T3_T4_T5_mT6_T7_P12ihipStream_tbENKUlT_T0_E_clISt17integral_constantIbLb1EESZ_EEDaSU_SV_EUlSU_E_NS1_11comp_targetILNS1_3genE8ELNS1_11target_archE1030ELNS1_3gpuE2ELNS1_3repE0EEENS1_30default_config_static_selectorELNS0_4arch9wavefront6targetE0EEEvT1_,"axG",@progbits,_ZN7rocprim17ROCPRIM_400000_NS6detail17trampoline_kernelINS0_14default_configENS1_27scan_by_key_config_selectorIiiEEZZNS1_16scan_by_key_implILNS1_25lookback_scan_determinismE0ELb0ES3_N6thrust23THRUST_200600_302600_NS6detail15normal_iteratorINS9_10device_ptrIiEEEESE_SE_iNS9_4plusIvEENS9_8equal_toIvEEiEE10hipError_tPvRmT2_T3_T4_T5_mT6_T7_P12ihipStream_tbENKUlT_T0_E_clISt17integral_constantIbLb1EESZ_EEDaSU_SV_EUlSU_E_NS1_11comp_targetILNS1_3genE8ELNS1_11target_archE1030ELNS1_3gpuE2ELNS1_3repE0EEENS1_30default_config_static_selectorELNS0_4arch9wavefront6targetE0EEEvT1_,comdat
.Lfunc_end141:
	.size	_ZN7rocprim17ROCPRIM_400000_NS6detail17trampoline_kernelINS0_14default_configENS1_27scan_by_key_config_selectorIiiEEZZNS1_16scan_by_key_implILNS1_25lookback_scan_determinismE0ELb0ES3_N6thrust23THRUST_200600_302600_NS6detail15normal_iteratorINS9_10device_ptrIiEEEESE_SE_iNS9_4plusIvEENS9_8equal_toIvEEiEE10hipError_tPvRmT2_T3_T4_T5_mT6_T7_P12ihipStream_tbENKUlT_T0_E_clISt17integral_constantIbLb1EESZ_EEDaSU_SV_EUlSU_E_NS1_11comp_targetILNS1_3genE8ELNS1_11target_archE1030ELNS1_3gpuE2ELNS1_3repE0EEENS1_30default_config_static_selectorELNS0_4arch9wavefront6targetE0EEEvT1_, .Lfunc_end141-_ZN7rocprim17ROCPRIM_400000_NS6detail17trampoline_kernelINS0_14default_configENS1_27scan_by_key_config_selectorIiiEEZZNS1_16scan_by_key_implILNS1_25lookback_scan_determinismE0ELb0ES3_N6thrust23THRUST_200600_302600_NS6detail15normal_iteratorINS9_10device_ptrIiEEEESE_SE_iNS9_4plusIvEENS9_8equal_toIvEEiEE10hipError_tPvRmT2_T3_T4_T5_mT6_T7_P12ihipStream_tbENKUlT_T0_E_clISt17integral_constantIbLb1EESZ_EEDaSU_SV_EUlSU_E_NS1_11comp_targetILNS1_3genE8ELNS1_11target_archE1030ELNS1_3gpuE2ELNS1_3repE0EEENS1_30default_config_static_selectorELNS0_4arch9wavefront6targetE0EEEvT1_
                                        ; -- End function
	.set _ZN7rocprim17ROCPRIM_400000_NS6detail17trampoline_kernelINS0_14default_configENS1_27scan_by_key_config_selectorIiiEEZZNS1_16scan_by_key_implILNS1_25lookback_scan_determinismE0ELb0ES3_N6thrust23THRUST_200600_302600_NS6detail15normal_iteratorINS9_10device_ptrIiEEEESE_SE_iNS9_4plusIvEENS9_8equal_toIvEEiEE10hipError_tPvRmT2_T3_T4_T5_mT6_T7_P12ihipStream_tbENKUlT_T0_E_clISt17integral_constantIbLb1EESZ_EEDaSU_SV_EUlSU_E_NS1_11comp_targetILNS1_3genE8ELNS1_11target_archE1030ELNS1_3gpuE2ELNS1_3repE0EEENS1_30default_config_static_selectorELNS0_4arch9wavefront6targetE0EEEvT1_.num_vgpr, 0
	.set _ZN7rocprim17ROCPRIM_400000_NS6detail17trampoline_kernelINS0_14default_configENS1_27scan_by_key_config_selectorIiiEEZZNS1_16scan_by_key_implILNS1_25lookback_scan_determinismE0ELb0ES3_N6thrust23THRUST_200600_302600_NS6detail15normal_iteratorINS9_10device_ptrIiEEEESE_SE_iNS9_4plusIvEENS9_8equal_toIvEEiEE10hipError_tPvRmT2_T3_T4_T5_mT6_T7_P12ihipStream_tbENKUlT_T0_E_clISt17integral_constantIbLb1EESZ_EEDaSU_SV_EUlSU_E_NS1_11comp_targetILNS1_3genE8ELNS1_11target_archE1030ELNS1_3gpuE2ELNS1_3repE0EEENS1_30default_config_static_selectorELNS0_4arch9wavefront6targetE0EEEvT1_.num_agpr, 0
	.set _ZN7rocprim17ROCPRIM_400000_NS6detail17trampoline_kernelINS0_14default_configENS1_27scan_by_key_config_selectorIiiEEZZNS1_16scan_by_key_implILNS1_25lookback_scan_determinismE0ELb0ES3_N6thrust23THRUST_200600_302600_NS6detail15normal_iteratorINS9_10device_ptrIiEEEESE_SE_iNS9_4plusIvEENS9_8equal_toIvEEiEE10hipError_tPvRmT2_T3_T4_T5_mT6_T7_P12ihipStream_tbENKUlT_T0_E_clISt17integral_constantIbLb1EESZ_EEDaSU_SV_EUlSU_E_NS1_11comp_targetILNS1_3genE8ELNS1_11target_archE1030ELNS1_3gpuE2ELNS1_3repE0EEENS1_30default_config_static_selectorELNS0_4arch9wavefront6targetE0EEEvT1_.numbered_sgpr, 0
	.set _ZN7rocprim17ROCPRIM_400000_NS6detail17trampoline_kernelINS0_14default_configENS1_27scan_by_key_config_selectorIiiEEZZNS1_16scan_by_key_implILNS1_25lookback_scan_determinismE0ELb0ES3_N6thrust23THRUST_200600_302600_NS6detail15normal_iteratorINS9_10device_ptrIiEEEESE_SE_iNS9_4plusIvEENS9_8equal_toIvEEiEE10hipError_tPvRmT2_T3_T4_T5_mT6_T7_P12ihipStream_tbENKUlT_T0_E_clISt17integral_constantIbLb1EESZ_EEDaSU_SV_EUlSU_E_NS1_11comp_targetILNS1_3genE8ELNS1_11target_archE1030ELNS1_3gpuE2ELNS1_3repE0EEENS1_30default_config_static_selectorELNS0_4arch9wavefront6targetE0EEEvT1_.num_named_barrier, 0
	.set _ZN7rocprim17ROCPRIM_400000_NS6detail17trampoline_kernelINS0_14default_configENS1_27scan_by_key_config_selectorIiiEEZZNS1_16scan_by_key_implILNS1_25lookback_scan_determinismE0ELb0ES3_N6thrust23THRUST_200600_302600_NS6detail15normal_iteratorINS9_10device_ptrIiEEEESE_SE_iNS9_4plusIvEENS9_8equal_toIvEEiEE10hipError_tPvRmT2_T3_T4_T5_mT6_T7_P12ihipStream_tbENKUlT_T0_E_clISt17integral_constantIbLb1EESZ_EEDaSU_SV_EUlSU_E_NS1_11comp_targetILNS1_3genE8ELNS1_11target_archE1030ELNS1_3gpuE2ELNS1_3repE0EEENS1_30default_config_static_selectorELNS0_4arch9wavefront6targetE0EEEvT1_.private_seg_size, 0
	.set _ZN7rocprim17ROCPRIM_400000_NS6detail17trampoline_kernelINS0_14default_configENS1_27scan_by_key_config_selectorIiiEEZZNS1_16scan_by_key_implILNS1_25lookback_scan_determinismE0ELb0ES3_N6thrust23THRUST_200600_302600_NS6detail15normal_iteratorINS9_10device_ptrIiEEEESE_SE_iNS9_4plusIvEENS9_8equal_toIvEEiEE10hipError_tPvRmT2_T3_T4_T5_mT6_T7_P12ihipStream_tbENKUlT_T0_E_clISt17integral_constantIbLb1EESZ_EEDaSU_SV_EUlSU_E_NS1_11comp_targetILNS1_3genE8ELNS1_11target_archE1030ELNS1_3gpuE2ELNS1_3repE0EEENS1_30default_config_static_selectorELNS0_4arch9wavefront6targetE0EEEvT1_.uses_vcc, 0
	.set _ZN7rocprim17ROCPRIM_400000_NS6detail17trampoline_kernelINS0_14default_configENS1_27scan_by_key_config_selectorIiiEEZZNS1_16scan_by_key_implILNS1_25lookback_scan_determinismE0ELb0ES3_N6thrust23THRUST_200600_302600_NS6detail15normal_iteratorINS9_10device_ptrIiEEEESE_SE_iNS9_4plusIvEENS9_8equal_toIvEEiEE10hipError_tPvRmT2_T3_T4_T5_mT6_T7_P12ihipStream_tbENKUlT_T0_E_clISt17integral_constantIbLb1EESZ_EEDaSU_SV_EUlSU_E_NS1_11comp_targetILNS1_3genE8ELNS1_11target_archE1030ELNS1_3gpuE2ELNS1_3repE0EEENS1_30default_config_static_selectorELNS0_4arch9wavefront6targetE0EEEvT1_.uses_flat_scratch, 0
	.set _ZN7rocprim17ROCPRIM_400000_NS6detail17trampoline_kernelINS0_14default_configENS1_27scan_by_key_config_selectorIiiEEZZNS1_16scan_by_key_implILNS1_25lookback_scan_determinismE0ELb0ES3_N6thrust23THRUST_200600_302600_NS6detail15normal_iteratorINS9_10device_ptrIiEEEESE_SE_iNS9_4plusIvEENS9_8equal_toIvEEiEE10hipError_tPvRmT2_T3_T4_T5_mT6_T7_P12ihipStream_tbENKUlT_T0_E_clISt17integral_constantIbLb1EESZ_EEDaSU_SV_EUlSU_E_NS1_11comp_targetILNS1_3genE8ELNS1_11target_archE1030ELNS1_3gpuE2ELNS1_3repE0EEENS1_30default_config_static_selectorELNS0_4arch9wavefront6targetE0EEEvT1_.has_dyn_sized_stack, 0
	.set _ZN7rocprim17ROCPRIM_400000_NS6detail17trampoline_kernelINS0_14default_configENS1_27scan_by_key_config_selectorIiiEEZZNS1_16scan_by_key_implILNS1_25lookback_scan_determinismE0ELb0ES3_N6thrust23THRUST_200600_302600_NS6detail15normal_iteratorINS9_10device_ptrIiEEEESE_SE_iNS9_4plusIvEENS9_8equal_toIvEEiEE10hipError_tPvRmT2_T3_T4_T5_mT6_T7_P12ihipStream_tbENKUlT_T0_E_clISt17integral_constantIbLb1EESZ_EEDaSU_SV_EUlSU_E_NS1_11comp_targetILNS1_3genE8ELNS1_11target_archE1030ELNS1_3gpuE2ELNS1_3repE0EEENS1_30default_config_static_selectorELNS0_4arch9wavefront6targetE0EEEvT1_.has_recursion, 0
	.set _ZN7rocprim17ROCPRIM_400000_NS6detail17trampoline_kernelINS0_14default_configENS1_27scan_by_key_config_selectorIiiEEZZNS1_16scan_by_key_implILNS1_25lookback_scan_determinismE0ELb0ES3_N6thrust23THRUST_200600_302600_NS6detail15normal_iteratorINS9_10device_ptrIiEEEESE_SE_iNS9_4plusIvEENS9_8equal_toIvEEiEE10hipError_tPvRmT2_T3_T4_T5_mT6_T7_P12ihipStream_tbENKUlT_T0_E_clISt17integral_constantIbLb1EESZ_EEDaSU_SV_EUlSU_E_NS1_11comp_targetILNS1_3genE8ELNS1_11target_archE1030ELNS1_3gpuE2ELNS1_3repE0EEENS1_30default_config_static_selectorELNS0_4arch9wavefront6targetE0EEEvT1_.has_indirect_call, 0
	.section	.AMDGPU.csdata,"",@progbits
; Kernel info:
; codeLenInByte = 0
; TotalNumSgprs: 0
; NumVgprs: 0
; ScratchSize: 0
; MemoryBound: 0
; FloatMode: 240
; IeeeMode: 1
; LDSByteSize: 0 bytes/workgroup (compile time only)
; SGPRBlocks: 0
; VGPRBlocks: 0
; NumSGPRsForWavesPerEU: 1
; NumVGPRsForWavesPerEU: 1
; NamedBarCnt: 0
; Occupancy: 16
; WaveLimiterHint : 0
; COMPUTE_PGM_RSRC2:SCRATCH_EN: 0
; COMPUTE_PGM_RSRC2:USER_SGPR: 2
; COMPUTE_PGM_RSRC2:TRAP_HANDLER: 0
; COMPUTE_PGM_RSRC2:TGID_X_EN: 1
; COMPUTE_PGM_RSRC2:TGID_Y_EN: 0
; COMPUTE_PGM_RSRC2:TGID_Z_EN: 0
; COMPUTE_PGM_RSRC2:TIDIG_COMP_CNT: 0
	.section	.text._ZN7rocprim17ROCPRIM_400000_NS6detail30init_device_scan_by_key_kernelINS1_19lookback_scan_stateINS0_5tupleIJibEEELb1ELb1EEEN6thrust23THRUST_200600_302600_NS6detail15normal_iteratorINS8_10device_ptrIiEEEEjNS1_16block_id_wrapperIjLb0EEEEEvT_jjPNSG_10value_typeET0_PNSt15iterator_traitsISJ_E10value_typeEmT1_T2_,"axG",@progbits,_ZN7rocprim17ROCPRIM_400000_NS6detail30init_device_scan_by_key_kernelINS1_19lookback_scan_stateINS0_5tupleIJibEEELb1ELb1EEEN6thrust23THRUST_200600_302600_NS6detail15normal_iteratorINS8_10device_ptrIiEEEEjNS1_16block_id_wrapperIjLb0EEEEEvT_jjPNSG_10value_typeET0_PNSt15iterator_traitsISJ_E10value_typeEmT1_T2_,comdat
	.protected	_ZN7rocprim17ROCPRIM_400000_NS6detail30init_device_scan_by_key_kernelINS1_19lookback_scan_stateINS0_5tupleIJibEEELb1ELb1EEEN6thrust23THRUST_200600_302600_NS6detail15normal_iteratorINS8_10device_ptrIiEEEEjNS1_16block_id_wrapperIjLb0EEEEEvT_jjPNSG_10value_typeET0_PNSt15iterator_traitsISJ_E10value_typeEmT1_T2_ ; -- Begin function _ZN7rocprim17ROCPRIM_400000_NS6detail30init_device_scan_by_key_kernelINS1_19lookback_scan_stateINS0_5tupleIJibEEELb1ELb1EEEN6thrust23THRUST_200600_302600_NS6detail15normal_iteratorINS8_10device_ptrIiEEEEjNS1_16block_id_wrapperIjLb0EEEEEvT_jjPNSG_10value_typeET0_PNSt15iterator_traitsISJ_E10value_typeEmT1_T2_
	.globl	_ZN7rocprim17ROCPRIM_400000_NS6detail30init_device_scan_by_key_kernelINS1_19lookback_scan_stateINS0_5tupleIJibEEELb1ELb1EEEN6thrust23THRUST_200600_302600_NS6detail15normal_iteratorINS8_10device_ptrIiEEEEjNS1_16block_id_wrapperIjLb0EEEEEvT_jjPNSG_10value_typeET0_PNSt15iterator_traitsISJ_E10value_typeEmT1_T2_
	.p2align	8
	.type	_ZN7rocprim17ROCPRIM_400000_NS6detail30init_device_scan_by_key_kernelINS1_19lookback_scan_stateINS0_5tupleIJibEEELb1ELb1EEEN6thrust23THRUST_200600_302600_NS6detail15normal_iteratorINS8_10device_ptrIiEEEEjNS1_16block_id_wrapperIjLb0EEEEEvT_jjPNSG_10value_typeET0_PNSt15iterator_traitsISJ_E10value_typeEmT1_T2_,@function
_ZN7rocprim17ROCPRIM_400000_NS6detail30init_device_scan_by_key_kernelINS1_19lookback_scan_stateINS0_5tupleIJibEEELb1ELb1EEEN6thrust23THRUST_200600_302600_NS6detail15normal_iteratorINS8_10device_ptrIiEEEEjNS1_16block_id_wrapperIjLb0EEEEEvT_jjPNSG_10value_typeET0_PNSt15iterator_traitsISJ_E10value_typeEmT1_T2_: ; @_ZN7rocprim17ROCPRIM_400000_NS6detail30init_device_scan_by_key_kernelINS1_19lookback_scan_stateINS0_5tupleIJibEEELb1ELb1EEEN6thrust23THRUST_200600_302600_NS6detail15normal_iteratorINS8_10device_ptrIiEEEEjNS1_16block_id_wrapperIjLb0EEEEEvT_jjPNSG_10value_typeET0_PNSt15iterator_traitsISJ_E10value_typeEmT1_T2_
; %bb.0:
	s_clause 0x2
	s_load_b32 s2, s[0:1], 0x44
	s_load_b32 s14, s[0:1], 0x38
	s_load_b256 s[4:11], s[0:1], 0x0
	s_bfe_u32 s3, ttmp6, 0x4000c
	s_and_b32 s12, ttmp6, 15
	s_add_co_i32 s3, s3, 1
	s_getreg_b32 s13, hwreg(HW_REG_IB_STS2, 6, 4)
	s_mul_i32 s3, ttmp9, s3
	s_delay_alu instid0(SALU_CYCLE_1)
	s_add_co_i32 s12, s12, s3
	s_wait_kmcnt 0x0
	s_and_b32 s15, s2, 0xffff
	s_cmp_eq_u32 s13, 0
	s_cselect_b32 s2, ttmp9, s12
	s_cmp_eq_u64 s[8:9], 0
	v_mad_u32 v4, s2, s15, v0
	s_cbranch_scc1 .LBB142_10
; %bb.1:
	s_cmp_lt_u32 s7, s6
	s_mov_b32 s16, exec_lo
	s_cselect_b32 s2, s7, 0
	s_delay_alu instid0(VALU_DEP_1) | instid1(SALU_CYCLE_1)
	v_cmpx_eq_u32_e64 s2, v4
	s_cbranch_execz .LBB142_9
; %bb.2:
	s_add_co_i32 s2, s7, 32
	s_mov_b32 s3, 0
	v_mov_b32_e32 v7, 0
	s_lshl_b64 s[12:13], s[2:3], 4
	s_mov_b32 s2, exec_lo
	s_add_nc_u64 s[12:13], s[4:5], s[12:13]
	s_delay_alu instid0(SALU_CYCLE_1) | instskip(SKIP_2) | instid1(VALU_DEP_1)
	v_mov_b64_e32 v[0:1], s[12:13]
	;;#ASMSTART
	global_load_b128 v[0:3], v[0:1] off scope:SCOPE_DEV	
s_wait_loadcnt 0x0
	;;#ASMEND
	v_and_b32_e32 v6, 0xff, v2
	v_cmpx_eq_u64_e32 0, v[6:7]
	s_cbranch_execz .LBB142_8
; %bb.3:
	v_mov_b64_e32 v[8:9], s[12:13]
	s_mov_b32 s7, 1
.LBB142_4:                              ; =>This Loop Header: Depth=1
                                        ;     Child Loop BB142_5 Depth 2
	s_delay_alu instid0(SALU_CYCLE_1)
	s_mov_b32 s12, s7
.LBB142_5:                              ;   Parent Loop BB142_4 Depth=1
                                        ; =>  This Inner Loop Header: Depth=2
	s_delay_alu instid0(SALU_CYCLE_1)
	s_add_co_i32 s12, s12, -1
	s_sleep 1
	s_cmp_eq_u32 s12, 0
	s_cbranch_scc0 .LBB142_5
; %bb.6:                                ;   in Loop: Header=BB142_4 Depth=1
	;;#ASMSTART
	global_load_b128 v[0:3], v[8:9] off scope:SCOPE_DEV	
s_wait_loadcnt 0x0
	;;#ASMEND
	v_and_b32_e32 v6, 0xff, v2
	s_cmp_lt_u32 s7, 32
	s_cselect_b32 s12, -1, 0
	s_delay_alu instid0(VALU_DEP_1) | instskip(SKIP_3) | instid1(SALU_CYCLE_1)
	v_cmp_ne_u64_e32 vcc_lo, 0, v[6:7]
	s_cmp_lg_u32 s12, 0
	s_add_co_ci_u32 s7, s7, 0
	s_or_b32 s3, vcc_lo, s3
	s_and_not1_b32 exec_lo, exec_lo, s3
	s_cbranch_execnz .LBB142_4
; %bb.7:
	s_or_b32 exec_lo, exec_lo, s3
.LBB142_8:
	s_delay_alu instid0(SALU_CYCLE_1)
	s_or_b32 exec_lo, exec_lo, s2
	v_mov_b32_e32 v2, 0
	s_clause 0x1
	global_store_b32 v2, v0, s[8:9]
	global_store_b8 v2, v1, s[8:9] offset:4
.LBB142_9:
	s_wait_xcnt 0x0
	s_or_b32 exec_lo, exec_lo, s16
.LBB142_10:
	s_delay_alu instid0(SALU_CYCLE_1) | instskip(NEXT) | instid1(VALU_DEP_1)
	s_mov_b32 s2, exec_lo
	v_cmpx_gt_u32_e64 s6, v4
	s_cbranch_execz .LBB142_12
; %bb.11:
	v_dual_mov_b32 v0, 0 :: v_dual_add_nc_u32 v5, 32, v4
	s_delay_alu instid0(VALU_DEP_1)
	v_dual_mov_b32 v1, v0 :: v_dual_mov_b32 v2, v0
	v_mov_b32_e32 v3, v0
	global_store_b128 v5, v[0:3], s[4:5] scale_offset
.LBB142_12:
	s_wait_xcnt 0x0
	s_or_b32 exec_lo, exec_lo, s2
	v_mov_b32_e32 v5, 0
	s_mov_b32 s2, exec_lo
	v_cmpx_gt_u32_e32 32, v4
	s_cbranch_execz .LBB142_14
; %bb.13:
	s_delay_alu instid0(VALU_DEP_2)
	v_lshl_add_u64 v[6:7], v[4:5], 4, s[4:5]
	v_dual_mov_b32 v2, 0xff :: v_dual_mov_b32 v1, v5
	v_dual_mov_b32 v0, v5 :: v_dual_mov_b32 v3, v5
	global_store_b128 v[6:7], v[0:3], off
.LBB142_14:
	s_wait_xcnt 0x0
	s_or_b32 exec_lo, exec_lo, s2
	s_load_b64 s[2:3], s[0:1], 0x28
	s_mov_b32 s4, exec_lo
	s_wait_kmcnt 0x0
	v_cmpx_gt_u64_e64 s[2:3], v[4:5]
	s_cbranch_execz .LBB142_17
; %bb.15:
	s_clause 0x1
	s_load_b32 s4, s[0:1], 0x30
	s_load_b64 s[6:7], s[0:1], 0x20
	s_mov_b32 s5, 0
	s_wait_xcnt 0x0
	s_mul_i32 s0, s14, s15
	s_mov_b32 s9, s5
	s_mov_b32 s1, s5
	s_wait_kmcnt 0x0
	v_mul_u64_e32 v[0:1], s[4:5], v[4:5]
	s_add_co_i32 s8, s4, -1
	v_lshl_add_u64 v[2:3], v[4:5], 2, s[6:7]
	s_lshl_b64 s[8:9], s[8:9], 2
	s_delay_alu instid0(SALU_CYCLE_1) | instskip(SKIP_1) | instid1(SALU_CYCLE_1)
	s_add_nc_u64 s[8:9], s[10:11], s[8:9]
	s_mul_u64 s[10:11], s[4:5], s[0:1]
	s_lshl_b64 s[6:7], s[10:11], 2
	s_delay_alu instid0(VALU_DEP_2)
	v_lshl_add_u64 v[0:1], v[0:1], 2, s[8:9]
	s_lshl_b64 s[8:9], s[0:1], 2
.LBB142_16:                             ; =>This Inner Loop Header: Depth=1
	global_load_b32 v6, v[0:1], off
	v_add_nc_u64_e32 v[4:5], s[0:1], v[4:5]
	s_wait_xcnt 0x0
	v_add_nc_u64_e32 v[0:1], s[6:7], v[0:1]
	s_delay_alu instid0(VALU_DEP_2)
	v_cmp_le_u64_e32 vcc_lo, s[2:3], v[4:5]
	s_or_b32 s5, vcc_lo, s5
	s_wait_loadcnt 0x0
	global_store_b32 v[2:3], v6, off
	s_wait_xcnt 0x0
	v_add_nc_u64_e32 v[2:3], s[8:9], v[2:3]
	s_and_not1_b32 exec_lo, exec_lo, s5
	s_cbranch_execnz .LBB142_16
.LBB142_17:
	s_endpgm
	.section	.rodata,"a",@progbits
	.p2align	6, 0x0
	.amdhsa_kernel _ZN7rocprim17ROCPRIM_400000_NS6detail30init_device_scan_by_key_kernelINS1_19lookback_scan_stateINS0_5tupleIJibEEELb1ELb1EEEN6thrust23THRUST_200600_302600_NS6detail15normal_iteratorINS8_10device_ptrIiEEEEjNS1_16block_id_wrapperIjLb0EEEEEvT_jjPNSG_10value_typeET0_PNSt15iterator_traitsISJ_E10value_typeEmT1_T2_
		.amdhsa_group_segment_fixed_size 0
		.amdhsa_private_segment_fixed_size 0
		.amdhsa_kernarg_size 312
		.amdhsa_user_sgpr_count 2
		.amdhsa_user_sgpr_dispatch_ptr 0
		.amdhsa_user_sgpr_queue_ptr 0
		.amdhsa_user_sgpr_kernarg_segment_ptr 1
		.amdhsa_user_sgpr_dispatch_id 0
		.amdhsa_user_sgpr_kernarg_preload_length 0
		.amdhsa_user_sgpr_kernarg_preload_offset 0
		.amdhsa_user_sgpr_private_segment_size 0
		.amdhsa_wavefront_size32 1
		.amdhsa_uses_dynamic_stack 0
		.amdhsa_enable_private_segment 0
		.amdhsa_system_sgpr_workgroup_id_x 1
		.amdhsa_system_sgpr_workgroup_id_y 0
		.amdhsa_system_sgpr_workgroup_id_z 0
		.amdhsa_system_sgpr_workgroup_info 0
		.amdhsa_system_vgpr_workitem_id 0
		.amdhsa_next_free_vgpr 10
		.amdhsa_next_free_sgpr 17
		.amdhsa_named_barrier_count 0
		.amdhsa_reserve_vcc 1
		.amdhsa_float_round_mode_32 0
		.amdhsa_float_round_mode_16_64 0
		.amdhsa_float_denorm_mode_32 3
		.amdhsa_float_denorm_mode_16_64 3
		.amdhsa_fp16_overflow 0
		.amdhsa_memory_ordered 1
		.amdhsa_forward_progress 1
		.amdhsa_inst_pref_size 5
		.amdhsa_round_robin_scheduling 0
		.amdhsa_exception_fp_ieee_invalid_op 0
		.amdhsa_exception_fp_denorm_src 0
		.amdhsa_exception_fp_ieee_div_zero 0
		.amdhsa_exception_fp_ieee_overflow 0
		.amdhsa_exception_fp_ieee_underflow 0
		.amdhsa_exception_fp_ieee_inexact 0
		.amdhsa_exception_int_div_zero 0
	.end_amdhsa_kernel
	.section	.text._ZN7rocprim17ROCPRIM_400000_NS6detail30init_device_scan_by_key_kernelINS1_19lookback_scan_stateINS0_5tupleIJibEEELb1ELb1EEEN6thrust23THRUST_200600_302600_NS6detail15normal_iteratorINS8_10device_ptrIiEEEEjNS1_16block_id_wrapperIjLb0EEEEEvT_jjPNSG_10value_typeET0_PNSt15iterator_traitsISJ_E10value_typeEmT1_T2_,"axG",@progbits,_ZN7rocprim17ROCPRIM_400000_NS6detail30init_device_scan_by_key_kernelINS1_19lookback_scan_stateINS0_5tupleIJibEEELb1ELb1EEEN6thrust23THRUST_200600_302600_NS6detail15normal_iteratorINS8_10device_ptrIiEEEEjNS1_16block_id_wrapperIjLb0EEEEEvT_jjPNSG_10value_typeET0_PNSt15iterator_traitsISJ_E10value_typeEmT1_T2_,comdat
.Lfunc_end142:
	.size	_ZN7rocprim17ROCPRIM_400000_NS6detail30init_device_scan_by_key_kernelINS1_19lookback_scan_stateINS0_5tupleIJibEEELb1ELb1EEEN6thrust23THRUST_200600_302600_NS6detail15normal_iteratorINS8_10device_ptrIiEEEEjNS1_16block_id_wrapperIjLb0EEEEEvT_jjPNSG_10value_typeET0_PNSt15iterator_traitsISJ_E10value_typeEmT1_T2_, .Lfunc_end142-_ZN7rocprim17ROCPRIM_400000_NS6detail30init_device_scan_by_key_kernelINS1_19lookback_scan_stateINS0_5tupleIJibEEELb1ELb1EEEN6thrust23THRUST_200600_302600_NS6detail15normal_iteratorINS8_10device_ptrIiEEEEjNS1_16block_id_wrapperIjLb0EEEEEvT_jjPNSG_10value_typeET0_PNSt15iterator_traitsISJ_E10value_typeEmT1_T2_
                                        ; -- End function
	.set _ZN7rocprim17ROCPRIM_400000_NS6detail30init_device_scan_by_key_kernelINS1_19lookback_scan_stateINS0_5tupleIJibEEELb1ELb1EEEN6thrust23THRUST_200600_302600_NS6detail15normal_iteratorINS8_10device_ptrIiEEEEjNS1_16block_id_wrapperIjLb0EEEEEvT_jjPNSG_10value_typeET0_PNSt15iterator_traitsISJ_E10value_typeEmT1_T2_.num_vgpr, 10
	.set _ZN7rocprim17ROCPRIM_400000_NS6detail30init_device_scan_by_key_kernelINS1_19lookback_scan_stateINS0_5tupleIJibEEELb1ELb1EEEN6thrust23THRUST_200600_302600_NS6detail15normal_iteratorINS8_10device_ptrIiEEEEjNS1_16block_id_wrapperIjLb0EEEEEvT_jjPNSG_10value_typeET0_PNSt15iterator_traitsISJ_E10value_typeEmT1_T2_.num_agpr, 0
	.set _ZN7rocprim17ROCPRIM_400000_NS6detail30init_device_scan_by_key_kernelINS1_19lookback_scan_stateINS0_5tupleIJibEEELb1ELb1EEEN6thrust23THRUST_200600_302600_NS6detail15normal_iteratorINS8_10device_ptrIiEEEEjNS1_16block_id_wrapperIjLb0EEEEEvT_jjPNSG_10value_typeET0_PNSt15iterator_traitsISJ_E10value_typeEmT1_T2_.numbered_sgpr, 17
	.set _ZN7rocprim17ROCPRIM_400000_NS6detail30init_device_scan_by_key_kernelINS1_19lookback_scan_stateINS0_5tupleIJibEEELb1ELb1EEEN6thrust23THRUST_200600_302600_NS6detail15normal_iteratorINS8_10device_ptrIiEEEEjNS1_16block_id_wrapperIjLb0EEEEEvT_jjPNSG_10value_typeET0_PNSt15iterator_traitsISJ_E10value_typeEmT1_T2_.num_named_barrier, 0
	.set _ZN7rocprim17ROCPRIM_400000_NS6detail30init_device_scan_by_key_kernelINS1_19lookback_scan_stateINS0_5tupleIJibEEELb1ELb1EEEN6thrust23THRUST_200600_302600_NS6detail15normal_iteratorINS8_10device_ptrIiEEEEjNS1_16block_id_wrapperIjLb0EEEEEvT_jjPNSG_10value_typeET0_PNSt15iterator_traitsISJ_E10value_typeEmT1_T2_.private_seg_size, 0
	.set _ZN7rocprim17ROCPRIM_400000_NS6detail30init_device_scan_by_key_kernelINS1_19lookback_scan_stateINS0_5tupleIJibEEELb1ELb1EEEN6thrust23THRUST_200600_302600_NS6detail15normal_iteratorINS8_10device_ptrIiEEEEjNS1_16block_id_wrapperIjLb0EEEEEvT_jjPNSG_10value_typeET0_PNSt15iterator_traitsISJ_E10value_typeEmT1_T2_.uses_vcc, 1
	.set _ZN7rocprim17ROCPRIM_400000_NS6detail30init_device_scan_by_key_kernelINS1_19lookback_scan_stateINS0_5tupleIJibEEELb1ELb1EEEN6thrust23THRUST_200600_302600_NS6detail15normal_iteratorINS8_10device_ptrIiEEEEjNS1_16block_id_wrapperIjLb0EEEEEvT_jjPNSG_10value_typeET0_PNSt15iterator_traitsISJ_E10value_typeEmT1_T2_.uses_flat_scratch, 0
	.set _ZN7rocprim17ROCPRIM_400000_NS6detail30init_device_scan_by_key_kernelINS1_19lookback_scan_stateINS0_5tupleIJibEEELb1ELb1EEEN6thrust23THRUST_200600_302600_NS6detail15normal_iteratorINS8_10device_ptrIiEEEEjNS1_16block_id_wrapperIjLb0EEEEEvT_jjPNSG_10value_typeET0_PNSt15iterator_traitsISJ_E10value_typeEmT1_T2_.has_dyn_sized_stack, 0
	.set _ZN7rocprim17ROCPRIM_400000_NS6detail30init_device_scan_by_key_kernelINS1_19lookback_scan_stateINS0_5tupleIJibEEELb1ELb1EEEN6thrust23THRUST_200600_302600_NS6detail15normal_iteratorINS8_10device_ptrIiEEEEjNS1_16block_id_wrapperIjLb0EEEEEvT_jjPNSG_10value_typeET0_PNSt15iterator_traitsISJ_E10value_typeEmT1_T2_.has_recursion, 0
	.set _ZN7rocprim17ROCPRIM_400000_NS6detail30init_device_scan_by_key_kernelINS1_19lookback_scan_stateINS0_5tupleIJibEEELb1ELb1EEEN6thrust23THRUST_200600_302600_NS6detail15normal_iteratorINS8_10device_ptrIiEEEEjNS1_16block_id_wrapperIjLb0EEEEEvT_jjPNSG_10value_typeET0_PNSt15iterator_traitsISJ_E10value_typeEmT1_T2_.has_indirect_call, 0
	.section	.AMDGPU.csdata,"",@progbits
; Kernel info:
; codeLenInByte = 632
; TotalNumSgprs: 19
; NumVgprs: 10
; ScratchSize: 0
; MemoryBound: 0
; FloatMode: 240
; IeeeMode: 1
; LDSByteSize: 0 bytes/workgroup (compile time only)
; SGPRBlocks: 0
; VGPRBlocks: 0
; NumSGPRsForWavesPerEU: 19
; NumVGPRsForWavesPerEU: 10
; NamedBarCnt: 0
; Occupancy: 16
; WaveLimiterHint : 0
; COMPUTE_PGM_RSRC2:SCRATCH_EN: 0
; COMPUTE_PGM_RSRC2:USER_SGPR: 2
; COMPUTE_PGM_RSRC2:TRAP_HANDLER: 0
; COMPUTE_PGM_RSRC2:TGID_X_EN: 1
; COMPUTE_PGM_RSRC2:TGID_Y_EN: 0
; COMPUTE_PGM_RSRC2:TGID_Z_EN: 0
; COMPUTE_PGM_RSRC2:TIDIG_COMP_CNT: 0
	.section	.text._ZN7rocprim17ROCPRIM_400000_NS6detail30init_device_scan_by_key_kernelINS1_19lookback_scan_stateINS0_5tupleIJibEEELb1ELb1EEENS1_16block_id_wrapperIjLb0EEEEEvT_jjPNS9_10value_typeET0_,"axG",@progbits,_ZN7rocprim17ROCPRIM_400000_NS6detail30init_device_scan_by_key_kernelINS1_19lookback_scan_stateINS0_5tupleIJibEEELb1ELb1EEENS1_16block_id_wrapperIjLb0EEEEEvT_jjPNS9_10value_typeET0_,comdat
	.protected	_ZN7rocprim17ROCPRIM_400000_NS6detail30init_device_scan_by_key_kernelINS1_19lookback_scan_stateINS0_5tupleIJibEEELb1ELb1EEENS1_16block_id_wrapperIjLb0EEEEEvT_jjPNS9_10value_typeET0_ ; -- Begin function _ZN7rocprim17ROCPRIM_400000_NS6detail30init_device_scan_by_key_kernelINS1_19lookback_scan_stateINS0_5tupleIJibEEELb1ELb1EEENS1_16block_id_wrapperIjLb0EEEEEvT_jjPNS9_10value_typeET0_
	.globl	_ZN7rocprim17ROCPRIM_400000_NS6detail30init_device_scan_by_key_kernelINS1_19lookback_scan_stateINS0_5tupleIJibEEELb1ELb1EEENS1_16block_id_wrapperIjLb0EEEEEvT_jjPNS9_10value_typeET0_
	.p2align	8
	.type	_ZN7rocprim17ROCPRIM_400000_NS6detail30init_device_scan_by_key_kernelINS1_19lookback_scan_stateINS0_5tupleIJibEEELb1ELb1EEENS1_16block_id_wrapperIjLb0EEEEEvT_jjPNS9_10value_typeET0_,@function
_ZN7rocprim17ROCPRIM_400000_NS6detail30init_device_scan_by_key_kernelINS1_19lookback_scan_stateINS0_5tupleIJibEEELb1ELb1EEENS1_16block_id_wrapperIjLb0EEEEEvT_jjPNS9_10value_typeET0_: ; @_ZN7rocprim17ROCPRIM_400000_NS6detail30init_device_scan_by_key_kernelINS1_19lookback_scan_stateINS0_5tupleIJibEEELb1ELb1EEENS1_16block_id_wrapperIjLb0EEEEEvT_jjPNS9_10value_typeET0_
; %bb.0:
	s_clause 0x2
	s_load_b32 s8, s[0:1], 0x2c
	s_load_b128 s[4:7], s[0:1], 0x0
	s_load_b64 s[2:3], s[0:1], 0x10
	s_wait_xcnt 0x0
	s_bfe_u32 s0, ttmp6, 0x4000c
	s_and_b32 s1, ttmp6, 15
	s_add_co_i32 s0, s0, 1
	s_getreg_b32 s9, hwreg(HW_REG_IB_STS2, 6, 4)
	s_mul_i32 s0, ttmp9, s0
	s_delay_alu instid0(SALU_CYCLE_1)
	s_add_co_i32 s1, s1, s0
	s_wait_kmcnt 0x0
	s_and_b32 s8, s8, 0xffff
	s_cmp_eq_u32 s9, 0
	s_cselect_b32 s0, ttmp9, s1
	s_cmp_eq_u64 s[2:3], 0
	v_mad_u32 v8, s0, s8, v0
	s_cbranch_scc1 .LBB143_10
; %bb.1:
	s_cmp_lt_u32 s7, s6
	s_mov_b32 s10, exec_lo
	s_cselect_b32 s0, s7, 0
	s_delay_alu instid0(VALU_DEP_1) | instid1(SALU_CYCLE_1)
	v_cmpx_eq_u32_e64 s0, v8
	s_cbranch_execz .LBB143_9
; %bb.2:
	s_add_co_i32 s0, s7, 32
	s_mov_b32 s1, 0
	v_mov_b32_e32 v5, 0
	s_lshl_b64 s[8:9], s[0:1], 4
	s_mov_b32 s0, exec_lo
	s_add_nc_u64 s[8:9], s[4:5], s[8:9]
	s_delay_alu instid0(SALU_CYCLE_1) | instskip(SKIP_2) | instid1(VALU_DEP_1)
	v_mov_b64_e32 v[0:1], s[8:9]
	;;#ASMSTART
	global_load_b128 v[0:3], v[0:1] off scope:SCOPE_DEV	
s_wait_loadcnt 0x0
	;;#ASMEND
	v_and_b32_e32 v4, 0xff, v2
	v_cmpx_eq_u64_e32 0, v[4:5]
	s_cbranch_execz .LBB143_8
; %bb.3:
	v_mov_b64_e32 v[6:7], s[8:9]
	s_mov_b32 s7, 1
.LBB143_4:                              ; =>This Loop Header: Depth=1
                                        ;     Child Loop BB143_5 Depth 2
	s_delay_alu instid0(SALU_CYCLE_1)
	s_mov_b32 s8, s7
.LBB143_5:                              ;   Parent Loop BB143_4 Depth=1
                                        ; =>  This Inner Loop Header: Depth=2
	s_delay_alu instid0(SALU_CYCLE_1)
	s_add_co_i32 s8, s8, -1
	s_sleep 1
	s_cmp_eq_u32 s8, 0
	s_cbranch_scc0 .LBB143_5
; %bb.6:                                ;   in Loop: Header=BB143_4 Depth=1
	;;#ASMSTART
	global_load_b128 v[0:3], v[6:7] off scope:SCOPE_DEV	
s_wait_loadcnt 0x0
	;;#ASMEND
	v_and_b32_e32 v4, 0xff, v2
	s_cmp_lt_u32 s7, 32
	s_cselect_b32 s8, -1, 0
	s_delay_alu instid0(VALU_DEP_1) | instskip(SKIP_3) | instid1(SALU_CYCLE_1)
	v_cmp_ne_u64_e32 vcc_lo, 0, v[4:5]
	s_cmp_lg_u32 s8, 0
	s_add_co_ci_u32 s7, s7, 0
	s_or_b32 s1, vcc_lo, s1
	s_and_not1_b32 exec_lo, exec_lo, s1
	s_cbranch_execnz .LBB143_4
; %bb.7:
	s_or_b32 exec_lo, exec_lo, s1
.LBB143_8:
	s_delay_alu instid0(SALU_CYCLE_1)
	s_or_b32 exec_lo, exec_lo, s0
	v_mov_b32_e32 v2, 0
	s_clause 0x1
	global_store_b32 v2, v0, s[2:3]
	global_store_b8 v2, v1, s[2:3] offset:4
.LBB143_9:
	s_wait_xcnt 0x0
	s_or_b32 exec_lo, exec_lo, s10
.LBB143_10:
	s_delay_alu instid0(SALU_CYCLE_1) | instskip(NEXT) | instid1(VALU_DEP_1)
	s_mov_b32 s0, exec_lo
	v_cmpx_gt_u32_e64 s6, v8
	s_cbranch_execz .LBB143_12
; %bb.11:
	v_dual_mov_b32 v0, 0 :: v_dual_add_nc_u32 v4, 32, v8
	s_delay_alu instid0(VALU_DEP_1)
	v_dual_mov_b32 v1, v0 :: v_dual_mov_b32 v2, v0
	v_mov_b32_e32 v3, v0
	global_store_b128 v4, v[0:3], s[4:5] scale_offset
.LBB143_12:
	s_wait_xcnt 0x0
	s_or_b32 exec_lo, exec_lo, s0
	s_delay_alu instid0(SALU_CYCLE_1)
	s_mov_b32 s0, exec_lo
	v_cmpx_gt_u32_e32 32, v8
	s_cbranch_execz .LBB143_14
; %bb.13:
	v_mov_b32_e32 v0, 0
	s_delay_alu instid0(VALU_DEP_1)
	v_dual_mov_b32 v2, 0xff :: v_dual_mov_b32 v1, v0
	v_mov_b32_e32 v3, v0
	global_store_b128 v8, v[0:3], s[4:5] scale_offset
.LBB143_14:
	s_endpgm
	.section	.rodata,"a",@progbits
	.p2align	6, 0x0
	.amdhsa_kernel _ZN7rocprim17ROCPRIM_400000_NS6detail30init_device_scan_by_key_kernelINS1_19lookback_scan_stateINS0_5tupleIJibEEELb1ELb1EEENS1_16block_id_wrapperIjLb0EEEEEvT_jjPNS9_10value_typeET0_
		.amdhsa_group_segment_fixed_size 0
		.amdhsa_private_segment_fixed_size 0
		.amdhsa_kernarg_size 288
		.amdhsa_user_sgpr_count 2
		.amdhsa_user_sgpr_dispatch_ptr 0
		.amdhsa_user_sgpr_queue_ptr 0
		.amdhsa_user_sgpr_kernarg_segment_ptr 1
		.amdhsa_user_sgpr_dispatch_id 0
		.amdhsa_user_sgpr_kernarg_preload_length 0
		.amdhsa_user_sgpr_kernarg_preload_offset 0
		.amdhsa_user_sgpr_private_segment_size 0
		.amdhsa_wavefront_size32 1
		.amdhsa_uses_dynamic_stack 0
		.amdhsa_enable_private_segment 0
		.amdhsa_system_sgpr_workgroup_id_x 1
		.amdhsa_system_sgpr_workgroup_id_y 0
		.amdhsa_system_sgpr_workgroup_id_z 0
		.amdhsa_system_sgpr_workgroup_info 0
		.amdhsa_system_vgpr_workitem_id 0
		.amdhsa_next_free_vgpr 9
		.amdhsa_next_free_sgpr 11
		.amdhsa_named_barrier_count 0
		.amdhsa_reserve_vcc 1
		.amdhsa_float_round_mode_32 0
		.amdhsa_float_round_mode_16_64 0
		.amdhsa_float_denorm_mode_32 3
		.amdhsa_float_denorm_mode_16_64 3
		.amdhsa_fp16_overflow 0
		.amdhsa_memory_ordered 1
		.amdhsa_forward_progress 1
		.amdhsa_inst_pref_size 4
		.amdhsa_round_robin_scheduling 0
		.amdhsa_exception_fp_ieee_invalid_op 0
		.amdhsa_exception_fp_denorm_src 0
		.amdhsa_exception_fp_ieee_div_zero 0
		.amdhsa_exception_fp_ieee_overflow 0
		.amdhsa_exception_fp_ieee_underflow 0
		.amdhsa_exception_fp_ieee_inexact 0
		.amdhsa_exception_int_div_zero 0
	.end_amdhsa_kernel
	.section	.text._ZN7rocprim17ROCPRIM_400000_NS6detail30init_device_scan_by_key_kernelINS1_19lookback_scan_stateINS0_5tupleIJibEEELb1ELb1EEENS1_16block_id_wrapperIjLb0EEEEEvT_jjPNS9_10value_typeET0_,"axG",@progbits,_ZN7rocprim17ROCPRIM_400000_NS6detail30init_device_scan_by_key_kernelINS1_19lookback_scan_stateINS0_5tupleIJibEEELb1ELb1EEENS1_16block_id_wrapperIjLb0EEEEEvT_jjPNS9_10value_typeET0_,comdat
.Lfunc_end143:
	.size	_ZN7rocprim17ROCPRIM_400000_NS6detail30init_device_scan_by_key_kernelINS1_19lookback_scan_stateINS0_5tupleIJibEEELb1ELb1EEENS1_16block_id_wrapperIjLb0EEEEEvT_jjPNS9_10value_typeET0_, .Lfunc_end143-_ZN7rocprim17ROCPRIM_400000_NS6detail30init_device_scan_by_key_kernelINS1_19lookback_scan_stateINS0_5tupleIJibEEELb1ELb1EEENS1_16block_id_wrapperIjLb0EEEEEvT_jjPNS9_10value_typeET0_
                                        ; -- End function
	.set _ZN7rocprim17ROCPRIM_400000_NS6detail30init_device_scan_by_key_kernelINS1_19lookback_scan_stateINS0_5tupleIJibEEELb1ELb1EEENS1_16block_id_wrapperIjLb0EEEEEvT_jjPNS9_10value_typeET0_.num_vgpr, 9
	.set _ZN7rocprim17ROCPRIM_400000_NS6detail30init_device_scan_by_key_kernelINS1_19lookback_scan_stateINS0_5tupleIJibEEELb1ELb1EEENS1_16block_id_wrapperIjLb0EEEEEvT_jjPNS9_10value_typeET0_.num_agpr, 0
	.set _ZN7rocprim17ROCPRIM_400000_NS6detail30init_device_scan_by_key_kernelINS1_19lookback_scan_stateINS0_5tupleIJibEEELb1ELb1EEENS1_16block_id_wrapperIjLb0EEEEEvT_jjPNS9_10value_typeET0_.numbered_sgpr, 11
	.set _ZN7rocprim17ROCPRIM_400000_NS6detail30init_device_scan_by_key_kernelINS1_19lookback_scan_stateINS0_5tupleIJibEEELb1ELb1EEENS1_16block_id_wrapperIjLb0EEEEEvT_jjPNS9_10value_typeET0_.num_named_barrier, 0
	.set _ZN7rocprim17ROCPRIM_400000_NS6detail30init_device_scan_by_key_kernelINS1_19lookback_scan_stateINS0_5tupleIJibEEELb1ELb1EEENS1_16block_id_wrapperIjLb0EEEEEvT_jjPNS9_10value_typeET0_.private_seg_size, 0
	.set _ZN7rocprim17ROCPRIM_400000_NS6detail30init_device_scan_by_key_kernelINS1_19lookback_scan_stateINS0_5tupleIJibEEELb1ELb1EEENS1_16block_id_wrapperIjLb0EEEEEvT_jjPNS9_10value_typeET0_.uses_vcc, 1
	.set _ZN7rocprim17ROCPRIM_400000_NS6detail30init_device_scan_by_key_kernelINS1_19lookback_scan_stateINS0_5tupleIJibEEELb1ELb1EEENS1_16block_id_wrapperIjLb0EEEEEvT_jjPNS9_10value_typeET0_.uses_flat_scratch, 0
	.set _ZN7rocprim17ROCPRIM_400000_NS6detail30init_device_scan_by_key_kernelINS1_19lookback_scan_stateINS0_5tupleIJibEEELb1ELb1EEENS1_16block_id_wrapperIjLb0EEEEEvT_jjPNS9_10value_typeET0_.has_dyn_sized_stack, 0
	.set _ZN7rocprim17ROCPRIM_400000_NS6detail30init_device_scan_by_key_kernelINS1_19lookback_scan_stateINS0_5tupleIJibEEELb1ELb1EEENS1_16block_id_wrapperIjLb0EEEEEvT_jjPNS9_10value_typeET0_.has_recursion, 0
	.set _ZN7rocprim17ROCPRIM_400000_NS6detail30init_device_scan_by_key_kernelINS1_19lookback_scan_stateINS0_5tupleIJibEEELb1ELb1EEENS1_16block_id_wrapperIjLb0EEEEEvT_jjPNS9_10value_typeET0_.has_indirect_call, 0
	.section	.AMDGPU.csdata,"",@progbits
; Kernel info:
; codeLenInByte = 432
; TotalNumSgprs: 13
; NumVgprs: 9
; ScratchSize: 0
; MemoryBound: 0
; FloatMode: 240
; IeeeMode: 1
; LDSByteSize: 0 bytes/workgroup (compile time only)
; SGPRBlocks: 0
; VGPRBlocks: 0
; NumSGPRsForWavesPerEU: 13
; NumVGPRsForWavesPerEU: 9
; NamedBarCnt: 0
; Occupancy: 16
; WaveLimiterHint : 0
; COMPUTE_PGM_RSRC2:SCRATCH_EN: 0
; COMPUTE_PGM_RSRC2:USER_SGPR: 2
; COMPUTE_PGM_RSRC2:TRAP_HANDLER: 0
; COMPUTE_PGM_RSRC2:TGID_X_EN: 1
; COMPUTE_PGM_RSRC2:TGID_Y_EN: 0
; COMPUTE_PGM_RSRC2:TGID_Z_EN: 0
; COMPUTE_PGM_RSRC2:TIDIG_COMP_CNT: 0
	.section	.text._ZN7rocprim17ROCPRIM_400000_NS6detail17trampoline_kernelINS0_14default_configENS1_27scan_by_key_config_selectorIiiEEZZNS1_16scan_by_key_implILNS1_25lookback_scan_determinismE0ELb0ES3_N6thrust23THRUST_200600_302600_NS6detail15normal_iteratorINS9_10device_ptrIiEEEESE_SE_iNS9_4plusIvEENS9_8equal_toIvEEiEE10hipError_tPvRmT2_T3_T4_T5_mT6_T7_P12ihipStream_tbENKUlT_T0_E_clISt17integral_constantIbLb1EESY_IbLb0EEEEDaSU_SV_EUlSU_E_NS1_11comp_targetILNS1_3genE0ELNS1_11target_archE4294967295ELNS1_3gpuE0ELNS1_3repE0EEENS1_30default_config_static_selectorELNS0_4arch9wavefront6targetE0EEEvT1_,"axG",@progbits,_ZN7rocprim17ROCPRIM_400000_NS6detail17trampoline_kernelINS0_14default_configENS1_27scan_by_key_config_selectorIiiEEZZNS1_16scan_by_key_implILNS1_25lookback_scan_determinismE0ELb0ES3_N6thrust23THRUST_200600_302600_NS6detail15normal_iteratorINS9_10device_ptrIiEEEESE_SE_iNS9_4plusIvEENS9_8equal_toIvEEiEE10hipError_tPvRmT2_T3_T4_T5_mT6_T7_P12ihipStream_tbENKUlT_T0_E_clISt17integral_constantIbLb1EESY_IbLb0EEEEDaSU_SV_EUlSU_E_NS1_11comp_targetILNS1_3genE0ELNS1_11target_archE4294967295ELNS1_3gpuE0ELNS1_3repE0EEENS1_30default_config_static_selectorELNS0_4arch9wavefront6targetE0EEEvT1_,comdat
	.protected	_ZN7rocprim17ROCPRIM_400000_NS6detail17trampoline_kernelINS0_14default_configENS1_27scan_by_key_config_selectorIiiEEZZNS1_16scan_by_key_implILNS1_25lookback_scan_determinismE0ELb0ES3_N6thrust23THRUST_200600_302600_NS6detail15normal_iteratorINS9_10device_ptrIiEEEESE_SE_iNS9_4plusIvEENS9_8equal_toIvEEiEE10hipError_tPvRmT2_T3_T4_T5_mT6_T7_P12ihipStream_tbENKUlT_T0_E_clISt17integral_constantIbLb1EESY_IbLb0EEEEDaSU_SV_EUlSU_E_NS1_11comp_targetILNS1_3genE0ELNS1_11target_archE4294967295ELNS1_3gpuE0ELNS1_3repE0EEENS1_30default_config_static_selectorELNS0_4arch9wavefront6targetE0EEEvT1_ ; -- Begin function _ZN7rocprim17ROCPRIM_400000_NS6detail17trampoline_kernelINS0_14default_configENS1_27scan_by_key_config_selectorIiiEEZZNS1_16scan_by_key_implILNS1_25lookback_scan_determinismE0ELb0ES3_N6thrust23THRUST_200600_302600_NS6detail15normal_iteratorINS9_10device_ptrIiEEEESE_SE_iNS9_4plusIvEENS9_8equal_toIvEEiEE10hipError_tPvRmT2_T3_T4_T5_mT6_T7_P12ihipStream_tbENKUlT_T0_E_clISt17integral_constantIbLb1EESY_IbLb0EEEEDaSU_SV_EUlSU_E_NS1_11comp_targetILNS1_3genE0ELNS1_11target_archE4294967295ELNS1_3gpuE0ELNS1_3repE0EEENS1_30default_config_static_selectorELNS0_4arch9wavefront6targetE0EEEvT1_
	.globl	_ZN7rocprim17ROCPRIM_400000_NS6detail17trampoline_kernelINS0_14default_configENS1_27scan_by_key_config_selectorIiiEEZZNS1_16scan_by_key_implILNS1_25lookback_scan_determinismE0ELb0ES3_N6thrust23THRUST_200600_302600_NS6detail15normal_iteratorINS9_10device_ptrIiEEEESE_SE_iNS9_4plusIvEENS9_8equal_toIvEEiEE10hipError_tPvRmT2_T3_T4_T5_mT6_T7_P12ihipStream_tbENKUlT_T0_E_clISt17integral_constantIbLb1EESY_IbLb0EEEEDaSU_SV_EUlSU_E_NS1_11comp_targetILNS1_3genE0ELNS1_11target_archE4294967295ELNS1_3gpuE0ELNS1_3repE0EEENS1_30default_config_static_selectorELNS0_4arch9wavefront6targetE0EEEvT1_
	.p2align	8
	.type	_ZN7rocprim17ROCPRIM_400000_NS6detail17trampoline_kernelINS0_14default_configENS1_27scan_by_key_config_selectorIiiEEZZNS1_16scan_by_key_implILNS1_25lookback_scan_determinismE0ELb0ES3_N6thrust23THRUST_200600_302600_NS6detail15normal_iteratorINS9_10device_ptrIiEEEESE_SE_iNS9_4plusIvEENS9_8equal_toIvEEiEE10hipError_tPvRmT2_T3_T4_T5_mT6_T7_P12ihipStream_tbENKUlT_T0_E_clISt17integral_constantIbLb1EESY_IbLb0EEEEDaSU_SV_EUlSU_E_NS1_11comp_targetILNS1_3genE0ELNS1_11target_archE4294967295ELNS1_3gpuE0ELNS1_3repE0EEENS1_30default_config_static_selectorELNS0_4arch9wavefront6targetE0EEEvT1_,@function
_ZN7rocprim17ROCPRIM_400000_NS6detail17trampoline_kernelINS0_14default_configENS1_27scan_by_key_config_selectorIiiEEZZNS1_16scan_by_key_implILNS1_25lookback_scan_determinismE0ELb0ES3_N6thrust23THRUST_200600_302600_NS6detail15normal_iteratorINS9_10device_ptrIiEEEESE_SE_iNS9_4plusIvEENS9_8equal_toIvEEiEE10hipError_tPvRmT2_T3_T4_T5_mT6_T7_P12ihipStream_tbENKUlT_T0_E_clISt17integral_constantIbLb1EESY_IbLb0EEEEDaSU_SV_EUlSU_E_NS1_11comp_targetILNS1_3genE0ELNS1_11target_archE4294967295ELNS1_3gpuE0ELNS1_3repE0EEENS1_30default_config_static_selectorELNS0_4arch9wavefront6targetE0EEEvT1_: ; @_ZN7rocprim17ROCPRIM_400000_NS6detail17trampoline_kernelINS0_14default_configENS1_27scan_by_key_config_selectorIiiEEZZNS1_16scan_by_key_implILNS1_25lookback_scan_determinismE0ELb0ES3_N6thrust23THRUST_200600_302600_NS6detail15normal_iteratorINS9_10device_ptrIiEEEESE_SE_iNS9_4plusIvEENS9_8equal_toIvEEiEE10hipError_tPvRmT2_T3_T4_T5_mT6_T7_P12ihipStream_tbENKUlT_T0_E_clISt17integral_constantIbLb1EESY_IbLb0EEEEDaSU_SV_EUlSU_E_NS1_11comp_targetILNS1_3genE0ELNS1_11target_archE4294967295ELNS1_3gpuE0ELNS1_3repE0EEENS1_30default_config_static_selectorELNS0_4arch9wavefront6targetE0EEEvT1_
; %bb.0:
	s_endpgm
	.section	.rodata,"a",@progbits
	.p2align	6, 0x0
	.amdhsa_kernel _ZN7rocprim17ROCPRIM_400000_NS6detail17trampoline_kernelINS0_14default_configENS1_27scan_by_key_config_selectorIiiEEZZNS1_16scan_by_key_implILNS1_25lookback_scan_determinismE0ELb0ES3_N6thrust23THRUST_200600_302600_NS6detail15normal_iteratorINS9_10device_ptrIiEEEESE_SE_iNS9_4plusIvEENS9_8equal_toIvEEiEE10hipError_tPvRmT2_T3_T4_T5_mT6_T7_P12ihipStream_tbENKUlT_T0_E_clISt17integral_constantIbLb1EESY_IbLb0EEEEDaSU_SV_EUlSU_E_NS1_11comp_targetILNS1_3genE0ELNS1_11target_archE4294967295ELNS1_3gpuE0ELNS1_3repE0EEENS1_30default_config_static_selectorELNS0_4arch9wavefront6targetE0EEEvT1_
		.amdhsa_group_segment_fixed_size 0
		.amdhsa_private_segment_fixed_size 0
		.amdhsa_kernarg_size 112
		.amdhsa_user_sgpr_count 2
		.amdhsa_user_sgpr_dispatch_ptr 0
		.amdhsa_user_sgpr_queue_ptr 0
		.amdhsa_user_sgpr_kernarg_segment_ptr 1
		.amdhsa_user_sgpr_dispatch_id 0
		.amdhsa_user_sgpr_kernarg_preload_length 0
		.amdhsa_user_sgpr_kernarg_preload_offset 0
		.amdhsa_user_sgpr_private_segment_size 0
		.amdhsa_wavefront_size32 1
		.amdhsa_uses_dynamic_stack 0
		.amdhsa_enable_private_segment 0
		.amdhsa_system_sgpr_workgroup_id_x 1
		.amdhsa_system_sgpr_workgroup_id_y 0
		.amdhsa_system_sgpr_workgroup_id_z 0
		.amdhsa_system_sgpr_workgroup_info 0
		.amdhsa_system_vgpr_workitem_id 0
		.amdhsa_next_free_vgpr 1
		.amdhsa_next_free_sgpr 1
		.amdhsa_named_barrier_count 0
		.amdhsa_reserve_vcc 0
		.amdhsa_float_round_mode_32 0
		.amdhsa_float_round_mode_16_64 0
		.amdhsa_float_denorm_mode_32 3
		.amdhsa_float_denorm_mode_16_64 3
		.amdhsa_fp16_overflow 0
		.amdhsa_memory_ordered 1
		.amdhsa_forward_progress 1
		.amdhsa_inst_pref_size 1
		.amdhsa_round_robin_scheduling 0
		.amdhsa_exception_fp_ieee_invalid_op 0
		.amdhsa_exception_fp_denorm_src 0
		.amdhsa_exception_fp_ieee_div_zero 0
		.amdhsa_exception_fp_ieee_overflow 0
		.amdhsa_exception_fp_ieee_underflow 0
		.amdhsa_exception_fp_ieee_inexact 0
		.amdhsa_exception_int_div_zero 0
	.end_amdhsa_kernel
	.section	.text._ZN7rocprim17ROCPRIM_400000_NS6detail17trampoline_kernelINS0_14default_configENS1_27scan_by_key_config_selectorIiiEEZZNS1_16scan_by_key_implILNS1_25lookback_scan_determinismE0ELb0ES3_N6thrust23THRUST_200600_302600_NS6detail15normal_iteratorINS9_10device_ptrIiEEEESE_SE_iNS9_4plusIvEENS9_8equal_toIvEEiEE10hipError_tPvRmT2_T3_T4_T5_mT6_T7_P12ihipStream_tbENKUlT_T0_E_clISt17integral_constantIbLb1EESY_IbLb0EEEEDaSU_SV_EUlSU_E_NS1_11comp_targetILNS1_3genE0ELNS1_11target_archE4294967295ELNS1_3gpuE0ELNS1_3repE0EEENS1_30default_config_static_selectorELNS0_4arch9wavefront6targetE0EEEvT1_,"axG",@progbits,_ZN7rocprim17ROCPRIM_400000_NS6detail17trampoline_kernelINS0_14default_configENS1_27scan_by_key_config_selectorIiiEEZZNS1_16scan_by_key_implILNS1_25lookback_scan_determinismE0ELb0ES3_N6thrust23THRUST_200600_302600_NS6detail15normal_iteratorINS9_10device_ptrIiEEEESE_SE_iNS9_4plusIvEENS9_8equal_toIvEEiEE10hipError_tPvRmT2_T3_T4_T5_mT6_T7_P12ihipStream_tbENKUlT_T0_E_clISt17integral_constantIbLb1EESY_IbLb0EEEEDaSU_SV_EUlSU_E_NS1_11comp_targetILNS1_3genE0ELNS1_11target_archE4294967295ELNS1_3gpuE0ELNS1_3repE0EEENS1_30default_config_static_selectorELNS0_4arch9wavefront6targetE0EEEvT1_,comdat
.Lfunc_end144:
	.size	_ZN7rocprim17ROCPRIM_400000_NS6detail17trampoline_kernelINS0_14default_configENS1_27scan_by_key_config_selectorIiiEEZZNS1_16scan_by_key_implILNS1_25lookback_scan_determinismE0ELb0ES3_N6thrust23THRUST_200600_302600_NS6detail15normal_iteratorINS9_10device_ptrIiEEEESE_SE_iNS9_4plusIvEENS9_8equal_toIvEEiEE10hipError_tPvRmT2_T3_T4_T5_mT6_T7_P12ihipStream_tbENKUlT_T0_E_clISt17integral_constantIbLb1EESY_IbLb0EEEEDaSU_SV_EUlSU_E_NS1_11comp_targetILNS1_3genE0ELNS1_11target_archE4294967295ELNS1_3gpuE0ELNS1_3repE0EEENS1_30default_config_static_selectorELNS0_4arch9wavefront6targetE0EEEvT1_, .Lfunc_end144-_ZN7rocprim17ROCPRIM_400000_NS6detail17trampoline_kernelINS0_14default_configENS1_27scan_by_key_config_selectorIiiEEZZNS1_16scan_by_key_implILNS1_25lookback_scan_determinismE0ELb0ES3_N6thrust23THRUST_200600_302600_NS6detail15normal_iteratorINS9_10device_ptrIiEEEESE_SE_iNS9_4plusIvEENS9_8equal_toIvEEiEE10hipError_tPvRmT2_T3_T4_T5_mT6_T7_P12ihipStream_tbENKUlT_T0_E_clISt17integral_constantIbLb1EESY_IbLb0EEEEDaSU_SV_EUlSU_E_NS1_11comp_targetILNS1_3genE0ELNS1_11target_archE4294967295ELNS1_3gpuE0ELNS1_3repE0EEENS1_30default_config_static_selectorELNS0_4arch9wavefront6targetE0EEEvT1_
                                        ; -- End function
	.set _ZN7rocprim17ROCPRIM_400000_NS6detail17trampoline_kernelINS0_14default_configENS1_27scan_by_key_config_selectorIiiEEZZNS1_16scan_by_key_implILNS1_25lookback_scan_determinismE0ELb0ES3_N6thrust23THRUST_200600_302600_NS6detail15normal_iteratorINS9_10device_ptrIiEEEESE_SE_iNS9_4plusIvEENS9_8equal_toIvEEiEE10hipError_tPvRmT2_T3_T4_T5_mT6_T7_P12ihipStream_tbENKUlT_T0_E_clISt17integral_constantIbLb1EESY_IbLb0EEEEDaSU_SV_EUlSU_E_NS1_11comp_targetILNS1_3genE0ELNS1_11target_archE4294967295ELNS1_3gpuE0ELNS1_3repE0EEENS1_30default_config_static_selectorELNS0_4arch9wavefront6targetE0EEEvT1_.num_vgpr, 0
	.set _ZN7rocprim17ROCPRIM_400000_NS6detail17trampoline_kernelINS0_14default_configENS1_27scan_by_key_config_selectorIiiEEZZNS1_16scan_by_key_implILNS1_25lookback_scan_determinismE0ELb0ES3_N6thrust23THRUST_200600_302600_NS6detail15normal_iteratorINS9_10device_ptrIiEEEESE_SE_iNS9_4plusIvEENS9_8equal_toIvEEiEE10hipError_tPvRmT2_T3_T4_T5_mT6_T7_P12ihipStream_tbENKUlT_T0_E_clISt17integral_constantIbLb1EESY_IbLb0EEEEDaSU_SV_EUlSU_E_NS1_11comp_targetILNS1_3genE0ELNS1_11target_archE4294967295ELNS1_3gpuE0ELNS1_3repE0EEENS1_30default_config_static_selectorELNS0_4arch9wavefront6targetE0EEEvT1_.num_agpr, 0
	.set _ZN7rocprim17ROCPRIM_400000_NS6detail17trampoline_kernelINS0_14default_configENS1_27scan_by_key_config_selectorIiiEEZZNS1_16scan_by_key_implILNS1_25lookback_scan_determinismE0ELb0ES3_N6thrust23THRUST_200600_302600_NS6detail15normal_iteratorINS9_10device_ptrIiEEEESE_SE_iNS9_4plusIvEENS9_8equal_toIvEEiEE10hipError_tPvRmT2_T3_T4_T5_mT6_T7_P12ihipStream_tbENKUlT_T0_E_clISt17integral_constantIbLb1EESY_IbLb0EEEEDaSU_SV_EUlSU_E_NS1_11comp_targetILNS1_3genE0ELNS1_11target_archE4294967295ELNS1_3gpuE0ELNS1_3repE0EEENS1_30default_config_static_selectorELNS0_4arch9wavefront6targetE0EEEvT1_.numbered_sgpr, 0
	.set _ZN7rocprim17ROCPRIM_400000_NS6detail17trampoline_kernelINS0_14default_configENS1_27scan_by_key_config_selectorIiiEEZZNS1_16scan_by_key_implILNS1_25lookback_scan_determinismE0ELb0ES3_N6thrust23THRUST_200600_302600_NS6detail15normal_iteratorINS9_10device_ptrIiEEEESE_SE_iNS9_4plusIvEENS9_8equal_toIvEEiEE10hipError_tPvRmT2_T3_T4_T5_mT6_T7_P12ihipStream_tbENKUlT_T0_E_clISt17integral_constantIbLb1EESY_IbLb0EEEEDaSU_SV_EUlSU_E_NS1_11comp_targetILNS1_3genE0ELNS1_11target_archE4294967295ELNS1_3gpuE0ELNS1_3repE0EEENS1_30default_config_static_selectorELNS0_4arch9wavefront6targetE0EEEvT1_.num_named_barrier, 0
	.set _ZN7rocprim17ROCPRIM_400000_NS6detail17trampoline_kernelINS0_14default_configENS1_27scan_by_key_config_selectorIiiEEZZNS1_16scan_by_key_implILNS1_25lookback_scan_determinismE0ELb0ES3_N6thrust23THRUST_200600_302600_NS6detail15normal_iteratorINS9_10device_ptrIiEEEESE_SE_iNS9_4plusIvEENS9_8equal_toIvEEiEE10hipError_tPvRmT2_T3_T4_T5_mT6_T7_P12ihipStream_tbENKUlT_T0_E_clISt17integral_constantIbLb1EESY_IbLb0EEEEDaSU_SV_EUlSU_E_NS1_11comp_targetILNS1_3genE0ELNS1_11target_archE4294967295ELNS1_3gpuE0ELNS1_3repE0EEENS1_30default_config_static_selectorELNS0_4arch9wavefront6targetE0EEEvT1_.private_seg_size, 0
	.set _ZN7rocprim17ROCPRIM_400000_NS6detail17trampoline_kernelINS0_14default_configENS1_27scan_by_key_config_selectorIiiEEZZNS1_16scan_by_key_implILNS1_25lookback_scan_determinismE0ELb0ES3_N6thrust23THRUST_200600_302600_NS6detail15normal_iteratorINS9_10device_ptrIiEEEESE_SE_iNS9_4plusIvEENS9_8equal_toIvEEiEE10hipError_tPvRmT2_T3_T4_T5_mT6_T7_P12ihipStream_tbENKUlT_T0_E_clISt17integral_constantIbLb1EESY_IbLb0EEEEDaSU_SV_EUlSU_E_NS1_11comp_targetILNS1_3genE0ELNS1_11target_archE4294967295ELNS1_3gpuE0ELNS1_3repE0EEENS1_30default_config_static_selectorELNS0_4arch9wavefront6targetE0EEEvT1_.uses_vcc, 0
	.set _ZN7rocprim17ROCPRIM_400000_NS6detail17trampoline_kernelINS0_14default_configENS1_27scan_by_key_config_selectorIiiEEZZNS1_16scan_by_key_implILNS1_25lookback_scan_determinismE0ELb0ES3_N6thrust23THRUST_200600_302600_NS6detail15normal_iteratorINS9_10device_ptrIiEEEESE_SE_iNS9_4plusIvEENS9_8equal_toIvEEiEE10hipError_tPvRmT2_T3_T4_T5_mT6_T7_P12ihipStream_tbENKUlT_T0_E_clISt17integral_constantIbLb1EESY_IbLb0EEEEDaSU_SV_EUlSU_E_NS1_11comp_targetILNS1_3genE0ELNS1_11target_archE4294967295ELNS1_3gpuE0ELNS1_3repE0EEENS1_30default_config_static_selectorELNS0_4arch9wavefront6targetE0EEEvT1_.uses_flat_scratch, 0
	.set _ZN7rocprim17ROCPRIM_400000_NS6detail17trampoline_kernelINS0_14default_configENS1_27scan_by_key_config_selectorIiiEEZZNS1_16scan_by_key_implILNS1_25lookback_scan_determinismE0ELb0ES3_N6thrust23THRUST_200600_302600_NS6detail15normal_iteratorINS9_10device_ptrIiEEEESE_SE_iNS9_4plusIvEENS9_8equal_toIvEEiEE10hipError_tPvRmT2_T3_T4_T5_mT6_T7_P12ihipStream_tbENKUlT_T0_E_clISt17integral_constantIbLb1EESY_IbLb0EEEEDaSU_SV_EUlSU_E_NS1_11comp_targetILNS1_3genE0ELNS1_11target_archE4294967295ELNS1_3gpuE0ELNS1_3repE0EEENS1_30default_config_static_selectorELNS0_4arch9wavefront6targetE0EEEvT1_.has_dyn_sized_stack, 0
	.set _ZN7rocprim17ROCPRIM_400000_NS6detail17trampoline_kernelINS0_14default_configENS1_27scan_by_key_config_selectorIiiEEZZNS1_16scan_by_key_implILNS1_25lookback_scan_determinismE0ELb0ES3_N6thrust23THRUST_200600_302600_NS6detail15normal_iteratorINS9_10device_ptrIiEEEESE_SE_iNS9_4plusIvEENS9_8equal_toIvEEiEE10hipError_tPvRmT2_T3_T4_T5_mT6_T7_P12ihipStream_tbENKUlT_T0_E_clISt17integral_constantIbLb1EESY_IbLb0EEEEDaSU_SV_EUlSU_E_NS1_11comp_targetILNS1_3genE0ELNS1_11target_archE4294967295ELNS1_3gpuE0ELNS1_3repE0EEENS1_30default_config_static_selectorELNS0_4arch9wavefront6targetE0EEEvT1_.has_recursion, 0
	.set _ZN7rocprim17ROCPRIM_400000_NS6detail17trampoline_kernelINS0_14default_configENS1_27scan_by_key_config_selectorIiiEEZZNS1_16scan_by_key_implILNS1_25lookback_scan_determinismE0ELb0ES3_N6thrust23THRUST_200600_302600_NS6detail15normal_iteratorINS9_10device_ptrIiEEEESE_SE_iNS9_4plusIvEENS9_8equal_toIvEEiEE10hipError_tPvRmT2_T3_T4_T5_mT6_T7_P12ihipStream_tbENKUlT_T0_E_clISt17integral_constantIbLb1EESY_IbLb0EEEEDaSU_SV_EUlSU_E_NS1_11comp_targetILNS1_3genE0ELNS1_11target_archE4294967295ELNS1_3gpuE0ELNS1_3repE0EEENS1_30default_config_static_selectorELNS0_4arch9wavefront6targetE0EEEvT1_.has_indirect_call, 0
	.section	.AMDGPU.csdata,"",@progbits
; Kernel info:
; codeLenInByte = 4
; TotalNumSgprs: 0
; NumVgprs: 0
; ScratchSize: 0
; MemoryBound: 0
; FloatMode: 240
; IeeeMode: 1
; LDSByteSize: 0 bytes/workgroup (compile time only)
; SGPRBlocks: 0
; VGPRBlocks: 0
; NumSGPRsForWavesPerEU: 1
; NumVGPRsForWavesPerEU: 1
; NamedBarCnt: 0
; Occupancy: 16
; WaveLimiterHint : 0
; COMPUTE_PGM_RSRC2:SCRATCH_EN: 0
; COMPUTE_PGM_RSRC2:USER_SGPR: 2
; COMPUTE_PGM_RSRC2:TRAP_HANDLER: 0
; COMPUTE_PGM_RSRC2:TGID_X_EN: 1
; COMPUTE_PGM_RSRC2:TGID_Y_EN: 0
; COMPUTE_PGM_RSRC2:TGID_Z_EN: 0
; COMPUTE_PGM_RSRC2:TIDIG_COMP_CNT: 0
	.section	.text._ZN7rocprim17ROCPRIM_400000_NS6detail17trampoline_kernelINS0_14default_configENS1_27scan_by_key_config_selectorIiiEEZZNS1_16scan_by_key_implILNS1_25lookback_scan_determinismE0ELb0ES3_N6thrust23THRUST_200600_302600_NS6detail15normal_iteratorINS9_10device_ptrIiEEEESE_SE_iNS9_4plusIvEENS9_8equal_toIvEEiEE10hipError_tPvRmT2_T3_T4_T5_mT6_T7_P12ihipStream_tbENKUlT_T0_E_clISt17integral_constantIbLb1EESY_IbLb0EEEEDaSU_SV_EUlSU_E_NS1_11comp_targetILNS1_3genE10ELNS1_11target_archE1201ELNS1_3gpuE5ELNS1_3repE0EEENS1_30default_config_static_selectorELNS0_4arch9wavefront6targetE0EEEvT1_,"axG",@progbits,_ZN7rocprim17ROCPRIM_400000_NS6detail17trampoline_kernelINS0_14default_configENS1_27scan_by_key_config_selectorIiiEEZZNS1_16scan_by_key_implILNS1_25lookback_scan_determinismE0ELb0ES3_N6thrust23THRUST_200600_302600_NS6detail15normal_iteratorINS9_10device_ptrIiEEEESE_SE_iNS9_4plusIvEENS9_8equal_toIvEEiEE10hipError_tPvRmT2_T3_T4_T5_mT6_T7_P12ihipStream_tbENKUlT_T0_E_clISt17integral_constantIbLb1EESY_IbLb0EEEEDaSU_SV_EUlSU_E_NS1_11comp_targetILNS1_3genE10ELNS1_11target_archE1201ELNS1_3gpuE5ELNS1_3repE0EEENS1_30default_config_static_selectorELNS0_4arch9wavefront6targetE0EEEvT1_,comdat
	.protected	_ZN7rocprim17ROCPRIM_400000_NS6detail17trampoline_kernelINS0_14default_configENS1_27scan_by_key_config_selectorIiiEEZZNS1_16scan_by_key_implILNS1_25lookback_scan_determinismE0ELb0ES3_N6thrust23THRUST_200600_302600_NS6detail15normal_iteratorINS9_10device_ptrIiEEEESE_SE_iNS9_4plusIvEENS9_8equal_toIvEEiEE10hipError_tPvRmT2_T3_T4_T5_mT6_T7_P12ihipStream_tbENKUlT_T0_E_clISt17integral_constantIbLb1EESY_IbLb0EEEEDaSU_SV_EUlSU_E_NS1_11comp_targetILNS1_3genE10ELNS1_11target_archE1201ELNS1_3gpuE5ELNS1_3repE0EEENS1_30default_config_static_selectorELNS0_4arch9wavefront6targetE0EEEvT1_ ; -- Begin function _ZN7rocprim17ROCPRIM_400000_NS6detail17trampoline_kernelINS0_14default_configENS1_27scan_by_key_config_selectorIiiEEZZNS1_16scan_by_key_implILNS1_25lookback_scan_determinismE0ELb0ES3_N6thrust23THRUST_200600_302600_NS6detail15normal_iteratorINS9_10device_ptrIiEEEESE_SE_iNS9_4plusIvEENS9_8equal_toIvEEiEE10hipError_tPvRmT2_T3_T4_T5_mT6_T7_P12ihipStream_tbENKUlT_T0_E_clISt17integral_constantIbLb1EESY_IbLb0EEEEDaSU_SV_EUlSU_E_NS1_11comp_targetILNS1_3genE10ELNS1_11target_archE1201ELNS1_3gpuE5ELNS1_3repE0EEENS1_30default_config_static_selectorELNS0_4arch9wavefront6targetE0EEEvT1_
	.globl	_ZN7rocprim17ROCPRIM_400000_NS6detail17trampoline_kernelINS0_14default_configENS1_27scan_by_key_config_selectorIiiEEZZNS1_16scan_by_key_implILNS1_25lookback_scan_determinismE0ELb0ES3_N6thrust23THRUST_200600_302600_NS6detail15normal_iteratorINS9_10device_ptrIiEEEESE_SE_iNS9_4plusIvEENS9_8equal_toIvEEiEE10hipError_tPvRmT2_T3_T4_T5_mT6_T7_P12ihipStream_tbENKUlT_T0_E_clISt17integral_constantIbLb1EESY_IbLb0EEEEDaSU_SV_EUlSU_E_NS1_11comp_targetILNS1_3genE10ELNS1_11target_archE1201ELNS1_3gpuE5ELNS1_3repE0EEENS1_30default_config_static_selectorELNS0_4arch9wavefront6targetE0EEEvT1_
	.p2align	8
	.type	_ZN7rocprim17ROCPRIM_400000_NS6detail17trampoline_kernelINS0_14default_configENS1_27scan_by_key_config_selectorIiiEEZZNS1_16scan_by_key_implILNS1_25lookback_scan_determinismE0ELb0ES3_N6thrust23THRUST_200600_302600_NS6detail15normal_iteratorINS9_10device_ptrIiEEEESE_SE_iNS9_4plusIvEENS9_8equal_toIvEEiEE10hipError_tPvRmT2_T3_T4_T5_mT6_T7_P12ihipStream_tbENKUlT_T0_E_clISt17integral_constantIbLb1EESY_IbLb0EEEEDaSU_SV_EUlSU_E_NS1_11comp_targetILNS1_3genE10ELNS1_11target_archE1201ELNS1_3gpuE5ELNS1_3repE0EEENS1_30default_config_static_selectorELNS0_4arch9wavefront6targetE0EEEvT1_,@function
_ZN7rocprim17ROCPRIM_400000_NS6detail17trampoline_kernelINS0_14default_configENS1_27scan_by_key_config_selectorIiiEEZZNS1_16scan_by_key_implILNS1_25lookback_scan_determinismE0ELb0ES3_N6thrust23THRUST_200600_302600_NS6detail15normal_iteratorINS9_10device_ptrIiEEEESE_SE_iNS9_4plusIvEENS9_8equal_toIvEEiEE10hipError_tPvRmT2_T3_T4_T5_mT6_T7_P12ihipStream_tbENKUlT_T0_E_clISt17integral_constantIbLb1EESY_IbLb0EEEEDaSU_SV_EUlSU_E_NS1_11comp_targetILNS1_3genE10ELNS1_11target_archE1201ELNS1_3gpuE5ELNS1_3repE0EEENS1_30default_config_static_selectorELNS0_4arch9wavefront6targetE0EEEvT1_: ; @_ZN7rocprim17ROCPRIM_400000_NS6detail17trampoline_kernelINS0_14default_configENS1_27scan_by_key_config_selectorIiiEEZZNS1_16scan_by_key_implILNS1_25lookback_scan_determinismE0ELb0ES3_N6thrust23THRUST_200600_302600_NS6detail15normal_iteratorINS9_10device_ptrIiEEEESE_SE_iNS9_4plusIvEENS9_8equal_toIvEEiEE10hipError_tPvRmT2_T3_T4_T5_mT6_T7_P12ihipStream_tbENKUlT_T0_E_clISt17integral_constantIbLb1EESY_IbLb0EEEEDaSU_SV_EUlSU_E_NS1_11comp_targetILNS1_3genE10ELNS1_11target_archE1201ELNS1_3gpuE5ELNS1_3repE0EEENS1_30default_config_static_selectorELNS0_4arch9wavefront6targetE0EEEvT1_
; %bb.0:
	.section	.rodata,"a",@progbits
	.p2align	6, 0x0
	.amdhsa_kernel _ZN7rocprim17ROCPRIM_400000_NS6detail17trampoline_kernelINS0_14default_configENS1_27scan_by_key_config_selectorIiiEEZZNS1_16scan_by_key_implILNS1_25lookback_scan_determinismE0ELb0ES3_N6thrust23THRUST_200600_302600_NS6detail15normal_iteratorINS9_10device_ptrIiEEEESE_SE_iNS9_4plusIvEENS9_8equal_toIvEEiEE10hipError_tPvRmT2_T3_T4_T5_mT6_T7_P12ihipStream_tbENKUlT_T0_E_clISt17integral_constantIbLb1EESY_IbLb0EEEEDaSU_SV_EUlSU_E_NS1_11comp_targetILNS1_3genE10ELNS1_11target_archE1201ELNS1_3gpuE5ELNS1_3repE0EEENS1_30default_config_static_selectorELNS0_4arch9wavefront6targetE0EEEvT1_
		.amdhsa_group_segment_fixed_size 0
		.amdhsa_private_segment_fixed_size 0
		.amdhsa_kernarg_size 112
		.amdhsa_user_sgpr_count 2
		.amdhsa_user_sgpr_dispatch_ptr 0
		.amdhsa_user_sgpr_queue_ptr 0
		.amdhsa_user_sgpr_kernarg_segment_ptr 1
		.amdhsa_user_sgpr_dispatch_id 0
		.amdhsa_user_sgpr_kernarg_preload_length 0
		.amdhsa_user_sgpr_kernarg_preload_offset 0
		.amdhsa_user_sgpr_private_segment_size 0
		.amdhsa_wavefront_size32 1
		.amdhsa_uses_dynamic_stack 0
		.amdhsa_enable_private_segment 0
		.amdhsa_system_sgpr_workgroup_id_x 1
		.amdhsa_system_sgpr_workgroup_id_y 0
		.amdhsa_system_sgpr_workgroup_id_z 0
		.amdhsa_system_sgpr_workgroup_info 0
		.amdhsa_system_vgpr_workitem_id 0
		.amdhsa_next_free_vgpr 1
		.amdhsa_next_free_sgpr 1
		.amdhsa_named_barrier_count 0
		.amdhsa_reserve_vcc 0
		.amdhsa_float_round_mode_32 0
		.amdhsa_float_round_mode_16_64 0
		.amdhsa_float_denorm_mode_32 3
		.amdhsa_float_denorm_mode_16_64 3
		.amdhsa_fp16_overflow 0
		.amdhsa_memory_ordered 1
		.amdhsa_forward_progress 1
		.amdhsa_inst_pref_size 0
		.amdhsa_round_robin_scheduling 0
		.amdhsa_exception_fp_ieee_invalid_op 0
		.amdhsa_exception_fp_denorm_src 0
		.amdhsa_exception_fp_ieee_div_zero 0
		.amdhsa_exception_fp_ieee_overflow 0
		.amdhsa_exception_fp_ieee_underflow 0
		.amdhsa_exception_fp_ieee_inexact 0
		.amdhsa_exception_int_div_zero 0
	.end_amdhsa_kernel
	.section	.text._ZN7rocprim17ROCPRIM_400000_NS6detail17trampoline_kernelINS0_14default_configENS1_27scan_by_key_config_selectorIiiEEZZNS1_16scan_by_key_implILNS1_25lookback_scan_determinismE0ELb0ES3_N6thrust23THRUST_200600_302600_NS6detail15normal_iteratorINS9_10device_ptrIiEEEESE_SE_iNS9_4plusIvEENS9_8equal_toIvEEiEE10hipError_tPvRmT2_T3_T4_T5_mT6_T7_P12ihipStream_tbENKUlT_T0_E_clISt17integral_constantIbLb1EESY_IbLb0EEEEDaSU_SV_EUlSU_E_NS1_11comp_targetILNS1_3genE10ELNS1_11target_archE1201ELNS1_3gpuE5ELNS1_3repE0EEENS1_30default_config_static_selectorELNS0_4arch9wavefront6targetE0EEEvT1_,"axG",@progbits,_ZN7rocprim17ROCPRIM_400000_NS6detail17trampoline_kernelINS0_14default_configENS1_27scan_by_key_config_selectorIiiEEZZNS1_16scan_by_key_implILNS1_25lookback_scan_determinismE0ELb0ES3_N6thrust23THRUST_200600_302600_NS6detail15normal_iteratorINS9_10device_ptrIiEEEESE_SE_iNS9_4plusIvEENS9_8equal_toIvEEiEE10hipError_tPvRmT2_T3_T4_T5_mT6_T7_P12ihipStream_tbENKUlT_T0_E_clISt17integral_constantIbLb1EESY_IbLb0EEEEDaSU_SV_EUlSU_E_NS1_11comp_targetILNS1_3genE10ELNS1_11target_archE1201ELNS1_3gpuE5ELNS1_3repE0EEENS1_30default_config_static_selectorELNS0_4arch9wavefront6targetE0EEEvT1_,comdat
.Lfunc_end145:
	.size	_ZN7rocprim17ROCPRIM_400000_NS6detail17trampoline_kernelINS0_14default_configENS1_27scan_by_key_config_selectorIiiEEZZNS1_16scan_by_key_implILNS1_25lookback_scan_determinismE0ELb0ES3_N6thrust23THRUST_200600_302600_NS6detail15normal_iteratorINS9_10device_ptrIiEEEESE_SE_iNS9_4plusIvEENS9_8equal_toIvEEiEE10hipError_tPvRmT2_T3_T4_T5_mT6_T7_P12ihipStream_tbENKUlT_T0_E_clISt17integral_constantIbLb1EESY_IbLb0EEEEDaSU_SV_EUlSU_E_NS1_11comp_targetILNS1_3genE10ELNS1_11target_archE1201ELNS1_3gpuE5ELNS1_3repE0EEENS1_30default_config_static_selectorELNS0_4arch9wavefront6targetE0EEEvT1_, .Lfunc_end145-_ZN7rocprim17ROCPRIM_400000_NS6detail17trampoline_kernelINS0_14default_configENS1_27scan_by_key_config_selectorIiiEEZZNS1_16scan_by_key_implILNS1_25lookback_scan_determinismE0ELb0ES3_N6thrust23THRUST_200600_302600_NS6detail15normal_iteratorINS9_10device_ptrIiEEEESE_SE_iNS9_4plusIvEENS9_8equal_toIvEEiEE10hipError_tPvRmT2_T3_T4_T5_mT6_T7_P12ihipStream_tbENKUlT_T0_E_clISt17integral_constantIbLb1EESY_IbLb0EEEEDaSU_SV_EUlSU_E_NS1_11comp_targetILNS1_3genE10ELNS1_11target_archE1201ELNS1_3gpuE5ELNS1_3repE0EEENS1_30default_config_static_selectorELNS0_4arch9wavefront6targetE0EEEvT1_
                                        ; -- End function
	.set _ZN7rocprim17ROCPRIM_400000_NS6detail17trampoline_kernelINS0_14default_configENS1_27scan_by_key_config_selectorIiiEEZZNS1_16scan_by_key_implILNS1_25lookback_scan_determinismE0ELb0ES3_N6thrust23THRUST_200600_302600_NS6detail15normal_iteratorINS9_10device_ptrIiEEEESE_SE_iNS9_4plusIvEENS9_8equal_toIvEEiEE10hipError_tPvRmT2_T3_T4_T5_mT6_T7_P12ihipStream_tbENKUlT_T0_E_clISt17integral_constantIbLb1EESY_IbLb0EEEEDaSU_SV_EUlSU_E_NS1_11comp_targetILNS1_3genE10ELNS1_11target_archE1201ELNS1_3gpuE5ELNS1_3repE0EEENS1_30default_config_static_selectorELNS0_4arch9wavefront6targetE0EEEvT1_.num_vgpr, 0
	.set _ZN7rocprim17ROCPRIM_400000_NS6detail17trampoline_kernelINS0_14default_configENS1_27scan_by_key_config_selectorIiiEEZZNS1_16scan_by_key_implILNS1_25lookback_scan_determinismE0ELb0ES3_N6thrust23THRUST_200600_302600_NS6detail15normal_iteratorINS9_10device_ptrIiEEEESE_SE_iNS9_4plusIvEENS9_8equal_toIvEEiEE10hipError_tPvRmT2_T3_T4_T5_mT6_T7_P12ihipStream_tbENKUlT_T0_E_clISt17integral_constantIbLb1EESY_IbLb0EEEEDaSU_SV_EUlSU_E_NS1_11comp_targetILNS1_3genE10ELNS1_11target_archE1201ELNS1_3gpuE5ELNS1_3repE0EEENS1_30default_config_static_selectorELNS0_4arch9wavefront6targetE0EEEvT1_.num_agpr, 0
	.set _ZN7rocprim17ROCPRIM_400000_NS6detail17trampoline_kernelINS0_14default_configENS1_27scan_by_key_config_selectorIiiEEZZNS1_16scan_by_key_implILNS1_25lookback_scan_determinismE0ELb0ES3_N6thrust23THRUST_200600_302600_NS6detail15normal_iteratorINS9_10device_ptrIiEEEESE_SE_iNS9_4plusIvEENS9_8equal_toIvEEiEE10hipError_tPvRmT2_T3_T4_T5_mT6_T7_P12ihipStream_tbENKUlT_T0_E_clISt17integral_constantIbLb1EESY_IbLb0EEEEDaSU_SV_EUlSU_E_NS1_11comp_targetILNS1_3genE10ELNS1_11target_archE1201ELNS1_3gpuE5ELNS1_3repE0EEENS1_30default_config_static_selectorELNS0_4arch9wavefront6targetE0EEEvT1_.numbered_sgpr, 0
	.set _ZN7rocprim17ROCPRIM_400000_NS6detail17trampoline_kernelINS0_14default_configENS1_27scan_by_key_config_selectorIiiEEZZNS1_16scan_by_key_implILNS1_25lookback_scan_determinismE0ELb0ES3_N6thrust23THRUST_200600_302600_NS6detail15normal_iteratorINS9_10device_ptrIiEEEESE_SE_iNS9_4plusIvEENS9_8equal_toIvEEiEE10hipError_tPvRmT2_T3_T4_T5_mT6_T7_P12ihipStream_tbENKUlT_T0_E_clISt17integral_constantIbLb1EESY_IbLb0EEEEDaSU_SV_EUlSU_E_NS1_11comp_targetILNS1_3genE10ELNS1_11target_archE1201ELNS1_3gpuE5ELNS1_3repE0EEENS1_30default_config_static_selectorELNS0_4arch9wavefront6targetE0EEEvT1_.num_named_barrier, 0
	.set _ZN7rocprim17ROCPRIM_400000_NS6detail17trampoline_kernelINS0_14default_configENS1_27scan_by_key_config_selectorIiiEEZZNS1_16scan_by_key_implILNS1_25lookback_scan_determinismE0ELb0ES3_N6thrust23THRUST_200600_302600_NS6detail15normal_iteratorINS9_10device_ptrIiEEEESE_SE_iNS9_4plusIvEENS9_8equal_toIvEEiEE10hipError_tPvRmT2_T3_T4_T5_mT6_T7_P12ihipStream_tbENKUlT_T0_E_clISt17integral_constantIbLb1EESY_IbLb0EEEEDaSU_SV_EUlSU_E_NS1_11comp_targetILNS1_3genE10ELNS1_11target_archE1201ELNS1_3gpuE5ELNS1_3repE0EEENS1_30default_config_static_selectorELNS0_4arch9wavefront6targetE0EEEvT1_.private_seg_size, 0
	.set _ZN7rocprim17ROCPRIM_400000_NS6detail17trampoline_kernelINS0_14default_configENS1_27scan_by_key_config_selectorIiiEEZZNS1_16scan_by_key_implILNS1_25lookback_scan_determinismE0ELb0ES3_N6thrust23THRUST_200600_302600_NS6detail15normal_iteratorINS9_10device_ptrIiEEEESE_SE_iNS9_4plusIvEENS9_8equal_toIvEEiEE10hipError_tPvRmT2_T3_T4_T5_mT6_T7_P12ihipStream_tbENKUlT_T0_E_clISt17integral_constantIbLb1EESY_IbLb0EEEEDaSU_SV_EUlSU_E_NS1_11comp_targetILNS1_3genE10ELNS1_11target_archE1201ELNS1_3gpuE5ELNS1_3repE0EEENS1_30default_config_static_selectorELNS0_4arch9wavefront6targetE0EEEvT1_.uses_vcc, 0
	.set _ZN7rocprim17ROCPRIM_400000_NS6detail17trampoline_kernelINS0_14default_configENS1_27scan_by_key_config_selectorIiiEEZZNS1_16scan_by_key_implILNS1_25lookback_scan_determinismE0ELb0ES3_N6thrust23THRUST_200600_302600_NS6detail15normal_iteratorINS9_10device_ptrIiEEEESE_SE_iNS9_4plusIvEENS9_8equal_toIvEEiEE10hipError_tPvRmT2_T3_T4_T5_mT6_T7_P12ihipStream_tbENKUlT_T0_E_clISt17integral_constantIbLb1EESY_IbLb0EEEEDaSU_SV_EUlSU_E_NS1_11comp_targetILNS1_3genE10ELNS1_11target_archE1201ELNS1_3gpuE5ELNS1_3repE0EEENS1_30default_config_static_selectorELNS0_4arch9wavefront6targetE0EEEvT1_.uses_flat_scratch, 0
	.set _ZN7rocprim17ROCPRIM_400000_NS6detail17trampoline_kernelINS0_14default_configENS1_27scan_by_key_config_selectorIiiEEZZNS1_16scan_by_key_implILNS1_25lookback_scan_determinismE0ELb0ES3_N6thrust23THRUST_200600_302600_NS6detail15normal_iteratorINS9_10device_ptrIiEEEESE_SE_iNS9_4plusIvEENS9_8equal_toIvEEiEE10hipError_tPvRmT2_T3_T4_T5_mT6_T7_P12ihipStream_tbENKUlT_T0_E_clISt17integral_constantIbLb1EESY_IbLb0EEEEDaSU_SV_EUlSU_E_NS1_11comp_targetILNS1_3genE10ELNS1_11target_archE1201ELNS1_3gpuE5ELNS1_3repE0EEENS1_30default_config_static_selectorELNS0_4arch9wavefront6targetE0EEEvT1_.has_dyn_sized_stack, 0
	.set _ZN7rocprim17ROCPRIM_400000_NS6detail17trampoline_kernelINS0_14default_configENS1_27scan_by_key_config_selectorIiiEEZZNS1_16scan_by_key_implILNS1_25lookback_scan_determinismE0ELb0ES3_N6thrust23THRUST_200600_302600_NS6detail15normal_iteratorINS9_10device_ptrIiEEEESE_SE_iNS9_4plusIvEENS9_8equal_toIvEEiEE10hipError_tPvRmT2_T3_T4_T5_mT6_T7_P12ihipStream_tbENKUlT_T0_E_clISt17integral_constantIbLb1EESY_IbLb0EEEEDaSU_SV_EUlSU_E_NS1_11comp_targetILNS1_3genE10ELNS1_11target_archE1201ELNS1_3gpuE5ELNS1_3repE0EEENS1_30default_config_static_selectorELNS0_4arch9wavefront6targetE0EEEvT1_.has_recursion, 0
	.set _ZN7rocprim17ROCPRIM_400000_NS6detail17trampoline_kernelINS0_14default_configENS1_27scan_by_key_config_selectorIiiEEZZNS1_16scan_by_key_implILNS1_25lookback_scan_determinismE0ELb0ES3_N6thrust23THRUST_200600_302600_NS6detail15normal_iteratorINS9_10device_ptrIiEEEESE_SE_iNS9_4plusIvEENS9_8equal_toIvEEiEE10hipError_tPvRmT2_T3_T4_T5_mT6_T7_P12ihipStream_tbENKUlT_T0_E_clISt17integral_constantIbLb1EESY_IbLb0EEEEDaSU_SV_EUlSU_E_NS1_11comp_targetILNS1_3genE10ELNS1_11target_archE1201ELNS1_3gpuE5ELNS1_3repE0EEENS1_30default_config_static_selectorELNS0_4arch9wavefront6targetE0EEEvT1_.has_indirect_call, 0
	.section	.AMDGPU.csdata,"",@progbits
; Kernel info:
; codeLenInByte = 0
; TotalNumSgprs: 0
; NumVgprs: 0
; ScratchSize: 0
; MemoryBound: 0
; FloatMode: 240
; IeeeMode: 1
; LDSByteSize: 0 bytes/workgroup (compile time only)
; SGPRBlocks: 0
; VGPRBlocks: 0
; NumSGPRsForWavesPerEU: 1
; NumVGPRsForWavesPerEU: 1
; NamedBarCnt: 0
; Occupancy: 16
; WaveLimiterHint : 0
; COMPUTE_PGM_RSRC2:SCRATCH_EN: 0
; COMPUTE_PGM_RSRC2:USER_SGPR: 2
; COMPUTE_PGM_RSRC2:TRAP_HANDLER: 0
; COMPUTE_PGM_RSRC2:TGID_X_EN: 1
; COMPUTE_PGM_RSRC2:TGID_Y_EN: 0
; COMPUTE_PGM_RSRC2:TGID_Z_EN: 0
; COMPUTE_PGM_RSRC2:TIDIG_COMP_CNT: 0
	.section	.text._ZN7rocprim17ROCPRIM_400000_NS6detail17trampoline_kernelINS0_14default_configENS1_27scan_by_key_config_selectorIiiEEZZNS1_16scan_by_key_implILNS1_25lookback_scan_determinismE0ELb0ES3_N6thrust23THRUST_200600_302600_NS6detail15normal_iteratorINS9_10device_ptrIiEEEESE_SE_iNS9_4plusIvEENS9_8equal_toIvEEiEE10hipError_tPvRmT2_T3_T4_T5_mT6_T7_P12ihipStream_tbENKUlT_T0_E_clISt17integral_constantIbLb1EESY_IbLb0EEEEDaSU_SV_EUlSU_E_NS1_11comp_targetILNS1_3genE5ELNS1_11target_archE942ELNS1_3gpuE9ELNS1_3repE0EEENS1_30default_config_static_selectorELNS0_4arch9wavefront6targetE0EEEvT1_,"axG",@progbits,_ZN7rocprim17ROCPRIM_400000_NS6detail17trampoline_kernelINS0_14default_configENS1_27scan_by_key_config_selectorIiiEEZZNS1_16scan_by_key_implILNS1_25lookback_scan_determinismE0ELb0ES3_N6thrust23THRUST_200600_302600_NS6detail15normal_iteratorINS9_10device_ptrIiEEEESE_SE_iNS9_4plusIvEENS9_8equal_toIvEEiEE10hipError_tPvRmT2_T3_T4_T5_mT6_T7_P12ihipStream_tbENKUlT_T0_E_clISt17integral_constantIbLb1EESY_IbLb0EEEEDaSU_SV_EUlSU_E_NS1_11comp_targetILNS1_3genE5ELNS1_11target_archE942ELNS1_3gpuE9ELNS1_3repE0EEENS1_30default_config_static_selectorELNS0_4arch9wavefront6targetE0EEEvT1_,comdat
	.protected	_ZN7rocprim17ROCPRIM_400000_NS6detail17trampoline_kernelINS0_14default_configENS1_27scan_by_key_config_selectorIiiEEZZNS1_16scan_by_key_implILNS1_25lookback_scan_determinismE0ELb0ES3_N6thrust23THRUST_200600_302600_NS6detail15normal_iteratorINS9_10device_ptrIiEEEESE_SE_iNS9_4plusIvEENS9_8equal_toIvEEiEE10hipError_tPvRmT2_T3_T4_T5_mT6_T7_P12ihipStream_tbENKUlT_T0_E_clISt17integral_constantIbLb1EESY_IbLb0EEEEDaSU_SV_EUlSU_E_NS1_11comp_targetILNS1_3genE5ELNS1_11target_archE942ELNS1_3gpuE9ELNS1_3repE0EEENS1_30default_config_static_selectorELNS0_4arch9wavefront6targetE0EEEvT1_ ; -- Begin function _ZN7rocprim17ROCPRIM_400000_NS6detail17trampoline_kernelINS0_14default_configENS1_27scan_by_key_config_selectorIiiEEZZNS1_16scan_by_key_implILNS1_25lookback_scan_determinismE0ELb0ES3_N6thrust23THRUST_200600_302600_NS6detail15normal_iteratorINS9_10device_ptrIiEEEESE_SE_iNS9_4plusIvEENS9_8equal_toIvEEiEE10hipError_tPvRmT2_T3_T4_T5_mT6_T7_P12ihipStream_tbENKUlT_T0_E_clISt17integral_constantIbLb1EESY_IbLb0EEEEDaSU_SV_EUlSU_E_NS1_11comp_targetILNS1_3genE5ELNS1_11target_archE942ELNS1_3gpuE9ELNS1_3repE0EEENS1_30default_config_static_selectorELNS0_4arch9wavefront6targetE0EEEvT1_
	.globl	_ZN7rocprim17ROCPRIM_400000_NS6detail17trampoline_kernelINS0_14default_configENS1_27scan_by_key_config_selectorIiiEEZZNS1_16scan_by_key_implILNS1_25lookback_scan_determinismE0ELb0ES3_N6thrust23THRUST_200600_302600_NS6detail15normal_iteratorINS9_10device_ptrIiEEEESE_SE_iNS9_4plusIvEENS9_8equal_toIvEEiEE10hipError_tPvRmT2_T3_T4_T5_mT6_T7_P12ihipStream_tbENKUlT_T0_E_clISt17integral_constantIbLb1EESY_IbLb0EEEEDaSU_SV_EUlSU_E_NS1_11comp_targetILNS1_3genE5ELNS1_11target_archE942ELNS1_3gpuE9ELNS1_3repE0EEENS1_30default_config_static_selectorELNS0_4arch9wavefront6targetE0EEEvT1_
	.p2align	8
	.type	_ZN7rocprim17ROCPRIM_400000_NS6detail17trampoline_kernelINS0_14default_configENS1_27scan_by_key_config_selectorIiiEEZZNS1_16scan_by_key_implILNS1_25lookback_scan_determinismE0ELb0ES3_N6thrust23THRUST_200600_302600_NS6detail15normal_iteratorINS9_10device_ptrIiEEEESE_SE_iNS9_4plusIvEENS9_8equal_toIvEEiEE10hipError_tPvRmT2_T3_T4_T5_mT6_T7_P12ihipStream_tbENKUlT_T0_E_clISt17integral_constantIbLb1EESY_IbLb0EEEEDaSU_SV_EUlSU_E_NS1_11comp_targetILNS1_3genE5ELNS1_11target_archE942ELNS1_3gpuE9ELNS1_3repE0EEENS1_30default_config_static_selectorELNS0_4arch9wavefront6targetE0EEEvT1_,@function
_ZN7rocprim17ROCPRIM_400000_NS6detail17trampoline_kernelINS0_14default_configENS1_27scan_by_key_config_selectorIiiEEZZNS1_16scan_by_key_implILNS1_25lookback_scan_determinismE0ELb0ES3_N6thrust23THRUST_200600_302600_NS6detail15normal_iteratorINS9_10device_ptrIiEEEESE_SE_iNS9_4plusIvEENS9_8equal_toIvEEiEE10hipError_tPvRmT2_T3_T4_T5_mT6_T7_P12ihipStream_tbENKUlT_T0_E_clISt17integral_constantIbLb1EESY_IbLb0EEEEDaSU_SV_EUlSU_E_NS1_11comp_targetILNS1_3genE5ELNS1_11target_archE942ELNS1_3gpuE9ELNS1_3repE0EEENS1_30default_config_static_selectorELNS0_4arch9wavefront6targetE0EEEvT1_: ; @_ZN7rocprim17ROCPRIM_400000_NS6detail17trampoline_kernelINS0_14default_configENS1_27scan_by_key_config_selectorIiiEEZZNS1_16scan_by_key_implILNS1_25lookback_scan_determinismE0ELb0ES3_N6thrust23THRUST_200600_302600_NS6detail15normal_iteratorINS9_10device_ptrIiEEEESE_SE_iNS9_4plusIvEENS9_8equal_toIvEEiEE10hipError_tPvRmT2_T3_T4_T5_mT6_T7_P12ihipStream_tbENKUlT_T0_E_clISt17integral_constantIbLb1EESY_IbLb0EEEEDaSU_SV_EUlSU_E_NS1_11comp_targetILNS1_3genE5ELNS1_11target_archE942ELNS1_3gpuE9ELNS1_3repE0EEENS1_30default_config_static_selectorELNS0_4arch9wavefront6targetE0EEEvT1_
; %bb.0:
	.section	.rodata,"a",@progbits
	.p2align	6, 0x0
	.amdhsa_kernel _ZN7rocprim17ROCPRIM_400000_NS6detail17trampoline_kernelINS0_14default_configENS1_27scan_by_key_config_selectorIiiEEZZNS1_16scan_by_key_implILNS1_25lookback_scan_determinismE0ELb0ES3_N6thrust23THRUST_200600_302600_NS6detail15normal_iteratorINS9_10device_ptrIiEEEESE_SE_iNS9_4plusIvEENS9_8equal_toIvEEiEE10hipError_tPvRmT2_T3_T4_T5_mT6_T7_P12ihipStream_tbENKUlT_T0_E_clISt17integral_constantIbLb1EESY_IbLb0EEEEDaSU_SV_EUlSU_E_NS1_11comp_targetILNS1_3genE5ELNS1_11target_archE942ELNS1_3gpuE9ELNS1_3repE0EEENS1_30default_config_static_selectorELNS0_4arch9wavefront6targetE0EEEvT1_
		.amdhsa_group_segment_fixed_size 0
		.amdhsa_private_segment_fixed_size 0
		.amdhsa_kernarg_size 112
		.amdhsa_user_sgpr_count 2
		.amdhsa_user_sgpr_dispatch_ptr 0
		.amdhsa_user_sgpr_queue_ptr 0
		.amdhsa_user_sgpr_kernarg_segment_ptr 1
		.amdhsa_user_sgpr_dispatch_id 0
		.amdhsa_user_sgpr_kernarg_preload_length 0
		.amdhsa_user_sgpr_kernarg_preload_offset 0
		.amdhsa_user_sgpr_private_segment_size 0
		.amdhsa_wavefront_size32 1
		.amdhsa_uses_dynamic_stack 0
		.amdhsa_enable_private_segment 0
		.amdhsa_system_sgpr_workgroup_id_x 1
		.amdhsa_system_sgpr_workgroup_id_y 0
		.amdhsa_system_sgpr_workgroup_id_z 0
		.amdhsa_system_sgpr_workgroup_info 0
		.amdhsa_system_vgpr_workitem_id 0
		.amdhsa_next_free_vgpr 1
		.amdhsa_next_free_sgpr 1
		.amdhsa_named_barrier_count 0
		.amdhsa_reserve_vcc 0
		.amdhsa_float_round_mode_32 0
		.amdhsa_float_round_mode_16_64 0
		.amdhsa_float_denorm_mode_32 3
		.amdhsa_float_denorm_mode_16_64 3
		.amdhsa_fp16_overflow 0
		.amdhsa_memory_ordered 1
		.amdhsa_forward_progress 1
		.amdhsa_inst_pref_size 0
		.amdhsa_round_robin_scheduling 0
		.amdhsa_exception_fp_ieee_invalid_op 0
		.amdhsa_exception_fp_denorm_src 0
		.amdhsa_exception_fp_ieee_div_zero 0
		.amdhsa_exception_fp_ieee_overflow 0
		.amdhsa_exception_fp_ieee_underflow 0
		.amdhsa_exception_fp_ieee_inexact 0
		.amdhsa_exception_int_div_zero 0
	.end_amdhsa_kernel
	.section	.text._ZN7rocprim17ROCPRIM_400000_NS6detail17trampoline_kernelINS0_14default_configENS1_27scan_by_key_config_selectorIiiEEZZNS1_16scan_by_key_implILNS1_25lookback_scan_determinismE0ELb0ES3_N6thrust23THRUST_200600_302600_NS6detail15normal_iteratorINS9_10device_ptrIiEEEESE_SE_iNS9_4plusIvEENS9_8equal_toIvEEiEE10hipError_tPvRmT2_T3_T4_T5_mT6_T7_P12ihipStream_tbENKUlT_T0_E_clISt17integral_constantIbLb1EESY_IbLb0EEEEDaSU_SV_EUlSU_E_NS1_11comp_targetILNS1_3genE5ELNS1_11target_archE942ELNS1_3gpuE9ELNS1_3repE0EEENS1_30default_config_static_selectorELNS0_4arch9wavefront6targetE0EEEvT1_,"axG",@progbits,_ZN7rocprim17ROCPRIM_400000_NS6detail17trampoline_kernelINS0_14default_configENS1_27scan_by_key_config_selectorIiiEEZZNS1_16scan_by_key_implILNS1_25lookback_scan_determinismE0ELb0ES3_N6thrust23THRUST_200600_302600_NS6detail15normal_iteratorINS9_10device_ptrIiEEEESE_SE_iNS9_4plusIvEENS9_8equal_toIvEEiEE10hipError_tPvRmT2_T3_T4_T5_mT6_T7_P12ihipStream_tbENKUlT_T0_E_clISt17integral_constantIbLb1EESY_IbLb0EEEEDaSU_SV_EUlSU_E_NS1_11comp_targetILNS1_3genE5ELNS1_11target_archE942ELNS1_3gpuE9ELNS1_3repE0EEENS1_30default_config_static_selectorELNS0_4arch9wavefront6targetE0EEEvT1_,comdat
.Lfunc_end146:
	.size	_ZN7rocprim17ROCPRIM_400000_NS6detail17trampoline_kernelINS0_14default_configENS1_27scan_by_key_config_selectorIiiEEZZNS1_16scan_by_key_implILNS1_25lookback_scan_determinismE0ELb0ES3_N6thrust23THRUST_200600_302600_NS6detail15normal_iteratorINS9_10device_ptrIiEEEESE_SE_iNS9_4plusIvEENS9_8equal_toIvEEiEE10hipError_tPvRmT2_T3_T4_T5_mT6_T7_P12ihipStream_tbENKUlT_T0_E_clISt17integral_constantIbLb1EESY_IbLb0EEEEDaSU_SV_EUlSU_E_NS1_11comp_targetILNS1_3genE5ELNS1_11target_archE942ELNS1_3gpuE9ELNS1_3repE0EEENS1_30default_config_static_selectorELNS0_4arch9wavefront6targetE0EEEvT1_, .Lfunc_end146-_ZN7rocprim17ROCPRIM_400000_NS6detail17trampoline_kernelINS0_14default_configENS1_27scan_by_key_config_selectorIiiEEZZNS1_16scan_by_key_implILNS1_25lookback_scan_determinismE0ELb0ES3_N6thrust23THRUST_200600_302600_NS6detail15normal_iteratorINS9_10device_ptrIiEEEESE_SE_iNS9_4plusIvEENS9_8equal_toIvEEiEE10hipError_tPvRmT2_T3_T4_T5_mT6_T7_P12ihipStream_tbENKUlT_T0_E_clISt17integral_constantIbLb1EESY_IbLb0EEEEDaSU_SV_EUlSU_E_NS1_11comp_targetILNS1_3genE5ELNS1_11target_archE942ELNS1_3gpuE9ELNS1_3repE0EEENS1_30default_config_static_selectorELNS0_4arch9wavefront6targetE0EEEvT1_
                                        ; -- End function
	.set _ZN7rocprim17ROCPRIM_400000_NS6detail17trampoline_kernelINS0_14default_configENS1_27scan_by_key_config_selectorIiiEEZZNS1_16scan_by_key_implILNS1_25lookback_scan_determinismE0ELb0ES3_N6thrust23THRUST_200600_302600_NS6detail15normal_iteratorINS9_10device_ptrIiEEEESE_SE_iNS9_4plusIvEENS9_8equal_toIvEEiEE10hipError_tPvRmT2_T3_T4_T5_mT6_T7_P12ihipStream_tbENKUlT_T0_E_clISt17integral_constantIbLb1EESY_IbLb0EEEEDaSU_SV_EUlSU_E_NS1_11comp_targetILNS1_3genE5ELNS1_11target_archE942ELNS1_3gpuE9ELNS1_3repE0EEENS1_30default_config_static_selectorELNS0_4arch9wavefront6targetE0EEEvT1_.num_vgpr, 0
	.set _ZN7rocprim17ROCPRIM_400000_NS6detail17trampoline_kernelINS0_14default_configENS1_27scan_by_key_config_selectorIiiEEZZNS1_16scan_by_key_implILNS1_25lookback_scan_determinismE0ELb0ES3_N6thrust23THRUST_200600_302600_NS6detail15normal_iteratorINS9_10device_ptrIiEEEESE_SE_iNS9_4plusIvEENS9_8equal_toIvEEiEE10hipError_tPvRmT2_T3_T4_T5_mT6_T7_P12ihipStream_tbENKUlT_T0_E_clISt17integral_constantIbLb1EESY_IbLb0EEEEDaSU_SV_EUlSU_E_NS1_11comp_targetILNS1_3genE5ELNS1_11target_archE942ELNS1_3gpuE9ELNS1_3repE0EEENS1_30default_config_static_selectorELNS0_4arch9wavefront6targetE0EEEvT1_.num_agpr, 0
	.set _ZN7rocprim17ROCPRIM_400000_NS6detail17trampoline_kernelINS0_14default_configENS1_27scan_by_key_config_selectorIiiEEZZNS1_16scan_by_key_implILNS1_25lookback_scan_determinismE0ELb0ES3_N6thrust23THRUST_200600_302600_NS6detail15normal_iteratorINS9_10device_ptrIiEEEESE_SE_iNS9_4plusIvEENS9_8equal_toIvEEiEE10hipError_tPvRmT2_T3_T4_T5_mT6_T7_P12ihipStream_tbENKUlT_T0_E_clISt17integral_constantIbLb1EESY_IbLb0EEEEDaSU_SV_EUlSU_E_NS1_11comp_targetILNS1_3genE5ELNS1_11target_archE942ELNS1_3gpuE9ELNS1_3repE0EEENS1_30default_config_static_selectorELNS0_4arch9wavefront6targetE0EEEvT1_.numbered_sgpr, 0
	.set _ZN7rocprim17ROCPRIM_400000_NS6detail17trampoline_kernelINS0_14default_configENS1_27scan_by_key_config_selectorIiiEEZZNS1_16scan_by_key_implILNS1_25lookback_scan_determinismE0ELb0ES3_N6thrust23THRUST_200600_302600_NS6detail15normal_iteratorINS9_10device_ptrIiEEEESE_SE_iNS9_4plusIvEENS9_8equal_toIvEEiEE10hipError_tPvRmT2_T3_T4_T5_mT6_T7_P12ihipStream_tbENKUlT_T0_E_clISt17integral_constantIbLb1EESY_IbLb0EEEEDaSU_SV_EUlSU_E_NS1_11comp_targetILNS1_3genE5ELNS1_11target_archE942ELNS1_3gpuE9ELNS1_3repE0EEENS1_30default_config_static_selectorELNS0_4arch9wavefront6targetE0EEEvT1_.num_named_barrier, 0
	.set _ZN7rocprim17ROCPRIM_400000_NS6detail17trampoline_kernelINS0_14default_configENS1_27scan_by_key_config_selectorIiiEEZZNS1_16scan_by_key_implILNS1_25lookback_scan_determinismE0ELb0ES3_N6thrust23THRUST_200600_302600_NS6detail15normal_iteratorINS9_10device_ptrIiEEEESE_SE_iNS9_4plusIvEENS9_8equal_toIvEEiEE10hipError_tPvRmT2_T3_T4_T5_mT6_T7_P12ihipStream_tbENKUlT_T0_E_clISt17integral_constantIbLb1EESY_IbLb0EEEEDaSU_SV_EUlSU_E_NS1_11comp_targetILNS1_3genE5ELNS1_11target_archE942ELNS1_3gpuE9ELNS1_3repE0EEENS1_30default_config_static_selectorELNS0_4arch9wavefront6targetE0EEEvT1_.private_seg_size, 0
	.set _ZN7rocprim17ROCPRIM_400000_NS6detail17trampoline_kernelINS0_14default_configENS1_27scan_by_key_config_selectorIiiEEZZNS1_16scan_by_key_implILNS1_25lookback_scan_determinismE0ELb0ES3_N6thrust23THRUST_200600_302600_NS6detail15normal_iteratorINS9_10device_ptrIiEEEESE_SE_iNS9_4plusIvEENS9_8equal_toIvEEiEE10hipError_tPvRmT2_T3_T4_T5_mT6_T7_P12ihipStream_tbENKUlT_T0_E_clISt17integral_constantIbLb1EESY_IbLb0EEEEDaSU_SV_EUlSU_E_NS1_11comp_targetILNS1_3genE5ELNS1_11target_archE942ELNS1_3gpuE9ELNS1_3repE0EEENS1_30default_config_static_selectorELNS0_4arch9wavefront6targetE0EEEvT1_.uses_vcc, 0
	.set _ZN7rocprim17ROCPRIM_400000_NS6detail17trampoline_kernelINS0_14default_configENS1_27scan_by_key_config_selectorIiiEEZZNS1_16scan_by_key_implILNS1_25lookback_scan_determinismE0ELb0ES3_N6thrust23THRUST_200600_302600_NS6detail15normal_iteratorINS9_10device_ptrIiEEEESE_SE_iNS9_4plusIvEENS9_8equal_toIvEEiEE10hipError_tPvRmT2_T3_T4_T5_mT6_T7_P12ihipStream_tbENKUlT_T0_E_clISt17integral_constantIbLb1EESY_IbLb0EEEEDaSU_SV_EUlSU_E_NS1_11comp_targetILNS1_3genE5ELNS1_11target_archE942ELNS1_3gpuE9ELNS1_3repE0EEENS1_30default_config_static_selectorELNS0_4arch9wavefront6targetE0EEEvT1_.uses_flat_scratch, 0
	.set _ZN7rocprim17ROCPRIM_400000_NS6detail17trampoline_kernelINS0_14default_configENS1_27scan_by_key_config_selectorIiiEEZZNS1_16scan_by_key_implILNS1_25lookback_scan_determinismE0ELb0ES3_N6thrust23THRUST_200600_302600_NS6detail15normal_iteratorINS9_10device_ptrIiEEEESE_SE_iNS9_4plusIvEENS9_8equal_toIvEEiEE10hipError_tPvRmT2_T3_T4_T5_mT6_T7_P12ihipStream_tbENKUlT_T0_E_clISt17integral_constantIbLb1EESY_IbLb0EEEEDaSU_SV_EUlSU_E_NS1_11comp_targetILNS1_3genE5ELNS1_11target_archE942ELNS1_3gpuE9ELNS1_3repE0EEENS1_30default_config_static_selectorELNS0_4arch9wavefront6targetE0EEEvT1_.has_dyn_sized_stack, 0
	.set _ZN7rocprim17ROCPRIM_400000_NS6detail17trampoline_kernelINS0_14default_configENS1_27scan_by_key_config_selectorIiiEEZZNS1_16scan_by_key_implILNS1_25lookback_scan_determinismE0ELb0ES3_N6thrust23THRUST_200600_302600_NS6detail15normal_iteratorINS9_10device_ptrIiEEEESE_SE_iNS9_4plusIvEENS9_8equal_toIvEEiEE10hipError_tPvRmT2_T3_T4_T5_mT6_T7_P12ihipStream_tbENKUlT_T0_E_clISt17integral_constantIbLb1EESY_IbLb0EEEEDaSU_SV_EUlSU_E_NS1_11comp_targetILNS1_3genE5ELNS1_11target_archE942ELNS1_3gpuE9ELNS1_3repE0EEENS1_30default_config_static_selectorELNS0_4arch9wavefront6targetE0EEEvT1_.has_recursion, 0
	.set _ZN7rocprim17ROCPRIM_400000_NS6detail17trampoline_kernelINS0_14default_configENS1_27scan_by_key_config_selectorIiiEEZZNS1_16scan_by_key_implILNS1_25lookback_scan_determinismE0ELb0ES3_N6thrust23THRUST_200600_302600_NS6detail15normal_iteratorINS9_10device_ptrIiEEEESE_SE_iNS9_4plusIvEENS9_8equal_toIvEEiEE10hipError_tPvRmT2_T3_T4_T5_mT6_T7_P12ihipStream_tbENKUlT_T0_E_clISt17integral_constantIbLb1EESY_IbLb0EEEEDaSU_SV_EUlSU_E_NS1_11comp_targetILNS1_3genE5ELNS1_11target_archE942ELNS1_3gpuE9ELNS1_3repE0EEENS1_30default_config_static_selectorELNS0_4arch9wavefront6targetE0EEEvT1_.has_indirect_call, 0
	.section	.AMDGPU.csdata,"",@progbits
; Kernel info:
; codeLenInByte = 0
; TotalNumSgprs: 0
; NumVgprs: 0
; ScratchSize: 0
; MemoryBound: 0
; FloatMode: 240
; IeeeMode: 1
; LDSByteSize: 0 bytes/workgroup (compile time only)
; SGPRBlocks: 0
; VGPRBlocks: 0
; NumSGPRsForWavesPerEU: 1
; NumVGPRsForWavesPerEU: 1
; NamedBarCnt: 0
; Occupancy: 16
; WaveLimiterHint : 0
; COMPUTE_PGM_RSRC2:SCRATCH_EN: 0
; COMPUTE_PGM_RSRC2:USER_SGPR: 2
; COMPUTE_PGM_RSRC2:TRAP_HANDLER: 0
; COMPUTE_PGM_RSRC2:TGID_X_EN: 1
; COMPUTE_PGM_RSRC2:TGID_Y_EN: 0
; COMPUTE_PGM_RSRC2:TGID_Z_EN: 0
; COMPUTE_PGM_RSRC2:TIDIG_COMP_CNT: 0
	.section	.text._ZN7rocprim17ROCPRIM_400000_NS6detail17trampoline_kernelINS0_14default_configENS1_27scan_by_key_config_selectorIiiEEZZNS1_16scan_by_key_implILNS1_25lookback_scan_determinismE0ELb0ES3_N6thrust23THRUST_200600_302600_NS6detail15normal_iteratorINS9_10device_ptrIiEEEESE_SE_iNS9_4plusIvEENS9_8equal_toIvEEiEE10hipError_tPvRmT2_T3_T4_T5_mT6_T7_P12ihipStream_tbENKUlT_T0_E_clISt17integral_constantIbLb1EESY_IbLb0EEEEDaSU_SV_EUlSU_E_NS1_11comp_targetILNS1_3genE4ELNS1_11target_archE910ELNS1_3gpuE8ELNS1_3repE0EEENS1_30default_config_static_selectorELNS0_4arch9wavefront6targetE0EEEvT1_,"axG",@progbits,_ZN7rocprim17ROCPRIM_400000_NS6detail17trampoline_kernelINS0_14default_configENS1_27scan_by_key_config_selectorIiiEEZZNS1_16scan_by_key_implILNS1_25lookback_scan_determinismE0ELb0ES3_N6thrust23THRUST_200600_302600_NS6detail15normal_iteratorINS9_10device_ptrIiEEEESE_SE_iNS9_4plusIvEENS9_8equal_toIvEEiEE10hipError_tPvRmT2_T3_T4_T5_mT6_T7_P12ihipStream_tbENKUlT_T0_E_clISt17integral_constantIbLb1EESY_IbLb0EEEEDaSU_SV_EUlSU_E_NS1_11comp_targetILNS1_3genE4ELNS1_11target_archE910ELNS1_3gpuE8ELNS1_3repE0EEENS1_30default_config_static_selectorELNS0_4arch9wavefront6targetE0EEEvT1_,comdat
	.protected	_ZN7rocprim17ROCPRIM_400000_NS6detail17trampoline_kernelINS0_14default_configENS1_27scan_by_key_config_selectorIiiEEZZNS1_16scan_by_key_implILNS1_25lookback_scan_determinismE0ELb0ES3_N6thrust23THRUST_200600_302600_NS6detail15normal_iteratorINS9_10device_ptrIiEEEESE_SE_iNS9_4plusIvEENS9_8equal_toIvEEiEE10hipError_tPvRmT2_T3_T4_T5_mT6_T7_P12ihipStream_tbENKUlT_T0_E_clISt17integral_constantIbLb1EESY_IbLb0EEEEDaSU_SV_EUlSU_E_NS1_11comp_targetILNS1_3genE4ELNS1_11target_archE910ELNS1_3gpuE8ELNS1_3repE0EEENS1_30default_config_static_selectorELNS0_4arch9wavefront6targetE0EEEvT1_ ; -- Begin function _ZN7rocprim17ROCPRIM_400000_NS6detail17trampoline_kernelINS0_14default_configENS1_27scan_by_key_config_selectorIiiEEZZNS1_16scan_by_key_implILNS1_25lookback_scan_determinismE0ELb0ES3_N6thrust23THRUST_200600_302600_NS6detail15normal_iteratorINS9_10device_ptrIiEEEESE_SE_iNS9_4plusIvEENS9_8equal_toIvEEiEE10hipError_tPvRmT2_T3_T4_T5_mT6_T7_P12ihipStream_tbENKUlT_T0_E_clISt17integral_constantIbLb1EESY_IbLb0EEEEDaSU_SV_EUlSU_E_NS1_11comp_targetILNS1_3genE4ELNS1_11target_archE910ELNS1_3gpuE8ELNS1_3repE0EEENS1_30default_config_static_selectorELNS0_4arch9wavefront6targetE0EEEvT1_
	.globl	_ZN7rocprim17ROCPRIM_400000_NS6detail17trampoline_kernelINS0_14default_configENS1_27scan_by_key_config_selectorIiiEEZZNS1_16scan_by_key_implILNS1_25lookback_scan_determinismE0ELb0ES3_N6thrust23THRUST_200600_302600_NS6detail15normal_iteratorINS9_10device_ptrIiEEEESE_SE_iNS9_4plusIvEENS9_8equal_toIvEEiEE10hipError_tPvRmT2_T3_T4_T5_mT6_T7_P12ihipStream_tbENKUlT_T0_E_clISt17integral_constantIbLb1EESY_IbLb0EEEEDaSU_SV_EUlSU_E_NS1_11comp_targetILNS1_3genE4ELNS1_11target_archE910ELNS1_3gpuE8ELNS1_3repE0EEENS1_30default_config_static_selectorELNS0_4arch9wavefront6targetE0EEEvT1_
	.p2align	8
	.type	_ZN7rocprim17ROCPRIM_400000_NS6detail17trampoline_kernelINS0_14default_configENS1_27scan_by_key_config_selectorIiiEEZZNS1_16scan_by_key_implILNS1_25lookback_scan_determinismE0ELb0ES3_N6thrust23THRUST_200600_302600_NS6detail15normal_iteratorINS9_10device_ptrIiEEEESE_SE_iNS9_4plusIvEENS9_8equal_toIvEEiEE10hipError_tPvRmT2_T3_T4_T5_mT6_T7_P12ihipStream_tbENKUlT_T0_E_clISt17integral_constantIbLb1EESY_IbLb0EEEEDaSU_SV_EUlSU_E_NS1_11comp_targetILNS1_3genE4ELNS1_11target_archE910ELNS1_3gpuE8ELNS1_3repE0EEENS1_30default_config_static_selectorELNS0_4arch9wavefront6targetE0EEEvT1_,@function
_ZN7rocprim17ROCPRIM_400000_NS6detail17trampoline_kernelINS0_14default_configENS1_27scan_by_key_config_selectorIiiEEZZNS1_16scan_by_key_implILNS1_25lookback_scan_determinismE0ELb0ES3_N6thrust23THRUST_200600_302600_NS6detail15normal_iteratorINS9_10device_ptrIiEEEESE_SE_iNS9_4plusIvEENS9_8equal_toIvEEiEE10hipError_tPvRmT2_T3_T4_T5_mT6_T7_P12ihipStream_tbENKUlT_T0_E_clISt17integral_constantIbLb1EESY_IbLb0EEEEDaSU_SV_EUlSU_E_NS1_11comp_targetILNS1_3genE4ELNS1_11target_archE910ELNS1_3gpuE8ELNS1_3repE0EEENS1_30default_config_static_selectorELNS0_4arch9wavefront6targetE0EEEvT1_: ; @_ZN7rocprim17ROCPRIM_400000_NS6detail17trampoline_kernelINS0_14default_configENS1_27scan_by_key_config_selectorIiiEEZZNS1_16scan_by_key_implILNS1_25lookback_scan_determinismE0ELb0ES3_N6thrust23THRUST_200600_302600_NS6detail15normal_iteratorINS9_10device_ptrIiEEEESE_SE_iNS9_4plusIvEENS9_8equal_toIvEEiEE10hipError_tPvRmT2_T3_T4_T5_mT6_T7_P12ihipStream_tbENKUlT_T0_E_clISt17integral_constantIbLb1EESY_IbLb0EEEEDaSU_SV_EUlSU_E_NS1_11comp_targetILNS1_3genE4ELNS1_11target_archE910ELNS1_3gpuE8ELNS1_3repE0EEENS1_30default_config_static_selectorELNS0_4arch9wavefront6targetE0EEEvT1_
; %bb.0:
	.section	.rodata,"a",@progbits
	.p2align	6, 0x0
	.amdhsa_kernel _ZN7rocprim17ROCPRIM_400000_NS6detail17trampoline_kernelINS0_14default_configENS1_27scan_by_key_config_selectorIiiEEZZNS1_16scan_by_key_implILNS1_25lookback_scan_determinismE0ELb0ES3_N6thrust23THRUST_200600_302600_NS6detail15normal_iteratorINS9_10device_ptrIiEEEESE_SE_iNS9_4plusIvEENS9_8equal_toIvEEiEE10hipError_tPvRmT2_T3_T4_T5_mT6_T7_P12ihipStream_tbENKUlT_T0_E_clISt17integral_constantIbLb1EESY_IbLb0EEEEDaSU_SV_EUlSU_E_NS1_11comp_targetILNS1_3genE4ELNS1_11target_archE910ELNS1_3gpuE8ELNS1_3repE0EEENS1_30default_config_static_selectorELNS0_4arch9wavefront6targetE0EEEvT1_
		.amdhsa_group_segment_fixed_size 0
		.amdhsa_private_segment_fixed_size 0
		.amdhsa_kernarg_size 112
		.amdhsa_user_sgpr_count 2
		.amdhsa_user_sgpr_dispatch_ptr 0
		.amdhsa_user_sgpr_queue_ptr 0
		.amdhsa_user_sgpr_kernarg_segment_ptr 1
		.amdhsa_user_sgpr_dispatch_id 0
		.amdhsa_user_sgpr_kernarg_preload_length 0
		.amdhsa_user_sgpr_kernarg_preload_offset 0
		.amdhsa_user_sgpr_private_segment_size 0
		.amdhsa_wavefront_size32 1
		.amdhsa_uses_dynamic_stack 0
		.amdhsa_enable_private_segment 0
		.amdhsa_system_sgpr_workgroup_id_x 1
		.amdhsa_system_sgpr_workgroup_id_y 0
		.amdhsa_system_sgpr_workgroup_id_z 0
		.amdhsa_system_sgpr_workgroup_info 0
		.amdhsa_system_vgpr_workitem_id 0
		.amdhsa_next_free_vgpr 1
		.amdhsa_next_free_sgpr 1
		.amdhsa_named_barrier_count 0
		.amdhsa_reserve_vcc 0
		.amdhsa_float_round_mode_32 0
		.amdhsa_float_round_mode_16_64 0
		.amdhsa_float_denorm_mode_32 3
		.amdhsa_float_denorm_mode_16_64 3
		.amdhsa_fp16_overflow 0
		.amdhsa_memory_ordered 1
		.amdhsa_forward_progress 1
		.amdhsa_inst_pref_size 0
		.amdhsa_round_robin_scheduling 0
		.amdhsa_exception_fp_ieee_invalid_op 0
		.amdhsa_exception_fp_denorm_src 0
		.amdhsa_exception_fp_ieee_div_zero 0
		.amdhsa_exception_fp_ieee_overflow 0
		.amdhsa_exception_fp_ieee_underflow 0
		.amdhsa_exception_fp_ieee_inexact 0
		.amdhsa_exception_int_div_zero 0
	.end_amdhsa_kernel
	.section	.text._ZN7rocprim17ROCPRIM_400000_NS6detail17trampoline_kernelINS0_14default_configENS1_27scan_by_key_config_selectorIiiEEZZNS1_16scan_by_key_implILNS1_25lookback_scan_determinismE0ELb0ES3_N6thrust23THRUST_200600_302600_NS6detail15normal_iteratorINS9_10device_ptrIiEEEESE_SE_iNS9_4plusIvEENS9_8equal_toIvEEiEE10hipError_tPvRmT2_T3_T4_T5_mT6_T7_P12ihipStream_tbENKUlT_T0_E_clISt17integral_constantIbLb1EESY_IbLb0EEEEDaSU_SV_EUlSU_E_NS1_11comp_targetILNS1_3genE4ELNS1_11target_archE910ELNS1_3gpuE8ELNS1_3repE0EEENS1_30default_config_static_selectorELNS0_4arch9wavefront6targetE0EEEvT1_,"axG",@progbits,_ZN7rocprim17ROCPRIM_400000_NS6detail17trampoline_kernelINS0_14default_configENS1_27scan_by_key_config_selectorIiiEEZZNS1_16scan_by_key_implILNS1_25lookback_scan_determinismE0ELb0ES3_N6thrust23THRUST_200600_302600_NS6detail15normal_iteratorINS9_10device_ptrIiEEEESE_SE_iNS9_4plusIvEENS9_8equal_toIvEEiEE10hipError_tPvRmT2_T3_T4_T5_mT6_T7_P12ihipStream_tbENKUlT_T0_E_clISt17integral_constantIbLb1EESY_IbLb0EEEEDaSU_SV_EUlSU_E_NS1_11comp_targetILNS1_3genE4ELNS1_11target_archE910ELNS1_3gpuE8ELNS1_3repE0EEENS1_30default_config_static_selectorELNS0_4arch9wavefront6targetE0EEEvT1_,comdat
.Lfunc_end147:
	.size	_ZN7rocprim17ROCPRIM_400000_NS6detail17trampoline_kernelINS0_14default_configENS1_27scan_by_key_config_selectorIiiEEZZNS1_16scan_by_key_implILNS1_25lookback_scan_determinismE0ELb0ES3_N6thrust23THRUST_200600_302600_NS6detail15normal_iteratorINS9_10device_ptrIiEEEESE_SE_iNS9_4plusIvEENS9_8equal_toIvEEiEE10hipError_tPvRmT2_T3_T4_T5_mT6_T7_P12ihipStream_tbENKUlT_T0_E_clISt17integral_constantIbLb1EESY_IbLb0EEEEDaSU_SV_EUlSU_E_NS1_11comp_targetILNS1_3genE4ELNS1_11target_archE910ELNS1_3gpuE8ELNS1_3repE0EEENS1_30default_config_static_selectorELNS0_4arch9wavefront6targetE0EEEvT1_, .Lfunc_end147-_ZN7rocprim17ROCPRIM_400000_NS6detail17trampoline_kernelINS0_14default_configENS1_27scan_by_key_config_selectorIiiEEZZNS1_16scan_by_key_implILNS1_25lookback_scan_determinismE0ELb0ES3_N6thrust23THRUST_200600_302600_NS6detail15normal_iteratorINS9_10device_ptrIiEEEESE_SE_iNS9_4plusIvEENS9_8equal_toIvEEiEE10hipError_tPvRmT2_T3_T4_T5_mT6_T7_P12ihipStream_tbENKUlT_T0_E_clISt17integral_constantIbLb1EESY_IbLb0EEEEDaSU_SV_EUlSU_E_NS1_11comp_targetILNS1_3genE4ELNS1_11target_archE910ELNS1_3gpuE8ELNS1_3repE0EEENS1_30default_config_static_selectorELNS0_4arch9wavefront6targetE0EEEvT1_
                                        ; -- End function
	.set _ZN7rocprim17ROCPRIM_400000_NS6detail17trampoline_kernelINS0_14default_configENS1_27scan_by_key_config_selectorIiiEEZZNS1_16scan_by_key_implILNS1_25lookback_scan_determinismE0ELb0ES3_N6thrust23THRUST_200600_302600_NS6detail15normal_iteratorINS9_10device_ptrIiEEEESE_SE_iNS9_4plusIvEENS9_8equal_toIvEEiEE10hipError_tPvRmT2_T3_T4_T5_mT6_T7_P12ihipStream_tbENKUlT_T0_E_clISt17integral_constantIbLb1EESY_IbLb0EEEEDaSU_SV_EUlSU_E_NS1_11comp_targetILNS1_3genE4ELNS1_11target_archE910ELNS1_3gpuE8ELNS1_3repE0EEENS1_30default_config_static_selectorELNS0_4arch9wavefront6targetE0EEEvT1_.num_vgpr, 0
	.set _ZN7rocprim17ROCPRIM_400000_NS6detail17trampoline_kernelINS0_14default_configENS1_27scan_by_key_config_selectorIiiEEZZNS1_16scan_by_key_implILNS1_25lookback_scan_determinismE0ELb0ES3_N6thrust23THRUST_200600_302600_NS6detail15normal_iteratorINS9_10device_ptrIiEEEESE_SE_iNS9_4plusIvEENS9_8equal_toIvEEiEE10hipError_tPvRmT2_T3_T4_T5_mT6_T7_P12ihipStream_tbENKUlT_T0_E_clISt17integral_constantIbLb1EESY_IbLb0EEEEDaSU_SV_EUlSU_E_NS1_11comp_targetILNS1_3genE4ELNS1_11target_archE910ELNS1_3gpuE8ELNS1_3repE0EEENS1_30default_config_static_selectorELNS0_4arch9wavefront6targetE0EEEvT1_.num_agpr, 0
	.set _ZN7rocprim17ROCPRIM_400000_NS6detail17trampoline_kernelINS0_14default_configENS1_27scan_by_key_config_selectorIiiEEZZNS1_16scan_by_key_implILNS1_25lookback_scan_determinismE0ELb0ES3_N6thrust23THRUST_200600_302600_NS6detail15normal_iteratorINS9_10device_ptrIiEEEESE_SE_iNS9_4plusIvEENS9_8equal_toIvEEiEE10hipError_tPvRmT2_T3_T4_T5_mT6_T7_P12ihipStream_tbENKUlT_T0_E_clISt17integral_constantIbLb1EESY_IbLb0EEEEDaSU_SV_EUlSU_E_NS1_11comp_targetILNS1_3genE4ELNS1_11target_archE910ELNS1_3gpuE8ELNS1_3repE0EEENS1_30default_config_static_selectorELNS0_4arch9wavefront6targetE0EEEvT1_.numbered_sgpr, 0
	.set _ZN7rocprim17ROCPRIM_400000_NS6detail17trampoline_kernelINS0_14default_configENS1_27scan_by_key_config_selectorIiiEEZZNS1_16scan_by_key_implILNS1_25lookback_scan_determinismE0ELb0ES3_N6thrust23THRUST_200600_302600_NS6detail15normal_iteratorINS9_10device_ptrIiEEEESE_SE_iNS9_4plusIvEENS9_8equal_toIvEEiEE10hipError_tPvRmT2_T3_T4_T5_mT6_T7_P12ihipStream_tbENKUlT_T0_E_clISt17integral_constantIbLb1EESY_IbLb0EEEEDaSU_SV_EUlSU_E_NS1_11comp_targetILNS1_3genE4ELNS1_11target_archE910ELNS1_3gpuE8ELNS1_3repE0EEENS1_30default_config_static_selectorELNS0_4arch9wavefront6targetE0EEEvT1_.num_named_barrier, 0
	.set _ZN7rocprim17ROCPRIM_400000_NS6detail17trampoline_kernelINS0_14default_configENS1_27scan_by_key_config_selectorIiiEEZZNS1_16scan_by_key_implILNS1_25lookback_scan_determinismE0ELb0ES3_N6thrust23THRUST_200600_302600_NS6detail15normal_iteratorINS9_10device_ptrIiEEEESE_SE_iNS9_4plusIvEENS9_8equal_toIvEEiEE10hipError_tPvRmT2_T3_T4_T5_mT6_T7_P12ihipStream_tbENKUlT_T0_E_clISt17integral_constantIbLb1EESY_IbLb0EEEEDaSU_SV_EUlSU_E_NS1_11comp_targetILNS1_3genE4ELNS1_11target_archE910ELNS1_3gpuE8ELNS1_3repE0EEENS1_30default_config_static_selectorELNS0_4arch9wavefront6targetE0EEEvT1_.private_seg_size, 0
	.set _ZN7rocprim17ROCPRIM_400000_NS6detail17trampoline_kernelINS0_14default_configENS1_27scan_by_key_config_selectorIiiEEZZNS1_16scan_by_key_implILNS1_25lookback_scan_determinismE0ELb0ES3_N6thrust23THRUST_200600_302600_NS6detail15normal_iteratorINS9_10device_ptrIiEEEESE_SE_iNS9_4plusIvEENS9_8equal_toIvEEiEE10hipError_tPvRmT2_T3_T4_T5_mT6_T7_P12ihipStream_tbENKUlT_T0_E_clISt17integral_constantIbLb1EESY_IbLb0EEEEDaSU_SV_EUlSU_E_NS1_11comp_targetILNS1_3genE4ELNS1_11target_archE910ELNS1_3gpuE8ELNS1_3repE0EEENS1_30default_config_static_selectorELNS0_4arch9wavefront6targetE0EEEvT1_.uses_vcc, 0
	.set _ZN7rocprim17ROCPRIM_400000_NS6detail17trampoline_kernelINS0_14default_configENS1_27scan_by_key_config_selectorIiiEEZZNS1_16scan_by_key_implILNS1_25lookback_scan_determinismE0ELb0ES3_N6thrust23THRUST_200600_302600_NS6detail15normal_iteratorINS9_10device_ptrIiEEEESE_SE_iNS9_4plusIvEENS9_8equal_toIvEEiEE10hipError_tPvRmT2_T3_T4_T5_mT6_T7_P12ihipStream_tbENKUlT_T0_E_clISt17integral_constantIbLb1EESY_IbLb0EEEEDaSU_SV_EUlSU_E_NS1_11comp_targetILNS1_3genE4ELNS1_11target_archE910ELNS1_3gpuE8ELNS1_3repE0EEENS1_30default_config_static_selectorELNS0_4arch9wavefront6targetE0EEEvT1_.uses_flat_scratch, 0
	.set _ZN7rocprim17ROCPRIM_400000_NS6detail17trampoline_kernelINS0_14default_configENS1_27scan_by_key_config_selectorIiiEEZZNS1_16scan_by_key_implILNS1_25lookback_scan_determinismE0ELb0ES3_N6thrust23THRUST_200600_302600_NS6detail15normal_iteratorINS9_10device_ptrIiEEEESE_SE_iNS9_4plusIvEENS9_8equal_toIvEEiEE10hipError_tPvRmT2_T3_T4_T5_mT6_T7_P12ihipStream_tbENKUlT_T0_E_clISt17integral_constantIbLb1EESY_IbLb0EEEEDaSU_SV_EUlSU_E_NS1_11comp_targetILNS1_3genE4ELNS1_11target_archE910ELNS1_3gpuE8ELNS1_3repE0EEENS1_30default_config_static_selectorELNS0_4arch9wavefront6targetE0EEEvT1_.has_dyn_sized_stack, 0
	.set _ZN7rocprim17ROCPRIM_400000_NS6detail17trampoline_kernelINS0_14default_configENS1_27scan_by_key_config_selectorIiiEEZZNS1_16scan_by_key_implILNS1_25lookback_scan_determinismE0ELb0ES3_N6thrust23THRUST_200600_302600_NS6detail15normal_iteratorINS9_10device_ptrIiEEEESE_SE_iNS9_4plusIvEENS9_8equal_toIvEEiEE10hipError_tPvRmT2_T3_T4_T5_mT6_T7_P12ihipStream_tbENKUlT_T0_E_clISt17integral_constantIbLb1EESY_IbLb0EEEEDaSU_SV_EUlSU_E_NS1_11comp_targetILNS1_3genE4ELNS1_11target_archE910ELNS1_3gpuE8ELNS1_3repE0EEENS1_30default_config_static_selectorELNS0_4arch9wavefront6targetE0EEEvT1_.has_recursion, 0
	.set _ZN7rocprim17ROCPRIM_400000_NS6detail17trampoline_kernelINS0_14default_configENS1_27scan_by_key_config_selectorIiiEEZZNS1_16scan_by_key_implILNS1_25lookback_scan_determinismE0ELb0ES3_N6thrust23THRUST_200600_302600_NS6detail15normal_iteratorINS9_10device_ptrIiEEEESE_SE_iNS9_4plusIvEENS9_8equal_toIvEEiEE10hipError_tPvRmT2_T3_T4_T5_mT6_T7_P12ihipStream_tbENKUlT_T0_E_clISt17integral_constantIbLb1EESY_IbLb0EEEEDaSU_SV_EUlSU_E_NS1_11comp_targetILNS1_3genE4ELNS1_11target_archE910ELNS1_3gpuE8ELNS1_3repE0EEENS1_30default_config_static_selectorELNS0_4arch9wavefront6targetE0EEEvT1_.has_indirect_call, 0
	.section	.AMDGPU.csdata,"",@progbits
; Kernel info:
; codeLenInByte = 0
; TotalNumSgprs: 0
; NumVgprs: 0
; ScratchSize: 0
; MemoryBound: 0
; FloatMode: 240
; IeeeMode: 1
; LDSByteSize: 0 bytes/workgroup (compile time only)
; SGPRBlocks: 0
; VGPRBlocks: 0
; NumSGPRsForWavesPerEU: 1
; NumVGPRsForWavesPerEU: 1
; NamedBarCnt: 0
; Occupancy: 16
; WaveLimiterHint : 0
; COMPUTE_PGM_RSRC2:SCRATCH_EN: 0
; COMPUTE_PGM_RSRC2:USER_SGPR: 2
; COMPUTE_PGM_RSRC2:TRAP_HANDLER: 0
; COMPUTE_PGM_RSRC2:TGID_X_EN: 1
; COMPUTE_PGM_RSRC2:TGID_Y_EN: 0
; COMPUTE_PGM_RSRC2:TGID_Z_EN: 0
; COMPUTE_PGM_RSRC2:TIDIG_COMP_CNT: 0
	.section	.text._ZN7rocprim17ROCPRIM_400000_NS6detail17trampoline_kernelINS0_14default_configENS1_27scan_by_key_config_selectorIiiEEZZNS1_16scan_by_key_implILNS1_25lookback_scan_determinismE0ELb0ES3_N6thrust23THRUST_200600_302600_NS6detail15normal_iteratorINS9_10device_ptrIiEEEESE_SE_iNS9_4plusIvEENS9_8equal_toIvEEiEE10hipError_tPvRmT2_T3_T4_T5_mT6_T7_P12ihipStream_tbENKUlT_T0_E_clISt17integral_constantIbLb1EESY_IbLb0EEEEDaSU_SV_EUlSU_E_NS1_11comp_targetILNS1_3genE3ELNS1_11target_archE908ELNS1_3gpuE7ELNS1_3repE0EEENS1_30default_config_static_selectorELNS0_4arch9wavefront6targetE0EEEvT1_,"axG",@progbits,_ZN7rocprim17ROCPRIM_400000_NS6detail17trampoline_kernelINS0_14default_configENS1_27scan_by_key_config_selectorIiiEEZZNS1_16scan_by_key_implILNS1_25lookback_scan_determinismE0ELb0ES3_N6thrust23THRUST_200600_302600_NS6detail15normal_iteratorINS9_10device_ptrIiEEEESE_SE_iNS9_4plusIvEENS9_8equal_toIvEEiEE10hipError_tPvRmT2_T3_T4_T5_mT6_T7_P12ihipStream_tbENKUlT_T0_E_clISt17integral_constantIbLb1EESY_IbLb0EEEEDaSU_SV_EUlSU_E_NS1_11comp_targetILNS1_3genE3ELNS1_11target_archE908ELNS1_3gpuE7ELNS1_3repE0EEENS1_30default_config_static_selectorELNS0_4arch9wavefront6targetE0EEEvT1_,comdat
	.protected	_ZN7rocprim17ROCPRIM_400000_NS6detail17trampoline_kernelINS0_14default_configENS1_27scan_by_key_config_selectorIiiEEZZNS1_16scan_by_key_implILNS1_25lookback_scan_determinismE0ELb0ES3_N6thrust23THRUST_200600_302600_NS6detail15normal_iteratorINS9_10device_ptrIiEEEESE_SE_iNS9_4plusIvEENS9_8equal_toIvEEiEE10hipError_tPvRmT2_T3_T4_T5_mT6_T7_P12ihipStream_tbENKUlT_T0_E_clISt17integral_constantIbLb1EESY_IbLb0EEEEDaSU_SV_EUlSU_E_NS1_11comp_targetILNS1_3genE3ELNS1_11target_archE908ELNS1_3gpuE7ELNS1_3repE0EEENS1_30default_config_static_selectorELNS0_4arch9wavefront6targetE0EEEvT1_ ; -- Begin function _ZN7rocprim17ROCPRIM_400000_NS6detail17trampoline_kernelINS0_14default_configENS1_27scan_by_key_config_selectorIiiEEZZNS1_16scan_by_key_implILNS1_25lookback_scan_determinismE0ELb0ES3_N6thrust23THRUST_200600_302600_NS6detail15normal_iteratorINS9_10device_ptrIiEEEESE_SE_iNS9_4plusIvEENS9_8equal_toIvEEiEE10hipError_tPvRmT2_T3_T4_T5_mT6_T7_P12ihipStream_tbENKUlT_T0_E_clISt17integral_constantIbLb1EESY_IbLb0EEEEDaSU_SV_EUlSU_E_NS1_11comp_targetILNS1_3genE3ELNS1_11target_archE908ELNS1_3gpuE7ELNS1_3repE0EEENS1_30default_config_static_selectorELNS0_4arch9wavefront6targetE0EEEvT1_
	.globl	_ZN7rocprim17ROCPRIM_400000_NS6detail17trampoline_kernelINS0_14default_configENS1_27scan_by_key_config_selectorIiiEEZZNS1_16scan_by_key_implILNS1_25lookback_scan_determinismE0ELb0ES3_N6thrust23THRUST_200600_302600_NS6detail15normal_iteratorINS9_10device_ptrIiEEEESE_SE_iNS9_4plusIvEENS9_8equal_toIvEEiEE10hipError_tPvRmT2_T3_T4_T5_mT6_T7_P12ihipStream_tbENKUlT_T0_E_clISt17integral_constantIbLb1EESY_IbLb0EEEEDaSU_SV_EUlSU_E_NS1_11comp_targetILNS1_3genE3ELNS1_11target_archE908ELNS1_3gpuE7ELNS1_3repE0EEENS1_30default_config_static_selectorELNS0_4arch9wavefront6targetE0EEEvT1_
	.p2align	8
	.type	_ZN7rocprim17ROCPRIM_400000_NS6detail17trampoline_kernelINS0_14default_configENS1_27scan_by_key_config_selectorIiiEEZZNS1_16scan_by_key_implILNS1_25lookback_scan_determinismE0ELb0ES3_N6thrust23THRUST_200600_302600_NS6detail15normal_iteratorINS9_10device_ptrIiEEEESE_SE_iNS9_4plusIvEENS9_8equal_toIvEEiEE10hipError_tPvRmT2_T3_T4_T5_mT6_T7_P12ihipStream_tbENKUlT_T0_E_clISt17integral_constantIbLb1EESY_IbLb0EEEEDaSU_SV_EUlSU_E_NS1_11comp_targetILNS1_3genE3ELNS1_11target_archE908ELNS1_3gpuE7ELNS1_3repE0EEENS1_30default_config_static_selectorELNS0_4arch9wavefront6targetE0EEEvT1_,@function
_ZN7rocprim17ROCPRIM_400000_NS6detail17trampoline_kernelINS0_14default_configENS1_27scan_by_key_config_selectorIiiEEZZNS1_16scan_by_key_implILNS1_25lookback_scan_determinismE0ELb0ES3_N6thrust23THRUST_200600_302600_NS6detail15normal_iteratorINS9_10device_ptrIiEEEESE_SE_iNS9_4plusIvEENS9_8equal_toIvEEiEE10hipError_tPvRmT2_T3_T4_T5_mT6_T7_P12ihipStream_tbENKUlT_T0_E_clISt17integral_constantIbLb1EESY_IbLb0EEEEDaSU_SV_EUlSU_E_NS1_11comp_targetILNS1_3genE3ELNS1_11target_archE908ELNS1_3gpuE7ELNS1_3repE0EEENS1_30default_config_static_selectorELNS0_4arch9wavefront6targetE0EEEvT1_: ; @_ZN7rocprim17ROCPRIM_400000_NS6detail17trampoline_kernelINS0_14default_configENS1_27scan_by_key_config_selectorIiiEEZZNS1_16scan_by_key_implILNS1_25lookback_scan_determinismE0ELb0ES3_N6thrust23THRUST_200600_302600_NS6detail15normal_iteratorINS9_10device_ptrIiEEEESE_SE_iNS9_4plusIvEENS9_8equal_toIvEEiEE10hipError_tPvRmT2_T3_T4_T5_mT6_T7_P12ihipStream_tbENKUlT_T0_E_clISt17integral_constantIbLb1EESY_IbLb0EEEEDaSU_SV_EUlSU_E_NS1_11comp_targetILNS1_3genE3ELNS1_11target_archE908ELNS1_3gpuE7ELNS1_3repE0EEENS1_30default_config_static_selectorELNS0_4arch9wavefront6targetE0EEEvT1_
; %bb.0:
	.section	.rodata,"a",@progbits
	.p2align	6, 0x0
	.amdhsa_kernel _ZN7rocprim17ROCPRIM_400000_NS6detail17trampoline_kernelINS0_14default_configENS1_27scan_by_key_config_selectorIiiEEZZNS1_16scan_by_key_implILNS1_25lookback_scan_determinismE0ELb0ES3_N6thrust23THRUST_200600_302600_NS6detail15normal_iteratorINS9_10device_ptrIiEEEESE_SE_iNS9_4plusIvEENS9_8equal_toIvEEiEE10hipError_tPvRmT2_T3_T4_T5_mT6_T7_P12ihipStream_tbENKUlT_T0_E_clISt17integral_constantIbLb1EESY_IbLb0EEEEDaSU_SV_EUlSU_E_NS1_11comp_targetILNS1_3genE3ELNS1_11target_archE908ELNS1_3gpuE7ELNS1_3repE0EEENS1_30default_config_static_selectorELNS0_4arch9wavefront6targetE0EEEvT1_
		.amdhsa_group_segment_fixed_size 0
		.amdhsa_private_segment_fixed_size 0
		.amdhsa_kernarg_size 112
		.amdhsa_user_sgpr_count 2
		.amdhsa_user_sgpr_dispatch_ptr 0
		.amdhsa_user_sgpr_queue_ptr 0
		.amdhsa_user_sgpr_kernarg_segment_ptr 1
		.amdhsa_user_sgpr_dispatch_id 0
		.amdhsa_user_sgpr_kernarg_preload_length 0
		.amdhsa_user_sgpr_kernarg_preload_offset 0
		.amdhsa_user_sgpr_private_segment_size 0
		.amdhsa_wavefront_size32 1
		.amdhsa_uses_dynamic_stack 0
		.amdhsa_enable_private_segment 0
		.amdhsa_system_sgpr_workgroup_id_x 1
		.amdhsa_system_sgpr_workgroup_id_y 0
		.amdhsa_system_sgpr_workgroup_id_z 0
		.amdhsa_system_sgpr_workgroup_info 0
		.amdhsa_system_vgpr_workitem_id 0
		.amdhsa_next_free_vgpr 1
		.amdhsa_next_free_sgpr 1
		.amdhsa_named_barrier_count 0
		.amdhsa_reserve_vcc 0
		.amdhsa_float_round_mode_32 0
		.amdhsa_float_round_mode_16_64 0
		.amdhsa_float_denorm_mode_32 3
		.amdhsa_float_denorm_mode_16_64 3
		.amdhsa_fp16_overflow 0
		.amdhsa_memory_ordered 1
		.amdhsa_forward_progress 1
		.amdhsa_inst_pref_size 0
		.amdhsa_round_robin_scheduling 0
		.amdhsa_exception_fp_ieee_invalid_op 0
		.amdhsa_exception_fp_denorm_src 0
		.amdhsa_exception_fp_ieee_div_zero 0
		.amdhsa_exception_fp_ieee_overflow 0
		.amdhsa_exception_fp_ieee_underflow 0
		.amdhsa_exception_fp_ieee_inexact 0
		.amdhsa_exception_int_div_zero 0
	.end_amdhsa_kernel
	.section	.text._ZN7rocprim17ROCPRIM_400000_NS6detail17trampoline_kernelINS0_14default_configENS1_27scan_by_key_config_selectorIiiEEZZNS1_16scan_by_key_implILNS1_25lookback_scan_determinismE0ELb0ES3_N6thrust23THRUST_200600_302600_NS6detail15normal_iteratorINS9_10device_ptrIiEEEESE_SE_iNS9_4plusIvEENS9_8equal_toIvEEiEE10hipError_tPvRmT2_T3_T4_T5_mT6_T7_P12ihipStream_tbENKUlT_T0_E_clISt17integral_constantIbLb1EESY_IbLb0EEEEDaSU_SV_EUlSU_E_NS1_11comp_targetILNS1_3genE3ELNS1_11target_archE908ELNS1_3gpuE7ELNS1_3repE0EEENS1_30default_config_static_selectorELNS0_4arch9wavefront6targetE0EEEvT1_,"axG",@progbits,_ZN7rocprim17ROCPRIM_400000_NS6detail17trampoline_kernelINS0_14default_configENS1_27scan_by_key_config_selectorIiiEEZZNS1_16scan_by_key_implILNS1_25lookback_scan_determinismE0ELb0ES3_N6thrust23THRUST_200600_302600_NS6detail15normal_iteratorINS9_10device_ptrIiEEEESE_SE_iNS9_4plusIvEENS9_8equal_toIvEEiEE10hipError_tPvRmT2_T3_T4_T5_mT6_T7_P12ihipStream_tbENKUlT_T0_E_clISt17integral_constantIbLb1EESY_IbLb0EEEEDaSU_SV_EUlSU_E_NS1_11comp_targetILNS1_3genE3ELNS1_11target_archE908ELNS1_3gpuE7ELNS1_3repE0EEENS1_30default_config_static_selectorELNS0_4arch9wavefront6targetE0EEEvT1_,comdat
.Lfunc_end148:
	.size	_ZN7rocprim17ROCPRIM_400000_NS6detail17trampoline_kernelINS0_14default_configENS1_27scan_by_key_config_selectorIiiEEZZNS1_16scan_by_key_implILNS1_25lookback_scan_determinismE0ELb0ES3_N6thrust23THRUST_200600_302600_NS6detail15normal_iteratorINS9_10device_ptrIiEEEESE_SE_iNS9_4plusIvEENS9_8equal_toIvEEiEE10hipError_tPvRmT2_T3_T4_T5_mT6_T7_P12ihipStream_tbENKUlT_T0_E_clISt17integral_constantIbLb1EESY_IbLb0EEEEDaSU_SV_EUlSU_E_NS1_11comp_targetILNS1_3genE3ELNS1_11target_archE908ELNS1_3gpuE7ELNS1_3repE0EEENS1_30default_config_static_selectorELNS0_4arch9wavefront6targetE0EEEvT1_, .Lfunc_end148-_ZN7rocprim17ROCPRIM_400000_NS6detail17trampoline_kernelINS0_14default_configENS1_27scan_by_key_config_selectorIiiEEZZNS1_16scan_by_key_implILNS1_25lookback_scan_determinismE0ELb0ES3_N6thrust23THRUST_200600_302600_NS6detail15normal_iteratorINS9_10device_ptrIiEEEESE_SE_iNS9_4plusIvEENS9_8equal_toIvEEiEE10hipError_tPvRmT2_T3_T4_T5_mT6_T7_P12ihipStream_tbENKUlT_T0_E_clISt17integral_constantIbLb1EESY_IbLb0EEEEDaSU_SV_EUlSU_E_NS1_11comp_targetILNS1_3genE3ELNS1_11target_archE908ELNS1_3gpuE7ELNS1_3repE0EEENS1_30default_config_static_selectorELNS0_4arch9wavefront6targetE0EEEvT1_
                                        ; -- End function
	.set _ZN7rocprim17ROCPRIM_400000_NS6detail17trampoline_kernelINS0_14default_configENS1_27scan_by_key_config_selectorIiiEEZZNS1_16scan_by_key_implILNS1_25lookback_scan_determinismE0ELb0ES3_N6thrust23THRUST_200600_302600_NS6detail15normal_iteratorINS9_10device_ptrIiEEEESE_SE_iNS9_4plusIvEENS9_8equal_toIvEEiEE10hipError_tPvRmT2_T3_T4_T5_mT6_T7_P12ihipStream_tbENKUlT_T0_E_clISt17integral_constantIbLb1EESY_IbLb0EEEEDaSU_SV_EUlSU_E_NS1_11comp_targetILNS1_3genE3ELNS1_11target_archE908ELNS1_3gpuE7ELNS1_3repE0EEENS1_30default_config_static_selectorELNS0_4arch9wavefront6targetE0EEEvT1_.num_vgpr, 0
	.set _ZN7rocprim17ROCPRIM_400000_NS6detail17trampoline_kernelINS0_14default_configENS1_27scan_by_key_config_selectorIiiEEZZNS1_16scan_by_key_implILNS1_25lookback_scan_determinismE0ELb0ES3_N6thrust23THRUST_200600_302600_NS6detail15normal_iteratorINS9_10device_ptrIiEEEESE_SE_iNS9_4plusIvEENS9_8equal_toIvEEiEE10hipError_tPvRmT2_T3_T4_T5_mT6_T7_P12ihipStream_tbENKUlT_T0_E_clISt17integral_constantIbLb1EESY_IbLb0EEEEDaSU_SV_EUlSU_E_NS1_11comp_targetILNS1_3genE3ELNS1_11target_archE908ELNS1_3gpuE7ELNS1_3repE0EEENS1_30default_config_static_selectorELNS0_4arch9wavefront6targetE0EEEvT1_.num_agpr, 0
	.set _ZN7rocprim17ROCPRIM_400000_NS6detail17trampoline_kernelINS0_14default_configENS1_27scan_by_key_config_selectorIiiEEZZNS1_16scan_by_key_implILNS1_25lookback_scan_determinismE0ELb0ES3_N6thrust23THRUST_200600_302600_NS6detail15normal_iteratorINS9_10device_ptrIiEEEESE_SE_iNS9_4plusIvEENS9_8equal_toIvEEiEE10hipError_tPvRmT2_T3_T4_T5_mT6_T7_P12ihipStream_tbENKUlT_T0_E_clISt17integral_constantIbLb1EESY_IbLb0EEEEDaSU_SV_EUlSU_E_NS1_11comp_targetILNS1_3genE3ELNS1_11target_archE908ELNS1_3gpuE7ELNS1_3repE0EEENS1_30default_config_static_selectorELNS0_4arch9wavefront6targetE0EEEvT1_.numbered_sgpr, 0
	.set _ZN7rocprim17ROCPRIM_400000_NS6detail17trampoline_kernelINS0_14default_configENS1_27scan_by_key_config_selectorIiiEEZZNS1_16scan_by_key_implILNS1_25lookback_scan_determinismE0ELb0ES3_N6thrust23THRUST_200600_302600_NS6detail15normal_iteratorINS9_10device_ptrIiEEEESE_SE_iNS9_4plusIvEENS9_8equal_toIvEEiEE10hipError_tPvRmT2_T3_T4_T5_mT6_T7_P12ihipStream_tbENKUlT_T0_E_clISt17integral_constantIbLb1EESY_IbLb0EEEEDaSU_SV_EUlSU_E_NS1_11comp_targetILNS1_3genE3ELNS1_11target_archE908ELNS1_3gpuE7ELNS1_3repE0EEENS1_30default_config_static_selectorELNS0_4arch9wavefront6targetE0EEEvT1_.num_named_barrier, 0
	.set _ZN7rocprim17ROCPRIM_400000_NS6detail17trampoline_kernelINS0_14default_configENS1_27scan_by_key_config_selectorIiiEEZZNS1_16scan_by_key_implILNS1_25lookback_scan_determinismE0ELb0ES3_N6thrust23THRUST_200600_302600_NS6detail15normal_iteratorINS9_10device_ptrIiEEEESE_SE_iNS9_4plusIvEENS9_8equal_toIvEEiEE10hipError_tPvRmT2_T3_T4_T5_mT6_T7_P12ihipStream_tbENKUlT_T0_E_clISt17integral_constantIbLb1EESY_IbLb0EEEEDaSU_SV_EUlSU_E_NS1_11comp_targetILNS1_3genE3ELNS1_11target_archE908ELNS1_3gpuE7ELNS1_3repE0EEENS1_30default_config_static_selectorELNS0_4arch9wavefront6targetE0EEEvT1_.private_seg_size, 0
	.set _ZN7rocprim17ROCPRIM_400000_NS6detail17trampoline_kernelINS0_14default_configENS1_27scan_by_key_config_selectorIiiEEZZNS1_16scan_by_key_implILNS1_25lookback_scan_determinismE0ELb0ES3_N6thrust23THRUST_200600_302600_NS6detail15normal_iteratorINS9_10device_ptrIiEEEESE_SE_iNS9_4plusIvEENS9_8equal_toIvEEiEE10hipError_tPvRmT2_T3_T4_T5_mT6_T7_P12ihipStream_tbENKUlT_T0_E_clISt17integral_constantIbLb1EESY_IbLb0EEEEDaSU_SV_EUlSU_E_NS1_11comp_targetILNS1_3genE3ELNS1_11target_archE908ELNS1_3gpuE7ELNS1_3repE0EEENS1_30default_config_static_selectorELNS0_4arch9wavefront6targetE0EEEvT1_.uses_vcc, 0
	.set _ZN7rocprim17ROCPRIM_400000_NS6detail17trampoline_kernelINS0_14default_configENS1_27scan_by_key_config_selectorIiiEEZZNS1_16scan_by_key_implILNS1_25lookback_scan_determinismE0ELb0ES3_N6thrust23THRUST_200600_302600_NS6detail15normal_iteratorINS9_10device_ptrIiEEEESE_SE_iNS9_4plusIvEENS9_8equal_toIvEEiEE10hipError_tPvRmT2_T3_T4_T5_mT6_T7_P12ihipStream_tbENKUlT_T0_E_clISt17integral_constantIbLb1EESY_IbLb0EEEEDaSU_SV_EUlSU_E_NS1_11comp_targetILNS1_3genE3ELNS1_11target_archE908ELNS1_3gpuE7ELNS1_3repE0EEENS1_30default_config_static_selectorELNS0_4arch9wavefront6targetE0EEEvT1_.uses_flat_scratch, 0
	.set _ZN7rocprim17ROCPRIM_400000_NS6detail17trampoline_kernelINS0_14default_configENS1_27scan_by_key_config_selectorIiiEEZZNS1_16scan_by_key_implILNS1_25lookback_scan_determinismE0ELb0ES3_N6thrust23THRUST_200600_302600_NS6detail15normal_iteratorINS9_10device_ptrIiEEEESE_SE_iNS9_4plusIvEENS9_8equal_toIvEEiEE10hipError_tPvRmT2_T3_T4_T5_mT6_T7_P12ihipStream_tbENKUlT_T0_E_clISt17integral_constantIbLb1EESY_IbLb0EEEEDaSU_SV_EUlSU_E_NS1_11comp_targetILNS1_3genE3ELNS1_11target_archE908ELNS1_3gpuE7ELNS1_3repE0EEENS1_30default_config_static_selectorELNS0_4arch9wavefront6targetE0EEEvT1_.has_dyn_sized_stack, 0
	.set _ZN7rocprim17ROCPRIM_400000_NS6detail17trampoline_kernelINS0_14default_configENS1_27scan_by_key_config_selectorIiiEEZZNS1_16scan_by_key_implILNS1_25lookback_scan_determinismE0ELb0ES3_N6thrust23THRUST_200600_302600_NS6detail15normal_iteratorINS9_10device_ptrIiEEEESE_SE_iNS9_4plusIvEENS9_8equal_toIvEEiEE10hipError_tPvRmT2_T3_T4_T5_mT6_T7_P12ihipStream_tbENKUlT_T0_E_clISt17integral_constantIbLb1EESY_IbLb0EEEEDaSU_SV_EUlSU_E_NS1_11comp_targetILNS1_3genE3ELNS1_11target_archE908ELNS1_3gpuE7ELNS1_3repE0EEENS1_30default_config_static_selectorELNS0_4arch9wavefront6targetE0EEEvT1_.has_recursion, 0
	.set _ZN7rocprim17ROCPRIM_400000_NS6detail17trampoline_kernelINS0_14default_configENS1_27scan_by_key_config_selectorIiiEEZZNS1_16scan_by_key_implILNS1_25lookback_scan_determinismE0ELb0ES3_N6thrust23THRUST_200600_302600_NS6detail15normal_iteratorINS9_10device_ptrIiEEEESE_SE_iNS9_4plusIvEENS9_8equal_toIvEEiEE10hipError_tPvRmT2_T3_T4_T5_mT6_T7_P12ihipStream_tbENKUlT_T0_E_clISt17integral_constantIbLb1EESY_IbLb0EEEEDaSU_SV_EUlSU_E_NS1_11comp_targetILNS1_3genE3ELNS1_11target_archE908ELNS1_3gpuE7ELNS1_3repE0EEENS1_30default_config_static_selectorELNS0_4arch9wavefront6targetE0EEEvT1_.has_indirect_call, 0
	.section	.AMDGPU.csdata,"",@progbits
; Kernel info:
; codeLenInByte = 0
; TotalNumSgprs: 0
; NumVgprs: 0
; ScratchSize: 0
; MemoryBound: 0
; FloatMode: 240
; IeeeMode: 1
; LDSByteSize: 0 bytes/workgroup (compile time only)
; SGPRBlocks: 0
; VGPRBlocks: 0
; NumSGPRsForWavesPerEU: 1
; NumVGPRsForWavesPerEU: 1
; NamedBarCnt: 0
; Occupancy: 16
; WaveLimiterHint : 0
; COMPUTE_PGM_RSRC2:SCRATCH_EN: 0
; COMPUTE_PGM_RSRC2:USER_SGPR: 2
; COMPUTE_PGM_RSRC2:TRAP_HANDLER: 0
; COMPUTE_PGM_RSRC2:TGID_X_EN: 1
; COMPUTE_PGM_RSRC2:TGID_Y_EN: 0
; COMPUTE_PGM_RSRC2:TGID_Z_EN: 0
; COMPUTE_PGM_RSRC2:TIDIG_COMP_CNT: 0
	.section	.text._ZN7rocprim17ROCPRIM_400000_NS6detail17trampoline_kernelINS0_14default_configENS1_27scan_by_key_config_selectorIiiEEZZNS1_16scan_by_key_implILNS1_25lookback_scan_determinismE0ELb0ES3_N6thrust23THRUST_200600_302600_NS6detail15normal_iteratorINS9_10device_ptrIiEEEESE_SE_iNS9_4plusIvEENS9_8equal_toIvEEiEE10hipError_tPvRmT2_T3_T4_T5_mT6_T7_P12ihipStream_tbENKUlT_T0_E_clISt17integral_constantIbLb1EESY_IbLb0EEEEDaSU_SV_EUlSU_E_NS1_11comp_targetILNS1_3genE2ELNS1_11target_archE906ELNS1_3gpuE6ELNS1_3repE0EEENS1_30default_config_static_selectorELNS0_4arch9wavefront6targetE0EEEvT1_,"axG",@progbits,_ZN7rocprim17ROCPRIM_400000_NS6detail17trampoline_kernelINS0_14default_configENS1_27scan_by_key_config_selectorIiiEEZZNS1_16scan_by_key_implILNS1_25lookback_scan_determinismE0ELb0ES3_N6thrust23THRUST_200600_302600_NS6detail15normal_iteratorINS9_10device_ptrIiEEEESE_SE_iNS9_4plusIvEENS9_8equal_toIvEEiEE10hipError_tPvRmT2_T3_T4_T5_mT6_T7_P12ihipStream_tbENKUlT_T0_E_clISt17integral_constantIbLb1EESY_IbLb0EEEEDaSU_SV_EUlSU_E_NS1_11comp_targetILNS1_3genE2ELNS1_11target_archE906ELNS1_3gpuE6ELNS1_3repE0EEENS1_30default_config_static_selectorELNS0_4arch9wavefront6targetE0EEEvT1_,comdat
	.protected	_ZN7rocprim17ROCPRIM_400000_NS6detail17trampoline_kernelINS0_14default_configENS1_27scan_by_key_config_selectorIiiEEZZNS1_16scan_by_key_implILNS1_25lookback_scan_determinismE0ELb0ES3_N6thrust23THRUST_200600_302600_NS6detail15normal_iteratorINS9_10device_ptrIiEEEESE_SE_iNS9_4plusIvEENS9_8equal_toIvEEiEE10hipError_tPvRmT2_T3_T4_T5_mT6_T7_P12ihipStream_tbENKUlT_T0_E_clISt17integral_constantIbLb1EESY_IbLb0EEEEDaSU_SV_EUlSU_E_NS1_11comp_targetILNS1_3genE2ELNS1_11target_archE906ELNS1_3gpuE6ELNS1_3repE0EEENS1_30default_config_static_selectorELNS0_4arch9wavefront6targetE0EEEvT1_ ; -- Begin function _ZN7rocprim17ROCPRIM_400000_NS6detail17trampoline_kernelINS0_14default_configENS1_27scan_by_key_config_selectorIiiEEZZNS1_16scan_by_key_implILNS1_25lookback_scan_determinismE0ELb0ES3_N6thrust23THRUST_200600_302600_NS6detail15normal_iteratorINS9_10device_ptrIiEEEESE_SE_iNS9_4plusIvEENS9_8equal_toIvEEiEE10hipError_tPvRmT2_T3_T4_T5_mT6_T7_P12ihipStream_tbENKUlT_T0_E_clISt17integral_constantIbLb1EESY_IbLb0EEEEDaSU_SV_EUlSU_E_NS1_11comp_targetILNS1_3genE2ELNS1_11target_archE906ELNS1_3gpuE6ELNS1_3repE0EEENS1_30default_config_static_selectorELNS0_4arch9wavefront6targetE0EEEvT1_
	.globl	_ZN7rocprim17ROCPRIM_400000_NS6detail17trampoline_kernelINS0_14default_configENS1_27scan_by_key_config_selectorIiiEEZZNS1_16scan_by_key_implILNS1_25lookback_scan_determinismE0ELb0ES3_N6thrust23THRUST_200600_302600_NS6detail15normal_iteratorINS9_10device_ptrIiEEEESE_SE_iNS9_4plusIvEENS9_8equal_toIvEEiEE10hipError_tPvRmT2_T3_T4_T5_mT6_T7_P12ihipStream_tbENKUlT_T0_E_clISt17integral_constantIbLb1EESY_IbLb0EEEEDaSU_SV_EUlSU_E_NS1_11comp_targetILNS1_3genE2ELNS1_11target_archE906ELNS1_3gpuE6ELNS1_3repE0EEENS1_30default_config_static_selectorELNS0_4arch9wavefront6targetE0EEEvT1_
	.p2align	8
	.type	_ZN7rocprim17ROCPRIM_400000_NS6detail17trampoline_kernelINS0_14default_configENS1_27scan_by_key_config_selectorIiiEEZZNS1_16scan_by_key_implILNS1_25lookback_scan_determinismE0ELb0ES3_N6thrust23THRUST_200600_302600_NS6detail15normal_iteratorINS9_10device_ptrIiEEEESE_SE_iNS9_4plusIvEENS9_8equal_toIvEEiEE10hipError_tPvRmT2_T3_T4_T5_mT6_T7_P12ihipStream_tbENKUlT_T0_E_clISt17integral_constantIbLb1EESY_IbLb0EEEEDaSU_SV_EUlSU_E_NS1_11comp_targetILNS1_3genE2ELNS1_11target_archE906ELNS1_3gpuE6ELNS1_3repE0EEENS1_30default_config_static_selectorELNS0_4arch9wavefront6targetE0EEEvT1_,@function
_ZN7rocprim17ROCPRIM_400000_NS6detail17trampoline_kernelINS0_14default_configENS1_27scan_by_key_config_selectorIiiEEZZNS1_16scan_by_key_implILNS1_25lookback_scan_determinismE0ELb0ES3_N6thrust23THRUST_200600_302600_NS6detail15normal_iteratorINS9_10device_ptrIiEEEESE_SE_iNS9_4plusIvEENS9_8equal_toIvEEiEE10hipError_tPvRmT2_T3_T4_T5_mT6_T7_P12ihipStream_tbENKUlT_T0_E_clISt17integral_constantIbLb1EESY_IbLb0EEEEDaSU_SV_EUlSU_E_NS1_11comp_targetILNS1_3genE2ELNS1_11target_archE906ELNS1_3gpuE6ELNS1_3repE0EEENS1_30default_config_static_selectorELNS0_4arch9wavefront6targetE0EEEvT1_: ; @_ZN7rocprim17ROCPRIM_400000_NS6detail17trampoline_kernelINS0_14default_configENS1_27scan_by_key_config_selectorIiiEEZZNS1_16scan_by_key_implILNS1_25lookback_scan_determinismE0ELb0ES3_N6thrust23THRUST_200600_302600_NS6detail15normal_iteratorINS9_10device_ptrIiEEEESE_SE_iNS9_4plusIvEENS9_8equal_toIvEEiEE10hipError_tPvRmT2_T3_T4_T5_mT6_T7_P12ihipStream_tbENKUlT_T0_E_clISt17integral_constantIbLb1EESY_IbLb0EEEEDaSU_SV_EUlSU_E_NS1_11comp_targetILNS1_3genE2ELNS1_11target_archE906ELNS1_3gpuE6ELNS1_3repE0EEENS1_30default_config_static_selectorELNS0_4arch9wavefront6targetE0EEEvT1_
; %bb.0:
	.section	.rodata,"a",@progbits
	.p2align	6, 0x0
	.amdhsa_kernel _ZN7rocprim17ROCPRIM_400000_NS6detail17trampoline_kernelINS0_14default_configENS1_27scan_by_key_config_selectorIiiEEZZNS1_16scan_by_key_implILNS1_25lookback_scan_determinismE0ELb0ES3_N6thrust23THRUST_200600_302600_NS6detail15normal_iteratorINS9_10device_ptrIiEEEESE_SE_iNS9_4plusIvEENS9_8equal_toIvEEiEE10hipError_tPvRmT2_T3_T4_T5_mT6_T7_P12ihipStream_tbENKUlT_T0_E_clISt17integral_constantIbLb1EESY_IbLb0EEEEDaSU_SV_EUlSU_E_NS1_11comp_targetILNS1_3genE2ELNS1_11target_archE906ELNS1_3gpuE6ELNS1_3repE0EEENS1_30default_config_static_selectorELNS0_4arch9wavefront6targetE0EEEvT1_
		.amdhsa_group_segment_fixed_size 0
		.amdhsa_private_segment_fixed_size 0
		.amdhsa_kernarg_size 112
		.amdhsa_user_sgpr_count 2
		.amdhsa_user_sgpr_dispatch_ptr 0
		.amdhsa_user_sgpr_queue_ptr 0
		.amdhsa_user_sgpr_kernarg_segment_ptr 1
		.amdhsa_user_sgpr_dispatch_id 0
		.amdhsa_user_sgpr_kernarg_preload_length 0
		.amdhsa_user_sgpr_kernarg_preload_offset 0
		.amdhsa_user_sgpr_private_segment_size 0
		.amdhsa_wavefront_size32 1
		.amdhsa_uses_dynamic_stack 0
		.amdhsa_enable_private_segment 0
		.amdhsa_system_sgpr_workgroup_id_x 1
		.amdhsa_system_sgpr_workgroup_id_y 0
		.amdhsa_system_sgpr_workgroup_id_z 0
		.amdhsa_system_sgpr_workgroup_info 0
		.amdhsa_system_vgpr_workitem_id 0
		.amdhsa_next_free_vgpr 1
		.amdhsa_next_free_sgpr 1
		.amdhsa_named_barrier_count 0
		.amdhsa_reserve_vcc 0
		.amdhsa_float_round_mode_32 0
		.amdhsa_float_round_mode_16_64 0
		.amdhsa_float_denorm_mode_32 3
		.amdhsa_float_denorm_mode_16_64 3
		.amdhsa_fp16_overflow 0
		.amdhsa_memory_ordered 1
		.amdhsa_forward_progress 1
		.amdhsa_inst_pref_size 0
		.amdhsa_round_robin_scheduling 0
		.amdhsa_exception_fp_ieee_invalid_op 0
		.amdhsa_exception_fp_denorm_src 0
		.amdhsa_exception_fp_ieee_div_zero 0
		.amdhsa_exception_fp_ieee_overflow 0
		.amdhsa_exception_fp_ieee_underflow 0
		.amdhsa_exception_fp_ieee_inexact 0
		.amdhsa_exception_int_div_zero 0
	.end_amdhsa_kernel
	.section	.text._ZN7rocprim17ROCPRIM_400000_NS6detail17trampoline_kernelINS0_14default_configENS1_27scan_by_key_config_selectorIiiEEZZNS1_16scan_by_key_implILNS1_25lookback_scan_determinismE0ELb0ES3_N6thrust23THRUST_200600_302600_NS6detail15normal_iteratorINS9_10device_ptrIiEEEESE_SE_iNS9_4plusIvEENS9_8equal_toIvEEiEE10hipError_tPvRmT2_T3_T4_T5_mT6_T7_P12ihipStream_tbENKUlT_T0_E_clISt17integral_constantIbLb1EESY_IbLb0EEEEDaSU_SV_EUlSU_E_NS1_11comp_targetILNS1_3genE2ELNS1_11target_archE906ELNS1_3gpuE6ELNS1_3repE0EEENS1_30default_config_static_selectorELNS0_4arch9wavefront6targetE0EEEvT1_,"axG",@progbits,_ZN7rocprim17ROCPRIM_400000_NS6detail17trampoline_kernelINS0_14default_configENS1_27scan_by_key_config_selectorIiiEEZZNS1_16scan_by_key_implILNS1_25lookback_scan_determinismE0ELb0ES3_N6thrust23THRUST_200600_302600_NS6detail15normal_iteratorINS9_10device_ptrIiEEEESE_SE_iNS9_4plusIvEENS9_8equal_toIvEEiEE10hipError_tPvRmT2_T3_T4_T5_mT6_T7_P12ihipStream_tbENKUlT_T0_E_clISt17integral_constantIbLb1EESY_IbLb0EEEEDaSU_SV_EUlSU_E_NS1_11comp_targetILNS1_3genE2ELNS1_11target_archE906ELNS1_3gpuE6ELNS1_3repE0EEENS1_30default_config_static_selectorELNS0_4arch9wavefront6targetE0EEEvT1_,comdat
.Lfunc_end149:
	.size	_ZN7rocprim17ROCPRIM_400000_NS6detail17trampoline_kernelINS0_14default_configENS1_27scan_by_key_config_selectorIiiEEZZNS1_16scan_by_key_implILNS1_25lookback_scan_determinismE0ELb0ES3_N6thrust23THRUST_200600_302600_NS6detail15normal_iteratorINS9_10device_ptrIiEEEESE_SE_iNS9_4plusIvEENS9_8equal_toIvEEiEE10hipError_tPvRmT2_T3_T4_T5_mT6_T7_P12ihipStream_tbENKUlT_T0_E_clISt17integral_constantIbLb1EESY_IbLb0EEEEDaSU_SV_EUlSU_E_NS1_11comp_targetILNS1_3genE2ELNS1_11target_archE906ELNS1_3gpuE6ELNS1_3repE0EEENS1_30default_config_static_selectorELNS0_4arch9wavefront6targetE0EEEvT1_, .Lfunc_end149-_ZN7rocprim17ROCPRIM_400000_NS6detail17trampoline_kernelINS0_14default_configENS1_27scan_by_key_config_selectorIiiEEZZNS1_16scan_by_key_implILNS1_25lookback_scan_determinismE0ELb0ES3_N6thrust23THRUST_200600_302600_NS6detail15normal_iteratorINS9_10device_ptrIiEEEESE_SE_iNS9_4plusIvEENS9_8equal_toIvEEiEE10hipError_tPvRmT2_T3_T4_T5_mT6_T7_P12ihipStream_tbENKUlT_T0_E_clISt17integral_constantIbLb1EESY_IbLb0EEEEDaSU_SV_EUlSU_E_NS1_11comp_targetILNS1_3genE2ELNS1_11target_archE906ELNS1_3gpuE6ELNS1_3repE0EEENS1_30default_config_static_selectorELNS0_4arch9wavefront6targetE0EEEvT1_
                                        ; -- End function
	.set _ZN7rocprim17ROCPRIM_400000_NS6detail17trampoline_kernelINS0_14default_configENS1_27scan_by_key_config_selectorIiiEEZZNS1_16scan_by_key_implILNS1_25lookback_scan_determinismE0ELb0ES3_N6thrust23THRUST_200600_302600_NS6detail15normal_iteratorINS9_10device_ptrIiEEEESE_SE_iNS9_4plusIvEENS9_8equal_toIvEEiEE10hipError_tPvRmT2_T3_T4_T5_mT6_T7_P12ihipStream_tbENKUlT_T0_E_clISt17integral_constantIbLb1EESY_IbLb0EEEEDaSU_SV_EUlSU_E_NS1_11comp_targetILNS1_3genE2ELNS1_11target_archE906ELNS1_3gpuE6ELNS1_3repE0EEENS1_30default_config_static_selectorELNS0_4arch9wavefront6targetE0EEEvT1_.num_vgpr, 0
	.set _ZN7rocprim17ROCPRIM_400000_NS6detail17trampoline_kernelINS0_14default_configENS1_27scan_by_key_config_selectorIiiEEZZNS1_16scan_by_key_implILNS1_25lookback_scan_determinismE0ELb0ES3_N6thrust23THRUST_200600_302600_NS6detail15normal_iteratorINS9_10device_ptrIiEEEESE_SE_iNS9_4plusIvEENS9_8equal_toIvEEiEE10hipError_tPvRmT2_T3_T4_T5_mT6_T7_P12ihipStream_tbENKUlT_T0_E_clISt17integral_constantIbLb1EESY_IbLb0EEEEDaSU_SV_EUlSU_E_NS1_11comp_targetILNS1_3genE2ELNS1_11target_archE906ELNS1_3gpuE6ELNS1_3repE0EEENS1_30default_config_static_selectorELNS0_4arch9wavefront6targetE0EEEvT1_.num_agpr, 0
	.set _ZN7rocprim17ROCPRIM_400000_NS6detail17trampoline_kernelINS0_14default_configENS1_27scan_by_key_config_selectorIiiEEZZNS1_16scan_by_key_implILNS1_25lookback_scan_determinismE0ELb0ES3_N6thrust23THRUST_200600_302600_NS6detail15normal_iteratorINS9_10device_ptrIiEEEESE_SE_iNS9_4plusIvEENS9_8equal_toIvEEiEE10hipError_tPvRmT2_T3_T4_T5_mT6_T7_P12ihipStream_tbENKUlT_T0_E_clISt17integral_constantIbLb1EESY_IbLb0EEEEDaSU_SV_EUlSU_E_NS1_11comp_targetILNS1_3genE2ELNS1_11target_archE906ELNS1_3gpuE6ELNS1_3repE0EEENS1_30default_config_static_selectorELNS0_4arch9wavefront6targetE0EEEvT1_.numbered_sgpr, 0
	.set _ZN7rocprim17ROCPRIM_400000_NS6detail17trampoline_kernelINS0_14default_configENS1_27scan_by_key_config_selectorIiiEEZZNS1_16scan_by_key_implILNS1_25lookback_scan_determinismE0ELb0ES3_N6thrust23THRUST_200600_302600_NS6detail15normal_iteratorINS9_10device_ptrIiEEEESE_SE_iNS9_4plusIvEENS9_8equal_toIvEEiEE10hipError_tPvRmT2_T3_T4_T5_mT6_T7_P12ihipStream_tbENKUlT_T0_E_clISt17integral_constantIbLb1EESY_IbLb0EEEEDaSU_SV_EUlSU_E_NS1_11comp_targetILNS1_3genE2ELNS1_11target_archE906ELNS1_3gpuE6ELNS1_3repE0EEENS1_30default_config_static_selectorELNS0_4arch9wavefront6targetE0EEEvT1_.num_named_barrier, 0
	.set _ZN7rocprim17ROCPRIM_400000_NS6detail17trampoline_kernelINS0_14default_configENS1_27scan_by_key_config_selectorIiiEEZZNS1_16scan_by_key_implILNS1_25lookback_scan_determinismE0ELb0ES3_N6thrust23THRUST_200600_302600_NS6detail15normal_iteratorINS9_10device_ptrIiEEEESE_SE_iNS9_4plusIvEENS9_8equal_toIvEEiEE10hipError_tPvRmT2_T3_T4_T5_mT6_T7_P12ihipStream_tbENKUlT_T0_E_clISt17integral_constantIbLb1EESY_IbLb0EEEEDaSU_SV_EUlSU_E_NS1_11comp_targetILNS1_3genE2ELNS1_11target_archE906ELNS1_3gpuE6ELNS1_3repE0EEENS1_30default_config_static_selectorELNS0_4arch9wavefront6targetE0EEEvT1_.private_seg_size, 0
	.set _ZN7rocprim17ROCPRIM_400000_NS6detail17trampoline_kernelINS0_14default_configENS1_27scan_by_key_config_selectorIiiEEZZNS1_16scan_by_key_implILNS1_25lookback_scan_determinismE0ELb0ES3_N6thrust23THRUST_200600_302600_NS6detail15normal_iteratorINS9_10device_ptrIiEEEESE_SE_iNS9_4plusIvEENS9_8equal_toIvEEiEE10hipError_tPvRmT2_T3_T4_T5_mT6_T7_P12ihipStream_tbENKUlT_T0_E_clISt17integral_constantIbLb1EESY_IbLb0EEEEDaSU_SV_EUlSU_E_NS1_11comp_targetILNS1_3genE2ELNS1_11target_archE906ELNS1_3gpuE6ELNS1_3repE0EEENS1_30default_config_static_selectorELNS0_4arch9wavefront6targetE0EEEvT1_.uses_vcc, 0
	.set _ZN7rocprim17ROCPRIM_400000_NS6detail17trampoline_kernelINS0_14default_configENS1_27scan_by_key_config_selectorIiiEEZZNS1_16scan_by_key_implILNS1_25lookback_scan_determinismE0ELb0ES3_N6thrust23THRUST_200600_302600_NS6detail15normal_iteratorINS9_10device_ptrIiEEEESE_SE_iNS9_4plusIvEENS9_8equal_toIvEEiEE10hipError_tPvRmT2_T3_T4_T5_mT6_T7_P12ihipStream_tbENKUlT_T0_E_clISt17integral_constantIbLb1EESY_IbLb0EEEEDaSU_SV_EUlSU_E_NS1_11comp_targetILNS1_3genE2ELNS1_11target_archE906ELNS1_3gpuE6ELNS1_3repE0EEENS1_30default_config_static_selectorELNS0_4arch9wavefront6targetE0EEEvT1_.uses_flat_scratch, 0
	.set _ZN7rocprim17ROCPRIM_400000_NS6detail17trampoline_kernelINS0_14default_configENS1_27scan_by_key_config_selectorIiiEEZZNS1_16scan_by_key_implILNS1_25lookback_scan_determinismE0ELb0ES3_N6thrust23THRUST_200600_302600_NS6detail15normal_iteratorINS9_10device_ptrIiEEEESE_SE_iNS9_4plusIvEENS9_8equal_toIvEEiEE10hipError_tPvRmT2_T3_T4_T5_mT6_T7_P12ihipStream_tbENKUlT_T0_E_clISt17integral_constantIbLb1EESY_IbLb0EEEEDaSU_SV_EUlSU_E_NS1_11comp_targetILNS1_3genE2ELNS1_11target_archE906ELNS1_3gpuE6ELNS1_3repE0EEENS1_30default_config_static_selectorELNS0_4arch9wavefront6targetE0EEEvT1_.has_dyn_sized_stack, 0
	.set _ZN7rocprim17ROCPRIM_400000_NS6detail17trampoline_kernelINS0_14default_configENS1_27scan_by_key_config_selectorIiiEEZZNS1_16scan_by_key_implILNS1_25lookback_scan_determinismE0ELb0ES3_N6thrust23THRUST_200600_302600_NS6detail15normal_iteratorINS9_10device_ptrIiEEEESE_SE_iNS9_4plusIvEENS9_8equal_toIvEEiEE10hipError_tPvRmT2_T3_T4_T5_mT6_T7_P12ihipStream_tbENKUlT_T0_E_clISt17integral_constantIbLb1EESY_IbLb0EEEEDaSU_SV_EUlSU_E_NS1_11comp_targetILNS1_3genE2ELNS1_11target_archE906ELNS1_3gpuE6ELNS1_3repE0EEENS1_30default_config_static_selectorELNS0_4arch9wavefront6targetE0EEEvT1_.has_recursion, 0
	.set _ZN7rocprim17ROCPRIM_400000_NS6detail17trampoline_kernelINS0_14default_configENS1_27scan_by_key_config_selectorIiiEEZZNS1_16scan_by_key_implILNS1_25lookback_scan_determinismE0ELb0ES3_N6thrust23THRUST_200600_302600_NS6detail15normal_iteratorINS9_10device_ptrIiEEEESE_SE_iNS9_4plusIvEENS9_8equal_toIvEEiEE10hipError_tPvRmT2_T3_T4_T5_mT6_T7_P12ihipStream_tbENKUlT_T0_E_clISt17integral_constantIbLb1EESY_IbLb0EEEEDaSU_SV_EUlSU_E_NS1_11comp_targetILNS1_3genE2ELNS1_11target_archE906ELNS1_3gpuE6ELNS1_3repE0EEENS1_30default_config_static_selectorELNS0_4arch9wavefront6targetE0EEEvT1_.has_indirect_call, 0
	.section	.AMDGPU.csdata,"",@progbits
; Kernel info:
; codeLenInByte = 0
; TotalNumSgprs: 0
; NumVgprs: 0
; ScratchSize: 0
; MemoryBound: 0
; FloatMode: 240
; IeeeMode: 1
; LDSByteSize: 0 bytes/workgroup (compile time only)
; SGPRBlocks: 0
; VGPRBlocks: 0
; NumSGPRsForWavesPerEU: 1
; NumVGPRsForWavesPerEU: 1
; NamedBarCnt: 0
; Occupancy: 16
; WaveLimiterHint : 0
; COMPUTE_PGM_RSRC2:SCRATCH_EN: 0
; COMPUTE_PGM_RSRC2:USER_SGPR: 2
; COMPUTE_PGM_RSRC2:TRAP_HANDLER: 0
; COMPUTE_PGM_RSRC2:TGID_X_EN: 1
; COMPUTE_PGM_RSRC2:TGID_Y_EN: 0
; COMPUTE_PGM_RSRC2:TGID_Z_EN: 0
; COMPUTE_PGM_RSRC2:TIDIG_COMP_CNT: 0
	.section	.text._ZN7rocprim17ROCPRIM_400000_NS6detail17trampoline_kernelINS0_14default_configENS1_27scan_by_key_config_selectorIiiEEZZNS1_16scan_by_key_implILNS1_25lookback_scan_determinismE0ELb0ES3_N6thrust23THRUST_200600_302600_NS6detail15normal_iteratorINS9_10device_ptrIiEEEESE_SE_iNS9_4plusIvEENS9_8equal_toIvEEiEE10hipError_tPvRmT2_T3_T4_T5_mT6_T7_P12ihipStream_tbENKUlT_T0_E_clISt17integral_constantIbLb1EESY_IbLb0EEEEDaSU_SV_EUlSU_E_NS1_11comp_targetILNS1_3genE10ELNS1_11target_archE1200ELNS1_3gpuE4ELNS1_3repE0EEENS1_30default_config_static_selectorELNS0_4arch9wavefront6targetE0EEEvT1_,"axG",@progbits,_ZN7rocprim17ROCPRIM_400000_NS6detail17trampoline_kernelINS0_14default_configENS1_27scan_by_key_config_selectorIiiEEZZNS1_16scan_by_key_implILNS1_25lookback_scan_determinismE0ELb0ES3_N6thrust23THRUST_200600_302600_NS6detail15normal_iteratorINS9_10device_ptrIiEEEESE_SE_iNS9_4plusIvEENS9_8equal_toIvEEiEE10hipError_tPvRmT2_T3_T4_T5_mT6_T7_P12ihipStream_tbENKUlT_T0_E_clISt17integral_constantIbLb1EESY_IbLb0EEEEDaSU_SV_EUlSU_E_NS1_11comp_targetILNS1_3genE10ELNS1_11target_archE1200ELNS1_3gpuE4ELNS1_3repE0EEENS1_30default_config_static_selectorELNS0_4arch9wavefront6targetE0EEEvT1_,comdat
	.protected	_ZN7rocprim17ROCPRIM_400000_NS6detail17trampoline_kernelINS0_14default_configENS1_27scan_by_key_config_selectorIiiEEZZNS1_16scan_by_key_implILNS1_25lookback_scan_determinismE0ELb0ES3_N6thrust23THRUST_200600_302600_NS6detail15normal_iteratorINS9_10device_ptrIiEEEESE_SE_iNS9_4plusIvEENS9_8equal_toIvEEiEE10hipError_tPvRmT2_T3_T4_T5_mT6_T7_P12ihipStream_tbENKUlT_T0_E_clISt17integral_constantIbLb1EESY_IbLb0EEEEDaSU_SV_EUlSU_E_NS1_11comp_targetILNS1_3genE10ELNS1_11target_archE1200ELNS1_3gpuE4ELNS1_3repE0EEENS1_30default_config_static_selectorELNS0_4arch9wavefront6targetE0EEEvT1_ ; -- Begin function _ZN7rocprim17ROCPRIM_400000_NS6detail17trampoline_kernelINS0_14default_configENS1_27scan_by_key_config_selectorIiiEEZZNS1_16scan_by_key_implILNS1_25lookback_scan_determinismE0ELb0ES3_N6thrust23THRUST_200600_302600_NS6detail15normal_iteratorINS9_10device_ptrIiEEEESE_SE_iNS9_4plusIvEENS9_8equal_toIvEEiEE10hipError_tPvRmT2_T3_T4_T5_mT6_T7_P12ihipStream_tbENKUlT_T0_E_clISt17integral_constantIbLb1EESY_IbLb0EEEEDaSU_SV_EUlSU_E_NS1_11comp_targetILNS1_3genE10ELNS1_11target_archE1200ELNS1_3gpuE4ELNS1_3repE0EEENS1_30default_config_static_selectorELNS0_4arch9wavefront6targetE0EEEvT1_
	.globl	_ZN7rocprim17ROCPRIM_400000_NS6detail17trampoline_kernelINS0_14default_configENS1_27scan_by_key_config_selectorIiiEEZZNS1_16scan_by_key_implILNS1_25lookback_scan_determinismE0ELb0ES3_N6thrust23THRUST_200600_302600_NS6detail15normal_iteratorINS9_10device_ptrIiEEEESE_SE_iNS9_4plusIvEENS9_8equal_toIvEEiEE10hipError_tPvRmT2_T3_T4_T5_mT6_T7_P12ihipStream_tbENKUlT_T0_E_clISt17integral_constantIbLb1EESY_IbLb0EEEEDaSU_SV_EUlSU_E_NS1_11comp_targetILNS1_3genE10ELNS1_11target_archE1200ELNS1_3gpuE4ELNS1_3repE0EEENS1_30default_config_static_selectorELNS0_4arch9wavefront6targetE0EEEvT1_
	.p2align	8
	.type	_ZN7rocprim17ROCPRIM_400000_NS6detail17trampoline_kernelINS0_14default_configENS1_27scan_by_key_config_selectorIiiEEZZNS1_16scan_by_key_implILNS1_25lookback_scan_determinismE0ELb0ES3_N6thrust23THRUST_200600_302600_NS6detail15normal_iteratorINS9_10device_ptrIiEEEESE_SE_iNS9_4plusIvEENS9_8equal_toIvEEiEE10hipError_tPvRmT2_T3_T4_T5_mT6_T7_P12ihipStream_tbENKUlT_T0_E_clISt17integral_constantIbLb1EESY_IbLb0EEEEDaSU_SV_EUlSU_E_NS1_11comp_targetILNS1_3genE10ELNS1_11target_archE1200ELNS1_3gpuE4ELNS1_3repE0EEENS1_30default_config_static_selectorELNS0_4arch9wavefront6targetE0EEEvT1_,@function
_ZN7rocprim17ROCPRIM_400000_NS6detail17trampoline_kernelINS0_14default_configENS1_27scan_by_key_config_selectorIiiEEZZNS1_16scan_by_key_implILNS1_25lookback_scan_determinismE0ELb0ES3_N6thrust23THRUST_200600_302600_NS6detail15normal_iteratorINS9_10device_ptrIiEEEESE_SE_iNS9_4plusIvEENS9_8equal_toIvEEiEE10hipError_tPvRmT2_T3_T4_T5_mT6_T7_P12ihipStream_tbENKUlT_T0_E_clISt17integral_constantIbLb1EESY_IbLb0EEEEDaSU_SV_EUlSU_E_NS1_11comp_targetILNS1_3genE10ELNS1_11target_archE1200ELNS1_3gpuE4ELNS1_3repE0EEENS1_30default_config_static_selectorELNS0_4arch9wavefront6targetE0EEEvT1_: ; @_ZN7rocprim17ROCPRIM_400000_NS6detail17trampoline_kernelINS0_14default_configENS1_27scan_by_key_config_selectorIiiEEZZNS1_16scan_by_key_implILNS1_25lookback_scan_determinismE0ELb0ES3_N6thrust23THRUST_200600_302600_NS6detail15normal_iteratorINS9_10device_ptrIiEEEESE_SE_iNS9_4plusIvEENS9_8equal_toIvEEiEE10hipError_tPvRmT2_T3_T4_T5_mT6_T7_P12ihipStream_tbENKUlT_T0_E_clISt17integral_constantIbLb1EESY_IbLb0EEEEDaSU_SV_EUlSU_E_NS1_11comp_targetILNS1_3genE10ELNS1_11target_archE1200ELNS1_3gpuE4ELNS1_3repE0EEENS1_30default_config_static_selectorELNS0_4arch9wavefront6targetE0EEEvT1_
; %bb.0:
	.section	.rodata,"a",@progbits
	.p2align	6, 0x0
	.amdhsa_kernel _ZN7rocprim17ROCPRIM_400000_NS6detail17trampoline_kernelINS0_14default_configENS1_27scan_by_key_config_selectorIiiEEZZNS1_16scan_by_key_implILNS1_25lookback_scan_determinismE0ELb0ES3_N6thrust23THRUST_200600_302600_NS6detail15normal_iteratorINS9_10device_ptrIiEEEESE_SE_iNS9_4plusIvEENS9_8equal_toIvEEiEE10hipError_tPvRmT2_T3_T4_T5_mT6_T7_P12ihipStream_tbENKUlT_T0_E_clISt17integral_constantIbLb1EESY_IbLb0EEEEDaSU_SV_EUlSU_E_NS1_11comp_targetILNS1_3genE10ELNS1_11target_archE1200ELNS1_3gpuE4ELNS1_3repE0EEENS1_30default_config_static_selectorELNS0_4arch9wavefront6targetE0EEEvT1_
		.amdhsa_group_segment_fixed_size 0
		.amdhsa_private_segment_fixed_size 0
		.amdhsa_kernarg_size 112
		.amdhsa_user_sgpr_count 2
		.amdhsa_user_sgpr_dispatch_ptr 0
		.amdhsa_user_sgpr_queue_ptr 0
		.amdhsa_user_sgpr_kernarg_segment_ptr 1
		.amdhsa_user_sgpr_dispatch_id 0
		.amdhsa_user_sgpr_kernarg_preload_length 0
		.amdhsa_user_sgpr_kernarg_preload_offset 0
		.amdhsa_user_sgpr_private_segment_size 0
		.amdhsa_wavefront_size32 1
		.amdhsa_uses_dynamic_stack 0
		.amdhsa_enable_private_segment 0
		.amdhsa_system_sgpr_workgroup_id_x 1
		.amdhsa_system_sgpr_workgroup_id_y 0
		.amdhsa_system_sgpr_workgroup_id_z 0
		.amdhsa_system_sgpr_workgroup_info 0
		.amdhsa_system_vgpr_workitem_id 0
		.amdhsa_next_free_vgpr 1
		.amdhsa_next_free_sgpr 1
		.amdhsa_named_barrier_count 0
		.amdhsa_reserve_vcc 0
		.amdhsa_float_round_mode_32 0
		.amdhsa_float_round_mode_16_64 0
		.amdhsa_float_denorm_mode_32 3
		.amdhsa_float_denorm_mode_16_64 3
		.amdhsa_fp16_overflow 0
		.amdhsa_memory_ordered 1
		.amdhsa_forward_progress 1
		.amdhsa_inst_pref_size 0
		.amdhsa_round_robin_scheduling 0
		.amdhsa_exception_fp_ieee_invalid_op 0
		.amdhsa_exception_fp_denorm_src 0
		.amdhsa_exception_fp_ieee_div_zero 0
		.amdhsa_exception_fp_ieee_overflow 0
		.amdhsa_exception_fp_ieee_underflow 0
		.amdhsa_exception_fp_ieee_inexact 0
		.amdhsa_exception_int_div_zero 0
	.end_amdhsa_kernel
	.section	.text._ZN7rocprim17ROCPRIM_400000_NS6detail17trampoline_kernelINS0_14default_configENS1_27scan_by_key_config_selectorIiiEEZZNS1_16scan_by_key_implILNS1_25lookback_scan_determinismE0ELb0ES3_N6thrust23THRUST_200600_302600_NS6detail15normal_iteratorINS9_10device_ptrIiEEEESE_SE_iNS9_4plusIvEENS9_8equal_toIvEEiEE10hipError_tPvRmT2_T3_T4_T5_mT6_T7_P12ihipStream_tbENKUlT_T0_E_clISt17integral_constantIbLb1EESY_IbLb0EEEEDaSU_SV_EUlSU_E_NS1_11comp_targetILNS1_3genE10ELNS1_11target_archE1200ELNS1_3gpuE4ELNS1_3repE0EEENS1_30default_config_static_selectorELNS0_4arch9wavefront6targetE0EEEvT1_,"axG",@progbits,_ZN7rocprim17ROCPRIM_400000_NS6detail17trampoline_kernelINS0_14default_configENS1_27scan_by_key_config_selectorIiiEEZZNS1_16scan_by_key_implILNS1_25lookback_scan_determinismE0ELb0ES3_N6thrust23THRUST_200600_302600_NS6detail15normal_iteratorINS9_10device_ptrIiEEEESE_SE_iNS9_4plusIvEENS9_8equal_toIvEEiEE10hipError_tPvRmT2_T3_T4_T5_mT6_T7_P12ihipStream_tbENKUlT_T0_E_clISt17integral_constantIbLb1EESY_IbLb0EEEEDaSU_SV_EUlSU_E_NS1_11comp_targetILNS1_3genE10ELNS1_11target_archE1200ELNS1_3gpuE4ELNS1_3repE0EEENS1_30default_config_static_selectorELNS0_4arch9wavefront6targetE0EEEvT1_,comdat
.Lfunc_end150:
	.size	_ZN7rocprim17ROCPRIM_400000_NS6detail17trampoline_kernelINS0_14default_configENS1_27scan_by_key_config_selectorIiiEEZZNS1_16scan_by_key_implILNS1_25lookback_scan_determinismE0ELb0ES3_N6thrust23THRUST_200600_302600_NS6detail15normal_iteratorINS9_10device_ptrIiEEEESE_SE_iNS9_4plusIvEENS9_8equal_toIvEEiEE10hipError_tPvRmT2_T3_T4_T5_mT6_T7_P12ihipStream_tbENKUlT_T0_E_clISt17integral_constantIbLb1EESY_IbLb0EEEEDaSU_SV_EUlSU_E_NS1_11comp_targetILNS1_3genE10ELNS1_11target_archE1200ELNS1_3gpuE4ELNS1_3repE0EEENS1_30default_config_static_selectorELNS0_4arch9wavefront6targetE0EEEvT1_, .Lfunc_end150-_ZN7rocprim17ROCPRIM_400000_NS6detail17trampoline_kernelINS0_14default_configENS1_27scan_by_key_config_selectorIiiEEZZNS1_16scan_by_key_implILNS1_25lookback_scan_determinismE0ELb0ES3_N6thrust23THRUST_200600_302600_NS6detail15normal_iteratorINS9_10device_ptrIiEEEESE_SE_iNS9_4plusIvEENS9_8equal_toIvEEiEE10hipError_tPvRmT2_T3_T4_T5_mT6_T7_P12ihipStream_tbENKUlT_T0_E_clISt17integral_constantIbLb1EESY_IbLb0EEEEDaSU_SV_EUlSU_E_NS1_11comp_targetILNS1_3genE10ELNS1_11target_archE1200ELNS1_3gpuE4ELNS1_3repE0EEENS1_30default_config_static_selectorELNS0_4arch9wavefront6targetE0EEEvT1_
                                        ; -- End function
	.set _ZN7rocprim17ROCPRIM_400000_NS6detail17trampoline_kernelINS0_14default_configENS1_27scan_by_key_config_selectorIiiEEZZNS1_16scan_by_key_implILNS1_25lookback_scan_determinismE0ELb0ES3_N6thrust23THRUST_200600_302600_NS6detail15normal_iteratorINS9_10device_ptrIiEEEESE_SE_iNS9_4plusIvEENS9_8equal_toIvEEiEE10hipError_tPvRmT2_T3_T4_T5_mT6_T7_P12ihipStream_tbENKUlT_T0_E_clISt17integral_constantIbLb1EESY_IbLb0EEEEDaSU_SV_EUlSU_E_NS1_11comp_targetILNS1_3genE10ELNS1_11target_archE1200ELNS1_3gpuE4ELNS1_3repE0EEENS1_30default_config_static_selectorELNS0_4arch9wavefront6targetE0EEEvT1_.num_vgpr, 0
	.set _ZN7rocprim17ROCPRIM_400000_NS6detail17trampoline_kernelINS0_14default_configENS1_27scan_by_key_config_selectorIiiEEZZNS1_16scan_by_key_implILNS1_25lookback_scan_determinismE0ELb0ES3_N6thrust23THRUST_200600_302600_NS6detail15normal_iteratorINS9_10device_ptrIiEEEESE_SE_iNS9_4plusIvEENS9_8equal_toIvEEiEE10hipError_tPvRmT2_T3_T4_T5_mT6_T7_P12ihipStream_tbENKUlT_T0_E_clISt17integral_constantIbLb1EESY_IbLb0EEEEDaSU_SV_EUlSU_E_NS1_11comp_targetILNS1_3genE10ELNS1_11target_archE1200ELNS1_3gpuE4ELNS1_3repE0EEENS1_30default_config_static_selectorELNS0_4arch9wavefront6targetE0EEEvT1_.num_agpr, 0
	.set _ZN7rocprim17ROCPRIM_400000_NS6detail17trampoline_kernelINS0_14default_configENS1_27scan_by_key_config_selectorIiiEEZZNS1_16scan_by_key_implILNS1_25lookback_scan_determinismE0ELb0ES3_N6thrust23THRUST_200600_302600_NS6detail15normal_iteratorINS9_10device_ptrIiEEEESE_SE_iNS9_4plusIvEENS9_8equal_toIvEEiEE10hipError_tPvRmT2_T3_T4_T5_mT6_T7_P12ihipStream_tbENKUlT_T0_E_clISt17integral_constantIbLb1EESY_IbLb0EEEEDaSU_SV_EUlSU_E_NS1_11comp_targetILNS1_3genE10ELNS1_11target_archE1200ELNS1_3gpuE4ELNS1_3repE0EEENS1_30default_config_static_selectorELNS0_4arch9wavefront6targetE0EEEvT1_.numbered_sgpr, 0
	.set _ZN7rocprim17ROCPRIM_400000_NS6detail17trampoline_kernelINS0_14default_configENS1_27scan_by_key_config_selectorIiiEEZZNS1_16scan_by_key_implILNS1_25lookback_scan_determinismE0ELb0ES3_N6thrust23THRUST_200600_302600_NS6detail15normal_iteratorINS9_10device_ptrIiEEEESE_SE_iNS9_4plusIvEENS9_8equal_toIvEEiEE10hipError_tPvRmT2_T3_T4_T5_mT6_T7_P12ihipStream_tbENKUlT_T0_E_clISt17integral_constantIbLb1EESY_IbLb0EEEEDaSU_SV_EUlSU_E_NS1_11comp_targetILNS1_3genE10ELNS1_11target_archE1200ELNS1_3gpuE4ELNS1_3repE0EEENS1_30default_config_static_selectorELNS0_4arch9wavefront6targetE0EEEvT1_.num_named_barrier, 0
	.set _ZN7rocprim17ROCPRIM_400000_NS6detail17trampoline_kernelINS0_14default_configENS1_27scan_by_key_config_selectorIiiEEZZNS1_16scan_by_key_implILNS1_25lookback_scan_determinismE0ELb0ES3_N6thrust23THRUST_200600_302600_NS6detail15normal_iteratorINS9_10device_ptrIiEEEESE_SE_iNS9_4plusIvEENS9_8equal_toIvEEiEE10hipError_tPvRmT2_T3_T4_T5_mT6_T7_P12ihipStream_tbENKUlT_T0_E_clISt17integral_constantIbLb1EESY_IbLb0EEEEDaSU_SV_EUlSU_E_NS1_11comp_targetILNS1_3genE10ELNS1_11target_archE1200ELNS1_3gpuE4ELNS1_3repE0EEENS1_30default_config_static_selectorELNS0_4arch9wavefront6targetE0EEEvT1_.private_seg_size, 0
	.set _ZN7rocprim17ROCPRIM_400000_NS6detail17trampoline_kernelINS0_14default_configENS1_27scan_by_key_config_selectorIiiEEZZNS1_16scan_by_key_implILNS1_25lookback_scan_determinismE0ELb0ES3_N6thrust23THRUST_200600_302600_NS6detail15normal_iteratorINS9_10device_ptrIiEEEESE_SE_iNS9_4plusIvEENS9_8equal_toIvEEiEE10hipError_tPvRmT2_T3_T4_T5_mT6_T7_P12ihipStream_tbENKUlT_T0_E_clISt17integral_constantIbLb1EESY_IbLb0EEEEDaSU_SV_EUlSU_E_NS1_11comp_targetILNS1_3genE10ELNS1_11target_archE1200ELNS1_3gpuE4ELNS1_3repE0EEENS1_30default_config_static_selectorELNS0_4arch9wavefront6targetE0EEEvT1_.uses_vcc, 0
	.set _ZN7rocprim17ROCPRIM_400000_NS6detail17trampoline_kernelINS0_14default_configENS1_27scan_by_key_config_selectorIiiEEZZNS1_16scan_by_key_implILNS1_25lookback_scan_determinismE0ELb0ES3_N6thrust23THRUST_200600_302600_NS6detail15normal_iteratorINS9_10device_ptrIiEEEESE_SE_iNS9_4plusIvEENS9_8equal_toIvEEiEE10hipError_tPvRmT2_T3_T4_T5_mT6_T7_P12ihipStream_tbENKUlT_T0_E_clISt17integral_constantIbLb1EESY_IbLb0EEEEDaSU_SV_EUlSU_E_NS1_11comp_targetILNS1_3genE10ELNS1_11target_archE1200ELNS1_3gpuE4ELNS1_3repE0EEENS1_30default_config_static_selectorELNS0_4arch9wavefront6targetE0EEEvT1_.uses_flat_scratch, 0
	.set _ZN7rocprim17ROCPRIM_400000_NS6detail17trampoline_kernelINS0_14default_configENS1_27scan_by_key_config_selectorIiiEEZZNS1_16scan_by_key_implILNS1_25lookback_scan_determinismE0ELb0ES3_N6thrust23THRUST_200600_302600_NS6detail15normal_iteratorINS9_10device_ptrIiEEEESE_SE_iNS9_4plusIvEENS9_8equal_toIvEEiEE10hipError_tPvRmT2_T3_T4_T5_mT6_T7_P12ihipStream_tbENKUlT_T0_E_clISt17integral_constantIbLb1EESY_IbLb0EEEEDaSU_SV_EUlSU_E_NS1_11comp_targetILNS1_3genE10ELNS1_11target_archE1200ELNS1_3gpuE4ELNS1_3repE0EEENS1_30default_config_static_selectorELNS0_4arch9wavefront6targetE0EEEvT1_.has_dyn_sized_stack, 0
	.set _ZN7rocprim17ROCPRIM_400000_NS6detail17trampoline_kernelINS0_14default_configENS1_27scan_by_key_config_selectorIiiEEZZNS1_16scan_by_key_implILNS1_25lookback_scan_determinismE0ELb0ES3_N6thrust23THRUST_200600_302600_NS6detail15normal_iteratorINS9_10device_ptrIiEEEESE_SE_iNS9_4plusIvEENS9_8equal_toIvEEiEE10hipError_tPvRmT2_T3_T4_T5_mT6_T7_P12ihipStream_tbENKUlT_T0_E_clISt17integral_constantIbLb1EESY_IbLb0EEEEDaSU_SV_EUlSU_E_NS1_11comp_targetILNS1_3genE10ELNS1_11target_archE1200ELNS1_3gpuE4ELNS1_3repE0EEENS1_30default_config_static_selectorELNS0_4arch9wavefront6targetE0EEEvT1_.has_recursion, 0
	.set _ZN7rocprim17ROCPRIM_400000_NS6detail17trampoline_kernelINS0_14default_configENS1_27scan_by_key_config_selectorIiiEEZZNS1_16scan_by_key_implILNS1_25lookback_scan_determinismE0ELb0ES3_N6thrust23THRUST_200600_302600_NS6detail15normal_iteratorINS9_10device_ptrIiEEEESE_SE_iNS9_4plusIvEENS9_8equal_toIvEEiEE10hipError_tPvRmT2_T3_T4_T5_mT6_T7_P12ihipStream_tbENKUlT_T0_E_clISt17integral_constantIbLb1EESY_IbLb0EEEEDaSU_SV_EUlSU_E_NS1_11comp_targetILNS1_3genE10ELNS1_11target_archE1200ELNS1_3gpuE4ELNS1_3repE0EEENS1_30default_config_static_selectorELNS0_4arch9wavefront6targetE0EEEvT1_.has_indirect_call, 0
	.section	.AMDGPU.csdata,"",@progbits
; Kernel info:
; codeLenInByte = 0
; TotalNumSgprs: 0
; NumVgprs: 0
; ScratchSize: 0
; MemoryBound: 0
; FloatMode: 240
; IeeeMode: 1
; LDSByteSize: 0 bytes/workgroup (compile time only)
; SGPRBlocks: 0
; VGPRBlocks: 0
; NumSGPRsForWavesPerEU: 1
; NumVGPRsForWavesPerEU: 1
; NamedBarCnt: 0
; Occupancy: 16
; WaveLimiterHint : 0
; COMPUTE_PGM_RSRC2:SCRATCH_EN: 0
; COMPUTE_PGM_RSRC2:USER_SGPR: 2
; COMPUTE_PGM_RSRC2:TRAP_HANDLER: 0
; COMPUTE_PGM_RSRC2:TGID_X_EN: 1
; COMPUTE_PGM_RSRC2:TGID_Y_EN: 0
; COMPUTE_PGM_RSRC2:TGID_Z_EN: 0
; COMPUTE_PGM_RSRC2:TIDIG_COMP_CNT: 0
	.section	.text._ZN7rocprim17ROCPRIM_400000_NS6detail17trampoline_kernelINS0_14default_configENS1_27scan_by_key_config_selectorIiiEEZZNS1_16scan_by_key_implILNS1_25lookback_scan_determinismE0ELb0ES3_N6thrust23THRUST_200600_302600_NS6detail15normal_iteratorINS9_10device_ptrIiEEEESE_SE_iNS9_4plusIvEENS9_8equal_toIvEEiEE10hipError_tPvRmT2_T3_T4_T5_mT6_T7_P12ihipStream_tbENKUlT_T0_E_clISt17integral_constantIbLb1EESY_IbLb0EEEEDaSU_SV_EUlSU_E_NS1_11comp_targetILNS1_3genE9ELNS1_11target_archE1100ELNS1_3gpuE3ELNS1_3repE0EEENS1_30default_config_static_selectorELNS0_4arch9wavefront6targetE0EEEvT1_,"axG",@progbits,_ZN7rocprim17ROCPRIM_400000_NS6detail17trampoline_kernelINS0_14default_configENS1_27scan_by_key_config_selectorIiiEEZZNS1_16scan_by_key_implILNS1_25lookback_scan_determinismE0ELb0ES3_N6thrust23THRUST_200600_302600_NS6detail15normal_iteratorINS9_10device_ptrIiEEEESE_SE_iNS9_4plusIvEENS9_8equal_toIvEEiEE10hipError_tPvRmT2_T3_T4_T5_mT6_T7_P12ihipStream_tbENKUlT_T0_E_clISt17integral_constantIbLb1EESY_IbLb0EEEEDaSU_SV_EUlSU_E_NS1_11comp_targetILNS1_3genE9ELNS1_11target_archE1100ELNS1_3gpuE3ELNS1_3repE0EEENS1_30default_config_static_selectorELNS0_4arch9wavefront6targetE0EEEvT1_,comdat
	.protected	_ZN7rocprim17ROCPRIM_400000_NS6detail17trampoline_kernelINS0_14default_configENS1_27scan_by_key_config_selectorIiiEEZZNS1_16scan_by_key_implILNS1_25lookback_scan_determinismE0ELb0ES3_N6thrust23THRUST_200600_302600_NS6detail15normal_iteratorINS9_10device_ptrIiEEEESE_SE_iNS9_4plusIvEENS9_8equal_toIvEEiEE10hipError_tPvRmT2_T3_T4_T5_mT6_T7_P12ihipStream_tbENKUlT_T0_E_clISt17integral_constantIbLb1EESY_IbLb0EEEEDaSU_SV_EUlSU_E_NS1_11comp_targetILNS1_3genE9ELNS1_11target_archE1100ELNS1_3gpuE3ELNS1_3repE0EEENS1_30default_config_static_selectorELNS0_4arch9wavefront6targetE0EEEvT1_ ; -- Begin function _ZN7rocprim17ROCPRIM_400000_NS6detail17trampoline_kernelINS0_14default_configENS1_27scan_by_key_config_selectorIiiEEZZNS1_16scan_by_key_implILNS1_25lookback_scan_determinismE0ELb0ES3_N6thrust23THRUST_200600_302600_NS6detail15normal_iteratorINS9_10device_ptrIiEEEESE_SE_iNS9_4plusIvEENS9_8equal_toIvEEiEE10hipError_tPvRmT2_T3_T4_T5_mT6_T7_P12ihipStream_tbENKUlT_T0_E_clISt17integral_constantIbLb1EESY_IbLb0EEEEDaSU_SV_EUlSU_E_NS1_11comp_targetILNS1_3genE9ELNS1_11target_archE1100ELNS1_3gpuE3ELNS1_3repE0EEENS1_30default_config_static_selectorELNS0_4arch9wavefront6targetE0EEEvT1_
	.globl	_ZN7rocprim17ROCPRIM_400000_NS6detail17trampoline_kernelINS0_14default_configENS1_27scan_by_key_config_selectorIiiEEZZNS1_16scan_by_key_implILNS1_25lookback_scan_determinismE0ELb0ES3_N6thrust23THRUST_200600_302600_NS6detail15normal_iteratorINS9_10device_ptrIiEEEESE_SE_iNS9_4plusIvEENS9_8equal_toIvEEiEE10hipError_tPvRmT2_T3_T4_T5_mT6_T7_P12ihipStream_tbENKUlT_T0_E_clISt17integral_constantIbLb1EESY_IbLb0EEEEDaSU_SV_EUlSU_E_NS1_11comp_targetILNS1_3genE9ELNS1_11target_archE1100ELNS1_3gpuE3ELNS1_3repE0EEENS1_30default_config_static_selectorELNS0_4arch9wavefront6targetE0EEEvT1_
	.p2align	8
	.type	_ZN7rocprim17ROCPRIM_400000_NS6detail17trampoline_kernelINS0_14default_configENS1_27scan_by_key_config_selectorIiiEEZZNS1_16scan_by_key_implILNS1_25lookback_scan_determinismE0ELb0ES3_N6thrust23THRUST_200600_302600_NS6detail15normal_iteratorINS9_10device_ptrIiEEEESE_SE_iNS9_4plusIvEENS9_8equal_toIvEEiEE10hipError_tPvRmT2_T3_T4_T5_mT6_T7_P12ihipStream_tbENKUlT_T0_E_clISt17integral_constantIbLb1EESY_IbLb0EEEEDaSU_SV_EUlSU_E_NS1_11comp_targetILNS1_3genE9ELNS1_11target_archE1100ELNS1_3gpuE3ELNS1_3repE0EEENS1_30default_config_static_selectorELNS0_4arch9wavefront6targetE0EEEvT1_,@function
_ZN7rocprim17ROCPRIM_400000_NS6detail17trampoline_kernelINS0_14default_configENS1_27scan_by_key_config_selectorIiiEEZZNS1_16scan_by_key_implILNS1_25lookback_scan_determinismE0ELb0ES3_N6thrust23THRUST_200600_302600_NS6detail15normal_iteratorINS9_10device_ptrIiEEEESE_SE_iNS9_4plusIvEENS9_8equal_toIvEEiEE10hipError_tPvRmT2_T3_T4_T5_mT6_T7_P12ihipStream_tbENKUlT_T0_E_clISt17integral_constantIbLb1EESY_IbLb0EEEEDaSU_SV_EUlSU_E_NS1_11comp_targetILNS1_3genE9ELNS1_11target_archE1100ELNS1_3gpuE3ELNS1_3repE0EEENS1_30default_config_static_selectorELNS0_4arch9wavefront6targetE0EEEvT1_: ; @_ZN7rocprim17ROCPRIM_400000_NS6detail17trampoline_kernelINS0_14default_configENS1_27scan_by_key_config_selectorIiiEEZZNS1_16scan_by_key_implILNS1_25lookback_scan_determinismE0ELb0ES3_N6thrust23THRUST_200600_302600_NS6detail15normal_iteratorINS9_10device_ptrIiEEEESE_SE_iNS9_4plusIvEENS9_8equal_toIvEEiEE10hipError_tPvRmT2_T3_T4_T5_mT6_T7_P12ihipStream_tbENKUlT_T0_E_clISt17integral_constantIbLb1EESY_IbLb0EEEEDaSU_SV_EUlSU_E_NS1_11comp_targetILNS1_3genE9ELNS1_11target_archE1100ELNS1_3gpuE3ELNS1_3repE0EEENS1_30default_config_static_selectorELNS0_4arch9wavefront6targetE0EEEvT1_
; %bb.0:
	.section	.rodata,"a",@progbits
	.p2align	6, 0x0
	.amdhsa_kernel _ZN7rocprim17ROCPRIM_400000_NS6detail17trampoline_kernelINS0_14default_configENS1_27scan_by_key_config_selectorIiiEEZZNS1_16scan_by_key_implILNS1_25lookback_scan_determinismE0ELb0ES3_N6thrust23THRUST_200600_302600_NS6detail15normal_iteratorINS9_10device_ptrIiEEEESE_SE_iNS9_4plusIvEENS9_8equal_toIvEEiEE10hipError_tPvRmT2_T3_T4_T5_mT6_T7_P12ihipStream_tbENKUlT_T0_E_clISt17integral_constantIbLb1EESY_IbLb0EEEEDaSU_SV_EUlSU_E_NS1_11comp_targetILNS1_3genE9ELNS1_11target_archE1100ELNS1_3gpuE3ELNS1_3repE0EEENS1_30default_config_static_selectorELNS0_4arch9wavefront6targetE0EEEvT1_
		.amdhsa_group_segment_fixed_size 0
		.amdhsa_private_segment_fixed_size 0
		.amdhsa_kernarg_size 112
		.amdhsa_user_sgpr_count 2
		.amdhsa_user_sgpr_dispatch_ptr 0
		.amdhsa_user_sgpr_queue_ptr 0
		.amdhsa_user_sgpr_kernarg_segment_ptr 1
		.amdhsa_user_sgpr_dispatch_id 0
		.amdhsa_user_sgpr_kernarg_preload_length 0
		.amdhsa_user_sgpr_kernarg_preload_offset 0
		.amdhsa_user_sgpr_private_segment_size 0
		.amdhsa_wavefront_size32 1
		.amdhsa_uses_dynamic_stack 0
		.amdhsa_enable_private_segment 0
		.amdhsa_system_sgpr_workgroup_id_x 1
		.amdhsa_system_sgpr_workgroup_id_y 0
		.amdhsa_system_sgpr_workgroup_id_z 0
		.amdhsa_system_sgpr_workgroup_info 0
		.amdhsa_system_vgpr_workitem_id 0
		.amdhsa_next_free_vgpr 1
		.amdhsa_next_free_sgpr 1
		.amdhsa_named_barrier_count 0
		.amdhsa_reserve_vcc 0
		.amdhsa_float_round_mode_32 0
		.amdhsa_float_round_mode_16_64 0
		.amdhsa_float_denorm_mode_32 3
		.amdhsa_float_denorm_mode_16_64 3
		.amdhsa_fp16_overflow 0
		.amdhsa_memory_ordered 1
		.amdhsa_forward_progress 1
		.amdhsa_inst_pref_size 0
		.amdhsa_round_robin_scheduling 0
		.amdhsa_exception_fp_ieee_invalid_op 0
		.amdhsa_exception_fp_denorm_src 0
		.amdhsa_exception_fp_ieee_div_zero 0
		.amdhsa_exception_fp_ieee_overflow 0
		.amdhsa_exception_fp_ieee_underflow 0
		.amdhsa_exception_fp_ieee_inexact 0
		.amdhsa_exception_int_div_zero 0
	.end_amdhsa_kernel
	.section	.text._ZN7rocprim17ROCPRIM_400000_NS6detail17trampoline_kernelINS0_14default_configENS1_27scan_by_key_config_selectorIiiEEZZNS1_16scan_by_key_implILNS1_25lookback_scan_determinismE0ELb0ES3_N6thrust23THRUST_200600_302600_NS6detail15normal_iteratorINS9_10device_ptrIiEEEESE_SE_iNS9_4plusIvEENS9_8equal_toIvEEiEE10hipError_tPvRmT2_T3_T4_T5_mT6_T7_P12ihipStream_tbENKUlT_T0_E_clISt17integral_constantIbLb1EESY_IbLb0EEEEDaSU_SV_EUlSU_E_NS1_11comp_targetILNS1_3genE9ELNS1_11target_archE1100ELNS1_3gpuE3ELNS1_3repE0EEENS1_30default_config_static_selectorELNS0_4arch9wavefront6targetE0EEEvT1_,"axG",@progbits,_ZN7rocprim17ROCPRIM_400000_NS6detail17trampoline_kernelINS0_14default_configENS1_27scan_by_key_config_selectorIiiEEZZNS1_16scan_by_key_implILNS1_25lookback_scan_determinismE0ELb0ES3_N6thrust23THRUST_200600_302600_NS6detail15normal_iteratorINS9_10device_ptrIiEEEESE_SE_iNS9_4plusIvEENS9_8equal_toIvEEiEE10hipError_tPvRmT2_T3_T4_T5_mT6_T7_P12ihipStream_tbENKUlT_T0_E_clISt17integral_constantIbLb1EESY_IbLb0EEEEDaSU_SV_EUlSU_E_NS1_11comp_targetILNS1_3genE9ELNS1_11target_archE1100ELNS1_3gpuE3ELNS1_3repE0EEENS1_30default_config_static_selectorELNS0_4arch9wavefront6targetE0EEEvT1_,comdat
.Lfunc_end151:
	.size	_ZN7rocprim17ROCPRIM_400000_NS6detail17trampoline_kernelINS0_14default_configENS1_27scan_by_key_config_selectorIiiEEZZNS1_16scan_by_key_implILNS1_25lookback_scan_determinismE0ELb0ES3_N6thrust23THRUST_200600_302600_NS6detail15normal_iteratorINS9_10device_ptrIiEEEESE_SE_iNS9_4plusIvEENS9_8equal_toIvEEiEE10hipError_tPvRmT2_T3_T4_T5_mT6_T7_P12ihipStream_tbENKUlT_T0_E_clISt17integral_constantIbLb1EESY_IbLb0EEEEDaSU_SV_EUlSU_E_NS1_11comp_targetILNS1_3genE9ELNS1_11target_archE1100ELNS1_3gpuE3ELNS1_3repE0EEENS1_30default_config_static_selectorELNS0_4arch9wavefront6targetE0EEEvT1_, .Lfunc_end151-_ZN7rocprim17ROCPRIM_400000_NS6detail17trampoline_kernelINS0_14default_configENS1_27scan_by_key_config_selectorIiiEEZZNS1_16scan_by_key_implILNS1_25lookback_scan_determinismE0ELb0ES3_N6thrust23THRUST_200600_302600_NS6detail15normal_iteratorINS9_10device_ptrIiEEEESE_SE_iNS9_4plusIvEENS9_8equal_toIvEEiEE10hipError_tPvRmT2_T3_T4_T5_mT6_T7_P12ihipStream_tbENKUlT_T0_E_clISt17integral_constantIbLb1EESY_IbLb0EEEEDaSU_SV_EUlSU_E_NS1_11comp_targetILNS1_3genE9ELNS1_11target_archE1100ELNS1_3gpuE3ELNS1_3repE0EEENS1_30default_config_static_selectorELNS0_4arch9wavefront6targetE0EEEvT1_
                                        ; -- End function
	.set _ZN7rocprim17ROCPRIM_400000_NS6detail17trampoline_kernelINS0_14default_configENS1_27scan_by_key_config_selectorIiiEEZZNS1_16scan_by_key_implILNS1_25lookback_scan_determinismE0ELb0ES3_N6thrust23THRUST_200600_302600_NS6detail15normal_iteratorINS9_10device_ptrIiEEEESE_SE_iNS9_4plusIvEENS9_8equal_toIvEEiEE10hipError_tPvRmT2_T3_T4_T5_mT6_T7_P12ihipStream_tbENKUlT_T0_E_clISt17integral_constantIbLb1EESY_IbLb0EEEEDaSU_SV_EUlSU_E_NS1_11comp_targetILNS1_3genE9ELNS1_11target_archE1100ELNS1_3gpuE3ELNS1_3repE0EEENS1_30default_config_static_selectorELNS0_4arch9wavefront6targetE0EEEvT1_.num_vgpr, 0
	.set _ZN7rocprim17ROCPRIM_400000_NS6detail17trampoline_kernelINS0_14default_configENS1_27scan_by_key_config_selectorIiiEEZZNS1_16scan_by_key_implILNS1_25lookback_scan_determinismE0ELb0ES3_N6thrust23THRUST_200600_302600_NS6detail15normal_iteratorINS9_10device_ptrIiEEEESE_SE_iNS9_4plusIvEENS9_8equal_toIvEEiEE10hipError_tPvRmT2_T3_T4_T5_mT6_T7_P12ihipStream_tbENKUlT_T0_E_clISt17integral_constantIbLb1EESY_IbLb0EEEEDaSU_SV_EUlSU_E_NS1_11comp_targetILNS1_3genE9ELNS1_11target_archE1100ELNS1_3gpuE3ELNS1_3repE0EEENS1_30default_config_static_selectorELNS0_4arch9wavefront6targetE0EEEvT1_.num_agpr, 0
	.set _ZN7rocprim17ROCPRIM_400000_NS6detail17trampoline_kernelINS0_14default_configENS1_27scan_by_key_config_selectorIiiEEZZNS1_16scan_by_key_implILNS1_25lookback_scan_determinismE0ELb0ES3_N6thrust23THRUST_200600_302600_NS6detail15normal_iteratorINS9_10device_ptrIiEEEESE_SE_iNS9_4plusIvEENS9_8equal_toIvEEiEE10hipError_tPvRmT2_T3_T4_T5_mT6_T7_P12ihipStream_tbENKUlT_T0_E_clISt17integral_constantIbLb1EESY_IbLb0EEEEDaSU_SV_EUlSU_E_NS1_11comp_targetILNS1_3genE9ELNS1_11target_archE1100ELNS1_3gpuE3ELNS1_3repE0EEENS1_30default_config_static_selectorELNS0_4arch9wavefront6targetE0EEEvT1_.numbered_sgpr, 0
	.set _ZN7rocprim17ROCPRIM_400000_NS6detail17trampoline_kernelINS0_14default_configENS1_27scan_by_key_config_selectorIiiEEZZNS1_16scan_by_key_implILNS1_25lookback_scan_determinismE0ELb0ES3_N6thrust23THRUST_200600_302600_NS6detail15normal_iteratorINS9_10device_ptrIiEEEESE_SE_iNS9_4plusIvEENS9_8equal_toIvEEiEE10hipError_tPvRmT2_T3_T4_T5_mT6_T7_P12ihipStream_tbENKUlT_T0_E_clISt17integral_constantIbLb1EESY_IbLb0EEEEDaSU_SV_EUlSU_E_NS1_11comp_targetILNS1_3genE9ELNS1_11target_archE1100ELNS1_3gpuE3ELNS1_3repE0EEENS1_30default_config_static_selectorELNS0_4arch9wavefront6targetE0EEEvT1_.num_named_barrier, 0
	.set _ZN7rocprim17ROCPRIM_400000_NS6detail17trampoline_kernelINS0_14default_configENS1_27scan_by_key_config_selectorIiiEEZZNS1_16scan_by_key_implILNS1_25lookback_scan_determinismE0ELb0ES3_N6thrust23THRUST_200600_302600_NS6detail15normal_iteratorINS9_10device_ptrIiEEEESE_SE_iNS9_4plusIvEENS9_8equal_toIvEEiEE10hipError_tPvRmT2_T3_T4_T5_mT6_T7_P12ihipStream_tbENKUlT_T0_E_clISt17integral_constantIbLb1EESY_IbLb0EEEEDaSU_SV_EUlSU_E_NS1_11comp_targetILNS1_3genE9ELNS1_11target_archE1100ELNS1_3gpuE3ELNS1_3repE0EEENS1_30default_config_static_selectorELNS0_4arch9wavefront6targetE0EEEvT1_.private_seg_size, 0
	.set _ZN7rocprim17ROCPRIM_400000_NS6detail17trampoline_kernelINS0_14default_configENS1_27scan_by_key_config_selectorIiiEEZZNS1_16scan_by_key_implILNS1_25lookback_scan_determinismE0ELb0ES3_N6thrust23THRUST_200600_302600_NS6detail15normal_iteratorINS9_10device_ptrIiEEEESE_SE_iNS9_4plusIvEENS9_8equal_toIvEEiEE10hipError_tPvRmT2_T3_T4_T5_mT6_T7_P12ihipStream_tbENKUlT_T0_E_clISt17integral_constantIbLb1EESY_IbLb0EEEEDaSU_SV_EUlSU_E_NS1_11comp_targetILNS1_3genE9ELNS1_11target_archE1100ELNS1_3gpuE3ELNS1_3repE0EEENS1_30default_config_static_selectorELNS0_4arch9wavefront6targetE0EEEvT1_.uses_vcc, 0
	.set _ZN7rocprim17ROCPRIM_400000_NS6detail17trampoline_kernelINS0_14default_configENS1_27scan_by_key_config_selectorIiiEEZZNS1_16scan_by_key_implILNS1_25lookback_scan_determinismE0ELb0ES3_N6thrust23THRUST_200600_302600_NS6detail15normal_iteratorINS9_10device_ptrIiEEEESE_SE_iNS9_4plusIvEENS9_8equal_toIvEEiEE10hipError_tPvRmT2_T3_T4_T5_mT6_T7_P12ihipStream_tbENKUlT_T0_E_clISt17integral_constantIbLb1EESY_IbLb0EEEEDaSU_SV_EUlSU_E_NS1_11comp_targetILNS1_3genE9ELNS1_11target_archE1100ELNS1_3gpuE3ELNS1_3repE0EEENS1_30default_config_static_selectorELNS0_4arch9wavefront6targetE0EEEvT1_.uses_flat_scratch, 0
	.set _ZN7rocprim17ROCPRIM_400000_NS6detail17trampoline_kernelINS0_14default_configENS1_27scan_by_key_config_selectorIiiEEZZNS1_16scan_by_key_implILNS1_25lookback_scan_determinismE0ELb0ES3_N6thrust23THRUST_200600_302600_NS6detail15normal_iteratorINS9_10device_ptrIiEEEESE_SE_iNS9_4plusIvEENS9_8equal_toIvEEiEE10hipError_tPvRmT2_T3_T4_T5_mT6_T7_P12ihipStream_tbENKUlT_T0_E_clISt17integral_constantIbLb1EESY_IbLb0EEEEDaSU_SV_EUlSU_E_NS1_11comp_targetILNS1_3genE9ELNS1_11target_archE1100ELNS1_3gpuE3ELNS1_3repE0EEENS1_30default_config_static_selectorELNS0_4arch9wavefront6targetE0EEEvT1_.has_dyn_sized_stack, 0
	.set _ZN7rocprim17ROCPRIM_400000_NS6detail17trampoline_kernelINS0_14default_configENS1_27scan_by_key_config_selectorIiiEEZZNS1_16scan_by_key_implILNS1_25lookback_scan_determinismE0ELb0ES3_N6thrust23THRUST_200600_302600_NS6detail15normal_iteratorINS9_10device_ptrIiEEEESE_SE_iNS9_4plusIvEENS9_8equal_toIvEEiEE10hipError_tPvRmT2_T3_T4_T5_mT6_T7_P12ihipStream_tbENKUlT_T0_E_clISt17integral_constantIbLb1EESY_IbLb0EEEEDaSU_SV_EUlSU_E_NS1_11comp_targetILNS1_3genE9ELNS1_11target_archE1100ELNS1_3gpuE3ELNS1_3repE0EEENS1_30default_config_static_selectorELNS0_4arch9wavefront6targetE0EEEvT1_.has_recursion, 0
	.set _ZN7rocprim17ROCPRIM_400000_NS6detail17trampoline_kernelINS0_14default_configENS1_27scan_by_key_config_selectorIiiEEZZNS1_16scan_by_key_implILNS1_25lookback_scan_determinismE0ELb0ES3_N6thrust23THRUST_200600_302600_NS6detail15normal_iteratorINS9_10device_ptrIiEEEESE_SE_iNS9_4plusIvEENS9_8equal_toIvEEiEE10hipError_tPvRmT2_T3_T4_T5_mT6_T7_P12ihipStream_tbENKUlT_T0_E_clISt17integral_constantIbLb1EESY_IbLb0EEEEDaSU_SV_EUlSU_E_NS1_11comp_targetILNS1_3genE9ELNS1_11target_archE1100ELNS1_3gpuE3ELNS1_3repE0EEENS1_30default_config_static_selectorELNS0_4arch9wavefront6targetE0EEEvT1_.has_indirect_call, 0
	.section	.AMDGPU.csdata,"",@progbits
; Kernel info:
; codeLenInByte = 0
; TotalNumSgprs: 0
; NumVgprs: 0
; ScratchSize: 0
; MemoryBound: 0
; FloatMode: 240
; IeeeMode: 1
; LDSByteSize: 0 bytes/workgroup (compile time only)
; SGPRBlocks: 0
; VGPRBlocks: 0
; NumSGPRsForWavesPerEU: 1
; NumVGPRsForWavesPerEU: 1
; NamedBarCnt: 0
; Occupancy: 16
; WaveLimiterHint : 0
; COMPUTE_PGM_RSRC2:SCRATCH_EN: 0
; COMPUTE_PGM_RSRC2:USER_SGPR: 2
; COMPUTE_PGM_RSRC2:TRAP_HANDLER: 0
; COMPUTE_PGM_RSRC2:TGID_X_EN: 1
; COMPUTE_PGM_RSRC2:TGID_Y_EN: 0
; COMPUTE_PGM_RSRC2:TGID_Z_EN: 0
; COMPUTE_PGM_RSRC2:TIDIG_COMP_CNT: 0
	.section	.text._ZN7rocprim17ROCPRIM_400000_NS6detail17trampoline_kernelINS0_14default_configENS1_27scan_by_key_config_selectorIiiEEZZNS1_16scan_by_key_implILNS1_25lookback_scan_determinismE0ELb0ES3_N6thrust23THRUST_200600_302600_NS6detail15normal_iteratorINS9_10device_ptrIiEEEESE_SE_iNS9_4plusIvEENS9_8equal_toIvEEiEE10hipError_tPvRmT2_T3_T4_T5_mT6_T7_P12ihipStream_tbENKUlT_T0_E_clISt17integral_constantIbLb1EESY_IbLb0EEEEDaSU_SV_EUlSU_E_NS1_11comp_targetILNS1_3genE8ELNS1_11target_archE1030ELNS1_3gpuE2ELNS1_3repE0EEENS1_30default_config_static_selectorELNS0_4arch9wavefront6targetE0EEEvT1_,"axG",@progbits,_ZN7rocprim17ROCPRIM_400000_NS6detail17trampoline_kernelINS0_14default_configENS1_27scan_by_key_config_selectorIiiEEZZNS1_16scan_by_key_implILNS1_25lookback_scan_determinismE0ELb0ES3_N6thrust23THRUST_200600_302600_NS6detail15normal_iteratorINS9_10device_ptrIiEEEESE_SE_iNS9_4plusIvEENS9_8equal_toIvEEiEE10hipError_tPvRmT2_T3_T4_T5_mT6_T7_P12ihipStream_tbENKUlT_T0_E_clISt17integral_constantIbLb1EESY_IbLb0EEEEDaSU_SV_EUlSU_E_NS1_11comp_targetILNS1_3genE8ELNS1_11target_archE1030ELNS1_3gpuE2ELNS1_3repE0EEENS1_30default_config_static_selectorELNS0_4arch9wavefront6targetE0EEEvT1_,comdat
	.protected	_ZN7rocprim17ROCPRIM_400000_NS6detail17trampoline_kernelINS0_14default_configENS1_27scan_by_key_config_selectorIiiEEZZNS1_16scan_by_key_implILNS1_25lookback_scan_determinismE0ELb0ES3_N6thrust23THRUST_200600_302600_NS6detail15normal_iteratorINS9_10device_ptrIiEEEESE_SE_iNS9_4plusIvEENS9_8equal_toIvEEiEE10hipError_tPvRmT2_T3_T4_T5_mT6_T7_P12ihipStream_tbENKUlT_T0_E_clISt17integral_constantIbLb1EESY_IbLb0EEEEDaSU_SV_EUlSU_E_NS1_11comp_targetILNS1_3genE8ELNS1_11target_archE1030ELNS1_3gpuE2ELNS1_3repE0EEENS1_30default_config_static_selectorELNS0_4arch9wavefront6targetE0EEEvT1_ ; -- Begin function _ZN7rocprim17ROCPRIM_400000_NS6detail17trampoline_kernelINS0_14default_configENS1_27scan_by_key_config_selectorIiiEEZZNS1_16scan_by_key_implILNS1_25lookback_scan_determinismE0ELb0ES3_N6thrust23THRUST_200600_302600_NS6detail15normal_iteratorINS9_10device_ptrIiEEEESE_SE_iNS9_4plusIvEENS9_8equal_toIvEEiEE10hipError_tPvRmT2_T3_T4_T5_mT6_T7_P12ihipStream_tbENKUlT_T0_E_clISt17integral_constantIbLb1EESY_IbLb0EEEEDaSU_SV_EUlSU_E_NS1_11comp_targetILNS1_3genE8ELNS1_11target_archE1030ELNS1_3gpuE2ELNS1_3repE0EEENS1_30default_config_static_selectorELNS0_4arch9wavefront6targetE0EEEvT1_
	.globl	_ZN7rocprim17ROCPRIM_400000_NS6detail17trampoline_kernelINS0_14default_configENS1_27scan_by_key_config_selectorIiiEEZZNS1_16scan_by_key_implILNS1_25lookback_scan_determinismE0ELb0ES3_N6thrust23THRUST_200600_302600_NS6detail15normal_iteratorINS9_10device_ptrIiEEEESE_SE_iNS9_4plusIvEENS9_8equal_toIvEEiEE10hipError_tPvRmT2_T3_T4_T5_mT6_T7_P12ihipStream_tbENKUlT_T0_E_clISt17integral_constantIbLb1EESY_IbLb0EEEEDaSU_SV_EUlSU_E_NS1_11comp_targetILNS1_3genE8ELNS1_11target_archE1030ELNS1_3gpuE2ELNS1_3repE0EEENS1_30default_config_static_selectorELNS0_4arch9wavefront6targetE0EEEvT1_
	.p2align	8
	.type	_ZN7rocprim17ROCPRIM_400000_NS6detail17trampoline_kernelINS0_14default_configENS1_27scan_by_key_config_selectorIiiEEZZNS1_16scan_by_key_implILNS1_25lookback_scan_determinismE0ELb0ES3_N6thrust23THRUST_200600_302600_NS6detail15normal_iteratorINS9_10device_ptrIiEEEESE_SE_iNS9_4plusIvEENS9_8equal_toIvEEiEE10hipError_tPvRmT2_T3_T4_T5_mT6_T7_P12ihipStream_tbENKUlT_T0_E_clISt17integral_constantIbLb1EESY_IbLb0EEEEDaSU_SV_EUlSU_E_NS1_11comp_targetILNS1_3genE8ELNS1_11target_archE1030ELNS1_3gpuE2ELNS1_3repE0EEENS1_30default_config_static_selectorELNS0_4arch9wavefront6targetE0EEEvT1_,@function
_ZN7rocprim17ROCPRIM_400000_NS6detail17trampoline_kernelINS0_14default_configENS1_27scan_by_key_config_selectorIiiEEZZNS1_16scan_by_key_implILNS1_25lookback_scan_determinismE0ELb0ES3_N6thrust23THRUST_200600_302600_NS6detail15normal_iteratorINS9_10device_ptrIiEEEESE_SE_iNS9_4plusIvEENS9_8equal_toIvEEiEE10hipError_tPvRmT2_T3_T4_T5_mT6_T7_P12ihipStream_tbENKUlT_T0_E_clISt17integral_constantIbLb1EESY_IbLb0EEEEDaSU_SV_EUlSU_E_NS1_11comp_targetILNS1_3genE8ELNS1_11target_archE1030ELNS1_3gpuE2ELNS1_3repE0EEENS1_30default_config_static_selectorELNS0_4arch9wavefront6targetE0EEEvT1_: ; @_ZN7rocprim17ROCPRIM_400000_NS6detail17trampoline_kernelINS0_14default_configENS1_27scan_by_key_config_selectorIiiEEZZNS1_16scan_by_key_implILNS1_25lookback_scan_determinismE0ELb0ES3_N6thrust23THRUST_200600_302600_NS6detail15normal_iteratorINS9_10device_ptrIiEEEESE_SE_iNS9_4plusIvEENS9_8equal_toIvEEiEE10hipError_tPvRmT2_T3_T4_T5_mT6_T7_P12ihipStream_tbENKUlT_T0_E_clISt17integral_constantIbLb1EESY_IbLb0EEEEDaSU_SV_EUlSU_E_NS1_11comp_targetILNS1_3genE8ELNS1_11target_archE1030ELNS1_3gpuE2ELNS1_3repE0EEENS1_30default_config_static_selectorELNS0_4arch9wavefront6targetE0EEEvT1_
; %bb.0:
	.section	.rodata,"a",@progbits
	.p2align	6, 0x0
	.amdhsa_kernel _ZN7rocprim17ROCPRIM_400000_NS6detail17trampoline_kernelINS0_14default_configENS1_27scan_by_key_config_selectorIiiEEZZNS1_16scan_by_key_implILNS1_25lookback_scan_determinismE0ELb0ES3_N6thrust23THRUST_200600_302600_NS6detail15normal_iteratorINS9_10device_ptrIiEEEESE_SE_iNS9_4plusIvEENS9_8equal_toIvEEiEE10hipError_tPvRmT2_T3_T4_T5_mT6_T7_P12ihipStream_tbENKUlT_T0_E_clISt17integral_constantIbLb1EESY_IbLb0EEEEDaSU_SV_EUlSU_E_NS1_11comp_targetILNS1_3genE8ELNS1_11target_archE1030ELNS1_3gpuE2ELNS1_3repE0EEENS1_30default_config_static_selectorELNS0_4arch9wavefront6targetE0EEEvT1_
		.amdhsa_group_segment_fixed_size 0
		.amdhsa_private_segment_fixed_size 0
		.amdhsa_kernarg_size 112
		.amdhsa_user_sgpr_count 2
		.amdhsa_user_sgpr_dispatch_ptr 0
		.amdhsa_user_sgpr_queue_ptr 0
		.amdhsa_user_sgpr_kernarg_segment_ptr 1
		.amdhsa_user_sgpr_dispatch_id 0
		.amdhsa_user_sgpr_kernarg_preload_length 0
		.amdhsa_user_sgpr_kernarg_preload_offset 0
		.amdhsa_user_sgpr_private_segment_size 0
		.amdhsa_wavefront_size32 1
		.amdhsa_uses_dynamic_stack 0
		.amdhsa_enable_private_segment 0
		.amdhsa_system_sgpr_workgroup_id_x 1
		.amdhsa_system_sgpr_workgroup_id_y 0
		.amdhsa_system_sgpr_workgroup_id_z 0
		.amdhsa_system_sgpr_workgroup_info 0
		.amdhsa_system_vgpr_workitem_id 0
		.amdhsa_next_free_vgpr 1
		.amdhsa_next_free_sgpr 1
		.amdhsa_named_barrier_count 0
		.amdhsa_reserve_vcc 0
		.amdhsa_float_round_mode_32 0
		.amdhsa_float_round_mode_16_64 0
		.amdhsa_float_denorm_mode_32 3
		.amdhsa_float_denorm_mode_16_64 3
		.amdhsa_fp16_overflow 0
		.amdhsa_memory_ordered 1
		.amdhsa_forward_progress 1
		.amdhsa_inst_pref_size 0
		.amdhsa_round_robin_scheduling 0
		.amdhsa_exception_fp_ieee_invalid_op 0
		.amdhsa_exception_fp_denorm_src 0
		.amdhsa_exception_fp_ieee_div_zero 0
		.amdhsa_exception_fp_ieee_overflow 0
		.amdhsa_exception_fp_ieee_underflow 0
		.amdhsa_exception_fp_ieee_inexact 0
		.amdhsa_exception_int_div_zero 0
	.end_amdhsa_kernel
	.section	.text._ZN7rocprim17ROCPRIM_400000_NS6detail17trampoline_kernelINS0_14default_configENS1_27scan_by_key_config_selectorIiiEEZZNS1_16scan_by_key_implILNS1_25lookback_scan_determinismE0ELb0ES3_N6thrust23THRUST_200600_302600_NS6detail15normal_iteratorINS9_10device_ptrIiEEEESE_SE_iNS9_4plusIvEENS9_8equal_toIvEEiEE10hipError_tPvRmT2_T3_T4_T5_mT6_T7_P12ihipStream_tbENKUlT_T0_E_clISt17integral_constantIbLb1EESY_IbLb0EEEEDaSU_SV_EUlSU_E_NS1_11comp_targetILNS1_3genE8ELNS1_11target_archE1030ELNS1_3gpuE2ELNS1_3repE0EEENS1_30default_config_static_selectorELNS0_4arch9wavefront6targetE0EEEvT1_,"axG",@progbits,_ZN7rocprim17ROCPRIM_400000_NS6detail17trampoline_kernelINS0_14default_configENS1_27scan_by_key_config_selectorIiiEEZZNS1_16scan_by_key_implILNS1_25lookback_scan_determinismE0ELb0ES3_N6thrust23THRUST_200600_302600_NS6detail15normal_iteratorINS9_10device_ptrIiEEEESE_SE_iNS9_4plusIvEENS9_8equal_toIvEEiEE10hipError_tPvRmT2_T3_T4_T5_mT6_T7_P12ihipStream_tbENKUlT_T0_E_clISt17integral_constantIbLb1EESY_IbLb0EEEEDaSU_SV_EUlSU_E_NS1_11comp_targetILNS1_3genE8ELNS1_11target_archE1030ELNS1_3gpuE2ELNS1_3repE0EEENS1_30default_config_static_selectorELNS0_4arch9wavefront6targetE0EEEvT1_,comdat
.Lfunc_end152:
	.size	_ZN7rocprim17ROCPRIM_400000_NS6detail17trampoline_kernelINS0_14default_configENS1_27scan_by_key_config_selectorIiiEEZZNS1_16scan_by_key_implILNS1_25lookback_scan_determinismE0ELb0ES3_N6thrust23THRUST_200600_302600_NS6detail15normal_iteratorINS9_10device_ptrIiEEEESE_SE_iNS9_4plusIvEENS9_8equal_toIvEEiEE10hipError_tPvRmT2_T3_T4_T5_mT6_T7_P12ihipStream_tbENKUlT_T0_E_clISt17integral_constantIbLb1EESY_IbLb0EEEEDaSU_SV_EUlSU_E_NS1_11comp_targetILNS1_3genE8ELNS1_11target_archE1030ELNS1_3gpuE2ELNS1_3repE0EEENS1_30default_config_static_selectorELNS0_4arch9wavefront6targetE0EEEvT1_, .Lfunc_end152-_ZN7rocprim17ROCPRIM_400000_NS6detail17trampoline_kernelINS0_14default_configENS1_27scan_by_key_config_selectorIiiEEZZNS1_16scan_by_key_implILNS1_25lookback_scan_determinismE0ELb0ES3_N6thrust23THRUST_200600_302600_NS6detail15normal_iteratorINS9_10device_ptrIiEEEESE_SE_iNS9_4plusIvEENS9_8equal_toIvEEiEE10hipError_tPvRmT2_T3_T4_T5_mT6_T7_P12ihipStream_tbENKUlT_T0_E_clISt17integral_constantIbLb1EESY_IbLb0EEEEDaSU_SV_EUlSU_E_NS1_11comp_targetILNS1_3genE8ELNS1_11target_archE1030ELNS1_3gpuE2ELNS1_3repE0EEENS1_30default_config_static_selectorELNS0_4arch9wavefront6targetE0EEEvT1_
                                        ; -- End function
	.set _ZN7rocprim17ROCPRIM_400000_NS6detail17trampoline_kernelINS0_14default_configENS1_27scan_by_key_config_selectorIiiEEZZNS1_16scan_by_key_implILNS1_25lookback_scan_determinismE0ELb0ES3_N6thrust23THRUST_200600_302600_NS6detail15normal_iteratorINS9_10device_ptrIiEEEESE_SE_iNS9_4plusIvEENS9_8equal_toIvEEiEE10hipError_tPvRmT2_T3_T4_T5_mT6_T7_P12ihipStream_tbENKUlT_T0_E_clISt17integral_constantIbLb1EESY_IbLb0EEEEDaSU_SV_EUlSU_E_NS1_11comp_targetILNS1_3genE8ELNS1_11target_archE1030ELNS1_3gpuE2ELNS1_3repE0EEENS1_30default_config_static_selectorELNS0_4arch9wavefront6targetE0EEEvT1_.num_vgpr, 0
	.set _ZN7rocprim17ROCPRIM_400000_NS6detail17trampoline_kernelINS0_14default_configENS1_27scan_by_key_config_selectorIiiEEZZNS1_16scan_by_key_implILNS1_25lookback_scan_determinismE0ELb0ES3_N6thrust23THRUST_200600_302600_NS6detail15normal_iteratorINS9_10device_ptrIiEEEESE_SE_iNS9_4plusIvEENS9_8equal_toIvEEiEE10hipError_tPvRmT2_T3_T4_T5_mT6_T7_P12ihipStream_tbENKUlT_T0_E_clISt17integral_constantIbLb1EESY_IbLb0EEEEDaSU_SV_EUlSU_E_NS1_11comp_targetILNS1_3genE8ELNS1_11target_archE1030ELNS1_3gpuE2ELNS1_3repE0EEENS1_30default_config_static_selectorELNS0_4arch9wavefront6targetE0EEEvT1_.num_agpr, 0
	.set _ZN7rocprim17ROCPRIM_400000_NS6detail17trampoline_kernelINS0_14default_configENS1_27scan_by_key_config_selectorIiiEEZZNS1_16scan_by_key_implILNS1_25lookback_scan_determinismE0ELb0ES3_N6thrust23THRUST_200600_302600_NS6detail15normal_iteratorINS9_10device_ptrIiEEEESE_SE_iNS9_4plusIvEENS9_8equal_toIvEEiEE10hipError_tPvRmT2_T3_T4_T5_mT6_T7_P12ihipStream_tbENKUlT_T0_E_clISt17integral_constantIbLb1EESY_IbLb0EEEEDaSU_SV_EUlSU_E_NS1_11comp_targetILNS1_3genE8ELNS1_11target_archE1030ELNS1_3gpuE2ELNS1_3repE0EEENS1_30default_config_static_selectorELNS0_4arch9wavefront6targetE0EEEvT1_.numbered_sgpr, 0
	.set _ZN7rocprim17ROCPRIM_400000_NS6detail17trampoline_kernelINS0_14default_configENS1_27scan_by_key_config_selectorIiiEEZZNS1_16scan_by_key_implILNS1_25lookback_scan_determinismE0ELb0ES3_N6thrust23THRUST_200600_302600_NS6detail15normal_iteratorINS9_10device_ptrIiEEEESE_SE_iNS9_4plusIvEENS9_8equal_toIvEEiEE10hipError_tPvRmT2_T3_T4_T5_mT6_T7_P12ihipStream_tbENKUlT_T0_E_clISt17integral_constantIbLb1EESY_IbLb0EEEEDaSU_SV_EUlSU_E_NS1_11comp_targetILNS1_3genE8ELNS1_11target_archE1030ELNS1_3gpuE2ELNS1_3repE0EEENS1_30default_config_static_selectorELNS0_4arch9wavefront6targetE0EEEvT1_.num_named_barrier, 0
	.set _ZN7rocprim17ROCPRIM_400000_NS6detail17trampoline_kernelINS0_14default_configENS1_27scan_by_key_config_selectorIiiEEZZNS1_16scan_by_key_implILNS1_25lookback_scan_determinismE0ELb0ES3_N6thrust23THRUST_200600_302600_NS6detail15normal_iteratorINS9_10device_ptrIiEEEESE_SE_iNS9_4plusIvEENS9_8equal_toIvEEiEE10hipError_tPvRmT2_T3_T4_T5_mT6_T7_P12ihipStream_tbENKUlT_T0_E_clISt17integral_constantIbLb1EESY_IbLb0EEEEDaSU_SV_EUlSU_E_NS1_11comp_targetILNS1_3genE8ELNS1_11target_archE1030ELNS1_3gpuE2ELNS1_3repE0EEENS1_30default_config_static_selectorELNS0_4arch9wavefront6targetE0EEEvT1_.private_seg_size, 0
	.set _ZN7rocprim17ROCPRIM_400000_NS6detail17trampoline_kernelINS0_14default_configENS1_27scan_by_key_config_selectorIiiEEZZNS1_16scan_by_key_implILNS1_25lookback_scan_determinismE0ELb0ES3_N6thrust23THRUST_200600_302600_NS6detail15normal_iteratorINS9_10device_ptrIiEEEESE_SE_iNS9_4plusIvEENS9_8equal_toIvEEiEE10hipError_tPvRmT2_T3_T4_T5_mT6_T7_P12ihipStream_tbENKUlT_T0_E_clISt17integral_constantIbLb1EESY_IbLb0EEEEDaSU_SV_EUlSU_E_NS1_11comp_targetILNS1_3genE8ELNS1_11target_archE1030ELNS1_3gpuE2ELNS1_3repE0EEENS1_30default_config_static_selectorELNS0_4arch9wavefront6targetE0EEEvT1_.uses_vcc, 0
	.set _ZN7rocprim17ROCPRIM_400000_NS6detail17trampoline_kernelINS0_14default_configENS1_27scan_by_key_config_selectorIiiEEZZNS1_16scan_by_key_implILNS1_25lookback_scan_determinismE0ELb0ES3_N6thrust23THRUST_200600_302600_NS6detail15normal_iteratorINS9_10device_ptrIiEEEESE_SE_iNS9_4plusIvEENS9_8equal_toIvEEiEE10hipError_tPvRmT2_T3_T4_T5_mT6_T7_P12ihipStream_tbENKUlT_T0_E_clISt17integral_constantIbLb1EESY_IbLb0EEEEDaSU_SV_EUlSU_E_NS1_11comp_targetILNS1_3genE8ELNS1_11target_archE1030ELNS1_3gpuE2ELNS1_3repE0EEENS1_30default_config_static_selectorELNS0_4arch9wavefront6targetE0EEEvT1_.uses_flat_scratch, 0
	.set _ZN7rocprim17ROCPRIM_400000_NS6detail17trampoline_kernelINS0_14default_configENS1_27scan_by_key_config_selectorIiiEEZZNS1_16scan_by_key_implILNS1_25lookback_scan_determinismE0ELb0ES3_N6thrust23THRUST_200600_302600_NS6detail15normal_iteratorINS9_10device_ptrIiEEEESE_SE_iNS9_4plusIvEENS9_8equal_toIvEEiEE10hipError_tPvRmT2_T3_T4_T5_mT6_T7_P12ihipStream_tbENKUlT_T0_E_clISt17integral_constantIbLb1EESY_IbLb0EEEEDaSU_SV_EUlSU_E_NS1_11comp_targetILNS1_3genE8ELNS1_11target_archE1030ELNS1_3gpuE2ELNS1_3repE0EEENS1_30default_config_static_selectorELNS0_4arch9wavefront6targetE0EEEvT1_.has_dyn_sized_stack, 0
	.set _ZN7rocprim17ROCPRIM_400000_NS6detail17trampoline_kernelINS0_14default_configENS1_27scan_by_key_config_selectorIiiEEZZNS1_16scan_by_key_implILNS1_25lookback_scan_determinismE0ELb0ES3_N6thrust23THRUST_200600_302600_NS6detail15normal_iteratorINS9_10device_ptrIiEEEESE_SE_iNS9_4plusIvEENS9_8equal_toIvEEiEE10hipError_tPvRmT2_T3_T4_T5_mT6_T7_P12ihipStream_tbENKUlT_T0_E_clISt17integral_constantIbLb1EESY_IbLb0EEEEDaSU_SV_EUlSU_E_NS1_11comp_targetILNS1_3genE8ELNS1_11target_archE1030ELNS1_3gpuE2ELNS1_3repE0EEENS1_30default_config_static_selectorELNS0_4arch9wavefront6targetE0EEEvT1_.has_recursion, 0
	.set _ZN7rocprim17ROCPRIM_400000_NS6detail17trampoline_kernelINS0_14default_configENS1_27scan_by_key_config_selectorIiiEEZZNS1_16scan_by_key_implILNS1_25lookback_scan_determinismE0ELb0ES3_N6thrust23THRUST_200600_302600_NS6detail15normal_iteratorINS9_10device_ptrIiEEEESE_SE_iNS9_4plusIvEENS9_8equal_toIvEEiEE10hipError_tPvRmT2_T3_T4_T5_mT6_T7_P12ihipStream_tbENKUlT_T0_E_clISt17integral_constantIbLb1EESY_IbLb0EEEEDaSU_SV_EUlSU_E_NS1_11comp_targetILNS1_3genE8ELNS1_11target_archE1030ELNS1_3gpuE2ELNS1_3repE0EEENS1_30default_config_static_selectorELNS0_4arch9wavefront6targetE0EEEvT1_.has_indirect_call, 0
	.section	.AMDGPU.csdata,"",@progbits
; Kernel info:
; codeLenInByte = 0
; TotalNumSgprs: 0
; NumVgprs: 0
; ScratchSize: 0
; MemoryBound: 0
; FloatMode: 240
; IeeeMode: 1
; LDSByteSize: 0 bytes/workgroup (compile time only)
; SGPRBlocks: 0
; VGPRBlocks: 0
; NumSGPRsForWavesPerEU: 1
; NumVGPRsForWavesPerEU: 1
; NamedBarCnt: 0
; Occupancy: 16
; WaveLimiterHint : 0
; COMPUTE_PGM_RSRC2:SCRATCH_EN: 0
; COMPUTE_PGM_RSRC2:USER_SGPR: 2
; COMPUTE_PGM_RSRC2:TRAP_HANDLER: 0
; COMPUTE_PGM_RSRC2:TGID_X_EN: 1
; COMPUTE_PGM_RSRC2:TGID_Y_EN: 0
; COMPUTE_PGM_RSRC2:TGID_Z_EN: 0
; COMPUTE_PGM_RSRC2:TIDIG_COMP_CNT: 0
	.section	.text._ZN7rocprim17ROCPRIM_400000_NS6detail30init_device_scan_by_key_kernelINS1_19lookback_scan_stateINS0_5tupleIJibEEELb0ELb1EEEN6thrust23THRUST_200600_302600_NS6detail15normal_iteratorINS8_10device_ptrIiEEEEjNS1_16block_id_wrapperIjLb1EEEEEvT_jjPNSG_10value_typeET0_PNSt15iterator_traitsISJ_E10value_typeEmT1_T2_,"axG",@progbits,_ZN7rocprim17ROCPRIM_400000_NS6detail30init_device_scan_by_key_kernelINS1_19lookback_scan_stateINS0_5tupleIJibEEELb0ELb1EEEN6thrust23THRUST_200600_302600_NS6detail15normal_iteratorINS8_10device_ptrIiEEEEjNS1_16block_id_wrapperIjLb1EEEEEvT_jjPNSG_10value_typeET0_PNSt15iterator_traitsISJ_E10value_typeEmT1_T2_,comdat
	.protected	_ZN7rocprim17ROCPRIM_400000_NS6detail30init_device_scan_by_key_kernelINS1_19lookback_scan_stateINS0_5tupleIJibEEELb0ELb1EEEN6thrust23THRUST_200600_302600_NS6detail15normal_iteratorINS8_10device_ptrIiEEEEjNS1_16block_id_wrapperIjLb1EEEEEvT_jjPNSG_10value_typeET0_PNSt15iterator_traitsISJ_E10value_typeEmT1_T2_ ; -- Begin function _ZN7rocprim17ROCPRIM_400000_NS6detail30init_device_scan_by_key_kernelINS1_19lookback_scan_stateINS0_5tupleIJibEEELb0ELb1EEEN6thrust23THRUST_200600_302600_NS6detail15normal_iteratorINS8_10device_ptrIiEEEEjNS1_16block_id_wrapperIjLb1EEEEEvT_jjPNSG_10value_typeET0_PNSt15iterator_traitsISJ_E10value_typeEmT1_T2_
	.globl	_ZN7rocprim17ROCPRIM_400000_NS6detail30init_device_scan_by_key_kernelINS1_19lookback_scan_stateINS0_5tupleIJibEEELb0ELb1EEEN6thrust23THRUST_200600_302600_NS6detail15normal_iteratorINS8_10device_ptrIiEEEEjNS1_16block_id_wrapperIjLb1EEEEEvT_jjPNSG_10value_typeET0_PNSt15iterator_traitsISJ_E10value_typeEmT1_T2_
	.p2align	8
	.type	_ZN7rocprim17ROCPRIM_400000_NS6detail30init_device_scan_by_key_kernelINS1_19lookback_scan_stateINS0_5tupleIJibEEELb0ELb1EEEN6thrust23THRUST_200600_302600_NS6detail15normal_iteratorINS8_10device_ptrIiEEEEjNS1_16block_id_wrapperIjLb1EEEEEvT_jjPNSG_10value_typeET0_PNSt15iterator_traitsISJ_E10value_typeEmT1_T2_,@function
_ZN7rocprim17ROCPRIM_400000_NS6detail30init_device_scan_by_key_kernelINS1_19lookback_scan_stateINS0_5tupleIJibEEELb0ELb1EEEN6thrust23THRUST_200600_302600_NS6detail15normal_iteratorINS8_10device_ptrIiEEEEjNS1_16block_id_wrapperIjLb1EEEEEvT_jjPNSG_10value_typeET0_PNSt15iterator_traitsISJ_E10value_typeEmT1_T2_: ; @_ZN7rocprim17ROCPRIM_400000_NS6detail30init_device_scan_by_key_kernelINS1_19lookback_scan_stateINS0_5tupleIJibEEELb0ELb1EEEN6thrust23THRUST_200600_302600_NS6detail15normal_iteratorINS8_10device_ptrIiEEEEjNS1_16block_id_wrapperIjLb1EEEEEvT_jjPNSG_10value_typeET0_PNSt15iterator_traitsISJ_E10value_typeEmT1_T2_
; %bb.0:
	s_clause 0x2
	s_load_b32 s2, s[0:1], 0x4c
	s_load_b32 s14, s[0:1], 0x40
	s_load_b256 s[4:11], s[0:1], 0x0
	s_bfe_u32 s3, ttmp6, 0x4000c
	s_and_b32 s12, ttmp6, 15
	s_add_co_i32 s3, s3, 1
	s_getreg_b32 s13, hwreg(HW_REG_IB_STS2, 6, 4)
	s_mul_i32 s3, ttmp9, s3
	s_delay_alu instid0(SALU_CYCLE_1)
	s_add_co_i32 s12, s12, s3
	s_wait_kmcnt 0x0
	s_and_b32 s15, s2, 0xffff
	s_cmp_eq_u32 s13, 0
	s_cselect_b32 s2, ttmp9, s12
	s_cmp_eq_u64 s[8:9], 0
	v_mad_u32 v4, s2, s15, v0
	s_cbranch_scc1 .LBB153_8
; %bb.1:
	s_cmp_lt_u32 s7, s6
	s_mov_b32 s16, exec_lo
	s_cselect_b32 s2, s7, 0
	s_delay_alu instid0(VALU_DEP_1) | instid1(SALU_CYCLE_1)
	v_cmpx_eq_u32_e64 s2, v4
	s_cbranch_execz .LBB153_7
; %bb.2:
	s_add_co_i32 s2, s7, 32
	s_mov_b32 s3, 0
	v_mov_b32_e32 v7, 0
	s_lshl_b64 s[12:13], s[2:3], 4
	s_mov_b32 s2, exec_lo
	s_add_nc_u64 s[12:13], s[4:5], s[12:13]
	s_delay_alu instid0(SALU_CYCLE_1) | instskip(SKIP_2) | instid1(VALU_DEP_1)
	v_mov_b64_e32 v[0:1], s[12:13]
	;;#ASMSTART
	global_load_b128 v[0:3], v[0:1] off scope:SCOPE_DEV	
s_wait_loadcnt 0x0
	;;#ASMEND
	v_and_b32_e32 v6, 0xff, v2
	v_cmpx_eq_u64_e32 0, v[6:7]
	s_cbranch_execz .LBB153_6
; %bb.3:
	v_mov_b64_e32 v[8:9], s[12:13]
.LBB153_4:                              ; =>This Inner Loop Header: Depth=1
	;;#ASMSTART
	global_load_b128 v[0:3], v[8:9] off scope:SCOPE_DEV	
s_wait_loadcnt 0x0
	;;#ASMEND
	v_and_b32_e32 v6, 0xff, v2
	s_delay_alu instid0(VALU_DEP_1) | instskip(SKIP_1) | instid1(SALU_CYCLE_1)
	v_cmp_ne_u64_e32 vcc_lo, 0, v[6:7]
	s_or_b32 s3, vcc_lo, s3
	s_and_not1_b32 exec_lo, exec_lo, s3
	s_cbranch_execnz .LBB153_4
; %bb.5:
	s_or_b32 exec_lo, exec_lo, s3
.LBB153_6:
	s_delay_alu instid0(SALU_CYCLE_1)
	s_or_b32 exec_lo, exec_lo, s2
	v_mov_b32_e32 v2, 0
	s_clause 0x1
	global_store_b32 v2, v0, s[8:9]
	global_store_b8 v2, v1, s[8:9] offset:4
.LBB153_7:
	s_wait_xcnt 0x0
	s_or_b32 exec_lo, exec_lo, s16
.LBB153_8:
	s_delay_alu instid0(SALU_CYCLE_1) | instskip(NEXT) | instid1(VALU_DEP_1)
	s_mov_b32 s2, exec_lo
	v_cmpx_eq_u32_e32 0, v4
	s_cbranch_execz .LBB153_10
; %bb.9:
	s_load_b64 s[8:9], s[0:1], 0x38
	v_mov_b32_e32 v0, 0
	s_wait_kmcnt 0x0
	global_store_b32 v0, v0, s[8:9]
.LBB153_10:
	s_wait_xcnt 0x0
	s_or_b32 exec_lo, exec_lo, s2
	s_delay_alu instid0(SALU_CYCLE_1)
	s_mov_b32 s2, exec_lo
	v_cmpx_gt_u32_e64 s6, v4
	s_cbranch_execz .LBB153_12
; %bb.11:
	v_dual_mov_b32 v0, 0 :: v_dual_add_nc_u32 v5, 32, v4
	s_delay_alu instid0(VALU_DEP_1)
	v_dual_mov_b32 v1, v0 :: v_dual_mov_b32 v2, v0
	v_mov_b32_e32 v3, v0
	global_store_b128 v5, v[0:3], s[4:5] scale_offset
.LBB153_12:
	s_wait_xcnt 0x0
	s_or_b32 exec_lo, exec_lo, s2
	v_mov_b32_e32 v5, 0
	s_mov_b32 s2, exec_lo
	v_cmpx_gt_u32_e32 32, v4
	s_cbranch_execz .LBB153_14
; %bb.13:
	s_delay_alu instid0(VALU_DEP_2)
	v_lshl_add_u64 v[6:7], v[4:5], 4, s[4:5]
	v_dual_mov_b32 v2, 0xff :: v_dual_mov_b32 v1, v5
	v_dual_mov_b32 v0, v5 :: v_dual_mov_b32 v3, v5
	global_store_b128 v[6:7], v[0:3], off
.LBB153_14:
	s_wait_xcnt 0x0
	s_or_b32 exec_lo, exec_lo, s2
	s_load_b64 s[2:3], s[0:1], 0x28
	s_mov_b32 s4, exec_lo
	s_wait_kmcnt 0x0
	v_cmpx_gt_u64_e64 s[2:3], v[4:5]
	s_cbranch_execz .LBB153_17
; %bb.15:
	s_clause 0x1
	s_load_b32 s4, s[0:1], 0x30
	s_load_b64 s[6:7], s[0:1], 0x20
	s_mov_b32 s5, 0
	s_wait_xcnt 0x0
	s_mul_i32 s0, s14, s15
	s_mov_b32 s9, s5
	s_mov_b32 s1, s5
	s_wait_kmcnt 0x0
	v_mul_u64_e32 v[0:1], s[4:5], v[4:5]
	s_add_co_i32 s8, s4, -1
	v_lshl_add_u64 v[2:3], v[4:5], 2, s[6:7]
	s_lshl_b64 s[8:9], s[8:9], 2
	s_delay_alu instid0(SALU_CYCLE_1) | instskip(SKIP_1) | instid1(SALU_CYCLE_1)
	s_add_nc_u64 s[8:9], s[10:11], s[8:9]
	s_mul_u64 s[10:11], s[4:5], s[0:1]
	s_lshl_b64 s[6:7], s[10:11], 2
	s_delay_alu instid0(VALU_DEP_2)
	v_lshl_add_u64 v[0:1], v[0:1], 2, s[8:9]
	s_lshl_b64 s[8:9], s[0:1], 2
.LBB153_16:                             ; =>This Inner Loop Header: Depth=1
	global_load_b32 v6, v[0:1], off
	v_add_nc_u64_e32 v[4:5], s[0:1], v[4:5]
	s_wait_xcnt 0x0
	v_add_nc_u64_e32 v[0:1], s[6:7], v[0:1]
	s_delay_alu instid0(VALU_DEP_2)
	v_cmp_le_u64_e32 vcc_lo, s[2:3], v[4:5]
	s_or_b32 s5, vcc_lo, s5
	s_wait_loadcnt 0x0
	global_store_b32 v[2:3], v6, off
	s_wait_xcnt 0x0
	v_add_nc_u64_e32 v[2:3], s[8:9], v[2:3]
	s_and_not1_b32 exec_lo, exec_lo, s5
	s_cbranch_execnz .LBB153_16
.LBB153_17:
	s_endpgm
	.section	.rodata,"a",@progbits
	.p2align	6, 0x0
	.amdhsa_kernel _ZN7rocprim17ROCPRIM_400000_NS6detail30init_device_scan_by_key_kernelINS1_19lookback_scan_stateINS0_5tupleIJibEEELb0ELb1EEEN6thrust23THRUST_200600_302600_NS6detail15normal_iteratorINS8_10device_ptrIiEEEEjNS1_16block_id_wrapperIjLb1EEEEEvT_jjPNSG_10value_typeET0_PNSt15iterator_traitsISJ_E10value_typeEmT1_T2_
		.amdhsa_group_segment_fixed_size 0
		.amdhsa_private_segment_fixed_size 0
		.amdhsa_kernarg_size 320
		.amdhsa_user_sgpr_count 2
		.amdhsa_user_sgpr_dispatch_ptr 0
		.amdhsa_user_sgpr_queue_ptr 0
		.amdhsa_user_sgpr_kernarg_segment_ptr 1
		.amdhsa_user_sgpr_dispatch_id 0
		.amdhsa_user_sgpr_kernarg_preload_length 0
		.amdhsa_user_sgpr_kernarg_preload_offset 0
		.amdhsa_user_sgpr_private_segment_size 0
		.amdhsa_wavefront_size32 1
		.amdhsa_uses_dynamic_stack 0
		.amdhsa_enable_private_segment 0
		.amdhsa_system_sgpr_workgroup_id_x 1
		.amdhsa_system_sgpr_workgroup_id_y 0
		.amdhsa_system_sgpr_workgroup_id_z 0
		.amdhsa_system_sgpr_workgroup_info 0
		.amdhsa_system_vgpr_workitem_id 0
		.amdhsa_next_free_vgpr 10
		.amdhsa_next_free_sgpr 17
		.amdhsa_named_barrier_count 0
		.amdhsa_reserve_vcc 1
		.amdhsa_float_round_mode_32 0
		.amdhsa_float_round_mode_16_64 0
		.amdhsa_float_denorm_mode_32 3
		.amdhsa_float_denorm_mode_16_64 3
		.amdhsa_fp16_overflow 0
		.amdhsa_memory_ordered 1
		.amdhsa_forward_progress 1
		.amdhsa_inst_pref_size 5
		.amdhsa_round_robin_scheduling 0
		.amdhsa_exception_fp_ieee_invalid_op 0
		.amdhsa_exception_fp_denorm_src 0
		.amdhsa_exception_fp_ieee_div_zero 0
		.amdhsa_exception_fp_ieee_overflow 0
		.amdhsa_exception_fp_ieee_underflow 0
		.amdhsa_exception_fp_ieee_inexact 0
		.amdhsa_exception_int_div_zero 0
	.end_amdhsa_kernel
	.section	.text._ZN7rocprim17ROCPRIM_400000_NS6detail30init_device_scan_by_key_kernelINS1_19lookback_scan_stateINS0_5tupleIJibEEELb0ELb1EEEN6thrust23THRUST_200600_302600_NS6detail15normal_iteratorINS8_10device_ptrIiEEEEjNS1_16block_id_wrapperIjLb1EEEEEvT_jjPNSG_10value_typeET0_PNSt15iterator_traitsISJ_E10value_typeEmT1_T2_,"axG",@progbits,_ZN7rocprim17ROCPRIM_400000_NS6detail30init_device_scan_by_key_kernelINS1_19lookback_scan_stateINS0_5tupleIJibEEELb0ELb1EEEN6thrust23THRUST_200600_302600_NS6detail15normal_iteratorINS8_10device_ptrIiEEEEjNS1_16block_id_wrapperIjLb1EEEEEvT_jjPNSG_10value_typeET0_PNSt15iterator_traitsISJ_E10value_typeEmT1_T2_,comdat
.Lfunc_end153:
	.size	_ZN7rocprim17ROCPRIM_400000_NS6detail30init_device_scan_by_key_kernelINS1_19lookback_scan_stateINS0_5tupleIJibEEELb0ELb1EEEN6thrust23THRUST_200600_302600_NS6detail15normal_iteratorINS8_10device_ptrIiEEEEjNS1_16block_id_wrapperIjLb1EEEEEvT_jjPNSG_10value_typeET0_PNSt15iterator_traitsISJ_E10value_typeEmT1_T2_, .Lfunc_end153-_ZN7rocprim17ROCPRIM_400000_NS6detail30init_device_scan_by_key_kernelINS1_19lookback_scan_stateINS0_5tupleIJibEEELb0ELb1EEEN6thrust23THRUST_200600_302600_NS6detail15normal_iteratorINS8_10device_ptrIiEEEEjNS1_16block_id_wrapperIjLb1EEEEEvT_jjPNSG_10value_typeET0_PNSt15iterator_traitsISJ_E10value_typeEmT1_T2_
                                        ; -- End function
	.set _ZN7rocprim17ROCPRIM_400000_NS6detail30init_device_scan_by_key_kernelINS1_19lookback_scan_stateINS0_5tupleIJibEEELb0ELb1EEEN6thrust23THRUST_200600_302600_NS6detail15normal_iteratorINS8_10device_ptrIiEEEEjNS1_16block_id_wrapperIjLb1EEEEEvT_jjPNSG_10value_typeET0_PNSt15iterator_traitsISJ_E10value_typeEmT1_T2_.num_vgpr, 10
	.set _ZN7rocprim17ROCPRIM_400000_NS6detail30init_device_scan_by_key_kernelINS1_19lookback_scan_stateINS0_5tupleIJibEEELb0ELb1EEEN6thrust23THRUST_200600_302600_NS6detail15normal_iteratorINS8_10device_ptrIiEEEEjNS1_16block_id_wrapperIjLb1EEEEEvT_jjPNSG_10value_typeET0_PNSt15iterator_traitsISJ_E10value_typeEmT1_T2_.num_agpr, 0
	.set _ZN7rocprim17ROCPRIM_400000_NS6detail30init_device_scan_by_key_kernelINS1_19lookback_scan_stateINS0_5tupleIJibEEELb0ELb1EEEN6thrust23THRUST_200600_302600_NS6detail15normal_iteratorINS8_10device_ptrIiEEEEjNS1_16block_id_wrapperIjLb1EEEEEvT_jjPNSG_10value_typeET0_PNSt15iterator_traitsISJ_E10value_typeEmT1_T2_.numbered_sgpr, 17
	.set _ZN7rocprim17ROCPRIM_400000_NS6detail30init_device_scan_by_key_kernelINS1_19lookback_scan_stateINS0_5tupleIJibEEELb0ELb1EEEN6thrust23THRUST_200600_302600_NS6detail15normal_iteratorINS8_10device_ptrIiEEEEjNS1_16block_id_wrapperIjLb1EEEEEvT_jjPNSG_10value_typeET0_PNSt15iterator_traitsISJ_E10value_typeEmT1_T2_.num_named_barrier, 0
	.set _ZN7rocprim17ROCPRIM_400000_NS6detail30init_device_scan_by_key_kernelINS1_19lookback_scan_stateINS0_5tupleIJibEEELb0ELb1EEEN6thrust23THRUST_200600_302600_NS6detail15normal_iteratorINS8_10device_ptrIiEEEEjNS1_16block_id_wrapperIjLb1EEEEEvT_jjPNSG_10value_typeET0_PNSt15iterator_traitsISJ_E10value_typeEmT1_T2_.private_seg_size, 0
	.set _ZN7rocprim17ROCPRIM_400000_NS6detail30init_device_scan_by_key_kernelINS1_19lookback_scan_stateINS0_5tupleIJibEEELb0ELb1EEEN6thrust23THRUST_200600_302600_NS6detail15normal_iteratorINS8_10device_ptrIiEEEEjNS1_16block_id_wrapperIjLb1EEEEEvT_jjPNSG_10value_typeET0_PNSt15iterator_traitsISJ_E10value_typeEmT1_T2_.uses_vcc, 1
	.set _ZN7rocprim17ROCPRIM_400000_NS6detail30init_device_scan_by_key_kernelINS1_19lookback_scan_stateINS0_5tupleIJibEEELb0ELb1EEEN6thrust23THRUST_200600_302600_NS6detail15normal_iteratorINS8_10device_ptrIiEEEEjNS1_16block_id_wrapperIjLb1EEEEEvT_jjPNSG_10value_typeET0_PNSt15iterator_traitsISJ_E10value_typeEmT1_T2_.uses_flat_scratch, 0
	.set _ZN7rocprim17ROCPRIM_400000_NS6detail30init_device_scan_by_key_kernelINS1_19lookback_scan_stateINS0_5tupleIJibEEELb0ELb1EEEN6thrust23THRUST_200600_302600_NS6detail15normal_iteratorINS8_10device_ptrIiEEEEjNS1_16block_id_wrapperIjLb1EEEEEvT_jjPNSG_10value_typeET0_PNSt15iterator_traitsISJ_E10value_typeEmT1_T2_.has_dyn_sized_stack, 0
	.set _ZN7rocprim17ROCPRIM_400000_NS6detail30init_device_scan_by_key_kernelINS1_19lookback_scan_stateINS0_5tupleIJibEEELb0ELb1EEEN6thrust23THRUST_200600_302600_NS6detail15normal_iteratorINS8_10device_ptrIiEEEEjNS1_16block_id_wrapperIjLb1EEEEEvT_jjPNSG_10value_typeET0_PNSt15iterator_traitsISJ_E10value_typeEmT1_T2_.has_recursion, 0
	.set _ZN7rocprim17ROCPRIM_400000_NS6detail30init_device_scan_by_key_kernelINS1_19lookback_scan_stateINS0_5tupleIJibEEELb0ELb1EEEN6thrust23THRUST_200600_302600_NS6detail15normal_iteratorINS8_10device_ptrIiEEEEjNS1_16block_id_wrapperIjLb1EEEEEvT_jjPNSG_10value_typeET0_PNSt15iterator_traitsISJ_E10value_typeEmT1_T2_.has_indirect_call, 0
	.section	.AMDGPU.csdata,"",@progbits
; Kernel info:
; codeLenInByte = 636
; TotalNumSgprs: 19
; NumVgprs: 10
; ScratchSize: 0
; MemoryBound: 0
; FloatMode: 240
; IeeeMode: 1
; LDSByteSize: 0 bytes/workgroup (compile time only)
; SGPRBlocks: 0
; VGPRBlocks: 0
; NumSGPRsForWavesPerEU: 19
; NumVGPRsForWavesPerEU: 10
; NamedBarCnt: 0
; Occupancy: 16
; WaveLimiterHint : 0
; COMPUTE_PGM_RSRC2:SCRATCH_EN: 0
; COMPUTE_PGM_RSRC2:USER_SGPR: 2
; COMPUTE_PGM_RSRC2:TRAP_HANDLER: 0
; COMPUTE_PGM_RSRC2:TGID_X_EN: 1
; COMPUTE_PGM_RSRC2:TGID_Y_EN: 0
; COMPUTE_PGM_RSRC2:TGID_Z_EN: 0
; COMPUTE_PGM_RSRC2:TIDIG_COMP_CNT: 0
	.section	.text._ZN7rocprim17ROCPRIM_400000_NS6detail30init_device_scan_by_key_kernelINS1_19lookback_scan_stateINS0_5tupleIJibEEELb0ELb1EEENS1_16block_id_wrapperIjLb1EEEEEvT_jjPNS9_10value_typeET0_,"axG",@progbits,_ZN7rocprim17ROCPRIM_400000_NS6detail30init_device_scan_by_key_kernelINS1_19lookback_scan_stateINS0_5tupleIJibEEELb0ELb1EEENS1_16block_id_wrapperIjLb1EEEEEvT_jjPNS9_10value_typeET0_,comdat
	.protected	_ZN7rocprim17ROCPRIM_400000_NS6detail30init_device_scan_by_key_kernelINS1_19lookback_scan_stateINS0_5tupleIJibEEELb0ELb1EEENS1_16block_id_wrapperIjLb1EEEEEvT_jjPNS9_10value_typeET0_ ; -- Begin function _ZN7rocprim17ROCPRIM_400000_NS6detail30init_device_scan_by_key_kernelINS1_19lookback_scan_stateINS0_5tupleIJibEEELb0ELb1EEENS1_16block_id_wrapperIjLb1EEEEEvT_jjPNS9_10value_typeET0_
	.globl	_ZN7rocprim17ROCPRIM_400000_NS6detail30init_device_scan_by_key_kernelINS1_19lookback_scan_stateINS0_5tupleIJibEEELb0ELb1EEENS1_16block_id_wrapperIjLb1EEEEEvT_jjPNS9_10value_typeET0_
	.p2align	8
	.type	_ZN7rocprim17ROCPRIM_400000_NS6detail30init_device_scan_by_key_kernelINS1_19lookback_scan_stateINS0_5tupleIJibEEELb0ELb1EEENS1_16block_id_wrapperIjLb1EEEEEvT_jjPNS9_10value_typeET0_,@function
_ZN7rocprim17ROCPRIM_400000_NS6detail30init_device_scan_by_key_kernelINS1_19lookback_scan_stateINS0_5tupleIJibEEELb0ELb1EEENS1_16block_id_wrapperIjLb1EEEEEvT_jjPNS9_10value_typeET0_: ; @_ZN7rocprim17ROCPRIM_400000_NS6detail30init_device_scan_by_key_kernelINS1_19lookback_scan_stateINS0_5tupleIJibEEELb0ELb1EEENS1_16block_id_wrapperIjLb1EEEEEvT_jjPNS9_10value_typeET0_
; %bb.0:
	s_clause 0x1
	s_load_b32 s2, s[0:1], 0x2c
	s_load_b256 s[4:11], s[0:1], 0x0
	s_wait_xcnt 0x0
	s_bfe_u32 s0, ttmp6, 0x4000c
	s_and_b32 s1, ttmp6, 15
	s_add_co_i32 s0, s0, 1
	s_getreg_b32 s3, hwreg(HW_REG_IB_STS2, 6, 4)
	s_mul_i32 s0, ttmp9, s0
	s_delay_alu instid0(SALU_CYCLE_1)
	s_add_co_i32 s1, s1, s0
	s_wait_kmcnt 0x0
	s_and_b32 s2, s2, 0xffff
	s_cmp_eq_u32 s3, 0
	s_cselect_b32 s0, ttmp9, s1
	s_cmp_eq_u64 s[8:9], 0
	v_mad_u32 v8, s0, s2, v0
	s_cbranch_scc1 .LBB154_8
; %bb.1:
	s_cmp_lt_u32 s7, s6
	s_mov_b32 s12, exec_lo
	s_cselect_b32 s0, s7, 0
	s_delay_alu instid0(VALU_DEP_1) | instid1(SALU_CYCLE_1)
	v_cmpx_eq_u32_e64 s0, v8
	s_cbranch_execz .LBB154_7
; %bb.2:
	s_add_co_i32 s0, s7, 32
	s_mov_b32 s1, 0
	v_mov_b32_e32 v5, 0
	s_lshl_b64 s[2:3], s[0:1], 4
	s_mov_b32 s0, exec_lo
	s_add_nc_u64 s[2:3], s[4:5], s[2:3]
	s_delay_alu instid0(SALU_CYCLE_1) | instskip(SKIP_2) | instid1(VALU_DEP_1)
	v_mov_b64_e32 v[0:1], s[2:3]
	;;#ASMSTART
	global_load_b128 v[0:3], v[0:1] off scope:SCOPE_DEV	
s_wait_loadcnt 0x0
	;;#ASMEND
	v_and_b32_e32 v4, 0xff, v2
	v_cmpx_eq_u64_e32 0, v[4:5]
	s_cbranch_execz .LBB154_6
; %bb.3:
	v_mov_b64_e32 v[6:7], s[2:3]
.LBB154_4:                              ; =>This Inner Loop Header: Depth=1
	;;#ASMSTART
	global_load_b128 v[0:3], v[6:7] off scope:SCOPE_DEV	
s_wait_loadcnt 0x0
	;;#ASMEND
	v_and_b32_e32 v4, 0xff, v2
	s_delay_alu instid0(VALU_DEP_1) | instskip(SKIP_1) | instid1(SALU_CYCLE_1)
	v_cmp_ne_u64_e32 vcc_lo, 0, v[4:5]
	s_or_b32 s1, vcc_lo, s1
	s_and_not1_b32 exec_lo, exec_lo, s1
	s_cbranch_execnz .LBB154_4
; %bb.5:
	s_or_b32 exec_lo, exec_lo, s1
.LBB154_6:
	s_delay_alu instid0(SALU_CYCLE_1)
	s_or_b32 exec_lo, exec_lo, s0
	v_mov_b32_e32 v2, 0
	s_clause 0x1
	global_store_b32 v2, v0, s[8:9]
	global_store_b8 v2, v1, s[8:9] offset:4
.LBB154_7:
	s_wait_xcnt 0x0
	s_or_b32 exec_lo, exec_lo, s12
.LBB154_8:
	s_delay_alu instid0(SALU_CYCLE_1) | instskip(NEXT) | instid1(VALU_DEP_1)
	s_mov_b32 s0, exec_lo
	v_cmpx_eq_u32_e32 0, v8
	s_cbranch_execz .LBB154_10
; %bb.9:
	v_mov_b32_e32 v0, 0
	global_store_b32 v0, v0, s[10:11]
.LBB154_10:
	s_wait_xcnt 0x0
	s_or_b32 exec_lo, exec_lo, s0
	s_delay_alu instid0(SALU_CYCLE_1)
	s_mov_b32 s0, exec_lo
	v_cmpx_gt_u32_e64 s6, v8
	s_cbranch_execz .LBB154_12
; %bb.11:
	v_dual_mov_b32 v0, 0 :: v_dual_add_nc_u32 v4, 32, v8
	s_delay_alu instid0(VALU_DEP_1)
	v_dual_mov_b32 v1, v0 :: v_dual_mov_b32 v2, v0
	v_mov_b32_e32 v3, v0
	global_store_b128 v4, v[0:3], s[4:5] scale_offset
.LBB154_12:
	s_wait_xcnt 0x0
	s_or_b32 exec_lo, exec_lo, s0
	s_delay_alu instid0(SALU_CYCLE_1)
	s_mov_b32 s0, exec_lo
	v_cmpx_gt_u32_e32 32, v8
	s_cbranch_execz .LBB154_14
; %bb.13:
	v_mov_b32_e32 v0, 0
	s_delay_alu instid0(VALU_DEP_1)
	v_dual_mov_b32 v2, 0xff :: v_dual_mov_b32 v1, v0
	v_mov_b32_e32 v3, v0
	global_store_b128 v8, v[0:3], s[4:5] scale_offset
.LBB154_14:
	s_endpgm
	.section	.rodata,"a",@progbits
	.p2align	6, 0x0
	.amdhsa_kernel _ZN7rocprim17ROCPRIM_400000_NS6detail30init_device_scan_by_key_kernelINS1_19lookback_scan_stateINS0_5tupleIJibEEELb0ELb1EEENS1_16block_id_wrapperIjLb1EEEEEvT_jjPNS9_10value_typeET0_
		.amdhsa_group_segment_fixed_size 0
		.amdhsa_private_segment_fixed_size 0
		.amdhsa_kernarg_size 288
		.amdhsa_user_sgpr_count 2
		.amdhsa_user_sgpr_dispatch_ptr 0
		.amdhsa_user_sgpr_queue_ptr 0
		.amdhsa_user_sgpr_kernarg_segment_ptr 1
		.amdhsa_user_sgpr_dispatch_id 0
		.amdhsa_user_sgpr_kernarg_preload_length 0
		.amdhsa_user_sgpr_kernarg_preload_offset 0
		.amdhsa_user_sgpr_private_segment_size 0
		.amdhsa_wavefront_size32 1
		.amdhsa_uses_dynamic_stack 0
		.amdhsa_enable_private_segment 0
		.amdhsa_system_sgpr_workgroup_id_x 1
		.amdhsa_system_sgpr_workgroup_id_y 0
		.amdhsa_system_sgpr_workgroup_id_z 0
		.amdhsa_system_sgpr_workgroup_info 0
		.amdhsa_system_vgpr_workitem_id 0
		.amdhsa_next_free_vgpr 9
		.amdhsa_next_free_sgpr 13
		.amdhsa_named_barrier_count 0
		.amdhsa_reserve_vcc 1
		.amdhsa_float_round_mode_32 0
		.amdhsa_float_round_mode_16_64 0
		.amdhsa_float_denorm_mode_32 3
		.amdhsa_float_denorm_mode_16_64 3
		.amdhsa_fp16_overflow 0
		.amdhsa_memory_ordered 1
		.amdhsa_forward_progress 1
		.amdhsa_inst_pref_size 4
		.amdhsa_round_robin_scheduling 0
		.amdhsa_exception_fp_ieee_invalid_op 0
		.amdhsa_exception_fp_denorm_src 0
		.amdhsa_exception_fp_ieee_div_zero 0
		.amdhsa_exception_fp_ieee_overflow 0
		.amdhsa_exception_fp_ieee_underflow 0
		.amdhsa_exception_fp_ieee_inexact 0
		.amdhsa_exception_int_div_zero 0
	.end_amdhsa_kernel
	.section	.text._ZN7rocprim17ROCPRIM_400000_NS6detail30init_device_scan_by_key_kernelINS1_19lookback_scan_stateINS0_5tupleIJibEEELb0ELb1EEENS1_16block_id_wrapperIjLb1EEEEEvT_jjPNS9_10value_typeET0_,"axG",@progbits,_ZN7rocprim17ROCPRIM_400000_NS6detail30init_device_scan_by_key_kernelINS1_19lookback_scan_stateINS0_5tupleIJibEEELb0ELb1EEENS1_16block_id_wrapperIjLb1EEEEEvT_jjPNS9_10value_typeET0_,comdat
.Lfunc_end154:
	.size	_ZN7rocprim17ROCPRIM_400000_NS6detail30init_device_scan_by_key_kernelINS1_19lookback_scan_stateINS0_5tupleIJibEEELb0ELb1EEENS1_16block_id_wrapperIjLb1EEEEEvT_jjPNS9_10value_typeET0_, .Lfunc_end154-_ZN7rocprim17ROCPRIM_400000_NS6detail30init_device_scan_by_key_kernelINS1_19lookback_scan_stateINS0_5tupleIJibEEELb0ELb1EEENS1_16block_id_wrapperIjLb1EEEEEvT_jjPNS9_10value_typeET0_
                                        ; -- End function
	.set _ZN7rocprim17ROCPRIM_400000_NS6detail30init_device_scan_by_key_kernelINS1_19lookback_scan_stateINS0_5tupleIJibEEELb0ELb1EEENS1_16block_id_wrapperIjLb1EEEEEvT_jjPNS9_10value_typeET0_.num_vgpr, 9
	.set _ZN7rocprim17ROCPRIM_400000_NS6detail30init_device_scan_by_key_kernelINS1_19lookback_scan_stateINS0_5tupleIJibEEELb0ELb1EEENS1_16block_id_wrapperIjLb1EEEEEvT_jjPNS9_10value_typeET0_.num_agpr, 0
	.set _ZN7rocprim17ROCPRIM_400000_NS6detail30init_device_scan_by_key_kernelINS1_19lookback_scan_stateINS0_5tupleIJibEEELb0ELb1EEENS1_16block_id_wrapperIjLb1EEEEEvT_jjPNS9_10value_typeET0_.numbered_sgpr, 13
	.set _ZN7rocprim17ROCPRIM_400000_NS6detail30init_device_scan_by_key_kernelINS1_19lookback_scan_stateINS0_5tupleIJibEEELb0ELb1EEENS1_16block_id_wrapperIjLb1EEEEEvT_jjPNS9_10value_typeET0_.num_named_barrier, 0
	.set _ZN7rocprim17ROCPRIM_400000_NS6detail30init_device_scan_by_key_kernelINS1_19lookback_scan_stateINS0_5tupleIJibEEELb0ELb1EEENS1_16block_id_wrapperIjLb1EEEEEvT_jjPNS9_10value_typeET0_.private_seg_size, 0
	.set _ZN7rocprim17ROCPRIM_400000_NS6detail30init_device_scan_by_key_kernelINS1_19lookback_scan_stateINS0_5tupleIJibEEELb0ELb1EEENS1_16block_id_wrapperIjLb1EEEEEvT_jjPNS9_10value_typeET0_.uses_vcc, 1
	.set _ZN7rocprim17ROCPRIM_400000_NS6detail30init_device_scan_by_key_kernelINS1_19lookback_scan_stateINS0_5tupleIJibEEELb0ELb1EEENS1_16block_id_wrapperIjLb1EEEEEvT_jjPNS9_10value_typeET0_.uses_flat_scratch, 0
	.set _ZN7rocprim17ROCPRIM_400000_NS6detail30init_device_scan_by_key_kernelINS1_19lookback_scan_stateINS0_5tupleIJibEEELb0ELb1EEENS1_16block_id_wrapperIjLb1EEEEEvT_jjPNS9_10value_typeET0_.has_dyn_sized_stack, 0
	.set _ZN7rocprim17ROCPRIM_400000_NS6detail30init_device_scan_by_key_kernelINS1_19lookback_scan_stateINS0_5tupleIJibEEELb0ELb1EEENS1_16block_id_wrapperIjLb1EEEEEvT_jjPNS9_10value_typeET0_.has_recursion, 0
	.set _ZN7rocprim17ROCPRIM_400000_NS6detail30init_device_scan_by_key_kernelINS1_19lookback_scan_stateINS0_5tupleIJibEEELb0ELb1EEENS1_16block_id_wrapperIjLb1EEEEEvT_jjPNS9_10value_typeET0_.has_indirect_call, 0
	.section	.AMDGPU.csdata,"",@progbits
; Kernel info:
; codeLenInByte = 416
; TotalNumSgprs: 15
; NumVgprs: 9
; ScratchSize: 0
; MemoryBound: 0
; FloatMode: 240
; IeeeMode: 1
; LDSByteSize: 0 bytes/workgroup (compile time only)
; SGPRBlocks: 0
; VGPRBlocks: 0
; NumSGPRsForWavesPerEU: 15
; NumVGPRsForWavesPerEU: 9
; NamedBarCnt: 0
; Occupancy: 16
; WaveLimiterHint : 0
; COMPUTE_PGM_RSRC2:SCRATCH_EN: 0
; COMPUTE_PGM_RSRC2:USER_SGPR: 2
; COMPUTE_PGM_RSRC2:TRAP_HANDLER: 0
; COMPUTE_PGM_RSRC2:TGID_X_EN: 1
; COMPUTE_PGM_RSRC2:TGID_Y_EN: 0
; COMPUTE_PGM_RSRC2:TGID_Z_EN: 0
; COMPUTE_PGM_RSRC2:TIDIG_COMP_CNT: 0
	.section	.text._ZN7rocprim17ROCPRIM_400000_NS6detail17trampoline_kernelINS0_14default_configENS1_27scan_by_key_config_selectorIiiEEZZNS1_16scan_by_key_implILNS1_25lookback_scan_determinismE0ELb0ES3_N6thrust23THRUST_200600_302600_NS6detail15normal_iteratorINS9_10device_ptrIiEEEESE_SE_iNS9_4plusIvEENS9_8equal_toIvEEiEE10hipError_tPvRmT2_T3_T4_T5_mT6_T7_P12ihipStream_tbENKUlT_T0_E_clISt17integral_constantIbLb0EESY_IbLb1EEEEDaSU_SV_EUlSU_E_NS1_11comp_targetILNS1_3genE0ELNS1_11target_archE4294967295ELNS1_3gpuE0ELNS1_3repE0EEENS1_30default_config_static_selectorELNS0_4arch9wavefront6targetE0EEEvT1_,"axG",@progbits,_ZN7rocprim17ROCPRIM_400000_NS6detail17trampoline_kernelINS0_14default_configENS1_27scan_by_key_config_selectorIiiEEZZNS1_16scan_by_key_implILNS1_25lookback_scan_determinismE0ELb0ES3_N6thrust23THRUST_200600_302600_NS6detail15normal_iteratorINS9_10device_ptrIiEEEESE_SE_iNS9_4plusIvEENS9_8equal_toIvEEiEE10hipError_tPvRmT2_T3_T4_T5_mT6_T7_P12ihipStream_tbENKUlT_T0_E_clISt17integral_constantIbLb0EESY_IbLb1EEEEDaSU_SV_EUlSU_E_NS1_11comp_targetILNS1_3genE0ELNS1_11target_archE4294967295ELNS1_3gpuE0ELNS1_3repE0EEENS1_30default_config_static_selectorELNS0_4arch9wavefront6targetE0EEEvT1_,comdat
	.protected	_ZN7rocprim17ROCPRIM_400000_NS6detail17trampoline_kernelINS0_14default_configENS1_27scan_by_key_config_selectorIiiEEZZNS1_16scan_by_key_implILNS1_25lookback_scan_determinismE0ELb0ES3_N6thrust23THRUST_200600_302600_NS6detail15normal_iteratorINS9_10device_ptrIiEEEESE_SE_iNS9_4plusIvEENS9_8equal_toIvEEiEE10hipError_tPvRmT2_T3_T4_T5_mT6_T7_P12ihipStream_tbENKUlT_T0_E_clISt17integral_constantIbLb0EESY_IbLb1EEEEDaSU_SV_EUlSU_E_NS1_11comp_targetILNS1_3genE0ELNS1_11target_archE4294967295ELNS1_3gpuE0ELNS1_3repE0EEENS1_30default_config_static_selectorELNS0_4arch9wavefront6targetE0EEEvT1_ ; -- Begin function _ZN7rocprim17ROCPRIM_400000_NS6detail17trampoline_kernelINS0_14default_configENS1_27scan_by_key_config_selectorIiiEEZZNS1_16scan_by_key_implILNS1_25lookback_scan_determinismE0ELb0ES3_N6thrust23THRUST_200600_302600_NS6detail15normal_iteratorINS9_10device_ptrIiEEEESE_SE_iNS9_4plusIvEENS9_8equal_toIvEEiEE10hipError_tPvRmT2_T3_T4_T5_mT6_T7_P12ihipStream_tbENKUlT_T0_E_clISt17integral_constantIbLb0EESY_IbLb1EEEEDaSU_SV_EUlSU_E_NS1_11comp_targetILNS1_3genE0ELNS1_11target_archE4294967295ELNS1_3gpuE0ELNS1_3repE0EEENS1_30default_config_static_selectorELNS0_4arch9wavefront6targetE0EEEvT1_
	.globl	_ZN7rocprim17ROCPRIM_400000_NS6detail17trampoline_kernelINS0_14default_configENS1_27scan_by_key_config_selectorIiiEEZZNS1_16scan_by_key_implILNS1_25lookback_scan_determinismE0ELb0ES3_N6thrust23THRUST_200600_302600_NS6detail15normal_iteratorINS9_10device_ptrIiEEEESE_SE_iNS9_4plusIvEENS9_8equal_toIvEEiEE10hipError_tPvRmT2_T3_T4_T5_mT6_T7_P12ihipStream_tbENKUlT_T0_E_clISt17integral_constantIbLb0EESY_IbLb1EEEEDaSU_SV_EUlSU_E_NS1_11comp_targetILNS1_3genE0ELNS1_11target_archE4294967295ELNS1_3gpuE0ELNS1_3repE0EEENS1_30default_config_static_selectorELNS0_4arch9wavefront6targetE0EEEvT1_
	.p2align	8
	.type	_ZN7rocprim17ROCPRIM_400000_NS6detail17trampoline_kernelINS0_14default_configENS1_27scan_by_key_config_selectorIiiEEZZNS1_16scan_by_key_implILNS1_25lookback_scan_determinismE0ELb0ES3_N6thrust23THRUST_200600_302600_NS6detail15normal_iteratorINS9_10device_ptrIiEEEESE_SE_iNS9_4plusIvEENS9_8equal_toIvEEiEE10hipError_tPvRmT2_T3_T4_T5_mT6_T7_P12ihipStream_tbENKUlT_T0_E_clISt17integral_constantIbLb0EESY_IbLb1EEEEDaSU_SV_EUlSU_E_NS1_11comp_targetILNS1_3genE0ELNS1_11target_archE4294967295ELNS1_3gpuE0ELNS1_3repE0EEENS1_30default_config_static_selectorELNS0_4arch9wavefront6targetE0EEEvT1_,@function
_ZN7rocprim17ROCPRIM_400000_NS6detail17trampoline_kernelINS0_14default_configENS1_27scan_by_key_config_selectorIiiEEZZNS1_16scan_by_key_implILNS1_25lookback_scan_determinismE0ELb0ES3_N6thrust23THRUST_200600_302600_NS6detail15normal_iteratorINS9_10device_ptrIiEEEESE_SE_iNS9_4plusIvEENS9_8equal_toIvEEiEE10hipError_tPvRmT2_T3_T4_T5_mT6_T7_P12ihipStream_tbENKUlT_T0_E_clISt17integral_constantIbLb0EESY_IbLb1EEEEDaSU_SV_EUlSU_E_NS1_11comp_targetILNS1_3genE0ELNS1_11target_archE4294967295ELNS1_3gpuE0ELNS1_3repE0EEENS1_30default_config_static_selectorELNS0_4arch9wavefront6targetE0EEEvT1_: ; @_ZN7rocprim17ROCPRIM_400000_NS6detail17trampoline_kernelINS0_14default_configENS1_27scan_by_key_config_selectorIiiEEZZNS1_16scan_by_key_implILNS1_25lookback_scan_determinismE0ELb0ES3_N6thrust23THRUST_200600_302600_NS6detail15normal_iteratorINS9_10device_ptrIiEEEESE_SE_iNS9_4plusIvEENS9_8equal_toIvEEiEE10hipError_tPvRmT2_T3_T4_T5_mT6_T7_P12ihipStream_tbENKUlT_T0_E_clISt17integral_constantIbLb0EESY_IbLb1EEEEDaSU_SV_EUlSU_E_NS1_11comp_targetILNS1_3genE0ELNS1_11target_archE4294967295ELNS1_3gpuE0ELNS1_3repE0EEENS1_30default_config_static_selectorELNS0_4arch9wavefront6targetE0EEEvT1_
; %bb.0:
	s_clause 0x1
	s_load_b128 s[28:31], s[0:1], 0x28
	s_load_b64 s[36:37], s[0:1], 0x38
	v_cmp_ne_u32_e64 s3, 0, v0
	v_cmp_eq_u32_e64 s2, 0, v0
	s_and_saveexec_b32 s4, s2
	s_cbranch_execz .LBB155_4
; %bb.1:
	s_mov_b32 s6, exec_lo
	s_mov_b32 s5, exec_lo
	v_mbcnt_lo_u32_b32 v1, s6, 0
                                        ; implicit-def: $vgpr2
	s_delay_alu instid0(VALU_DEP_1)
	v_cmpx_eq_u32_e32 0, v1
	s_cbranch_execz .LBB155_3
; %bb.2:
	s_load_b64 s[8:9], s[0:1], 0x68
	s_bcnt1_i32_b32 s6, s6
	s_delay_alu instid0(SALU_CYCLE_1)
	v_dual_mov_b32 v2, 0 :: v_dual_mov_b32 v3, s6
	s_wait_xcnt 0x0
	s_wait_kmcnt 0x0
	global_atomic_add_u32 v2, v2, v3, s[8:9] th:TH_ATOMIC_RETURN scope:SCOPE_DEV
.LBB155_3:
	s_wait_xcnt 0x0
	s_or_b32 exec_lo, exec_lo, s5
	s_wait_loadcnt 0x0
	v_readfirstlane_b32 s5, v2
	s_delay_alu instid0(VALU_DEP_1)
	v_dual_mov_b32 v2, 0 :: v_dual_add_nc_u32 v1, s5, v1
	ds_store_b32 v2, v1
.LBB155_4:
	s_or_b32 exec_lo, exec_lo, s4
	v_mov_b32_e32 v1, 0
	s_clause 0x2
	s_load_b256 s[12:19], s[0:1], 0x0
	s_load_b32 s38, s[0:1], 0x40
	s_load_b256 s[20:27], s[0:1], 0x48
	s_wait_dscnt 0x0
	s_barrier_signal -1
	s_barrier_wait -1
	ds_load_b32 v2, v1
	s_mov_b32 s39, 0
	s_wait_dscnt 0x0
	s_mov_b32 s9, s39
	s_barrier_signal -1
	s_barrier_wait -1
	s_barrier_signal -1
	s_barrier_wait -1
	s_wait_kmcnt 0x0
	s_lshl_b64 s[34:35], s[14:15], 2
	s_mul_u64 s[6:7], s[36:37], s[38:39]
	s_cmp_lg_u64 s[24:25], 0
	s_add_nc_u64 s[0:1], s[12:13], s[34:35]
	s_add_nc_u64 s[4:5], s[16:17], s[34:35]
	s_cselect_b32 s42, -1, 0
	v_readfirstlane_b32 s38, v2
	s_add_nc_u64 s[24:25], s[6:7], s[38:39]
	s_add_nc_u64 s[6:7], s[20:21], -1
	s_mul_i32 s8, s38, 0xc00
	v_cmp_ge_u64_e64 s31, s[24:25], s[6:7]
	s_lshl_b64 s[16:17], s[8:9], 2
	s_mul_i32 s33, s6, 0xfffff400
	s_add_nc_u64 s[20:21], s[0:1], s[16:17]
	s_add_nc_u64 s[14:15], s[4:5], s[16:17]
	s_and_b32 vcc_lo, exec_lo, s31
	s_cbranch_vccz .LBB155_32
; %bb.5:
	flat_load_b32 v1, v1, s[20:21]
	s_add_co_i32 s43, s33, s30
	s_delay_alu instid0(SALU_CYCLE_1)
	v_cmp_gt_u32_e64 s0, s43, v0
	s_wait_loadcnt_dscnt 0x0
	v_mov_b32_e32 v2, v1
	s_and_saveexec_b32 s1, s0
	s_cbranch_execz .LBB155_7
; %bb.6:
	flat_load_b32 v2, v0, s[20:21] scale_offset
.LBB155_7:
	s_wait_xcnt 0x0
	s_or_b32 exec_lo, exec_lo, s1
	v_or_b32_e32 v3, 0x100, v0
	v_mov_b32_e32 v4, v1
	s_delay_alu instid0(VALU_DEP_2)
	v_cmp_gt_u32_e64 s1, s43, v3
	s_and_saveexec_b32 s4, s1
	s_cbranch_execz .LBB155_9
; %bb.8:
	flat_load_b32 v4, v0, s[20:21] offset:1024 scale_offset
.LBB155_9:
	s_wait_xcnt 0x0
	s_or_b32 exec_lo, exec_lo, s4
	v_or_b32_e32 v3, 0x200, v0
	v_mov_b32_e32 v5, v1
	s_delay_alu instid0(VALU_DEP_2)
	v_cmp_gt_u32_e64 s4, s43, v3
	s_and_saveexec_b32 s5, s4
	s_cbranch_execz .LBB155_11
; %bb.10:
	flat_load_b32 v5, v0, s[20:21] offset:2048 scale_offset
.LBB155_11:
	;; [unrolled: 11-line block ×10, first 2 shown]
	s_wait_xcnt 0x0
	s_or_b32 exec_lo, exec_lo, s13
	v_or_b32_e32 v3, 0xb00, v0
	s_mov_b32 s39, exec_lo
	s_delay_alu instid0(VALU_DEP_1) | instskip(SKIP_2) | instid1(SALU_CYCLE_1)
	v_cmp_gt_u32_e64 s13, s43, v3
	v_cmpx_le_u32_e64 s43, v3
	s_xor_b32 s39, exec_lo, s39
	s_and_not1_saveexec_b32 s39, s39
	s_cbranch_execz .LBB155_29
; %bb.28:
	flat_load_b32 v1, v0, s[20:21] offset:11264 scale_offset
.LBB155_29:
	s_wait_xcnt 0x0
	s_or_b32 exec_lo, exec_lo, s39
	v_lshlrev_b32_e32 v3, 2, v0
	s_cmp_eq_u64 s[24:25], 0
	s_mov_b64 s[40:41], s[20:21]
	s_wait_loadcnt_dscnt 0x0
	ds_store_2addr_stride64_b32 v3, v2, v4 offset1:4
	ds_store_2addr_stride64_b32 v3, v5, v6 offset0:8 offset1:12
	ds_store_2addr_stride64_b32 v3, v7, v8 offset0:16 offset1:20
	;; [unrolled: 1-line block ×5, first 2 shown]
	v_mad_u32_u24 v1, v0, 44, v3
	s_wait_dscnt 0x0
	s_barrier_signal -1
	s_barrier_wait -1
	ds_load_b128 v[14:17], v1
	ds_load_b128 v[10:13], v1 offset:16
	ds_load_b128 v[6:9], v1 offset:32
	s_cbranch_scc1 .LBB155_35
; %bb.30:
	s_and_not1_b32 vcc_lo, exec_lo, s42
	s_cbranch_vccnz .LBB155_33
; %bb.31:
	s_lshl_b64 s[40:41], s[24:25], 2
	s_mov_b32 s39, 0
	s_add_nc_u64 s[40:41], s[26:27], s[40:41]
	s_delay_alu instid0(SALU_CYCLE_1)
	s_add_nc_u64 s[40:41], s[40:41], -4
	s_branch .LBB155_34
.LBB155_32:
                                        ; implicit-def: $sgpr4
                                        ; implicit-def: $vgpr5
                                        ; implicit-def: $vgpr18_vgpr19
                                        ; implicit-def: $vgpr42_vgpr43
                                        ; implicit-def: $vgpr46_vgpr47
                                        ; implicit-def: $vgpr44_vgpr45
                                        ; implicit-def: $vgpr48_vgpr49
                                        ; implicit-def: $vgpr50_vgpr51
                                        ; implicit-def: $vgpr52_vgpr53
                                        ; implicit-def: $vgpr54_vgpr55
                                        ; implicit-def: $vgpr56_vgpr57
                                        ; implicit-def: $vgpr58_vgpr59
                                        ; implicit-def: $vgpr38_vgpr39
                                        ; implicit-def: $vgpr36_vgpr37
                                        ; implicit-def: $vgpr34_vgpr35
                                        ; implicit-def: $vgpr32_vgpr33
                                        ; implicit-def: $vgpr30_vgpr31
                                        ; implicit-def: $vgpr28_vgpr29
                                        ; implicit-def: $vgpr26_vgpr27
                                        ; implicit-def: $vgpr24_vgpr25
                                        ; implicit-def: $vgpr22_vgpr23
                                        ; implicit-def: $vgpr20_vgpr21
	v_lshlrev_b32_e32 v16, 2, v0
	s_cbranch_execnz .LBB155_73
	s_branch .LBB155_92
.LBB155_33:
	s_add_nc_u64 s[40:41], s[20:21], -4
	s_mov_b32 s39, -1
.LBB155_34:
	s_delay_alu instid0(SALU_CYCLE_1)
	s_and_not1_b32 vcc_lo, exec_lo, s39
.LBB155_35:
	v_mov_b32_e32 v2, 0
	v_mad_i32_i24 v4, 0xffffffd4, v0, v1
	flat_load_b32 v2, v2, s[40:41]
	s_wait_dscnt 0x1
	ds_store_b32 v4, v9 offset:12288
	s_wait_loadcnt_dscnt 0x0
	s_barrier_signal -1
	s_barrier_wait -1
	s_and_saveexec_b32 s39, s3
; %bb.36:
	v_mul_i32_i24_e32 v2, 0xffffffd4, v0
	s_delay_alu instid0(VALU_DEP_1)
	v_add_nc_u32_e32 v2, v1, v2
	ds_load_b32 v2, v2 offset:12284
; %bb.37:
	s_or_b32 exec_lo, exec_lo, s39
	s_wait_dscnt 0x0
	s_barrier_signal -1
	s_barrier_wait -1
                                        ; implicit-def: $vgpr5
	s_and_saveexec_b32 s39, s0
	s_cbranch_execnz .LBB155_76
; %bb.38:
	s_or_b32 exec_lo, exec_lo, s39
                                        ; implicit-def: $vgpr18
	s_and_saveexec_b32 s0, s1
	s_cbranch_execnz .LBB155_77
.LBB155_39:
	s_or_b32 exec_lo, exec_lo, s0
                                        ; implicit-def: $vgpr19
	s_and_saveexec_b32 s0, s4
	s_cbranch_execnz .LBB155_78
.LBB155_40:
	s_or_b32 exec_lo, exec_lo, s0
                                        ; implicit-def: $vgpr20
	s_and_saveexec_b32 s0, s5
	s_cbranch_execnz .LBB155_79
.LBB155_41:
	s_or_b32 exec_lo, exec_lo, s0
                                        ; implicit-def: $vgpr21
	s_and_saveexec_b32 s0, s6
	s_cbranch_execnz .LBB155_80
.LBB155_42:
	s_or_b32 exec_lo, exec_lo, s0
                                        ; implicit-def: $vgpr22
	s_and_saveexec_b32 s0, s7
	s_cbranch_execnz .LBB155_81
.LBB155_43:
	s_or_b32 exec_lo, exec_lo, s0
                                        ; implicit-def: $vgpr23
	s_and_saveexec_b32 s0, s8
	s_cbranch_execnz .LBB155_82
.LBB155_44:
	s_or_b32 exec_lo, exec_lo, s0
                                        ; implicit-def: $vgpr24
	s_and_saveexec_b32 s0, s9
	s_cbranch_execnz .LBB155_83
.LBB155_45:
	s_or_b32 exec_lo, exec_lo, s0
                                        ; implicit-def: $vgpr25
	s_and_saveexec_b32 s0, s10
	s_cbranch_execnz .LBB155_84
.LBB155_46:
	s_or_b32 exec_lo, exec_lo, s0
                                        ; implicit-def: $vgpr26
	s_and_saveexec_b32 s0, s11
	s_cbranch_execnz .LBB155_85
.LBB155_47:
	s_or_b32 exec_lo, exec_lo, s0
                                        ; implicit-def: $vgpr27
	s_and_saveexec_b32 s0, s12
	s_cbranch_execnz .LBB155_86
.LBB155_48:
	s_or_b32 exec_lo, exec_lo, s0
                                        ; implicit-def: $vgpr28
	s_and_saveexec_b32 s0, s13
	s_cbranch_execz .LBB155_50
.LBB155_49:
	flat_load_b32 v28, v0, s[14:15] offset:11264 scale_offset
.LBB155_50:
	s_wait_xcnt 0x0
	s_or_b32 exec_lo, exec_lo, s0
	s_wait_loadcnt_dscnt 0x0
	ds_store_2addr_stride64_b32 v3, v5, v18 offset1:4
	ds_store_2addr_stride64_b32 v3, v19, v20 offset0:8 offset1:12
	ds_store_2addr_stride64_b32 v3, v21, v22 offset0:16 offset1:20
	;; [unrolled: 1-line block ×5, first 2 shown]
	v_mov_b64_e32 v[18:19], 0
	v_mov_b64_e32 v[42:43], 0
	;; [unrolled: 1-line block ×20, first 2 shown]
	v_mul_u32_u24_e32 v4, 12, v0
	s_mov_b32 s1, 0
	s_mov_b32 s39, 0
	s_mov_b32 s5, exec_lo
	s_wait_dscnt 0x0
	s_barrier_signal -1
	s_barrier_wait -1
                                        ; implicit-def: $sgpr4
                                        ; implicit-def: $vgpr5
	v_cmpx_gt_u32_e64 s43, v4
	s_cbranch_execz .LBB155_72
; %bb.51:
	ds_load_b32 v18, v1
	v_cmp_ne_u32_e32 vcc_lo, v2, v14
	v_mov_b64_e32 v[42:43], 0
	v_mov_b64_e32 v[46:47], 0
	v_mov_b64_e32 v[44:45], 0
	v_mov_b64_e32 v[48:49], 0
	v_mov_b64_e32 v[50:51], 0
	v_mov_b64_e32 v[52:53], 0
	v_mov_b64_e32 v[54:55], 0
	v_mov_b64_e32 v[56:57], 0
	v_mov_b64_e32 v[58:59], 0
	v_mov_b64_e32 v[36:37], 0
	v_mov_b64_e32 v[34:35], 0
	v_mov_b64_e32 v[32:33], 0
	v_mov_b64_e32 v[30:31], 0
	v_mov_b64_e32 v[28:29], 0
	v_mov_b64_e32 v[26:27], 0
	v_mov_b64_e32 v[24:25], 0
	v_mov_b64_e32 v[22:23], 0
	v_mov_b64_e32 v[20:21], 0
	v_or_b32_e32 v3, 1, v4
	v_cndmask_b32_e64 v19, 0, 1, vcc_lo
	s_mov_b32 s0, 0
	s_mov_b32 s6, exec_lo
                                        ; implicit-def: $sgpr4
                                        ; implicit-def: $vgpr5
	s_delay_alu instid0(VALU_DEP_2)
	v_cmpx_gt_u32_e64 s43, v3
	s_cbranch_execz .LBB155_71
; %bb.52:
	ds_load_2addr_b32 v[42:43], v1 offset0:1 offset1:2
	v_cmp_ne_u32_e32 vcc_lo, v14, v15
	v_mov_b64_e32 v[46:47], 0
	v_mov_b64_e32 v[44:45], 0
	;; [unrolled: 1-line block ×16, first 2 shown]
	v_or_b32_e32 v3, 2, v4
	v_cndmask_b32_e64 v2, 0, 1, vcc_lo
	s_mov_b32 s7, exec_lo
                                        ; implicit-def: $sgpr4
                                        ; implicit-def: $vgpr5
	s_delay_alu instid0(VALU_DEP_2)
	v_cmpx_gt_u32_e64 s43, v3
	s_cbranch_execz .LBB155_70
; %bb.53:
	v_cmp_ne_u32_e32 vcc_lo, v15, v16
	v_mov_b64_e32 v[44:45], 0
	v_mov_b64_e32 v[48:49], 0
	;; [unrolled: 1-line block ×14, first 2 shown]
	v_or_b32_e32 v3, 3, v4
	v_cndmask_b32_e64 v47, 0, 1, vcc_lo
	s_mov_b32 s8, exec_lo
                                        ; implicit-def: $sgpr4
                                        ; implicit-def: $vgpr5
	s_delay_alu instid0(VALU_DEP_2)
	v_cmpx_gt_u32_e64 s43, v3
	s_cbranch_execz .LBB155_69
; %bb.54:
	ds_load_2addr_b32 v[44:45], v1 offset0:3 offset1:4
	v_add_nc_u32_e32 v5, 4, v4
	v_cmp_ne_u32_e32 vcc_lo, v16, v17
	v_mov_b64_e32 v[48:49], 0
	v_mov_b64_e32 v[50:51], 0
	;; [unrolled: 1-line block ×12, first 2 shown]
	v_cndmask_b32_e64 v3, 0, 1, vcc_lo
	v_cmp_gt_u32_e32 vcc_lo, s43, v5
                                        ; implicit-def: $sgpr4
                                        ; implicit-def: $vgpr5
	s_and_saveexec_b32 s9, vcc_lo
	s_cbranch_execz .LBB155_68
; %bb.55:
	v_add_nc_u32_e32 v5, 5, v4
	v_cmp_ne_u32_e32 vcc_lo, v17, v10
	v_mov_b64_e32 v[50:51], 0
	v_mov_b64_e32 v[52:53], 0
	;; [unrolled: 1-line block ×10, first 2 shown]
	v_cndmask_b32_e64 v49, 0, 1, vcc_lo
	v_cmp_gt_u32_e32 vcc_lo, s43, v5
                                        ; implicit-def: $sgpr4
                                        ; implicit-def: $vgpr5
	s_and_saveexec_b32 s10, vcc_lo
	s_cbranch_execz .LBB155_67
; %bb.56:
	ds_load_2addr_b32 v[50:51], v1 offset0:5 offset1:6
	v_add_nc_u32_e32 v5, 6, v4
	v_cmp_ne_u32_e32 vcc_lo, v10, v11
	v_mov_b64_e32 v[52:53], 0
	v_mov_b64_e32 v[54:55], 0
	;; [unrolled: 1-line block ×8, first 2 shown]
	v_cndmask_b32_e64 v10, 0, 1, vcc_lo
	v_cmp_gt_u32_e32 vcc_lo, s43, v5
                                        ; implicit-def: $sgpr4
                                        ; implicit-def: $vgpr5
	s_and_saveexec_b32 s11, vcc_lo
	s_cbranch_execz .LBB155_66
; %bb.57:
	v_add_nc_u32_e32 v5, 7, v4
	v_cmp_ne_u32_e32 vcc_lo, v11, v12
	v_mov_b64_e32 v[54:55], 0
	v_mov_b64_e32 v[56:57], 0
	;; [unrolled: 1-line block ×6, first 2 shown]
	v_cndmask_b32_e64 v53, 0, 1, vcc_lo
	v_cmp_gt_u32_e32 vcc_lo, s43, v5
                                        ; implicit-def: $sgpr4
                                        ; implicit-def: $vgpr5
	s_and_saveexec_b32 s12, vcc_lo
	s_cbranch_execz .LBB155_65
; %bb.58:
	ds_load_2addr_b32 v[54:55], v1 offset0:7 offset1:8
	v_add_nc_u32_e32 v5, 8, v4
	v_cmp_ne_u32_e32 vcc_lo, v12, v13
	v_mov_b64_e32 v[56:57], 0
	v_mov_b64_e32 v[58:59], 0
	;; [unrolled: 1-line block ×4, first 2 shown]
	v_cndmask_b32_e64 v11, 0, 1, vcc_lo
	v_cmp_gt_u32_e32 vcc_lo, s43, v5
                                        ; implicit-def: $sgpr4
                                        ; implicit-def: $vgpr5
	s_and_saveexec_b32 s13, vcc_lo
	s_cbranch_execz .LBB155_64
; %bb.59:
	v_add_nc_u32_e32 v5, 9, v4
	v_cmp_ne_u32_e32 vcc_lo, v13, v6
	v_mov_b64_e32 v[58:59], 0
	v_mov_b64_e32 v[20:21], 0
                                        ; implicit-def: $sgpr4
	v_cndmask_b32_e64 v57, 0, 1, vcc_lo
	v_cmp_gt_u32_e32 vcc_lo, s43, v5
                                        ; implicit-def: $vgpr5
	s_and_saveexec_b32 s39, vcc_lo
	s_cbranch_execz .LBB155_63
; %bb.60:
	ds_load_2addr_b32 v[58:59], v1 offset0:9 offset1:10
	v_add_nc_u32_e32 v5, 10, v4
	v_cmp_ne_u32_e32 vcc_lo, v6, v7
	v_mov_b64_e32 v[20:21], 0
                                        ; implicit-def: $sgpr4
	v_cndmask_b32_e64 v6, 0, 1, vcc_lo
	s_delay_alu instid0(VALU_DEP_4) | instskip(SKIP_1) | instid1(SALU_CYCLE_1)
	v_cmp_gt_u32_e32 vcc_lo, s43, v5
                                        ; implicit-def: $vgpr5
	s_and_saveexec_b32 s40, vcc_lo
	s_xor_b32 s40, exec_lo, s40
	s_cbranch_execz .LBB155_62
; %bb.61:
	ds_load_b32 v5, v1 offset:44
	s_wait_dscnt 0x1
	v_dual_mov_b32 v20, v59 :: v_dual_add_nc_u32 v1, 11, v4
	v_cmp_ne_u32_e64 s0, v7, v8
	v_cmp_ne_u32_e64 s4, v8, v9
	s_delay_alu instid0(VALU_DEP_3) | instskip(NEXT) | instid1(VALU_DEP_3)
	v_cmp_gt_u32_e32 vcc_lo, s43, v1
	v_cndmask_b32_e64 v21, 0, 1, s0
	s_and_b32 s0, vcc_lo, exec_lo
.LBB155_62:
	s_or_b32 exec_lo, exec_lo, s40
	s_wait_dscnt 0x0
	v_mov_b32_e32 v59, v6
	s_and_b32 s0, s0, exec_lo
.LBB155_63:
	s_or_b32 exec_lo, exec_lo, s39
	s_delay_alu instid0(VALU_DEP_1)
	v_mov_b64_e32 v[22:23], v[58:59]
	s_wait_dscnt 0x0
	v_mov_b32_e32 v56, v55
	s_and_b32 s0, s0, exec_lo
.LBB155_64:
	s_or_b32 exec_lo, exec_lo, s13
	s_delay_alu instid0(VALU_DEP_1)
	v_mov_b64_e32 v[24:25], v[56:57]
	s_wait_dscnt 0x0
	v_mov_b32_e32 v55, v11
	s_and_b32 s0, s0, exec_lo
.LBB155_65:
	s_or_b32 exec_lo, exec_lo, s12
	s_delay_alu instid0(VALU_DEP_1)
	v_mov_b64_e32 v[26:27], v[54:55]
	s_wait_dscnt 0x0
	v_mov_b32_e32 v52, v51
	s_and_b32 s0, s0, exec_lo
.LBB155_66:
	s_or_b32 exec_lo, exec_lo, s11
	s_delay_alu instid0(VALU_DEP_1)
	v_mov_b64_e32 v[28:29], v[52:53]
	s_wait_dscnt 0x0
	v_mov_b32_e32 v51, v10
	s_and_b32 s0, s0, exec_lo
.LBB155_67:
	s_or_b32 exec_lo, exec_lo, s10
	s_delay_alu instid0(VALU_DEP_1)
	v_mov_b64_e32 v[30:31], v[50:51]
	s_wait_dscnt 0x0
	v_mov_b32_e32 v48, v45
	s_and_b32 s0, s0, exec_lo
.LBB155_68:
	s_or_b32 exec_lo, exec_lo, s9
	s_delay_alu instid0(VALU_DEP_1)
	v_mov_b64_e32 v[32:33], v[48:49]
	s_wait_dscnt 0x0
	v_mov_b32_e32 v45, v3
	s_and_b32 s0, s0, exec_lo
.LBB155_69:
	s_or_b32 exec_lo, exec_lo, s8
	s_delay_alu instid0(VALU_DEP_1)
	v_mov_b64_e32 v[34:35], v[44:45]
	s_wait_dscnt 0x0
	v_mov_b32_e32 v46, v43
	s_and_b32 s0, s0, exec_lo
.LBB155_70:
	s_or_b32 exec_lo, exec_lo, s7
	s_delay_alu instid0(VALU_DEP_1)
	v_mov_b64_e32 v[36:37], v[46:47]
	s_wait_dscnt 0x0
	v_mov_b32_e32 v43, v2
	s_and_b32 s0, s0, exec_lo
.LBB155_71:
	s_or_b32 exec_lo, exec_lo, s6
	s_delay_alu instid0(VALU_DEP_1)
	v_mov_b64_e32 v[38:39], v[42:43]
	s_and_b32 s39, s0, exec_lo
.LBB155_72:
	s_or_b32 exec_lo, exec_lo, s5
	v_lshlrev_b32_e32 v16, 2, v0
	s_and_b32 vcc_lo, exec_lo, s1
	s_cbranch_vccz .LBB155_92
.LBB155_73:
	s_clause 0xb
	flat_load_b32 v2, v0, s[20:21] scale_offset
	flat_load_b32 v3, v0, s[20:21] offset:1024 scale_offset
	flat_load_b32 v4, v0, s[20:21] offset:2048 scale_offset
	;; [unrolled: 1-line block ×11, first 2 shown]
	v_mad_u32_u24 v1, v0, 44, v16
	v_mov_b32_e32 v14, 0
	s_cmp_eq_u64 s[24:25], 0
	s_wait_loadcnt_dscnt 0xa0a
	ds_store_2addr_stride64_b32 v16, v2, v3 offset1:4
	s_wait_loadcnt_dscnt 0x809
	ds_store_2addr_stride64_b32 v16, v4, v5 offset0:8 offset1:12
	s_wait_loadcnt_dscnt 0x608
	ds_store_2addr_stride64_b32 v16, v6, v7 offset0:16 offset1:20
	;; [unrolled: 2-line block ×5, first 2 shown]
	s_wait_dscnt 0x0
	s_barrier_signal -1
	s_barrier_wait -1
	ds_load_b128 v[2:5], v1
	ds_load_b128 v[10:13], v1 offset:16
	ds_load_b128 v[6:9], v1 offset:32
	s_cbranch_scc1 .LBB155_89
; %bb.74:
	s_and_not1_b32 vcc_lo, exec_lo, s42
	s_cbranch_vccnz .LBB155_87
; %bb.75:
	s_lshl_b64 s[0:1], s[24:25], 2
	s_delay_alu instid0(SALU_CYCLE_1) | instskip(NEXT) | instid1(SALU_CYCLE_1)
	s_add_nc_u64 s[0:1], s[26:27], s[0:1]
	s_add_nc_u64 s[20:21], s[0:1], -4
	s_mov_b32 s0, 0
	s_branch .LBB155_88
.LBB155_76:
	flat_load_b32 v5, v0, s[14:15] scale_offset
	s_wait_xcnt 0x0
	s_or_b32 exec_lo, exec_lo, s39
                                        ; implicit-def: $vgpr18
	s_and_saveexec_b32 s0, s1
	s_cbranch_execz .LBB155_39
.LBB155_77:
	flat_load_b32 v18, v0, s[14:15] offset:1024 scale_offset
	s_wait_xcnt 0x0
	s_or_b32 exec_lo, exec_lo, s0
                                        ; implicit-def: $vgpr19
	s_and_saveexec_b32 s0, s4
	s_cbranch_execz .LBB155_40
.LBB155_78:
	flat_load_b32 v19, v0, s[14:15] offset:2048 scale_offset
	s_wait_xcnt 0x0
	s_or_b32 exec_lo, exec_lo, s0
                                        ; implicit-def: $vgpr20
	s_and_saveexec_b32 s0, s5
	s_cbranch_execz .LBB155_41
.LBB155_79:
	flat_load_b32 v20, v0, s[14:15] offset:3072 scale_offset
	s_wait_xcnt 0x0
	s_or_b32 exec_lo, exec_lo, s0
                                        ; implicit-def: $vgpr21
	s_and_saveexec_b32 s0, s6
	s_cbranch_execz .LBB155_42
.LBB155_80:
	flat_load_b32 v21, v0, s[14:15] offset:4096 scale_offset
	s_wait_xcnt 0x0
	s_or_b32 exec_lo, exec_lo, s0
                                        ; implicit-def: $vgpr22
	s_and_saveexec_b32 s0, s7
	s_cbranch_execz .LBB155_43
.LBB155_81:
	flat_load_b32 v22, v0, s[14:15] offset:5120 scale_offset
	s_wait_xcnt 0x0
	s_or_b32 exec_lo, exec_lo, s0
                                        ; implicit-def: $vgpr23
	s_and_saveexec_b32 s0, s8
	s_cbranch_execz .LBB155_44
.LBB155_82:
	flat_load_b32 v23, v0, s[14:15] offset:6144 scale_offset
	s_wait_xcnt 0x0
	s_or_b32 exec_lo, exec_lo, s0
                                        ; implicit-def: $vgpr24
	s_and_saveexec_b32 s0, s9
	s_cbranch_execz .LBB155_45
.LBB155_83:
	flat_load_b32 v24, v0, s[14:15] offset:7168 scale_offset
	s_wait_xcnt 0x0
	s_or_b32 exec_lo, exec_lo, s0
                                        ; implicit-def: $vgpr25
	s_and_saveexec_b32 s0, s10
	s_cbranch_execz .LBB155_46
.LBB155_84:
	flat_load_b32 v25, v0, s[14:15] offset:8192 scale_offset
	s_wait_xcnt 0x0
	s_or_b32 exec_lo, exec_lo, s0
                                        ; implicit-def: $vgpr26
	s_and_saveexec_b32 s0, s11
	s_cbranch_execz .LBB155_47
.LBB155_85:
	flat_load_b32 v26, v0, s[14:15] offset:9216 scale_offset
	s_wait_xcnt 0x0
	s_or_b32 exec_lo, exec_lo, s0
                                        ; implicit-def: $vgpr27
	s_and_saveexec_b32 s0, s12
	s_cbranch_execz .LBB155_48
.LBB155_86:
	flat_load_b32 v27, v0, s[14:15] offset:10240 scale_offset
	s_wait_xcnt 0x0
	s_or_b32 exec_lo, exec_lo, s0
                                        ; implicit-def: $vgpr28
	s_and_saveexec_b32 s0, s13
	s_cbranch_execnz .LBB155_49
	s_branch .LBB155_50
.LBB155_87:
	s_add_nc_u64 s[20:21], s[20:21], -4
	s_mov_b32 s0, -1
.LBB155_88:
	s_delay_alu instid0(SALU_CYCLE_1)
	s_and_not1_b32 vcc_lo, exec_lo, s0
.LBB155_89:
	flat_load_b32 v14, v14, s[20:21]
	v_mad_i32_i24 v15, 0xffffffd4, v0, v1
	s_wait_dscnt 0x1
	ds_store_b32 v15, v9 offset:12288
	s_wait_loadcnt_dscnt 0x0
	s_barrier_signal -1
	s_barrier_wait -1
	s_and_saveexec_b32 s0, s3
; %bb.90:
	v_mul_i32_i24_e32 v14, 0xffffffd4, v0
	s_delay_alu instid0(VALU_DEP_1)
	v_add_nc_u32_e32 v14, v1, v14
	ds_load_b32 v14, v14 offset:12284
; %bb.91:
	s_or_b32 exec_lo, exec_lo, s0
	s_wait_dscnt 0x0
	s_barrier_signal -1
	s_barrier_wait -1
	s_clause 0xb
	flat_load_b32 v15, v0, s[14:15] scale_offset
	flat_load_b32 v17, v0, s[14:15] offset:1024 scale_offset
	flat_load_b32 v18, v0, s[14:15] offset:2048 scale_offset
	;; [unrolled: 1-line block ×11, first 2 shown]
	v_cmp_ne_u32_e32 vcc_lo, v14, v2
	v_cmp_ne_u32_e64 s4, v8, v9
	s_mov_b32 s39, -1
	s_wait_loadcnt_dscnt 0xa0a
	ds_store_2addr_stride64_b32 v16, v15, v17 offset1:4
	s_wait_loadcnt_dscnt 0x809
	ds_store_2addr_stride64_b32 v16, v18, v20 offset0:8 offset1:12
	s_wait_loadcnt_dscnt 0x608
	ds_store_2addr_stride64_b32 v16, v21, v22 offset0:16 offset1:20
	;; [unrolled: 2-line block ×5, first 2 shown]
	v_cndmask_b32_e64 v19, 0, 1, vcc_lo
	v_cmp_ne_u32_e32 vcc_lo, v2, v3
	s_wait_dscnt 0x0
	s_barrier_signal -1
	s_barrier_wait -1
	v_cndmask_b32_e64 v43, 0, 1, vcc_lo
	v_cmp_ne_u32_e32 vcc_lo, v3, v4
	ds_load_b128 v[22:25], v1
	ds_load_b128 v[26:29], v1 offset:16
	v_cndmask_b32_e64 v47, 0, 1, vcc_lo
	v_cmp_ne_u32_e32 vcc_lo, v4, v5
	v_cndmask_b32_e64 v45, 0, 1, vcc_lo
	v_cmp_ne_u32_e32 vcc_lo, v5, v10
	ds_load_b128 v[2:5], v1 offset:32
	v_cndmask_b32_e64 v49, 0, 1, vcc_lo
	v_cmp_ne_u32_e32 vcc_lo, v10, v11
	s_wait_dscnt 0x2
	v_dual_mov_b32 v18, v22 :: v_dual_mov_b32 v42, v23
	v_cndmask_b32_e64 v51, 0, 1, vcc_lo
	v_cmp_ne_u32_e32 vcc_lo, v11, v12
	v_dual_mov_b32 v46, v24 :: v_dual_mov_b32 v44, v25
	s_wait_dscnt 0x1
	v_dual_mov_b32 v48, v26 :: v_dual_mov_b32 v50, v27
	v_cndmask_b32_e64 v53, 0, 1, vcc_lo
	v_cmp_ne_u32_e32 vcc_lo, v12, v13
	v_dual_mov_b32 v52, v28 :: v_dual_mov_b32 v54, v29
	s_wait_dscnt 0x0
	v_dual_mov_b32 v56, v2 :: v_dual_mov_b32 v58, v3
	v_cndmask_b32_e64 v55, 0, 1, vcc_lo
	v_cmp_ne_u32_e32 vcc_lo, v13, v6
	v_mov_b64_e32 v[38:39], v[42:43]
	v_mov_b64_e32 v[36:37], v[46:47]
	;; [unrolled: 1-line block ×4, first 2 shown]
	v_cndmask_b32_e64 v57, 0, 1, vcc_lo
	v_cmp_ne_u32_e32 vcc_lo, v6, v7
	v_mov_b64_e32 v[30:31], v[50:51]
	v_mov_b64_e32 v[28:29], v[52:53]
	;; [unrolled: 1-line block ×4, first 2 shown]
	v_cndmask_b32_e64 v59, 0, 1, vcc_lo
	v_cmp_ne_u32_e32 vcc_lo, v7, v8
	v_mov_b32_e32 v20, v4
	s_delay_alu instid0(VALU_DEP_3)
	v_mov_b64_e32 v[22:23], v[58:59]
	v_cndmask_b32_e64 v21, 0, 1, vcc_lo
.LBB155_92:
	v_mov_b64_e32 v[40:41], 0
	s_and_saveexec_b32 s0, s39
	s_cbranch_execz .LBB155_94
; %bb.93:
	v_mov_b64_e32 v[22:23], v[58:59]
	v_mov_b64_e32 v[24:25], v[56:57]
	;; [unrolled: 1-line block ×9, first 2 shown]
	v_cndmask_b32_e64 v41, 0, 1, s4
	v_mov_b32_e32 v40, v5
.LBB155_94:
	s_or_b32 exec_lo, exec_lo, s0
	v_dual_lshrrev_b32 v1, 2, v0 :: v_dual_bitop2_b32 v42, v27, v25 bitop3:0x54
	v_or_b32_e32 v17, v23, v21
	s_cmp_lg_u32 s38, 0
	s_wait_dscnt 0x0
	v_cmp_gt_u32_e32 vcc_lo, 32, v0
	s_barrier_signal -1
	s_barrier_wait -1
	s_cbranch_scc0 .LBB155_122
; %bb.95:
	s_mov_b64 s[12:13], 0x100000000
	v_or3_b32 v3, v42, v29, v31
	v_cmp_gt_u64_e64 s0, s[12:13], v[38:39]
	v_cmp_gt_u64_e64 s1, s[12:13], v[36:37]
	;; [unrolled: 1-line block ×7, first 2 shown]
	v_dual_cndmask_b32 v2, 0, v18, s0 :: v_dual_bitop2_b32 v5, 56, v1 bitop3:0x40
	v_cmp_gt_u64_e64 s9, s[12:13], v[24:25]
	v_cmp_gt_u64_e64 s10, s[12:13], v[22:23]
	;; [unrolled: 1-line block ×4, first 2 shown]
	v_add_nc_u32_e32 v2, v2, v38
	v_or3_b32 v3, v3, v33, v35
	v_lshl_add_u32 v5, v0, 3, v5
	s_delay_alu instid0(VALU_DEP_3) | instskip(NEXT) | instid1(VALU_DEP_3)
	v_cndmask_b32_e64 v2, 0, v2, s1
	v_or3_b32 v3, v3, v37, v39
	s_delay_alu instid0(VALU_DEP_2) | instskip(NEXT) | instid1(VALU_DEP_2)
	v_add_nc_u32_e32 v2, v2, v36
	v_or3_b32 v3, v41, v17, v3
	s_delay_alu instid0(VALU_DEP_2) | instskip(NEXT) | instid1(VALU_DEP_2)
	v_cndmask_b32_e64 v2, 0, v2, s4
	v_and_b32_e32 v3, 0xff, v3
	s_delay_alu instid0(VALU_DEP_2) | instskip(NEXT) | instid1(VALU_DEP_1)
	v_add_nc_u32_e32 v2, v2, v34
	v_cndmask_b32_e64 v2, 0, v2, s5
	s_delay_alu instid0(VALU_DEP_1) | instskip(NEXT) | instid1(VALU_DEP_1)
	v_add_nc_u32_e32 v2, v2, v32
	v_cndmask_b32_e64 v2, 0, v2, s6
	s_delay_alu instid0(VALU_DEP_1) | instskip(NEXT) | instid1(VALU_DEP_1)
	;; [unrolled: 3-line block ×7, first 2 shown]
	v_dual_add_nc_u32 v4, v2, v20 :: v_dual_mov_b32 v2, 0
	v_cndmask_b32_e64 v4, 0, v4, s12
	s_delay_alu instid0(VALU_DEP_2) | instskip(NEXT) | instid1(VALU_DEP_1)
	v_cmp_eq_u64_e64 s13, 0, v[2:3]
	v_dual_add_nc_u32 v12, v4, v40 :: v_dual_cndmask_b32 v13, 1, v19, s13
	ds_store_b32 v5, v12
	ds_store_b8 v5, v13 offset:4
	s_wait_dscnt 0x0
	s_barrier_signal -1
	s_barrier_wait -1
	s_and_saveexec_b32 s14, vcc_lo
	s_cbranch_execz .LBB155_105
; %bb.96:
	v_dual_lshlrev_b32 v2, 1, v0 :: v_dual_lshlrev_b32 v3, 6, v0
	s_mov_b32 s15, exec_lo
	s_delay_alu instid0(VALU_DEP_1) | instskip(NEXT) | instid1(VALU_DEP_1)
	v_and_b32_e32 v2, 0x1f8, v2
	v_add_nc_u32_e32 v4, v2, v3
	ds_load_u8 v5, v4 offset:12
	ds_load_b64 v[2:3], v4
	ds_load_2addr_b32 v[6:7], v4 offset0:2 offset1:4
	ds_load_u8 v10, v4 offset:20
	ds_load_u8 v11, v4 offset:28
	;; [unrolled: 1-line block ×5, first 2 shown]
	ds_load_b32 v44, v4 offset:56
	s_wait_dscnt 0x8
	v_cmp_eq_u16_e64 s13, 0, v5
	s_wait_dscnt 0x5
	s_delay_alu instid0(VALU_DEP_1)
	v_dual_cndmask_b32 v45, 0, v2, s13 :: v_dual_bitop2_b32 v5, v10, v5 bitop3:0x54
	ds_load_2addr_b32 v[8:9], v4 offset0:6 offset1:8
	v_cmp_eq_u16_e64 s13, 0, v10
	s_wait_dscnt 0x4
	v_bitop3_b16 v5, v5, v14, v11 bitop3:0xfe
	v_add_nc_u32_e32 v6, v45, v6
	s_delay_alu instid0(VALU_DEP_1) | instskip(SKIP_1) | instid1(VALU_DEP_2)
	v_cndmask_b32_e64 v6, 0, v6, s13
	v_cmp_eq_u16_e64 s13, 0, v11
	v_add_nc_u32_e32 v6, v6, v7
	s_delay_alu instid0(VALU_DEP_1)
	v_cndmask_b32_e64 v45, 0, v6, s13
	ds_load_2addr_b32 v[6:7], v4 offset0:10 offset1:12
	v_cmp_eq_u16_e64 s13, 0, v14
	s_wait_dscnt 0x1
	v_add_nc_u32_e32 v8, v45, v8
	ds_load_u8 v45, v4 offset:60
	v_cndmask_b32_e64 v8, 0, v8, s13
	v_cmp_eq_u16_e64 s13, 0, v15
	s_delay_alu instid0(VALU_DEP_2) | instskip(SKIP_1) | instid1(VALU_DEP_2)
	v_add_nc_u32_e32 v8, v8, v9
	v_bitop3_b16 v9, v5, v43, v15 bitop3:0xfe
	v_dual_cndmask_b32 v8, 0, v8, s13 :: v_dual_bitop2_b32 v5, 1, v3 bitop3:0x40
	s_delay_alu instid0(VALU_DEP_2) | instskip(SKIP_1) | instid1(VALU_DEP_2)
	v_cmp_eq_u16_e64 s13, 0, v9
	s_wait_dscnt 0x0
	v_dual_add_nc_u32 v6, v8, v6 :: v_dual_bitop2_b32 v8, 1, v45 bitop3:0x40
	s_delay_alu instid0(VALU_DEP_2) | instskip(SKIP_1) | instid1(VALU_DEP_1)
	v_cndmask_b32_e64 v9, 1, v5, s13
	v_cmp_eq_u16_e64 s13, 0, v43
	v_cndmask_b32_e64 v6, 0, v6, s13
	s_delay_alu instid0(VALU_DEP_4) | instskip(SKIP_1) | instid1(VALU_DEP_2)
	v_cmp_eq_u32_e64 s13, 1, v8
	v_mbcnt_lo_u32_b32 v8, -1, 0
	v_cndmask_b32_e64 v9, v9, 1, s13
	v_cmp_eq_u16_e64 s13, 0, v45
	s_delay_alu instid0(VALU_DEP_2) | instskip(SKIP_2) | instid1(VALU_DEP_1)
	v_and_b32_e32 v10, 0xffff, v9
	v_add_nc_u32_e32 v7, v6, v7
	v_and_b32_e32 v6, 0xffffff00, v3
	v_dual_cndmask_b32 v7, 0, v7, s13 :: v_dual_bitop2_b32 v11, v6, v10 bitop3:0x54
	v_and_b32_e32 v10, 15, v8
	s_delay_alu instid0(VALU_DEP_2) | instskip(NEXT) | instid1(VALU_DEP_3)
	v_mov_b32_dpp v15, v11 row_shr:1 row_mask:0xf bank_mask:0xf
	v_add_nc_u32_e32 v7, v7, v44
	s_delay_alu instid0(VALU_DEP_1) | instskip(NEXT) | instid1(VALU_DEP_4)
	v_mov_b32_dpp v14, v7 row_shr:1 row_mask:0xf bank_mask:0xf
	v_cmpx_ne_u32_e32 0, v10
	s_cbranch_execz .LBB155_98
; %bb.97:
	v_and_b32_e32 v11, 1, v9
	v_and_b32_e32 v15, 1, v15
	s_delay_alu instid0(VALU_DEP_2) | instskip(NEXT) | instid1(VALU_DEP_1)
	v_cmp_eq_u32_e64 s13, 1, v11
	v_cndmask_b32_e64 v15, v15, 1, s13
	v_cmp_eq_u16_e64 s13, 0, v9
	s_delay_alu instid0(VALU_DEP_2) | instskip(NEXT) | instid1(VALU_DEP_1)
	v_and_b32_e32 v11, 0xffff, v15
	v_dual_cndmask_b32 v9, 0, v14, s13 :: v_dual_bitop2_b32 v11, v6, v11 bitop3:0x54
	s_delay_alu instid0(VALU_DEP_1)
	v_dual_add_nc_u32 v7, v9, v7 :: v_dual_mov_b32 v9, v15
.LBB155_98:
	s_or_b32 exec_lo, exec_lo, s15
	s_delay_alu instid0(VALU_DEP_1) | instskip(NEXT) | instid1(VALU_DEP_3)
	v_mov_b32_dpp v14, v7 row_shr:2 row_mask:0xf bank_mask:0xf
	v_mov_b32_dpp v15, v11 row_shr:2 row_mask:0xf bank_mask:0xf
	s_mov_b32 s15, exec_lo
	v_cmpx_lt_u32_e32 1, v10
	s_cbranch_execz .LBB155_100
; %bb.99:
	v_and_b32_e32 v11, 1, v9
	v_and_b32_e32 v15, 1, v15
	s_delay_alu instid0(VALU_DEP_2) | instskip(NEXT) | instid1(VALU_DEP_1)
	v_cmp_eq_u32_e64 s13, 1, v11
	v_cndmask_b32_e64 v15, v15, 1, s13
	v_cmp_eq_u16_e64 s13, 0, v9
	s_delay_alu instid0(VALU_DEP_2) | instskip(NEXT) | instid1(VALU_DEP_1)
	v_and_b32_e32 v11, 0xffff, v15
	v_dual_cndmask_b32 v9, 0, v14, s13 :: v_dual_bitop2_b32 v11, v6, v11 bitop3:0x54
	s_delay_alu instid0(VALU_DEP_1)
	v_dual_add_nc_u32 v7, v9, v7 :: v_dual_mov_b32 v9, v15
.LBB155_100:
	s_or_b32 exec_lo, exec_lo, s15
	s_delay_alu instid0(VALU_DEP_1) | instskip(NEXT) | instid1(VALU_DEP_3)
	v_mov_b32_dpp v14, v7 row_shr:4 row_mask:0xf bank_mask:0xf
	v_mov_b32_dpp v15, v11 row_shr:4 row_mask:0xf bank_mask:0xf
	s_mov_b32 s15, exec_lo
	v_cmpx_lt_u32_e32 3, v10
	;; [unrolled: 20-line block ×3, first 2 shown]
	s_cbranch_execz .LBB155_104
; %bb.103:
	v_and_b32_e32 v10, 1, v9
	v_and_b32_e32 v11, 1, v15
	s_delay_alu instid0(VALU_DEP_2) | instskip(NEXT) | instid1(VALU_DEP_1)
	v_cmp_eq_u32_e64 s13, 1, v10
	v_cndmask_b32_e64 v10, v11, 1, s13
	v_cmp_eq_u16_e64 s13, 0, v9
	s_delay_alu instid0(VALU_DEP_2) | instskip(NEXT) | instid1(VALU_DEP_1)
	v_and_b32_e32 v11, 0xffff, v10
	v_dual_cndmask_b32 v9, 0, v14, s13 :: v_dual_bitop2_b32 v11, v6, v11 bitop3:0x54
	s_delay_alu instid0(VALU_DEP_1)
	v_dual_add_nc_u32 v7, v9, v7 :: v_dual_mov_b32 v9, v10
.LBB155_104:
	s_or_b32 exec_lo, exec_lo, s15
	ds_swizzle_b32 v10, v11 offset:swizzle(BROADCAST,32,15)
	ds_swizzle_b32 v11, v7 offset:swizzle(BROADCAST,32,15)
	v_and_b32_e32 v14, 1, v9
	v_bfe_i32 v43, v8, 4, 1
	v_and_b32_e32 v3, 0xff, v3
	; wave barrier
	s_delay_alu instid0(VALU_DEP_3) | instskip(SKIP_2) | instid1(VALU_DEP_1)
	v_cmp_eq_u32_e64 s13, 1, v14
	s_wait_dscnt 0x1
	v_dual_add_nc_u32 v14, -1, v8 :: v_dual_bitop2_b32 v10, 1, v10 bitop3:0x40
	v_cndmask_b32_e64 v10, v10, 1, s13
	v_and_b32_e32 v15, 16, v8
	v_cmp_eq_u16_e64 s13, 0, v9
	s_wait_dscnt 0x0
	s_delay_alu instid0(VALU_DEP_1) | instskip(NEXT) | instid1(VALU_DEP_3)
	v_cndmask_b32_e64 v11, 0, v11, s13
	v_cmp_eq_u32_e64 s13, 0, v15
	s_delay_alu instid0(VALU_DEP_1) | instskip(SKIP_1) | instid1(VALU_DEP_4)
	v_cndmask_b32_e64 v9, v10, v9, s13
	v_cmp_gt_i32_e64 s13, 0, v14
	v_and_b32_e32 v10, v43, v11
	s_delay_alu instid0(VALU_DEP_3) | instskip(NEXT) | instid1(VALU_DEP_3)
	v_and_b32_e32 v9, 0xffff, v9
	v_cndmask_b32_e64 v8, v14, v8, s13
	s_delay_alu instid0(VALU_DEP_3) | instskip(SKIP_1) | instid1(VALU_DEP_3)
	v_add_nc_u32_e32 v7, v10, v7
	v_cmp_eq_u16_e64 s13, 0, v3
	v_lshlrev_b32_e32 v8, 2, v8
	ds_bpermute_b32 v7, v8, v7
	s_wait_dscnt 0x0
	v_dual_cndmask_b32 v3, 0, v7, s13 :: v_dual_bitop2_b32 v6, v6, v9 bitop3:0x54
	ds_bpermute_b32 v6, v8, v6
	v_cmp_eq_u32_e64 s13, 1, v5
	v_add_nc_u32_e32 v2, v3, v2
	s_wait_dscnt 0x0
	s_delay_alu instid0(VALU_DEP_1) | instskip(NEXT) | instid1(VALU_DEP_1)
	v_dual_cndmask_b32 v5, v2, v12, s2 :: v_dual_bitop2_b32 v6, 1, v6 bitop3:0x40
	v_cndmask_b32_e64 v3, v6, 1, s13
	s_delay_alu instid0(VALU_DEP_1)
	v_cndmask_b32_e64 v8, v3, v13, s2
	ds_store_b32 v4, v5
	ds_store_b8 v4, v8 offset:4
	; wave barrier
	ds_load_u8 v9, v4 offset:12
	ds_load_2addr_b32 v[2:3], v4 offset0:2 offset1:4
	ds_load_u8 v10, v4 offset:20
	ds_load_u8 v11, v4 offset:28
	;; [unrolled: 1-line block ×5, first 2 shown]
	ds_load_b32 v44, v4 offset:56
	ds_load_u8 v45, v4 offset:60
	ds_load_2addr_b32 v[6:7], v4 offset0:6 offset1:8
	s_wait_dscnt 0x9
	v_cmp_eq_u16_e64 s13, 0, v9
	v_and_b32_e32 v9, 1, v9
	s_delay_alu instid0(VALU_DEP_2) | instskip(SKIP_2) | instid1(VALU_DEP_2)
	v_cndmask_b32_e64 v5, 0, v5, s13
	s_wait_dscnt 0x7
	v_cmp_eq_u16_e64 s13, 0, v10
	v_add_nc_u32_e32 v5, v5, v2
	s_delay_alu instid0(VALU_DEP_1) | instskip(SKIP_2) | instid1(VALU_DEP_2)
	v_cndmask_b32_e64 v2, 0, v5, s13
	s_wait_dscnt 0x6
	v_cmp_eq_u16_e64 s13, 0, v11
	v_add_nc_u32_e32 v46, v2, v3
	ds_load_2addr_b32 v[2:3], v4 offset0:10 offset1:12
	v_cndmask_b32_e64 v47, 0, v46, s13
	s_wait_dscnt 0x6
	v_cmp_eq_u16_e64 s13, 0, v14
	ds_store_2addr_b32 v4, v5, v46 offset0:2 offset1:4
	s_wait_dscnt 0x2
	v_add_nc_u32_e32 v6, v47, v6
	s_delay_alu instid0(VALU_DEP_1) | instskip(SKIP_3) | instid1(VALU_DEP_4)
	v_cndmask_b32_e64 v47, 0, v6, s13
	v_and_b32_e32 v10, 1, v10
	v_cmp_eq_u32_e64 s13, 1, v9
	v_and_b32_e32 v9, 1, v11
	v_dual_add_nc_u32 v7, v47, v7 :: v_dual_bitop2_b32 v11, 1, v14 bitop3:0x40
	s_delay_alu instid0(VALU_DEP_3) | instskip(SKIP_1) | instid1(VALU_DEP_1)
	v_cndmask_b32_e64 v8, v8, 1, s13
	v_cmp_eq_u32_e64 s13, 1, v10
	v_cndmask_b32_e64 v10, v8, 1, s13
	v_cmp_eq_u16_e64 s13, 0, v15
	s_delay_alu instid0(VALU_DEP_1) | instskip(SKIP_2) | instid1(VALU_DEP_2)
	v_cndmask_b32_e64 v14, 0, v7, s13
	v_cmp_eq_u32_e64 s13, 1, v9
	s_wait_dscnt 0x1
	v_dual_add_nc_u32 v2, v14, v2 :: v_dual_bitop2_b32 v15, 1, v15 bitop3:0x40
	s_delay_alu instid0(VALU_DEP_2) | instskip(SKIP_1) | instid1(VALU_DEP_1)
	v_cndmask_b32_e64 v9, v10, 1, s13
	v_cmp_eq_u32_e64 s13, 1, v11
	v_cndmask_b32_e64 v11, v9, 1, s13
	v_cmp_eq_u16_e64 s13, 0, v43
	s_delay_alu instid0(VALU_DEP_1) | instskip(SKIP_1) | instid1(VALU_DEP_2)
	v_dual_cndmask_b32 v43, 0, v2, s13 :: v_dual_bitop2_b32 v14, 1, v43 bitop3:0x40
	v_cmp_eq_u32_e64 s13, 1, v15
	v_add_nc_u32_e32 v3, v43, v3
	s_delay_alu instid0(VALU_DEP_2) | instskip(NEXT) | instid1(VALU_DEP_4)
	v_cndmask_b32_e64 v15, v11, 1, s13
	v_cmp_eq_u32_e64 s13, 1, v14
	ds_store_2addr_b32 v4, v6, v7 offset0:6 offset1:8
	ds_store_2addr_b32 v4, v2, v3 offset0:10 offset1:12
	v_cndmask_b32_e64 v14, v15, 1, s13
	v_cmp_eq_u16_e64 s13, 0, v45
	s_delay_alu instid0(VALU_DEP_1) | instskip(NEXT) | instid1(VALU_DEP_1)
	v_dual_cndmask_b32 v5, 0, v3, s13 :: v_dual_bitop2_b32 v47, 1, v45 bitop3:0x40
	v_cmp_eq_u32_e64 s13, 1, v47
	s_delay_alu instid0(VALU_DEP_2) | instskip(NEXT) | instid1(VALU_DEP_2)
	v_add_nc_u32_e32 v2, v5, v44
	v_cndmask_b32_e64 v43, v14, 1, s13
	ds_store_b8 v4, v8 offset:12
	ds_store_b8 v4, v10 offset:20
	;; [unrolled: 1-line block ×6, first 2 shown]
	ds_store_b32 v4, v2 offset:56
	ds_store_b8 v4, v43 offset:60
.LBB155_105:
	s_or_b32 exec_lo, exec_lo, s14
	s_wait_dscnt 0x0
	s_barrier_signal -1
	s_barrier_wait -1
	s_and_saveexec_b32 s13, s3
	s_cbranch_execz .LBB155_107
; %bb.106:
	v_add_nc_u32_e32 v2, -1, v0
	s_delay_alu instid0(VALU_DEP_1) | instskip(NEXT) | instid1(VALU_DEP_1)
	v_lshrrev_b32_e32 v3, 2, v2
	v_and_b32_e32 v3, 0x3ffffff8, v3
	s_delay_alu instid0(VALU_DEP_1)
	v_lshl_add_u32 v2, v2, 3, v3
	ds_load_b32 v12, v2
	ds_load_u8 v13, v2 offset:4
.LBB155_107:
	s_or_b32 exec_lo, exec_lo, s13
	s_and_saveexec_b32 s24, vcc_lo
	s_cbranch_execz .LBB155_167
; %bb.108:
	v_mov_b32_e32 v5, 0
	v_mbcnt_lo_u32_b32 v14, -1, 0
	s_mov_b32 s15, 0
	ds_load_b64 v[2:3], v5 offset:2096
	v_cmp_eq_u32_e64 s13, 0, v14
	s_and_saveexec_b32 s20, s13
	s_cbranch_execz .LBB155_110
; %bb.109:
	s_add_co_i32 s14, s38, 32
	v_mov_b32_e32 v4, 1
	s_lshl_b64 s[14:15], s[14:15], 4
	s_delay_alu instid0(SALU_CYCLE_1) | instskip(NEXT) | instid1(SALU_CYCLE_1)
	s_add_nc_u64 s[14:15], s[28:29], s[14:15]
	v_mov_b64_e32 v[6:7], s[14:15]
	s_wait_dscnt 0x0
	;;#ASMSTART
	global_store_b128 v[6:7], v[2:5] off scope:SCOPE_DEV	
s_wait_storecnt 0x0
	;;#ASMEND
.LBB155_110:
	s_or_b32 exec_lo, exec_lo, s20
	v_xad_u32 v8, v14, -1, s38
	s_mov_b32 s14, exec_lo
	s_delay_alu instid0(VALU_DEP_1) | instskip(NEXT) | instid1(VALU_DEP_1)
	v_add_nc_u32_e32 v4, 32, v8
	v_lshl_add_u64 v[10:11], v[4:5], 4, s[28:29]
	;;#ASMSTART
	global_load_b128 v[4:7], v[10:11] off scope:SCOPE_DEV	
s_wait_loadcnt 0x0
	;;#ASMEND
	v_and_b32_e32 v7, 0xff, v6
	v_and_b32_e32 v5, 0xff, v5
	s_delay_alu instid0(VALU_DEP_2)
	v_cmpx_eq_u16_e32 0, v7
	s_cbranch_execz .LBB155_114
; %bb.111:
	s_mov_b32 s15, 0
.LBB155_112:                            ; =>This Inner Loop Header: Depth=1
	;;#ASMSTART
	global_load_b128 v[4:7], v[10:11] off scope:SCOPE_DEV	
s_wait_loadcnt 0x0
	;;#ASMEND
	v_and_b32_e32 v7, 0xff, v6
	s_delay_alu instid0(VALU_DEP_1) | instskip(SKIP_1) | instid1(SALU_CYCLE_1)
	v_cmp_ne_u16_e32 vcc_lo, 0, v7
	s_or_b32 s15, vcc_lo, s15
	s_and_not1_b32 exec_lo, exec_lo, s15
	s_cbranch_execnz .LBB155_112
; %bb.113:
	s_or_b32 exec_lo, exec_lo, s15
	v_and_b32_e32 v5, 0xff, v5
.LBB155_114:
	s_or_b32 exec_lo, exec_lo, s14
	v_cmp_ne_u32_e32 vcc_lo, 31, v14
	v_and_b32_e32 v9, 0xff, v6
	v_lshlrev_b32_e64 v43, v14, -1
	s_mov_b64 s[20:21], 0x100000000
	v_lshl_or_b32 v52, v14, 2, 64
	v_add_co_ci_u32_e64 v7, null, 0, v14, vcc_lo
	v_cmp_eq_u16_e32 vcc_lo, 2, v9
	v_cmp_gt_u64_e64 s14, s[20:21], v[4:5]
	s_delay_alu instid0(VALU_DEP_3) | instskip(SKIP_1) | instid1(VALU_DEP_2)
	v_dual_lshlrev_b32 v15, 2, v7 :: v_dual_bitop2_b32 v10, 1, v5 bitop3:0x40
	v_and_or_b32 v9, vcc_lo, v43, 0x80000000
	v_cmp_eq_u32_e32 vcc_lo, 1, v10
	ds_bpermute_b32 v7, v15, v5
	ds_bpermute_b32 v10, v15, v4
	v_ctz_i32_b32_e32 v9, v9
	s_wait_dscnt 0x1
	v_and_b32_e32 v7, 1, v7
	s_delay_alu instid0(VALU_DEP_1) | instskip(SKIP_1) | instid1(VALU_DEP_2)
	v_cndmask_b32_e64 v7, v7, 1, vcc_lo
	v_cmp_gt_u32_e32 vcc_lo, 30, v14
	v_and_b32_e32 v45, 0xffff, v7
	v_cndmask_b32_e64 v11, 0, 2, vcc_lo
	v_cmp_lt_u32_e32 vcc_lo, v14, v9
	s_delay_alu instid0(VALU_DEP_2) | instskip(NEXT) | instid1(VALU_DEP_4)
	v_add_lshl_u32 v44, v11, v14, 2
	v_dual_cndmask_b32 v11, v5, v45, vcc_lo :: v_dual_cndmask_b32 v7, v5, v7, vcc_lo
	s_and_b32 vcc_lo, vcc_lo, s14
	v_add_nc_u32_e32 v45, 2, v14
	s_wait_dscnt 0x0
	v_cndmask_b32_e32 v10, 0, v10, vcc_lo
	ds_bpermute_b32 v5, v44, v11
	v_and_b32_e32 v46, 1, v7
	v_and_b32_e32 v48, 0xff, v7
	v_add_nc_u32_e32 v4, v10, v4
	s_delay_alu instid0(VALU_DEP_3) | instskip(NEXT) | instid1(VALU_DEP_3)
	v_cmp_eq_u32_e32 vcc_lo, 1, v46
	v_cmp_eq_u16_e64 s14, 0, v48
	ds_bpermute_b32 v10, v44, v4
	s_wait_dscnt 0x1
	v_and_b32_e32 v5, 1, v5
	s_delay_alu instid0(VALU_DEP_1) | instskip(SKIP_3) | instid1(VALU_DEP_3)
	v_cndmask_b32_e64 v5, v5, 1, vcc_lo
	v_cmp_gt_u32_e32 vcc_lo, 28, v14
	s_wait_dscnt 0x0
	v_cndmask_b32_e64 v10, 0, v10, s14
	v_and_b32_e32 v47, 0xffff, v5
	v_cndmask_b32_e64 v46, 0, 4, vcc_lo
	v_cmp_gt_u32_e32 vcc_lo, v45, v9
	s_delay_alu instid0(VALU_DEP_2) | instskip(SKIP_3) | instid1(VALU_DEP_2)
	v_add_lshl_u32 v46, v46, v14, 2
	v_cndmask_b32_e32 v5, v5, v7, vcc_lo
	v_cndmask_b32_e64 v10, v10, 0, vcc_lo
	v_dual_cndmask_b32 v7, v47, v11, vcc_lo :: v_dual_add_nc_u32 v47, 4, v14
	v_dual_add_nc_u32 v4, v10, v4 :: v_dual_bitop2_b32 v48, 1, v5 bitop3:0x40
	ds_bpermute_b32 v11, v46, v7
	v_cmp_eq_u32_e32 vcc_lo, 1, v48
	ds_bpermute_b32 v10, v46, v4
	v_and_b32_e32 v48, 0xff, v5
	s_delay_alu instid0(VALU_DEP_1) | instskip(SKIP_1) | instid1(VALU_DEP_1)
	v_cmp_eq_u16_e64 s14, 0, v48
	s_wait_dscnt 0x0
	v_dual_cndmask_b32 v10, 0, v10, s14 :: v_dual_bitop2_b32 v11, 1, v11 bitop3:0x40
	s_delay_alu instid0(VALU_DEP_1) | instskip(SKIP_1) | instid1(VALU_DEP_2)
	v_cndmask_b32_e64 v11, v11, 1, vcc_lo
	v_cmp_gt_u32_e32 vcc_lo, 24, v14
	v_and_b32_e32 v50, 0xffff, v11
	v_cndmask_b32_e64 v49, 0, 8, vcc_lo
	v_cmp_gt_u32_e32 vcc_lo, v47, v9
	s_delay_alu instid0(VALU_DEP_2) | instskip(NEXT) | instid1(VALU_DEP_4)
	v_add_lshl_u32 v48, v49, v14, 2
	v_dual_cndmask_b32 v5, v11, v5, vcc_lo :: v_dual_cndmask_b32 v7, v50, v7, vcc_lo
	v_cndmask_b32_e64 v10, v10, 0, vcc_lo
	s_delay_alu instid0(VALU_DEP_2)
	v_dual_add_nc_u32 v49, 8, v14 :: v_dual_bitop2_b32 v50, 1, v5 bitop3:0x40
	ds_bpermute_b32 v11, v48, v7
	v_add_nc_u32_e32 v4, v10, v4
	v_and_b32_e32 v51, 0xff, v5
	v_cmp_eq_u32_e32 vcc_lo, 1, v50
	ds_bpermute_b32 v10, v48, v4
	s_wait_dscnt 0x1
	v_and_b32_e32 v11, 1, v11
	s_delay_alu instid0(VALU_DEP_1) | instskip(SKIP_1) | instid1(VALU_DEP_2)
	v_cndmask_b32_e64 v11, v11, 1, vcc_lo
	v_cmp_eq_u16_e32 vcc_lo, 0, v51
	v_and_b32_e32 v50, 0xffff, v11
	s_wait_dscnt 0x0
	v_cndmask_b32_e32 v10, 0, v10, vcc_lo
	v_cmp_gt_u32_e32 vcc_lo, v49, v9
	s_delay_alu instid0(VALU_DEP_3) | instskip(NEXT) | instid1(VALU_DEP_3)
	v_dual_cndmask_b32 v5, v11, v5, vcc_lo :: v_dual_cndmask_b32 v7, v50, v7, vcc_lo
	v_cndmask_b32_e64 v10, v10, 0, vcc_lo
	s_delay_alu instid0(VALU_DEP_2) | instskip(SKIP_3) | instid1(VALU_DEP_1)
	v_and_b32_e32 v50, 1, v5
	ds_bpermute_b32 v7, v52, v7
	v_add_nc_u32_e32 v4, v10, v4
	v_and_b32_e32 v11, 0xff, v5
	v_cmp_eq_u16_e32 vcc_lo, 0, v11
	s_wait_dscnt 0x0
	v_and_b32_e32 v7, 1, v7
	ds_bpermute_b32 v10, v52, v4
	s_wait_dscnt 0x0
	v_cndmask_b32_e32 v10, 0, v10, vcc_lo
	v_cmp_eq_u32_e32 vcc_lo, 1, v50
	v_cndmask_b32_e64 v7, v7, 1, vcc_lo
	v_add_nc_u32_e32 v53, 16, v14
	s_delay_alu instid0(VALU_DEP_1) | instskip(NEXT) | instid1(VALU_DEP_3)
	v_cmp_gt_u32_e32 vcc_lo, v53, v9
	v_dual_mov_b32 v9, 0 :: v_dual_cndmask_b32 v5, v7, v5, vcc_lo
	v_cndmask_b32_e64 v7, v10, 0, vcc_lo
	s_delay_alu instid0(VALU_DEP_1)
	v_add_nc_u32_e32 v4, v7, v4
	s_branch .LBB155_118
.LBB155_115:                            ;   in Loop: Header=BB155_118 Depth=1
	s_or_b32 exec_lo, exec_lo, s15
	v_and_b32_e32 v5, 0xff, v5
.LBB155_116:                            ;   in Loop: Header=BB155_118 Depth=1
	s_or_b32 exec_lo, exec_lo, s14
	ds_bpermute_b32 v7, v15, v5
	v_and_b32_e32 v10, 0xff, v6
	v_cmp_gt_u64_e64 s14, s[20:21], v[4:5]
	v_subrev_nc_u32_e32 v8, 32, v8
	s_delay_alu instid0(VALU_DEP_3) | instskip(SKIP_2) | instid1(VALU_DEP_2)
	v_cmp_eq_u16_e32 vcc_lo, 2, v10
	v_and_b32_e32 v10, 1, v5
	v_and_or_b32 v11, vcc_lo, v43, 0x80000000
	v_cmp_eq_u32_e32 vcc_lo, 1, v10
	s_delay_alu instid0(VALU_DEP_2) | instskip(SKIP_3) | instid1(VALU_DEP_1)
	v_ctz_i32_b32_e32 v10, v11
	ds_bpermute_b32 v11, v15, v4
	s_wait_dscnt 0x1
	v_and_b32_e32 v7, 1, v7
	v_cndmask_b32_e64 v7, v7, 1, vcc_lo
	v_cmp_lt_u32_e32 vcc_lo, v14, v10
	s_delay_alu instid0(VALU_DEP_2) | instskip(NEXT) | instid1(VALU_DEP_1)
	v_and_b32_e32 v54, 0xffff, v7
	v_dual_cndmask_b32 v7, v5, v7 :: v_dual_cndmask_b32 v54, v5, v54
	s_and_b32 vcc_lo, vcc_lo, s14
	s_delay_alu instid0(VALU_DEP_1)
	v_and_b32_e32 v56, 0xff, v7
	v_and_b32_e32 v55, 1, v7
	ds_bpermute_b32 v5, v44, v54
	s_wait_dscnt 0x1
	v_cndmask_b32_e32 v11, 0, v11, vcc_lo
	v_cmp_eq_u16_e64 s14, 0, v56
	v_cmp_eq_u32_e32 vcc_lo, 1, v55
	s_wait_dscnt 0x0
	s_delay_alu instid0(VALU_DEP_3) | instskip(NEXT) | instid1(VALU_DEP_1)
	v_dual_add_nc_u32 v4, v11, v4 :: v_dual_bitop2_b32 v5, 1, v5 bitop3:0x40
	v_cndmask_b32_e64 v5, v5, 1, vcc_lo
	ds_bpermute_b32 v11, v44, v4
	v_cmp_gt_u32_e32 vcc_lo, v45, v10
	v_and_b32_e32 v55, 0xffff, v5
	s_delay_alu instid0(VALU_DEP_1) | instskip(NEXT) | instid1(VALU_DEP_1)
	v_dual_cndmask_b32 v5, v5, v7, vcc_lo :: v_dual_cndmask_b32 v7, v55, v54, vcc_lo
	v_and_b32_e32 v55, 1, v5
	ds_bpermute_b32 v54, v46, v7
	s_wait_dscnt 0x1
	v_cndmask_b32_e64 v11, 0, v11, s14
	s_delay_alu instid0(VALU_DEP_1) | instskip(SKIP_2) | instid1(VALU_DEP_3)
	v_cndmask_b32_e64 v11, v11, 0, vcc_lo
	v_cmp_eq_u32_e32 vcc_lo, 1, v55
	v_and_b32_e32 v55, 0xff, v5
	v_add_nc_u32_e32 v4, v11, v4
	s_delay_alu instid0(VALU_DEP_2)
	v_cmp_eq_u16_e64 s14, 0, v55
	s_wait_dscnt 0x0
	v_and_b32_e32 v54, 1, v54
	ds_bpermute_b32 v11, v46, v4
	v_cndmask_b32_e64 v54, v54, 1, vcc_lo
	v_cmp_gt_u32_e32 vcc_lo, v47, v10
	s_delay_alu instid0(VALU_DEP_2) | instskip(SKIP_3) | instid1(VALU_DEP_1)
	v_and_b32_e32 v56, 0xffff, v54
	s_wait_dscnt 0x0
	v_dual_cndmask_b32 v5, v54, v5, vcc_lo :: v_dual_cndmask_b32 v11, 0, v11, s14
	s_mov_b32 s14, 0
	v_cndmask_b32_e64 v11, v11, 0, vcc_lo
	v_cndmask_b32_e32 v7, v56, v7, vcc_lo
	s_delay_alu instid0(VALU_DEP_3) | instskip(NEXT) | instid1(VALU_DEP_3)
	v_and_b32_e32 v56, 0xff, v5
	v_add_nc_u32_e32 v4, v11, v4
	ds_bpermute_b32 v54, v48, v7
	ds_bpermute_b32 v11, v48, v4
	v_and_b32_e32 v55, 1, v5
	s_delay_alu instid0(VALU_DEP_1) | instskip(SKIP_2) | instid1(VALU_DEP_1)
	v_cmp_eq_u32_e32 vcc_lo, 1, v55
	s_wait_dscnt 0x1
	v_and_b32_e32 v54, 1, v54
	v_cndmask_b32_e64 v54, v54, 1, vcc_lo
	v_cmp_eq_u16_e32 vcc_lo, 0, v56
	s_delay_alu instid0(VALU_DEP_2) | instskip(SKIP_3) | instid1(VALU_DEP_2)
	v_and_b32_e32 v55, 0xffff, v54
	s_wait_dscnt 0x0
	v_cndmask_b32_e32 v11, 0, v11, vcc_lo
	v_cmp_gt_u32_e32 vcc_lo, v49, v10
	v_cndmask_b32_e64 v11, v11, 0, vcc_lo
	v_dual_cndmask_b32 v7, v55, v7, vcc_lo :: v_dual_cndmask_b32 v5, v54, v5, vcc_lo
	s_delay_alu instid0(VALU_DEP_2) | instskip(SKIP_4) | instid1(VALU_DEP_1)
	v_add_nc_u32_e32 v4, v11, v4
	ds_bpermute_b32 v7, v52, v7
	v_and_b32_e32 v55, 0xff, v5
	ds_bpermute_b32 v11, v52, v4
	v_and_b32_e32 v54, 1, v5
	v_cmp_eq_u32_e32 vcc_lo, 1, v54
	s_wait_dscnt 0x1
	v_cndmask_b32_e64 v7, v7, 1, vcc_lo
	v_cmp_eq_u16_e32 vcc_lo, 0, v55
	s_wait_dscnt 0x0
	v_cndmask_b32_e32 v11, 0, v11, vcc_lo
	v_cmp_gt_u32_e32 vcc_lo, v53, v10
	v_and_b32_e32 v10, 0xff, v50
	v_cndmask_b32_e32 v5, v7, v5, vcc_lo
	s_delay_alu instid0(VALU_DEP_4) | instskip(NEXT) | instid1(VALU_DEP_3)
	v_cndmask_b32_e64 v7, v11, 0, vcc_lo
	v_cmp_eq_u16_e32 vcc_lo, 0, v10
	s_delay_alu instid0(VALU_DEP_2) | instskip(NEXT) | instid1(VALU_DEP_1)
	v_dual_add_nc_u32 v4, v7, v4 :: v_dual_bitop2_b32 v7, 1, v50 bitop3:0x40
	v_dual_cndmask_b32 v4, 0, v4, vcc_lo :: v_dual_bitop2_b32 v5, 1, v5 bitop3:0x40
	s_delay_alu instid0(VALU_DEP_2) | instskip(NEXT) | instid1(VALU_DEP_2)
	v_cmp_eq_u32_e32 vcc_lo, 1, v7
	v_add_nc_u32_e32 v4, v4, v51
	s_delay_alu instid0(VALU_DEP_3)
	v_cndmask_b32_e64 v5, v5, 1, vcc_lo
.LBB155_117:                            ;   in Loop: Header=BB155_118 Depth=1
	s_and_b32 vcc_lo, exec_lo, s14
	s_cbranch_vccnz .LBB155_163
.LBB155_118:                            ; =>This Loop Header: Depth=1
                                        ;     Child Loop BB155_121 Depth 2
	v_and_b32_e32 v6, 0xff, v6
	s_delay_alu instid0(VALU_DEP_2) | instskip(SKIP_1) | instid1(VALU_DEP_2)
	v_dual_mov_b32 v50, v5 :: v_dual_mov_b32 v51, v4
	s_mov_b32 s14, -1
                                        ; implicit-def: $vgpr5
                                        ; implicit-def: $vgpr4
	v_cmp_ne_u16_e32 vcc_lo, 2, v6
                                        ; implicit-def: $vgpr6
	s_cmp_lg_u32 vcc_lo, exec_lo
	s_cbranch_scc1 .LBB155_117
; %bb.119:                              ;   in Loop: Header=BB155_118 Depth=1
	v_lshl_add_u64 v[10:11], v[8:9], 4, s[28:29]
	;;#ASMSTART
	global_load_b128 v[4:7], v[10:11] off scope:SCOPE_DEV	
s_wait_loadcnt 0x0
	;;#ASMEND
	v_and_b32_e32 v7, 0xff, v6
	v_and_b32_e32 v5, 0xff, v5
	s_mov_b32 s14, exec_lo
	s_delay_alu instid0(VALU_DEP_2)
	v_cmpx_eq_u16_e32 0, v7
	s_cbranch_execz .LBB155_116
; %bb.120:                              ;   in Loop: Header=BB155_118 Depth=1
	s_mov_b32 s15, 0
.LBB155_121:                            ;   Parent Loop BB155_118 Depth=1
                                        ; =>  This Inner Loop Header: Depth=2
	;;#ASMSTART
	global_load_b128 v[4:7], v[10:11] off scope:SCOPE_DEV	
s_wait_loadcnt 0x0
	;;#ASMEND
	v_and_b32_e32 v7, 0xff, v6
	s_delay_alu instid0(VALU_DEP_1) | instskip(SKIP_1) | instid1(SALU_CYCLE_1)
	v_cmp_ne_u16_e32 vcc_lo, 0, v7
	s_or_b32 s15, vcc_lo, s15
	s_and_not1_b32 exec_lo, exec_lo, s15
	s_cbranch_execnz .LBB155_121
	s_branch .LBB155_115
.LBB155_122:
                                        ; implicit-def: $vgpr13
                                        ; implicit-def: $vgpr5
                                        ; implicit-def: $vgpr9
                                        ; implicit-def: $vgpr14_vgpr15
	s_cbranch_execnz .LBB155_168
.LBB155_123:
	s_add_nc_u64 s[0:1], s[18:19], s[34:35]
	s_and_b32 vcc_lo, exec_lo, s31
	s_add_nc_u64 s[0:1], s[0:1], s[16:17]
	s_cbranch_vccz .LBB155_185
.LBB155_124:
	v_mul_u32_u24_e32 v1, 12, v0
	s_add_co_i32 s33, s33, s30
	s_mov_b32 s2, exec_lo
	s_delay_alu instid0(VALU_DEP_1)
	v_cmpx_gt_u32_e64 s33, v1
	s_cbranch_execz .LBB155_140
; %bb.125:
	v_or_b32_e32 v17, 1, v1
	s_mov_b32 s3, exec_lo
	s_delay_alu instid0(VALU_DEP_1)
	v_cmpx_gt_u32_e64 s33, v17
	s_cbranch_execz .LBB155_139
; %bb.126:
	v_or_b32_e32 v17, 2, v1
	;; [unrolled: 6-line block ×3, first 2 shown]
	s_mov_b32 s5, exec_lo
	s_delay_alu instid0(VALU_DEP_1)
	v_cmpx_gt_u32_e64 s33, v17
	s_cbranch_execz .LBB155_137
; %bb.128:
	v_add_nc_u32_e32 v17, 4, v1
	s_mov_b32 s6, exec_lo
	s_delay_alu instid0(VALU_DEP_1)
	v_cmpx_gt_u32_e64 s33, v17
	s_cbranch_execz .LBB155_136
; %bb.129:
	v_add_nc_u32_e32 v17, 5, v1
	;; [unrolled: 6-line block ×4, first 2 shown]
	s_mov_b32 s9, exec_lo
	s_delay_alu instid0(VALU_DEP_1)
	v_cmpx_gt_u32_e64 s33, v17
; %bb.132:
	v_add_nc_u32_e32 v17, 8, v1
	s_mov_b32 s10, exec_lo
	s_delay_alu instid0(VALU_DEP_1)
	v_cmpx_gt_u32_e64 s33, v17
	s_or_b32 exec_lo, exec_lo, s10
; %bb.133:
	s_delay_alu instid0(SALU_CYCLE_1)
	s_or_b32 exec_lo, exec_lo, s9
.LBB155_134:
	s_delay_alu instid0(SALU_CYCLE_1)
	s_or_b32 exec_lo, exec_lo, s8
.LBB155_135:
	s_delay_alu instid0(SALU_CYCLE_1)
	s_or_b32 exec_lo, exec_lo, s7
.LBB155_136:
	s_delay_alu instid0(SALU_CYCLE_1)
	s_or_b32 exec_lo, exec_lo, s6
.LBB155_137:
	s_delay_alu instid0(SALU_CYCLE_1)
	s_or_b32 exec_lo, exec_lo, s5
.LBB155_138:
	s_delay_alu instid0(SALU_CYCLE_1)
	s_or_b32 exec_lo, exec_lo, s4
.LBB155_139:
	s_delay_alu instid0(SALU_CYCLE_1)
	s_or_b32 exec_lo, exec_lo, s3
.LBB155_140:
	s_delay_alu instid0(SALU_CYCLE_1)
	s_or_b32 exec_lo, exec_lo, s2
	v_dual_lshlrev_b32 v1, 2, v1 :: v_dual_mov_b32 v17, 0
	s_barrier_signal -1
	s_barrier_wait -1
	ds_store_b128 v1, v[6:9]
	ds_store_b128 v1, v[2:5] offset:16
	ds_store_b128 v1, v[10:13] offset:32
	v_mad_i32_i24 v6, 0xffffffd4, v0, v1
	s_wait_dscnt 0x0
	s_barrier_signal -1
	s_barrier_wait -1
	ds_load_2addr_stride64_b32 v[26:27], v6 offset0:4 offset1:8
	ds_load_2addr_stride64_b32 v[24:25], v6 offset0:12 offset1:16
	;; [unrolled: 1-line block ×5, first 2 shown]
	ds_load_b32 v7, v6 offset:11264
	v_add_nc_u64_e32 v[16:17], s[0:1], v[16:17]
	s_mov_b32 s2, exec_lo
	v_cmpx_gt_u32_e64 s33, v0
	s_cbranch_execz .LBB155_142
; %bb.141:
	v_mul_i32_i24_e32 v6, 0xffffffd4, v0
	s_delay_alu instid0(VALU_DEP_1)
	v_add_nc_u32_e32 v1, v1, v6
	ds_load_b32 v1, v1
	s_wait_dscnt 0x0
	flat_store_b32 v[16:17], v1
.LBB155_142:
	s_wait_xcnt 0x0
	s_or_b32 exec_lo, exec_lo, s2
	v_or_b32_e32 v1, 0x100, v0
	s_mov_b32 s2, exec_lo
	s_delay_alu instid0(VALU_DEP_1)
	v_cmpx_gt_u32_e64 s33, v1
	s_cbranch_execz .LBB155_144
; %bb.143:
	s_wait_dscnt 0x5
	flat_store_b32 v[16:17], v26 offset:1024
.LBB155_144:
	s_wait_xcnt 0x0
	s_or_b32 exec_lo, exec_lo, s2
	v_or_b32_e32 v1, 0x200, v0
	s_mov_b32 s2, exec_lo
	s_delay_alu instid0(VALU_DEP_1)
	v_cmpx_gt_u32_e64 s33, v1
	s_cbranch_execz .LBB155_146
; %bb.145:
	s_wait_dscnt 0x5
	flat_store_b32 v[16:17], v27 offset:2048
.LBB155_146:
	s_wait_xcnt 0x0
	s_or_b32 exec_lo, exec_lo, s2
	v_or_b32_e32 v1, 0x300, v0
	s_mov_b32 s2, exec_lo
	s_delay_alu instid0(VALU_DEP_1)
	v_cmpx_gt_u32_e64 s33, v1
	s_cbranch_execz .LBB155_148
; %bb.147:
	s_wait_dscnt 0x4
	flat_store_b32 v[16:17], v24 offset:3072
.LBB155_148:
	s_wait_xcnt 0x0
	s_or_b32 exec_lo, exec_lo, s2
	v_or_b32_e32 v1, 0x400, v0
	s_mov_b32 s2, exec_lo
	s_delay_alu instid0(VALU_DEP_1)
	v_cmpx_gt_u32_e64 s33, v1
	s_cbranch_execz .LBB155_150
; %bb.149:
	s_wait_dscnt 0x4
	flat_store_b32 v[16:17], v25 offset:4096
.LBB155_150:
	s_wait_xcnt 0x0
	s_or_b32 exec_lo, exec_lo, s2
	v_or_b32_e32 v1, 0x500, v0
	s_mov_b32 s2, exec_lo
	s_delay_alu instid0(VALU_DEP_1)
	v_cmpx_gt_u32_e64 s33, v1
	s_cbranch_execz .LBB155_152
; %bb.151:
	s_wait_dscnt 0x3
	flat_store_b32 v[16:17], v22 offset:5120
.LBB155_152:
	s_wait_xcnt 0x0
	s_or_b32 exec_lo, exec_lo, s2
	v_or_b32_e32 v1, 0x600, v0
	s_mov_b32 s2, exec_lo
	s_delay_alu instid0(VALU_DEP_1)
	v_cmpx_gt_u32_e64 s33, v1
	s_cbranch_execz .LBB155_154
; %bb.153:
	s_wait_dscnt 0x3
	flat_store_b32 v[16:17], v23 offset:6144
.LBB155_154:
	s_wait_xcnt 0x0
	s_or_b32 exec_lo, exec_lo, s2
	v_or_b32_e32 v1, 0x700, v0
	s_mov_b32 s2, exec_lo
	s_delay_alu instid0(VALU_DEP_1)
	v_cmpx_gt_u32_e64 s33, v1
	s_cbranch_execz .LBB155_156
; %bb.155:
	s_wait_dscnt 0x2
	flat_store_b32 v[16:17], v20 offset:7168
.LBB155_156:
	s_wait_xcnt 0x0
	s_or_b32 exec_lo, exec_lo, s2
	v_or_b32_e32 v1, 0x800, v0
	s_mov_b32 s2, exec_lo
	s_delay_alu instid0(VALU_DEP_1)
	v_cmpx_gt_u32_e64 s33, v1
	s_cbranch_execz .LBB155_158
; %bb.157:
	s_wait_dscnt 0x2
	flat_store_b32 v[16:17], v21 offset:8192
.LBB155_158:
	s_wait_xcnt 0x0
	s_or_b32 exec_lo, exec_lo, s2
	v_or_b32_e32 v1, 0x900, v0
	s_mov_b32 s2, exec_lo
	s_delay_alu instid0(VALU_DEP_1)
	v_cmpx_gt_u32_e64 s33, v1
	s_cbranch_execz .LBB155_160
; %bb.159:
	s_wait_dscnt 0x1
	flat_store_b32 v[16:17], v18 offset:9216
.LBB155_160:
	s_wait_xcnt 0x0
	s_or_b32 exec_lo, exec_lo, s2
	v_or_b32_e32 v1, 0xa00, v0
	s_mov_b32 s2, exec_lo
	s_delay_alu instid0(VALU_DEP_1)
	v_cmpx_gt_u32_e64 s33, v1
	s_cbranch_execz .LBB155_162
; %bb.161:
	s_wait_dscnt 0x1
	flat_store_b32 v[16:17], v19 offset:10240
.LBB155_162:
	s_wait_xcnt 0x0
	s_or_b32 exec_lo, exec_lo, s2
	v_or_b32_e32 v1, 0xb00, v0
	s_delay_alu instid0(VALU_DEP_1)
	v_cmp_gt_u32_e64 s2, s33, v1
	s_branch .LBB155_187
.LBB155_163:
	s_and_saveexec_b32 s14, s13
	s_cbranch_execz .LBB155_165
; %bb.164:
	v_and_b32_e32 v4, 0xff, v3
	s_mov_b32 s21, 0
	s_add_co_i32 s20, s38, 32
	v_and_b32_e32 v5, 1, v50
	s_lshl_b64 s[20:21], s[20:21], 4
	v_cmp_eq_u32_e32 vcc_lo, 0, v4
	s_add_nc_u64 s[20:21], s[28:29], s[20:21]
	s_delay_alu instid0(SALU_CYCLE_1) | instskip(SKIP_1) | instid1(VALU_DEP_1)
	v_mov_b64_e32 v[6:7], s[20:21]
	v_cndmask_b32_e32 v4, 0, v51, vcc_lo
	v_dual_add_nc_u32 v2, v4, v2 :: v_dual_bitop2_b32 v3, 1, v3 bitop3:0x40
	s_delay_alu instid0(VALU_DEP_1)
	v_cmp_eq_u32_e32 vcc_lo, 1, v3
	v_mov_b32_e32 v4, 2
	v_cndmask_b32_e64 v3, v5, 1, vcc_lo
	v_mov_b32_e32 v5, 0
	;;#ASMSTART
	global_store_b128 v[6:7], v[2:5] off scope:SCOPE_DEV	
s_wait_storecnt 0x0
	;;#ASMEND
.LBB155_165:
	s_or_b32 exec_lo, exec_lo, s14
	s_delay_alu instid0(SALU_CYCLE_1)
	s_and_b32 exec_lo, exec_lo, s2
	s_cbranch_execz .LBB155_167
; %bb.166:
	v_mov_b32_e32 v2, 0
	ds_store_b32 v2, v51
	ds_store_b8 v2, v50 offset:4
.LBB155_167:
	s_or_b32 exec_lo, exec_lo, s24
	v_dual_mov_b32 v2, 0 :: v_dual_bitop2_b32 v3, 1, v19 bitop3:0x40
	s_wait_dscnt 0x0
	s_barrier_signal -1
	s_barrier_wait -1
	s_delay_alu instid0(VALU_DEP_1) | instskip(SKIP_4) | instid1(VALU_DEP_2)
	v_cmp_eq_u32_e32 vcc_lo, 1, v3
	ds_load_b32 v2, v2
	s_mov_b64 s[14:15], 0x100000000
	v_cndmask_b32_e64 v3, v13, 1, vcc_lo
	v_cmp_gt_u64_e32 vcc_lo, s[14:15], v[18:19]
	v_dual_cndmask_b32 v3, v3, v19, s2 :: v_dual_cndmask_b32 v4, 0, v12, vcc_lo
	s_delay_alu instid0(VALU_DEP_1) | instskip(NEXT) | instid1(VALU_DEP_2)
	v_and_b32_e32 v3, 0xff, v3
	v_cndmask_b32_e64 v4, v4, 0, s2
	s_delay_alu instid0(VALU_DEP_2) | instskip(SKIP_2) | instid1(VALU_DEP_1)
	v_cmp_eq_u16_e32 vcc_lo, 0, v3
	s_wait_dscnt 0x0
	v_cndmask_b32_e32 v2, 0, v2, vcc_lo
	v_add3_u32 v6, v4, v18, v2
	s_delay_alu instid0(VALU_DEP_1) | instskip(NEXT) | instid1(VALU_DEP_1)
	v_cndmask_b32_e64 v2, 0, v6, s0
	v_add_nc_u32_e32 v7, v2, v38
	s_delay_alu instid0(VALU_DEP_1) | instskip(NEXT) | instid1(VALU_DEP_1)
	v_cndmask_b32_e64 v2, 0, v7, s1
	v_add_nc_u32_e32 v8, v2, v36
	v_mov_b64_e32 v[14:15], v[6:7]
	s_delay_alu instid0(VALU_DEP_2) | instskip(NEXT) | instid1(VALU_DEP_1)
	v_cndmask_b32_e64 v2, 0, v8, s4
	v_add_nc_u32_e32 v9, v2, v34
	s_delay_alu instid0(VALU_DEP_1) | instskip(NEXT) | instid1(VALU_DEP_1)
	v_cndmask_b32_e64 v2, 0, v9, s5
	v_add_nc_u32_e32 v2, v2, v32
	s_delay_alu instid0(VALU_DEP_1) | instskip(NEXT) | instid1(VALU_DEP_1)
	;; [unrolled: 3-line block ×8, first 2 shown]
	v_cndmask_b32_e64 v13, 0, v12, s12
	v_add_nc_u32_e32 v13, v13, v40
	s_branch .LBB155_123
.LBB155_168:
	s_cmp_lg_u64 s[36:37], 0
	s_cselect_b32 s0, -1, 0
	s_cmp_lg_u64 s[22:23], 0
	s_cselect_b32 s1, -1, 0
	s_delay_alu instid0(SALU_CYCLE_1) | instskip(NEXT) | instid1(SALU_CYCLE_1)
	s_and_b32 s0, s0, s1
	s_and_b32 s1, s2, s0
	s_delay_alu instid0(SALU_CYCLE_1)
	s_and_saveexec_b32 s0, s1
	s_cbranch_execz .LBB155_170
; %bb.169:
	s_mov_b64 s[4:5], 0x100000000
	s_delay_alu instid0(SALU_CYCLE_1)
	v_cmp_gt_u64_e32 vcc_lo, s[4:5], v[18:19]
	v_mov_b32_e32 v2, 0
	s_clause 0x1
	global_load_b32 v3, v2, s[22:23]
	global_load_u8 v4, v2, s[22:23] offset:4
	s_wait_loadcnt 0x1
	v_cndmask_b32_e32 v5, 0, v3, vcc_lo
	v_and_b32_e32 v3, 1, v19
	s_wait_loadcnt 0x0
	s_delay_alu instid0(VALU_DEP_2) | instskip(NEXT) | instid1(VALU_DEP_2)
	v_dual_add_nc_u32 v18, v5, v18 :: v_dual_bitop2_b32 v4, 1, v4 bitop3:0x40
	v_cmp_eq_u64_e32 vcc_lo, 0, v[2:3]
	s_delay_alu instid0(VALU_DEP_2)
	v_cndmask_b32_e32 v19, 1, v4, vcc_lo
.LBB155_170:
	s_or_b32 exec_lo, exec_lo, s0
	s_mov_b64 s[12:13], 0x100000000
	v_or3_b32 v12, v42, v29, v31
	v_cmp_gt_u64_e32 vcc_lo, s[12:13], v[38:39]
	v_cmp_gt_u64_e64 s6, s[12:13], v[28:29]
	v_cmp_gt_u64_e64 s0, s[12:13], v[36:37]
	;; [unrolled: 1-line block ×6, first 2 shown]
	v_cndmask_b32_e32 v2, 0, v18, vcc_lo
	v_cmp_gt_u64_e64 s8, s[12:13], v[24:25]
	v_cmp_gt_u64_e64 s10, s[12:13], v[20:21]
	;; [unrolled: 1-line block ×3, first 2 shown]
	v_dual_mov_b32 v14, 0 :: v_dual_bitop2_b32 v1, 56, v1 bitop3:0x40
	v_add_nc_u32_e32 v7, v2, v38
	v_cmp_gt_u64_e64 s11, s[12:13], v[40:41]
	s_mov_b32 s13, exec_lo
	v_lshl_add_u32 v1, v0, 3, v1
	v_cndmask_b32_e64 v2, 0, v7, s0
	s_delay_alu instid0(VALU_DEP_1) | instskip(NEXT) | instid1(VALU_DEP_1)
	v_add_nc_u32_e32 v8, v2, v36
	v_cndmask_b32_e64 v2, 0, v8, s1
	s_delay_alu instid0(VALU_DEP_1) | instskip(NEXT) | instid1(VALU_DEP_1)
	v_add_nc_u32_e32 v9, v2, v34
	;; [unrolled: 3-line block ×7, first 2 shown]
	v_cndmask_b32_e64 v6, 0, v10, s9
	s_delay_alu instid0(VALU_DEP_1) | instskip(SKIP_1) | instid1(VALU_DEP_2)
	v_add_nc_u32_e32 v11, v6, v22
	v_or3_b32 v6, v12, v33, v35
	v_cndmask_b32_e64 v12, 0, v11, s10
	s_delay_alu instid0(VALU_DEP_2) | instskip(NEXT) | instid1(VALU_DEP_2)
	v_or3_b32 v6, v6, v37, v39
	v_add_nc_u32_e32 v12, v12, v20
	s_delay_alu instid0(VALU_DEP_2) | instskip(NEXT) | instid1(VALU_DEP_1)
	v_or3_b32 v6, v41, v17, v6
	v_and_b32_e32 v15, 0xff, v6
	s_delay_alu instid0(VALU_DEP_1) | instskip(NEXT) | instid1(VALU_DEP_1)
	v_cmp_eq_u64_e64 s12, 0, v[14:15]
	v_dual_cndmask_b32 v13, 0, v12, s11 :: v_dual_cndmask_b32 v6, 1, v19, s12
	s_delay_alu instid0(VALU_DEP_1)
	v_add_nc_u32_e32 v13, v13, v40
	ds_store_b32 v1, v13
	ds_store_b8 v1, v6 offset:4
	s_wait_dscnt 0x0
	s_barrier_signal -1
	s_barrier_wait -1
	v_cmpx_gt_u32_e32 32, v0
	s_cbranch_execz .LBB155_180
; %bb.171:
	v_dual_lshlrev_b32 v1, 1, v0 :: v_dual_lshlrev_b32 v14, 6, v0
	s_mov_b32 s14, exec_lo
	s_delay_alu instid0(VALU_DEP_1) | instskip(NEXT) | instid1(VALU_DEP_1)
	v_and_b32_e32 v1, 0x1f8, v1
	v_add_nc_u32_e32 v1, v1, v14
	ds_load_u8 v17, v1 offset:12
	ds_load_b64 v[14:15], v1
	ds_load_2addr_b32 v[42:43], v1 offset0:2 offset1:4
	ds_load_u8 v21, v1 offset:20
	ds_load_u8 v23, v1 offset:28
	;; [unrolled: 1-line block ×5, first 2 shown]
	ds_load_b32 v33, v1 offset:56
	s_wait_dscnt 0x8
	v_cmp_eq_u16_e64 s12, 0, v17
	s_wait_dscnt 0x5
	s_delay_alu instid0(VALU_DEP_1)
	v_dual_cndmask_b32 v31, 0, v14, s12 :: v_dual_bitop2_b32 v17, v21, v17 bitop3:0x54
	ds_load_2addr_b32 v[44:45], v1 offset0:6 offset1:8
	v_cmp_eq_u16_e64 s12, 0, v21
	ds_load_u8 v35, v1 offset:60
	s_wait_dscnt 0x5
	v_bitop3_b16 v17, v17, v25, v23 bitop3:0xfe
	v_add_nc_u32_e32 v31, v31, v42
	s_delay_alu instid0(VALU_DEP_1)
	v_cndmask_b32_e64 v31, 0, v31, s12
	v_cmp_eq_u16_e64 s12, 0, v23
	s_wait_dscnt 0x3
	v_bitop3_b16 v23, v17, v29, v27 bitop3:0xfe
	v_and_b32_e32 v17, 1, v15
	v_add_nc_u32_e32 v31, v31, v43
	ds_load_2addr_b32 v[42:43], v1 offset0:10 offset1:12
	v_cndmask_b32_e64 v31, 0, v31, s12
	v_cmp_eq_u16_e64 s12, 0, v25
	s_wait_dscnt 0x1
	s_delay_alu instid0(VALU_DEP_2) | instskip(NEXT) | instid1(VALU_DEP_1)
	v_dual_add_nc_u32 v31, v31, v44 :: v_dual_bitop2_b32 v25, 1, v35 bitop3:0x40
	v_cndmask_b32_e64 v31, 0, v31, s12
	v_cmp_eq_u16_e64 s12, 0, v27
	s_delay_alu instid0(VALU_DEP_2) | instskip(NEXT) | instid1(VALU_DEP_1)
	v_add_nc_u32_e32 v21, v31, v45
	v_cndmask_b32_e64 v21, 0, v21, s12
	v_cmp_eq_u16_e64 s12, 0, v23
	s_wait_dscnt 0x0
	s_delay_alu instid0(VALU_DEP_1) | instskip(SKIP_1) | instid1(VALU_DEP_1)
	v_dual_add_nc_u32 v21, v21, v42 :: v_dual_cndmask_b32 v23, 1, v17, s12
	v_cmp_eq_u16_e64 s12, 0, v29
	v_cndmask_b32_e64 v21, 0, v21, s12
	v_cmp_eq_u32_e64 s12, 1, v25
	v_mbcnt_lo_u32_b32 v25, -1, 0
	s_delay_alu instid0(VALU_DEP_2) | instskip(SKIP_1) | instid1(VALU_DEP_2)
	v_cndmask_b32_e64 v27, v23, 1, s12
	v_cmp_eq_u16_e64 s12, 0, v35
	v_and_b32_e32 v29, 0xffff, v27
	v_add_nc_u32_e32 v23, v21, v43
	v_and_b32_e32 v21, 0xffffff00, v15
	s_delay_alu instid0(VALU_DEP_1) | instskip(SKIP_1) | instid1(VALU_DEP_2)
	v_dual_cndmask_b32 v23, 0, v23, s12 :: v_dual_bitop2_b32 v31, v21, v29 bitop3:0x54
	v_and_b32_e32 v29, 15, v25
	v_mov_b32_dpp v35, v31 row_shr:1 row_mask:0xf bank_mask:0xf
	s_delay_alu instid0(VALU_DEP_3) | instskip(NEXT) | instid1(VALU_DEP_1)
	v_add_nc_u32_e32 v23, v23, v33
	v_mov_b32_dpp v33, v23 row_shr:1 row_mask:0xf bank_mask:0xf
	s_delay_alu instid0(VALU_DEP_4)
	v_cmpx_ne_u32_e32 0, v29
	s_cbranch_execz .LBB155_173
; %bb.172:
	v_and_b32_e32 v31, 1, v27
	v_and_b32_e32 v35, 1, v35
	s_delay_alu instid0(VALU_DEP_2) | instskip(NEXT) | instid1(VALU_DEP_1)
	v_cmp_eq_u32_e64 s12, 1, v31
	v_cndmask_b32_e64 v35, v35, 1, s12
	v_cmp_eq_u16_e64 s12, 0, v27
	s_delay_alu instid0(VALU_DEP_2) | instskip(NEXT) | instid1(VALU_DEP_1)
	v_and_b32_e32 v31, 0xffff, v35
	v_dual_cndmask_b32 v27, 0, v33, s12 :: v_dual_bitop2_b32 v31, v21, v31 bitop3:0x54
	s_delay_alu instid0(VALU_DEP_1)
	v_add_nc_u32_e32 v23, v27, v23
	v_mov_b32_e32 v27, v35
.LBB155_173:
	s_or_b32 exec_lo, exec_lo, s14
	s_delay_alu instid0(VALU_DEP_2)
	v_mov_b32_dpp v33, v23 row_shr:2 row_mask:0xf bank_mask:0xf
	v_mov_b32_dpp v35, v31 row_shr:2 row_mask:0xf bank_mask:0xf
	s_mov_b32 s14, exec_lo
	v_cmpx_lt_u32_e32 1, v29
	s_cbranch_execz .LBB155_175
; %bb.174:
	v_and_b32_e32 v31, 1, v27
	v_and_b32_e32 v35, 1, v35
	s_delay_alu instid0(VALU_DEP_2) | instskip(NEXT) | instid1(VALU_DEP_1)
	v_cmp_eq_u32_e64 s12, 1, v31
	v_cndmask_b32_e64 v35, v35, 1, s12
	v_cmp_eq_u16_e64 s12, 0, v27
	s_delay_alu instid0(VALU_DEP_2) | instskip(NEXT) | instid1(VALU_DEP_1)
	v_and_b32_e32 v31, 0xffff, v35
	v_dual_cndmask_b32 v27, 0, v33, s12 :: v_dual_bitop2_b32 v31, v21, v31 bitop3:0x54
	s_delay_alu instid0(VALU_DEP_1)
	v_add_nc_u32_e32 v23, v27, v23
	v_mov_b32_e32 v27, v35
.LBB155_175:
	s_or_b32 exec_lo, exec_lo, s14
	s_delay_alu instid0(VALU_DEP_2)
	v_mov_b32_dpp v33, v23 row_shr:4 row_mask:0xf bank_mask:0xf
	v_mov_b32_dpp v35, v31 row_shr:4 row_mask:0xf bank_mask:0xf
	s_mov_b32 s14, exec_lo
	v_cmpx_lt_u32_e32 3, v29
	;; [unrolled: 21-line block ×3, first 2 shown]
	s_cbranch_execz .LBB155_179
; %bb.178:
	v_and_b32_e32 v29, 1, v27
	v_and_b32_e32 v31, 1, v35
	s_delay_alu instid0(VALU_DEP_2) | instskip(NEXT) | instid1(VALU_DEP_1)
	v_cmp_eq_u32_e64 s12, 1, v29
	v_cndmask_b32_e64 v29, v31, 1, s12
	v_cmp_eq_u16_e64 s12, 0, v27
	s_delay_alu instid0(VALU_DEP_2) | instskip(NEXT) | instid1(VALU_DEP_1)
	v_and_b32_e32 v31, 0xffff, v29
	v_dual_cndmask_b32 v27, 0, v33, s12 :: v_dual_bitop2_b32 v31, v21, v31 bitop3:0x54
	s_delay_alu instid0(VALU_DEP_1)
	v_dual_add_nc_u32 v23, v27, v23 :: v_dual_mov_b32 v27, v29
.LBB155_179:
	s_or_b32 exec_lo, exec_lo, s14
	ds_swizzle_b32 v29, v31 offset:swizzle(BROADCAST,32,15)
	ds_swizzle_b32 v31, v23 offset:swizzle(BROADCAST,32,15)
	v_and_b32_e32 v33, 1, v27
	v_and_b32_e32 v35, 16, v25
	v_bfe_i32 v37, v25, 4, 1
	v_and_b32_e32 v15, 0xff, v15
	s_delay_alu instid0(VALU_DEP_4) | instskip(SKIP_3) | instid1(VALU_DEP_1)
	v_cmp_eq_u32_e64 s12, 1, v33
	v_add_nc_u32_e32 v33, -1, v25
	; wave barrier
	s_wait_dscnt 0x1
	v_and_b32_e32 v29, 1, v29
	v_cndmask_b32_e64 v29, v29, 1, s12
	v_cmp_eq_u16_e64 s12, 0, v27
	s_wait_dscnt 0x0
	s_delay_alu instid0(VALU_DEP_1) | instskip(SKIP_1) | instid1(VALU_DEP_1)
	v_cndmask_b32_e64 v31, 0, v31, s12
	v_cmp_eq_u32_e64 s12, 0, v35
	v_cndmask_b32_e64 v27, v29, v27, s12
	v_cmp_gt_i32_e64 s12, 0, v33
	s_delay_alu instid0(VALU_DEP_2) | instskip(NEXT) | instid1(VALU_DEP_2)
	v_and_b32_e32 v27, 0xffff, v27
	v_cndmask_b32_e64 v25, v33, v25, s12
	v_and_b32_e32 v29, v37, v31
	v_cmp_eq_u16_e64 s12, 0, v15
	s_delay_alu instid0(VALU_DEP_3)
	v_dual_lshlrev_b32 v25, 2, v25 :: v_dual_bitop2_b32 v21, v21, v27 bitop3:0x54
	ds_bpermute_b32 v21, v25, v21
	s_wait_dscnt 0x0
	v_dual_add_nc_u32 v23, v29, v23 :: v_dual_bitop2_b32 v21, 1, v21 bitop3:0x40
	ds_bpermute_b32 v23, v25, v23
	s_wait_dscnt 0x0
	v_cndmask_b32_e64 v15, 0, v23, s12
	v_cmp_eq_u32_e64 s12, 1, v17
	s_delay_alu instid0(VALU_DEP_2) | instskip(NEXT) | instid1(VALU_DEP_2)
	v_add_nc_u32_e32 v14, v15, v14
	v_cndmask_b32_e64 v15, v21, 1, s12
	s_delay_alu instid0(VALU_DEP_1)
	v_dual_cndmask_b32 v17, v14, v13, s2 :: v_dual_cndmask_b32 v6, v15, v6, s2
	ds_store_b32 v1, v17
	ds_store_b8 v1, v6 offset:4
	; wave barrier
	ds_load_u8 v21, v1 offset:12
	ds_load_2addr_b32 v[14:15], v1 offset0:2 offset1:4
	ds_load_u8 v23, v1 offset:20
	ds_load_u8 v25, v1 offset:28
	;; [unrolled: 1-line block ×5, first 2 shown]
	ds_load_b32 v33, v1 offset:56
	ds_load_u8 v35, v1 offset:60
	ds_load_2addr_b32 v[42:43], v1 offset0:6 offset1:8
	s_wait_dscnt 0x9
	v_cmp_eq_u16_e64 s12, 0, v21
	s_delay_alu instid0(VALU_DEP_1) | instskip(SKIP_2) | instid1(VALU_DEP_2)
	v_cndmask_b32_e64 v17, 0, v17, s12
	s_wait_dscnt 0x7
	v_cmp_eq_u16_e64 s12, 0, v23
	v_add_nc_u32_e32 v17, v17, v14
	s_delay_alu instid0(VALU_DEP_1) | instskip(SKIP_2) | instid1(VALU_DEP_2)
	v_cndmask_b32_e64 v14, 0, v17, s12
	s_wait_dscnt 0x6
	v_cmp_eq_u16_e64 s12, 0, v25
	v_add_nc_u32_e32 v37, v14, v15
	ds_load_2addr_b32 v[14:15], v1 offset0:10 offset1:12
	v_cndmask_b32_e64 v39, 0, v37, s12
	s_wait_dscnt 0x6
	v_cmp_eq_u16_e64 s12, 0, v27
	ds_store_2addr_b32 v1, v17, v37 offset0:2 offset1:4
	s_wait_dscnt 0x2
	v_dual_add_nc_u32 v39, v39, v42 :: v_dual_bitop2_b32 v21, 1, v21 bitop3:0x40
	v_and_b32_e32 v42, 1, v35
	s_delay_alu instid0(VALU_DEP_2) | instskip(NEXT) | instid1(VALU_DEP_3)
	v_cndmask_b32_e64 v41, 0, v39, s12
	v_cmp_eq_u32_e64 s12, 1, v21
	s_delay_alu instid0(VALU_DEP_2) | instskip(SKIP_1) | instid1(VALU_DEP_3)
	v_dual_add_nc_u32 v25, v41, v43 :: v_dual_bitop2_b32 v21, 1, v25 bitop3:0x40
	v_and_b32_e32 v23, 1, v23
	v_cndmask_b32_e64 v6, v6, 1, s12
	s_delay_alu instid0(VALU_DEP_2) | instskip(NEXT) | instid1(VALU_DEP_1)
	v_cmp_eq_u32_e64 s12, 1, v23
	v_cndmask_b32_e64 v23, v6, 1, s12
	v_cmp_eq_u16_e64 s12, 0, v29
	s_delay_alu instid0(VALU_DEP_1) | instskip(SKIP_2) | instid1(VALU_DEP_2)
	v_dual_cndmask_b32 v41, 0, v25, s12 :: v_dual_bitop2_b32 v27, 1, v27 bitop3:0x40
	v_cmp_eq_u32_e64 s12, 1, v21
	s_wait_dscnt 0x1
	v_dual_add_nc_u32 v14, v41, v14 :: v_dual_bitop2_b32 v41, 1, v31 bitop3:0x40
	s_delay_alu instid0(VALU_DEP_2) | instskip(SKIP_1) | instid1(VALU_DEP_1)
	v_cndmask_b32_e64 v21, v23, 1, s12
	v_cmp_eq_u32_e64 s12, 1, v27
	v_cndmask_b32_e64 v27, v21, 1, s12
	v_cmp_eq_u16_e64 s12, 0, v31
	s_delay_alu instid0(VALU_DEP_1) | instskip(NEXT) | instid1(VALU_DEP_1)
	v_dual_cndmask_b32 v31, 0, v14, s12 :: v_dual_bitop2_b32 v29, 1, v29 bitop3:0x40
	v_cmp_eq_u32_e64 s12, 1, v29
	s_delay_alu instid0(VALU_DEP_2) | instskip(NEXT) | instid1(VALU_DEP_2)
	v_add_nc_u32_e32 v15, v31, v15
	v_cndmask_b32_e64 v29, v27, 1, s12
	v_cmp_eq_u32_e64 s12, 1, v41
	ds_store_2addr_b32 v1, v39, v25 offset0:6 offset1:8
	ds_store_2addr_b32 v1, v14, v15 offset0:10 offset1:12
	v_cndmask_b32_e64 v31, v29, 1, s12
	v_cmp_eq_u16_e64 s12, 0, v35
	s_delay_alu instid0(VALU_DEP_1) | instskip(SKIP_1) | instid1(VALU_DEP_2)
	v_cndmask_b32_e64 v17, 0, v15, s12
	v_cmp_eq_u32_e64 s12, 1, v42
	v_add_nc_u32_e32 v14, v17, v33
	s_delay_alu instid0(VALU_DEP_2)
	v_cndmask_b32_e64 v35, v31, 1, s12
	ds_store_b8 v1, v6 offset:12
	ds_store_b8 v1, v23 offset:20
	;; [unrolled: 1-line block ×6, first 2 shown]
	ds_store_b32 v1, v14 offset:56
	ds_store_b8 v1, v35 offset:60
.LBB155_180:
	s_or_b32 exec_lo, exec_lo, s13
	v_mov_b32_e32 v6, v18
	s_wait_dscnt 0x0
	s_barrier_signal -1
	s_barrier_wait -1
	s_delay_alu instid0(VALU_DEP_1)
	v_mov_b64_e32 v[14:15], v[6:7]
	s_and_saveexec_b32 s12, s3
	s_cbranch_execz .LBB155_182
; %bb.181:
	v_add_nc_u32_e32 v1, -1, v0
	v_and_b32_e32 v3, 0xff, v19
	s_delay_alu instid0(VALU_DEP_2) | instskip(NEXT) | instid1(VALU_DEP_1)
	v_lshrrev_b32_e32 v2, 2, v1
	v_and_b32_e32 v2, 0x3ffffff8, v2
	s_delay_alu instid0(VALU_DEP_1)
	v_lshl_add_u32 v1, v1, 3, v2
	v_mov_b32_e32 v2, 0
	ds_load_b32 v1, v1
	v_cmp_eq_u64_e64 s3, 0, v[2:3]
	;;#ASMSTART
	;;#ASMEND
	s_wait_dscnt 0x0
	s_delay_alu instid0(VALU_DEP_1) | instskip(NEXT) | instid1(VALU_DEP_1)
	v_cndmask_b32_e64 v1, 0, v1, s3
	v_add_nc_u32_e32 v14, v1, v18
	s_delay_alu instid0(VALU_DEP_1) | instskip(NEXT) | instid1(VALU_DEP_1)
	v_cndmask_b32_e32 v1, 0, v14, vcc_lo
	v_add_nc_u32_e32 v15, v1, v38
	s_delay_alu instid0(VALU_DEP_1) | instskip(NEXT) | instid1(VALU_DEP_1)
	v_dual_cndmask_b32 v1, 0, v15, s0 :: v_dual_mov_b32 v18, v14
	v_dual_mov_b32 v7, v15 :: v_dual_add_nc_u32 v8, v1, v36
	s_delay_alu instid0(VALU_DEP_1) | instskip(NEXT) | instid1(VALU_DEP_1)
	v_cndmask_b32_e64 v1, 0, v8, s1
	v_add_nc_u32_e32 v9, v1, v34
	s_delay_alu instid0(VALU_DEP_1) | instskip(NEXT) | instid1(VALU_DEP_1)
	v_cndmask_b32_e64 v1, 0, v9, s4
	v_add_nc_u32_e32 v2, v1, v32
	;; [unrolled: 3-line block ×9, first 2 shown]
.LBB155_182:
	s_or_b32 exec_lo, exec_lo, s12
	s_and_saveexec_b32 s0, s2
	s_cbranch_execz .LBB155_184
; %bb.183:
	v_dual_mov_b32 v23, 0 :: v_dual_mov_b32 v22, 2
	s_add_nc_u64 s[2:3], s[28:29], 0x200
	ds_load_b32 v20, v23 offset:2096
	ds_load_u8 v21, v23 offset:2100
	v_mov_b64_e32 v[24:25], s[2:3]
	s_wait_dscnt 0x0
	;;#ASMSTART
	global_store_b128 v[24:25], v[20:23] off scope:SCOPE_DEV	
s_wait_storecnt 0x0
	;;#ASMEND
.LBB155_184:
	s_or_b32 exec_lo, exec_lo, s0
	v_mov_b32_e32 v6, v18
	s_add_nc_u64 s[0:1], s[18:19], s[34:35]
	s_and_b32 vcc_lo, exec_lo, s31
	s_add_nc_u64 s[0:1], s[0:1], s[16:17]
	s_cbranch_vccnz .LBB155_124
.LBB155_185:
	s_mov_b32 s2, 0
                                        ; implicit-def: $vgpr7
	s_cbranch_execz .LBB155_187
; %bb.186:
	v_mul_u32_u24_e32 v1, 48, v0
	v_dual_mov_b32 v16, v8 :: v_dual_mov_b32 v17, v9
	v_mul_i32_i24_e32 v6, 0xffffffd4, v0
	s_wait_storecnt_dscnt 0x0
	s_barrier_signal -1
	s_barrier_wait -1
	ds_store_b128 v1, v[14:17]
	ds_store_b128 v1, v[2:5] offset:16
	ds_store_b128 v1, v[10:13] offset:32
	v_mad_u32_u24 v1, v0, 48, v6
	s_wait_dscnt 0x0
	s_barrier_signal -1
	s_barrier_wait -1
	ds_load_2addr_stride64_b32 v[2:3], v1 offset1:4
	ds_load_2addr_stride64_b32 v[4:5], v1 offset0:8 offset1:12
	ds_load_2addr_stride64_b32 v[8:9], v1 offset0:16 offset1:20
	;; [unrolled: 1-line block ×5, first 2 shown]
	s_or_b32 s2, s2, exec_lo
	s_wait_dscnt 0x5
	s_clause 0x1
	flat_store_b32 v0, v2, s[0:1] scale_offset
	flat_store_b32 v0, v3, s[0:1] offset:1024 scale_offset
	s_wait_dscnt 0x6
	s_clause 0x1
	flat_store_b32 v0, v4, s[0:1] offset:2048 scale_offset
	flat_store_b32 v0, v5, s[0:1] offset:3072 scale_offset
	s_wait_dscnt 0x7
	s_clause 0x1
	flat_store_b32 v0, v8, s[0:1] offset:4096 scale_offset
	flat_store_b32 v0, v9, s[0:1] offset:5120 scale_offset
	s_wait_dscnt 0x8
	s_clause 0x1
	flat_store_b32 v0, v10, s[0:1] offset:6144 scale_offset
	flat_store_b32 v0, v11, s[0:1] offset:7168 scale_offset
	s_wait_dscnt 0x9
	s_clause 0x1
	flat_store_b32 v0, v12, s[0:1] offset:8192 scale_offset
	flat_store_b32 v0, v13, s[0:1] offset:9216 scale_offset
	s_wait_dscnt 0xa
	flat_store_b32 v0, v6, s[0:1] offset:10240 scale_offset
.LBB155_187:
	s_wait_xcnt 0x0
	s_delay_alu instid0(VALU_DEP_1)
	s_and_saveexec_b32 s3, s2
	s_cbranch_execnz .LBB155_189
; %bb.188:
	s_endpgm
.LBB155_189:
	s_wait_dscnt 0x0
	flat_store_b32 v0, v7, s[0:1] offset:11264 scale_offset
	s_endpgm
	.section	.rodata,"a",@progbits
	.p2align	6, 0x0
	.amdhsa_kernel _ZN7rocprim17ROCPRIM_400000_NS6detail17trampoline_kernelINS0_14default_configENS1_27scan_by_key_config_selectorIiiEEZZNS1_16scan_by_key_implILNS1_25lookback_scan_determinismE0ELb0ES3_N6thrust23THRUST_200600_302600_NS6detail15normal_iteratorINS9_10device_ptrIiEEEESE_SE_iNS9_4plusIvEENS9_8equal_toIvEEiEE10hipError_tPvRmT2_T3_T4_T5_mT6_T7_P12ihipStream_tbENKUlT_T0_E_clISt17integral_constantIbLb0EESY_IbLb1EEEEDaSU_SV_EUlSU_E_NS1_11comp_targetILNS1_3genE0ELNS1_11target_archE4294967295ELNS1_3gpuE0ELNS1_3repE0EEENS1_30default_config_static_selectorELNS0_4arch9wavefront6targetE0EEEvT1_
		.amdhsa_group_segment_fixed_size 14336
		.amdhsa_private_segment_fixed_size 0
		.amdhsa_kernarg_size 112
		.amdhsa_user_sgpr_count 2
		.amdhsa_user_sgpr_dispatch_ptr 0
		.amdhsa_user_sgpr_queue_ptr 0
		.amdhsa_user_sgpr_kernarg_segment_ptr 1
		.amdhsa_user_sgpr_dispatch_id 0
		.amdhsa_user_sgpr_kernarg_preload_length 0
		.amdhsa_user_sgpr_kernarg_preload_offset 0
		.amdhsa_user_sgpr_private_segment_size 0
		.amdhsa_wavefront_size32 1
		.amdhsa_uses_dynamic_stack 0
		.amdhsa_enable_private_segment 0
		.amdhsa_system_sgpr_workgroup_id_x 1
		.amdhsa_system_sgpr_workgroup_id_y 0
		.amdhsa_system_sgpr_workgroup_id_z 0
		.amdhsa_system_sgpr_workgroup_info 0
		.amdhsa_system_vgpr_workitem_id 0
		.amdhsa_next_free_vgpr 60
		.amdhsa_next_free_sgpr 44
		.amdhsa_named_barrier_count 0
		.amdhsa_reserve_vcc 1
		.amdhsa_float_round_mode_32 0
		.amdhsa_float_round_mode_16_64 0
		.amdhsa_float_denorm_mode_32 3
		.amdhsa_float_denorm_mode_16_64 3
		.amdhsa_fp16_overflow 0
		.amdhsa_memory_ordered 1
		.amdhsa_forward_progress 1
		.amdhsa_inst_pref_size 95
		.amdhsa_round_robin_scheduling 0
		.amdhsa_exception_fp_ieee_invalid_op 0
		.amdhsa_exception_fp_denorm_src 0
		.amdhsa_exception_fp_ieee_div_zero 0
		.amdhsa_exception_fp_ieee_overflow 0
		.amdhsa_exception_fp_ieee_underflow 0
		.amdhsa_exception_fp_ieee_inexact 0
		.amdhsa_exception_int_div_zero 0
	.end_amdhsa_kernel
	.section	.text._ZN7rocprim17ROCPRIM_400000_NS6detail17trampoline_kernelINS0_14default_configENS1_27scan_by_key_config_selectorIiiEEZZNS1_16scan_by_key_implILNS1_25lookback_scan_determinismE0ELb0ES3_N6thrust23THRUST_200600_302600_NS6detail15normal_iteratorINS9_10device_ptrIiEEEESE_SE_iNS9_4plusIvEENS9_8equal_toIvEEiEE10hipError_tPvRmT2_T3_T4_T5_mT6_T7_P12ihipStream_tbENKUlT_T0_E_clISt17integral_constantIbLb0EESY_IbLb1EEEEDaSU_SV_EUlSU_E_NS1_11comp_targetILNS1_3genE0ELNS1_11target_archE4294967295ELNS1_3gpuE0ELNS1_3repE0EEENS1_30default_config_static_selectorELNS0_4arch9wavefront6targetE0EEEvT1_,"axG",@progbits,_ZN7rocprim17ROCPRIM_400000_NS6detail17trampoline_kernelINS0_14default_configENS1_27scan_by_key_config_selectorIiiEEZZNS1_16scan_by_key_implILNS1_25lookback_scan_determinismE0ELb0ES3_N6thrust23THRUST_200600_302600_NS6detail15normal_iteratorINS9_10device_ptrIiEEEESE_SE_iNS9_4plusIvEENS9_8equal_toIvEEiEE10hipError_tPvRmT2_T3_T4_T5_mT6_T7_P12ihipStream_tbENKUlT_T0_E_clISt17integral_constantIbLb0EESY_IbLb1EEEEDaSU_SV_EUlSU_E_NS1_11comp_targetILNS1_3genE0ELNS1_11target_archE4294967295ELNS1_3gpuE0ELNS1_3repE0EEENS1_30default_config_static_selectorELNS0_4arch9wavefront6targetE0EEEvT1_,comdat
.Lfunc_end155:
	.size	_ZN7rocprim17ROCPRIM_400000_NS6detail17trampoline_kernelINS0_14default_configENS1_27scan_by_key_config_selectorIiiEEZZNS1_16scan_by_key_implILNS1_25lookback_scan_determinismE0ELb0ES3_N6thrust23THRUST_200600_302600_NS6detail15normal_iteratorINS9_10device_ptrIiEEEESE_SE_iNS9_4plusIvEENS9_8equal_toIvEEiEE10hipError_tPvRmT2_T3_T4_T5_mT6_T7_P12ihipStream_tbENKUlT_T0_E_clISt17integral_constantIbLb0EESY_IbLb1EEEEDaSU_SV_EUlSU_E_NS1_11comp_targetILNS1_3genE0ELNS1_11target_archE4294967295ELNS1_3gpuE0ELNS1_3repE0EEENS1_30default_config_static_selectorELNS0_4arch9wavefront6targetE0EEEvT1_, .Lfunc_end155-_ZN7rocprim17ROCPRIM_400000_NS6detail17trampoline_kernelINS0_14default_configENS1_27scan_by_key_config_selectorIiiEEZZNS1_16scan_by_key_implILNS1_25lookback_scan_determinismE0ELb0ES3_N6thrust23THRUST_200600_302600_NS6detail15normal_iteratorINS9_10device_ptrIiEEEESE_SE_iNS9_4plusIvEENS9_8equal_toIvEEiEE10hipError_tPvRmT2_T3_T4_T5_mT6_T7_P12ihipStream_tbENKUlT_T0_E_clISt17integral_constantIbLb0EESY_IbLb1EEEEDaSU_SV_EUlSU_E_NS1_11comp_targetILNS1_3genE0ELNS1_11target_archE4294967295ELNS1_3gpuE0ELNS1_3repE0EEENS1_30default_config_static_selectorELNS0_4arch9wavefront6targetE0EEEvT1_
                                        ; -- End function
	.set _ZN7rocprim17ROCPRIM_400000_NS6detail17trampoline_kernelINS0_14default_configENS1_27scan_by_key_config_selectorIiiEEZZNS1_16scan_by_key_implILNS1_25lookback_scan_determinismE0ELb0ES3_N6thrust23THRUST_200600_302600_NS6detail15normal_iteratorINS9_10device_ptrIiEEEESE_SE_iNS9_4plusIvEENS9_8equal_toIvEEiEE10hipError_tPvRmT2_T3_T4_T5_mT6_T7_P12ihipStream_tbENKUlT_T0_E_clISt17integral_constantIbLb0EESY_IbLb1EEEEDaSU_SV_EUlSU_E_NS1_11comp_targetILNS1_3genE0ELNS1_11target_archE4294967295ELNS1_3gpuE0ELNS1_3repE0EEENS1_30default_config_static_selectorELNS0_4arch9wavefront6targetE0EEEvT1_.num_vgpr, 60
	.set _ZN7rocprim17ROCPRIM_400000_NS6detail17trampoline_kernelINS0_14default_configENS1_27scan_by_key_config_selectorIiiEEZZNS1_16scan_by_key_implILNS1_25lookback_scan_determinismE0ELb0ES3_N6thrust23THRUST_200600_302600_NS6detail15normal_iteratorINS9_10device_ptrIiEEEESE_SE_iNS9_4plusIvEENS9_8equal_toIvEEiEE10hipError_tPvRmT2_T3_T4_T5_mT6_T7_P12ihipStream_tbENKUlT_T0_E_clISt17integral_constantIbLb0EESY_IbLb1EEEEDaSU_SV_EUlSU_E_NS1_11comp_targetILNS1_3genE0ELNS1_11target_archE4294967295ELNS1_3gpuE0ELNS1_3repE0EEENS1_30default_config_static_selectorELNS0_4arch9wavefront6targetE0EEEvT1_.num_agpr, 0
	.set _ZN7rocprim17ROCPRIM_400000_NS6detail17trampoline_kernelINS0_14default_configENS1_27scan_by_key_config_selectorIiiEEZZNS1_16scan_by_key_implILNS1_25lookback_scan_determinismE0ELb0ES3_N6thrust23THRUST_200600_302600_NS6detail15normal_iteratorINS9_10device_ptrIiEEEESE_SE_iNS9_4plusIvEENS9_8equal_toIvEEiEE10hipError_tPvRmT2_T3_T4_T5_mT6_T7_P12ihipStream_tbENKUlT_T0_E_clISt17integral_constantIbLb0EESY_IbLb1EEEEDaSU_SV_EUlSU_E_NS1_11comp_targetILNS1_3genE0ELNS1_11target_archE4294967295ELNS1_3gpuE0ELNS1_3repE0EEENS1_30default_config_static_selectorELNS0_4arch9wavefront6targetE0EEEvT1_.numbered_sgpr, 44
	.set _ZN7rocprim17ROCPRIM_400000_NS6detail17trampoline_kernelINS0_14default_configENS1_27scan_by_key_config_selectorIiiEEZZNS1_16scan_by_key_implILNS1_25lookback_scan_determinismE0ELb0ES3_N6thrust23THRUST_200600_302600_NS6detail15normal_iteratorINS9_10device_ptrIiEEEESE_SE_iNS9_4plusIvEENS9_8equal_toIvEEiEE10hipError_tPvRmT2_T3_T4_T5_mT6_T7_P12ihipStream_tbENKUlT_T0_E_clISt17integral_constantIbLb0EESY_IbLb1EEEEDaSU_SV_EUlSU_E_NS1_11comp_targetILNS1_3genE0ELNS1_11target_archE4294967295ELNS1_3gpuE0ELNS1_3repE0EEENS1_30default_config_static_selectorELNS0_4arch9wavefront6targetE0EEEvT1_.num_named_barrier, 0
	.set _ZN7rocprim17ROCPRIM_400000_NS6detail17trampoline_kernelINS0_14default_configENS1_27scan_by_key_config_selectorIiiEEZZNS1_16scan_by_key_implILNS1_25lookback_scan_determinismE0ELb0ES3_N6thrust23THRUST_200600_302600_NS6detail15normal_iteratorINS9_10device_ptrIiEEEESE_SE_iNS9_4plusIvEENS9_8equal_toIvEEiEE10hipError_tPvRmT2_T3_T4_T5_mT6_T7_P12ihipStream_tbENKUlT_T0_E_clISt17integral_constantIbLb0EESY_IbLb1EEEEDaSU_SV_EUlSU_E_NS1_11comp_targetILNS1_3genE0ELNS1_11target_archE4294967295ELNS1_3gpuE0ELNS1_3repE0EEENS1_30default_config_static_selectorELNS0_4arch9wavefront6targetE0EEEvT1_.private_seg_size, 0
	.set _ZN7rocprim17ROCPRIM_400000_NS6detail17trampoline_kernelINS0_14default_configENS1_27scan_by_key_config_selectorIiiEEZZNS1_16scan_by_key_implILNS1_25lookback_scan_determinismE0ELb0ES3_N6thrust23THRUST_200600_302600_NS6detail15normal_iteratorINS9_10device_ptrIiEEEESE_SE_iNS9_4plusIvEENS9_8equal_toIvEEiEE10hipError_tPvRmT2_T3_T4_T5_mT6_T7_P12ihipStream_tbENKUlT_T0_E_clISt17integral_constantIbLb0EESY_IbLb1EEEEDaSU_SV_EUlSU_E_NS1_11comp_targetILNS1_3genE0ELNS1_11target_archE4294967295ELNS1_3gpuE0ELNS1_3repE0EEENS1_30default_config_static_selectorELNS0_4arch9wavefront6targetE0EEEvT1_.uses_vcc, 1
	.set _ZN7rocprim17ROCPRIM_400000_NS6detail17trampoline_kernelINS0_14default_configENS1_27scan_by_key_config_selectorIiiEEZZNS1_16scan_by_key_implILNS1_25lookback_scan_determinismE0ELb0ES3_N6thrust23THRUST_200600_302600_NS6detail15normal_iteratorINS9_10device_ptrIiEEEESE_SE_iNS9_4plusIvEENS9_8equal_toIvEEiEE10hipError_tPvRmT2_T3_T4_T5_mT6_T7_P12ihipStream_tbENKUlT_T0_E_clISt17integral_constantIbLb0EESY_IbLb1EEEEDaSU_SV_EUlSU_E_NS1_11comp_targetILNS1_3genE0ELNS1_11target_archE4294967295ELNS1_3gpuE0ELNS1_3repE0EEENS1_30default_config_static_selectorELNS0_4arch9wavefront6targetE0EEEvT1_.uses_flat_scratch, 1
	.set _ZN7rocprim17ROCPRIM_400000_NS6detail17trampoline_kernelINS0_14default_configENS1_27scan_by_key_config_selectorIiiEEZZNS1_16scan_by_key_implILNS1_25lookback_scan_determinismE0ELb0ES3_N6thrust23THRUST_200600_302600_NS6detail15normal_iteratorINS9_10device_ptrIiEEEESE_SE_iNS9_4plusIvEENS9_8equal_toIvEEiEE10hipError_tPvRmT2_T3_T4_T5_mT6_T7_P12ihipStream_tbENKUlT_T0_E_clISt17integral_constantIbLb0EESY_IbLb1EEEEDaSU_SV_EUlSU_E_NS1_11comp_targetILNS1_3genE0ELNS1_11target_archE4294967295ELNS1_3gpuE0ELNS1_3repE0EEENS1_30default_config_static_selectorELNS0_4arch9wavefront6targetE0EEEvT1_.has_dyn_sized_stack, 0
	.set _ZN7rocprim17ROCPRIM_400000_NS6detail17trampoline_kernelINS0_14default_configENS1_27scan_by_key_config_selectorIiiEEZZNS1_16scan_by_key_implILNS1_25lookback_scan_determinismE0ELb0ES3_N6thrust23THRUST_200600_302600_NS6detail15normal_iteratorINS9_10device_ptrIiEEEESE_SE_iNS9_4plusIvEENS9_8equal_toIvEEiEE10hipError_tPvRmT2_T3_T4_T5_mT6_T7_P12ihipStream_tbENKUlT_T0_E_clISt17integral_constantIbLb0EESY_IbLb1EEEEDaSU_SV_EUlSU_E_NS1_11comp_targetILNS1_3genE0ELNS1_11target_archE4294967295ELNS1_3gpuE0ELNS1_3repE0EEENS1_30default_config_static_selectorELNS0_4arch9wavefront6targetE0EEEvT1_.has_recursion, 0
	.set _ZN7rocprim17ROCPRIM_400000_NS6detail17trampoline_kernelINS0_14default_configENS1_27scan_by_key_config_selectorIiiEEZZNS1_16scan_by_key_implILNS1_25lookback_scan_determinismE0ELb0ES3_N6thrust23THRUST_200600_302600_NS6detail15normal_iteratorINS9_10device_ptrIiEEEESE_SE_iNS9_4plusIvEENS9_8equal_toIvEEiEE10hipError_tPvRmT2_T3_T4_T5_mT6_T7_P12ihipStream_tbENKUlT_T0_E_clISt17integral_constantIbLb0EESY_IbLb1EEEEDaSU_SV_EUlSU_E_NS1_11comp_targetILNS1_3genE0ELNS1_11target_archE4294967295ELNS1_3gpuE0ELNS1_3repE0EEENS1_30default_config_static_selectorELNS0_4arch9wavefront6targetE0EEEvT1_.has_indirect_call, 0
	.section	.AMDGPU.csdata,"",@progbits
; Kernel info:
; codeLenInByte = 12072
; TotalNumSgprs: 46
; NumVgprs: 60
; ScratchSize: 0
; MemoryBound: 0
; FloatMode: 240
; IeeeMode: 1
; LDSByteSize: 14336 bytes/workgroup (compile time only)
; SGPRBlocks: 0
; VGPRBlocks: 3
; NumSGPRsForWavesPerEU: 46
; NumVGPRsForWavesPerEU: 60
; NamedBarCnt: 0
; Occupancy: 16
; WaveLimiterHint : 1
; COMPUTE_PGM_RSRC2:SCRATCH_EN: 0
; COMPUTE_PGM_RSRC2:USER_SGPR: 2
; COMPUTE_PGM_RSRC2:TRAP_HANDLER: 0
; COMPUTE_PGM_RSRC2:TGID_X_EN: 1
; COMPUTE_PGM_RSRC2:TGID_Y_EN: 0
; COMPUTE_PGM_RSRC2:TGID_Z_EN: 0
; COMPUTE_PGM_RSRC2:TIDIG_COMP_CNT: 0
	.section	.text._ZN7rocprim17ROCPRIM_400000_NS6detail17trampoline_kernelINS0_14default_configENS1_27scan_by_key_config_selectorIiiEEZZNS1_16scan_by_key_implILNS1_25lookback_scan_determinismE0ELb0ES3_N6thrust23THRUST_200600_302600_NS6detail15normal_iteratorINS9_10device_ptrIiEEEESE_SE_iNS9_4plusIvEENS9_8equal_toIvEEiEE10hipError_tPvRmT2_T3_T4_T5_mT6_T7_P12ihipStream_tbENKUlT_T0_E_clISt17integral_constantIbLb0EESY_IbLb1EEEEDaSU_SV_EUlSU_E_NS1_11comp_targetILNS1_3genE10ELNS1_11target_archE1201ELNS1_3gpuE5ELNS1_3repE0EEENS1_30default_config_static_selectorELNS0_4arch9wavefront6targetE0EEEvT1_,"axG",@progbits,_ZN7rocprim17ROCPRIM_400000_NS6detail17trampoline_kernelINS0_14default_configENS1_27scan_by_key_config_selectorIiiEEZZNS1_16scan_by_key_implILNS1_25lookback_scan_determinismE0ELb0ES3_N6thrust23THRUST_200600_302600_NS6detail15normal_iteratorINS9_10device_ptrIiEEEESE_SE_iNS9_4plusIvEENS9_8equal_toIvEEiEE10hipError_tPvRmT2_T3_T4_T5_mT6_T7_P12ihipStream_tbENKUlT_T0_E_clISt17integral_constantIbLb0EESY_IbLb1EEEEDaSU_SV_EUlSU_E_NS1_11comp_targetILNS1_3genE10ELNS1_11target_archE1201ELNS1_3gpuE5ELNS1_3repE0EEENS1_30default_config_static_selectorELNS0_4arch9wavefront6targetE0EEEvT1_,comdat
	.protected	_ZN7rocprim17ROCPRIM_400000_NS6detail17trampoline_kernelINS0_14default_configENS1_27scan_by_key_config_selectorIiiEEZZNS1_16scan_by_key_implILNS1_25lookback_scan_determinismE0ELb0ES3_N6thrust23THRUST_200600_302600_NS6detail15normal_iteratorINS9_10device_ptrIiEEEESE_SE_iNS9_4plusIvEENS9_8equal_toIvEEiEE10hipError_tPvRmT2_T3_T4_T5_mT6_T7_P12ihipStream_tbENKUlT_T0_E_clISt17integral_constantIbLb0EESY_IbLb1EEEEDaSU_SV_EUlSU_E_NS1_11comp_targetILNS1_3genE10ELNS1_11target_archE1201ELNS1_3gpuE5ELNS1_3repE0EEENS1_30default_config_static_selectorELNS0_4arch9wavefront6targetE0EEEvT1_ ; -- Begin function _ZN7rocprim17ROCPRIM_400000_NS6detail17trampoline_kernelINS0_14default_configENS1_27scan_by_key_config_selectorIiiEEZZNS1_16scan_by_key_implILNS1_25lookback_scan_determinismE0ELb0ES3_N6thrust23THRUST_200600_302600_NS6detail15normal_iteratorINS9_10device_ptrIiEEEESE_SE_iNS9_4plusIvEENS9_8equal_toIvEEiEE10hipError_tPvRmT2_T3_T4_T5_mT6_T7_P12ihipStream_tbENKUlT_T0_E_clISt17integral_constantIbLb0EESY_IbLb1EEEEDaSU_SV_EUlSU_E_NS1_11comp_targetILNS1_3genE10ELNS1_11target_archE1201ELNS1_3gpuE5ELNS1_3repE0EEENS1_30default_config_static_selectorELNS0_4arch9wavefront6targetE0EEEvT1_
	.globl	_ZN7rocprim17ROCPRIM_400000_NS6detail17trampoline_kernelINS0_14default_configENS1_27scan_by_key_config_selectorIiiEEZZNS1_16scan_by_key_implILNS1_25lookback_scan_determinismE0ELb0ES3_N6thrust23THRUST_200600_302600_NS6detail15normal_iteratorINS9_10device_ptrIiEEEESE_SE_iNS9_4plusIvEENS9_8equal_toIvEEiEE10hipError_tPvRmT2_T3_T4_T5_mT6_T7_P12ihipStream_tbENKUlT_T0_E_clISt17integral_constantIbLb0EESY_IbLb1EEEEDaSU_SV_EUlSU_E_NS1_11comp_targetILNS1_3genE10ELNS1_11target_archE1201ELNS1_3gpuE5ELNS1_3repE0EEENS1_30default_config_static_selectorELNS0_4arch9wavefront6targetE0EEEvT1_
	.p2align	8
	.type	_ZN7rocprim17ROCPRIM_400000_NS6detail17trampoline_kernelINS0_14default_configENS1_27scan_by_key_config_selectorIiiEEZZNS1_16scan_by_key_implILNS1_25lookback_scan_determinismE0ELb0ES3_N6thrust23THRUST_200600_302600_NS6detail15normal_iteratorINS9_10device_ptrIiEEEESE_SE_iNS9_4plusIvEENS9_8equal_toIvEEiEE10hipError_tPvRmT2_T3_T4_T5_mT6_T7_P12ihipStream_tbENKUlT_T0_E_clISt17integral_constantIbLb0EESY_IbLb1EEEEDaSU_SV_EUlSU_E_NS1_11comp_targetILNS1_3genE10ELNS1_11target_archE1201ELNS1_3gpuE5ELNS1_3repE0EEENS1_30default_config_static_selectorELNS0_4arch9wavefront6targetE0EEEvT1_,@function
_ZN7rocprim17ROCPRIM_400000_NS6detail17trampoline_kernelINS0_14default_configENS1_27scan_by_key_config_selectorIiiEEZZNS1_16scan_by_key_implILNS1_25lookback_scan_determinismE0ELb0ES3_N6thrust23THRUST_200600_302600_NS6detail15normal_iteratorINS9_10device_ptrIiEEEESE_SE_iNS9_4plusIvEENS9_8equal_toIvEEiEE10hipError_tPvRmT2_T3_T4_T5_mT6_T7_P12ihipStream_tbENKUlT_T0_E_clISt17integral_constantIbLb0EESY_IbLb1EEEEDaSU_SV_EUlSU_E_NS1_11comp_targetILNS1_3genE10ELNS1_11target_archE1201ELNS1_3gpuE5ELNS1_3repE0EEENS1_30default_config_static_selectorELNS0_4arch9wavefront6targetE0EEEvT1_: ; @_ZN7rocprim17ROCPRIM_400000_NS6detail17trampoline_kernelINS0_14default_configENS1_27scan_by_key_config_selectorIiiEEZZNS1_16scan_by_key_implILNS1_25lookback_scan_determinismE0ELb0ES3_N6thrust23THRUST_200600_302600_NS6detail15normal_iteratorINS9_10device_ptrIiEEEESE_SE_iNS9_4plusIvEENS9_8equal_toIvEEiEE10hipError_tPvRmT2_T3_T4_T5_mT6_T7_P12ihipStream_tbENKUlT_T0_E_clISt17integral_constantIbLb0EESY_IbLb1EEEEDaSU_SV_EUlSU_E_NS1_11comp_targetILNS1_3genE10ELNS1_11target_archE1201ELNS1_3gpuE5ELNS1_3repE0EEENS1_30default_config_static_selectorELNS0_4arch9wavefront6targetE0EEEvT1_
; %bb.0:
	.section	.rodata,"a",@progbits
	.p2align	6, 0x0
	.amdhsa_kernel _ZN7rocprim17ROCPRIM_400000_NS6detail17trampoline_kernelINS0_14default_configENS1_27scan_by_key_config_selectorIiiEEZZNS1_16scan_by_key_implILNS1_25lookback_scan_determinismE0ELb0ES3_N6thrust23THRUST_200600_302600_NS6detail15normal_iteratorINS9_10device_ptrIiEEEESE_SE_iNS9_4plusIvEENS9_8equal_toIvEEiEE10hipError_tPvRmT2_T3_T4_T5_mT6_T7_P12ihipStream_tbENKUlT_T0_E_clISt17integral_constantIbLb0EESY_IbLb1EEEEDaSU_SV_EUlSU_E_NS1_11comp_targetILNS1_3genE10ELNS1_11target_archE1201ELNS1_3gpuE5ELNS1_3repE0EEENS1_30default_config_static_selectorELNS0_4arch9wavefront6targetE0EEEvT1_
		.amdhsa_group_segment_fixed_size 0
		.amdhsa_private_segment_fixed_size 0
		.amdhsa_kernarg_size 112
		.amdhsa_user_sgpr_count 2
		.amdhsa_user_sgpr_dispatch_ptr 0
		.amdhsa_user_sgpr_queue_ptr 0
		.amdhsa_user_sgpr_kernarg_segment_ptr 1
		.amdhsa_user_sgpr_dispatch_id 0
		.amdhsa_user_sgpr_kernarg_preload_length 0
		.amdhsa_user_sgpr_kernarg_preload_offset 0
		.amdhsa_user_sgpr_private_segment_size 0
		.amdhsa_wavefront_size32 1
		.amdhsa_uses_dynamic_stack 0
		.amdhsa_enable_private_segment 0
		.amdhsa_system_sgpr_workgroup_id_x 1
		.amdhsa_system_sgpr_workgroup_id_y 0
		.amdhsa_system_sgpr_workgroup_id_z 0
		.amdhsa_system_sgpr_workgroup_info 0
		.amdhsa_system_vgpr_workitem_id 0
		.amdhsa_next_free_vgpr 1
		.amdhsa_next_free_sgpr 1
		.amdhsa_named_barrier_count 0
		.amdhsa_reserve_vcc 0
		.amdhsa_float_round_mode_32 0
		.amdhsa_float_round_mode_16_64 0
		.amdhsa_float_denorm_mode_32 3
		.amdhsa_float_denorm_mode_16_64 3
		.amdhsa_fp16_overflow 0
		.amdhsa_memory_ordered 1
		.amdhsa_forward_progress 1
		.amdhsa_inst_pref_size 0
		.amdhsa_round_robin_scheduling 0
		.amdhsa_exception_fp_ieee_invalid_op 0
		.amdhsa_exception_fp_denorm_src 0
		.amdhsa_exception_fp_ieee_div_zero 0
		.amdhsa_exception_fp_ieee_overflow 0
		.amdhsa_exception_fp_ieee_underflow 0
		.amdhsa_exception_fp_ieee_inexact 0
		.amdhsa_exception_int_div_zero 0
	.end_amdhsa_kernel
	.section	.text._ZN7rocprim17ROCPRIM_400000_NS6detail17trampoline_kernelINS0_14default_configENS1_27scan_by_key_config_selectorIiiEEZZNS1_16scan_by_key_implILNS1_25lookback_scan_determinismE0ELb0ES3_N6thrust23THRUST_200600_302600_NS6detail15normal_iteratorINS9_10device_ptrIiEEEESE_SE_iNS9_4plusIvEENS9_8equal_toIvEEiEE10hipError_tPvRmT2_T3_T4_T5_mT6_T7_P12ihipStream_tbENKUlT_T0_E_clISt17integral_constantIbLb0EESY_IbLb1EEEEDaSU_SV_EUlSU_E_NS1_11comp_targetILNS1_3genE10ELNS1_11target_archE1201ELNS1_3gpuE5ELNS1_3repE0EEENS1_30default_config_static_selectorELNS0_4arch9wavefront6targetE0EEEvT1_,"axG",@progbits,_ZN7rocprim17ROCPRIM_400000_NS6detail17trampoline_kernelINS0_14default_configENS1_27scan_by_key_config_selectorIiiEEZZNS1_16scan_by_key_implILNS1_25lookback_scan_determinismE0ELb0ES3_N6thrust23THRUST_200600_302600_NS6detail15normal_iteratorINS9_10device_ptrIiEEEESE_SE_iNS9_4plusIvEENS9_8equal_toIvEEiEE10hipError_tPvRmT2_T3_T4_T5_mT6_T7_P12ihipStream_tbENKUlT_T0_E_clISt17integral_constantIbLb0EESY_IbLb1EEEEDaSU_SV_EUlSU_E_NS1_11comp_targetILNS1_3genE10ELNS1_11target_archE1201ELNS1_3gpuE5ELNS1_3repE0EEENS1_30default_config_static_selectorELNS0_4arch9wavefront6targetE0EEEvT1_,comdat
.Lfunc_end156:
	.size	_ZN7rocprim17ROCPRIM_400000_NS6detail17trampoline_kernelINS0_14default_configENS1_27scan_by_key_config_selectorIiiEEZZNS1_16scan_by_key_implILNS1_25lookback_scan_determinismE0ELb0ES3_N6thrust23THRUST_200600_302600_NS6detail15normal_iteratorINS9_10device_ptrIiEEEESE_SE_iNS9_4plusIvEENS9_8equal_toIvEEiEE10hipError_tPvRmT2_T3_T4_T5_mT6_T7_P12ihipStream_tbENKUlT_T0_E_clISt17integral_constantIbLb0EESY_IbLb1EEEEDaSU_SV_EUlSU_E_NS1_11comp_targetILNS1_3genE10ELNS1_11target_archE1201ELNS1_3gpuE5ELNS1_3repE0EEENS1_30default_config_static_selectorELNS0_4arch9wavefront6targetE0EEEvT1_, .Lfunc_end156-_ZN7rocprim17ROCPRIM_400000_NS6detail17trampoline_kernelINS0_14default_configENS1_27scan_by_key_config_selectorIiiEEZZNS1_16scan_by_key_implILNS1_25lookback_scan_determinismE0ELb0ES3_N6thrust23THRUST_200600_302600_NS6detail15normal_iteratorINS9_10device_ptrIiEEEESE_SE_iNS9_4plusIvEENS9_8equal_toIvEEiEE10hipError_tPvRmT2_T3_T4_T5_mT6_T7_P12ihipStream_tbENKUlT_T0_E_clISt17integral_constantIbLb0EESY_IbLb1EEEEDaSU_SV_EUlSU_E_NS1_11comp_targetILNS1_3genE10ELNS1_11target_archE1201ELNS1_3gpuE5ELNS1_3repE0EEENS1_30default_config_static_selectorELNS0_4arch9wavefront6targetE0EEEvT1_
                                        ; -- End function
	.set _ZN7rocprim17ROCPRIM_400000_NS6detail17trampoline_kernelINS0_14default_configENS1_27scan_by_key_config_selectorIiiEEZZNS1_16scan_by_key_implILNS1_25lookback_scan_determinismE0ELb0ES3_N6thrust23THRUST_200600_302600_NS6detail15normal_iteratorINS9_10device_ptrIiEEEESE_SE_iNS9_4plusIvEENS9_8equal_toIvEEiEE10hipError_tPvRmT2_T3_T4_T5_mT6_T7_P12ihipStream_tbENKUlT_T0_E_clISt17integral_constantIbLb0EESY_IbLb1EEEEDaSU_SV_EUlSU_E_NS1_11comp_targetILNS1_3genE10ELNS1_11target_archE1201ELNS1_3gpuE5ELNS1_3repE0EEENS1_30default_config_static_selectorELNS0_4arch9wavefront6targetE0EEEvT1_.num_vgpr, 0
	.set _ZN7rocprim17ROCPRIM_400000_NS6detail17trampoline_kernelINS0_14default_configENS1_27scan_by_key_config_selectorIiiEEZZNS1_16scan_by_key_implILNS1_25lookback_scan_determinismE0ELb0ES3_N6thrust23THRUST_200600_302600_NS6detail15normal_iteratorINS9_10device_ptrIiEEEESE_SE_iNS9_4plusIvEENS9_8equal_toIvEEiEE10hipError_tPvRmT2_T3_T4_T5_mT6_T7_P12ihipStream_tbENKUlT_T0_E_clISt17integral_constantIbLb0EESY_IbLb1EEEEDaSU_SV_EUlSU_E_NS1_11comp_targetILNS1_3genE10ELNS1_11target_archE1201ELNS1_3gpuE5ELNS1_3repE0EEENS1_30default_config_static_selectorELNS0_4arch9wavefront6targetE0EEEvT1_.num_agpr, 0
	.set _ZN7rocprim17ROCPRIM_400000_NS6detail17trampoline_kernelINS0_14default_configENS1_27scan_by_key_config_selectorIiiEEZZNS1_16scan_by_key_implILNS1_25lookback_scan_determinismE0ELb0ES3_N6thrust23THRUST_200600_302600_NS6detail15normal_iteratorINS9_10device_ptrIiEEEESE_SE_iNS9_4plusIvEENS9_8equal_toIvEEiEE10hipError_tPvRmT2_T3_T4_T5_mT6_T7_P12ihipStream_tbENKUlT_T0_E_clISt17integral_constantIbLb0EESY_IbLb1EEEEDaSU_SV_EUlSU_E_NS1_11comp_targetILNS1_3genE10ELNS1_11target_archE1201ELNS1_3gpuE5ELNS1_3repE0EEENS1_30default_config_static_selectorELNS0_4arch9wavefront6targetE0EEEvT1_.numbered_sgpr, 0
	.set _ZN7rocprim17ROCPRIM_400000_NS6detail17trampoline_kernelINS0_14default_configENS1_27scan_by_key_config_selectorIiiEEZZNS1_16scan_by_key_implILNS1_25lookback_scan_determinismE0ELb0ES3_N6thrust23THRUST_200600_302600_NS6detail15normal_iteratorINS9_10device_ptrIiEEEESE_SE_iNS9_4plusIvEENS9_8equal_toIvEEiEE10hipError_tPvRmT2_T3_T4_T5_mT6_T7_P12ihipStream_tbENKUlT_T0_E_clISt17integral_constantIbLb0EESY_IbLb1EEEEDaSU_SV_EUlSU_E_NS1_11comp_targetILNS1_3genE10ELNS1_11target_archE1201ELNS1_3gpuE5ELNS1_3repE0EEENS1_30default_config_static_selectorELNS0_4arch9wavefront6targetE0EEEvT1_.num_named_barrier, 0
	.set _ZN7rocprim17ROCPRIM_400000_NS6detail17trampoline_kernelINS0_14default_configENS1_27scan_by_key_config_selectorIiiEEZZNS1_16scan_by_key_implILNS1_25lookback_scan_determinismE0ELb0ES3_N6thrust23THRUST_200600_302600_NS6detail15normal_iteratorINS9_10device_ptrIiEEEESE_SE_iNS9_4plusIvEENS9_8equal_toIvEEiEE10hipError_tPvRmT2_T3_T4_T5_mT6_T7_P12ihipStream_tbENKUlT_T0_E_clISt17integral_constantIbLb0EESY_IbLb1EEEEDaSU_SV_EUlSU_E_NS1_11comp_targetILNS1_3genE10ELNS1_11target_archE1201ELNS1_3gpuE5ELNS1_3repE0EEENS1_30default_config_static_selectorELNS0_4arch9wavefront6targetE0EEEvT1_.private_seg_size, 0
	.set _ZN7rocprim17ROCPRIM_400000_NS6detail17trampoline_kernelINS0_14default_configENS1_27scan_by_key_config_selectorIiiEEZZNS1_16scan_by_key_implILNS1_25lookback_scan_determinismE0ELb0ES3_N6thrust23THRUST_200600_302600_NS6detail15normal_iteratorINS9_10device_ptrIiEEEESE_SE_iNS9_4plusIvEENS9_8equal_toIvEEiEE10hipError_tPvRmT2_T3_T4_T5_mT6_T7_P12ihipStream_tbENKUlT_T0_E_clISt17integral_constantIbLb0EESY_IbLb1EEEEDaSU_SV_EUlSU_E_NS1_11comp_targetILNS1_3genE10ELNS1_11target_archE1201ELNS1_3gpuE5ELNS1_3repE0EEENS1_30default_config_static_selectorELNS0_4arch9wavefront6targetE0EEEvT1_.uses_vcc, 0
	.set _ZN7rocprim17ROCPRIM_400000_NS6detail17trampoline_kernelINS0_14default_configENS1_27scan_by_key_config_selectorIiiEEZZNS1_16scan_by_key_implILNS1_25lookback_scan_determinismE0ELb0ES3_N6thrust23THRUST_200600_302600_NS6detail15normal_iteratorINS9_10device_ptrIiEEEESE_SE_iNS9_4plusIvEENS9_8equal_toIvEEiEE10hipError_tPvRmT2_T3_T4_T5_mT6_T7_P12ihipStream_tbENKUlT_T0_E_clISt17integral_constantIbLb0EESY_IbLb1EEEEDaSU_SV_EUlSU_E_NS1_11comp_targetILNS1_3genE10ELNS1_11target_archE1201ELNS1_3gpuE5ELNS1_3repE0EEENS1_30default_config_static_selectorELNS0_4arch9wavefront6targetE0EEEvT1_.uses_flat_scratch, 0
	.set _ZN7rocprim17ROCPRIM_400000_NS6detail17trampoline_kernelINS0_14default_configENS1_27scan_by_key_config_selectorIiiEEZZNS1_16scan_by_key_implILNS1_25lookback_scan_determinismE0ELb0ES3_N6thrust23THRUST_200600_302600_NS6detail15normal_iteratorINS9_10device_ptrIiEEEESE_SE_iNS9_4plusIvEENS9_8equal_toIvEEiEE10hipError_tPvRmT2_T3_T4_T5_mT6_T7_P12ihipStream_tbENKUlT_T0_E_clISt17integral_constantIbLb0EESY_IbLb1EEEEDaSU_SV_EUlSU_E_NS1_11comp_targetILNS1_3genE10ELNS1_11target_archE1201ELNS1_3gpuE5ELNS1_3repE0EEENS1_30default_config_static_selectorELNS0_4arch9wavefront6targetE0EEEvT1_.has_dyn_sized_stack, 0
	.set _ZN7rocprim17ROCPRIM_400000_NS6detail17trampoline_kernelINS0_14default_configENS1_27scan_by_key_config_selectorIiiEEZZNS1_16scan_by_key_implILNS1_25lookback_scan_determinismE0ELb0ES3_N6thrust23THRUST_200600_302600_NS6detail15normal_iteratorINS9_10device_ptrIiEEEESE_SE_iNS9_4plusIvEENS9_8equal_toIvEEiEE10hipError_tPvRmT2_T3_T4_T5_mT6_T7_P12ihipStream_tbENKUlT_T0_E_clISt17integral_constantIbLb0EESY_IbLb1EEEEDaSU_SV_EUlSU_E_NS1_11comp_targetILNS1_3genE10ELNS1_11target_archE1201ELNS1_3gpuE5ELNS1_3repE0EEENS1_30default_config_static_selectorELNS0_4arch9wavefront6targetE0EEEvT1_.has_recursion, 0
	.set _ZN7rocprim17ROCPRIM_400000_NS6detail17trampoline_kernelINS0_14default_configENS1_27scan_by_key_config_selectorIiiEEZZNS1_16scan_by_key_implILNS1_25lookback_scan_determinismE0ELb0ES3_N6thrust23THRUST_200600_302600_NS6detail15normal_iteratorINS9_10device_ptrIiEEEESE_SE_iNS9_4plusIvEENS9_8equal_toIvEEiEE10hipError_tPvRmT2_T3_T4_T5_mT6_T7_P12ihipStream_tbENKUlT_T0_E_clISt17integral_constantIbLb0EESY_IbLb1EEEEDaSU_SV_EUlSU_E_NS1_11comp_targetILNS1_3genE10ELNS1_11target_archE1201ELNS1_3gpuE5ELNS1_3repE0EEENS1_30default_config_static_selectorELNS0_4arch9wavefront6targetE0EEEvT1_.has_indirect_call, 0
	.section	.AMDGPU.csdata,"",@progbits
; Kernel info:
; codeLenInByte = 0
; TotalNumSgprs: 0
; NumVgprs: 0
; ScratchSize: 0
; MemoryBound: 0
; FloatMode: 240
; IeeeMode: 1
; LDSByteSize: 0 bytes/workgroup (compile time only)
; SGPRBlocks: 0
; VGPRBlocks: 0
; NumSGPRsForWavesPerEU: 1
; NumVGPRsForWavesPerEU: 1
; NamedBarCnt: 0
; Occupancy: 16
; WaveLimiterHint : 0
; COMPUTE_PGM_RSRC2:SCRATCH_EN: 0
; COMPUTE_PGM_RSRC2:USER_SGPR: 2
; COMPUTE_PGM_RSRC2:TRAP_HANDLER: 0
; COMPUTE_PGM_RSRC2:TGID_X_EN: 1
; COMPUTE_PGM_RSRC2:TGID_Y_EN: 0
; COMPUTE_PGM_RSRC2:TGID_Z_EN: 0
; COMPUTE_PGM_RSRC2:TIDIG_COMP_CNT: 0
	.section	.text._ZN7rocprim17ROCPRIM_400000_NS6detail17trampoline_kernelINS0_14default_configENS1_27scan_by_key_config_selectorIiiEEZZNS1_16scan_by_key_implILNS1_25lookback_scan_determinismE0ELb0ES3_N6thrust23THRUST_200600_302600_NS6detail15normal_iteratorINS9_10device_ptrIiEEEESE_SE_iNS9_4plusIvEENS9_8equal_toIvEEiEE10hipError_tPvRmT2_T3_T4_T5_mT6_T7_P12ihipStream_tbENKUlT_T0_E_clISt17integral_constantIbLb0EESY_IbLb1EEEEDaSU_SV_EUlSU_E_NS1_11comp_targetILNS1_3genE5ELNS1_11target_archE942ELNS1_3gpuE9ELNS1_3repE0EEENS1_30default_config_static_selectorELNS0_4arch9wavefront6targetE0EEEvT1_,"axG",@progbits,_ZN7rocprim17ROCPRIM_400000_NS6detail17trampoline_kernelINS0_14default_configENS1_27scan_by_key_config_selectorIiiEEZZNS1_16scan_by_key_implILNS1_25lookback_scan_determinismE0ELb0ES3_N6thrust23THRUST_200600_302600_NS6detail15normal_iteratorINS9_10device_ptrIiEEEESE_SE_iNS9_4plusIvEENS9_8equal_toIvEEiEE10hipError_tPvRmT2_T3_T4_T5_mT6_T7_P12ihipStream_tbENKUlT_T0_E_clISt17integral_constantIbLb0EESY_IbLb1EEEEDaSU_SV_EUlSU_E_NS1_11comp_targetILNS1_3genE5ELNS1_11target_archE942ELNS1_3gpuE9ELNS1_3repE0EEENS1_30default_config_static_selectorELNS0_4arch9wavefront6targetE0EEEvT1_,comdat
	.protected	_ZN7rocprim17ROCPRIM_400000_NS6detail17trampoline_kernelINS0_14default_configENS1_27scan_by_key_config_selectorIiiEEZZNS1_16scan_by_key_implILNS1_25lookback_scan_determinismE0ELb0ES3_N6thrust23THRUST_200600_302600_NS6detail15normal_iteratorINS9_10device_ptrIiEEEESE_SE_iNS9_4plusIvEENS9_8equal_toIvEEiEE10hipError_tPvRmT2_T3_T4_T5_mT6_T7_P12ihipStream_tbENKUlT_T0_E_clISt17integral_constantIbLb0EESY_IbLb1EEEEDaSU_SV_EUlSU_E_NS1_11comp_targetILNS1_3genE5ELNS1_11target_archE942ELNS1_3gpuE9ELNS1_3repE0EEENS1_30default_config_static_selectorELNS0_4arch9wavefront6targetE0EEEvT1_ ; -- Begin function _ZN7rocprim17ROCPRIM_400000_NS6detail17trampoline_kernelINS0_14default_configENS1_27scan_by_key_config_selectorIiiEEZZNS1_16scan_by_key_implILNS1_25lookback_scan_determinismE0ELb0ES3_N6thrust23THRUST_200600_302600_NS6detail15normal_iteratorINS9_10device_ptrIiEEEESE_SE_iNS9_4plusIvEENS9_8equal_toIvEEiEE10hipError_tPvRmT2_T3_T4_T5_mT6_T7_P12ihipStream_tbENKUlT_T0_E_clISt17integral_constantIbLb0EESY_IbLb1EEEEDaSU_SV_EUlSU_E_NS1_11comp_targetILNS1_3genE5ELNS1_11target_archE942ELNS1_3gpuE9ELNS1_3repE0EEENS1_30default_config_static_selectorELNS0_4arch9wavefront6targetE0EEEvT1_
	.globl	_ZN7rocprim17ROCPRIM_400000_NS6detail17trampoline_kernelINS0_14default_configENS1_27scan_by_key_config_selectorIiiEEZZNS1_16scan_by_key_implILNS1_25lookback_scan_determinismE0ELb0ES3_N6thrust23THRUST_200600_302600_NS6detail15normal_iteratorINS9_10device_ptrIiEEEESE_SE_iNS9_4plusIvEENS9_8equal_toIvEEiEE10hipError_tPvRmT2_T3_T4_T5_mT6_T7_P12ihipStream_tbENKUlT_T0_E_clISt17integral_constantIbLb0EESY_IbLb1EEEEDaSU_SV_EUlSU_E_NS1_11comp_targetILNS1_3genE5ELNS1_11target_archE942ELNS1_3gpuE9ELNS1_3repE0EEENS1_30default_config_static_selectorELNS0_4arch9wavefront6targetE0EEEvT1_
	.p2align	8
	.type	_ZN7rocprim17ROCPRIM_400000_NS6detail17trampoline_kernelINS0_14default_configENS1_27scan_by_key_config_selectorIiiEEZZNS1_16scan_by_key_implILNS1_25lookback_scan_determinismE0ELb0ES3_N6thrust23THRUST_200600_302600_NS6detail15normal_iteratorINS9_10device_ptrIiEEEESE_SE_iNS9_4plusIvEENS9_8equal_toIvEEiEE10hipError_tPvRmT2_T3_T4_T5_mT6_T7_P12ihipStream_tbENKUlT_T0_E_clISt17integral_constantIbLb0EESY_IbLb1EEEEDaSU_SV_EUlSU_E_NS1_11comp_targetILNS1_3genE5ELNS1_11target_archE942ELNS1_3gpuE9ELNS1_3repE0EEENS1_30default_config_static_selectorELNS0_4arch9wavefront6targetE0EEEvT1_,@function
_ZN7rocprim17ROCPRIM_400000_NS6detail17trampoline_kernelINS0_14default_configENS1_27scan_by_key_config_selectorIiiEEZZNS1_16scan_by_key_implILNS1_25lookback_scan_determinismE0ELb0ES3_N6thrust23THRUST_200600_302600_NS6detail15normal_iteratorINS9_10device_ptrIiEEEESE_SE_iNS9_4plusIvEENS9_8equal_toIvEEiEE10hipError_tPvRmT2_T3_T4_T5_mT6_T7_P12ihipStream_tbENKUlT_T0_E_clISt17integral_constantIbLb0EESY_IbLb1EEEEDaSU_SV_EUlSU_E_NS1_11comp_targetILNS1_3genE5ELNS1_11target_archE942ELNS1_3gpuE9ELNS1_3repE0EEENS1_30default_config_static_selectorELNS0_4arch9wavefront6targetE0EEEvT1_: ; @_ZN7rocprim17ROCPRIM_400000_NS6detail17trampoline_kernelINS0_14default_configENS1_27scan_by_key_config_selectorIiiEEZZNS1_16scan_by_key_implILNS1_25lookback_scan_determinismE0ELb0ES3_N6thrust23THRUST_200600_302600_NS6detail15normal_iteratorINS9_10device_ptrIiEEEESE_SE_iNS9_4plusIvEENS9_8equal_toIvEEiEE10hipError_tPvRmT2_T3_T4_T5_mT6_T7_P12ihipStream_tbENKUlT_T0_E_clISt17integral_constantIbLb0EESY_IbLb1EEEEDaSU_SV_EUlSU_E_NS1_11comp_targetILNS1_3genE5ELNS1_11target_archE942ELNS1_3gpuE9ELNS1_3repE0EEENS1_30default_config_static_selectorELNS0_4arch9wavefront6targetE0EEEvT1_
; %bb.0:
	.section	.rodata,"a",@progbits
	.p2align	6, 0x0
	.amdhsa_kernel _ZN7rocprim17ROCPRIM_400000_NS6detail17trampoline_kernelINS0_14default_configENS1_27scan_by_key_config_selectorIiiEEZZNS1_16scan_by_key_implILNS1_25lookback_scan_determinismE0ELb0ES3_N6thrust23THRUST_200600_302600_NS6detail15normal_iteratorINS9_10device_ptrIiEEEESE_SE_iNS9_4plusIvEENS9_8equal_toIvEEiEE10hipError_tPvRmT2_T3_T4_T5_mT6_T7_P12ihipStream_tbENKUlT_T0_E_clISt17integral_constantIbLb0EESY_IbLb1EEEEDaSU_SV_EUlSU_E_NS1_11comp_targetILNS1_3genE5ELNS1_11target_archE942ELNS1_3gpuE9ELNS1_3repE0EEENS1_30default_config_static_selectorELNS0_4arch9wavefront6targetE0EEEvT1_
		.amdhsa_group_segment_fixed_size 0
		.amdhsa_private_segment_fixed_size 0
		.amdhsa_kernarg_size 112
		.amdhsa_user_sgpr_count 2
		.amdhsa_user_sgpr_dispatch_ptr 0
		.amdhsa_user_sgpr_queue_ptr 0
		.amdhsa_user_sgpr_kernarg_segment_ptr 1
		.amdhsa_user_sgpr_dispatch_id 0
		.amdhsa_user_sgpr_kernarg_preload_length 0
		.amdhsa_user_sgpr_kernarg_preload_offset 0
		.amdhsa_user_sgpr_private_segment_size 0
		.amdhsa_wavefront_size32 1
		.amdhsa_uses_dynamic_stack 0
		.amdhsa_enable_private_segment 0
		.amdhsa_system_sgpr_workgroup_id_x 1
		.amdhsa_system_sgpr_workgroup_id_y 0
		.amdhsa_system_sgpr_workgroup_id_z 0
		.amdhsa_system_sgpr_workgroup_info 0
		.amdhsa_system_vgpr_workitem_id 0
		.amdhsa_next_free_vgpr 1
		.amdhsa_next_free_sgpr 1
		.amdhsa_named_barrier_count 0
		.amdhsa_reserve_vcc 0
		.amdhsa_float_round_mode_32 0
		.amdhsa_float_round_mode_16_64 0
		.amdhsa_float_denorm_mode_32 3
		.amdhsa_float_denorm_mode_16_64 3
		.amdhsa_fp16_overflow 0
		.amdhsa_memory_ordered 1
		.amdhsa_forward_progress 1
		.amdhsa_inst_pref_size 0
		.amdhsa_round_robin_scheduling 0
		.amdhsa_exception_fp_ieee_invalid_op 0
		.amdhsa_exception_fp_denorm_src 0
		.amdhsa_exception_fp_ieee_div_zero 0
		.amdhsa_exception_fp_ieee_overflow 0
		.amdhsa_exception_fp_ieee_underflow 0
		.amdhsa_exception_fp_ieee_inexact 0
		.amdhsa_exception_int_div_zero 0
	.end_amdhsa_kernel
	.section	.text._ZN7rocprim17ROCPRIM_400000_NS6detail17trampoline_kernelINS0_14default_configENS1_27scan_by_key_config_selectorIiiEEZZNS1_16scan_by_key_implILNS1_25lookback_scan_determinismE0ELb0ES3_N6thrust23THRUST_200600_302600_NS6detail15normal_iteratorINS9_10device_ptrIiEEEESE_SE_iNS9_4plusIvEENS9_8equal_toIvEEiEE10hipError_tPvRmT2_T3_T4_T5_mT6_T7_P12ihipStream_tbENKUlT_T0_E_clISt17integral_constantIbLb0EESY_IbLb1EEEEDaSU_SV_EUlSU_E_NS1_11comp_targetILNS1_3genE5ELNS1_11target_archE942ELNS1_3gpuE9ELNS1_3repE0EEENS1_30default_config_static_selectorELNS0_4arch9wavefront6targetE0EEEvT1_,"axG",@progbits,_ZN7rocprim17ROCPRIM_400000_NS6detail17trampoline_kernelINS0_14default_configENS1_27scan_by_key_config_selectorIiiEEZZNS1_16scan_by_key_implILNS1_25lookback_scan_determinismE0ELb0ES3_N6thrust23THRUST_200600_302600_NS6detail15normal_iteratorINS9_10device_ptrIiEEEESE_SE_iNS9_4plusIvEENS9_8equal_toIvEEiEE10hipError_tPvRmT2_T3_T4_T5_mT6_T7_P12ihipStream_tbENKUlT_T0_E_clISt17integral_constantIbLb0EESY_IbLb1EEEEDaSU_SV_EUlSU_E_NS1_11comp_targetILNS1_3genE5ELNS1_11target_archE942ELNS1_3gpuE9ELNS1_3repE0EEENS1_30default_config_static_selectorELNS0_4arch9wavefront6targetE0EEEvT1_,comdat
.Lfunc_end157:
	.size	_ZN7rocprim17ROCPRIM_400000_NS6detail17trampoline_kernelINS0_14default_configENS1_27scan_by_key_config_selectorIiiEEZZNS1_16scan_by_key_implILNS1_25lookback_scan_determinismE0ELb0ES3_N6thrust23THRUST_200600_302600_NS6detail15normal_iteratorINS9_10device_ptrIiEEEESE_SE_iNS9_4plusIvEENS9_8equal_toIvEEiEE10hipError_tPvRmT2_T3_T4_T5_mT6_T7_P12ihipStream_tbENKUlT_T0_E_clISt17integral_constantIbLb0EESY_IbLb1EEEEDaSU_SV_EUlSU_E_NS1_11comp_targetILNS1_3genE5ELNS1_11target_archE942ELNS1_3gpuE9ELNS1_3repE0EEENS1_30default_config_static_selectorELNS0_4arch9wavefront6targetE0EEEvT1_, .Lfunc_end157-_ZN7rocprim17ROCPRIM_400000_NS6detail17trampoline_kernelINS0_14default_configENS1_27scan_by_key_config_selectorIiiEEZZNS1_16scan_by_key_implILNS1_25lookback_scan_determinismE0ELb0ES3_N6thrust23THRUST_200600_302600_NS6detail15normal_iteratorINS9_10device_ptrIiEEEESE_SE_iNS9_4plusIvEENS9_8equal_toIvEEiEE10hipError_tPvRmT2_T3_T4_T5_mT6_T7_P12ihipStream_tbENKUlT_T0_E_clISt17integral_constantIbLb0EESY_IbLb1EEEEDaSU_SV_EUlSU_E_NS1_11comp_targetILNS1_3genE5ELNS1_11target_archE942ELNS1_3gpuE9ELNS1_3repE0EEENS1_30default_config_static_selectorELNS0_4arch9wavefront6targetE0EEEvT1_
                                        ; -- End function
	.set _ZN7rocprim17ROCPRIM_400000_NS6detail17trampoline_kernelINS0_14default_configENS1_27scan_by_key_config_selectorIiiEEZZNS1_16scan_by_key_implILNS1_25lookback_scan_determinismE0ELb0ES3_N6thrust23THRUST_200600_302600_NS6detail15normal_iteratorINS9_10device_ptrIiEEEESE_SE_iNS9_4plusIvEENS9_8equal_toIvEEiEE10hipError_tPvRmT2_T3_T4_T5_mT6_T7_P12ihipStream_tbENKUlT_T0_E_clISt17integral_constantIbLb0EESY_IbLb1EEEEDaSU_SV_EUlSU_E_NS1_11comp_targetILNS1_3genE5ELNS1_11target_archE942ELNS1_3gpuE9ELNS1_3repE0EEENS1_30default_config_static_selectorELNS0_4arch9wavefront6targetE0EEEvT1_.num_vgpr, 0
	.set _ZN7rocprim17ROCPRIM_400000_NS6detail17trampoline_kernelINS0_14default_configENS1_27scan_by_key_config_selectorIiiEEZZNS1_16scan_by_key_implILNS1_25lookback_scan_determinismE0ELb0ES3_N6thrust23THRUST_200600_302600_NS6detail15normal_iteratorINS9_10device_ptrIiEEEESE_SE_iNS9_4plusIvEENS9_8equal_toIvEEiEE10hipError_tPvRmT2_T3_T4_T5_mT6_T7_P12ihipStream_tbENKUlT_T0_E_clISt17integral_constantIbLb0EESY_IbLb1EEEEDaSU_SV_EUlSU_E_NS1_11comp_targetILNS1_3genE5ELNS1_11target_archE942ELNS1_3gpuE9ELNS1_3repE0EEENS1_30default_config_static_selectorELNS0_4arch9wavefront6targetE0EEEvT1_.num_agpr, 0
	.set _ZN7rocprim17ROCPRIM_400000_NS6detail17trampoline_kernelINS0_14default_configENS1_27scan_by_key_config_selectorIiiEEZZNS1_16scan_by_key_implILNS1_25lookback_scan_determinismE0ELb0ES3_N6thrust23THRUST_200600_302600_NS6detail15normal_iteratorINS9_10device_ptrIiEEEESE_SE_iNS9_4plusIvEENS9_8equal_toIvEEiEE10hipError_tPvRmT2_T3_T4_T5_mT6_T7_P12ihipStream_tbENKUlT_T0_E_clISt17integral_constantIbLb0EESY_IbLb1EEEEDaSU_SV_EUlSU_E_NS1_11comp_targetILNS1_3genE5ELNS1_11target_archE942ELNS1_3gpuE9ELNS1_3repE0EEENS1_30default_config_static_selectorELNS0_4arch9wavefront6targetE0EEEvT1_.numbered_sgpr, 0
	.set _ZN7rocprim17ROCPRIM_400000_NS6detail17trampoline_kernelINS0_14default_configENS1_27scan_by_key_config_selectorIiiEEZZNS1_16scan_by_key_implILNS1_25lookback_scan_determinismE0ELb0ES3_N6thrust23THRUST_200600_302600_NS6detail15normal_iteratorINS9_10device_ptrIiEEEESE_SE_iNS9_4plusIvEENS9_8equal_toIvEEiEE10hipError_tPvRmT2_T3_T4_T5_mT6_T7_P12ihipStream_tbENKUlT_T0_E_clISt17integral_constantIbLb0EESY_IbLb1EEEEDaSU_SV_EUlSU_E_NS1_11comp_targetILNS1_3genE5ELNS1_11target_archE942ELNS1_3gpuE9ELNS1_3repE0EEENS1_30default_config_static_selectorELNS0_4arch9wavefront6targetE0EEEvT1_.num_named_barrier, 0
	.set _ZN7rocprim17ROCPRIM_400000_NS6detail17trampoline_kernelINS0_14default_configENS1_27scan_by_key_config_selectorIiiEEZZNS1_16scan_by_key_implILNS1_25lookback_scan_determinismE0ELb0ES3_N6thrust23THRUST_200600_302600_NS6detail15normal_iteratorINS9_10device_ptrIiEEEESE_SE_iNS9_4plusIvEENS9_8equal_toIvEEiEE10hipError_tPvRmT2_T3_T4_T5_mT6_T7_P12ihipStream_tbENKUlT_T0_E_clISt17integral_constantIbLb0EESY_IbLb1EEEEDaSU_SV_EUlSU_E_NS1_11comp_targetILNS1_3genE5ELNS1_11target_archE942ELNS1_3gpuE9ELNS1_3repE0EEENS1_30default_config_static_selectorELNS0_4arch9wavefront6targetE0EEEvT1_.private_seg_size, 0
	.set _ZN7rocprim17ROCPRIM_400000_NS6detail17trampoline_kernelINS0_14default_configENS1_27scan_by_key_config_selectorIiiEEZZNS1_16scan_by_key_implILNS1_25lookback_scan_determinismE0ELb0ES3_N6thrust23THRUST_200600_302600_NS6detail15normal_iteratorINS9_10device_ptrIiEEEESE_SE_iNS9_4plusIvEENS9_8equal_toIvEEiEE10hipError_tPvRmT2_T3_T4_T5_mT6_T7_P12ihipStream_tbENKUlT_T0_E_clISt17integral_constantIbLb0EESY_IbLb1EEEEDaSU_SV_EUlSU_E_NS1_11comp_targetILNS1_3genE5ELNS1_11target_archE942ELNS1_3gpuE9ELNS1_3repE0EEENS1_30default_config_static_selectorELNS0_4arch9wavefront6targetE0EEEvT1_.uses_vcc, 0
	.set _ZN7rocprim17ROCPRIM_400000_NS6detail17trampoline_kernelINS0_14default_configENS1_27scan_by_key_config_selectorIiiEEZZNS1_16scan_by_key_implILNS1_25lookback_scan_determinismE0ELb0ES3_N6thrust23THRUST_200600_302600_NS6detail15normal_iteratorINS9_10device_ptrIiEEEESE_SE_iNS9_4plusIvEENS9_8equal_toIvEEiEE10hipError_tPvRmT2_T3_T4_T5_mT6_T7_P12ihipStream_tbENKUlT_T0_E_clISt17integral_constantIbLb0EESY_IbLb1EEEEDaSU_SV_EUlSU_E_NS1_11comp_targetILNS1_3genE5ELNS1_11target_archE942ELNS1_3gpuE9ELNS1_3repE0EEENS1_30default_config_static_selectorELNS0_4arch9wavefront6targetE0EEEvT1_.uses_flat_scratch, 0
	.set _ZN7rocprim17ROCPRIM_400000_NS6detail17trampoline_kernelINS0_14default_configENS1_27scan_by_key_config_selectorIiiEEZZNS1_16scan_by_key_implILNS1_25lookback_scan_determinismE0ELb0ES3_N6thrust23THRUST_200600_302600_NS6detail15normal_iteratorINS9_10device_ptrIiEEEESE_SE_iNS9_4plusIvEENS9_8equal_toIvEEiEE10hipError_tPvRmT2_T3_T4_T5_mT6_T7_P12ihipStream_tbENKUlT_T0_E_clISt17integral_constantIbLb0EESY_IbLb1EEEEDaSU_SV_EUlSU_E_NS1_11comp_targetILNS1_3genE5ELNS1_11target_archE942ELNS1_3gpuE9ELNS1_3repE0EEENS1_30default_config_static_selectorELNS0_4arch9wavefront6targetE0EEEvT1_.has_dyn_sized_stack, 0
	.set _ZN7rocprim17ROCPRIM_400000_NS6detail17trampoline_kernelINS0_14default_configENS1_27scan_by_key_config_selectorIiiEEZZNS1_16scan_by_key_implILNS1_25lookback_scan_determinismE0ELb0ES3_N6thrust23THRUST_200600_302600_NS6detail15normal_iteratorINS9_10device_ptrIiEEEESE_SE_iNS9_4plusIvEENS9_8equal_toIvEEiEE10hipError_tPvRmT2_T3_T4_T5_mT6_T7_P12ihipStream_tbENKUlT_T0_E_clISt17integral_constantIbLb0EESY_IbLb1EEEEDaSU_SV_EUlSU_E_NS1_11comp_targetILNS1_3genE5ELNS1_11target_archE942ELNS1_3gpuE9ELNS1_3repE0EEENS1_30default_config_static_selectorELNS0_4arch9wavefront6targetE0EEEvT1_.has_recursion, 0
	.set _ZN7rocprim17ROCPRIM_400000_NS6detail17trampoline_kernelINS0_14default_configENS1_27scan_by_key_config_selectorIiiEEZZNS1_16scan_by_key_implILNS1_25lookback_scan_determinismE0ELb0ES3_N6thrust23THRUST_200600_302600_NS6detail15normal_iteratorINS9_10device_ptrIiEEEESE_SE_iNS9_4plusIvEENS9_8equal_toIvEEiEE10hipError_tPvRmT2_T3_T4_T5_mT6_T7_P12ihipStream_tbENKUlT_T0_E_clISt17integral_constantIbLb0EESY_IbLb1EEEEDaSU_SV_EUlSU_E_NS1_11comp_targetILNS1_3genE5ELNS1_11target_archE942ELNS1_3gpuE9ELNS1_3repE0EEENS1_30default_config_static_selectorELNS0_4arch9wavefront6targetE0EEEvT1_.has_indirect_call, 0
	.section	.AMDGPU.csdata,"",@progbits
; Kernel info:
; codeLenInByte = 0
; TotalNumSgprs: 0
; NumVgprs: 0
; ScratchSize: 0
; MemoryBound: 0
; FloatMode: 240
; IeeeMode: 1
; LDSByteSize: 0 bytes/workgroup (compile time only)
; SGPRBlocks: 0
; VGPRBlocks: 0
; NumSGPRsForWavesPerEU: 1
; NumVGPRsForWavesPerEU: 1
; NamedBarCnt: 0
; Occupancy: 16
; WaveLimiterHint : 0
; COMPUTE_PGM_RSRC2:SCRATCH_EN: 0
; COMPUTE_PGM_RSRC2:USER_SGPR: 2
; COMPUTE_PGM_RSRC2:TRAP_HANDLER: 0
; COMPUTE_PGM_RSRC2:TGID_X_EN: 1
; COMPUTE_PGM_RSRC2:TGID_Y_EN: 0
; COMPUTE_PGM_RSRC2:TGID_Z_EN: 0
; COMPUTE_PGM_RSRC2:TIDIG_COMP_CNT: 0
	.section	.text._ZN7rocprim17ROCPRIM_400000_NS6detail17trampoline_kernelINS0_14default_configENS1_27scan_by_key_config_selectorIiiEEZZNS1_16scan_by_key_implILNS1_25lookback_scan_determinismE0ELb0ES3_N6thrust23THRUST_200600_302600_NS6detail15normal_iteratorINS9_10device_ptrIiEEEESE_SE_iNS9_4plusIvEENS9_8equal_toIvEEiEE10hipError_tPvRmT2_T3_T4_T5_mT6_T7_P12ihipStream_tbENKUlT_T0_E_clISt17integral_constantIbLb0EESY_IbLb1EEEEDaSU_SV_EUlSU_E_NS1_11comp_targetILNS1_3genE4ELNS1_11target_archE910ELNS1_3gpuE8ELNS1_3repE0EEENS1_30default_config_static_selectorELNS0_4arch9wavefront6targetE0EEEvT1_,"axG",@progbits,_ZN7rocprim17ROCPRIM_400000_NS6detail17trampoline_kernelINS0_14default_configENS1_27scan_by_key_config_selectorIiiEEZZNS1_16scan_by_key_implILNS1_25lookback_scan_determinismE0ELb0ES3_N6thrust23THRUST_200600_302600_NS6detail15normal_iteratorINS9_10device_ptrIiEEEESE_SE_iNS9_4plusIvEENS9_8equal_toIvEEiEE10hipError_tPvRmT2_T3_T4_T5_mT6_T7_P12ihipStream_tbENKUlT_T0_E_clISt17integral_constantIbLb0EESY_IbLb1EEEEDaSU_SV_EUlSU_E_NS1_11comp_targetILNS1_3genE4ELNS1_11target_archE910ELNS1_3gpuE8ELNS1_3repE0EEENS1_30default_config_static_selectorELNS0_4arch9wavefront6targetE0EEEvT1_,comdat
	.protected	_ZN7rocprim17ROCPRIM_400000_NS6detail17trampoline_kernelINS0_14default_configENS1_27scan_by_key_config_selectorIiiEEZZNS1_16scan_by_key_implILNS1_25lookback_scan_determinismE0ELb0ES3_N6thrust23THRUST_200600_302600_NS6detail15normal_iteratorINS9_10device_ptrIiEEEESE_SE_iNS9_4plusIvEENS9_8equal_toIvEEiEE10hipError_tPvRmT2_T3_T4_T5_mT6_T7_P12ihipStream_tbENKUlT_T0_E_clISt17integral_constantIbLb0EESY_IbLb1EEEEDaSU_SV_EUlSU_E_NS1_11comp_targetILNS1_3genE4ELNS1_11target_archE910ELNS1_3gpuE8ELNS1_3repE0EEENS1_30default_config_static_selectorELNS0_4arch9wavefront6targetE0EEEvT1_ ; -- Begin function _ZN7rocprim17ROCPRIM_400000_NS6detail17trampoline_kernelINS0_14default_configENS1_27scan_by_key_config_selectorIiiEEZZNS1_16scan_by_key_implILNS1_25lookback_scan_determinismE0ELb0ES3_N6thrust23THRUST_200600_302600_NS6detail15normal_iteratorINS9_10device_ptrIiEEEESE_SE_iNS9_4plusIvEENS9_8equal_toIvEEiEE10hipError_tPvRmT2_T3_T4_T5_mT6_T7_P12ihipStream_tbENKUlT_T0_E_clISt17integral_constantIbLb0EESY_IbLb1EEEEDaSU_SV_EUlSU_E_NS1_11comp_targetILNS1_3genE4ELNS1_11target_archE910ELNS1_3gpuE8ELNS1_3repE0EEENS1_30default_config_static_selectorELNS0_4arch9wavefront6targetE0EEEvT1_
	.globl	_ZN7rocprim17ROCPRIM_400000_NS6detail17trampoline_kernelINS0_14default_configENS1_27scan_by_key_config_selectorIiiEEZZNS1_16scan_by_key_implILNS1_25lookback_scan_determinismE0ELb0ES3_N6thrust23THRUST_200600_302600_NS6detail15normal_iteratorINS9_10device_ptrIiEEEESE_SE_iNS9_4plusIvEENS9_8equal_toIvEEiEE10hipError_tPvRmT2_T3_T4_T5_mT6_T7_P12ihipStream_tbENKUlT_T0_E_clISt17integral_constantIbLb0EESY_IbLb1EEEEDaSU_SV_EUlSU_E_NS1_11comp_targetILNS1_3genE4ELNS1_11target_archE910ELNS1_3gpuE8ELNS1_3repE0EEENS1_30default_config_static_selectorELNS0_4arch9wavefront6targetE0EEEvT1_
	.p2align	8
	.type	_ZN7rocprim17ROCPRIM_400000_NS6detail17trampoline_kernelINS0_14default_configENS1_27scan_by_key_config_selectorIiiEEZZNS1_16scan_by_key_implILNS1_25lookback_scan_determinismE0ELb0ES3_N6thrust23THRUST_200600_302600_NS6detail15normal_iteratorINS9_10device_ptrIiEEEESE_SE_iNS9_4plusIvEENS9_8equal_toIvEEiEE10hipError_tPvRmT2_T3_T4_T5_mT6_T7_P12ihipStream_tbENKUlT_T0_E_clISt17integral_constantIbLb0EESY_IbLb1EEEEDaSU_SV_EUlSU_E_NS1_11comp_targetILNS1_3genE4ELNS1_11target_archE910ELNS1_3gpuE8ELNS1_3repE0EEENS1_30default_config_static_selectorELNS0_4arch9wavefront6targetE0EEEvT1_,@function
_ZN7rocprim17ROCPRIM_400000_NS6detail17trampoline_kernelINS0_14default_configENS1_27scan_by_key_config_selectorIiiEEZZNS1_16scan_by_key_implILNS1_25lookback_scan_determinismE0ELb0ES3_N6thrust23THRUST_200600_302600_NS6detail15normal_iteratorINS9_10device_ptrIiEEEESE_SE_iNS9_4plusIvEENS9_8equal_toIvEEiEE10hipError_tPvRmT2_T3_T4_T5_mT6_T7_P12ihipStream_tbENKUlT_T0_E_clISt17integral_constantIbLb0EESY_IbLb1EEEEDaSU_SV_EUlSU_E_NS1_11comp_targetILNS1_3genE4ELNS1_11target_archE910ELNS1_3gpuE8ELNS1_3repE0EEENS1_30default_config_static_selectorELNS0_4arch9wavefront6targetE0EEEvT1_: ; @_ZN7rocprim17ROCPRIM_400000_NS6detail17trampoline_kernelINS0_14default_configENS1_27scan_by_key_config_selectorIiiEEZZNS1_16scan_by_key_implILNS1_25lookback_scan_determinismE0ELb0ES3_N6thrust23THRUST_200600_302600_NS6detail15normal_iteratorINS9_10device_ptrIiEEEESE_SE_iNS9_4plusIvEENS9_8equal_toIvEEiEE10hipError_tPvRmT2_T3_T4_T5_mT6_T7_P12ihipStream_tbENKUlT_T0_E_clISt17integral_constantIbLb0EESY_IbLb1EEEEDaSU_SV_EUlSU_E_NS1_11comp_targetILNS1_3genE4ELNS1_11target_archE910ELNS1_3gpuE8ELNS1_3repE0EEENS1_30default_config_static_selectorELNS0_4arch9wavefront6targetE0EEEvT1_
; %bb.0:
	.section	.rodata,"a",@progbits
	.p2align	6, 0x0
	.amdhsa_kernel _ZN7rocprim17ROCPRIM_400000_NS6detail17trampoline_kernelINS0_14default_configENS1_27scan_by_key_config_selectorIiiEEZZNS1_16scan_by_key_implILNS1_25lookback_scan_determinismE0ELb0ES3_N6thrust23THRUST_200600_302600_NS6detail15normal_iteratorINS9_10device_ptrIiEEEESE_SE_iNS9_4plusIvEENS9_8equal_toIvEEiEE10hipError_tPvRmT2_T3_T4_T5_mT6_T7_P12ihipStream_tbENKUlT_T0_E_clISt17integral_constantIbLb0EESY_IbLb1EEEEDaSU_SV_EUlSU_E_NS1_11comp_targetILNS1_3genE4ELNS1_11target_archE910ELNS1_3gpuE8ELNS1_3repE0EEENS1_30default_config_static_selectorELNS0_4arch9wavefront6targetE0EEEvT1_
		.amdhsa_group_segment_fixed_size 0
		.amdhsa_private_segment_fixed_size 0
		.amdhsa_kernarg_size 112
		.amdhsa_user_sgpr_count 2
		.amdhsa_user_sgpr_dispatch_ptr 0
		.amdhsa_user_sgpr_queue_ptr 0
		.amdhsa_user_sgpr_kernarg_segment_ptr 1
		.amdhsa_user_sgpr_dispatch_id 0
		.amdhsa_user_sgpr_kernarg_preload_length 0
		.amdhsa_user_sgpr_kernarg_preload_offset 0
		.amdhsa_user_sgpr_private_segment_size 0
		.amdhsa_wavefront_size32 1
		.amdhsa_uses_dynamic_stack 0
		.amdhsa_enable_private_segment 0
		.amdhsa_system_sgpr_workgroup_id_x 1
		.amdhsa_system_sgpr_workgroup_id_y 0
		.amdhsa_system_sgpr_workgroup_id_z 0
		.amdhsa_system_sgpr_workgroup_info 0
		.amdhsa_system_vgpr_workitem_id 0
		.amdhsa_next_free_vgpr 1
		.amdhsa_next_free_sgpr 1
		.amdhsa_named_barrier_count 0
		.amdhsa_reserve_vcc 0
		.amdhsa_float_round_mode_32 0
		.amdhsa_float_round_mode_16_64 0
		.amdhsa_float_denorm_mode_32 3
		.amdhsa_float_denorm_mode_16_64 3
		.amdhsa_fp16_overflow 0
		.amdhsa_memory_ordered 1
		.amdhsa_forward_progress 1
		.amdhsa_inst_pref_size 0
		.amdhsa_round_robin_scheduling 0
		.amdhsa_exception_fp_ieee_invalid_op 0
		.amdhsa_exception_fp_denorm_src 0
		.amdhsa_exception_fp_ieee_div_zero 0
		.amdhsa_exception_fp_ieee_overflow 0
		.amdhsa_exception_fp_ieee_underflow 0
		.amdhsa_exception_fp_ieee_inexact 0
		.amdhsa_exception_int_div_zero 0
	.end_amdhsa_kernel
	.section	.text._ZN7rocprim17ROCPRIM_400000_NS6detail17trampoline_kernelINS0_14default_configENS1_27scan_by_key_config_selectorIiiEEZZNS1_16scan_by_key_implILNS1_25lookback_scan_determinismE0ELb0ES3_N6thrust23THRUST_200600_302600_NS6detail15normal_iteratorINS9_10device_ptrIiEEEESE_SE_iNS9_4plusIvEENS9_8equal_toIvEEiEE10hipError_tPvRmT2_T3_T4_T5_mT6_T7_P12ihipStream_tbENKUlT_T0_E_clISt17integral_constantIbLb0EESY_IbLb1EEEEDaSU_SV_EUlSU_E_NS1_11comp_targetILNS1_3genE4ELNS1_11target_archE910ELNS1_3gpuE8ELNS1_3repE0EEENS1_30default_config_static_selectorELNS0_4arch9wavefront6targetE0EEEvT1_,"axG",@progbits,_ZN7rocprim17ROCPRIM_400000_NS6detail17trampoline_kernelINS0_14default_configENS1_27scan_by_key_config_selectorIiiEEZZNS1_16scan_by_key_implILNS1_25lookback_scan_determinismE0ELb0ES3_N6thrust23THRUST_200600_302600_NS6detail15normal_iteratorINS9_10device_ptrIiEEEESE_SE_iNS9_4plusIvEENS9_8equal_toIvEEiEE10hipError_tPvRmT2_T3_T4_T5_mT6_T7_P12ihipStream_tbENKUlT_T0_E_clISt17integral_constantIbLb0EESY_IbLb1EEEEDaSU_SV_EUlSU_E_NS1_11comp_targetILNS1_3genE4ELNS1_11target_archE910ELNS1_3gpuE8ELNS1_3repE0EEENS1_30default_config_static_selectorELNS0_4arch9wavefront6targetE0EEEvT1_,comdat
.Lfunc_end158:
	.size	_ZN7rocprim17ROCPRIM_400000_NS6detail17trampoline_kernelINS0_14default_configENS1_27scan_by_key_config_selectorIiiEEZZNS1_16scan_by_key_implILNS1_25lookback_scan_determinismE0ELb0ES3_N6thrust23THRUST_200600_302600_NS6detail15normal_iteratorINS9_10device_ptrIiEEEESE_SE_iNS9_4plusIvEENS9_8equal_toIvEEiEE10hipError_tPvRmT2_T3_T4_T5_mT6_T7_P12ihipStream_tbENKUlT_T0_E_clISt17integral_constantIbLb0EESY_IbLb1EEEEDaSU_SV_EUlSU_E_NS1_11comp_targetILNS1_3genE4ELNS1_11target_archE910ELNS1_3gpuE8ELNS1_3repE0EEENS1_30default_config_static_selectorELNS0_4arch9wavefront6targetE0EEEvT1_, .Lfunc_end158-_ZN7rocprim17ROCPRIM_400000_NS6detail17trampoline_kernelINS0_14default_configENS1_27scan_by_key_config_selectorIiiEEZZNS1_16scan_by_key_implILNS1_25lookback_scan_determinismE0ELb0ES3_N6thrust23THRUST_200600_302600_NS6detail15normal_iteratorINS9_10device_ptrIiEEEESE_SE_iNS9_4plusIvEENS9_8equal_toIvEEiEE10hipError_tPvRmT2_T3_T4_T5_mT6_T7_P12ihipStream_tbENKUlT_T0_E_clISt17integral_constantIbLb0EESY_IbLb1EEEEDaSU_SV_EUlSU_E_NS1_11comp_targetILNS1_3genE4ELNS1_11target_archE910ELNS1_3gpuE8ELNS1_3repE0EEENS1_30default_config_static_selectorELNS0_4arch9wavefront6targetE0EEEvT1_
                                        ; -- End function
	.set _ZN7rocprim17ROCPRIM_400000_NS6detail17trampoline_kernelINS0_14default_configENS1_27scan_by_key_config_selectorIiiEEZZNS1_16scan_by_key_implILNS1_25lookback_scan_determinismE0ELb0ES3_N6thrust23THRUST_200600_302600_NS6detail15normal_iteratorINS9_10device_ptrIiEEEESE_SE_iNS9_4plusIvEENS9_8equal_toIvEEiEE10hipError_tPvRmT2_T3_T4_T5_mT6_T7_P12ihipStream_tbENKUlT_T0_E_clISt17integral_constantIbLb0EESY_IbLb1EEEEDaSU_SV_EUlSU_E_NS1_11comp_targetILNS1_3genE4ELNS1_11target_archE910ELNS1_3gpuE8ELNS1_3repE0EEENS1_30default_config_static_selectorELNS0_4arch9wavefront6targetE0EEEvT1_.num_vgpr, 0
	.set _ZN7rocprim17ROCPRIM_400000_NS6detail17trampoline_kernelINS0_14default_configENS1_27scan_by_key_config_selectorIiiEEZZNS1_16scan_by_key_implILNS1_25lookback_scan_determinismE0ELb0ES3_N6thrust23THRUST_200600_302600_NS6detail15normal_iteratorINS9_10device_ptrIiEEEESE_SE_iNS9_4plusIvEENS9_8equal_toIvEEiEE10hipError_tPvRmT2_T3_T4_T5_mT6_T7_P12ihipStream_tbENKUlT_T0_E_clISt17integral_constantIbLb0EESY_IbLb1EEEEDaSU_SV_EUlSU_E_NS1_11comp_targetILNS1_3genE4ELNS1_11target_archE910ELNS1_3gpuE8ELNS1_3repE0EEENS1_30default_config_static_selectorELNS0_4arch9wavefront6targetE0EEEvT1_.num_agpr, 0
	.set _ZN7rocprim17ROCPRIM_400000_NS6detail17trampoline_kernelINS0_14default_configENS1_27scan_by_key_config_selectorIiiEEZZNS1_16scan_by_key_implILNS1_25lookback_scan_determinismE0ELb0ES3_N6thrust23THRUST_200600_302600_NS6detail15normal_iteratorINS9_10device_ptrIiEEEESE_SE_iNS9_4plusIvEENS9_8equal_toIvEEiEE10hipError_tPvRmT2_T3_T4_T5_mT6_T7_P12ihipStream_tbENKUlT_T0_E_clISt17integral_constantIbLb0EESY_IbLb1EEEEDaSU_SV_EUlSU_E_NS1_11comp_targetILNS1_3genE4ELNS1_11target_archE910ELNS1_3gpuE8ELNS1_3repE0EEENS1_30default_config_static_selectorELNS0_4arch9wavefront6targetE0EEEvT1_.numbered_sgpr, 0
	.set _ZN7rocprim17ROCPRIM_400000_NS6detail17trampoline_kernelINS0_14default_configENS1_27scan_by_key_config_selectorIiiEEZZNS1_16scan_by_key_implILNS1_25lookback_scan_determinismE0ELb0ES3_N6thrust23THRUST_200600_302600_NS6detail15normal_iteratorINS9_10device_ptrIiEEEESE_SE_iNS9_4plusIvEENS9_8equal_toIvEEiEE10hipError_tPvRmT2_T3_T4_T5_mT6_T7_P12ihipStream_tbENKUlT_T0_E_clISt17integral_constantIbLb0EESY_IbLb1EEEEDaSU_SV_EUlSU_E_NS1_11comp_targetILNS1_3genE4ELNS1_11target_archE910ELNS1_3gpuE8ELNS1_3repE0EEENS1_30default_config_static_selectorELNS0_4arch9wavefront6targetE0EEEvT1_.num_named_barrier, 0
	.set _ZN7rocprim17ROCPRIM_400000_NS6detail17trampoline_kernelINS0_14default_configENS1_27scan_by_key_config_selectorIiiEEZZNS1_16scan_by_key_implILNS1_25lookback_scan_determinismE0ELb0ES3_N6thrust23THRUST_200600_302600_NS6detail15normal_iteratorINS9_10device_ptrIiEEEESE_SE_iNS9_4plusIvEENS9_8equal_toIvEEiEE10hipError_tPvRmT2_T3_T4_T5_mT6_T7_P12ihipStream_tbENKUlT_T0_E_clISt17integral_constantIbLb0EESY_IbLb1EEEEDaSU_SV_EUlSU_E_NS1_11comp_targetILNS1_3genE4ELNS1_11target_archE910ELNS1_3gpuE8ELNS1_3repE0EEENS1_30default_config_static_selectorELNS0_4arch9wavefront6targetE0EEEvT1_.private_seg_size, 0
	.set _ZN7rocprim17ROCPRIM_400000_NS6detail17trampoline_kernelINS0_14default_configENS1_27scan_by_key_config_selectorIiiEEZZNS1_16scan_by_key_implILNS1_25lookback_scan_determinismE0ELb0ES3_N6thrust23THRUST_200600_302600_NS6detail15normal_iteratorINS9_10device_ptrIiEEEESE_SE_iNS9_4plusIvEENS9_8equal_toIvEEiEE10hipError_tPvRmT2_T3_T4_T5_mT6_T7_P12ihipStream_tbENKUlT_T0_E_clISt17integral_constantIbLb0EESY_IbLb1EEEEDaSU_SV_EUlSU_E_NS1_11comp_targetILNS1_3genE4ELNS1_11target_archE910ELNS1_3gpuE8ELNS1_3repE0EEENS1_30default_config_static_selectorELNS0_4arch9wavefront6targetE0EEEvT1_.uses_vcc, 0
	.set _ZN7rocprim17ROCPRIM_400000_NS6detail17trampoline_kernelINS0_14default_configENS1_27scan_by_key_config_selectorIiiEEZZNS1_16scan_by_key_implILNS1_25lookback_scan_determinismE0ELb0ES3_N6thrust23THRUST_200600_302600_NS6detail15normal_iteratorINS9_10device_ptrIiEEEESE_SE_iNS9_4plusIvEENS9_8equal_toIvEEiEE10hipError_tPvRmT2_T3_T4_T5_mT6_T7_P12ihipStream_tbENKUlT_T0_E_clISt17integral_constantIbLb0EESY_IbLb1EEEEDaSU_SV_EUlSU_E_NS1_11comp_targetILNS1_3genE4ELNS1_11target_archE910ELNS1_3gpuE8ELNS1_3repE0EEENS1_30default_config_static_selectorELNS0_4arch9wavefront6targetE0EEEvT1_.uses_flat_scratch, 0
	.set _ZN7rocprim17ROCPRIM_400000_NS6detail17trampoline_kernelINS0_14default_configENS1_27scan_by_key_config_selectorIiiEEZZNS1_16scan_by_key_implILNS1_25lookback_scan_determinismE0ELb0ES3_N6thrust23THRUST_200600_302600_NS6detail15normal_iteratorINS9_10device_ptrIiEEEESE_SE_iNS9_4plusIvEENS9_8equal_toIvEEiEE10hipError_tPvRmT2_T3_T4_T5_mT6_T7_P12ihipStream_tbENKUlT_T0_E_clISt17integral_constantIbLb0EESY_IbLb1EEEEDaSU_SV_EUlSU_E_NS1_11comp_targetILNS1_3genE4ELNS1_11target_archE910ELNS1_3gpuE8ELNS1_3repE0EEENS1_30default_config_static_selectorELNS0_4arch9wavefront6targetE0EEEvT1_.has_dyn_sized_stack, 0
	.set _ZN7rocprim17ROCPRIM_400000_NS6detail17trampoline_kernelINS0_14default_configENS1_27scan_by_key_config_selectorIiiEEZZNS1_16scan_by_key_implILNS1_25lookback_scan_determinismE0ELb0ES3_N6thrust23THRUST_200600_302600_NS6detail15normal_iteratorINS9_10device_ptrIiEEEESE_SE_iNS9_4plusIvEENS9_8equal_toIvEEiEE10hipError_tPvRmT2_T3_T4_T5_mT6_T7_P12ihipStream_tbENKUlT_T0_E_clISt17integral_constantIbLb0EESY_IbLb1EEEEDaSU_SV_EUlSU_E_NS1_11comp_targetILNS1_3genE4ELNS1_11target_archE910ELNS1_3gpuE8ELNS1_3repE0EEENS1_30default_config_static_selectorELNS0_4arch9wavefront6targetE0EEEvT1_.has_recursion, 0
	.set _ZN7rocprim17ROCPRIM_400000_NS6detail17trampoline_kernelINS0_14default_configENS1_27scan_by_key_config_selectorIiiEEZZNS1_16scan_by_key_implILNS1_25lookback_scan_determinismE0ELb0ES3_N6thrust23THRUST_200600_302600_NS6detail15normal_iteratorINS9_10device_ptrIiEEEESE_SE_iNS9_4plusIvEENS9_8equal_toIvEEiEE10hipError_tPvRmT2_T3_T4_T5_mT6_T7_P12ihipStream_tbENKUlT_T0_E_clISt17integral_constantIbLb0EESY_IbLb1EEEEDaSU_SV_EUlSU_E_NS1_11comp_targetILNS1_3genE4ELNS1_11target_archE910ELNS1_3gpuE8ELNS1_3repE0EEENS1_30default_config_static_selectorELNS0_4arch9wavefront6targetE0EEEvT1_.has_indirect_call, 0
	.section	.AMDGPU.csdata,"",@progbits
; Kernel info:
; codeLenInByte = 0
; TotalNumSgprs: 0
; NumVgprs: 0
; ScratchSize: 0
; MemoryBound: 0
; FloatMode: 240
; IeeeMode: 1
; LDSByteSize: 0 bytes/workgroup (compile time only)
; SGPRBlocks: 0
; VGPRBlocks: 0
; NumSGPRsForWavesPerEU: 1
; NumVGPRsForWavesPerEU: 1
; NamedBarCnt: 0
; Occupancy: 16
; WaveLimiterHint : 0
; COMPUTE_PGM_RSRC2:SCRATCH_EN: 0
; COMPUTE_PGM_RSRC2:USER_SGPR: 2
; COMPUTE_PGM_RSRC2:TRAP_HANDLER: 0
; COMPUTE_PGM_RSRC2:TGID_X_EN: 1
; COMPUTE_PGM_RSRC2:TGID_Y_EN: 0
; COMPUTE_PGM_RSRC2:TGID_Z_EN: 0
; COMPUTE_PGM_RSRC2:TIDIG_COMP_CNT: 0
	.section	.text._ZN7rocprim17ROCPRIM_400000_NS6detail17trampoline_kernelINS0_14default_configENS1_27scan_by_key_config_selectorIiiEEZZNS1_16scan_by_key_implILNS1_25lookback_scan_determinismE0ELb0ES3_N6thrust23THRUST_200600_302600_NS6detail15normal_iteratorINS9_10device_ptrIiEEEESE_SE_iNS9_4plusIvEENS9_8equal_toIvEEiEE10hipError_tPvRmT2_T3_T4_T5_mT6_T7_P12ihipStream_tbENKUlT_T0_E_clISt17integral_constantIbLb0EESY_IbLb1EEEEDaSU_SV_EUlSU_E_NS1_11comp_targetILNS1_3genE3ELNS1_11target_archE908ELNS1_3gpuE7ELNS1_3repE0EEENS1_30default_config_static_selectorELNS0_4arch9wavefront6targetE0EEEvT1_,"axG",@progbits,_ZN7rocprim17ROCPRIM_400000_NS6detail17trampoline_kernelINS0_14default_configENS1_27scan_by_key_config_selectorIiiEEZZNS1_16scan_by_key_implILNS1_25lookback_scan_determinismE0ELb0ES3_N6thrust23THRUST_200600_302600_NS6detail15normal_iteratorINS9_10device_ptrIiEEEESE_SE_iNS9_4plusIvEENS9_8equal_toIvEEiEE10hipError_tPvRmT2_T3_T4_T5_mT6_T7_P12ihipStream_tbENKUlT_T0_E_clISt17integral_constantIbLb0EESY_IbLb1EEEEDaSU_SV_EUlSU_E_NS1_11comp_targetILNS1_3genE3ELNS1_11target_archE908ELNS1_3gpuE7ELNS1_3repE0EEENS1_30default_config_static_selectorELNS0_4arch9wavefront6targetE0EEEvT1_,comdat
	.protected	_ZN7rocprim17ROCPRIM_400000_NS6detail17trampoline_kernelINS0_14default_configENS1_27scan_by_key_config_selectorIiiEEZZNS1_16scan_by_key_implILNS1_25lookback_scan_determinismE0ELb0ES3_N6thrust23THRUST_200600_302600_NS6detail15normal_iteratorINS9_10device_ptrIiEEEESE_SE_iNS9_4plusIvEENS9_8equal_toIvEEiEE10hipError_tPvRmT2_T3_T4_T5_mT6_T7_P12ihipStream_tbENKUlT_T0_E_clISt17integral_constantIbLb0EESY_IbLb1EEEEDaSU_SV_EUlSU_E_NS1_11comp_targetILNS1_3genE3ELNS1_11target_archE908ELNS1_3gpuE7ELNS1_3repE0EEENS1_30default_config_static_selectorELNS0_4arch9wavefront6targetE0EEEvT1_ ; -- Begin function _ZN7rocprim17ROCPRIM_400000_NS6detail17trampoline_kernelINS0_14default_configENS1_27scan_by_key_config_selectorIiiEEZZNS1_16scan_by_key_implILNS1_25lookback_scan_determinismE0ELb0ES3_N6thrust23THRUST_200600_302600_NS6detail15normal_iteratorINS9_10device_ptrIiEEEESE_SE_iNS9_4plusIvEENS9_8equal_toIvEEiEE10hipError_tPvRmT2_T3_T4_T5_mT6_T7_P12ihipStream_tbENKUlT_T0_E_clISt17integral_constantIbLb0EESY_IbLb1EEEEDaSU_SV_EUlSU_E_NS1_11comp_targetILNS1_3genE3ELNS1_11target_archE908ELNS1_3gpuE7ELNS1_3repE0EEENS1_30default_config_static_selectorELNS0_4arch9wavefront6targetE0EEEvT1_
	.globl	_ZN7rocprim17ROCPRIM_400000_NS6detail17trampoline_kernelINS0_14default_configENS1_27scan_by_key_config_selectorIiiEEZZNS1_16scan_by_key_implILNS1_25lookback_scan_determinismE0ELb0ES3_N6thrust23THRUST_200600_302600_NS6detail15normal_iteratorINS9_10device_ptrIiEEEESE_SE_iNS9_4plusIvEENS9_8equal_toIvEEiEE10hipError_tPvRmT2_T3_T4_T5_mT6_T7_P12ihipStream_tbENKUlT_T0_E_clISt17integral_constantIbLb0EESY_IbLb1EEEEDaSU_SV_EUlSU_E_NS1_11comp_targetILNS1_3genE3ELNS1_11target_archE908ELNS1_3gpuE7ELNS1_3repE0EEENS1_30default_config_static_selectorELNS0_4arch9wavefront6targetE0EEEvT1_
	.p2align	8
	.type	_ZN7rocprim17ROCPRIM_400000_NS6detail17trampoline_kernelINS0_14default_configENS1_27scan_by_key_config_selectorIiiEEZZNS1_16scan_by_key_implILNS1_25lookback_scan_determinismE0ELb0ES3_N6thrust23THRUST_200600_302600_NS6detail15normal_iteratorINS9_10device_ptrIiEEEESE_SE_iNS9_4plusIvEENS9_8equal_toIvEEiEE10hipError_tPvRmT2_T3_T4_T5_mT6_T7_P12ihipStream_tbENKUlT_T0_E_clISt17integral_constantIbLb0EESY_IbLb1EEEEDaSU_SV_EUlSU_E_NS1_11comp_targetILNS1_3genE3ELNS1_11target_archE908ELNS1_3gpuE7ELNS1_3repE0EEENS1_30default_config_static_selectorELNS0_4arch9wavefront6targetE0EEEvT1_,@function
_ZN7rocprim17ROCPRIM_400000_NS6detail17trampoline_kernelINS0_14default_configENS1_27scan_by_key_config_selectorIiiEEZZNS1_16scan_by_key_implILNS1_25lookback_scan_determinismE0ELb0ES3_N6thrust23THRUST_200600_302600_NS6detail15normal_iteratorINS9_10device_ptrIiEEEESE_SE_iNS9_4plusIvEENS9_8equal_toIvEEiEE10hipError_tPvRmT2_T3_T4_T5_mT6_T7_P12ihipStream_tbENKUlT_T0_E_clISt17integral_constantIbLb0EESY_IbLb1EEEEDaSU_SV_EUlSU_E_NS1_11comp_targetILNS1_3genE3ELNS1_11target_archE908ELNS1_3gpuE7ELNS1_3repE0EEENS1_30default_config_static_selectorELNS0_4arch9wavefront6targetE0EEEvT1_: ; @_ZN7rocprim17ROCPRIM_400000_NS6detail17trampoline_kernelINS0_14default_configENS1_27scan_by_key_config_selectorIiiEEZZNS1_16scan_by_key_implILNS1_25lookback_scan_determinismE0ELb0ES3_N6thrust23THRUST_200600_302600_NS6detail15normal_iteratorINS9_10device_ptrIiEEEESE_SE_iNS9_4plusIvEENS9_8equal_toIvEEiEE10hipError_tPvRmT2_T3_T4_T5_mT6_T7_P12ihipStream_tbENKUlT_T0_E_clISt17integral_constantIbLb0EESY_IbLb1EEEEDaSU_SV_EUlSU_E_NS1_11comp_targetILNS1_3genE3ELNS1_11target_archE908ELNS1_3gpuE7ELNS1_3repE0EEENS1_30default_config_static_selectorELNS0_4arch9wavefront6targetE0EEEvT1_
; %bb.0:
	.section	.rodata,"a",@progbits
	.p2align	6, 0x0
	.amdhsa_kernel _ZN7rocprim17ROCPRIM_400000_NS6detail17trampoline_kernelINS0_14default_configENS1_27scan_by_key_config_selectorIiiEEZZNS1_16scan_by_key_implILNS1_25lookback_scan_determinismE0ELb0ES3_N6thrust23THRUST_200600_302600_NS6detail15normal_iteratorINS9_10device_ptrIiEEEESE_SE_iNS9_4plusIvEENS9_8equal_toIvEEiEE10hipError_tPvRmT2_T3_T4_T5_mT6_T7_P12ihipStream_tbENKUlT_T0_E_clISt17integral_constantIbLb0EESY_IbLb1EEEEDaSU_SV_EUlSU_E_NS1_11comp_targetILNS1_3genE3ELNS1_11target_archE908ELNS1_3gpuE7ELNS1_3repE0EEENS1_30default_config_static_selectorELNS0_4arch9wavefront6targetE0EEEvT1_
		.amdhsa_group_segment_fixed_size 0
		.amdhsa_private_segment_fixed_size 0
		.amdhsa_kernarg_size 112
		.amdhsa_user_sgpr_count 2
		.amdhsa_user_sgpr_dispatch_ptr 0
		.amdhsa_user_sgpr_queue_ptr 0
		.amdhsa_user_sgpr_kernarg_segment_ptr 1
		.amdhsa_user_sgpr_dispatch_id 0
		.amdhsa_user_sgpr_kernarg_preload_length 0
		.amdhsa_user_sgpr_kernarg_preload_offset 0
		.amdhsa_user_sgpr_private_segment_size 0
		.amdhsa_wavefront_size32 1
		.amdhsa_uses_dynamic_stack 0
		.amdhsa_enable_private_segment 0
		.amdhsa_system_sgpr_workgroup_id_x 1
		.amdhsa_system_sgpr_workgroup_id_y 0
		.amdhsa_system_sgpr_workgroup_id_z 0
		.amdhsa_system_sgpr_workgroup_info 0
		.amdhsa_system_vgpr_workitem_id 0
		.amdhsa_next_free_vgpr 1
		.amdhsa_next_free_sgpr 1
		.amdhsa_named_barrier_count 0
		.amdhsa_reserve_vcc 0
		.amdhsa_float_round_mode_32 0
		.amdhsa_float_round_mode_16_64 0
		.amdhsa_float_denorm_mode_32 3
		.amdhsa_float_denorm_mode_16_64 3
		.amdhsa_fp16_overflow 0
		.amdhsa_memory_ordered 1
		.amdhsa_forward_progress 1
		.amdhsa_inst_pref_size 0
		.amdhsa_round_robin_scheduling 0
		.amdhsa_exception_fp_ieee_invalid_op 0
		.amdhsa_exception_fp_denorm_src 0
		.amdhsa_exception_fp_ieee_div_zero 0
		.amdhsa_exception_fp_ieee_overflow 0
		.amdhsa_exception_fp_ieee_underflow 0
		.amdhsa_exception_fp_ieee_inexact 0
		.amdhsa_exception_int_div_zero 0
	.end_amdhsa_kernel
	.section	.text._ZN7rocprim17ROCPRIM_400000_NS6detail17trampoline_kernelINS0_14default_configENS1_27scan_by_key_config_selectorIiiEEZZNS1_16scan_by_key_implILNS1_25lookback_scan_determinismE0ELb0ES3_N6thrust23THRUST_200600_302600_NS6detail15normal_iteratorINS9_10device_ptrIiEEEESE_SE_iNS9_4plusIvEENS9_8equal_toIvEEiEE10hipError_tPvRmT2_T3_T4_T5_mT6_T7_P12ihipStream_tbENKUlT_T0_E_clISt17integral_constantIbLb0EESY_IbLb1EEEEDaSU_SV_EUlSU_E_NS1_11comp_targetILNS1_3genE3ELNS1_11target_archE908ELNS1_3gpuE7ELNS1_3repE0EEENS1_30default_config_static_selectorELNS0_4arch9wavefront6targetE0EEEvT1_,"axG",@progbits,_ZN7rocprim17ROCPRIM_400000_NS6detail17trampoline_kernelINS0_14default_configENS1_27scan_by_key_config_selectorIiiEEZZNS1_16scan_by_key_implILNS1_25lookback_scan_determinismE0ELb0ES3_N6thrust23THRUST_200600_302600_NS6detail15normal_iteratorINS9_10device_ptrIiEEEESE_SE_iNS9_4plusIvEENS9_8equal_toIvEEiEE10hipError_tPvRmT2_T3_T4_T5_mT6_T7_P12ihipStream_tbENKUlT_T0_E_clISt17integral_constantIbLb0EESY_IbLb1EEEEDaSU_SV_EUlSU_E_NS1_11comp_targetILNS1_3genE3ELNS1_11target_archE908ELNS1_3gpuE7ELNS1_3repE0EEENS1_30default_config_static_selectorELNS0_4arch9wavefront6targetE0EEEvT1_,comdat
.Lfunc_end159:
	.size	_ZN7rocprim17ROCPRIM_400000_NS6detail17trampoline_kernelINS0_14default_configENS1_27scan_by_key_config_selectorIiiEEZZNS1_16scan_by_key_implILNS1_25lookback_scan_determinismE0ELb0ES3_N6thrust23THRUST_200600_302600_NS6detail15normal_iteratorINS9_10device_ptrIiEEEESE_SE_iNS9_4plusIvEENS9_8equal_toIvEEiEE10hipError_tPvRmT2_T3_T4_T5_mT6_T7_P12ihipStream_tbENKUlT_T0_E_clISt17integral_constantIbLb0EESY_IbLb1EEEEDaSU_SV_EUlSU_E_NS1_11comp_targetILNS1_3genE3ELNS1_11target_archE908ELNS1_3gpuE7ELNS1_3repE0EEENS1_30default_config_static_selectorELNS0_4arch9wavefront6targetE0EEEvT1_, .Lfunc_end159-_ZN7rocprim17ROCPRIM_400000_NS6detail17trampoline_kernelINS0_14default_configENS1_27scan_by_key_config_selectorIiiEEZZNS1_16scan_by_key_implILNS1_25lookback_scan_determinismE0ELb0ES3_N6thrust23THRUST_200600_302600_NS6detail15normal_iteratorINS9_10device_ptrIiEEEESE_SE_iNS9_4plusIvEENS9_8equal_toIvEEiEE10hipError_tPvRmT2_T3_T4_T5_mT6_T7_P12ihipStream_tbENKUlT_T0_E_clISt17integral_constantIbLb0EESY_IbLb1EEEEDaSU_SV_EUlSU_E_NS1_11comp_targetILNS1_3genE3ELNS1_11target_archE908ELNS1_3gpuE7ELNS1_3repE0EEENS1_30default_config_static_selectorELNS0_4arch9wavefront6targetE0EEEvT1_
                                        ; -- End function
	.set _ZN7rocprim17ROCPRIM_400000_NS6detail17trampoline_kernelINS0_14default_configENS1_27scan_by_key_config_selectorIiiEEZZNS1_16scan_by_key_implILNS1_25lookback_scan_determinismE0ELb0ES3_N6thrust23THRUST_200600_302600_NS6detail15normal_iteratorINS9_10device_ptrIiEEEESE_SE_iNS9_4plusIvEENS9_8equal_toIvEEiEE10hipError_tPvRmT2_T3_T4_T5_mT6_T7_P12ihipStream_tbENKUlT_T0_E_clISt17integral_constantIbLb0EESY_IbLb1EEEEDaSU_SV_EUlSU_E_NS1_11comp_targetILNS1_3genE3ELNS1_11target_archE908ELNS1_3gpuE7ELNS1_3repE0EEENS1_30default_config_static_selectorELNS0_4arch9wavefront6targetE0EEEvT1_.num_vgpr, 0
	.set _ZN7rocprim17ROCPRIM_400000_NS6detail17trampoline_kernelINS0_14default_configENS1_27scan_by_key_config_selectorIiiEEZZNS1_16scan_by_key_implILNS1_25lookback_scan_determinismE0ELb0ES3_N6thrust23THRUST_200600_302600_NS6detail15normal_iteratorINS9_10device_ptrIiEEEESE_SE_iNS9_4plusIvEENS9_8equal_toIvEEiEE10hipError_tPvRmT2_T3_T4_T5_mT6_T7_P12ihipStream_tbENKUlT_T0_E_clISt17integral_constantIbLb0EESY_IbLb1EEEEDaSU_SV_EUlSU_E_NS1_11comp_targetILNS1_3genE3ELNS1_11target_archE908ELNS1_3gpuE7ELNS1_3repE0EEENS1_30default_config_static_selectorELNS0_4arch9wavefront6targetE0EEEvT1_.num_agpr, 0
	.set _ZN7rocprim17ROCPRIM_400000_NS6detail17trampoline_kernelINS0_14default_configENS1_27scan_by_key_config_selectorIiiEEZZNS1_16scan_by_key_implILNS1_25lookback_scan_determinismE0ELb0ES3_N6thrust23THRUST_200600_302600_NS6detail15normal_iteratorINS9_10device_ptrIiEEEESE_SE_iNS9_4plusIvEENS9_8equal_toIvEEiEE10hipError_tPvRmT2_T3_T4_T5_mT6_T7_P12ihipStream_tbENKUlT_T0_E_clISt17integral_constantIbLb0EESY_IbLb1EEEEDaSU_SV_EUlSU_E_NS1_11comp_targetILNS1_3genE3ELNS1_11target_archE908ELNS1_3gpuE7ELNS1_3repE0EEENS1_30default_config_static_selectorELNS0_4arch9wavefront6targetE0EEEvT1_.numbered_sgpr, 0
	.set _ZN7rocprim17ROCPRIM_400000_NS6detail17trampoline_kernelINS0_14default_configENS1_27scan_by_key_config_selectorIiiEEZZNS1_16scan_by_key_implILNS1_25lookback_scan_determinismE0ELb0ES3_N6thrust23THRUST_200600_302600_NS6detail15normal_iteratorINS9_10device_ptrIiEEEESE_SE_iNS9_4plusIvEENS9_8equal_toIvEEiEE10hipError_tPvRmT2_T3_T4_T5_mT6_T7_P12ihipStream_tbENKUlT_T0_E_clISt17integral_constantIbLb0EESY_IbLb1EEEEDaSU_SV_EUlSU_E_NS1_11comp_targetILNS1_3genE3ELNS1_11target_archE908ELNS1_3gpuE7ELNS1_3repE0EEENS1_30default_config_static_selectorELNS0_4arch9wavefront6targetE0EEEvT1_.num_named_barrier, 0
	.set _ZN7rocprim17ROCPRIM_400000_NS6detail17trampoline_kernelINS0_14default_configENS1_27scan_by_key_config_selectorIiiEEZZNS1_16scan_by_key_implILNS1_25lookback_scan_determinismE0ELb0ES3_N6thrust23THRUST_200600_302600_NS6detail15normal_iteratorINS9_10device_ptrIiEEEESE_SE_iNS9_4plusIvEENS9_8equal_toIvEEiEE10hipError_tPvRmT2_T3_T4_T5_mT6_T7_P12ihipStream_tbENKUlT_T0_E_clISt17integral_constantIbLb0EESY_IbLb1EEEEDaSU_SV_EUlSU_E_NS1_11comp_targetILNS1_3genE3ELNS1_11target_archE908ELNS1_3gpuE7ELNS1_3repE0EEENS1_30default_config_static_selectorELNS0_4arch9wavefront6targetE0EEEvT1_.private_seg_size, 0
	.set _ZN7rocprim17ROCPRIM_400000_NS6detail17trampoline_kernelINS0_14default_configENS1_27scan_by_key_config_selectorIiiEEZZNS1_16scan_by_key_implILNS1_25lookback_scan_determinismE0ELb0ES3_N6thrust23THRUST_200600_302600_NS6detail15normal_iteratorINS9_10device_ptrIiEEEESE_SE_iNS9_4plusIvEENS9_8equal_toIvEEiEE10hipError_tPvRmT2_T3_T4_T5_mT6_T7_P12ihipStream_tbENKUlT_T0_E_clISt17integral_constantIbLb0EESY_IbLb1EEEEDaSU_SV_EUlSU_E_NS1_11comp_targetILNS1_3genE3ELNS1_11target_archE908ELNS1_3gpuE7ELNS1_3repE0EEENS1_30default_config_static_selectorELNS0_4arch9wavefront6targetE0EEEvT1_.uses_vcc, 0
	.set _ZN7rocprim17ROCPRIM_400000_NS6detail17trampoline_kernelINS0_14default_configENS1_27scan_by_key_config_selectorIiiEEZZNS1_16scan_by_key_implILNS1_25lookback_scan_determinismE0ELb0ES3_N6thrust23THRUST_200600_302600_NS6detail15normal_iteratorINS9_10device_ptrIiEEEESE_SE_iNS9_4plusIvEENS9_8equal_toIvEEiEE10hipError_tPvRmT2_T3_T4_T5_mT6_T7_P12ihipStream_tbENKUlT_T0_E_clISt17integral_constantIbLb0EESY_IbLb1EEEEDaSU_SV_EUlSU_E_NS1_11comp_targetILNS1_3genE3ELNS1_11target_archE908ELNS1_3gpuE7ELNS1_3repE0EEENS1_30default_config_static_selectorELNS0_4arch9wavefront6targetE0EEEvT1_.uses_flat_scratch, 0
	.set _ZN7rocprim17ROCPRIM_400000_NS6detail17trampoline_kernelINS0_14default_configENS1_27scan_by_key_config_selectorIiiEEZZNS1_16scan_by_key_implILNS1_25lookback_scan_determinismE0ELb0ES3_N6thrust23THRUST_200600_302600_NS6detail15normal_iteratorINS9_10device_ptrIiEEEESE_SE_iNS9_4plusIvEENS9_8equal_toIvEEiEE10hipError_tPvRmT2_T3_T4_T5_mT6_T7_P12ihipStream_tbENKUlT_T0_E_clISt17integral_constantIbLb0EESY_IbLb1EEEEDaSU_SV_EUlSU_E_NS1_11comp_targetILNS1_3genE3ELNS1_11target_archE908ELNS1_3gpuE7ELNS1_3repE0EEENS1_30default_config_static_selectorELNS0_4arch9wavefront6targetE0EEEvT1_.has_dyn_sized_stack, 0
	.set _ZN7rocprim17ROCPRIM_400000_NS6detail17trampoline_kernelINS0_14default_configENS1_27scan_by_key_config_selectorIiiEEZZNS1_16scan_by_key_implILNS1_25lookback_scan_determinismE0ELb0ES3_N6thrust23THRUST_200600_302600_NS6detail15normal_iteratorINS9_10device_ptrIiEEEESE_SE_iNS9_4plusIvEENS9_8equal_toIvEEiEE10hipError_tPvRmT2_T3_T4_T5_mT6_T7_P12ihipStream_tbENKUlT_T0_E_clISt17integral_constantIbLb0EESY_IbLb1EEEEDaSU_SV_EUlSU_E_NS1_11comp_targetILNS1_3genE3ELNS1_11target_archE908ELNS1_3gpuE7ELNS1_3repE0EEENS1_30default_config_static_selectorELNS0_4arch9wavefront6targetE0EEEvT1_.has_recursion, 0
	.set _ZN7rocprim17ROCPRIM_400000_NS6detail17trampoline_kernelINS0_14default_configENS1_27scan_by_key_config_selectorIiiEEZZNS1_16scan_by_key_implILNS1_25lookback_scan_determinismE0ELb0ES3_N6thrust23THRUST_200600_302600_NS6detail15normal_iteratorINS9_10device_ptrIiEEEESE_SE_iNS9_4plusIvEENS9_8equal_toIvEEiEE10hipError_tPvRmT2_T3_T4_T5_mT6_T7_P12ihipStream_tbENKUlT_T0_E_clISt17integral_constantIbLb0EESY_IbLb1EEEEDaSU_SV_EUlSU_E_NS1_11comp_targetILNS1_3genE3ELNS1_11target_archE908ELNS1_3gpuE7ELNS1_3repE0EEENS1_30default_config_static_selectorELNS0_4arch9wavefront6targetE0EEEvT1_.has_indirect_call, 0
	.section	.AMDGPU.csdata,"",@progbits
; Kernel info:
; codeLenInByte = 0
; TotalNumSgprs: 0
; NumVgprs: 0
; ScratchSize: 0
; MemoryBound: 0
; FloatMode: 240
; IeeeMode: 1
; LDSByteSize: 0 bytes/workgroup (compile time only)
; SGPRBlocks: 0
; VGPRBlocks: 0
; NumSGPRsForWavesPerEU: 1
; NumVGPRsForWavesPerEU: 1
; NamedBarCnt: 0
; Occupancy: 16
; WaveLimiterHint : 0
; COMPUTE_PGM_RSRC2:SCRATCH_EN: 0
; COMPUTE_PGM_RSRC2:USER_SGPR: 2
; COMPUTE_PGM_RSRC2:TRAP_HANDLER: 0
; COMPUTE_PGM_RSRC2:TGID_X_EN: 1
; COMPUTE_PGM_RSRC2:TGID_Y_EN: 0
; COMPUTE_PGM_RSRC2:TGID_Z_EN: 0
; COMPUTE_PGM_RSRC2:TIDIG_COMP_CNT: 0
	.section	.text._ZN7rocprim17ROCPRIM_400000_NS6detail17trampoline_kernelINS0_14default_configENS1_27scan_by_key_config_selectorIiiEEZZNS1_16scan_by_key_implILNS1_25lookback_scan_determinismE0ELb0ES3_N6thrust23THRUST_200600_302600_NS6detail15normal_iteratorINS9_10device_ptrIiEEEESE_SE_iNS9_4plusIvEENS9_8equal_toIvEEiEE10hipError_tPvRmT2_T3_T4_T5_mT6_T7_P12ihipStream_tbENKUlT_T0_E_clISt17integral_constantIbLb0EESY_IbLb1EEEEDaSU_SV_EUlSU_E_NS1_11comp_targetILNS1_3genE2ELNS1_11target_archE906ELNS1_3gpuE6ELNS1_3repE0EEENS1_30default_config_static_selectorELNS0_4arch9wavefront6targetE0EEEvT1_,"axG",@progbits,_ZN7rocprim17ROCPRIM_400000_NS6detail17trampoline_kernelINS0_14default_configENS1_27scan_by_key_config_selectorIiiEEZZNS1_16scan_by_key_implILNS1_25lookback_scan_determinismE0ELb0ES3_N6thrust23THRUST_200600_302600_NS6detail15normal_iteratorINS9_10device_ptrIiEEEESE_SE_iNS9_4plusIvEENS9_8equal_toIvEEiEE10hipError_tPvRmT2_T3_T4_T5_mT6_T7_P12ihipStream_tbENKUlT_T0_E_clISt17integral_constantIbLb0EESY_IbLb1EEEEDaSU_SV_EUlSU_E_NS1_11comp_targetILNS1_3genE2ELNS1_11target_archE906ELNS1_3gpuE6ELNS1_3repE0EEENS1_30default_config_static_selectorELNS0_4arch9wavefront6targetE0EEEvT1_,comdat
	.protected	_ZN7rocprim17ROCPRIM_400000_NS6detail17trampoline_kernelINS0_14default_configENS1_27scan_by_key_config_selectorIiiEEZZNS1_16scan_by_key_implILNS1_25lookback_scan_determinismE0ELb0ES3_N6thrust23THRUST_200600_302600_NS6detail15normal_iteratorINS9_10device_ptrIiEEEESE_SE_iNS9_4plusIvEENS9_8equal_toIvEEiEE10hipError_tPvRmT2_T3_T4_T5_mT6_T7_P12ihipStream_tbENKUlT_T0_E_clISt17integral_constantIbLb0EESY_IbLb1EEEEDaSU_SV_EUlSU_E_NS1_11comp_targetILNS1_3genE2ELNS1_11target_archE906ELNS1_3gpuE6ELNS1_3repE0EEENS1_30default_config_static_selectorELNS0_4arch9wavefront6targetE0EEEvT1_ ; -- Begin function _ZN7rocprim17ROCPRIM_400000_NS6detail17trampoline_kernelINS0_14default_configENS1_27scan_by_key_config_selectorIiiEEZZNS1_16scan_by_key_implILNS1_25lookback_scan_determinismE0ELb0ES3_N6thrust23THRUST_200600_302600_NS6detail15normal_iteratorINS9_10device_ptrIiEEEESE_SE_iNS9_4plusIvEENS9_8equal_toIvEEiEE10hipError_tPvRmT2_T3_T4_T5_mT6_T7_P12ihipStream_tbENKUlT_T0_E_clISt17integral_constantIbLb0EESY_IbLb1EEEEDaSU_SV_EUlSU_E_NS1_11comp_targetILNS1_3genE2ELNS1_11target_archE906ELNS1_3gpuE6ELNS1_3repE0EEENS1_30default_config_static_selectorELNS0_4arch9wavefront6targetE0EEEvT1_
	.globl	_ZN7rocprim17ROCPRIM_400000_NS6detail17trampoline_kernelINS0_14default_configENS1_27scan_by_key_config_selectorIiiEEZZNS1_16scan_by_key_implILNS1_25lookback_scan_determinismE0ELb0ES3_N6thrust23THRUST_200600_302600_NS6detail15normal_iteratorINS9_10device_ptrIiEEEESE_SE_iNS9_4plusIvEENS9_8equal_toIvEEiEE10hipError_tPvRmT2_T3_T4_T5_mT6_T7_P12ihipStream_tbENKUlT_T0_E_clISt17integral_constantIbLb0EESY_IbLb1EEEEDaSU_SV_EUlSU_E_NS1_11comp_targetILNS1_3genE2ELNS1_11target_archE906ELNS1_3gpuE6ELNS1_3repE0EEENS1_30default_config_static_selectorELNS0_4arch9wavefront6targetE0EEEvT1_
	.p2align	8
	.type	_ZN7rocprim17ROCPRIM_400000_NS6detail17trampoline_kernelINS0_14default_configENS1_27scan_by_key_config_selectorIiiEEZZNS1_16scan_by_key_implILNS1_25lookback_scan_determinismE0ELb0ES3_N6thrust23THRUST_200600_302600_NS6detail15normal_iteratorINS9_10device_ptrIiEEEESE_SE_iNS9_4plusIvEENS9_8equal_toIvEEiEE10hipError_tPvRmT2_T3_T4_T5_mT6_T7_P12ihipStream_tbENKUlT_T0_E_clISt17integral_constantIbLb0EESY_IbLb1EEEEDaSU_SV_EUlSU_E_NS1_11comp_targetILNS1_3genE2ELNS1_11target_archE906ELNS1_3gpuE6ELNS1_3repE0EEENS1_30default_config_static_selectorELNS0_4arch9wavefront6targetE0EEEvT1_,@function
_ZN7rocprim17ROCPRIM_400000_NS6detail17trampoline_kernelINS0_14default_configENS1_27scan_by_key_config_selectorIiiEEZZNS1_16scan_by_key_implILNS1_25lookback_scan_determinismE0ELb0ES3_N6thrust23THRUST_200600_302600_NS6detail15normal_iteratorINS9_10device_ptrIiEEEESE_SE_iNS9_4plusIvEENS9_8equal_toIvEEiEE10hipError_tPvRmT2_T3_T4_T5_mT6_T7_P12ihipStream_tbENKUlT_T0_E_clISt17integral_constantIbLb0EESY_IbLb1EEEEDaSU_SV_EUlSU_E_NS1_11comp_targetILNS1_3genE2ELNS1_11target_archE906ELNS1_3gpuE6ELNS1_3repE0EEENS1_30default_config_static_selectorELNS0_4arch9wavefront6targetE0EEEvT1_: ; @_ZN7rocprim17ROCPRIM_400000_NS6detail17trampoline_kernelINS0_14default_configENS1_27scan_by_key_config_selectorIiiEEZZNS1_16scan_by_key_implILNS1_25lookback_scan_determinismE0ELb0ES3_N6thrust23THRUST_200600_302600_NS6detail15normal_iteratorINS9_10device_ptrIiEEEESE_SE_iNS9_4plusIvEENS9_8equal_toIvEEiEE10hipError_tPvRmT2_T3_T4_T5_mT6_T7_P12ihipStream_tbENKUlT_T0_E_clISt17integral_constantIbLb0EESY_IbLb1EEEEDaSU_SV_EUlSU_E_NS1_11comp_targetILNS1_3genE2ELNS1_11target_archE906ELNS1_3gpuE6ELNS1_3repE0EEENS1_30default_config_static_selectorELNS0_4arch9wavefront6targetE0EEEvT1_
; %bb.0:
	.section	.rodata,"a",@progbits
	.p2align	6, 0x0
	.amdhsa_kernel _ZN7rocprim17ROCPRIM_400000_NS6detail17trampoline_kernelINS0_14default_configENS1_27scan_by_key_config_selectorIiiEEZZNS1_16scan_by_key_implILNS1_25lookback_scan_determinismE0ELb0ES3_N6thrust23THRUST_200600_302600_NS6detail15normal_iteratorINS9_10device_ptrIiEEEESE_SE_iNS9_4plusIvEENS9_8equal_toIvEEiEE10hipError_tPvRmT2_T3_T4_T5_mT6_T7_P12ihipStream_tbENKUlT_T0_E_clISt17integral_constantIbLb0EESY_IbLb1EEEEDaSU_SV_EUlSU_E_NS1_11comp_targetILNS1_3genE2ELNS1_11target_archE906ELNS1_3gpuE6ELNS1_3repE0EEENS1_30default_config_static_selectorELNS0_4arch9wavefront6targetE0EEEvT1_
		.amdhsa_group_segment_fixed_size 0
		.amdhsa_private_segment_fixed_size 0
		.amdhsa_kernarg_size 112
		.amdhsa_user_sgpr_count 2
		.amdhsa_user_sgpr_dispatch_ptr 0
		.amdhsa_user_sgpr_queue_ptr 0
		.amdhsa_user_sgpr_kernarg_segment_ptr 1
		.amdhsa_user_sgpr_dispatch_id 0
		.amdhsa_user_sgpr_kernarg_preload_length 0
		.amdhsa_user_sgpr_kernarg_preload_offset 0
		.amdhsa_user_sgpr_private_segment_size 0
		.amdhsa_wavefront_size32 1
		.amdhsa_uses_dynamic_stack 0
		.amdhsa_enable_private_segment 0
		.amdhsa_system_sgpr_workgroup_id_x 1
		.amdhsa_system_sgpr_workgroup_id_y 0
		.amdhsa_system_sgpr_workgroup_id_z 0
		.amdhsa_system_sgpr_workgroup_info 0
		.amdhsa_system_vgpr_workitem_id 0
		.amdhsa_next_free_vgpr 1
		.amdhsa_next_free_sgpr 1
		.amdhsa_named_barrier_count 0
		.amdhsa_reserve_vcc 0
		.amdhsa_float_round_mode_32 0
		.amdhsa_float_round_mode_16_64 0
		.amdhsa_float_denorm_mode_32 3
		.amdhsa_float_denorm_mode_16_64 3
		.amdhsa_fp16_overflow 0
		.amdhsa_memory_ordered 1
		.amdhsa_forward_progress 1
		.amdhsa_inst_pref_size 0
		.amdhsa_round_robin_scheduling 0
		.amdhsa_exception_fp_ieee_invalid_op 0
		.amdhsa_exception_fp_denorm_src 0
		.amdhsa_exception_fp_ieee_div_zero 0
		.amdhsa_exception_fp_ieee_overflow 0
		.amdhsa_exception_fp_ieee_underflow 0
		.amdhsa_exception_fp_ieee_inexact 0
		.amdhsa_exception_int_div_zero 0
	.end_amdhsa_kernel
	.section	.text._ZN7rocprim17ROCPRIM_400000_NS6detail17trampoline_kernelINS0_14default_configENS1_27scan_by_key_config_selectorIiiEEZZNS1_16scan_by_key_implILNS1_25lookback_scan_determinismE0ELb0ES3_N6thrust23THRUST_200600_302600_NS6detail15normal_iteratorINS9_10device_ptrIiEEEESE_SE_iNS9_4plusIvEENS9_8equal_toIvEEiEE10hipError_tPvRmT2_T3_T4_T5_mT6_T7_P12ihipStream_tbENKUlT_T0_E_clISt17integral_constantIbLb0EESY_IbLb1EEEEDaSU_SV_EUlSU_E_NS1_11comp_targetILNS1_3genE2ELNS1_11target_archE906ELNS1_3gpuE6ELNS1_3repE0EEENS1_30default_config_static_selectorELNS0_4arch9wavefront6targetE0EEEvT1_,"axG",@progbits,_ZN7rocprim17ROCPRIM_400000_NS6detail17trampoline_kernelINS0_14default_configENS1_27scan_by_key_config_selectorIiiEEZZNS1_16scan_by_key_implILNS1_25lookback_scan_determinismE0ELb0ES3_N6thrust23THRUST_200600_302600_NS6detail15normal_iteratorINS9_10device_ptrIiEEEESE_SE_iNS9_4plusIvEENS9_8equal_toIvEEiEE10hipError_tPvRmT2_T3_T4_T5_mT6_T7_P12ihipStream_tbENKUlT_T0_E_clISt17integral_constantIbLb0EESY_IbLb1EEEEDaSU_SV_EUlSU_E_NS1_11comp_targetILNS1_3genE2ELNS1_11target_archE906ELNS1_3gpuE6ELNS1_3repE0EEENS1_30default_config_static_selectorELNS0_4arch9wavefront6targetE0EEEvT1_,comdat
.Lfunc_end160:
	.size	_ZN7rocprim17ROCPRIM_400000_NS6detail17trampoline_kernelINS0_14default_configENS1_27scan_by_key_config_selectorIiiEEZZNS1_16scan_by_key_implILNS1_25lookback_scan_determinismE0ELb0ES3_N6thrust23THRUST_200600_302600_NS6detail15normal_iteratorINS9_10device_ptrIiEEEESE_SE_iNS9_4plusIvEENS9_8equal_toIvEEiEE10hipError_tPvRmT2_T3_T4_T5_mT6_T7_P12ihipStream_tbENKUlT_T0_E_clISt17integral_constantIbLb0EESY_IbLb1EEEEDaSU_SV_EUlSU_E_NS1_11comp_targetILNS1_3genE2ELNS1_11target_archE906ELNS1_3gpuE6ELNS1_3repE0EEENS1_30default_config_static_selectorELNS0_4arch9wavefront6targetE0EEEvT1_, .Lfunc_end160-_ZN7rocprim17ROCPRIM_400000_NS6detail17trampoline_kernelINS0_14default_configENS1_27scan_by_key_config_selectorIiiEEZZNS1_16scan_by_key_implILNS1_25lookback_scan_determinismE0ELb0ES3_N6thrust23THRUST_200600_302600_NS6detail15normal_iteratorINS9_10device_ptrIiEEEESE_SE_iNS9_4plusIvEENS9_8equal_toIvEEiEE10hipError_tPvRmT2_T3_T4_T5_mT6_T7_P12ihipStream_tbENKUlT_T0_E_clISt17integral_constantIbLb0EESY_IbLb1EEEEDaSU_SV_EUlSU_E_NS1_11comp_targetILNS1_3genE2ELNS1_11target_archE906ELNS1_3gpuE6ELNS1_3repE0EEENS1_30default_config_static_selectorELNS0_4arch9wavefront6targetE0EEEvT1_
                                        ; -- End function
	.set _ZN7rocprim17ROCPRIM_400000_NS6detail17trampoline_kernelINS0_14default_configENS1_27scan_by_key_config_selectorIiiEEZZNS1_16scan_by_key_implILNS1_25lookback_scan_determinismE0ELb0ES3_N6thrust23THRUST_200600_302600_NS6detail15normal_iteratorINS9_10device_ptrIiEEEESE_SE_iNS9_4plusIvEENS9_8equal_toIvEEiEE10hipError_tPvRmT2_T3_T4_T5_mT6_T7_P12ihipStream_tbENKUlT_T0_E_clISt17integral_constantIbLb0EESY_IbLb1EEEEDaSU_SV_EUlSU_E_NS1_11comp_targetILNS1_3genE2ELNS1_11target_archE906ELNS1_3gpuE6ELNS1_3repE0EEENS1_30default_config_static_selectorELNS0_4arch9wavefront6targetE0EEEvT1_.num_vgpr, 0
	.set _ZN7rocprim17ROCPRIM_400000_NS6detail17trampoline_kernelINS0_14default_configENS1_27scan_by_key_config_selectorIiiEEZZNS1_16scan_by_key_implILNS1_25lookback_scan_determinismE0ELb0ES3_N6thrust23THRUST_200600_302600_NS6detail15normal_iteratorINS9_10device_ptrIiEEEESE_SE_iNS9_4plusIvEENS9_8equal_toIvEEiEE10hipError_tPvRmT2_T3_T4_T5_mT6_T7_P12ihipStream_tbENKUlT_T0_E_clISt17integral_constantIbLb0EESY_IbLb1EEEEDaSU_SV_EUlSU_E_NS1_11comp_targetILNS1_3genE2ELNS1_11target_archE906ELNS1_3gpuE6ELNS1_3repE0EEENS1_30default_config_static_selectorELNS0_4arch9wavefront6targetE0EEEvT1_.num_agpr, 0
	.set _ZN7rocprim17ROCPRIM_400000_NS6detail17trampoline_kernelINS0_14default_configENS1_27scan_by_key_config_selectorIiiEEZZNS1_16scan_by_key_implILNS1_25lookback_scan_determinismE0ELb0ES3_N6thrust23THRUST_200600_302600_NS6detail15normal_iteratorINS9_10device_ptrIiEEEESE_SE_iNS9_4plusIvEENS9_8equal_toIvEEiEE10hipError_tPvRmT2_T3_T4_T5_mT6_T7_P12ihipStream_tbENKUlT_T0_E_clISt17integral_constantIbLb0EESY_IbLb1EEEEDaSU_SV_EUlSU_E_NS1_11comp_targetILNS1_3genE2ELNS1_11target_archE906ELNS1_3gpuE6ELNS1_3repE0EEENS1_30default_config_static_selectorELNS0_4arch9wavefront6targetE0EEEvT1_.numbered_sgpr, 0
	.set _ZN7rocprim17ROCPRIM_400000_NS6detail17trampoline_kernelINS0_14default_configENS1_27scan_by_key_config_selectorIiiEEZZNS1_16scan_by_key_implILNS1_25lookback_scan_determinismE0ELb0ES3_N6thrust23THRUST_200600_302600_NS6detail15normal_iteratorINS9_10device_ptrIiEEEESE_SE_iNS9_4plusIvEENS9_8equal_toIvEEiEE10hipError_tPvRmT2_T3_T4_T5_mT6_T7_P12ihipStream_tbENKUlT_T0_E_clISt17integral_constantIbLb0EESY_IbLb1EEEEDaSU_SV_EUlSU_E_NS1_11comp_targetILNS1_3genE2ELNS1_11target_archE906ELNS1_3gpuE6ELNS1_3repE0EEENS1_30default_config_static_selectorELNS0_4arch9wavefront6targetE0EEEvT1_.num_named_barrier, 0
	.set _ZN7rocprim17ROCPRIM_400000_NS6detail17trampoline_kernelINS0_14default_configENS1_27scan_by_key_config_selectorIiiEEZZNS1_16scan_by_key_implILNS1_25lookback_scan_determinismE0ELb0ES3_N6thrust23THRUST_200600_302600_NS6detail15normal_iteratorINS9_10device_ptrIiEEEESE_SE_iNS9_4plusIvEENS9_8equal_toIvEEiEE10hipError_tPvRmT2_T3_T4_T5_mT6_T7_P12ihipStream_tbENKUlT_T0_E_clISt17integral_constantIbLb0EESY_IbLb1EEEEDaSU_SV_EUlSU_E_NS1_11comp_targetILNS1_3genE2ELNS1_11target_archE906ELNS1_3gpuE6ELNS1_3repE0EEENS1_30default_config_static_selectorELNS0_4arch9wavefront6targetE0EEEvT1_.private_seg_size, 0
	.set _ZN7rocprim17ROCPRIM_400000_NS6detail17trampoline_kernelINS0_14default_configENS1_27scan_by_key_config_selectorIiiEEZZNS1_16scan_by_key_implILNS1_25lookback_scan_determinismE0ELb0ES3_N6thrust23THRUST_200600_302600_NS6detail15normal_iteratorINS9_10device_ptrIiEEEESE_SE_iNS9_4plusIvEENS9_8equal_toIvEEiEE10hipError_tPvRmT2_T3_T4_T5_mT6_T7_P12ihipStream_tbENKUlT_T0_E_clISt17integral_constantIbLb0EESY_IbLb1EEEEDaSU_SV_EUlSU_E_NS1_11comp_targetILNS1_3genE2ELNS1_11target_archE906ELNS1_3gpuE6ELNS1_3repE0EEENS1_30default_config_static_selectorELNS0_4arch9wavefront6targetE0EEEvT1_.uses_vcc, 0
	.set _ZN7rocprim17ROCPRIM_400000_NS6detail17trampoline_kernelINS0_14default_configENS1_27scan_by_key_config_selectorIiiEEZZNS1_16scan_by_key_implILNS1_25lookback_scan_determinismE0ELb0ES3_N6thrust23THRUST_200600_302600_NS6detail15normal_iteratorINS9_10device_ptrIiEEEESE_SE_iNS9_4plusIvEENS9_8equal_toIvEEiEE10hipError_tPvRmT2_T3_T4_T5_mT6_T7_P12ihipStream_tbENKUlT_T0_E_clISt17integral_constantIbLb0EESY_IbLb1EEEEDaSU_SV_EUlSU_E_NS1_11comp_targetILNS1_3genE2ELNS1_11target_archE906ELNS1_3gpuE6ELNS1_3repE0EEENS1_30default_config_static_selectorELNS0_4arch9wavefront6targetE0EEEvT1_.uses_flat_scratch, 0
	.set _ZN7rocprim17ROCPRIM_400000_NS6detail17trampoline_kernelINS0_14default_configENS1_27scan_by_key_config_selectorIiiEEZZNS1_16scan_by_key_implILNS1_25lookback_scan_determinismE0ELb0ES3_N6thrust23THRUST_200600_302600_NS6detail15normal_iteratorINS9_10device_ptrIiEEEESE_SE_iNS9_4plusIvEENS9_8equal_toIvEEiEE10hipError_tPvRmT2_T3_T4_T5_mT6_T7_P12ihipStream_tbENKUlT_T0_E_clISt17integral_constantIbLb0EESY_IbLb1EEEEDaSU_SV_EUlSU_E_NS1_11comp_targetILNS1_3genE2ELNS1_11target_archE906ELNS1_3gpuE6ELNS1_3repE0EEENS1_30default_config_static_selectorELNS0_4arch9wavefront6targetE0EEEvT1_.has_dyn_sized_stack, 0
	.set _ZN7rocprim17ROCPRIM_400000_NS6detail17trampoline_kernelINS0_14default_configENS1_27scan_by_key_config_selectorIiiEEZZNS1_16scan_by_key_implILNS1_25lookback_scan_determinismE0ELb0ES3_N6thrust23THRUST_200600_302600_NS6detail15normal_iteratorINS9_10device_ptrIiEEEESE_SE_iNS9_4plusIvEENS9_8equal_toIvEEiEE10hipError_tPvRmT2_T3_T4_T5_mT6_T7_P12ihipStream_tbENKUlT_T0_E_clISt17integral_constantIbLb0EESY_IbLb1EEEEDaSU_SV_EUlSU_E_NS1_11comp_targetILNS1_3genE2ELNS1_11target_archE906ELNS1_3gpuE6ELNS1_3repE0EEENS1_30default_config_static_selectorELNS0_4arch9wavefront6targetE0EEEvT1_.has_recursion, 0
	.set _ZN7rocprim17ROCPRIM_400000_NS6detail17trampoline_kernelINS0_14default_configENS1_27scan_by_key_config_selectorIiiEEZZNS1_16scan_by_key_implILNS1_25lookback_scan_determinismE0ELb0ES3_N6thrust23THRUST_200600_302600_NS6detail15normal_iteratorINS9_10device_ptrIiEEEESE_SE_iNS9_4plusIvEENS9_8equal_toIvEEiEE10hipError_tPvRmT2_T3_T4_T5_mT6_T7_P12ihipStream_tbENKUlT_T0_E_clISt17integral_constantIbLb0EESY_IbLb1EEEEDaSU_SV_EUlSU_E_NS1_11comp_targetILNS1_3genE2ELNS1_11target_archE906ELNS1_3gpuE6ELNS1_3repE0EEENS1_30default_config_static_selectorELNS0_4arch9wavefront6targetE0EEEvT1_.has_indirect_call, 0
	.section	.AMDGPU.csdata,"",@progbits
; Kernel info:
; codeLenInByte = 0
; TotalNumSgprs: 0
; NumVgprs: 0
; ScratchSize: 0
; MemoryBound: 0
; FloatMode: 240
; IeeeMode: 1
; LDSByteSize: 0 bytes/workgroup (compile time only)
; SGPRBlocks: 0
; VGPRBlocks: 0
; NumSGPRsForWavesPerEU: 1
; NumVGPRsForWavesPerEU: 1
; NamedBarCnt: 0
; Occupancy: 16
; WaveLimiterHint : 0
; COMPUTE_PGM_RSRC2:SCRATCH_EN: 0
; COMPUTE_PGM_RSRC2:USER_SGPR: 2
; COMPUTE_PGM_RSRC2:TRAP_HANDLER: 0
; COMPUTE_PGM_RSRC2:TGID_X_EN: 1
; COMPUTE_PGM_RSRC2:TGID_Y_EN: 0
; COMPUTE_PGM_RSRC2:TGID_Z_EN: 0
; COMPUTE_PGM_RSRC2:TIDIG_COMP_CNT: 0
	.section	.text._ZN7rocprim17ROCPRIM_400000_NS6detail17trampoline_kernelINS0_14default_configENS1_27scan_by_key_config_selectorIiiEEZZNS1_16scan_by_key_implILNS1_25lookback_scan_determinismE0ELb0ES3_N6thrust23THRUST_200600_302600_NS6detail15normal_iteratorINS9_10device_ptrIiEEEESE_SE_iNS9_4plusIvEENS9_8equal_toIvEEiEE10hipError_tPvRmT2_T3_T4_T5_mT6_T7_P12ihipStream_tbENKUlT_T0_E_clISt17integral_constantIbLb0EESY_IbLb1EEEEDaSU_SV_EUlSU_E_NS1_11comp_targetILNS1_3genE10ELNS1_11target_archE1200ELNS1_3gpuE4ELNS1_3repE0EEENS1_30default_config_static_selectorELNS0_4arch9wavefront6targetE0EEEvT1_,"axG",@progbits,_ZN7rocprim17ROCPRIM_400000_NS6detail17trampoline_kernelINS0_14default_configENS1_27scan_by_key_config_selectorIiiEEZZNS1_16scan_by_key_implILNS1_25lookback_scan_determinismE0ELb0ES3_N6thrust23THRUST_200600_302600_NS6detail15normal_iteratorINS9_10device_ptrIiEEEESE_SE_iNS9_4plusIvEENS9_8equal_toIvEEiEE10hipError_tPvRmT2_T3_T4_T5_mT6_T7_P12ihipStream_tbENKUlT_T0_E_clISt17integral_constantIbLb0EESY_IbLb1EEEEDaSU_SV_EUlSU_E_NS1_11comp_targetILNS1_3genE10ELNS1_11target_archE1200ELNS1_3gpuE4ELNS1_3repE0EEENS1_30default_config_static_selectorELNS0_4arch9wavefront6targetE0EEEvT1_,comdat
	.protected	_ZN7rocprim17ROCPRIM_400000_NS6detail17trampoline_kernelINS0_14default_configENS1_27scan_by_key_config_selectorIiiEEZZNS1_16scan_by_key_implILNS1_25lookback_scan_determinismE0ELb0ES3_N6thrust23THRUST_200600_302600_NS6detail15normal_iteratorINS9_10device_ptrIiEEEESE_SE_iNS9_4plusIvEENS9_8equal_toIvEEiEE10hipError_tPvRmT2_T3_T4_T5_mT6_T7_P12ihipStream_tbENKUlT_T0_E_clISt17integral_constantIbLb0EESY_IbLb1EEEEDaSU_SV_EUlSU_E_NS1_11comp_targetILNS1_3genE10ELNS1_11target_archE1200ELNS1_3gpuE4ELNS1_3repE0EEENS1_30default_config_static_selectorELNS0_4arch9wavefront6targetE0EEEvT1_ ; -- Begin function _ZN7rocprim17ROCPRIM_400000_NS6detail17trampoline_kernelINS0_14default_configENS1_27scan_by_key_config_selectorIiiEEZZNS1_16scan_by_key_implILNS1_25lookback_scan_determinismE0ELb0ES3_N6thrust23THRUST_200600_302600_NS6detail15normal_iteratorINS9_10device_ptrIiEEEESE_SE_iNS9_4plusIvEENS9_8equal_toIvEEiEE10hipError_tPvRmT2_T3_T4_T5_mT6_T7_P12ihipStream_tbENKUlT_T0_E_clISt17integral_constantIbLb0EESY_IbLb1EEEEDaSU_SV_EUlSU_E_NS1_11comp_targetILNS1_3genE10ELNS1_11target_archE1200ELNS1_3gpuE4ELNS1_3repE0EEENS1_30default_config_static_selectorELNS0_4arch9wavefront6targetE0EEEvT1_
	.globl	_ZN7rocprim17ROCPRIM_400000_NS6detail17trampoline_kernelINS0_14default_configENS1_27scan_by_key_config_selectorIiiEEZZNS1_16scan_by_key_implILNS1_25lookback_scan_determinismE0ELb0ES3_N6thrust23THRUST_200600_302600_NS6detail15normal_iteratorINS9_10device_ptrIiEEEESE_SE_iNS9_4plusIvEENS9_8equal_toIvEEiEE10hipError_tPvRmT2_T3_T4_T5_mT6_T7_P12ihipStream_tbENKUlT_T0_E_clISt17integral_constantIbLb0EESY_IbLb1EEEEDaSU_SV_EUlSU_E_NS1_11comp_targetILNS1_3genE10ELNS1_11target_archE1200ELNS1_3gpuE4ELNS1_3repE0EEENS1_30default_config_static_selectorELNS0_4arch9wavefront6targetE0EEEvT1_
	.p2align	8
	.type	_ZN7rocprim17ROCPRIM_400000_NS6detail17trampoline_kernelINS0_14default_configENS1_27scan_by_key_config_selectorIiiEEZZNS1_16scan_by_key_implILNS1_25lookback_scan_determinismE0ELb0ES3_N6thrust23THRUST_200600_302600_NS6detail15normal_iteratorINS9_10device_ptrIiEEEESE_SE_iNS9_4plusIvEENS9_8equal_toIvEEiEE10hipError_tPvRmT2_T3_T4_T5_mT6_T7_P12ihipStream_tbENKUlT_T0_E_clISt17integral_constantIbLb0EESY_IbLb1EEEEDaSU_SV_EUlSU_E_NS1_11comp_targetILNS1_3genE10ELNS1_11target_archE1200ELNS1_3gpuE4ELNS1_3repE0EEENS1_30default_config_static_selectorELNS0_4arch9wavefront6targetE0EEEvT1_,@function
_ZN7rocprim17ROCPRIM_400000_NS6detail17trampoline_kernelINS0_14default_configENS1_27scan_by_key_config_selectorIiiEEZZNS1_16scan_by_key_implILNS1_25lookback_scan_determinismE0ELb0ES3_N6thrust23THRUST_200600_302600_NS6detail15normal_iteratorINS9_10device_ptrIiEEEESE_SE_iNS9_4plusIvEENS9_8equal_toIvEEiEE10hipError_tPvRmT2_T3_T4_T5_mT6_T7_P12ihipStream_tbENKUlT_T0_E_clISt17integral_constantIbLb0EESY_IbLb1EEEEDaSU_SV_EUlSU_E_NS1_11comp_targetILNS1_3genE10ELNS1_11target_archE1200ELNS1_3gpuE4ELNS1_3repE0EEENS1_30default_config_static_selectorELNS0_4arch9wavefront6targetE0EEEvT1_: ; @_ZN7rocprim17ROCPRIM_400000_NS6detail17trampoline_kernelINS0_14default_configENS1_27scan_by_key_config_selectorIiiEEZZNS1_16scan_by_key_implILNS1_25lookback_scan_determinismE0ELb0ES3_N6thrust23THRUST_200600_302600_NS6detail15normal_iteratorINS9_10device_ptrIiEEEESE_SE_iNS9_4plusIvEENS9_8equal_toIvEEiEE10hipError_tPvRmT2_T3_T4_T5_mT6_T7_P12ihipStream_tbENKUlT_T0_E_clISt17integral_constantIbLb0EESY_IbLb1EEEEDaSU_SV_EUlSU_E_NS1_11comp_targetILNS1_3genE10ELNS1_11target_archE1200ELNS1_3gpuE4ELNS1_3repE0EEENS1_30default_config_static_selectorELNS0_4arch9wavefront6targetE0EEEvT1_
; %bb.0:
	.section	.rodata,"a",@progbits
	.p2align	6, 0x0
	.amdhsa_kernel _ZN7rocprim17ROCPRIM_400000_NS6detail17trampoline_kernelINS0_14default_configENS1_27scan_by_key_config_selectorIiiEEZZNS1_16scan_by_key_implILNS1_25lookback_scan_determinismE0ELb0ES3_N6thrust23THRUST_200600_302600_NS6detail15normal_iteratorINS9_10device_ptrIiEEEESE_SE_iNS9_4plusIvEENS9_8equal_toIvEEiEE10hipError_tPvRmT2_T3_T4_T5_mT6_T7_P12ihipStream_tbENKUlT_T0_E_clISt17integral_constantIbLb0EESY_IbLb1EEEEDaSU_SV_EUlSU_E_NS1_11comp_targetILNS1_3genE10ELNS1_11target_archE1200ELNS1_3gpuE4ELNS1_3repE0EEENS1_30default_config_static_selectorELNS0_4arch9wavefront6targetE0EEEvT1_
		.amdhsa_group_segment_fixed_size 0
		.amdhsa_private_segment_fixed_size 0
		.amdhsa_kernarg_size 112
		.amdhsa_user_sgpr_count 2
		.amdhsa_user_sgpr_dispatch_ptr 0
		.amdhsa_user_sgpr_queue_ptr 0
		.amdhsa_user_sgpr_kernarg_segment_ptr 1
		.amdhsa_user_sgpr_dispatch_id 0
		.amdhsa_user_sgpr_kernarg_preload_length 0
		.amdhsa_user_sgpr_kernarg_preload_offset 0
		.amdhsa_user_sgpr_private_segment_size 0
		.amdhsa_wavefront_size32 1
		.amdhsa_uses_dynamic_stack 0
		.amdhsa_enable_private_segment 0
		.amdhsa_system_sgpr_workgroup_id_x 1
		.amdhsa_system_sgpr_workgroup_id_y 0
		.amdhsa_system_sgpr_workgroup_id_z 0
		.amdhsa_system_sgpr_workgroup_info 0
		.amdhsa_system_vgpr_workitem_id 0
		.amdhsa_next_free_vgpr 1
		.amdhsa_next_free_sgpr 1
		.amdhsa_named_barrier_count 0
		.amdhsa_reserve_vcc 0
		.amdhsa_float_round_mode_32 0
		.amdhsa_float_round_mode_16_64 0
		.amdhsa_float_denorm_mode_32 3
		.amdhsa_float_denorm_mode_16_64 3
		.amdhsa_fp16_overflow 0
		.amdhsa_memory_ordered 1
		.amdhsa_forward_progress 1
		.amdhsa_inst_pref_size 0
		.amdhsa_round_robin_scheduling 0
		.amdhsa_exception_fp_ieee_invalid_op 0
		.amdhsa_exception_fp_denorm_src 0
		.amdhsa_exception_fp_ieee_div_zero 0
		.amdhsa_exception_fp_ieee_overflow 0
		.amdhsa_exception_fp_ieee_underflow 0
		.amdhsa_exception_fp_ieee_inexact 0
		.amdhsa_exception_int_div_zero 0
	.end_amdhsa_kernel
	.section	.text._ZN7rocprim17ROCPRIM_400000_NS6detail17trampoline_kernelINS0_14default_configENS1_27scan_by_key_config_selectorIiiEEZZNS1_16scan_by_key_implILNS1_25lookback_scan_determinismE0ELb0ES3_N6thrust23THRUST_200600_302600_NS6detail15normal_iteratorINS9_10device_ptrIiEEEESE_SE_iNS9_4plusIvEENS9_8equal_toIvEEiEE10hipError_tPvRmT2_T3_T4_T5_mT6_T7_P12ihipStream_tbENKUlT_T0_E_clISt17integral_constantIbLb0EESY_IbLb1EEEEDaSU_SV_EUlSU_E_NS1_11comp_targetILNS1_3genE10ELNS1_11target_archE1200ELNS1_3gpuE4ELNS1_3repE0EEENS1_30default_config_static_selectorELNS0_4arch9wavefront6targetE0EEEvT1_,"axG",@progbits,_ZN7rocprim17ROCPRIM_400000_NS6detail17trampoline_kernelINS0_14default_configENS1_27scan_by_key_config_selectorIiiEEZZNS1_16scan_by_key_implILNS1_25lookback_scan_determinismE0ELb0ES3_N6thrust23THRUST_200600_302600_NS6detail15normal_iteratorINS9_10device_ptrIiEEEESE_SE_iNS9_4plusIvEENS9_8equal_toIvEEiEE10hipError_tPvRmT2_T3_T4_T5_mT6_T7_P12ihipStream_tbENKUlT_T0_E_clISt17integral_constantIbLb0EESY_IbLb1EEEEDaSU_SV_EUlSU_E_NS1_11comp_targetILNS1_3genE10ELNS1_11target_archE1200ELNS1_3gpuE4ELNS1_3repE0EEENS1_30default_config_static_selectorELNS0_4arch9wavefront6targetE0EEEvT1_,comdat
.Lfunc_end161:
	.size	_ZN7rocprim17ROCPRIM_400000_NS6detail17trampoline_kernelINS0_14default_configENS1_27scan_by_key_config_selectorIiiEEZZNS1_16scan_by_key_implILNS1_25lookback_scan_determinismE0ELb0ES3_N6thrust23THRUST_200600_302600_NS6detail15normal_iteratorINS9_10device_ptrIiEEEESE_SE_iNS9_4plusIvEENS9_8equal_toIvEEiEE10hipError_tPvRmT2_T3_T4_T5_mT6_T7_P12ihipStream_tbENKUlT_T0_E_clISt17integral_constantIbLb0EESY_IbLb1EEEEDaSU_SV_EUlSU_E_NS1_11comp_targetILNS1_3genE10ELNS1_11target_archE1200ELNS1_3gpuE4ELNS1_3repE0EEENS1_30default_config_static_selectorELNS0_4arch9wavefront6targetE0EEEvT1_, .Lfunc_end161-_ZN7rocprim17ROCPRIM_400000_NS6detail17trampoline_kernelINS0_14default_configENS1_27scan_by_key_config_selectorIiiEEZZNS1_16scan_by_key_implILNS1_25lookback_scan_determinismE0ELb0ES3_N6thrust23THRUST_200600_302600_NS6detail15normal_iteratorINS9_10device_ptrIiEEEESE_SE_iNS9_4plusIvEENS9_8equal_toIvEEiEE10hipError_tPvRmT2_T3_T4_T5_mT6_T7_P12ihipStream_tbENKUlT_T0_E_clISt17integral_constantIbLb0EESY_IbLb1EEEEDaSU_SV_EUlSU_E_NS1_11comp_targetILNS1_3genE10ELNS1_11target_archE1200ELNS1_3gpuE4ELNS1_3repE0EEENS1_30default_config_static_selectorELNS0_4arch9wavefront6targetE0EEEvT1_
                                        ; -- End function
	.set _ZN7rocprim17ROCPRIM_400000_NS6detail17trampoline_kernelINS0_14default_configENS1_27scan_by_key_config_selectorIiiEEZZNS1_16scan_by_key_implILNS1_25lookback_scan_determinismE0ELb0ES3_N6thrust23THRUST_200600_302600_NS6detail15normal_iteratorINS9_10device_ptrIiEEEESE_SE_iNS9_4plusIvEENS9_8equal_toIvEEiEE10hipError_tPvRmT2_T3_T4_T5_mT6_T7_P12ihipStream_tbENKUlT_T0_E_clISt17integral_constantIbLb0EESY_IbLb1EEEEDaSU_SV_EUlSU_E_NS1_11comp_targetILNS1_3genE10ELNS1_11target_archE1200ELNS1_3gpuE4ELNS1_3repE0EEENS1_30default_config_static_selectorELNS0_4arch9wavefront6targetE0EEEvT1_.num_vgpr, 0
	.set _ZN7rocprim17ROCPRIM_400000_NS6detail17trampoline_kernelINS0_14default_configENS1_27scan_by_key_config_selectorIiiEEZZNS1_16scan_by_key_implILNS1_25lookback_scan_determinismE0ELb0ES3_N6thrust23THRUST_200600_302600_NS6detail15normal_iteratorINS9_10device_ptrIiEEEESE_SE_iNS9_4plusIvEENS9_8equal_toIvEEiEE10hipError_tPvRmT2_T3_T4_T5_mT6_T7_P12ihipStream_tbENKUlT_T0_E_clISt17integral_constantIbLb0EESY_IbLb1EEEEDaSU_SV_EUlSU_E_NS1_11comp_targetILNS1_3genE10ELNS1_11target_archE1200ELNS1_3gpuE4ELNS1_3repE0EEENS1_30default_config_static_selectorELNS0_4arch9wavefront6targetE0EEEvT1_.num_agpr, 0
	.set _ZN7rocprim17ROCPRIM_400000_NS6detail17trampoline_kernelINS0_14default_configENS1_27scan_by_key_config_selectorIiiEEZZNS1_16scan_by_key_implILNS1_25lookback_scan_determinismE0ELb0ES3_N6thrust23THRUST_200600_302600_NS6detail15normal_iteratorINS9_10device_ptrIiEEEESE_SE_iNS9_4plusIvEENS9_8equal_toIvEEiEE10hipError_tPvRmT2_T3_T4_T5_mT6_T7_P12ihipStream_tbENKUlT_T0_E_clISt17integral_constantIbLb0EESY_IbLb1EEEEDaSU_SV_EUlSU_E_NS1_11comp_targetILNS1_3genE10ELNS1_11target_archE1200ELNS1_3gpuE4ELNS1_3repE0EEENS1_30default_config_static_selectorELNS0_4arch9wavefront6targetE0EEEvT1_.numbered_sgpr, 0
	.set _ZN7rocprim17ROCPRIM_400000_NS6detail17trampoline_kernelINS0_14default_configENS1_27scan_by_key_config_selectorIiiEEZZNS1_16scan_by_key_implILNS1_25lookback_scan_determinismE0ELb0ES3_N6thrust23THRUST_200600_302600_NS6detail15normal_iteratorINS9_10device_ptrIiEEEESE_SE_iNS9_4plusIvEENS9_8equal_toIvEEiEE10hipError_tPvRmT2_T3_T4_T5_mT6_T7_P12ihipStream_tbENKUlT_T0_E_clISt17integral_constantIbLb0EESY_IbLb1EEEEDaSU_SV_EUlSU_E_NS1_11comp_targetILNS1_3genE10ELNS1_11target_archE1200ELNS1_3gpuE4ELNS1_3repE0EEENS1_30default_config_static_selectorELNS0_4arch9wavefront6targetE0EEEvT1_.num_named_barrier, 0
	.set _ZN7rocprim17ROCPRIM_400000_NS6detail17trampoline_kernelINS0_14default_configENS1_27scan_by_key_config_selectorIiiEEZZNS1_16scan_by_key_implILNS1_25lookback_scan_determinismE0ELb0ES3_N6thrust23THRUST_200600_302600_NS6detail15normal_iteratorINS9_10device_ptrIiEEEESE_SE_iNS9_4plusIvEENS9_8equal_toIvEEiEE10hipError_tPvRmT2_T3_T4_T5_mT6_T7_P12ihipStream_tbENKUlT_T0_E_clISt17integral_constantIbLb0EESY_IbLb1EEEEDaSU_SV_EUlSU_E_NS1_11comp_targetILNS1_3genE10ELNS1_11target_archE1200ELNS1_3gpuE4ELNS1_3repE0EEENS1_30default_config_static_selectorELNS0_4arch9wavefront6targetE0EEEvT1_.private_seg_size, 0
	.set _ZN7rocprim17ROCPRIM_400000_NS6detail17trampoline_kernelINS0_14default_configENS1_27scan_by_key_config_selectorIiiEEZZNS1_16scan_by_key_implILNS1_25lookback_scan_determinismE0ELb0ES3_N6thrust23THRUST_200600_302600_NS6detail15normal_iteratorINS9_10device_ptrIiEEEESE_SE_iNS9_4plusIvEENS9_8equal_toIvEEiEE10hipError_tPvRmT2_T3_T4_T5_mT6_T7_P12ihipStream_tbENKUlT_T0_E_clISt17integral_constantIbLb0EESY_IbLb1EEEEDaSU_SV_EUlSU_E_NS1_11comp_targetILNS1_3genE10ELNS1_11target_archE1200ELNS1_3gpuE4ELNS1_3repE0EEENS1_30default_config_static_selectorELNS0_4arch9wavefront6targetE0EEEvT1_.uses_vcc, 0
	.set _ZN7rocprim17ROCPRIM_400000_NS6detail17trampoline_kernelINS0_14default_configENS1_27scan_by_key_config_selectorIiiEEZZNS1_16scan_by_key_implILNS1_25lookback_scan_determinismE0ELb0ES3_N6thrust23THRUST_200600_302600_NS6detail15normal_iteratorINS9_10device_ptrIiEEEESE_SE_iNS9_4plusIvEENS9_8equal_toIvEEiEE10hipError_tPvRmT2_T3_T4_T5_mT6_T7_P12ihipStream_tbENKUlT_T0_E_clISt17integral_constantIbLb0EESY_IbLb1EEEEDaSU_SV_EUlSU_E_NS1_11comp_targetILNS1_3genE10ELNS1_11target_archE1200ELNS1_3gpuE4ELNS1_3repE0EEENS1_30default_config_static_selectorELNS0_4arch9wavefront6targetE0EEEvT1_.uses_flat_scratch, 0
	.set _ZN7rocprim17ROCPRIM_400000_NS6detail17trampoline_kernelINS0_14default_configENS1_27scan_by_key_config_selectorIiiEEZZNS1_16scan_by_key_implILNS1_25lookback_scan_determinismE0ELb0ES3_N6thrust23THRUST_200600_302600_NS6detail15normal_iteratorINS9_10device_ptrIiEEEESE_SE_iNS9_4plusIvEENS9_8equal_toIvEEiEE10hipError_tPvRmT2_T3_T4_T5_mT6_T7_P12ihipStream_tbENKUlT_T0_E_clISt17integral_constantIbLb0EESY_IbLb1EEEEDaSU_SV_EUlSU_E_NS1_11comp_targetILNS1_3genE10ELNS1_11target_archE1200ELNS1_3gpuE4ELNS1_3repE0EEENS1_30default_config_static_selectorELNS0_4arch9wavefront6targetE0EEEvT1_.has_dyn_sized_stack, 0
	.set _ZN7rocprim17ROCPRIM_400000_NS6detail17trampoline_kernelINS0_14default_configENS1_27scan_by_key_config_selectorIiiEEZZNS1_16scan_by_key_implILNS1_25lookback_scan_determinismE0ELb0ES3_N6thrust23THRUST_200600_302600_NS6detail15normal_iteratorINS9_10device_ptrIiEEEESE_SE_iNS9_4plusIvEENS9_8equal_toIvEEiEE10hipError_tPvRmT2_T3_T4_T5_mT6_T7_P12ihipStream_tbENKUlT_T0_E_clISt17integral_constantIbLb0EESY_IbLb1EEEEDaSU_SV_EUlSU_E_NS1_11comp_targetILNS1_3genE10ELNS1_11target_archE1200ELNS1_3gpuE4ELNS1_3repE0EEENS1_30default_config_static_selectorELNS0_4arch9wavefront6targetE0EEEvT1_.has_recursion, 0
	.set _ZN7rocprim17ROCPRIM_400000_NS6detail17trampoline_kernelINS0_14default_configENS1_27scan_by_key_config_selectorIiiEEZZNS1_16scan_by_key_implILNS1_25lookback_scan_determinismE0ELb0ES3_N6thrust23THRUST_200600_302600_NS6detail15normal_iteratorINS9_10device_ptrIiEEEESE_SE_iNS9_4plusIvEENS9_8equal_toIvEEiEE10hipError_tPvRmT2_T3_T4_T5_mT6_T7_P12ihipStream_tbENKUlT_T0_E_clISt17integral_constantIbLb0EESY_IbLb1EEEEDaSU_SV_EUlSU_E_NS1_11comp_targetILNS1_3genE10ELNS1_11target_archE1200ELNS1_3gpuE4ELNS1_3repE0EEENS1_30default_config_static_selectorELNS0_4arch9wavefront6targetE0EEEvT1_.has_indirect_call, 0
	.section	.AMDGPU.csdata,"",@progbits
; Kernel info:
; codeLenInByte = 0
; TotalNumSgprs: 0
; NumVgprs: 0
; ScratchSize: 0
; MemoryBound: 0
; FloatMode: 240
; IeeeMode: 1
; LDSByteSize: 0 bytes/workgroup (compile time only)
; SGPRBlocks: 0
; VGPRBlocks: 0
; NumSGPRsForWavesPerEU: 1
; NumVGPRsForWavesPerEU: 1
; NamedBarCnt: 0
; Occupancy: 16
; WaveLimiterHint : 0
; COMPUTE_PGM_RSRC2:SCRATCH_EN: 0
; COMPUTE_PGM_RSRC2:USER_SGPR: 2
; COMPUTE_PGM_RSRC2:TRAP_HANDLER: 0
; COMPUTE_PGM_RSRC2:TGID_X_EN: 1
; COMPUTE_PGM_RSRC2:TGID_Y_EN: 0
; COMPUTE_PGM_RSRC2:TGID_Z_EN: 0
; COMPUTE_PGM_RSRC2:TIDIG_COMP_CNT: 0
	.section	.text._ZN7rocprim17ROCPRIM_400000_NS6detail17trampoline_kernelINS0_14default_configENS1_27scan_by_key_config_selectorIiiEEZZNS1_16scan_by_key_implILNS1_25lookback_scan_determinismE0ELb0ES3_N6thrust23THRUST_200600_302600_NS6detail15normal_iteratorINS9_10device_ptrIiEEEESE_SE_iNS9_4plusIvEENS9_8equal_toIvEEiEE10hipError_tPvRmT2_T3_T4_T5_mT6_T7_P12ihipStream_tbENKUlT_T0_E_clISt17integral_constantIbLb0EESY_IbLb1EEEEDaSU_SV_EUlSU_E_NS1_11comp_targetILNS1_3genE9ELNS1_11target_archE1100ELNS1_3gpuE3ELNS1_3repE0EEENS1_30default_config_static_selectorELNS0_4arch9wavefront6targetE0EEEvT1_,"axG",@progbits,_ZN7rocprim17ROCPRIM_400000_NS6detail17trampoline_kernelINS0_14default_configENS1_27scan_by_key_config_selectorIiiEEZZNS1_16scan_by_key_implILNS1_25lookback_scan_determinismE0ELb0ES3_N6thrust23THRUST_200600_302600_NS6detail15normal_iteratorINS9_10device_ptrIiEEEESE_SE_iNS9_4plusIvEENS9_8equal_toIvEEiEE10hipError_tPvRmT2_T3_T4_T5_mT6_T7_P12ihipStream_tbENKUlT_T0_E_clISt17integral_constantIbLb0EESY_IbLb1EEEEDaSU_SV_EUlSU_E_NS1_11comp_targetILNS1_3genE9ELNS1_11target_archE1100ELNS1_3gpuE3ELNS1_3repE0EEENS1_30default_config_static_selectorELNS0_4arch9wavefront6targetE0EEEvT1_,comdat
	.protected	_ZN7rocprim17ROCPRIM_400000_NS6detail17trampoline_kernelINS0_14default_configENS1_27scan_by_key_config_selectorIiiEEZZNS1_16scan_by_key_implILNS1_25lookback_scan_determinismE0ELb0ES3_N6thrust23THRUST_200600_302600_NS6detail15normal_iteratorINS9_10device_ptrIiEEEESE_SE_iNS9_4plusIvEENS9_8equal_toIvEEiEE10hipError_tPvRmT2_T3_T4_T5_mT6_T7_P12ihipStream_tbENKUlT_T0_E_clISt17integral_constantIbLb0EESY_IbLb1EEEEDaSU_SV_EUlSU_E_NS1_11comp_targetILNS1_3genE9ELNS1_11target_archE1100ELNS1_3gpuE3ELNS1_3repE0EEENS1_30default_config_static_selectorELNS0_4arch9wavefront6targetE0EEEvT1_ ; -- Begin function _ZN7rocprim17ROCPRIM_400000_NS6detail17trampoline_kernelINS0_14default_configENS1_27scan_by_key_config_selectorIiiEEZZNS1_16scan_by_key_implILNS1_25lookback_scan_determinismE0ELb0ES3_N6thrust23THRUST_200600_302600_NS6detail15normal_iteratorINS9_10device_ptrIiEEEESE_SE_iNS9_4plusIvEENS9_8equal_toIvEEiEE10hipError_tPvRmT2_T3_T4_T5_mT6_T7_P12ihipStream_tbENKUlT_T0_E_clISt17integral_constantIbLb0EESY_IbLb1EEEEDaSU_SV_EUlSU_E_NS1_11comp_targetILNS1_3genE9ELNS1_11target_archE1100ELNS1_3gpuE3ELNS1_3repE0EEENS1_30default_config_static_selectorELNS0_4arch9wavefront6targetE0EEEvT1_
	.globl	_ZN7rocprim17ROCPRIM_400000_NS6detail17trampoline_kernelINS0_14default_configENS1_27scan_by_key_config_selectorIiiEEZZNS1_16scan_by_key_implILNS1_25lookback_scan_determinismE0ELb0ES3_N6thrust23THRUST_200600_302600_NS6detail15normal_iteratorINS9_10device_ptrIiEEEESE_SE_iNS9_4plusIvEENS9_8equal_toIvEEiEE10hipError_tPvRmT2_T3_T4_T5_mT6_T7_P12ihipStream_tbENKUlT_T0_E_clISt17integral_constantIbLb0EESY_IbLb1EEEEDaSU_SV_EUlSU_E_NS1_11comp_targetILNS1_3genE9ELNS1_11target_archE1100ELNS1_3gpuE3ELNS1_3repE0EEENS1_30default_config_static_selectorELNS0_4arch9wavefront6targetE0EEEvT1_
	.p2align	8
	.type	_ZN7rocprim17ROCPRIM_400000_NS6detail17trampoline_kernelINS0_14default_configENS1_27scan_by_key_config_selectorIiiEEZZNS1_16scan_by_key_implILNS1_25lookback_scan_determinismE0ELb0ES3_N6thrust23THRUST_200600_302600_NS6detail15normal_iteratorINS9_10device_ptrIiEEEESE_SE_iNS9_4plusIvEENS9_8equal_toIvEEiEE10hipError_tPvRmT2_T3_T4_T5_mT6_T7_P12ihipStream_tbENKUlT_T0_E_clISt17integral_constantIbLb0EESY_IbLb1EEEEDaSU_SV_EUlSU_E_NS1_11comp_targetILNS1_3genE9ELNS1_11target_archE1100ELNS1_3gpuE3ELNS1_3repE0EEENS1_30default_config_static_selectorELNS0_4arch9wavefront6targetE0EEEvT1_,@function
_ZN7rocprim17ROCPRIM_400000_NS6detail17trampoline_kernelINS0_14default_configENS1_27scan_by_key_config_selectorIiiEEZZNS1_16scan_by_key_implILNS1_25lookback_scan_determinismE0ELb0ES3_N6thrust23THRUST_200600_302600_NS6detail15normal_iteratorINS9_10device_ptrIiEEEESE_SE_iNS9_4plusIvEENS9_8equal_toIvEEiEE10hipError_tPvRmT2_T3_T4_T5_mT6_T7_P12ihipStream_tbENKUlT_T0_E_clISt17integral_constantIbLb0EESY_IbLb1EEEEDaSU_SV_EUlSU_E_NS1_11comp_targetILNS1_3genE9ELNS1_11target_archE1100ELNS1_3gpuE3ELNS1_3repE0EEENS1_30default_config_static_selectorELNS0_4arch9wavefront6targetE0EEEvT1_: ; @_ZN7rocprim17ROCPRIM_400000_NS6detail17trampoline_kernelINS0_14default_configENS1_27scan_by_key_config_selectorIiiEEZZNS1_16scan_by_key_implILNS1_25lookback_scan_determinismE0ELb0ES3_N6thrust23THRUST_200600_302600_NS6detail15normal_iteratorINS9_10device_ptrIiEEEESE_SE_iNS9_4plusIvEENS9_8equal_toIvEEiEE10hipError_tPvRmT2_T3_T4_T5_mT6_T7_P12ihipStream_tbENKUlT_T0_E_clISt17integral_constantIbLb0EESY_IbLb1EEEEDaSU_SV_EUlSU_E_NS1_11comp_targetILNS1_3genE9ELNS1_11target_archE1100ELNS1_3gpuE3ELNS1_3repE0EEENS1_30default_config_static_selectorELNS0_4arch9wavefront6targetE0EEEvT1_
; %bb.0:
	.section	.rodata,"a",@progbits
	.p2align	6, 0x0
	.amdhsa_kernel _ZN7rocprim17ROCPRIM_400000_NS6detail17trampoline_kernelINS0_14default_configENS1_27scan_by_key_config_selectorIiiEEZZNS1_16scan_by_key_implILNS1_25lookback_scan_determinismE0ELb0ES3_N6thrust23THRUST_200600_302600_NS6detail15normal_iteratorINS9_10device_ptrIiEEEESE_SE_iNS9_4plusIvEENS9_8equal_toIvEEiEE10hipError_tPvRmT2_T3_T4_T5_mT6_T7_P12ihipStream_tbENKUlT_T0_E_clISt17integral_constantIbLb0EESY_IbLb1EEEEDaSU_SV_EUlSU_E_NS1_11comp_targetILNS1_3genE9ELNS1_11target_archE1100ELNS1_3gpuE3ELNS1_3repE0EEENS1_30default_config_static_selectorELNS0_4arch9wavefront6targetE0EEEvT1_
		.amdhsa_group_segment_fixed_size 0
		.amdhsa_private_segment_fixed_size 0
		.amdhsa_kernarg_size 112
		.amdhsa_user_sgpr_count 2
		.amdhsa_user_sgpr_dispatch_ptr 0
		.amdhsa_user_sgpr_queue_ptr 0
		.amdhsa_user_sgpr_kernarg_segment_ptr 1
		.amdhsa_user_sgpr_dispatch_id 0
		.amdhsa_user_sgpr_kernarg_preload_length 0
		.amdhsa_user_sgpr_kernarg_preload_offset 0
		.amdhsa_user_sgpr_private_segment_size 0
		.amdhsa_wavefront_size32 1
		.amdhsa_uses_dynamic_stack 0
		.amdhsa_enable_private_segment 0
		.amdhsa_system_sgpr_workgroup_id_x 1
		.amdhsa_system_sgpr_workgroup_id_y 0
		.amdhsa_system_sgpr_workgroup_id_z 0
		.amdhsa_system_sgpr_workgroup_info 0
		.amdhsa_system_vgpr_workitem_id 0
		.amdhsa_next_free_vgpr 1
		.amdhsa_next_free_sgpr 1
		.amdhsa_named_barrier_count 0
		.amdhsa_reserve_vcc 0
		.amdhsa_float_round_mode_32 0
		.amdhsa_float_round_mode_16_64 0
		.amdhsa_float_denorm_mode_32 3
		.amdhsa_float_denorm_mode_16_64 3
		.amdhsa_fp16_overflow 0
		.amdhsa_memory_ordered 1
		.amdhsa_forward_progress 1
		.amdhsa_inst_pref_size 0
		.amdhsa_round_robin_scheduling 0
		.amdhsa_exception_fp_ieee_invalid_op 0
		.amdhsa_exception_fp_denorm_src 0
		.amdhsa_exception_fp_ieee_div_zero 0
		.amdhsa_exception_fp_ieee_overflow 0
		.amdhsa_exception_fp_ieee_underflow 0
		.amdhsa_exception_fp_ieee_inexact 0
		.amdhsa_exception_int_div_zero 0
	.end_amdhsa_kernel
	.section	.text._ZN7rocprim17ROCPRIM_400000_NS6detail17trampoline_kernelINS0_14default_configENS1_27scan_by_key_config_selectorIiiEEZZNS1_16scan_by_key_implILNS1_25lookback_scan_determinismE0ELb0ES3_N6thrust23THRUST_200600_302600_NS6detail15normal_iteratorINS9_10device_ptrIiEEEESE_SE_iNS9_4plusIvEENS9_8equal_toIvEEiEE10hipError_tPvRmT2_T3_T4_T5_mT6_T7_P12ihipStream_tbENKUlT_T0_E_clISt17integral_constantIbLb0EESY_IbLb1EEEEDaSU_SV_EUlSU_E_NS1_11comp_targetILNS1_3genE9ELNS1_11target_archE1100ELNS1_3gpuE3ELNS1_3repE0EEENS1_30default_config_static_selectorELNS0_4arch9wavefront6targetE0EEEvT1_,"axG",@progbits,_ZN7rocprim17ROCPRIM_400000_NS6detail17trampoline_kernelINS0_14default_configENS1_27scan_by_key_config_selectorIiiEEZZNS1_16scan_by_key_implILNS1_25lookback_scan_determinismE0ELb0ES3_N6thrust23THRUST_200600_302600_NS6detail15normal_iteratorINS9_10device_ptrIiEEEESE_SE_iNS9_4plusIvEENS9_8equal_toIvEEiEE10hipError_tPvRmT2_T3_T4_T5_mT6_T7_P12ihipStream_tbENKUlT_T0_E_clISt17integral_constantIbLb0EESY_IbLb1EEEEDaSU_SV_EUlSU_E_NS1_11comp_targetILNS1_3genE9ELNS1_11target_archE1100ELNS1_3gpuE3ELNS1_3repE0EEENS1_30default_config_static_selectorELNS0_4arch9wavefront6targetE0EEEvT1_,comdat
.Lfunc_end162:
	.size	_ZN7rocprim17ROCPRIM_400000_NS6detail17trampoline_kernelINS0_14default_configENS1_27scan_by_key_config_selectorIiiEEZZNS1_16scan_by_key_implILNS1_25lookback_scan_determinismE0ELb0ES3_N6thrust23THRUST_200600_302600_NS6detail15normal_iteratorINS9_10device_ptrIiEEEESE_SE_iNS9_4plusIvEENS9_8equal_toIvEEiEE10hipError_tPvRmT2_T3_T4_T5_mT6_T7_P12ihipStream_tbENKUlT_T0_E_clISt17integral_constantIbLb0EESY_IbLb1EEEEDaSU_SV_EUlSU_E_NS1_11comp_targetILNS1_3genE9ELNS1_11target_archE1100ELNS1_3gpuE3ELNS1_3repE0EEENS1_30default_config_static_selectorELNS0_4arch9wavefront6targetE0EEEvT1_, .Lfunc_end162-_ZN7rocprim17ROCPRIM_400000_NS6detail17trampoline_kernelINS0_14default_configENS1_27scan_by_key_config_selectorIiiEEZZNS1_16scan_by_key_implILNS1_25lookback_scan_determinismE0ELb0ES3_N6thrust23THRUST_200600_302600_NS6detail15normal_iteratorINS9_10device_ptrIiEEEESE_SE_iNS9_4plusIvEENS9_8equal_toIvEEiEE10hipError_tPvRmT2_T3_T4_T5_mT6_T7_P12ihipStream_tbENKUlT_T0_E_clISt17integral_constantIbLb0EESY_IbLb1EEEEDaSU_SV_EUlSU_E_NS1_11comp_targetILNS1_3genE9ELNS1_11target_archE1100ELNS1_3gpuE3ELNS1_3repE0EEENS1_30default_config_static_selectorELNS0_4arch9wavefront6targetE0EEEvT1_
                                        ; -- End function
	.set _ZN7rocprim17ROCPRIM_400000_NS6detail17trampoline_kernelINS0_14default_configENS1_27scan_by_key_config_selectorIiiEEZZNS1_16scan_by_key_implILNS1_25lookback_scan_determinismE0ELb0ES3_N6thrust23THRUST_200600_302600_NS6detail15normal_iteratorINS9_10device_ptrIiEEEESE_SE_iNS9_4plusIvEENS9_8equal_toIvEEiEE10hipError_tPvRmT2_T3_T4_T5_mT6_T7_P12ihipStream_tbENKUlT_T0_E_clISt17integral_constantIbLb0EESY_IbLb1EEEEDaSU_SV_EUlSU_E_NS1_11comp_targetILNS1_3genE9ELNS1_11target_archE1100ELNS1_3gpuE3ELNS1_3repE0EEENS1_30default_config_static_selectorELNS0_4arch9wavefront6targetE0EEEvT1_.num_vgpr, 0
	.set _ZN7rocprim17ROCPRIM_400000_NS6detail17trampoline_kernelINS0_14default_configENS1_27scan_by_key_config_selectorIiiEEZZNS1_16scan_by_key_implILNS1_25lookback_scan_determinismE0ELb0ES3_N6thrust23THRUST_200600_302600_NS6detail15normal_iteratorINS9_10device_ptrIiEEEESE_SE_iNS9_4plusIvEENS9_8equal_toIvEEiEE10hipError_tPvRmT2_T3_T4_T5_mT6_T7_P12ihipStream_tbENKUlT_T0_E_clISt17integral_constantIbLb0EESY_IbLb1EEEEDaSU_SV_EUlSU_E_NS1_11comp_targetILNS1_3genE9ELNS1_11target_archE1100ELNS1_3gpuE3ELNS1_3repE0EEENS1_30default_config_static_selectorELNS0_4arch9wavefront6targetE0EEEvT1_.num_agpr, 0
	.set _ZN7rocprim17ROCPRIM_400000_NS6detail17trampoline_kernelINS0_14default_configENS1_27scan_by_key_config_selectorIiiEEZZNS1_16scan_by_key_implILNS1_25lookback_scan_determinismE0ELb0ES3_N6thrust23THRUST_200600_302600_NS6detail15normal_iteratorINS9_10device_ptrIiEEEESE_SE_iNS9_4plusIvEENS9_8equal_toIvEEiEE10hipError_tPvRmT2_T3_T4_T5_mT6_T7_P12ihipStream_tbENKUlT_T0_E_clISt17integral_constantIbLb0EESY_IbLb1EEEEDaSU_SV_EUlSU_E_NS1_11comp_targetILNS1_3genE9ELNS1_11target_archE1100ELNS1_3gpuE3ELNS1_3repE0EEENS1_30default_config_static_selectorELNS0_4arch9wavefront6targetE0EEEvT1_.numbered_sgpr, 0
	.set _ZN7rocprim17ROCPRIM_400000_NS6detail17trampoline_kernelINS0_14default_configENS1_27scan_by_key_config_selectorIiiEEZZNS1_16scan_by_key_implILNS1_25lookback_scan_determinismE0ELb0ES3_N6thrust23THRUST_200600_302600_NS6detail15normal_iteratorINS9_10device_ptrIiEEEESE_SE_iNS9_4plusIvEENS9_8equal_toIvEEiEE10hipError_tPvRmT2_T3_T4_T5_mT6_T7_P12ihipStream_tbENKUlT_T0_E_clISt17integral_constantIbLb0EESY_IbLb1EEEEDaSU_SV_EUlSU_E_NS1_11comp_targetILNS1_3genE9ELNS1_11target_archE1100ELNS1_3gpuE3ELNS1_3repE0EEENS1_30default_config_static_selectorELNS0_4arch9wavefront6targetE0EEEvT1_.num_named_barrier, 0
	.set _ZN7rocprim17ROCPRIM_400000_NS6detail17trampoline_kernelINS0_14default_configENS1_27scan_by_key_config_selectorIiiEEZZNS1_16scan_by_key_implILNS1_25lookback_scan_determinismE0ELb0ES3_N6thrust23THRUST_200600_302600_NS6detail15normal_iteratorINS9_10device_ptrIiEEEESE_SE_iNS9_4plusIvEENS9_8equal_toIvEEiEE10hipError_tPvRmT2_T3_T4_T5_mT6_T7_P12ihipStream_tbENKUlT_T0_E_clISt17integral_constantIbLb0EESY_IbLb1EEEEDaSU_SV_EUlSU_E_NS1_11comp_targetILNS1_3genE9ELNS1_11target_archE1100ELNS1_3gpuE3ELNS1_3repE0EEENS1_30default_config_static_selectorELNS0_4arch9wavefront6targetE0EEEvT1_.private_seg_size, 0
	.set _ZN7rocprim17ROCPRIM_400000_NS6detail17trampoline_kernelINS0_14default_configENS1_27scan_by_key_config_selectorIiiEEZZNS1_16scan_by_key_implILNS1_25lookback_scan_determinismE0ELb0ES3_N6thrust23THRUST_200600_302600_NS6detail15normal_iteratorINS9_10device_ptrIiEEEESE_SE_iNS9_4plusIvEENS9_8equal_toIvEEiEE10hipError_tPvRmT2_T3_T4_T5_mT6_T7_P12ihipStream_tbENKUlT_T0_E_clISt17integral_constantIbLb0EESY_IbLb1EEEEDaSU_SV_EUlSU_E_NS1_11comp_targetILNS1_3genE9ELNS1_11target_archE1100ELNS1_3gpuE3ELNS1_3repE0EEENS1_30default_config_static_selectorELNS0_4arch9wavefront6targetE0EEEvT1_.uses_vcc, 0
	.set _ZN7rocprim17ROCPRIM_400000_NS6detail17trampoline_kernelINS0_14default_configENS1_27scan_by_key_config_selectorIiiEEZZNS1_16scan_by_key_implILNS1_25lookback_scan_determinismE0ELb0ES3_N6thrust23THRUST_200600_302600_NS6detail15normal_iteratorINS9_10device_ptrIiEEEESE_SE_iNS9_4plusIvEENS9_8equal_toIvEEiEE10hipError_tPvRmT2_T3_T4_T5_mT6_T7_P12ihipStream_tbENKUlT_T0_E_clISt17integral_constantIbLb0EESY_IbLb1EEEEDaSU_SV_EUlSU_E_NS1_11comp_targetILNS1_3genE9ELNS1_11target_archE1100ELNS1_3gpuE3ELNS1_3repE0EEENS1_30default_config_static_selectorELNS0_4arch9wavefront6targetE0EEEvT1_.uses_flat_scratch, 0
	.set _ZN7rocprim17ROCPRIM_400000_NS6detail17trampoline_kernelINS0_14default_configENS1_27scan_by_key_config_selectorIiiEEZZNS1_16scan_by_key_implILNS1_25lookback_scan_determinismE0ELb0ES3_N6thrust23THRUST_200600_302600_NS6detail15normal_iteratorINS9_10device_ptrIiEEEESE_SE_iNS9_4plusIvEENS9_8equal_toIvEEiEE10hipError_tPvRmT2_T3_T4_T5_mT6_T7_P12ihipStream_tbENKUlT_T0_E_clISt17integral_constantIbLb0EESY_IbLb1EEEEDaSU_SV_EUlSU_E_NS1_11comp_targetILNS1_3genE9ELNS1_11target_archE1100ELNS1_3gpuE3ELNS1_3repE0EEENS1_30default_config_static_selectorELNS0_4arch9wavefront6targetE0EEEvT1_.has_dyn_sized_stack, 0
	.set _ZN7rocprim17ROCPRIM_400000_NS6detail17trampoline_kernelINS0_14default_configENS1_27scan_by_key_config_selectorIiiEEZZNS1_16scan_by_key_implILNS1_25lookback_scan_determinismE0ELb0ES3_N6thrust23THRUST_200600_302600_NS6detail15normal_iteratorINS9_10device_ptrIiEEEESE_SE_iNS9_4plusIvEENS9_8equal_toIvEEiEE10hipError_tPvRmT2_T3_T4_T5_mT6_T7_P12ihipStream_tbENKUlT_T0_E_clISt17integral_constantIbLb0EESY_IbLb1EEEEDaSU_SV_EUlSU_E_NS1_11comp_targetILNS1_3genE9ELNS1_11target_archE1100ELNS1_3gpuE3ELNS1_3repE0EEENS1_30default_config_static_selectorELNS0_4arch9wavefront6targetE0EEEvT1_.has_recursion, 0
	.set _ZN7rocprim17ROCPRIM_400000_NS6detail17trampoline_kernelINS0_14default_configENS1_27scan_by_key_config_selectorIiiEEZZNS1_16scan_by_key_implILNS1_25lookback_scan_determinismE0ELb0ES3_N6thrust23THRUST_200600_302600_NS6detail15normal_iteratorINS9_10device_ptrIiEEEESE_SE_iNS9_4plusIvEENS9_8equal_toIvEEiEE10hipError_tPvRmT2_T3_T4_T5_mT6_T7_P12ihipStream_tbENKUlT_T0_E_clISt17integral_constantIbLb0EESY_IbLb1EEEEDaSU_SV_EUlSU_E_NS1_11comp_targetILNS1_3genE9ELNS1_11target_archE1100ELNS1_3gpuE3ELNS1_3repE0EEENS1_30default_config_static_selectorELNS0_4arch9wavefront6targetE0EEEvT1_.has_indirect_call, 0
	.section	.AMDGPU.csdata,"",@progbits
; Kernel info:
; codeLenInByte = 0
; TotalNumSgprs: 0
; NumVgprs: 0
; ScratchSize: 0
; MemoryBound: 0
; FloatMode: 240
; IeeeMode: 1
; LDSByteSize: 0 bytes/workgroup (compile time only)
; SGPRBlocks: 0
; VGPRBlocks: 0
; NumSGPRsForWavesPerEU: 1
; NumVGPRsForWavesPerEU: 1
; NamedBarCnt: 0
; Occupancy: 16
; WaveLimiterHint : 0
; COMPUTE_PGM_RSRC2:SCRATCH_EN: 0
; COMPUTE_PGM_RSRC2:USER_SGPR: 2
; COMPUTE_PGM_RSRC2:TRAP_HANDLER: 0
; COMPUTE_PGM_RSRC2:TGID_X_EN: 1
; COMPUTE_PGM_RSRC2:TGID_Y_EN: 0
; COMPUTE_PGM_RSRC2:TGID_Z_EN: 0
; COMPUTE_PGM_RSRC2:TIDIG_COMP_CNT: 0
	.section	.text._ZN7rocprim17ROCPRIM_400000_NS6detail17trampoline_kernelINS0_14default_configENS1_27scan_by_key_config_selectorIiiEEZZNS1_16scan_by_key_implILNS1_25lookback_scan_determinismE0ELb0ES3_N6thrust23THRUST_200600_302600_NS6detail15normal_iteratorINS9_10device_ptrIiEEEESE_SE_iNS9_4plusIvEENS9_8equal_toIvEEiEE10hipError_tPvRmT2_T3_T4_T5_mT6_T7_P12ihipStream_tbENKUlT_T0_E_clISt17integral_constantIbLb0EESY_IbLb1EEEEDaSU_SV_EUlSU_E_NS1_11comp_targetILNS1_3genE8ELNS1_11target_archE1030ELNS1_3gpuE2ELNS1_3repE0EEENS1_30default_config_static_selectorELNS0_4arch9wavefront6targetE0EEEvT1_,"axG",@progbits,_ZN7rocprim17ROCPRIM_400000_NS6detail17trampoline_kernelINS0_14default_configENS1_27scan_by_key_config_selectorIiiEEZZNS1_16scan_by_key_implILNS1_25lookback_scan_determinismE0ELb0ES3_N6thrust23THRUST_200600_302600_NS6detail15normal_iteratorINS9_10device_ptrIiEEEESE_SE_iNS9_4plusIvEENS9_8equal_toIvEEiEE10hipError_tPvRmT2_T3_T4_T5_mT6_T7_P12ihipStream_tbENKUlT_T0_E_clISt17integral_constantIbLb0EESY_IbLb1EEEEDaSU_SV_EUlSU_E_NS1_11comp_targetILNS1_3genE8ELNS1_11target_archE1030ELNS1_3gpuE2ELNS1_3repE0EEENS1_30default_config_static_selectorELNS0_4arch9wavefront6targetE0EEEvT1_,comdat
	.protected	_ZN7rocprim17ROCPRIM_400000_NS6detail17trampoline_kernelINS0_14default_configENS1_27scan_by_key_config_selectorIiiEEZZNS1_16scan_by_key_implILNS1_25lookback_scan_determinismE0ELb0ES3_N6thrust23THRUST_200600_302600_NS6detail15normal_iteratorINS9_10device_ptrIiEEEESE_SE_iNS9_4plusIvEENS9_8equal_toIvEEiEE10hipError_tPvRmT2_T3_T4_T5_mT6_T7_P12ihipStream_tbENKUlT_T0_E_clISt17integral_constantIbLb0EESY_IbLb1EEEEDaSU_SV_EUlSU_E_NS1_11comp_targetILNS1_3genE8ELNS1_11target_archE1030ELNS1_3gpuE2ELNS1_3repE0EEENS1_30default_config_static_selectorELNS0_4arch9wavefront6targetE0EEEvT1_ ; -- Begin function _ZN7rocprim17ROCPRIM_400000_NS6detail17trampoline_kernelINS0_14default_configENS1_27scan_by_key_config_selectorIiiEEZZNS1_16scan_by_key_implILNS1_25lookback_scan_determinismE0ELb0ES3_N6thrust23THRUST_200600_302600_NS6detail15normal_iteratorINS9_10device_ptrIiEEEESE_SE_iNS9_4plusIvEENS9_8equal_toIvEEiEE10hipError_tPvRmT2_T3_T4_T5_mT6_T7_P12ihipStream_tbENKUlT_T0_E_clISt17integral_constantIbLb0EESY_IbLb1EEEEDaSU_SV_EUlSU_E_NS1_11comp_targetILNS1_3genE8ELNS1_11target_archE1030ELNS1_3gpuE2ELNS1_3repE0EEENS1_30default_config_static_selectorELNS0_4arch9wavefront6targetE0EEEvT1_
	.globl	_ZN7rocprim17ROCPRIM_400000_NS6detail17trampoline_kernelINS0_14default_configENS1_27scan_by_key_config_selectorIiiEEZZNS1_16scan_by_key_implILNS1_25lookback_scan_determinismE0ELb0ES3_N6thrust23THRUST_200600_302600_NS6detail15normal_iteratorINS9_10device_ptrIiEEEESE_SE_iNS9_4plusIvEENS9_8equal_toIvEEiEE10hipError_tPvRmT2_T3_T4_T5_mT6_T7_P12ihipStream_tbENKUlT_T0_E_clISt17integral_constantIbLb0EESY_IbLb1EEEEDaSU_SV_EUlSU_E_NS1_11comp_targetILNS1_3genE8ELNS1_11target_archE1030ELNS1_3gpuE2ELNS1_3repE0EEENS1_30default_config_static_selectorELNS0_4arch9wavefront6targetE0EEEvT1_
	.p2align	8
	.type	_ZN7rocprim17ROCPRIM_400000_NS6detail17trampoline_kernelINS0_14default_configENS1_27scan_by_key_config_selectorIiiEEZZNS1_16scan_by_key_implILNS1_25lookback_scan_determinismE0ELb0ES3_N6thrust23THRUST_200600_302600_NS6detail15normal_iteratorINS9_10device_ptrIiEEEESE_SE_iNS9_4plusIvEENS9_8equal_toIvEEiEE10hipError_tPvRmT2_T3_T4_T5_mT6_T7_P12ihipStream_tbENKUlT_T0_E_clISt17integral_constantIbLb0EESY_IbLb1EEEEDaSU_SV_EUlSU_E_NS1_11comp_targetILNS1_3genE8ELNS1_11target_archE1030ELNS1_3gpuE2ELNS1_3repE0EEENS1_30default_config_static_selectorELNS0_4arch9wavefront6targetE0EEEvT1_,@function
_ZN7rocprim17ROCPRIM_400000_NS6detail17trampoline_kernelINS0_14default_configENS1_27scan_by_key_config_selectorIiiEEZZNS1_16scan_by_key_implILNS1_25lookback_scan_determinismE0ELb0ES3_N6thrust23THRUST_200600_302600_NS6detail15normal_iteratorINS9_10device_ptrIiEEEESE_SE_iNS9_4plusIvEENS9_8equal_toIvEEiEE10hipError_tPvRmT2_T3_T4_T5_mT6_T7_P12ihipStream_tbENKUlT_T0_E_clISt17integral_constantIbLb0EESY_IbLb1EEEEDaSU_SV_EUlSU_E_NS1_11comp_targetILNS1_3genE8ELNS1_11target_archE1030ELNS1_3gpuE2ELNS1_3repE0EEENS1_30default_config_static_selectorELNS0_4arch9wavefront6targetE0EEEvT1_: ; @_ZN7rocprim17ROCPRIM_400000_NS6detail17trampoline_kernelINS0_14default_configENS1_27scan_by_key_config_selectorIiiEEZZNS1_16scan_by_key_implILNS1_25lookback_scan_determinismE0ELb0ES3_N6thrust23THRUST_200600_302600_NS6detail15normal_iteratorINS9_10device_ptrIiEEEESE_SE_iNS9_4plusIvEENS9_8equal_toIvEEiEE10hipError_tPvRmT2_T3_T4_T5_mT6_T7_P12ihipStream_tbENKUlT_T0_E_clISt17integral_constantIbLb0EESY_IbLb1EEEEDaSU_SV_EUlSU_E_NS1_11comp_targetILNS1_3genE8ELNS1_11target_archE1030ELNS1_3gpuE2ELNS1_3repE0EEENS1_30default_config_static_selectorELNS0_4arch9wavefront6targetE0EEEvT1_
; %bb.0:
	.section	.rodata,"a",@progbits
	.p2align	6, 0x0
	.amdhsa_kernel _ZN7rocprim17ROCPRIM_400000_NS6detail17trampoline_kernelINS0_14default_configENS1_27scan_by_key_config_selectorIiiEEZZNS1_16scan_by_key_implILNS1_25lookback_scan_determinismE0ELb0ES3_N6thrust23THRUST_200600_302600_NS6detail15normal_iteratorINS9_10device_ptrIiEEEESE_SE_iNS9_4plusIvEENS9_8equal_toIvEEiEE10hipError_tPvRmT2_T3_T4_T5_mT6_T7_P12ihipStream_tbENKUlT_T0_E_clISt17integral_constantIbLb0EESY_IbLb1EEEEDaSU_SV_EUlSU_E_NS1_11comp_targetILNS1_3genE8ELNS1_11target_archE1030ELNS1_3gpuE2ELNS1_3repE0EEENS1_30default_config_static_selectorELNS0_4arch9wavefront6targetE0EEEvT1_
		.amdhsa_group_segment_fixed_size 0
		.amdhsa_private_segment_fixed_size 0
		.amdhsa_kernarg_size 112
		.amdhsa_user_sgpr_count 2
		.amdhsa_user_sgpr_dispatch_ptr 0
		.amdhsa_user_sgpr_queue_ptr 0
		.amdhsa_user_sgpr_kernarg_segment_ptr 1
		.amdhsa_user_sgpr_dispatch_id 0
		.amdhsa_user_sgpr_kernarg_preload_length 0
		.amdhsa_user_sgpr_kernarg_preload_offset 0
		.amdhsa_user_sgpr_private_segment_size 0
		.amdhsa_wavefront_size32 1
		.amdhsa_uses_dynamic_stack 0
		.amdhsa_enable_private_segment 0
		.amdhsa_system_sgpr_workgroup_id_x 1
		.amdhsa_system_sgpr_workgroup_id_y 0
		.amdhsa_system_sgpr_workgroup_id_z 0
		.amdhsa_system_sgpr_workgroup_info 0
		.amdhsa_system_vgpr_workitem_id 0
		.amdhsa_next_free_vgpr 1
		.amdhsa_next_free_sgpr 1
		.amdhsa_named_barrier_count 0
		.amdhsa_reserve_vcc 0
		.amdhsa_float_round_mode_32 0
		.amdhsa_float_round_mode_16_64 0
		.amdhsa_float_denorm_mode_32 3
		.amdhsa_float_denorm_mode_16_64 3
		.amdhsa_fp16_overflow 0
		.amdhsa_memory_ordered 1
		.amdhsa_forward_progress 1
		.amdhsa_inst_pref_size 0
		.amdhsa_round_robin_scheduling 0
		.amdhsa_exception_fp_ieee_invalid_op 0
		.amdhsa_exception_fp_denorm_src 0
		.amdhsa_exception_fp_ieee_div_zero 0
		.amdhsa_exception_fp_ieee_overflow 0
		.amdhsa_exception_fp_ieee_underflow 0
		.amdhsa_exception_fp_ieee_inexact 0
		.amdhsa_exception_int_div_zero 0
	.end_amdhsa_kernel
	.section	.text._ZN7rocprim17ROCPRIM_400000_NS6detail17trampoline_kernelINS0_14default_configENS1_27scan_by_key_config_selectorIiiEEZZNS1_16scan_by_key_implILNS1_25lookback_scan_determinismE0ELb0ES3_N6thrust23THRUST_200600_302600_NS6detail15normal_iteratorINS9_10device_ptrIiEEEESE_SE_iNS9_4plusIvEENS9_8equal_toIvEEiEE10hipError_tPvRmT2_T3_T4_T5_mT6_T7_P12ihipStream_tbENKUlT_T0_E_clISt17integral_constantIbLb0EESY_IbLb1EEEEDaSU_SV_EUlSU_E_NS1_11comp_targetILNS1_3genE8ELNS1_11target_archE1030ELNS1_3gpuE2ELNS1_3repE0EEENS1_30default_config_static_selectorELNS0_4arch9wavefront6targetE0EEEvT1_,"axG",@progbits,_ZN7rocprim17ROCPRIM_400000_NS6detail17trampoline_kernelINS0_14default_configENS1_27scan_by_key_config_selectorIiiEEZZNS1_16scan_by_key_implILNS1_25lookback_scan_determinismE0ELb0ES3_N6thrust23THRUST_200600_302600_NS6detail15normal_iteratorINS9_10device_ptrIiEEEESE_SE_iNS9_4plusIvEENS9_8equal_toIvEEiEE10hipError_tPvRmT2_T3_T4_T5_mT6_T7_P12ihipStream_tbENKUlT_T0_E_clISt17integral_constantIbLb0EESY_IbLb1EEEEDaSU_SV_EUlSU_E_NS1_11comp_targetILNS1_3genE8ELNS1_11target_archE1030ELNS1_3gpuE2ELNS1_3repE0EEENS1_30default_config_static_selectorELNS0_4arch9wavefront6targetE0EEEvT1_,comdat
.Lfunc_end163:
	.size	_ZN7rocprim17ROCPRIM_400000_NS6detail17trampoline_kernelINS0_14default_configENS1_27scan_by_key_config_selectorIiiEEZZNS1_16scan_by_key_implILNS1_25lookback_scan_determinismE0ELb0ES3_N6thrust23THRUST_200600_302600_NS6detail15normal_iteratorINS9_10device_ptrIiEEEESE_SE_iNS9_4plusIvEENS9_8equal_toIvEEiEE10hipError_tPvRmT2_T3_T4_T5_mT6_T7_P12ihipStream_tbENKUlT_T0_E_clISt17integral_constantIbLb0EESY_IbLb1EEEEDaSU_SV_EUlSU_E_NS1_11comp_targetILNS1_3genE8ELNS1_11target_archE1030ELNS1_3gpuE2ELNS1_3repE0EEENS1_30default_config_static_selectorELNS0_4arch9wavefront6targetE0EEEvT1_, .Lfunc_end163-_ZN7rocprim17ROCPRIM_400000_NS6detail17trampoline_kernelINS0_14default_configENS1_27scan_by_key_config_selectorIiiEEZZNS1_16scan_by_key_implILNS1_25lookback_scan_determinismE0ELb0ES3_N6thrust23THRUST_200600_302600_NS6detail15normal_iteratorINS9_10device_ptrIiEEEESE_SE_iNS9_4plusIvEENS9_8equal_toIvEEiEE10hipError_tPvRmT2_T3_T4_T5_mT6_T7_P12ihipStream_tbENKUlT_T0_E_clISt17integral_constantIbLb0EESY_IbLb1EEEEDaSU_SV_EUlSU_E_NS1_11comp_targetILNS1_3genE8ELNS1_11target_archE1030ELNS1_3gpuE2ELNS1_3repE0EEENS1_30default_config_static_selectorELNS0_4arch9wavefront6targetE0EEEvT1_
                                        ; -- End function
	.set _ZN7rocprim17ROCPRIM_400000_NS6detail17trampoline_kernelINS0_14default_configENS1_27scan_by_key_config_selectorIiiEEZZNS1_16scan_by_key_implILNS1_25lookback_scan_determinismE0ELb0ES3_N6thrust23THRUST_200600_302600_NS6detail15normal_iteratorINS9_10device_ptrIiEEEESE_SE_iNS9_4plusIvEENS9_8equal_toIvEEiEE10hipError_tPvRmT2_T3_T4_T5_mT6_T7_P12ihipStream_tbENKUlT_T0_E_clISt17integral_constantIbLb0EESY_IbLb1EEEEDaSU_SV_EUlSU_E_NS1_11comp_targetILNS1_3genE8ELNS1_11target_archE1030ELNS1_3gpuE2ELNS1_3repE0EEENS1_30default_config_static_selectorELNS0_4arch9wavefront6targetE0EEEvT1_.num_vgpr, 0
	.set _ZN7rocprim17ROCPRIM_400000_NS6detail17trampoline_kernelINS0_14default_configENS1_27scan_by_key_config_selectorIiiEEZZNS1_16scan_by_key_implILNS1_25lookback_scan_determinismE0ELb0ES3_N6thrust23THRUST_200600_302600_NS6detail15normal_iteratorINS9_10device_ptrIiEEEESE_SE_iNS9_4plusIvEENS9_8equal_toIvEEiEE10hipError_tPvRmT2_T3_T4_T5_mT6_T7_P12ihipStream_tbENKUlT_T0_E_clISt17integral_constantIbLb0EESY_IbLb1EEEEDaSU_SV_EUlSU_E_NS1_11comp_targetILNS1_3genE8ELNS1_11target_archE1030ELNS1_3gpuE2ELNS1_3repE0EEENS1_30default_config_static_selectorELNS0_4arch9wavefront6targetE0EEEvT1_.num_agpr, 0
	.set _ZN7rocprim17ROCPRIM_400000_NS6detail17trampoline_kernelINS0_14default_configENS1_27scan_by_key_config_selectorIiiEEZZNS1_16scan_by_key_implILNS1_25lookback_scan_determinismE0ELb0ES3_N6thrust23THRUST_200600_302600_NS6detail15normal_iteratorINS9_10device_ptrIiEEEESE_SE_iNS9_4plusIvEENS9_8equal_toIvEEiEE10hipError_tPvRmT2_T3_T4_T5_mT6_T7_P12ihipStream_tbENKUlT_T0_E_clISt17integral_constantIbLb0EESY_IbLb1EEEEDaSU_SV_EUlSU_E_NS1_11comp_targetILNS1_3genE8ELNS1_11target_archE1030ELNS1_3gpuE2ELNS1_3repE0EEENS1_30default_config_static_selectorELNS0_4arch9wavefront6targetE0EEEvT1_.numbered_sgpr, 0
	.set _ZN7rocprim17ROCPRIM_400000_NS6detail17trampoline_kernelINS0_14default_configENS1_27scan_by_key_config_selectorIiiEEZZNS1_16scan_by_key_implILNS1_25lookback_scan_determinismE0ELb0ES3_N6thrust23THRUST_200600_302600_NS6detail15normal_iteratorINS9_10device_ptrIiEEEESE_SE_iNS9_4plusIvEENS9_8equal_toIvEEiEE10hipError_tPvRmT2_T3_T4_T5_mT6_T7_P12ihipStream_tbENKUlT_T0_E_clISt17integral_constantIbLb0EESY_IbLb1EEEEDaSU_SV_EUlSU_E_NS1_11comp_targetILNS1_3genE8ELNS1_11target_archE1030ELNS1_3gpuE2ELNS1_3repE0EEENS1_30default_config_static_selectorELNS0_4arch9wavefront6targetE0EEEvT1_.num_named_barrier, 0
	.set _ZN7rocprim17ROCPRIM_400000_NS6detail17trampoline_kernelINS0_14default_configENS1_27scan_by_key_config_selectorIiiEEZZNS1_16scan_by_key_implILNS1_25lookback_scan_determinismE0ELb0ES3_N6thrust23THRUST_200600_302600_NS6detail15normal_iteratorINS9_10device_ptrIiEEEESE_SE_iNS9_4plusIvEENS9_8equal_toIvEEiEE10hipError_tPvRmT2_T3_T4_T5_mT6_T7_P12ihipStream_tbENKUlT_T0_E_clISt17integral_constantIbLb0EESY_IbLb1EEEEDaSU_SV_EUlSU_E_NS1_11comp_targetILNS1_3genE8ELNS1_11target_archE1030ELNS1_3gpuE2ELNS1_3repE0EEENS1_30default_config_static_selectorELNS0_4arch9wavefront6targetE0EEEvT1_.private_seg_size, 0
	.set _ZN7rocprim17ROCPRIM_400000_NS6detail17trampoline_kernelINS0_14default_configENS1_27scan_by_key_config_selectorIiiEEZZNS1_16scan_by_key_implILNS1_25lookback_scan_determinismE0ELb0ES3_N6thrust23THRUST_200600_302600_NS6detail15normal_iteratorINS9_10device_ptrIiEEEESE_SE_iNS9_4plusIvEENS9_8equal_toIvEEiEE10hipError_tPvRmT2_T3_T4_T5_mT6_T7_P12ihipStream_tbENKUlT_T0_E_clISt17integral_constantIbLb0EESY_IbLb1EEEEDaSU_SV_EUlSU_E_NS1_11comp_targetILNS1_3genE8ELNS1_11target_archE1030ELNS1_3gpuE2ELNS1_3repE0EEENS1_30default_config_static_selectorELNS0_4arch9wavefront6targetE0EEEvT1_.uses_vcc, 0
	.set _ZN7rocprim17ROCPRIM_400000_NS6detail17trampoline_kernelINS0_14default_configENS1_27scan_by_key_config_selectorIiiEEZZNS1_16scan_by_key_implILNS1_25lookback_scan_determinismE0ELb0ES3_N6thrust23THRUST_200600_302600_NS6detail15normal_iteratorINS9_10device_ptrIiEEEESE_SE_iNS9_4plusIvEENS9_8equal_toIvEEiEE10hipError_tPvRmT2_T3_T4_T5_mT6_T7_P12ihipStream_tbENKUlT_T0_E_clISt17integral_constantIbLb0EESY_IbLb1EEEEDaSU_SV_EUlSU_E_NS1_11comp_targetILNS1_3genE8ELNS1_11target_archE1030ELNS1_3gpuE2ELNS1_3repE0EEENS1_30default_config_static_selectorELNS0_4arch9wavefront6targetE0EEEvT1_.uses_flat_scratch, 0
	.set _ZN7rocprim17ROCPRIM_400000_NS6detail17trampoline_kernelINS0_14default_configENS1_27scan_by_key_config_selectorIiiEEZZNS1_16scan_by_key_implILNS1_25lookback_scan_determinismE0ELb0ES3_N6thrust23THRUST_200600_302600_NS6detail15normal_iteratorINS9_10device_ptrIiEEEESE_SE_iNS9_4plusIvEENS9_8equal_toIvEEiEE10hipError_tPvRmT2_T3_T4_T5_mT6_T7_P12ihipStream_tbENKUlT_T0_E_clISt17integral_constantIbLb0EESY_IbLb1EEEEDaSU_SV_EUlSU_E_NS1_11comp_targetILNS1_3genE8ELNS1_11target_archE1030ELNS1_3gpuE2ELNS1_3repE0EEENS1_30default_config_static_selectorELNS0_4arch9wavefront6targetE0EEEvT1_.has_dyn_sized_stack, 0
	.set _ZN7rocprim17ROCPRIM_400000_NS6detail17trampoline_kernelINS0_14default_configENS1_27scan_by_key_config_selectorIiiEEZZNS1_16scan_by_key_implILNS1_25lookback_scan_determinismE0ELb0ES3_N6thrust23THRUST_200600_302600_NS6detail15normal_iteratorINS9_10device_ptrIiEEEESE_SE_iNS9_4plusIvEENS9_8equal_toIvEEiEE10hipError_tPvRmT2_T3_T4_T5_mT6_T7_P12ihipStream_tbENKUlT_T0_E_clISt17integral_constantIbLb0EESY_IbLb1EEEEDaSU_SV_EUlSU_E_NS1_11comp_targetILNS1_3genE8ELNS1_11target_archE1030ELNS1_3gpuE2ELNS1_3repE0EEENS1_30default_config_static_selectorELNS0_4arch9wavefront6targetE0EEEvT1_.has_recursion, 0
	.set _ZN7rocprim17ROCPRIM_400000_NS6detail17trampoline_kernelINS0_14default_configENS1_27scan_by_key_config_selectorIiiEEZZNS1_16scan_by_key_implILNS1_25lookback_scan_determinismE0ELb0ES3_N6thrust23THRUST_200600_302600_NS6detail15normal_iteratorINS9_10device_ptrIiEEEESE_SE_iNS9_4plusIvEENS9_8equal_toIvEEiEE10hipError_tPvRmT2_T3_T4_T5_mT6_T7_P12ihipStream_tbENKUlT_T0_E_clISt17integral_constantIbLb0EESY_IbLb1EEEEDaSU_SV_EUlSU_E_NS1_11comp_targetILNS1_3genE8ELNS1_11target_archE1030ELNS1_3gpuE2ELNS1_3repE0EEENS1_30default_config_static_selectorELNS0_4arch9wavefront6targetE0EEEvT1_.has_indirect_call, 0
	.section	.AMDGPU.csdata,"",@progbits
; Kernel info:
; codeLenInByte = 0
; TotalNumSgprs: 0
; NumVgprs: 0
; ScratchSize: 0
; MemoryBound: 0
; FloatMode: 240
; IeeeMode: 1
; LDSByteSize: 0 bytes/workgroup (compile time only)
; SGPRBlocks: 0
; VGPRBlocks: 0
; NumSGPRsForWavesPerEU: 1
; NumVGPRsForWavesPerEU: 1
; NamedBarCnt: 0
; Occupancy: 16
; WaveLimiterHint : 0
; COMPUTE_PGM_RSRC2:SCRATCH_EN: 0
; COMPUTE_PGM_RSRC2:USER_SGPR: 2
; COMPUTE_PGM_RSRC2:TRAP_HANDLER: 0
; COMPUTE_PGM_RSRC2:TGID_X_EN: 1
; COMPUTE_PGM_RSRC2:TGID_Y_EN: 0
; COMPUTE_PGM_RSRC2:TGID_Z_EN: 0
; COMPUTE_PGM_RSRC2:TIDIG_COMP_CNT: 0
	.section	.text._ZN7rocprim17ROCPRIM_400000_NS6detail17trampoline_kernelINS0_14default_configENS1_27scan_by_key_config_selectorIiiEEZZNS1_16scan_by_key_implILNS1_25lookback_scan_determinismE0ELb0ES3_N6thrust23THRUST_200600_302600_NS6detail15normal_iteratorINS9_10device_ptrIiEEEESE_SE_iNS9_10multipliesIiEENS9_8equal_toIiEEiEE10hipError_tPvRmT2_T3_T4_T5_mT6_T7_P12ihipStream_tbENKUlT_T0_E_clISt17integral_constantIbLb0EESZ_EEDaSU_SV_EUlSU_E_NS1_11comp_targetILNS1_3genE0ELNS1_11target_archE4294967295ELNS1_3gpuE0ELNS1_3repE0EEENS1_30default_config_static_selectorELNS0_4arch9wavefront6targetE0EEEvT1_,"axG",@progbits,_ZN7rocprim17ROCPRIM_400000_NS6detail17trampoline_kernelINS0_14default_configENS1_27scan_by_key_config_selectorIiiEEZZNS1_16scan_by_key_implILNS1_25lookback_scan_determinismE0ELb0ES3_N6thrust23THRUST_200600_302600_NS6detail15normal_iteratorINS9_10device_ptrIiEEEESE_SE_iNS9_10multipliesIiEENS9_8equal_toIiEEiEE10hipError_tPvRmT2_T3_T4_T5_mT6_T7_P12ihipStream_tbENKUlT_T0_E_clISt17integral_constantIbLb0EESZ_EEDaSU_SV_EUlSU_E_NS1_11comp_targetILNS1_3genE0ELNS1_11target_archE4294967295ELNS1_3gpuE0ELNS1_3repE0EEENS1_30default_config_static_selectorELNS0_4arch9wavefront6targetE0EEEvT1_,comdat
	.protected	_ZN7rocprim17ROCPRIM_400000_NS6detail17trampoline_kernelINS0_14default_configENS1_27scan_by_key_config_selectorIiiEEZZNS1_16scan_by_key_implILNS1_25lookback_scan_determinismE0ELb0ES3_N6thrust23THRUST_200600_302600_NS6detail15normal_iteratorINS9_10device_ptrIiEEEESE_SE_iNS9_10multipliesIiEENS9_8equal_toIiEEiEE10hipError_tPvRmT2_T3_T4_T5_mT6_T7_P12ihipStream_tbENKUlT_T0_E_clISt17integral_constantIbLb0EESZ_EEDaSU_SV_EUlSU_E_NS1_11comp_targetILNS1_3genE0ELNS1_11target_archE4294967295ELNS1_3gpuE0ELNS1_3repE0EEENS1_30default_config_static_selectorELNS0_4arch9wavefront6targetE0EEEvT1_ ; -- Begin function _ZN7rocprim17ROCPRIM_400000_NS6detail17trampoline_kernelINS0_14default_configENS1_27scan_by_key_config_selectorIiiEEZZNS1_16scan_by_key_implILNS1_25lookback_scan_determinismE0ELb0ES3_N6thrust23THRUST_200600_302600_NS6detail15normal_iteratorINS9_10device_ptrIiEEEESE_SE_iNS9_10multipliesIiEENS9_8equal_toIiEEiEE10hipError_tPvRmT2_T3_T4_T5_mT6_T7_P12ihipStream_tbENKUlT_T0_E_clISt17integral_constantIbLb0EESZ_EEDaSU_SV_EUlSU_E_NS1_11comp_targetILNS1_3genE0ELNS1_11target_archE4294967295ELNS1_3gpuE0ELNS1_3repE0EEENS1_30default_config_static_selectorELNS0_4arch9wavefront6targetE0EEEvT1_
	.globl	_ZN7rocprim17ROCPRIM_400000_NS6detail17trampoline_kernelINS0_14default_configENS1_27scan_by_key_config_selectorIiiEEZZNS1_16scan_by_key_implILNS1_25lookback_scan_determinismE0ELb0ES3_N6thrust23THRUST_200600_302600_NS6detail15normal_iteratorINS9_10device_ptrIiEEEESE_SE_iNS9_10multipliesIiEENS9_8equal_toIiEEiEE10hipError_tPvRmT2_T3_T4_T5_mT6_T7_P12ihipStream_tbENKUlT_T0_E_clISt17integral_constantIbLb0EESZ_EEDaSU_SV_EUlSU_E_NS1_11comp_targetILNS1_3genE0ELNS1_11target_archE4294967295ELNS1_3gpuE0ELNS1_3repE0EEENS1_30default_config_static_selectorELNS0_4arch9wavefront6targetE0EEEvT1_
	.p2align	8
	.type	_ZN7rocprim17ROCPRIM_400000_NS6detail17trampoline_kernelINS0_14default_configENS1_27scan_by_key_config_selectorIiiEEZZNS1_16scan_by_key_implILNS1_25lookback_scan_determinismE0ELb0ES3_N6thrust23THRUST_200600_302600_NS6detail15normal_iteratorINS9_10device_ptrIiEEEESE_SE_iNS9_10multipliesIiEENS9_8equal_toIiEEiEE10hipError_tPvRmT2_T3_T4_T5_mT6_T7_P12ihipStream_tbENKUlT_T0_E_clISt17integral_constantIbLb0EESZ_EEDaSU_SV_EUlSU_E_NS1_11comp_targetILNS1_3genE0ELNS1_11target_archE4294967295ELNS1_3gpuE0ELNS1_3repE0EEENS1_30default_config_static_selectorELNS0_4arch9wavefront6targetE0EEEvT1_,@function
_ZN7rocprim17ROCPRIM_400000_NS6detail17trampoline_kernelINS0_14default_configENS1_27scan_by_key_config_selectorIiiEEZZNS1_16scan_by_key_implILNS1_25lookback_scan_determinismE0ELb0ES3_N6thrust23THRUST_200600_302600_NS6detail15normal_iteratorINS9_10device_ptrIiEEEESE_SE_iNS9_10multipliesIiEENS9_8equal_toIiEEiEE10hipError_tPvRmT2_T3_T4_T5_mT6_T7_P12ihipStream_tbENKUlT_T0_E_clISt17integral_constantIbLb0EESZ_EEDaSU_SV_EUlSU_E_NS1_11comp_targetILNS1_3genE0ELNS1_11target_archE4294967295ELNS1_3gpuE0ELNS1_3repE0EEENS1_30default_config_static_selectorELNS0_4arch9wavefront6targetE0EEEvT1_: ; @_ZN7rocprim17ROCPRIM_400000_NS6detail17trampoline_kernelINS0_14default_configENS1_27scan_by_key_config_selectorIiiEEZZNS1_16scan_by_key_implILNS1_25lookback_scan_determinismE0ELb0ES3_N6thrust23THRUST_200600_302600_NS6detail15normal_iteratorINS9_10device_ptrIiEEEESE_SE_iNS9_10multipliesIiEENS9_8equal_toIiEEiEE10hipError_tPvRmT2_T3_T4_T5_mT6_T7_P12ihipStream_tbENKUlT_T0_E_clISt17integral_constantIbLb0EESZ_EEDaSU_SV_EUlSU_E_NS1_11comp_targetILNS1_3genE0ELNS1_11target_archE4294967295ELNS1_3gpuE0ELNS1_3repE0EEENS1_30default_config_static_selectorELNS0_4arch9wavefront6targetE0EEEvT1_
; %bb.0:
	s_clause 0x3
	s_load_b256 s[8:15], s[0:1], 0x0
	s_load_b256 s[16:23], s[0:1], 0x48
	s_load_b96 s[28:30], s[0:1], 0x38
	s_load_b128 s[24:27], s[0:1], 0x28
	s_getreg_b32 s4, hwreg(HW_REG_IB_STS2, 6, 4)
	s_wait_xcnt 0x0
	s_mov_b32 s1, 0
	s_barrier_signal -1
	s_barrier_wait -1
	s_wait_kmcnt 0x0
	s_lshl_b64 s[34:35], s[10:11], 2
	s_cmp_lg_u64 s[20:21], 0
	s_mov_b32 s0, s30
	s_cselect_b32 s33, -1, 0
	s_bfe_u32 s2, ttmp6, 0x4000c
	s_and_b32 s5, ttmp6, 15
	s_add_co_i32 s2, s2, 1
	s_mov_b32 s21, s1
	s_mul_i32 s6, ttmp9, s2
	s_add_nc_u64 s[2:3], s[8:9], s[34:35]
	s_add_co_i32 s6, s5, s6
	s_cmp_eq_u32 s4, 0
	s_mul_u64 s[4:5], s[28:29], s[0:1]
	s_cselect_b32 s20, ttmp9, s6
	s_add_nc_u64 s[6:7], s[12:13], s[34:35]
	s_add_nc_u64 s[36:37], s[4:5], s[20:21]
	s_add_nc_u64 s[4:5], s[16:17], -1
	s_mul_i32 s0, s20, 0xc00
	v_cmp_ge_u64_e64 s21, s[36:37], s[4:5]
	s_lshl_b64 s[16:17], s[0:1], 2
	s_mul_i32 s27, s4, 0xfffff400
	s_add_nc_u64 s[30:31], s[2:3], s[16:17]
	s_add_nc_u64 s[12:13], s[6:7], s[16:17]
	s_and_b32 vcc_lo, exec_lo, s21
	s_cbranch_vccz .LBB164_28
; %bb.1:
	v_mov_b32_e32 v1, 0
	s_add_co_i32 s40, s27, s26
	s_delay_alu instid0(SALU_CYCLE_1)
	v_cmp_gt_u32_e64 s0, s40, v0
	flat_load_b32 v1, v1, s[30:31]
	s_wait_loadcnt_dscnt 0x0
	v_mov_b32_e32 v2, v1
	s_and_saveexec_b32 s1, s0
	s_cbranch_execz .LBB164_3
; %bb.2:
	flat_load_b32 v2, v0, s[30:31] scale_offset
.LBB164_3:
	s_wait_xcnt 0x0
	s_or_b32 exec_lo, exec_lo, s1
	v_or_b32_e32 v3, 0x100, v0
	v_mov_b32_e32 v4, v1
	s_delay_alu instid0(VALU_DEP_2)
	v_cmp_gt_u32_e64 s1, s40, v3
	s_and_saveexec_b32 s2, s1
	s_cbranch_execz .LBB164_5
; %bb.4:
	flat_load_b32 v4, v0, s[30:31] offset:1024 scale_offset
.LBB164_5:
	s_wait_xcnt 0x0
	s_or_b32 exec_lo, exec_lo, s2
	v_or_b32_e32 v3, 0x200, v0
	v_mov_b32_e32 v5, v1
	s_delay_alu instid0(VALU_DEP_2)
	v_cmp_gt_u32_e64 s2, s40, v3
	s_and_saveexec_b32 s3, s2
	s_cbranch_execz .LBB164_7
; %bb.6:
	flat_load_b32 v5, v0, s[30:31] offset:2048 scale_offset
.LBB164_7:
	;; [unrolled: 11-line block ×10, first 2 shown]
	s_wait_xcnt 0x0
	s_or_b32 exec_lo, exec_lo, s11
	v_or_b32_e32 v3, 0xb00, v0
	s_mov_b32 s38, exec_lo
	s_delay_alu instid0(VALU_DEP_1) | instskip(SKIP_2) | instid1(SALU_CYCLE_1)
	v_cmp_gt_u32_e64 s11, s40, v3
	v_cmpx_le_u32_e64 s40, v3
	s_xor_b32 s38, exec_lo, s38
	s_and_not1_saveexec_b32 s38, s38
	s_cbranch_execz .LBB164_25
; %bb.24:
	flat_load_b32 v1, v0, s[30:31] offset:11264 scale_offset
.LBB164_25:
	s_wait_xcnt 0x0
	s_or_b32 exec_lo, exec_lo, s38
	v_lshlrev_b32_e32 v3, 2, v0
	s_cmp_eq_u64 s[36:37], 0
	s_mov_b64 s[38:39], s[30:31]
	s_wait_loadcnt_dscnt 0x0
	ds_store_2addr_stride64_b32 v3, v2, v4 offset1:4
	ds_store_2addr_stride64_b32 v3, v5, v6 offset0:8 offset1:12
	ds_store_2addr_stride64_b32 v3, v7, v8 offset0:16 offset1:20
	;; [unrolled: 1-line block ×5, first 2 shown]
	v_mad_u32_u24 v1, v0, 44, v3
	s_wait_dscnt 0x0
	s_barrier_signal -1
	s_barrier_wait -1
	ds_load_b128 v[14:17], v1
	ds_load_b128 v[10:13], v1 offset:16
	ds_load_b128 v[6:9], v1 offset:32
	s_cbranch_scc1 .LBB164_31
; %bb.26:
	s_and_not1_b32 vcc_lo, exec_lo, s33
	s_cbranch_vccnz .LBB164_29
; %bb.27:
	s_lshl_b64 s[38:39], s[36:37], 2
	s_mov_b32 s41, 0
	s_add_nc_u64 s[38:39], s[22:23], s[38:39]
	s_delay_alu instid0(SALU_CYCLE_1)
	s_add_nc_u64 s[38:39], s[38:39], -4
	s_branch .LBB164_30
.LBB164_28:
                                        ; implicit-def: $sgpr3
                                        ; implicit-def: $vgpr5
                                        ; implicit-def: $vgpr18_vgpr19
                                        ; implicit-def: $vgpr42_vgpr43
                                        ; implicit-def: $vgpr46_vgpr47
                                        ; implicit-def: $vgpr44_vgpr45
                                        ; implicit-def: $vgpr48_vgpr49
                                        ; implicit-def: $vgpr50_vgpr51
                                        ; implicit-def: $vgpr52_vgpr53
                                        ; implicit-def: $vgpr54_vgpr55
                                        ; implicit-def: $vgpr56_vgpr57
                                        ; implicit-def: $vgpr58_vgpr59
                                        ; implicit-def: $vgpr38_vgpr39
                                        ; implicit-def: $vgpr36_vgpr37
                                        ; implicit-def: $vgpr34_vgpr35
                                        ; implicit-def: $vgpr32_vgpr33
                                        ; implicit-def: $vgpr30_vgpr31
                                        ; implicit-def: $vgpr28_vgpr29
                                        ; implicit-def: $vgpr26_vgpr27
                                        ; implicit-def: $vgpr24_vgpr25
                                        ; implicit-def: $vgpr22_vgpr23
                                        ; implicit-def: $vgpr20_vgpr21
	v_lshlrev_b32_e32 v16, 2, v0
	s_cbranch_execnz .LBB164_69
	s_branch .LBB164_88
.LBB164_29:
	s_add_nc_u64 s[38:39], s[30:31], -4
	s_mov_b32 s41, -1
.LBB164_30:
	s_delay_alu instid0(SALU_CYCLE_1)
	s_and_not1_b32 vcc_lo, exec_lo, s41
.LBB164_31:
	v_mov_b32_e32 v2, 0
	v_mad_i32_i24 v4, 0xffffffd4, v0, v1
	flat_load_b32 v2, v2, s[38:39]
	s_wait_xcnt 0x0
	s_mov_b32 s38, exec_lo
	s_wait_dscnt 0x1
	ds_store_b32 v4, v9 offset:12288
	s_wait_loadcnt_dscnt 0x0
	s_barrier_signal -1
	s_barrier_wait -1
	v_cmpx_ne_u32_e32 0, v0
; %bb.32:
	v_mul_i32_i24_e32 v2, 0xffffffd4, v0
	s_delay_alu instid0(VALU_DEP_1)
	v_add_nc_u32_e32 v2, v1, v2
	ds_load_b32 v2, v2 offset:12284
; %bb.33:
	s_or_b32 exec_lo, exec_lo, s38
	s_wait_dscnt 0x0
	s_barrier_signal -1
	s_barrier_wait -1
                                        ; implicit-def: $vgpr5
	s_and_saveexec_b32 s38, s0
	s_cbranch_execnz .LBB164_72
; %bb.34:
	s_or_b32 exec_lo, exec_lo, s38
                                        ; implicit-def: $vgpr18
	s_and_saveexec_b32 s0, s1
	s_cbranch_execnz .LBB164_73
.LBB164_35:
	s_or_b32 exec_lo, exec_lo, s0
                                        ; implicit-def: $vgpr19
	s_and_saveexec_b32 s0, s2
	s_cbranch_execnz .LBB164_74
.LBB164_36:
	s_or_b32 exec_lo, exec_lo, s0
                                        ; implicit-def: $vgpr20
	s_and_saveexec_b32 s0, s3
	s_cbranch_execnz .LBB164_75
.LBB164_37:
	s_or_b32 exec_lo, exec_lo, s0
                                        ; implicit-def: $vgpr21
	s_and_saveexec_b32 s0, s4
	s_cbranch_execnz .LBB164_76
.LBB164_38:
	s_or_b32 exec_lo, exec_lo, s0
                                        ; implicit-def: $vgpr22
	s_and_saveexec_b32 s0, s5
	s_cbranch_execnz .LBB164_77
.LBB164_39:
	s_or_b32 exec_lo, exec_lo, s0
                                        ; implicit-def: $vgpr23
	s_and_saveexec_b32 s0, s6
	s_cbranch_execnz .LBB164_78
.LBB164_40:
	s_or_b32 exec_lo, exec_lo, s0
                                        ; implicit-def: $vgpr24
	s_and_saveexec_b32 s0, s7
	s_cbranch_execnz .LBB164_79
.LBB164_41:
	s_or_b32 exec_lo, exec_lo, s0
                                        ; implicit-def: $vgpr25
	s_and_saveexec_b32 s0, s8
	s_cbranch_execnz .LBB164_80
.LBB164_42:
	s_or_b32 exec_lo, exec_lo, s0
                                        ; implicit-def: $vgpr26
	s_and_saveexec_b32 s0, s9
	s_cbranch_execnz .LBB164_81
.LBB164_43:
	s_or_b32 exec_lo, exec_lo, s0
                                        ; implicit-def: $vgpr27
	s_and_saveexec_b32 s0, s10
	s_cbranch_execnz .LBB164_82
.LBB164_44:
	s_or_b32 exec_lo, exec_lo, s0
                                        ; implicit-def: $vgpr28
	s_and_saveexec_b32 s0, s11
	s_cbranch_execz .LBB164_46
.LBB164_45:
	flat_load_b32 v28, v0, s[12:13] offset:11264 scale_offset
.LBB164_46:
	s_wait_xcnt 0x0
	s_or_b32 exec_lo, exec_lo, s0
	s_wait_loadcnt_dscnt 0x0
	ds_store_2addr_stride64_b32 v3, v5, v18 offset1:4
	ds_store_2addr_stride64_b32 v3, v19, v20 offset0:8 offset1:12
	ds_store_2addr_stride64_b32 v3, v21, v22 offset0:16 offset1:20
	;; [unrolled: 1-line block ×5, first 2 shown]
	v_mov_b64_e32 v[18:19], 0
	v_mov_b64_e32 v[42:43], 0
	;; [unrolled: 1-line block ×20, first 2 shown]
	v_mul_u32_u24_e32 v4, 12, v0
	s_mov_b32 s2, 0
	s_mov_b32 s1, 0
	s_mov_b32 s4, exec_lo
	s_wait_dscnt 0x0
	s_barrier_signal -1
	s_barrier_wait -1
                                        ; implicit-def: $sgpr3
                                        ; implicit-def: $vgpr5
	v_cmpx_gt_u32_e64 s40, v4
	s_cbranch_execz .LBB164_68
; %bb.47:
	ds_load_b32 v18, v1
	v_cmp_ne_u32_e32 vcc_lo, v2, v14
	v_mov_b64_e32 v[42:43], 0
	v_mov_b64_e32 v[46:47], 0
	;; [unrolled: 1-line block ×18, first 2 shown]
	v_or_b32_e32 v3, 1, v4
	v_cndmask_b32_e64 v19, 0, 1, vcc_lo
	s_mov_b32 s0, 0
	s_mov_b32 s1, exec_lo
                                        ; implicit-def: $sgpr3
                                        ; implicit-def: $vgpr5
	s_delay_alu instid0(VALU_DEP_2)
	v_cmpx_gt_u32_e64 s40, v3
	s_cbranch_execz .LBB164_67
; %bb.48:
	ds_load_2addr_b32 v[42:43], v1 offset0:1 offset1:2
	v_cmp_ne_u32_e32 vcc_lo, v14, v15
	v_mov_b64_e32 v[46:47], 0
	v_mov_b64_e32 v[44:45], 0
	;; [unrolled: 1-line block ×16, first 2 shown]
	v_or_b32_e32 v3, 2, v4
	v_cndmask_b32_e64 v2, 0, 1, vcc_lo
	s_mov_b32 s5, exec_lo
                                        ; implicit-def: $sgpr3
                                        ; implicit-def: $vgpr5
	s_delay_alu instid0(VALU_DEP_2)
	v_cmpx_gt_u32_e64 s40, v3
	s_cbranch_execz .LBB164_66
; %bb.49:
	v_cmp_ne_u32_e32 vcc_lo, v15, v16
	v_mov_b64_e32 v[44:45], 0
	v_mov_b64_e32 v[48:49], 0
	;; [unrolled: 1-line block ×14, first 2 shown]
	v_or_b32_e32 v3, 3, v4
	v_cndmask_b32_e64 v47, 0, 1, vcc_lo
	s_mov_b32 s6, exec_lo
                                        ; implicit-def: $sgpr3
                                        ; implicit-def: $vgpr5
	s_delay_alu instid0(VALU_DEP_2)
	v_cmpx_gt_u32_e64 s40, v3
	s_cbranch_execz .LBB164_65
; %bb.50:
	ds_load_2addr_b32 v[44:45], v1 offset0:3 offset1:4
	v_add_nc_u32_e32 v5, 4, v4
	v_cmp_ne_u32_e32 vcc_lo, v16, v17
	v_mov_b64_e32 v[48:49], 0
	v_mov_b64_e32 v[50:51], 0
	;; [unrolled: 1-line block ×12, first 2 shown]
	v_cndmask_b32_e64 v3, 0, 1, vcc_lo
	v_cmp_gt_u32_e32 vcc_lo, s40, v5
                                        ; implicit-def: $sgpr3
                                        ; implicit-def: $vgpr5
	s_and_saveexec_b32 s7, vcc_lo
	s_cbranch_execz .LBB164_64
; %bb.51:
	v_add_nc_u32_e32 v5, 5, v4
	v_cmp_ne_u32_e32 vcc_lo, v17, v10
	v_mov_b64_e32 v[50:51], 0
	v_mov_b64_e32 v[52:53], 0
	;; [unrolled: 1-line block ×10, first 2 shown]
	v_cndmask_b32_e64 v49, 0, 1, vcc_lo
	v_cmp_gt_u32_e32 vcc_lo, s40, v5
                                        ; implicit-def: $sgpr3
                                        ; implicit-def: $vgpr5
	s_and_saveexec_b32 s8, vcc_lo
	s_cbranch_execz .LBB164_63
; %bb.52:
	ds_load_2addr_b32 v[50:51], v1 offset0:5 offset1:6
	v_add_nc_u32_e32 v5, 6, v4
	v_cmp_ne_u32_e32 vcc_lo, v10, v11
	v_mov_b64_e32 v[52:53], 0
	v_mov_b64_e32 v[54:55], 0
	;; [unrolled: 1-line block ×8, first 2 shown]
	v_cndmask_b32_e64 v10, 0, 1, vcc_lo
	v_cmp_gt_u32_e32 vcc_lo, s40, v5
                                        ; implicit-def: $sgpr3
                                        ; implicit-def: $vgpr5
	s_and_saveexec_b32 s9, vcc_lo
	s_cbranch_execz .LBB164_62
; %bb.53:
	v_add_nc_u32_e32 v5, 7, v4
	v_cmp_ne_u32_e32 vcc_lo, v11, v12
	v_mov_b64_e32 v[54:55], 0
	v_mov_b64_e32 v[56:57], 0
	;; [unrolled: 1-line block ×6, first 2 shown]
	v_cndmask_b32_e64 v53, 0, 1, vcc_lo
	v_cmp_gt_u32_e32 vcc_lo, s40, v5
                                        ; implicit-def: $sgpr3
                                        ; implicit-def: $vgpr5
	s_and_saveexec_b32 s10, vcc_lo
	s_cbranch_execz .LBB164_61
; %bb.54:
	ds_load_2addr_b32 v[54:55], v1 offset0:7 offset1:8
	v_add_nc_u32_e32 v5, 8, v4
	v_cmp_ne_u32_e32 vcc_lo, v12, v13
	v_mov_b64_e32 v[56:57], 0
	v_mov_b64_e32 v[58:59], 0
	;; [unrolled: 1-line block ×4, first 2 shown]
	v_cndmask_b32_e64 v11, 0, 1, vcc_lo
	v_cmp_gt_u32_e32 vcc_lo, s40, v5
                                        ; implicit-def: $sgpr3
                                        ; implicit-def: $vgpr5
	s_and_saveexec_b32 s11, vcc_lo
	s_cbranch_execz .LBB164_60
; %bb.55:
	v_add_nc_u32_e32 v5, 9, v4
	v_cmp_ne_u32_e32 vcc_lo, v13, v6
	v_mov_b64_e32 v[58:59], 0
	v_mov_b64_e32 v[20:21], 0
                                        ; implicit-def: $sgpr3
	v_cndmask_b32_e64 v57, 0, 1, vcc_lo
	v_cmp_gt_u32_e32 vcc_lo, s40, v5
                                        ; implicit-def: $vgpr5
	s_and_saveexec_b32 s38, vcc_lo
	s_cbranch_execz .LBB164_59
; %bb.56:
	ds_load_2addr_b32 v[58:59], v1 offset0:9 offset1:10
	v_add_nc_u32_e32 v5, 10, v4
	v_cmp_ne_u32_e32 vcc_lo, v6, v7
	v_mov_b64_e32 v[20:21], 0
                                        ; implicit-def: $sgpr3
	v_cndmask_b32_e64 v6, 0, 1, vcc_lo
	s_delay_alu instid0(VALU_DEP_4) | instskip(SKIP_1) | instid1(SALU_CYCLE_1)
	v_cmp_gt_u32_e32 vcc_lo, s40, v5
                                        ; implicit-def: $vgpr5
	s_and_saveexec_b32 s39, vcc_lo
	s_xor_b32 s39, exec_lo, s39
	s_cbranch_execz .LBB164_58
; %bb.57:
	ds_load_b32 v5, v1 offset:44
	s_wait_dscnt 0x1
	v_dual_mov_b32 v20, v59 :: v_dual_add_nc_u32 v1, 11, v4
	v_cmp_ne_u32_e64 s0, v7, v8
	v_cmp_ne_u32_e64 s3, v8, v9
	s_delay_alu instid0(VALU_DEP_3) | instskip(NEXT) | instid1(VALU_DEP_3)
	v_cmp_gt_u32_e32 vcc_lo, s40, v1
	v_cndmask_b32_e64 v21, 0, 1, s0
	s_and_b32 s0, vcc_lo, exec_lo
.LBB164_58:
	s_or_b32 exec_lo, exec_lo, s39
	s_wait_dscnt 0x0
	v_mov_b32_e32 v59, v6
	s_and_b32 s0, s0, exec_lo
.LBB164_59:
	s_or_b32 exec_lo, exec_lo, s38
	s_delay_alu instid0(VALU_DEP_1)
	v_mov_b64_e32 v[22:23], v[58:59]
	s_wait_dscnt 0x0
	v_mov_b32_e32 v56, v55
	s_and_b32 s0, s0, exec_lo
.LBB164_60:
	s_or_b32 exec_lo, exec_lo, s11
	s_delay_alu instid0(VALU_DEP_1)
	v_mov_b64_e32 v[24:25], v[56:57]
	s_wait_dscnt 0x0
	v_mov_b32_e32 v55, v11
	s_and_b32 s0, s0, exec_lo
.LBB164_61:
	s_or_b32 exec_lo, exec_lo, s10
	s_delay_alu instid0(VALU_DEP_1)
	v_mov_b64_e32 v[26:27], v[54:55]
	s_wait_dscnt 0x0
	v_mov_b32_e32 v52, v51
	s_and_b32 s0, s0, exec_lo
.LBB164_62:
	s_or_b32 exec_lo, exec_lo, s9
	s_delay_alu instid0(VALU_DEP_1)
	v_mov_b64_e32 v[28:29], v[52:53]
	s_wait_dscnt 0x0
	v_mov_b32_e32 v51, v10
	s_and_b32 s0, s0, exec_lo
.LBB164_63:
	s_or_b32 exec_lo, exec_lo, s8
	s_delay_alu instid0(VALU_DEP_1)
	v_mov_b64_e32 v[30:31], v[50:51]
	s_wait_dscnt 0x0
	v_mov_b32_e32 v48, v45
	s_and_b32 s0, s0, exec_lo
.LBB164_64:
	s_or_b32 exec_lo, exec_lo, s7
	s_delay_alu instid0(VALU_DEP_1)
	v_mov_b64_e32 v[32:33], v[48:49]
	s_wait_dscnt 0x0
	v_mov_b32_e32 v45, v3
	s_and_b32 s0, s0, exec_lo
.LBB164_65:
	s_or_b32 exec_lo, exec_lo, s6
	s_delay_alu instid0(VALU_DEP_1)
	v_mov_b64_e32 v[34:35], v[44:45]
	s_wait_dscnt 0x0
	v_mov_b32_e32 v46, v43
	s_and_b32 s0, s0, exec_lo
.LBB164_66:
	s_or_b32 exec_lo, exec_lo, s5
	s_delay_alu instid0(VALU_DEP_1)
	v_mov_b64_e32 v[36:37], v[46:47]
	s_wait_dscnt 0x0
	v_mov_b32_e32 v43, v2
	s_and_b32 s0, s0, exec_lo
.LBB164_67:
	s_or_b32 exec_lo, exec_lo, s1
	s_delay_alu instid0(VALU_DEP_1)
	v_mov_b64_e32 v[38:39], v[42:43]
	s_and_b32 s1, s0, exec_lo
.LBB164_68:
	s_or_b32 exec_lo, exec_lo, s4
	v_lshlrev_b32_e32 v16, 2, v0
	s_and_b32 vcc_lo, exec_lo, s2
	s_cbranch_vccz .LBB164_88
.LBB164_69:
	s_clause 0xb
	flat_load_b32 v2, v0, s[30:31] scale_offset
	flat_load_b32 v3, v0, s[30:31] offset:1024 scale_offset
	flat_load_b32 v4, v0, s[30:31] offset:2048 scale_offset
	flat_load_b32 v5, v0, s[30:31] offset:3072 scale_offset
	flat_load_b32 v6, v0, s[30:31] offset:4096 scale_offset
	flat_load_b32 v7, v0, s[30:31] offset:5120 scale_offset
	flat_load_b32 v8, v0, s[30:31] offset:6144 scale_offset
	flat_load_b32 v9, v0, s[30:31] offset:7168 scale_offset
	flat_load_b32 v10, v0, s[30:31] offset:8192 scale_offset
	flat_load_b32 v11, v0, s[30:31] offset:9216 scale_offset
	flat_load_b32 v12, v0, s[30:31] offset:10240 scale_offset
	flat_load_b32 v13, v0, s[30:31] offset:11264 scale_offset
	v_mad_u32_u24 v1, v0, 44, v16
	v_mov_b32_e32 v14, 0
	s_cmp_eq_u64 s[36:37], 0
	s_wait_loadcnt_dscnt 0xa0a
	ds_store_2addr_stride64_b32 v16, v2, v3 offset1:4
	s_wait_loadcnt_dscnt 0x809
	ds_store_2addr_stride64_b32 v16, v4, v5 offset0:8 offset1:12
	s_wait_loadcnt_dscnt 0x608
	ds_store_2addr_stride64_b32 v16, v6, v7 offset0:16 offset1:20
	;; [unrolled: 2-line block ×5, first 2 shown]
	s_wait_dscnt 0x0
	s_barrier_signal -1
	s_barrier_wait -1
	ds_load_b128 v[2:5], v1
	ds_load_b128 v[10:13], v1 offset:16
	ds_load_b128 v[6:9], v1 offset:32
	s_cbranch_scc1 .LBB164_85
; %bb.70:
	s_and_not1_b32 vcc_lo, exec_lo, s33
	s_cbranch_vccnz .LBB164_83
; %bb.71:
	s_lshl_b64 s[0:1], s[36:37], 2
	s_delay_alu instid0(SALU_CYCLE_1) | instskip(NEXT) | instid1(SALU_CYCLE_1)
	s_add_nc_u64 s[0:1], s[22:23], s[0:1]
	s_add_nc_u64 s[30:31], s[0:1], -4
	s_mov_b32 s0, 0
	s_branch .LBB164_84
.LBB164_72:
	flat_load_b32 v5, v0, s[12:13] scale_offset
	s_wait_xcnt 0x0
	s_or_b32 exec_lo, exec_lo, s38
                                        ; implicit-def: $vgpr18
	s_and_saveexec_b32 s0, s1
	s_cbranch_execz .LBB164_35
.LBB164_73:
	flat_load_b32 v18, v0, s[12:13] offset:1024 scale_offset
	s_wait_xcnt 0x0
	s_or_b32 exec_lo, exec_lo, s0
                                        ; implicit-def: $vgpr19
	s_and_saveexec_b32 s0, s2
	s_cbranch_execz .LBB164_36
.LBB164_74:
	flat_load_b32 v19, v0, s[12:13] offset:2048 scale_offset
	s_wait_xcnt 0x0
	s_or_b32 exec_lo, exec_lo, s0
                                        ; implicit-def: $vgpr20
	s_and_saveexec_b32 s0, s3
	s_cbranch_execz .LBB164_37
.LBB164_75:
	flat_load_b32 v20, v0, s[12:13] offset:3072 scale_offset
	s_wait_xcnt 0x0
	s_or_b32 exec_lo, exec_lo, s0
                                        ; implicit-def: $vgpr21
	s_and_saveexec_b32 s0, s4
	s_cbranch_execz .LBB164_38
.LBB164_76:
	flat_load_b32 v21, v0, s[12:13] offset:4096 scale_offset
	s_wait_xcnt 0x0
	s_or_b32 exec_lo, exec_lo, s0
                                        ; implicit-def: $vgpr22
	s_and_saveexec_b32 s0, s5
	s_cbranch_execz .LBB164_39
.LBB164_77:
	flat_load_b32 v22, v0, s[12:13] offset:5120 scale_offset
	s_wait_xcnt 0x0
	s_or_b32 exec_lo, exec_lo, s0
                                        ; implicit-def: $vgpr23
	s_and_saveexec_b32 s0, s6
	s_cbranch_execz .LBB164_40
.LBB164_78:
	flat_load_b32 v23, v0, s[12:13] offset:6144 scale_offset
	s_wait_xcnt 0x0
	s_or_b32 exec_lo, exec_lo, s0
                                        ; implicit-def: $vgpr24
	s_and_saveexec_b32 s0, s7
	s_cbranch_execz .LBB164_41
.LBB164_79:
	flat_load_b32 v24, v0, s[12:13] offset:7168 scale_offset
	s_wait_xcnt 0x0
	s_or_b32 exec_lo, exec_lo, s0
                                        ; implicit-def: $vgpr25
	s_and_saveexec_b32 s0, s8
	s_cbranch_execz .LBB164_42
.LBB164_80:
	flat_load_b32 v25, v0, s[12:13] offset:8192 scale_offset
	s_wait_xcnt 0x0
	s_or_b32 exec_lo, exec_lo, s0
                                        ; implicit-def: $vgpr26
	s_and_saveexec_b32 s0, s9
	s_cbranch_execz .LBB164_43
.LBB164_81:
	flat_load_b32 v26, v0, s[12:13] offset:9216 scale_offset
	s_wait_xcnt 0x0
	s_or_b32 exec_lo, exec_lo, s0
                                        ; implicit-def: $vgpr27
	s_and_saveexec_b32 s0, s10
	s_cbranch_execz .LBB164_44
.LBB164_82:
	flat_load_b32 v27, v0, s[12:13] offset:10240 scale_offset
	s_wait_xcnt 0x0
	s_or_b32 exec_lo, exec_lo, s0
                                        ; implicit-def: $vgpr28
	s_and_saveexec_b32 s0, s11
	s_cbranch_execnz .LBB164_45
	s_branch .LBB164_46
.LBB164_83:
	s_add_nc_u64 s[30:31], s[30:31], -4
	s_mov_b32 s0, -1
.LBB164_84:
	s_delay_alu instid0(SALU_CYCLE_1)
	s_and_not1_b32 vcc_lo, exec_lo, s0
.LBB164_85:
	flat_load_b32 v14, v14, s[30:31]
	v_mad_i32_i24 v15, 0xffffffd4, v0, v1
	s_mov_b32 s0, exec_lo
	s_wait_dscnt 0x1
	ds_store_b32 v15, v9 offset:12288
	s_wait_loadcnt_dscnt 0x0
	s_barrier_signal -1
	s_barrier_wait -1
	v_cmpx_ne_u32_e32 0, v0
; %bb.86:
	v_mul_i32_i24_e32 v14, 0xffffffd4, v0
	s_delay_alu instid0(VALU_DEP_1)
	v_add_nc_u32_e32 v14, v1, v14
	ds_load_b32 v14, v14 offset:12284
; %bb.87:
	s_or_b32 exec_lo, exec_lo, s0
	s_wait_dscnt 0x0
	s_barrier_signal -1
	s_barrier_wait -1
	s_clause 0xb
	flat_load_b32 v15, v0, s[12:13] scale_offset
	flat_load_b32 v17, v0, s[12:13] offset:1024 scale_offset
	flat_load_b32 v18, v0, s[12:13] offset:2048 scale_offset
	flat_load_b32 v20, v0, s[12:13] offset:3072 scale_offset
	flat_load_b32 v21, v0, s[12:13] offset:4096 scale_offset
	flat_load_b32 v22, v0, s[12:13] offset:5120 scale_offset
	flat_load_b32 v23, v0, s[12:13] offset:6144 scale_offset
	flat_load_b32 v24, v0, s[12:13] offset:7168 scale_offset
	flat_load_b32 v25, v0, s[12:13] offset:8192 scale_offset
	flat_load_b32 v26, v0, s[12:13] offset:9216 scale_offset
	flat_load_b32 v27, v0, s[12:13] offset:10240 scale_offset
	flat_load_b32 v28, v0, s[12:13] offset:11264 scale_offset
	v_cmp_ne_u32_e32 vcc_lo, v14, v2
	v_cmp_ne_u32_e64 s3, v8, v9
	s_mov_b32 s1, -1
	s_wait_loadcnt_dscnt 0xa0a
	ds_store_2addr_stride64_b32 v16, v15, v17 offset1:4
	s_wait_loadcnt_dscnt 0x809
	ds_store_2addr_stride64_b32 v16, v18, v20 offset0:8 offset1:12
	s_wait_loadcnt_dscnt 0x608
	ds_store_2addr_stride64_b32 v16, v21, v22 offset0:16 offset1:20
	;; [unrolled: 2-line block ×5, first 2 shown]
	v_cndmask_b32_e64 v19, 0, 1, vcc_lo
	v_cmp_ne_u32_e32 vcc_lo, v2, v3
	s_wait_dscnt 0x0
	s_barrier_signal -1
	s_barrier_wait -1
	v_cndmask_b32_e64 v43, 0, 1, vcc_lo
	v_cmp_ne_u32_e32 vcc_lo, v3, v4
	ds_load_b128 v[22:25], v1
	ds_load_b128 v[26:29], v1 offset:16
	v_cndmask_b32_e64 v47, 0, 1, vcc_lo
	v_cmp_ne_u32_e32 vcc_lo, v4, v5
	v_cndmask_b32_e64 v45, 0, 1, vcc_lo
	v_cmp_ne_u32_e32 vcc_lo, v5, v10
	ds_load_b128 v[2:5], v1 offset:32
	v_cndmask_b32_e64 v49, 0, 1, vcc_lo
	v_cmp_ne_u32_e32 vcc_lo, v10, v11
	s_wait_dscnt 0x2
	v_dual_mov_b32 v18, v22 :: v_dual_mov_b32 v42, v23
	v_cndmask_b32_e64 v51, 0, 1, vcc_lo
	v_cmp_ne_u32_e32 vcc_lo, v11, v12
	v_dual_mov_b32 v46, v24 :: v_dual_mov_b32 v44, v25
	s_wait_dscnt 0x1
	v_dual_mov_b32 v48, v26 :: v_dual_mov_b32 v50, v27
	v_cndmask_b32_e64 v53, 0, 1, vcc_lo
	v_cmp_ne_u32_e32 vcc_lo, v12, v13
	v_dual_mov_b32 v52, v28 :: v_dual_mov_b32 v54, v29
	s_wait_dscnt 0x0
	v_dual_mov_b32 v56, v2 :: v_dual_mov_b32 v58, v3
	v_cndmask_b32_e64 v55, 0, 1, vcc_lo
	v_cmp_ne_u32_e32 vcc_lo, v13, v6
	v_mov_b64_e32 v[38:39], v[42:43]
	v_mov_b64_e32 v[36:37], v[46:47]
	;; [unrolled: 1-line block ×4, first 2 shown]
	v_cndmask_b32_e64 v57, 0, 1, vcc_lo
	v_cmp_ne_u32_e32 vcc_lo, v6, v7
	v_mov_b64_e32 v[30:31], v[50:51]
	v_mov_b64_e32 v[28:29], v[52:53]
	v_mov_b64_e32 v[26:27], v[54:55]
	v_mov_b64_e32 v[24:25], v[56:57]
	v_cndmask_b32_e64 v59, 0, 1, vcc_lo
	v_cmp_ne_u32_e32 vcc_lo, v7, v8
	v_mov_b32_e32 v20, v4
	s_delay_alu instid0(VALU_DEP_3)
	v_mov_b64_e32 v[22:23], v[58:59]
	v_cndmask_b32_e64 v21, 0, 1, vcc_lo
.LBB164_88:
	v_mov_b64_e32 v[40:41], 0
	s_and_saveexec_b32 s0, s1
	s_cbranch_execz .LBB164_90
; %bb.89:
	v_mov_b64_e32 v[22:23], v[58:59]
	v_mov_b64_e32 v[24:25], v[56:57]
	;; [unrolled: 1-line block ×9, first 2 shown]
	v_cndmask_b32_e64 v41, 0, 1, s3
	v_mov_b32_e32 v40, v5
.LBB164_90:
	s_or_b32 exec_lo, exec_lo, s0
	v_dual_lshrrev_b32 v1, 2, v0 :: v_dual_bitop2_b32 v42, v27, v25 bitop3:0x54
	v_or_b32_e32 v17, v23, v21
	s_cmp_lg_u32 s20, 0
	s_wait_dscnt 0x0
	v_cmp_gt_u32_e32 vcc_lo, 32, v0
	s_barrier_signal -1
	s_barrier_wait -1
	s_cbranch_scc0 .LBB164_140
; %bb.91:
	s_mov_b64 s[10:11], 0x100000000
	v_or3_b32 v3, v42, v29, v31
	v_cmp_gt_u64_e64 s0, s[10:11], v[38:39]
	v_cmp_gt_u64_e64 s1, s[10:11], v[36:37]
	;; [unrolled: 1-line block ×7, first 2 shown]
	v_dual_cndmask_b32 v2, 1, v18, s0 :: v_dual_bitop2_b32 v5, 56, v1 bitop3:0x40
	v_cmp_gt_u64_e64 s7, s[10:11], v[24:25]
	v_cmp_gt_u64_e64 s8, s[10:11], v[22:23]
	;; [unrolled: 1-line block ×3, first 2 shown]
	s_delay_alu instid0(VALU_DEP_4) | instskip(SKIP_2) | instid1(VALU_DEP_2)
	v_mul_lo_u32 v2, v2, v38
	v_or3_b32 v3, v3, v33, v35
	v_cmp_gt_u64_e64 s10, s[10:11], v[40:41]
	v_or3_b32 v3, v3, v37, v39
	s_delay_alu instid0(VALU_DEP_1) | instskip(SKIP_1) | instid1(VALU_DEP_2)
	v_or3_b32 v3, v41, v17, v3
	v_cndmask_b32_e64 v2, 1, v2, s1
	v_and_b32_e32 v3, 0xff, v3
	s_delay_alu instid0(VALU_DEP_2) | instskip(NEXT) | instid1(VALU_DEP_1)
	v_mul_lo_u32 v2, v2, v36
	v_cndmask_b32_e64 v2, 1, v2, s2
	s_delay_alu instid0(VALU_DEP_1) | instskip(NEXT) | instid1(VALU_DEP_1)
	v_mul_lo_u32 v2, v2, v34
	v_cndmask_b32_e64 v2, 1, v2, s3
	s_delay_alu instid0(VALU_DEP_1) | instskip(NEXT) | instid1(VALU_DEP_1)
	;; [unrolled: 3-line block ×8, first 2 shown]
	v_mul_lo_u32 v2, v2, v20
	v_dual_cndmask_b32 v4, 1, v2, s10 :: v_dual_mov_b32 v2, 0
	s_delay_alu instid0(VALU_DEP_1) | instskip(NEXT) | instid1(VALU_DEP_2)
	v_mul_lo_u32 v12, v4, v40
	v_cmp_eq_u64_e64 s11, 0, v[2:3]
	v_lshl_add_u32 v4, v0, 3, v5
	s_delay_alu instid0(VALU_DEP_2)
	v_cndmask_b32_e64 v13, 1, v19, s11
	ds_store_b32 v4, v12
	ds_store_b8 v4, v13 offset:4
	s_wait_dscnt 0x0
	s_barrier_signal -1
	s_barrier_wait -1
	s_and_saveexec_b32 s12, vcc_lo
	s_cbranch_execz .LBB164_103
; %bb.92:
	v_dual_lshlrev_b32 v2, 1, v0 :: v_dual_lshlrev_b32 v3, 6, v0
	s_mov_b32 s13, exec_lo
	s_delay_alu instid0(VALU_DEP_1) | instskip(NEXT) | instid1(VALU_DEP_1)
	v_and_b32_e32 v2, 0x1f8, v2
	v_add_nc_u32_e32 v4, v2, v3
	ds_load_u8 v5, v4 offset:12
	ds_load_b64 v[2:3], v4
	ds_load_2addr_b32 v[6:7], v4 offset0:2 offset1:4
	ds_load_u8 v10, v4 offset:20
	ds_load_u8 v11, v4 offset:28
	;; [unrolled: 1-line block ×5, first 2 shown]
	ds_load_b32 v44, v4 offset:56
	s_wait_dscnt 0x8
	v_cmp_eq_u16_e64 s11, 0, v5
	s_wait_dscnt 0x5
	s_delay_alu instid0(VALU_DEP_1)
	v_dual_cndmask_b32 v8, 1, v2, s11 :: v_dual_bitop2_b32 v5, v10, v5 bitop3:0x54
	v_cmp_eq_u16_e64 s11, 0, v10
	ds_load_u8 v45, v4 offset:60
	s_wait_dscnt 0x4
	v_bitop3_b16 v5, v5, v14, v11 bitop3:0xfe
	v_mul_lo_u32 v6, v8, v6
	ds_load_2addr_b32 v[8:9], v4 offset0:6 offset1:8
	v_cndmask_b32_e64 v6, 1, v6, s11
	v_cmp_eq_u16_e64 s11, 0, v11
	s_delay_alu instid0(VALU_DEP_2) | instskip(NEXT) | instid1(VALU_DEP_1)
	v_mul_lo_u32 v6, v6, v7
	v_cndmask_b32_e64 v6, 1, v6, s11
	v_cmp_eq_u16_e64 s11, 0, v14
	s_wait_dscnt 0x0
	s_delay_alu instid0(VALU_DEP_2) | instskip(NEXT) | instid1(VALU_DEP_1)
	v_mul_lo_u32 v6, v6, v8
	v_cndmask_b32_e64 v8, 1, v6, s11
	ds_load_2addr_b32 v[6:7], v4 offset0:10 offset1:12
	v_cmp_eq_u16_e64 s11, 0, v15
	v_mul_lo_u32 v8, v8, v9
	s_delay_alu instid0(VALU_DEP_1) | instskip(SKIP_2) | instid1(VALU_DEP_2)
	v_cndmask_b32_e64 v8, 1, v8, s11
	v_cmp_eq_u16_e64 s11, 0, v43
	s_wait_dscnt 0x0
	v_mul_lo_u32 v6, v8, v6
	v_bitop3_b16 v8, v5, v43, v15 bitop3:0xfe
	s_delay_alu instid0(VALU_DEP_2) | instskip(NEXT) | instid1(VALU_DEP_2)
	v_cndmask_b32_e64 v6, 1, v6, s11
	v_cmp_eq_u16_e64 s11, 0, v8
	s_delay_alu instid0(VALU_DEP_2) | instskip(SKIP_2) | instid1(VALU_DEP_2)
	v_mul_lo_u32 v6, v6, v7
	v_and_b32_e32 v5, 1, v3
	v_and_b32_e32 v7, 1, v45
	v_cndmask_b32_e64 v8, 1, v5, s11
	s_delay_alu instid0(VALU_DEP_2) | instskip(NEXT) | instid1(VALU_DEP_1)
	v_cmp_eq_u32_e64 s11, 1, v7
	v_cndmask_b32_e64 v9, v8, 1, s11
	v_cmp_eq_u16_e64 s11, 0, v45
	v_mbcnt_lo_u32_b32 v8, -1, 0
	s_delay_alu instid0(VALU_DEP_3) | instskip(NEXT) | instid1(VALU_DEP_3)
	v_and_b32_e32 v10, 0xffff, v9
	v_cndmask_b32_e64 v7, 1, v6, s11
	v_and_b32_e32 v6, 0xffffff00, v3
	s_delay_alu instid0(VALU_DEP_2) | instskip(NEXT) | instid1(VALU_DEP_2)
	v_mul_lo_u32 v7, v7, v44
	v_or_b32_e32 v11, v6, v10
	v_and_b32_e32 v10, 15, v8
	s_delay_alu instid0(VALU_DEP_2) | instskip(NEXT) | instid1(VALU_DEP_4)
	v_mov_b32_dpp v15, v11 row_shr:1 row_mask:0xf bank_mask:0xf
	v_mov_b32_dpp v14, v7 row_shr:1 row_mask:0xf bank_mask:0xf
	s_delay_alu instid0(VALU_DEP_3)
	v_cmpx_ne_u32_e32 0, v10
	s_cbranch_execz .LBB164_94
; %bb.93:
	v_cmp_eq_u16_e64 s11, 0, v9
	v_and_b32_e32 v11, 1, v9
	s_delay_alu instid0(VALU_DEP_2) | instskip(NEXT) | instid1(VALU_DEP_2)
	v_dual_cndmask_b32 v14, 1, v14, s11 :: v_dual_bitop2_b32 v15, 1, v15 bitop3:0x40
	v_cmp_eq_u32_e64 s11, 1, v11
	s_delay_alu instid0(VALU_DEP_2) | instskip(NEXT) | instid1(VALU_DEP_2)
	v_mul_lo_u32 v7, v14, v7
	v_cndmask_b32_e64 v9, v15, 1, s11
	s_delay_alu instid0(VALU_DEP_1) | instskip(NEXT) | instid1(VALU_DEP_1)
	v_and_b32_e32 v11, 0xffff, v9
	v_or_b32_e32 v11, v6, v11
.LBB164_94:
	s_or_b32 exec_lo, exec_lo, s13
	s_delay_alu instid0(VALU_DEP_2) | instskip(NEXT) | instid1(VALU_DEP_2)
	v_mov_b32_dpp v14, v7 row_shr:2 row_mask:0xf bank_mask:0xf
	v_mov_b32_dpp v15, v11 row_shr:2 row_mask:0xf bank_mask:0xf
	s_mov_b32 s13, exec_lo
	v_cmpx_lt_u32_e32 1, v10
	s_cbranch_execz .LBB164_96
; %bb.95:
	v_cmp_eq_u16_e64 s11, 0, v9
	v_and_b32_e32 v11, 1, v9
	s_delay_alu instid0(VALU_DEP_2) | instskip(NEXT) | instid1(VALU_DEP_2)
	v_dual_cndmask_b32 v14, 1, v14, s11 :: v_dual_bitop2_b32 v15, 1, v15 bitop3:0x40
	v_cmp_eq_u32_e64 s11, 1, v11
	s_delay_alu instid0(VALU_DEP_2) | instskip(NEXT) | instid1(VALU_DEP_2)
	v_mul_lo_u32 v7, v14, v7
	v_cndmask_b32_e64 v9, v15, 1, s11
	s_delay_alu instid0(VALU_DEP_1) | instskip(NEXT) | instid1(VALU_DEP_1)
	v_and_b32_e32 v11, 0xffff, v9
	v_or_b32_e32 v11, v6, v11
.LBB164_96:
	s_or_b32 exec_lo, exec_lo, s13
	s_delay_alu instid0(VALU_DEP_4) | instskip(NEXT) | instid1(VALU_DEP_2)
	v_mov_b32_dpp v14, v7 row_shr:4 row_mask:0xf bank_mask:0xf
	v_mov_b32_dpp v15, v11 row_shr:4 row_mask:0xf bank_mask:0xf
	s_mov_b32 s13, exec_lo
	v_cmpx_lt_u32_e32 3, v10
	s_cbranch_execz .LBB164_98
; %bb.97:
	v_cmp_eq_u16_e64 s11, 0, v9
	v_and_b32_e32 v11, 1, v9
	s_delay_alu instid0(VALU_DEP_2) | instskip(NEXT) | instid1(VALU_DEP_2)
	v_dual_cndmask_b32 v14, 1, v14, s11 :: v_dual_bitop2_b32 v15, 1, v15 bitop3:0x40
	v_cmp_eq_u32_e64 s11, 1, v11
	s_delay_alu instid0(VALU_DEP_2) | instskip(NEXT) | instid1(VALU_DEP_2)
	v_mul_lo_u32 v7, v14, v7
	v_cndmask_b32_e64 v9, v15, 1, s11
	s_delay_alu instid0(VALU_DEP_1) | instskip(NEXT) | instid1(VALU_DEP_1)
	v_and_b32_e32 v11, 0xffff, v9
	v_or_b32_e32 v11, v6, v11
.LBB164_98:
	s_or_b32 exec_lo, exec_lo, s13
	s_delay_alu instid0(VALU_DEP_4) | instskip(NEXT) | instid1(VALU_DEP_2)
	v_mov_b32_dpp v14, v7 row_shr:8 row_mask:0xf bank_mask:0xf
	v_mov_b32_dpp v15, v11 row_shr:8 row_mask:0xf bank_mask:0xf
	s_mov_b32 s13, exec_lo
	v_cmpx_lt_u32_e32 7, v10
	s_cbranch_execz .LBB164_100
; %bb.99:
	v_cmp_eq_u16_e64 s11, 0, v9
	v_and_b32_e32 v10, 1, v9
	s_delay_alu instid0(VALU_DEP_2) | instskip(NEXT) | instid1(VALU_DEP_2)
	v_dual_cndmask_b32 v14, 1, v14, s11 :: v_dual_bitop2_b32 v11, 1, v15 bitop3:0x40
	v_cmp_eq_u32_e64 s11, 1, v10
	s_delay_alu instid0(VALU_DEP_2) | instskip(NEXT) | instid1(VALU_DEP_2)
	v_mul_lo_u32 v7, v14, v7
	v_cndmask_b32_e64 v9, v11, 1, s11
	s_delay_alu instid0(VALU_DEP_1) | instskip(NEXT) | instid1(VALU_DEP_1)
	v_and_b32_e32 v10, 0xffff, v9
	v_or_b32_e32 v11, v6, v10
.LBB164_100:
	s_or_b32 exec_lo, exec_lo, s13
	ds_swizzle_b32 v14, v7 offset:swizzle(BROADCAST,32,15)
	ds_swizzle_b32 v10, v11 offset:swizzle(BROADCAST,32,15)
	v_and_b32_e32 v11, 16, v8
	s_mov_b32 s13, exec_lo
	s_delay_alu instid0(VALU_DEP_1)
	v_cmpx_ne_u32_e32 0, v11
	s_cbranch_execz .LBB164_102
; %bb.101:
	v_cmp_eq_u16_e64 s11, 0, v9
	s_wait_dscnt 0x0
	v_and_b32_e32 v10, 1, v10
	s_delay_alu instid0(VALU_DEP_2) | instskip(NEXT) | instid1(VALU_DEP_1)
	v_dual_cndmask_b32 v11, 1, v14, s11 :: v_dual_bitop2_b32 v9, 1, v9 bitop3:0x40
	v_cmp_eq_u32_e64 s11, 1, v9
	s_delay_alu instid0(VALU_DEP_2) | instskip(NEXT) | instid1(VALU_DEP_2)
	v_mul_lo_u32 v7, v11, v7
	v_cndmask_b32_e64 v9, v10, 1, s11
.LBB164_102:
	s_or_b32 exec_lo, exec_lo, s13
	s_wait_dscnt 0x0
	v_add_nc_u32_e32 v10, -1, v8
	s_delay_alu instid0(VALU_DEP_2) | instskip(SKIP_1) | instid1(VALU_DEP_3)
	v_and_b32_e32 v9, 0xffff, v9
	v_and_b32_e32 v3, 0xff, v3
	; wave barrier
	v_cmp_gt_i32_e64 s11, 0, v10
	s_delay_alu instid0(VALU_DEP_3) | instskip(NEXT) | instid1(VALU_DEP_2)
	v_or_b32_e32 v6, v6, v9
	v_cndmask_b32_e64 v8, v10, v8, s11
	s_delay_alu instid0(VALU_DEP_4) | instskip(NEXT) | instid1(VALU_DEP_2)
	v_cmp_eq_u16_e64 s11, 0, v3
	v_lshlrev_b32_e32 v8, 2, v8
	ds_bpermute_b32 v7, v8, v7
	ds_bpermute_b32 v6, v8, v6
	s_wait_dscnt 0x1
	v_cndmask_b32_e64 v3, 1, v7, s11
	v_cmp_eq_u32_e64 s11, 1, v5
	s_delay_alu instid0(VALU_DEP_2) | instskip(SKIP_2) | instid1(VALU_DEP_1)
	v_mul_lo_u32 v2, v3, v2
	s_wait_dscnt 0x0
	v_and_b32_e32 v3, 1, v6
	v_cndmask_b32_e64 v3, v3, 1, s11
	v_cmp_eq_u32_e64 s11, 0, v0
	s_delay_alu instid0(VALU_DEP_1)
	v_dual_cndmask_b32 v8, v3, v13, s11 :: v_dual_cndmask_b32 v5, v2, v12, s11
	ds_store_b32 v4, v5
	ds_store_b8 v4, v8 offset:4
	; wave barrier
	ds_load_u8 v9, v4 offset:12
	ds_load_2addr_b32 v[2:3], v4 offset0:2 offset1:4
	ds_load_u8 v10, v4 offset:20
	ds_load_u8 v11, v4 offset:28
	;; [unrolled: 1-line block ×5, first 2 shown]
	ds_load_b32 v44, v4 offset:56
	ds_load_u8 v45, v4 offset:60
	ds_load_2addr_b32 v[6:7], v4 offset0:6 offset1:8
	s_wait_dscnt 0x9
	v_cmp_eq_u16_e64 s11, 0, v9
	s_delay_alu instid0(VALU_DEP_1) | instskip(SKIP_3) | instid1(VALU_DEP_3)
	v_cndmask_b32_e64 v5, 1, v5, s11
	s_wait_dscnt 0x7
	v_cmp_eq_u16_e64 s11, 0, v10
	v_and_b32_e32 v10, 1, v10
	v_mul_lo_u32 v5, v5, v2
	s_delay_alu instid0(VALU_DEP_1) | instskip(SKIP_2) | instid1(VALU_DEP_2)
	v_cndmask_b32_e64 v2, 1, v5, s11
	s_wait_dscnt 0x6
	v_cmp_eq_u16_e64 s11, 0, v11
	v_mul_lo_u32 v46, v2, v3
	s_delay_alu instid0(VALU_DEP_1)
	v_cndmask_b32_e64 v2, 1, v46, s11
	s_wait_dscnt 0x5
	v_cmp_eq_u16_e64 s11, 0, v14
	ds_store_2addr_b32 v4, v5, v46 offset0:2 offset1:4
	s_wait_dscnt 0x1
	v_mul_lo_u32 v6, v2, v6
	ds_load_2addr_b32 v[2:3], v4 offset0:10 offset1:12
	v_cndmask_b32_e64 v47, 1, v6, s11
	v_cmp_eq_u16_e64 s11, 0, v15
	s_delay_alu instid0(VALU_DEP_2) | instskip(NEXT) | instid1(VALU_DEP_1)
	v_mul_lo_u32 v7, v47, v7
	v_cndmask_b32_e64 v47, 1, v7, s11
	s_wait_dscnt 0x0
	s_delay_alu instid0(VALU_DEP_1) | instskip(SKIP_1) | instid1(VALU_DEP_1)
	v_mul_lo_u32 v2, v47, v2
	v_and_b32_e32 v9, 1, v9
	v_cmp_eq_u32_e64 s11, 1, v9
	v_and_b32_e32 v9, 1, v11
	s_delay_alu instid0(VALU_DEP_2) | instskip(SKIP_1) | instid1(VALU_DEP_1)
	v_cndmask_b32_e64 v8, v8, 1, s11
	v_cmp_eq_u32_e64 s11, 1, v10
	v_cndmask_b32_e64 v10, v8, 1, s11
	v_cmp_eq_u16_e64 s11, 0, v43
	s_delay_alu instid0(VALU_DEP_1) | instskip(SKIP_1) | instid1(VALU_DEP_2)
	v_cndmask_b32_e64 v11, 1, v2, s11
	v_cmp_eq_u32_e64 s11, 1, v9
	v_mul_lo_u32 v3, v11, v3
	v_and_b32_e32 v14, 1, v14
	s_delay_alu instid0(VALU_DEP_3) | instskip(SKIP_4) | instid1(VALU_DEP_1)
	v_cndmask_b32_e64 v9, v10, 1, s11
	v_and_b32_e32 v11, 1, v15
	v_and_b32_e32 v15, 1, v43
	v_and_b32_e32 v43, 1, v45
	v_cmp_eq_u32_e64 s11, 1, v14
	v_cndmask_b32_e64 v14, v9, 1, s11
	v_cmp_eq_u32_e64 s11, 1, v11
	s_delay_alu instid0(VALU_DEP_1) | instskip(SKIP_1) | instid1(VALU_DEP_1)
	v_cndmask_b32_e64 v11, v14, 1, s11
	v_cmp_eq_u16_e64 s11, 0, v45
	v_cndmask_b32_e64 v45, 1, v3, s11
	v_cmp_eq_u32_e64 s11, 1, v15
	s_delay_alu instid0(VALU_DEP_2) | instskip(NEXT) | instid1(VALU_DEP_2)
	v_mul_lo_u32 v5, v45, v44
	v_cndmask_b32_e64 v15, v11, 1, s11
	v_cmp_eq_u32_e64 s11, 1, v43
	s_delay_alu instid0(VALU_DEP_1)
	v_cndmask_b32_e64 v43, v15, 1, s11
	ds_store_2addr_b32 v4, v6, v7 offset0:6 offset1:8
	ds_store_2addr_b32 v4, v2, v3 offset0:10 offset1:12
	ds_store_b8 v4, v8 offset:12
	ds_store_b8 v4, v10 offset:20
	ds_store_b8 v4, v9 offset:28
	ds_store_b8 v4, v14 offset:36
	ds_store_b8 v4, v11 offset:44
	ds_store_b8 v4, v15 offset:52
	ds_store_b32 v4, v5 offset:56
	ds_store_b8 v4, v43 offset:60
.LBB164_103:
	s_or_b32 exec_lo, exec_lo, s12
	v_cmp_eq_u32_e64 s12, 0, v0
	v_cmp_ne_u32_e64 s11, 0, v0
	s_wait_dscnt 0x0
	s_barrier_signal -1
	s_barrier_wait -1
	s_and_saveexec_b32 s13, s11
	s_cbranch_execz .LBB164_105
; %bb.104:
	v_add_nc_u32_e32 v2, -1, v0
	s_delay_alu instid0(VALU_DEP_1) | instskip(NEXT) | instid1(VALU_DEP_1)
	v_lshrrev_b32_e32 v3, 2, v2
	v_and_b32_e32 v3, 0x3ffffff8, v3
	s_delay_alu instid0(VALU_DEP_1)
	v_lshl_add_u32 v2, v2, 3, v3
	ds_load_b32 v12, v2
	ds_load_u8 v13, v2 offset:4
.LBB164_105:
	s_or_b32 exec_lo, exec_lo, s13
	s_and_saveexec_b32 s30, vcc_lo
	s_cbranch_execz .LBB164_185
; %bb.106:
	v_mov_b32_e32 v5, 0
	v_mbcnt_lo_u32_b32 v14, -1, 0
	s_mov_b32 s23, 0
	ds_load_b64 v[2:3], v5 offset:2096
	v_cmp_eq_u32_e64 s13, 0, v14
	s_and_saveexec_b32 s31, s13
	s_cbranch_execz .LBB164_108
; %bb.107:
	s_add_co_i32 s22, s20, 32
	v_mov_b32_e32 v4, 1
	s_lshl_b64 s[22:23], s[22:23], 4
	s_delay_alu instid0(SALU_CYCLE_1) | instskip(NEXT) | instid1(SALU_CYCLE_1)
	s_add_nc_u64 s[22:23], s[24:25], s[22:23]
	v_mov_b64_e32 v[6:7], s[22:23]
	s_wait_dscnt 0x0
	;;#ASMSTART
	global_store_b128 v[6:7], v[2:5] off scope:SCOPE_DEV	
s_wait_storecnt 0x0
	;;#ASMEND
.LBB164_108:
	s_or_b32 exec_lo, exec_lo, s31
	v_xad_u32 v8, v14, -1, s20
	s_mov_b32 s22, exec_lo
	s_delay_alu instid0(VALU_DEP_1) | instskip(NEXT) | instid1(VALU_DEP_1)
	v_add_nc_u32_e32 v4, 32, v8
	v_lshl_add_u64 v[10:11], v[4:5], 4, s[24:25]
	;;#ASMSTART
	global_load_b128 v[4:7], v[10:11] off scope:SCOPE_DEV	
s_wait_loadcnt 0x0
	;;#ASMEND
	v_and_b32_e32 v7, 0xff, v6
	v_and_b32_e32 v5, 0xff, v5
	s_delay_alu instid0(VALU_DEP_2)
	v_cmpx_eq_u16_e32 0, v7
	s_cbranch_execz .LBB164_112
; %bb.109:
	s_mov_b32 s23, 0
.LBB164_110:                            ; =>This Inner Loop Header: Depth=1
	;;#ASMSTART
	global_load_b128 v[4:7], v[10:11] off scope:SCOPE_DEV	
s_wait_loadcnt 0x0
	;;#ASMEND
	v_and_b32_e32 v7, 0xff, v6
	s_delay_alu instid0(VALU_DEP_1) | instskip(SKIP_1) | instid1(SALU_CYCLE_1)
	v_cmp_ne_u16_e32 vcc_lo, 0, v7
	s_or_b32 s23, vcc_lo, s23
	s_and_not1_b32 exec_lo, exec_lo, s23
	s_cbranch_execnz .LBB164_110
; %bb.111:
	s_or_b32 exec_lo, exec_lo, s23
	v_and_b32_e32 v5, 0xff, v5
.LBB164_112:
	s_or_b32 exec_lo, exec_lo, s22
	v_cmp_ne_u32_e32 vcc_lo, 31, v14
	v_and_b32_e32 v9, 0xff, v6
	v_lshlrev_b32_e64 v43, v14, -1
	s_mov_b32 s22, exec_lo
	v_add_co_ci_u32_e64 v7, null, 0, v14, vcc_lo
	s_delay_alu instid0(VALU_DEP_3) | instskip(NEXT) | instid1(VALU_DEP_2)
	v_cmp_eq_u16_e32 vcc_lo, 2, v9
	v_dual_mov_b32 v9, v5 :: v_dual_lshlrev_b32 v15, 2, v7
	v_and_or_b32 v7, vcc_lo, v43, 0x80000000
	ds_bpermute_b32 v11, v15, v4
	ds_bpermute_b32 v10, v15, v5
	v_ctz_i32_b32_e32 v7, v7
	s_delay_alu instid0(VALU_DEP_1)
	v_cmpx_lt_u32_e64 v14, v7
	s_cbranch_execz .LBB164_114
; %bb.113:
	s_mov_b64 s[36:37], 0x100000000
	s_wait_dscnt 0x0
	v_and_b32_e32 v10, 1, v10
	v_cmp_gt_u64_e32 vcc_lo, s[36:37], v[4:5]
	v_dual_cndmask_b32 v9, 1, v11, vcc_lo :: v_dual_bitop2_b32 v5, 1, v5 bitop3:0x40
	s_delay_alu instid0(VALU_DEP_1) | instskip(NEXT) | instid1(VALU_DEP_2)
	v_cmp_eq_u32_e32 vcc_lo, 1, v5
	v_mul_lo_u32 v4, v9, v4
	v_cndmask_b32_e64 v5, v10, 1, vcc_lo
	s_delay_alu instid0(VALU_DEP_1)
	v_and_b32_e32 v9, 0xffff, v5
.LBB164_114:
	s_or_b32 exec_lo, exec_lo, s22
	v_cmp_gt_u32_e32 vcc_lo, 30, v14
	v_add_nc_u32_e32 v45, 2, v14
	s_mov_b32 s22, exec_lo
	s_wait_dscnt 0x0
	v_cndmask_b32_e64 v10, 0, 2, vcc_lo
	s_delay_alu instid0(VALU_DEP_1)
	v_add_lshl_u32 v44, v10, v14, 2
	ds_bpermute_b32 v11, v44, v4
	ds_bpermute_b32 v10, v44, v9
	v_cmpx_le_u32_e64 v45, v7
	s_cbranch_execz .LBB164_116
; %bb.115:
	v_cmp_eq_u16_e32 vcc_lo, 0, v5
	s_wait_dscnt 0x0
	v_and_b32_e32 v10, 1, v10
	v_dual_cndmask_b32 v9, 1, v11, vcc_lo :: v_dual_bitop2_b32 v5, 1, v5 bitop3:0x40
	s_delay_alu instid0(VALU_DEP_1) | instskip(NEXT) | instid1(VALU_DEP_2)
	v_cmp_eq_u32_e32 vcc_lo, 1, v5
	v_mul_lo_u32 v4, v9, v4
	s_delay_alu instid0(VALU_DEP_4) | instskip(NEXT) | instid1(VALU_DEP_1)
	v_cndmask_b32_e64 v5, v10, 1, vcc_lo
	v_and_b32_e32 v9, 0xffff, v5
.LBB164_116:
	s_or_b32 exec_lo, exec_lo, s22
	v_cmp_gt_u32_e32 vcc_lo, 28, v14
	v_add_nc_u32_e32 v47, 4, v14
	s_mov_b32 s22, exec_lo
	s_wait_dscnt 0x0
	v_cndmask_b32_e64 v10, 0, 4, vcc_lo
	s_delay_alu instid0(VALU_DEP_1)
	v_add_lshl_u32 v46, v10, v14, 2
	ds_bpermute_b32 v11, v46, v4
	ds_bpermute_b32 v10, v46, v9
	v_cmpx_le_u32_e64 v47, v7
	s_cbranch_execz .LBB164_118
; %bb.117:
	v_cmp_eq_u16_e32 vcc_lo, 0, v5
	s_wait_dscnt 0x0
	v_and_b32_e32 v10, 1, v10
	v_dual_cndmask_b32 v9, 1, v11, vcc_lo :: v_dual_bitop2_b32 v5, 1, v5 bitop3:0x40
	s_delay_alu instid0(VALU_DEP_1) | instskip(NEXT) | instid1(VALU_DEP_2)
	v_cmp_eq_u32_e32 vcc_lo, 1, v5
	v_mul_lo_u32 v4, v9, v4
	s_delay_alu instid0(VALU_DEP_4) | instskip(NEXT) | instid1(VALU_DEP_1)
	v_cndmask_b32_e64 v5, v10, 1, vcc_lo
	v_and_b32_e32 v9, 0xffff, v5
.LBB164_118:
	;; [unrolled: 24-line block ×3, first 2 shown]
	s_or_b32 exec_lo, exec_lo, s22
	v_lshl_or_b32 v52, v14, 2, 64
	v_add_nc_u32_e32 v53, 16, v14
	s_mov_b32 s22, exec_lo
	s_wait_dscnt 0x0
	ds_bpermute_b32 v10, v52, v4
	ds_bpermute_b32 v9, v52, v9
	v_cmpx_le_u32_e64 v53, v7
	s_cbranch_execz .LBB164_122
; %bb.121:
	v_cmp_eq_u16_e32 vcc_lo, 0, v5
	s_wait_dscnt 0x1
	v_dual_cndmask_b32 v7, 1, v10, vcc_lo :: v_dual_bitop2_b32 v5, 1, v5 bitop3:0x40
	s_delay_alu instid0(VALU_DEP_1) | instskip(NEXT) | instid1(VALU_DEP_2)
	v_cmp_eq_u32_e32 vcc_lo, 1, v5
	v_mul_lo_u32 v4, v7, v4
	s_wait_dscnt 0x0
	v_and_b32_e32 v7, 1, v9
	s_delay_alu instid0(VALU_DEP_1)
	v_cndmask_b32_e64 v5, v7, 1, vcc_lo
.LBB164_122:
	s_or_b32 exec_lo, exec_lo, s22
	s_wait_dscnt 0x0
	v_mov_b32_e32 v9, 0
	s_mov_b64 s[22:23], 0x100000000
	s_branch .LBB164_125
.LBB164_123:                            ;   in Loop: Header=BB164_125 Depth=1
	s_or_b32 exec_lo, exec_lo, s31
	v_and_b32_e32 v7, 0xff, v50
	s_delay_alu instid0(VALU_DEP_2) | instskip(SKIP_2) | instid1(VALU_DEP_3)
	v_and_b32_e32 v5, 1, v5
	v_subrev_nc_u32_e32 v8, 32, v8
	s_mov_b32 s31, 0
	v_cmp_eq_u16_e32 vcc_lo, 0, v7
	v_dual_cndmask_b32 v4, 1, v4, vcc_lo :: v_dual_bitop2_b32 v7, 1, v50 bitop3:0x40
	s_delay_alu instid0(VALU_DEP_1) | instskip(NEXT) | instid1(VALU_DEP_2)
	v_cmp_eq_u32_e32 vcc_lo, 1, v7
	v_mul_lo_u32 v4, v4, v51
	v_cndmask_b32_e64 v5, v5, 1, vcc_lo
.LBB164_124:                            ;   in Loop: Header=BB164_125 Depth=1
	s_and_b32 vcc_lo, exec_lo, s31
	s_cbranch_vccnz .LBB164_181
.LBB164_125:                            ; =>This Loop Header: Depth=1
                                        ;     Child Loop BB164_128 Depth 2
	v_and_b32_e32 v6, 0xff, v6
	s_delay_alu instid0(VALU_DEP_2) | instskip(SKIP_1) | instid1(VALU_DEP_2)
	v_dual_mov_b32 v50, v5 :: v_dual_mov_b32 v51, v4
	s_mov_b32 s31, -1
	v_cmp_ne_u16_e32 vcc_lo, 2, v6
                                        ; implicit-def: $vgpr5
	s_cmp_lg_u32 vcc_lo, exec_lo
	s_cbranch_scc1 .LBB164_124
; %bb.126:                              ;   in Loop: Header=BB164_125 Depth=1
	s_wait_dscnt 0x0
	v_lshl_add_u64 v[10:11], v[8:9], 4, s[24:25]
	;;#ASMSTART
	global_load_b128 v[4:7], v[10:11] off scope:SCOPE_DEV	
s_wait_loadcnt 0x0
	;;#ASMEND
	v_and_b32_e32 v7, 0xff, v6
	v_and_b32_e32 v5, 0xff, v5
	s_mov_b32 s31, exec_lo
	s_delay_alu instid0(VALU_DEP_2)
	v_cmpx_eq_u16_e32 0, v7
	s_cbranch_execz .LBB164_130
; %bb.127:                              ;   in Loop: Header=BB164_125 Depth=1
	s_mov_b32 s33, 0
.LBB164_128:                            ;   Parent Loop BB164_125 Depth=1
                                        ; =>  This Inner Loop Header: Depth=2
	;;#ASMSTART
	global_load_b128 v[4:7], v[10:11] off scope:SCOPE_DEV	
s_wait_loadcnt 0x0
	;;#ASMEND
	v_and_b32_e32 v7, 0xff, v6
	s_delay_alu instid0(VALU_DEP_1) | instskip(SKIP_1) | instid1(SALU_CYCLE_1)
	v_cmp_ne_u16_e32 vcc_lo, 0, v7
	s_or_b32 s33, vcc_lo, s33
	s_and_not1_b32 exec_lo, exec_lo, s33
	s_cbranch_execnz .LBB164_128
; %bb.129:                              ;   in Loop: Header=BB164_125 Depth=1
	s_or_b32 exec_lo, exec_lo, s33
	v_and_b32_e32 v5, 0xff, v5
.LBB164_130:                            ;   in Loop: Header=BB164_125 Depth=1
	s_or_b32 exec_lo, exec_lo, s31
	v_and_b32_e32 v7, 0xff, v6
	ds_bpermute_b32 v54, v15, v4
	ds_bpermute_b32 v11, v15, v5
	v_mov_b32_e32 v10, v5
	s_mov_b32 s31, exec_lo
	v_cmp_eq_u16_e32 vcc_lo, 2, v7
	v_and_or_b32 v7, vcc_lo, v43, 0x80000000
	s_delay_alu instid0(VALU_DEP_1) | instskip(NEXT) | instid1(VALU_DEP_1)
	v_ctz_i32_b32_e32 v7, v7
	v_cmpx_lt_u32_e64 v14, v7
	s_cbranch_execz .LBB164_132
; %bb.131:                              ;   in Loop: Header=BB164_125 Depth=1
	v_cmp_gt_u64_e32 vcc_lo, s[22:23], v[4:5]
	s_wait_dscnt 0x0
	v_and_b32_e32 v11, 1, v11
	v_dual_cndmask_b32 v10, 1, v54, vcc_lo :: v_dual_bitop2_b32 v5, 1, v5 bitop3:0x40
	s_delay_alu instid0(VALU_DEP_1) | instskip(NEXT) | instid1(VALU_DEP_2)
	v_cmp_eq_u32_e32 vcc_lo, 1, v5
	v_mul_lo_u32 v4, v10, v4
	s_delay_alu instid0(VALU_DEP_4) | instskip(NEXT) | instid1(VALU_DEP_1)
	v_cndmask_b32_e64 v5, v11, 1, vcc_lo
	v_and_b32_e32 v10, 0xffff, v5
.LBB164_132:                            ;   in Loop: Header=BB164_125 Depth=1
	s_or_b32 exec_lo, exec_lo, s31
	s_wait_dscnt 0x1
	ds_bpermute_b32 v54, v44, v4
	s_wait_dscnt 0x1
	ds_bpermute_b32 v11, v44, v10
	s_mov_b32 s31, exec_lo
	v_cmpx_le_u32_e64 v45, v7
	s_cbranch_execz .LBB164_134
; %bb.133:                              ;   in Loop: Header=BB164_125 Depth=1
	v_cmp_eq_u16_e32 vcc_lo, 0, v5
	s_wait_dscnt 0x0
	v_and_b32_e32 v11, 1, v11
	v_dual_cndmask_b32 v10, 1, v54, vcc_lo :: v_dual_bitop2_b32 v5, 1, v5 bitop3:0x40
	s_delay_alu instid0(VALU_DEP_1) | instskip(NEXT) | instid1(VALU_DEP_2)
	v_cmp_eq_u32_e32 vcc_lo, 1, v5
	v_mul_lo_u32 v4, v10, v4
	s_delay_alu instid0(VALU_DEP_4) | instskip(NEXT) | instid1(VALU_DEP_1)
	v_cndmask_b32_e64 v5, v11, 1, vcc_lo
	v_and_b32_e32 v10, 0xffff, v5
.LBB164_134:                            ;   in Loop: Header=BB164_125 Depth=1
	s_or_b32 exec_lo, exec_lo, s31
	s_wait_dscnt 0x1
	ds_bpermute_b32 v54, v46, v4
	s_wait_dscnt 0x1
	ds_bpermute_b32 v11, v46, v10
	s_mov_b32 s31, exec_lo
	v_cmpx_le_u32_e64 v47, v7
	s_cbranch_execz .LBB164_136
; %bb.135:                              ;   in Loop: Header=BB164_125 Depth=1
	v_cmp_eq_u16_e32 vcc_lo, 0, v5
	s_wait_dscnt 0x0
	v_and_b32_e32 v11, 1, v11
	v_dual_cndmask_b32 v10, 1, v54, vcc_lo :: v_dual_bitop2_b32 v5, 1, v5 bitop3:0x40
	s_delay_alu instid0(VALU_DEP_1) | instskip(NEXT) | instid1(VALU_DEP_2)
	v_cmp_eq_u32_e32 vcc_lo, 1, v5
	v_mul_lo_u32 v4, v10, v4
	s_delay_alu instid0(VALU_DEP_4) | instskip(NEXT) | instid1(VALU_DEP_1)
	v_cndmask_b32_e64 v5, v11, 1, vcc_lo
	v_and_b32_e32 v10, 0xffff, v5
.LBB164_136:                            ;   in Loop: Header=BB164_125 Depth=1
	;; [unrolled: 20-line block ×3, first 2 shown]
	s_or_b32 exec_lo, exec_lo, s31
	s_wait_dscnt 0x0
	ds_bpermute_b32 v11, v52, v4
	ds_bpermute_b32 v10, v52, v10
	s_mov_b32 s31, exec_lo
	v_cmpx_le_u32_e64 v53, v7
	s_cbranch_execz .LBB164_123
; %bb.139:                              ;   in Loop: Header=BB164_125 Depth=1
	v_cmp_eq_u16_e32 vcc_lo, 0, v5
	s_wait_dscnt 0x1
	v_dual_cndmask_b32 v7, 1, v11, vcc_lo :: v_dual_bitop2_b32 v5, 1, v5 bitop3:0x40
	s_delay_alu instid0(VALU_DEP_1) | instskip(NEXT) | instid1(VALU_DEP_2)
	v_cmp_eq_u32_e32 vcc_lo, 1, v5
	v_mul_lo_u32 v4, v7, v4
	s_wait_dscnt 0x0
	v_cndmask_b32_e64 v5, v10, 1, vcc_lo
	s_branch .LBB164_123
.LBB164_140:
                                        ; implicit-def: $vgpr13
                                        ; implicit-def: $vgpr5
                                        ; implicit-def: $vgpr9
                                        ; implicit-def: $vgpr14_vgpr15
	s_cbranch_execnz .LBB164_188
.LBB164_141:
	s_add_nc_u64 s[0:1], s[14:15], s[34:35]
	s_and_b32 vcc_lo, exec_lo, s21
	s_add_nc_u64 s[0:1], s[0:1], s[16:17]
	s_cbranch_vccz .LBB164_207
.LBB164_142:
	v_mul_u32_u24_e32 v1, 12, v0
	s_add_co_i32 s27, s27, s26
	s_mov_b32 s2, exec_lo
	s_delay_alu instid0(VALU_DEP_1)
	v_cmpx_gt_u32_e64 s27, v1
	s_cbranch_execz .LBB164_158
; %bb.143:
	v_or_b32_e32 v17, 1, v1
	s_mov_b32 s3, exec_lo
	s_delay_alu instid0(VALU_DEP_1)
	v_cmpx_gt_u32_e64 s27, v17
	s_cbranch_execz .LBB164_157
; %bb.144:
	v_or_b32_e32 v17, 2, v1
	;; [unrolled: 6-line block ×3, first 2 shown]
	s_mov_b32 s5, exec_lo
	s_delay_alu instid0(VALU_DEP_1)
	v_cmpx_gt_u32_e64 s27, v17
	s_cbranch_execz .LBB164_155
; %bb.146:
	v_add_nc_u32_e32 v17, 4, v1
	s_mov_b32 s6, exec_lo
	s_delay_alu instid0(VALU_DEP_1)
	v_cmpx_gt_u32_e64 s27, v17
	s_cbranch_execz .LBB164_154
; %bb.147:
	v_add_nc_u32_e32 v17, 5, v1
	;; [unrolled: 6-line block ×4, first 2 shown]
	s_mov_b32 s9, exec_lo
	s_delay_alu instid0(VALU_DEP_1)
	v_cmpx_gt_u32_e64 s27, v17
; %bb.150:
	v_add_nc_u32_e32 v17, 8, v1
	s_mov_b32 s10, exec_lo
	s_delay_alu instid0(VALU_DEP_1)
	v_cmpx_gt_u32_e64 s27, v17
	s_or_b32 exec_lo, exec_lo, s10
; %bb.151:
	s_delay_alu instid0(SALU_CYCLE_1)
	s_or_b32 exec_lo, exec_lo, s9
.LBB164_152:
	s_delay_alu instid0(SALU_CYCLE_1)
	s_or_b32 exec_lo, exec_lo, s8
.LBB164_153:
	s_delay_alu instid0(SALU_CYCLE_1)
	s_or_b32 exec_lo, exec_lo, s7
.LBB164_154:
	s_delay_alu instid0(SALU_CYCLE_1)
	s_or_b32 exec_lo, exec_lo, s6
.LBB164_155:
	s_delay_alu instid0(SALU_CYCLE_1)
	s_or_b32 exec_lo, exec_lo, s5
.LBB164_156:
	s_delay_alu instid0(SALU_CYCLE_1)
	s_or_b32 exec_lo, exec_lo, s4
.LBB164_157:
	s_delay_alu instid0(SALU_CYCLE_1)
	s_or_b32 exec_lo, exec_lo, s3
.LBB164_158:
	s_delay_alu instid0(SALU_CYCLE_1)
	s_or_b32 exec_lo, exec_lo, s2
	v_dual_lshlrev_b32 v1, 2, v1 :: v_dual_mov_b32 v17, 0
	s_barrier_signal -1
	s_barrier_wait -1
	ds_store_b128 v1, v[6:9]
	ds_store_b128 v1, v[2:5] offset:16
	ds_store_b128 v1, v[10:13] offset:32
	v_mad_i32_i24 v6, 0xffffffd4, v0, v1
	s_wait_dscnt 0x0
	s_barrier_signal -1
	s_barrier_wait -1
	ds_load_2addr_stride64_b32 v[26:27], v6 offset0:4 offset1:8
	ds_load_2addr_stride64_b32 v[24:25], v6 offset0:12 offset1:16
	;; [unrolled: 1-line block ×5, first 2 shown]
	ds_load_b32 v7, v6 offset:11264
	v_add_nc_u64_e32 v[16:17], s[0:1], v[16:17]
	s_mov_b32 s2, exec_lo
	v_cmpx_gt_u32_e64 s27, v0
	s_cbranch_execz .LBB164_160
; %bb.159:
	v_mul_i32_i24_e32 v6, 0xffffffd4, v0
	s_delay_alu instid0(VALU_DEP_1)
	v_add_nc_u32_e32 v1, v1, v6
	ds_load_b32 v1, v1
	s_wait_dscnt 0x0
	flat_store_b32 v[16:17], v1
.LBB164_160:
	s_wait_xcnt 0x0
	s_or_b32 exec_lo, exec_lo, s2
	v_or_b32_e32 v1, 0x100, v0
	s_mov_b32 s2, exec_lo
	s_delay_alu instid0(VALU_DEP_1)
	v_cmpx_gt_u32_e64 s27, v1
	s_cbranch_execz .LBB164_162
; %bb.161:
	s_wait_dscnt 0x5
	flat_store_b32 v[16:17], v26 offset:1024
.LBB164_162:
	s_wait_xcnt 0x0
	s_or_b32 exec_lo, exec_lo, s2
	v_or_b32_e32 v1, 0x200, v0
	s_mov_b32 s2, exec_lo
	s_delay_alu instid0(VALU_DEP_1)
	v_cmpx_gt_u32_e64 s27, v1
	s_cbranch_execz .LBB164_164
; %bb.163:
	s_wait_dscnt 0x5
	flat_store_b32 v[16:17], v27 offset:2048
.LBB164_164:
	;; [unrolled: 11-line block ×10, first 2 shown]
	s_wait_xcnt 0x0
	s_or_b32 exec_lo, exec_lo, s2
	v_or_b32_e32 v1, 0xb00, v0
	s_delay_alu instid0(VALU_DEP_1)
	v_cmp_gt_u32_e64 s2, s27, v1
	s_branch .LBB164_209
.LBB164_181:
	s_and_saveexec_b32 s22, s13
	s_cbranch_execz .LBB164_183
; %bb.182:
	v_and_b32_e32 v4, 0xff, v3
	v_and_b32_e32 v3, 1, v3
	s_mov_b32 s37, 0
	s_add_co_i32 s36, s20, 32
	v_and_b32_e32 v5, 1, v50
	v_cmp_eq_u32_e32 vcc_lo, 0, v4
	s_lshl_b64 s[36:37], s[36:37], 4
	s_delay_alu instid0(SALU_CYCLE_1) | instskip(SKIP_2) | instid1(VALU_DEP_2)
	s_add_nc_u64 s[36:37], s[24:25], s[36:37]
	v_cndmask_b32_e32 v4, 1, v51, vcc_lo
	v_mov_b64_e32 v[6:7], s[36:37]
	v_mul_lo_u32 v2, v4, v2
	v_mov_b32_e32 v4, 2
	v_cmp_eq_u32_e32 vcc_lo, 1, v3
	v_cndmask_b32_e64 v3, v5, 1, vcc_lo
	v_mov_b32_e32 v5, 0
	;;#ASMSTART
	global_store_b128 v[6:7], v[2:5] off scope:SCOPE_DEV	
s_wait_storecnt 0x0
	;;#ASMEND
.LBB164_183:
	s_or_b32 exec_lo, exec_lo, s22
	s_delay_alu instid0(SALU_CYCLE_1)
	s_and_b32 exec_lo, exec_lo, s12
	s_cbranch_execz .LBB164_185
; %bb.184:
	v_mov_b32_e32 v2, 0
	ds_store_b32 v2, v51
	ds_store_b8 v2, v50 offset:4
.LBB164_185:
	s_or_b32 exec_lo, exec_lo, s30
	v_dual_mov_b32 v2, 0 :: v_dual_mov_b32 v4, v19
	s_wait_dscnt 0x0
	s_barrier_signal -1
	s_barrier_wait -1
	ds_load_b32 v2, v2
	v_mov_b32_e32 v3, v18
	s_and_saveexec_b32 s12, s11
	s_cbranch_execz .LBB164_187
; %bb.186:
	s_mov_b64 s[22:23], 0x100000000
	v_and_b32_e32 v4, 1, v19
	v_cmp_gt_u64_e32 vcc_lo, s[22:23], v[18:19]
	v_cndmask_b32_e32 v3, 1, v12, vcc_lo
	s_delay_alu instid0(VALU_DEP_3) | instskip(NEXT) | instid1(VALU_DEP_2)
	v_cmp_eq_u32_e32 vcc_lo, 1, v4
	v_mul_lo_u32 v3, v3, v18
	v_cndmask_b32_e64 v4, v13, 1, vcc_lo
.LBB164_187:
	s_or_b32 exec_lo, exec_lo, s12
	s_delay_alu instid0(VALU_DEP_1) | instskip(NEXT) | instid1(VALU_DEP_1)
	v_and_b32_e32 v4, 0xff, v4
	v_cmp_eq_u16_e32 vcc_lo, 0, v4
	s_wait_dscnt 0x0
	v_cndmask_b32_e32 v2, 1, v2, vcc_lo
	s_delay_alu instid0(VALU_DEP_1) | instskip(NEXT) | instid1(VALU_DEP_1)
	v_mul_lo_u32 v6, v2, v3
	v_cndmask_b32_e64 v2, 1, v6, s0
	s_delay_alu instid0(VALU_DEP_1) | instskip(NEXT) | instid1(VALU_DEP_1)
	v_mul_lo_u32 v7, v2, v38
	v_cndmask_b32_e64 v2, 1, v7, s1
	v_mov_b64_e32 v[14:15], v[6:7]
	s_delay_alu instid0(VALU_DEP_2) | instskip(NEXT) | instid1(VALU_DEP_1)
	v_mul_lo_u32 v8, v2, v36
	v_cndmask_b32_e64 v2, 1, v8, s2
	s_delay_alu instid0(VALU_DEP_1) | instskip(NEXT) | instid1(VALU_DEP_1)
	v_mul_lo_u32 v9, v2, v34
	v_cndmask_b32_e64 v2, 1, v9, s3
	s_delay_alu instid0(VALU_DEP_1) | instskip(NEXT) | instid1(VALU_DEP_1)
	;; [unrolled: 3-line block ×8, first 2 shown]
	v_mul_lo_u32 v12, v12, v20
	v_cndmask_b32_e64 v13, 1, v12, s10
	s_delay_alu instid0(VALU_DEP_1)
	v_mul_lo_u32 v13, v13, v40
	s_branch .LBB164_141
.LBB164_188:
	s_cmp_lg_u64 s[28:29], 0
	v_cmp_eq_u32_e32 vcc_lo, 0, v0
	s_cselect_b32 s1, -1, 0
	s_cmp_lg_u64 s[18:19], 0
	v_cmp_ne_u32_e64 s0, 0, v0
	s_cselect_b32 s2, -1, 0
	s_delay_alu instid0(SALU_CYCLE_1) | instskip(NEXT) | instid1(SALU_CYCLE_1)
	s_and_b32 s1, s1, s2
	s_and_b32 s1, vcc_lo, s1
	s_delay_alu instid0(SALU_CYCLE_1)
	s_and_saveexec_b32 s2, s1
	s_cbranch_execz .LBB164_190
; %bb.189:
	s_mov_b64 s[4:5], 0x100000000
	s_delay_alu instid0(SALU_CYCLE_1)
	v_cmp_gt_u64_e64 s1, s[4:5], v[18:19]
	v_mov_b32_e32 v2, 0
	s_clause 0x1
	global_load_b32 v3, v2, s[18:19]
	global_load_u8 v4, v2, s[18:19] offset:4
	s_wait_loadcnt 0x0
	v_dual_cndmask_b32 v3, 1, v3, s1 :: v_dual_bitop2_b32 v4, 1, v4 bitop3:0x40
	s_delay_alu instid0(VALU_DEP_1) | instskip(SKIP_1) | instid1(VALU_DEP_1)
	v_mul_lo_u32 v18, v3, v18
	v_and_b32_e32 v3, 1, v19
	v_cmp_eq_u64_e64 s1, 0, v[2:3]
	s_delay_alu instid0(VALU_DEP_1)
	v_cndmask_b32_e64 v19, 1, v4, s1
.LBB164_190:
	s_or_b32 exec_lo, exec_lo, s2
	s_mov_b64 s[12:13], 0x100000000
	v_or3_b32 v13, v42, v29, v31
	v_cmp_gt_u64_e64 s1, s[12:13], v[38:39]
	v_cmp_gt_u64_e64 s6, s[12:13], v[28:29]
	;; [unrolled: 1-line block ×7, first 2 shown]
	v_cndmask_b32_e64 v2, 1, v18, s1
	v_cmp_gt_u64_e64 s9, s[12:13], v[22:23]
	v_cmp_gt_u64_e64 s5, s[12:13], v[30:31]
	v_cmp_gt_u64_e64 s10, s[12:13], v[20:21]
	v_cmp_gt_u64_e64 s11, s[12:13], v[40:41]
	v_mul_lo_u32 v7, v2, v38
	s_mov_b32 s13, exec_lo
	s_delay_alu instid0(VALU_DEP_1) | instskip(NEXT) | instid1(VALU_DEP_1)
	v_dual_mov_b32 v14, 0 :: v_dual_cndmask_b32 v2, 1, v7, s2
	v_mul_lo_u32 v8, v2, v36
	s_delay_alu instid0(VALU_DEP_1) | instskip(NEXT) | instid1(VALU_DEP_1)
	v_cndmask_b32_e64 v2, 1, v8, s3
	v_mul_lo_u32 v9, v2, v34
	s_delay_alu instid0(VALU_DEP_1) | instskip(NEXT) | instid1(VALU_DEP_1)
	v_cndmask_b32_e64 v2, 1, v9, s4
	;; [unrolled: 3-line block ×8, first 2 shown]
	v_mul_lo_u32 v12, v6, v20
	v_or3_b32 v6, v13, v33, v35
	s_delay_alu instid0(VALU_DEP_1) | instskip(NEXT) | instid1(VALU_DEP_1)
	v_or3_b32 v6, v6, v37, v39
	v_or3_b32 v6, v41, v17, v6
	s_delay_alu instid0(VALU_DEP_4) | instskip(NEXT) | instid1(VALU_DEP_2)
	v_cndmask_b32_e64 v13, 1, v12, s11
	v_and_b32_e32 v15, 0xff, v6
	s_delay_alu instid0(VALU_DEP_2) | instskip(NEXT) | instid1(VALU_DEP_2)
	v_mul_lo_u32 v13, v13, v40
	v_cmp_eq_u64_e64 s12, 0, v[14:15]
	s_delay_alu instid0(VALU_DEP_1) | instskip(NEXT) | instid1(VALU_DEP_1)
	v_dual_cndmask_b32 v6, 1, v19, s12 :: v_dual_bitop2_b32 v1, 56, v1 bitop3:0x40
	v_lshl_add_u32 v1, v0, 3, v1
	ds_store_b32 v1, v13
	ds_store_b8 v1, v6 offset:4
	s_wait_dscnt 0x0
	s_barrier_signal -1
	s_barrier_wait -1
	v_cmpx_gt_u32_e32 32, v0
	s_cbranch_execz .LBB164_202
; %bb.191:
	v_dual_lshlrev_b32 v1, 1, v0 :: v_dual_lshlrev_b32 v14, 6, v0
	s_mov_b32 s18, exec_lo
	s_delay_alu instid0(VALU_DEP_1) | instskip(NEXT) | instid1(VALU_DEP_1)
	v_and_b32_e32 v1, 0x1f8, v1
	v_add_nc_u32_e32 v1, v1, v14
	ds_load_u8 v17, v1 offset:12
	ds_load_b64 v[14:15], v1
	ds_load_2addr_b32 v[42:43], v1 offset0:2 offset1:4
	ds_load_u8 v21, v1 offset:20
	ds_load_u8 v23, v1 offset:28
	;; [unrolled: 1-line block ×5, first 2 shown]
	ds_load_b32 v31, v1 offset:56
	s_wait_dscnt 0x8
	v_cmp_eq_u16_e64 s12, 0, v17
	s_wait_dscnt 0x5
	s_delay_alu instid0(VALU_DEP_1)
	v_dual_cndmask_b32 v33, 1, v14, s12 :: v_dual_bitop2_b32 v17, v21, v17 bitop3:0x54
	v_cmp_eq_u16_e64 s12, 0, v21
	ds_load_2addr_b32 v[44:45], v1 offset0:6 offset1:8
	s_wait_dscnt 0x4
	v_bitop3_b16 v17, v17, v25, v23 bitop3:0xfe
	ds_load_u8 v35, v1 offset:60
	v_mul_lo_u32 v33, v33, v42
	s_delay_alu instid0(VALU_DEP_1)
	v_cndmask_b32_e64 v33, 1, v33, s12
	v_cmp_eq_u16_e64 s12, 0, v23
	s_wait_dscnt 0x3
	v_bitop3_b16 v23, v17, v29, v27 bitop3:0xfe
	v_and_b32_e32 v17, 1, v15
	v_mul_lo_u32 v33, v33, v43
	ds_load_2addr_b32 v[42:43], v1 offset0:10 offset1:12
	v_cndmask_b32_e64 v33, 1, v33, s12
	v_cmp_eq_u16_e64 s12, 0, v25
	s_wait_dscnt 0x1
	v_and_b32_e32 v25, 1, v35
	s_delay_alu instid0(VALU_DEP_3) | instskip(NEXT) | instid1(VALU_DEP_1)
	v_mul_lo_u32 v33, v33, v44
	v_cndmask_b32_e64 v33, 1, v33, s12
	v_cmp_eq_u16_e64 s12, 0, v27
	s_delay_alu instid0(VALU_DEP_2) | instskip(NEXT) | instid1(VALU_DEP_1)
	v_mul_lo_u32 v33, v33, v45
	v_cndmask_b32_e64 v33, 1, v33, s12
	v_cmp_eq_u16_e64 s12, 0, v29
	s_wait_dscnt 0x0
	s_delay_alu instid0(VALU_DEP_2) | instskip(NEXT) | instid1(VALU_DEP_1)
	v_mul_lo_u32 v33, v33, v42
	v_cndmask_b32_e64 v21, 1, v33, s12
	v_cmp_eq_u16_e64 s12, 0, v23
	s_delay_alu instid0(VALU_DEP_2) | instskip(NEXT) | instid1(VALU_DEP_2)
	v_mul_lo_u32 v21, v21, v43
	v_cndmask_b32_e64 v23, 1, v17, s12
	v_cmp_eq_u32_e64 s12, 1, v25
	v_mbcnt_lo_u32_b32 v25, -1, 0
	s_delay_alu instid0(VALU_DEP_2) | instskip(SKIP_1) | instid1(VALU_DEP_2)
	v_cndmask_b32_e64 v27, v23, 1, s12
	v_cmp_eq_u16_e64 s12, 0, v35
	v_and_b32_e32 v29, 0xffff, v27
	s_delay_alu instid0(VALU_DEP_2) | instskip(SKIP_1) | instid1(VALU_DEP_2)
	v_cndmask_b32_e64 v23, 1, v21, s12
	v_and_b32_e32 v21, 0xffffff00, v15
	v_mul_lo_u32 v23, v23, v31
	s_delay_alu instid0(VALU_DEP_2) | instskip(SKIP_1) | instid1(VALU_DEP_2)
	v_or_b32_e32 v31, v21, v29
	v_and_b32_e32 v29, 15, v25
	v_mov_b32_dpp v35, v31 row_shr:1 row_mask:0xf bank_mask:0xf
	s_delay_alu instid0(VALU_DEP_4) | instskip(NEXT) | instid1(VALU_DEP_3)
	v_mov_b32_dpp v33, v23 row_shr:1 row_mask:0xf bank_mask:0xf
	v_cmpx_ne_u32_e32 0, v29
	s_cbranch_execz .LBB164_193
; %bb.192:
	v_cmp_eq_u16_e64 s12, 0, v27
	v_and_b32_e32 v31, 1, v27
	s_delay_alu instid0(VALU_DEP_2) | instskip(NEXT) | instid1(VALU_DEP_2)
	v_dual_cndmask_b32 v33, 1, v33, s12 :: v_dual_bitop2_b32 v35, 1, v35 bitop3:0x40
	v_cmp_eq_u32_e64 s12, 1, v31
	s_delay_alu instid0(VALU_DEP_2) | instskip(NEXT) | instid1(VALU_DEP_2)
	v_mul_lo_u32 v23, v33, v23
	v_cndmask_b32_e64 v27, v35, 1, s12
	s_delay_alu instid0(VALU_DEP_1) | instskip(NEXT) | instid1(VALU_DEP_1)
	v_and_b32_e32 v31, 0xffff, v27
	v_or_b32_e32 v31, v21, v31
.LBB164_193:
	s_or_b32 exec_lo, exec_lo, s18
	s_delay_alu instid0(VALU_DEP_2) | instskip(NEXT) | instid1(VALU_DEP_2)
	v_mov_b32_dpp v33, v23 row_shr:2 row_mask:0xf bank_mask:0xf
	v_mov_b32_dpp v35, v31 row_shr:2 row_mask:0xf bank_mask:0xf
	s_mov_b32 s18, exec_lo
	v_cmpx_lt_u32_e32 1, v29
	s_cbranch_execz .LBB164_195
; %bb.194:
	v_cmp_eq_u16_e64 s12, 0, v27
	v_and_b32_e32 v31, 1, v27
	s_delay_alu instid0(VALU_DEP_2) | instskip(NEXT) | instid1(VALU_DEP_2)
	v_dual_cndmask_b32 v33, 1, v33, s12 :: v_dual_bitop2_b32 v35, 1, v35 bitop3:0x40
	v_cmp_eq_u32_e64 s12, 1, v31
	s_delay_alu instid0(VALU_DEP_2) | instskip(NEXT) | instid1(VALU_DEP_2)
	v_mul_lo_u32 v23, v33, v23
	v_cndmask_b32_e64 v27, v35, 1, s12
	s_delay_alu instid0(VALU_DEP_1) | instskip(NEXT) | instid1(VALU_DEP_1)
	v_and_b32_e32 v31, 0xffff, v27
	v_or_b32_e32 v31, v21, v31
.LBB164_195:
	s_or_b32 exec_lo, exec_lo, s18
	s_delay_alu instid0(VALU_DEP_4) | instskip(NEXT) | instid1(VALU_DEP_2)
	v_mov_b32_dpp v33, v23 row_shr:4 row_mask:0xf bank_mask:0xf
	v_mov_b32_dpp v35, v31 row_shr:4 row_mask:0xf bank_mask:0xf
	s_mov_b32 s18, exec_lo
	v_cmpx_lt_u32_e32 3, v29
	s_cbranch_execz .LBB164_197
; %bb.196:
	v_cmp_eq_u16_e64 s12, 0, v27
	v_and_b32_e32 v31, 1, v27
	s_delay_alu instid0(VALU_DEP_2) | instskip(NEXT) | instid1(VALU_DEP_2)
	v_dual_cndmask_b32 v33, 1, v33, s12 :: v_dual_bitop2_b32 v35, 1, v35 bitop3:0x40
	v_cmp_eq_u32_e64 s12, 1, v31
	s_delay_alu instid0(VALU_DEP_2) | instskip(NEXT) | instid1(VALU_DEP_2)
	v_mul_lo_u32 v23, v33, v23
	v_cndmask_b32_e64 v27, v35, 1, s12
	s_delay_alu instid0(VALU_DEP_1) | instskip(NEXT) | instid1(VALU_DEP_1)
	v_and_b32_e32 v31, 0xffff, v27
	v_or_b32_e32 v31, v21, v31
.LBB164_197:
	s_or_b32 exec_lo, exec_lo, s18
	s_delay_alu instid0(VALU_DEP_4) | instskip(NEXT) | instid1(VALU_DEP_2)
	v_mov_b32_dpp v33, v23 row_shr:8 row_mask:0xf bank_mask:0xf
	v_mov_b32_dpp v35, v31 row_shr:8 row_mask:0xf bank_mask:0xf
	s_mov_b32 s18, exec_lo
	v_cmpx_lt_u32_e32 7, v29
	s_cbranch_execz .LBB164_199
; %bb.198:
	v_cmp_eq_u16_e64 s12, 0, v27
	v_and_b32_e32 v29, 1, v27
	s_delay_alu instid0(VALU_DEP_2) | instskip(NEXT) | instid1(VALU_DEP_2)
	v_dual_cndmask_b32 v33, 1, v33, s12 :: v_dual_bitop2_b32 v31, 1, v35 bitop3:0x40
	v_cmp_eq_u32_e64 s12, 1, v29
	s_delay_alu instid0(VALU_DEP_2) | instskip(NEXT) | instid1(VALU_DEP_2)
	v_mul_lo_u32 v23, v33, v23
	v_cndmask_b32_e64 v27, v31, 1, s12
	s_delay_alu instid0(VALU_DEP_1) | instskip(NEXT) | instid1(VALU_DEP_1)
	v_and_b32_e32 v29, 0xffff, v27
	v_or_b32_e32 v31, v21, v29
.LBB164_199:
	s_or_b32 exec_lo, exec_lo, s18
	ds_swizzle_b32 v33, v23 offset:swizzle(BROADCAST,32,15)
	ds_swizzle_b32 v29, v31 offset:swizzle(BROADCAST,32,15)
	v_and_b32_e32 v31, 16, v25
	s_mov_b32 s18, exec_lo
	s_delay_alu instid0(VALU_DEP_1)
	v_cmpx_ne_u32_e32 0, v31
	s_cbranch_execz .LBB164_201
; %bb.200:
	v_cmp_eq_u16_e64 s12, 0, v27
	s_wait_dscnt 0x0
	v_and_b32_e32 v29, 1, v29
	s_delay_alu instid0(VALU_DEP_2) | instskip(NEXT) | instid1(VALU_DEP_1)
	v_dual_cndmask_b32 v31, 1, v33, s12 :: v_dual_bitop2_b32 v27, 1, v27 bitop3:0x40
	v_cmp_eq_u32_e64 s12, 1, v27
	s_delay_alu instid0(VALU_DEP_2) | instskip(NEXT) | instid1(VALU_DEP_2)
	v_mul_lo_u32 v23, v31, v23
	v_cndmask_b32_e64 v27, v29, 1, s12
.LBB164_201:
	s_or_b32 exec_lo, exec_lo, s18
	s_wait_dscnt 0x0
	v_add_nc_u32_e32 v29, -1, v25
	v_and_b32_e32 v15, 0xff, v15
	v_and_b32_e32 v27, 0xffff, v27
	; wave barrier
	s_delay_alu instid0(VALU_DEP_3) | instskip(NEXT) | instid1(VALU_DEP_1)
	v_cmp_gt_i32_e64 s12, 0, v29
	v_cndmask_b32_e64 v25, v29, v25, s12
	s_delay_alu instid0(VALU_DEP_4) | instskip(NEXT) | instid1(VALU_DEP_2)
	v_cmp_eq_u16_e64 s12, 0, v15
	v_lshlrev_b32_e32 v25, 2, v25
	ds_bpermute_b32 v23, v25, v23
	s_wait_dscnt 0x0
	v_cndmask_b32_e64 v15, 1, v23, s12
	v_cmp_eq_u32_e64 s12, 1, v17
	s_delay_alu instid0(VALU_DEP_2) | instskip(NEXT) | instid1(VALU_DEP_1)
	v_mul_lo_u32 v14, v15, v14
	v_dual_cndmask_b32 v17, v14, v13, vcc_lo :: v_dual_bitop2_b32 v21, v21, v27 bitop3:0x54
	ds_bpermute_b32 v21, v25, v21
	s_wait_dscnt 0x0
	v_and_b32_e32 v15, 1, v21
	s_delay_alu instid0(VALU_DEP_1) | instskip(NEXT) | instid1(VALU_DEP_1)
	v_cndmask_b32_e64 v15, v15, 1, s12
	v_cndmask_b32_e32 v6, v15, v6, vcc_lo
	ds_store_b32 v1, v17
	ds_store_b8 v1, v6 offset:4
	; wave barrier
	ds_load_u8 v21, v1 offset:12
	ds_load_2addr_b32 v[14:15], v1 offset0:2 offset1:4
	ds_load_u8 v23, v1 offset:20
	ds_load_u8 v25, v1 offset:28
	;; [unrolled: 1-line block ×5, first 2 shown]
	ds_load_b32 v33, v1 offset:56
	ds_load_u8 v35, v1 offset:60
	ds_load_2addr_b32 v[42:43], v1 offset0:6 offset1:8
	s_wait_dscnt 0x9
	v_cmp_eq_u16_e64 s12, 0, v21
	v_and_b32_e32 v21, 1, v21
	s_delay_alu instid0(VALU_DEP_2) | instskip(SKIP_3) | instid1(VALU_DEP_3)
	v_cndmask_b32_e64 v17, 1, v17, s12
	s_wait_dscnt 0x7
	v_cmp_eq_u16_e64 s12, 0, v23
	v_and_b32_e32 v23, 1, v23
	v_mul_lo_u32 v17, v17, v14
	s_delay_alu instid0(VALU_DEP_1) | instskip(SKIP_2) | instid1(VALU_DEP_2)
	v_cndmask_b32_e64 v14, 1, v17, s12
	s_wait_dscnt 0x6
	v_cmp_eq_u16_e64 s12, 0, v25
	v_mul_lo_u32 v37, v14, v15
	s_delay_alu instid0(VALU_DEP_1)
	v_cndmask_b32_e64 v14, 1, v37, s12
	s_wait_dscnt 0x5
	v_cmp_eq_u16_e64 s12, 0, v27
	v_and_b32_e32 v27, 1, v27
	ds_store_2addr_b32 v1, v17, v37 offset0:2 offset1:4
	s_wait_dscnt 0x1
	v_mul_lo_u32 v39, v14, v42
	ds_load_2addr_b32 v[14:15], v1 offset0:10 offset1:12
	v_cndmask_b32_e64 v41, 1, v39, s12
	v_cmp_eq_u16_e64 s12, 0, v29
	s_delay_alu instid0(VALU_DEP_2) | instskip(NEXT) | instid1(VALU_DEP_1)
	v_mul_lo_u32 v41, v41, v43
	v_cndmask_b32_e64 v42, 1, v41, s12
	v_cmp_eq_u32_e64 s12, 1, v21
	v_and_b32_e32 v21, 1, v25
	s_wait_dscnt 0x0
	s_delay_alu instid0(VALU_DEP_3) | instskip(NEXT) | instid1(VALU_DEP_3)
	v_mul_lo_u32 v14, v42, v14
	v_cndmask_b32_e64 v6, v6, 1, s12
	v_cmp_eq_u32_e64 s12, 1, v23
	s_delay_alu instid0(VALU_DEP_1) | instskip(SKIP_1) | instid1(VALU_DEP_1)
	v_cndmask_b32_e64 v23, v6, 1, s12
	v_cmp_eq_u16_e64 s12, 0, v31
	v_cndmask_b32_e64 v25, 1, v14, s12
	v_cmp_eq_u32_e64 s12, 1, v21
	s_delay_alu instid0(VALU_DEP_2) | instskip(NEXT) | instid1(VALU_DEP_2)
	v_mul_lo_u32 v15, v25, v15
	v_cndmask_b32_e64 v21, v23, 1, s12
	v_and_b32_e32 v25, 1, v29
	v_cmp_eq_u32_e64 s12, 1, v27
	v_and_b32_e32 v29, 1, v31
	v_and_b32_e32 v31, 1, v35
	s_delay_alu instid0(VALU_DEP_3) | instskip(SKIP_1) | instid1(VALU_DEP_1)
	v_cndmask_b32_e64 v27, v21, 1, s12
	v_cmp_eq_u32_e64 s12, 1, v25
	v_cndmask_b32_e64 v25, v27, 1, s12
	v_cmp_eq_u16_e64 s12, 0, v35
	s_delay_alu instid0(VALU_DEP_1) | instskip(SKIP_1) | instid1(VALU_DEP_2)
	v_cndmask_b32_e64 v35, 1, v15, s12
	v_cmp_eq_u32_e64 s12, 1, v29
	v_mul_lo_u32 v17, v35, v33
	s_delay_alu instid0(VALU_DEP_2) | instskip(SKIP_1) | instid1(VALU_DEP_1)
	v_cndmask_b32_e64 v29, v25, 1, s12
	v_cmp_eq_u32_e64 s12, 1, v31
	v_cndmask_b32_e64 v31, v29, 1, s12
	ds_store_2addr_b32 v1, v39, v41 offset0:6 offset1:8
	ds_store_2addr_b32 v1, v14, v15 offset0:10 offset1:12
	ds_store_b8 v1, v6 offset:12
	ds_store_b8 v1, v23 offset:20
	;; [unrolled: 1-line block ×6, first 2 shown]
	ds_store_b32 v1, v17 offset:56
	ds_store_b8 v1, v31 offset:60
.LBB164_202:
	s_or_b32 exec_lo, exec_lo, s13
	v_mov_b32_e32 v6, v18
	s_wait_dscnt 0x0
	s_barrier_signal -1
	s_barrier_wait -1
	s_delay_alu instid0(VALU_DEP_1)
	v_mov_b64_e32 v[14:15], v[6:7]
	s_and_saveexec_b32 s12, s0
	s_cbranch_execz .LBB164_204
; %bb.203:
	v_add_nc_u32_e32 v1, -1, v0
	v_and_b32_e32 v3, 0xff, v19
	s_delay_alu instid0(VALU_DEP_2) | instskip(NEXT) | instid1(VALU_DEP_1)
	v_lshrrev_b32_e32 v2, 2, v1
	v_and_b32_e32 v2, 0x3ffffff8, v2
	s_delay_alu instid0(VALU_DEP_1)
	v_lshl_add_u32 v1, v1, 3, v2
	v_mov_b32_e32 v2, 0
	ds_load_b32 v1, v1
	v_cmp_eq_u64_e64 s0, 0, v[2:3]
	;;#ASMSTART
	;;#ASMEND
	s_wait_dscnt 0x0
	s_delay_alu instid0(VALU_DEP_1) | instskip(NEXT) | instid1(VALU_DEP_1)
	v_cndmask_b32_e64 v1, 1, v1, s0
	v_mul_lo_u32 v14, v1, v18
	s_delay_alu instid0(VALU_DEP_1) | instskip(NEXT) | instid1(VALU_DEP_1)
	v_dual_cndmask_b32 v1, 1, v14, s1 :: v_dual_mov_b32 v18, v14
	v_mul_lo_u32 v15, v1, v38
	s_delay_alu instid0(VALU_DEP_1) | instskip(NEXT) | instid1(VALU_DEP_1)
	v_dual_cndmask_b32 v1, 1, v15, s2 :: v_dual_mov_b32 v7, v15
	v_mul_lo_u32 v8, v1, v36
	s_delay_alu instid0(VALU_DEP_1) | instskip(NEXT) | instid1(VALU_DEP_1)
	v_cndmask_b32_e64 v1, 1, v8, s3
	v_mul_lo_u32 v9, v1, v34
	s_delay_alu instid0(VALU_DEP_1) | instskip(NEXT) | instid1(VALU_DEP_1)
	v_cndmask_b32_e64 v1, 1, v9, s4
	;; [unrolled: 3-line block ×9, first 2 shown]
	v_mul_lo_u32 v13, v1, v40
.LBB164_204:
	s_or_b32 exec_lo, exec_lo, s12
	s_and_saveexec_b32 s0, vcc_lo
	s_cbranch_execz .LBB164_206
; %bb.205:
	v_dual_mov_b32 v23, 0 :: v_dual_mov_b32 v22, 2
	s_add_nc_u64 s[2:3], s[24:25], 0x200
	ds_load_b32 v20, v23 offset:2096
	ds_load_u8 v21, v23 offset:2100
	v_mov_b64_e32 v[24:25], s[2:3]
	s_wait_dscnt 0x0
	;;#ASMSTART
	global_store_b128 v[24:25], v[20:23] off scope:SCOPE_DEV	
s_wait_storecnt 0x0
	;;#ASMEND
.LBB164_206:
	s_or_b32 exec_lo, exec_lo, s0
	v_mov_b32_e32 v6, v18
	s_add_nc_u64 s[0:1], s[14:15], s[34:35]
	s_and_b32 vcc_lo, exec_lo, s21
	s_add_nc_u64 s[0:1], s[0:1], s[16:17]
	s_cbranch_vccnz .LBB164_142
.LBB164_207:
	s_mov_b32 s2, 0
                                        ; implicit-def: $vgpr7
	s_cbranch_execz .LBB164_209
; %bb.208:
	v_mul_u32_u24_e32 v1, 48, v0
	v_dual_mov_b32 v16, v8 :: v_dual_mov_b32 v17, v9
	v_mul_i32_i24_e32 v6, 0xffffffd4, v0
	s_wait_storecnt_dscnt 0x0
	s_barrier_signal -1
	s_barrier_wait -1
	ds_store_b128 v1, v[14:17]
	ds_store_b128 v1, v[2:5] offset:16
	ds_store_b128 v1, v[10:13] offset:32
	v_mad_u32_u24 v1, v0, 48, v6
	s_wait_dscnt 0x0
	s_barrier_signal -1
	s_barrier_wait -1
	ds_load_2addr_stride64_b32 v[2:3], v1 offset1:4
	ds_load_2addr_stride64_b32 v[4:5], v1 offset0:8 offset1:12
	ds_load_2addr_stride64_b32 v[8:9], v1 offset0:16 offset1:20
	;; [unrolled: 1-line block ×5, first 2 shown]
	s_or_b32 s2, s2, exec_lo
	s_wait_dscnt 0x5
	s_clause 0x1
	flat_store_b32 v0, v2, s[0:1] scale_offset
	flat_store_b32 v0, v3, s[0:1] offset:1024 scale_offset
	s_wait_dscnt 0x6
	s_clause 0x1
	flat_store_b32 v0, v4, s[0:1] offset:2048 scale_offset
	flat_store_b32 v0, v5, s[0:1] offset:3072 scale_offset
	s_wait_dscnt 0x7
	s_clause 0x1
	flat_store_b32 v0, v8, s[0:1] offset:4096 scale_offset
	;; [unrolled: 4-line block ×4, first 2 shown]
	flat_store_b32 v0, v13, s[0:1] offset:9216 scale_offset
	s_wait_dscnt 0xa
	flat_store_b32 v0, v6, s[0:1] offset:10240 scale_offset
.LBB164_209:
	s_wait_xcnt 0x0
	s_delay_alu instid0(VALU_DEP_1)
	s_and_saveexec_b32 s3, s2
	s_cbranch_execnz .LBB164_211
; %bb.210:
	s_endpgm
.LBB164_211:
	s_wait_dscnt 0x0
	flat_store_b32 v0, v7, s[0:1] offset:11264 scale_offset
	s_endpgm
	.section	.rodata,"a",@progbits
	.p2align	6, 0x0
	.amdhsa_kernel _ZN7rocprim17ROCPRIM_400000_NS6detail17trampoline_kernelINS0_14default_configENS1_27scan_by_key_config_selectorIiiEEZZNS1_16scan_by_key_implILNS1_25lookback_scan_determinismE0ELb0ES3_N6thrust23THRUST_200600_302600_NS6detail15normal_iteratorINS9_10device_ptrIiEEEESE_SE_iNS9_10multipliesIiEENS9_8equal_toIiEEiEE10hipError_tPvRmT2_T3_T4_T5_mT6_T7_P12ihipStream_tbENKUlT_T0_E_clISt17integral_constantIbLb0EESZ_EEDaSU_SV_EUlSU_E_NS1_11comp_targetILNS1_3genE0ELNS1_11target_archE4294967295ELNS1_3gpuE0ELNS1_3repE0EEENS1_30default_config_static_selectorELNS0_4arch9wavefront6targetE0EEEvT1_
		.amdhsa_group_segment_fixed_size 14336
		.amdhsa_private_segment_fixed_size 0
		.amdhsa_kernarg_size 112
		.amdhsa_user_sgpr_count 2
		.amdhsa_user_sgpr_dispatch_ptr 0
		.amdhsa_user_sgpr_queue_ptr 0
		.amdhsa_user_sgpr_kernarg_segment_ptr 1
		.amdhsa_user_sgpr_dispatch_id 0
		.amdhsa_user_sgpr_kernarg_preload_length 0
		.amdhsa_user_sgpr_kernarg_preload_offset 0
		.amdhsa_user_sgpr_private_segment_size 0
		.amdhsa_wavefront_size32 1
		.amdhsa_uses_dynamic_stack 0
		.amdhsa_enable_private_segment 0
		.amdhsa_system_sgpr_workgroup_id_x 1
		.amdhsa_system_sgpr_workgroup_id_y 0
		.amdhsa_system_sgpr_workgroup_id_z 0
		.amdhsa_system_sgpr_workgroup_info 0
		.amdhsa_system_vgpr_workitem_id 0
		.amdhsa_next_free_vgpr 60
		.amdhsa_next_free_sgpr 42
		.amdhsa_named_barrier_count 0
		.amdhsa_reserve_vcc 1
		.amdhsa_float_round_mode_32 0
		.amdhsa_float_round_mode_16_64 0
		.amdhsa_float_denorm_mode_32 3
		.amdhsa_float_denorm_mode_16_64 3
		.amdhsa_fp16_overflow 0
		.amdhsa_memory_ordered 1
		.amdhsa_forward_progress 1
		.amdhsa_inst_pref_size 96
		.amdhsa_round_robin_scheduling 0
		.amdhsa_exception_fp_ieee_invalid_op 0
		.amdhsa_exception_fp_denorm_src 0
		.amdhsa_exception_fp_ieee_div_zero 0
		.amdhsa_exception_fp_ieee_overflow 0
		.amdhsa_exception_fp_ieee_underflow 0
		.amdhsa_exception_fp_ieee_inexact 0
		.amdhsa_exception_int_div_zero 0
	.end_amdhsa_kernel
	.section	.text._ZN7rocprim17ROCPRIM_400000_NS6detail17trampoline_kernelINS0_14default_configENS1_27scan_by_key_config_selectorIiiEEZZNS1_16scan_by_key_implILNS1_25lookback_scan_determinismE0ELb0ES3_N6thrust23THRUST_200600_302600_NS6detail15normal_iteratorINS9_10device_ptrIiEEEESE_SE_iNS9_10multipliesIiEENS9_8equal_toIiEEiEE10hipError_tPvRmT2_T3_T4_T5_mT6_T7_P12ihipStream_tbENKUlT_T0_E_clISt17integral_constantIbLb0EESZ_EEDaSU_SV_EUlSU_E_NS1_11comp_targetILNS1_3genE0ELNS1_11target_archE4294967295ELNS1_3gpuE0ELNS1_3repE0EEENS1_30default_config_static_selectorELNS0_4arch9wavefront6targetE0EEEvT1_,"axG",@progbits,_ZN7rocprim17ROCPRIM_400000_NS6detail17trampoline_kernelINS0_14default_configENS1_27scan_by_key_config_selectorIiiEEZZNS1_16scan_by_key_implILNS1_25lookback_scan_determinismE0ELb0ES3_N6thrust23THRUST_200600_302600_NS6detail15normal_iteratorINS9_10device_ptrIiEEEESE_SE_iNS9_10multipliesIiEENS9_8equal_toIiEEiEE10hipError_tPvRmT2_T3_T4_T5_mT6_T7_P12ihipStream_tbENKUlT_T0_E_clISt17integral_constantIbLb0EESZ_EEDaSU_SV_EUlSU_E_NS1_11comp_targetILNS1_3genE0ELNS1_11target_archE4294967295ELNS1_3gpuE0ELNS1_3repE0EEENS1_30default_config_static_selectorELNS0_4arch9wavefront6targetE0EEEvT1_,comdat
.Lfunc_end164:
	.size	_ZN7rocprim17ROCPRIM_400000_NS6detail17trampoline_kernelINS0_14default_configENS1_27scan_by_key_config_selectorIiiEEZZNS1_16scan_by_key_implILNS1_25lookback_scan_determinismE0ELb0ES3_N6thrust23THRUST_200600_302600_NS6detail15normal_iteratorINS9_10device_ptrIiEEEESE_SE_iNS9_10multipliesIiEENS9_8equal_toIiEEiEE10hipError_tPvRmT2_T3_T4_T5_mT6_T7_P12ihipStream_tbENKUlT_T0_E_clISt17integral_constantIbLb0EESZ_EEDaSU_SV_EUlSU_E_NS1_11comp_targetILNS1_3genE0ELNS1_11target_archE4294967295ELNS1_3gpuE0ELNS1_3repE0EEENS1_30default_config_static_selectorELNS0_4arch9wavefront6targetE0EEEvT1_, .Lfunc_end164-_ZN7rocprim17ROCPRIM_400000_NS6detail17trampoline_kernelINS0_14default_configENS1_27scan_by_key_config_selectorIiiEEZZNS1_16scan_by_key_implILNS1_25lookback_scan_determinismE0ELb0ES3_N6thrust23THRUST_200600_302600_NS6detail15normal_iteratorINS9_10device_ptrIiEEEESE_SE_iNS9_10multipliesIiEENS9_8equal_toIiEEiEE10hipError_tPvRmT2_T3_T4_T5_mT6_T7_P12ihipStream_tbENKUlT_T0_E_clISt17integral_constantIbLb0EESZ_EEDaSU_SV_EUlSU_E_NS1_11comp_targetILNS1_3genE0ELNS1_11target_archE4294967295ELNS1_3gpuE0ELNS1_3repE0EEENS1_30default_config_static_selectorELNS0_4arch9wavefront6targetE0EEEvT1_
                                        ; -- End function
	.set _ZN7rocprim17ROCPRIM_400000_NS6detail17trampoline_kernelINS0_14default_configENS1_27scan_by_key_config_selectorIiiEEZZNS1_16scan_by_key_implILNS1_25lookback_scan_determinismE0ELb0ES3_N6thrust23THRUST_200600_302600_NS6detail15normal_iteratorINS9_10device_ptrIiEEEESE_SE_iNS9_10multipliesIiEENS9_8equal_toIiEEiEE10hipError_tPvRmT2_T3_T4_T5_mT6_T7_P12ihipStream_tbENKUlT_T0_E_clISt17integral_constantIbLb0EESZ_EEDaSU_SV_EUlSU_E_NS1_11comp_targetILNS1_3genE0ELNS1_11target_archE4294967295ELNS1_3gpuE0ELNS1_3repE0EEENS1_30default_config_static_selectorELNS0_4arch9wavefront6targetE0EEEvT1_.num_vgpr, 60
	.set _ZN7rocprim17ROCPRIM_400000_NS6detail17trampoline_kernelINS0_14default_configENS1_27scan_by_key_config_selectorIiiEEZZNS1_16scan_by_key_implILNS1_25lookback_scan_determinismE0ELb0ES3_N6thrust23THRUST_200600_302600_NS6detail15normal_iteratorINS9_10device_ptrIiEEEESE_SE_iNS9_10multipliesIiEENS9_8equal_toIiEEiEE10hipError_tPvRmT2_T3_T4_T5_mT6_T7_P12ihipStream_tbENKUlT_T0_E_clISt17integral_constantIbLb0EESZ_EEDaSU_SV_EUlSU_E_NS1_11comp_targetILNS1_3genE0ELNS1_11target_archE4294967295ELNS1_3gpuE0ELNS1_3repE0EEENS1_30default_config_static_selectorELNS0_4arch9wavefront6targetE0EEEvT1_.num_agpr, 0
	.set _ZN7rocprim17ROCPRIM_400000_NS6detail17trampoline_kernelINS0_14default_configENS1_27scan_by_key_config_selectorIiiEEZZNS1_16scan_by_key_implILNS1_25lookback_scan_determinismE0ELb0ES3_N6thrust23THRUST_200600_302600_NS6detail15normal_iteratorINS9_10device_ptrIiEEEESE_SE_iNS9_10multipliesIiEENS9_8equal_toIiEEiEE10hipError_tPvRmT2_T3_T4_T5_mT6_T7_P12ihipStream_tbENKUlT_T0_E_clISt17integral_constantIbLb0EESZ_EEDaSU_SV_EUlSU_E_NS1_11comp_targetILNS1_3genE0ELNS1_11target_archE4294967295ELNS1_3gpuE0ELNS1_3repE0EEENS1_30default_config_static_selectorELNS0_4arch9wavefront6targetE0EEEvT1_.numbered_sgpr, 42
	.set _ZN7rocprim17ROCPRIM_400000_NS6detail17trampoline_kernelINS0_14default_configENS1_27scan_by_key_config_selectorIiiEEZZNS1_16scan_by_key_implILNS1_25lookback_scan_determinismE0ELb0ES3_N6thrust23THRUST_200600_302600_NS6detail15normal_iteratorINS9_10device_ptrIiEEEESE_SE_iNS9_10multipliesIiEENS9_8equal_toIiEEiEE10hipError_tPvRmT2_T3_T4_T5_mT6_T7_P12ihipStream_tbENKUlT_T0_E_clISt17integral_constantIbLb0EESZ_EEDaSU_SV_EUlSU_E_NS1_11comp_targetILNS1_3genE0ELNS1_11target_archE4294967295ELNS1_3gpuE0ELNS1_3repE0EEENS1_30default_config_static_selectorELNS0_4arch9wavefront6targetE0EEEvT1_.num_named_barrier, 0
	.set _ZN7rocprim17ROCPRIM_400000_NS6detail17trampoline_kernelINS0_14default_configENS1_27scan_by_key_config_selectorIiiEEZZNS1_16scan_by_key_implILNS1_25lookback_scan_determinismE0ELb0ES3_N6thrust23THRUST_200600_302600_NS6detail15normal_iteratorINS9_10device_ptrIiEEEESE_SE_iNS9_10multipliesIiEENS9_8equal_toIiEEiEE10hipError_tPvRmT2_T3_T4_T5_mT6_T7_P12ihipStream_tbENKUlT_T0_E_clISt17integral_constantIbLb0EESZ_EEDaSU_SV_EUlSU_E_NS1_11comp_targetILNS1_3genE0ELNS1_11target_archE4294967295ELNS1_3gpuE0ELNS1_3repE0EEENS1_30default_config_static_selectorELNS0_4arch9wavefront6targetE0EEEvT1_.private_seg_size, 0
	.set _ZN7rocprim17ROCPRIM_400000_NS6detail17trampoline_kernelINS0_14default_configENS1_27scan_by_key_config_selectorIiiEEZZNS1_16scan_by_key_implILNS1_25lookback_scan_determinismE0ELb0ES3_N6thrust23THRUST_200600_302600_NS6detail15normal_iteratorINS9_10device_ptrIiEEEESE_SE_iNS9_10multipliesIiEENS9_8equal_toIiEEiEE10hipError_tPvRmT2_T3_T4_T5_mT6_T7_P12ihipStream_tbENKUlT_T0_E_clISt17integral_constantIbLb0EESZ_EEDaSU_SV_EUlSU_E_NS1_11comp_targetILNS1_3genE0ELNS1_11target_archE4294967295ELNS1_3gpuE0ELNS1_3repE0EEENS1_30default_config_static_selectorELNS0_4arch9wavefront6targetE0EEEvT1_.uses_vcc, 1
	.set _ZN7rocprim17ROCPRIM_400000_NS6detail17trampoline_kernelINS0_14default_configENS1_27scan_by_key_config_selectorIiiEEZZNS1_16scan_by_key_implILNS1_25lookback_scan_determinismE0ELb0ES3_N6thrust23THRUST_200600_302600_NS6detail15normal_iteratorINS9_10device_ptrIiEEEESE_SE_iNS9_10multipliesIiEENS9_8equal_toIiEEiEE10hipError_tPvRmT2_T3_T4_T5_mT6_T7_P12ihipStream_tbENKUlT_T0_E_clISt17integral_constantIbLb0EESZ_EEDaSU_SV_EUlSU_E_NS1_11comp_targetILNS1_3genE0ELNS1_11target_archE4294967295ELNS1_3gpuE0ELNS1_3repE0EEENS1_30default_config_static_selectorELNS0_4arch9wavefront6targetE0EEEvT1_.uses_flat_scratch, 1
	.set _ZN7rocprim17ROCPRIM_400000_NS6detail17trampoline_kernelINS0_14default_configENS1_27scan_by_key_config_selectorIiiEEZZNS1_16scan_by_key_implILNS1_25lookback_scan_determinismE0ELb0ES3_N6thrust23THRUST_200600_302600_NS6detail15normal_iteratorINS9_10device_ptrIiEEEESE_SE_iNS9_10multipliesIiEENS9_8equal_toIiEEiEE10hipError_tPvRmT2_T3_T4_T5_mT6_T7_P12ihipStream_tbENKUlT_T0_E_clISt17integral_constantIbLb0EESZ_EEDaSU_SV_EUlSU_E_NS1_11comp_targetILNS1_3genE0ELNS1_11target_archE4294967295ELNS1_3gpuE0ELNS1_3repE0EEENS1_30default_config_static_selectorELNS0_4arch9wavefront6targetE0EEEvT1_.has_dyn_sized_stack, 0
	.set _ZN7rocprim17ROCPRIM_400000_NS6detail17trampoline_kernelINS0_14default_configENS1_27scan_by_key_config_selectorIiiEEZZNS1_16scan_by_key_implILNS1_25lookback_scan_determinismE0ELb0ES3_N6thrust23THRUST_200600_302600_NS6detail15normal_iteratorINS9_10device_ptrIiEEEESE_SE_iNS9_10multipliesIiEENS9_8equal_toIiEEiEE10hipError_tPvRmT2_T3_T4_T5_mT6_T7_P12ihipStream_tbENKUlT_T0_E_clISt17integral_constantIbLb0EESZ_EEDaSU_SV_EUlSU_E_NS1_11comp_targetILNS1_3genE0ELNS1_11target_archE4294967295ELNS1_3gpuE0ELNS1_3repE0EEENS1_30default_config_static_selectorELNS0_4arch9wavefront6targetE0EEEvT1_.has_recursion, 0
	.set _ZN7rocprim17ROCPRIM_400000_NS6detail17trampoline_kernelINS0_14default_configENS1_27scan_by_key_config_selectorIiiEEZZNS1_16scan_by_key_implILNS1_25lookback_scan_determinismE0ELb0ES3_N6thrust23THRUST_200600_302600_NS6detail15normal_iteratorINS9_10device_ptrIiEEEESE_SE_iNS9_10multipliesIiEENS9_8equal_toIiEEiEE10hipError_tPvRmT2_T3_T4_T5_mT6_T7_P12ihipStream_tbENKUlT_T0_E_clISt17integral_constantIbLb0EESZ_EEDaSU_SV_EUlSU_E_NS1_11comp_targetILNS1_3genE0ELNS1_11target_archE4294967295ELNS1_3gpuE0ELNS1_3repE0EEENS1_30default_config_static_selectorELNS0_4arch9wavefront6targetE0EEEvT1_.has_indirect_call, 0
	.section	.AMDGPU.csdata,"",@progbits
; Kernel info:
; codeLenInByte = 12228
; TotalNumSgprs: 44
; NumVgprs: 60
; ScratchSize: 0
; MemoryBound: 0
; FloatMode: 240
; IeeeMode: 1
; LDSByteSize: 14336 bytes/workgroup (compile time only)
; SGPRBlocks: 0
; VGPRBlocks: 3
; NumSGPRsForWavesPerEU: 44
; NumVGPRsForWavesPerEU: 60
; NamedBarCnt: 0
; Occupancy: 16
; WaveLimiterHint : 1
; COMPUTE_PGM_RSRC2:SCRATCH_EN: 0
; COMPUTE_PGM_RSRC2:USER_SGPR: 2
; COMPUTE_PGM_RSRC2:TRAP_HANDLER: 0
; COMPUTE_PGM_RSRC2:TGID_X_EN: 1
; COMPUTE_PGM_RSRC2:TGID_Y_EN: 0
; COMPUTE_PGM_RSRC2:TGID_Z_EN: 0
; COMPUTE_PGM_RSRC2:TIDIG_COMP_CNT: 0
	.section	.text._ZN7rocprim17ROCPRIM_400000_NS6detail17trampoline_kernelINS0_14default_configENS1_27scan_by_key_config_selectorIiiEEZZNS1_16scan_by_key_implILNS1_25lookback_scan_determinismE0ELb0ES3_N6thrust23THRUST_200600_302600_NS6detail15normal_iteratorINS9_10device_ptrIiEEEESE_SE_iNS9_10multipliesIiEENS9_8equal_toIiEEiEE10hipError_tPvRmT2_T3_T4_T5_mT6_T7_P12ihipStream_tbENKUlT_T0_E_clISt17integral_constantIbLb0EESZ_EEDaSU_SV_EUlSU_E_NS1_11comp_targetILNS1_3genE10ELNS1_11target_archE1201ELNS1_3gpuE5ELNS1_3repE0EEENS1_30default_config_static_selectorELNS0_4arch9wavefront6targetE0EEEvT1_,"axG",@progbits,_ZN7rocprim17ROCPRIM_400000_NS6detail17trampoline_kernelINS0_14default_configENS1_27scan_by_key_config_selectorIiiEEZZNS1_16scan_by_key_implILNS1_25lookback_scan_determinismE0ELb0ES3_N6thrust23THRUST_200600_302600_NS6detail15normal_iteratorINS9_10device_ptrIiEEEESE_SE_iNS9_10multipliesIiEENS9_8equal_toIiEEiEE10hipError_tPvRmT2_T3_T4_T5_mT6_T7_P12ihipStream_tbENKUlT_T0_E_clISt17integral_constantIbLb0EESZ_EEDaSU_SV_EUlSU_E_NS1_11comp_targetILNS1_3genE10ELNS1_11target_archE1201ELNS1_3gpuE5ELNS1_3repE0EEENS1_30default_config_static_selectorELNS0_4arch9wavefront6targetE0EEEvT1_,comdat
	.protected	_ZN7rocprim17ROCPRIM_400000_NS6detail17trampoline_kernelINS0_14default_configENS1_27scan_by_key_config_selectorIiiEEZZNS1_16scan_by_key_implILNS1_25lookback_scan_determinismE0ELb0ES3_N6thrust23THRUST_200600_302600_NS6detail15normal_iteratorINS9_10device_ptrIiEEEESE_SE_iNS9_10multipliesIiEENS9_8equal_toIiEEiEE10hipError_tPvRmT2_T3_T4_T5_mT6_T7_P12ihipStream_tbENKUlT_T0_E_clISt17integral_constantIbLb0EESZ_EEDaSU_SV_EUlSU_E_NS1_11comp_targetILNS1_3genE10ELNS1_11target_archE1201ELNS1_3gpuE5ELNS1_3repE0EEENS1_30default_config_static_selectorELNS0_4arch9wavefront6targetE0EEEvT1_ ; -- Begin function _ZN7rocprim17ROCPRIM_400000_NS6detail17trampoline_kernelINS0_14default_configENS1_27scan_by_key_config_selectorIiiEEZZNS1_16scan_by_key_implILNS1_25lookback_scan_determinismE0ELb0ES3_N6thrust23THRUST_200600_302600_NS6detail15normal_iteratorINS9_10device_ptrIiEEEESE_SE_iNS9_10multipliesIiEENS9_8equal_toIiEEiEE10hipError_tPvRmT2_T3_T4_T5_mT6_T7_P12ihipStream_tbENKUlT_T0_E_clISt17integral_constantIbLb0EESZ_EEDaSU_SV_EUlSU_E_NS1_11comp_targetILNS1_3genE10ELNS1_11target_archE1201ELNS1_3gpuE5ELNS1_3repE0EEENS1_30default_config_static_selectorELNS0_4arch9wavefront6targetE0EEEvT1_
	.globl	_ZN7rocprim17ROCPRIM_400000_NS6detail17trampoline_kernelINS0_14default_configENS1_27scan_by_key_config_selectorIiiEEZZNS1_16scan_by_key_implILNS1_25lookback_scan_determinismE0ELb0ES3_N6thrust23THRUST_200600_302600_NS6detail15normal_iteratorINS9_10device_ptrIiEEEESE_SE_iNS9_10multipliesIiEENS9_8equal_toIiEEiEE10hipError_tPvRmT2_T3_T4_T5_mT6_T7_P12ihipStream_tbENKUlT_T0_E_clISt17integral_constantIbLb0EESZ_EEDaSU_SV_EUlSU_E_NS1_11comp_targetILNS1_3genE10ELNS1_11target_archE1201ELNS1_3gpuE5ELNS1_3repE0EEENS1_30default_config_static_selectorELNS0_4arch9wavefront6targetE0EEEvT1_
	.p2align	8
	.type	_ZN7rocprim17ROCPRIM_400000_NS6detail17trampoline_kernelINS0_14default_configENS1_27scan_by_key_config_selectorIiiEEZZNS1_16scan_by_key_implILNS1_25lookback_scan_determinismE0ELb0ES3_N6thrust23THRUST_200600_302600_NS6detail15normal_iteratorINS9_10device_ptrIiEEEESE_SE_iNS9_10multipliesIiEENS9_8equal_toIiEEiEE10hipError_tPvRmT2_T3_T4_T5_mT6_T7_P12ihipStream_tbENKUlT_T0_E_clISt17integral_constantIbLb0EESZ_EEDaSU_SV_EUlSU_E_NS1_11comp_targetILNS1_3genE10ELNS1_11target_archE1201ELNS1_3gpuE5ELNS1_3repE0EEENS1_30default_config_static_selectorELNS0_4arch9wavefront6targetE0EEEvT1_,@function
_ZN7rocprim17ROCPRIM_400000_NS6detail17trampoline_kernelINS0_14default_configENS1_27scan_by_key_config_selectorIiiEEZZNS1_16scan_by_key_implILNS1_25lookback_scan_determinismE0ELb0ES3_N6thrust23THRUST_200600_302600_NS6detail15normal_iteratorINS9_10device_ptrIiEEEESE_SE_iNS9_10multipliesIiEENS9_8equal_toIiEEiEE10hipError_tPvRmT2_T3_T4_T5_mT6_T7_P12ihipStream_tbENKUlT_T0_E_clISt17integral_constantIbLb0EESZ_EEDaSU_SV_EUlSU_E_NS1_11comp_targetILNS1_3genE10ELNS1_11target_archE1201ELNS1_3gpuE5ELNS1_3repE0EEENS1_30default_config_static_selectorELNS0_4arch9wavefront6targetE0EEEvT1_: ; @_ZN7rocprim17ROCPRIM_400000_NS6detail17trampoline_kernelINS0_14default_configENS1_27scan_by_key_config_selectorIiiEEZZNS1_16scan_by_key_implILNS1_25lookback_scan_determinismE0ELb0ES3_N6thrust23THRUST_200600_302600_NS6detail15normal_iteratorINS9_10device_ptrIiEEEESE_SE_iNS9_10multipliesIiEENS9_8equal_toIiEEiEE10hipError_tPvRmT2_T3_T4_T5_mT6_T7_P12ihipStream_tbENKUlT_T0_E_clISt17integral_constantIbLb0EESZ_EEDaSU_SV_EUlSU_E_NS1_11comp_targetILNS1_3genE10ELNS1_11target_archE1201ELNS1_3gpuE5ELNS1_3repE0EEENS1_30default_config_static_selectorELNS0_4arch9wavefront6targetE0EEEvT1_
; %bb.0:
	.section	.rodata,"a",@progbits
	.p2align	6, 0x0
	.amdhsa_kernel _ZN7rocprim17ROCPRIM_400000_NS6detail17trampoline_kernelINS0_14default_configENS1_27scan_by_key_config_selectorIiiEEZZNS1_16scan_by_key_implILNS1_25lookback_scan_determinismE0ELb0ES3_N6thrust23THRUST_200600_302600_NS6detail15normal_iteratorINS9_10device_ptrIiEEEESE_SE_iNS9_10multipliesIiEENS9_8equal_toIiEEiEE10hipError_tPvRmT2_T3_T4_T5_mT6_T7_P12ihipStream_tbENKUlT_T0_E_clISt17integral_constantIbLb0EESZ_EEDaSU_SV_EUlSU_E_NS1_11comp_targetILNS1_3genE10ELNS1_11target_archE1201ELNS1_3gpuE5ELNS1_3repE0EEENS1_30default_config_static_selectorELNS0_4arch9wavefront6targetE0EEEvT1_
		.amdhsa_group_segment_fixed_size 0
		.amdhsa_private_segment_fixed_size 0
		.amdhsa_kernarg_size 112
		.amdhsa_user_sgpr_count 2
		.amdhsa_user_sgpr_dispatch_ptr 0
		.amdhsa_user_sgpr_queue_ptr 0
		.amdhsa_user_sgpr_kernarg_segment_ptr 1
		.amdhsa_user_sgpr_dispatch_id 0
		.amdhsa_user_sgpr_kernarg_preload_length 0
		.amdhsa_user_sgpr_kernarg_preload_offset 0
		.amdhsa_user_sgpr_private_segment_size 0
		.amdhsa_wavefront_size32 1
		.amdhsa_uses_dynamic_stack 0
		.amdhsa_enable_private_segment 0
		.amdhsa_system_sgpr_workgroup_id_x 1
		.amdhsa_system_sgpr_workgroup_id_y 0
		.amdhsa_system_sgpr_workgroup_id_z 0
		.amdhsa_system_sgpr_workgroup_info 0
		.amdhsa_system_vgpr_workitem_id 0
		.amdhsa_next_free_vgpr 1
		.amdhsa_next_free_sgpr 1
		.amdhsa_named_barrier_count 0
		.amdhsa_reserve_vcc 0
		.amdhsa_float_round_mode_32 0
		.amdhsa_float_round_mode_16_64 0
		.amdhsa_float_denorm_mode_32 3
		.amdhsa_float_denorm_mode_16_64 3
		.amdhsa_fp16_overflow 0
		.amdhsa_memory_ordered 1
		.amdhsa_forward_progress 1
		.amdhsa_inst_pref_size 0
		.amdhsa_round_robin_scheduling 0
		.amdhsa_exception_fp_ieee_invalid_op 0
		.amdhsa_exception_fp_denorm_src 0
		.amdhsa_exception_fp_ieee_div_zero 0
		.amdhsa_exception_fp_ieee_overflow 0
		.amdhsa_exception_fp_ieee_underflow 0
		.amdhsa_exception_fp_ieee_inexact 0
		.amdhsa_exception_int_div_zero 0
	.end_amdhsa_kernel
	.section	.text._ZN7rocprim17ROCPRIM_400000_NS6detail17trampoline_kernelINS0_14default_configENS1_27scan_by_key_config_selectorIiiEEZZNS1_16scan_by_key_implILNS1_25lookback_scan_determinismE0ELb0ES3_N6thrust23THRUST_200600_302600_NS6detail15normal_iteratorINS9_10device_ptrIiEEEESE_SE_iNS9_10multipliesIiEENS9_8equal_toIiEEiEE10hipError_tPvRmT2_T3_T4_T5_mT6_T7_P12ihipStream_tbENKUlT_T0_E_clISt17integral_constantIbLb0EESZ_EEDaSU_SV_EUlSU_E_NS1_11comp_targetILNS1_3genE10ELNS1_11target_archE1201ELNS1_3gpuE5ELNS1_3repE0EEENS1_30default_config_static_selectorELNS0_4arch9wavefront6targetE0EEEvT1_,"axG",@progbits,_ZN7rocprim17ROCPRIM_400000_NS6detail17trampoline_kernelINS0_14default_configENS1_27scan_by_key_config_selectorIiiEEZZNS1_16scan_by_key_implILNS1_25lookback_scan_determinismE0ELb0ES3_N6thrust23THRUST_200600_302600_NS6detail15normal_iteratorINS9_10device_ptrIiEEEESE_SE_iNS9_10multipliesIiEENS9_8equal_toIiEEiEE10hipError_tPvRmT2_T3_T4_T5_mT6_T7_P12ihipStream_tbENKUlT_T0_E_clISt17integral_constantIbLb0EESZ_EEDaSU_SV_EUlSU_E_NS1_11comp_targetILNS1_3genE10ELNS1_11target_archE1201ELNS1_3gpuE5ELNS1_3repE0EEENS1_30default_config_static_selectorELNS0_4arch9wavefront6targetE0EEEvT1_,comdat
.Lfunc_end165:
	.size	_ZN7rocprim17ROCPRIM_400000_NS6detail17trampoline_kernelINS0_14default_configENS1_27scan_by_key_config_selectorIiiEEZZNS1_16scan_by_key_implILNS1_25lookback_scan_determinismE0ELb0ES3_N6thrust23THRUST_200600_302600_NS6detail15normal_iteratorINS9_10device_ptrIiEEEESE_SE_iNS9_10multipliesIiEENS9_8equal_toIiEEiEE10hipError_tPvRmT2_T3_T4_T5_mT6_T7_P12ihipStream_tbENKUlT_T0_E_clISt17integral_constantIbLb0EESZ_EEDaSU_SV_EUlSU_E_NS1_11comp_targetILNS1_3genE10ELNS1_11target_archE1201ELNS1_3gpuE5ELNS1_3repE0EEENS1_30default_config_static_selectorELNS0_4arch9wavefront6targetE0EEEvT1_, .Lfunc_end165-_ZN7rocprim17ROCPRIM_400000_NS6detail17trampoline_kernelINS0_14default_configENS1_27scan_by_key_config_selectorIiiEEZZNS1_16scan_by_key_implILNS1_25lookback_scan_determinismE0ELb0ES3_N6thrust23THRUST_200600_302600_NS6detail15normal_iteratorINS9_10device_ptrIiEEEESE_SE_iNS9_10multipliesIiEENS9_8equal_toIiEEiEE10hipError_tPvRmT2_T3_T4_T5_mT6_T7_P12ihipStream_tbENKUlT_T0_E_clISt17integral_constantIbLb0EESZ_EEDaSU_SV_EUlSU_E_NS1_11comp_targetILNS1_3genE10ELNS1_11target_archE1201ELNS1_3gpuE5ELNS1_3repE0EEENS1_30default_config_static_selectorELNS0_4arch9wavefront6targetE0EEEvT1_
                                        ; -- End function
	.set _ZN7rocprim17ROCPRIM_400000_NS6detail17trampoline_kernelINS0_14default_configENS1_27scan_by_key_config_selectorIiiEEZZNS1_16scan_by_key_implILNS1_25lookback_scan_determinismE0ELb0ES3_N6thrust23THRUST_200600_302600_NS6detail15normal_iteratorINS9_10device_ptrIiEEEESE_SE_iNS9_10multipliesIiEENS9_8equal_toIiEEiEE10hipError_tPvRmT2_T3_T4_T5_mT6_T7_P12ihipStream_tbENKUlT_T0_E_clISt17integral_constantIbLb0EESZ_EEDaSU_SV_EUlSU_E_NS1_11comp_targetILNS1_3genE10ELNS1_11target_archE1201ELNS1_3gpuE5ELNS1_3repE0EEENS1_30default_config_static_selectorELNS0_4arch9wavefront6targetE0EEEvT1_.num_vgpr, 0
	.set _ZN7rocprim17ROCPRIM_400000_NS6detail17trampoline_kernelINS0_14default_configENS1_27scan_by_key_config_selectorIiiEEZZNS1_16scan_by_key_implILNS1_25lookback_scan_determinismE0ELb0ES3_N6thrust23THRUST_200600_302600_NS6detail15normal_iteratorINS9_10device_ptrIiEEEESE_SE_iNS9_10multipliesIiEENS9_8equal_toIiEEiEE10hipError_tPvRmT2_T3_T4_T5_mT6_T7_P12ihipStream_tbENKUlT_T0_E_clISt17integral_constantIbLb0EESZ_EEDaSU_SV_EUlSU_E_NS1_11comp_targetILNS1_3genE10ELNS1_11target_archE1201ELNS1_3gpuE5ELNS1_3repE0EEENS1_30default_config_static_selectorELNS0_4arch9wavefront6targetE0EEEvT1_.num_agpr, 0
	.set _ZN7rocprim17ROCPRIM_400000_NS6detail17trampoline_kernelINS0_14default_configENS1_27scan_by_key_config_selectorIiiEEZZNS1_16scan_by_key_implILNS1_25lookback_scan_determinismE0ELb0ES3_N6thrust23THRUST_200600_302600_NS6detail15normal_iteratorINS9_10device_ptrIiEEEESE_SE_iNS9_10multipliesIiEENS9_8equal_toIiEEiEE10hipError_tPvRmT2_T3_T4_T5_mT6_T7_P12ihipStream_tbENKUlT_T0_E_clISt17integral_constantIbLb0EESZ_EEDaSU_SV_EUlSU_E_NS1_11comp_targetILNS1_3genE10ELNS1_11target_archE1201ELNS1_3gpuE5ELNS1_3repE0EEENS1_30default_config_static_selectorELNS0_4arch9wavefront6targetE0EEEvT1_.numbered_sgpr, 0
	.set _ZN7rocprim17ROCPRIM_400000_NS6detail17trampoline_kernelINS0_14default_configENS1_27scan_by_key_config_selectorIiiEEZZNS1_16scan_by_key_implILNS1_25lookback_scan_determinismE0ELb0ES3_N6thrust23THRUST_200600_302600_NS6detail15normal_iteratorINS9_10device_ptrIiEEEESE_SE_iNS9_10multipliesIiEENS9_8equal_toIiEEiEE10hipError_tPvRmT2_T3_T4_T5_mT6_T7_P12ihipStream_tbENKUlT_T0_E_clISt17integral_constantIbLb0EESZ_EEDaSU_SV_EUlSU_E_NS1_11comp_targetILNS1_3genE10ELNS1_11target_archE1201ELNS1_3gpuE5ELNS1_3repE0EEENS1_30default_config_static_selectorELNS0_4arch9wavefront6targetE0EEEvT1_.num_named_barrier, 0
	.set _ZN7rocprim17ROCPRIM_400000_NS6detail17trampoline_kernelINS0_14default_configENS1_27scan_by_key_config_selectorIiiEEZZNS1_16scan_by_key_implILNS1_25lookback_scan_determinismE0ELb0ES3_N6thrust23THRUST_200600_302600_NS6detail15normal_iteratorINS9_10device_ptrIiEEEESE_SE_iNS9_10multipliesIiEENS9_8equal_toIiEEiEE10hipError_tPvRmT2_T3_T4_T5_mT6_T7_P12ihipStream_tbENKUlT_T0_E_clISt17integral_constantIbLb0EESZ_EEDaSU_SV_EUlSU_E_NS1_11comp_targetILNS1_3genE10ELNS1_11target_archE1201ELNS1_3gpuE5ELNS1_3repE0EEENS1_30default_config_static_selectorELNS0_4arch9wavefront6targetE0EEEvT1_.private_seg_size, 0
	.set _ZN7rocprim17ROCPRIM_400000_NS6detail17trampoline_kernelINS0_14default_configENS1_27scan_by_key_config_selectorIiiEEZZNS1_16scan_by_key_implILNS1_25lookback_scan_determinismE0ELb0ES3_N6thrust23THRUST_200600_302600_NS6detail15normal_iteratorINS9_10device_ptrIiEEEESE_SE_iNS9_10multipliesIiEENS9_8equal_toIiEEiEE10hipError_tPvRmT2_T3_T4_T5_mT6_T7_P12ihipStream_tbENKUlT_T0_E_clISt17integral_constantIbLb0EESZ_EEDaSU_SV_EUlSU_E_NS1_11comp_targetILNS1_3genE10ELNS1_11target_archE1201ELNS1_3gpuE5ELNS1_3repE0EEENS1_30default_config_static_selectorELNS0_4arch9wavefront6targetE0EEEvT1_.uses_vcc, 0
	.set _ZN7rocprim17ROCPRIM_400000_NS6detail17trampoline_kernelINS0_14default_configENS1_27scan_by_key_config_selectorIiiEEZZNS1_16scan_by_key_implILNS1_25lookback_scan_determinismE0ELb0ES3_N6thrust23THRUST_200600_302600_NS6detail15normal_iteratorINS9_10device_ptrIiEEEESE_SE_iNS9_10multipliesIiEENS9_8equal_toIiEEiEE10hipError_tPvRmT2_T3_T4_T5_mT6_T7_P12ihipStream_tbENKUlT_T0_E_clISt17integral_constantIbLb0EESZ_EEDaSU_SV_EUlSU_E_NS1_11comp_targetILNS1_3genE10ELNS1_11target_archE1201ELNS1_3gpuE5ELNS1_3repE0EEENS1_30default_config_static_selectorELNS0_4arch9wavefront6targetE0EEEvT1_.uses_flat_scratch, 0
	.set _ZN7rocprim17ROCPRIM_400000_NS6detail17trampoline_kernelINS0_14default_configENS1_27scan_by_key_config_selectorIiiEEZZNS1_16scan_by_key_implILNS1_25lookback_scan_determinismE0ELb0ES3_N6thrust23THRUST_200600_302600_NS6detail15normal_iteratorINS9_10device_ptrIiEEEESE_SE_iNS9_10multipliesIiEENS9_8equal_toIiEEiEE10hipError_tPvRmT2_T3_T4_T5_mT6_T7_P12ihipStream_tbENKUlT_T0_E_clISt17integral_constantIbLb0EESZ_EEDaSU_SV_EUlSU_E_NS1_11comp_targetILNS1_3genE10ELNS1_11target_archE1201ELNS1_3gpuE5ELNS1_3repE0EEENS1_30default_config_static_selectorELNS0_4arch9wavefront6targetE0EEEvT1_.has_dyn_sized_stack, 0
	.set _ZN7rocprim17ROCPRIM_400000_NS6detail17trampoline_kernelINS0_14default_configENS1_27scan_by_key_config_selectorIiiEEZZNS1_16scan_by_key_implILNS1_25lookback_scan_determinismE0ELb0ES3_N6thrust23THRUST_200600_302600_NS6detail15normal_iteratorINS9_10device_ptrIiEEEESE_SE_iNS9_10multipliesIiEENS9_8equal_toIiEEiEE10hipError_tPvRmT2_T3_T4_T5_mT6_T7_P12ihipStream_tbENKUlT_T0_E_clISt17integral_constantIbLb0EESZ_EEDaSU_SV_EUlSU_E_NS1_11comp_targetILNS1_3genE10ELNS1_11target_archE1201ELNS1_3gpuE5ELNS1_3repE0EEENS1_30default_config_static_selectorELNS0_4arch9wavefront6targetE0EEEvT1_.has_recursion, 0
	.set _ZN7rocprim17ROCPRIM_400000_NS6detail17trampoline_kernelINS0_14default_configENS1_27scan_by_key_config_selectorIiiEEZZNS1_16scan_by_key_implILNS1_25lookback_scan_determinismE0ELb0ES3_N6thrust23THRUST_200600_302600_NS6detail15normal_iteratorINS9_10device_ptrIiEEEESE_SE_iNS9_10multipliesIiEENS9_8equal_toIiEEiEE10hipError_tPvRmT2_T3_T4_T5_mT6_T7_P12ihipStream_tbENKUlT_T0_E_clISt17integral_constantIbLb0EESZ_EEDaSU_SV_EUlSU_E_NS1_11comp_targetILNS1_3genE10ELNS1_11target_archE1201ELNS1_3gpuE5ELNS1_3repE0EEENS1_30default_config_static_selectorELNS0_4arch9wavefront6targetE0EEEvT1_.has_indirect_call, 0
	.section	.AMDGPU.csdata,"",@progbits
; Kernel info:
; codeLenInByte = 0
; TotalNumSgprs: 0
; NumVgprs: 0
; ScratchSize: 0
; MemoryBound: 0
; FloatMode: 240
; IeeeMode: 1
; LDSByteSize: 0 bytes/workgroup (compile time only)
; SGPRBlocks: 0
; VGPRBlocks: 0
; NumSGPRsForWavesPerEU: 1
; NumVGPRsForWavesPerEU: 1
; NamedBarCnt: 0
; Occupancy: 16
; WaveLimiterHint : 0
; COMPUTE_PGM_RSRC2:SCRATCH_EN: 0
; COMPUTE_PGM_RSRC2:USER_SGPR: 2
; COMPUTE_PGM_RSRC2:TRAP_HANDLER: 0
; COMPUTE_PGM_RSRC2:TGID_X_EN: 1
; COMPUTE_PGM_RSRC2:TGID_Y_EN: 0
; COMPUTE_PGM_RSRC2:TGID_Z_EN: 0
; COMPUTE_PGM_RSRC2:TIDIG_COMP_CNT: 0
	.section	.text._ZN7rocprim17ROCPRIM_400000_NS6detail17trampoline_kernelINS0_14default_configENS1_27scan_by_key_config_selectorIiiEEZZNS1_16scan_by_key_implILNS1_25lookback_scan_determinismE0ELb0ES3_N6thrust23THRUST_200600_302600_NS6detail15normal_iteratorINS9_10device_ptrIiEEEESE_SE_iNS9_10multipliesIiEENS9_8equal_toIiEEiEE10hipError_tPvRmT2_T3_T4_T5_mT6_T7_P12ihipStream_tbENKUlT_T0_E_clISt17integral_constantIbLb0EESZ_EEDaSU_SV_EUlSU_E_NS1_11comp_targetILNS1_3genE5ELNS1_11target_archE942ELNS1_3gpuE9ELNS1_3repE0EEENS1_30default_config_static_selectorELNS0_4arch9wavefront6targetE0EEEvT1_,"axG",@progbits,_ZN7rocprim17ROCPRIM_400000_NS6detail17trampoline_kernelINS0_14default_configENS1_27scan_by_key_config_selectorIiiEEZZNS1_16scan_by_key_implILNS1_25lookback_scan_determinismE0ELb0ES3_N6thrust23THRUST_200600_302600_NS6detail15normal_iteratorINS9_10device_ptrIiEEEESE_SE_iNS9_10multipliesIiEENS9_8equal_toIiEEiEE10hipError_tPvRmT2_T3_T4_T5_mT6_T7_P12ihipStream_tbENKUlT_T0_E_clISt17integral_constantIbLb0EESZ_EEDaSU_SV_EUlSU_E_NS1_11comp_targetILNS1_3genE5ELNS1_11target_archE942ELNS1_3gpuE9ELNS1_3repE0EEENS1_30default_config_static_selectorELNS0_4arch9wavefront6targetE0EEEvT1_,comdat
	.protected	_ZN7rocprim17ROCPRIM_400000_NS6detail17trampoline_kernelINS0_14default_configENS1_27scan_by_key_config_selectorIiiEEZZNS1_16scan_by_key_implILNS1_25lookback_scan_determinismE0ELb0ES3_N6thrust23THRUST_200600_302600_NS6detail15normal_iteratorINS9_10device_ptrIiEEEESE_SE_iNS9_10multipliesIiEENS9_8equal_toIiEEiEE10hipError_tPvRmT2_T3_T4_T5_mT6_T7_P12ihipStream_tbENKUlT_T0_E_clISt17integral_constantIbLb0EESZ_EEDaSU_SV_EUlSU_E_NS1_11comp_targetILNS1_3genE5ELNS1_11target_archE942ELNS1_3gpuE9ELNS1_3repE0EEENS1_30default_config_static_selectorELNS0_4arch9wavefront6targetE0EEEvT1_ ; -- Begin function _ZN7rocprim17ROCPRIM_400000_NS6detail17trampoline_kernelINS0_14default_configENS1_27scan_by_key_config_selectorIiiEEZZNS1_16scan_by_key_implILNS1_25lookback_scan_determinismE0ELb0ES3_N6thrust23THRUST_200600_302600_NS6detail15normal_iteratorINS9_10device_ptrIiEEEESE_SE_iNS9_10multipliesIiEENS9_8equal_toIiEEiEE10hipError_tPvRmT2_T3_T4_T5_mT6_T7_P12ihipStream_tbENKUlT_T0_E_clISt17integral_constantIbLb0EESZ_EEDaSU_SV_EUlSU_E_NS1_11comp_targetILNS1_3genE5ELNS1_11target_archE942ELNS1_3gpuE9ELNS1_3repE0EEENS1_30default_config_static_selectorELNS0_4arch9wavefront6targetE0EEEvT1_
	.globl	_ZN7rocprim17ROCPRIM_400000_NS6detail17trampoline_kernelINS0_14default_configENS1_27scan_by_key_config_selectorIiiEEZZNS1_16scan_by_key_implILNS1_25lookback_scan_determinismE0ELb0ES3_N6thrust23THRUST_200600_302600_NS6detail15normal_iteratorINS9_10device_ptrIiEEEESE_SE_iNS9_10multipliesIiEENS9_8equal_toIiEEiEE10hipError_tPvRmT2_T3_T4_T5_mT6_T7_P12ihipStream_tbENKUlT_T0_E_clISt17integral_constantIbLb0EESZ_EEDaSU_SV_EUlSU_E_NS1_11comp_targetILNS1_3genE5ELNS1_11target_archE942ELNS1_3gpuE9ELNS1_3repE0EEENS1_30default_config_static_selectorELNS0_4arch9wavefront6targetE0EEEvT1_
	.p2align	8
	.type	_ZN7rocprim17ROCPRIM_400000_NS6detail17trampoline_kernelINS0_14default_configENS1_27scan_by_key_config_selectorIiiEEZZNS1_16scan_by_key_implILNS1_25lookback_scan_determinismE0ELb0ES3_N6thrust23THRUST_200600_302600_NS6detail15normal_iteratorINS9_10device_ptrIiEEEESE_SE_iNS9_10multipliesIiEENS9_8equal_toIiEEiEE10hipError_tPvRmT2_T3_T4_T5_mT6_T7_P12ihipStream_tbENKUlT_T0_E_clISt17integral_constantIbLb0EESZ_EEDaSU_SV_EUlSU_E_NS1_11comp_targetILNS1_3genE5ELNS1_11target_archE942ELNS1_3gpuE9ELNS1_3repE0EEENS1_30default_config_static_selectorELNS0_4arch9wavefront6targetE0EEEvT1_,@function
_ZN7rocprim17ROCPRIM_400000_NS6detail17trampoline_kernelINS0_14default_configENS1_27scan_by_key_config_selectorIiiEEZZNS1_16scan_by_key_implILNS1_25lookback_scan_determinismE0ELb0ES3_N6thrust23THRUST_200600_302600_NS6detail15normal_iteratorINS9_10device_ptrIiEEEESE_SE_iNS9_10multipliesIiEENS9_8equal_toIiEEiEE10hipError_tPvRmT2_T3_T4_T5_mT6_T7_P12ihipStream_tbENKUlT_T0_E_clISt17integral_constantIbLb0EESZ_EEDaSU_SV_EUlSU_E_NS1_11comp_targetILNS1_3genE5ELNS1_11target_archE942ELNS1_3gpuE9ELNS1_3repE0EEENS1_30default_config_static_selectorELNS0_4arch9wavefront6targetE0EEEvT1_: ; @_ZN7rocprim17ROCPRIM_400000_NS6detail17trampoline_kernelINS0_14default_configENS1_27scan_by_key_config_selectorIiiEEZZNS1_16scan_by_key_implILNS1_25lookback_scan_determinismE0ELb0ES3_N6thrust23THRUST_200600_302600_NS6detail15normal_iteratorINS9_10device_ptrIiEEEESE_SE_iNS9_10multipliesIiEENS9_8equal_toIiEEiEE10hipError_tPvRmT2_T3_T4_T5_mT6_T7_P12ihipStream_tbENKUlT_T0_E_clISt17integral_constantIbLb0EESZ_EEDaSU_SV_EUlSU_E_NS1_11comp_targetILNS1_3genE5ELNS1_11target_archE942ELNS1_3gpuE9ELNS1_3repE0EEENS1_30default_config_static_selectorELNS0_4arch9wavefront6targetE0EEEvT1_
; %bb.0:
	.section	.rodata,"a",@progbits
	.p2align	6, 0x0
	.amdhsa_kernel _ZN7rocprim17ROCPRIM_400000_NS6detail17trampoline_kernelINS0_14default_configENS1_27scan_by_key_config_selectorIiiEEZZNS1_16scan_by_key_implILNS1_25lookback_scan_determinismE0ELb0ES3_N6thrust23THRUST_200600_302600_NS6detail15normal_iteratorINS9_10device_ptrIiEEEESE_SE_iNS9_10multipliesIiEENS9_8equal_toIiEEiEE10hipError_tPvRmT2_T3_T4_T5_mT6_T7_P12ihipStream_tbENKUlT_T0_E_clISt17integral_constantIbLb0EESZ_EEDaSU_SV_EUlSU_E_NS1_11comp_targetILNS1_3genE5ELNS1_11target_archE942ELNS1_3gpuE9ELNS1_3repE0EEENS1_30default_config_static_selectorELNS0_4arch9wavefront6targetE0EEEvT1_
		.amdhsa_group_segment_fixed_size 0
		.amdhsa_private_segment_fixed_size 0
		.amdhsa_kernarg_size 112
		.amdhsa_user_sgpr_count 2
		.amdhsa_user_sgpr_dispatch_ptr 0
		.amdhsa_user_sgpr_queue_ptr 0
		.amdhsa_user_sgpr_kernarg_segment_ptr 1
		.amdhsa_user_sgpr_dispatch_id 0
		.amdhsa_user_sgpr_kernarg_preload_length 0
		.amdhsa_user_sgpr_kernarg_preload_offset 0
		.amdhsa_user_sgpr_private_segment_size 0
		.amdhsa_wavefront_size32 1
		.amdhsa_uses_dynamic_stack 0
		.amdhsa_enable_private_segment 0
		.amdhsa_system_sgpr_workgroup_id_x 1
		.amdhsa_system_sgpr_workgroup_id_y 0
		.amdhsa_system_sgpr_workgroup_id_z 0
		.amdhsa_system_sgpr_workgroup_info 0
		.amdhsa_system_vgpr_workitem_id 0
		.amdhsa_next_free_vgpr 1
		.amdhsa_next_free_sgpr 1
		.amdhsa_named_barrier_count 0
		.amdhsa_reserve_vcc 0
		.amdhsa_float_round_mode_32 0
		.amdhsa_float_round_mode_16_64 0
		.amdhsa_float_denorm_mode_32 3
		.amdhsa_float_denorm_mode_16_64 3
		.amdhsa_fp16_overflow 0
		.amdhsa_memory_ordered 1
		.amdhsa_forward_progress 1
		.amdhsa_inst_pref_size 0
		.amdhsa_round_robin_scheduling 0
		.amdhsa_exception_fp_ieee_invalid_op 0
		.amdhsa_exception_fp_denorm_src 0
		.amdhsa_exception_fp_ieee_div_zero 0
		.amdhsa_exception_fp_ieee_overflow 0
		.amdhsa_exception_fp_ieee_underflow 0
		.amdhsa_exception_fp_ieee_inexact 0
		.amdhsa_exception_int_div_zero 0
	.end_amdhsa_kernel
	.section	.text._ZN7rocprim17ROCPRIM_400000_NS6detail17trampoline_kernelINS0_14default_configENS1_27scan_by_key_config_selectorIiiEEZZNS1_16scan_by_key_implILNS1_25lookback_scan_determinismE0ELb0ES3_N6thrust23THRUST_200600_302600_NS6detail15normal_iteratorINS9_10device_ptrIiEEEESE_SE_iNS9_10multipliesIiEENS9_8equal_toIiEEiEE10hipError_tPvRmT2_T3_T4_T5_mT6_T7_P12ihipStream_tbENKUlT_T0_E_clISt17integral_constantIbLb0EESZ_EEDaSU_SV_EUlSU_E_NS1_11comp_targetILNS1_3genE5ELNS1_11target_archE942ELNS1_3gpuE9ELNS1_3repE0EEENS1_30default_config_static_selectorELNS0_4arch9wavefront6targetE0EEEvT1_,"axG",@progbits,_ZN7rocprim17ROCPRIM_400000_NS6detail17trampoline_kernelINS0_14default_configENS1_27scan_by_key_config_selectorIiiEEZZNS1_16scan_by_key_implILNS1_25lookback_scan_determinismE0ELb0ES3_N6thrust23THRUST_200600_302600_NS6detail15normal_iteratorINS9_10device_ptrIiEEEESE_SE_iNS9_10multipliesIiEENS9_8equal_toIiEEiEE10hipError_tPvRmT2_T3_T4_T5_mT6_T7_P12ihipStream_tbENKUlT_T0_E_clISt17integral_constantIbLb0EESZ_EEDaSU_SV_EUlSU_E_NS1_11comp_targetILNS1_3genE5ELNS1_11target_archE942ELNS1_3gpuE9ELNS1_3repE0EEENS1_30default_config_static_selectorELNS0_4arch9wavefront6targetE0EEEvT1_,comdat
.Lfunc_end166:
	.size	_ZN7rocprim17ROCPRIM_400000_NS6detail17trampoline_kernelINS0_14default_configENS1_27scan_by_key_config_selectorIiiEEZZNS1_16scan_by_key_implILNS1_25lookback_scan_determinismE0ELb0ES3_N6thrust23THRUST_200600_302600_NS6detail15normal_iteratorINS9_10device_ptrIiEEEESE_SE_iNS9_10multipliesIiEENS9_8equal_toIiEEiEE10hipError_tPvRmT2_T3_T4_T5_mT6_T7_P12ihipStream_tbENKUlT_T0_E_clISt17integral_constantIbLb0EESZ_EEDaSU_SV_EUlSU_E_NS1_11comp_targetILNS1_3genE5ELNS1_11target_archE942ELNS1_3gpuE9ELNS1_3repE0EEENS1_30default_config_static_selectorELNS0_4arch9wavefront6targetE0EEEvT1_, .Lfunc_end166-_ZN7rocprim17ROCPRIM_400000_NS6detail17trampoline_kernelINS0_14default_configENS1_27scan_by_key_config_selectorIiiEEZZNS1_16scan_by_key_implILNS1_25lookback_scan_determinismE0ELb0ES3_N6thrust23THRUST_200600_302600_NS6detail15normal_iteratorINS9_10device_ptrIiEEEESE_SE_iNS9_10multipliesIiEENS9_8equal_toIiEEiEE10hipError_tPvRmT2_T3_T4_T5_mT6_T7_P12ihipStream_tbENKUlT_T0_E_clISt17integral_constantIbLb0EESZ_EEDaSU_SV_EUlSU_E_NS1_11comp_targetILNS1_3genE5ELNS1_11target_archE942ELNS1_3gpuE9ELNS1_3repE0EEENS1_30default_config_static_selectorELNS0_4arch9wavefront6targetE0EEEvT1_
                                        ; -- End function
	.set _ZN7rocprim17ROCPRIM_400000_NS6detail17trampoline_kernelINS0_14default_configENS1_27scan_by_key_config_selectorIiiEEZZNS1_16scan_by_key_implILNS1_25lookback_scan_determinismE0ELb0ES3_N6thrust23THRUST_200600_302600_NS6detail15normal_iteratorINS9_10device_ptrIiEEEESE_SE_iNS9_10multipliesIiEENS9_8equal_toIiEEiEE10hipError_tPvRmT2_T3_T4_T5_mT6_T7_P12ihipStream_tbENKUlT_T0_E_clISt17integral_constantIbLb0EESZ_EEDaSU_SV_EUlSU_E_NS1_11comp_targetILNS1_3genE5ELNS1_11target_archE942ELNS1_3gpuE9ELNS1_3repE0EEENS1_30default_config_static_selectorELNS0_4arch9wavefront6targetE0EEEvT1_.num_vgpr, 0
	.set _ZN7rocprim17ROCPRIM_400000_NS6detail17trampoline_kernelINS0_14default_configENS1_27scan_by_key_config_selectorIiiEEZZNS1_16scan_by_key_implILNS1_25lookback_scan_determinismE0ELb0ES3_N6thrust23THRUST_200600_302600_NS6detail15normal_iteratorINS9_10device_ptrIiEEEESE_SE_iNS9_10multipliesIiEENS9_8equal_toIiEEiEE10hipError_tPvRmT2_T3_T4_T5_mT6_T7_P12ihipStream_tbENKUlT_T0_E_clISt17integral_constantIbLb0EESZ_EEDaSU_SV_EUlSU_E_NS1_11comp_targetILNS1_3genE5ELNS1_11target_archE942ELNS1_3gpuE9ELNS1_3repE0EEENS1_30default_config_static_selectorELNS0_4arch9wavefront6targetE0EEEvT1_.num_agpr, 0
	.set _ZN7rocprim17ROCPRIM_400000_NS6detail17trampoline_kernelINS0_14default_configENS1_27scan_by_key_config_selectorIiiEEZZNS1_16scan_by_key_implILNS1_25lookback_scan_determinismE0ELb0ES3_N6thrust23THRUST_200600_302600_NS6detail15normal_iteratorINS9_10device_ptrIiEEEESE_SE_iNS9_10multipliesIiEENS9_8equal_toIiEEiEE10hipError_tPvRmT2_T3_T4_T5_mT6_T7_P12ihipStream_tbENKUlT_T0_E_clISt17integral_constantIbLb0EESZ_EEDaSU_SV_EUlSU_E_NS1_11comp_targetILNS1_3genE5ELNS1_11target_archE942ELNS1_3gpuE9ELNS1_3repE0EEENS1_30default_config_static_selectorELNS0_4arch9wavefront6targetE0EEEvT1_.numbered_sgpr, 0
	.set _ZN7rocprim17ROCPRIM_400000_NS6detail17trampoline_kernelINS0_14default_configENS1_27scan_by_key_config_selectorIiiEEZZNS1_16scan_by_key_implILNS1_25lookback_scan_determinismE0ELb0ES3_N6thrust23THRUST_200600_302600_NS6detail15normal_iteratorINS9_10device_ptrIiEEEESE_SE_iNS9_10multipliesIiEENS9_8equal_toIiEEiEE10hipError_tPvRmT2_T3_T4_T5_mT6_T7_P12ihipStream_tbENKUlT_T0_E_clISt17integral_constantIbLb0EESZ_EEDaSU_SV_EUlSU_E_NS1_11comp_targetILNS1_3genE5ELNS1_11target_archE942ELNS1_3gpuE9ELNS1_3repE0EEENS1_30default_config_static_selectorELNS0_4arch9wavefront6targetE0EEEvT1_.num_named_barrier, 0
	.set _ZN7rocprim17ROCPRIM_400000_NS6detail17trampoline_kernelINS0_14default_configENS1_27scan_by_key_config_selectorIiiEEZZNS1_16scan_by_key_implILNS1_25lookback_scan_determinismE0ELb0ES3_N6thrust23THRUST_200600_302600_NS6detail15normal_iteratorINS9_10device_ptrIiEEEESE_SE_iNS9_10multipliesIiEENS9_8equal_toIiEEiEE10hipError_tPvRmT2_T3_T4_T5_mT6_T7_P12ihipStream_tbENKUlT_T0_E_clISt17integral_constantIbLb0EESZ_EEDaSU_SV_EUlSU_E_NS1_11comp_targetILNS1_3genE5ELNS1_11target_archE942ELNS1_3gpuE9ELNS1_3repE0EEENS1_30default_config_static_selectorELNS0_4arch9wavefront6targetE0EEEvT1_.private_seg_size, 0
	.set _ZN7rocprim17ROCPRIM_400000_NS6detail17trampoline_kernelINS0_14default_configENS1_27scan_by_key_config_selectorIiiEEZZNS1_16scan_by_key_implILNS1_25lookback_scan_determinismE0ELb0ES3_N6thrust23THRUST_200600_302600_NS6detail15normal_iteratorINS9_10device_ptrIiEEEESE_SE_iNS9_10multipliesIiEENS9_8equal_toIiEEiEE10hipError_tPvRmT2_T3_T4_T5_mT6_T7_P12ihipStream_tbENKUlT_T0_E_clISt17integral_constantIbLb0EESZ_EEDaSU_SV_EUlSU_E_NS1_11comp_targetILNS1_3genE5ELNS1_11target_archE942ELNS1_3gpuE9ELNS1_3repE0EEENS1_30default_config_static_selectorELNS0_4arch9wavefront6targetE0EEEvT1_.uses_vcc, 0
	.set _ZN7rocprim17ROCPRIM_400000_NS6detail17trampoline_kernelINS0_14default_configENS1_27scan_by_key_config_selectorIiiEEZZNS1_16scan_by_key_implILNS1_25lookback_scan_determinismE0ELb0ES3_N6thrust23THRUST_200600_302600_NS6detail15normal_iteratorINS9_10device_ptrIiEEEESE_SE_iNS9_10multipliesIiEENS9_8equal_toIiEEiEE10hipError_tPvRmT2_T3_T4_T5_mT6_T7_P12ihipStream_tbENKUlT_T0_E_clISt17integral_constantIbLb0EESZ_EEDaSU_SV_EUlSU_E_NS1_11comp_targetILNS1_3genE5ELNS1_11target_archE942ELNS1_3gpuE9ELNS1_3repE0EEENS1_30default_config_static_selectorELNS0_4arch9wavefront6targetE0EEEvT1_.uses_flat_scratch, 0
	.set _ZN7rocprim17ROCPRIM_400000_NS6detail17trampoline_kernelINS0_14default_configENS1_27scan_by_key_config_selectorIiiEEZZNS1_16scan_by_key_implILNS1_25lookback_scan_determinismE0ELb0ES3_N6thrust23THRUST_200600_302600_NS6detail15normal_iteratorINS9_10device_ptrIiEEEESE_SE_iNS9_10multipliesIiEENS9_8equal_toIiEEiEE10hipError_tPvRmT2_T3_T4_T5_mT6_T7_P12ihipStream_tbENKUlT_T0_E_clISt17integral_constantIbLb0EESZ_EEDaSU_SV_EUlSU_E_NS1_11comp_targetILNS1_3genE5ELNS1_11target_archE942ELNS1_3gpuE9ELNS1_3repE0EEENS1_30default_config_static_selectorELNS0_4arch9wavefront6targetE0EEEvT1_.has_dyn_sized_stack, 0
	.set _ZN7rocprim17ROCPRIM_400000_NS6detail17trampoline_kernelINS0_14default_configENS1_27scan_by_key_config_selectorIiiEEZZNS1_16scan_by_key_implILNS1_25lookback_scan_determinismE0ELb0ES3_N6thrust23THRUST_200600_302600_NS6detail15normal_iteratorINS9_10device_ptrIiEEEESE_SE_iNS9_10multipliesIiEENS9_8equal_toIiEEiEE10hipError_tPvRmT2_T3_T4_T5_mT6_T7_P12ihipStream_tbENKUlT_T0_E_clISt17integral_constantIbLb0EESZ_EEDaSU_SV_EUlSU_E_NS1_11comp_targetILNS1_3genE5ELNS1_11target_archE942ELNS1_3gpuE9ELNS1_3repE0EEENS1_30default_config_static_selectorELNS0_4arch9wavefront6targetE0EEEvT1_.has_recursion, 0
	.set _ZN7rocprim17ROCPRIM_400000_NS6detail17trampoline_kernelINS0_14default_configENS1_27scan_by_key_config_selectorIiiEEZZNS1_16scan_by_key_implILNS1_25lookback_scan_determinismE0ELb0ES3_N6thrust23THRUST_200600_302600_NS6detail15normal_iteratorINS9_10device_ptrIiEEEESE_SE_iNS9_10multipliesIiEENS9_8equal_toIiEEiEE10hipError_tPvRmT2_T3_T4_T5_mT6_T7_P12ihipStream_tbENKUlT_T0_E_clISt17integral_constantIbLb0EESZ_EEDaSU_SV_EUlSU_E_NS1_11comp_targetILNS1_3genE5ELNS1_11target_archE942ELNS1_3gpuE9ELNS1_3repE0EEENS1_30default_config_static_selectorELNS0_4arch9wavefront6targetE0EEEvT1_.has_indirect_call, 0
	.section	.AMDGPU.csdata,"",@progbits
; Kernel info:
; codeLenInByte = 0
; TotalNumSgprs: 0
; NumVgprs: 0
; ScratchSize: 0
; MemoryBound: 0
; FloatMode: 240
; IeeeMode: 1
; LDSByteSize: 0 bytes/workgroup (compile time only)
; SGPRBlocks: 0
; VGPRBlocks: 0
; NumSGPRsForWavesPerEU: 1
; NumVGPRsForWavesPerEU: 1
; NamedBarCnt: 0
; Occupancy: 16
; WaveLimiterHint : 0
; COMPUTE_PGM_RSRC2:SCRATCH_EN: 0
; COMPUTE_PGM_RSRC2:USER_SGPR: 2
; COMPUTE_PGM_RSRC2:TRAP_HANDLER: 0
; COMPUTE_PGM_RSRC2:TGID_X_EN: 1
; COMPUTE_PGM_RSRC2:TGID_Y_EN: 0
; COMPUTE_PGM_RSRC2:TGID_Z_EN: 0
; COMPUTE_PGM_RSRC2:TIDIG_COMP_CNT: 0
	.section	.text._ZN7rocprim17ROCPRIM_400000_NS6detail17trampoline_kernelINS0_14default_configENS1_27scan_by_key_config_selectorIiiEEZZNS1_16scan_by_key_implILNS1_25lookback_scan_determinismE0ELb0ES3_N6thrust23THRUST_200600_302600_NS6detail15normal_iteratorINS9_10device_ptrIiEEEESE_SE_iNS9_10multipliesIiEENS9_8equal_toIiEEiEE10hipError_tPvRmT2_T3_T4_T5_mT6_T7_P12ihipStream_tbENKUlT_T0_E_clISt17integral_constantIbLb0EESZ_EEDaSU_SV_EUlSU_E_NS1_11comp_targetILNS1_3genE4ELNS1_11target_archE910ELNS1_3gpuE8ELNS1_3repE0EEENS1_30default_config_static_selectorELNS0_4arch9wavefront6targetE0EEEvT1_,"axG",@progbits,_ZN7rocprim17ROCPRIM_400000_NS6detail17trampoline_kernelINS0_14default_configENS1_27scan_by_key_config_selectorIiiEEZZNS1_16scan_by_key_implILNS1_25lookback_scan_determinismE0ELb0ES3_N6thrust23THRUST_200600_302600_NS6detail15normal_iteratorINS9_10device_ptrIiEEEESE_SE_iNS9_10multipliesIiEENS9_8equal_toIiEEiEE10hipError_tPvRmT2_T3_T4_T5_mT6_T7_P12ihipStream_tbENKUlT_T0_E_clISt17integral_constantIbLb0EESZ_EEDaSU_SV_EUlSU_E_NS1_11comp_targetILNS1_3genE4ELNS1_11target_archE910ELNS1_3gpuE8ELNS1_3repE0EEENS1_30default_config_static_selectorELNS0_4arch9wavefront6targetE0EEEvT1_,comdat
	.protected	_ZN7rocprim17ROCPRIM_400000_NS6detail17trampoline_kernelINS0_14default_configENS1_27scan_by_key_config_selectorIiiEEZZNS1_16scan_by_key_implILNS1_25lookback_scan_determinismE0ELb0ES3_N6thrust23THRUST_200600_302600_NS6detail15normal_iteratorINS9_10device_ptrIiEEEESE_SE_iNS9_10multipliesIiEENS9_8equal_toIiEEiEE10hipError_tPvRmT2_T3_T4_T5_mT6_T7_P12ihipStream_tbENKUlT_T0_E_clISt17integral_constantIbLb0EESZ_EEDaSU_SV_EUlSU_E_NS1_11comp_targetILNS1_3genE4ELNS1_11target_archE910ELNS1_3gpuE8ELNS1_3repE0EEENS1_30default_config_static_selectorELNS0_4arch9wavefront6targetE0EEEvT1_ ; -- Begin function _ZN7rocprim17ROCPRIM_400000_NS6detail17trampoline_kernelINS0_14default_configENS1_27scan_by_key_config_selectorIiiEEZZNS1_16scan_by_key_implILNS1_25lookback_scan_determinismE0ELb0ES3_N6thrust23THRUST_200600_302600_NS6detail15normal_iteratorINS9_10device_ptrIiEEEESE_SE_iNS9_10multipliesIiEENS9_8equal_toIiEEiEE10hipError_tPvRmT2_T3_T4_T5_mT6_T7_P12ihipStream_tbENKUlT_T0_E_clISt17integral_constantIbLb0EESZ_EEDaSU_SV_EUlSU_E_NS1_11comp_targetILNS1_3genE4ELNS1_11target_archE910ELNS1_3gpuE8ELNS1_3repE0EEENS1_30default_config_static_selectorELNS0_4arch9wavefront6targetE0EEEvT1_
	.globl	_ZN7rocprim17ROCPRIM_400000_NS6detail17trampoline_kernelINS0_14default_configENS1_27scan_by_key_config_selectorIiiEEZZNS1_16scan_by_key_implILNS1_25lookback_scan_determinismE0ELb0ES3_N6thrust23THRUST_200600_302600_NS6detail15normal_iteratorINS9_10device_ptrIiEEEESE_SE_iNS9_10multipliesIiEENS9_8equal_toIiEEiEE10hipError_tPvRmT2_T3_T4_T5_mT6_T7_P12ihipStream_tbENKUlT_T0_E_clISt17integral_constantIbLb0EESZ_EEDaSU_SV_EUlSU_E_NS1_11comp_targetILNS1_3genE4ELNS1_11target_archE910ELNS1_3gpuE8ELNS1_3repE0EEENS1_30default_config_static_selectorELNS0_4arch9wavefront6targetE0EEEvT1_
	.p2align	8
	.type	_ZN7rocprim17ROCPRIM_400000_NS6detail17trampoline_kernelINS0_14default_configENS1_27scan_by_key_config_selectorIiiEEZZNS1_16scan_by_key_implILNS1_25lookback_scan_determinismE0ELb0ES3_N6thrust23THRUST_200600_302600_NS6detail15normal_iteratorINS9_10device_ptrIiEEEESE_SE_iNS9_10multipliesIiEENS9_8equal_toIiEEiEE10hipError_tPvRmT2_T3_T4_T5_mT6_T7_P12ihipStream_tbENKUlT_T0_E_clISt17integral_constantIbLb0EESZ_EEDaSU_SV_EUlSU_E_NS1_11comp_targetILNS1_3genE4ELNS1_11target_archE910ELNS1_3gpuE8ELNS1_3repE0EEENS1_30default_config_static_selectorELNS0_4arch9wavefront6targetE0EEEvT1_,@function
_ZN7rocprim17ROCPRIM_400000_NS6detail17trampoline_kernelINS0_14default_configENS1_27scan_by_key_config_selectorIiiEEZZNS1_16scan_by_key_implILNS1_25lookback_scan_determinismE0ELb0ES3_N6thrust23THRUST_200600_302600_NS6detail15normal_iteratorINS9_10device_ptrIiEEEESE_SE_iNS9_10multipliesIiEENS9_8equal_toIiEEiEE10hipError_tPvRmT2_T3_T4_T5_mT6_T7_P12ihipStream_tbENKUlT_T0_E_clISt17integral_constantIbLb0EESZ_EEDaSU_SV_EUlSU_E_NS1_11comp_targetILNS1_3genE4ELNS1_11target_archE910ELNS1_3gpuE8ELNS1_3repE0EEENS1_30default_config_static_selectorELNS0_4arch9wavefront6targetE0EEEvT1_: ; @_ZN7rocprim17ROCPRIM_400000_NS6detail17trampoline_kernelINS0_14default_configENS1_27scan_by_key_config_selectorIiiEEZZNS1_16scan_by_key_implILNS1_25lookback_scan_determinismE0ELb0ES3_N6thrust23THRUST_200600_302600_NS6detail15normal_iteratorINS9_10device_ptrIiEEEESE_SE_iNS9_10multipliesIiEENS9_8equal_toIiEEiEE10hipError_tPvRmT2_T3_T4_T5_mT6_T7_P12ihipStream_tbENKUlT_T0_E_clISt17integral_constantIbLb0EESZ_EEDaSU_SV_EUlSU_E_NS1_11comp_targetILNS1_3genE4ELNS1_11target_archE910ELNS1_3gpuE8ELNS1_3repE0EEENS1_30default_config_static_selectorELNS0_4arch9wavefront6targetE0EEEvT1_
; %bb.0:
	.section	.rodata,"a",@progbits
	.p2align	6, 0x0
	.amdhsa_kernel _ZN7rocprim17ROCPRIM_400000_NS6detail17trampoline_kernelINS0_14default_configENS1_27scan_by_key_config_selectorIiiEEZZNS1_16scan_by_key_implILNS1_25lookback_scan_determinismE0ELb0ES3_N6thrust23THRUST_200600_302600_NS6detail15normal_iteratorINS9_10device_ptrIiEEEESE_SE_iNS9_10multipliesIiEENS9_8equal_toIiEEiEE10hipError_tPvRmT2_T3_T4_T5_mT6_T7_P12ihipStream_tbENKUlT_T0_E_clISt17integral_constantIbLb0EESZ_EEDaSU_SV_EUlSU_E_NS1_11comp_targetILNS1_3genE4ELNS1_11target_archE910ELNS1_3gpuE8ELNS1_3repE0EEENS1_30default_config_static_selectorELNS0_4arch9wavefront6targetE0EEEvT1_
		.amdhsa_group_segment_fixed_size 0
		.amdhsa_private_segment_fixed_size 0
		.amdhsa_kernarg_size 112
		.amdhsa_user_sgpr_count 2
		.amdhsa_user_sgpr_dispatch_ptr 0
		.amdhsa_user_sgpr_queue_ptr 0
		.amdhsa_user_sgpr_kernarg_segment_ptr 1
		.amdhsa_user_sgpr_dispatch_id 0
		.amdhsa_user_sgpr_kernarg_preload_length 0
		.amdhsa_user_sgpr_kernarg_preload_offset 0
		.amdhsa_user_sgpr_private_segment_size 0
		.amdhsa_wavefront_size32 1
		.amdhsa_uses_dynamic_stack 0
		.amdhsa_enable_private_segment 0
		.amdhsa_system_sgpr_workgroup_id_x 1
		.amdhsa_system_sgpr_workgroup_id_y 0
		.amdhsa_system_sgpr_workgroup_id_z 0
		.amdhsa_system_sgpr_workgroup_info 0
		.amdhsa_system_vgpr_workitem_id 0
		.amdhsa_next_free_vgpr 1
		.amdhsa_next_free_sgpr 1
		.amdhsa_named_barrier_count 0
		.amdhsa_reserve_vcc 0
		.amdhsa_float_round_mode_32 0
		.amdhsa_float_round_mode_16_64 0
		.amdhsa_float_denorm_mode_32 3
		.amdhsa_float_denorm_mode_16_64 3
		.amdhsa_fp16_overflow 0
		.amdhsa_memory_ordered 1
		.amdhsa_forward_progress 1
		.amdhsa_inst_pref_size 0
		.amdhsa_round_robin_scheduling 0
		.amdhsa_exception_fp_ieee_invalid_op 0
		.amdhsa_exception_fp_denorm_src 0
		.amdhsa_exception_fp_ieee_div_zero 0
		.amdhsa_exception_fp_ieee_overflow 0
		.amdhsa_exception_fp_ieee_underflow 0
		.amdhsa_exception_fp_ieee_inexact 0
		.amdhsa_exception_int_div_zero 0
	.end_amdhsa_kernel
	.section	.text._ZN7rocprim17ROCPRIM_400000_NS6detail17trampoline_kernelINS0_14default_configENS1_27scan_by_key_config_selectorIiiEEZZNS1_16scan_by_key_implILNS1_25lookback_scan_determinismE0ELb0ES3_N6thrust23THRUST_200600_302600_NS6detail15normal_iteratorINS9_10device_ptrIiEEEESE_SE_iNS9_10multipliesIiEENS9_8equal_toIiEEiEE10hipError_tPvRmT2_T3_T4_T5_mT6_T7_P12ihipStream_tbENKUlT_T0_E_clISt17integral_constantIbLb0EESZ_EEDaSU_SV_EUlSU_E_NS1_11comp_targetILNS1_3genE4ELNS1_11target_archE910ELNS1_3gpuE8ELNS1_3repE0EEENS1_30default_config_static_selectorELNS0_4arch9wavefront6targetE0EEEvT1_,"axG",@progbits,_ZN7rocprim17ROCPRIM_400000_NS6detail17trampoline_kernelINS0_14default_configENS1_27scan_by_key_config_selectorIiiEEZZNS1_16scan_by_key_implILNS1_25lookback_scan_determinismE0ELb0ES3_N6thrust23THRUST_200600_302600_NS6detail15normal_iteratorINS9_10device_ptrIiEEEESE_SE_iNS9_10multipliesIiEENS9_8equal_toIiEEiEE10hipError_tPvRmT2_T3_T4_T5_mT6_T7_P12ihipStream_tbENKUlT_T0_E_clISt17integral_constantIbLb0EESZ_EEDaSU_SV_EUlSU_E_NS1_11comp_targetILNS1_3genE4ELNS1_11target_archE910ELNS1_3gpuE8ELNS1_3repE0EEENS1_30default_config_static_selectorELNS0_4arch9wavefront6targetE0EEEvT1_,comdat
.Lfunc_end167:
	.size	_ZN7rocprim17ROCPRIM_400000_NS6detail17trampoline_kernelINS0_14default_configENS1_27scan_by_key_config_selectorIiiEEZZNS1_16scan_by_key_implILNS1_25lookback_scan_determinismE0ELb0ES3_N6thrust23THRUST_200600_302600_NS6detail15normal_iteratorINS9_10device_ptrIiEEEESE_SE_iNS9_10multipliesIiEENS9_8equal_toIiEEiEE10hipError_tPvRmT2_T3_T4_T5_mT6_T7_P12ihipStream_tbENKUlT_T0_E_clISt17integral_constantIbLb0EESZ_EEDaSU_SV_EUlSU_E_NS1_11comp_targetILNS1_3genE4ELNS1_11target_archE910ELNS1_3gpuE8ELNS1_3repE0EEENS1_30default_config_static_selectorELNS0_4arch9wavefront6targetE0EEEvT1_, .Lfunc_end167-_ZN7rocprim17ROCPRIM_400000_NS6detail17trampoline_kernelINS0_14default_configENS1_27scan_by_key_config_selectorIiiEEZZNS1_16scan_by_key_implILNS1_25lookback_scan_determinismE0ELb0ES3_N6thrust23THRUST_200600_302600_NS6detail15normal_iteratorINS9_10device_ptrIiEEEESE_SE_iNS9_10multipliesIiEENS9_8equal_toIiEEiEE10hipError_tPvRmT2_T3_T4_T5_mT6_T7_P12ihipStream_tbENKUlT_T0_E_clISt17integral_constantIbLb0EESZ_EEDaSU_SV_EUlSU_E_NS1_11comp_targetILNS1_3genE4ELNS1_11target_archE910ELNS1_3gpuE8ELNS1_3repE0EEENS1_30default_config_static_selectorELNS0_4arch9wavefront6targetE0EEEvT1_
                                        ; -- End function
	.set _ZN7rocprim17ROCPRIM_400000_NS6detail17trampoline_kernelINS0_14default_configENS1_27scan_by_key_config_selectorIiiEEZZNS1_16scan_by_key_implILNS1_25lookback_scan_determinismE0ELb0ES3_N6thrust23THRUST_200600_302600_NS6detail15normal_iteratorINS9_10device_ptrIiEEEESE_SE_iNS9_10multipliesIiEENS9_8equal_toIiEEiEE10hipError_tPvRmT2_T3_T4_T5_mT6_T7_P12ihipStream_tbENKUlT_T0_E_clISt17integral_constantIbLb0EESZ_EEDaSU_SV_EUlSU_E_NS1_11comp_targetILNS1_3genE4ELNS1_11target_archE910ELNS1_3gpuE8ELNS1_3repE0EEENS1_30default_config_static_selectorELNS0_4arch9wavefront6targetE0EEEvT1_.num_vgpr, 0
	.set _ZN7rocprim17ROCPRIM_400000_NS6detail17trampoline_kernelINS0_14default_configENS1_27scan_by_key_config_selectorIiiEEZZNS1_16scan_by_key_implILNS1_25lookback_scan_determinismE0ELb0ES3_N6thrust23THRUST_200600_302600_NS6detail15normal_iteratorINS9_10device_ptrIiEEEESE_SE_iNS9_10multipliesIiEENS9_8equal_toIiEEiEE10hipError_tPvRmT2_T3_T4_T5_mT6_T7_P12ihipStream_tbENKUlT_T0_E_clISt17integral_constantIbLb0EESZ_EEDaSU_SV_EUlSU_E_NS1_11comp_targetILNS1_3genE4ELNS1_11target_archE910ELNS1_3gpuE8ELNS1_3repE0EEENS1_30default_config_static_selectorELNS0_4arch9wavefront6targetE0EEEvT1_.num_agpr, 0
	.set _ZN7rocprim17ROCPRIM_400000_NS6detail17trampoline_kernelINS0_14default_configENS1_27scan_by_key_config_selectorIiiEEZZNS1_16scan_by_key_implILNS1_25lookback_scan_determinismE0ELb0ES3_N6thrust23THRUST_200600_302600_NS6detail15normal_iteratorINS9_10device_ptrIiEEEESE_SE_iNS9_10multipliesIiEENS9_8equal_toIiEEiEE10hipError_tPvRmT2_T3_T4_T5_mT6_T7_P12ihipStream_tbENKUlT_T0_E_clISt17integral_constantIbLb0EESZ_EEDaSU_SV_EUlSU_E_NS1_11comp_targetILNS1_3genE4ELNS1_11target_archE910ELNS1_3gpuE8ELNS1_3repE0EEENS1_30default_config_static_selectorELNS0_4arch9wavefront6targetE0EEEvT1_.numbered_sgpr, 0
	.set _ZN7rocprim17ROCPRIM_400000_NS6detail17trampoline_kernelINS0_14default_configENS1_27scan_by_key_config_selectorIiiEEZZNS1_16scan_by_key_implILNS1_25lookback_scan_determinismE0ELb0ES3_N6thrust23THRUST_200600_302600_NS6detail15normal_iteratorINS9_10device_ptrIiEEEESE_SE_iNS9_10multipliesIiEENS9_8equal_toIiEEiEE10hipError_tPvRmT2_T3_T4_T5_mT6_T7_P12ihipStream_tbENKUlT_T0_E_clISt17integral_constantIbLb0EESZ_EEDaSU_SV_EUlSU_E_NS1_11comp_targetILNS1_3genE4ELNS1_11target_archE910ELNS1_3gpuE8ELNS1_3repE0EEENS1_30default_config_static_selectorELNS0_4arch9wavefront6targetE0EEEvT1_.num_named_barrier, 0
	.set _ZN7rocprim17ROCPRIM_400000_NS6detail17trampoline_kernelINS0_14default_configENS1_27scan_by_key_config_selectorIiiEEZZNS1_16scan_by_key_implILNS1_25lookback_scan_determinismE0ELb0ES3_N6thrust23THRUST_200600_302600_NS6detail15normal_iteratorINS9_10device_ptrIiEEEESE_SE_iNS9_10multipliesIiEENS9_8equal_toIiEEiEE10hipError_tPvRmT2_T3_T4_T5_mT6_T7_P12ihipStream_tbENKUlT_T0_E_clISt17integral_constantIbLb0EESZ_EEDaSU_SV_EUlSU_E_NS1_11comp_targetILNS1_3genE4ELNS1_11target_archE910ELNS1_3gpuE8ELNS1_3repE0EEENS1_30default_config_static_selectorELNS0_4arch9wavefront6targetE0EEEvT1_.private_seg_size, 0
	.set _ZN7rocprim17ROCPRIM_400000_NS6detail17trampoline_kernelINS0_14default_configENS1_27scan_by_key_config_selectorIiiEEZZNS1_16scan_by_key_implILNS1_25lookback_scan_determinismE0ELb0ES3_N6thrust23THRUST_200600_302600_NS6detail15normal_iteratorINS9_10device_ptrIiEEEESE_SE_iNS9_10multipliesIiEENS9_8equal_toIiEEiEE10hipError_tPvRmT2_T3_T4_T5_mT6_T7_P12ihipStream_tbENKUlT_T0_E_clISt17integral_constantIbLb0EESZ_EEDaSU_SV_EUlSU_E_NS1_11comp_targetILNS1_3genE4ELNS1_11target_archE910ELNS1_3gpuE8ELNS1_3repE0EEENS1_30default_config_static_selectorELNS0_4arch9wavefront6targetE0EEEvT1_.uses_vcc, 0
	.set _ZN7rocprim17ROCPRIM_400000_NS6detail17trampoline_kernelINS0_14default_configENS1_27scan_by_key_config_selectorIiiEEZZNS1_16scan_by_key_implILNS1_25lookback_scan_determinismE0ELb0ES3_N6thrust23THRUST_200600_302600_NS6detail15normal_iteratorINS9_10device_ptrIiEEEESE_SE_iNS9_10multipliesIiEENS9_8equal_toIiEEiEE10hipError_tPvRmT2_T3_T4_T5_mT6_T7_P12ihipStream_tbENKUlT_T0_E_clISt17integral_constantIbLb0EESZ_EEDaSU_SV_EUlSU_E_NS1_11comp_targetILNS1_3genE4ELNS1_11target_archE910ELNS1_3gpuE8ELNS1_3repE0EEENS1_30default_config_static_selectorELNS0_4arch9wavefront6targetE0EEEvT1_.uses_flat_scratch, 0
	.set _ZN7rocprim17ROCPRIM_400000_NS6detail17trampoline_kernelINS0_14default_configENS1_27scan_by_key_config_selectorIiiEEZZNS1_16scan_by_key_implILNS1_25lookback_scan_determinismE0ELb0ES3_N6thrust23THRUST_200600_302600_NS6detail15normal_iteratorINS9_10device_ptrIiEEEESE_SE_iNS9_10multipliesIiEENS9_8equal_toIiEEiEE10hipError_tPvRmT2_T3_T4_T5_mT6_T7_P12ihipStream_tbENKUlT_T0_E_clISt17integral_constantIbLb0EESZ_EEDaSU_SV_EUlSU_E_NS1_11comp_targetILNS1_3genE4ELNS1_11target_archE910ELNS1_3gpuE8ELNS1_3repE0EEENS1_30default_config_static_selectorELNS0_4arch9wavefront6targetE0EEEvT1_.has_dyn_sized_stack, 0
	.set _ZN7rocprim17ROCPRIM_400000_NS6detail17trampoline_kernelINS0_14default_configENS1_27scan_by_key_config_selectorIiiEEZZNS1_16scan_by_key_implILNS1_25lookback_scan_determinismE0ELb0ES3_N6thrust23THRUST_200600_302600_NS6detail15normal_iteratorINS9_10device_ptrIiEEEESE_SE_iNS9_10multipliesIiEENS9_8equal_toIiEEiEE10hipError_tPvRmT2_T3_T4_T5_mT6_T7_P12ihipStream_tbENKUlT_T0_E_clISt17integral_constantIbLb0EESZ_EEDaSU_SV_EUlSU_E_NS1_11comp_targetILNS1_3genE4ELNS1_11target_archE910ELNS1_3gpuE8ELNS1_3repE0EEENS1_30default_config_static_selectorELNS0_4arch9wavefront6targetE0EEEvT1_.has_recursion, 0
	.set _ZN7rocprim17ROCPRIM_400000_NS6detail17trampoline_kernelINS0_14default_configENS1_27scan_by_key_config_selectorIiiEEZZNS1_16scan_by_key_implILNS1_25lookback_scan_determinismE0ELb0ES3_N6thrust23THRUST_200600_302600_NS6detail15normal_iteratorINS9_10device_ptrIiEEEESE_SE_iNS9_10multipliesIiEENS9_8equal_toIiEEiEE10hipError_tPvRmT2_T3_T4_T5_mT6_T7_P12ihipStream_tbENKUlT_T0_E_clISt17integral_constantIbLb0EESZ_EEDaSU_SV_EUlSU_E_NS1_11comp_targetILNS1_3genE4ELNS1_11target_archE910ELNS1_3gpuE8ELNS1_3repE0EEENS1_30default_config_static_selectorELNS0_4arch9wavefront6targetE0EEEvT1_.has_indirect_call, 0
	.section	.AMDGPU.csdata,"",@progbits
; Kernel info:
; codeLenInByte = 0
; TotalNumSgprs: 0
; NumVgprs: 0
; ScratchSize: 0
; MemoryBound: 0
; FloatMode: 240
; IeeeMode: 1
; LDSByteSize: 0 bytes/workgroup (compile time only)
; SGPRBlocks: 0
; VGPRBlocks: 0
; NumSGPRsForWavesPerEU: 1
; NumVGPRsForWavesPerEU: 1
; NamedBarCnt: 0
; Occupancy: 16
; WaveLimiterHint : 0
; COMPUTE_PGM_RSRC2:SCRATCH_EN: 0
; COMPUTE_PGM_RSRC2:USER_SGPR: 2
; COMPUTE_PGM_RSRC2:TRAP_HANDLER: 0
; COMPUTE_PGM_RSRC2:TGID_X_EN: 1
; COMPUTE_PGM_RSRC2:TGID_Y_EN: 0
; COMPUTE_PGM_RSRC2:TGID_Z_EN: 0
; COMPUTE_PGM_RSRC2:TIDIG_COMP_CNT: 0
	.section	.text._ZN7rocprim17ROCPRIM_400000_NS6detail17trampoline_kernelINS0_14default_configENS1_27scan_by_key_config_selectorIiiEEZZNS1_16scan_by_key_implILNS1_25lookback_scan_determinismE0ELb0ES3_N6thrust23THRUST_200600_302600_NS6detail15normal_iteratorINS9_10device_ptrIiEEEESE_SE_iNS9_10multipliesIiEENS9_8equal_toIiEEiEE10hipError_tPvRmT2_T3_T4_T5_mT6_T7_P12ihipStream_tbENKUlT_T0_E_clISt17integral_constantIbLb0EESZ_EEDaSU_SV_EUlSU_E_NS1_11comp_targetILNS1_3genE3ELNS1_11target_archE908ELNS1_3gpuE7ELNS1_3repE0EEENS1_30default_config_static_selectorELNS0_4arch9wavefront6targetE0EEEvT1_,"axG",@progbits,_ZN7rocprim17ROCPRIM_400000_NS6detail17trampoline_kernelINS0_14default_configENS1_27scan_by_key_config_selectorIiiEEZZNS1_16scan_by_key_implILNS1_25lookback_scan_determinismE0ELb0ES3_N6thrust23THRUST_200600_302600_NS6detail15normal_iteratorINS9_10device_ptrIiEEEESE_SE_iNS9_10multipliesIiEENS9_8equal_toIiEEiEE10hipError_tPvRmT2_T3_T4_T5_mT6_T7_P12ihipStream_tbENKUlT_T0_E_clISt17integral_constantIbLb0EESZ_EEDaSU_SV_EUlSU_E_NS1_11comp_targetILNS1_3genE3ELNS1_11target_archE908ELNS1_3gpuE7ELNS1_3repE0EEENS1_30default_config_static_selectorELNS0_4arch9wavefront6targetE0EEEvT1_,comdat
	.protected	_ZN7rocprim17ROCPRIM_400000_NS6detail17trampoline_kernelINS0_14default_configENS1_27scan_by_key_config_selectorIiiEEZZNS1_16scan_by_key_implILNS1_25lookback_scan_determinismE0ELb0ES3_N6thrust23THRUST_200600_302600_NS6detail15normal_iteratorINS9_10device_ptrIiEEEESE_SE_iNS9_10multipliesIiEENS9_8equal_toIiEEiEE10hipError_tPvRmT2_T3_T4_T5_mT6_T7_P12ihipStream_tbENKUlT_T0_E_clISt17integral_constantIbLb0EESZ_EEDaSU_SV_EUlSU_E_NS1_11comp_targetILNS1_3genE3ELNS1_11target_archE908ELNS1_3gpuE7ELNS1_3repE0EEENS1_30default_config_static_selectorELNS0_4arch9wavefront6targetE0EEEvT1_ ; -- Begin function _ZN7rocprim17ROCPRIM_400000_NS6detail17trampoline_kernelINS0_14default_configENS1_27scan_by_key_config_selectorIiiEEZZNS1_16scan_by_key_implILNS1_25lookback_scan_determinismE0ELb0ES3_N6thrust23THRUST_200600_302600_NS6detail15normal_iteratorINS9_10device_ptrIiEEEESE_SE_iNS9_10multipliesIiEENS9_8equal_toIiEEiEE10hipError_tPvRmT2_T3_T4_T5_mT6_T7_P12ihipStream_tbENKUlT_T0_E_clISt17integral_constantIbLb0EESZ_EEDaSU_SV_EUlSU_E_NS1_11comp_targetILNS1_3genE3ELNS1_11target_archE908ELNS1_3gpuE7ELNS1_3repE0EEENS1_30default_config_static_selectorELNS0_4arch9wavefront6targetE0EEEvT1_
	.globl	_ZN7rocprim17ROCPRIM_400000_NS6detail17trampoline_kernelINS0_14default_configENS1_27scan_by_key_config_selectorIiiEEZZNS1_16scan_by_key_implILNS1_25lookback_scan_determinismE0ELb0ES3_N6thrust23THRUST_200600_302600_NS6detail15normal_iteratorINS9_10device_ptrIiEEEESE_SE_iNS9_10multipliesIiEENS9_8equal_toIiEEiEE10hipError_tPvRmT2_T3_T4_T5_mT6_T7_P12ihipStream_tbENKUlT_T0_E_clISt17integral_constantIbLb0EESZ_EEDaSU_SV_EUlSU_E_NS1_11comp_targetILNS1_3genE3ELNS1_11target_archE908ELNS1_3gpuE7ELNS1_3repE0EEENS1_30default_config_static_selectorELNS0_4arch9wavefront6targetE0EEEvT1_
	.p2align	8
	.type	_ZN7rocprim17ROCPRIM_400000_NS6detail17trampoline_kernelINS0_14default_configENS1_27scan_by_key_config_selectorIiiEEZZNS1_16scan_by_key_implILNS1_25lookback_scan_determinismE0ELb0ES3_N6thrust23THRUST_200600_302600_NS6detail15normal_iteratorINS9_10device_ptrIiEEEESE_SE_iNS9_10multipliesIiEENS9_8equal_toIiEEiEE10hipError_tPvRmT2_T3_T4_T5_mT6_T7_P12ihipStream_tbENKUlT_T0_E_clISt17integral_constantIbLb0EESZ_EEDaSU_SV_EUlSU_E_NS1_11comp_targetILNS1_3genE3ELNS1_11target_archE908ELNS1_3gpuE7ELNS1_3repE0EEENS1_30default_config_static_selectorELNS0_4arch9wavefront6targetE0EEEvT1_,@function
_ZN7rocprim17ROCPRIM_400000_NS6detail17trampoline_kernelINS0_14default_configENS1_27scan_by_key_config_selectorIiiEEZZNS1_16scan_by_key_implILNS1_25lookback_scan_determinismE0ELb0ES3_N6thrust23THRUST_200600_302600_NS6detail15normal_iteratorINS9_10device_ptrIiEEEESE_SE_iNS9_10multipliesIiEENS9_8equal_toIiEEiEE10hipError_tPvRmT2_T3_T4_T5_mT6_T7_P12ihipStream_tbENKUlT_T0_E_clISt17integral_constantIbLb0EESZ_EEDaSU_SV_EUlSU_E_NS1_11comp_targetILNS1_3genE3ELNS1_11target_archE908ELNS1_3gpuE7ELNS1_3repE0EEENS1_30default_config_static_selectorELNS0_4arch9wavefront6targetE0EEEvT1_: ; @_ZN7rocprim17ROCPRIM_400000_NS6detail17trampoline_kernelINS0_14default_configENS1_27scan_by_key_config_selectorIiiEEZZNS1_16scan_by_key_implILNS1_25lookback_scan_determinismE0ELb0ES3_N6thrust23THRUST_200600_302600_NS6detail15normal_iteratorINS9_10device_ptrIiEEEESE_SE_iNS9_10multipliesIiEENS9_8equal_toIiEEiEE10hipError_tPvRmT2_T3_T4_T5_mT6_T7_P12ihipStream_tbENKUlT_T0_E_clISt17integral_constantIbLb0EESZ_EEDaSU_SV_EUlSU_E_NS1_11comp_targetILNS1_3genE3ELNS1_11target_archE908ELNS1_3gpuE7ELNS1_3repE0EEENS1_30default_config_static_selectorELNS0_4arch9wavefront6targetE0EEEvT1_
; %bb.0:
	.section	.rodata,"a",@progbits
	.p2align	6, 0x0
	.amdhsa_kernel _ZN7rocprim17ROCPRIM_400000_NS6detail17trampoline_kernelINS0_14default_configENS1_27scan_by_key_config_selectorIiiEEZZNS1_16scan_by_key_implILNS1_25lookback_scan_determinismE0ELb0ES3_N6thrust23THRUST_200600_302600_NS6detail15normal_iteratorINS9_10device_ptrIiEEEESE_SE_iNS9_10multipliesIiEENS9_8equal_toIiEEiEE10hipError_tPvRmT2_T3_T4_T5_mT6_T7_P12ihipStream_tbENKUlT_T0_E_clISt17integral_constantIbLb0EESZ_EEDaSU_SV_EUlSU_E_NS1_11comp_targetILNS1_3genE3ELNS1_11target_archE908ELNS1_3gpuE7ELNS1_3repE0EEENS1_30default_config_static_selectorELNS0_4arch9wavefront6targetE0EEEvT1_
		.amdhsa_group_segment_fixed_size 0
		.amdhsa_private_segment_fixed_size 0
		.amdhsa_kernarg_size 112
		.amdhsa_user_sgpr_count 2
		.amdhsa_user_sgpr_dispatch_ptr 0
		.amdhsa_user_sgpr_queue_ptr 0
		.amdhsa_user_sgpr_kernarg_segment_ptr 1
		.amdhsa_user_sgpr_dispatch_id 0
		.amdhsa_user_sgpr_kernarg_preload_length 0
		.amdhsa_user_sgpr_kernarg_preload_offset 0
		.amdhsa_user_sgpr_private_segment_size 0
		.amdhsa_wavefront_size32 1
		.amdhsa_uses_dynamic_stack 0
		.amdhsa_enable_private_segment 0
		.amdhsa_system_sgpr_workgroup_id_x 1
		.amdhsa_system_sgpr_workgroup_id_y 0
		.amdhsa_system_sgpr_workgroup_id_z 0
		.amdhsa_system_sgpr_workgroup_info 0
		.amdhsa_system_vgpr_workitem_id 0
		.amdhsa_next_free_vgpr 1
		.amdhsa_next_free_sgpr 1
		.amdhsa_named_barrier_count 0
		.amdhsa_reserve_vcc 0
		.amdhsa_float_round_mode_32 0
		.amdhsa_float_round_mode_16_64 0
		.amdhsa_float_denorm_mode_32 3
		.amdhsa_float_denorm_mode_16_64 3
		.amdhsa_fp16_overflow 0
		.amdhsa_memory_ordered 1
		.amdhsa_forward_progress 1
		.amdhsa_inst_pref_size 0
		.amdhsa_round_robin_scheduling 0
		.amdhsa_exception_fp_ieee_invalid_op 0
		.amdhsa_exception_fp_denorm_src 0
		.amdhsa_exception_fp_ieee_div_zero 0
		.amdhsa_exception_fp_ieee_overflow 0
		.amdhsa_exception_fp_ieee_underflow 0
		.amdhsa_exception_fp_ieee_inexact 0
		.amdhsa_exception_int_div_zero 0
	.end_amdhsa_kernel
	.section	.text._ZN7rocprim17ROCPRIM_400000_NS6detail17trampoline_kernelINS0_14default_configENS1_27scan_by_key_config_selectorIiiEEZZNS1_16scan_by_key_implILNS1_25lookback_scan_determinismE0ELb0ES3_N6thrust23THRUST_200600_302600_NS6detail15normal_iteratorINS9_10device_ptrIiEEEESE_SE_iNS9_10multipliesIiEENS9_8equal_toIiEEiEE10hipError_tPvRmT2_T3_T4_T5_mT6_T7_P12ihipStream_tbENKUlT_T0_E_clISt17integral_constantIbLb0EESZ_EEDaSU_SV_EUlSU_E_NS1_11comp_targetILNS1_3genE3ELNS1_11target_archE908ELNS1_3gpuE7ELNS1_3repE0EEENS1_30default_config_static_selectorELNS0_4arch9wavefront6targetE0EEEvT1_,"axG",@progbits,_ZN7rocprim17ROCPRIM_400000_NS6detail17trampoline_kernelINS0_14default_configENS1_27scan_by_key_config_selectorIiiEEZZNS1_16scan_by_key_implILNS1_25lookback_scan_determinismE0ELb0ES3_N6thrust23THRUST_200600_302600_NS6detail15normal_iteratorINS9_10device_ptrIiEEEESE_SE_iNS9_10multipliesIiEENS9_8equal_toIiEEiEE10hipError_tPvRmT2_T3_T4_T5_mT6_T7_P12ihipStream_tbENKUlT_T0_E_clISt17integral_constantIbLb0EESZ_EEDaSU_SV_EUlSU_E_NS1_11comp_targetILNS1_3genE3ELNS1_11target_archE908ELNS1_3gpuE7ELNS1_3repE0EEENS1_30default_config_static_selectorELNS0_4arch9wavefront6targetE0EEEvT1_,comdat
.Lfunc_end168:
	.size	_ZN7rocprim17ROCPRIM_400000_NS6detail17trampoline_kernelINS0_14default_configENS1_27scan_by_key_config_selectorIiiEEZZNS1_16scan_by_key_implILNS1_25lookback_scan_determinismE0ELb0ES3_N6thrust23THRUST_200600_302600_NS6detail15normal_iteratorINS9_10device_ptrIiEEEESE_SE_iNS9_10multipliesIiEENS9_8equal_toIiEEiEE10hipError_tPvRmT2_T3_T4_T5_mT6_T7_P12ihipStream_tbENKUlT_T0_E_clISt17integral_constantIbLb0EESZ_EEDaSU_SV_EUlSU_E_NS1_11comp_targetILNS1_3genE3ELNS1_11target_archE908ELNS1_3gpuE7ELNS1_3repE0EEENS1_30default_config_static_selectorELNS0_4arch9wavefront6targetE0EEEvT1_, .Lfunc_end168-_ZN7rocprim17ROCPRIM_400000_NS6detail17trampoline_kernelINS0_14default_configENS1_27scan_by_key_config_selectorIiiEEZZNS1_16scan_by_key_implILNS1_25lookback_scan_determinismE0ELb0ES3_N6thrust23THRUST_200600_302600_NS6detail15normal_iteratorINS9_10device_ptrIiEEEESE_SE_iNS9_10multipliesIiEENS9_8equal_toIiEEiEE10hipError_tPvRmT2_T3_T4_T5_mT6_T7_P12ihipStream_tbENKUlT_T0_E_clISt17integral_constantIbLb0EESZ_EEDaSU_SV_EUlSU_E_NS1_11comp_targetILNS1_3genE3ELNS1_11target_archE908ELNS1_3gpuE7ELNS1_3repE0EEENS1_30default_config_static_selectorELNS0_4arch9wavefront6targetE0EEEvT1_
                                        ; -- End function
	.set _ZN7rocprim17ROCPRIM_400000_NS6detail17trampoline_kernelINS0_14default_configENS1_27scan_by_key_config_selectorIiiEEZZNS1_16scan_by_key_implILNS1_25lookback_scan_determinismE0ELb0ES3_N6thrust23THRUST_200600_302600_NS6detail15normal_iteratorINS9_10device_ptrIiEEEESE_SE_iNS9_10multipliesIiEENS9_8equal_toIiEEiEE10hipError_tPvRmT2_T3_T4_T5_mT6_T7_P12ihipStream_tbENKUlT_T0_E_clISt17integral_constantIbLb0EESZ_EEDaSU_SV_EUlSU_E_NS1_11comp_targetILNS1_3genE3ELNS1_11target_archE908ELNS1_3gpuE7ELNS1_3repE0EEENS1_30default_config_static_selectorELNS0_4arch9wavefront6targetE0EEEvT1_.num_vgpr, 0
	.set _ZN7rocprim17ROCPRIM_400000_NS6detail17trampoline_kernelINS0_14default_configENS1_27scan_by_key_config_selectorIiiEEZZNS1_16scan_by_key_implILNS1_25lookback_scan_determinismE0ELb0ES3_N6thrust23THRUST_200600_302600_NS6detail15normal_iteratorINS9_10device_ptrIiEEEESE_SE_iNS9_10multipliesIiEENS9_8equal_toIiEEiEE10hipError_tPvRmT2_T3_T4_T5_mT6_T7_P12ihipStream_tbENKUlT_T0_E_clISt17integral_constantIbLb0EESZ_EEDaSU_SV_EUlSU_E_NS1_11comp_targetILNS1_3genE3ELNS1_11target_archE908ELNS1_3gpuE7ELNS1_3repE0EEENS1_30default_config_static_selectorELNS0_4arch9wavefront6targetE0EEEvT1_.num_agpr, 0
	.set _ZN7rocprim17ROCPRIM_400000_NS6detail17trampoline_kernelINS0_14default_configENS1_27scan_by_key_config_selectorIiiEEZZNS1_16scan_by_key_implILNS1_25lookback_scan_determinismE0ELb0ES3_N6thrust23THRUST_200600_302600_NS6detail15normal_iteratorINS9_10device_ptrIiEEEESE_SE_iNS9_10multipliesIiEENS9_8equal_toIiEEiEE10hipError_tPvRmT2_T3_T4_T5_mT6_T7_P12ihipStream_tbENKUlT_T0_E_clISt17integral_constantIbLb0EESZ_EEDaSU_SV_EUlSU_E_NS1_11comp_targetILNS1_3genE3ELNS1_11target_archE908ELNS1_3gpuE7ELNS1_3repE0EEENS1_30default_config_static_selectorELNS0_4arch9wavefront6targetE0EEEvT1_.numbered_sgpr, 0
	.set _ZN7rocprim17ROCPRIM_400000_NS6detail17trampoline_kernelINS0_14default_configENS1_27scan_by_key_config_selectorIiiEEZZNS1_16scan_by_key_implILNS1_25lookback_scan_determinismE0ELb0ES3_N6thrust23THRUST_200600_302600_NS6detail15normal_iteratorINS9_10device_ptrIiEEEESE_SE_iNS9_10multipliesIiEENS9_8equal_toIiEEiEE10hipError_tPvRmT2_T3_T4_T5_mT6_T7_P12ihipStream_tbENKUlT_T0_E_clISt17integral_constantIbLb0EESZ_EEDaSU_SV_EUlSU_E_NS1_11comp_targetILNS1_3genE3ELNS1_11target_archE908ELNS1_3gpuE7ELNS1_3repE0EEENS1_30default_config_static_selectorELNS0_4arch9wavefront6targetE0EEEvT1_.num_named_barrier, 0
	.set _ZN7rocprim17ROCPRIM_400000_NS6detail17trampoline_kernelINS0_14default_configENS1_27scan_by_key_config_selectorIiiEEZZNS1_16scan_by_key_implILNS1_25lookback_scan_determinismE0ELb0ES3_N6thrust23THRUST_200600_302600_NS6detail15normal_iteratorINS9_10device_ptrIiEEEESE_SE_iNS9_10multipliesIiEENS9_8equal_toIiEEiEE10hipError_tPvRmT2_T3_T4_T5_mT6_T7_P12ihipStream_tbENKUlT_T0_E_clISt17integral_constantIbLb0EESZ_EEDaSU_SV_EUlSU_E_NS1_11comp_targetILNS1_3genE3ELNS1_11target_archE908ELNS1_3gpuE7ELNS1_3repE0EEENS1_30default_config_static_selectorELNS0_4arch9wavefront6targetE0EEEvT1_.private_seg_size, 0
	.set _ZN7rocprim17ROCPRIM_400000_NS6detail17trampoline_kernelINS0_14default_configENS1_27scan_by_key_config_selectorIiiEEZZNS1_16scan_by_key_implILNS1_25lookback_scan_determinismE0ELb0ES3_N6thrust23THRUST_200600_302600_NS6detail15normal_iteratorINS9_10device_ptrIiEEEESE_SE_iNS9_10multipliesIiEENS9_8equal_toIiEEiEE10hipError_tPvRmT2_T3_T4_T5_mT6_T7_P12ihipStream_tbENKUlT_T0_E_clISt17integral_constantIbLb0EESZ_EEDaSU_SV_EUlSU_E_NS1_11comp_targetILNS1_3genE3ELNS1_11target_archE908ELNS1_3gpuE7ELNS1_3repE0EEENS1_30default_config_static_selectorELNS0_4arch9wavefront6targetE0EEEvT1_.uses_vcc, 0
	.set _ZN7rocprim17ROCPRIM_400000_NS6detail17trampoline_kernelINS0_14default_configENS1_27scan_by_key_config_selectorIiiEEZZNS1_16scan_by_key_implILNS1_25lookback_scan_determinismE0ELb0ES3_N6thrust23THRUST_200600_302600_NS6detail15normal_iteratorINS9_10device_ptrIiEEEESE_SE_iNS9_10multipliesIiEENS9_8equal_toIiEEiEE10hipError_tPvRmT2_T3_T4_T5_mT6_T7_P12ihipStream_tbENKUlT_T0_E_clISt17integral_constantIbLb0EESZ_EEDaSU_SV_EUlSU_E_NS1_11comp_targetILNS1_3genE3ELNS1_11target_archE908ELNS1_3gpuE7ELNS1_3repE0EEENS1_30default_config_static_selectorELNS0_4arch9wavefront6targetE0EEEvT1_.uses_flat_scratch, 0
	.set _ZN7rocprim17ROCPRIM_400000_NS6detail17trampoline_kernelINS0_14default_configENS1_27scan_by_key_config_selectorIiiEEZZNS1_16scan_by_key_implILNS1_25lookback_scan_determinismE0ELb0ES3_N6thrust23THRUST_200600_302600_NS6detail15normal_iteratorINS9_10device_ptrIiEEEESE_SE_iNS9_10multipliesIiEENS9_8equal_toIiEEiEE10hipError_tPvRmT2_T3_T4_T5_mT6_T7_P12ihipStream_tbENKUlT_T0_E_clISt17integral_constantIbLb0EESZ_EEDaSU_SV_EUlSU_E_NS1_11comp_targetILNS1_3genE3ELNS1_11target_archE908ELNS1_3gpuE7ELNS1_3repE0EEENS1_30default_config_static_selectorELNS0_4arch9wavefront6targetE0EEEvT1_.has_dyn_sized_stack, 0
	.set _ZN7rocprim17ROCPRIM_400000_NS6detail17trampoline_kernelINS0_14default_configENS1_27scan_by_key_config_selectorIiiEEZZNS1_16scan_by_key_implILNS1_25lookback_scan_determinismE0ELb0ES3_N6thrust23THRUST_200600_302600_NS6detail15normal_iteratorINS9_10device_ptrIiEEEESE_SE_iNS9_10multipliesIiEENS9_8equal_toIiEEiEE10hipError_tPvRmT2_T3_T4_T5_mT6_T7_P12ihipStream_tbENKUlT_T0_E_clISt17integral_constantIbLb0EESZ_EEDaSU_SV_EUlSU_E_NS1_11comp_targetILNS1_3genE3ELNS1_11target_archE908ELNS1_3gpuE7ELNS1_3repE0EEENS1_30default_config_static_selectorELNS0_4arch9wavefront6targetE0EEEvT1_.has_recursion, 0
	.set _ZN7rocprim17ROCPRIM_400000_NS6detail17trampoline_kernelINS0_14default_configENS1_27scan_by_key_config_selectorIiiEEZZNS1_16scan_by_key_implILNS1_25lookback_scan_determinismE0ELb0ES3_N6thrust23THRUST_200600_302600_NS6detail15normal_iteratorINS9_10device_ptrIiEEEESE_SE_iNS9_10multipliesIiEENS9_8equal_toIiEEiEE10hipError_tPvRmT2_T3_T4_T5_mT6_T7_P12ihipStream_tbENKUlT_T0_E_clISt17integral_constantIbLb0EESZ_EEDaSU_SV_EUlSU_E_NS1_11comp_targetILNS1_3genE3ELNS1_11target_archE908ELNS1_3gpuE7ELNS1_3repE0EEENS1_30default_config_static_selectorELNS0_4arch9wavefront6targetE0EEEvT1_.has_indirect_call, 0
	.section	.AMDGPU.csdata,"",@progbits
; Kernel info:
; codeLenInByte = 0
; TotalNumSgprs: 0
; NumVgprs: 0
; ScratchSize: 0
; MemoryBound: 0
; FloatMode: 240
; IeeeMode: 1
; LDSByteSize: 0 bytes/workgroup (compile time only)
; SGPRBlocks: 0
; VGPRBlocks: 0
; NumSGPRsForWavesPerEU: 1
; NumVGPRsForWavesPerEU: 1
; NamedBarCnt: 0
; Occupancy: 16
; WaveLimiterHint : 0
; COMPUTE_PGM_RSRC2:SCRATCH_EN: 0
; COMPUTE_PGM_RSRC2:USER_SGPR: 2
; COMPUTE_PGM_RSRC2:TRAP_HANDLER: 0
; COMPUTE_PGM_RSRC2:TGID_X_EN: 1
; COMPUTE_PGM_RSRC2:TGID_Y_EN: 0
; COMPUTE_PGM_RSRC2:TGID_Z_EN: 0
; COMPUTE_PGM_RSRC2:TIDIG_COMP_CNT: 0
	.section	.text._ZN7rocprim17ROCPRIM_400000_NS6detail17trampoline_kernelINS0_14default_configENS1_27scan_by_key_config_selectorIiiEEZZNS1_16scan_by_key_implILNS1_25lookback_scan_determinismE0ELb0ES3_N6thrust23THRUST_200600_302600_NS6detail15normal_iteratorINS9_10device_ptrIiEEEESE_SE_iNS9_10multipliesIiEENS9_8equal_toIiEEiEE10hipError_tPvRmT2_T3_T4_T5_mT6_T7_P12ihipStream_tbENKUlT_T0_E_clISt17integral_constantIbLb0EESZ_EEDaSU_SV_EUlSU_E_NS1_11comp_targetILNS1_3genE2ELNS1_11target_archE906ELNS1_3gpuE6ELNS1_3repE0EEENS1_30default_config_static_selectorELNS0_4arch9wavefront6targetE0EEEvT1_,"axG",@progbits,_ZN7rocprim17ROCPRIM_400000_NS6detail17trampoline_kernelINS0_14default_configENS1_27scan_by_key_config_selectorIiiEEZZNS1_16scan_by_key_implILNS1_25lookback_scan_determinismE0ELb0ES3_N6thrust23THRUST_200600_302600_NS6detail15normal_iteratorINS9_10device_ptrIiEEEESE_SE_iNS9_10multipliesIiEENS9_8equal_toIiEEiEE10hipError_tPvRmT2_T3_T4_T5_mT6_T7_P12ihipStream_tbENKUlT_T0_E_clISt17integral_constantIbLb0EESZ_EEDaSU_SV_EUlSU_E_NS1_11comp_targetILNS1_3genE2ELNS1_11target_archE906ELNS1_3gpuE6ELNS1_3repE0EEENS1_30default_config_static_selectorELNS0_4arch9wavefront6targetE0EEEvT1_,comdat
	.protected	_ZN7rocprim17ROCPRIM_400000_NS6detail17trampoline_kernelINS0_14default_configENS1_27scan_by_key_config_selectorIiiEEZZNS1_16scan_by_key_implILNS1_25lookback_scan_determinismE0ELb0ES3_N6thrust23THRUST_200600_302600_NS6detail15normal_iteratorINS9_10device_ptrIiEEEESE_SE_iNS9_10multipliesIiEENS9_8equal_toIiEEiEE10hipError_tPvRmT2_T3_T4_T5_mT6_T7_P12ihipStream_tbENKUlT_T0_E_clISt17integral_constantIbLb0EESZ_EEDaSU_SV_EUlSU_E_NS1_11comp_targetILNS1_3genE2ELNS1_11target_archE906ELNS1_3gpuE6ELNS1_3repE0EEENS1_30default_config_static_selectorELNS0_4arch9wavefront6targetE0EEEvT1_ ; -- Begin function _ZN7rocprim17ROCPRIM_400000_NS6detail17trampoline_kernelINS0_14default_configENS1_27scan_by_key_config_selectorIiiEEZZNS1_16scan_by_key_implILNS1_25lookback_scan_determinismE0ELb0ES3_N6thrust23THRUST_200600_302600_NS6detail15normal_iteratorINS9_10device_ptrIiEEEESE_SE_iNS9_10multipliesIiEENS9_8equal_toIiEEiEE10hipError_tPvRmT2_T3_T4_T5_mT6_T7_P12ihipStream_tbENKUlT_T0_E_clISt17integral_constantIbLb0EESZ_EEDaSU_SV_EUlSU_E_NS1_11comp_targetILNS1_3genE2ELNS1_11target_archE906ELNS1_3gpuE6ELNS1_3repE0EEENS1_30default_config_static_selectorELNS0_4arch9wavefront6targetE0EEEvT1_
	.globl	_ZN7rocprim17ROCPRIM_400000_NS6detail17trampoline_kernelINS0_14default_configENS1_27scan_by_key_config_selectorIiiEEZZNS1_16scan_by_key_implILNS1_25lookback_scan_determinismE0ELb0ES3_N6thrust23THRUST_200600_302600_NS6detail15normal_iteratorINS9_10device_ptrIiEEEESE_SE_iNS9_10multipliesIiEENS9_8equal_toIiEEiEE10hipError_tPvRmT2_T3_T4_T5_mT6_T7_P12ihipStream_tbENKUlT_T0_E_clISt17integral_constantIbLb0EESZ_EEDaSU_SV_EUlSU_E_NS1_11comp_targetILNS1_3genE2ELNS1_11target_archE906ELNS1_3gpuE6ELNS1_3repE0EEENS1_30default_config_static_selectorELNS0_4arch9wavefront6targetE0EEEvT1_
	.p2align	8
	.type	_ZN7rocprim17ROCPRIM_400000_NS6detail17trampoline_kernelINS0_14default_configENS1_27scan_by_key_config_selectorIiiEEZZNS1_16scan_by_key_implILNS1_25lookback_scan_determinismE0ELb0ES3_N6thrust23THRUST_200600_302600_NS6detail15normal_iteratorINS9_10device_ptrIiEEEESE_SE_iNS9_10multipliesIiEENS9_8equal_toIiEEiEE10hipError_tPvRmT2_T3_T4_T5_mT6_T7_P12ihipStream_tbENKUlT_T0_E_clISt17integral_constantIbLb0EESZ_EEDaSU_SV_EUlSU_E_NS1_11comp_targetILNS1_3genE2ELNS1_11target_archE906ELNS1_3gpuE6ELNS1_3repE0EEENS1_30default_config_static_selectorELNS0_4arch9wavefront6targetE0EEEvT1_,@function
_ZN7rocprim17ROCPRIM_400000_NS6detail17trampoline_kernelINS0_14default_configENS1_27scan_by_key_config_selectorIiiEEZZNS1_16scan_by_key_implILNS1_25lookback_scan_determinismE0ELb0ES3_N6thrust23THRUST_200600_302600_NS6detail15normal_iteratorINS9_10device_ptrIiEEEESE_SE_iNS9_10multipliesIiEENS9_8equal_toIiEEiEE10hipError_tPvRmT2_T3_T4_T5_mT6_T7_P12ihipStream_tbENKUlT_T0_E_clISt17integral_constantIbLb0EESZ_EEDaSU_SV_EUlSU_E_NS1_11comp_targetILNS1_3genE2ELNS1_11target_archE906ELNS1_3gpuE6ELNS1_3repE0EEENS1_30default_config_static_selectorELNS0_4arch9wavefront6targetE0EEEvT1_: ; @_ZN7rocprim17ROCPRIM_400000_NS6detail17trampoline_kernelINS0_14default_configENS1_27scan_by_key_config_selectorIiiEEZZNS1_16scan_by_key_implILNS1_25lookback_scan_determinismE0ELb0ES3_N6thrust23THRUST_200600_302600_NS6detail15normal_iteratorINS9_10device_ptrIiEEEESE_SE_iNS9_10multipliesIiEENS9_8equal_toIiEEiEE10hipError_tPvRmT2_T3_T4_T5_mT6_T7_P12ihipStream_tbENKUlT_T0_E_clISt17integral_constantIbLb0EESZ_EEDaSU_SV_EUlSU_E_NS1_11comp_targetILNS1_3genE2ELNS1_11target_archE906ELNS1_3gpuE6ELNS1_3repE0EEENS1_30default_config_static_selectorELNS0_4arch9wavefront6targetE0EEEvT1_
; %bb.0:
	.section	.rodata,"a",@progbits
	.p2align	6, 0x0
	.amdhsa_kernel _ZN7rocprim17ROCPRIM_400000_NS6detail17trampoline_kernelINS0_14default_configENS1_27scan_by_key_config_selectorIiiEEZZNS1_16scan_by_key_implILNS1_25lookback_scan_determinismE0ELb0ES3_N6thrust23THRUST_200600_302600_NS6detail15normal_iteratorINS9_10device_ptrIiEEEESE_SE_iNS9_10multipliesIiEENS9_8equal_toIiEEiEE10hipError_tPvRmT2_T3_T4_T5_mT6_T7_P12ihipStream_tbENKUlT_T0_E_clISt17integral_constantIbLb0EESZ_EEDaSU_SV_EUlSU_E_NS1_11comp_targetILNS1_3genE2ELNS1_11target_archE906ELNS1_3gpuE6ELNS1_3repE0EEENS1_30default_config_static_selectorELNS0_4arch9wavefront6targetE0EEEvT1_
		.amdhsa_group_segment_fixed_size 0
		.amdhsa_private_segment_fixed_size 0
		.amdhsa_kernarg_size 112
		.amdhsa_user_sgpr_count 2
		.amdhsa_user_sgpr_dispatch_ptr 0
		.amdhsa_user_sgpr_queue_ptr 0
		.amdhsa_user_sgpr_kernarg_segment_ptr 1
		.amdhsa_user_sgpr_dispatch_id 0
		.amdhsa_user_sgpr_kernarg_preload_length 0
		.amdhsa_user_sgpr_kernarg_preload_offset 0
		.amdhsa_user_sgpr_private_segment_size 0
		.amdhsa_wavefront_size32 1
		.amdhsa_uses_dynamic_stack 0
		.amdhsa_enable_private_segment 0
		.amdhsa_system_sgpr_workgroup_id_x 1
		.amdhsa_system_sgpr_workgroup_id_y 0
		.amdhsa_system_sgpr_workgroup_id_z 0
		.amdhsa_system_sgpr_workgroup_info 0
		.amdhsa_system_vgpr_workitem_id 0
		.amdhsa_next_free_vgpr 1
		.amdhsa_next_free_sgpr 1
		.amdhsa_named_barrier_count 0
		.amdhsa_reserve_vcc 0
		.amdhsa_float_round_mode_32 0
		.amdhsa_float_round_mode_16_64 0
		.amdhsa_float_denorm_mode_32 3
		.amdhsa_float_denorm_mode_16_64 3
		.amdhsa_fp16_overflow 0
		.amdhsa_memory_ordered 1
		.amdhsa_forward_progress 1
		.amdhsa_inst_pref_size 0
		.amdhsa_round_robin_scheduling 0
		.amdhsa_exception_fp_ieee_invalid_op 0
		.amdhsa_exception_fp_denorm_src 0
		.amdhsa_exception_fp_ieee_div_zero 0
		.amdhsa_exception_fp_ieee_overflow 0
		.amdhsa_exception_fp_ieee_underflow 0
		.amdhsa_exception_fp_ieee_inexact 0
		.amdhsa_exception_int_div_zero 0
	.end_amdhsa_kernel
	.section	.text._ZN7rocprim17ROCPRIM_400000_NS6detail17trampoline_kernelINS0_14default_configENS1_27scan_by_key_config_selectorIiiEEZZNS1_16scan_by_key_implILNS1_25lookback_scan_determinismE0ELb0ES3_N6thrust23THRUST_200600_302600_NS6detail15normal_iteratorINS9_10device_ptrIiEEEESE_SE_iNS9_10multipliesIiEENS9_8equal_toIiEEiEE10hipError_tPvRmT2_T3_T4_T5_mT6_T7_P12ihipStream_tbENKUlT_T0_E_clISt17integral_constantIbLb0EESZ_EEDaSU_SV_EUlSU_E_NS1_11comp_targetILNS1_3genE2ELNS1_11target_archE906ELNS1_3gpuE6ELNS1_3repE0EEENS1_30default_config_static_selectorELNS0_4arch9wavefront6targetE0EEEvT1_,"axG",@progbits,_ZN7rocprim17ROCPRIM_400000_NS6detail17trampoline_kernelINS0_14default_configENS1_27scan_by_key_config_selectorIiiEEZZNS1_16scan_by_key_implILNS1_25lookback_scan_determinismE0ELb0ES3_N6thrust23THRUST_200600_302600_NS6detail15normal_iteratorINS9_10device_ptrIiEEEESE_SE_iNS9_10multipliesIiEENS9_8equal_toIiEEiEE10hipError_tPvRmT2_T3_T4_T5_mT6_T7_P12ihipStream_tbENKUlT_T0_E_clISt17integral_constantIbLb0EESZ_EEDaSU_SV_EUlSU_E_NS1_11comp_targetILNS1_3genE2ELNS1_11target_archE906ELNS1_3gpuE6ELNS1_3repE0EEENS1_30default_config_static_selectorELNS0_4arch9wavefront6targetE0EEEvT1_,comdat
.Lfunc_end169:
	.size	_ZN7rocprim17ROCPRIM_400000_NS6detail17trampoline_kernelINS0_14default_configENS1_27scan_by_key_config_selectorIiiEEZZNS1_16scan_by_key_implILNS1_25lookback_scan_determinismE0ELb0ES3_N6thrust23THRUST_200600_302600_NS6detail15normal_iteratorINS9_10device_ptrIiEEEESE_SE_iNS9_10multipliesIiEENS9_8equal_toIiEEiEE10hipError_tPvRmT2_T3_T4_T5_mT6_T7_P12ihipStream_tbENKUlT_T0_E_clISt17integral_constantIbLb0EESZ_EEDaSU_SV_EUlSU_E_NS1_11comp_targetILNS1_3genE2ELNS1_11target_archE906ELNS1_3gpuE6ELNS1_3repE0EEENS1_30default_config_static_selectorELNS0_4arch9wavefront6targetE0EEEvT1_, .Lfunc_end169-_ZN7rocprim17ROCPRIM_400000_NS6detail17trampoline_kernelINS0_14default_configENS1_27scan_by_key_config_selectorIiiEEZZNS1_16scan_by_key_implILNS1_25lookback_scan_determinismE0ELb0ES3_N6thrust23THRUST_200600_302600_NS6detail15normal_iteratorINS9_10device_ptrIiEEEESE_SE_iNS9_10multipliesIiEENS9_8equal_toIiEEiEE10hipError_tPvRmT2_T3_T4_T5_mT6_T7_P12ihipStream_tbENKUlT_T0_E_clISt17integral_constantIbLb0EESZ_EEDaSU_SV_EUlSU_E_NS1_11comp_targetILNS1_3genE2ELNS1_11target_archE906ELNS1_3gpuE6ELNS1_3repE0EEENS1_30default_config_static_selectorELNS0_4arch9wavefront6targetE0EEEvT1_
                                        ; -- End function
	.set _ZN7rocprim17ROCPRIM_400000_NS6detail17trampoline_kernelINS0_14default_configENS1_27scan_by_key_config_selectorIiiEEZZNS1_16scan_by_key_implILNS1_25lookback_scan_determinismE0ELb0ES3_N6thrust23THRUST_200600_302600_NS6detail15normal_iteratorINS9_10device_ptrIiEEEESE_SE_iNS9_10multipliesIiEENS9_8equal_toIiEEiEE10hipError_tPvRmT2_T3_T4_T5_mT6_T7_P12ihipStream_tbENKUlT_T0_E_clISt17integral_constantIbLb0EESZ_EEDaSU_SV_EUlSU_E_NS1_11comp_targetILNS1_3genE2ELNS1_11target_archE906ELNS1_3gpuE6ELNS1_3repE0EEENS1_30default_config_static_selectorELNS0_4arch9wavefront6targetE0EEEvT1_.num_vgpr, 0
	.set _ZN7rocprim17ROCPRIM_400000_NS6detail17trampoline_kernelINS0_14default_configENS1_27scan_by_key_config_selectorIiiEEZZNS1_16scan_by_key_implILNS1_25lookback_scan_determinismE0ELb0ES3_N6thrust23THRUST_200600_302600_NS6detail15normal_iteratorINS9_10device_ptrIiEEEESE_SE_iNS9_10multipliesIiEENS9_8equal_toIiEEiEE10hipError_tPvRmT2_T3_T4_T5_mT6_T7_P12ihipStream_tbENKUlT_T0_E_clISt17integral_constantIbLb0EESZ_EEDaSU_SV_EUlSU_E_NS1_11comp_targetILNS1_3genE2ELNS1_11target_archE906ELNS1_3gpuE6ELNS1_3repE0EEENS1_30default_config_static_selectorELNS0_4arch9wavefront6targetE0EEEvT1_.num_agpr, 0
	.set _ZN7rocprim17ROCPRIM_400000_NS6detail17trampoline_kernelINS0_14default_configENS1_27scan_by_key_config_selectorIiiEEZZNS1_16scan_by_key_implILNS1_25lookback_scan_determinismE0ELb0ES3_N6thrust23THRUST_200600_302600_NS6detail15normal_iteratorINS9_10device_ptrIiEEEESE_SE_iNS9_10multipliesIiEENS9_8equal_toIiEEiEE10hipError_tPvRmT2_T3_T4_T5_mT6_T7_P12ihipStream_tbENKUlT_T0_E_clISt17integral_constantIbLb0EESZ_EEDaSU_SV_EUlSU_E_NS1_11comp_targetILNS1_3genE2ELNS1_11target_archE906ELNS1_3gpuE6ELNS1_3repE0EEENS1_30default_config_static_selectorELNS0_4arch9wavefront6targetE0EEEvT1_.numbered_sgpr, 0
	.set _ZN7rocprim17ROCPRIM_400000_NS6detail17trampoline_kernelINS0_14default_configENS1_27scan_by_key_config_selectorIiiEEZZNS1_16scan_by_key_implILNS1_25lookback_scan_determinismE0ELb0ES3_N6thrust23THRUST_200600_302600_NS6detail15normal_iteratorINS9_10device_ptrIiEEEESE_SE_iNS9_10multipliesIiEENS9_8equal_toIiEEiEE10hipError_tPvRmT2_T3_T4_T5_mT6_T7_P12ihipStream_tbENKUlT_T0_E_clISt17integral_constantIbLb0EESZ_EEDaSU_SV_EUlSU_E_NS1_11comp_targetILNS1_3genE2ELNS1_11target_archE906ELNS1_3gpuE6ELNS1_3repE0EEENS1_30default_config_static_selectorELNS0_4arch9wavefront6targetE0EEEvT1_.num_named_barrier, 0
	.set _ZN7rocprim17ROCPRIM_400000_NS6detail17trampoline_kernelINS0_14default_configENS1_27scan_by_key_config_selectorIiiEEZZNS1_16scan_by_key_implILNS1_25lookback_scan_determinismE0ELb0ES3_N6thrust23THRUST_200600_302600_NS6detail15normal_iteratorINS9_10device_ptrIiEEEESE_SE_iNS9_10multipliesIiEENS9_8equal_toIiEEiEE10hipError_tPvRmT2_T3_T4_T5_mT6_T7_P12ihipStream_tbENKUlT_T0_E_clISt17integral_constantIbLb0EESZ_EEDaSU_SV_EUlSU_E_NS1_11comp_targetILNS1_3genE2ELNS1_11target_archE906ELNS1_3gpuE6ELNS1_3repE0EEENS1_30default_config_static_selectorELNS0_4arch9wavefront6targetE0EEEvT1_.private_seg_size, 0
	.set _ZN7rocprim17ROCPRIM_400000_NS6detail17trampoline_kernelINS0_14default_configENS1_27scan_by_key_config_selectorIiiEEZZNS1_16scan_by_key_implILNS1_25lookback_scan_determinismE0ELb0ES3_N6thrust23THRUST_200600_302600_NS6detail15normal_iteratorINS9_10device_ptrIiEEEESE_SE_iNS9_10multipliesIiEENS9_8equal_toIiEEiEE10hipError_tPvRmT2_T3_T4_T5_mT6_T7_P12ihipStream_tbENKUlT_T0_E_clISt17integral_constantIbLb0EESZ_EEDaSU_SV_EUlSU_E_NS1_11comp_targetILNS1_3genE2ELNS1_11target_archE906ELNS1_3gpuE6ELNS1_3repE0EEENS1_30default_config_static_selectorELNS0_4arch9wavefront6targetE0EEEvT1_.uses_vcc, 0
	.set _ZN7rocprim17ROCPRIM_400000_NS6detail17trampoline_kernelINS0_14default_configENS1_27scan_by_key_config_selectorIiiEEZZNS1_16scan_by_key_implILNS1_25lookback_scan_determinismE0ELb0ES3_N6thrust23THRUST_200600_302600_NS6detail15normal_iteratorINS9_10device_ptrIiEEEESE_SE_iNS9_10multipliesIiEENS9_8equal_toIiEEiEE10hipError_tPvRmT2_T3_T4_T5_mT6_T7_P12ihipStream_tbENKUlT_T0_E_clISt17integral_constantIbLb0EESZ_EEDaSU_SV_EUlSU_E_NS1_11comp_targetILNS1_3genE2ELNS1_11target_archE906ELNS1_3gpuE6ELNS1_3repE0EEENS1_30default_config_static_selectorELNS0_4arch9wavefront6targetE0EEEvT1_.uses_flat_scratch, 0
	.set _ZN7rocprim17ROCPRIM_400000_NS6detail17trampoline_kernelINS0_14default_configENS1_27scan_by_key_config_selectorIiiEEZZNS1_16scan_by_key_implILNS1_25lookback_scan_determinismE0ELb0ES3_N6thrust23THRUST_200600_302600_NS6detail15normal_iteratorINS9_10device_ptrIiEEEESE_SE_iNS9_10multipliesIiEENS9_8equal_toIiEEiEE10hipError_tPvRmT2_T3_T4_T5_mT6_T7_P12ihipStream_tbENKUlT_T0_E_clISt17integral_constantIbLb0EESZ_EEDaSU_SV_EUlSU_E_NS1_11comp_targetILNS1_3genE2ELNS1_11target_archE906ELNS1_3gpuE6ELNS1_3repE0EEENS1_30default_config_static_selectorELNS0_4arch9wavefront6targetE0EEEvT1_.has_dyn_sized_stack, 0
	.set _ZN7rocprim17ROCPRIM_400000_NS6detail17trampoline_kernelINS0_14default_configENS1_27scan_by_key_config_selectorIiiEEZZNS1_16scan_by_key_implILNS1_25lookback_scan_determinismE0ELb0ES3_N6thrust23THRUST_200600_302600_NS6detail15normal_iteratorINS9_10device_ptrIiEEEESE_SE_iNS9_10multipliesIiEENS9_8equal_toIiEEiEE10hipError_tPvRmT2_T3_T4_T5_mT6_T7_P12ihipStream_tbENKUlT_T0_E_clISt17integral_constantIbLb0EESZ_EEDaSU_SV_EUlSU_E_NS1_11comp_targetILNS1_3genE2ELNS1_11target_archE906ELNS1_3gpuE6ELNS1_3repE0EEENS1_30default_config_static_selectorELNS0_4arch9wavefront6targetE0EEEvT1_.has_recursion, 0
	.set _ZN7rocprim17ROCPRIM_400000_NS6detail17trampoline_kernelINS0_14default_configENS1_27scan_by_key_config_selectorIiiEEZZNS1_16scan_by_key_implILNS1_25lookback_scan_determinismE0ELb0ES3_N6thrust23THRUST_200600_302600_NS6detail15normal_iteratorINS9_10device_ptrIiEEEESE_SE_iNS9_10multipliesIiEENS9_8equal_toIiEEiEE10hipError_tPvRmT2_T3_T4_T5_mT6_T7_P12ihipStream_tbENKUlT_T0_E_clISt17integral_constantIbLb0EESZ_EEDaSU_SV_EUlSU_E_NS1_11comp_targetILNS1_3genE2ELNS1_11target_archE906ELNS1_3gpuE6ELNS1_3repE0EEENS1_30default_config_static_selectorELNS0_4arch9wavefront6targetE0EEEvT1_.has_indirect_call, 0
	.section	.AMDGPU.csdata,"",@progbits
; Kernel info:
; codeLenInByte = 0
; TotalNumSgprs: 0
; NumVgprs: 0
; ScratchSize: 0
; MemoryBound: 0
; FloatMode: 240
; IeeeMode: 1
; LDSByteSize: 0 bytes/workgroup (compile time only)
; SGPRBlocks: 0
; VGPRBlocks: 0
; NumSGPRsForWavesPerEU: 1
; NumVGPRsForWavesPerEU: 1
; NamedBarCnt: 0
; Occupancy: 16
; WaveLimiterHint : 0
; COMPUTE_PGM_RSRC2:SCRATCH_EN: 0
; COMPUTE_PGM_RSRC2:USER_SGPR: 2
; COMPUTE_PGM_RSRC2:TRAP_HANDLER: 0
; COMPUTE_PGM_RSRC2:TGID_X_EN: 1
; COMPUTE_PGM_RSRC2:TGID_Y_EN: 0
; COMPUTE_PGM_RSRC2:TGID_Z_EN: 0
; COMPUTE_PGM_RSRC2:TIDIG_COMP_CNT: 0
	.section	.text._ZN7rocprim17ROCPRIM_400000_NS6detail17trampoline_kernelINS0_14default_configENS1_27scan_by_key_config_selectorIiiEEZZNS1_16scan_by_key_implILNS1_25lookback_scan_determinismE0ELb0ES3_N6thrust23THRUST_200600_302600_NS6detail15normal_iteratorINS9_10device_ptrIiEEEESE_SE_iNS9_10multipliesIiEENS9_8equal_toIiEEiEE10hipError_tPvRmT2_T3_T4_T5_mT6_T7_P12ihipStream_tbENKUlT_T0_E_clISt17integral_constantIbLb0EESZ_EEDaSU_SV_EUlSU_E_NS1_11comp_targetILNS1_3genE10ELNS1_11target_archE1200ELNS1_3gpuE4ELNS1_3repE0EEENS1_30default_config_static_selectorELNS0_4arch9wavefront6targetE0EEEvT1_,"axG",@progbits,_ZN7rocprim17ROCPRIM_400000_NS6detail17trampoline_kernelINS0_14default_configENS1_27scan_by_key_config_selectorIiiEEZZNS1_16scan_by_key_implILNS1_25lookback_scan_determinismE0ELb0ES3_N6thrust23THRUST_200600_302600_NS6detail15normal_iteratorINS9_10device_ptrIiEEEESE_SE_iNS9_10multipliesIiEENS9_8equal_toIiEEiEE10hipError_tPvRmT2_T3_T4_T5_mT6_T7_P12ihipStream_tbENKUlT_T0_E_clISt17integral_constantIbLb0EESZ_EEDaSU_SV_EUlSU_E_NS1_11comp_targetILNS1_3genE10ELNS1_11target_archE1200ELNS1_3gpuE4ELNS1_3repE0EEENS1_30default_config_static_selectorELNS0_4arch9wavefront6targetE0EEEvT1_,comdat
	.protected	_ZN7rocprim17ROCPRIM_400000_NS6detail17trampoline_kernelINS0_14default_configENS1_27scan_by_key_config_selectorIiiEEZZNS1_16scan_by_key_implILNS1_25lookback_scan_determinismE0ELb0ES3_N6thrust23THRUST_200600_302600_NS6detail15normal_iteratorINS9_10device_ptrIiEEEESE_SE_iNS9_10multipliesIiEENS9_8equal_toIiEEiEE10hipError_tPvRmT2_T3_T4_T5_mT6_T7_P12ihipStream_tbENKUlT_T0_E_clISt17integral_constantIbLb0EESZ_EEDaSU_SV_EUlSU_E_NS1_11comp_targetILNS1_3genE10ELNS1_11target_archE1200ELNS1_3gpuE4ELNS1_3repE0EEENS1_30default_config_static_selectorELNS0_4arch9wavefront6targetE0EEEvT1_ ; -- Begin function _ZN7rocprim17ROCPRIM_400000_NS6detail17trampoline_kernelINS0_14default_configENS1_27scan_by_key_config_selectorIiiEEZZNS1_16scan_by_key_implILNS1_25lookback_scan_determinismE0ELb0ES3_N6thrust23THRUST_200600_302600_NS6detail15normal_iteratorINS9_10device_ptrIiEEEESE_SE_iNS9_10multipliesIiEENS9_8equal_toIiEEiEE10hipError_tPvRmT2_T3_T4_T5_mT6_T7_P12ihipStream_tbENKUlT_T0_E_clISt17integral_constantIbLb0EESZ_EEDaSU_SV_EUlSU_E_NS1_11comp_targetILNS1_3genE10ELNS1_11target_archE1200ELNS1_3gpuE4ELNS1_3repE0EEENS1_30default_config_static_selectorELNS0_4arch9wavefront6targetE0EEEvT1_
	.globl	_ZN7rocprim17ROCPRIM_400000_NS6detail17trampoline_kernelINS0_14default_configENS1_27scan_by_key_config_selectorIiiEEZZNS1_16scan_by_key_implILNS1_25lookback_scan_determinismE0ELb0ES3_N6thrust23THRUST_200600_302600_NS6detail15normal_iteratorINS9_10device_ptrIiEEEESE_SE_iNS9_10multipliesIiEENS9_8equal_toIiEEiEE10hipError_tPvRmT2_T3_T4_T5_mT6_T7_P12ihipStream_tbENKUlT_T0_E_clISt17integral_constantIbLb0EESZ_EEDaSU_SV_EUlSU_E_NS1_11comp_targetILNS1_3genE10ELNS1_11target_archE1200ELNS1_3gpuE4ELNS1_3repE0EEENS1_30default_config_static_selectorELNS0_4arch9wavefront6targetE0EEEvT1_
	.p2align	8
	.type	_ZN7rocprim17ROCPRIM_400000_NS6detail17trampoline_kernelINS0_14default_configENS1_27scan_by_key_config_selectorIiiEEZZNS1_16scan_by_key_implILNS1_25lookback_scan_determinismE0ELb0ES3_N6thrust23THRUST_200600_302600_NS6detail15normal_iteratorINS9_10device_ptrIiEEEESE_SE_iNS9_10multipliesIiEENS9_8equal_toIiEEiEE10hipError_tPvRmT2_T3_T4_T5_mT6_T7_P12ihipStream_tbENKUlT_T0_E_clISt17integral_constantIbLb0EESZ_EEDaSU_SV_EUlSU_E_NS1_11comp_targetILNS1_3genE10ELNS1_11target_archE1200ELNS1_3gpuE4ELNS1_3repE0EEENS1_30default_config_static_selectorELNS0_4arch9wavefront6targetE0EEEvT1_,@function
_ZN7rocprim17ROCPRIM_400000_NS6detail17trampoline_kernelINS0_14default_configENS1_27scan_by_key_config_selectorIiiEEZZNS1_16scan_by_key_implILNS1_25lookback_scan_determinismE0ELb0ES3_N6thrust23THRUST_200600_302600_NS6detail15normal_iteratorINS9_10device_ptrIiEEEESE_SE_iNS9_10multipliesIiEENS9_8equal_toIiEEiEE10hipError_tPvRmT2_T3_T4_T5_mT6_T7_P12ihipStream_tbENKUlT_T0_E_clISt17integral_constantIbLb0EESZ_EEDaSU_SV_EUlSU_E_NS1_11comp_targetILNS1_3genE10ELNS1_11target_archE1200ELNS1_3gpuE4ELNS1_3repE0EEENS1_30default_config_static_selectorELNS0_4arch9wavefront6targetE0EEEvT1_: ; @_ZN7rocprim17ROCPRIM_400000_NS6detail17trampoline_kernelINS0_14default_configENS1_27scan_by_key_config_selectorIiiEEZZNS1_16scan_by_key_implILNS1_25lookback_scan_determinismE0ELb0ES3_N6thrust23THRUST_200600_302600_NS6detail15normal_iteratorINS9_10device_ptrIiEEEESE_SE_iNS9_10multipliesIiEENS9_8equal_toIiEEiEE10hipError_tPvRmT2_T3_T4_T5_mT6_T7_P12ihipStream_tbENKUlT_T0_E_clISt17integral_constantIbLb0EESZ_EEDaSU_SV_EUlSU_E_NS1_11comp_targetILNS1_3genE10ELNS1_11target_archE1200ELNS1_3gpuE4ELNS1_3repE0EEENS1_30default_config_static_selectorELNS0_4arch9wavefront6targetE0EEEvT1_
; %bb.0:
	.section	.rodata,"a",@progbits
	.p2align	6, 0x0
	.amdhsa_kernel _ZN7rocprim17ROCPRIM_400000_NS6detail17trampoline_kernelINS0_14default_configENS1_27scan_by_key_config_selectorIiiEEZZNS1_16scan_by_key_implILNS1_25lookback_scan_determinismE0ELb0ES3_N6thrust23THRUST_200600_302600_NS6detail15normal_iteratorINS9_10device_ptrIiEEEESE_SE_iNS9_10multipliesIiEENS9_8equal_toIiEEiEE10hipError_tPvRmT2_T3_T4_T5_mT6_T7_P12ihipStream_tbENKUlT_T0_E_clISt17integral_constantIbLb0EESZ_EEDaSU_SV_EUlSU_E_NS1_11comp_targetILNS1_3genE10ELNS1_11target_archE1200ELNS1_3gpuE4ELNS1_3repE0EEENS1_30default_config_static_selectorELNS0_4arch9wavefront6targetE0EEEvT1_
		.amdhsa_group_segment_fixed_size 0
		.amdhsa_private_segment_fixed_size 0
		.amdhsa_kernarg_size 112
		.amdhsa_user_sgpr_count 2
		.amdhsa_user_sgpr_dispatch_ptr 0
		.amdhsa_user_sgpr_queue_ptr 0
		.amdhsa_user_sgpr_kernarg_segment_ptr 1
		.amdhsa_user_sgpr_dispatch_id 0
		.amdhsa_user_sgpr_kernarg_preload_length 0
		.amdhsa_user_sgpr_kernarg_preload_offset 0
		.amdhsa_user_sgpr_private_segment_size 0
		.amdhsa_wavefront_size32 1
		.amdhsa_uses_dynamic_stack 0
		.amdhsa_enable_private_segment 0
		.amdhsa_system_sgpr_workgroup_id_x 1
		.amdhsa_system_sgpr_workgroup_id_y 0
		.amdhsa_system_sgpr_workgroup_id_z 0
		.amdhsa_system_sgpr_workgroup_info 0
		.amdhsa_system_vgpr_workitem_id 0
		.amdhsa_next_free_vgpr 1
		.amdhsa_next_free_sgpr 1
		.amdhsa_named_barrier_count 0
		.amdhsa_reserve_vcc 0
		.amdhsa_float_round_mode_32 0
		.amdhsa_float_round_mode_16_64 0
		.amdhsa_float_denorm_mode_32 3
		.amdhsa_float_denorm_mode_16_64 3
		.amdhsa_fp16_overflow 0
		.amdhsa_memory_ordered 1
		.amdhsa_forward_progress 1
		.amdhsa_inst_pref_size 0
		.amdhsa_round_robin_scheduling 0
		.amdhsa_exception_fp_ieee_invalid_op 0
		.amdhsa_exception_fp_denorm_src 0
		.amdhsa_exception_fp_ieee_div_zero 0
		.amdhsa_exception_fp_ieee_overflow 0
		.amdhsa_exception_fp_ieee_underflow 0
		.amdhsa_exception_fp_ieee_inexact 0
		.amdhsa_exception_int_div_zero 0
	.end_amdhsa_kernel
	.section	.text._ZN7rocprim17ROCPRIM_400000_NS6detail17trampoline_kernelINS0_14default_configENS1_27scan_by_key_config_selectorIiiEEZZNS1_16scan_by_key_implILNS1_25lookback_scan_determinismE0ELb0ES3_N6thrust23THRUST_200600_302600_NS6detail15normal_iteratorINS9_10device_ptrIiEEEESE_SE_iNS9_10multipliesIiEENS9_8equal_toIiEEiEE10hipError_tPvRmT2_T3_T4_T5_mT6_T7_P12ihipStream_tbENKUlT_T0_E_clISt17integral_constantIbLb0EESZ_EEDaSU_SV_EUlSU_E_NS1_11comp_targetILNS1_3genE10ELNS1_11target_archE1200ELNS1_3gpuE4ELNS1_3repE0EEENS1_30default_config_static_selectorELNS0_4arch9wavefront6targetE0EEEvT1_,"axG",@progbits,_ZN7rocprim17ROCPRIM_400000_NS6detail17trampoline_kernelINS0_14default_configENS1_27scan_by_key_config_selectorIiiEEZZNS1_16scan_by_key_implILNS1_25lookback_scan_determinismE0ELb0ES3_N6thrust23THRUST_200600_302600_NS6detail15normal_iteratorINS9_10device_ptrIiEEEESE_SE_iNS9_10multipliesIiEENS9_8equal_toIiEEiEE10hipError_tPvRmT2_T3_T4_T5_mT6_T7_P12ihipStream_tbENKUlT_T0_E_clISt17integral_constantIbLb0EESZ_EEDaSU_SV_EUlSU_E_NS1_11comp_targetILNS1_3genE10ELNS1_11target_archE1200ELNS1_3gpuE4ELNS1_3repE0EEENS1_30default_config_static_selectorELNS0_4arch9wavefront6targetE0EEEvT1_,comdat
.Lfunc_end170:
	.size	_ZN7rocprim17ROCPRIM_400000_NS6detail17trampoline_kernelINS0_14default_configENS1_27scan_by_key_config_selectorIiiEEZZNS1_16scan_by_key_implILNS1_25lookback_scan_determinismE0ELb0ES3_N6thrust23THRUST_200600_302600_NS6detail15normal_iteratorINS9_10device_ptrIiEEEESE_SE_iNS9_10multipliesIiEENS9_8equal_toIiEEiEE10hipError_tPvRmT2_T3_T4_T5_mT6_T7_P12ihipStream_tbENKUlT_T0_E_clISt17integral_constantIbLb0EESZ_EEDaSU_SV_EUlSU_E_NS1_11comp_targetILNS1_3genE10ELNS1_11target_archE1200ELNS1_3gpuE4ELNS1_3repE0EEENS1_30default_config_static_selectorELNS0_4arch9wavefront6targetE0EEEvT1_, .Lfunc_end170-_ZN7rocprim17ROCPRIM_400000_NS6detail17trampoline_kernelINS0_14default_configENS1_27scan_by_key_config_selectorIiiEEZZNS1_16scan_by_key_implILNS1_25lookback_scan_determinismE0ELb0ES3_N6thrust23THRUST_200600_302600_NS6detail15normal_iteratorINS9_10device_ptrIiEEEESE_SE_iNS9_10multipliesIiEENS9_8equal_toIiEEiEE10hipError_tPvRmT2_T3_T4_T5_mT6_T7_P12ihipStream_tbENKUlT_T0_E_clISt17integral_constantIbLb0EESZ_EEDaSU_SV_EUlSU_E_NS1_11comp_targetILNS1_3genE10ELNS1_11target_archE1200ELNS1_3gpuE4ELNS1_3repE0EEENS1_30default_config_static_selectorELNS0_4arch9wavefront6targetE0EEEvT1_
                                        ; -- End function
	.set _ZN7rocprim17ROCPRIM_400000_NS6detail17trampoline_kernelINS0_14default_configENS1_27scan_by_key_config_selectorIiiEEZZNS1_16scan_by_key_implILNS1_25lookback_scan_determinismE0ELb0ES3_N6thrust23THRUST_200600_302600_NS6detail15normal_iteratorINS9_10device_ptrIiEEEESE_SE_iNS9_10multipliesIiEENS9_8equal_toIiEEiEE10hipError_tPvRmT2_T3_T4_T5_mT6_T7_P12ihipStream_tbENKUlT_T0_E_clISt17integral_constantIbLb0EESZ_EEDaSU_SV_EUlSU_E_NS1_11comp_targetILNS1_3genE10ELNS1_11target_archE1200ELNS1_3gpuE4ELNS1_3repE0EEENS1_30default_config_static_selectorELNS0_4arch9wavefront6targetE0EEEvT1_.num_vgpr, 0
	.set _ZN7rocprim17ROCPRIM_400000_NS6detail17trampoline_kernelINS0_14default_configENS1_27scan_by_key_config_selectorIiiEEZZNS1_16scan_by_key_implILNS1_25lookback_scan_determinismE0ELb0ES3_N6thrust23THRUST_200600_302600_NS6detail15normal_iteratorINS9_10device_ptrIiEEEESE_SE_iNS9_10multipliesIiEENS9_8equal_toIiEEiEE10hipError_tPvRmT2_T3_T4_T5_mT6_T7_P12ihipStream_tbENKUlT_T0_E_clISt17integral_constantIbLb0EESZ_EEDaSU_SV_EUlSU_E_NS1_11comp_targetILNS1_3genE10ELNS1_11target_archE1200ELNS1_3gpuE4ELNS1_3repE0EEENS1_30default_config_static_selectorELNS0_4arch9wavefront6targetE0EEEvT1_.num_agpr, 0
	.set _ZN7rocprim17ROCPRIM_400000_NS6detail17trampoline_kernelINS0_14default_configENS1_27scan_by_key_config_selectorIiiEEZZNS1_16scan_by_key_implILNS1_25lookback_scan_determinismE0ELb0ES3_N6thrust23THRUST_200600_302600_NS6detail15normal_iteratorINS9_10device_ptrIiEEEESE_SE_iNS9_10multipliesIiEENS9_8equal_toIiEEiEE10hipError_tPvRmT2_T3_T4_T5_mT6_T7_P12ihipStream_tbENKUlT_T0_E_clISt17integral_constantIbLb0EESZ_EEDaSU_SV_EUlSU_E_NS1_11comp_targetILNS1_3genE10ELNS1_11target_archE1200ELNS1_3gpuE4ELNS1_3repE0EEENS1_30default_config_static_selectorELNS0_4arch9wavefront6targetE0EEEvT1_.numbered_sgpr, 0
	.set _ZN7rocprim17ROCPRIM_400000_NS6detail17trampoline_kernelINS0_14default_configENS1_27scan_by_key_config_selectorIiiEEZZNS1_16scan_by_key_implILNS1_25lookback_scan_determinismE0ELb0ES3_N6thrust23THRUST_200600_302600_NS6detail15normal_iteratorINS9_10device_ptrIiEEEESE_SE_iNS9_10multipliesIiEENS9_8equal_toIiEEiEE10hipError_tPvRmT2_T3_T4_T5_mT6_T7_P12ihipStream_tbENKUlT_T0_E_clISt17integral_constantIbLb0EESZ_EEDaSU_SV_EUlSU_E_NS1_11comp_targetILNS1_3genE10ELNS1_11target_archE1200ELNS1_3gpuE4ELNS1_3repE0EEENS1_30default_config_static_selectorELNS0_4arch9wavefront6targetE0EEEvT1_.num_named_barrier, 0
	.set _ZN7rocprim17ROCPRIM_400000_NS6detail17trampoline_kernelINS0_14default_configENS1_27scan_by_key_config_selectorIiiEEZZNS1_16scan_by_key_implILNS1_25lookback_scan_determinismE0ELb0ES3_N6thrust23THRUST_200600_302600_NS6detail15normal_iteratorINS9_10device_ptrIiEEEESE_SE_iNS9_10multipliesIiEENS9_8equal_toIiEEiEE10hipError_tPvRmT2_T3_T4_T5_mT6_T7_P12ihipStream_tbENKUlT_T0_E_clISt17integral_constantIbLb0EESZ_EEDaSU_SV_EUlSU_E_NS1_11comp_targetILNS1_3genE10ELNS1_11target_archE1200ELNS1_3gpuE4ELNS1_3repE0EEENS1_30default_config_static_selectorELNS0_4arch9wavefront6targetE0EEEvT1_.private_seg_size, 0
	.set _ZN7rocprim17ROCPRIM_400000_NS6detail17trampoline_kernelINS0_14default_configENS1_27scan_by_key_config_selectorIiiEEZZNS1_16scan_by_key_implILNS1_25lookback_scan_determinismE0ELb0ES3_N6thrust23THRUST_200600_302600_NS6detail15normal_iteratorINS9_10device_ptrIiEEEESE_SE_iNS9_10multipliesIiEENS9_8equal_toIiEEiEE10hipError_tPvRmT2_T3_T4_T5_mT6_T7_P12ihipStream_tbENKUlT_T0_E_clISt17integral_constantIbLb0EESZ_EEDaSU_SV_EUlSU_E_NS1_11comp_targetILNS1_3genE10ELNS1_11target_archE1200ELNS1_3gpuE4ELNS1_3repE0EEENS1_30default_config_static_selectorELNS0_4arch9wavefront6targetE0EEEvT1_.uses_vcc, 0
	.set _ZN7rocprim17ROCPRIM_400000_NS6detail17trampoline_kernelINS0_14default_configENS1_27scan_by_key_config_selectorIiiEEZZNS1_16scan_by_key_implILNS1_25lookback_scan_determinismE0ELb0ES3_N6thrust23THRUST_200600_302600_NS6detail15normal_iteratorINS9_10device_ptrIiEEEESE_SE_iNS9_10multipliesIiEENS9_8equal_toIiEEiEE10hipError_tPvRmT2_T3_T4_T5_mT6_T7_P12ihipStream_tbENKUlT_T0_E_clISt17integral_constantIbLb0EESZ_EEDaSU_SV_EUlSU_E_NS1_11comp_targetILNS1_3genE10ELNS1_11target_archE1200ELNS1_3gpuE4ELNS1_3repE0EEENS1_30default_config_static_selectorELNS0_4arch9wavefront6targetE0EEEvT1_.uses_flat_scratch, 0
	.set _ZN7rocprim17ROCPRIM_400000_NS6detail17trampoline_kernelINS0_14default_configENS1_27scan_by_key_config_selectorIiiEEZZNS1_16scan_by_key_implILNS1_25lookback_scan_determinismE0ELb0ES3_N6thrust23THRUST_200600_302600_NS6detail15normal_iteratorINS9_10device_ptrIiEEEESE_SE_iNS9_10multipliesIiEENS9_8equal_toIiEEiEE10hipError_tPvRmT2_T3_T4_T5_mT6_T7_P12ihipStream_tbENKUlT_T0_E_clISt17integral_constantIbLb0EESZ_EEDaSU_SV_EUlSU_E_NS1_11comp_targetILNS1_3genE10ELNS1_11target_archE1200ELNS1_3gpuE4ELNS1_3repE0EEENS1_30default_config_static_selectorELNS0_4arch9wavefront6targetE0EEEvT1_.has_dyn_sized_stack, 0
	.set _ZN7rocprim17ROCPRIM_400000_NS6detail17trampoline_kernelINS0_14default_configENS1_27scan_by_key_config_selectorIiiEEZZNS1_16scan_by_key_implILNS1_25lookback_scan_determinismE0ELb0ES3_N6thrust23THRUST_200600_302600_NS6detail15normal_iteratorINS9_10device_ptrIiEEEESE_SE_iNS9_10multipliesIiEENS9_8equal_toIiEEiEE10hipError_tPvRmT2_T3_T4_T5_mT6_T7_P12ihipStream_tbENKUlT_T0_E_clISt17integral_constantIbLb0EESZ_EEDaSU_SV_EUlSU_E_NS1_11comp_targetILNS1_3genE10ELNS1_11target_archE1200ELNS1_3gpuE4ELNS1_3repE0EEENS1_30default_config_static_selectorELNS0_4arch9wavefront6targetE0EEEvT1_.has_recursion, 0
	.set _ZN7rocprim17ROCPRIM_400000_NS6detail17trampoline_kernelINS0_14default_configENS1_27scan_by_key_config_selectorIiiEEZZNS1_16scan_by_key_implILNS1_25lookback_scan_determinismE0ELb0ES3_N6thrust23THRUST_200600_302600_NS6detail15normal_iteratorINS9_10device_ptrIiEEEESE_SE_iNS9_10multipliesIiEENS9_8equal_toIiEEiEE10hipError_tPvRmT2_T3_T4_T5_mT6_T7_P12ihipStream_tbENKUlT_T0_E_clISt17integral_constantIbLb0EESZ_EEDaSU_SV_EUlSU_E_NS1_11comp_targetILNS1_3genE10ELNS1_11target_archE1200ELNS1_3gpuE4ELNS1_3repE0EEENS1_30default_config_static_selectorELNS0_4arch9wavefront6targetE0EEEvT1_.has_indirect_call, 0
	.section	.AMDGPU.csdata,"",@progbits
; Kernel info:
; codeLenInByte = 0
; TotalNumSgprs: 0
; NumVgprs: 0
; ScratchSize: 0
; MemoryBound: 0
; FloatMode: 240
; IeeeMode: 1
; LDSByteSize: 0 bytes/workgroup (compile time only)
; SGPRBlocks: 0
; VGPRBlocks: 0
; NumSGPRsForWavesPerEU: 1
; NumVGPRsForWavesPerEU: 1
; NamedBarCnt: 0
; Occupancy: 16
; WaveLimiterHint : 0
; COMPUTE_PGM_RSRC2:SCRATCH_EN: 0
; COMPUTE_PGM_RSRC2:USER_SGPR: 2
; COMPUTE_PGM_RSRC2:TRAP_HANDLER: 0
; COMPUTE_PGM_RSRC2:TGID_X_EN: 1
; COMPUTE_PGM_RSRC2:TGID_Y_EN: 0
; COMPUTE_PGM_RSRC2:TGID_Z_EN: 0
; COMPUTE_PGM_RSRC2:TIDIG_COMP_CNT: 0
	.section	.text._ZN7rocprim17ROCPRIM_400000_NS6detail17trampoline_kernelINS0_14default_configENS1_27scan_by_key_config_selectorIiiEEZZNS1_16scan_by_key_implILNS1_25lookback_scan_determinismE0ELb0ES3_N6thrust23THRUST_200600_302600_NS6detail15normal_iteratorINS9_10device_ptrIiEEEESE_SE_iNS9_10multipliesIiEENS9_8equal_toIiEEiEE10hipError_tPvRmT2_T3_T4_T5_mT6_T7_P12ihipStream_tbENKUlT_T0_E_clISt17integral_constantIbLb0EESZ_EEDaSU_SV_EUlSU_E_NS1_11comp_targetILNS1_3genE9ELNS1_11target_archE1100ELNS1_3gpuE3ELNS1_3repE0EEENS1_30default_config_static_selectorELNS0_4arch9wavefront6targetE0EEEvT1_,"axG",@progbits,_ZN7rocprim17ROCPRIM_400000_NS6detail17trampoline_kernelINS0_14default_configENS1_27scan_by_key_config_selectorIiiEEZZNS1_16scan_by_key_implILNS1_25lookback_scan_determinismE0ELb0ES3_N6thrust23THRUST_200600_302600_NS6detail15normal_iteratorINS9_10device_ptrIiEEEESE_SE_iNS9_10multipliesIiEENS9_8equal_toIiEEiEE10hipError_tPvRmT2_T3_T4_T5_mT6_T7_P12ihipStream_tbENKUlT_T0_E_clISt17integral_constantIbLb0EESZ_EEDaSU_SV_EUlSU_E_NS1_11comp_targetILNS1_3genE9ELNS1_11target_archE1100ELNS1_3gpuE3ELNS1_3repE0EEENS1_30default_config_static_selectorELNS0_4arch9wavefront6targetE0EEEvT1_,comdat
	.protected	_ZN7rocprim17ROCPRIM_400000_NS6detail17trampoline_kernelINS0_14default_configENS1_27scan_by_key_config_selectorIiiEEZZNS1_16scan_by_key_implILNS1_25lookback_scan_determinismE0ELb0ES3_N6thrust23THRUST_200600_302600_NS6detail15normal_iteratorINS9_10device_ptrIiEEEESE_SE_iNS9_10multipliesIiEENS9_8equal_toIiEEiEE10hipError_tPvRmT2_T3_T4_T5_mT6_T7_P12ihipStream_tbENKUlT_T0_E_clISt17integral_constantIbLb0EESZ_EEDaSU_SV_EUlSU_E_NS1_11comp_targetILNS1_3genE9ELNS1_11target_archE1100ELNS1_3gpuE3ELNS1_3repE0EEENS1_30default_config_static_selectorELNS0_4arch9wavefront6targetE0EEEvT1_ ; -- Begin function _ZN7rocprim17ROCPRIM_400000_NS6detail17trampoline_kernelINS0_14default_configENS1_27scan_by_key_config_selectorIiiEEZZNS1_16scan_by_key_implILNS1_25lookback_scan_determinismE0ELb0ES3_N6thrust23THRUST_200600_302600_NS6detail15normal_iteratorINS9_10device_ptrIiEEEESE_SE_iNS9_10multipliesIiEENS9_8equal_toIiEEiEE10hipError_tPvRmT2_T3_T4_T5_mT6_T7_P12ihipStream_tbENKUlT_T0_E_clISt17integral_constantIbLb0EESZ_EEDaSU_SV_EUlSU_E_NS1_11comp_targetILNS1_3genE9ELNS1_11target_archE1100ELNS1_3gpuE3ELNS1_3repE0EEENS1_30default_config_static_selectorELNS0_4arch9wavefront6targetE0EEEvT1_
	.globl	_ZN7rocprim17ROCPRIM_400000_NS6detail17trampoline_kernelINS0_14default_configENS1_27scan_by_key_config_selectorIiiEEZZNS1_16scan_by_key_implILNS1_25lookback_scan_determinismE0ELb0ES3_N6thrust23THRUST_200600_302600_NS6detail15normal_iteratorINS9_10device_ptrIiEEEESE_SE_iNS9_10multipliesIiEENS9_8equal_toIiEEiEE10hipError_tPvRmT2_T3_T4_T5_mT6_T7_P12ihipStream_tbENKUlT_T0_E_clISt17integral_constantIbLb0EESZ_EEDaSU_SV_EUlSU_E_NS1_11comp_targetILNS1_3genE9ELNS1_11target_archE1100ELNS1_3gpuE3ELNS1_3repE0EEENS1_30default_config_static_selectorELNS0_4arch9wavefront6targetE0EEEvT1_
	.p2align	8
	.type	_ZN7rocprim17ROCPRIM_400000_NS6detail17trampoline_kernelINS0_14default_configENS1_27scan_by_key_config_selectorIiiEEZZNS1_16scan_by_key_implILNS1_25lookback_scan_determinismE0ELb0ES3_N6thrust23THRUST_200600_302600_NS6detail15normal_iteratorINS9_10device_ptrIiEEEESE_SE_iNS9_10multipliesIiEENS9_8equal_toIiEEiEE10hipError_tPvRmT2_T3_T4_T5_mT6_T7_P12ihipStream_tbENKUlT_T0_E_clISt17integral_constantIbLb0EESZ_EEDaSU_SV_EUlSU_E_NS1_11comp_targetILNS1_3genE9ELNS1_11target_archE1100ELNS1_3gpuE3ELNS1_3repE0EEENS1_30default_config_static_selectorELNS0_4arch9wavefront6targetE0EEEvT1_,@function
_ZN7rocprim17ROCPRIM_400000_NS6detail17trampoline_kernelINS0_14default_configENS1_27scan_by_key_config_selectorIiiEEZZNS1_16scan_by_key_implILNS1_25lookback_scan_determinismE0ELb0ES3_N6thrust23THRUST_200600_302600_NS6detail15normal_iteratorINS9_10device_ptrIiEEEESE_SE_iNS9_10multipliesIiEENS9_8equal_toIiEEiEE10hipError_tPvRmT2_T3_T4_T5_mT6_T7_P12ihipStream_tbENKUlT_T0_E_clISt17integral_constantIbLb0EESZ_EEDaSU_SV_EUlSU_E_NS1_11comp_targetILNS1_3genE9ELNS1_11target_archE1100ELNS1_3gpuE3ELNS1_3repE0EEENS1_30default_config_static_selectorELNS0_4arch9wavefront6targetE0EEEvT1_: ; @_ZN7rocprim17ROCPRIM_400000_NS6detail17trampoline_kernelINS0_14default_configENS1_27scan_by_key_config_selectorIiiEEZZNS1_16scan_by_key_implILNS1_25lookback_scan_determinismE0ELb0ES3_N6thrust23THRUST_200600_302600_NS6detail15normal_iteratorINS9_10device_ptrIiEEEESE_SE_iNS9_10multipliesIiEENS9_8equal_toIiEEiEE10hipError_tPvRmT2_T3_T4_T5_mT6_T7_P12ihipStream_tbENKUlT_T0_E_clISt17integral_constantIbLb0EESZ_EEDaSU_SV_EUlSU_E_NS1_11comp_targetILNS1_3genE9ELNS1_11target_archE1100ELNS1_3gpuE3ELNS1_3repE0EEENS1_30default_config_static_selectorELNS0_4arch9wavefront6targetE0EEEvT1_
; %bb.0:
	.section	.rodata,"a",@progbits
	.p2align	6, 0x0
	.amdhsa_kernel _ZN7rocprim17ROCPRIM_400000_NS6detail17trampoline_kernelINS0_14default_configENS1_27scan_by_key_config_selectorIiiEEZZNS1_16scan_by_key_implILNS1_25lookback_scan_determinismE0ELb0ES3_N6thrust23THRUST_200600_302600_NS6detail15normal_iteratorINS9_10device_ptrIiEEEESE_SE_iNS9_10multipliesIiEENS9_8equal_toIiEEiEE10hipError_tPvRmT2_T3_T4_T5_mT6_T7_P12ihipStream_tbENKUlT_T0_E_clISt17integral_constantIbLb0EESZ_EEDaSU_SV_EUlSU_E_NS1_11comp_targetILNS1_3genE9ELNS1_11target_archE1100ELNS1_3gpuE3ELNS1_3repE0EEENS1_30default_config_static_selectorELNS0_4arch9wavefront6targetE0EEEvT1_
		.amdhsa_group_segment_fixed_size 0
		.amdhsa_private_segment_fixed_size 0
		.amdhsa_kernarg_size 112
		.amdhsa_user_sgpr_count 2
		.amdhsa_user_sgpr_dispatch_ptr 0
		.amdhsa_user_sgpr_queue_ptr 0
		.amdhsa_user_sgpr_kernarg_segment_ptr 1
		.amdhsa_user_sgpr_dispatch_id 0
		.amdhsa_user_sgpr_kernarg_preload_length 0
		.amdhsa_user_sgpr_kernarg_preload_offset 0
		.amdhsa_user_sgpr_private_segment_size 0
		.amdhsa_wavefront_size32 1
		.amdhsa_uses_dynamic_stack 0
		.amdhsa_enable_private_segment 0
		.amdhsa_system_sgpr_workgroup_id_x 1
		.amdhsa_system_sgpr_workgroup_id_y 0
		.amdhsa_system_sgpr_workgroup_id_z 0
		.amdhsa_system_sgpr_workgroup_info 0
		.amdhsa_system_vgpr_workitem_id 0
		.amdhsa_next_free_vgpr 1
		.amdhsa_next_free_sgpr 1
		.amdhsa_named_barrier_count 0
		.amdhsa_reserve_vcc 0
		.amdhsa_float_round_mode_32 0
		.amdhsa_float_round_mode_16_64 0
		.amdhsa_float_denorm_mode_32 3
		.amdhsa_float_denorm_mode_16_64 3
		.amdhsa_fp16_overflow 0
		.amdhsa_memory_ordered 1
		.amdhsa_forward_progress 1
		.amdhsa_inst_pref_size 0
		.amdhsa_round_robin_scheduling 0
		.amdhsa_exception_fp_ieee_invalid_op 0
		.amdhsa_exception_fp_denorm_src 0
		.amdhsa_exception_fp_ieee_div_zero 0
		.amdhsa_exception_fp_ieee_overflow 0
		.amdhsa_exception_fp_ieee_underflow 0
		.amdhsa_exception_fp_ieee_inexact 0
		.amdhsa_exception_int_div_zero 0
	.end_amdhsa_kernel
	.section	.text._ZN7rocprim17ROCPRIM_400000_NS6detail17trampoline_kernelINS0_14default_configENS1_27scan_by_key_config_selectorIiiEEZZNS1_16scan_by_key_implILNS1_25lookback_scan_determinismE0ELb0ES3_N6thrust23THRUST_200600_302600_NS6detail15normal_iteratorINS9_10device_ptrIiEEEESE_SE_iNS9_10multipliesIiEENS9_8equal_toIiEEiEE10hipError_tPvRmT2_T3_T4_T5_mT6_T7_P12ihipStream_tbENKUlT_T0_E_clISt17integral_constantIbLb0EESZ_EEDaSU_SV_EUlSU_E_NS1_11comp_targetILNS1_3genE9ELNS1_11target_archE1100ELNS1_3gpuE3ELNS1_3repE0EEENS1_30default_config_static_selectorELNS0_4arch9wavefront6targetE0EEEvT1_,"axG",@progbits,_ZN7rocprim17ROCPRIM_400000_NS6detail17trampoline_kernelINS0_14default_configENS1_27scan_by_key_config_selectorIiiEEZZNS1_16scan_by_key_implILNS1_25lookback_scan_determinismE0ELb0ES3_N6thrust23THRUST_200600_302600_NS6detail15normal_iteratorINS9_10device_ptrIiEEEESE_SE_iNS9_10multipliesIiEENS9_8equal_toIiEEiEE10hipError_tPvRmT2_T3_T4_T5_mT6_T7_P12ihipStream_tbENKUlT_T0_E_clISt17integral_constantIbLb0EESZ_EEDaSU_SV_EUlSU_E_NS1_11comp_targetILNS1_3genE9ELNS1_11target_archE1100ELNS1_3gpuE3ELNS1_3repE0EEENS1_30default_config_static_selectorELNS0_4arch9wavefront6targetE0EEEvT1_,comdat
.Lfunc_end171:
	.size	_ZN7rocprim17ROCPRIM_400000_NS6detail17trampoline_kernelINS0_14default_configENS1_27scan_by_key_config_selectorIiiEEZZNS1_16scan_by_key_implILNS1_25lookback_scan_determinismE0ELb0ES3_N6thrust23THRUST_200600_302600_NS6detail15normal_iteratorINS9_10device_ptrIiEEEESE_SE_iNS9_10multipliesIiEENS9_8equal_toIiEEiEE10hipError_tPvRmT2_T3_T4_T5_mT6_T7_P12ihipStream_tbENKUlT_T0_E_clISt17integral_constantIbLb0EESZ_EEDaSU_SV_EUlSU_E_NS1_11comp_targetILNS1_3genE9ELNS1_11target_archE1100ELNS1_3gpuE3ELNS1_3repE0EEENS1_30default_config_static_selectorELNS0_4arch9wavefront6targetE0EEEvT1_, .Lfunc_end171-_ZN7rocprim17ROCPRIM_400000_NS6detail17trampoline_kernelINS0_14default_configENS1_27scan_by_key_config_selectorIiiEEZZNS1_16scan_by_key_implILNS1_25lookback_scan_determinismE0ELb0ES3_N6thrust23THRUST_200600_302600_NS6detail15normal_iteratorINS9_10device_ptrIiEEEESE_SE_iNS9_10multipliesIiEENS9_8equal_toIiEEiEE10hipError_tPvRmT2_T3_T4_T5_mT6_T7_P12ihipStream_tbENKUlT_T0_E_clISt17integral_constantIbLb0EESZ_EEDaSU_SV_EUlSU_E_NS1_11comp_targetILNS1_3genE9ELNS1_11target_archE1100ELNS1_3gpuE3ELNS1_3repE0EEENS1_30default_config_static_selectorELNS0_4arch9wavefront6targetE0EEEvT1_
                                        ; -- End function
	.set _ZN7rocprim17ROCPRIM_400000_NS6detail17trampoline_kernelINS0_14default_configENS1_27scan_by_key_config_selectorIiiEEZZNS1_16scan_by_key_implILNS1_25lookback_scan_determinismE0ELb0ES3_N6thrust23THRUST_200600_302600_NS6detail15normal_iteratorINS9_10device_ptrIiEEEESE_SE_iNS9_10multipliesIiEENS9_8equal_toIiEEiEE10hipError_tPvRmT2_T3_T4_T5_mT6_T7_P12ihipStream_tbENKUlT_T0_E_clISt17integral_constantIbLb0EESZ_EEDaSU_SV_EUlSU_E_NS1_11comp_targetILNS1_3genE9ELNS1_11target_archE1100ELNS1_3gpuE3ELNS1_3repE0EEENS1_30default_config_static_selectorELNS0_4arch9wavefront6targetE0EEEvT1_.num_vgpr, 0
	.set _ZN7rocprim17ROCPRIM_400000_NS6detail17trampoline_kernelINS0_14default_configENS1_27scan_by_key_config_selectorIiiEEZZNS1_16scan_by_key_implILNS1_25lookback_scan_determinismE0ELb0ES3_N6thrust23THRUST_200600_302600_NS6detail15normal_iteratorINS9_10device_ptrIiEEEESE_SE_iNS9_10multipliesIiEENS9_8equal_toIiEEiEE10hipError_tPvRmT2_T3_T4_T5_mT6_T7_P12ihipStream_tbENKUlT_T0_E_clISt17integral_constantIbLb0EESZ_EEDaSU_SV_EUlSU_E_NS1_11comp_targetILNS1_3genE9ELNS1_11target_archE1100ELNS1_3gpuE3ELNS1_3repE0EEENS1_30default_config_static_selectorELNS0_4arch9wavefront6targetE0EEEvT1_.num_agpr, 0
	.set _ZN7rocprim17ROCPRIM_400000_NS6detail17trampoline_kernelINS0_14default_configENS1_27scan_by_key_config_selectorIiiEEZZNS1_16scan_by_key_implILNS1_25lookback_scan_determinismE0ELb0ES3_N6thrust23THRUST_200600_302600_NS6detail15normal_iteratorINS9_10device_ptrIiEEEESE_SE_iNS9_10multipliesIiEENS9_8equal_toIiEEiEE10hipError_tPvRmT2_T3_T4_T5_mT6_T7_P12ihipStream_tbENKUlT_T0_E_clISt17integral_constantIbLb0EESZ_EEDaSU_SV_EUlSU_E_NS1_11comp_targetILNS1_3genE9ELNS1_11target_archE1100ELNS1_3gpuE3ELNS1_3repE0EEENS1_30default_config_static_selectorELNS0_4arch9wavefront6targetE0EEEvT1_.numbered_sgpr, 0
	.set _ZN7rocprim17ROCPRIM_400000_NS6detail17trampoline_kernelINS0_14default_configENS1_27scan_by_key_config_selectorIiiEEZZNS1_16scan_by_key_implILNS1_25lookback_scan_determinismE0ELb0ES3_N6thrust23THRUST_200600_302600_NS6detail15normal_iteratorINS9_10device_ptrIiEEEESE_SE_iNS9_10multipliesIiEENS9_8equal_toIiEEiEE10hipError_tPvRmT2_T3_T4_T5_mT6_T7_P12ihipStream_tbENKUlT_T0_E_clISt17integral_constantIbLb0EESZ_EEDaSU_SV_EUlSU_E_NS1_11comp_targetILNS1_3genE9ELNS1_11target_archE1100ELNS1_3gpuE3ELNS1_3repE0EEENS1_30default_config_static_selectorELNS0_4arch9wavefront6targetE0EEEvT1_.num_named_barrier, 0
	.set _ZN7rocprim17ROCPRIM_400000_NS6detail17trampoline_kernelINS0_14default_configENS1_27scan_by_key_config_selectorIiiEEZZNS1_16scan_by_key_implILNS1_25lookback_scan_determinismE0ELb0ES3_N6thrust23THRUST_200600_302600_NS6detail15normal_iteratorINS9_10device_ptrIiEEEESE_SE_iNS9_10multipliesIiEENS9_8equal_toIiEEiEE10hipError_tPvRmT2_T3_T4_T5_mT6_T7_P12ihipStream_tbENKUlT_T0_E_clISt17integral_constantIbLb0EESZ_EEDaSU_SV_EUlSU_E_NS1_11comp_targetILNS1_3genE9ELNS1_11target_archE1100ELNS1_3gpuE3ELNS1_3repE0EEENS1_30default_config_static_selectorELNS0_4arch9wavefront6targetE0EEEvT1_.private_seg_size, 0
	.set _ZN7rocprim17ROCPRIM_400000_NS6detail17trampoline_kernelINS0_14default_configENS1_27scan_by_key_config_selectorIiiEEZZNS1_16scan_by_key_implILNS1_25lookback_scan_determinismE0ELb0ES3_N6thrust23THRUST_200600_302600_NS6detail15normal_iteratorINS9_10device_ptrIiEEEESE_SE_iNS9_10multipliesIiEENS9_8equal_toIiEEiEE10hipError_tPvRmT2_T3_T4_T5_mT6_T7_P12ihipStream_tbENKUlT_T0_E_clISt17integral_constantIbLb0EESZ_EEDaSU_SV_EUlSU_E_NS1_11comp_targetILNS1_3genE9ELNS1_11target_archE1100ELNS1_3gpuE3ELNS1_3repE0EEENS1_30default_config_static_selectorELNS0_4arch9wavefront6targetE0EEEvT1_.uses_vcc, 0
	.set _ZN7rocprim17ROCPRIM_400000_NS6detail17trampoline_kernelINS0_14default_configENS1_27scan_by_key_config_selectorIiiEEZZNS1_16scan_by_key_implILNS1_25lookback_scan_determinismE0ELb0ES3_N6thrust23THRUST_200600_302600_NS6detail15normal_iteratorINS9_10device_ptrIiEEEESE_SE_iNS9_10multipliesIiEENS9_8equal_toIiEEiEE10hipError_tPvRmT2_T3_T4_T5_mT6_T7_P12ihipStream_tbENKUlT_T0_E_clISt17integral_constantIbLb0EESZ_EEDaSU_SV_EUlSU_E_NS1_11comp_targetILNS1_3genE9ELNS1_11target_archE1100ELNS1_3gpuE3ELNS1_3repE0EEENS1_30default_config_static_selectorELNS0_4arch9wavefront6targetE0EEEvT1_.uses_flat_scratch, 0
	.set _ZN7rocprim17ROCPRIM_400000_NS6detail17trampoline_kernelINS0_14default_configENS1_27scan_by_key_config_selectorIiiEEZZNS1_16scan_by_key_implILNS1_25lookback_scan_determinismE0ELb0ES3_N6thrust23THRUST_200600_302600_NS6detail15normal_iteratorINS9_10device_ptrIiEEEESE_SE_iNS9_10multipliesIiEENS9_8equal_toIiEEiEE10hipError_tPvRmT2_T3_T4_T5_mT6_T7_P12ihipStream_tbENKUlT_T0_E_clISt17integral_constantIbLb0EESZ_EEDaSU_SV_EUlSU_E_NS1_11comp_targetILNS1_3genE9ELNS1_11target_archE1100ELNS1_3gpuE3ELNS1_3repE0EEENS1_30default_config_static_selectorELNS0_4arch9wavefront6targetE0EEEvT1_.has_dyn_sized_stack, 0
	.set _ZN7rocprim17ROCPRIM_400000_NS6detail17trampoline_kernelINS0_14default_configENS1_27scan_by_key_config_selectorIiiEEZZNS1_16scan_by_key_implILNS1_25lookback_scan_determinismE0ELb0ES3_N6thrust23THRUST_200600_302600_NS6detail15normal_iteratorINS9_10device_ptrIiEEEESE_SE_iNS9_10multipliesIiEENS9_8equal_toIiEEiEE10hipError_tPvRmT2_T3_T4_T5_mT6_T7_P12ihipStream_tbENKUlT_T0_E_clISt17integral_constantIbLb0EESZ_EEDaSU_SV_EUlSU_E_NS1_11comp_targetILNS1_3genE9ELNS1_11target_archE1100ELNS1_3gpuE3ELNS1_3repE0EEENS1_30default_config_static_selectorELNS0_4arch9wavefront6targetE0EEEvT1_.has_recursion, 0
	.set _ZN7rocprim17ROCPRIM_400000_NS6detail17trampoline_kernelINS0_14default_configENS1_27scan_by_key_config_selectorIiiEEZZNS1_16scan_by_key_implILNS1_25lookback_scan_determinismE0ELb0ES3_N6thrust23THRUST_200600_302600_NS6detail15normal_iteratorINS9_10device_ptrIiEEEESE_SE_iNS9_10multipliesIiEENS9_8equal_toIiEEiEE10hipError_tPvRmT2_T3_T4_T5_mT6_T7_P12ihipStream_tbENKUlT_T0_E_clISt17integral_constantIbLb0EESZ_EEDaSU_SV_EUlSU_E_NS1_11comp_targetILNS1_3genE9ELNS1_11target_archE1100ELNS1_3gpuE3ELNS1_3repE0EEENS1_30default_config_static_selectorELNS0_4arch9wavefront6targetE0EEEvT1_.has_indirect_call, 0
	.section	.AMDGPU.csdata,"",@progbits
; Kernel info:
; codeLenInByte = 0
; TotalNumSgprs: 0
; NumVgprs: 0
; ScratchSize: 0
; MemoryBound: 0
; FloatMode: 240
; IeeeMode: 1
; LDSByteSize: 0 bytes/workgroup (compile time only)
; SGPRBlocks: 0
; VGPRBlocks: 0
; NumSGPRsForWavesPerEU: 1
; NumVGPRsForWavesPerEU: 1
; NamedBarCnt: 0
; Occupancy: 16
; WaveLimiterHint : 0
; COMPUTE_PGM_RSRC2:SCRATCH_EN: 0
; COMPUTE_PGM_RSRC2:USER_SGPR: 2
; COMPUTE_PGM_RSRC2:TRAP_HANDLER: 0
; COMPUTE_PGM_RSRC2:TGID_X_EN: 1
; COMPUTE_PGM_RSRC2:TGID_Y_EN: 0
; COMPUTE_PGM_RSRC2:TGID_Z_EN: 0
; COMPUTE_PGM_RSRC2:TIDIG_COMP_CNT: 0
	.section	.text._ZN7rocprim17ROCPRIM_400000_NS6detail17trampoline_kernelINS0_14default_configENS1_27scan_by_key_config_selectorIiiEEZZNS1_16scan_by_key_implILNS1_25lookback_scan_determinismE0ELb0ES3_N6thrust23THRUST_200600_302600_NS6detail15normal_iteratorINS9_10device_ptrIiEEEESE_SE_iNS9_10multipliesIiEENS9_8equal_toIiEEiEE10hipError_tPvRmT2_T3_T4_T5_mT6_T7_P12ihipStream_tbENKUlT_T0_E_clISt17integral_constantIbLb0EESZ_EEDaSU_SV_EUlSU_E_NS1_11comp_targetILNS1_3genE8ELNS1_11target_archE1030ELNS1_3gpuE2ELNS1_3repE0EEENS1_30default_config_static_selectorELNS0_4arch9wavefront6targetE0EEEvT1_,"axG",@progbits,_ZN7rocprim17ROCPRIM_400000_NS6detail17trampoline_kernelINS0_14default_configENS1_27scan_by_key_config_selectorIiiEEZZNS1_16scan_by_key_implILNS1_25lookback_scan_determinismE0ELb0ES3_N6thrust23THRUST_200600_302600_NS6detail15normal_iteratorINS9_10device_ptrIiEEEESE_SE_iNS9_10multipliesIiEENS9_8equal_toIiEEiEE10hipError_tPvRmT2_T3_T4_T5_mT6_T7_P12ihipStream_tbENKUlT_T0_E_clISt17integral_constantIbLb0EESZ_EEDaSU_SV_EUlSU_E_NS1_11comp_targetILNS1_3genE8ELNS1_11target_archE1030ELNS1_3gpuE2ELNS1_3repE0EEENS1_30default_config_static_selectorELNS0_4arch9wavefront6targetE0EEEvT1_,comdat
	.protected	_ZN7rocprim17ROCPRIM_400000_NS6detail17trampoline_kernelINS0_14default_configENS1_27scan_by_key_config_selectorIiiEEZZNS1_16scan_by_key_implILNS1_25lookback_scan_determinismE0ELb0ES3_N6thrust23THRUST_200600_302600_NS6detail15normal_iteratorINS9_10device_ptrIiEEEESE_SE_iNS9_10multipliesIiEENS9_8equal_toIiEEiEE10hipError_tPvRmT2_T3_T4_T5_mT6_T7_P12ihipStream_tbENKUlT_T0_E_clISt17integral_constantIbLb0EESZ_EEDaSU_SV_EUlSU_E_NS1_11comp_targetILNS1_3genE8ELNS1_11target_archE1030ELNS1_3gpuE2ELNS1_3repE0EEENS1_30default_config_static_selectorELNS0_4arch9wavefront6targetE0EEEvT1_ ; -- Begin function _ZN7rocprim17ROCPRIM_400000_NS6detail17trampoline_kernelINS0_14default_configENS1_27scan_by_key_config_selectorIiiEEZZNS1_16scan_by_key_implILNS1_25lookback_scan_determinismE0ELb0ES3_N6thrust23THRUST_200600_302600_NS6detail15normal_iteratorINS9_10device_ptrIiEEEESE_SE_iNS9_10multipliesIiEENS9_8equal_toIiEEiEE10hipError_tPvRmT2_T3_T4_T5_mT6_T7_P12ihipStream_tbENKUlT_T0_E_clISt17integral_constantIbLb0EESZ_EEDaSU_SV_EUlSU_E_NS1_11comp_targetILNS1_3genE8ELNS1_11target_archE1030ELNS1_3gpuE2ELNS1_3repE0EEENS1_30default_config_static_selectorELNS0_4arch9wavefront6targetE0EEEvT1_
	.globl	_ZN7rocprim17ROCPRIM_400000_NS6detail17trampoline_kernelINS0_14default_configENS1_27scan_by_key_config_selectorIiiEEZZNS1_16scan_by_key_implILNS1_25lookback_scan_determinismE0ELb0ES3_N6thrust23THRUST_200600_302600_NS6detail15normal_iteratorINS9_10device_ptrIiEEEESE_SE_iNS9_10multipliesIiEENS9_8equal_toIiEEiEE10hipError_tPvRmT2_T3_T4_T5_mT6_T7_P12ihipStream_tbENKUlT_T0_E_clISt17integral_constantIbLb0EESZ_EEDaSU_SV_EUlSU_E_NS1_11comp_targetILNS1_3genE8ELNS1_11target_archE1030ELNS1_3gpuE2ELNS1_3repE0EEENS1_30default_config_static_selectorELNS0_4arch9wavefront6targetE0EEEvT1_
	.p2align	8
	.type	_ZN7rocprim17ROCPRIM_400000_NS6detail17trampoline_kernelINS0_14default_configENS1_27scan_by_key_config_selectorIiiEEZZNS1_16scan_by_key_implILNS1_25lookback_scan_determinismE0ELb0ES3_N6thrust23THRUST_200600_302600_NS6detail15normal_iteratorINS9_10device_ptrIiEEEESE_SE_iNS9_10multipliesIiEENS9_8equal_toIiEEiEE10hipError_tPvRmT2_T3_T4_T5_mT6_T7_P12ihipStream_tbENKUlT_T0_E_clISt17integral_constantIbLb0EESZ_EEDaSU_SV_EUlSU_E_NS1_11comp_targetILNS1_3genE8ELNS1_11target_archE1030ELNS1_3gpuE2ELNS1_3repE0EEENS1_30default_config_static_selectorELNS0_4arch9wavefront6targetE0EEEvT1_,@function
_ZN7rocprim17ROCPRIM_400000_NS6detail17trampoline_kernelINS0_14default_configENS1_27scan_by_key_config_selectorIiiEEZZNS1_16scan_by_key_implILNS1_25lookback_scan_determinismE0ELb0ES3_N6thrust23THRUST_200600_302600_NS6detail15normal_iteratorINS9_10device_ptrIiEEEESE_SE_iNS9_10multipliesIiEENS9_8equal_toIiEEiEE10hipError_tPvRmT2_T3_T4_T5_mT6_T7_P12ihipStream_tbENKUlT_T0_E_clISt17integral_constantIbLb0EESZ_EEDaSU_SV_EUlSU_E_NS1_11comp_targetILNS1_3genE8ELNS1_11target_archE1030ELNS1_3gpuE2ELNS1_3repE0EEENS1_30default_config_static_selectorELNS0_4arch9wavefront6targetE0EEEvT1_: ; @_ZN7rocprim17ROCPRIM_400000_NS6detail17trampoline_kernelINS0_14default_configENS1_27scan_by_key_config_selectorIiiEEZZNS1_16scan_by_key_implILNS1_25lookback_scan_determinismE0ELb0ES3_N6thrust23THRUST_200600_302600_NS6detail15normal_iteratorINS9_10device_ptrIiEEEESE_SE_iNS9_10multipliesIiEENS9_8equal_toIiEEiEE10hipError_tPvRmT2_T3_T4_T5_mT6_T7_P12ihipStream_tbENKUlT_T0_E_clISt17integral_constantIbLb0EESZ_EEDaSU_SV_EUlSU_E_NS1_11comp_targetILNS1_3genE8ELNS1_11target_archE1030ELNS1_3gpuE2ELNS1_3repE0EEENS1_30default_config_static_selectorELNS0_4arch9wavefront6targetE0EEEvT1_
; %bb.0:
	.section	.rodata,"a",@progbits
	.p2align	6, 0x0
	.amdhsa_kernel _ZN7rocprim17ROCPRIM_400000_NS6detail17trampoline_kernelINS0_14default_configENS1_27scan_by_key_config_selectorIiiEEZZNS1_16scan_by_key_implILNS1_25lookback_scan_determinismE0ELb0ES3_N6thrust23THRUST_200600_302600_NS6detail15normal_iteratorINS9_10device_ptrIiEEEESE_SE_iNS9_10multipliesIiEENS9_8equal_toIiEEiEE10hipError_tPvRmT2_T3_T4_T5_mT6_T7_P12ihipStream_tbENKUlT_T0_E_clISt17integral_constantIbLb0EESZ_EEDaSU_SV_EUlSU_E_NS1_11comp_targetILNS1_3genE8ELNS1_11target_archE1030ELNS1_3gpuE2ELNS1_3repE0EEENS1_30default_config_static_selectorELNS0_4arch9wavefront6targetE0EEEvT1_
		.amdhsa_group_segment_fixed_size 0
		.amdhsa_private_segment_fixed_size 0
		.amdhsa_kernarg_size 112
		.amdhsa_user_sgpr_count 2
		.amdhsa_user_sgpr_dispatch_ptr 0
		.amdhsa_user_sgpr_queue_ptr 0
		.amdhsa_user_sgpr_kernarg_segment_ptr 1
		.amdhsa_user_sgpr_dispatch_id 0
		.amdhsa_user_sgpr_kernarg_preload_length 0
		.amdhsa_user_sgpr_kernarg_preload_offset 0
		.amdhsa_user_sgpr_private_segment_size 0
		.amdhsa_wavefront_size32 1
		.amdhsa_uses_dynamic_stack 0
		.amdhsa_enable_private_segment 0
		.amdhsa_system_sgpr_workgroup_id_x 1
		.amdhsa_system_sgpr_workgroup_id_y 0
		.amdhsa_system_sgpr_workgroup_id_z 0
		.amdhsa_system_sgpr_workgroup_info 0
		.amdhsa_system_vgpr_workitem_id 0
		.amdhsa_next_free_vgpr 1
		.amdhsa_next_free_sgpr 1
		.amdhsa_named_barrier_count 0
		.amdhsa_reserve_vcc 0
		.amdhsa_float_round_mode_32 0
		.amdhsa_float_round_mode_16_64 0
		.amdhsa_float_denorm_mode_32 3
		.amdhsa_float_denorm_mode_16_64 3
		.amdhsa_fp16_overflow 0
		.amdhsa_memory_ordered 1
		.amdhsa_forward_progress 1
		.amdhsa_inst_pref_size 0
		.amdhsa_round_robin_scheduling 0
		.amdhsa_exception_fp_ieee_invalid_op 0
		.amdhsa_exception_fp_denorm_src 0
		.amdhsa_exception_fp_ieee_div_zero 0
		.amdhsa_exception_fp_ieee_overflow 0
		.amdhsa_exception_fp_ieee_underflow 0
		.amdhsa_exception_fp_ieee_inexact 0
		.amdhsa_exception_int_div_zero 0
	.end_amdhsa_kernel
	.section	.text._ZN7rocprim17ROCPRIM_400000_NS6detail17trampoline_kernelINS0_14default_configENS1_27scan_by_key_config_selectorIiiEEZZNS1_16scan_by_key_implILNS1_25lookback_scan_determinismE0ELb0ES3_N6thrust23THRUST_200600_302600_NS6detail15normal_iteratorINS9_10device_ptrIiEEEESE_SE_iNS9_10multipliesIiEENS9_8equal_toIiEEiEE10hipError_tPvRmT2_T3_T4_T5_mT6_T7_P12ihipStream_tbENKUlT_T0_E_clISt17integral_constantIbLb0EESZ_EEDaSU_SV_EUlSU_E_NS1_11comp_targetILNS1_3genE8ELNS1_11target_archE1030ELNS1_3gpuE2ELNS1_3repE0EEENS1_30default_config_static_selectorELNS0_4arch9wavefront6targetE0EEEvT1_,"axG",@progbits,_ZN7rocprim17ROCPRIM_400000_NS6detail17trampoline_kernelINS0_14default_configENS1_27scan_by_key_config_selectorIiiEEZZNS1_16scan_by_key_implILNS1_25lookback_scan_determinismE0ELb0ES3_N6thrust23THRUST_200600_302600_NS6detail15normal_iteratorINS9_10device_ptrIiEEEESE_SE_iNS9_10multipliesIiEENS9_8equal_toIiEEiEE10hipError_tPvRmT2_T3_T4_T5_mT6_T7_P12ihipStream_tbENKUlT_T0_E_clISt17integral_constantIbLb0EESZ_EEDaSU_SV_EUlSU_E_NS1_11comp_targetILNS1_3genE8ELNS1_11target_archE1030ELNS1_3gpuE2ELNS1_3repE0EEENS1_30default_config_static_selectorELNS0_4arch9wavefront6targetE0EEEvT1_,comdat
.Lfunc_end172:
	.size	_ZN7rocprim17ROCPRIM_400000_NS6detail17trampoline_kernelINS0_14default_configENS1_27scan_by_key_config_selectorIiiEEZZNS1_16scan_by_key_implILNS1_25lookback_scan_determinismE0ELb0ES3_N6thrust23THRUST_200600_302600_NS6detail15normal_iteratorINS9_10device_ptrIiEEEESE_SE_iNS9_10multipliesIiEENS9_8equal_toIiEEiEE10hipError_tPvRmT2_T3_T4_T5_mT6_T7_P12ihipStream_tbENKUlT_T0_E_clISt17integral_constantIbLb0EESZ_EEDaSU_SV_EUlSU_E_NS1_11comp_targetILNS1_3genE8ELNS1_11target_archE1030ELNS1_3gpuE2ELNS1_3repE0EEENS1_30default_config_static_selectorELNS0_4arch9wavefront6targetE0EEEvT1_, .Lfunc_end172-_ZN7rocprim17ROCPRIM_400000_NS6detail17trampoline_kernelINS0_14default_configENS1_27scan_by_key_config_selectorIiiEEZZNS1_16scan_by_key_implILNS1_25lookback_scan_determinismE0ELb0ES3_N6thrust23THRUST_200600_302600_NS6detail15normal_iteratorINS9_10device_ptrIiEEEESE_SE_iNS9_10multipliesIiEENS9_8equal_toIiEEiEE10hipError_tPvRmT2_T3_T4_T5_mT6_T7_P12ihipStream_tbENKUlT_T0_E_clISt17integral_constantIbLb0EESZ_EEDaSU_SV_EUlSU_E_NS1_11comp_targetILNS1_3genE8ELNS1_11target_archE1030ELNS1_3gpuE2ELNS1_3repE0EEENS1_30default_config_static_selectorELNS0_4arch9wavefront6targetE0EEEvT1_
                                        ; -- End function
	.set _ZN7rocprim17ROCPRIM_400000_NS6detail17trampoline_kernelINS0_14default_configENS1_27scan_by_key_config_selectorIiiEEZZNS1_16scan_by_key_implILNS1_25lookback_scan_determinismE0ELb0ES3_N6thrust23THRUST_200600_302600_NS6detail15normal_iteratorINS9_10device_ptrIiEEEESE_SE_iNS9_10multipliesIiEENS9_8equal_toIiEEiEE10hipError_tPvRmT2_T3_T4_T5_mT6_T7_P12ihipStream_tbENKUlT_T0_E_clISt17integral_constantIbLb0EESZ_EEDaSU_SV_EUlSU_E_NS1_11comp_targetILNS1_3genE8ELNS1_11target_archE1030ELNS1_3gpuE2ELNS1_3repE0EEENS1_30default_config_static_selectorELNS0_4arch9wavefront6targetE0EEEvT1_.num_vgpr, 0
	.set _ZN7rocprim17ROCPRIM_400000_NS6detail17trampoline_kernelINS0_14default_configENS1_27scan_by_key_config_selectorIiiEEZZNS1_16scan_by_key_implILNS1_25lookback_scan_determinismE0ELb0ES3_N6thrust23THRUST_200600_302600_NS6detail15normal_iteratorINS9_10device_ptrIiEEEESE_SE_iNS9_10multipliesIiEENS9_8equal_toIiEEiEE10hipError_tPvRmT2_T3_T4_T5_mT6_T7_P12ihipStream_tbENKUlT_T0_E_clISt17integral_constantIbLb0EESZ_EEDaSU_SV_EUlSU_E_NS1_11comp_targetILNS1_3genE8ELNS1_11target_archE1030ELNS1_3gpuE2ELNS1_3repE0EEENS1_30default_config_static_selectorELNS0_4arch9wavefront6targetE0EEEvT1_.num_agpr, 0
	.set _ZN7rocprim17ROCPRIM_400000_NS6detail17trampoline_kernelINS0_14default_configENS1_27scan_by_key_config_selectorIiiEEZZNS1_16scan_by_key_implILNS1_25lookback_scan_determinismE0ELb0ES3_N6thrust23THRUST_200600_302600_NS6detail15normal_iteratorINS9_10device_ptrIiEEEESE_SE_iNS9_10multipliesIiEENS9_8equal_toIiEEiEE10hipError_tPvRmT2_T3_T4_T5_mT6_T7_P12ihipStream_tbENKUlT_T0_E_clISt17integral_constantIbLb0EESZ_EEDaSU_SV_EUlSU_E_NS1_11comp_targetILNS1_3genE8ELNS1_11target_archE1030ELNS1_3gpuE2ELNS1_3repE0EEENS1_30default_config_static_selectorELNS0_4arch9wavefront6targetE0EEEvT1_.numbered_sgpr, 0
	.set _ZN7rocprim17ROCPRIM_400000_NS6detail17trampoline_kernelINS0_14default_configENS1_27scan_by_key_config_selectorIiiEEZZNS1_16scan_by_key_implILNS1_25lookback_scan_determinismE0ELb0ES3_N6thrust23THRUST_200600_302600_NS6detail15normal_iteratorINS9_10device_ptrIiEEEESE_SE_iNS9_10multipliesIiEENS9_8equal_toIiEEiEE10hipError_tPvRmT2_T3_T4_T5_mT6_T7_P12ihipStream_tbENKUlT_T0_E_clISt17integral_constantIbLb0EESZ_EEDaSU_SV_EUlSU_E_NS1_11comp_targetILNS1_3genE8ELNS1_11target_archE1030ELNS1_3gpuE2ELNS1_3repE0EEENS1_30default_config_static_selectorELNS0_4arch9wavefront6targetE0EEEvT1_.num_named_barrier, 0
	.set _ZN7rocprim17ROCPRIM_400000_NS6detail17trampoline_kernelINS0_14default_configENS1_27scan_by_key_config_selectorIiiEEZZNS1_16scan_by_key_implILNS1_25lookback_scan_determinismE0ELb0ES3_N6thrust23THRUST_200600_302600_NS6detail15normal_iteratorINS9_10device_ptrIiEEEESE_SE_iNS9_10multipliesIiEENS9_8equal_toIiEEiEE10hipError_tPvRmT2_T3_T4_T5_mT6_T7_P12ihipStream_tbENKUlT_T0_E_clISt17integral_constantIbLb0EESZ_EEDaSU_SV_EUlSU_E_NS1_11comp_targetILNS1_3genE8ELNS1_11target_archE1030ELNS1_3gpuE2ELNS1_3repE0EEENS1_30default_config_static_selectorELNS0_4arch9wavefront6targetE0EEEvT1_.private_seg_size, 0
	.set _ZN7rocprim17ROCPRIM_400000_NS6detail17trampoline_kernelINS0_14default_configENS1_27scan_by_key_config_selectorIiiEEZZNS1_16scan_by_key_implILNS1_25lookback_scan_determinismE0ELb0ES3_N6thrust23THRUST_200600_302600_NS6detail15normal_iteratorINS9_10device_ptrIiEEEESE_SE_iNS9_10multipliesIiEENS9_8equal_toIiEEiEE10hipError_tPvRmT2_T3_T4_T5_mT6_T7_P12ihipStream_tbENKUlT_T0_E_clISt17integral_constantIbLb0EESZ_EEDaSU_SV_EUlSU_E_NS1_11comp_targetILNS1_3genE8ELNS1_11target_archE1030ELNS1_3gpuE2ELNS1_3repE0EEENS1_30default_config_static_selectorELNS0_4arch9wavefront6targetE0EEEvT1_.uses_vcc, 0
	.set _ZN7rocprim17ROCPRIM_400000_NS6detail17trampoline_kernelINS0_14default_configENS1_27scan_by_key_config_selectorIiiEEZZNS1_16scan_by_key_implILNS1_25lookback_scan_determinismE0ELb0ES3_N6thrust23THRUST_200600_302600_NS6detail15normal_iteratorINS9_10device_ptrIiEEEESE_SE_iNS9_10multipliesIiEENS9_8equal_toIiEEiEE10hipError_tPvRmT2_T3_T4_T5_mT6_T7_P12ihipStream_tbENKUlT_T0_E_clISt17integral_constantIbLb0EESZ_EEDaSU_SV_EUlSU_E_NS1_11comp_targetILNS1_3genE8ELNS1_11target_archE1030ELNS1_3gpuE2ELNS1_3repE0EEENS1_30default_config_static_selectorELNS0_4arch9wavefront6targetE0EEEvT1_.uses_flat_scratch, 0
	.set _ZN7rocprim17ROCPRIM_400000_NS6detail17trampoline_kernelINS0_14default_configENS1_27scan_by_key_config_selectorIiiEEZZNS1_16scan_by_key_implILNS1_25lookback_scan_determinismE0ELb0ES3_N6thrust23THRUST_200600_302600_NS6detail15normal_iteratorINS9_10device_ptrIiEEEESE_SE_iNS9_10multipliesIiEENS9_8equal_toIiEEiEE10hipError_tPvRmT2_T3_T4_T5_mT6_T7_P12ihipStream_tbENKUlT_T0_E_clISt17integral_constantIbLb0EESZ_EEDaSU_SV_EUlSU_E_NS1_11comp_targetILNS1_3genE8ELNS1_11target_archE1030ELNS1_3gpuE2ELNS1_3repE0EEENS1_30default_config_static_selectorELNS0_4arch9wavefront6targetE0EEEvT1_.has_dyn_sized_stack, 0
	.set _ZN7rocprim17ROCPRIM_400000_NS6detail17trampoline_kernelINS0_14default_configENS1_27scan_by_key_config_selectorIiiEEZZNS1_16scan_by_key_implILNS1_25lookback_scan_determinismE0ELb0ES3_N6thrust23THRUST_200600_302600_NS6detail15normal_iteratorINS9_10device_ptrIiEEEESE_SE_iNS9_10multipliesIiEENS9_8equal_toIiEEiEE10hipError_tPvRmT2_T3_T4_T5_mT6_T7_P12ihipStream_tbENKUlT_T0_E_clISt17integral_constantIbLb0EESZ_EEDaSU_SV_EUlSU_E_NS1_11comp_targetILNS1_3genE8ELNS1_11target_archE1030ELNS1_3gpuE2ELNS1_3repE0EEENS1_30default_config_static_selectorELNS0_4arch9wavefront6targetE0EEEvT1_.has_recursion, 0
	.set _ZN7rocprim17ROCPRIM_400000_NS6detail17trampoline_kernelINS0_14default_configENS1_27scan_by_key_config_selectorIiiEEZZNS1_16scan_by_key_implILNS1_25lookback_scan_determinismE0ELb0ES3_N6thrust23THRUST_200600_302600_NS6detail15normal_iteratorINS9_10device_ptrIiEEEESE_SE_iNS9_10multipliesIiEENS9_8equal_toIiEEiEE10hipError_tPvRmT2_T3_T4_T5_mT6_T7_P12ihipStream_tbENKUlT_T0_E_clISt17integral_constantIbLb0EESZ_EEDaSU_SV_EUlSU_E_NS1_11comp_targetILNS1_3genE8ELNS1_11target_archE1030ELNS1_3gpuE2ELNS1_3repE0EEENS1_30default_config_static_selectorELNS0_4arch9wavefront6targetE0EEEvT1_.has_indirect_call, 0
	.section	.AMDGPU.csdata,"",@progbits
; Kernel info:
; codeLenInByte = 0
; TotalNumSgprs: 0
; NumVgprs: 0
; ScratchSize: 0
; MemoryBound: 0
; FloatMode: 240
; IeeeMode: 1
; LDSByteSize: 0 bytes/workgroup (compile time only)
; SGPRBlocks: 0
; VGPRBlocks: 0
; NumSGPRsForWavesPerEU: 1
; NumVGPRsForWavesPerEU: 1
; NamedBarCnt: 0
; Occupancy: 16
; WaveLimiterHint : 0
; COMPUTE_PGM_RSRC2:SCRATCH_EN: 0
; COMPUTE_PGM_RSRC2:USER_SGPR: 2
; COMPUTE_PGM_RSRC2:TRAP_HANDLER: 0
; COMPUTE_PGM_RSRC2:TGID_X_EN: 1
; COMPUTE_PGM_RSRC2:TGID_Y_EN: 0
; COMPUTE_PGM_RSRC2:TGID_Z_EN: 0
; COMPUTE_PGM_RSRC2:TIDIG_COMP_CNT: 0
	.section	.text._ZN7rocprim17ROCPRIM_400000_NS6detail17trampoline_kernelINS0_14default_configENS1_27scan_by_key_config_selectorIiiEEZZNS1_16scan_by_key_implILNS1_25lookback_scan_determinismE0ELb0ES3_N6thrust23THRUST_200600_302600_NS6detail15normal_iteratorINS9_10device_ptrIiEEEESE_SE_iNS9_10multipliesIiEENS9_8equal_toIiEEiEE10hipError_tPvRmT2_T3_T4_T5_mT6_T7_P12ihipStream_tbENKUlT_T0_E_clISt17integral_constantIbLb1EESZ_EEDaSU_SV_EUlSU_E_NS1_11comp_targetILNS1_3genE0ELNS1_11target_archE4294967295ELNS1_3gpuE0ELNS1_3repE0EEENS1_30default_config_static_selectorELNS0_4arch9wavefront6targetE0EEEvT1_,"axG",@progbits,_ZN7rocprim17ROCPRIM_400000_NS6detail17trampoline_kernelINS0_14default_configENS1_27scan_by_key_config_selectorIiiEEZZNS1_16scan_by_key_implILNS1_25lookback_scan_determinismE0ELb0ES3_N6thrust23THRUST_200600_302600_NS6detail15normal_iteratorINS9_10device_ptrIiEEEESE_SE_iNS9_10multipliesIiEENS9_8equal_toIiEEiEE10hipError_tPvRmT2_T3_T4_T5_mT6_T7_P12ihipStream_tbENKUlT_T0_E_clISt17integral_constantIbLb1EESZ_EEDaSU_SV_EUlSU_E_NS1_11comp_targetILNS1_3genE0ELNS1_11target_archE4294967295ELNS1_3gpuE0ELNS1_3repE0EEENS1_30default_config_static_selectorELNS0_4arch9wavefront6targetE0EEEvT1_,comdat
	.protected	_ZN7rocprim17ROCPRIM_400000_NS6detail17trampoline_kernelINS0_14default_configENS1_27scan_by_key_config_selectorIiiEEZZNS1_16scan_by_key_implILNS1_25lookback_scan_determinismE0ELb0ES3_N6thrust23THRUST_200600_302600_NS6detail15normal_iteratorINS9_10device_ptrIiEEEESE_SE_iNS9_10multipliesIiEENS9_8equal_toIiEEiEE10hipError_tPvRmT2_T3_T4_T5_mT6_T7_P12ihipStream_tbENKUlT_T0_E_clISt17integral_constantIbLb1EESZ_EEDaSU_SV_EUlSU_E_NS1_11comp_targetILNS1_3genE0ELNS1_11target_archE4294967295ELNS1_3gpuE0ELNS1_3repE0EEENS1_30default_config_static_selectorELNS0_4arch9wavefront6targetE0EEEvT1_ ; -- Begin function _ZN7rocprim17ROCPRIM_400000_NS6detail17trampoline_kernelINS0_14default_configENS1_27scan_by_key_config_selectorIiiEEZZNS1_16scan_by_key_implILNS1_25lookback_scan_determinismE0ELb0ES3_N6thrust23THRUST_200600_302600_NS6detail15normal_iteratorINS9_10device_ptrIiEEEESE_SE_iNS9_10multipliesIiEENS9_8equal_toIiEEiEE10hipError_tPvRmT2_T3_T4_T5_mT6_T7_P12ihipStream_tbENKUlT_T0_E_clISt17integral_constantIbLb1EESZ_EEDaSU_SV_EUlSU_E_NS1_11comp_targetILNS1_3genE0ELNS1_11target_archE4294967295ELNS1_3gpuE0ELNS1_3repE0EEENS1_30default_config_static_selectorELNS0_4arch9wavefront6targetE0EEEvT1_
	.globl	_ZN7rocprim17ROCPRIM_400000_NS6detail17trampoline_kernelINS0_14default_configENS1_27scan_by_key_config_selectorIiiEEZZNS1_16scan_by_key_implILNS1_25lookback_scan_determinismE0ELb0ES3_N6thrust23THRUST_200600_302600_NS6detail15normal_iteratorINS9_10device_ptrIiEEEESE_SE_iNS9_10multipliesIiEENS9_8equal_toIiEEiEE10hipError_tPvRmT2_T3_T4_T5_mT6_T7_P12ihipStream_tbENKUlT_T0_E_clISt17integral_constantIbLb1EESZ_EEDaSU_SV_EUlSU_E_NS1_11comp_targetILNS1_3genE0ELNS1_11target_archE4294967295ELNS1_3gpuE0ELNS1_3repE0EEENS1_30default_config_static_selectorELNS0_4arch9wavefront6targetE0EEEvT1_
	.p2align	8
	.type	_ZN7rocprim17ROCPRIM_400000_NS6detail17trampoline_kernelINS0_14default_configENS1_27scan_by_key_config_selectorIiiEEZZNS1_16scan_by_key_implILNS1_25lookback_scan_determinismE0ELb0ES3_N6thrust23THRUST_200600_302600_NS6detail15normal_iteratorINS9_10device_ptrIiEEEESE_SE_iNS9_10multipliesIiEENS9_8equal_toIiEEiEE10hipError_tPvRmT2_T3_T4_T5_mT6_T7_P12ihipStream_tbENKUlT_T0_E_clISt17integral_constantIbLb1EESZ_EEDaSU_SV_EUlSU_E_NS1_11comp_targetILNS1_3genE0ELNS1_11target_archE4294967295ELNS1_3gpuE0ELNS1_3repE0EEENS1_30default_config_static_selectorELNS0_4arch9wavefront6targetE0EEEvT1_,@function
_ZN7rocprim17ROCPRIM_400000_NS6detail17trampoline_kernelINS0_14default_configENS1_27scan_by_key_config_selectorIiiEEZZNS1_16scan_by_key_implILNS1_25lookback_scan_determinismE0ELb0ES3_N6thrust23THRUST_200600_302600_NS6detail15normal_iteratorINS9_10device_ptrIiEEEESE_SE_iNS9_10multipliesIiEENS9_8equal_toIiEEiEE10hipError_tPvRmT2_T3_T4_T5_mT6_T7_P12ihipStream_tbENKUlT_T0_E_clISt17integral_constantIbLb1EESZ_EEDaSU_SV_EUlSU_E_NS1_11comp_targetILNS1_3genE0ELNS1_11target_archE4294967295ELNS1_3gpuE0ELNS1_3repE0EEENS1_30default_config_static_selectorELNS0_4arch9wavefront6targetE0EEEvT1_: ; @_ZN7rocprim17ROCPRIM_400000_NS6detail17trampoline_kernelINS0_14default_configENS1_27scan_by_key_config_selectorIiiEEZZNS1_16scan_by_key_implILNS1_25lookback_scan_determinismE0ELb0ES3_N6thrust23THRUST_200600_302600_NS6detail15normal_iteratorINS9_10device_ptrIiEEEESE_SE_iNS9_10multipliesIiEENS9_8equal_toIiEEiEE10hipError_tPvRmT2_T3_T4_T5_mT6_T7_P12ihipStream_tbENKUlT_T0_E_clISt17integral_constantIbLb1EESZ_EEDaSU_SV_EUlSU_E_NS1_11comp_targetILNS1_3genE0ELNS1_11target_archE4294967295ELNS1_3gpuE0ELNS1_3repE0EEENS1_30default_config_static_selectorELNS0_4arch9wavefront6targetE0EEEvT1_
; %bb.0:
	s_endpgm
	.section	.rodata,"a",@progbits
	.p2align	6, 0x0
	.amdhsa_kernel _ZN7rocprim17ROCPRIM_400000_NS6detail17trampoline_kernelINS0_14default_configENS1_27scan_by_key_config_selectorIiiEEZZNS1_16scan_by_key_implILNS1_25lookback_scan_determinismE0ELb0ES3_N6thrust23THRUST_200600_302600_NS6detail15normal_iteratorINS9_10device_ptrIiEEEESE_SE_iNS9_10multipliesIiEENS9_8equal_toIiEEiEE10hipError_tPvRmT2_T3_T4_T5_mT6_T7_P12ihipStream_tbENKUlT_T0_E_clISt17integral_constantIbLb1EESZ_EEDaSU_SV_EUlSU_E_NS1_11comp_targetILNS1_3genE0ELNS1_11target_archE4294967295ELNS1_3gpuE0ELNS1_3repE0EEENS1_30default_config_static_selectorELNS0_4arch9wavefront6targetE0EEEvT1_
		.amdhsa_group_segment_fixed_size 0
		.amdhsa_private_segment_fixed_size 0
		.amdhsa_kernarg_size 112
		.amdhsa_user_sgpr_count 2
		.amdhsa_user_sgpr_dispatch_ptr 0
		.amdhsa_user_sgpr_queue_ptr 0
		.amdhsa_user_sgpr_kernarg_segment_ptr 1
		.amdhsa_user_sgpr_dispatch_id 0
		.amdhsa_user_sgpr_kernarg_preload_length 0
		.amdhsa_user_sgpr_kernarg_preload_offset 0
		.amdhsa_user_sgpr_private_segment_size 0
		.amdhsa_wavefront_size32 1
		.amdhsa_uses_dynamic_stack 0
		.amdhsa_enable_private_segment 0
		.amdhsa_system_sgpr_workgroup_id_x 1
		.amdhsa_system_sgpr_workgroup_id_y 0
		.amdhsa_system_sgpr_workgroup_id_z 0
		.amdhsa_system_sgpr_workgroup_info 0
		.amdhsa_system_vgpr_workitem_id 0
		.amdhsa_next_free_vgpr 1
		.amdhsa_next_free_sgpr 1
		.amdhsa_named_barrier_count 0
		.amdhsa_reserve_vcc 0
		.amdhsa_float_round_mode_32 0
		.amdhsa_float_round_mode_16_64 0
		.amdhsa_float_denorm_mode_32 3
		.amdhsa_float_denorm_mode_16_64 3
		.amdhsa_fp16_overflow 0
		.amdhsa_memory_ordered 1
		.amdhsa_forward_progress 1
		.amdhsa_inst_pref_size 1
		.amdhsa_round_robin_scheduling 0
		.amdhsa_exception_fp_ieee_invalid_op 0
		.amdhsa_exception_fp_denorm_src 0
		.amdhsa_exception_fp_ieee_div_zero 0
		.amdhsa_exception_fp_ieee_overflow 0
		.amdhsa_exception_fp_ieee_underflow 0
		.amdhsa_exception_fp_ieee_inexact 0
		.amdhsa_exception_int_div_zero 0
	.end_amdhsa_kernel
	.section	.text._ZN7rocprim17ROCPRIM_400000_NS6detail17trampoline_kernelINS0_14default_configENS1_27scan_by_key_config_selectorIiiEEZZNS1_16scan_by_key_implILNS1_25lookback_scan_determinismE0ELb0ES3_N6thrust23THRUST_200600_302600_NS6detail15normal_iteratorINS9_10device_ptrIiEEEESE_SE_iNS9_10multipliesIiEENS9_8equal_toIiEEiEE10hipError_tPvRmT2_T3_T4_T5_mT6_T7_P12ihipStream_tbENKUlT_T0_E_clISt17integral_constantIbLb1EESZ_EEDaSU_SV_EUlSU_E_NS1_11comp_targetILNS1_3genE0ELNS1_11target_archE4294967295ELNS1_3gpuE0ELNS1_3repE0EEENS1_30default_config_static_selectorELNS0_4arch9wavefront6targetE0EEEvT1_,"axG",@progbits,_ZN7rocprim17ROCPRIM_400000_NS6detail17trampoline_kernelINS0_14default_configENS1_27scan_by_key_config_selectorIiiEEZZNS1_16scan_by_key_implILNS1_25lookback_scan_determinismE0ELb0ES3_N6thrust23THRUST_200600_302600_NS6detail15normal_iteratorINS9_10device_ptrIiEEEESE_SE_iNS9_10multipliesIiEENS9_8equal_toIiEEiEE10hipError_tPvRmT2_T3_T4_T5_mT6_T7_P12ihipStream_tbENKUlT_T0_E_clISt17integral_constantIbLb1EESZ_EEDaSU_SV_EUlSU_E_NS1_11comp_targetILNS1_3genE0ELNS1_11target_archE4294967295ELNS1_3gpuE0ELNS1_3repE0EEENS1_30default_config_static_selectorELNS0_4arch9wavefront6targetE0EEEvT1_,comdat
.Lfunc_end173:
	.size	_ZN7rocprim17ROCPRIM_400000_NS6detail17trampoline_kernelINS0_14default_configENS1_27scan_by_key_config_selectorIiiEEZZNS1_16scan_by_key_implILNS1_25lookback_scan_determinismE0ELb0ES3_N6thrust23THRUST_200600_302600_NS6detail15normal_iteratorINS9_10device_ptrIiEEEESE_SE_iNS9_10multipliesIiEENS9_8equal_toIiEEiEE10hipError_tPvRmT2_T3_T4_T5_mT6_T7_P12ihipStream_tbENKUlT_T0_E_clISt17integral_constantIbLb1EESZ_EEDaSU_SV_EUlSU_E_NS1_11comp_targetILNS1_3genE0ELNS1_11target_archE4294967295ELNS1_3gpuE0ELNS1_3repE0EEENS1_30default_config_static_selectorELNS0_4arch9wavefront6targetE0EEEvT1_, .Lfunc_end173-_ZN7rocprim17ROCPRIM_400000_NS6detail17trampoline_kernelINS0_14default_configENS1_27scan_by_key_config_selectorIiiEEZZNS1_16scan_by_key_implILNS1_25lookback_scan_determinismE0ELb0ES3_N6thrust23THRUST_200600_302600_NS6detail15normal_iteratorINS9_10device_ptrIiEEEESE_SE_iNS9_10multipliesIiEENS9_8equal_toIiEEiEE10hipError_tPvRmT2_T3_T4_T5_mT6_T7_P12ihipStream_tbENKUlT_T0_E_clISt17integral_constantIbLb1EESZ_EEDaSU_SV_EUlSU_E_NS1_11comp_targetILNS1_3genE0ELNS1_11target_archE4294967295ELNS1_3gpuE0ELNS1_3repE0EEENS1_30default_config_static_selectorELNS0_4arch9wavefront6targetE0EEEvT1_
                                        ; -- End function
	.set _ZN7rocprim17ROCPRIM_400000_NS6detail17trampoline_kernelINS0_14default_configENS1_27scan_by_key_config_selectorIiiEEZZNS1_16scan_by_key_implILNS1_25lookback_scan_determinismE0ELb0ES3_N6thrust23THRUST_200600_302600_NS6detail15normal_iteratorINS9_10device_ptrIiEEEESE_SE_iNS9_10multipliesIiEENS9_8equal_toIiEEiEE10hipError_tPvRmT2_T3_T4_T5_mT6_T7_P12ihipStream_tbENKUlT_T0_E_clISt17integral_constantIbLb1EESZ_EEDaSU_SV_EUlSU_E_NS1_11comp_targetILNS1_3genE0ELNS1_11target_archE4294967295ELNS1_3gpuE0ELNS1_3repE0EEENS1_30default_config_static_selectorELNS0_4arch9wavefront6targetE0EEEvT1_.num_vgpr, 0
	.set _ZN7rocprim17ROCPRIM_400000_NS6detail17trampoline_kernelINS0_14default_configENS1_27scan_by_key_config_selectorIiiEEZZNS1_16scan_by_key_implILNS1_25lookback_scan_determinismE0ELb0ES3_N6thrust23THRUST_200600_302600_NS6detail15normal_iteratorINS9_10device_ptrIiEEEESE_SE_iNS9_10multipliesIiEENS9_8equal_toIiEEiEE10hipError_tPvRmT2_T3_T4_T5_mT6_T7_P12ihipStream_tbENKUlT_T0_E_clISt17integral_constantIbLb1EESZ_EEDaSU_SV_EUlSU_E_NS1_11comp_targetILNS1_3genE0ELNS1_11target_archE4294967295ELNS1_3gpuE0ELNS1_3repE0EEENS1_30default_config_static_selectorELNS0_4arch9wavefront6targetE0EEEvT1_.num_agpr, 0
	.set _ZN7rocprim17ROCPRIM_400000_NS6detail17trampoline_kernelINS0_14default_configENS1_27scan_by_key_config_selectorIiiEEZZNS1_16scan_by_key_implILNS1_25lookback_scan_determinismE0ELb0ES3_N6thrust23THRUST_200600_302600_NS6detail15normal_iteratorINS9_10device_ptrIiEEEESE_SE_iNS9_10multipliesIiEENS9_8equal_toIiEEiEE10hipError_tPvRmT2_T3_T4_T5_mT6_T7_P12ihipStream_tbENKUlT_T0_E_clISt17integral_constantIbLb1EESZ_EEDaSU_SV_EUlSU_E_NS1_11comp_targetILNS1_3genE0ELNS1_11target_archE4294967295ELNS1_3gpuE0ELNS1_3repE0EEENS1_30default_config_static_selectorELNS0_4arch9wavefront6targetE0EEEvT1_.numbered_sgpr, 0
	.set _ZN7rocprim17ROCPRIM_400000_NS6detail17trampoline_kernelINS0_14default_configENS1_27scan_by_key_config_selectorIiiEEZZNS1_16scan_by_key_implILNS1_25lookback_scan_determinismE0ELb0ES3_N6thrust23THRUST_200600_302600_NS6detail15normal_iteratorINS9_10device_ptrIiEEEESE_SE_iNS9_10multipliesIiEENS9_8equal_toIiEEiEE10hipError_tPvRmT2_T3_T4_T5_mT6_T7_P12ihipStream_tbENKUlT_T0_E_clISt17integral_constantIbLb1EESZ_EEDaSU_SV_EUlSU_E_NS1_11comp_targetILNS1_3genE0ELNS1_11target_archE4294967295ELNS1_3gpuE0ELNS1_3repE0EEENS1_30default_config_static_selectorELNS0_4arch9wavefront6targetE0EEEvT1_.num_named_barrier, 0
	.set _ZN7rocprim17ROCPRIM_400000_NS6detail17trampoline_kernelINS0_14default_configENS1_27scan_by_key_config_selectorIiiEEZZNS1_16scan_by_key_implILNS1_25lookback_scan_determinismE0ELb0ES3_N6thrust23THRUST_200600_302600_NS6detail15normal_iteratorINS9_10device_ptrIiEEEESE_SE_iNS9_10multipliesIiEENS9_8equal_toIiEEiEE10hipError_tPvRmT2_T3_T4_T5_mT6_T7_P12ihipStream_tbENKUlT_T0_E_clISt17integral_constantIbLb1EESZ_EEDaSU_SV_EUlSU_E_NS1_11comp_targetILNS1_3genE0ELNS1_11target_archE4294967295ELNS1_3gpuE0ELNS1_3repE0EEENS1_30default_config_static_selectorELNS0_4arch9wavefront6targetE0EEEvT1_.private_seg_size, 0
	.set _ZN7rocprim17ROCPRIM_400000_NS6detail17trampoline_kernelINS0_14default_configENS1_27scan_by_key_config_selectorIiiEEZZNS1_16scan_by_key_implILNS1_25lookback_scan_determinismE0ELb0ES3_N6thrust23THRUST_200600_302600_NS6detail15normal_iteratorINS9_10device_ptrIiEEEESE_SE_iNS9_10multipliesIiEENS9_8equal_toIiEEiEE10hipError_tPvRmT2_T3_T4_T5_mT6_T7_P12ihipStream_tbENKUlT_T0_E_clISt17integral_constantIbLb1EESZ_EEDaSU_SV_EUlSU_E_NS1_11comp_targetILNS1_3genE0ELNS1_11target_archE4294967295ELNS1_3gpuE0ELNS1_3repE0EEENS1_30default_config_static_selectorELNS0_4arch9wavefront6targetE0EEEvT1_.uses_vcc, 0
	.set _ZN7rocprim17ROCPRIM_400000_NS6detail17trampoline_kernelINS0_14default_configENS1_27scan_by_key_config_selectorIiiEEZZNS1_16scan_by_key_implILNS1_25lookback_scan_determinismE0ELb0ES3_N6thrust23THRUST_200600_302600_NS6detail15normal_iteratorINS9_10device_ptrIiEEEESE_SE_iNS9_10multipliesIiEENS9_8equal_toIiEEiEE10hipError_tPvRmT2_T3_T4_T5_mT6_T7_P12ihipStream_tbENKUlT_T0_E_clISt17integral_constantIbLb1EESZ_EEDaSU_SV_EUlSU_E_NS1_11comp_targetILNS1_3genE0ELNS1_11target_archE4294967295ELNS1_3gpuE0ELNS1_3repE0EEENS1_30default_config_static_selectorELNS0_4arch9wavefront6targetE0EEEvT1_.uses_flat_scratch, 0
	.set _ZN7rocprim17ROCPRIM_400000_NS6detail17trampoline_kernelINS0_14default_configENS1_27scan_by_key_config_selectorIiiEEZZNS1_16scan_by_key_implILNS1_25lookback_scan_determinismE0ELb0ES3_N6thrust23THRUST_200600_302600_NS6detail15normal_iteratorINS9_10device_ptrIiEEEESE_SE_iNS9_10multipliesIiEENS9_8equal_toIiEEiEE10hipError_tPvRmT2_T3_T4_T5_mT6_T7_P12ihipStream_tbENKUlT_T0_E_clISt17integral_constantIbLb1EESZ_EEDaSU_SV_EUlSU_E_NS1_11comp_targetILNS1_3genE0ELNS1_11target_archE4294967295ELNS1_3gpuE0ELNS1_3repE0EEENS1_30default_config_static_selectorELNS0_4arch9wavefront6targetE0EEEvT1_.has_dyn_sized_stack, 0
	.set _ZN7rocprim17ROCPRIM_400000_NS6detail17trampoline_kernelINS0_14default_configENS1_27scan_by_key_config_selectorIiiEEZZNS1_16scan_by_key_implILNS1_25lookback_scan_determinismE0ELb0ES3_N6thrust23THRUST_200600_302600_NS6detail15normal_iteratorINS9_10device_ptrIiEEEESE_SE_iNS9_10multipliesIiEENS9_8equal_toIiEEiEE10hipError_tPvRmT2_T3_T4_T5_mT6_T7_P12ihipStream_tbENKUlT_T0_E_clISt17integral_constantIbLb1EESZ_EEDaSU_SV_EUlSU_E_NS1_11comp_targetILNS1_3genE0ELNS1_11target_archE4294967295ELNS1_3gpuE0ELNS1_3repE0EEENS1_30default_config_static_selectorELNS0_4arch9wavefront6targetE0EEEvT1_.has_recursion, 0
	.set _ZN7rocprim17ROCPRIM_400000_NS6detail17trampoline_kernelINS0_14default_configENS1_27scan_by_key_config_selectorIiiEEZZNS1_16scan_by_key_implILNS1_25lookback_scan_determinismE0ELb0ES3_N6thrust23THRUST_200600_302600_NS6detail15normal_iteratorINS9_10device_ptrIiEEEESE_SE_iNS9_10multipliesIiEENS9_8equal_toIiEEiEE10hipError_tPvRmT2_T3_T4_T5_mT6_T7_P12ihipStream_tbENKUlT_T0_E_clISt17integral_constantIbLb1EESZ_EEDaSU_SV_EUlSU_E_NS1_11comp_targetILNS1_3genE0ELNS1_11target_archE4294967295ELNS1_3gpuE0ELNS1_3repE0EEENS1_30default_config_static_selectorELNS0_4arch9wavefront6targetE0EEEvT1_.has_indirect_call, 0
	.section	.AMDGPU.csdata,"",@progbits
; Kernel info:
; codeLenInByte = 4
; TotalNumSgprs: 0
; NumVgprs: 0
; ScratchSize: 0
; MemoryBound: 0
; FloatMode: 240
; IeeeMode: 1
; LDSByteSize: 0 bytes/workgroup (compile time only)
; SGPRBlocks: 0
; VGPRBlocks: 0
; NumSGPRsForWavesPerEU: 1
; NumVGPRsForWavesPerEU: 1
; NamedBarCnt: 0
; Occupancy: 16
; WaveLimiterHint : 0
; COMPUTE_PGM_RSRC2:SCRATCH_EN: 0
; COMPUTE_PGM_RSRC2:USER_SGPR: 2
; COMPUTE_PGM_RSRC2:TRAP_HANDLER: 0
; COMPUTE_PGM_RSRC2:TGID_X_EN: 1
; COMPUTE_PGM_RSRC2:TGID_Y_EN: 0
; COMPUTE_PGM_RSRC2:TGID_Z_EN: 0
; COMPUTE_PGM_RSRC2:TIDIG_COMP_CNT: 0
	.section	.text._ZN7rocprim17ROCPRIM_400000_NS6detail17trampoline_kernelINS0_14default_configENS1_27scan_by_key_config_selectorIiiEEZZNS1_16scan_by_key_implILNS1_25lookback_scan_determinismE0ELb0ES3_N6thrust23THRUST_200600_302600_NS6detail15normal_iteratorINS9_10device_ptrIiEEEESE_SE_iNS9_10multipliesIiEENS9_8equal_toIiEEiEE10hipError_tPvRmT2_T3_T4_T5_mT6_T7_P12ihipStream_tbENKUlT_T0_E_clISt17integral_constantIbLb1EESZ_EEDaSU_SV_EUlSU_E_NS1_11comp_targetILNS1_3genE10ELNS1_11target_archE1201ELNS1_3gpuE5ELNS1_3repE0EEENS1_30default_config_static_selectorELNS0_4arch9wavefront6targetE0EEEvT1_,"axG",@progbits,_ZN7rocprim17ROCPRIM_400000_NS6detail17trampoline_kernelINS0_14default_configENS1_27scan_by_key_config_selectorIiiEEZZNS1_16scan_by_key_implILNS1_25lookback_scan_determinismE0ELb0ES3_N6thrust23THRUST_200600_302600_NS6detail15normal_iteratorINS9_10device_ptrIiEEEESE_SE_iNS9_10multipliesIiEENS9_8equal_toIiEEiEE10hipError_tPvRmT2_T3_T4_T5_mT6_T7_P12ihipStream_tbENKUlT_T0_E_clISt17integral_constantIbLb1EESZ_EEDaSU_SV_EUlSU_E_NS1_11comp_targetILNS1_3genE10ELNS1_11target_archE1201ELNS1_3gpuE5ELNS1_3repE0EEENS1_30default_config_static_selectorELNS0_4arch9wavefront6targetE0EEEvT1_,comdat
	.protected	_ZN7rocprim17ROCPRIM_400000_NS6detail17trampoline_kernelINS0_14default_configENS1_27scan_by_key_config_selectorIiiEEZZNS1_16scan_by_key_implILNS1_25lookback_scan_determinismE0ELb0ES3_N6thrust23THRUST_200600_302600_NS6detail15normal_iteratorINS9_10device_ptrIiEEEESE_SE_iNS9_10multipliesIiEENS9_8equal_toIiEEiEE10hipError_tPvRmT2_T3_T4_T5_mT6_T7_P12ihipStream_tbENKUlT_T0_E_clISt17integral_constantIbLb1EESZ_EEDaSU_SV_EUlSU_E_NS1_11comp_targetILNS1_3genE10ELNS1_11target_archE1201ELNS1_3gpuE5ELNS1_3repE0EEENS1_30default_config_static_selectorELNS0_4arch9wavefront6targetE0EEEvT1_ ; -- Begin function _ZN7rocprim17ROCPRIM_400000_NS6detail17trampoline_kernelINS0_14default_configENS1_27scan_by_key_config_selectorIiiEEZZNS1_16scan_by_key_implILNS1_25lookback_scan_determinismE0ELb0ES3_N6thrust23THRUST_200600_302600_NS6detail15normal_iteratorINS9_10device_ptrIiEEEESE_SE_iNS9_10multipliesIiEENS9_8equal_toIiEEiEE10hipError_tPvRmT2_T3_T4_T5_mT6_T7_P12ihipStream_tbENKUlT_T0_E_clISt17integral_constantIbLb1EESZ_EEDaSU_SV_EUlSU_E_NS1_11comp_targetILNS1_3genE10ELNS1_11target_archE1201ELNS1_3gpuE5ELNS1_3repE0EEENS1_30default_config_static_selectorELNS0_4arch9wavefront6targetE0EEEvT1_
	.globl	_ZN7rocprim17ROCPRIM_400000_NS6detail17trampoline_kernelINS0_14default_configENS1_27scan_by_key_config_selectorIiiEEZZNS1_16scan_by_key_implILNS1_25lookback_scan_determinismE0ELb0ES3_N6thrust23THRUST_200600_302600_NS6detail15normal_iteratorINS9_10device_ptrIiEEEESE_SE_iNS9_10multipliesIiEENS9_8equal_toIiEEiEE10hipError_tPvRmT2_T3_T4_T5_mT6_T7_P12ihipStream_tbENKUlT_T0_E_clISt17integral_constantIbLb1EESZ_EEDaSU_SV_EUlSU_E_NS1_11comp_targetILNS1_3genE10ELNS1_11target_archE1201ELNS1_3gpuE5ELNS1_3repE0EEENS1_30default_config_static_selectorELNS0_4arch9wavefront6targetE0EEEvT1_
	.p2align	8
	.type	_ZN7rocprim17ROCPRIM_400000_NS6detail17trampoline_kernelINS0_14default_configENS1_27scan_by_key_config_selectorIiiEEZZNS1_16scan_by_key_implILNS1_25lookback_scan_determinismE0ELb0ES3_N6thrust23THRUST_200600_302600_NS6detail15normal_iteratorINS9_10device_ptrIiEEEESE_SE_iNS9_10multipliesIiEENS9_8equal_toIiEEiEE10hipError_tPvRmT2_T3_T4_T5_mT6_T7_P12ihipStream_tbENKUlT_T0_E_clISt17integral_constantIbLb1EESZ_EEDaSU_SV_EUlSU_E_NS1_11comp_targetILNS1_3genE10ELNS1_11target_archE1201ELNS1_3gpuE5ELNS1_3repE0EEENS1_30default_config_static_selectorELNS0_4arch9wavefront6targetE0EEEvT1_,@function
_ZN7rocprim17ROCPRIM_400000_NS6detail17trampoline_kernelINS0_14default_configENS1_27scan_by_key_config_selectorIiiEEZZNS1_16scan_by_key_implILNS1_25lookback_scan_determinismE0ELb0ES3_N6thrust23THRUST_200600_302600_NS6detail15normal_iteratorINS9_10device_ptrIiEEEESE_SE_iNS9_10multipliesIiEENS9_8equal_toIiEEiEE10hipError_tPvRmT2_T3_T4_T5_mT6_T7_P12ihipStream_tbENKUlT_T0_E_clISt17integral_constantIbLb1EESZ_EEDaSU_SV_EUlSU_E_NS1_11comp_targetILNS1_3genE10ELNS1_11target_archE1201ELNS1_3gpuE5ELNS1_3repE0EEENS1_30default_config_static_selectorELNS0_4arch9wavefront6targetE0EEEvT1_: ; @_ZN7rocprim17ROCPRIM_400000_NS6detail17trampoline_kernelINS0_14default_configENS1_27scan_by_key_config_selectorIiiEEZZNS1_16scan_by_key_implILNS1_25lookback_scan_determinismE0ELb0ES3_N6thrust23THRUST_200600_302600_NS6detail15normal_iteratorINS9_10device_ptrIiEEEESE_SE_iNS9_10multipliesIiEENS9_8equal_toIiEEiEE10hipError_tPvRmT2_T3_T4_T5_mT6_T7_P12ihipStream_tbENKUlT_T0_E_clISt17integral_constantIbLb1EESZ_EEDaSU_SV_EUlSU_E_NS1_11comp_targetILNS1_3genE10ELNS1_11target_archE1201ELNS1_3gpuE5ELNS1_3repE0EEENS1_30default_config_static_selectorELNS0_4arch9wavefront6targetE0EEEvT1_
; %bb.0:
	.section	.rodata,"a",@progbits
	.p2align	6, 0x0
	.amdhsa_kernel _ZN7rocprim17ROCPRIM_400000_NS6detail17trampoline_kernelINS0_14default_configENS1_27scan_by_key_config_selectorIiiEEZZNS1_16scan_by_key_implILNS1_25lookback_scan_determinismE0ELb0ES3_N6thrust23THRUST_200600_302600_NS6detail15normal_iteratorINS9_10device_ptrIiEEEESE_SE_iNS9_10multipliesIiEENS9_8equal_toIiEEiEE10hipError_tPvRmT2_T3_T4_T5_mT6_T7_P12ihipStream_tbENKUlT_T0_E_clISt17integral_constantIbLb1EESZ_EEDaSU_SV_EUlSU_E_NS1_11comp_targetILNS1_3genE10ELNS1_11target_archE1201ELNS1_3gpuE5ELNS1_3repE0EEENS1_30default_config_static_selectorELNS0_4arch9wavefront6targetE0EEEvT1_
		.amdhsa_group_segment_fixed_size 0
		.amdhsa_private_segment_fixed_size 0
		.amdhsa_kernarg_size 112
		.amdhsa_user_sgpr_count 2
		.amdhsa_user_sgpr_dispatch_ptr 0
		.amdhsa_user_sgpr_queue_ptr 0
		.amdhsa_user_sgpr_kernarg_segment_ptr 1
		.amdhsa_user_sgpr_dispatch_id 0
		.amdhsa_user_sgpr_kernarg_preload_length 0
		.amdhsa_user_sgpr_kernarg_preload_offset 0
		.amdhsa_user_sgpr_private_segment_size 0
		.amdhsa_wavefront_size32 1
		.amdhsa_uses_dynamic_stack 0
		.amdhsa_enable_private_segment 0
		.amdhsa_system_sgpr_workgroup_id_x 1
		.amdhsa_system_sgpr_workgroup_id_y 0
		.amdhsa_system_sgpr_workgroup_id_z 0
		.amdhsa_system_sgpr_workgroup_info 0
		.amdhsa_system_vgpr_workitem_id 0
		.amdhsa_next_free_vgpr 1
		.amdhsa_next_free_sgpr 1
		.amdhsa_named_barrier_count 0
		.amdhsa_reserve_vcc 0
		.amdhsa_float_round_mode_32 0
		.amdhsa_float_round_mode_16_64 0
		.amdhsa_float_denorm_mode_32 3
		.amdhsa_float_denorm_mode_16_64 3
		.amdhsa_fp16_overflow 0
		.amdhsa_memory_ordered 1
		.amdhsa_forward_progress 1
		.amdhsa_inst_pref_size 0
		.amdhsa_round_robin_scheduling 0
		.amdhsa_exception_fp_ieee_invalid_op 0
		.amdhsa_exception_fp_denorm_src 0
		.amdhsa_exception_fp_ieee_div_zero 0
		.amdhsa_exception_fp_ieee_overflow 0
		.amdhsa_exception_fp_ieee_underflow 0
		.amdhsa_exception_fp_ieee_inexact 0
		.amdhsa_exception_int_div_zero 0
	.end_amdhsa_kernel
	.section	.text._ZN7rocprim17ROCPRIM_400000_NS6detail17trampoline_kernelINS0_14default_configENS1_27scan_by_key_config_selectorIiiEEZZNS1_16scan_by_key_implILNS1_25lookback_scan_determinismE0ELb0ES3_N6thrust23THRUST_200600_302600_NS6detail15normal_iteratorINS9_10device_ptrIiEEEESE_SE_iNS9_10multipliesIiEENS9_8equal_toIiEEiEE10hipError_tPvRmT2_T3_T4_T5_mT6_T7_P12ihipStream_tbENKUlT_T0_E_clISt17integral_constantIbLb1EESZ_EEDaSU_SV_EUlSU_E_NS1_11comp_targetILNS1_3genE10ELNS1_11target_archE1201ELNS1_3gpuE5ELNS1_3repE0EEENS1_30default_config_static_selectorELNS0_4arch9wavefront6targetE0EEEvT1_,"axG",@progbits,_ZN7rocprim17ROCPRIM_400000_NS6detail17trampoline_kernelINS0_14default_configENS1_27scan_by_key_config_selectorIiiEEZZNS1_16scan_by_key_implILNS1_25lookback_scan_determinismE0ELb0ES3_N6thrust23THRUST_200600_302600_NS6detail15normal_iteratorINS9_10device_ptrIiEEEESE_SE_iNS9_10multipliesIiEENS9_8equal_toIiEEiEE10hipError_tPvRmT2_T3_T4_T5_mT6_T7_P12ihipStream_tbENKUlT_T0_E_clISt17integral_constantIbLb1EESZ_EEDaSU_SV_EUlSU_E_NS1_11comp_targetILNS1_3genE10ELNS1_11target_archE1201ELNS1_3gpuE5ELNS1_3repE0EEENS1_30default_config_static_selectorELNS0_4arch9wavefront6targetE0EEEvT1_,comdat
.Lfunc_end174:
	.size	_ZN7rocprim17ROCPRIM_400000_NS6detail17trampoline_kernelINS0_14default_configENS1_27scan_by_key_config_selectorIiiEEZZNS1_16scan_by_key_implILNS1_25lookback_scan_determinismE0ELb0ES3_N6thrust23THRUST_200600_302600_NS6detail15normal_iteratorINS9_10device_ptrIiEEEESE_SE_iNS9_10multipliesIiEENS9_8equal_toIiEEiEE10hipError_tPvRmT2_T3_T4_T5_mT6_T7_P12ihipStream_tbENKUlT_T0_E_clISt17integral_constantIbLb1EESZ_EEDaSU_SV_EUlSU_E_NS1_11comp_targetILNS1_3genE10ELNS1_11target_archE1201ELNS1_3gpuE5ELNS1_3repE0EEENS1_30default_config_static_selectorELNS0_4arch9wavefront6targetE0EEEvT1_, .Lfunc_end174-_ZN7rocprim17ROCPRIM_400000_NS6detail17trampoline_kernelINS0_14default_configENS1_27scan_by_key_config_selectorIiiEEZZNS1_16scan_by_key_implILNS1_25lookback_scan_determinismE0ELb0ES3_N6thrust23THRUST_200600_302600_NS6detail15normal_iteratorINS9_10device_ptrIiEEEESE_SE_iNS9_10multipliesIiEENS9_8equal_toIiEEiEE10hipError_tPvRmT2_T3_T4_T5_mT6_T7_P12ihipStream_tbENKUlT_T0_E_clISt17integral_constantIbLb1EESZ_EEDaSU_SV_EUlSU_E_NS1_11comp_targetILNS1_3genE10ELNS1_11target_archE1201ELNS1_3gpuE5ELNS1_3repE0EEENS1_30default_config_static_selectorELNS0_4arch9wavefront6targetE0EEEvT1_
                                        ; -- End function
	.set _ZN7rocprim17ROCPRIM_400000_NS6detail17trampoline_kernelINS0_14default_configENS1_27scan_by_key_config_selectorIiiEEZZNS1_16scan_by_key_implILNS1_25lookback_scan_determinismE0ELb0ES3_N6thrust23THRUST_200600_302600_NS6detail15normal_iteratorINS9_10device_ptrIiEEEESE_SE_iNS9_10multipliesIiEENS9_8equal_toIiEEiEE10hipError_tPvRmT2_T3_T4_T5_mT6_T7_P12ihipStream_tbENKUlT_T0_E_clISt17integral_constantIbLb1EESZ_EEDaSU_SV_EUlSU_E_NS1_11comp_targetILNS1_3genE10ELNS1_11target_archE1201ELNS1_3gpuE5ELNS1_3repE0EEENS1_30default_config_static_selectorELNS0_4arch9wavefront6targetE0EEEvT1_.num_vgpr, 0
	.set _ZN7rocprim17ROCPRIM_400000_NS6detail17trampoline_kernelINS0_14default_configENS1_27scan_by_key_config_selectorIiiEEZZNS1_16scan_by_key_implILNS1_25lookback_scan_determinismE0ELb0ES3_N6thrust23THRUST_200600_302600_NS6detail15normal_iteratorINS9_10device_ptrIiEEEESE_SE_iNS9_10multipliesIiEENS9_8equal_toIiEEiEE10hipError_tPvRmT2_T3_T4_T5_mT6_T7_P12ihipStream_tbENKUlT_T0_E_clISt17integral_constantIbLb1EESZ_EEDaSU_SV_EUlSU_E_NS1_11comp_targetILNS1_3genE10ELNS1_11target_archE1201ELNS1_3gpuE5ELNS1_3repE0EEENS1_30default_config_static_selectorELNS0_4arch9wavefront6targetE0EEEvT1_.num_agpr, 0
	.set _ZN7rocprim17ROCPRIM_400000_NS6detail17trampoline_kernelINS0_14default_configENS1_27scan_by_key_config_selectorIiiEEZZNS1_16scan_by_key_implILNS1_25lookback_scan_determinismE0ELb0ES3_N6thrust23THRUST_200600_302600_NS6detail15normal_iteratorINS9_10device_ptrIiEEEESE_SE_iNS9_10multipliesIiEENS9_8equal_toIiEEiEE10hipError_tPvRmT2_T3_T4_T5_mT6_T7_P12ihipStream_tbENKUlT_T0_E_clISt17integral_constantIbLb1EESZ_EEDaSU_SV_EUlSU_E_NS1_11comp_targetILNS1_3genE10ELNS1_11target_archE1201ELNS1_3gpuE5ELNS1_3repE0EEENS1_30default_config_static_selectorELNS0_4arch9wavefront6targetE0EEEvT1_.numbered_sgpr, 0
	.set _ZN7rocprim17ROCPRIM_400000_NS6detail17trampoline_kernelINS0_14default_configENS1_27scan_by_key_config_selectorIiiEEZZNS1_16scan_by_key_implILNS1_25lookback_scan_determinismE0ELb0ES3_N6thrust23THRUST_200600_302600_NS6detail15normal_iteratorINS9_10device_ptrIiEEEESE_SE_iNS9_10multipliesIiEENS9_8equal_toIiEEiEE10hipError_tPvRmT2_T3_T4_T5_mT6_T7_P12ihipStream_tbENKUlT_T0_E_clISt17integral_constantIbLb1EESZ_EEDaSU_SV_EUlSU_E_NS1_11comp_targetILNS1_3genE10ELNS1_11target_archE1201ELNS1_3gpuE5ELNS1_3repE0EEENS1_30default_config_static_selectorELNS0_4arch9wavefront6targetE0EEEvT1_.num_named_barrier, 0
	.set _ZN7rocprim17ROCPRIM_400000_NS6detail17trampoline_kernelINS0_14default_configENS1_27scan_by_key_config_selectorIiiEEZZNS1_16scan_by_key_implILNS1_25lookback_scan_determinismE0ELb0ES3_N6thrust23THRUST_200600_302600_NS6detail15normal_iteratorINS9_10device_ptrIiEEEESE_SE_iNS9_10multipliesIiEENS9_8equal_toIiEEiEE10hipError_tPvRmT2_T3_T4_T5_mT6_T7_P12ihipStream_tbENKUlT_T0_E_clISt17integral_constantIbLb1EESZ_EEDaSU_SV_EUlSU_E_NS1_11comp_targetILNS1_3genE10ELNS1_11target_archE1201ELNS1_3gpuE5ELNS1_3repE0EEENS1_30default_config_static_selectorELNS0_4arch9wavefront6targetE0EEEvT1_.private_seg_size, 0
	.set _ZN7rocprim17ROCPRIM_400000_NS6detail17trampoline_kernelINS0_14default_configENS1_27scan_by_key_config_selectorIiiEEZZNS1_16scan_by_key_implILNS1_25lookback_scan_determinismE0ELb0ES3_N6thrust23THRUST_200600_302600_NS6detail15normal_iteratorINS9_10device_ptrIiEEEESE_SE_iNS9_10multipliesIiEENS9_8equal_toIiEEiEE10hipError_tPvRmT2_T3_T4_T5_mT6_T7_P12ihipStream_tbENKUlT_T0_E_clISt17integral_constantIbLb1EESZ_EEDaSU_SV_EUlSU_E_NS1_11comp_targetILNS1_3genE10ELNS1_11target_archE1201ELNS1_3gpuE5ELNS1_3repE0EEENS1_30default_config_static_selectorELNS0_4arch9wavefront6targetE0EEEvT1_.uses_vcc, 0
	.set _ZN7rocprim17ROCPRIM_400000_NS6detail17trampoline_kernelINS0_14default_configENS1_27scan_by_key_config_selectorIiiEEZZNS1_16scan_by_key_implILNS1_25lookback_scan_determinismE0ELb0ES3_N6thrust23THRUST_200600_302600_NS6detail15normal_iteratorINS9_10device_ptrIiEEEESE_SE_iNS9_10multipliesIiEENS9_8equal_toIiEEiEE10hipError_tPvRmT2_T3_T4_T5_mT6_T7_P12ihipStream_tbENKUlT_T0_E_clISt17integral_constantIbLb1EESZ_EEDaSU_SV_EUlSU_E_NS1_11comp_targetILNS1_3genE10ELNS1_11target_archE1201ELNS1_3gpuE5ELNS1_3repE0EEENS1_30default_config_static_selectorELNS0_4arch9wavefront6targetE0EEEvT1_.uses_flat_scratch, 0
	.set _ZN7rocprim17ROCPRIM_400000_NS6detail17trampoline_kernelINS0_14default_configENS1_27scan_by_key_config_selectorIiiEEZZNS1_16scan_by_key_implILNS1_25lookback_scan_determinismE0ELb0ES3_N6thrust23THRUST_200600_302600_NS6detail15normal_iteratorINS9_10device_ptrIiEEEESE_SE_iNS9_10multipliesIiEENS9_8equal_toIiEEiEE10hipError_tPvRmT2_T3_T4_T5_mT6_T7_P12ihipStream_tbENKUlT_T0_E_clISt17integral_constantIbLb1EESZ_EEDaSU_SV_EUlSU_E_NS1_11comp_targetILNS1_3genE10ELNS1_11target_archE1201ELNS1_3gpuE5ELNS1_3repE0EEENS1_30default_config_static_selectorELNS0_4arch9wavefront6targetE0EEEvT1_.has_dyn_sized_stack, 0
	.set _ZN7rocprim17ROCPRIM_400000_NS6detail17trampoline_kernelINS0_14default_configENS1_27scan_by_key_config_selectorIiiEEZZNS1_16scan_by_key_implILNS1_25lookback_scan_determinismE0ELb0ES3_N6thrust23THRUST_200600_302600_NS6detail15normal_iteratorINS9_10device_ptrIiEEEESE_SE_iNS9_10multipliesIiEENS9_8equal_toIiEEiEE10hipError_tPvRmT2_T3_T4_T5_mT6_T7_P12ihipStream_tbENKUlT_T0_E_clISt17integral_constantIbLb1EESZ_EEDaSU_SV_EUlSU_E_NS1_11comp_targetILNS1_3genE10ELNS1_11target_archE1201ELNS1_3gpuE5ELNS1_3repE0EEENS1_30default_config_static_selectorELNS0_4arch9wavefront6targetE0EEEvT1_.has_recursion, 0
	.set _ZN7rocprim17ROCPRIM_400000_NS6detail17trampoline_kernelINS0_14default_configENS1_27scan_by_key_config_selectorIiiEEZZNS1_16scan_by_key_implILNS1_25lookback_scan_determinismE0ELb0ES3_N6thrust23THRUST_200600_302600_NS6detail15normal_iteratorINS9_10device_ptrIiEEEESE_SE_iNS9_10multipliesIiEENS9_8equal_toIiEEiEE10hipError_tPvRmT2_T3_T4_T5_mT6_T7_P12ihipStream_tbENKUlT_T0_E_clISt17integral_constantIbLb1EESZ_EEDaSU_SV_EUlSU_E_NS1_11comp_targetILNS1_3genE10ELNS1_11target_archE1201ELNS1_3gpuE5ELNS1_3repE0EEENS1_30default_config_static_selectorELNS0_4arch9wavefront6targetE0EEEvT1_.has_indirect_call, 0
	.section	.AMDGPU.csdata,"",@progbits
; Kernel info:
; codeLenInByte = 0
; TotalNumSgprs: 0
; NumVgprs: 0
; ScratchSize: 0
; MemoryBound: 0
; FloatMode: 240
; IeeeMode: 1
; LDSByteSize: 0 bytes/workgroup (compile time only)
; SGPRBlocks: 0
; VGPRBlocks: 0
; NumSGPRsForWavesPerEU: 1
; NumVGPRsForWavesPerEU: 1
; NamedBarCnt: 0
; Occupancy: 16
; WaveLimiterHint : 0
; COMPUTE_PGM_RSRC2:SCRATCH_EN: 0
; COMPUTE_PGM_RSRC2:USER_SGPR: 2
; COMPUTE_PGM_RSRC2:TRAP_HANDLER: 0
; COMPUTE_PGM_RSRC2:TGID_X_EN: 1
; COMPUTE_PGM_RSRC2:TGID_Y_EN: 0
; COMPUTE_PGM_RSRC2:TGID_Z_EN: 0
; COMPUTE_PGM_RSRC2:TIDIG_COMP_CNT: 0
	.section	.text._ZN7rocprim17ROCPRIM_400000_NS6detail17trampoline_kernelINS0_14default_configENS1_27scan_by_key_config_selectorIiiEEZZNS1_16scan_by_key_implILNS1_25lookback_scan_determinismE0ELb0ES3_N6thrust23THRUST_200600_302600_NS6detail15normal_iteratorINS9_10device_ptrIiEEEESE_SE_iNS9_10multipliesIiEENS9_8equal_toIiEEiEE10hipError_tPvRmT2_T3_T4_T5_mT6_T7_P12ihipStream_tbENKUlT_T0_E_clISt17integral_constantIbLb1EESZ_EEDaSU_SV_EUlSU_E_NS1_11comp_targetILNS1_3genE5ELNS1_11target_archE942ELNS1_3gpuE9ELNS1_3repE0EEENS1_30default_config_static_selectorELNS0_4arch9wavefront6targetE0EEEvT1_,"axG",@progbits,_ZN7rocprim17ROCPRIM_400000_NS6detail17trampoline_kernelINS0_14default_configENS1_27scan_by_key_config_selectorIiiEEZZNS1_16scan_by_key_implILNS1_25lookback_scan_determinismE0ELb0ES3_N6thrust23THRUST_200600_302600_NS6detail15normal_iteratorINS9_10device_ptrIiEEEESE_SE_iNS9_10multipliesIiEENS9_8equal_toIiEEiEE10hipError_tPvRmT2_T3_T4_T5_mT6_T7_P12ihipStream_tbENKUlT_T0_E_clISt17integral_constantIbLb1EESZ_EEDaSU_SV_EUlSU_E_NS1_11comp_targetILNS1_3genE5ELNS1_11target_archE942ELNS1_3gpuE9ELNS1_3repE0EEENS1_30default_config_static_selectorELNS0_4arch9wavefront6targetE0EEEvT1_,comdat
	.protected	_ZN7rocprim17ROCPRIM_400000_NS6detail17trampoline_kernelINS0_14default_configENS1_27scan_by_key_config_selectorIiiEEZZNS1_16scan_by_key_implILNS1_25lookback_scan_determinismE0ELb0ES3_N6thrust23THRUST_200600_302600_NS6detail15normal_iteratorINS9_10device_ptrIiEEEESE_SE_iNS9_10multipliesIiEENS9_8equal_toIiEEiEE10hipError_tPvRmT2_T3_T4_T5_mT6_T7_P12ihipStream_tbENKUlT_T0_E_clISt17integral_constantIbLb1EESZ_EEDaSU_SV_EUlSU_E_NS1_11comp_targetILNS1_3genE5ELNS1_11target_archE942ELNS1_3gpuE9ELNS1_3repE0EEENS1_30default_config_static_selectorELNS0_4arch9wavefront6targetE0EEEvT1_ ; -- Begin function _ZN7rocprim17ROCPRIM_400000_NS6detail17trampoline_kernelINS0_14default_configENS1_27scan_by_key_config_selectorIiiEEZZNS1_16scan_by_key_implILNS1_25lookback_scan_determinismE0ELb0ES3_N6thrust23THRUST_200600_302600_NS6detail15normal_iteratorINS9_10device_ptrIiEEEESE_SE_iNS9_10multipliesIiEENS9_8equal_toIiEEiEE10hipError_tPvRmT2_T3_T4_T5_mT6_T7_P12ihipStream_tbENKUlT_T0_E_clISt17integral_constantIbLb1EESZ_EEDaSU_SV_EUlSU_E_NS1_11comp_targetILNS1_3genE5ELNS1_11target_archE942ELNS1_3gpuE9ELNS1_3repE0EEENS1_30default_config_static_selectorELNS0_4arch9wavefront6targetE0EEEvT1_
	.globl	_ZN7rocprim17ROCPRIM_400000_NS6detail17trampoline_kernelINS0_14default_configENS1_27scan_by_key_config_selectorIiiEEZZNS1_16scan_by_key_implILNS1_25lookback_scan_determinismE0ELb0ES3_N6thrust23THRUST_200600_302600_NS6detail15normal_iteratorINS9_10device_ptrIiEEEESE_SE_iNS9_10multipliesIiEENS9_8equal_toIiEEiEE10hipError_tPvRmT2_T3_T4_T5_mT6_T7_P12ihipStream_tbENKUlT_T0_E_clISt17integral_constantIbLb1EESZ_EEDaSU_SV_EUlSU_E_NS1_11comp_targetILNS1_3genE5ELNS1_11target_archE942ELNS1_3gpuE9ELNS1_3repE0EEENS1_30default_config_static_selectorELNS0_4arch9wavefront6targetE0EEEvT1_
	.p2align	8
	.type	_ZN7rocprim17ROCPRIM_400000_NS6detail17trampoline_kernelINS0_14default_configENS1_27scan_by_key_config_selectorIiiEEZZNS1_16scan_by_key_implILNS1_25lookback_scan_determinismE0ELb0ES3_N6thrust23THRUST_200600_302600_NS6detail15normal_iteratorINS9_10device_ptrIiEEEESE_SE_iNS9_10multipliesIiEENS9_8equal_toIiEEiEE10hipError_tPvRmT2_T3_T4_T5_mT6_T7_P12ihipStream_tbENKUlT_T0_E_clISt17integral_constantIbLb1EESZ_EEDaSU_SV_EUlSU_E_NS1_11comp_targetILNS1_3genE5ELNS1_11target_archE942ELNS1_3gpuE9ELNS1_3repE0EEENS1_30default_config_static_selectorELNS0_4arch9wavefront6targetE0EEEvT1_,@function
_ZN7rocprim17ROCPRIM_400000_NS6detail17trampoline_kernelINS0_14default_configENS1_27scan_by_key_config_selectorIiiEEZZNS1_16scan_by_key_implILNS1_25lookback_scan_determinismE0ELb0ES3_N6thrust23THRUST_200600_302600_NS6detail15normal_iteratorINS9_10device_ptrIiEEEESE_SE_iNS9_10multipliesIiEENS9_8equal_toIiEEiEE10hipError_tPvRmT2_T3_T4_T5_mT6_T7_P12ihipStream_tbENKUlT_T0_E_clISt17integral_constantIbLb1EESZ_EEDaSU_SV_EUlSU_E_NS1_11comp_targetILNS1_3genE5ELNS1_11target_archE942ELNS1_3gpuE9ELNS1_3repE0EEENS1_30default_config_static_selectorELNS0_4arch9wavefront6targetE0EEEvT1_: ; @_ZN7rocprim17ROCPRIM_400000_NS6detail17trampoline_kernelINS0_14default_configENS1_27scan_by_key_config_selectorIiiEEZZNS1_16scan_by_key_implILNS1_25lookback_scan_determinismE0ELb0ES3_N6thrust23THRUST_200600_302600_NS6detail15normal_iteratorINS9_10device_ptrIiEEEESE_SE_iNS9_10multipliesIiEENS9_8equal_toIiEEiEE10hipError_tPvRmT2_T3_T4_T5_mT6_T7_P12ihipStream_tbENKUlT_T0_E_clISt17integral_constantIbLb1EESZ_EEDaSU_SV_EUlSU_E_NS1_11comp_targetILNS1_3genE5ELNS1_11target_archE942ELNS1_3gpuE9ELNS1_3repE0EEENS1_30default_config_static_selectorELNS0_4arch9wavefront6targetE0EEEvT1_
; %bb.0:
	.section	.rodata,"a",@progbits
	.p2align	6, 0x0
	.amdhsa_kernel _ZN7rocprim17ROCPRIM_400000_NS6detail17trampoline_kernelINS0_14default_configENS1_27scan_by_key_config_selectorIiiEEZZNS1_16scan_by_key_implILNS1_25lookback_scan_determinismE0ELb0ES3_N6thrust23THRUST_200600_302600_NS6detail15normal_iteratorINS9_10device_ptrIiEEEESE_SE_iNS9_10multipliesIiEENS9_8equal_toIiEEiEE10hipError_tPvRmT2_T3_T4_T5_mT6_T7_P12ihipStream_tbENKUlT_T0_E_clISt17integral_constantIbLb1EESZ_EEDaSU_SV_EUlSU_E_NS1_11comp_targetILNS1_3genE5ELNS1_11target_archE942ELNS1_3gpuE9ELNS1_3repE0EEENS1_30default_config_static_selectorELNS0_4arch9wavefront6targetE0EEEvT1_
		.amdhsa_group_segment_fixed_size 0
		.amdhsa_private_segment_fixed_size 0
		.amdhsa_kernarg_size 112
		.amdhsa_user_sgpr_count 2
		.amdhsa_user_sgpr_dispatch_ptr 0
		.amdhsa_user_sgpr_queue_ptr 0
		.amdhsa_user_sgpr_kernarg_segment_ptr 1
		.amdhsa_user_sgpr_dispatch_id 0
		.amdhsa_user_sgpr_kernarg_preload_length 0
		.amdhsa_user_sgpr_kernarg_preload_offset 0
		.amdhsa_user_sgpr_private_segment_size 0
		.amdhsa_wavefront_size32 1
		.amdhsa_uses_dynamic_stack 0
		.amdhsa_enable_private_segment 0
		.amdhsa_system_sgpr_workgroup_id_x 1
		.amdhsa_system_sgpr_workgroup_id_y 0
		.amdhsa_system_sgpr_workgroup_id_z 0
		.amdhsa_system_sgpr_workgroup_info 0
		.amdhsa_system_vgpr_workitem_id 0
		.amdhsa_next_free_vgpr 1
		.amdhsa_next_free_sgpr 1
		.amdhsa_named_barrier_count 0
		.amdhsa_reserve_vcc 0
		.amdhsa_float_round_mode_32 0
		.amdhsa_float_round_mode_16_64 0
		.amdhsa_float_denorm_mode_32 3
		.amdhsa_float_denorm_mode_16_64 3
		.amdhsa_fp16_overflow 0
		.amdhsa_memory_ordered 1
		.amdhsa_forward_progress 1
		.amdhsa_inst_pref_size 0
		.amdhsa_round_robin_scheduling 0
		.amdhsa_exception_fp_ieee_invalid_op 0
		.amdhsa_exception_fp_denorm_src 0
		.amdhsa_exception_fp_ieee_div_zero 0
		.amdhsa_exception_fp_ieee_overflow 0
		.amdhsa_exception_fp_ieee_underflow 0
		.amdhsa_exception_fp_ieee_inexact 0
		.amdhsa_exception_int_div_zero 0
	.end_amdhsa_kernel
	.section	.text._ZN7rocprim17ROCPRIM_400000_NS6detail17trampoline_kernelINS0_14default_configENS1_27scan_by_key_config_selectorIiiEEZZNS1_16scan_by_key_implILNS1_25lookback_scan_determinismE0ELb0ES3_N6thrust23THRUST_200600_302600_NS6detail15normal_iteratorINS9_10device_ptrIiEEEESE_SE_iNS9_10multipliesIiEENS9_8equal_toIiEEiEE10hipError_tPvRmT2_T3_T4_T5_mT6_T7_P12ihipStream_tbENKUlT_T0_E_clISt17integral_constantIbLb1EESZ_EEDaSU_SV_EUlSU_E_NS1_11comp_targetILNS1_3genE5ELNS1_11target_archE942ELNS1_3gpuE9ELNS1_3repE0EEENS1_30default_config_static_selectorELNS0_4arch9wavefront6targetE0EEEvT1_,"axG",@progbits,_ZN7rocprim17ROCPRIM_400000_NS6detail17trampoline_kernelINS0_14default_configENS1_27scan_by_key_config_selectorIiiEEZZNS1_16scan_by_key_implILNS1_25lookback_scan_determinismE0ELb0ES3_N6thrust23THRUST_200600_302600_NS6detail15normal_iteratorINS9_10device_ptrIiEEEESE_SE_iNS9_10multipliesIiEENS9_8equal_toIiEEiEE10hipError_tPvRmT2_T3_T4_T5_mT6_T7_P12ihipStream_tbENKUlT_T0_E_clISt17integral_constantIbLb1EESZ_EEDaSU_SV_EUlSU_E_NS1_11comp_targetILNS1_3genE5ELNS1_11target_archE942ELNS1_3gpuE9ELNS1_3repE0EEENS1_30default_config_static_selectorELNS0_4arch9wavefront6targetE0EEEvT1_,comdat
.Lfunc_end175:
	.size	_ZN7rocprim17ROCPRIM_400000_NS6detail17trampoline_kernelINS0_14default_configENS1_27scan_by_key_config_selectorIiiEEZZNS1_16scan_by_key_implILNS1_25lookback_scan_determinismE0ELb0ES3_N6thrust23THRUST_200600_302600_NS6detail15normal_iteratorINS9_10device_ptrIiEEEESE_SE_iNS9_10multipliesIiEENS9_8equal_toIiEEiEE10hipError_tPvRmT2_T3_T4_T5_mT6_T7_P12ihipStream_tbENKUlT_T0_E_clISt17integral_constantIbLb1EESZ_EEDaSU_SV_EUlSU_E_NS1_11comp_targetILNS1_3genE5ELNS1_11target_archE942ELNS1_3gpuE9ELNS1_3repE0EEENS1_30default_config_static_selectorELNS0_4arch9wavefront6targetE0EEEvT1_, .Lfunc_end175-_ZN7rocprim17ROCPRIM_400000_NS6detail17trampoline_kernelINS0_14default_configENS1_27scan_by_key_config_selectorIiiEEZZNS1_16scan_by_key_implILNS1_25lookback_scan_determinismE0ELb0ES3_N6thrust23THRUST_200600_302600_NS6detail15normal_iteratorINS9_10device_ptrIiEEEESE_SE_iNS9_10multipliesIiEENS9_8equal_toIiEEiEE10hipError_tPvRmT2_T3_T4_T5_mT6_T7_P12ihipStream_tbENKUlT_T0_E_clISt17integral_constantIbLb1EESZ_EEDaSU_SV_EUlSU_E_NS1_11comp_targetILNS1_3genE5ELNS1_11target_archE942ELNS1_3gpuE9ELNS1_3repE0EEENS1_30default_config_static_selectorELNS0_4arch9wavefront6targetE0EEEvT1_
                                        ; -- End function
	.set _ZN7rocprim17ROCPRIM_400000_NS6detail17trampoline_kernelINS0_14default_configENS1_27scan_by_key_config_selectorIiiEEZZNS1_16scan_by_key_implILNS1_25lookback_scan_determinismE0ELb0ES3_N6thrust23THRUST_200600_302600_NS6detail15normal_iteratorINS9_10device_ptrIiEEEESE_SE_iNS9_10multipliesIiEENS9_8equal_toIiEEiEE10hipError_tPvRmT2_T3_T4_T5_mT6_T7_P12ihipStream_tbENKUlT_T0_E_clISt17integral_constantIbLb1EESZ_EEDaSU_SV_EUlSU_E_NS1_11comp_targetILNS1_3genE5ELNS1_11target_archE942ELNS1_3gpuE9ELNS1_3repE0EEENS1_30default_config_static_selectorELNS0_4arch9wavefront6targetE0EEEvT1_.num_vgpr, 0
	.set _ZN7rocprim17ROCPRIM_400000_NS6detail17trampoline_kernelINS0_14default_configENS1_27scan_by_key_config_selectorIiiEEZZNS1_16scan_by_key_implILNS1_25lookback_scan_determinismE0ELb0ES3_N6thrust23THRUST_200600_302600_NS6detail15normal_iteratorINS9_10device_ptrIiEEEESE_SE_iNS9_10multipliesIiEENS9_8equal_toIiEEiEE10hipError_tPvRmT2_T3_T4_T5_mT6_T7_P12ihipStream_tbENKUlT_T0_E_clISt17integral_constantIbLb1EESZ_EEDaSU_SV_EUlSU_E_NS1_11comp_targetILNS1_3genE5ELNS1_11target_archE942ELNS1_3gpuE9ELNS1_3repE0EEENS1_30default_config_static_selectorELNS0_4arch9wavefront6targetE0EEEvT1_.num_agpr, 0
	.set _ZN7rocprim17ROCPRIM_400000_NS6detail17trampoline_kernelINS0_14default_configENS1_27scan_by_key_config_selectorIiiEEZZNS1_16scan_by_key_implILNS1_25lookback_scan_determinismE0ELb0ES3_N6thrust23THRUST_200600_302600_NS6detail15normal_iteratorINS9_10device_ptrIiEEEESE_SE_iNS9_10multipliesIiEENS9_8equal_toIiEEiEE10hipError_tPvRmT2_T3_T4_T5_mT6_T7_P12ihipStream_tbENKUlT_T0_E_clISt17integral_constantIbLb1EESZ_EEDaSU_SV_EUlSU_E_NS1_11comp_targetILNS1_3genE5ELNS1_11target_archE942ELNS1_3gpuE9ELNS1_3repE0EEENS1_30default_config_static_selectorELNS0_4arch9wavefront6targetE0EEEvT1_.numbered_sgpr, 0
	.set _ZN7rocprim17ROCPRIM_400000_NS6detail17trampoline_kernelINS0_14default_configENS1_27scan_by_key_config_selectorIiiEEZZNS1_16scan_by_key_implILNS1_25lookback_scan_determinismE0ELb0ES3_N6thrust23THRUST_200600_302600_NS6detail15normal_iteratorINS9_10device_ptrIiEEEESE_SE_iNS9_10multipliesIiEENS9_8equal_toIiEEiEE10hipError_tPvRmT2_T3_T4_T5_mT6_T7_P12ihipStream_tbENKUlT_T0_E_clISt17integral_constantIbLb1EESZ_EEDaSU_SV_EUlSU_E_NS1_11comp_targetILNS1_3genE5ELNS1_11target_archE942ELNS1_3gpuE9ELNS1_3repE0EEENS1_30default_config_static_selectorELNS0_4arch9wavefront6targetE0EEEvT1_.num_named_barrier, 0
	.set _ZN7rocprim17ROCPRIM_400000_NS6detail17trampoline_kernelINS0_14default_configENS1_27scan_by_key_config_selectorIiiEEZZNS1_16scan_by_key_implILNS1_25lookback_scan_determinismE0ELb0ES3_N6thrust23THRUST_200600_302600_NS6detail15normal_iteratorINS9_10device_ptrIiEEEESE_SE_iNS9_10multipliesIiEENS9_8equal_toIiEEiEE10hipError_tPvRmT2_T3_T4_T5_mT6_T7_P12ihipStream_tbENKUlT_T0_E_clISt17integral_constantIbLb1EESZ_EEDaSU_SV_EUlSU_E_NS1_11comp_targetILNS1_3genE5ELNS1_11target_archE942ELNS1_3gpuE9ELNS1_3repE0EEENS1_30default_config_static_selectorELNS0_4arch9wavefront6targetE0EEEvT1_.private_seg_size, 0
	.set _ZN7rocprim17ROCPRIM_400000_NS6detail17trampoline_kernelINS0_14default_configENS1_27scan_by_key_config_selectorIiiEEZZNS1_16scan_by_key_implILNS1_25lookback_scan_determinismE0ELb0ES3_N6thrust23THRUST_200600_302600_NS6detail15normal_iteratorINS9_10device_ptrIiEEEESE_SE_iNS9_10multipliesIiEENS9_8equal_toIiEEiEE10hipError_tPvRmT2_T3_T4_T5_mT6_T7_P12ihipStream_tbENKUlT_T0_E_clISt17integral_constantIbLb1EESZ_EEDaSU_SV_EUlSU_E_NS1_11comp_targetILNS1_3genE5ELNS1_11target_archE942ELNS1_3gpuE9ELNS1_3repE0EEENS1_30default_config_static_selectorELNS0_4arch9wavefront6targetE0EEEvT1_.uses_vcc, 0
	.set _ZN7rocprim17ROCPRIM_400000_NS6detail17trampoline_kernelINS0_14default_configENS1_27scan_by_key_config_selectorIiiEEZZNS1_16scan_by_key_implILNS1_25lookback_scan_determinismE0ELb0ES3_N6thrust23THRUST_200600_302600_NS6detail15normal_iteratorINS9_10device_ptrIiEEEESE_SE_iNS9_10multipliesIiEENS9_8equal_toIiEEiEE10hipError_tPvRmT2_T3_T4_T5_mT6_T7_P12ihipStream_tbENKUlT_T0_E_clISt17integral_constantIbLb1EESZ_EEDaSU_SV_EUlSU_E_NS1_11comp_targetILNS1_3genE5ELNS1_11target_archE942ELNS1_3gpuE9ELNS1_3repE0EEENS1_30default_config_static_selectorELNS0_4arch9wavefront6targetE0EEEvT1_.uses_flat_scratch, 0
	.set _ZN7rocprim17ROCPRIM_400000_NS6detail17trampoline_kernelINS0_14default_configENS1_27scan_by_key_config_selectorIiiEEZZNS1_16scan_by_key_implILNS1_25lookback_scan_determinismE0ELb0ES3_N6thrust23THRUST_200600_302600_NS6detail15normal_iteratorINS9_10device_ptrIiEEEESE_SE_iNS9_10multipliesIiEENS9_8equal_toIiEEiEE10hipError_tPvRmT2_T3_T4_T5_mT6_T7_P12ihipStream_tbENKUlT_T0_E_clISt17integral_constantIbLb1EESZ_EEDaSU_SV_EUlSU_E_NS1_11comp_targetILNS1_3genE5ELNS1_11target_archE942ELNS1_3gpuE9ELNS1_3repE0EEENS1_30default_config_static_selectorELNS0_4arch9wavefront6targetE0EEEvT1_.has_dyn_sized_stack, 0
	.set _ZN7rocprim17ROCPRIM_400000_NS6detail17trampoline_kernelINS0_14default_configENS1_27scan_by_key_config_selectorIiiEEZZNS1_16scan_by_key_implILNS1_25lookback_scan_determinismE0ELb0ES3_N6thrust23THRUST_200600_302600_NS6detail15normal_iteratorINS9_10device_ptrIiEEEESE_SE_iNS9_10multipliesIiEENS9_8equal_toIiEEiEE10hipError_tPvRmT2_T3_T4_T5_mT6_T7_P12ihipStream_tbENKUlT_T0_E_clISt17integral_constantIbLb1EESZ_EEDaSU_SV_EUlSU_E_NS1_11comp_targetILNS1_3genE5ELNS1_11target_archE942ELNS1_3gpuE9ELNS1_3repE0EEENS1_30default_config_static_selectorELNS0_4arch9wavefront6targetE0EEEvT1_.has_recursion, 0
	.set _ZN7rocprim17ROCPRIM_400000_NS6detail17trampoline_kernelINS0_14default_configENS1_27scan_by_key_config_selectorIiiEEZZNS1_16scan_by_key_implILNS1_25lookback_scan_determinismE0ELb0ES3_N6thrust23THRUST_200600_302600_NS6detail15normal_iteratorINS9_10device_ptrIiEEEESE_SE_iNS9_10multipliesIiEENS9_8equal_toIiEEiEE10hipError_tPvRmT2_T3_T4_T5_mT6_T7_P12ihipStream_tbENKUlT_T0_E_clISt17integral_constantIbLb1EESZ_EEDaSU_SV_EUlSU_E_NS1_11comp_targetILNS1_3genE5ELNS1_11target_archE942ELNS1_3gpuE9ELNS1_3repE0EEENS1_30default_config_static_selectorELNS0_4arch9wavefront6targetE0EEEvT1_.has_indirect_call, 0
	.section	.AMDGPU.csdata,"",@progbits
; Kernel info:
; codeLenInByte = 0
; TotalNumSgprs: 0
; NumVgprs: 0
; ScratchSize: 0
; MemoryBound: 0
; FloatMode: 240
; IeeeMode: 1
; LDSByteSize: 0 bytes/workgroup (compile time only)
; SGPRBlocks: 0
; VGPRBlocks: 0
; NumSGPRsForWavesPerEU: 1
; NumVGPRsForWavesPerEU: 1
; NamedBarCnt: 0
; Occupancy: 16
; WaveLimiterHint : 0
; COMPUTE_PGM_RSRC2:SCRATCH_EN: 0
; COMPUTE_PGM_RSRC2:USER_SGPR: 2
; COMPUTE_PGM_RSRC2:TRAP_HANDLER: 0
; COMPUTE_PGM_RSRC2:TGID_X_EN: 1
; COMPUTE_PGM_RSRC2:TGID_Y_EN: 0
; COMPUTE_PGM_RSRC2:TGID_Z_EN: 0
; COMPUTE_PGM_RSRC2:TIDIG_COMP_CNT: 0
	.section	.text._ZN7rocprim17ROCPRIM_400000_NS6detail17trampoline_kernelINS0_14default_configENS1_27scan_by_key_config_selectorIiiEEZZNS1_16scan_by_key_implILNS1_25lookback_scan_determinismE0ELb0ES3_N6thrust23THRUST_200600_302600_NS6detail15normal_iteratorINS9_10device_ptrIiEEEESE_SE_iNS9_10multipliesIiEENS9_8equal_toIiEEiEE10hipError_tPvRmT2_T3_T4_T5_mT6_T7_P12ihipStream_tbENKUlT_T0_E_clISt17integral_constantIbLb1EESZ_EEDaSU_SV_EUlSU_E_NS1_11comp_targetILNS1_3genE4ELNS1_11target_archE910ELNS1_3gpuE8ELNS1_3repE0EEENS1_30default_config_static_selectorELNS0_4arch9wavefront6targetE0EEEvT1_,"axG",@progbits,_ZN7rocprim17ROCPRIM_400000_NS6detail17trampoline_kernelINS0_14default_configENS1_27scan_by_key_config_selectorIiiEEZZNS1_16scan_by_key_implILNS1_25lookback_scan_determinismE0ELb0ES3_N6thrust23THRUST_200600_302600_NS6detail15normal_iteratorINS9_10device_ptrIiEEEESE_SE_iNS9_10multipliesIiEENS9_8equal_toIiEEiEE10hipError_tPvRmT2_T3_T4_T5_mT6_T7_P12ihipStream_tbENKUlT_T0_E_clISt17integral_constantIbLb1EESZ_EEDaSU_SV_EUlSU_E_NS1_11comp_targetILNS1_3genE4ELNS1_11target_archE910ELNS1_3gpuE8ELNS1_3repE0EEENS1_30default_config_static_selectorELNS0_4arch9wavefront6targetE0EEEvT1_,comdat
	.protected	_ZN7rocprim17ROCPRIM_400000_NS6detail17trampoline_kernelINS0_14default_configENS1_27scan_by_key_config_selectorIiiEEZZNS1_16scan_by_key_implILNS1_25lookback_scan_determinismE0ELb0ES3_N6thrust23THRUST_200600_302600_NS6detail15normal_iteratorINS9_10device_ptrIiEEEESE_SE_iNS9_10multipliesIiEENS9_8equal_toIiEEiEE10hipError_tPvRmT2_T3_T4_T5_mT6_T7_P12ihipStream_tbENKUlT_T0_E_clISt17integral_constantIbLb1EESZ_EEDaSU_SV_EUlSU_E_NS1_11comp_targetILNS1_3genE4ELNS1_11target_archE910ELNS1_3gpuE8ELNS1_3repE0EEENS1_30default_config_static_selectorELNS0_4arch9wavefront6targetE0EEEvT1_ ; -- Begin function _ZN7rocprim17ROCPRIM_400000_NS6detail17trampoline_kernelINS0_14default_configENS1_27scan_by_key_config_selectorIiiEEZZNS1_16scan_by_key_implILNS1_25lookback_scan_determinismE0ELb0ES3_N6thrust23THRUST_200600_302600_NS6detail15normal_iteratorINS9_10device_ptrIiEEEESE_SE_iNS9_10multipliesIiEENS9_8equal_toIiEEiEE10hipError_tPvRmT2_T3_T4_T5_mT6_T7_P12ihipStream_tbENKUlT_T0_E_clISt17integral_constantIbLb1EESZ_EEDaSU_SV_EUlSU_E_NS1_11comp_targetILNS1_3genE4ELNS1_11target_archE910ELNS1_3gpuE8ELNS1_3repE0EEENS1_30default_config_static_selectorELNS0_4arch9wavefront6targetE0EEEvT1_
	.globl	_ZN7rocprim17ROCPRIM_400000_NS6detail17trampoline_kernelINS0_14default_configENS1_27scan_by_key_config_selectorIiiEEZZNS1_16scan_by_key_implILNS1_25lookback_scan_determinismE0ELb0ES3_N6thrust23THRUST_200600_302600_NS6detail15normal_iteratorINS9_10device_ptrIiEEEESE_SE_iNS9_10multipliesIiEENS9_8equal_toIiEEiEE10hipError_tPvRmT2_T3_T4_T5_mT6_T7_P12ihipStream_tbENKUlT_T0_E_clISt17integral_constantIbLb1EESZ_EEDaSU_SV_EUlSU_E_NS1_11comp_targetILNS1_3genE4ELNS1_11target_archE910ELNS1_3gpuE8ELNS1_3repE0EEENS1_30default_config_static_selectorELNS0_4arch9wavefront6targetE0EEEvT1_
	.p2align	8
	.type	_ZN7rocprim17ROCPRIM_400000_NS6detail17trampoline_kernelINS0_14default_configENS1_27scan_by_key_config_selectorIiiEEZZNS1_16scan_by_key_implILNS1_25lookback_scan_determinismE0ELb0ES3_N6thrust23THRUST_200600_302600_NS6detail15normal_iteratorINS9_10device_ptrIiEEEESE_SE_iNS9_10multipliesIiEENS9_8equal_toIiEEiEE10hipError_tPvRmT2_T3_T4_T5_mT6_T7_P12ihipStream_tbENKUlT_T0_E_clISt17integral_constantIbLb1EESZ_EEDaSU_SV_EUlSU_E_NS1_11comp_targetILNS1_3genE4ELNS1_11target_archE910ELNS1_3gpuE8ELNS1_3repE0EEENS1_30default_config_static_selectorELNS0_4arch9wavefront6targetE0EEEvT1_,@function
_ZN7rocprim17ROCPRIM_400000_NS6detail17trampoline_kernelINS0_14default_configENS1_27scan_by_key_config_selectorIiiEEZZNS1_16scan_by_key_implILNS1_25lookback_scan_determinismE0ELb0ES3_N6thrust23THRUST_200600_302600_NS6detail15normal_iteratorINS9_10device_ptrIiEEEESE_SE_iNS9_10multipliesIiEENS9_8equal_toIiEEiEE10hipError_tPvRmT2_T3_T4_T5_mT6_T7_P12ihipStream_tbENKUlT_T0_E_clISt17integral_constantIbLb1EESZ_EEDaSU_SV_EUlSU_E_NS1_11comp_targetILNS1_3genE4ELNS1_11target_archE910ELNS1_3gpuE8ELNS1_3repE0EEENS1_30default_config_static_selectorELNS0_4arch9wavefront6targetE0EEEvT1_: ; @_ZN7rocprim17ROCPRIM_400000_NS6detail17trampoline_kernelINS0_14default_configENS1_27scan_by_key_config_selectorIiiEEZZNS1_16scan_by_key_implILNS1_25lookback_scan_determinismE0ELb0ES3_N6thrust23THRUST_200600_302600_NS6detail15normal_iteratorINS9_10device_ptrIiEEEESE_SE_iNS9_10multipliesIiEENS9_8equal_toIiEEiEE10hipError_tPvRmT2_T3_T4_T5_mT6_T7_P12ihipStream_tbENKUlT_T0_E_clISt17integral_constantIbLb1EESZ_EEDaSU_SV_EUlSU_E_NS1_11comp_targetILNS1_3genE4ELNS1_11target_archE910ELNS1_3gpuE8ELNS1_3repE0EEENS1_30default_config_static_selectorELNS0_4arch9wavefront6targetE0EEEvT1_
; %bb.0:
	.section	.rodata,"a",@progbits
	.p2align	6, 0x0
	.amdhsa_kernel _ZN7rocprim17ROCPRIM_400000_NS6detail17trampoline_kernelINS0_14default_configENS1_27scan_by_key_config_selectorIiiEEZZNS1_16scan_by_key_implILNS1_25lookback_scan_determinismE0ELb0ES3_N6thrust23THRUST_200600_302600_NS6detail15normal_iteratorINS9_10device_ptrIiEEEESE_SE_iNS9_10multipliesIiEENS9_8equal_toIiEEiEE10hipError_tPvRmT2_T3_T4_T5_mT6_T7_P12ihipStream_tbENKUlT_T0_E_clISt17integral_constantIbLb1EESZ_EEDaSU_SV_EUlSU_E_NS1_11comp_targetILNS1_3genE4ELNS1_11target_archE910ELNS1_3gpuE8ELNS1_3repE0EEENS1_30default_config_static_selectorELNS0_4arch9wavefront6targetE0EEEvT1_
		.amdhsa_group_segment_fixed_size 0
		.amdhsa_private_segment_fixed_size 0
		.amdhsa_kernarg_size 112
		.amdhsa_user_sgpr_count 2
		.amdhsa_user_sgpr_dispatch_ptr 0
		.amdhsa_user_sgpr_queue_ptr 0
		.amdhsa_user_sgpr_kernarg_segment_ptr 1
		.amdhsa_user_sgpr_dispatch_id 0
		.amdhsa_user_sgpr_kernarg_preload_length 0
		.amdhsa_user_sgpr_kernarg_preload_offset 0
		.amdhsa_user_sgpr_private_segment_size 0
		.amdhsa_wavefront_size32 1
		.amdhsa_uses_dynamic_stack 0
		.amdhsa_enable_private_segment 0
		.amdhsa_system_sgpr_workgroup_id_x 1
		.amdhsa_system_sgpr_workgroup_id_y 0
		.amdhsa_system_sgpr_workgroup_id_z 0
		.amdhsa_system_sgpr_workgroup_info 0
		.amdhsa_system_vgpr_workitem_id 0
		.amdhsa_next_free_vgpr 1
		.amdhsa_next_free_sgpr 1
		.amdhsa_named_barrier_count 0
		.amdhsa_reserve_vcc 0
		.amdhsa_float_round_mode_32 0
		.amdhsa_float_round_mode_16_64 0
		.amdhsa_float_denorm_mode_32 3
		.amdhsa_float_denorm_mode_16_64 3
		.amdhsa_fp16_overflow 0
		.amdhsa_memory_ordered 1
		.amdhsa_forward_progress 1
		.amdhsa_inst_pref_size 0
		.amdhsa_round_robin_scheduling 0
		.amdhsa_exception_fp_ieee_invalid_op 0
		.amdhsa_exception_fp_denorm_src 0
		.amdhsa_exception_fp_ieee_div_zero 0
		.amdhsa_exception_fp_ieee_overflow 0
		.amdhsa_exception_fp_ieee_underflow 0
		.amdhsa_exception_fp_ieee_inexact 0
		.amdhsa_exception_int_div_zero 0
	.end_amdhsa_kernel
	.section	.text._ZN7rocprim17ROCPRIM_400000_NS6detail17trampoline_kernelINS0_14default_configENS1_27scan_by_key_config_selectorIiiEEZZNS1_16scan_by_key_implILNS1_25lookback_scan_determinismE0ELb0ES3_N6thrust23THRUST_200600_302600_NS6detail15normal_iteratorINS9_10device_ptrIiEEEESE_SE_iNS9_10multipliesIiEENS9_8equal_toIiEEiEE10hipError_tPvRmT2_T3_T4_T5_mT6_T7_P12ihipStream_tbENKUlT_T0_E_clISt17integral_constantIbLb1EESZ_EEDaSU_SV_EUlSU_E_NS1_11comp_targetILNS1_3genE4ELNS1_11target_archE910ELNS1_3gpuE8ELNS1_3repE0EEENS1_30default_config_static_selectorELNS0_4arch9wavefront6targetE0EEEvT1_,"axG",@progbits,_ZN7rocprim17ROCPRIM_400000_NS6detail17trampoline_kernelINS0_14default_configENS1_27scan_by_key_config_selectorIiiEEZZNS1_16scan_by_key_implILNS1_25lookback_scan_determinismE0ELb0ES3_N6thrust23THRUST_200600_302600_NS6detail15normal_iteratorINS9_10device_ptrIiEEEESE_SE_iNS9_10multipliesIiEENS9_8equal_toIiEEiEE10hipError_tPvRmT2_T3_T4_T5_mT6_T7_P12ihipStream_tbENKUlT_T0_E_clISt17integral_constantIbLb1EESZ_EEDaSU_SV_EUlSU_E_NS1_11comp_targetILNS1_3genE4ELNS1_11target_archE910ELNS1_3gpuE8ELNS1_3repE0EEENS1_30default_config_static_selectorELNS0_4arch9wavefront6targetE0EEEvT1_,comdat
.Lfunc_end176:
	.size	_ZN7rocprim17ROCPRIM_400000_NS6detail17trampoline_kernelINS0_14default_configENS1_27scan_by_key_config_selectorIiiEEZZNS1_16scan_by_key_implILNS1_25lookback_scan_determinismE0ELb0ES3_N6thrust23THRUST_200600_302600_NS6detail15normal_iteratorINS9_10device_ptrIiEEEESE_SE_iNS9_10multipliesIiEENS9_8equal_toIiEEiEE10hipError_tPvRmT2_T3_T4_T5_mT6_T7_P12ihipStream_tbENKUlT_T0_E_clISt17integral_constantIbLb1EESZ_EEDaSU_SV_EUlSU_E_NS1_11comp_targetILNS1_3genE4ELNS1_11target_archE910ELNS1_3gpuE8ELNS1_3repE0EEENS1_30default_config_static_selectorELNS0_4arch9wavefront6targetE0EEEvT1_, .Lfunc_end176-_ZN7rocprim17ROCPRIM_400000_NS6detail17trampoline_kernelINS0_14default_configENS1_27scan_by_key_config_selectorIiiEEZZNS1_16scan_by_key_implILNS1_25lookback_scan_determinismE0ELb0ES3_N6thrust23THRUST_200600_302600_NS6detail15normal_iteratorINS9_10device_ptrIiEEEESE_SE_iNS9_10multipliesIiEENS9_8equal_toIiEEiEE10hipError_tPvRmT2_T3_T4_T5_mT6_T7_P12ihipStream_tbENKUlT_T0_E_clISt17integral_constantIbLb1EESZ_EEDaSU_SV_EUlSU_E_NS1_11comp_targetILNS1_3genE4ELNS1_11target_archE910ELNS1_3gpuE8ELNS1_3repE0EEENS1_30default_config_static_selectorELNS0_4arch9wavefront6targetE0EEEvT1_
                                        ; -- End function
	.set _ZN7rocprim17ROCPRIM_400000_NS6detail17trampoline_kernelINS0_14default_configENS1_27scan_by_key_config_selectorIiiEEZZNS1_16scan_by_key_implILNS1_25lookback_scan_determinismE0ELb0ES3_N6thrust23THRUST_200600_302600_NS6detail15normal_iteratorINS9_10device_ptrIiEEEESE_SE_iNS9_10multipliesIiEENS9_8equal_toIiEEiEE10hipError_tPvRmT2_T3_T4_T5_mT6_T7_P12ihipStream_tbENKUlT_T0_E_clISt17integral_constantIbLb1EESZ_EEDaSU_SV_EUlSU_E_NS1_11comp_targetILNS1_3genE4ELNS1_11target_archE910ELNS1_3gpuE8ELNS1_3repE0EEENS1_30default_config_static_selectorELNS0_4arch9wavefront6targetE0EEEvT1_.num_vgpr, 0
	.set _ZN7rocprim17ROCPRIM_400000_NS6detail17trampoline_kernelINS0_14default_configENS1_27scan_by_key_config_selectorIiiEEZZNS1_16scan_by_key_implILNS1_25lookback_scan_determinismE0ELb0ES3_N6thrust23THRUST_200600_302600_NS6detail15normal_iteratorINS9_10device_ptrIiEEEESE_SE_iNS9_10multipliesIiEENS9_8equal_toIiEEiEE10hipError_tPvRmT2_T3_T4_T5_mT6_T7_P12ihipStream_tbENKUlT_T0_E_clISt17integral_constantIbLb1EESZ_EEDaSU_SV_EUlSU_E_NS1_11comp_targetILNS1_3genE4ELNS1_11target_archE910ELNS1_3gpuE8ELNS1_3repE0EEENS1_30default_config_static_selectorELNS0_4arch9wavefront6targetE0EEEvT1_.num_agpr, 0
	.set _ZN7rocprim17ROCPRIM_400000_NS6detail17trampoline_kernelINS0_14default_configENS1_27scan_by_key_config_selectorIiiEEZZNS1_16scan_by_key_implILNS1_25lookback_scan_determinismE0ELb0ES3_N6thrust23THRUST_200600_302600_NS6detail15normal_iteratorINS9_10device_ptrIiEEEESE_SE_iNS9_10multipliesIiEENS9_8equal_toIiEEiEE10hipError_tPvRmT2_T3_T4_T5_mT6_T7_P12ihipStream_tbENKUlT_T0_E_clISt17integral_constantIbLb1EESZ_EEDaSU_SV_EUlSU_E_NS1_11comp_targetILNS1_3genE4ELNS1_11target_archE910ELNS1_3gpuE8ELNS1_3repE0EEENS1_30default_config_static_selectorELNS0_4arch9wavefront6targetE0EEEvT1_.numbered_sgpr, 0
	.set _ZN7rocprim17ROCPRIM_400000_NS6detail17trampoline_kernelINS0_14default_configENS1_27scan_by_key_config_selectorIiiEEZZNS1_16scan_by_key_implILNS1_25lookback_scan_determinismE0ELb0ES3_N6thrust23THRUST_200600_302600_NS6detail15normal_iteratorINS9_10device_ptrIiEEEESE_SE_iNS9_10multipliesIiEENS9_8equal_toIiEEiEE10hipError_tPvRmT2_T3_T4_T5_mT6_T7_P12ihipStream_tbENKUlT_T0_E_clISt17integral_constantIbLb1EESZ_EEDaSU_SV_EUlSU_E_NS1_11comp_targetILNS1_3genE4ELNS1_11target_archE910ELNS1_3gpuE8ELNS1_3repE0EEENS1_30default_config_static_selectorELNS0_4arch9wavefront6targetE0EEEvT1_.num_named_barrier, 0
	.set _ZN7rocprim17ROCPRIM_400000_NS6detail17trampoline_kernelINS0_14default_configENS1_27scan_by_key_config_selectorIiiEEZZNS1_16scan_by_key_implILNS1_25lookback_scan_determinismE0ELb0ES3_N6thrust23THRUST_200600_302600_NS6detail15normal_iteratorINS9_10device_ptrIiEEEESE_SE_iNS9_10multipliesIiEENS9_8equal_toIiEEiEE10hipError_tPvRmT2_T3_T4_T5_mT6_T7_P12ihipStream_tbENKUlT_T0_E_clISt17integral_constantIbLb1EESZ_EEDaSU_SV_EUlSU_E_NS1_11comp_targetILNS1_3genE4ELNS1_11target_archE910ELNS1_3gpuE8ELNS1_3repE0EEENS1_30default_config_static_selectorELNS0_4arch9wavefront6targetE0EEEvT1_.private_seg_size, 0
	.set _ZN7rocprim17ROCPRIM_400000_NS6detail17trampoline_kernelINS0_14default_configENS1_27scan_by_key_config_selectorIiiEEZZNS1_16scan_by_key_implILNS1_25lookback_scan_determinismE0ELb0ES3_N6thrust23THRUST_200600_302600_NS6detail15normal_iteratorINS9_10device_ptrIiEEEESE_SE_iNS9_10multipliesIiEENS9_8equal_toIiEEiEE10hipError_tPvRmT2_T3_T4_T5_mT6_T7_P12ihipStream_tbENKUlT_T0_E_clISt17integral_constantIbLb1EESZ_EEDaSU_SV_EUlSU_E_NS1_11comp_targetILNS1_3genE4ELNS1_11target_archE910ELNS1_3gpuE8ELNS1_3repE0EEENS1_30default_config_static_selectorELNS0_4arch9wavefront6targetE0EEEvT1_.uses_vcc, 0
	.set _ZN7rocprim17ROCPRIM_400000_NS6detail17trampoline_kernelINS0_14default_configENS1_27scan_by_key_config_selectorIiiEEZZNS1_16scan_by_key_implILNS1_25lookback_scan_determinismE0ELb0ES3_N6thrust23THRUST_200600_302600_NS6detail15normal_iteratorINS9_10device_ptrIiEEEESE_SE_iNS9_10multipliesIiEENS9_8equal_toIiEEiEE10hipError_tPvRmT2_T3_T4_T5_mT6_T7_P12ihipStream_tbENKUlT_T0_E_clISt17integral_constantIbLb1EESZ_EEDaSU_SV_EUlSU_E_NS1_11comp_targetILNS1_3genE4ELNS1_11target_archE910ELNS1_3gpuE8ELNS1_3repE0EEENS1_30default_config_static_selectorELNS0_4arch9wavefront6targetE0EEEvT1_.uses_flat_scratch, 0
	.set _ZN7rocprim17ROCPRIM_400000_NS6detail17trampoline_kernelINS0_14default_configENS1_27scan_by_key_config_selectorIiiEEZZNS1_16scan_by_key_implILNS1_25lookback_scan_determinismE0ELb0ES3_N6thrust23THRUST_200600_302600_NS6detail15normal_iteratorINS9_10device_ptrIiEEEESE_SE_iNS9_10multipliesIiEENS9_8equal_toIiEEiEE10hipError_tPvRmT2_T3_T4_T5_mT6_T7_P12ihipStream_tbENKUlT_T0_E_clISt17integral_constantIbLb1EESZ_EEDaSU_SV_EUlSU_E_NS1_11comp_targetILNS1_3genE4ELNS1_11target_archE910ELNS1_3gpuE8ELNS1_3repE0EEENS1_30default_config_static_selectorELNS0_4arch9wavefront6targetE0EEEvT1_.has_dyn_sized_stack, 0
	.set _ZN7rocprim17ROCPRIM_400000_NS6detail17trampoline_kernelINS0_14default_configENS1_27scan_by_key_config_selectorIiiEEZZNS1_16scan_by_key_implILNS1_25lookback_scan_determinismE0ELb0ES3_N6thrust23THRUST_200600_302600_NS6detail15normal_iteratorINS9_10device_ptrIiEEEESE_SE_iNS9_10multipliesIiEENS9_8equal_toIiEEiEE10hipError_tPvRmT2_T3_T4_T5_mT6_T7_P12ihipStream_tbENKUlT_T0_E_clISt17integral_constantIbLb1EESZ_EEDaSU_SV_EUlSU_E_NS1_11comp_targetILNS1_3genE4ELNS1_11target_archE910ELNS1_3gpuE8ELNS1_3repE0EEENS1_30default_config_static_selectorELNS0_4arch9wavefront6targetE0EEEvT1_.has_recursion, 0
	.set _ZN7rocprim17ROCPRIM_400000_NS6detail17trampoline_kernelINS0_14default_configENS1_27scan_by_key_config_selectorIiiEEZZNS1_16scan_by_key_implILNS1_25lookback_scan_determinismE0ELb0ES3_N6thrust23THRUST_200600_302600_NS6detail15normal_iteratorINS9_10device_ptrIiEEEESE_SE_iNS9_10multipliesIiEENS9_8equal_toIiEEiEE10hipError_tPvRmT2_T3_T4_T5_mT6_T7_P12ihipStream_tbENKUlT_T0_E_clISt17integral_constantIbLb1EESZ_EEDaSU_SV_EUlSU_E_NS1_11comp_targetILNS1_3genE4ELNS1_11target_archE910ELNS1_3gpuE8ELNS1_3repE0EEENS1_30default_config_static_selectorELNS0_4arch9wavefront6targetE0EEEvT1_.has_indirect_call, 0
	.section	.AMDGPU.csdata,"",@progbits
; Kernel info:
; codeLenInByte = 0
; TotalNumSgprs: 0
; NumVgprs: 0
; ScratchSize: 0
; MemoryBound: 0
; FloatMode: 240
; IeeeMode: 1
; LDSByteSize: 0 bytes/workgroup (compile time only)
; SGPRBlocks: 0
; VGPRBlocks: 0
; NumSGPRsForWavesPerEU: 1
; NumVGPRsForWavesPerEU: 1
; NamedBarCnt: 0
; Occupancy: 16
; WaveLimiterHint : 0
; COMPUTE_PGM_RSRC2:SCRATCH_EN: 0
; COMPUTE_PGM_RSRC2:USER_SGPR: 2
; COMPUTE_PGM_RSRC2:TRAP_HANDLER: 0
; COMPUTE_PGM_RSRC2:TGID_X_EN: 1
; COMPUTE_PGM_RSRC2:TGID_Y_EN: 0
; COMPUTE_PGM_RSRC2:TGID_Z_EN: 0
; COMPUTE_PGM_RSRC2:TIDIG_COMP_CNT: 0
	.section	.text._ZN7rocprim17ROCPRIM_400000_NS6detail17trampoline_kernelINS0_14default_configENS1_27scan_by_key_config_selectorIiiEEZZNS1_16scan_by_key_implILNS1_25lookback_scan_determinismE0ELb0ES3_N6thrust23THRUST_200600_302600_NS6detail15normal_iteratorINS9_10device_ptrIiEEEESE_SE_iNS9_10multipliesIiEENS9_8equal_toIiEEiEE10hipError_tPvRmT2_T3_T4_T5_mT6_T7_P12ihipStream_tbENKUlT_T0_E_clISt17integral_constantIbLb1EESZ_EEDaSU_SV_EUlSU_E_NS1_11comp_targetILNS1_3genE3ELNS1_11target_archE908ELNS1_3gpuE7ELNS1_3repE0EEENS1_30default_config_static_selectorELNS0_4arch9wavefront6targetE0EEEvT1_,"axG",@progbits,_ZN7rocprim17ROCPRIM_400000_NS6detail17trampoline_kernelINS0_14default_configENS1_27scan_by_key_config_selectorIiiEEZZNS1_16scan_by_key_implILNS1_25lookback_scan_determinismE0ELb0ES3_N6thrust23THRUST_200600_302600_NS6detail15normal_iteratorINS9_10device_ptrIiEEEESE_SE_iNS9_10multipliesIiEENS9_8equal_toIiEEiEE10hipError_tPvRmT2_T3_T4_T5_mT6_T7_P12ihipStream_tbENKUlT_T0_E_clISt17integral_constantIbLb1EESZ_EEDaSU_SV_EUlSU_E_NS1_11comp_targetILNS1_3genE3ELNS1_11target_archE908ELNS1_3gpuE7ELNS1_3repE0EEENS1_30default_config_static_selectorELNS0_4arch9wavefront6targetE0EEEvT1_,comdat
	.protected	_ZN7rocprim17ROCPRIM_400000_NS6detail17trampoline_kernelINS0_14default_configENS1_27scan_by_key_config_selectorIiiEEZZNS1_16scan_by_key_implILNS1_25lookback_scan_determinismE0ELb0ES3_N6thrust23THRUST_200600_302600_NS6detail15normal_iteratorINS9_10device_ptrIiEEEESE_SE_iNS9_10multipliesIiEENS9_8equal_toIiEEiEE10hipError_tPvRmT2_T3_T4_T5_mT6_T7_P12ihipStream_tbENKUlT_T0_E_clISt17integral_constantIbLb1EESZ_EEDaSU_SV_EUlSU_E_NS1_11comp_targetILNS1_3genE3ELNS1_11target_archE908ELNS1_3gpuE7ELNS1_3repE0EEENS1_30default_config_static_selectorELNS0_4arch9wavefront6targetE0EEEvT1_ ; -- Begin function _ZN7rocprim17ROCPRIM_400000_NS6detail17trampoline_kernelINS0_14default_configENS1_27scan_by_key_config_selectorIiiEEZZNS1_16scan_by_key_implILNS1_25lookback_scan_determinismE0ELb0ES3_N6thrust23THRUST_200600_302600_NS6detail15normal_iteratorINS9_10device_ptrIiEEEESE_SE_iNS9_10multipliesIiEENS9_8equal_toIiEEiEE10hipError_tPvRmT2_T3_T4_T5_mT6_T7_P12ihipStream_tbENKUlT_T0_E_clISt17integral_constantIbLb1EESZ_EEDaSU_SV_EUlSU_E_NS1_11comp_targetILNS1_3genE3ELNS1_11target_archE908ELNS1_3gpuE7ELNS1_3repE0EEENS1_30default_config_static_selectorELNS0_4arch9wavefront6targetE0EEEvT1_
	.globl	_ZN7rocprim17ROCPRIM_400000_NS6detail17trampoline_kernelINS0_14default_configENS1_27scan_by_key_config_selectorIiiEEZZNS1_16scan_by_key_implILNS1_25lookback_scan_determinismE0ELb0ES3_N6thrust23THRUST_200600_302600_NS6detail15normal_iteratorINS9_10device_ptrIiEEEESE_SE_iNS9_10multipliesIiEENS9_8equal_toIiEEiEE10hipError_tPvRmT2_T3_T4_T5_mT6_T7_P12ihipStream_tbENKUlT_T0_E_clISt17integral_constantIbLb1EESZ_EEDaSU_SV_EUlSU_E_NS1_11comp_targetILNS1_3genE3ELNS1_11target_archE908ELNS1_3gpuE7ELNS1_3repE0EEENS1_30default_config_static_selectorELNS0_4arch9wavefront6targetE0EEEvT1_
	.p2align	8
	.type	_ZN7rocprim17ROCPRIM_400000_NS6detail17trampoline_kernelINS0_14default_configENS1_27scan_by_key_config_selectorIiiEEZZNS1_16scan_by_key_implILNS1_25lookback_scan_determinismE0ELb0ES3_N6thrust23THRUST_200600_302600_NS6detail15normal_iteratorINS9_10device_ptrIiEEEESE_SE_iNS9_10multipliesIiEENS9_8equal_toIiEEiEE10hipError_tPvRmT2_T3_T4_T5_mT6_T7_P12ihipStream_tbENKUlT_T0_E_clISt17integral_constantIbLb1EESZ_EEDaSU_SV_EUlSU_E_NS1_11comp_targetILNS1_3genE3ELNS1_11target_archE908ELNS1_3gpuE7ELNS1_3repE0EEENS1_30default_config_static_selectorELNS0_4arch9wavefront6targetE0EEEvT1_,@function
_ZN7rocprim17ROCPRIM_400000_NS6detail17trampoline_kernelINS0_14default_configENS1_27scan_by_key_config_selectorIiiEEZZNS1_16scan_by_key_implILNS1_25lookback_scan_determinismE0ELb0ES3_N6thrust23THRUST_200600_302600_NS6detail15normal_iteratorINS9_10device_ptrIiEEEESE_SE_iNS9_10multipliesIiEENS9_8equal_toIiEEiEE10hipError_tPvRmT2_T3_T4_T5_mT6_T7_P12ihipStream_tbENKUlT_T0_E_clISt17integral_constantIbLb1EESZ_EEDaSU_SV_EUlSU_E_NS1_11comp_targetILNS1_3genE3ELNS1_11target_archE908ELNS1_3gpuE7ELNS1_3repE0EEENS1_30default_config_static_selectorELNS0_4arch9wavefront6targetE0EEEvT1_: ; @_ZN7rocprim17ROCPRIM_400000_NS6detail17trampoline_kernelINS0_14default_configENS1_27scan_by_key_config_selectorIiiEEZZNS1_16scan_by_key_implILNS1_25lookback_scan_determinismE0ELb0ES3_N6thrust23THRUST_200600_302600_NS6detail15normal_iteratorINS9_10device_ptrIiEEEESE_SE_iNS9_10multipliesIiEENS9_8equal_toIiEEiEE10hipError_tPvRmT2_T3_T4_T5_mT6_T7_P12ihipStream_tbENKUlT_T0_E_clISt17integral_constantIbLb1EESZ_EEDaSU_SV_EUlSU_E_NS1_11comp_targetILNS1_3genE3ELNS1_11target_archE908ELNS1_3gpuE7ELNS1_3repE0EEENS1_30default_config_static_selectorELNS0_4arch9wavefront6targetE0EEEvT1_
; %bb.0:
	.section	.rodata,"a",@progbits
	.p2align	6, 0x0
	.amdhsa_kernel _ZN7rocprim17ROCPRIM_400000_NS6detail17trampoline_kernelINS0_14default_configENS1_27scan_by_key_config_selectorIiiEEZZNS1_16scan_by_key_implILNS1_25lookback_scan_determinismE0ELb0ES3_N6thrust23THRUST_200600_302600_NS6detail15normal_iteratorINS9_10device_ptrIiEEEESE_SE_iNS9_10multipliesIiEENS9_8equal_toIiEEiEE10hipError_tPvRmT2_T3_T4_T5_mT6_T7_P12ihipStream_tbENKUlT_T0_E_clISt17integral_constantIbLb1EESZ_EEDaSU_SV_EUlSU_E_NS1_11comp_targetILNS1_3genE3ELNS1_11target_archE908ELNS1_3gpuE7ELNS1_3repE0EEENS1_30default_config_static_selectorELNS0_4arch9wavefront6targetE0EEEvT1_
		.amdhsa_group_segment_fixed_size 0
		.amdhsa_private_segment_fixed_size 0
		.amdhsa_kernarg_size 112
		.amdhsa_user_sgpr_count 2
		.amdhsa_user_sgpr_dispatch_ptr 0
		.amdhsa_user_sgpr_queue_ptr 0
		.amdhsa_user_sgpr_kernarg_segment_ptr 1
		.amdhsa_user_sgpr_dispatch_id 0
		.amdhsa_user_sgpr_kernarg_preload_length 0
		.amdhsa_user_sgpr_kernarg_preload_offset 0
		.amdhsa_user_sgpr_private_segment_size 0
		.amdhsa_wavefront_size32 1
		.amdhsa_uses_dynamic_stack 0
		.amdhsa_enable_private_segment 0
		.amdhsa_system_sgpr_workgroup_id_x 1
		.amdhsa_system_sgpr_workgroup_id_y 0
		.amdhsa_system_sgpr_workgroup_id_z 0
		.amdhsa_system_sgpr_workgroup_info 0
		.amdhsa_system_vgpr_workitem_id 0
		.amdhsa_next_free_vgpr 1
		.amdhsa_next_free_sgpr 1
		.amdhsa_named_barrier_count 0
		.amdhsa_reserve_vcc 0
		.amdhsa_float_round_mode_32 0
		.amdhsa_float_round_mode_16_64 0
		.amdhsa_float_denorm_mode_32 3
		.amdhsa_float_denorm_mode_16_64 3
		.amdhsa_fp16_overflow 0
		.amdhsa_memory_ordered 1
		.amdhsa_forward_progress 1
		.amdhsa_inst_pref_size 0
		.amdhsa_round_robin_scheduling 0
		.amdhsa_exception_fp_ieee_invalid_op 0
		.amdhsa_exception_fp_denorm_src 0
		.amdhsa_exception_fp_ieee_div_zero 0
		.amdhsa_exception_fp_ieee_overflow 0
		.amdhsa_exception_fp_ieee_underflow 0
		.amdhsa_exception_fp_ieee_inexact 0
		.amdhsa_exception_int_div_zero 0
	.end_amdhsa_kernel
	.section	.text._ZN7rocprim17ROCPRIM_400000_NS6detail17trampoline_kernelINS0_14default_configENS1_27scan_by_key_config_selectorIiiEEZZNS1_16scan_by_key_implILNS1_25lookback_scan_determinismE0ELb0ES3_N6thrust23THRUST_200600_302600_NS6detail15normal_iteratorINS9_10device_ptrIiEEEESE_SE_iNS9_10multipliesIiEENS9_8equal_toIiEEiEE10hipError_tPvRmT2_T3_T4_T5_mT6_T7_P12ihipStream_tbENKUlT_T0_E_clISt17integral_constantIbLb1EESZ_EEDaSU_SV_EUlSU_E_NS1_11comp_targetILNS1_3genE3ELNS1_11target_archE908ELNS1_3gpuE7ELNS1_3repE0EEENS1_30default_config_static_selectorELNS0_4arch9wavefront6targetE0EEEvT1_,"axG",@progbits,_ZN7rocprim17ROCPRIM_400000_NS6detail17trampoline_kernelINS0_14default_configENS1_27scan_by_key_config_selectorIiiEEZZNS1_16scan_by_key_implILNS1_25lookback_scan_determinismE0ELb0ES3_N6thrust23THRUST_200600_302600_NS6detail15normal_iteratorINS9_10device_ptrIiEEEESE_SE_iNS9_10multipliesIiEENS9_8equal_toIiEEiEE10hipError_tPvRmT2_T3_T4_T5_mT6_T7_P12ihipStream_tbENKUlT_T0_E_clISt17integral_constantIbLb1EESZ_EEDaSU_SV_EUlSU_E_NS1_11comp_targetILNS1_3genE3ELNS1_11target_archE908ELNS1_3gpuE7ELNS1_3repE0EEENS1_30default_config_static_selectorELNS0_4arch9wavefront6targetE0EEEvT1_,comdat
.Lfunc_end177:
	.size	_ZN7rocprim17ROCPRIM_400000_NS6detail17trampoline_kernelINS0_14default_configENS1_27scan_by_key_config_selectorIiiEEZZNS1_16scan_by_key_implILNS1_25lookback_scan_determinismE0ELb0ES3_N6thrust23THRUST_200600_302600_NS6detail15normal_iteratorINS9_10device_ptrIiEEEESE_SE_iNS9_10multipliesIiEENS9_8equal_toIiEEiEE10hipError_tPvRmT2_T3_T4_T5_mT6_T7_P12ihipStream_tbENKUlT_T0_E_clISt17integral_constantIbLb1EESZ_EEDaSU_SV_EUlSU_E_NS1_11comp_targetILNS1_3genE3ELNS1_11target_archE908ELNS1_3gpuE7ELNS1_3repE0EEENS1_30default_config_static_selectorELNS0_4arch9wavefront6targetE0EEEvT1_, .Lfunc_end177-_ZN7rocprim17ROCPRIM_400000_NS6detail17trampoline_kernelINS0_14default_configENS1_27scan_by_key_config_selectorIiiEEZZNS1_16scan_by_key_implILNS1_25lookback_scan_determinismE0ELb0ES3_N6thrust23THRUST_200600_302600_NS6detail15normal_iteratorINS9_10device_ptrIiEEEESE_SE_iNS9_10multipliesIiEENS9_8equal_toIiEEiEE10hipError_tPvRmT2_T3_T4_T5_mT6_T7_P12ihipStream_tbENKUlT_T0_E_clISt17integral_constantIbLb1EESZ_EEDaSU_SV_EUlSU_E_NS1_11comp_targetILNS1_3genE3ELNS1_11target_archE908ELNS1_3gpuE7ELNS1_3repE0EEENS1_30default_config_static_selectorELNS0_4arch9wavefront6targetE0EEEvT1_
                                        ; -- End function
	.set _ZN7rocprim17ROCPRIM_400000_NS6detail17trampoline_kernelINS0_14default_configENS1_27scan_by_key_config_selectorIiiEEZZNS1_16scan_by_key_implILNS1_25lookback_scan_determinismE0ELb0ES3_N6thrust23THRUST_200600_302600_NS6detail15normal_iteratorINS9_10device_ptrIiEEEESE_SE_iNS9_10multipliesIiEENS9_8equal_toIiEEiEE10hipError_tPvRmT2_T3_T4_T5_mT6_T7_P12ihipStream_tbENKUlT_T0_E_clISt17integral_constantIbLb1EESZ_EEDaSU_SV_EUlSU_E_NS1_11comp_targetILNS1_3genE3ELNS1_11target_archE908ELNS1_3gpuE7ELNS1_3repE0EEENS1_30default_config_static_selectorELNS0_4arch9wavefront6targetE0EEEvT1_.num_vgpr, 0
	.set _ZN7rocprim17ROCPRIM_400000_NS6detail17trampoline_kernelINS0_14default_configENS1_27scan_by_key_config_selectorIiiEEZZNS1_16scan_by_key_implILNS1_25lookback_scan_determinismE0ELb0ES3_N6thrust23THRUST_200600_302600_NS6detail15normal_iteratorINS9_10device_ptrIiEEEESE_SE_iNS9_10multipliesIiEENS9_8equal_toIiEEiEE10hipError_tPvRmT2_T3_T4_T5_mT6_T7_P12ihipStream_tbENKUlT_T0_E_clISt17integral_constantIbLb1EESZ_EEDaSU_SV_EUlSU_E_NS1_11comp_targetILNS1_3genE3ELNS1_11target_archE908ELNS1_3gpuE7ELNS1_3repE0EEENS1_30default_config_static_selectorELNS0_4arch9wavefront6targetE0EEEvT1_.num_agpr, 0
	.set _ZN7rocprim17ROCPRIM_400000_NS6detail17trampoline_kernelINS0_14default_configENS1_27scan_by_key_config_selectorIiiEEZZNS1_16scan_by_key_implILNS1_25lookback_scan_determinismE0ELb0ES3_N6thrust23THRUST_200600_302600_NS6detail15normal_iteratorINS9_10device_ptrIiEEEESE_SE_iNS9_10multipliesIiEENS9_8equal_toIiEEiEE10hipError_tPvRmT2_T3_T4_T5_mT6_T7_P12ihipStream_tbENKUlT_T0_E_clISt17integral_constantIbLb1EESZ_EEDaSU_SV_EUlSU_E_NS1_11comp_targetILNS1_3genE3ELNS1_11target_archE908ELNS1_3gpuE7ELNS1_3repE0EEENS1_30default_config_static_selectorELNS0_4arch9wavefront6targetE0EEEvT1_.numbered_sgpr, 0
	.set _ZN7rocprim17ROCPRIM_400000_NS6detail17trampoline_kernelINS0_14default_configENS1_27scan_by_key_config_selectorIiiEEZZNS1_16scan_by_key_implILNS1_25lookback_scan_determinismE0ELb0ES3_N6thrust23THRUST_200600_302600_NS6detail15normal_iteratorINS9_10device_ptrIiEEEESE_SE_iNS9_10multipliesIiEENS9_8equal_toIiEEiEE10hipError_tPvRmT2_T3_T4_T5_mT6_T7_P12ihipStream_tbENKUlT_T0_E_clISt17integral_constantIbLb1EESZ_EEDaSU_SV_EUlSU_E_NS1_11comp_targetILNS1_3genE3ELNS1_11target_archE908ELNS1_3gpuE7ELNS1_3repE0EEENS1_30default_config_static_selectorELNS0_4arch9wavefront6targetE0EEEvT1_.num_named_barrier, 0
	.set _ZN7rocprim17ROCPRIM_400000_NS6detail17trampoline_kernelINS0_14default_configENS1_27scan_by_key_config_selectorIiiEEZZNS1_16scan_by_key_implILNS1_25lookback_scan_determinismE0ELb0ES3_N6thrust23THRUST_200600_302600_NS6detail15normal_iteratorINS9_10device_ptrIiEEEESE_SE_iNS9_10multipliesIiEENS9_8equal_toIiEEiEE10hipError_tPvRmT2_T3_T4_T5_mT6_T7_P12ihipStream_tbENKUlT_T0_E_clISt17integral_constantIbLb1EESZ_EEDaSU_SV_EUlSU_E_NS1_11comp_targetILNS1_3genE3ELNS1_11target_archE908ELNS1_3gpuE7ELNS1_3repE0EEENS1_30default_config_static_selectorELNS0_4arch9wavefront6targetE0EEEvT1_.private_seg_size, 0
	.set _ZN7rocprim17ROCPRIM_400000_NS6detail17trampoline_kernelINS0_14default_configENS1_27scan_by_key_config_selectorIiiEEZZNS1_16scan_by_key_implILNS1_25lookback_scan_determinismE0ELb0ES3_N6thrust23THRUST_200600_302600_NS6detail15normal_iteratorINS9_10device_ptrIiEEEESE_SE_iNS9_10multipliesIiEENS9_8equal_toIiEEiEE10hipError_tPvRmT2_T3_T4_T5_mT6_T7_P12ihipStream_tbENKUlT_T0_E_clISt17integral_constantIbLb1EESZ_EEDaSU_SV_EUlSU_E_NS1_11comp_targetILNS1_3genE3ELNS1_11target_archE908ELNS1_3gpuE7ELNS1_3repE0EEENS1_30default_config_static_selectorELNS0_4arch9wavefront6targetE0EEEvT1_.uses_vcc, 0
	.set _ZN7rocprim17ROCPRIM_400000_NS6detail17trampoline_kernelINS0_14default_configENS1_27scan_by_key_config_selectorIiiEEZZNS1_16scan_by_key_implILNS1_25lookback_scan_determinismE0ELb0ES3_N6thrust23THRUST_200600_302600_NS6detail15normal_iteratorINS9_10device_ptrIiEEEESE_SE_iNS9_10multipliesIiEENS9_8equal_toIiEEiEE10hipError_tPvRmT2_T3_T4_T5_mT6_T7_P12ihipStream_tbENKUlT_T0_E_clISt17integral_constantIbLb1EESZ_EEDaSU_SV_EUlSU_E_NS1_11comp_targetILNS1_3genE3ELNS1_11target_archE908ELNS1_3gpuE7ELNS1_3repE0EEENS1_30default_config_static_selectorELNS0_4arch9wavefront6targetE0EEEvT1_.uses_flat_scratch, 0
	.set _ZN7rocprim17ROCPRIM_400000_NS6detail17trampoline_kernelINS0_14default_configENS1_27scan_by_key_config_selectorIiiEEZZNS1_16scan_by_key_implILNS1_25lookback_scan_determinismE0ELb0ES3_N6thrust23THRUST_200600_302600_NS6detail15normal_iteratorINS9_10device_ptrIiEEEESE_SE_iNS9_10multipliesIiEENS9_8equal_toIiEEiEE10hipError_tPvRmT2_T3_T4_T5_mT6_T7_P12ihipStream_tbENKUlT_T0_E_clISt17integral_constantIbLb1EESZ_EEDaSU_SV_EUlSU_E_NS1_11comp_targetILNS1_3genE3ELNS1_11target_archE908ELNS1_3gpuE7ELNS1_3repE0EEENS1_30default_config_static_selectorELNS0_4arch9wavefront6targetE0EEEvT1_.has_dyn_sized_stack, 0
	.set _ZN7rocprim17ROCPRIM_400000_NS6detail17trampoline_kernelINS0_14default_configENS1_27scan_by_key_config_selectorIiiEEZZNS1_16scan_by_key_implILNS1_25lookback_scan_determinismE0ELb0ES3_N6thrust23THRUST_200600_302600_NS6detail15normal_iteratorINS9_10device_ptrIiEEEESE_SE_iNS9_10multipliesIiEENS9_8equal_toIiEEiEE10hipError_tPvRmT2_T3_T4_T5_mT6_T7_P12ihipStream_tbENKUlT_T0_E_clISt17integral_constantIbLb1EESZ_EEDaSU_SV_EUlSU_E_NS1_11comp_targetILNS1_3genE3ELNS1_11target_archE908ELNS1_3gpuE7ELNS1_3repE0EEENS1_30default_config_static_selectorELNS0_4arch9wavefront6targetE0EEEvT1_.has_recursion, 0
	.set _ZN7rocprim17ROCPRIM_400000_NS6detail17trampoline_kernelINS0_14default_configENS1_27scan_by_key_config_selectorIiiEEZZNS1_16scan_by_key_implILNS1_25lookback_scan_determinismE0ELb0ES3_N6thrust23THRUST_200600_302600_NS6detail15normal_iteratorINS9_10device_ptrIiEEEESE_SE_iNS9_10multipliesIiEENS9_8equal_toIiEEiEE10hipError_tPvRmT2_T3_T4_T5_mT6_T7_P12ihipStream_tbENKUlT_T0_E_clISt17integral_constantIbLb1EESZ_EEDaSU_SV_EUlSU_E_NS1_11comp_targetILNS1_3genE3ELNS1_11target_archE908ELNS1_3gpuE7ELNS1_3repE0EEENS1_30default_config_static_selectorELNS0_4arch9wavefront6targetE0EEEvT1_.has_indirect_call, 0
	.section	.AMDGPU.csdata,"",@progbits
; Kernel info:
; codeLenInByte = 0
; TotalNumSgprs: 0
; NumVgprs: 0
; ScratchSize: 0
; MemoryBound: 0
; FloatMode: 240
; IeeeMode: 1
; LDSByteSize: 0 bytes/workgroup (compile time only)
; SGPRBlocks: 0
; VGPRBlocks: 0
; NumSGPRsForWavesPerEU: 1
; NumVGPRsForWavesPerEU: 1
; NamedBarCnt: 0
; Occupancy: 16
; WaveLimiterHint : 0
; COMPUTE_PGM_RSRC2:SCRATCH_EN: 0
; COMPUTE_PGM_RSRC2:USER_SGPR: 2
; COMPUTE_PGM_RSRC2:TRAP_HANDLER: 0
; COMPUTE_PGM_RSRC2:TGID_X_EN: 1
; COMPUTE_PGM_RSRC2:TGID_Y_EN: 0
; COMPUTE_PGM_RSRC2:TGID_Z_EN: 0
; COMPUTE_PGM_RSRC2:TIDIG_COMP_CNT: 0
	.section	.text._ZN7rocprim17ROCPRIM_400000_NS6detail17trampoline_kernelINS0_14default_configENS1_27scan_by_key_config_selectorIiiEEZZNS1_16scan_by_key_implILNS1_25lookback_scan_determinismE0ELb0ES3_N6thrust23THRUST_200600_302600_NS6detail15normal_iteratorINS9_10device_ptrIiEEEESE_SE_iNS9_10multipliesIiEENS9_8equal_toIiEEiEE10hipError_tPvRmT2_T3_T4_T5_mT6_T7_P12ihipStream_tbENKUlT_T0_E_clISt17integral_constantIbLb1EESZ_EEDaSU_SV_EUlSU_E_NS1_11comp_targetILNS1_3genE2ELNS1_11target_archE906ELNS1_3gpuE6ELNS1_3repE0EEENS1_30default_config_static_selectorELNS0_4arch9wavefront6targetE0EEEvT1_,"axG",@progbits,_ZN7rocprim17ROCPRIM_400000_NS6detail17trampoline_kernelINS0_14default_configENS1_27scan_by_key_config_selectorIiiEEZZNS1_16scan_by_key_implILNS1_25lookback_scan_determinismE0ELb0ES3_N6thrust23THRUST_200600_302600_NS6detail15normal_iteratorINS9_10device_ptrIiEEEESE_SE_iNS9_10multipliesIiEENS9_8equal_toIiEEiEE10hipError_tPvRmT2_T3_T4_T5_mT6_T7_P12ihipStream_tbENKUlT_T0_E_clISt17integral_constantIbLb1EESZ_EEDaSU_SV_EUlSU_E_NS1_11comp_targetILNS1_3genE2ELNS1_11target_archE906ELNS1_3gpuE6ELNS1_3repE0EEENS1_30default_config_static_selectorELNS0_4arch9wavefront6targetE0EEEvT1_,comdat
	.protected	_ZN7rocprim17ROCPRIM_400000_NS6detail17trampoline_kernelINS0_14default_configENS1_27scan_by_key_config_selectorIiiEEZZNS1_16scan_by_key_implILNS1_25lookback_scan_determinismE0ELb0ES3_N6thrust23THRUST_200600_302600_NS6detail15normal_iteratorINS9_10device_ptrIiEEEESE_SE_iNS9_10multipliesIiEENS9_8equal_toIiEEiEE10hipError_tPvRmT2_T3_T4_T5_mT6_T7_P12ihipStream_tbENKUlT_T0_E_clISt17integral_constantIbLb1EESZ_EEDaSU_SV_EUlSU_E_NS1_11comp_targetILNS1_3genE2ELNS1_11target_archE906ELNS1_3gpuE6ELNS1_3repE0EEENS1_30default_config_static_selectorELNS0_4arch9wavefront6targetE0EEEvT1_ ; -- Begin function _ZN7rocprim17ROCPRIM_400000_NS6detail17trampoline_kernelINS0_14default_configENS1_27scan_by_key_config_selectorIiiEEZZNS1_16scan_by_key_implILNS1_25lookback_scan_determinismE0ELb0ES3_N6thrust23THRUST_200600_302600_NS6detail15normal_iteratorINS9_10device_ptrIiEEEESE_SE_iNS9_10multipliesIiEENS9_8equal_toIiEEiEE10hipError_tPvRmT2_T3_T4_T5_mT6_T7_P12ihipStream_tbENKUlT_T0_E_clISt17integral_constantIbLb1EESZ_EEDaSU_SV_EUlSU_E_NS1_11comp_targetILNS1_3genE2ELNS1_11target_archE906ELNS1_3gpuE6ELNS1_3repE0EEENS1_30default_config_static_selectorELNS0_4arch9wavefront6targetE0EEEvT1_
	.globl	_ZN7rocprim17ROCPRIM_400000_NS6detail17trampoline_kernelINS0_14default_configENS1_27scan_by_key_config_selectorIiiEEZZNS1_16scan_by_key_implILNS1_25lookback_scan_determinismE0ELb0ES3_N6thrust23THRUST_200600_302600_NS6detail15normal_iteratorINS9_10device_ptrIiEEEESE_SE_iNS9_10multipliesIiEENS9_8equal_toIiEEiEE10hipError_tPvRmT2_T3_T4_T5_mT6_T7_P12ihipStream_tbENKUlT_T0_E_clISt17integral_constantIbLb1EESZ_EEDaSU_SV_EUlSU_E_NS1_11comp_targetILNS1_3genE2ELNS1_11target_archE906ELNS1_3gpuE6ELNS1_3repE0EEENS1_30default_config_static_selectorELNS0_4arch9wavefront6targetE0EEEvT1_
	.p2align	8
	.type	_ZN7rocprim17ROCPRIM_400000_NS6detail17trampoline_kernelINS0_14default_configENS1_27scan_by_key_config_selectorIiiEEZZNS1_16scan_by_key_implILNS1_25lookback_scan_determinismE0ELb0ES3_N6thrust23THRUST_200600_302600_NS6detail15normal_iteratorINS9_10device_ptrIiEEEESE_SE_iNS9_10multipliesIiEENS9_8equal_toIiEEiEE10hipError_tPvRmT2_T3_T4_T5_mT6_T7_P12ihipStream_tbENKUlT_T0_E_clISt17integral_constantIbLb1EESZ_EEDaSU_SV_EUlSU_E_NS1_11comp_targetILNS1_3genE2ELNS1_11target_archE906ELNS1_3gpuE6ELNS1_3repE0EEENS1_30default_config_static_selectorELNS0_4arch9wavefront6targetE0EEEvT1_,@function
_ZN7rocprim17ROCPRIM_400000_NS6detail17trampoline_kernelINS0_14default_configENS1_27scan_by_key_config_selectorIiiEEZZNS1_16scan_by_key_implILNS1_25lookback_scan_determinismE0ELb0ES3_N6thrust23THRUST_200600_302600_NS6detail15normal_iteratorINS9_10device_ptrIiEEEESE_SE_iNS9_10multipliesIiEENS9_8equal_toIiEEiEE10hipError_tPvRmT2_T3_T4_T5_mT6_T7_P12ihipStream_tbENKUlT_T0_E_clISt17integral_constantIbLb1EESZ_EEDaSU_SV_EUlSU_E_NS1_11comp_targetILNS1_3genE2ELNS1_11target_archE906ELNS1_3gpuE6ELNS1_3repE0EEENS1_30default_config_static_selectorELNS0_4arch9wavefront6targetE0EEEvT1_: ; @_ZN7rocprim17ROCPRIM_400000_NS6detail17trampoline_kernelINS0_14default_configENS1_27scan_by_key_config_selectorIiiEEZZNS1_16scan_by_key_implILNS1_25lookback_scan_determinismE0ELb0ES3_N6thrust23THRUST_200600_302600_NS6detail15normal_iteratorINS9_10device_ptrIiEEEESE_SE_iNS9_10multipliesIiEENS9_8equal_toIiEEiEE10hipError_tPvRmT2_T3_T4_T5_mT6_T7_P12ihipStream_tbENKUlT_T0_E_clISt17integral_constantIbLb1EESZ_EEDaSU_SV_EUlSU_E_NS1_11comp_targetILNS1_3genE2ELNS1_11target_archE906ELNS1_3gpuE6ELNS1_3repE0EEENS1_30default_config_static_selectorELNS0_4arch9wavefront6targetE0EEEvT1_
; %bb.0:
	.section	.rodata,"a",@progbits
	.p2align	6, 0x0
	.amdhsa_kernel _ZN7rocprim17ROCPRIM_400000_NS6detail17trampoline_kernelINS0_14default_configENS1_27scan_by_key_config_selectorIiiEEZZNS1_16scan_by_key_implILNS1_25lookback_scan_determinismE0ELb0ES3_N6thrust23THRUST_200600_302600_NS6detail15normal_iteratorINS9_10device_ptrIiEEEESE_SE_iNS9_10multipliesIiEENS9_8equal_toIiEEiEE10hipError_tPvRmT2_T3_T4_T5_mT6_T7_P12ihipStream_tbENKUlT_T0_E_clISt17integral_constantIbLb1EESZ_EEDaSU_SV_EUlSU_E_NS1_11comp_targetILNS1_3genE2ELNS1_11target_archE906ELNS1_3gpuE6ELNS1_3repE0EEENS1_30default_config_static_selectorELNS0_4arch9wavefront6targetE0EEEvT1_
		.amdhsa_group_segment_fixed_size 0
		.amdhsa_private_segment_fixed_size 0
		.amdhsa_kernarg_size 112
		.amdhsa_user_sgpr_count 2
		.amdhsa_user_sgpr_dispatch_ptr 0
		.amdhsa_user_sgpr_queue_ptr 0
		.amdhsa_user_sgpr_kernarg_segment_ptr 1
		.amdhsa_user_sgpr_dispatch_id 0
		.amdhsa_user_sgpr_kernarg_preload_length 0
		.amdhsa_user_sgpr_kernarg_preload_offset 0
		.amdhsa_user_sgpr_private_segment_size 0
		.amdhsa_wavefront_size32 1
		.amdhsa_uses_dynamic_stack 0
		.amdhsa_enable_private_segment 0
		.amdhsa_system_sgpr_workgroup_id_x 1
		.amdhsa_system_sgpr_workgroup_id_y 0
		.amdhsa_system_sgpr_workgroup_id_z 0
		.amdhsa_system_sgpr_workgroup_info 0
		.amdhsa_system_vgpr_workitem_id 0
		.amdhsa_next_free_vgpr 1
		.amdhsa_next_free_sgpr 1
		.amdhsa_named_barrier_count 0
		.amdhsa_reserve_vcc 0
		.amdhsa_float_round_mode_32 0
		.amdhsa_float_round_mode_16_64 0
		.amdhsa_float_denorm_mode_32 3
		.amdhsa_float_denorm_mode_16_64 3
		.amdhsa_fp16_overflow 0
		.amdhsa_memory_ordered 1
		.amdhsa_forward_progress 1
		.amdhsa_inst_pref_size 0
		.amdhsa_round_robin_scheduling 0
		.amdhsa_exception_fp_ieee_invalid_op 0
		.amdhsa_exception_fp_denorm_src 0
		.amdhsa_exception_fp_ieee_div_zero 0
		.amdhsa_exception_fp_ieee_overflow 0
		.amdhsa_exception_fp_ieee_underflow 0
		.amdhsa_exception_fp_ieee_inexact 0
		.amdhsa_exception_int_div_zero 0
	.end_amdhsa_kernel
	.section	.text._ZN7rocprim17ROCPRIM_400000_NS6detail17trampoline_kernelINS0_14default_configENS1_27scan_by_key_config_selectorIiiEEZZNS1_16scan_by_key_implILNS1_25lookback_scan_determinismE0ELb0ES3_N6thrust23THRUST_200600_302600_NS6detail15normal_iteratorINS9_10device_ptrIiEEEESE_SE_iNS9_10multipliesIiEENS9_8equal_toIiEEiEE10hipError_tPvRmT2_T3_T4_T5_mT6_T7_P12ihipStream_tbENKUlT_T0_E_clISt17integral_constantIbLb1EESZ_EEDaSU_SV_EUlSU_E_NS1_11comp_targetILNS1_3genE2ELNS1_11target_archE906ELNS1_3gpuE6ELNS1_3repE0EEENS1_30default_config_static_selectorELNS0_4arch9wavefront6targetE0EEEvT1_,"axG",@progbits,_ZN7rocprim17ROCPRIM_400000_NS6detail17trampoline_kernelINS0_14default_configENS1_27scan_by_key_config_selectorIiiEEZZNS1_16scan_by_key_implILNS1_25lookback_scan_determinismE0ELb0ES3_N6thrust23THRUST_200600_302600_NS6detail15normal_iteratorINS9_10device_ptrIiEEEESE_SE_iNS9_10multipliesIiEENS9_8equal_toIiEEiEE10hipError_tPvRmT2_T3_T4_T5_mT6_T7_P12ihipStream_tbENKUlT_T0_E_clISt17integral_constantIbLb1EESZ_EEDaSU_SV_EUlSU_E_NS1_11comp_targetILNS1_3genE2ELNS1_11target_archE906ELNS1_3gpuE6ELNS1_3repE0EEENS1_30default_config_static_selectorELNS0_4arch9wavefront6targetE0EEEvT1_,comdat
.Lfunc_end178:
	.size	_ZN7rocprim17ROCPRIM_400000_NS6detail17trampoline_kernelINS0_14default_configENS1_27scan_by_key_config_selectorIiiEEZZNS1_16scan_by_key_implILNS1_25lookback_scan_determinismE0ELb0ES3_N6thrust23THRUST_200600_302600_NS6detail15normal_iteratorINS9_10device_ptrIiEEEESE_SE_iNS9_10multipliesIiEENS9_8equal_toIiEEiEE10hipError_tPvRmT2_T3_T4_T5_mT6_T7_P12ihipStream_tbENKUlT_T0_E_clISt17integral_constantIbLb1EESZ_EEDaSU_SV_EUlSU_E_NS1_11comp_targetILNS1_3genE2ELNS1_11target_archE906ELNS1_3gpuE6ELNS1_3repE0EEENS1_30default_config_static_selectorELNS0_4arch9wavefront6targetE0EEEvT1_, .Lfunc_end178-_ZN7rocprim17ROCPRIM_400000_NS6detail17trampoline_kernelINS0_14default_configENS1_27scan_by_key_config_selectorIiiEEZZNS1_16scan_by_key_implILNS1_25lookback_scan_determinismE0ELb0ES3_N6thrust23THRUST_200600_302600_NS6detail15normal_iteratorINS9_10device_ptrIiEEEESE_SE_iNS9_10multipliesIiEENS9_8equal_toIiEEiEE10hipError_tPvRmT2_T3_T4_T5_mT6_T7_P12ihipStream_tbENKUlT_T0_E_clISt17integral_constantIbLb1EESZ_EEDaSU_SV_EUlSU_E_NS1_11comp_targetILNS1_3genE2ELNS1_11target_archE906ELNS1_3gpuE6ELNS1_3repE0EEENS1_30default_config_static_selectorELNS0_4arch9wavefront6targetE0EEEvT1_
                                        ; -- End function
	.set _ZN7rocprim17ROCPRIM_400000_NS6detail17trampoline_kernelINS0_14default_configENS1_27scan_by_key_config_selectorIiiEEZZNS1_16scan_by_key_implILNS1_25lookback_scan_determinismE0ELb0ES3_N6thrust23THRUST_200600_302600_NS6detail15normal_iteratorINS9_10device_ptrIiEEEESE_SE_iNS9_10multipliesIiEENS9_8equal_toIiEEiEE10hipError_tPvRmT2_T3_T4_T5_mT6_T7_P12ihipStream_tbENKUlT_T0_E_clISt17integral_constantIbLb1EESZ_EEDaSU_SV_EUlSU_E_NS1_11comp_targetILNS1_3genE2ELNS1_11target_archE906ELNS1_3gpuE6ELNS1_3repE0EEENS1_30default_config_static_selectorELNS0_4arch9wavefront6targetE0EEEvT1_.num_vgpr, 0
	.set _ZN7rocprim17ROCPRIM_400000_NS6detail17trampoline_kernelINS0_14default_configENS1_27scan_by_key_config_selectorIiiEEZZNS1_16scan_by_key_implILNS1_25lookback_scan_determinismE0ELb0ES3_N6thrust23THRUST_200600_302600_NS6detail15normal_iteratorINS9_10device_ptrIiEEEESE_SE_iNS9_10multipliesIiEENS9_8equal_toIiEEiEE10hipError_tPvRmT2_T3_T4_T5_mT6_T7_P12ihipStream_tbENKUlT_T0_E_clISt17integral_constantIbLb1EESZ_EEDaSU_SV_EUlSU_E_NS1_11comp_targetILNS1_3genE2ELNS1_11target_archE906ELNS1_3gpuE6ELNS1_3repE0EEENS1_30default_config_static_selectorELNS0_4arch9wavefront6targetE0EEEvT1_.num_agpr, 0
	.set _ZN7rocprim17ROCPRIM_400000_NS6detail17trampoline_kernelINS0_14default_configENS1_27scan_by_key_config_selectorIiiEEZZNS1_16scan_by_key_implILNS1_25lookback_scan_determinismE0ELb0ES3_N6thrust23THRUST_200600_302600_NS6detail15normal_iteratorINS9_10device_ptrIiEEEESE_SE_iNS9_10multipliesIiEENS9_8equal_toIiEEiEE10hipError_tPvRmT2_T3_T4_T5_mT6_T7_P12ihipStream_tbENKUlT_T0_E_clISt17integral_constantIbLb1EESZ_EEDaSU_SV_EUlSU_E_NS1_11comp_targetILNS1_3genE2ELNS1_11target_archE906ELNS1_3gpuE6ELNS1_3repE0EEENS1_30default_config_static_selectorELNS0_4arch9wavefront6targetE0EEEvT1_.numbered_sgpr, 0
	.set _ZN7rocprim17ROCPRIM_400000_NS6detail17trampoline_kernelINS0_14default_configENS1_27scan_by_key_config_selectorIiiEEZZNS1_16scan_by_key_implILNS1_25lookback_scan_determinismE0ELb0ES3_N6thrust23THRUST_200600_302600_NS6detail15normal_iteratorINS9_10device_ptrIiEEEESE_SE_iNS9_10multipliesIiEENS9_8equal_toIiEEiEE10hipError_tPvRmT2_T3_T4_T5_mT6_T7_P12ihipStream_tbENKUlT_T0_E_clISt17integral_constantIbLb1EESZ_EEDaSU_SV_EUlSU_E_NS1_11comp_targetILNS1_3genE2ELNS1_11target_archE906ELNS1_3gpuE6ELNS1_3repE0EEENS1_30default_config_static_selectorELNS0_4arch9wavefront6targetE0EEEvT1_.num_named_barrier, 0
	.set _ZN7rocprim17ROCPRIM_400000_NS6detail17trampoline_kernelINS0_14default_configENS1_27scan_by_key_config_selectorIiiEEZZNS1_16scan_by_key_implILNS1_25lookback_scan_determinismE0ELb0ES3_N6thrust23THRUST_200600_302600_NS6detail15normal_iteratorINS9_10device_ptrIiEEEESE_SE_iNS9_10multipliesIiEENS9_8equal_toIiEEiEE10hipError_tPvRmT2_T3_T4_T5_mT6_T7_P12ihipStream_tbENKUlT_T0_E_clISt17integral_constantIbLb1EESZ_EEDaSU_SV_EUlSU_E_NS1_11comp_targetILNS1_3genE2ELNS1_11target_archE906ELNS1_3gpuE6ELNS1_3repE0EEENS1_30default_config_static_selectorELNS0_4arch9wavefront6targetE0EEEvT1_.private_seg_size, 0
	.set _ZN7rocprim17ROCPRIM_400000_NS6detail17trampoline_kernelINS0_14default_configENS1_27scan_by_key_config_selectorIiiEEZZNS1_16scan_by_key_implILNS1_25lookback_scan_determinismE0ELb0ES3_N6thrust23THRUST_200600_302600_NS6detail15normal_iteratorINS9_10device_ptrIiEEEESE_SE_iNS9_10multipliesIiEENS9_8equal_toIiEEiEE10hipError_tPvRmT2_T3_T4_T5_mT6_T7_P12ihipStream_tbENKUlT_T0_E_clISt17integral_constantIbLb1EESZ_EEDaSU_SV_EUlSU_E_NS1_11comp_targetILNS1_3genE2ELNS1_11target_archE906ELNS1_3gpuE6ELNS1_3repE0EEENS1_30default_config_static_selectorELNS0_4arch9wavefront6targetE0EEEvT1_.uses_vcc, 0
	.set _ZN7rocprim17ROCPRIM_400000_NS6detail17trampoline_kernelINS0_14default_configENS1_27scan_by_key_config_selectorIiiEEZZNS1_16scan_by_key_implILNS1_25lookback_scan_determinismE0ELb0ES3_N6thrust23THRUST_200600_302600_NS6detail15normal_iteratorINS9_10device_ptrIiEEEESE_SE_iNS9_10multipliesIiEENS9_8equal_toIiEEiEE10hipError_tPvRmT2_T3_T4_T5_mT6_T7_P12ihipStream_tbENKUlT_T0_E_clISt17integral_constantIbLb1EESZ_EEDaSU_SV_EUlSU_E_NS1_11comp_targetILNS1_3genE2ELNS1_11target_archE906ELNS1_3gpuE6ELNS1_3repE0EEENS1_30default_config_static_selectorELNS0_4arch9wavefront6targetE0EEEvT1_.uses_flat_scratch, 0
	.set _ZN7rocprim17ROCPRIM_400000_NS6detail17trampoline_kernelINS0_14default_configENS1_27scan_by_key_config_selectorIiiEEZZNS1_16scan_by_key_implILNS1_25lookback_scan_determinismE0ELb0ES3_N6thrust23THRUST_200600_302600_NS6detail15normal_iteratorINS9_10device_ptrIiEEEESE_SE_iNS9_10multipliesIiEENS9_8equal_toIiEEiEE10hipError_tPvRmT2_T3_T4_T5_mT6_T7_P12ihipStream_tbENKUlT_T0_E_clISt17integral_constantIbLb1EESZ_EEDaSU_SV_EUlSU_E_NS1_11comp_targetILNS1_3genE2ELNS1_11target_archE906ELNS1_3gpuE6ELNS1_3repE0EEENS1_30default_config_static_selectorELNS0_4arch9wavefront6targetE0EEEvT1_.has_dyn_sized_stack, 0
	.set _ZN7rocprim17ROCPRIM_400000_NS6detail17trampoline_kernelINS0_14default_configENS1_27scan_by_key_config_selectorIiiEEZZNS1_16scan_by_key_implILNS1_25lookback_scan_determinismE0ELb0ES3_N6thrust23THRUST_200600_302600_NS6detail15normal_iteratorINS9_10device_ptrIiEEEESE_SE_iNS9_10multipliesIiEENS9_8equal_toIiEEiEE10hipError_tPvRmT2_T3_T4_T5_mT6_T7_P12ihipStream_tbENKUlT_T0_E_clISt17integral_constantIbLb1EESZ_EEDaSU_SV_EUlSU_E_NS1_11comp_targetILNS1_3genE2ELNS1_11target_archE906ELNS1_3gpuE6ELNS1_3repE0EEENS1_30default_config_static_selectorELNS0_4arch9wavefront6targetE0EEEvT1_.has_recursion, 0
	.set _ZN7rocprim17ROCPRIM_400000_NS6detail17trampoline_kernelINS0_14default_configENS1_27scan_by_key_config_selectorIiiEEZZNS1_16scan_by_key_implILNS1_25lookback_scan_determinismE0ELb0ES3_N6thrust23THRUST_200600_302600_NS6detail15normal_iteratorINS9_10device_ptrIiEEEESE_SE_iNS9_10multipliesIiEENS9_8equal_toIiEEiEE10hipError_tPvRmT2_T3_T4_T5_mT6_T7_P12ihipStream_tbENKUlT_T0_E_clISt17integral_constantIbLb1EESZ_EEDaSU_SV_EUlSU_E_NS1_11comp_targetILNS1_3genE2ELNS1_11target_archE906ELNS1_3gpuE6ELNS1_3repE0EEENS1_30default_config_static_selectorELNS0_4arch9wavefront6targetE0EEEvT1_.has_indirect_call, 0
	.section	.AMDGPU.csdata,"",@progbits
; Kernel info:
; codeLenInByte = 0
; TotalNumSgprs: 0
; NumVgprs: 0
; ScratchSize: 0
; MemoryBound: 0
; FloatMode: 240
; IeeeMode: 1
; LDSByteSize: 0 bytes/workgroup (compile time only)
; SGPRBlocks: 0
; VGPRBlocks: 0
; NumSGPRsForWavesPerEU: 1
; NumVGPRsForWavesPerEU: 1
; NamedBarCnt: 0
; Occupancy: 16
; WaveLimiterHint : 0
; COMPUTE_PGM_RSRC2:SCRATCH_EN: 0
; COMPUTE_PGM_RSRC2:USER_SGPR: 2
; COMPUTE_PGM_RSRC2:TRAP_HANDLER: 0
; COMPUTE_PGM_RSRC2:TGID_X_EN: 1
; COMPUTE_PGM_RSRC2:TGID_Y_EN: 0
; COMPUTE_PGM_RSRC2:TGID_Z_EN: 0
; COMPUTE_PGM_RSRC2:TIDIG_COMP_CNT: 0
	.section	.text._ZN7rocprim17ROCPRIM_400000_NS6detail17trampoline_kernelINS0_14default_configENS1_27scan_by_key_config_selectorIiiEEZZNS1_16scan_by_key_implILNS1_25lookback_scan_determinismE0ELb0ES3_N6thrust23THRUST_200600_302600_NS6detail15normal_iteratorINS9_10device_ptrIiEEEESE_SE_iNS9_10multipliesIiEENS9_8equal_toIiEEiEE10hipError_tPvRmT2_T3_T4_T5_mT6_T7_P12ihipStream_tbENKUlT_T0_E_clISt17integral_constantIbLb1EESZ_EEDaSU_SV_EUlSU_E_NS1_11comp_targetILNS1_3genE10ELNS1_11target_archE1200ELNS1_3gpuE4ELNS1_3repE0EEENS1_30default_config_static_selectorELNS0_4arch9wavefront6targetE0EEEvT1_,"axG",@progbits,_ZN7rocprim17ROCPRIM_400000_NS6detail17trampoline_kernelINS0_14default_configENS1_27scan_by_key_config_selectorIiiEEZZNS1_16scan_by_key_implILNS1_25lookback_scan_determinismE0ELb0ES3_N6thrust23THRUST_200600_302600_NS6detail15normal_iteratorINS9_10device_ptrIiEEEESE_SE_iNS9_10multipliesIiEENS9_8equal_toIiEEiEE10hipError_tPvRmT2_T3_T4_T5_mT6_T7_P12ihipStream_tbENKUlT_T0_E_clISt17integral_constantIbLb1EESZ_EEDaSU_SV_EUlSU_E_NS1_11comp_targetILNS1_3genE10ELNS1_11target_archE1200ELNS1_3gpuE4ELNS1_3repE0EEENS1_30default_config_static_selectorELNS0_4arch9wavefront6targetE0EEEvT1_,comdat
	.protected	_ZN7rocprim17ROCPRIM_400000_NS6detail17trampoline_kernelINS0_14default_configENS1_27scan_by_key_config_selectorIiiEEZZNS1_16scan_by_key_implILNS1_25lookback_scan_determinismE0ELb0ES3_N6thrust23THRUST_200600_302600_NS6detail15normal_iteratorINS9_10device_ptrIiEEEESE_SE_iNS9_10multipliesIiEENS9_8equal_toIiEEiEE10hipError_tPvRmT2_T3_T4_T5_mT6_T7_P12ihipStream_tbENKUlT_T0_E_clISt17integral_constantIbLb1EESZ_EEDaSU_SV_EUlSU_E_NS1_11comp_targetILNS1_3genE10ELNS1_11target_archE1200ELNS1_3gpuE4ELNS1_3repE0EEENS1_30default_config_static_selectorELNS0_4arch9wavefront6targetE0EEEvT1_ ; -- Begin function _ZN7rocprim17ROCPRIM_400000_NS6detail17trampoline_kernelINS0_14default_configENS1_27scan_by_key_config_selectorIiiEEZZNS1_16scan_by_key_implILNS1_25lookback_scan_determinismE0ELb0ES3_N6thrust23THRUST_200600_302600_NS6detail15normal_iteratorINS9_10device_ptrIiEEEESE_SE_iNS9_10multipliesIiEENS9_8equal_toIiEEiEE10hipError_tPvRmT2_T3_T4_T5_mT6_T7_P12ihipStream_tbENKUlT_T0_E_clISt17integral_constantIbLb1EESZ_EEDaSU_SV_EUlSU_E_NS1_11comp_targetILNS1_3genE10ELNS1_11target_archE1200ELNS1_3gpuE4ELNS1_3repE0EEENS1_30default_config_static_selectorELNS0_4arch9wavefront6targetE0EEEvT1_
	.globl	_ZN7rocprim17ROCPRIM_400000_NS6detail17trampoline_kernelINS0_14default_configENS1_27scan_by_key_config_selectorIiiEEZZNS1_16scan_by_key_implILNS1_25lookback_scan_determinismE0ELb0ES3_N6thrust23THRUST_200600_302600_NS6detail15normal_iteratorINS9_10device_ptrIiEEEESE_SE_iNS9_10multipliesIiEENS9_8equal_toIiEEiEE10hipError_tPvRmT2_T3_T4_T5_mT6_T7_P12ihipStream_tbENKUlT_T0_E_clISt17integral_constantIbLb1EESZ_EEDaSU_SV_EUlSU_E_NS1_11comp_targetILNS1_3genE10ELNS1_11target_archE1200ELNS1_3gpuE4ELNS1_3repE0EEENS1_30default_config_static_selectorELNS0_4arch9wavefront6targetE0EEEvT1_
	.p2align	8
	.type	_ZN7rocprim17ROCPRIM_400000_NS6detail17trampoline_kernelINS0_14default_configENS1_27scan_by_key_config_selectorIiiEEZZNS1_16scan_by_key_implILNS1_25lookback_scan_determinismE0ELb0ES3_N6thrust23THRUST_200600_302600_NS6detail15normal_iteratorINS9_10device_ptrIiEEEESE_SE_iNS9_10multipliesIiEENS9_8equal_toIiEEiEE10hipError_tPvRmT2_T3_T4_T5_mT6_T7_P12ihipStream_tbENKUlT_T0_E_clISt17integral_constantIbLb1EESZ_EEDaSU_SV_EUlSU_E_NS1_11comp_targetILNS1_3genE10ELNS1_11target_archE1200ELNS1_3gpuE4ELNS1_3repE0EEENS1_30default_config_static_selectorELNS0_4arch9wavefront6targetE0EEEvT1_,@function
_ZN7rocprim17ROCPRIM_400000_NS6detail17trampoline_kernelINS0_14default_configENS1_27scan_by_key_config_selectorIiiEEZZNS1_16scan_by_key_implILNS1_25lookback_scan_determinismE0ELb0ES3_N6thrust23THRUST_200600_302600_NS6detail15normal_iteratorINS9_10device_ptrIiEEEESE_SE_iNS9_10multipliesIiEENS9_8equal_toIiEEiEE10hipError_tPvRmT2_T3_T4_T5_mT6_T7_P12ihipStream_tbENKUlT_T0_E_clISt17integral_constantIbLb1EESZ_EEDaSU_SV_EUlSU_E_NS1_11comp_targetILNS1_3genE10ELNS1_11target_archE1200ELNS1_3gpuE4ELNS1_3repE0EEENS1_30default_config_static_selectorELNS0_4arch9wavefront6targetE0EEEvT1_: ; @_ZN7rocprim17ROCPRIM_400000_NS6detail17trampoline_kernelINS0_14default_configENS1_27scan_by_key_config_selectorIiiEEZZNS1_16scan_by_key_implILNS1_25lookback_scan_determinismE0ELb0ES3_N6thrust23THRUST_200600_302600_NS6detail15normal_iteratorINS9_10device_ptrIiEEEESE_SE_iNS9_10multipliesIiEENS9_8equal_toIiEEiEE10hipError_tPvRmT2_T3_T4_T5_mT6_T7_P12ihipStream_tbENKUlT_T0_E_clISt17integral_constantIbLb1EESZ_EEDaSU_SV_EUlSU_E_NS1_11comp_targetILNS1_3genE10ELNS1_11target_archE1200ELNS1_3gpuE4ELNS1_3repE0EEENS1_30default_config_static_selectorELNS0_4arch9wavefront6targetE0EEEvT1_
; %bb.0:
	.section	.rodata,"a",@progbits
	.p2align	6, 0x0
	.amdhsa_kernel _ZN7rocprim17ROCPRIM_400000_NS6detail17trampoline_kernelINS0_14default_configENS1_27scan_by_key_config_selectorIiiEEZZNS1_16scan_by_key_implILNS1_25lookback_scan_determinismE0ELb0ES3_N6thrust23THRUST_200600_302600_NS6detail15normal_iteratorINS9_10device_ptrIiEEEESE_SE_iNS9_10multipliesIiEENS9_8equal_toIiEEiEE10hipError_tPvRmT2_T3_T4_T5_mT6_T7_P12ihipStream_tbENKUlT_T0_E_clISt17integral_constantIbLb1EESZ_EEDaSU_SV_EUlSU_E_NS1_11comp_targetILNS1_3genE10ELNS1_11target_archE1200ELNS1_3gpuE4ELNS1_3repE0EEENS1_30default_config_static_selectorELNS0_4arch9wavefront6targetE0EEEvT1_
		.amdhsa_group_segment_fixed_size 0
		.amdhsa_private_segment_fixed_size 0
		.amdhsa_kernarg_size 112
		.amdhsa_user_sgpr_count 2
		.amdhsa_user_sgpr_dispatch_ptr 0
		.amdhsa_user_sgpr_queue_ptr 0
		.amdhsa_user_sgpr_kernarg_segment_ptr 1
		.amdhsa_user_sgpr_dispatch_id 0
		.amdhsa_user_sgpr_kernarg_preload_length 0
		.amdhsa_user_sgpr_kernarg_preload_offset 0
		.amdhsa_user_sgpr_private_segment_size 0
		.amdhsa_wavefront_size32 1
		.amdhsa_uses_dynamic_stack 0
		.amdhsa_enable_private_segment 0
		.amdhsa_system_sgpr_workgroup_id_x 1
		.amdhsa_system_sgpr_workgroup_id_y 0
		.amdhsa_system_sgpr_workgroup_id_z 0
		.amdhsa_system_sgpr_workgroup_info 0
		.amdhsa_system_vgpr_workitem_id 0
		.amdhsa_next_free_vgpr 1
		.amdhsa_next_free_sgpr 1
		.amdhsa_named_barrier_count 0
		.amdhsa_reserve_vcc 0
		.amdhsa_float_round_mode_32 0
		.amdhsa_float_round_mode_16_64 0
		.amdhsa_float_denorm_mode_32 3
		.amdhsa_float_denorm_mode_16_64 3
		.amdhsa_fp16_overflow 0
		.amdhsa_memory_ordered 1
		.amdhsa_forward_progress 1
		.amdhsa_inst_pref_size 0
		.amdhsa_round_robin_scheduling 0
		.amdhsa_exception_fp_ieee_invalid_op 0
		.amdhsa_exception_fp_denorm_src 0
		.amdhsa_exception_fp_ieee_div_zero 0
		.amdhsa_exception_fp_ieee_overflow 0
		.amdhsa_exception_fp_ieee_underflow 0
		.amdhsa_exception_fp_ieee_inexact 0
		.amdhsa_exception_int_div_zero 0
	.end_amdhsa_kernel
	.section	.text._ZN7rocprim17ROCPRIM_400000_NS6detail17trampoline_kernelINS0_14default_configENS1_27scan_by_key_config_selectorIiiEEZZNS1_16scan_by_key_implILNS1_25lookback_scan_determinismE0ELb0ES3_N6thrust23THRUST_200600_302600_NS6detail15normal_iteratorINS9_10device_ptrIiEEEESE_SE_iNS9_10multipliesIiEENS9_8equal_toIiEEiEE10hipError_tPvRmT2_T3_T4_T5_mT6_T7_P12ihipStream_tbENKUlT_T0_E_clISt17integral_constantIbLb1EESZ_EEDaSU_SV_EUlSU_E_NS1_11comp_targetILNS1_3genE10ELNS1_11target_archE1200ELNS1_3gpuE4ELNS1_3repE0EEENS1_30default_config_static_selectorELNS0_4arch9wavefront6targetE0EEEvT1_,"axG",@progbits,_ZN7rocprim17ROCPRIM_400000_NS6detail17trampoline_kernelINS0_14default_configENS1_27scan_by_key_config_selectorIiiEEZZNS1_16scan_by_key_implILNS1_25lookback_scan_determinismE0ELb0ES3_N6thrust23THRUST_200600_302600_NS6detail15normal_iteratorINS9_10device_ptrIiEEEESE_SE_iNS9_10multipliesIiEENS9_8equal_toIiEEiEE10hipError_tPvRmT2_T3_T4_T5_mT6_T7_P12ihipStream_tbENKUlT_T0_E_clISt17integral_constantIbLb1EESZ_EEDaSU_SV_EUlSU_E_NS1_11comp_targetILNS1_3genE10ELNS1_11target_archE1200ELNS1_3gpuE4ELNS1_3repE0EEENS1_30default_config_static_selectorELNS0_4arch9wavefront6targetE0EEEvT1_,comdat
.Lfunc_end179:
	.size	_ZN7rocprim17ROCPRIM_400000_NS6detail17trampoline_kernelINS0_14default_configENS1_27scan_by_key_config_selectorIiiEEZZNS1_16scan_by_key_implILNS1_25lookback_scan_determinismE0ELb0ES3_N6thrust23THRUST_200600_302600_NS6detail15normal_iteratorINS9_10device_ptrIiEEEESE_SE_iNS9_10multipliesIiEENS9_8equal_toIiEEiEE10hipError_tPvRmT2_T3_T4_T5_mT6_T7_P12ihipStream_tbENKUlT_T0_E_clISt17integral_constantIbLb1EESZ_EEDaSU_SV_EUlSU_E_NS1_11comp_targetILNS1_3genE10ELNS1_11target_archE1200ELNS1_3gpuE4ELNS1_3repE0EEENS1_30default_config_static_selectorELNS0_4arch9wavefront6targetE0EEEvT1_, .Lfunc_end179-_ZN7rocprim17ROCPRIM_400000_NS6detail17trampoline_kernelINS0_14default_configENS1_27scan_by_key_config_selectorIiiEEZZNS1_16scan_by_key_implILNS1_25lookback_scan_determinismE0ELb0ES3_N6thrust23THRUST_200600_302600_NS6detail15normal_iteratorINS9_10device_ptrIiEEEESE_SE_iNS9_10multipliesIiEENS9_8equal_toIiEEiEE10hipError_tPvRmT2_T3_T4_T5_mT6_T7_P12ihipStream_tbENKUlT_T0_E_clISt17integral_constantIbLb1EESZ_EEDaSU_SV_EUlSU_E_NS1_11comp_targetILNS1_3genE10ELNS1_11target_archE1200ELNS1_3gpuE4ELNS1_3repE0EEENS1_30default_config_static_selectorELNS0_4arch9wavefront6targetE0EEEvT1_
                                        ; -- End function
	.set _ZN7rocprim17ROCPRIM_400000_NS6detail17trampoline_kernelINS0_14default_configENS1_27scan_by_key_config_selectorIiiEEZZNS1_16scan_by_key_implILNS1_25lookback_scan_determinismE0ELb0ES3_N6thrust23THRUST_200600_302600_NS6detail15normal_iteratorINS9_10device_ptrIiEEEESE_SE_iNS9_10multipliesIiEENS9_8equal_toIiEEiEE10hipError_tPvRmT2_T3_T4_T5_mT6_T7_P12ihipStream_tbENKUlT_T0_E_clISt17integral_constantIbLb1EESZ_EEDaSU_SV_EUlSU_E_NS1_11comp_targetILNS1_3genE10ELNS1_11target_archE1200ELNS1_3gpuE4ELNS1_3repE0EEENS1_30default_config_static_selectorELNS0_4arch9wavefront6targetE0EEEvT1_.num_vgpr, 0
	.set _ZN7rocprim17ROCPRIM_400000_NS6detail17trampoline_kernelINS0_14default_configENS1_27scan_by_key_config_selectorIiiEEZZNS1_16scan_by_key_implILNS1_25lookback_scan_determinismE0ELb0ES3_N6thrust23THRUST_200600_302600_NS6detail15normal_iteratorINS9_10device_ptrIiEEEESE_SE_iNS9_10multipliesIiEENS9_8equal_toIiEEiEE10hipError_tPvRmT2_T3_T4_T5_mT6_T7_P12ihipStream_tbENKUlT_T0_E_clISt17integral_constantIbLb1EESZ_EEDaSU_SV_EUlSU_E_NS1_11comp_targetILNS1_3genE10ELNS1_11target_archE1200ELNS1_3gpuE4ELNS1_3repE0EEENS1_30default_config_static_selectorELNS0_4arch9wavefront6targetE0EEEvT1_.num_agpr, 0
	.set _ZN7rocprim17ROCPRIM_400000_NS6detail17trampoline_kernelINS0_14default_configENS1_27scan_by_key_config_selectorIiiEEZZNS1_16scan_by_key_implILNS1_25lookback_scan_determinismE0ELb0ES3_N6thrust23THRUST_200600_302600_NS6detail15normal_iteratorINS9_10device_ptrIiEEEESE_SE_iNS9_10multipliesIiEENS9_8equal_toIiEEiEE10hipError_tPvRmT2_T3_T4_T5_mT6_T7_P12ihipStream_tbENKUlT_T0_E_clISt17integral_constantIbLb1EESZ_EEDaSU_SV_EUlSU_E_NS1_11comp_targetILNS1_3genE10ELNS1_11target_archE1200ELNS1_3gpuE4ELNS1_3repE0EEENS1_30default_config_static_selectorELNS0_4arch9wavefront6targetE0EEEvT1_.numbered_sgpr, 0
	.set _ZN7rocprim17ROCPRIM_400000_NS6detail17trampoline_kernelINS0_14default_configENS1_27scan_by_key_config_selectorIiiEEZZNS1_16scan_by_key_implILNS1_25lookback_scan_determinismE0ELb0ES3_N6thrust23THRUST_200600_302600_NS6detail15normal_iteratorINS9_10device_ptrIiEEEESE_SE_iNS9_10multipliesIiEENS9_8equal_toIiEEiEE10hipError_tPvRmT2_T3_T4_T5_mT6_T7_P12ihipStream_tbENKUlT_T0_E_clISt17integral_constantIbLb1EESZ_EEDaSU_SV_EUlSU_E_NS1_11comp_targetILNS1_3genE10ELNS1_11target_archE1200ELNS1_3gpuE4ELNS1_3repE0EEENS1_30default_config_static_selectorELNS0_4arch9wavefront6targetE0EEEvT1_.num_named_barrier, 0
	.set _ZN7rocprim17ROCPRIM_400000_NS6detail17trampoline_kernelINS0_14default_configENS1_27scan_by_key_config_selectorIiiEEZZNS1_16scan_by_key_implILNS1_25lookback_scan_determinismE0ELb0ES3_N6thrust23THRUST_200600_302600_NS6detail15normal_iteratorINS9_10device_ptrIiEEEESE_SE_iNS9_10multipliesIiEENS9_8equal_toIiEEiEE10hipError_tPvRmT2_T3_T4_T5_mT6_T7_P12ihipStream_tbENKUlT_T0_E_clISt17integral_constantIbLb1EESZ_EEDaSU_SV_EUlSU_E_NS1_11comp_targetILNS1_3genE10ELNS1_11target_archE1200ELNS1_3gpuE4ELNS1_3repE0EEENS1_30default_config_static_selectorELNS0_4arch9wavefront6targetE0EEEvT1_.private_seg_size, 0
	.set _ZN7rocprim17ROCPRIM_400000_NS6detail17trampoline_kernelINS0_14default_configENS1_27scan_by_key_config_selectorIiiEEZZNS1_16scan_by_key_implILNS1_25lookback_scan_determinismE0ELb0ES3_N6thrust23THRUST_200600_302600_NS6detail15normal_iteratorINS9_10device_ptrIiEEEESE_SE_iNS9_10multipliesIiEENS9_8equal_toIiEEiEE10hipError_tPvRmT2_T3_T4_T5_mT6_T7_P12ihipStream_tbENKUlT_T0_E_clISt17integral_constantIbLb1EESZ_EEDaSU_SV_EUlSU_E_NS1_11comp_targetILNS1_3genE10ELNS1_11target_archE1200ELNS1_3gpuE4ELNS1_3repE0EEENS1_30default_config_static_selectorELNS0_4arch9wavefront6targetE0EEEvT1_.uses_vcc, 0
	.set _ZN7rocprim17ROCPRIM_400000_NS6detail17trampoline_kernelINS0_14default_configENS1_27scan_by_key_config_selectorIiiEEZZNS1_16scan_by_key_implILNS1_25lookback_scan_determinismE0ELb0ES3_N6thrust23THRUST_200600_302600_NS6detail15normal_iteratorINS9_10device_ptrIiEEEESE_SE_iNS9_10multipliesIiEENS9_8equal_toIiEEiEE10hipError_tPvRmT2_T3_T4_T5_mT6_T7_P12ihipStream_tbENKUlT_T0_E_clISt17integral_constantIbLb1EESZ_EEDaSU_SV_EUlSU_E_NS1_11comp_targetILNS1_3genE10ELNS1_11target_archE1200ELNS1_3gpuE4ELNS1_3repE0EEENS1_30default_config_static_selectorELNS0_4arch9wavefront6targetE0EEEvT1_.uses_flat_scratch, 0
	.set _ZN7rocprim17ROCPRIM_400000_NS6detail17trampoline_kernelINS0_14default_configENS1_27scan_by_key_config_selectorIiiEEZZNS1_16scan_by_key_implILNS1_25lookback_scan_determinismE0ELb0ES3_N6thrust23THRUST_200600_302600_NS6detail15normal_iteratorINS9_10device_ptrIiEEEESE_SE_iNS9_10multipliesIiEENS9_8equal_toIiEEiEE10hipError_tPvRmT2_T3_T4_T5_mT6_T7_P12ihipStream_tbENKUlT_T0_E_clISt17integral_constantIbLb1EESZ_EEDaSU_SV_EUlSU_E_NS1_11comp_targetILNS1_3genE10ELNS1_11target_archE1200ELNS1_3gpuE4ELNS1_3repE0EEENS1_30default_config_static_selectorELNS0_4arch9wavefront6targetE0EEEvT1_.has_dyn_sized_stack, 0
	.set _ZN7rocprim17ROCPRIM_400000_NS6detail17trampoline_kernelINS0_14default_configENS1_27scan_by_key_config_selectorIiiEEZZNS1_16scan_by_key_implILNS1_25lookback_scan_determinismE0ELb0ES3_N6thrust23THRUST_200600_302600_NS6detail15normal_iteratorINS9_10device_ptrIiEEEESE_SE_iNS9_10multipliesIiEENS9_8equal_toIiEEiEE10hipError_tPvRmT2_T3_T4_T5_mT6_T7_P12ihipStream_tbENKUlT_T0_E_clISt17integral_constantIbLb1EESZ_EEDaSU_SV_EUlSU_E_NS1_11comp_targetILNS1_3genE10ELNS1_11target_archE1200ELNS1_3gpuE4ELNS1_3repE0EEENS1_30default_config_static_selectorELNS0_4arch9wavefront6targetE0EEEvT1_.has_recursion, 0
	.set _ZN7rocprim17ROCPRIM_400000_NS6detail17trampoline_kernelINS0_14default_configENS1_27scan_by_key_config_selectorIiiEEZZNS1_16scan_by_key_implILNS1_25lookback_scan_determinismE0ELb0ES3_N6thrust23THRUST_200600_302600_NS6detail15normal_iteratorINS9_10device_ptrIiEEEESE_SE_iNS9_10multipliesIiEENS9_8equal_toIiEEiEE10hipError_tPvRmT2_T3_T4_T5_mT6_T7_P12ihipStream_tbENKUlT_T0_E_clISt17integral_constantIbLb1EESZ_EEDaSU_SV_EUlSU_E_NS1_11comp_targetILNS1_3genE10ELNS1_11target_archE1200ELNS1_3gpuE4ELNS1_3repE0EEENS1_30default_config_static_selectorELNS0_4arch9wavefront6targetE0EEEvT1_.has_indirect_call, 0
	.section	.AMDGPU.csdata,"",@progbits
; Kernel info:
; codeLenInByte = 0
; TotalNumSgprs: 0
; NumVgprs: 0
; ScratchSize: 0
; MemoryBound: 0
; FloatMode: 240
; IeeeMode: 1
; LDSByteSize: 0 bytes/workgroup (compile time only)
; SGPRBlocks: 0
; VGPRBlocks: 0
; NumSGPRsForWavesPerEU: 1
; NumVGPRsForWavesPerEU: 1
; NamedBarCnt: 0
; Occupancy: 16
; WaveLimiterHint : 0
; COMPUTE_PGM_RSRC2:SCRATCH_EN: 0
; COMPUTE_PGM_RSRC2:USER_SGPR: 2
; COMPUTE_PGM_RSRC2:TRAP_HANDLER: 0
; COMPUTE_PGM_RSRC2:TGID_X_EN: 1
; COMPUTE_PGM_RSRC2:TGID_Y_EN: 0
; COMPUTE_PGM_RSRC2:TGID_Z_EN: 0
; COMPUTE_PGM_RSRC2:TIDIG_COMP_CNT: 0
	.section	.text._ZN7rocprim17ROCPRIM_400000_NS6detail17trampoline_kernelINS0_14default_configENS1_27scan_by_key_config_selectorIiiEEZZNS1_16scan_by_key_implILNS1_25lookback_scan_determinismE0ELb0ES3_N6thrust23THRUST_200600_302600_NS6detail15normal_iteratorINS9_10device_ptrIiEEEESE_SE_iNS9_10multipliesIiEENS9_8equal_toIiEEiEE10hipError_tPvRmT2_T3_T4_T5_mT6_T7_P12ihipStream_tbENKUlT_T0_E_clISt17integral_constantIbLb1EESZ_EEDaSU_SV_EUlSU_E_NS1_11comp_targetILNS1_3genE9ELNS1_11target_archE1100ELNS1_3gpuE3ELNS1_3repE0EEENS1_30default_config_static_selectorELNS0_4arch9wavefront6targetE0EEEvT1_,"axG",@progbits,_ZN7rocprim17ROCPRIM_400000_NS6detail17trampoline_kernelINS0_14default_configENS1_27scan_by_key_config_selectorIiiEEZZNS1_16scan_by_key_implILNS1_25lookback_scan_determinismE0ELb0ES3_N6thrust23THRUST_200600_302600_NS6detail15normal_iteratorINS9_10device_ptrIiEEEESE_SE_iNS9_10multipliesIiEENS9_8equal_toIiEEiEE10hipError_tPvRmT2_T3_T4_T5_mT6_T7_P12ihipStream_tbENKUlT_T0_E_clISt17integral_constantIbLb1EESZ_EEDaSU_SV_EUlSU_E_NS1_11comp_targetILNS1_3genE9ELNS1_11target_archE1100ELNS1_3gpuE3ELNS1_3repE0EEENS1_30default_config_static_selectorELNS0_4arch9wavefront6targetE0EEEvT1_,comdat
	.protected	_ZN7rocprim17ROCPRIM_400000_NS6detail17trampoline_kernelINS0_14default_configENS1_27scan_by_key_config_selectorIiiEEZZNS1_16scan_by_key_implILNS1_25lookback_scan_determinismE0ELb0ES3_N6thrust23THRUST_200600_302600_NS6detail15normal_iteratorINS9_10device_ptrIiEEEESE_SE_iNS9_10multipliesIiEENS9_8equal_toIiEEiEE10hipError_tPvRmT2_T3_T4_T5_mT6_T7_P12ihipStream_tbENKUlT_T0_E_clISt17integral_constantIbLb1EESZ_EEDaSU_SV_EUlSU_E_NS1_11comp_targetILNS1_3genE9ELNS1_11target_archE1100ELNS1_3gpuE3ELNS1_3repE0EEENS1_30default_config_static_selectorELNS0_4arch9wavefront6targetE0EEEvT1_ ; -- Begin function _ZN7rocprim17ROCPRIM_400000_NS6detail17trampoline_kernelINS0_14default_configENS1_27scan_by_key_config_selectorIiiEEZZNS1_16scan_by_key_implILNS1_25lookback_scan_determinismE0ELb0ES3_N6thrust23THRUST_200600_302600_NS6detail15normal_iteratorINS9_10device_ptrIiEEEESE_SE_iNS9_10multipliesIiEENS9_8equal_toIiEEiEE10hipError_tPvRmT2_T3_T4_T5_mT6_T7_P12ihipStream_tbENKUlT_T0_E_clISt17integral_constantIbLb1EESZ_EEDaSU_SV_EUlSU_E_NS1_11comp_targetILNS1_3genE9ELNS1_11target_archE1100ELNS1_3gpuE3ELNS1_3repE0EEENS1_30default_config_static_selectorELNS0_4arch9wavefront6targetE0EEEvT1_
	.globl	_ZN7rocprim17ROCPRIM_400000_NS6detail17trampoline_kernelINS0_14default_configENS1_27scan_by_key_config_selectorIiiEEZZNS1_16scan_by_key_implILNS1_25lookback_scan_determinismE0ELb0ES3_N6thrust23THRUST_200600_302600_NS6detail15normal_iteratorINS9_10device_ptrIiEEEESE_SE_iNS9_10multipliesIiEENS9_8equal_toIiEEiEE10hipError_tPvRmT2_T3_T4_T5_mT6_T7_P12ihipStream_tbENKUlT_T0_E_clISt17integral_constantIbLb1EESZ_EEDaSU_SV_EUlSU_E_NS1_11comp_targetILNS1_3genE9ELNS1_11target_archE1100ELNS1_3gpuE3ELNS1_3repE0EEENS1_30default_config_static_selectorELNS0_4arch9wavefront6targetE0EEEvT1_
	.p2align	8
	.type	_ZN7rocprim17ROCPRIM_400000_NS6detail17trampoline_kernelINS0_14default_configENS1_27scan_by_key_config_selectorIiiEEZZNS1_16scan_by_key_implILNS1_25lookback_scan_determinismE0ELb0ES3_N6thrust23THRUST_200600_302600_NS6detail15normal_iteratorINS9_10device_ptrIiEEEESE_SE_iNS9_10multipliesIiEENS9_8equal_toIiEEiEE10hipError_tPvRmT2_T3_T4_T5_mT6_T7_P12ihipStream_tbENKUlT_T0_E_clISt17integral_constantIbLb1EESZ_EEDaSU_SV_EUlSU_E_NS1_11comp_targetILNS1_3genE9ELNS1_11target_archE1100ELNS1_3gpuE3ELNS1_3repE0EEENS1_30default_config_static_selectorELNS0_4arch9wavefront6targetE0EEEvT1_,@function
_ZN7rocprim17ROCPRIM_400000_NS6detail17trampoline_kernelINS0_14default_configENS1_27scan_by_key_config_selectorIiiEEZZNS1_16scan_by_key_implILNS1_25lookback_scan_determinismE0ELb0ES3_N6thrust23THRUST_200600_302600_NS6detail15normal_iteratorINS9_10device_ptrIiEEEESE_SE_iNS9_10multipliesIiEENS9_8equal_toIiEEiEE10hipError_tPvRmT2_T3_T4_T5_mT6_T7_P12ihipStream_tbENKUlT_T0_E_clISt17integral_constantIbLb1EESZ_EEDaSU_SV_EUlSU_E_NS1_11comp_targetILNS1_3genE9ELNS1_11target_archE1100ELNS1_3gpuE3ELNS1_3repE0EEENS1_30default_config_static_selectorELNS0_4arch9wavefront6targetE0EEEvT1_: ; @_ZN7rocprim17ROCPRIM_400000_NS6detail17trampoline_kernelINS0_14default_configENS1_27scan_by_key_config_selectorIiiEEZZNS1_16scan_by_key_implILNS1_25lookback_scan_determinismE0ELb0ES3_N6thrust23THRUST_200600_302600_NS6detail15normal_iteratorINS9_10device_ptrIiEEEESE_SE_iNS9_10multipliesIiEENS9_8equal_toIiEEiEE10hipError_tPvRmT2_T3_T4_T5_mT6_T7_P12ihipStream_tbENKUlT_T0_E_clISt17integral_constantIbLb1EESZ_EEDaSU_SV_EUlSU_E_NS1_11comp_targetILNS1_3genE9ELNS1_11target_archE1100ELNS1_3gpuE3ELNS1_3repE0EEENS1_30default_config_static_selectorELNS0_4arch9wavefront6targetE0EEEvT1_
; %bb.0:
	.section	.rodata,"a",@progbits
	.p2align	6, 0x0
	.amdhsa_kernel _ZN7rocprim17ROCPRIM_400000_NS6detail17trampoline_kernelINS0_14default_configENS1_27scan_by_key_config_selectorIiiEEZZNS1_16scan_by_key_implILNS1_25lookback_scan_determinismE0ELb0ES3_N6thrust23THRUST_200600_302600_NS6detail15normal_iteratorINS9_10device_ptrIiEEEESE_SE_iNS9_10multipliesIiEENS9_8equal_toIiEEiEE10hipError_tPvRmT2_T3_T4_T5_mT6_T7_P12ihipStream_tbENKUlT_T0_E_clISt17integral_constantIbLb1EESZ_EEDaSU_SV_EUlSU_E_NS1_11comp_targetILNS1_3genE9ELNS1_11target_archE1100ELNS1_3gpuE3ELNS1_3repE0EEENS1_30default_config_static_selectorELNS0_4arch9wavefront6targetE0EEEvT1_
		.amdhsa_group_segment_fixed_size 0
		.amdhsa_private_segment_fixed_size 0
		.amdhsa_kernarg_size 112
		.amdhsa_user_sgpr_count 2
		.amdhsa_user_sgpr_dispatch_ptr 0
		.amdhsa_user_sgpr_queue_ptr 0
		.amdhsa_user_sgpr_kernarg_segment_ptr 1
		.amdhsa_user_sgpr_dispatch_id 0
		.amdhsa_user_sgpr_kernarg_preload_length 0
		.amdhsa_user_sgpr_kernarg_preload_offset 0
		.amdhsa_user_sgpr_private_segment_size 0
		.amdhsa_wavefront_size32 1
		.amdhsa_uses_dynamic_stack 0
		.amdhsa_enable_private_segment 0
		.amdhsa_system_sgpr_workgroup_id_x 1
		.amdhsa_system_sgpr_workgroup_id_y 0
		.amdhsa_system_sgpr_workgroup_id_z 0
		.amdhsa_system_sgpr_workgroup_info 0
		.amdhsa_system_vgpr_workitem_id 0
		.amdhsa_next_free_vgpr 1
		.amdhsa_next_free_sgpr 1
		.amdhsa_named_barrier_count 0
		.amdhsa_reserve_vcc 0
		.amdhsa_float_round_mode_32 0
		.amdhsa_float_round_mode_16_64 0
		.amdhsa_float_denorm_mode_32 3
		.amdhsa_float_denorm_mode_16_64 3
		.amdhsa_fp16_overflow 0
		.amdhsa_memory_ordered 1
		.amdhsa_forward_progress 1
		.amdhsa_inst_pref_size 0
		.amdhsa_round_robin_scheduling 0
		.amdhsa_exception_fp_ieee_invalid_op 0
		.amdhsa_exception_fp_denorm_src 0
		.amdhsa_exception_fp_ieee_div_zero 0
		.amdhsa_exception_fp_ieee_overflow 0
		.amdhsa_exception_fp_ieee_underflow 0
		.amdhsa_exception_fp_ieee_inexact 0
		.amdhsa_exception_int_div_zero 0
	.end_amdhsa_kernel
	.section	.text._ZN7rocprim17ROCPRIM_400000_NS6detail17trampoline_kernelINS0_14default_configENS1_27scan_by_key_config_selectorIiiEEZZNS1_16scan_by_key_implILNS1_25lookback_scan_determinismE0ELb0ES3_N6thrust23THRUST_200600_302600_NS6detail15normal_iteratorINS9_10device_ptrIiEEEESE_SE_iNS9_10multipliesIiEENS9_8equal_toIiEEiEE10hipError_tPvRmT2_T3_T4_T5_mT6_T7_P12ihipStream_tbENKUlT_T0_E_clISt17integral_constantIbLb1EESZ_EEDaSU_SV_EUlSU_E_NS1_11comp_targetILNS1_3genE9ELNS1_11target_archE1100ELNS1_3gpuE3ELNS1_3repE0EEENS1_30default_config_static_selectorELNS0_4arch9wavefront6targetE0EEEvT1_,"axG",@progbits,_ZN7rocprim17ROCPRIM_400000_NS6detail17trampoline_kernelINS0_14default_configENS1_27scan_by_key_config_selectorIiiEEZZNS1_16scan_by_key_implILNS1_25lookback_scan_determinismE0ELb0ES3_N6thrust23THRUST_200600_302600_NS6detail15normal_iteratorINS9_10device_ptrIiEEEESE_SE_iNS9_10multipliesIiEENS9_8equal_toIiEEiEE10hipError_tPvRmT2_T3_T4_T5_mT6_T7_P12ihipStream_tbENKUlT_T0_E_clISt17integral_constantIbLb1EESZ_EEDaSU_SV_EUlSU_E_NS1_11comp_targetILNS1_3genE9ELNS1_11target_archE1100ELNS1_3gpuE3ELNS1_3repE0EEENS1_30default_config_static_selectorELNS0_4arch9wavefront6targetE0EEEvT1_,comdat
.Lfunc_end180:
	.size	_ZN7rocprim17ROCPRIM_400000_NS6detail17trampoline_kernelINS0_14default_configENS1_27scan_by_key_config_selectorIiiEEZZNS1_16scan_by_key_implILNS1_25lookback_scan_determinismE0ELb0ES3_N6thrust23THRUST_200600_302600_NS6detail15normal_iteratorINS9_10device_ptrIiEEEESE_SE_iNS9_10multipliesIiEENS9_8equal_toIiEEiEE10hipError_tPvRmT2_T3_T4_T5_mT6_T7_P12ihipStream_tbENKUlT_T0_E_clISt17integral_constantIbLb1EESZ_EEDaSU_SV_EUlSU_E_NS1_11comp_targetILNS1_3genE9ELNS1_11target_archE1100ELNS1_3gpuE3ELNS1_3repE0EEENS1_30default_config_static_selectorELNS0_4arch9wavefront6targetE0EEEvT1_, .Lfunc_end180-_ZN7rocprim17ROCPRIM_400000_NS6detail17trampoline_kernelINS0_14default_configENS1_27scan_by_key_config_selectorIiiEEZZNS1_16scan_by_key_implILNS1_25lookback_scan_determinismE0ELb0ES3_N6thrust23THRUST_200600_302600_NS6detail15normal_iteratorINS9_10device_ptrIiEEEESE_SE_iNS9_10multipliesIiEENS9_8equal_toIiEEiEE10hipError_tPvRmT2_T3_T4_T5_mT6_T7_P12ihipStream_tbENKUlT_T0_E_clISt17integral_constantIbLb1EESZ_EEDaSU_SV_EUlSU_E_NS1_11comp_targetILNS1_3genE9ELNS1_11target_archE1100ELNS1_3gpuE3ELNS1_3repE0EEENS1_30default_config_static_selectorELNS0_4arch9wavefront6targetE0EEEvT1_
                                        ; -- End function
	.set _ZN7rocprim17ROCPRIM_400000_NS6detail17trampoline_kernelINS0_14default_configENS1_27scan_by_key_config_selectorIiiEEZZNS1_16scan_by_key_implILNS1_25lookback_scan_determinismE0ELb0ES3_N6thrust23THRUST_200600_302600_NS6detail15normal_iteratorINS9_10device_ptrIiEEEESE_SE_iNS9_10multipliesIiEENS9_8equal_toIiEEiEE10hipError_tPvRmT2_T3_T4_T5_mT6_T7_P12ihipStream_tbENKUlT_T0_E_clISt17integral_constantIbLb1EESZ_EEDaSU_SV_EUlSU_E_NS1_11comp_targetILNS1_3genE9ELNS1_11target_archE1100ELNS1_3gpuE3ELNS1_3repE0EEENS1_30default_config_static_selectorELNS0_4arch9wavefront6targetE0EEEvT1_.num_vgpr, 0
	.set _ZN7rocprim17ROCPRIM_400000_NS6detail17trampoline_kernelINS0_14default_configENS1_27scan_by_key_config_selectorIiiEEZZNS1_16scan_by_key_implILNS1_25lookback_scan_determinismE0ELb0ES3_N6thrust23THRUST_200600_302600_NS6detail15normal_iteratorINS9_10device_ptrIiEEEESE_SE_iNS9_10multipliesIiEENS9_8equal_toIiEEiEE10hipError_tPvRmT2_T3_T4_T5_mT6_T7_P12ihipStream_tbENKUlT_T0_E_clISt17integral_constantIbLb1EESZ_EEDaSU_SV_EUlSU_E_NS1_11comp_targetILNS1_3genE9ELNS1_11target_archE1100ELNS1_3gpuE3ELNS1_3repE0EEENS1_30default_config_static_selectorELNS0_4arch9wavefront6targetE0EEEvT1_.num_agpr, 0
	.set _ZN7rocprim17ROCPRIM_400000_NS6detail17trampoline_kernelINS0_14default_configENS1_27scan_by_key_config_selectorIiiEEZZNS1_16scan_by_key_implILNS1_25lookback_scan_determinismE0ELb0ES3_N6thrust23THRUST_200600_302600_NS6detail15normal_iteratorINS9_10device_ptrIiEEEESE_SE_iNS9_10multipliesIiEENS9_8equal_toIiEEiEE10hipError_tPvRmT2_T3_T4_T5_mT6_T7_P12ihipStream_tbENKUlT_T0_E_clISt17integral_constantIbLb1EESZ_EEDaSU_SV_EUlSU_E_NS1_11comp_targetILNS1_3genE9ELNS1_11target_archE1100ELNS1_3gpuE3ELNS1_3repE0EEENS1_30default_config_static_selectorELNS0_4arch9wavefront6targetE0EEEvT1_.numbered_sgpr, 0
	.set _ZN7rocprim17ROCPRIM_400000_NS6detail17trampoline_kernelINS0_14default_configENS1_27scan_by_key_config_selectorIiiEEZZNS1_16scan_by_key_implILNS1_25lookback_scan_determinismE0ELb0ES3_N6thrust23THRUST_200600_302600_NS6detail15normal_iteratorINS9_10device_ptrIiEEEESE_SE_iNS9_10multipliesIiEENS9_8equal_toIiEEiEE10hipError_tPvRmT2_T3_T4_T5_mT6_T7_P12ihipStream_tbENKUlT_T0_E_clISt17integral_constantIbLb1EESZ_EEDaSU_SV_EUlSU_E_NS1_11comp_targetILNS1_3genE9ELNS1_11target_archE1100ELNS1_3gpuE3ELNS1_3repE0EEENS1_30default_config_static_selectorELNS0_4arch9wavefront6targetE0EEEvT1_.num_named_barrier, 0
	.set _ZN7rocprim17ROCPRIM_400000_NS6detail17trampoline_kernelINS0_14default_configENS1_27scan_by_key_config_selectorIiiEEZZNS1_16scan_by_key_implILNS1_25lookback_scan_determinismE0ELb0ES3_N6thrust23THRUST_200600_302600_NS6detail15normal_iteratorINS9_10device_ptrIiEEEESE_SE_iNS9_10multipliesIiEENS9_8equal_toIiEEiEE10hipError_tPvRmT2_T3_T4_T5_mT6_T7_P12ihipStream_tbENKUlT_T0_E_clISt17integral_constantIbLb1EESZ_EEDaSU_SV_EUlSU_E_NS1_11comp_targetILNS1_3genE9ELNS1_11target_archE1100ELNS1_3gpuE3ELNS1_3repE0EEENS1_30default_config_static_selectorELNS0_4arch9wavefront6targetE0EEEvT1_.private_seg_size, 0
	.set _ZN7rocprim17ROCPRIM_400000_NS6detail17trampoline_kernelINS0_14default_configENS1_27scan_by_key_config_selectorIiiEEZZNS1_16scan_by_key_implILNS1_25lookback_scan_determinismE0ELb0ES3_N6thrust23THRUST_200600_302600_NS6detail15normal_iteratorINS9_10device_ptrIiEEEESE_SE_iNS9_10multipliesIiEENS9_8equal_toIiEEiEE10hipError_tPvRmT2_T3_T4_T5_mT6_T7_P12ihipStream_tbENKUlT_T0_E_clISt17integral_constantIbLb1EESZ_EEDaSU_SV_EUlSU_E_NS1_11comp_targetILNS1_3genE9ELNS1_11target_archE1100ELNS1_3gpuE3ELNS1_3repE0EEENS1_30default_config_static_selectorELNS0_4arch9wavefront6targetE0EEEvT1_.uses_vcc, 0
	.set _ZN7rocprim17ROCPRIM_400000_NS6detail17trampoline_kernelINS0_14default_configENS1_27scan_by_key_config_selectorIiiEEZZNS1_16scan_by_key_implILNS1_25lookback_scan_determinismE0ELb0ES3_N6thrust23THRUST_200600_302600_NS6detail15normal_iteratorINS9_10device_ptrIiEEEESE_SE_iNS9_10multipliesIiEENS9_8equal_toIiEEiEE10hipError_tPvRmT2_T3_T4_T5_mT6_T7_P12ihipStream_tbENKUlT_T0_E_clISt17integral_constantIbLb1EESZ_EEDaSU_SV_EUlSU_E_NS1_11comp_targetILNS1_3genE9ELNS1_11target_archE1100ELNS1_3gpuE3ELNS1_3repE0EEENS1_30default_config_static_selectorELNS0_4arch9wavefront6targetE0EEEvT1_.uses_flat_scratch, 0
	.set _ZN7rocprim17ROCPRIM_400000_NS6detail17trampoline_kernelINS0_14default_configENS1_27scan_by_key_config_selectorIiiEEZZNS1_16scan_by_key_implILNS1_25lookback_scan_determinismE0ELb0ES3_N6thrust23THRUST_200600_302600_NS6detail15normal_iteratorINS9_10device_ptrIiEEEESE_SE_iNS9_10multipliesIiEENS9_8equal_toIiEEiEE10hipError_tPvRmT2_T3_T4_T5_mT6_T7_P12ihipStream_tbENKUlT_T0_E_clISt17integral_constantIbLb1EESZ_EEDaSU_SV_EUlSU_E_NS1_11comp_targetILNS1_3genE9ELNS1_11target_archE1100ELNS1_3gpuE3ELNS1_3repE0EEENS1_30default_config_static_selectorELNS0_4arch9wavefront6targetE0EEEvT1_.has_dyn_sized_stack, 0
	.set _ZN7rocprim17ROCPRIM_400000_NS6detail17trampoline_kernelINS0_14default_configENS1_27scan_by_key_config_selectorIiiEEZZNS1_16scan_by_key_implILNS1_25lookback_scan_determinismE0ELb0ES3_N6thrust23THRUST_200600_302600_NS6detail15normal_iteratorINS9_10device_ptrIiEEEESE_SE_iNS9_10multipliesIiEENS9_8equal_toIiEEiEE10hipError_tPvRmT2_T3_T4_T5_mT6_T7_P12ihipStream_tbENKUlT_T0_E_clISt17integral_constantIbLb1EESZ_EEDaSU_SV_EUlSU_E_NS1_11comp_targetILNS1_3genE9ELNS1_11target_archE1100ELNS1_3gpuE3ELNS1_3repE0EEENS1_30default_config_static_selectorELNS0_4arch9wavefront6targetE0EEEvT1_.has_recursion, 0
	.set _ZN7rocprim17ROCPRIM_400000_NS6detail17trampoline_kernelINS0_14default_configENS1_27scan_by_key_config_selectorIiiEEZZNS1_16scan_by_key_implILNS1_25lookback_scan_determinismE0ELb0ES3_N6thrust23THRUST_200600_302600_NS6detail15normal_iteratorINS9_10device_ptrIiEEEESE_SE_iNS9_10multipliesIiEENS9_8equal_toIiEEiEE10hipError_tPvRmT2_T3_T4_T5_mT6_T7_P12ihipStream_tbENKUlT_T0_E_clISt17integral_constantIbLb1EESZ_EEDaSU_SV_EUlSU_E_NS1_11comp_targetILNS1_3genE9ELNS1_11target_archE1100ELNS1_3gpuE3ELNS1_3repE0EEENS1_30default_config_static_selectorELNS0_4arch9wavefront6targetE0EEEvT1_.has_indirect_call, 0
	.section	.AMDGPU.csdata,"",@progbits
; Kernel info:
; codeLenInByte = 0
; TotalNumSgprs: 0
; NumVgprs: 0
; ScratchSize: 0
; MemoryBound: 0
; FloatMode: 240
; IeeeMode: 1
; LDSByteSize: 0 bytes/workgroup (compile time only)
; SGPRBlocks: 0
; VGPRBlocks: 0
; NumSGPRsForWavesPerEU: 1
; NumVGPRsForWavesPerEU: 1
; NamedBarCnt: 0
; Occupancy: 16
; WaveLimiterHint : 0
; COMPUTE_PGM_RSRC2:SCRATCH_EN: 0
; COMPUTE_PGM_RSRC2:USER_SGPR: 2
; COMPUTE_PGM_RSRC2:TRAP_HANDLER: 0
; COMPUTE_PGM_RSRC2:TGID_X_EN: 1
; COMPUTE_PGM_RSRC2:TGID_Y_EN: 0
; COMPUTE_PGM_RSRC2:TGID_Z_EN: 0
; COMPUTE_PGM_RSRC2:TIDIG_COMP_CNT: 0
	.section	.text._ZN7rocprim17ROCPRIM_400000_NS6detail17trampoline_kernelINS0_14default_configENS1_27scan_by_key_config_selectorIiiEEZZNS1_16scan_by_key_implILNS1_25lookback_scan_determinismE0ELb0ES3_N6thrust23THRUST_200600_302600_NS6detail15normal_iteratorINS9_10device_ptrIiEEEESE_SE_iNS9_10multipliesIiEENS9_8equal_toIiEEiEE10hipError_tPvRmT2_T3_T4_T5_mT6_T7_P12ihipStream_tbENKUlT_T0_E_clISt17integral_constantIbLb1EESZ_EEDaSU_SV_EUlSU_E_NS1_11comp_targetILNS1_3genE8ELNS1_11target_archE1030ELNS1_3gpuE2ELNS1_3repE0EEENS1_30default_config_static_selectorELNS0_4arch9wavefront6targetE0EEEvT1_,"axG",@progbits,_ZN7rocprim17ROCPRIM_400000_NS6detail17trampoline_kernelINS0_14default_configENS1_27scan_by_key_config_selectorIiiEEZZNS1_16scan_by_key_implILNS1_25lookback_scan_determinismE0ELb0ES3_N6thrust23THRUST_200600_302600_NS6detail15normal_iteratorINS9_10device_ptrIiEEEESE_SE_iNS9_10multipliesIiEENS9_8equal_toIiEEiEE10hipError_tPvRmT2_T3_T4_T5_mT6_T7_P12ihipStream_tbENKUlT_T0_E_clISt17integral_constantIbLb1EESZ_EEDaSU_SV_EUlSU_E_NS1_11comp_targetILNS1_3genE8ELNS1_11target_archE1030ELNS1_3gpuE2ELNS1_3repE0EEENS1_30default_config_static_selectorELNS0_4arch9wavefront6targetE0EEEvT1_,comdat
	.protected	_ZN7rocprim17ROCPRIM_400000_NS6detail17trampoline_kernelINS0_14default_configENS1_27scan_by_key_config_selectorIiiEEZZNS1_16scan_by_key_implILNS1_25lookback_scan_determinismE0ELb0ES3_N6thrust23THRUST_200600_302600_NS6detail15normal_iteratorINS9_10device_ptrIiEEEESE_SE_iNS9_10multipliesIiEENS9_8equal_toIiEEiEE10hipError_tPvRmT2_T3_T4_T5_mT6_T7_P12ihipStream_tbENKUlT_T0_E_clISt17integral_constantIbLb1EESZ_EEDaSU_SV_EUlSU_E_NS1_11comp_targetILNS1_3genE8ELNS1_11target_archE1030ELNS1_3gpuE2ELNS1_3repE0EEENS1_30default_config_static_selectorELNS0_4arch9wavefront6targetE0EEEvT1_ ; -- Begin function _ZN7rocprim17ROCPRIM_400000_NS6detail17trampoline_kernelINS0_14default_configENS1_27scan_by_key_config_selectorIiiEEZZNS1_16scan_by_key_implILNS1_25lookback_scan_determinismE0ELb0ES3_N6thrust23THRUST_200600_302600_NS6detail15normal_iteratorINS9_10device_ptrIiEEEESE_SE_iNS9_10multipliesIiEENS9_8equal_toIiEEiEE10hipError_tPvRmT2_T3_T4_T5_mT6_T7_P12ihipStream_tbENKUlT_T0_E_clISt17integral_constantIbLb1EESZ_EEDaSU_SV_EUlSU_E_NS1_11comp_targetILNS1_3genE8ELNS1_11target_archE1030ELNS1_3gpuE2ELNS1_3repE0EEENS1_30default_config_static_selectorELNS0_4arch9wavefront6targetE0EEEvT1_
	.globl	_ZN7rocprim17ROCPRIM_400000_NS6detail17trampoline_kernelINS0_14default_configENS1_27scan_by_key_config_selectorIiiEEZZNS1_16scan_by_key_implILNS1_25lookback_scan_determinismE0ELb0ES3_N6thrust23THRUST_200600_302600_NS6detail15normal_iteratorINS9_10device_ptrIiEEEESE_SE_iNS9_10multipliesIiEENS9_8equal_toIiEEiEE10hipError_tPvRmT2_T3_T4_T5_mT6_T7_P12ihipStream_tbENKUlT_T0_E_clISt17integral_constantIbLb1EESZ_EEDaSU_SV_EUlSU_E_NS1_11comp_targetILNS1_3genE8ELNS1_11target_archE1030ELNS1_3gpuE2ELNS1_3repE0EEENS1_30default_config_static_selectorELNS0_4arch9wavefront6targetE0EEEvT1_
	.p2align	8
	.type	_ZN7rocprim17ROCPRIM_400000_NS6detail17trampoline_kernelINS0_14default_configENS1_27scan_by_key_config_selectorIiiEEZZNS1_16scan_by_key_implILNS1_25lookback_scan_determinismE0ELb0ES3_N6thrust23THRUST_200600_302600_NS6detail15normal_iteratorINS9_10device_ptrIiEEEESE_SE_iNS9_10multipliesIiEENS9_8equal_toIiEEiEE10hipError_tPvRmT2_T3_T4_T5_mT6_T7_P12ihipStream_tbENKUlT_T0_E_clISt17integral_constantIbLb1EESZ_EEDaSU_SV_EUlSU_E_NS1_11comp_targetILNS1_3genE8ELNS1_11target_archE1030ELNS1_3gpuE2ELNS1_3repE0EEENS1_30default_config_static_selectorELNS0_4arch9wavefront6targetE0EEEvT1_,@function
_ZN7rocprim17ROCPRIM_400000_NS6detail17trampoline_kernelINS0_14default_configENS1_27scan_by_key_config_selectorIiiEEZZNS1_16scan_by_key_implILNS1_25lookback_scan_determinismE0ELb0ES3_N6thrust23THRUST_200600_302600_NS6detail15normal_iteratorINS9_10device_ptrIiEEEESE_SE_iNS9_10multipliesIiEENS9_8equal_toIiEEiEE10hipError_tPvRmT2_T3_T4_T5_mT6_T7_P12ihipStream_tbENKUlT_T0_E_clISt17integral_constantIbLb1EESZ_EEDaSU_SV_EUlSU_E_NS1_11comp_targetILNS1_3genE8ELNS1_11target_archE1030ELNS1_3gpuE2ELNS1_3repE0EEENS1_30default_config_static_selectorELNS0_4arch9wavefront6targetE0EEEvT1_: ; @_ZN7rocprim17ROCPRIM_400000_NS6detail17trampoline_kernelINS0_14default_configENS1_27scan_by_key_config_selectorIiiEEZZNS1_16scan_by_key_implILNS1_25lookback_scan_determinismE0ELb0ES3_N6thrust23THRUST_200600_302600_NS6detail15normal_iteratorINS9_10device_ptrIiEEEESE_SE_iNS9_10multipliesIiEENS9_8equal_toIiEEiEE10hipError_tPvRmT2_T3_T4_T5_mT6_T7_P12ihipStream_tbENKUlT_T0_E_clISt17integral_constantIbLb1EESZ_EEDaSU_SV_EUlSU_E_NS1_11comp_targetILNS1_3genE8ELNS1_11target_archE1030ELNS1_3gpuE2ELNS1_3repE0EEENS1_30default_config_static_selectorELNS0_4arch9wavefront6targetE0EEEvT1_
; %bb.0:
	.section	.rodata,"a",@progbits
	.p2align	6, 0x0
	.amdhsa_kernel _ZN7rocprim17ROCPRIM_400000_NS6detail17trampoline_kernelINS0_14default_configENS1_27scan_by_key_config_selectorIiiEEZZNS1_16scan_by_key_implILNS1_25lookback_scan_determinismE0ELb0ES3_N6thrust23THRUST_200600_302600_NS6detail15normal_iteratorINS9_10device_ptrIiEEEESE_SE_iNS9_10multipliesIiEENS9_8equal_toIiEEiEE10hipError_tPvRmT2_T3_T4_T5_mT6_T7_P12ihipStream_tbENKUlT_T0_E_clISt17integral_constantIbLb1EESZ_EEDaSU_SV_EUlSU_E_NS1_11comp_targetILNS1_3genE8ELNS1_11target_archE1030ELNS1_3gpuE2ELNS1_3repE0EEENS1_30default_config_static_selectorELNS0_4arch9wavefront6targetE0EEEvT1_
		.amdhsa_group_segment_fixed_size 0
		.amdhsa_private_segment_fixed_size 0
		.amdhsa_kernarg_size 112
		.amdhsa_user_sgpr_count 2
		.amdhsa_user_sgpr_dispatch_ptr 0
		.amdhsa_user_sgpr_queue_ptr 0
		.amdhsa_user_sgpr_kernarg_segment_ptr 1
		.amdhsa_user_sgpr_dispatch_id 0
		.amdhsa_user_sgpr_kernarg_preload_length 0
		.amdhsa_user_sgpr_kernarg_preload_offset 0
		.amdhsa_user_sgpr_private_segment_size 0
		.amdhsa_wavefront_size32 1
		.amdhsa_uses_dynamic_stack 0
		.amdhsa_enable_private_segment 0
		.amdhsa_system_sgpr_workgroup_id_x 1
		.amdhsa_system_sgpr_workgroup_id_y 0
		.amdhsa_system_sgpr_workgroup_id_z 0
		.amdhsa_system_sgpr_workgroup_info 0
		.amdhsa_system_vgpr_workitem_id 0
		.amdhsa_next_free_vgpr 1
		.amdhsa_next_free_sgpr 1
		.amdhsa_named_barrier_count 0
		.amdhsa_reserve_vcc 0
		.amdhsa_float_round_mode_32 0
		.amdhsa_float_round_mode_16_64 0
		.amdhsa_float_denorm_mode_32 3
		.amdhsa_float_denorm_mode_16_64 3
		.amdhsa_fp16_overflow 0
		.amdhsa_memory_ordered 1
		.amdhsa_forward_progress 1
		.amdhsa_inst_pref_size 0
		.amdhsa_round_robin_scheduling 0
		.amdhsa_exception_fp_ieee_invalid_op 0
		.amdhsa_exception_fp_denorm_src 0
		.amdhsa_exception_fp_ieee_div_zero 0
		.amdhsa_exception_fp_ieee_overflow 0
		.amdhsa_exception_fp_ieee_underflow 0
		.amdhsa_exception_fp_ieee_inexact 0
		.amdhsa_exception_int_div_zero 0
	.end_amdhsa_kernel
	.section	.text._ZN7rocprim17ROCPRIM_400000_NS6detail17trampoline_kernelINS0_14default_configENS1_27scan_by_key_config_selectorIiiEEZZNS1_16scan_by_key_implILNS1_25lookback_scan_determinismE0ELb0ES3_N6thrust23THRUST_200600_302600_NS6detail15normal_iteratorINS9_10device_ptrIiEEEESE_SE_iNS9_10multipliesIiEENS9_8equal_toIiEEiEE10hipError_tPvRmT2_T3_T4_T5_mT6_T7_P12ihipStream_tbENKUlT_T0_E_clISt17integral_constantIbLb1EESZ_EEDaSU_SV_EUlSU_E_NS1_11comp_targetILNS1_3genE8ELNS1_11target_archE1030ELNS1_3gpuE2ELNS1_3repE0EEENS1_30default_config_static_selectorELNS0_4arch9wavefront6targetE0EEEvT1_,"axG",@progbits,_ZN7rocprim17ROCPRIM_400000_NS6detail17trampoline_kernelINS0_14default_configENS1_27scan_by_key_config_selectorIiiEEZZNS1_16scan_by_key_implILNS1_25lookback_scan_determinismE0ELb0ES3_N6thrust23THRUST_200600_302600_NS6detail15normal_iteratorINS9_10device_ptrIiEEEESE_SE_iNS9_10multipliesIiEENS9_8equal_toIiEEiEE10hipError_tPvRmT2_T3_T4_T5_mT6_T7_P12ihipStream_tbENKUlT_T0_E_clISt17integral_constantIbLb1EESZ_EEDaSU_SV_EUlSU_E_NS1_11comp_targetILNS1_3genE8ELNS1_11target_archE1030ELNS1_3gpuE2ELNS1_3repE0EEENS1_30default_config_static_selectorELNS0_4arch9wavefront6targetE0EEEvT1_,comdat
.Lfunc_end181:
	.size	_ZN7rocprim17ROCPRIM_400000_NS6detail17trampoline_kernelINS0_14default_configENS1_27scan_by_key_config_selectorIiiEEZZNS1_16scan_by_key_implILNS1_25lookback_scan_determinismE0ELb0ES3_N6thrust23THRUST_200600_302600_NS6detail15normal_iteratorINS9_10device_ptrIiEEEESE_SE_iNS9_10multipliesIiEENS9_8equal_toIiEEiEE10hipError_tPvRmT2_T3_T4_T5_mT6_T7_P12ihipStream_tbENKUlT_T0_E_clISt17integral_constantIbLb1EESZ_EEDaSU_SV_EUlSU_E_NS1_11comp_targetILNS1_3genE8ELNS1_11target_archE1030ELNS1_3gpuE2ELNS1_3repE0EEENS1_30default_config_static_selectorELNS0_4arch9wavefront6targetE0EEEvT1_, .Lfunc_end181-_ZN7rocprim17ROCPRIM_400000_NS6detail17trampoline_kernelINS0_14default_configENS1_27scan_by_key_config_selectorIiiEEZZNS1_16scan_by_key_implILNS1_25lookback_scan_determinismE0ELb0ES3_N6thrust23THRUST_200600_302600_NS6detail15normal_iteratorINS9_10device_ptrIiEEEESE_SE_iNS9_10multipliesIiEENS9_8equal_toIiEEiEE10hipError_tPvRmT2_T3_T4_T5_mT6_T7_P12ihipStream_tbENKUlT_T0_E_clISt17integral_constantIbLb1EESZ_EEDaSU_SV_EUlSU_E_NS1_11comp_targetILNS1_3genE8ELNS1_11target_archE1030ELNS1_3gpuE2ELNS1_3repE0EEENS1_30default_config_static_selectorELNS0_4arch9wavefront6targetE0EEEvT1_
                                        ; -- End function
	.set _ZN7rocprim17ROCPRIM_400000_NS6detail17trampoline_kernelINS0_14default_configENS1_27scan_by_key_config_selectorIiiEEZZNS1_16scan_by_key_implILNS1_25lookback_scan_determinismE0ELb0ES3_N6thrust23THRUST_200600_302600_NS6detail15normal_iteratorINS9_10device_ptrIiEEEESE_SE_iNS9_10multipliesIiEENS9_8equal_toIiEEiEE10hipError_tPvRmT2_T3_T4_T5_mT6_T7_P12ihipStream_tbENKUlT_T0_E_clISt17integral_constantIbLb1EESZ_EEDaSU_SV_EUlSU_E_NS1_11comp_targetILNS1_3genE8ELNS1_11target_archE1030ELNS1_3gpuE2ELNS1_3repE0EEENS1_30default_config_static_selectorELNS0_4arch9wavefront6targetE0EEEvT1_.num_vgpr, 0
	.set _ZN7rocprim17ROCPRIM_400000_NS6detail17trampoline_kernelINS0_14default_configENS1_27scan_by_key_config_selectorIiiEEZZNS1_16scan_by_key_implILNS1_25lookback_scan_determinismE0ELb0ES3_N6thrust23THRUST_200600_302600_NS6detail15normal_iteratorINS9_10device_ptrIiEEEESE_SE_iNS9_10multipliesIiEENS9_8equal_toIiEEiEE10hipError_tPvRmT2_T3_T4_T5_mT6_T7_P12ihipStream_tbENKUlT_T0_E_clISt17integral_constantIbLb1EESZ_EEDaSU_SV_EUlSU_E_NS1_11comp_targetILNS1_3genE8ELNS1_11target_archE1030ELNS1_3gpuE2ELNS1_3repE0EEENS1_30default_config_static_selectorELNS0_4arch9wavefront6targetE0EEEvT1_.num_agpr, 0
	.set _ZN7rocprim17ROCPRIM_400000_NS6detail17trampoline_kernelINS0_14default_configENS1_27scan_by_key_config_selectorIiiEEZZNS1_16scan_by_key_implILNS1_25lookback_scan_determinismE0ELb0ES3_N6thrust23THRUST_200600_302600_NS6detail15normal_iteratorINS9_10device_ptrIiEEEESE_SE_iNS9_10multipliesIiEENS9_8equal_toIiEEiEE10hipError_tPvRmT2_T3_T4_T5_mT6_T7_P12ihipStream_tbENKUlT_T0_E_clISt17integral_constantIbLb1EESZ_EEDaSU_SV_EUlSU_E_NS1_11comp_targetILNS1_3genE8ELNS1_11target_archE1030ELNS1_3gpuE2ELNS1_3repE0EEENS1_30default_config_static_selectorELNS0_4arch9wavefront6targetE0EEEvT1_.numbered_sgpr, 0
	.set _ZN7rocprim17ROCPRIM_400000_NS6detail17trampoline_kernelINS0_14default_configENS1_27scan_by_key_config_selectorIiiEEZZNS1_16scan_by_key_implILNS1_25lookback_scan_determinismE0ELb0ES3_N6thrust23THRUST_200600_302600_NS6detail15normal_iteratorINS9_10device_ptrIiEEEESE_SE_iNS9_10multipliesIiEENS9_8equal_toIiEEiEE10hipError_tPvRmT2_T3_T4_T5_mT6_T7_P12ihipStream_tbENKUlT_T0_E_clISt17integral_constantIbLb1EESZ_EEDaSU_SV_EUlSU_E_NS1_11comp_targetILNS1_3genE8ELNS1_11target_archE1030ELNS1_3gpuE2ELNS1_3repE0EEENS1_30default_config_static_selectorELNS0_4arch9wavefront6targetE0EEEvT1_.num_named_barrier, 0
	.set _ZN7rocprim17ROCPRIM_400000_NS6detail17trampoline_kernelINS0_14default_configENS1_27scan_by_key_config_selectorIiiEEZZNS1_16scan_by_key_implILNS1_25lookback_scan_determinismE0ELb0ES3_N6thrust23THRUST_200600_302600_NS6detail15normal_iteratorINS9_10device_ptrIiEEEESE_SE_iNS9_10multipliesIiEENS9_8equal_toIiEEiEE10hipError_tPvRmT2_T3_T4_T5_mT6_T7_P12ihipStream_tbENKUlT_T0_E_clISt17integral_constantIbLb1EESZ_EEDaSU_SV_EUlSU_E_NS1_11comp_targetILNS1_3genE8ELNS1_11target_archE1030ELNS1_3gpuE2ELNS1_3repE0EEENS1_30default_config_static_selectorELNS0_4arch9wavefront6targetE0EEEvT1_.private_seg_size, 0
	.set _ZN7rocprim17ROCPRIM_400000_NS6detail17trampoline_kernelINS0_14default_configENS1_27scan_by_key_config_selectorIiiEEZZNS1_16scan_by_key_implILNS1_25lookback_scan_determinismE0ELb0ES3_N6thrust23THRUST_200600_302600_NS6detail15normal_iteratorINS9_10device_ptrIiEEEESE_SE_iNS9_10multipliesIiEENS9_8equal_toIiEEiEE10hipError_tPvRmT2_T3_T4_T5_mT6_T7_P12ihipStream_tbENKUlT_T0_E_clISt17integral_constantIbLb1EESZ_EEDaSU_SV_EUlSU_E_NS1_11comp_targetILNS1_3genE8ELNS1_11target_archE1030ELNS1_3gpuE2ELNS1_3repE0EEENS1_30default_config_static_selectorELNS0_4arch9wavefront6targetE0EEEvT1_.uses_vcc, 0
	.set _ZN7rocprim17ROCPRIM_400000_NS6detail17trampoline_kernelINS0_14default_configENS1_27scan_by_key_config_selectorIiiEEZZNS1_16scan_by_key_implILNS1_25lookback_scan_determinismE0ELb0ES3_N6thrust23THRUST_200600_302600_NS6detail15normal_iteratorINS9_10device_ptrIiEEEESE_SE_iNS9_10multipliesIiEENS9_8equal_toIiEEiEE10hipError_tPvRmT2_T3_T4_T5_mT6_T7_P12ihipStream_tbENKUlT_T0_E_clISt17integral_constantIbLb1EESZ_EEDaSU_SV_EUlSU_E_NS1_11comp_targetILNS1_3genE8ELNS1_11target_archE1030ELNS1_3gpuE2ELNS1_3repE0EEENS1_30default_config_static_selectorELNS0_4arch9wavefront6targetE0EEEvT1_.uses_flat_scratch, 0
	.set _ZN7rocprim17ROCPRIM_400000_NS6detail17trampoline_kernelINS0_14default_configENS1_27scan_by_key_config_selectorIiiEEZZNS1_16scan_by_key_implILNS1_25lookback_scan_determinismE0ELb0ES3_N6thrust23THRUST_200600_302600_NS6detail15normal_iteratorINS9_10device_ptrIiEEEESE_SE_iNS9_10multipliesIiEENS9_8equal_toIiEEiEE10hipError_tPvRmT2_T3_T4_T5_mT6_T7_P12ihipStream_tbENKUlT_T0_E_clISt17integral_constantIbLb1EESZ_EEDaSU_SV_EUlSU_E_NS1_11comp_targetILNS1_3genE8ELNS1_11target_archE1030ELNS1_3gpuE2ELNS1_3repE0EEENS1_30default_config_static_selectorELNS0_4arch9wavefront6targetE0EEEvT1_.has_dyn_sized_stack, 0
	.set _ZN7rocprim17ROCPRIM_400000_NS6detail17trampoline_kernelINS0_14default_configENS1_27scan_by_key_config_selectorIiiEEZZNS1_16scan_by_key_implILNS1_25lookback_scan_determinismE0ELb0ES3_N6thrust23THRUST_200600_302600_NS6detail15normal_iteratorINS9_10device_ptrIiEEEESE_SE_iNS9_10multipliesIiEENS9_8equal_toIiEEiEE10hipError_tPvRmT2_T3_T4_T5_mT6_T7_P12ihipStream_tbENKUlT_T0_E_clISt17integral_constantIbLb1EESZ_EEDaSU_SV_EUlSU_E_NS1_11comp_targetILNS1_3genE8ELNS1_11target_archE1030ELNS1_3gpuE2ELNS1_3repE0EEENS1_30default_config_static_selectorELNS0_4arch9wavefront6targetE0EEEvT1_.has_recursion, 0
	.set _ZN7rocprim17ROCPRIM_400000_NS6detail17trampoline_kernelINS0_14default_configENS1_27scan_by_key_config_selectorIiiEEZZNS1_16scan_by_key_implILNS1_25lookback_scan_determinismE0ELb0ES3_N6thrust23THRUST_200600_302600_NS6detail15normal_iteratorINS9_10device_ptrIiEEEESE_SE_iNS9_10multipliesIiEENS9_8equal_toIiEEiEE10hipError_tPvRmT2_T3_T4_T5_mT6_T7_P12ihipStream_tbENKUlT_T0_E_clISt17integral_constantIbLb1EESZ_EEDaSU_SV_EUlSU_E_NS1_11comp_targetILNS1_3genE8ELNS1_11target_archE1030ELNS1_3gpuE2ELNS1_3repE0EEENS1_30default_config_static_selectorELNS0_4arch9wavefront6targetE0EEEvT1_.has_indirect_call, 0
	.section	.AMDGPU.csdata,"",@progbits
; Kernel info:
; codeLenInByte = 0
; TotalNumSgprs: 0
; NumVgprs: 0
; ScratchSize: 0
; MemoryBound: 0
; FloatMode: 240
; IeeeMode: 1
; LDSByteSize: 0 bytes/workgroup (compile time only)
; SGPRBlocks: 0
; VGPRBlocks: 0
; NumSGPRsForWavesPerEU: 1
; NumVGPRsForWavesPerEU: 1
; NamedBarCnt: 0
; Occupancy: 16
; WaveLimiterHint : 0
; COMPUTE_PGM_RSRC2:SCRATCH_EN: 0
; COMPUTE_PGM_RSRC2:USER_SGPR: 2
; COMPUTE_PGM_RSRC2:TRAP_HANDLER: 0
; COMPUTE_PGM_RSRC2:TGID_X_EN: 1
; COMPUTE_PGM_RSRC2:TGID_Y_EN: 0
; COMPUTE_PGM_RSRC2:TGID_Z_EN: 0
; COMPUTE_PGM_RSRC2:TIDIG_COMP_CNT: 0
	.section	.text._ZN7rocprim17ROCPRIM_400000_NS6detail17trampoline_kernelINS0_14default_configENS1_27scan_by_key_config_selectorIiiEEZZNS1_16scan_by_key_implILNS1_25lookback_scan_determinismE0ELb0ES3_N6thrust23THRUST_200600_302600_NS6detail15normal_iteratorINS9_10device_ptrIiEEEESE_SE_iNS9_10multipliesIiEENS9_8equal_toIiEEiEE10hipError_tPvRmT2_T3_T4_T5_mT6_T7_P12ihipStream_tbENKUlT_T0_E_clISt17integral_constantIbLb1EESY_IbLb0EEEEDaSU_SV_EUlSU_E_NS1_11comp_targetILNS1_3genE0ELNS1_11target_archE4294967295ELNS1_3gpuE0ELNS1_3repE0EEENS1_30default_config_static_selectorELNS0_4arch9wavefront6targetE0EEEvT1_,"axG",@progbits,_ZN7rocprim17ROCPRIM_400000_NS6detail17trampoline_kernelINS0_14default_configENS1_27scan_by_key_config_selectorIiiEEZZNS1_16scan_by_key_implILNS1_25lookback_scan_determinismE0ELb0ES3_N6thrust23THRUST_200600_302600_NS6detail15normal_iteratorINS9_10device_ptrIiEEEESE_SE_iNS9_10multipliesIiEENS9_8equal_toIiEEiEE10hipError_tPvRmT2_T3_T4_T5_mT6_T7_P12ihipStream_tbENKUlT_T0_E_clISt17integral_constantIbLb1EESY_IbLb0EEEEDaSU_SV_EUlSU_E_NS1_11comp_targetILNS1_3genE0ELNS1_11target_archE4294967295ELNS1_3gpuE0ELNS1_3repE0EEENS1_30default_config_static_selectorELNS0_4arch9wavefront6targetE0EEEvT1_,comdat
	.protected	_ZN7rocprim17ROCPRIM_400000_NS6detail17trampoline_kernelINS0_14default_configENS1_27scan_by_key_config_selectorIiiEEZZNS1_16scan_by_key_implILNS1_25lookback_scan_determinismE0ELb0ES3_N6thrust23THRUST_200600_302600_NS6detail15normal_iteratorINS9_10device_ptrIiEEEESE_SE_iNS9_10multipliesIiEENS9_8equal_toIiEEiEE10hipError_tPvRmT2_T3_T4_T5_mT6_T7_P12ihipStream_tbENKUlT_T0_E_clISt17integral_constantIbLb1EESY_IbLb0EEEEDaSU_SV_EUlSU_E_NS1_11comp_targetILNS1_3genE0ELNS1_11target_archE4294967295ELNS1_3gpuE0ELNS1_3repE0EEENS1_30default_config_static_selectorELNS0_4arch9wavefront6targetE0EEEvT1_ ; -- Begin function _ZN7rocprim17ROCPRIM_400000_NS6detail17trampoline_kernelINS0_14default_configENS1_27scan_by_key_config_selectorIiiEEZZNS1_16scan_by_key_implILNS1_25lookback_scan_determinismE0ELb0ES3_N6thrust23THRUST_200600_302600_NS6detail15normal_iteratorINS9_10device_ptrIiEEEESE_SE_iNS9_10multipliesIiEENS9_8equal_toIiEEiEE10hipError_tPvRmT2_T3_T4_T5_mT6_T7_P12ihipStream_tbENKUlT_T0_E_clISt17integral_constantIbLb1EESY_IbLb0EEEEDaSU_SV_EUlSU_E_NS1_11comp_targetILNS1_3genE0ELNS1_11target_archE4294967295ELNS1_3gpuE0ELNS1_3repE0EEENS1_30default_config_static_selectorELNS0_4arch9wavefront6targetE0EEEvT1_
	.globl	_ZN7rocprim17ROCPRIM_400000_NS6detail17trampoline_kernelINS0_14default_configENS1_27scan_by_key_config_selectorIiiEEZZNS1_16scan_by_key_implILNS1_25lookback_scan_determinismE0ELb0ES3_N6thrust23THRUST_200600_302600_NS6detail15normal_iteratorINS9_10device_ptrIiEEEESE_SE_iNS9_10multipliesIiEENS9_8equal_toIiEEiEE10hipError_tPvRmT2_T3_T4_T5_mT6_T7_P12ihipStream_tbENKUlT_T0_E_clISt17integral_constantIbLb1EESY_IbLb0EEEEDaSU_SV_EUlSU_E_NS1_11comp_targetILNS1_3genE0ELNS1_11target_archE4294967295ELNS1_3gpuE0ELNS1_3repE0EEENS1_30default_config_static_selectorELNS0_4arch9wavefront6targetE0EEEvT1_
	.p2align	8
	.type	_ZN7rocprim17ROCPRIM_400000_NS6detail17trampoline_kernelINS0_14default_configENS1_27scan_by_key_config_selectorIiiEEZZNS1_16scan_by_key_implILNS1_25lookback_scan_determinismE0ELb0ES3_N6thrust23THRUST_200600_302600_NS6detail15normal_iteratorINS9_10device_ptrIiEEEESE_SE_iNS9_10multipliesIiEENS9_8equal_toIiEEiEE10hipError_tPvRmT2_T3_T4_T5_mT6_T7_P12ihipStream_tbENKUlT_T0_E_clISt17integral_constantIbLb1EESY_IbLb0EEEEDaSU_SV_EUlSU_E_NS1_11comp_targetILNS1_3genE0ELNS1_11target_archE4294967295ELNS1_3gpuE0ELNS1_3repE0EEENS1_30default_config_static_selectorELNS0_4arch9wavefront6targetE0EEEvT1_,@function
_ZN7rocprim17ROCPRIM_400000_NS6detail17trampoline_kernelINS0_14default_configENS1_27scan_by_key_config_selectorIiiEEZZNS1_16scan_by_key_implILNS1_25lookback_scan_determinismE0ELb0ES3_N6thrust23THRUST_200600_302600_NS6detail15normal_iteratorINS9_10device_ptrIiEEEESE_SE_iNS9_10multipliesIiEENS9_8equal_toIiEEiEE10hipError_tPvRmT2_T3_T4_T5_mT6_T7_P12ihipStream_tbENKUlT_T0_E_clISt17integral_constantIbLb1EESY_IbLb0EEEEDaSU_SV_EUlSU_E_NS1_11comp_targetILNS1_3genE0ELNS1_11target_archE4294967295ELNS1_3gpuE0ELNS1_3repE0EEENS1_30default_config_static_selectorELNS0_4arch9wavefront6targetE0EEEvT1_: ; @_ZN7rocprim17ROCPRIM_400000_NS6detail17trampoline_kernelINS0_14default_configENS1_27scan_by_key_config_selectorIiiEEZZNS1_16scan_by_key_implILNS1_25lookback_scan_determinismE0ELb0ES3_N6thrust23THRUST_200600_302600_NS6detail15normal_iteratorINS9_10device_ptrIiEEEESE_SE_iNS9_10multipliesIiEENS9_8equal_toIiEEiEE10hipError_tPvRmT2_T3_T4_T5_mT6_T7_P12ihipStream_tbENKUlT_T0_E_clISt17integral_constantIbLb1EESY_IbLb0EEEEDaSU_SV_EUlSU_E_NS1_11comp_targetILNS1_3genE0ELNS1_11target_archE4294967295ELNS1_3gpuE0ELNS1_3repE0EEENS1_30default_config_static_selectorELNS0_4arch9wavefront6targetE0EEEvT1_
; %bb.0:
	s_endpgm
	.section	.rodata,"a",@progbits
	.p2align	6, 0x0
	.amdhsa_kernel _ZN7rocprim17ROCPRIM_400000_NS6detail17trampoline_kernelINS0_14default_configENS1_27scan_by_key_config_selectorIiiEEZZNS1_16scan_by_key_implILNS1_25lookback_scan_determinismE0ELb0ES3_N6thrust23THRUST_200600_302600_NS6detail15normal_iteratorINS9_10device_ptrIiEEEESE_SE_iNS9_10multipliesIiEENS9_8equal_toIiEEiEE10hipError_tPvRmT2_T3_T4_T5_mT6_T7_P12ihipStream_tbENKUlT_T0_E_clISt17integral_constantIbLb1EESY_IbLb0EEEEDaSU_SV_EUlSU_E_NS1_11comp_targetILNS1_3genE0ELNS1_11target_archE4294967295ELNS1_3gpuE0ELNS1_3repE0EEENS1_30default_config_static_selectorELNS0_4arch9wavefront6targetE0EEEvT1_
		.amdhsa_group_segment_fixed_size 0
		.amdhsa_private_segment_fixed_size 0
		.amdhsa_kernarg_size 112
		.amdhsa_user_sgpr_count 2
		.amdhsa_user_sgpr_dispatch_ptr 0
		.amdhsa_user_sgpr_queue_ptr 0
		.amdhsa_user_sgpr_kernarg_segment_ptr 1
		.amdhsa_user_sgpr_dispatch_id 0
		.amdhsa_user_sgpr_kernarg_preload_length 0
		.amdhsa_user_sgpr_kernarg_preload_offset 0
		.amdhsa_user_sgpr_private_segment_size 0
		.amdhsa_wavefront_size32 1
		.amdhsa_uses_dynamic_stack 0
		.amdhsa_enable_private_segment 0
		.amdhsa_system_sgpr_workgroup_id_x 1
		.amdhsa_system_sgpr_workgroup_id_y 0
		.amdhsa_system_sgpr_workgroup_id_z 0
		.amdhsa_system_sgpr_workgroup_info 0
		.amdhsa_system_vgpr_workitem_id 0
		.amdhsa_next_free_vgpr 1
		.amdhsa_next_free_sgpr 1
		.amdhsa_named_barrier_count 0
		.amdhsa_reserve_vcc 0
		.amdhsa_float_round_mode_32 0
		.amdhsa_float_round_mode_16_64 0
		.amdhsa_float_denorm_mode_32 3
		.amdhsa_float_denorm_mode_16_64 3
		.amdhsa_fp16_overflow 0
		.amdhsa_memory_ordered 1
		.amdhsa_forward_progress 1
		.amdhsa_inst_pref_size 1
		.amdhsa_round_robin_scheduling 0
		.amdhsa_exception_fp_ieee_invalid_op 0
		.amdhsa_exception_fp_denorm_src 0
		.amdhsa_exception_fp_ieee_div_zero 0
		.amdhsa_exception_fp_ieee_overflow 0
		.amdhsa_exception_fp_ieee_underflow 0
		.amdhsa_exception_fp_ieee_inexact 0
		.amdhsa_exception_int_div_zero 0
	.end_amdhsa_kernel
	.section	.text._ZN7rocprim17ROCPRIM_400000_NS6detail17trampoline_kernelINS0_14default_configENS1_27scan_by_key_config_selectorIiiEEZZNS1_16scan_by_key_implILNS1_25lookback_scan_determinismE0ELb0ES3_N6thrust23THRUST_200600_302600_NS6detail15normal_iteratorINS9_10device_ptrIiEEEESE_SE_iNS9_10multipliesIiEENS9_8equal_toIiEEiEE10hipError_tPvRmT2_T3_T4_T5_mT6_T7_P12ihipStream_tbENKUlT_T0_E_clISt17integral_constantIbLb1EESY_IbLb0EEEEDaSU_SV_EUlSU_E_NS1_11comp_targetILNS1_3genE0ELNS1_11target_archE4294967295ELNS1_3gpuE0ELNS1_3repE0EEENS1_30default_config_static_selectorELNS0_4arch9wavefront6targetE0EEEvT1_,"axG",@progbits,_ZN7rocprim17ROCPRIM_400000_NS6detail17trampoline_kernelINS0_14default_configENS1_27scan_by_key_config_selectorIiiEEZZNS1_16scan_by_key_implILNS1_25lookback_scan_determinismE0ELb0ES3_N6thrust23THRUST_200600_302600_NS6detail15normal_iteratorINS9_10device_ptrIiEEEESE_SE_iNS9_10multipliesIiEENS9_8equal_toIiEEiEE10hipError_tPvRmT2_T3_T4_T5_mT6_T7_P12ihipStream_tbENKUlT_T0_E_clISt17integral_constantIbLb1EESY_IbLb0EEEEDaSU_SV_EUlSU_E_NS1_11comp_targetILNS1_3genE0ELNS1_11target_archE4294967295ELNS1_3gpuE0ELNS1_3repE0EEENS1_30default_config_static_selectorELNS0_4arch9wavefront6targetE0EEEvT1_,comdat
.Lfunc_end182:
	.size	_ZN7rocprim17ROCPRIM_400000_NS6detail17trampoline_kernelINS0_14default_configENS1_27scan_by_key_config_selectorIiiEEZZNS1_16scan_by_key_implILNS1_25lookback_scan_determinismE0ELb0ES3_N6thrust23THRUST_200600_302600_NS6detail15normal_iteratorINS9_10device_ptrIiEEEESE_SE_iNS9_10multipliesIiEENS9_8equal_toIiEEiEE10hipError_tPvRmT2_T3_T4_T5_mT6_T7_P12ihipStream_tbENKUlT_T0_E_clISt17integral_constantIbLb1EESY_IbLb0EEEEDaSU_SV_EUlSU_E_NS1_11comp_targetILNS1_3genE0ELNS1_11target_archE4294967295ELNS1_3gpuE0ELNS1_3repE0EEENS1_30default_config_static_selectorELNS0_4arch9wavefront6targetE0EEEvT1_, .Lfunc_end182-_ZN7rocprim17ROCPRIM_400000_NS6detail17trampoline_kernelINS0_14default_configENS1_27scan_by_key_config_selectorIiiEEZZNS1_16scan_by_key_implILNS1_25lookback_scan_determinismE0ELb0ES3_N6thrust23THRUST_200600_302600_NS6detail15normal_iteratorINS9_10device_ptrIiEEEESE_SE_iNS9_10multipliesIiEENS9_8equal_toIiEEiEE10hipError_tPvRmT2_T3_T4_T5_mT6_T7_P12ihipStream_tbENKUlT_T0_E_clISt17integral_constantIbLb1EESY_IbLb0EEEEDaSU_SV_EUlSU_E_NS1_11comp_targetILNS1_3genE0ELNS1_11target_archE4294967295ELNS1_3gpuE0ELNS1_3repE0EEENS1_30default_config_static_selectorELNS0_4arch9wavefront6targetE0EEEvT1_
                                        ; -- End function
	.set _ZN7rocprim17ROCPRIM_400000_NS6detail17trampoline_kernelINS0_14default_configENS1_27scan_by_key_config_selectorIiiEEZZNS1_16scan_by_key_implILNS1_25lookback_scan_determinismE0ELb0ES3_N6thrust23THRUST_200600_302600_NS6detail15normal_iteratorINS9_10device_ptrIiEEEESE_SE_iNS9_10multipliesIiEENS9_8equal_toIiEEiEE10hipError_tPvRmT2_T3_T4_T5_mT6_T7_P12ihipStream_tbENKUlT_T0_E_clISt17integral_constantIbLb1EESY_IbLb0EEEEDaSU_SV_EUlSU_E_NS1_11comp_targetILNS1_3genE0ELNS1_11target_archE4294967295ELNS1_3gpuE0ELNS1_3repE0EEENS1_30default_config_static_selectorELNS0_4arch9wavefront6targetE0EEEvT1_.num_vgpr, 0
	.set _ZN7rocprim17ROCPRIM_400000_NS6detail17trampoline_kernelINS0_14default_configENS1_27scan_by_key_config_selectorIiiEEZZNS1_16scan_by_key_implILNS1_25lookback_scan_determinismE0ELb0ES3_N6thrust23THRUST_200600_302600_NS6detail15normal_iteratorINS9_10device_ptrIiEEEESE_SE_iNS9_10multipliesIiEENS9_8equal_toIiEEiEE10hipError_tPvRmT2_T3_T4_T5_mT6_T7_P12ihipStream_tbENKUlT_T0_E_clISt17integral_constantIbLb1EESY_IbLb0EEEEDaSU_SV_EUlSU_E_NS1_11comp_targetILNS1_3genE0ELNS1_11target_archE4294967295ELNS1_3gpuE0ELNS1_3repE0EEENS1_30default_config_static_selectorELNS0_4arch9wavefront6targetE0EEEvT1_.num_agpr, 0
	.set _ZN7rocprim17ROCPRIM_400000_NS6detail17trampoline_kernelINS0_14default_configENS1_27scan_by_key_config_selectorIiiEEZZNS1_16scan_by_key_implILNS1_25lookback_scan_determinismE0ELb0ES3_N6thrust23THRUST_200600_302600_NS6detail15normal_iteratorINS9_10device_ptrIiEEEESE_SE_iNS9_10multipliesIiEENS9_8equal_toIiEEiEE10hipError_tPvRmT2_T3_T4_T5_mT6_T7_P12ihipStream_tbENKUlT_T0_E_clISt17integral_constantIbLb1EESY_IbLb0EEEEDaSU_SV_EUlSU_E_NS1_11comp_targetILNS1_3genE0ELNS1_11target_archE4294967295ELNS1_3gpuE0ELNS1_3repE0EEENS1_30default_config_static_selectorELNS0_4arch9wavefront6targetE0EEEvT1_.numbered_sgpr, 0
	.set _ZN7rocprim17ROCPRIM_400000_NS6detail17trampoline_kernelINS0_14default_configENS1_27scan_by_key_config_selectorIiiEEZZNS1_16scan_by_key_implILNS1_25lookback_scan_determinismE0ELb0ES3_N6thrust23THRUST_200600_302600_NS6detail15normal_iteratorINS9_10device_ptrIiEEEESE_SE_iNS9_10multipliesIiEENS9_8equal_toIiEEiEE10hipError_tPvRmT2_T3_T4_T5_mT6_T7_P12ihipStream_tbENKUlT_T0_E_clISt17integral_constantIbLb1EESY_IbLb0EEEEDaSU_SV_EUlSU_E_NS1_11comp_targetILNS1_3genE0ELNS1_11target_archE4294967295ELNS1_3gpuE0ELNS1_3repE0EEENS1_30default_config_static_selectorELNS0_4arch9wavefront6targetE0EEEvT1_.num_named_barrier, 0
	.set _ZN7rocprim17ROCPRIM_400000_NS6detail17trampoline_kernelINS0_14default_configENS1_27scan_by_key_config_selectorIiiEEZZNS1_16scan_by_key_implILNS1_25lookback_scan_determinismE0ELb0ES3_N6thrust23THRUST_200600_302600_NS6detail15normal_iteratorINS9_10device_ptrIiEEEESE_SE_iNS9_10multipliesIiEENS9_8equal_toIiEEiEE10hipError_tPvRmT2_T3_T4_T5_mT6_T7_P12ihipStream_tbENKUlT_T0_E_clISt17integral_constantIbLb1EESY_IbLb0EEEEDaSU_SV_EUlSU_E_NS1_11comp_targetILNS1_3genE0ELNS1_11target_archE4294967295ELNS1_3gpuE0ELNS1_3repE0EEENS1_30default_config_static_selectorELNS0_4arch9wavefront6targetE0EEEvT1_.private_seg_size, 0
	.set _ZN7rocprim17ROCPRIM_400000_NS6detail17trampoline_kernelINS0_14default_configENS1_27scan_by_key_config_selectorIiiEEZZNS1_16scan_by_key_implILNS1_25lookback_scan_determinismE0ELb0ES3_N6thrust23THRUST_200600_302600_NS6detail15normal_iteratorINS9_10device_ptrIiEEEESE_SE_iNS9_10multipliesIiEENS9_8equal_toIiEEiEE10hipError_tPvRmT2_T3_T4_T5_mT6_T7_P12ihipStream_tbENKUlT_T0_E_clISt17integral_constantIbLb1EESY_IbLb0EEEEDaSU_SV_EUlSU_E_NS1_11comp_targetILNS1_3genE0ELNS1_11target_archE4294967295ELNS1_3gpuE0ELNS1_3repE0EEENS1_30default_config_static_selectorELNS0_4arch9wavefront6targetE0EEEvT1_.uses_vcc, 0
	.set _ZN7rocprim17ROCPRIM_400000_NS6detail17trampoline_kernelINS0_14default_configENS1_27scan_by_key_config_selectorIiiEEZZNS1_16scan_by_key_implILNS1_25lookback_scan_determinismE0ELb0ES3_N6thrust23THRUST_200600_302600_NS6detail15normal_iteratorINS9_10device_ptrIiEEEESE_SE_iNS9_10multipliesIiEENS9_8equal_toIiEEiEE10hipError_tPvRmT2_T3_T4_T5_mT6_T7_P12ihipStream_tbENKUlT_T0_E_clISt17integral_constantIbLb1EESY_IbLb0EEEEDaSU_SV_EUlSU_E_NS1_11comp_targetILNS1_3genE0ELNS1_11target_archE4294967295ELNS1_3gpuE0ELNS1_3repE0EEENS1_30default_config_static_selectorELNS0_4arch9wavefront6targetE0EEEvT1_.uses_flat_scratch, 0
	.set _ZN7rocprim17ROCPRIM_400000_NS6detail17trampoline_kernelINS0_14default_configENS1_27scan_by_key_config_selectorIiiEEZZNS1_16scan_by_key_implILNS1_25lookback_scan_determinismE0ELb0ES3_N6thrust23THRUST_200600_302600_NS6detail15normal_iteratorINS9_10device_ptrIiEEEESE_SE_iNS9_10multipliesIiEENS9_8equal_toIiEEiEE10hipError_tPvRmT2_T3_T4_T5_mT6_T7_P12ihipStream_tbENKUlT_T0_E_clISt17integral_constantIbLb1EESY_IbLb0EEEEDaSU_SV_EUlSU_E_NS1_11comp_targetILNS1_3genE0ELNS1_11target_archE4294967295ELNS1_3gpuE0ELNS1_3repE0EEENS1_30default_config_static_selectorELNS0_4arch9wavefront6targetE0EEEvT1_.has_dyn_sized_stack, 0
	.set _ZN7rocprim17ROCPRIM_400000_NS6detail17trampoline_kernelINS0_14default_configENS1_27scan_by_key_config_selectorIiiEEZZNS1_16scan_by_key_implILNS1_25lookback_scan_determinismE0ELb0ES3_N6thrust23THRUST_200600_302600_NS6detail15normal_iteratorINS9_10device_ptrIiEEEESE_SE_iNS9_10multipliesIiEENS9_8equal_toIiEEiEE10hipError_tPvRmT2_T3_T4_T5_mT6_T7_P12ihipStream_tbENKUlT_T0_E_clISt17integral_constantIbLb1EESY_IbLb0EEEEDaSU_SV_EUlSU_E_NS1_11comp_targetILNS1_3genE0ELNS1_11target_archE4294967295ELNS1_3gpuE0ELNS1_3repE0EEENS1_30default_config_static_selectorELNS0_4arch9wavefront6targetE0EEEvT1_.has_recursion, 0
	.set _ZN7rocprim17ROCPRIM_400000_NS6detail17trampoline_kernelINS0_14default_configENS1_27scan_by_key_config_selectorIiiEEZZNS1_16scan_by_key_implILNS1_25lookback_scan_determinismE0ELb0ES3_N6thrust23THRUST_200600_302600_NS6detail15normal_iteratorINS9_10device_ptrIiEEEESE_SE_iNS9_10multipliesIiEENS9_8equal_toIiEEiEE10hipError_tPvRmT2_T3_T4_T5_mT6_T7_P12ihipStream_tbENKUlT_T0_E_clISt17integral_constantIbLb1EESY_IbLb0EEEEDaSU_SV_EUlSU_E_NS1_11comp_targetILNS1_3genE0ELNS1_11target_archE4294967295ELNS1_3gpuE0ELNS1_3repE0EEENS1_30default_config_static_selectorELNS0_4arch9wavefront6targetE0EEEvT1_.has_indirect_call, 0
	.section	.AMDGPU.csdata,"",@progbits
; Kernel info:
; codeLenInByte = 4
; TotalNumSgprs: 0
; NumVgprs: 0
; ScratchSize: 0
; MemoryBound: 0
; FloatMode: 240
; IeeeMode: 1
; LDSByteSize: 0 bytes/workgroup (compile time only)
; SGPRBlocks: 0
; VGPRBlocks: 0
; NumSGPRsForWavesPerEU: 1
; NumVGPRsForWavesPerEU: 1
; NamedBarCnt: 0
; Occupancy: 16
; WaveLimiterHint : 0
; COMPUTE_PGM_RSRC2:SCRATCH_EN: 0
; COMPUTE_PGM_RSRC2:USER_SGPR: 2
; COMPUTE_PGM_RSRC2:TRAP_HANDLER: 0
; COMPUTE_PGM_RSRC2:TGID_X_EN: 1
; COMPUTE_PGM_RSRC2:TGID_Y_EN: 0
; COMPUTE_PGM_RSRC2:TGID_Z_EN: 0
; COMPUTE_PGM_RSRC2:TIDIG_COMP_CNT: 0
	.section	.text._ZN7rocprim17ROCPRIM_400000_NS6detail17trampoline_kernelINS0_14default_configENS1_27scan_by_key_config_selectorIiiEEZZNS1_16scan_by_key_implILNS1_25lookback_scan_determinismE0ELb0ES3_N6thrust23THRUST_200600_302600_NS6detail15normal_iteratorINS9_10device_ptrIiEEEESE_SE_iNS9_10multipliesIiEENS9_8equal_toIiEEiEE10hipError_tPvRmT2_T3_T4_T5_mT6_T7_P12ihipStream_tbENKUlT_T0_E_clISt17integral_constantIbLb1EESY_IbLb0EEEEDaSU_SV_EUlSU_E_NS1_11comp_targetILNS1_3genE10ELNS1_11target_archE1201ELNS1_3gpuE5ELNS1_3repE0EEENS1_30default_config_static_selectorELNS0_4arch9wavefront6targetE0EEEvT1_,"axG",@progbits,_ZN7rocprim17ROCPRIM_400000_NS6detail17trampoline_kernelINS0_14default_configENS1_27scan_by_key_config_selectorIiiEEZZNS1_16scan_by_key_implILNS1_25lookback_scan_determinismE0ELb0ES3_N6thrust23THRUST_200600_302600_NS6detail15normal_iteratorINS9_10device_ptrIiEEEESE_SE_iNS9_10multipliesIiEENS9_8equal_toIiEEiEE10hipError_tPvRmT2_T3_T4_T5_mT6_T7_P12ihipStream_tbENKUlT_T0_E_clISt17integral_constantIbLb1EESY_IbLb0EEEEDaSU_SV_EUlSU_E_NS1_11comp_targetILNS1_3genE10ELNS1_11target_archE1201ELNS1_3gpuE5ELNS1_3repE0EEENS1_30default_config_static_selectorELNS0_4arch9wavefront6targetE0EEEvT1_,comdat
	.protected	_ZN7rocprim17ROCPRIM_400000_NS6detail17trampoline_kernelINS0_14default_configENS1_27scan_by_key_config_selectorIiiEEZZNS1_16scan_by_key_implILNS1_25lookback_scan_determinismE0ELb0ES3_N6thrust23THRUST_200600_302600_NS6detail15normal_iteratorINS9_10device_ptrIiEEEESE_SE_iNS9_10multipliesIiEENS9_8equal_toIiEEiEE10hipError_tPvRmT2_T3_T4_T5_mT6_T7_P12ihipStream_tbENKUlT_T0_E_clISt17integral_constantIbLb1EESY_IbLb0EEEEDaSU_SV_EUlSU_E_NS1_11comp_targetILNS1_3genE10ELNS1_11target_archE1201ELNS1_3gpuE5ELNS1_3repE0EEENS1_30default_config_static_selectorELNS0_4arch9wavefront6targetE0EEEvT1_ ; -- Begin function _ZN7rocprim17ROCPRIM_400000_NS6detail17trampoline_kernelINS0_14default_configENS1_27scan_by_key_config_selectorIiiEEZZNS1_16scan_by_key_implILNS1_25lookback_scan_determinismE0ELb0ES3_N6thrust23THRUST_200600_302600_NS6detail15normal_iteratorINS9_10device_ptrIiEEEESE_SE_iNS9_10multipliesIiEENS9_8equal_toIiEEiEE10hipError_tPvRmT2_T3_T4_T5_mT6_T7_P12ihipStream_tbENKUlT_T0_E_clISt17integral_constantIbLb1EESY_IbLb0EEEEDaSU_SV_EUlSU_E_NS1_11comp_targetILNS1_3genE10ELNS1_11target_archE1201ELNS1_3gpuE5ELNS1_3repE0EEENS1_30default_config_static_selectorELNS0_4arch9wavefront6targetE0EEEvT1_
	.globl	_ZN7rocprim17ROCPRIM_400000_NS6detail17trampoline_kernelINS0_14default_configENS1_27scan_by_key_config_selectorIiiEEZZNS1_16scan_by_key_implILNS1_25lookback_scan_determinismE0ELb0ES3_N6thrust23THRUST_200600_302600_NS6detail15normal_iteratorINS9_10device_ptrIiEEEESE_SE_iNS9_10multipliesIiEENS9_8equal_toIiEEiEE10hipError_tPvRmT2_T3_T4_T5_mT6_T7_P12ihipStream_tbENKUlT_T0_E_clISt17integral_constantIbLb1EESY_IbLb0EEEEDaSU_SV_EUlSU_E_NS1_11comp_targetILNS1_3genE10ELNS1_11target_archE1201ELNS1_3gpuE5ELNS1_3repE0EEENS1_30default_config_static_selectorELNS0_4arch9wavefront6targetE0EEEvT1_
	.p2align	8
	.type	_ZN7rocprim17ROCPRIM_400000_NS6detail17trampoline_kernelINS0_14default_configENS1_27scan_by_key_config_selectorIiiEEZZNS1_16scan_by_key_implILNS1_25lookback_scan_determinismE0ELb0ES3_N6thrust23THRUST_200600_302600_NS6detail15normal_iteratorINS9_10device_ptrIiEEEESE_SE_iNS9_10multipliesIiEENS9_8equal_toIiEEiEE10hipError_tPvRmT2_T3_T4_T5_mT6_T7_P12ihipStream_tbENKUlT_T0_E_clISt17integral_constantIbLb1EESY_IbLb0EEEEDaSU_SV_EUlSU_E_NS1_11comp_targetILNS1_3genE10ELNS1_11target_archE1201ELNS1_3gpuE5ELNS1_3repE0EEENS1_30default_config_static_selectorELNS0_4arch9wavefront6targetE0EEEvT1_,@function
_ZN7rocprim17ROCPRIM_400000_NS6detail17trampoline_kernelINS0_14default_configENS1_27scan_by_key_config_selectorIiiEEZZNS1_16scan_by_key_implILNS1_25lookback_scan_determinismE0ELb0ES3_N6thrust23THRUST_200600_302600_NS6detail15normal_iteratorINS9_10device_ptrIiEEEESE_SE_iNS9_10multipliesIiEENS9_8equal_toIiEEiEE10hipError_tPvRmT2_T3_T4_T5_mT6_T7_P12ihipStream_tbENKUlT_T0_E_clISt17integral_constantIbLb1EESY_IbLb0EEEEDaSU_SV_EUlSU_E_NS1_11comp_targetILNS1_3genE10ELNS1_11target_archE1201ELNS1_3gpuE5ELNS1_3repE0EEENS1_30default_config_static_selectorELNS0_4arch9wavefront6targetE0EEEvT1_: ; @_ZN7rocprim17ROCPRIM_400000_NS6detail17trampoline_kernelINS0_14default_configENS1_27scan_by_key_config_selectorIiiEEZZNS1_16scan_by_key_implILNS1_25lookback_scan_determinismE0ELb0ES3_N6thrust23THRUST_200600_302600_NS6detail15normal_iteratorINS9_10device_ptrIiEEEESE_SE_iNS9_10multipliesIiEENS9_8equal_toIiEEiEE10hipError_tPvRmT2_T3_T4_T5_mT6_T7_P12ihipStream_tbENKUlT_T0_E_clISt17integral_constantIbLb1EESY_IbLb0EEEEDaSU_SV_EUlSU_E_NS1_11comp_targetILNS1_3genE10ELNS1_11target_archE1201ELNS1_3gpuE5ELNS1_3repE0EEENS1_30default_config_static_selectorELNS0_4arch9wavefront6targetE0EEEvT1_
; %bb.0:
	.section	.rodata,"a",@progbits
	.p2align	6, 0x0
	.amdhsa_kernel _ZN7rocprim17ROCPRIM_400000_NS6detail17trampoline_kernelINS0_14default_configENS1_27scan_by_key_config_selectorIiiEEZZNS1_16scan_by_key_implILNS1_25lookback_scan_determinismE0ELb0ES3_N6thrust23THRUST_200600_302600_NS6detail15normal_iteratorINS9_10device_ptrIiEEEESE_SE_iNS9_10multipliesIiEENS9_8equal_toIiEEiEE10hipError_tPvRmT2_T3_T4_T5_mT6_T7_P12ihipStream_tbENKUlT_T0_E_clISt17integral_constantIbLb1EESY_IbLb0EEEEDaSU_SV_EUlSU_E_NS1_11comp_targetILNS1_3genE10ELNS1_11target_archE1201ELNS1_3gpuE5ELNS1_3repE0EEENS1_30default_config_static_selectorELNS0_4arch9wavefront6targetE0EEEvT1_
		.amdhsa_group_segment_fixed_size 0
		.amdhsa_private_segment_fixed_size 0
		.amdhsa_kernarg_size 112
		.amdhsa_user_sgpr_count 2
		.amdhsa_user_sgpr_dispatch_ptr 0
		.amdhsa_user_sgpr_queue_ptr 0
		.amdhsa_user_sgpr_kernarg_segment_ptr 1
		.amdhsa_user_sgpr_dispatch_id 0
		.amdhsa_user_sgpr_kernarg_preload_length 0
		.amdhsa_user_sgpr_kernarg_preload_offset 0
		.amdhsa_user_sgpr_private_segment_size 0
		.amdhsa_wavefront_size32 1
		.amdhsa_uses_dynamic_stack 0
		.amdhsa_enable_private_segment 0
		.amdhsa_system_sgpr_workgroup_id_x 1
		.amdhsa_system_sgpr_workgroup_id_y 0
		.amdhsa_system_sgpr_workgroup_id_z 0
		.amdhsa_system_sgpr_workgroup_info 0
		.amdhsa_system_vgpr_workitem_id 0
		.amdhsa_next_free_vgpr 1
		.amdhsa_next_free_sgpr 1
		.amdhsa_named_barrier_count 0
		.amdhsa_reserve_vcc 0
		.amdhsa_float_round_mode_32 0
		.amdhsa_float_round_mode_16_64 0
		.amdhsa_float_denorm_mode_32 3
		.amdhsa_float_denorm_mode_16_64 3
		.amdhsa_fp16_overflow 0
		.amdhsa_memory_ordered 1
		.amdhsa_forward_progress 1
		.amdhsa_inst_pref_size 0
		.amdhsa_round_robin_scheduling 0
		.amdhsa_exception_fp_ieee_invalid_op 0
		.amdhsa_exception_fp_denorm_src 0
		.amdhsa_exception_fp_ieee_div_zero 0
		.amdhsa_exception_fp_ieee_overflow 0
		.amdhsa_exception_fp_ieee_underflow 0
		.amdhsa_exception_fp_ieee_inexact 0
		.amdhsa_exception_int_div_zero 0
	.end_amdhsa_kernel
	.section	.text._ZN7rocprim17ROCPRIM_400000_NS6detail17trampoline_kernelINS0_14default_configENS1_27scan_by_key_config_selectorIiiEEZZNS1_16scan_by_key_implILNS1_25lookback_scan_determinismE0ELb0ES3_N6thrust23THRUST_200600_302600_NS6detail15normal_iteratorINS9_10device_ptrIiEEEESE_SE_iNS9_10multipliesIiEENS9_8equal_toIiEEiEE10hipError_tPvRmT2_T3_T4_T5_mT6_T7_P12ihipStream_tbENKUlT_T0_E_clISt17integral_constantIbLb1EESY_IbLb0EEEEDaSU_SV_EUlSU_E_NS1_11comp_targetILNS1_3genE10ELNS1_11target_archE1201ELNS1_3gpuE5ELNS1_3repE0EEENS1_30default_config_static_selectorELNS0_4arch9wavefront6targetE0EEEvT1_,"axG",@progbits,_ZN7rocprim17ROCPRIM_400000_NS6detail17trampoline_kernelINS0_14default_configENS1_27scan_by_key_config_selectorIiiEEZZNS1_16scan_by_key_implILNS1_25lookback_scan_determinismE0ELb0ES3_N6thrust23THRUST_200600_302600_NS6detail15normal_iteratorINS9_10device_ptrIiEEEESE_SE_iNS9_10multipliesIiEENS9_8equal_toIiEEiEE10hipError_tPvRmT2_T3_T4_T5_mT6_T7_P12ihipStream_tbENKUlT_T0_E_clISt17integral_constantIbLb1EESY_IbLb0EEEEDaSU_SV_EUlSU_E_NS1_11comp_targetILNS1_3genE10ELNS1_11target_archE1201ELNS1_3gpuE5ELNS1_3repE0EEENS1_30default_config_static_selectorELNS0_4arch9wavefront6targetE0EEEvT1_,comdat
.Lfunc_end183:
	.size	_ZN7rocprim17ROCPRIM_400000_NS6detail17trampoline_kernelINS0_14default_configENS1_27scan_by_key_config_selectorIiiEEZZNS1_16scan_by_key_implILNS1_25lookback_scan_determinismE0ELb0ES3_N6thrust23THRUST_200600_302600_NS6detail15normal_iteratorINS9_10device_ptrIiEEEESE_SE_iNS9_10multipliesIiEENS9_8equal_toIiEEiEE10hipError_tPvRmT2_T3_T4_T5_mT6_T7_P12ihipStream_tbENKUlT_T0_E_clISt17integral_constantIbLb1EESY_IbLb0EEEEDaSU_SV_EUlSU_E_NS1_11comp_targetILNS1_3genE10ELNS1_11target_archE1201ELNS1_3gpuE5ELNS1_3repE0EEENS1_30default_config_static_selectorELNS0_4arch9wavefront6targetE0EEEvT1_, .Lfunc_end183-_ZN7rocprim17ROCPRIM_400000_NS6detail17trampoline_kernelINS0_14default_configENS1_27scan_by_key_config_selectorIiiEEZZNS1_16scan_by_key_implILNS1_25lookback_scan_determinismE0ELb0ES3_N6thrust23THRUST_200600_302600_NS6detail15normal_iteratorINS9_10device_ptrIiEEEESE_SE_iNS9_10multipliesIiEENS9_8equal_toIiEEiEE10hipError_tPvRmT2_T3_T4_T5_mT6_T7_P12ihipStream_tbENKUlT_T0_E_clISt17integral_constantIbLb1EESY_IbLb0EEEEDaSU_SV_EUlSU_E_NS1_11comp_targetILNS1_3genE10ELNS1_11target_archE1201ELNS1_3gpuE5ELNS1_3repE0EEENS1_30default_config_static_selectorELNS0_4arch9wavefront6targetE0EEEvT1_
                                        ; -- End function
	.set _ZN7rocprim17ROCPRIM_400000_NS6detail17trampoline_kernelINS0_14default_configENS1_27scan_by_key_config_selectorIiiEEZZNS1_16scan_by_key_implILNS1_25lookback_scan_determinismE0ELb0ES3_N6thrust23THRUST_200600_302600_NS6detail15normal_iteratorINS9_10device_ptrIiEEEESE_SE_iNS9_10multipliesIiEENS9_8equal_toIiEEiEE10hipError_tPvRmT2_T3_T4_T5_mT6_T7_P12ihipStream_tbENKUlT_T0_E_clISt17integral_constantIbLb1EESY_IbLb0EEEEDaSU_SV_EUlSU_E_NS1_11comp_targetILNS1_3genE10ELNS1_11target_archE1201ELNS1_3gpuE5ELNS1_3repE0EEENS1_30default_config_static_selectorELNS0_4arch9wavefront6targetE0EEEvT1_.num_vgpr, 0
	.set _ZN7rocprim17ROCPRIM_400000_NS6detail17trampoline_kernelINS0_14default_configENS1_27scan_by_key_config_selectorIiiEEZZNS1_16scan_by_key_implILNS1_25lookback_scan_determinismE0ELb0ES3_N6thrust23THRUST_200600_302600_NS6detail15normal_iteratorINS9_10device_ptrIiEEEESE_SE_iNS9_10multipliesIiEENS9_8equal_toIiEEiEE10hipError_tPvRmT2_T3_T4_T5_mT6_T7_P12ihipStream_tbENKUlT_T0_E_clISt17integral_constantIbLb1EESY_IbLb0EEEEDaSU_SV_EUlSU_E_NS1_11comp_targetILNS1_3genE10ELNS1_11target_archE1201ELNS1_3gpuE5ELNS1_3repE0EEENS1_30default_config_static_selectorELNS0_4arch9wavefront6targetE0EEEvT1_.num_agpr, 0
	.set _ZN7rocprim17ROCPRIM_400000_NS6detail17trampoline_kernelINS0_14default_configENS1_27scan_by_key_config_selectorIiiEEZZNS1_16scan_by_key_implILNS1_25lookback_scan_determinismE0ELb0ES3_N6thrust23THRUST_200600_302600_NS6detail15normal_iteratorINS9_10device_ptrIiEEEESE_SE_iNS9_10multipliesIiEENS9_8equal_toIiEEiEE10hipError_tPvRmT2_T3_T4_T5_mT6_T7_P12ihipStream_tbENKUlT_T0_E_clISt17integral_constantIbLb1EESY_IbLb0EEEEDaSU_SV_EUlSU_E_NS1_11comp_targetILNS1_3genE10ELNS1_11target_archE1201ELNS1_3gpuE5ELNS1_3repE0EEENS1_30default_config_static_selectorELNS0_4arch9wavefront6targetE0EEEvT1_.numbered_sgpr, 0
	.set _ZN7rocprim17ROCPRIM_400000_NS6detail17trampoline_kernelINS0_14default_configENS1_27scan_by_key_config_selectorIiiEEZZNS1_16scan_by_key_implILNS1_25lookback_scan_determinismE0ELb0ES3_N6thrust23THRUST_200600_302600_NS6detail15normal_iteratorINS9_10device_ptrIiEEEESE_SE_iNS9_10multipliesIiEENS9_8equal_toIiEEiEE10hipError_tPvRmT2_T3_T4_T5_mT6_T7_P12ihipStream_tbENKUlT_T0_E_clISt17integral_constantIbLb1EESY_IbLb0EEEEDaSU_SV_EUlSU_E_NS1_11comp_targetILNS1_3genE10ELNS1_11target_archE1201ELNS1_3gpuE5ELNS1_3repE0EEENS1_30default_config_static_selectorELNS0_4arch9wavefront6targetE0EEEvT1_.num_named_barrier, 0
	.set _ZN7rocprim17ROCPRIM_400000_NS6detail17trampoline_kernelINS0_14default_configENS1_27scan_by_key_config_selectorIiiEEZZNS1_16scan_by_key_implILNS1_25lookback_scan_determinismE0ELb0ES3_N6thrust23THRUST_200600_302600_NS6detail15normal_iteratorINS9_10device_ptrIiEEEESE_SE_iNS9_10multipliesIiEENS9_8equal_toIiEEiEE10hipError_tPvRmT2_T3_T4_T5_mT6_T7_P12ihipStream_tbENKUlT_T0_E_clISt17integral_constantIbLb1EESY_IbLb0EEEEDaSU_SV_EUlSU_E_NS1_11comp_targetILNS1_3genE10ELNS1_11target_archE1201ELNS1_3gpuE5ELNS1_3repE0EEENS1_30default_config_static_selectorELNS0_4arch9wavefront6targetE0EEEvT1_.private_seg_size, 0
	.set _ZN7rocprim17ROCPRIM_400000_NS6detail17trampoline_kernelINS0_14default_configENS1_27scan_by_key_config_selectorIiiEEZZNS1_16scan_by_key_implILNS1_25lookback_scan_determinismE0ELb0ES3_N6thrust23THRUST_200600_302600_NS6detail15normal_iteratorINS9_10device_ptrIiEEEESE_SE_iNS9_10multipliesIiEENS9_8equal_toIiEEiEE10hipError_tPvRmT2_T3_T4_T5_mT6_T7_P12ihipStream_tbENKUlT_T0_E_clISt17integral_constantIbLb1EESY_IbLb0EEEEDaSU_SV_EUlSU_E_NS1_11comp_targetILNS1_3genE10ELNS1_11target_archE1201ELNS1_3gpuE5ELNS1_3repE0EEENS1_30default_config_static_selectorELNS0_4arch9wavefront6targetE0EEEvT1_.uses_vcc, 0
	.set _ZN7rocprim17ROCPRIM_400000_NS6detail17trampoline_kernelINS0_14default_configENS1_27scan_by_key_config_selectorIiiEEZZNS1_16scan_by_key_implILNS1_25lookback_scan_determinismE0ELb0ES3_N6thrust23THRUST_200600_302600_NS6detail15normal_iteratorINS9_10device_ptrIiEEEESE_SE_iNS9_10multipliesIiEENS9_8equal_toIiEEiEE10hipError_tPvRmT2_T3_T4_T5_mT6_T7_P12ihipStream_tbENKUlT_T0_E_clISt17integral_constantIbLb1EESY_IbLb0EEEEDaSU_SV_EUlSU_E_NS1_11comp_targetILNS1_3genE10ELNS1_11target_archE1201ELNS1_3gpuE5ELNS1_3repE0EEENS1_30default_config_static_selectorELNS0_4arch9wavefront6targetE0EEEvT1_.uses_flat_scratch, 0
	.set _ZN7rocprim17ROCPRIM_400000_NS6detail17trampoline_kernelINS0_14default_configENS1_27scan_by_key_config_selectorIiiEEZZNS1_16scan_by_key_implILNS1_25lookback_scan_determinismE0ELb0ES3_N6thrust23THRUST_200600_302600_NS6detail15normal_iteratorINS9_10device_ptrIiEEEESE_SE_iNS9_10multipliesIiEENS9_8equal_toIiEEiEE10hipError_tPvRmT2_T3_T4_T5_mT6_T7_P12ihipStream_tbENKUlT_T0_E_clISt17integral_constantIbLb1EESY_IbLb0EEEEDaSU_SV_EUlSU_E_NS1_11comp_targetILNS1_3genE10ELNS1_11target_archE1201ELNS1_3gpuE5ELNS1_3repE0EEENS1_30default_config_static_selectorELNS0_4arch9wavefront6targetE0EEEvT1_.has_dyn_sized_stack, 0
	.set _ZN7rocprim17ROCPRIM_400000_NS6detail17trampoline_kernelINS0_14default_configENS1_27scan_by_key_config_selectorIiiEEZZNS1_16scan_by_key_implILNS1_25lookback_scan_determinismE0ELb0ES3_N6thrust23THRUST_200600_302600_NS6detail15normal_iteratorINS9_10device_ptrIiEEEESE_SE_iNS9_10multipliesIiEENS9_8equal_toIiEEiEE10hipError_tPvRmT2_T3_T4_T5_mT6_T7_P12ihipStream_tbENKUlT_T0_E_clISt17integral_constantIbLb1EESY_IbLb0EEEEDaSU_SV_EUlSU_E_NS1_11comp_targetILNS1_3genE10ELNS1_11target_archE1201ELNS1_3gpuE5ELNS1_3repE0EEENS1_30default_config_static_selectorELNS0_4arch9wavefront6targetE0EEEvT1_.has_recursion, 0
	.set _ZN7rocprim17ROCPRIM_400000_NS6detail17trampoline_kernelINS0_14default_configENS1_27scan_by_key_config_selectorIiiEEZZNS1_16scan_by_key_implILNS1_25lookback_scan_determinismE0ELb0ES3_N6thrust23THRUST_200600_302600_NS6detail15normal_iteratorINS9_10device_ptrIiEEEESE_SE_iNS9_10multipliesIiEENS9_8equal_toIiEEiEE10hipError_tPvRmT2_T3_T4_T5_mT6_T7_P12ihipStream_tbENKUlT_T0_E_clISt17integral_constantIbLb1EESY_IbLb0EEEEDaSU_SV_EUlSU_E_NS1_11comp_targetILNS1_3genE10ELNS1_11target_archE1201ELNS1_3gpuE5ELNS1_3repE0EEENS1_30default_config_static_selectorELNS0_4arch9wavefront6targetE0EEEvT1_.has_indirect_call, 0
	.section	.AMDGPU.csdata,"",@progbits
; Kernel info:
; codeLenInByte = 0
; TotalNumSgprs: 0
; NumVgprs: 0
; ScratchSize: 0
; MemoryBound: 0
; FloatMode: 240
; IeeeMode: 1
; LDSByteSize: 0 bytes/workgroup (compile time only)
; SGPRBlocks: 0
; VGPRBlocks: 0
; NumSGPRsForWavesPerEU: 1
; NumVGPRsForWavesPerEU: 1
; NamedBarCnt: 0
; Occupancy: 16
; WaveLimiterHint : 0
; COMPUTE_PGM_RSRC2:SCRATCH_EN: 0
; COMPUTE_PGM_RSRC2:USER_SGPR: 2
; COMPUTE_PGM_RSRC2:TRAP_HANDLER: 0
; COMPUTE_PGM_RSRC2:TGID_X_EN: 1
; COMPUTE_PGM_RSRC2:TGID_Y_EN: 0
; COMPUTE_PGM_RSRC2:TGID_Z_EN: 0
; COMPUTE_PGM_RSRC2:TIDIG_COMP_CNT: 0
	.section	.text._ZN7rocprim17ROCPRIM_400000_NS6detail17trampoline_kernelINS0_14default_configENS1_27scan_by_key_config_selectorIiiEEZZNS1_16scan_by_key_implILNS1_25lookback_scan_determinismE0ELb0ES3_N6thrust23THRUST_200600_302600_NS6detail15normal_iteratorINS9_10device_ptrIiEEEESE_SE_iNS9_10multipliesIiEENS9_8equal_toIiEEiEE10hipError_tPvRmT2_T3_T4_T5_mT6_T7_P12ihipStream_tbENKUlT_T0_E_clISt17integral_constantIbLb1EESY_IbLb0EEEEDaSU_SV_EUlSU_E_NS1_11comp_targetILNS1_3genE5ELNS1_11target_archE942ELNS1_3gpuE9ELNS1_3repE0EEENS1_30default_config_static_selectorELNS0_4arch9wavefront6targetE0EEEvT1_,"axG",@progbits,_ZN7rocprim17ROCPRIM_400000_NS6detail17trampoline_kernelINS0_14default_configENS1_27scan_by_key_config_selectorIiiEEZZNS1_16scan_by_key_implILNS1_25lookback_scan_determinismE0ELb0ES3_N6thrust23THRUST_200600_302600_NS6detail15normal_iteratorINS9_10device_ptrIiEEEESE_SE_iNS9_10multipliesIiEENS9_8equal_toIiEEiEE10hipError_tPvRmT2_T3_T4_T5_mT6_T7_P12ihipStream_tbENKUlT_T0_E_clISt17integral_constantIbLb1EESY_IbLb0EEEEDaSU_SV_EUlSU_E_NS1_11comp_targetILNS1_3genE5ELNS1_11target_archE942ELNS1_3gpuE9ELNS1_3repE0EEENS1_30default_config_static_selectorELNS0_4arch9wavefront6targetE0EEEvT1_,comdat
	.protected	_ZN7rocprim17ROCPRIM_400000_NS6detail17trampoline_kernelINS0_14default_configENS1_27scan_by_key_config_selectorIiiEEZZNS1_16scan_by_key_implILNS1_25lookback_scan_determinismE0ELb0ES3_N6thrust23THRUST_200600_302600_NS6detail15normal_iteratorINS9_10device_ptrIiEEEESE_SE_iNS9_10multipliesIiEENS9_8equal_toIiEEiEE10hipError_tPvRmT2_T3_T4_T5_mT6_T7_P12ihipStream_tbENKUlT_T0_E_clISt17integral_constantIbLb1EESY_IbLb0EEEEDaSU_SV_EUlSU_E_NS1_11comp_targetILNS1_3genE5ELNS1_11target_archE942ELNS1_3gpuE9ELNS1_3repE0EEENS1_30default_config_static_selectorELNS0_4arch9wavefront6targetE0EEEvT1_ ; -- Begin function _ZN7rocprim17ROCPRIM_400000_NS6detail17trampoline_kernelINS0_14default_configENS1_27scan_by_key_config_selectorIiiEEZZNS1_16scan_by_key_implILNS1_25lookback_scan_determinismE0ELb0ES3_N6thrust23THRUST_200600_302600_NS6detail15normal_iteratorINS9_10device_ptrIiEEEESE_SE_iNS9_10multipliesIiEENS9_8equal_toIiEEiEE10hipError_tPvRmT2_T3_T4_T5_mT6_T7_P12ihipStream_tbENKUlT_T0_E_clISt17integral_constantIbLb1EESY_IbLb0EEEEDaSU_SV_EUlSU_E_NS1_11comp_targetILNS1_3genE5ELNS1_11target_archE942ELNS1_3gpuE9ELNS1_3repE0EEENS1_30default_config_static_selectorELNS0_4arch9wavefront6targetE0EEEvT1_
	.globl	_ZN7rocprim17ROCPRIM_400000_NS6detail17trampoline_kernelINS0_14default_configENS1_27scan_by_key_config_selectorIiiEEZZNS1_16scan_by_key_implILNS1_25lookback_scan_determinismE0ELb0ES3_N6thrust23THRUST_200600_302600_NS6detail15normal_iteratorINS9_10device_ptrIiEEEESE_SE_iNS9_10multipliesIiEENS9_8equal_toIiEEiEE10hipError_tPvRmT2_T3_T4_T5_mT6_T7_P12ihipStream_tbENKUlT_T0_E_clISt17integral_constantIbLb1EESY_IbLb0EEEEDaSU_SV_EUlSU_E_NS1_11comp_targetILNS1_3genE5ELNS1_11target_archE942ELNS1_3gpuE9ELNS1_3repE0EEENS1_30default_config_static_selectorELNS0_4arch9wavefront6targetE0EEEvT1_
	.p2align	8
	.type	_ZN7rocprim17ROCPRIM_400000_NS6detail17trampoline_kernelINS0_14default_configENS1_27scan_by_key_config_selectorIiiEEZZNS1_16scan_by_key_implILNS1_25lookback_scan_determinismE0ELb0ES3_N6thrust23THRUST_200600_302600_NS6detail15normal_iteratorINS9_10device_ptrIiEEEESE_SE_iNS9_10multipliesIiEENS9_8equal_toIiEEiEE10hipError_tPvRmT2_T3_T4_T5_mT6_T7_P12ihipStream_tbENKUlT_T0_E_clISt17integral_constantIbLb1EESY_IbLb0EEEEDaSU_SV_EUlSU_E_NS1_11comp_targetILNS1_3genE5ELNS1_11target_archE942ELNS1_3gpuE9ELNS1_3repE0EEENS1_30default_config_static_selectorELNS0_4arch9wavefront6targetE0EEEvT1_,@function
_ZN7rocprim17ROCPRIM_400000_NS6detail17trampoline_kernelINS0_14default_configENS1_27scan_by_key_config_selectorIiiEEZZNS1_16scan_by_key_implILNS1_25lookback_scan_determinismE0ELb0ES3_N6thrust23THRUST_200600_302600_NS6detail15normal_iteratorINS9_10device_ptrIiEEEESE_SE_iNS9_10multipliesIiEENS9_8equal_toIiEEiEE10hipError_tPvRmT2_T3_T4_T5_mT6_T7_P12ihipStream_tbENKUlT_T0_E_clISt17integral_constantIbLb1EESY_IbLb0EEEEDaSU_SV_EUlSU_E_NS1_11comp_targetILNS1_3genE5ELNS1_11target_archE942ELNS1_3gpuE9ELNS1_3repE0EEENS1_30default_config_static_selectorELNS0_4arch9wavefront6targetE0EEEvT1_: ; @_ZN7rocprim17ROCPRIM_400000_NS6detail17trampoline_kernelINS0_14default_configENS1_27scan_by_key_config_selectorIiiEEZZNS1_16scan_by_key_implILNS1_25lookback_scan_determinismE0ELb0ES3_N6thrust23THRUST_200600_302600_NS6detail15normal_iteratorINS9_10device_ptrIiEEEESE_SE_iNS9_10multipliesIiEENS9_8equal_toIiEEiEE10hipError_tPvRmT2_T3_T4_T5_mT6_T7_P12ihipStream_tbENKUlT_T0_E_clISt17integral_constantIbLb1EESY_IbLb0EEEEDaSU_SV_EUlSU_E_NS1_11comp_targetILNS1_3genE5ELNS1_11target_archE942ELNS1_3gpuE9ELNS1_3repE0EEENS1_30default_config_static_selectorELNS0_4arch9wavefront6targetE0EEEvT1_
; %bb.0:
	.section	.rodata,"a",@progbits
	.p2align	6, 0x0
	.amdhsa_kernel _ZN7rocprim17ROCPRIM_400000_NS6detail17trampoline_kernelINS0_14default_configENS1_27scan_by_key_config_selectorIiiEEZZNS1_16scan_by_key_implILNS1_25lookback_scan_determinismE0ELb0ES3_N6thrust23THRUST_200600_302600_NS6detail15normal_iteratorINS9_10device_ptrIiEEEESE_SE_iNS9_10multipliesIiEENS9_8equal_toIiEEiEE10hipError_tPvRmT2_T3_T4_T5_mT6_T7_P12ihipStream_tbENKUlT_T0_E_clISt17integral_constantIbLb1EESY_IbLb0EEEEDaSU_SV_EUlSU_E_NS1_11comp_targetILNS1_3genE5ELNS1_11target_archE942ELNS1_3gpuE9ELNS1_3repE0EEENS1_30default_config_static_selectorELNS0_4arch9wavefront6targetE0EEEvT1_
		.amdhsa_group_segment_fixed_size 0
		.amdhsa_private_segment_fixed_size 0
		.amdhsa_kernarg_size 112
		.amdhsa_user_sgpr_count 2
		.amdhsa_user_sgpr_dispatch_ptr 0
		.amdhsa_user_sgpr_queue_ptr 0
		.amdhsa_user_sgpr_kernarg_segment_ptr 1
		.amdhsa_user_sgpr_dispatch_id 0
		.amdhsa_user_sgpr_kernarg_preload_length 0
		.amdhsa_user_sgpr_kernarg_preload_offset 0
		.amdhsa_user_sgpr_private_segment_size 0
		.amdhsa_wavefront_size32 1
		.amdhsa_uses_dynamic_stack 0
		.amdhsa_enable_private_segment 0
		.amdhsa_system_sgpr_workgroup_id_x 1
		.amdhsa_system_sgpr_workgroup_id_y 0
		.amdhsa_system_sgpr_workgroup_id_z 0
		.amdhsa_system_sgpr_workgroup_info 0
		.amdhsa_system_vgpr_workitem_id 0
		.amdhsa_next_free_vgpr 1
		.amdhsa_next_free_sgpr 1
		.amdhsa_named_barrier_count 0
		.amdhsa_reserve_vcc 0
		.amdhsa_float_round_mode_32 0
		.amdhsa_float_round_mode_16_64 0
		.amdhsa_float_denorm_mode_32 3
		.amdhsa_float_denorm_mode_16_64 3
		.amdhsa_fp16_overflow 0
		.amdhsa_memory_ordered 1
		.amdhsa_forward_progress 1
		.amdhsa_inst_pref_size 0
		.amdhsa_round_robin_scheduling 0
		.amdhsa_exception_fp_ieee_invalid_op 0
		.amdhsa_exception_fp_denorm_src 0
		.amdhsa_exception_fp_ieee_div_zero 0
		.amdhsa_exception_fp_ieee_overflow 0
		.amdhsa_exception_fp_ieee_underflow 0
		.amdhsa_exception_fp_ieee_inexact 0
		.amdhsa_exception_int_div_zero 0
	.end_amdhsa_kernel
	.section	.text._ZN7rocprim17ROCPRIM_400000_NS6detail17trampoline_kernelINS0_14default_configENS1_27scan_by_key_config_selectorIiiEEZZNS1_16scan_by_key_implILNS1_25lookback_scan_determinismE0ELb0ES3_N6thrust23THRUST_200600_302600_NS6detail15normal_iteratorINS9_10device_ptrIiEEEESE_SE_iNS9_10multipliesIiEENS9_8equal_toIiEEiEE10hipError_tPvRmT2_T3_T4_T5_mT6_T7_P12ihipStream_tbENKUlT_T0_E_clISt17integral_constantIbLb1EESY_IbLb0EEEEDaSU_SV_EUlSU_E_NS1_11comp_targetILNS1_3genE5ELNS1_11target_archE942ELNS1_3gpuE9ELNS1_3repE0EEENS1_30default_config_static_selectorELNS0_4arch9wavefront6targetE0EEEvT1_,"axG",@progbits,_ZN7rocprim17ROCPRIM_400000_NS6detail17trampoline_kernelINS0_14default_configENS1_27scan_by_key_config_selectorIiiEEZZNS1_16scan_by_key_implILNS1_25lookback_scan_determinismE0ELb0ES3_N6thrust23THRUST_200600_302600_NS6detail15normal_iteratorINS9_10device_ptrIiEEEESE_SE_iNS9_10multipliesIiEENS9_8equal_toIiEEiEE10hipError_tPvRmT2_T3_T4_T5_mT6_T7_P12ihipStream_tbENKUlT_T0_E_clISt17integral_constantIbLb1EESY_IbLb0EEEEDaSU_SV_EUlSU_E_NS1_11comp_targetILNS1_3genE5ELNS1_11target_archE942ELNS1_3gpuE9ELNS1_3repE0EEENS1_30default_config_static_selectorELNS0_4arch9wavefront6targetE0EEEvT1_,comdat
.Lfunc_end184:
	.size	_ZN7rocprim17ROCPRIM_400000_NS6detail17trampoline_kernelINS0_14default_configENS1_27scan_by_key_config_selectorIiiEEZZNS1_16scan_by_key_implILNS1_25lookback_scan_determinismE0ELb0ES3_N6thrust23THRUST_200600_302600_NS6detail15normal_iteratorINS9_10device_ptrIiEEEESE_SE_iNS9_10multipliesIiEENS9_8equal_toIiEEiEE10hipError_tPvRmT2_T3_T4_T5_mT6_T7_P12ihipStream_tbENKUlT_T0_E_clISt17integral_constantIbLb1EESY_IbLb0EEEEDaSU_SV_EUlSU_E_NS1_11comp_targetILNS1_3genE5ELNS1_11target_archE942ELNS1_3gpuE9ELNS1_3repE0EEENS1_30default_config_static_selectorELNS0_4arch9wavefront6targetE0EEEvT1_, .Lfunc_end184-_ZN7rocprim17ROCPRIM_400000_NS6detail17trampoline_kernelINS0_14default_configENS1_27scan_by_key_config_selectorIiiEEZZNS1_16scan_by_key_implILNS1_25lookback_scan_determinismE0ELb0ES3_N6thrust23THRUST_200600_302600_NS6detail15normal_iteratorINS9_10device_ptrIiEEEESE_SE_iNS9_10multipliesIiEENS9_8equal_toIiEEiEE10hipError_tPvRmT2_T3_T4_T5_mT6_T7_P12ihipStream_tbENKUlT_T0_E_clISt17integral_constantIbLb1EESY_IbLb0EEEEDaSU_SV_EUlSU_E_NS1_11comp_targetILNS1_3genE5ELNS1_11target_archE942ELNS1_3gpuE9ELNS1_3repE0EEENS1_30default_config_static_selectorELNS0_4arch9wavefront6targetE0EEEvT1_
                                        ; -- End function
	.set _ZN7rocprim17ROCPRIM_400000_NS6detail17trampoline_kernelINS0_14default_configENS1_27scan_by_key_config_selectorIiiEEZZNS1_16scan_by_key_implILNS1_25lookback_scan_determinismE0ELb0ES3_N6thrust23THRUST_200600_302600_NS6detail15normal_iteratorINS9_10device_ptrIiEEEESE_SE_iNS9_10multipliesIiEENS9_8equal_toIiEEiEE10hipError_tPvRmT2_T3_T4_T5_mT6_T7_P12ihipStream_tbENKUlT_T0_E_clISt17integral_constantIbLb1EESY_IbLb0EEEEDaSU_SV_EUlSU_E_NS1_11comp_targetILNS1_3genE5ELNS1_11target_archE942ELNS1_3gpuE9ELNS1_3repE0EEENS1_30default_config_static_selectorELNS0_4arch9wavefront6targetE0EEEvT1_.num_vgpr, 0
	.set _ZN7rocprim17ROCPRIM_400000_NS6detail17trampoline_kernelINS0_14default_configENS1_27scan_by_key_config_selectorIiiEEZZNS1_16scan_by_key_implILNS1_25lookback_scan_determinismE0ELb0ES3_N6thrust23THRUST_200600_302600_NS6detail15normal_iteratorINS9_10device_ptrIiEEEESE_SE_iNS9_10multipliesIiEENS9_8equal_toIiEEiEE10hipError_tPvRmT2_T3_T4_T5_mT6_T7_P12ihipStream_tbENKUlT_T0_E_clISt17integral_constantIbLb1EESY_IbLb0EEEEDaSU_SV_EUlSU_E_NS1_11comp_targetILNS1_3genE5ELNS1_11target_archE942ELNS1_3gpuE9ELNS1_3repE0EEENS1_30default_config_static_selectorELNS0_4arch9wavefront6targetE0EEEvT1_.num_agpr, 0
	.set _ZN7rocprim17ROCPRIM_400000_NS6detail17trampoline_kernelINS0_14default_configENS1_27scan_by_key_config_selectorIiiEEZZNS1_16scan_by_key_implILNS1_25lookback_scan_determinismE0ELb0ES3_N6thrust23THRUST_200600_302600_NS6detail15normal_iteratorINS9_10device_ptrIiEEEESE_SE_iNS9_10multipliesIiEENS9_8equal_toIiEEiEE10hipError_tPvRmT2_T3_T4_T5_mT6_T7_P12ihipStream_tbENKUlT_T0_E_clISt17integral_constantIbLb1EESY_IbLb0EEEEDaSU_SV_EUlSU_E_NS1_11comp_targetILNS1_3genE5ELNS1_11target_archE942ELNS1_3gpuE9ELNS1_3repE0EEENS1_30default_config_static_selectorELNS0_4arch9wavefront6targetE0EEEvT1_.numbered_sgpr, 0
	.set _ZN7rocprim17ROCPRIM_400000_NS6detail17trampoline_kernelINS0_14default_configENS1_27scan_by_key_config_selectorIiiEEZZNS1_16scan_by_key_implILNS1_25lookback_scan_determinismE0ELb0ES3_N6thrust23THRUST_200600_302600_NS6detail15normal_iteratorINS9_10device_ptrIiEEEESE_SE_iNS9_10multipliesIiEENS9_8equal_toIiEEiEE10hipError_tPvRmT2_T3_T4_T5_mT6_T7_P12ihipStream_tbENKUlT_T0_E_clISt17integral_constantIbLb1EESY_IbLb0EEEEDaSU_SV_EUlSU_E_NS1_11comp_targetILNS1_3genE5ELNS1_11target_archE942ELNS1_3gpuE9ELNS1_3repE0EEENS1_30default_config_static_selectorELNS0_4arch9wavefront6targetE0EEEvT1_.num_named_barrier, 0
	.set _ZN7rocprim17ROCPRIM_400000_NS6detail17trampoline_kernelINS0_14default_configENS1_27scan_by_key_config_selectorIiiEEZZNS1_16scan_by_key_implILNS1_25lookback_scan_determinismE0ELb0ES3_N6thrust23THRUST_200600_302600_NS6detail15normal_iteratorINS9_10device_ptrIiEEEESE_SE_iNS9_10multipliesIiEENS9_8equal_toIiEEiEE10hipError_tPvRmT2_T3_T4_T5_mT6_T7_P12ihipStream_tbENKUlT_T0_E_clISt17integral_constantIbLb1EESY_IbLb0EEEEDaSU_SV_EUlSU_E_NS1_11comp_targetILNS1_3genE5ELNS1_11target_archE942ELNS1_3gpuE9ELNS1_3repE0EEENS1_30default_config_static_selectorELNS0_4arch9wavefront6targetE0EEEvT1_.private_seg_size, 0
	.set _ZN7rocprim17ROCPRIM_400000_NS6detail17trampoline_kernelINS0_14default_configENS1_27scan_by_key_config_selectorIiiEEZZNS1_16scan_by_key_implILNS1_25lookback_scan_determinismE0ELb0ES3_N6thrust23THRUST_200600_302600_NS6detail15normal_iteratorINS9_10device_ptrIiEEEESE_SE_iNS9_10multipliesIiEENS9_8equal_toIiEEiEE10hipError_tPvRmT2_T3_T4_T5_mT6_T7_P12ihipStream_tbENKUlT_T0_E_clISt17integral_constantIbLb1EESY_IbLb0EEEEDaSU_SV_EUlSU_E_NS1_11comp_targetILNS1_3genE5ELNS1_11target_archE942ELNS1_3gpuE9ELNS1_3repE0EEENS1_30default_config_static_selectorELNS0_4arch9wavefront6targetE0EEEvT1_.uses_vcc, 0
	.set _ZN7rocprim17ROCPRIM_400000_NS6detail17trampoline_kernelINS0_14default_configENS1_27scan_by_key_config_selectorIiiEEZZNS1_16scan_by_key_implILNS1_25lookback_scan_determinismE0ELb0ES3_N6thrust23THRUST_200600_302600_NS6detail15normal_iteratorINS9_10device_ptrIiEEEESE_SE_iNS9_10multipliesIiEENS9_8equal_toIiEEiEE10hipError_tPvRmT2_T3_T4_T5_mT6_T7_P12ihipStream_tbENKUlT_T0_E_clISt17integral_constantIbLb1EESY_IbLb0EEEEDaSU_SV_EUlSU_E_NS1_11comp_targetILNS1_3genE5ELNS1_11target_archE942ELNS1_3gpuE9ELNS1_3repE0EEENS1_30default_config_static_selectorELNS0_4arch9wavefront6targetE0EEEvT1_.uses_flat_scratch, 0
	.set _ZN7rocprim17ROCPRIM_400000_NS6detail17trampoline_kernelINS0_14default_configENS1_27scan_by_key_config_selectorIiiEEZZNS1_16scan_by_key_implILNS1_25lookback_scan_determinismE0ELb0ES3_N6thrust23THRUST_200600_302600_NS6detail15normal_iteratorINS9_10device_ptrIiEEEESE_SE_iNS9_10multipliesIiEENS9_8equal_toIiEEiEE10hipError_tPvRmT2_T3_T4_T5_mT6_T7_P12ihipStream_tbENKUlT_T0_E_clISt17integral_constantIbLb1EESY_IbLb0EEEEDaSU_SV_EUlSU_E_NS1_11comp_targetILNS1_3genE5ELNS1_11target_archE942ELNS1_3gpuE9ELNS1_3repE0EEENS1_30default_config_static_selectorELNS0_4arch9wavefront6targetE0EEEvT1_.has_dyn_sized_stack, 0
	.set _ZN7rocprim17ROCPRIM_400000_NS6detail17trampoline_kernelINS0_14default_configENS1_27scan_by_key_config_selectorIiiEEZZNS1_16scan_by_key_implILNS1_25lookback_scan_determinismE0ELb0ES3_N6thrust23THRUST_200600_302600_NS6detail15normal_iteratorINS9_10device_ptrIiEEEESE_SE_iNS9_10multipliesIiEENS9_8equal_toIiEEiEE10hipError_tPvRmT2_T3_T4_T5_mT6_T7_P12ihipStream_tbENKUlT_T0_E_clISt17integral_constantIbLb1EESY_IbLb0EEEEDaSU_SV_EUlSU_E_NS1_11comp_targetILNS1_3genE5ELNS1_11target_archE942ELNS1_3gpuE9ELNS1_3repE0EEENS1_30default_config_static_selectorELNS0_4arch9wavefront6targetE0EEEvT1_.has_recursion, 0
	.set _ZN7rocprim17ROCPRIM_400000_NS6detail17trampoline_kernelINS0_14default_configENS1_27scan_by_key_config_selectorIiiEEZZNS1_16scan_by_key_implILNS1_25lookback_scan_determinismE0ELb0ES3_N6thrust23THRUST_200600_302600_NS6detail15normal_iteratorINS9_10device_ptrIiEEEESE_SE_iNS9_10multipliesIiEENS9_8equal_toIiEEiEE10hipError_tPvRmT2_T3_T4_T5_mT6_T7_P12ihipStream_tbENKUlT_T0_E_clISt17integral_constantIbLb1EESY_IbLb0EEEEDaSU_SV_EUlSU_E_NS1_11comp_targetILNS1_3genE5ELNS1_11target_archE942ELNS1_3gpuE9ELNS1_3repE0EEENS1_30default_config_static_selectorELNS0_4arch9wavefront6targetE0EEEvT1_.has_indirect_call, 0
	.section	.AMDGPU.csdata,"",@progbits
; Kernel info:
; codeLenInByte = 0
; TotalNumSgprs: 0
; NumVgprs: 0
; ScratchSize: 0
; MemoryBound: 0
; FloatMode: 240
; IeeeMode: 1
; LDSByteSize: 0 bytes/workgroup (compile time only)
; SGPRBlocks: 0
; VGPRBlocks: 0
; NumSGPRsForWavesPerEU: 1
; NumVGPRsForWavesPerEU: 1
; NamedBarCnt: 0
; Occupancy: 16
; WaveLimiterHint : 0
; COMPUTE_PGM_RSRC2:SCRATCH_EN: 0
; COMPUTE_PGM_RSRC2:USER_SGPR: 2
; COMPUTE_PGM_RSRC2:TRAP_HANDLER: 0
; COMPUTE_PGM_RSRC2:TGID_X_EN: 1
; COMPUTE_PGM_RSRC2:TGID_Y_EN: 0
; COMPUTE_PGM_RSRC2:TGID_Z_EN: 0
; COMPUTE_PGM_RSRC2:TIDIG_COMP_CNT: 0
	.section	.text._ZN7rocprim17ROCPRIM_400000_NS6detail17trampoline_kernelINS0_14default_configENS1_27scan_by_key_config_selectorIiiEEZZNS1_16scan_by_key_implILNS1_25lookback_scan_determinismE0ELb0ES3_N6thrust23THRUST_200600_302600_NS6detail15normal_iteratorINS9_10device_ptrIiEEEESE_SE_iNS9_10multipliesIiEENS9_8equal_toIiEEiEE10hipError_tPvRmT2_T3_T4_T5_mT6_T7_P12ihipStream_tbENKUlT_T0_E_clISt17integral_constantIbLb1EESY_IbLb0EEEEDaSU_SV_EUlSU_E_NS1_11comp_targetILNS1_3genE4ELNS1_11target_archE910ELNS1_3gpuE8ELNS1_3repE0EEENS1_30default_config_static_selectorELNS0_4arch9wavefront6targetE0EEEvT1_,"axG",@progbits,_ZN7rocprim17ROCPRIM_400000_NS6detail17trampoline_kernelINS0_14default_configENS1_27scan_by_key_config_selectorIiiEEZZNS1_16scan_by_key_implILNS1_25lookback_scan_determinismE0ELb0ES3_N6thrust23THRUST_200600_302600_NS6detail15normal_iteratorINS9_10device_ptrIiEEEESE_SE_iNS9_10multipliesIiEENS9_8equal_toIiEEiEE10hipError_tPvRmT2_T3_T4_T5_mT6_T7_P12ihipStream_tbENKUlT_T0_E_clISt17integral_constantIbLb1EESY_IbLb0EEEEDaSU_SV_EUlSU_E_NS1_11comp_targetILNS1_3genE4ELNS1_11target_archE910ELNS1_3gpuE8ELNS1_3repE0EEENS1_30default_config_static_selectorELNS0_4arch9wavefront6targetE0EEEvT1_,comdat
	.protected	_ZN7rocprim17ROCPRIM_400000_NS6detail17trampoline_kernelINS0_14default_configENS1_27scan_by_key_config_selectorIiiEEZZNS1_16scan_by_key_implILNS1_25lookback_scan_determinismE0ELb0ES3_N6thrust23THRUST_200600_302600_NS6detail15normal_iteratorINS9_10device_ptrIiEEEESE_SE_iNS9_10multipliesIiEENS9_8equal_toIiEEiEE10hipError_tPvRmT2_T3_T4_T5_mT6_T7_P12ihipStream_tbENKUlT_T0_E_clISt17integral_constantIbLb1EESY_IbLb0EEEEDaSU_SV_EUlSU_E_NS1_11comp_targetILNS1_3genE4ELNS1_11target_archE910ELNS1_3gpuE8ELNS1_3repE0EEENS1_30default_config_static_selectorELNS0_4arch9wavefront6targetE0EEEvT1_ ; -- Begin function _ZN7rocprim17ROCPRIM_400000_NS6detail17trampoline_kernelINS0_14default_configENS1_27scan_by_key_config_selectorIiiEEZZNS1_16scan_by_key_implILNS1_25lookback_scan_determinismE0ELb0ES3_N6thrust23THRUST_200600_302600_NS6detail15normal_iteratorINS9_10device_ptrIiEEEESE_SE_iNS9_10multipliesIiEENS9_8equal_toIiEEiEE10hipError_tPvRmT2_T3_T4_T5_mT6_T7_P12ihipStream_tbENKUlT_T0_E_clISt17integral_constantIbLb1EESY_IbLb0EEEEDaSU_SV_EUlSU_E_NS1_11comp_targetILNS1_3genE4ELNS1_11target_archE910ELNS1_3gpuE8ELNS1_3repE0EEENS1_30default_config_static_selectorELNS0_4arch9wavefront6targetE0EEEvT1_
	.globl	_ZN7rocprim17ROCPRIM_400000_NS6detail17trampoline_kernelINS0_14default_configENS1_27scan_by_key_config_selectorIiiEEZZNS1_16scan_by_key_implILNS1_25lookback_scan_determinismE0ELb0ES3_N6thrust23THRUST_200600_302600_NS6detail15normal_iteratorINS9_10device_ptrIiEEEESE_SE_iNS9_10multipliesIiEENS9_8equal_toIiEEiEE10hipError_tPvRmT2_T3_T4_T5_mT6_T7_P12ihipStream_tbENKUlT_T0_E_clISt17integral_constantIbLb1EESY_IbLb0EEEEDaSU_SV_EUlSU_E_NS1_11comp_targetILNS1_3genE4ELNS1_11target_archE910ELNS1_3gpuE8ELNS1_3repE0EEENS1_30default_config_static_selectorELNS0_4arch9wavefront6targetE0EEEvT1_
	.p2align	8
	.type	_ZN7rocprim17ROCPRIM_400000_NS6detail17trampoline_kernelINS0_14default_configENS1_27scan_by_key_config_selectorIiiEEZZNS1_16scan_by_key_implILNS1_25lookback_scan_determinismE0ELb0ES3_N6thrust23THRUST_200600_302600_NS6detail15normal_iteratorINS9_10device_ptrIiEEEESE_SE_iNS9_10multipliesIiEENS9_8equal_toIiEEiEE10hipError_tPvRmT2_T3_T4_T5_mT6_T7_P12ihipStream_tbENKUlT_T0_E_clISt17integral_constantIbLb1EESY_IbLb0EEEEDaSU_SV_EUlSU_E_NS1_11comp_targetILNS1_3genE4ELNS1_11target_archE910ELNS1_3gpuE8ELNS1_3repE0EEENS1_30default_config_static_selectorELNS0_4arch9wavefront6targetE0EEEvT1_,@function
_ZN7rocprim17ROCPRIM_400000_NS6detail17trampoline_kernelINS0_14default_configENS1_27scan_by_key_config_selectorIiiEEZZNS1_16scan_by_key_implILNS1_25lookback_scan_determinismE0ELb0ES3_N6thrust23THRUST_200600_302600_NS6detail15normal_iteratorINS9_10device_ptrIiEEEESE_SE_iNS9_10multipliesIiEENS9_8equal_toIiEEiEE10hipError_tPvRmT2_T3_T4_T5_mT6_T7_P12ihipStream_tbENKUlT_T0_E_clISt17integral_constantIbLb1EESY_IbLb0EEEEDaSU_SV_EUlSU_E_NS1_11comp_targetILNS1_3genE4ELNS1_11target_archE910ELNS1_3gpuE8ELNS1_3repE0EEENS1_30default_config_static_selectorELNS0_4arch9wavefront6targetE0EEEvT1_: ; @_ZN7rocprim17ROCPRIM_400000_NS6detail17trampoline_kernelINS0_14default_configENS1_27scan_by_key_config_selectorIiiEEZZNS1_16scan_by_key_implILNS1_25lookback_scan_determinismE0ELb0ES3_N6thrust23THRUST_200600_302600_NS6detail15normal_iteratorINS9_10device_ptrIiEEEESE_SE_iNS9_10multipliesIiEENS9_8equal_toIiEEiEE10hipError_tPvRmT2_T3_T4_T5_mT6_T7_P12ihipStream_tbENKUlT_T0_E_clISt17integral_constantIbLb1EESY_IbLb0EEEEDaSU_SV_EUlSU_E_NS1_11comp_targetILNS1_3genE4ELNS1_11target_archE910ELNS1_3gpuE8ELNS1_3repE0EEENS1_30default_config_static_selectorELNS0_4arch9wavefront6targetE0EEEvT1_
; %bb.0:
	.section	.rodata,"a",@progbits
	.p2align	6, 0x0
	.amdhsa_kernel _ZN7rocprim17ROCPRIM_400000_NS6detail17trampoline_kernelINS0_14default_configENS1_27scan_by_key_config_selectorIiiEEZZNS1_16scan_by_key_implILNS1_25lookback_scan_determinismE0ELb0ES3_N6thrust23THRUST_200600_302600_NS6detail15normal_iteratorINS9_10device_ptrIiEEEESE_SE_iNS9_10multipliesIiEENS9_8equal_toIiEEiEE10hipError_tPvRmT2_T3_T4_T5_mT6_T7_P12ihipStream_tbENKUlT_T0_E_clISt17integral_constantIbLb1EESY_IbLb0EEEEDaSU_SV_EUlSU_E_NS1_11comp_targetILNS1_3genE4ELNS1_11target_archE910ELNS1_3gpuE8ELNS1_3repE0EEENS1_30default_config_static_selectorELNS0_4arch9wavefront6targetE0EEEvT1_
		.amdhsa_group_segment_fixed_size 0
		.amdhsa_private_segment_fixed_size 0
		.amdhsa_kernarg_size 112
		.amdhsa_user_sgpr_count 2
		.amdhsa_user_sgpr_dispatch_ptr 0
		.amdhsa_user_sgpr_queue_ptr 0
		.amdhsa_user_sgpr_kernarg_segment_ptr 1
		.amdhsa_user_sgpr_dispatch_id 0
		.amdhsa_user_sgpr_kernarg_preload_length 0
		.amdhsa_user_sgpr_kernarg_preload_offset 0
		.amdhsa_user_sgpr_private_segment_size 0
		.amdhsa_wavefront_size32 1
		.amdhsa_uses_dynamic_stack 0
		.amdhsa_enable_private_segment 0
		.amdhsa_system_sgpr_workgroup_id_x 1
		.amdhsa_system_sgpr_workgroup_id_y 0
		.amdhsa_system_sgpr_workgroup_id_z 0
		.amdhsa_system_sgpr_workgroup_info 0
		.amdhsa_system_vgpr_workitem_id 0
		.amdhsa_next_free_vgpr 1
		.amdhsa_next_free_sgpr 1
		.amdhsa_named_barrier_count 0
		.amdhsa_reserve_vcc 0
		.amdhsa_float_round_mode_32 0
		.amdhsa_float_round_mode_16_64 0
		.amdhsa_float_denorm_mode_32 3
		.amdhsa_float_denorm_mode_16_64 3
		.amdhsa_fp16_overflow 0
		.amdhsa_memory_ordered 1
		.amdhsa_forward_progress 1
		.amdhsa_inst_pref_size 0
		.amdhsa_round_robin_scheduling 0
		.amdhsa_exception_fp_ieee_invalid_op 0
		.amdhsa_exception_fp_denorm_src 0
		.amdhsa_exception_fp_ieee_div_zero 0
		.amdhsa_exception_fp_ieee_overflow 0
		.amdhsa_exception_fp_ieee_underflow 0
		.amdhsa_exception_fp_ieee_inexact 0
		.amdhsa_exception_int_div_zero 0
	.end_amdhsa_kernel
	.section	.text._ZN7rocprim17ROCPRIM_400000_NS6detail17trampoline_kernelINS0_14default_configENS1_27scan_by_key_config_selectorIiiEEZZNS1_16scan_by_key_implILNS1_25lookback_scan_determinismE0ELb0ES3_N6thrust23THRUST_200600_302600_NS6detail15normal_iteratorINS9_10device_ptrIiEEEESE_SE_iNS9_10multipliesIiEENS9_8equal_toIiEEiEE10hipError_tPvRmT2_T3_T4_T5_mT6_T7_P12ihipStream_tbENKUlT_T0_E_clISt17integral_constantIbLb1EESY_IbLb0EEEEDaSU_SV_EUlSU_E_NS1_11comp_targetILNS1_3genE4ELNS1_11target_archE910ELNS1_3gpuE8ELNS1_3repE0EEENS1_30default_config_static_selectorELNS0_4arch9wavefront6targetE0EEEvT1_,"axG",@progbits,_ZN7rocprim17ROCPRIM_400000_NS6detail17trampoline_kernelINS0_14default_configENS1_27scan_by_key_config_selectorIiiEEZZNS1_16scan_by_key_implILNS1_25lookback_scan_determinismE0ELb0ES3_N6thrust23THRUST_200600_302600_NS6detail15normal_iteratorINS9_10device_ptrIiEEEESE_SE_iNS9_10multipliesIiEENS9_8equal_toIiEEiEE10hipError_tPvRmT2_T3_T4_T5_mT6_T7_P12ihipStream_tbENKUlT_T0_E_clISt17integral_constantIbLb1EESY_IbLb0EEEEDaSU_SV_EUlSU_E_NS1_11comp_targetILNS1_3genE4ELNS1_11target_archE910ELNS1_3gpuE8ELNS1_3repE0EEENS1_30default_config_static_selectorELNS0_4arch9wavefront6targetE0EEEvT1_,comdat
.Lfunc_end185:
	.size	_ZN7rocprim17ROCPRIM_400000_NS6detail17trampoline_kernelINS0_14default_configENS1_27scan_by_key_config_selectorIiiEEZZNS1_16scan_by_key_implILNS1_25lookback_scan_determinismE0ELb0ES3_N6thrust23THRUST_200600_302600_NS6detail15normal_iteratorINS9_10device_ptrIiEEEESE_SE_iNS9_10multipliesIiEENS9_8equal_toIiEEiEE10hipError_tPvRmT2_T3_T4_T5_mT6_T7_P12ihipStream_tbENKUlT_T0_E_clISt17integral_constantIbLb1EESY_IbLb0EEEEDaSU_SV_EUlSU_E_NS1_11comp_targetILNS1_3genE4ELNS1_11target_archE910ELNS1_3gpuE8ELNS1_3repE0EEENS1_30default_config_static_selectorELNS0_4arch9wavefront6targetE0EEEvT1_, .Lfunc_end185-_ZN7rocprim17ROCPRIM_400000_NS6detail17trampoline_kernelINS0_14default_configENS1_27scan_by_key_config_selectorIiiEEZZNS1_16scan_by_key_implILNS1_25lookback_scan_determinismE0ELb0ES3_N6thrust23THRUST_200600_302600_NS6detail15normal_iteratorINS9_10device_ptrIiEEEESE_SE_iNS9_10multipliesIiEENS9_8equal_toIiEEiEE10hipError_tPvRmT2_T3_T4_T5_mT6_T7_P12ihipStream_tbENKUlT_T0_E_clISt17integral_constantIbLb1EESY_IbLb0EEEEDaSU_SV_EUlSU_E_NS1_11comp_targetILNS1_3genE4ELNS1_11target_archE910ELNS1_3gpuE8ELNS1_3repE0EEENS1_30default_config_static_selectorELNS0_4arch9wavefront6targetE0EEEvT1_
                                        ; -- End function
	.set _ZN7rocprim17ROCPRIM_400000_NS6detail17trampoline_kernelINS0_14default_configENS1_27scan_by_key_config_selectorIiiEEZZNS1_16scan_by_key_implILNS1_25lookback_scan_determinismE0ELb0ES3_N6thrust23THRUST_200600_302600_NS6detail15normal_iteratorINS9_10device_ptrIiEEEESE_SE_iNS9_10multipliesIiEENS9_8equal_toIiEEiEE10hipError_tPvRmT2_T3_T4_T5_mT6_T7_P12ihipStream_tbENKUlT_T0_E_clISt17integral_constantIbLb1EESY_IbLb0EEEEDaSU_SV_EUlSU_E_NS1_11comp_targetILNS1_3genE4ELNS1_11target_archE910ELNS1_3gpuE8ELNS1_3repE0EEENS1_30default_config_static_selectorELNS0_4arch9wavefront6targetE0EEEvT1_.num_vgpr, 0
	.set _ZN7rocprim17ROCPRIM_400000_NS6detail17trampoline_kernelINS0_14default_configENS1_27scan_by_key_config_selectorIiiEEZZNS1_16scan_by_key_implILNS1_25lookback_scan_determinismE0ELb0ES3_N6thrust23THRUST_200600_302600_NS6detail15normal_iteratorINS9_10device_ptrIiEEEESE_SE_iNS9_10multipliesIiEENS9_8equal_toIiEEiEE10hipError_tPvRmT2_T3_T4_T5_mT6_T7_P12ihipStream_tbENKUlT_T0_E_clISt17integral_constantIbLb1EESY_IbLb0EEEEDaSU_SV_EUlSU_E_NS1_11comp_targetILNS1_3genE4ELNS1_11target_archE910ELNS1_3gpuE8ELNS1_3repE0EEENS1_30default_config_static_selectorELNS0_4arch9wavefront6targetE0EEEvT1_.num_agpr, 0
	.set _ZN7rocprim17ROCPRIM_400000_NS6detail17trampoline_kernelINS0_14default_configENS1_27scan_by_key_config_selectorIiiEEZZNS1_16scan_by_key_implILNS1_25lookback_scan_determinismE0ELb0ES3_N6thrust23THRUST_200600_302600_NS6detail15normal_iteratorINS9_10device_ptrIiEEEESE_SE_iNS9_10multipliesIiEENS9_8equal_toIiEEiEE10hipError_tPvRmT2_T3_T4_T5_mT6_T7_P12ihipStream_tbENKUlT_T0_E_clISt17integral_constantIbLb1EESY_IbLb0EEEEDaSU_SV_EUlSU_E_NS1_11comp_targetILNS1_3genE4ELNS1_11target_archE910ELNS1_3gpuE8ELNS1_3repE0EEENS1_30default_config_static_selectorELNS0_4arch9wavefront6targetE0EEEvT1_.numbered_sgpr, 0
	.set _ZN7rocprim17ROCPRIM_400000_NS6detail17trampoline_kernelINS0_14default_configENS1_27scan_by_key_config_selectorIiiEEZZNS1_16scan_by_key_implILNS1_25lookback_scan_determinismE0ELb0ES3_N6thrust23THRUST_200600_302600_NS6detail15normal_iteratorINS9_10device_ptrIiEEEESE_SE_iNS9_10multipliesIiEENS9_8equal_toIiEEiEE10hipError_tPvRmT2_T3_T4_T5_mT6_T7_P12ihipStream_tbENKUlT_T0_E_clISt17integral_constantIbLb1EESY_IbLb0EEEEDaSU_SV_EUlSU_E_NS1_11comp_targetILNS1_3genE4ELNS1_11target_archE910ELNS1_3gpuE8ELNS1_3repE0EEENS1_30default_config_static_selectorELNS0_4arch9wavefront6targetE0EEEvT1_.num_named_barrier, 0
	.set _ZN7rocprim17ROCPRIM_400000_NS6detail17trampoline_kernelINS0_14default_configENS1_27scan_by_key_config_selectorIiiEEZZNS1_16scan_by_key_implILNS1_25lookback_scan_determinismE0ELb0ES3_N6thrust23THRUST_200600_302600_NS6detail15normal_iteratorINS9_10device_ptrIiEEEESE_SE_iNS9_10multipliesIiEENS9_8equal_toIiEEiEE10hipError_tPvRmT2_T3_T4_T5_mT6_T7_P12ihipStream_tbENKUlT_T0_E_clISt17integral_constantIbLb1EESY_IbLb0EEEEDaSU_SV_EUlSU_E_NS1_11comp_targetILNS1_3genE4ELNS1_11target_archE910ELNS1_3gpuE8ELNS1_3repE0EEENS1_30default_config_static_selectorELNS0_4arch9wavefront6targetE0EEEvT1_.private_seg_size, 0
	.set _ZN7rocprim17ROCPRIM_400000_NS6detail17trampoline_kernelINS0_14default_configENS1_27scan_by_key_config_selectorIiiEEZZNS1_16scan_by_key_implILNS1_25lookback_scan_determinismE0ELb0ES3_N6thrust23THRUST_200600_302600_NS6detail15normal_iteratorINS9_10device_ptrIiEEEESE_SE_iNS9_10multipliesIiEENS9_8equal_toIiEEiEE10hipError_tPvRmT2_T3_T4_T5_mT6_T7_P12ihipStream_tbENKUlT_T0_E_clISt17integral_constantIbLb1EESY_IbLb0EEEEDaSU_SV_EUlSU_E_NS1_11comp_targetILNS1_3genE4ELNS1_11target_archE910ELNS1_3gpuE8ELNS1_3repE0EEENS1_30default_config_static_selectorELNS0_4arch9wavefront6targetE0EEEvT1_.uses_vcc, 0
	.set _ZN7rocprim17ROCPRIM_400000_NS6detail17trampoline_kernelINS0_14default_configENS1_27scan_by_key_config_selectorIiiEEZZNS1_16scan_by_key_implILNS1_25lookback_scan_determinismE0ELb0ES3_N6thrust23THRUST_200600_302600_NS6detail15normal_iteratorINS9_10device_ptrIiEEEESE_SE_iNS9_10multipliesIiEENS9_8equal_toIiEEiEE10hipError_tPvRmT2_T3_T4_T5_mT6_T7_P12ihipStream_tbENKUlT_T0_E_clISt17integral_constantIbLb1EESY_IbLb0EEEEDaSU_SV_EUlSU_E_NS1_11comp_targetILNS1_3genE4ELNS1_11target_archE910ELNS1_3gpuE8ELNS1_3repE0EEENS1_30default_config_static_selectorELNS0_4arch9wavefront6targetE0EEEvT1_.uses_flat_scratch, 0
	.set _ZN7rocprim17ROCPRIM_400000_NS6detail17trampoline_kernelINS0_14default_configENS1_27scan_by_key_config_selectorIiiEEZZNS1_16scan_by_key_implILNS1_25lookback_scan_determinismE0ELb0ES3_N6thrust23THRUST_200600_302600_NS6detail15normal_iteratorINS9_10device_ptrIiEEEESE_SE_iNS9_10multipliesIiEENS9_8equal_toIiEEiEE10hipError_tPvRmT2_T3_T4_T5_mT6_T7_P12ihipStream_tbENKUlT_T0_E_clISt17integral_constantIbLb1EESY_IbLb0EEEEDaSU_SV_EUlSU_E_NS1_11comp_targetILNS1_3genE4ELNS1_11target_archE910ELNS1_3gpuE8ELNS1_3repE0EEENS1_30default_config_static_selectorELNS0_4arch9wavefront6targetE0EEEvT1_.has_dyn_sized_stack, 0
	.set _ZN7rocprim17ROCPRIM_400000_NS6detail17trampoline_kernelINS0_14default_configENS1_27scan_by_key_config_selectorIiiEEZZNS1_16scan_by_key_implILNS1_25lookback_scan_determinismE0ELb0ES3_N6thrust23THRUST_200600_302600_NS6detail15normal_iteratorINS9_10device_ptrIiEEEESE_SE_iNS9_10multipliesIiEENS9_8equal_toIiEEiEE10hipError_tPvRmT2_T3_T4_T5_mT6_T7_P12ihipStream_tbENKUlT_T0_E_clISt17integral_constantIbLb1EESY_IbLb0EEEEDaSU_SV_EUlSU_E_NS1_11comp_targetILNS1_3genE4ELNS1_11target_archE910ELNS1_3gpuE8ELNS1_3repE0EEENS1_30default_config_static_selectorELNS0_4arch9wavefront6targetE0EEEvT1_.has_recursion, 0
	.set _ZN7rocprim17ROCPRIM_400000_NS6detail17trampoline_kernelINS0_14default_configENS1_27scan_by_key_config_selectorIiiEEZZNS1_16scan_by_key_implILNS1_25lookback_scan_determinismE0ELb0ES3_N6thrust23THRUST_200600_302600_NS6detail15normal_iteratorINS9_10device_ptrIiEEEESE_SE_iNS9_10multipliesIiEENS9_8equal_toIiEEiEE10hipError_tPvRmT2_T3_T4_T5_mT6_T7_P12ihipStream_tbENKUlT_T0_E_clISt17integral_constantIbLb1EESY_IbLb0EEEEDaSU_SV_EUlSU_E_NS1_11comp_targetILNS1_3genE4ELNS1_11target_archE910ELNS1_3gpuE8ELNS1_3repE0EEENS1_30default_config_static_selectorELNS0_4arch9wavefront6targetE0EEEvT1_.has_indirect_call, 0
	.section	.AMDGPU.csdata,"",@progbits
; Kernel info:
; codeLenInByte = 0
; TotalNumSgprs: 0
; NumVgprs: 0
; ScratchSize: 0
; MemoryBound: 0
; FloatMode: 240
; IeeeMode: 1
; LDSByteSize: 0 bytes/workgroup (compile time only)
; SGPRBlocks: 0
; VGPRBlocks: 0
; NumSGPRsForWavesPerEU: 1
; NumVGPRsForWavesPerEU: 1
; NamedBarCnt: 0
; Occupancy: 16
; WaveLimiterHint : 0
; COMPUTE_PGM_RSRC2:SCRATCH_EN: 0
; COMPUTE_PGM_RSRC2:USER_SGPR: 2
; COMPUTE_PGM_RSRC2:TRAP_HANDLER: 0
; COMPUTE_PGM_RSRC2:TGID_X_EN: 1
; COMPUTE_PGM_RSRC2:TGID_Y_EN: 0
; COMPUTE_PGM_RSRC2:TGID_Z_EN: 0
; COMPUTE_PGM_RSRC2:TIDIG_COMP_CNT: 0
	.section	.text._ZN7rocprim17ROCPRIM_400000_NS6detail17trampoline_kernelINS0_14default_configENS1_27scan_by_key_config_selectorIiiEEZZNS1_16scan_by_key_implILNS1_25lookback_scan_determinismE0ELb0ES3_N6thrust23THRUST_200600_302600_NS6detail15normal_iteratorINS9_10device_ptrIiEEEESE_SE_iNS9_10multipliesIiEENS9_8equal_toIiEEiEE10hipError_tPvRmT2_T3_T4_T5_mT6_T7_P12ihipStream_tbENKUlT_T0_E_clISt17integral_constantIbLb1EESY_IbLb0EEEEDaSU_SV_EUlSU_E_NS1_11comp_targetILNS1_3genE3ELNS1_11target_archE908ELNS1_3gpuE7ELNS1_3repE0EEENS1_30default_config_static_selectorELNS0_4arch9wavefront6targetE0EEEvT1_,"axG",@progbits,_ZN7rocprim17ROCPRIM_400000_NS6detail17trampoline_kernelINS0_14default_configENS1_27scan_by_key_config_selectorIiiEEZZNS1_16scan_by_key_implILNS1_25lookback_scan_determinismE0ELb0ES3_N6thrust23THRUST_200600_302600_NS6detail15normal_iteratorINS9_10device_ptrIiEEEESE_SE_iNS9_10multipliesIiEENS9_8equal_toIiEEiEE10hipError_tPvRmT2_T3_T4_T5_mT6_T7_P12ihipStream_tbENKUlT_T0_E_clISt17integral_constantIbLb1EESY_IbLb0EEEEDaSU_SV_EUlSU_E_NS1_11comp_targetILNS1_3genE3ELNS1_11target_archE908ELNS1_3gpuE7ELNS1_3repE0EEENS1_30default_config_static_selectorELNS0_4arch9wavefront6targetE0EEEvT1_,comdat
	.protected	_ZN7rocprim17ROCPRIM_400000_NS6detail17trampoline_kernelINS0_14default_configENS1_27scan_by_key_config_selectorIiiEEZZNS1_16scan_by_key_implILNS1_25lookback_scan_determinismE0ELb0ES3_N6thrust23THRUST_200600_302600_NS6detail15normal_iteratorINS9_10device_ptrIiEEEESE_SE_iNS9_10multipliesIiEENS9_8equal_toIiEEiEE10hipError_tPvRmT2_T3_T4_T5_mT6_T7_P12ihipStream_tbENKUlT_T0_E_clISt17integral_constantIbLb1EESY_IbLb0EEEEDaSU_SV_EUlSU_E_NS1_11comp_targetILNS1_3genE3ELNS1_11target_archE908ELNS1_3gpuE7ELNS1_3repE0EEENS1_30default_config_static_selectorELNS0_4arch9wavefront6targetE0EEEvT1_ ; -- Begin function _ZN7rocprim17ROCPRIM_400000_NS6detail17trampoline_kernelINS0_14default_configENS1_27scan_by_key_config_selectorIiiEEZZNS1_16scan_by_key_implILNS1_25lookback_scan_determinismE0ELb0ES3_N6thrust23THRUST_200600_302600_NS6detail15normal_iteratorINS9_10device_ptrIiEEEESE_SE_iNS9_10multipliesIiEENS9_8equal_toIiEEiEE10hipError_tPvRmT2_T3_T4_T5_mT6_T7_P12ihipStream_tbENKUlT_T0_E_clISt17integral_constantIbLb1EESY_IbLb0EEEEDaSU_SV_EUlSU_E_NS1_11comp_targetILNS1_3genE3ELNS1_11target_archE908ELNS1_3gpuE7ELNS1_3repE0EEENS1_30default_config_static_selectorELNS0_4arch9wavefront6targetE0EEEvT1_
	.globl	_ZN7rocprim17ROCPRIM_400000_NS6detail17trampoline_kernelINS0_14default_configENS1_27scan_by_key_config_selectorIiiEEZZNS1_16scan_by_key_implILNS1_25lookback_scan_determinismE0ELb0ES3_N6thrust23THRUST_200600_302600_NS6detail15normal_iteratorINS9_10device_ptrIiEEEESE_SE_iNS9_10multipliesIiEENS9_8equal_toIiEEiEE10hipError_tPvRmT2_T3_T4_T5_mT6_T7_P12ihipStream_tbENKUlT_T0_E_clISt17integral_constantIbLb1EESY_IbLb0EEEEDaSU_SV_EUlSU_E_NS1_11comp_targetILNS1_3genE3ELNS1_11target_archE908ELNS1_3gpuE7ELNS1_3repE0EEENS1_30default_config_static_selectorELNS0_4arch9wavefront6targetE0EEEvT1_
	.p2align	8
	.type	_ZN7rocprim17ROCPRIM_400000_NS6detail17trampoline_kernelINS0_14default_configENS1_27scan_by_key_config_selectorIiiEEZZNS1_16scan_by_key_implILNS1_25lookback_scan_determinismE0ELb0ES3_N6thrust23THRUST_200600_302600_NS6detail15normal_iteratorINS9_10device_ptrIiEEEESE_SE_iNS9_10multipliesIiEENS9_8equal_toIiEEiEE10hipError_tPvRmT2_T3_T4_T5_mT6_T7_P12ihipStream_tbENKUlT_T0_E_clISt17integral_constantIbLb1EESY_IbLb0EEEEDaSU_SV_EUlSU_E_NS1_11comp_targetILNS1_3genE3ELNS1_11target_archE908ELNS1_3gpuE7ELNS1_3repE0EEENS1_30default_config_static_selectorELNS0_4arch9wavefront6targetE0EEEvT1_,@function
_ZN7rocprim17ROCPRIM_400000_NS6detail17trampoline_kernelINS0_14default_configENS1_27scan_by_key_config_selectorIiiEEZZNS1_16scan_by_key_implILNS1_25lookback_scan_determinismE0ELb0ES3_N6thrust23THRUST_200600_302600_NS6detail15normal_iteratorINS9_10device_ptrIiEEEESE_SE_iNS9_10multipliesIiEENS9_8equal_toIiEEiEE10hipError_tPvRmT2_T3_T4_T5_mT6_T7_P12ihipStream_tbENKUlT_T0_E_clISt17integral_constantIbLb1EESY_IbLb0EEEEDaSU_SV_EUlSU_E_NS1_11comp_targetILNS1_3genE3ELNS1_11target_archE908ELNS1_3gpuE7ELNS1_3repE0EEENS1_30default_config_static_selectorELNS0_4arch9wavefront6targetE0EEEvT1_: ; @_ZN7rocprim17ROCPRIM_400000_NS6detail17trampoline_kernelINS0_14default_configENS1_27scan_by_key_config_selectorIiiEEZZNS1_16scan_by_key_implILNS1_25lookback_scan_determinismE0ELb0ES3_N6thrust23THRUST_200600_302600_NS6detail15normal_iteratorINS9_10device_ptrIiEEEESE_SE_iNS9_10multipliesIiEENS9_8equal_toIiEEiEE10hipError_tPvRmT2_T3_T4_T5_mT6_T7_P12ihipStream_tbENKUlT_T0_E_clISt17integral_constantIbLb1EESY_IbLb0EEEEDaSU_SV_EUlSU_E_NS1_11comp_targetILNS1_3genE3ELNS1_11target_archE908ELNS1_3gpuE7ELNS1_3repE0EEENS1_30default_config_static_selectorELNS0_4arch9wavefront6targetE0EEEvT1_
; %bb.0:
	.section	.rodata,"a",@progbits
	.p2align	6, 0x0
	.amdhsa_kernel _ZN7rocprim17ROCPRIM_400000_NS6detail17trampoline_kernelINS0_14default_configENS1_27scan_by_key_config_selectorIiiEEZZNS1_16scan_by_key_implILNS1_25lookback_scan_determinismE0ELb0ES3_N6thrust23THRUST_200600_302600_NS6detail15normal_iteratorINS9_10device_ptrIiEEEESE_SE_iNS9_10multipliesIiEENS9_8equal_toIiEEiEE10hipError_tPvRmT2_T3_T4_T5_mT6_T7_P12ihipStream_tbENKUlT_T0_E_clISt17integral_constantIbLb1EESY_IbLb0EEEEDaSU_SV_EUlSU_E_NS1_11comp_targetILNS1_3genE3ELNS1_11target_archE908ELNS1_3gpuE7ELNS1_3repE0EEENS1_30default_config_static_selectorELNS0_4arch9wavefront6targetE0EEEvT1_
		.amdhsa_group_segment_fixed_size 0
		.amdhsa_private_segment_fixed_size 0
		.amdhsa_kernarg_size 112
		.amdhsa_user_sgpr_count 2
		.amdhsa_user_sgpr_dispatch_ptr 0
		.amdhsa_user_sgpr_queue_ptr 0
		.amdhsa_user_sgpr_kernarg_segment_ptr 1
		.amdhsa_user_sgpr_dispatch_id 0
		.amdhsa_user_sgpr_kernarg_preload_length 0
		.amdhsa_user_sgpr_kernarg_preload_offset 0
		.amdhsa_user_sgpr_private_segment_size 0
		.amdhsa_wavefront_size32 1
		.amdhsa_uses_dynamic_stack 0
		.amdhsa_enable_private_segment 0
		.amdhsa_system_sgpr_workgroup_id_x 1
		.amdhsa_system_sgpr_workgroup_id_y 0
		.amdhsa_system_sgpr_workgroup_id_z 0
		.amdhsa_system_sgpr_workgroup_info 0
		.amdhsa_system_vgpr_workitem_id 0
		.amdhsa_next_free_vgpr 1
		.amdhsa_next_free_sgpr 1
		.amdhsa_named_barrier_count 0
		.amdhsa_reserve_vcc 0
		.amdhsa_float_round_mode_32 0
		.amdhsa_float_round_mode_16_64 0
		.amdhsa_float_denorm_mode_32 3
		.amdhsa_float_denorm_mode_16_64 3
		.amdhsa_fp16_overflow 0
		.amdhsa_memory_ordered 1
		.amdhsa_forward_progress 1
		.amdhsa_inst_pref_size 0
		.amdhsa_round_robin_scheduling 0
		.amdhsa_exception_fp_ieee_invalid_op 0
		.amdhsa_exception_fp_denorm_src 0
		.amdhsa_exception_fp_ieee_div_zero 0
		.amdhsa_exception_fp_ieee_overflow 0
		.amdhsa_exception_fp_ieee_underflow 0
		.amdhsa_exception_fp_ieee_inexact 0
		.amdhsa_exception_int_div_zero 0
	.end_amdhsa_kernel
	.section	.text._ZN7rocprim17ROCPRIM_400000_NS6detail17trampoline_kernelINS0_14default_configENS1_27scan_by_key_config_selectorIiiEEZZNS1_16scan_by_key_implILNS1_25lookback_scan_determinismE0ELb0ES3_N6thrust23THRUST_200600_302600_NS6detail15normal_iteratorINS9_10device_ptrIiEEEESE_SE_iNS9_10multipliesIiEENS9_8equal_toIiEEiEE10hipError_tPvRmT2_T3_T4_T5_mT6_T7_P12ihipStream_tbENKUlT_T0_E_clISt17integral_constantIbLb1EESY_IbLb0EEEEDaSU_SV_EUlSU_E_NS1_11comp_targetILNS1_3genE3ELNS1_11target_archE908ELNS1_3gpuE7ELNS1_3repE0EEENS1_30default_config_static_selectorELNS0_4arch9wavefront6targetE0EEEvT1_,"axG",@progbits,_ZN7rocprim17ROCPRIM_400000_NS6detail17trampoline_kernelINS0_14default_configENS1_27scan_by_key_config_selectorIiiEEZZNS1_16scan_by_key_implILNS1_25lookback_scan_determinismE0ELb0ES3_N6thrust23THRUST_200600_302600_NS6detail15normal_iteratorINS9_10device_ptrIiEEEESE_SE_iNS9_10multipliesIiEENS9_8equal_toIiEEiEE10hipError_tPvRmT2_T3_T4_T5_mT6_T7_P12ihipStream_tbENKUlT_T0_E_clISt17integral_constantIbLb1EESY_IbLb0EEEEDaSU_SV_EUlSU_E_NS1_11comp_targetILNS1_3genE3ELNS1_11target_archE908ELNS1_3gpuE7ELNS1_3repE0EEENS1_30default_config_static_selectorELNS0_4arch9wavefront6targetE0EEEvT1_,comdat
.Lfunc_end186:
	.size	_ZN7rocprim17ROCPRIM_400000_NS6detail17trampoline_kernelINS0_14default_configENS1_27scan_by_key_config_selectorIiiEEZZNS1_16scan_by_key_implILNS1_25lookback_scan_determinismE0ELb0ES3_N6thrust23THRUST_200600_302600_NS6detail15normal_iteratorINS9_10device_ptrIiEEEESE_SE_iNS9_10multipliesIiEENS9_8equal_toIiEEiEE10hipError_tPvRmT2_T3_T4_T5_mT6_T7_P12ihipStream_tbENKUlT_T0_E_clISt17integral_constantIbLb1EESY_IbLb0EEEEDaSU_SV_EUlSU_E_NS1_11comp_targetILNS1_3genE3ELNS1_11target_archE908ELNS1_3gpuE7ELNS1_3repE0EEENS1_30default_config_static_selectorELNS0_4arch9wavefront6targetE0EEEvT1_, .Lfunc_end186-_ZN7rocprim17ROCPRIM_400000_NS6detail17trampoline_kernelINS0_14default_configENS1_27scan_by_key_config_selectorIiiEEZZNS1_16scan_by_key_implILNS1_25lookback_scan_determinismE0ELb0ES3_N6thrust23THRUST_200600_302600_NS6detail15normal_iteratorINS9_10device_ptrIiEEEESE_SE_iNS9_10multipliesIiEENS9_8equal_toIiEEiEE10hipError_tPvRmT2_T3_T4_T5_mT6_T7_P12ihipStream_tbENKUlT_T0_E_clISt17integral_constantIbLb1EESY_IbLb0EEEEDaSU_SV_EUlSU_E_NS1_11comp_targetILNS1_3genE3ELNS1_11target_archE908ELNS1_3gpuE7ELNS1_3repE0EEENS1_30default_config_static_selectorELNS0_4arch9wavefront6targetE0EEEvT1_
                                        ; -- End function
	.set _ZN7rocprim17ROCPRIM_400000_NS6detail17trampoline_kernelINS0_14default_configENS1_27scan_by_key_config_selectorIiiEEZZNS1_16scan_by_key_implILNS1_25lookback_scan_determinismE0ELb0ES3_N6thrust23THRUST_200600_302600_NS6detail15normal_iteratorINS9_10device_ptrIiEEEESE_SE_iNS9_10multipliesIiEENS9_8equal_toIiEEiEE10hipError_tPvRmT2_T3_T4_T5_mT6_T7_P12ihipStream_tbENKUlT_T0_E_clISt17integral_constantIbLb1EESY_IbLb0EEEEDaSU_SV_EUlSU_E_NS1_11comp_targetILNS1_3genE3ELNS1_11target_archE908ELNS1_3gpuE7ELNS1_3repE0EEENS1_30default_config_static_selectorELNS0_4arch9wavefront6targetE0EEEvT1_.num_vgpr, 0
	.set _ZN7rocprim17ROCPRIM_400000_NS6detail17trampoline_kernelINS0_14default_configENS1_27scan_by_key_config_selectorIiiEEZZNS1_16scan_by_key_implILNS1_25lookback_scan_determinismE0ELb0ES3_N6thrust23THRUST_200600_302600_NS6detail15normal_iteratorINS9_10device_ptrIiEEEESE_SE_iNS9_10multipliesIiEENS9_8equal_toIiEEiEE10hipError_tPvRmT2_T3_T4_T5_mT6_T7_P12ihipStream_tbENKUlT_T0_E_clISt17integral_constantIbLb1EESY_IbLb0EEEEDaSU_SV_EUlSU_E_NS1_11comp_targetILNS1_3genE3ELNS1_11target_archE908ELNS1_3gpuE7ELNS1_3repE0EEENS1_30default_config_static_selectorELNS0_4arch9wavefront6targetE0EEEvT1_.num_agpr, 0
	.set _ZN7rocprim17ROCPRIM_400000_NS6detail17trampoline_kernelINS0_14default_configENS1_27scan_by_key_config_selectorIiiEEZZNS1_16scan_by_key_implILNS1_25lookback_scan_determinismE0ELb0ES3_N6thrust23THRUST_200600_302600_NS6detail15normal_iteratorINS9_10device_ptrIiEEEESE_SE_iNS9_10multipliesIiEENS9_8equal_toIiEEiEE10hipError_tPvRmT2_T3_T4_T5_mT6_T7_P12ihipStream_tbENKUlT_T0_E_clISt17integral_constantIbLb1EESY_IbLb0EEEEDaSU_SV_EUlSU_E_NS1_11comp_targetILNS1_3genE3ELNS1_11target_archE908ELNS1_3gpuE7ELNS1_3repE0EEENS1_30default_config_static_selectorELNS0_4arch9wavefront6targetE0EEEvT1_.numbered_sgpr, 0
	.set _ZN7rocprim17ROCPRIM_400000_NS6detail17trampoline_kernelINS0_14default_configENS1_27scan_by_key_config_selectorIiiEEZZNS1_16scan_by_key_implILNS1_25lookback_scan_determinismE0ELb0ES3_N6thrust23THRUST_200600_302600_NS6detail15normal_iteratorINS9_10device_ptrIiEEEESE_SE_iNS9_10multipliesIiEENS9_8equal_toIiEEiEE10hipError_tPvRmT2_T3_T4_T5_mT6_T7_P12ihipStream_tbENKUlT_T0_E_clISt17integral_constantIbLb1EESY_IbLb0EEEEDaSU_SV_EUlSU_E_NS1_11comp_targetILNS1_3genE3ELNS1_11target_archE908ELNS1_3gpuE7ELNS1_3repE0EEENS1_30default_config_static_selectorELNS0_4arch9wavefront6targetE0EEEvT1_.num_named_barrier, 0
	.set _ZN7rocprim17ROCPRIM_400000_NS6detail17trampoline_kernelINS0_14default_configENS1_27scan_by_key_config_selectorIiiEEZZNS1_16scan_by_key_implILNS1_25lookback_scan_determinismE0ELb0ES3_N6thrust23THRUST_200600_302600_NS6detail15normal_iteratorINS9_10device_ptrIiEEEESE_SE_iNS9_10multipliesIiEENS9_8equal_toIiEEiEE10hipError_tPvRmT2_T3_T4_T5_mT6_T7_P12ihipStream_tbENKUlT_T0_E_clISt17integral_constantIbLb1EESY_IbLb0EEEEDaSU_SV_EUlSU_E_NS1_11comp_targetILNS1_3genE3ELNS1_11target_archE908ELNS1_3gpuE7ELNS1_3repE0EEENS1_30default_config_static_selectorELNS0_4arch9wavefront6targetE0EEEvT1_.private_seg_size, 0
	.set _ZN7rocprim17ROCPRIM_400000_NS6detail17trampoline_kernelINS0_14default_configENS1_27scan_by_key_config_selectorIiiEEZZNS1_16scan_by_key_implILNS1_25lookback_scan_determinismE0ELb0ES3_N6thrust23THRUST_200600_302600_NS6detail15normal_iteratorINS9_10device_ptrIiEEEESE_SE_iNS9_10multipliesIiEENS9_8equal_toIiEEiEE10hipError_tPvRmT2_T3_T4_T5_mT6_T7_P12ihipStream_tbENKUlT_T0_E_clISt17integral_constantIbLb1EESY_IbLb0EEEEDaSU_SV_EUlSU_E_NS1_11comp_targetILNS1_3genE3ELNS1_11target_archE908ELNS1_3gpuE7ELNS1_3repE0EEENS1_30default_config_static_selectorELNS0_4arch9wavefront6targetE0EEEvT1_.uses_vcc, 0
	.set _ZN7rocprim17ROCPRIM_400000_NS6detail17trampoline_kernelINS0_14default_configENS1_27scan_by_key_config_selectorIiiEEZZNS1_16scan_by_key_implILNS1_25lookback_scan_determinismE0ELb0ES3_N6thrust23THRUST_200600_302600_NS6detail15normal_iteratorINS9_10device_ptrIiEEEESE_SE_iNS9_10multipliesIiEENS9_8equal_toIiEEiEE10hipError_tPvRmT2_T3_T4_T5_mT6_T7_P12ihipStream_tbENKUlT_T0_E_clISt17integral_constantIbLb1EESY_IbLb0EEEEDaSU_SV_EUlSU_E_NS1_11comp_targetILNS1_3genE3ELNS1_11target_archE908ELNS1_3gpuE7ELNS1_3repE0EEENS1_30default_config_static_selectorELNS0_4arch9wavefront6targetE0EEEvT1_.uses_flat_scratch, 0
	.set _ZN7rocprim17ROCPRIM_400000_NS6detail17trampoline_kernelINS0_14default_configENS1_27scan_by_key_config_selectorIiiEEZZNS1_16scan_by_key_implILNS1_25lookback_scan_determinismE0ELb0ES3_N6thrust23THRUST_200600_302600_NS6detail15normal_iteratorINS9_10device_ptrIiEEEESE_SE_iNS9_10multipliesIiEENS9_8equal_toIiEEiEE10hipError_tPvRmT2_T3_T4_T5_mT6_T7_P12ihipStream_tbENKUlT_T0_E_clISt17integral_constantIbLb1EESY_IbLb0EEEEDaSU_SV_EUlSU_E_NS1_11comp_targetILNS1_3genE3ELNS1_11target_archE908ELNS1_3gpuE7ELNS1_3repE0EEENS1_30default_config_static_selectorELNS0_4arch9wavefront6targetE0EEEvT1_.has_dyn_sized_stack, 0
	.set _ZN7rocprim17ROCPRIM_400000_NS6detail17trampoline_kernelINS0_14default_configENS1_27scan_by_key_config_selectorIiiEEZZNS1_16scan_by_key_implILNS1_25lookback_scan_determinismE0ELb0ES3_N6thrust23THRUST_200600_302600_NS6detail15normal_iteratorINS9_10device_ptrIiEEEESE_SE_iNS9_10multipliesIiEENS9_8equal_toIiEEiEE10hipError_tPvRmT2_T3_T4_T5_mT6_T7_P12ihipStream_tbENKUlT_T0_E_clISt17integral_constantIbLb1EESY_IbLb0EEEEDaSU_SV_EUlSU_E_NS1_11comp_targetILNS1_3genE3ELNS1_11target_archE908ELNS1_3gpuE7ELNS1_3repE0EEENS1_30default_config_static_selectorELNS0_4arch9wavefront6targetE0EEEvT1_.has_recursion, 0
	.set _ZN7rocprim17ROCPRIM_400000_NS6detail17trampoline_kernelINS0_14default_configENS1_27scan_by_key_config_selectorIiiEEZZNS1_16scan_by_key_implILNS1_25lookback_scan_determinismE0ELb0ES3_N6thrust23THRUST_200600_302600_NS6detail15normal_iteratorINS9_10device_ptrIiEEEESE_SE_iNS9_10multipliesIiEENS9_8equal_toIiEEiEE10hipError_tPvRmT2_T3_T4_T5_mT6_T7_P12ihipStream_tbENKUlT_T0_E_clISt17integral_constantIbLb1EESY_IbLb0EEEEDaSU_SV_EUlSU_E_NS1_11comp_targetILNS1_3genE3ELNS1_11target_archE908ELNS1_3gpuE7ELNS1_3repE0EEENS1_30default_config_static_selectorELNS0_4arch9wavefront6targetE0EEEvT1_.has_indirect_call, 0
	.section	.AMDGPU.csdata,"",@progbits
; Kernel info:
; codeLenInByte = 0
; TotalNumSgprs: 0
; NumVgprs: 0
; ScratchSize: 0
; MemoryBound: 0
; FloatMode: 240
; IeeeMode: 1
; LDSByteSize: 0 bytes/workgroup (compile time only)
; SGPRBlocks: 0
; VGPRBlocks: 0
; NumSGPRsForWavesPerEU: 1
; NumVGPRsForWavesPerEU: 1
; NamedBarCnt: 0
; Occupancy: 16
; WaveLimiterHint : 0
; COMPUTE_PGM_RSRC2:SCRATCH_EN: 0
; COMPUTE_PGM_RSRC2:USER_SGPR: 2
; COMPUTE_PGM_RSRC2:TRAP_HANDLER: 0
; COMPUTE_PGM_RSRC2:TGID_X_EN: 1
; COMPUTE_PGM_RSRC2:TGID_Y_EN: 0
; COMPUTE_PGM_RSRC2:TGID_Z_EN: 0
; COMPUTE_PGM_RSRC2:TIDIG_COMP_CNT: 0
	.section	.text._ZN7rocprim17ROCPRIM_400000_NS6detail17trampoline_kernelINS0_14default_configENS1_27scan_by_key_config_selectorIiiEEZZNS1_16scan_by_key_implILNS1_25lookback_scan_determinismE0ELb0ES3_N6thrust23THRUST_200600_302600_NS6detail15normal_iteratorINS9_10device_ptrIiEEEESE_SE_iNS9_10multipliesIiEENS9_8equal_toIiEEiEE10hipError_tPvRmT2_T3_T4_T5_mT6_T7_P12ihipStream_tbENKUlT_T0_E_clISt17integral_constantIbLb1EESY_IbLb0EEEEDaSU_SV_EUlSU_E_NS1_11comp_targetILNS1_3genE2ELNS1_11target_archE906ELNS1_3gpuE6ELNS1_3repE0EEENS1_30default_config_static_selectorELNS0_4arch9wavefront6targetE0EEEvT1_,"axG",@progbits,_ZN7rocprim17ROCPRIM_400000_NS6detail17trampoline_kernelINS0_14default_configENS1_27scan_by_key_config_selectorIiiEEZZNS1_16scan_by_key_implILNS1_25lookback_scan_determinismE0ELb0ES3_N6thrust23THRUST_200600_302600_NS6detail15normal_iteratorINS9_10device_ptrIiEEEESE_SE_iNS9_10multipliesIiEENS9_8equal_toIiEEiEE10hipError_tPvRmT2_T3_T4_T5_mT6_T7_P12ihipStream_tbENKUlT_T0_E_clISt17integral_constantIbLb1EESY_IbLb0EEEEDaSU_SV_EUlSU_E_NS1_11comp_targetILNS1_3genE2ELNS1_11target_archE906ELNS1_3gpuE6ELNS1_3repE0EEENS1_30default_config_static_selectorELNS0_4arch9wavefront6targetE0EEEvT1_,comdat
	.protected	_ZN7rocprim17ROCPRIM_400000_NS6detail17trampoline_kernelINS0_14default_configENS1_27scan_by_key_config_selectorIiiEEZZNS1_16scan_by_key_implILNS1_25lookback_scan_determinismE0ELb0ES3_N6thrust23THRUST_200600_302600_NS6detail15normal_iteratorINS9_10device_ptrIiEEEESE_SE_iNS9_10multipliesIiEENS9_8equal_toIiEEiEE10hipError_tPvRmT2_T3_T4_T5_mT6_T7_P12ihipStream_tbENKUlT_T0_E_clISt17integral_constantIbLb1EESY_IbLb0EEEEDaSU_SV_EUlSU_E_NS1_11comp_targetILNS1_3genE2ELNS1_11target_archE906ELNS1_3gpuE6ELNS1_3repE0EEENS1_30default_config_static_selectorELNS0_4arch9wavefront6targetE0EEEvT1_ ; -- Begin function _ZN7rocprim17ROCPRIM_400000_NS6detail17trampoline_kernelINS0_14default_configENS1_27scan_by_key_config_selectorIiiEEZZNS1_16scan_by_key_implILNS1_25lookback_scan_determinismE0ELb0ES3_N6thrust23THRUST_200600_302600_NS6detail15normal_iteratorINS9_10device_ptrIiEEEESE_SE_iNS9_10multipliesIiEENS9_8equal_toIiEEiEE10hipError_tPvRmT2_T3_T4_T5_mT6_T7_P12ihipStream_tbENKUlT_T0_E_clISt17integral_constantIbLb1EESY_IbLb0EEEEDaSU_SV_EUlSU_E_NS1_11comp_targetILNS1_3genE2ELNS1_11target_archE906ELNS1_3gpuE6ELNS1_3repE0EEENS1_30default_config_static_selectorELNS0_4arch9wavefront6targetE0EEEvT1_
	.globl	_ZN7rocprim17ROCPRIM_400000_NS6detail17trampoline_kernelINS0_14default_configENS1_27scan_by_key_config_selectorIiiEEZZNS1_16scan_by_key_implILNS1_25lookback_scan_determinismE0ELb0ES3_N6thrust23THRUST_200600_302600_NS6detail15normal_iteratorINS9_10device_ptrIiEEEESE_SE_iNS9_10multipliesIiEENS9_8equal_toIiEEiEE10hipError_tPvRmT2_T3_T4_T5_mT6_T7_P12ihipStream_tbENKUlT_T0_E_clISt17integral_constantIbLb1EESY_IbLb0EEEEDaSU_SV_EUlSU_E_NS1_11comp_targetILNS1_3genE2ELNS1_11target_archE906ELNS1_3gpuE6ELNS1_3repE0EEENS1_30default_config_static_selectorELNS0_4arch9wavefront6targetE0EEEvT1_
	.p2align	8
	.type	_ZN7rocprim17ROCPRIM_400000_NS6detail17trampoline_kernelINS0_14default_configENS1_27scan_by_key_config_selectorIiiEEZZNS1_16scan_by_key_implILNS1_25lookback_scan_determinismE0ELb0ES3_N6thrust23THRUST_200600_302600_NS6detail15normal_iteratorINS9_10device_ptrIiEEEESE_SE_iNS9_10multipliesIiEENS9_8equal_toIiEEiEE10hipError_tPvRmT2_T3_T4_T5_mT6_T7_P12ihipStream_tbENKUlT_T0_E_clISt17integral_constantIbLb1EESY_IbLb0EEEEDaSU_SV_EUlSU_E_NS1_11comp_targetILNS1_3genE2ELNS1_11target_archE906ELNS1_3gpuE6ELNS1_3repE0EEENS1_30default_config_static_selectorELNS0_4arch9wavefront6targetE0EEEvT1_,@function
_ZN7rocprim17ROCPRIM_400000_NS6detail17trampoline_kernelINS0_14default_configENS1_27scan_by_key_config_selectorIiiEEZZNS1_16scan_by_key_implILNS1_25lookback_scan_determinismE0ELb0ES3_N6thrust23THRUST_200600_302600_NS6detail15normal_iteratorINS9_10device_ptrIiEEEESE_SE_iNS9_10multipliesIiEENS9_8equal_toIiEEiEE10hipError_tPvRmT2_T3_T4_T5_mT6_T7_P12ihipStream_tbENKUlT_T0_E_clISt17integral_constantIbLb1EESY_IbLb0EEEEDaSU_SV_EUlSU_E_NS1_11comp_targetILNS1_3genE2ELNS1_11target_archE906ELNS1_3gpuE6ELNS1_3repE0EEENS1_30default_config_static_selectorELNS0_4arch9wavefront6targetE0EEEvT1_: ; @_ZN7rocprim17ROCPRIM_400000_NS6detail17trampoline_kernelINS0_14default_configENS1_27scan_by_key_config_selectorIiiEEZZNS1_16scan_by_key_implILNS1_25lookback_scan_determinismE0ELb0ES3_N6thrust23THRUST_200600_302600_NS6detail15normal_iteratorINS9_10device_ptrIiEEEESE_SE_iNS9_10multipliesIiEENS9_8equal_toIiEEiEE10hipError_tPvRmT2_T3_T4_T5_mT6_T7_P12ihipStream_tbENKUlT_T0_E_clISt17integral_constantIbLb1EESY_IbLb0EEEEDaSU_SV_EUlSU_E_NS1_11comp_targetILNS1_3genE2ELNS1_11target_archE906ELNS1_3gpuE6ELNS1_3repE0EEENS1_30default_config_static_selectorELNS0_4arch9wavefront6targetE0EEEvT1_
; %bb.0:
	.section	.rodata,"a",@progbits
	.p2align	6, 0x0
	.amdhsa_kernel _ZN7rocprim17ROCPRIM_400000_NS6detail17trampoline_kernelINS0_14default_configENS1_27scan_by_key_config_selectorIiiEEZZNS1_16scan_by_key_implILNS1_25lookback_scan_determinismE0ELb0ES3_N6thrust23THRUST_200600_302600_NS6detail15normal_iteratorINS9_10device_ptrIiEEEESE_SE_iNS9_10multipliesIiEENS9_8equal_toIiEEiEE10hipError_tPvRmT2_T3_T4_T5_mT6_T7_P12ihipStream_tbENKUlT_T0_E_clISt17integral_constantIbLb1EESY_IbLb0EEEEDaSU_SV_EUlSU_E_NS1_11comp_targetILNS1_3genE2ELNS1_11target_archE906ELNS1_3gpuE6ELNS1_3repE0EEENS1_30default_config_static_selectorELNS0_4arch9wavefront6targetE0EEEvT1_
		.amdhsa_group_segment_fixed_size 0
		.amdhsa_private_segment_fixed_size 0
		.amdhsa_kernarg_size 112
		.amdhsa_user_sgpr_count 2
		.amdhsa_user_sgpr_dispatch_ptr 0
		.amdhsa_user_sgpr_queue_ptr 0
		.amdhsa_user_sgpr_kernarg_segment_ptr 1
		.amdhsa_user_sgpr_dispatch_id 0
		.amdhsa_user_sgpr_kernarg_preload_length 0
		.amdhsa_user_sgpr_kernarg_preload_offset 0
		.amdhsa_user_sgpr_private_segment_size 0
		.amdhsa_wavefront_size32 1
		.amdhsa_uses_dynamic_stack 0
		.amdhsa_enable_private_segment 0
		.amdhsa_system_sgpr_workgroup_id_x 1
		.amdhsa_system_sgpr_workgroup_id_y 0
		.amdhsa_system_sgpr_workgroup_id_z 0
		.amdhsa_system_sgpr_workgroup_info 0
		.amdhsa_system_vgpr_workitem_id 0
		.amdhsa_next_free_vgpr 1
		.amdhsa_next_free_sgpr 1
		.amdhsa_named_barrier_count 0
		.amdhsa_reserve_vcc 0
		.amdhsa_float_round_mode_32 0
		.amdhsa_float_round_mode_16_64 0
		.amdhsa_float_denorm_mode_32 3
		.amdhsa_float_denorm_mode_16_64 3
		.amdhsa_fp16_overflow 0
		.amdhsa_memory_ordered 1
		.amdhsa_forward_progress 1
		.amdhsa_inst_pref_size 0
		.amdhsa_round_robin_scheduling 0
		.amdhsa_exception_fp_ieee_invalid_op 0
		.amdhsa_exception_fp_denorm_src 0
		.amdhsa_exception_fp_ieee_div_zero 0
		.amdhsa_exception_fp_ieee_overflow 0
		.amdhsa_exception_fp_ieee_underflow 0
		.amdhsa_exception_fp_ieee_inexact 0
		.amdhsa_exception_int_div_zero 0
	.end_amdhsa_kernel
	.section	.text._ZN7rocprim17ROCPRIM_400000_NS6detail17trampoline_kernelINS0_14default_configENS1_27scan_by_key_config_selectorIiiEEZZNS1_16scan_by_key_implILNS1_25lookback_scan_determinismE0ELb0ES3_N6thrust23THRUST_200600_302600_NS6detail15normal_iteratorINS9_10device_ptrIiEEEESE_SE_iNS9_10multipliesIiEENS9_8equal_toIiEEiEE10hipError_tPvRmT2_T3_T4_T5_mT6_T7_P12ihipStream_tbENKUlT_T0_E_clISt17integral_constantIbLb1EESY_IbLb0EEEEDaSU_SV_EUlSU_E_NS1_11comp_targetILNS1_3genE2ELNS1_11target_archE906ELNS1_3gpuE6ELNS1_3repE0EEENS1_30default_config_static_selectorELNS0_4arch9wavefront6targetE0EEEvT1_,"axG",@progbits,_ZN7rocprim17ROCPRIM_400000_NS6detail17trampoline_kernelINS0_14default_configENS1_27scan_by_key_config_selectorIiiEEZZNS1_16scan_by_key_implILNS1_25lookback_scan_determinismE0ELb0ES3_N6thrust23THRUST_200600_302600_NS6detail15normal_iteratorINS9_10device_ptrIiEEEESE_SE_iNS9_10multipliesIiEENS9_8equal_toIiEEiEE10hipError_tPvRmT2_T3_T4_T5_mT6_T7_P12ihipStream_tbENKUlT_T0_E_clISt17integral_constantIbLb1EESY_IbLb0EEEEDaSU_SV_EUlSU_E_NS1_11comp_targetILNS1_3genE2ELNS1_11target_archE906ELNS1_3gpuE6ELNS1_3repE0EEENS1_30default_config_static_selectorELNS0_4arch9wavefront6targetE0EEEvT1_,comdat
.Lfunc_end187:
	.size	_ZN7rocprim17ROCPRIM_400000_NS6detail17trampoline_kernelINS0_14default_configENS1_27scan_by_key_config_selectorIiiEEZZNS1_16scan_by_key_implILNS1_25lookback_scan_determinismE0ELb0ES3_N6thrust23THRUST_200600_302600_NS6detail15normal_iteratorINS9_10device_ptrIiEEEESE_SE_iNS9_10multipliesIiEENS9_8equal_toIiEEiEE10hipError_tPvRmT2_T3_T4_T5_mT6_T7_P12ihipStream_tbENKUlT_T0_E_clISt17integral_constantIbLb1EESY_IbLb0EEEEDaSU_SV_EUlSU_E_NS1_11comp_targetILNS1_3genE2ELNS1_11target_archE906ELNS1_3gpuE6ELNS1_3repE0EEENS1_30default_config_static_selectorELNS0_4arch9wavefront6targetE0EEEvT1_, .Lfunc_end187-_ZN7rocprim17ROCPRIM_400000_NS6detail17trampoline_kernelINS0_14default_configENS1_27scan_by_key_config_selectorIiiEEZZNS1_16scan_by_key_implILNS1_25lookback_scan_determinismE0ELb0ES3_N6thrust23THRUST_200600_302600_NS6detail15normal_iteratorINS9_10device_ptrIiEEEESE_SE_iNS9_10multipliesIiEENS9_8equal_toIiEEiEE10hipError_tPvRmT2_T3_T4_T5_mT6_T7_P12ihipStream_tbENKUlT_T0_E_clISt17integral_constantIbLb1EESY_IbLb0EEEEDaSU_SV_EUlSU_E_NS1_11comp_targetILNS1_3genE2ELNS1_11target_archE906ELNS1_3gpuE6ELNS1_3repE0EEENS1_30default_config_static_selectorELNS0_4arch9wavefront6targetE0EEEvT1_
                                        ; -- End function
	.set _ZN7rocprim17ROCPRIM_400000_NS6detail17trampoline_kernelINS0_14default_configENS1_27scan_by_key_config_selectorIiiEEZZNS1_16scan_by_key_implILNS1_25lookback_scan_determinismE0ELb0ES3_N6thrust23THRUST_200600_302600_NS6detail15normal_iteratorINS9_10device_ptrIiEEEESE_SE_iNS9_10multipliesIiEENS9_8equal_toIiEEiEE10hipError_tPvRmT2_T3_T4_T5_mT6_T7_P12ihipStream_tbENKUlT_T0_E_clISt17integral_constantIbLb1EESY_IbLb0EEEEDaSU_SV_EUlSU_E_NS1_11comp_targetILNS1_3genE2ELNS1_11target_archE906ELNS1_3gpuE6ELNS1_3repE0EEENS1_30default_config_static_selectorELNS0_4arch9wavefront6targetE0EEEvT1_.num_vgpr, 0
	.set _ZN7rocprim17ROCPRIM_400000_NS6detail17trampoline_kernelINS0_14default_configENS1_27scan_by_key_config_selectorIiiEEZZNS1_16scan_by_key_implILNS1_25lookback_scan_determinismE0ELb0ES3_N6thrust23THRUST_200600_302600_NS6detail15normal_iteratorINS9_10device_ptrIiEEEESE_SE_iNS9_10multipliesIiEENS9_8equal_toIiEEiEE10hipError_tPvRmT2_T3_T4_T5_mT6_T7_P12ihipStream_tbENKUlT_T0_E_clISt17integral_constantIbLb1EESY_IbLb0EEEEDaSU_SV_EUlSU_E_NS1_11comp_targetILNS1_3genE2ELNS1_11target_archE906ELNS1_3gpuE6ELNS1_3repE0EEENS1_30default_config_static_selectorELNS0_4arch9wavefront6targetE0EEEvT1_.num_agpr, 0
	.set _ZN7rocprim17ROCPRIM_400000_NS6detail17trampoline_kernelINS0_14default_configENS1_27scan_by_key_config_selectorIiiEEZZNS1_16scan_by_key_implILNS1_25lookback_scan_determinismE0ELb0ES3_N6thrust23THRUST_200600_302600_NS6detail15normal_iteratorINS9_10device_ptrIiEEEESE_SE_iNS9_10multipliesIiEENS9_8equal_toIiEEiEE10hipError_tPvRmT2_T3_T4_T5_mT6_T7_P12ihipStream_tbENKUlT_T0_E_clISt17integral_constantIbLb1EESY_IbLb0EEEEDaSU_SV_EUlSU_E_NS1_11comp_targetILNS1_3genE2ELNS1_11target_archE906ELNS1_3gpuE6ELNS1_3repE0EEENS1_30default_config_static_selectorELNS0_4arch9wavefront6targetE0EEEvT1_.numbered_sgpr, 0
	.set _ZN7rocprim17ROCPRIM_400000_NS6detail17trampoline_kernelINS0_14default_configENS1_27scan_by_key_config_selectorIiiEEZZNS1_16scan_by_key_implILNS1_25lookback_scan_determinismE0ELb0ES3_N6thrust23THRUST_200600_302600_NS6detail15normal_iteratorINS9_10device_ptrIiEEEESE_SE_iNS9_10multipliesIiEENS9_8equal_toIiEEiEE10hipError_tPvRmT2_T3_T4_T5_mT6_T7_P12ihipStream_tbENKUlT_T0_E_clISt17integral_constantIbLb1EESY_IbLb0EEEEDaSU_SV_EUlSU_E_NS1_11comp_targetILNS1_3genE2ELNS1_11target_archE906ELNS1_3gpuE6ELNS1_3repE0EEENS1_30default_config_static_selectorELNS0_4arch9wavefront6targetE0EEEvT1_.num_named_barrier, 0
	.set _ZN7rocprim17ROCPRIM_400000_NS6detail17trampoline_kernelINS0_14default_configENS1_27scan_by_key_config_selectorIiiEEZZNS1_16scan_by_key_implILNS1_25lookback_scan_determinismE0ELb0ES3_N6thrust23THRUST_200600_302600_NS6detail15normal_iteratorINS9_10device_ptrIiEEEESE_SE_iNS9_10multipliesIiEENS9_8equal_toIiEEiEE10hipError_tPvRmT2_T3_T4_T5_mT6_T7_P12ihipStream_tbENKUlT_T0_E_clISt17integral_constantIbLb1EESY_IbLb0EEEEDaSU_SV_EUlSU_E_NS1_11comp_targetILNS1_3genE2ELNS1_11target_archE906ELNS1_3gpuE6ELNS1_3repE0EEENS1_30default_config_static_selectorELNS0_4arch9wavefront6targetE0EEEvT1_.private_seg_size, 0
	.set _ZN7rocprim17ROCPRIM_400000_NS6detail17trampoline_kernelINS0_14default_configENS1_27scan_by_key_config_selectorIiiEEZZNS1_16scan_by_key_implILNS1_25lookback_scan_determinismE0ELb0ES3_N6thrust23THRUST_200600_302600_NS6detail15normal_iteratorINS9_10device_ptrIiEEEESE_SE_iNS9_10multipliesIiEENS9_8equal_toIiEEiEE10hipError_tPvRmT2_T3_T4_T5_mT6_T7_P12ihipStream_tbENKUlT_T0_E_clISt17integral_constantIbLb1EESY_IbLb0EEEEDaSU_SV_EUlSU_E_NS1_11comp_targetILNS1_3genE2ELNS1_11target_archE906ELNS1_3gpuE6ELNS1_3repE0EEENS1_30default_config_static_selectorELNS0_4arch9wavefront6targetE0EEEvT1_.uses_vcc, 0
	.set _ZN7rocprim17ROCPRIM_400000_NS6detail17trampoline_kernelINS0_14default_configENS1_27scan_by_key_config_selectorIiiEEZZNS1_16scan_by_key_implILNS1_25lookback_scan_determinismE0ELb0ES3_N6thrust23THRUST_200600_302600_NS6detail15normal_iteratorINS9_10device_ptrIiEEEESE_SE_iNS9_10multipliesIiEENS9_8equal_toIiEEiEE10hipError_tPvRmT2_T3_T4_T5_mT6_T7_P12ihipStream_tbENKUlT_T0_E_clISt17integral_constantIbLb1EESY_IbLb0EEEEDaSU_SV_EUlSU_E_NS1_11comp_targetILNS1_3genE2ELNS1_11target_archE906ELNS1_3gpuE6ELNS1_3repE0EEENS1_30default_config_static_selectorELNS0_4arch9wavefront6targetE0EEEvT1_.uses_flat_scratch, 0
	.set _ZN7rocprim17ROCPRIM_400000_NS6detail17trampoline_kernelINS0_14default_configENS1_27scan_by_key_config_selectorIiiEEZZNS1_16scan_by_key_implILNS1_25lookback_scan_determinismE0ELb0ES3_N6thrust23THRUST_200600_302600_NS6detail15normal_iteratorINS9_10device_ptrIiEEEESE_SE_iNS9_10multipliesIiEENS9_8equal_toIiEEiEE10hipError_tPvRmT2_T3_T4_T5_mT6_T7_P12ihipStream_tbENKUlT_T0_E_clISt17integral_constantIbLb1EESY_IbLb0EEEEDaSU_SV_EUlSU_E_NS1_11comp_targetILNS1_3genE2ELNS1_11target_archE906ELNS1_3gpuE6ELNS1_3repE0EEENS1_30default_config_static_selectorELNS0_4arch9wavefront6targetE0EEEvT1_.has_dyn_sized_stack, 0
	.set _ZN7rocprim17ROCPRIM_400000_NS6detail17trampoline_kernelINS0_14default_configENS1_27scan_by_key_config_selectorIiiEEZZNS1_16scan_by_key_implILNS1_25lookback_scan_determinismE0ELb0ES3_N6thrust23THRUST_200600_302600_NS6detail15normal_iteratorINS9_10device_ptrIiEEEESE_SE_iNS9_10multipliesIiEENS9_8equal_toIiEEiEE10hipError_tPvRmT2_T3_T4_T5_mT6_T7_P12ihipStream_tbENKUlT_T0_E_clISt17integral_constantIbLb1EESY_IbLb0EEEEDaSU_SV_EUlSU_E_NS1_11comp_targetILNS1_3genE2ELNS1_11target_archE906ELNS1_3gpuE6ELNS1_3repE0EEENS1_30default_config_static_selectorELNS0_4arch9wavefront6targetE0EEEvT1_.has_recursion, 0
	.set _ZN7rocprim17ROCPRIM_400000_NS6detail17trampoline_kernelINS0_14default_configENS1_27scan_by_key_config_selectorIiiEEZZNS1_16scan_by_key_implILNS1_25lookback_scan_determinismE0ELb0ES3_N6thrust23THRUST_200600_302600_NS6detail15normal_iteratorINS9_10device_ptrIiEEEESE_SE_iNS9_10multipliesIiEENS9_8equal_toIiEEiEE10hipError_tPvRmT2_T3_T4_T5_mT6_T7_P12ihipStream_tbENKUlT_T0_E_clISt17integral_constantIbLb1EESY_IbLb0EEEEDaSU_SV_EUlSU_E_NS1_11comp_targetILNS1_3genE2ELNS1_11target_archE906ELNS1_3gpuE6ELNS1_3repE0EEENS1_30default_config_static_selectorELNS0_4arch9wavefront6targetE0EEEvT1_.has_indirect_call, 0
	.section	.AMDGPU.csdata,"",@progbits
; Kernel info:
; codeLenInByte = 0
; TotalNumSgprs: 0
; NumVgprs: 0
; ScratchSize: 0
; MemoryBound: 0
; FloatMode: 240
; IeeeMode: 1
; LDSByteSize: 0 bytes/workgroup (compile time only)
; SGPRBlocks: 0
; VGPRBlocks: 0
; NumSGPRsForWavesPerEU: 1
; NumVGPRsForWavesPerEU: 1
; NamedBarCnt: 0
; Occupancy: 16
; WaveLimiterHint : 0
; COMPUTE_PGM_RSRC2:SCRATCH_EN: 0
; COMPUTE_PGM_RSRC2:USER_SGPR: 2
; COMPUTE_PGM_RSRC2:TRAP_HANDLER: 0
; COMPUTE_PGM_RSRC2:TGID_X_EN: 1
; COMPUTE_PGM_RSRC2:TGID_Y_EN: 0
; COMPUTE_PGM_RSRC2:TGID_Z_EN: 0
; COMPUTE_PGM_RSRC2:TIDIG_COMP_CNT: 0
	.section	.text._ZN7rocprim17ROCPRIM_400000_NS6detail17trampoline_kernelINS0_14default_configENS1_27scan_by_key_config_selectorIiiEEZZNS1_16scan_by_key_implILNS1_25lookback_scan_determinismE0ELb0ES3_N6thrust23THRUST_200600_302600_NS6detail15normal_iteratorINS9_10device_ptrIiEEEESE_SE_iNS9_10multipliesIiEENS9_8equal_toIiEEiEE10hipError_tPvRmT2_T3_T4_T5_mT6_T7_P12ihipStream_tbENKUlT_T0_E_clISt17integral_constantIbLb1EESY_IbLb0EEEEDaSU_SV_EUlSU_E_NS1_11comp_targetILNS1_3genE10ELNS1_11target_archE1200ELNS1_3gpuE4ELNS1_3repE0EEENS1_30default_config_static_selectorELNS0_4arch9wavefront6targetE0EEEvT1_,"axG",@progbits,_ZN7rocprim17ROCPRIM_400000_NS6detail17trampoline_kernelINS0_14default_configENS1_27scan_by_key_config_selectorIiiEEZZNS1_16scan_by_key_implILNS1_25lookback_scan_determinismE0ELb0ES3_N6thrust23THRUST_200600_302600_NS6detail15normal_iteratorINS9_10device_ptrIiEEEESE_SE_iNS9_10multipliesIiEENS9_8equal_toIiEEiEE10hipError_tPvRmT2_T3_T4_T5_mT6_T7_P12ihipStream_tbENKUlT_T0_E_clISt17integral_constantIbLb1EESY_IbLb0EEEEDaSU_SV_EUlSU_E_NS1_11comp_targetILNS1_3genE10ELNS1_11target_archE1200ELNS1_3gpuE4ELNS1_3repE0EEENS1_30default_config_static_selectorELNS0_4arch9wavefront6targetE0EEEvT1_,comdat
	.protected	_ZN7rocprim17ROCPRIM_400000_NS6detail17trampoline_kernelINS0_14default_configENS1_27scan_by_key_config_selectorIiiEEZZNS1_16scan_by_key_implILNS1_25lookback_scan_determinismE0ELb0ES3_N6thrust23THRUST_200600_302600_NS6detail15normal_iteratorINS9_10device_ptrIiEEEESE_SE_iNS9_10multipliesIiEENS9_8equal_toIiEEiEE10hipError_tPvRmT2_T3_T4_T5_mT6_T7_P12ihipStream_tbENKUlT_T0_E_clISt17integral_constantIbLb1EESY_IbLb0EEEEDaSU_SV_EUlSU_E_NS1_11comp_targetILNS1_3genE10ELNS1_11target_archE1200ELNS1_3gpuE4ELNS1_3repE0EEENS1_30default_config_static_selectorELNS0_4arch9wavefront6targetE0EEEvT1_ ; -- Begin function _ZN7rocprim17ROCPRIM_400000_NS6detail17trampoline_kernelINS0_14default_configENS1_27scan_by_key_config_selectorIiiEEZZNS1_16scan_by_key_implILNS1_25lookback_scan_determinismE0ELb0ES3_N6thrust23THRUST_200600_302600_NS6detail15normal_iteratorINS9_10device_ptrIiEEEESE_SE_iNS9_10multipliesIiEENS9_8equal_toIiEEiEE10hipError_tPvRmT2_T3_T4_T5_mT6_T7_P12ihipStream_tbENKUlT_T0_E_clISt17integral_constantIbLb1EESY_IbLb0EEEEDaSU_SV_EUlSU_E_NS1_11comp_targetILNS1_3genE10ELNS1_11target_archE1200ELNS1_3gpuE4ELNS1_3repE0EEENS1_30default_config_static_selectorELNS0_4arch9wavefront6targetE0EEEvT1_
	.globl	_ZN7rocprim17ROCPRIM_400000_NS6detail17trampoline_kernelINS0_14default_configENS1_27scan_by_key_config_selectorIiiEEZZNS1_16scan_by_key_implILNS1_25lookback_scan_determinismE0ELb0ES3_N6thrust23THRUST_200600_302600_NS6detail15normal_iteratorINS9_10device_ptrIiEEEESE_SE_iNS9_10multipliesIiEENS9_8equal_toIiEEiEE10hipError_tPvRmT2_T3_T4_T5_mT6_T7_P12ihipStream_tbENKUlT_T0_E_clISt17integral_constantIbLb1EESY_IbLb0EEEEDaSU_SV_EUlSU_E_NS1_11comp_targetILNS1_3genE10ELNS1_11target_archE1200ELNS1_3gpuE4ELNS1_3repE0EEENS1_30default_config_static_selectorELNS0_4arch9wavefront6targetE0EEEvT1_
	.p2align	8
	.type	_ZN7rocprim17ROCPRIM_400000_NS6detail17trampoline_kernelINS0_14default_configENS1_27scan_by_key_config_selectorIiiEEZZNS1_16scan_by_key_implILNS1_25lookback_scan_determinismE0ELb0ES3_N6thrust23THRUST_200600_302600_NS6detail15normal_iteratorINS9_10device_ptrIiEEEESE_SE_iNS9_10multipliesIiEENS9_8equal_toIiEEiEE10hipError_tPvRmT2_T3_T4_T5_mT6_T7_P12ihipStream_tbENKUlT_T0_E_clISt17integral_constantIbLb1EESY_IbLb0EEEEDaSU_SV_EUlSU_E_NS1_11comp_targetILNS1_3genE10ELNS1_11target_archE1200ELNS1_3gpuE4ELNS1_3repE0EEENS1_30default_config_static_selectorELNS0_4arch9wavefront6targetE0EEEvT1_,@function
_ZN7rocprim17ROCPRIM_400000_NS6detail17trampoline_kernelINS0_14default_configENS1_27scan_by_key_config_selectorIiiEEZZNS1_16scan_by_key_implILNS1_25lookback_scan_determinismE0ELb0ES3_N6thrust23THRUST_200600_302600_NS6detail15normal_iteratorINS9_10device_ptrIiEEEESE_SE_iNS9_10multipliesIiEENS9_8equal_toIiEEiEE10hipError_tPvRmT2_T3_T4_T5_mT6_T7_P12ihipStream_tbENKUlT_T0_E_clISt17integral_constantIbLb1EESY_IbLb0EEEEDaSU_SV_EUlSU_E_NS1_11comp_targetILNS1_3genE10ELNS1_11target_archE1200ELNS1_3gpuE4ELNS1_3repE0EEENS1_30default_config_static_selectorELNS0_4arch9wavefront6targetE0EEEvT1_: ; @_ZN7rocprim17ROCPRIM_400000_NS6detail17trampoline_kernelINS0_14default_configENS1_27scan_by_key_config_selectorIiiEEZZNS1_16scan_by_key_implILNS1_25lookback_scan_determinismE0ELb0ES3_N6thrust23THRUST_200600_302600_NS6detail15normal_iteratorINS9_10device_ptrIiEEEESE_SE_iNS9_10multipliesIiEENS9_8equal_toIiEEiEE10hipError_tPvRmT2_T3_T4_T5_mT6_T7_P12ihipStream_tbENKUlT_T0_E_clISt17integral_constantIbLb1EESY_IbLb0EEEEDaSU_SV_EUlSU_E_NS1_11comp_targetILNS1_3genE10ELNS1_11target_archE1200ELNS1_3gpuE4ELNS1_3repE0EEENS1_30default_config_static_selectorELNS0_4arch9wavefront6targetE0EEEvT1_
; %bb.0:
	.section	.rodata,"a",@progbits
	.p2align	6, 0x0
	.amdhsa_kernel _ZN7rocprim17ROCPRIM_400000_NS6detail17trampoline_kernelINS0_14default_configENS1_27scan_by_key_config_selectorIiiEEZZNS1_16scan_by_key_implILNS1_25lookback_scan_determinismE0ELb0ES3_N6thrust23THRUST_200600_302600_NS6detail15normal_iteratorINS9_10device_ptrIiEEEESE_SE_iNS9_10multipliesIiEENS9_8equal_toIiEEiEE10hipError_tPvRmT2_T3_T4_T5_mT6_T7_P12ihipStream_tbENKUlT_T0_E_clISt17integral_constantIbLb1EESY_IbLb0EEEEDaSU_SV_EUlSU_E_NS1_11comp_targetILNS1_3genE10ELNS1_11target_archE1200ELNS1_3gpuE4ELNS1_3repE0EEENS1_30default_config_static_selectorELNS0_4arch9wavefront6targetE0EEEvT1_
		.amdhsa_group_segment_fixed_size 0
		.amdhsa_private_segment_fixed_size 0
		.amdhsa_kernarg_size 112
		.amdhsa_user_sgpr_count 2
		.amdhsa_user_sgpr_dispatch_ptr 0
		.amdhsa_user_sgpr_queue_ptr 0
		.amdhsa_user_sgpr_kernarg_segment_ptr 1
		.amdhsa_user_sgpr_dispatch_id 0
		.amdhsa_user_sgpr_kernarg_preload_length 0
		.amdhsa_user_sgpr_kernarg_preload_offset 0
		.amdhsa_user_sgpr_private_segment_size 0
		.amdhsa_wavefront_size32 1
		.amdhsa_uses_dynamic_stack 0
		.amdhsa_enable_private_segment 0
		.amdhsa_system_sgpr_workgroup_id_x 1
		.amdhsa_system_sgpr_workgroup_id_y 0
		.amdhsa_system_sgpr_workgroup_id_z 0
		.amdhsa_system_sgpr_workgroup_info 0
		.amdhsa_system_vgpr_workitem_id 0
		.amdhsa_next_free_vgpr 1
		.amdhsa_next_free_sgpr 1
		.amdhsa_named_barrier_count 0
		.amdhsa_reserve_vcc 0
		.amdhsa_float_round_mode_32 0
		.amdhsa_float_round_mode_16_64 0
		.amdhsa_float_denorm_mode_32 3
		.amdhsa_float_denorm_mode_16_64 3
		.amdhsa_fp16_overflow 0
		.amdhsa_memory_ordered 1
		.amdhsa_forward_progress 1
		.amdhsa_inst_pref_size 0
		.amdhsa_round_robin_scheduling 0
		.amdhsa_exception_fp_ieee_invalid_op 0
		.amdhsa_exception_fp_denorm_src 0
		.amdhsa_exception_fp_ieee_div_zero 0
		.amdhsa_exception_fp_ieee_overflow 0
		.amdhsa_exception_fp_ieee_underflow 0
		.amdhsa_exception_fp_ieee_inexact 0
		.amdhsa_exception_int_div_zero 0
	.end_amdhsa_kernel
	.section	.text._ZN7rocprim17ROCPRIM_400000_NS6detail17trampoline_kernelINS0_14default_configENS1_27scan_by_key_config_selectorIiiEEZZNS1_16scan_by_key_implILNS1_25lookback_scan_determinismE0ELb0ES3_N6thrust23THRUST_200600_302600_NS6detail15normal_iteratorINS9_10device_ptrIiEEEESE_SE_iNS9_10multipliesIiEENS9_8equal_toIiEEiEE10hipError_tPvRmT2_T3_T4_T5_mT6_T7_P12ihipStream_tbENKUlT_T0_E_clISt17integral_constantIbLb1EESY_IbLb0EEEEDaSU_SV_EUlSU_E_NS1_11comp_targetILNS1_3genE10ELNS1_11target_archE1200ELNS1_3gpuE4ELNS1_3repE0EEENS1_30default_config_static_selectorELNS0_4arch9wavefront6targetE0EEEvT1_,"axG",@progbits,_ZN7rocprim17ROCPRIM_400000_NS6detail17trampoline_kernelINS0_14default_configENS1_27scan_by_key_config_selectorIiiEEZZNS1_16scan_by_key_implILNS1_25lookback_scan_determinismE0ELb0ES3_N6thrust23THRUST_200600_302600_NS6detail15normal_iteratorINS9_10device_ptrIiEEEESE_SE_iNS9_10multipliesIiEENS9_8equal_toIiEEiEE10hipError_tPvRmT2_T3_T4_T5_mT6_T7_P12ihipStream_tbENKUlT_T0_E_clISt17integral_constantIbLb1EESY_IbLb0EEEEDaSU_SV_EUlSU_E_NS1_11comp_targetILNS1_3genE10ELNS1_11target_archE1200ELNS1_3gpuE4ELNS1_3repE0EEENS1_30default_config_static_selectorELNS0_4arch9wavefront6targetE0EEEvT1_,comdat
.Lfunc_end188:
	.size	_ZN7rocprim17ROCPRIM_400000_NS6detail17trampoline_kernelINS0_14default_configENS1_27scan_by_key_config_selectorIiiEEZZNS1_16scan_by_key_implILNS1_25lookback_scan_determinismE0ELb0ES3_N6thrust23THRUST_200600_302600_NS6detail15normal_iteratorINS9_10device_ptrIiEEEESE_SE_iNS9_10multipliesIiEENS9_8equal_toIiEEiEE10hipError_tPvRmT2_T3_T4_T5_mT6_T7_P12ihipStream_tbENKUlT_T0_E_clISt17integral_constantIbLb1EESY_IbLb0EEEEDaSU_SV_EUlSU_E_NS1_11comp_targetILNS1_3genE10ELNS1_11target_archE1200ELNS1_3gpuE4ELNS1_3repE0EEENS1_30default_config_static_selectorELNS0_4arch9wavefront6targetE0EEEvT1_, .Lfunc_end188-_ZN7rocprim17ROCPRIM_400000_NS6detail17trampoline_kernelINS0_14default_configENS1_27scan_by_key_config_selectorIiiEEZZNS1_16scan_by_key_implILNS1_25lookback_scan_determinismE0ELb0ES3_N6thrust23THRUST_200600_302600_NS6detail15normal_iteratorINS9_10device_ptrIiEEEESE_SE_iNS9_10multipliesIiEENS9_8equal_toIiEEiEE10hipError_tPvRmT2_T3_T4_T5_mT6_T7_P12ihipStream_tbENKUlT_T0_E_clISt17integral_constantIbLb1EESY_IbLb0EEEEDaSU_SV_EUlSU_E_NS1_11comp_targetILNS1_3genE10ELNS1_11target_archE1200ELNS1_3gpuE4ELNS1_3repE0EEENS1_30default_config_static_selectorELNS0_4arch9wavefront6targetE0EEEvT1_
                                        ; -- End function
	.set _ZN7rocprim17ROCPRIM_400000_NS6detail17trampoline_kernelINS0_14default_configENS1_27scan_by_key_config_selectorIiiEEZZNS1_16scan_by_key_implILNS1_25lookback_scan_determinismE0ELb0ES3_N6thrust23THRUST_200600_302600_NS6detail15normal_iteratorINS9_10device_ptrIiEEEESE_SE_iNS9_10multipliesIiEENS9_8equal_toIiEEiEE10hipError_tPvRmT2_T3_T4_T5_mT6_T7_P12ihipStream_tbENKUlT_T0_E_clISt17integral_constantIbLb1EESY_IbLb0EEEEDaSU_SV_EUlSU_E_NS1_11comp_targetILNS1_3genE10ELNS1_11target_archE1200ELNS1_3gpuE4ELNS1_3repE0EEENS1_30default_config_static_selectorELNS0_4arch9wavefront6targetE0EEEvT1_.num_vgpr, 0
	.set _ZN7rocprim17ROCPRIM_400000_NS6detail17trampoline_kernelINS0_14default_configENS1_27scan_by_key_config_selectorIiiEEZZNS1_16scan_by_key_implILNS1_25lookback_scan_determinismE0ELb0ES3_N6thrust23THRUST_200600_302600_NS6detail15normal_iteratorINS9_10device_ptrIiEEEESE_SE_iNS9_10multipliesIiEENS9_8equal_toIiEEiEE10hipError_tPvRmT2_T3_T4_T5_mT6_T7_P12ihipStream_tbENKUlT_T0_E_clISt17integral_constantIbLb1EESY_IbLb0EEEEDaSU_SV_EUlSU_E_NS1_11comp_targetILNS1_3genE10ELNS1_11target_archE1200ELNS1_3gpuE4ELNS1_3repE0EEENS1_30default_config_static_selectorELNS0_4arch9wavefront6targetE0EEEvT1_.num_agpr, 0
	.set _ZN7rocprim17ROCPRIM_400000_NS6detail17trampoline_kernelINS0_14default_configENS1_27scan_by_key_config_selectorIiiEEZZNS1_16scan_by_key_implILNS1_25lookback_scan_determinismE0ELb0ES3_N6thrust23THRUST_200600_302600_NS6detail15normal_iteratorINS9_10device_ptrIiEEEESE_SE_iNS9_10multipliesIiEENS9_8equal_toIiEEiEE10hipError_tPvRmT2_T3_T4_T5_mT6_T7_P12ihipStream_tbENKUlT_T0_E_clISt17integral_constantIbLb1EESY_IbLb0EEEEDaSU_SV_EUlSU_E_NS1_11comp_targetILNS1_3genE10ELNS1_11target_archE1200ELNS1_3gpuE4ELNS1_3repE0EEENS1_30default_config_static_selectorELNS0_4arch9wavefront6targetE0EEEvT1_.numbered_sgpr, 0
	.set _ZN7rocprim17ROCPRIM_400000_NS6detail17trampoline_kernelINS0_14default_configENS1_27scan_by_key_config_selectorIiiEEZZNS1_16scan_by_key_implILNS1_25lookback_scan_determinismE0ELb0ES3_N6thrust23THRUST_200600_302600_NS6detail15normal_iteratorINS9_10device_ptrIiEEEESE_SE_iNS9_10multipliesIiEENS9_8equal_toIiEEiEE10hipError_tPvRmT2_T3_T4_T5_mT6_T7_P12ihipStream_tbENKUlT_T0_E_clISt17integral_constantIbLb1EESY_IbLb0EEEEDaSU_SV_EUlSU_E_NS1_11comp_targetILNS1_3genE10ELNS1_11target_archE1200ELNS1_3gpuE4ELNS1_3repE0EEENS1_30default_config_static_selectorELNS0_4arch9wavefront6targetE0EEEvT1_.num_named_barrier, 0
	.set _ZN7rocprim17ROCPRIM_400000_NS6detail17trampoline_kernelINS0_14default_configENS1_27scan_by_key_config_selectorIiiEEZZNS1_16scan_by_key_implILNS1_25lookback_scan_determinismE0ELb0ES3_N6thrust23THRUST_200600_302600_NS6detail15normal_iteratorINS9_10device_ptrIiEEEESE_SE_iNS9_10multipliesIiEENS9_8equal_toIiEEiEE10hipError_tPvRmT2_T3_T4_T5_mT6_T7_P12ihipStream_tbENKUlT_T0_E_clISt17integral_constantIbLb1EESY_IbLb0EEEEDaSU_SV_EUlSU_E_NS1_11comp_targetILNS1_3genE10ELNS1_11target_archE1200ELNS1_3gpuE4ELNS1_3repE0EEENS1_30default_config_static_selectorELNS0_4arch9wavefront6targetE0EEEvT1_.private_seg_size, 0
	.set _ZN7rocprim17ROCPRIM_400000_NS6detail17trampoline_kernelINS0_14default_configENS1_27scan_by_key_config_selectorIiiEEZZNS1_16scan_by_key_implILNS1_25lookback_scan_determinismE0ELb0ES3_N6thrust23THRUST_200600_302600_NS6detail15normal_iteratorINS9_10device_ptrIiEEEESE_SE_iNS9_10multipliesIiEENS9_8equal_toIiEEiEE10hipError_tPvRmT2_T3_T4_T5_mT6_T7_P12ihipStream_tbENKUlT_T0_E_clISt17integral_constantIbLb1EESY_IbLb0EEEEDaSU_SV_EUlSU_E_NS1_11comp_targetILNS1_3genE10ELNS1_11target_archE1200ELNS1_3gpuE4ELNS1_3repE0EEENS1_30default_config_static_selectorELNS0_4arch9wavefront6targetE0EEEvT1_.uses_vcc, 0
	.set _ZN7rocprim17ROCPRIM_400000_NS6detail17trampoline_kernelINS0_14default_configENS1_27scan_by_key_config_selectorIiiEEZZNS1_16scan_by_key_implILNS1_25lookback_scan_determinismE0ELb0ES3_N6thrust23THRUST_200600_302600_NS6detail15normal_iteratorINS9_10device_ptrIiEEEESE_SE_iNS9_10multipliesIiEENS9_8equal_toIiEEiEE10hipError_tPvRmT2_T3_T4_T5_mT6_T7_P12ihipStream_tbENKUlT_T0_E_clISt17integral_constantIbLb1EESY_IbLb0EEEEDaSU_SV_EUlSU_E_NS1_11comp_targetILNS1_3genE10ELNS1_11target_archE1200ELNS1_3gpuE4ELNS1_3repE0EEENS1_30default_config_static_selectorELNS0_4arch9wavefront6targetE0EEEvT1_.uses_flat_scratch, 0
	.set _ZN7rocprim17ROCPRIM_400000_NS6detail17trampoline_kernelINS0_14default_configENS1_27scan_by_key_config_selectorIiiEEZZNS1_16scan_by_key_implILNS1_25lookback_scan_determinismE0ELb0ES3_N6thrust23THRUST_200600_302600_NS6detail15normal_iteratorINS9_10device_ptrIiEEEESE_SE_iNS9_10multipliesIiEENS9_8equal_toIiEEiEE10hipError_tPvRmT2_T3_T4_T5_mT6_T7_P12ihipStream_tbENKUlT_T0_E_clISt17integral_constantIbLb1EESY_IbLb0EEEEDaSU_SV_EUlSU_E_NS1_11comp_targetILNS1_3genE10ELNS1_11target_archE1200ELNS1_3gpuE4ELNS1_3repE0EEENS1_30default_config_static_selectorELNS0_4arch9wavefront6targetE0EEEvT1_.has_dyn_sized_stack, 0
	.set _ZN7rocprim17ROCPRIM_400000_NS6detail17trampoline_kernelINS0_14default_configENS1_27scan_by_key_config_selectorIiiEEZZNS1_16scan_by_key_implILNS1_25lookback_scan_determinismE0ELb0ES3_N6thrust23THRUST_200600_302600_NS6detail15normal_iteratorINS9_10device_ptrIiEEEESE_SE_iNS9_10multipliesIiEENS9_8equal_toIiEEiEE10hipError_tPvRmT2_T3_T4_T5_mT6_T7_P12ihipStream_tbENKUlT_T0_E_clISt17integral_constantIbLb1EESY_IbLb0EEEEDaSU_SV_EUlSU_E_NS1_11comp_targetILNS1_3genE10ELNS1_11target_archE1200ELNS1_3gpuE4ELNS1_3repE0EEENS1_30default_config_static_selectorELNS0_4arch9wavefront6targetE0EEEvT1_.has_recursion, 0
	.set _ZN7rocprim17ROCPRIM_400000_NS6detail17trampoline_kernelINS0_14default_configENS1_27scan_by_key_config_selectorIiiEEZZNS1_16scan_by_key_implILNS1_25lookback_scan_determinismE0ELb0ES3_N6thrust23THRUST_200600_302600_NS6detail15normal_iteratorINS9_10device_ptrIiEEEESE_SE_iNS9_10multipliesIiEENS9_8equal_toIiEEiEE10hipError_tPvRmT2_T3_T4_T5_mT6_T7_P12ihipStream_tbENKUlT_T0_E_clISt17integral_constantIbLb1EESY_IbLb0EEEEDaSU_SV_EUlSU_E_NS1_11comp_targetILNS1_3genE10ELNS1_11target_archE1200ELNS1_3gpuE4ELNS1_3repE0EEENS1_30default_config_static_selectorELNS0_4arch9wavefront6targetE0EEEvT1_.has_indirect_call, 0
	.section	.AMDGPU.csdata,"",@progbits
; Kernel info:
; codeLenInByte = 0
; TotalNumSgprs: 0
; NumVgprs: 0
; ScratchSize: 0
; MemoryBound: 0
; FloatMode: 240
; IeeeMode: 1
; LDSByteSize: 0 bytes/workgroup (compile time only)
; SGPRBlocks: 0
; VGPRBlocks: 0
; NumSGPRsForWavesPerEU: 1
; NumVGPRsForWavesPerEU: 1
; NamedBarCnt: 0
; Occupancy: 16
; WaveLimiterHint : 0
; COMPUTE_PGM_RSRC2:SCRATCH_EN: 0
; COMPUTE_PGM_RSRC2:USER_SGPR: 2
; COMPUTE_PGM_RSRC2:TRAP_HANDLER: 0
; COMPUTE_PGM_RSRC2:TGID_X_EN: 1
; COMPUTE_PGM_RSRC2:TGID_Y_EN: 0
; COMPUTE_PGM_RSRC2:TGID_Z_EN: 0
; COMPUTE_PGM_RSRC2:TIDIG_COMP_CNT: 0
	.section	.text._ZN7rocprim17ROCPRIM_400000_NS6detail17trampoline_kernelINS0_14default_configENS1_27scan_by_key_config_selectorIiiEEZZNS1_16scan_by_key_implILNS1_25lookback_scan_determinismE0ELb0ES3_N6thrust23THRUST_200600_302600_NS6detail15normal_iteratorINS9_10device_ptrIiEEEESE_SE_iNS9_10multipliesIiEENS9_8equal_toIiEEiEE10hipError_tPvRmT2_T3_T4_T5_mT6_T7_P12ihipStream_tbENKUlT_T0_E_clISt17integral_constantIbLb1EESY_IbLb0EEEEDaSU_SV_EUlSU_E_NS1_11comp_targetILNS1_3genE9ELNS1_11target_archE1100ELNS1_3gpuE3ELNS1_3repE0EEENS1_30default_config_static_selectorELNS0_4arch9wavefront6targetE0EEEvT1_,"axG",@progbits,_ZN7rocprim17ROCPRIM_400000_NS6detail17trampoline_kernelINS0_14default_configENS1_27scan_by_key_config_selectorIiiEEZZNS1_16scan_by_key_implILNS1_25lookback_scan_determinismE0ELb0ES3_N6thrust23THRUST_200600_302600_NS6detail15normal_iteratorINS9_10device_ptrIiEEEESE_SE_iNS9_10multipliesIiEENS9_8equal_toIiEEiEE10hipError_tPvRmT2_T3_T4_T5_mT6_T7_P12ihipStream_tbENKUlT_T0_E_clISt17integral_constantIbLb1EESY_IbLb0EEEEDaSU_SV_EUlSU_E_NS1_11comp_targetILNS1_3genE9ELNS1_11target_archE1100ELNS1_3gpuE3ELNS1_3repE0EEENS1_30default_config_static_selectorELNS0_4arch9wavefront6targetE0EEEvT1_,comdat
	.protected	_ZN7rocprim17ROCPRIM_400000_NS6detail17trampoline_kernelINS0_14default_configENS1_27scan_by_key_config_selectorIiiEEZZNS1_16scan_by_key_implILNS1_25lookback_scan_determinismE0ELb0ES3_N6thrust23THRUST_200600_302600_NS6detail15normal_iteratorINS9_10device_ptrIiEEEESE_SE_iNS9_10multipliesIiEENS9_8equal_toIiEEiEE10hipError_tPvRmT2_T3_T4_T5_mT6_T7_P12ihipStream_tbENKUlT_T0_E_clISt17integral_constantIbLb1EESY_IbLb0EEEEDaSU_SV_EUlSU_E_NS1_11comp_targetILNS1_3genE9ELNS1_11target_archE1100ELNS1_3gpuE3ELNS1_3repE0EEENS1_30default_config_static_selectorELNS0_4arch9wavefront6targetE0EEEvT1_ ; -- Begin function _ZN7rocprim17ROCPRIM_400000_NS6detail17trampoline_kernelINS0_14default_configENS1_27scan_by_key_config_selectorIiiEEZZNS1_16scan_by_key_implILNS1_25lookback_scan_determinismE0ELb0ES3_N6thrust23THRUST_200600_302600_NS6detail15normal_iteratorINS9_10device_ptrIiEEEESE_SE_iNS9_10multipliesIiEENS9_8equal_toIiEEiEE10hipError_tPvRmT2_T3_T4_T5_mT6_T7_P12ihipStream_tbENKUlT_T0_E_clISt17integral_constantIbLb1EESY_IbLb0EEEEDaSU_SV_EUlSU_E_NS1_11comp_targetILNS1_3genE9ELNS1_11target_archE1100ELNS1_3gpuE3ELNS1_3repE0EEENS1_30default_config_static_selectorELNS0_4arch9wavefront6targetE0EEEvT1_
	.globl	_ZN7rocprim17ROCPRIM_400000_NS6detail17trampoline_kernelINS0_14default_configENS1_27scan_by_key_config_selectorIiiEEZZNS1_16scan_by_key_implILNS1_25lookback_scan_determinismE0ELb0ES3_N6thrust23THRUST_200600_302600_NS6detail15normal_iteratorINS9_10device_ptrIiEEEESE_SE_iNS9_10multipliesIiEENS9_8equal_toIiEEiEE10hipError_tPvRmT2_T3_T4_T5_mT6_T7_P12ihipStream_tbENKUlT_T0_E_clISt17integral_constantIbLb1EESY_IbLb0EEEEDaSU_SV_EUlSU_E_NS1_11comp_targetILNS1_3genE9ELNS1_11target_archE1100ELNS1_3gpuE3ELNS1_3repE0EEENS1_30default_config_static_selectorELNS0_4arch9wavefront6targetE0EEEvT1_
	.p2align	8
	.type	_ZN7rocprim17ROCPRIM_400000_NS6detail17trampoline_kernelINS0_14default_configENS1_27scan_by_key_config_selectorIiiEEZZNS1_16scan_by_key_implILNS1_25lookback_scan_determinismE0ELb0ES3_N6thrust23THRUST_200600_302600_NS6detail15normal_iteratorINS9_10device_ptrIiEEEESE_SE_iNS9_10multipliesIiEENS9_8equal_toIiEEiEE10hipError_tPvRmT2_T3_T4_T5_mT6_T7_P12ihipStream_tbENKUlT_T0_E_clISt17integral_constantIbLb1EESY_IbLb0EEEEDaSU_SV_EUlSU_E_NS1_11comp_targetILNS1_3genE9ELNS1_11target_archE1100ELNS1_3gpuE3ELNS1_3repE0EEENS1_30default_config_static_selectorELNS0_4arch9wavefront6targetE0EEEvT1_,@function
_ZN7rocprim17ROCPRIM_400000_NS6detail17trampoline_kernelINS0_14default_configENS1_27scan_by_key_config_selectorIiiEEZZNS1_16scan_by_key_implILNS1_25lookback_scan_determinismE0ELb0ES3_N6thrust23THRUST_200600_302600_NS6detail15normal_iteratorINS9_10device_ptrIiEEEESE_SE_iNS9_10multipliesIiEENS9_8equal_toIiEEiEE10hipError_tPvRmT2_T3_T4_T5_mT6_T7_P12ihipStream_tbENKUlT_T0_E_clISt17integral_constantIbLb1EESY_IbLb0EEEEDaSU_SV_EUlSU_E_NS1_11comp_targetILNS1_3genE9ELNS1_11target_archE1100ELNS1_3gpuE3ELNS1_3repE0EEENS1_30default_config_static_selectorELNS0_4arch9wavefront6targetE0EEEvT1_: ; @_ZN7rocprim17ROCPRIM_400000_NS6detail17trampoline_kernelINS0_14default_configENS1_27scan_by_key_config_selectorIiiEEZZNS1_16scan_by_key_implILNS1_25lookback_scan_determinismE0ELb0ES3_N6thrust23THRUST_200600_302600_NS6detail15normal_iteratorINS9_10device_ptrIiEEEESE_SE_iNS9_10multipliesIiEENS9_8equal_toIiEEiEE10hipError_tPvRmT2_T3_T4_T5_mT6_T7_P12ihipStream_tbENKUlT_T0_E_clISt17integral_constantIbLb1EESY_IbLb0EEEEDaSU_SV_EUlSU_E_NS1_11comp_targetILNS1_3genE9ELNS1_11target_archE1100ELNS1_3gpuE3ELNS1_3repE0EEENS1_30default_config_static_selectorELNS0_4arch9wavefront6targetE0EEEvT1_
; %bb.0:
	.section	.rodata,"a",@progbits
	.p2align	6, 0x0
	.amdhsa_kernel _ZN7rocprim17ROCPRIM_400000_NS6detail17trampoline_kernelINS0_14default_configENS1_27scan_by_key_config_selectorIiiEEZZNS1_16scan_by_key_implILNS1_25lookback_scan_determinismE0ELb0ES3_N6thrust23THRUST_200600_302600_NS6detail15normal_iteratorINS9_10device_ptrIiEEEESE_SE_iNS9_10multipliesIiEENS9_8equal_toIiEEiEE10hipError_tPvRmT2_T3_T4_T5_mT6_T7_P12ihipStream_tbENKUlT_T0_E_clISt17integral_constantIbLb1EESY_IbLb0EEEEDaSU_SV_EUlSU_E_NS1_11comp_targetILNS1_3genE9ELNS1_11target_archE1100ELNS1_3gpuE3ELNS1_3repE0EEENS1_30default_config_static_selectorELNS0_4arch9wavefront6targetE0EEEvT1_
		.amdhsa_group_segment_fixed_size 0
		.amdhsa_private_segment_fixed_size 0
		.amdhsa_kernarg_size 112
		.amdhsa_user_sgpr_count 2
		.amdhsa_user_sgpr_dispatch_ptr 0
		.amdhsa_user_sgpr_queue_ptr 0
		.amdhsa_user_sgpr_kernarg_segment_ptr 1
		.amdhsa_user_sgpr_dispatch_id 0
		.amdhsa_user_sgpr_kernarg_preload_length 0
		.amdhsa_user_sgpr_kernarg_preload_offset 0
		.amdhsa_user_sgpr_private_segment_size 0
		.amdhsa_wavefront_size32 1
		.amdhsa_uses_dynamic_stack 0
		.amdhsa_enable_private_segment 0
		.amdhsa_system_sgpr_workgroup_id_x 1
		.amdhsa_system_sgpr_workgroup_id_y 0
		.amdhsa_system_sgpr_workgroup_id_z 0
		.amdhsa_system_sgpr_workgroup_info 0
		.amdhsa_system_vgpr_workitem_id 0
		.amdhsa_next_free_vgpr 1
		.amdhsa_next_free_sgpr 1
		.amdhsa_named_barrier_count 0
		.amdhsa_reserve_vcc 0
		.amdhsa_float_round_mode_32 0
		.amdhsa_float_round_mode_16_64 0
		.amdhsa_float_denorm_mode_32 3
		.amdhsa_float_denorm_mode_16_64 3
		.amdhsa_fp16_overflow 0
		.amdhsa_memory_ordered 1
		.amdhsa_forward_progress 1
		.amdhsa_inst_pref_size 0
		.amdhsa_round_robin_scheduling 0
		.amdhsa_exception_fp_ieee_invalid_op 0
		.amdhsa_exception_fp_denorm_src 0
		.amdhsa_exception_fp_ieee_div_zero 0
		.amdhsa_exception_fp_ieee_overflow 0
		.amdhsa_exception_fp_ieee_underflow 0
		.amdhsa_exception_fp_ieee_inexact 0
		.amdhsa_exception_int_div_zero 0
	.end_amdhsa_kernel
	.section	.text._ZN7rocprim17ROCPRIM_400000_NS6detail17trampoline_kernelINS0_14default_configENS1_27scan_by_key_config_selectorIiiEEZZNS1_16scan_by_key_implILNS1_25lookback_scan_determinismE0ELb0ES3_N6thrust23THRUST_200600_302600_NS6detail15normal_iteratorINS9_10device_ptrIiEEEESE_SE_iNS9_10multipliesIiEENS9_8equal_toIiEEiEE10hipError_tPvRmT2_T3_T4_T5_mT6_T7_P12ihipStream_tbENKUlT_T0_E_clISt17integral_constantIbLb1EESY_IbLb0EEEEDaSU_SV_EUlSU_E_NS1_11comp_targetILNS1_3genE9ELNS1_11target_archE1100ELNS1_3gpuE3ELNS1_3repE0EEENS1_30default_config_static_selectorELNS0_4arch9wavefront6targetE0EEEvT1_,"axG",@progbits,_ZN7rocprim17ROCPRIM_400000_NS6detail17trampoline_kernelINS0_14default_configENS1_27scan_by_key_config_selectorIiiEEZZNS1_16scan_by_key_implILNS1_25lookback_scan_determinismE0ELb0ES3_N6thrust23THRUST_200600_302600_NS6detail15normal_iteratorINS9_10device_ptrIiEEEESE_SE_iNS9_10multipliesIiEENS9_8equal_toIiEEiEE10hipError_tPvRmT2_T3_T4_T5_mT6_T7_P12ihipStream_tbENKUlT_T0_E_clISt17integral_constantIbLb1EESY_IbLb0EEEEDaSU_SV_EUlSU_E_NS1_11comp_targetILNS1_3genE9ELNS1_11target_archE1100ELNS1_3gpuE3ELNS1_3repE0EEENS1_30default_config_static_selectorELNS0_4arch9wavefront6targetE0EEEvT1_,comdat
.Lfunc_end189:
	.size	_ZN7rocprim17ROCPRIM_400000_NS6detail17trampoline_kernelINS0_14default_configENS1_27scan_by_key_config_selectorIiiEEZZNS1_16scan_by_key_implILNS1_25lookback_scan_determinismE0ELb0ES3_N6thrust23THRUST_200600_302600_NS6detail15normal_iteratorINS9_10device_ptrIiEEEESE_SE_iNS9_10multipliesIiEENS9_8equal_toIiEEiEE10hipError_tPvRmT2_T3_T4_T5_mT6_T7_P12ihipStream_tbENKUlT_T0_E_clISt17integral_constantIbLb1EESY_IbLb0EEEEDaSU_SV_EUlSU_E_NS1_11comp_targetILNS1_3genE9ELNS1_11target_archE1100ELNS1_3gpuE3ELNS1_3repE0EEENS1_30default_config_static_selectorELNS0_4arch9wavefront6targetE0EEEvT1_, .Lfunc_end189-_ZN7rocprim17ROCPRIM_400000_NS6detail17trampoline_kernelINS0_14default_configENS1_27scan_by_key_config_selectorIiiEEZZNS1_16scan_by_key_implILNS1_25lookback_scan_determinismE0ELb0ES3_N6thrust23THRUST_200600_302600_NS6detail15normal_iteratorINS9_10device_ptrIiEEEESE_SE_iNS9_10multipliesIiEENS9_8equal_toIiEEiEE10hipError_tPvRmT2_T3_T4_T5_mT6_T7_P12ihipStream_tbENKUlT_T0_E_clISt17integral_constantIbLb1EESY_IbLb0EEEEDaSU_SV_EUlSU_E_NS1_11comp_targetILNS1_3genE9ELNS1_11target_archE1100ELNS1_3gpuE3ELNS1_3repE0EEENS1_30default_config_static_selectorELNS0_4arch9wavefront6targetE0EEEvT1_
                                        ; -- End function
	.set _ZN7rocprim17ROCPRIM_400000_NS6detail17trampoline_kernelINS0_14default_configENS1_27scan_by_key_config_selectorIiiEEZZNS1_16scan_by_key_implILNS1_25lookback_scan_determinismE0ELb0ES3_N6thrust23THRUST_200600_302600_NS6detail15normal_iteratorINS9_10device_ptrIiEEEESE_SE_iNS9_10multipliesIiEENS9_8equal_toIiEEiEE10hipError_tPvRmT2_T3_T4_T5_mT6_T7_P12ihipStream_tbENKUlT_T0_E_clISt17integral_constantIbLb1EESY_IbLb0EEEEDaSU_SV_EUlSU_E_NS1_11comp_targetILNS1_3genE9ELNS1_11target_archE1100ELNS1_3gpuE3ELNS1_3repE0EEENS1_30default_config_static_selectorELNS0_4arch9wavefront6targetE0EEEvT1_.num_vgpr, 0
	.set _ZN7rocprim17ROCPRIM_400000_NS6detail17trampoline_kernelINS0_14default_configENS1_27scan_by_key_config_selectorIiiEEZZNS1_16scan_by_key_implILNS1_25lookback_scan_determinismE0ELb0ES3_N6thrust23THRUST_200600_302600_NS6detail15normal_iteratorINS9_10device_ptrIiEEEESE_SE_iNS9_10multipliesIiEENS9_8equal_toIiEEiEE10hipError_tPvRmT2_T3_T4_T5_mT6_T7_P12ihipStream_tbENKUlT_T0_E_clISt17integral_constantIbLb1EESY_IbLb0EEEEDaSU_SV_EUlSU_E_NS1_11comp_targetILNS1_3genE9ELNS1_11target_archE1100ELNS1_3gpuE3ELNS1_3repE0EEENS1_30default_config_static_selectorELNS0_4arch9wavefront6targetE0EEEvT1_.num_agpr, 0
	.set _ZN7rocprim17ROCPRIM_400000_NS6detail17trampoline_kernelINS0_14default_configENS1_27scan_by_key_config_selectorIiiEEZZNS1_16scan_by_key_implILNS1_25lookback_scan_determinismE0ELb0ES3_N6thrust23THRUST_200600_302600_NS6detail15normal_iteratorINS9_10device_ptrIiEEEESE_SE_iNS9_10multipliesIiEENS9_8equal_toIiEEiEE10hipError_tPvRmT2_T3_T4_T5_mT6_T7_P12ihipStream_tbENKUlT_T0_E_clISt17integral_constantIbLb1EESY_IbLb0EEEEDaSU_SV_EUlSU_E_NS1_11comp_targetILNS1_3genE9ELNS1_11target_archE1100ELNS1_3gpuE3ELNS1_3repE0EEENS1_30default_config_static_selectorELNS0_4arch9wavefront6targetE0EEEvT1_.numbered_sgpr, 0
	.set _ZN7rocprim17ROCPRIM_400000_NS6detail17trampoline_kernelINS0_14default_configENS1_27scan_by_key_config_selectorIiiEEZZNS1_16scan_by_key_implILNS1_25lookback_scan_determinismE0ELb0ES3_N6thrust23THRUST_200600_302600_NS6detail15normal_iteratorINS9_10device_ptrIiEEEESE_SE_iNS9_10multipliesIiEENS9_8equal_toIiEEiEE10hipError_tPvRmT2_T3_T4_T5_mT6_T7_P12ihipStream_tbENKUlT_T0_E_clISt17integral_constantIbLb1EESY_IbLb0EEEEDaSU_SV_EUlSU_E_NS1_11comp_targetILNS1_3genE9ELNS1_11target_archE1100ELNS1_3gpuE3ELNS1_3repE0EEENS1_30default_config_static_selectorELNS0_4arch9wavefront6targetE0EEEvT1_.num_named_barrier, 0
	.set _ZN7rocprim17ROCPRIM_400000_NS6detail17trampoline_kernelINS0_14default_configENS1_27scan_by_key_config_selectorIiiEEZZNS1_16scan_by_key_implILNS1_25lookback_scan_determinismE0ELb0ES3_N6thrust23THRUST_200600_302600_NS6detail15normal_iteratorINS9_10device_ptrIiEEEESE_SE_iNS9_10multipliesIiEENS9_8equal_toIiEEiEE10hipError_tPvRmT2_T3_T4_T5_mT6_T7_P12ihipStream_tbENKUlT_T0_E_clISt17integral_constantIbLb1EESY_IbLb0EEEEDaSU_SV_EUlSU_E_NS1_11comp_targetILNS1_3genE9ELNS1_11target_archE1100ELNS1_3gpuE3ELNS1_3repE0EEENS1_30default_config_static_selectorELNS0_4arch9wavefront6targetE0EEEvT1_.private_seg_size, 0
	.set _ZN7rocprim17ROCPRIM_400000_NS6detail17trampoline_kernelINS0_14default_configENS1_27scan_by_key_config_selectorIiiEEZZNS1_16scan_by_key_implILNS1_25lookback_scan_determinismE0ELb0ES3_N6thrust23THRUST_200600_302600_NS6detail15normal_iteratorINS9_10device_ptrIiEEEESE_SE_iNS9_10multipliesIiEENS9_8equal_toIiEEiEE10hipError_tPvRmT2_T3_T4_T5_mT6_T7_P12ihipStream_tbENKUlT_T0_E_clISt17integral_constantIbLb1EESY_IbLb0EEEEDaSU_SV_EUlSU_E_NS1_11comp_targetILNS1_3genE9ELNS1_11target_archE1100ELNS1_3gpuE3ELNS1_3repE0EEENS1_30default_config_static_selectorELNS0_4arch9wavefront6targetE0EEEvT1_.uses_vcc, 0
	.set _ZN7rocprim17ROCPRIM_400000_NS6detail17trampoline_kernelINS0_14default_configENS1_27scan_by_key_config_selectorIiiEEZZNS1_16scan_by_key_implILNS1_25lookback_scan_determinismE0ELb0ES3_N6thrust23THRUST_200600_302600_NS6detail15normal_iteratorINS9_10device_ptrIiEEEESE_SE_iNS9_10multipliesIiEENS9_8equal_toIiEEiEE10hipError_tPvRmT2_T3_T4_T5_mT6_T7_P12ihipStream_tbENKUlT_T0_E_clISt17integral_constantIbLb1EESY_IbLb0EEEEDaSU_SV_EUlSU_E_NS1_11comp_targetILNS1_3genE9ELNS1_11target_archE1100ELNS1_3gpuE3ELNS1_3repE0EEENS1_30default_config_static_selectorELNS0_4arch9wavefront6targetE0EEEvT1_.uses_flat_scratch, 0
	.set _ZN7rocprim17ROCPRIM_400000_NS6detail17trampoline_kernelINS0_14default_configENS1_27scan_by_key_config_selectorIiiEEZZNS1_16scan_by_key_implILNS1_25lookback_scan_determinismE0ELb0ES3_N6thrust23THRUST_200600_302600_NS6detail15normal_iteratorINS9_10device_ptrIiEEEESE_SE_iNS9_10multipliesIiEENS9_8equal_toIiEEiEE10hipError_tPvRmT2_T3_T4_T5_mT6_T7_P12ihipStream_tbENKUlT_T0_E_clISt17integral_constantIbLb1EESY_IbLb0EEEEDaSU_SV_EUlSU_E_NS1_11comp_targetILNS1_3genE9ELNS1_11target_archE1100ELNS1_3gpuE3ELNS1_3repE0EEENS1_30default_config_static_selectorELNS0_4arch9wavefront6targetE0EEEvT1_.has_dyn_sized_stack, 0
	.set _ZN7rocprim17ROCPRIM_400000_NS6detail17trampoline_kernelINS0_14default_configENS1_27scan_by_key_config_selectorIiiEEZZNS1_16scan_by_key_implILNS1_25lookback_scan_determinismE0ELb0ES3_N6thrust23THRUST_200600_302600_NS6detail15normal_iteratorINS9_10device_ptrIiEEEESE_SE_iNS9_10multipliesIiEENS9_8equal_toIiEEiEE10hipError_tPvRmT2_T3_T4_T5_mT6_T7_P12ihipStream_tbENKUlT_T0_E_clISt17integral_constantIbLb1EESY_IbLb0EEEEDaSU_SV_EUlSU_E_NS1_11comp_targetILNS1_3genE9ELNS1_11target_archE1100ELNS1_3gpuE3ELNS1_3repE0EEENS1_30default_config_static_selectorELNS0_4arch9wavefront6targetE0EEEvT1_.has_recursion, 0
	.set _ZN7rocprim17ROCPRIM_400000_NS6detail17trampoline_kernelINS0_14default_configENS1_27scan_by_key_config_selectorIiiEEZZNS1_16scan_by_key_implILNS1_25lookback_scan_determinismE0ELb0ES3_N6thrust23THRUST_200600_302600_NS6detail15normal_iteratorINS9_10device_ptrIiEEEESE_SE_iNS9_10multipliesIiEENS9_8equal_toIiEEiEE10hipError_tPvRmT2_T3_T4_T5_mT6_T7_P12ihipStream_tbENKUlT_T0_E_clISt17integral_constantIbLb1EESY_IbLb0EEEEDaSU_SV_EUlSU_E_NS1_11comp_targetILNS1_3genE9ELNS1_11target_archE1100ELNS1_3gpuE3ELNS1_3repE0EEENS1_30default_config_static_selectorELNS0_4arch9wavefront6targetE0EEEvT1_.has_indirect_call, 0
	.section	.AMDGPU.csdata,"",@progbits
; Kernel info:
; codeLenInByte = 0
; TotalNumSgprs: 0
; NumVgprs: 0
; ScratchSize: 0
; MemoryBound: 0
; FloatMode: 240
; IeeeMode: 1
; LDSByteSize: 0 bytes/workgroup (compile time only)
; SGPRBlocks: 0
; VGPRBlocks: 0
; NumSGPRsForWavesPerEU: 1
; NumVGPRsForWavesPerEU: 1
; NamedBarCnt: 0
; Occupancy: 16
; WaveLimiterHint : 0
; COMPUTE_PGM_RSRC2:SCRATCH_EN: 0
; COMPUTE_PGM_RSRC2:USER_SGPR: 2
; COMPUTE_PGM_RSRC2:TRAP_HANDLER: 0
; COMPUTE_PGM_RSRC2:TGID_X_EN: 1
; COMPUTE_PGM_RSRC2:TGID_Y_EN: 0
; COMPUTE_PGM_RSRC2:TGID_Z_EN: 0
; COMPUTE_PGM_RSRC2:TIDIG_COMP_CNT: 0
	.section	.text._ZN7rocprim17ROCPRIM_400000_NS6detail17trampoline_kernelINS0_14default_configENS1_27scan_by_key_config_selectorIiiEEZZNS1_16scan_by_key_implILNS1_25lookback_scan_determinismE0ELb0ES3_N6thrust23THRUST_200600_302600_NS6detail15normal_iteratorINS9_10device_ptrIiEEEESE_SE_iNS9_10multipliesIiEENS9_8equal_toIiEEiEE10hipError_tPvRmT2_T3_T4_T5_mT6_T7_P12ihipStream_tbENKUlT_T0_E_clISt17integral_constantIbLb1EESY_IbLb0EEEEDaSU_SV_EUlSU_E_NS1_11comp_targetILNS1_3genE8ELNS1_11target_archE1030ELNS1_3gpuE2ELNS1_3repE0EEENS1_30default_config_static_selectorELNS0_4arch9wavefront6targetE0EEEvT1_,"axG",@progbits,_ZN7rocprim17ROCPRIM_400000_NS6detail17trampoline_kernelINS0_14default_configENS1_27scan_by_key_config_selectorIiiEEZZNS1_16scan_by_key_implILNS1_25lookback_scan_determinismE0ELb0ES3_N6thrust23THRUST_200600_302600_NS6detail15normal_iteratorINS9_10device_ptrIiEEEESE_SE_iNS9_10multipliesIiEENS9_8equal_toIiEEiEE10hipError_tPvRmT2_T3_T4_T5_mT6_T7_P12ihipStream_tbENKUlT_T0_E_clISt17integral_constantIbLb1EESY_IbLb0EEEEDaSU_SV_EUlSU_E_NS1_11comp_targetILNS1_3genE8ELNS1_11target_archE1030ELNS1_3gpuE2ELNS1_3repE0EEENS1_30default_config_static_selectorELNS0_4arch9wavefront6targetE0EEEvT1_,comdat
	.protected	_ZN7rocprim17ROCPRIM_400000_NS6detail17trampoline_kernelINS0_14default_configENS1_27scan_by_key_config_selectorIiiEEZZNS1_16scan_by_key_implILNS1_25lookback_scan_determinismE0ELb0ES3_N6thrust23THRUST_200600_302600_NS6detail15normal_iteratorINS9_10device_ptrIiEEEESE_SE_iNS9_10multipliesIiEENS9_8equal_toIiEEiEE10hipError_tPvRmT2_T3_T4_T5_mT6_T7_P12ihipStream_tbENKUlT_T0_E_clISt17integral_constantIbLb1EESY_IbLb0EEEEDaSU_SV_EUlSU_E_NS1_11comp_targetILNS1_3genE8ELNS1_11target_archE1030ELNS1_3gpuE2ELNS1_3repE0EEENS1_30default_config_static_selectorELNS0_4arch9wavefront6targetE0EEEvT1_ ; -- Begin function _ZN7rocprim17ROCPRIM_400000_NS6detail17trampoline_kernelINS0_14default_configENS1_27scan_by_key_config_selectorIiiEEZZNS1_16scan_by_key_implILNS1_25lookback_scan_determinismE0ELb0ES3_N6thrust23THRUST_200600_302600_NS6detail15normal_iteratorINS9_10device_ptrIiEEEESE_SE_iNS9_10multipliesIiEENS9_8equal_toIiEEiEE10hipError_tPvRmT2_T3_T4_T5_mT6_T7_P12ihipStream_tbENKUlT_T0_E_clISt17integral_constantIbLb1EESY_IbLb0EEEEDaSU_SV_EUlSU_E_NS1_11comp_targetILNS1_3genE8ELNS1_11target_archE1030ELNS1_3gpuE2ELNS1_3repE0EEENS1_30default_config_static_selectorELNS0_4arch9wavefront6targetE0EEEvT1_
	.globl	_ZN7rocprim17ROCPRIM_400000_NS6detail17trampoline_kernelINS0_14default_configENS1_27scan_by_key_config_selectorIiiEEZZNS1_16scan_by_key_implILNS1_25lookback_scan_determinismE0ELb0ES3_N6thrust23THRUST_200600_302600_NS6detail15normal_iteratorINS9_10device_ptrIiEEEESE_SE_iNS9_10multipliesIiEENS9_8equal_toIiEEiEE10hipError_tPvRmT2_T3_T4_T5_mT6_T7_P12ihipStream_tbENKUlT_T0_E_clISt17integral_constantIbLb1EESY_IbLb0EEEEDaSU_SV_EUlSU_E_NS1_11comp_targetILNS1_3genE8ELNS1_11target_archE1030ELNS1_3gpuE2ELNS1_3repE0EEENS1_30default_config_static_selectorELNS0_4arch9wavefront6targetE0EEEvT1_
	.p2align	8
	.type	_ZN7rocprim17ROCPRIM_400000_NS6detail17trampoline_kernelINS0_14default_configENS1_27scan_by_key_config_selectorIiiEEZZNS1_16scan_by_key_implILNS1_25lookback_scan_determinismE0ELb0ES3_N6thrust23THRUST_200600_302600_NS6detail15normal_iteratorINS9_10device_ptrIiEEEESE_SE_iNS9_10multipliesIiEENS9_8equal_toIiEEiEE10hipError_tPvRmT2_T3_T4_T5_mT6_T7_P12ihipStream_tbENKUlT_T0_E_clISt17integral_constantIbLb1EESY_IbLb0EEEEDaSU_SV_EUlSU_E_NS1_11comp_targetILNS1_3genE8ELNS1_11target_archE1030ELNS1_3gpuE2ELNS1_3repE0EEENS1_30default_config_static_selectorELNS0_4arch9wavefront6targetE0EEEvT1_,@function
_ZN7rocprim17ROCPRIM_400000_NS6detail17trampoline_kernelINS0_14default_configENS1_27scan_by_key_config_selectorIiiEEZZNS1_16scan_by_key_implILNS1_25lookback_scan_determinismE0ELb0ES3_N6thrust23THRUST_200600_302600_NS6detail15normal_iteratorINS9_10device_ptrIiEEEESE_SE_iNS9_10multipliesIiEENS9_8equal_toIiEEiEE10hipError_tPvRmT2_T3_T4_T5_mT6_T7_P12ihipStream_tbENKUlT_T0_E_clISt17integral_constantIbLb1EESY_IbLb0EEEEDaSU_SV_EUlSU_E_NS1_11comp_targetILNS1_3genE8ELNS1_11target_archE1030ELNS1_3gpuE2ELNS1_3repE0EEENS1_30default_config_static_selectorELNS0_4arch9wavefront6targetE0EEEvT1_: ; @_ZN7rocprim17ROCPRIM_400000_NS6detail17trampoline_kernelINS0_14default_configENS1_27scan_by_key_config_selectorIiiEEZZNS1_16scan_by_key_implILNS1_25lookback_scan_determinismE0ELb0ES3_N6thrust23THRUST_200600_302600_NS6detail15normal_iteratorINS9_10device_ptrIiEEEESE_SE_iNS9_10multipliesIiEENS9_8equal_toIiEEiEE10hipError_tPvRmT2_T3_T4_T5_mT6_T7_P12ihipStream_tbENKUlT_T0_E_clISt17integral_constantIbLb1EESY_IbLb0EEEEDaSU_SV_EUlSU_E_NS1_11comp_targetILNS1_3genE8ELNS1_11target_archE1030ELNS1_3gpuE2ELNS1_3repE0EEENS1_30default_config_static_selectorELNS0_4arch9wavefront6targetE0EEEvT1_
; %bb.0:
	.section	.rodata,"a",@progbits
	.p2align	6, 0x0
	.amdhsa_kernel _ZN7rocprim17ROCPRIM_400000_NS6detail17trampoline_kernelINS0_14default_configENS1_27scan_by_key_config_selectorIiiEEZZNS1_16scan_by_key_implILNS1_25lookback_scan_determinismE0ELb0ES3_N6thrust23THRUST_200600_302600_NS6detail15normal_iteratorINS9_10device_ptrIiEEEESE_SE_iNS9_10multipliesIiEENS9_8equal_toIiEEiEE10hipError_tPvRmT2_T3_T4_T5_mT6_T7_P12ihipStream_tbENKUlT_T0_E_clISt17integral_constantIbLb1EESY_IbLb0EEEEDaSU_SV_EUlSU_E_NS1_11comp_targetILNS1_3genE8ELNS1_11target_archE1030ELNS1_3gpuE2ELNS1_3repE0EEENS1_30default_config_static_selectorELNS0_4arch9wavefront6targetE0EEEvT1_
		.amdhsa_group_segment_fixed_size 0
		.amdhsa_private_segment_fixed_size 0
		.amdhsa_kernarg_size 112
		.amdhsa_user_sgpr_count 2
		.amdhsa_user_sgpr_dispatch_ptr 0
		.amdhsa_user_sgpr_queue_ptr 0
		.amdhsa_user_sgpr_kernarg_segment_ptr 1
		.amdhsa_user_sgpr_dispatch_id 0
		.amdhsa_user_sgpr_kernarg_preload_length 0
		.amdhsa_user_sgpr_kernarg_preload_offset 0
		.amdhsa_user_sgpr_private_segment_size 0
		.amdhsa_wavefront_size32 1
		.amdhsa_uses_dynamic_stack 0
		.amdhsa_enable_private_segment 0
		.amdhsa_system_sgpr_workgroup_id_x 1
		.amdhsa_system_sgpr_workgroup_id_y 0
		.amdhsa_system_sgpr_workgroup_id_z 0
		.amdhsa_system_sgpr_workgroup_info 0
		.amdhsa_system_vgpr_workitem_id 0
		.amdhsa_next_free_vgpr 1
		.amdhsa_next_free_sgpr 1
		.amdhsa_named_barrier_count 0
		.amdhsa_reserve_vcc 0
		.amdhsa_float_round_mode_32 0
		.amdhsa_float_round_mode_16_64 0
		.amdhsa_float_denorm_mode_32 3
		.amdhsa_float_denorm_mode_16_64 3
		.amdhsa_fp16_overflow 0
		.amdhsa_memory_ordered 1
		.amdhsa_forward_progress 1
		.amdhsa_inst_pref_size 0
		.amdhsa_round_robin_scheduling 0
		.amdhsa_exception_fp_ieee_invalid_op 0
		.amdhsa_exception_fp_denorm_src 0
		.amdhsa_exception_fp_ieee_div_zero 0
		.amdhsa_exception_fp_ieee_overflow 0
		.amdhsa_exception_fp_ieee_underflow 0
		.amdhsa_exception_fp_ieee_inexact 0
		.amdhsa_exception_int_div_zero 0
	.end_amdhsa_kernel
	.section	.text._ZN7rocprim17ROCPRIM_400000_NS6detail17trampoline_kernelINS0_14default_configENS1_27scan_by_key_config_selectorIiiEEZZNS1_16scan_by_key_implILNS1_25lookback_scan_determinismE0ELb0ES3_N6thrust23THRUST_200600_302600_NS6detail15normal_iteratorINS9_10device_ptrIiEEEESE_SE_iNS9_10multipliesIiEENS9_8equal_toIiEEiEE10hipError_tPvRmT2_T3_T4_T5_mT6_T7_P12ihipStream_tbENKUlT_T0_E_clISt17integral_constantIbLb1EESY_IbLb0EEEEDaSU_SV_EUlSU_E_NS1_11comp_targetILNS1_3genE8ELNS1_11target_archE1030ELNS1_3gpuE2ELNS1_3repE0EEENS1_30default_config_static_selectorELNS0_4arch9wavefront6targetE0EEEvT1_,"axG",@progbits,_ZN7rocprim17ROCPRIM_400000_NS6detail17trampoline_kernelINS0_14default_configENS1_27scan_by_key_config_selectorIiiEEZZNS1_16scan_by_key_implILNS1_25lookback_scan_determinismE0ELb0ES3_N6thrust23THRUST_200600_302600_NS6detail15normal_iteratorINS9_10device_ptrIiEEEESE_SE_iNS9_10multipliesIiEENS9_8equal_toIiEEiEE10hipError_tPvRmT2_T3_T4_T5_mT6_T7_P12ihipStream_tbENKUlT_T0_E_clISt17integral_constantIbLb1EESY_IbLb0EEEEDaSU_SV_EUlSU_E_NS1_11comp_targetILNS1_3genE8ELNS1_11target_archE1030ELNS1_3gpuE2ELNS1_3repE0EEENS1_30default_config_static_selectorELNS0_4arch9wavefront6targetE0EEEvT1_,comdat
.Lfunc_end190:
	.size	_ZN7rocprim17ROCPRIM_400000_NS6detail17trampoline_kernelINS0_14default_configENS1_27scan_by_key_config_selectorIiiEEZZNS1_16scan_by_key_implILNS1_25lookback_scan_determinismE0ELb0ES3_N6thrust23THRUST_200600_302600_NS6detail15normal_iteratorINS9_10device_ptrIiEEEESE_SE_iNS9_10multipliesIiEENS9_8equal_toIiEEiEE10hipError_tPvRmT2_T3_T4_T5_mT6_T7_P12ihipStream_tbENKUlT_T0_E_clISt17integral_constantIbLb1EESY_IbLb0EEEEDaSU_SV_EUlSU_E_NS1_11comp_targetILNS1_3genE8ELNS1_11target_archE1030ELNS1_3gpuE2ELNS1_3repE0EEENS1_30default_config_static_selectorELNS0_4arch9wavefront6targetE0EEEvT1_, .Lfunc_end190-_ZN7rocprim17ROCPRIM_400000_NS6detail17trampoline_kernelINS0_14default_configENS1_27scan_by_key_config_selectorIiiEEZZNS1_16scan_by_key_implILNS1_25lookback_scan_determinismE0ELb0ES3_N6thrust23THRUST_200600_302600_NS6detail15normal_iteratorINS9_10device_ptrIiEEEESE_SE_iNS9_10multipliesIiEENS9_8equal_toIiEEiEE10hipError_tPvRmT2_T3_T4_T5_mT6_T7_P12ihipStream_tbENKUlT_T0_E_clISt17integral_constantIbLb1EESY_IbLb0EEEEDaSU_SV_EUlSU_E_NS1_11comp_targetILNS1_3genE8ELNS1_11target_archE1030ELNS1_3gpuE2ELNS1_3repE0EEENS1_30default_config_static_selectorELNS0_4arch9wavefront6targetE0EEEvT1_
                                        ; -- End function
	.set _ZN7rocprim17ROCPRIM_400000_NS6detail17trampoline_kernelINS0_14default_configENS1_27scan_by_key_config_selectorIiiEEZZNS1_16scan_by_key_implILNS1_25lookback_scan_determinismE0ELb0ES3_N6thrust23THRUST_200600_302600_NS6detail15normal_iteratorINS9_10device_ptrIiEEEESE_SE_iNS9_10multipliesIiEENS9_8equal_toIiEEiEE10hipError_tPvRmT2_T3_T4_T5_mT6_T7_P12ihipStream_tbENKUlT_T0_E_clISt17integral_constantIbLb1EESY_IbLb0EEEEDaSU_SV_EUlSU_E_NS1_11comp_targetILNS1_3genE8ELNS1_11target_archE1030ELNS1_3gpuE2ELNS1_3repE0EEENS1_30default_config_static_selectorELNS0_4arch9wavefront6targetE0EEEvT1_.num_vgpr, 0
	.set _ZN7rocprim17ROCPRIM_400000_NS6detail17trampoline_kernelINS0_14default_configENS1_27scan_by_key_config_selectorIiiEEZZNS1_16scan_by_key_implILNS1_25lookback_scan_determinismE0ELb0ES3_N6thrust23THRUST_200600_302600_NS6detail15normal_iteratorINS9_10device_ptrIiEEEESE_SE_iNS9_10multipliesIiEENS9_8equal_toIiEEiEE10hipError_tPvRmT2_T3_T4_T5_mT6_T7_P12ihipStream_tbENKUlT_T0_E_clISt17integral_constantIbLb1EESY_IbLb0EEEEDaSU_SV_EUlSU_E_NS1_11comp_targetILNS1_3genE8ELNS1_11target_archE1030ELNS1_3gpuE2ELNS1_3repE0EEENS1_30default_config_static_selectorELNS0_4arch9wavefront6targetE0EEEvT1_.num_agpr, 0
	.set _ZN7rocprim17ROCPRIM_400000_NS6detail17trampoline_kernelINS0_14default_configENS1_27scan_by_key_config_selectorIiiEEZZNS1_16scan_by_key_implILNS1_25lookback_scan_determinismE0ELb0ES3_N6thrust23THRUST_200600_302600_NS6detail15normal_iteratorINS9_10device_ptrIiEEEESE_SE_iNS9_10multipliesIiEENS9_8equal_toIiEEiEE10hipError_tPvRmT2_T3_T4_T5_mT6_T7_P12ihipStream_tbENKUlT_T0_E_clISt17integral_constantIbLb1EESY_IbLb0EEEEDaSU_SV_EUlSU_E_NS1_11comp_targetILNS1_3genE8ELNS1_11target_archE1030ELNS1_3gpuE2ELNS1_3repE0EEENS1_30default_config_static_selectorELNS0_4arch9wavefront6targetE0EEEvT1_.numbered_sgpr, 0
	.set _ZN7rocprim17ROCPRIM_400000_NS6detail17trampoline_kernelINS0_14default_configENS1_27scan_by_key_config_selectorIiiEEZZNS1_16scan_by_key_implILNS1_25lookback_scan_determinismE0ELb0ES3_N6thrust23THRUST_200600_302600_NS6detail15normal_iteratorINS9_10device_ptrIiEEEESE_SE_iNS9_10multipliesIiEENS9_8equal_toIiEEiEE10hipError_tPvRmT2_T3_T4_T5_mT6_T7_P12ihipStream_tbENKUlT_T0_E_clISt17integral_constantIbLb1EESY_IbLb0EEEEDaSU_SV_EUlSU_E_NS1_11comp_targetILNS1_3genE8ELNS1_11target_archE1030ELNS1_3gpuE2ELNS1_3repE0EEENS1_30default_config_static_selectorELNS0_4arch9wavefront6targetE0EEEvT1_.num_named_barrier, 0
	.set _ZN7rocprim17ROCPRIM_400000_NS6detail17trampoline_kernelINS0_14default_configENS1_27scan_by_key_config_selectorIiiEEZZNS1_16scan_by_key_implILNS1_25lookback_scan_determinismE0ELb0ES3_N6thrust23THRUST_200600_302600_NS6detail15normal_iteratorINS9_10device_ptrIiEEEESE_SE_iNS9_10multipliesIiEENS9_8equal_toIiEEiEE10hipError_tPvRmT2_T3_T4_T5_mT6_T7_P12ihipStream_tbENKUlT_T0_E_clISt17integral_constantIbLb1EESY_IbLb0EEEEDaSU_SV_EUlSU_E_NS1_11comp_targetILNS1_3genE8ELNS1_11target_archE1030ELNS1_3gpuE2ELNS1_3repE0EEENS1_30default_config_static_selectorELNS0_4arch9wavefront6targetE0EEEvT1_.private_seg_size, 0
	.set _ZN7rocprim17ROCPRIM_400000_NS6detail17trampoline_kernelINS0_14default_configENS1_27scan_by_key_config_selectorIiiEEZZNS1_16scan_by_key_implILNS1_25lookback_scan_determinismE0ELb0ES3_N6thrust23THRUST_200600_302600_NS6detail15normal_iteratorINS9_10device_ptrIiEEEESE_SE_iNS9_10multipliesIiEENS9_8equal_toIiEEiEE10hipError_tPvRmT2_T3_T4_T5_mT6_T7_P12ihipStream_tbENKUlT_T0_E_clISt17integral_constantIbLb1EESY_IbLb0EEEEDaSU_SV_EUlSU_E_NS1_11comp_targetILNS1_3genE8ELNS1_11target_archE1030ELNS1_3gpuE2ELNS1_3repE0EEENS1_30default_config_static_selectorELNS0_4arch9wavefront6targetE0EEEvT1_.uses_vcc, 0
	.set _ZN7rocprim17ROCPRIM_400000_NS6detail17trampoline_kernelINS0_14default_configENS1_27scan_by_key_config_selectorIiiEEZZNS1_16scan_by_key_implILNS1_25lookback_scan_determinismE0ELb0ES3_N6thrust23THRUST_200600_302600_NS6detail15normal_iteratorINS9_10device_ptrIiEEEESE_SE_iNS9_10multipliesIiEENS9_8equal_toIiEEiEE10hipError_tPvRmT2_T3_T4_T5_mT6_T7_P12ihipStream_tbENKUlT_T0_E_clISt17integral_constantIbLb1EESY_IbLb0EEEEDaSU_SV_EUlSU_E_NS1_11comp_targetILNS1_3genE8ELNS1_11target_archE1030ELNS1_3gpuE2ELNS1_3repE0EEENS1_30default_config_static_selectorELNS0_4arch9wavefront6targetE0EEEvT1_.uses_flat_scratch, 0
	.set _ZN7rocprim17ROCPRIM_400000_NS6detail17trampoline_kernelINS0_14default_configENS1_27scan_by_key_config_selectorIiiEEZZNS1_16scan_by_key_implILNS1_25lookback_scan_determinismE0ELb0ES3_N6thrust23THRUST_200600_302600_NS6detail15normal_iteratorINS9_10device_ptrIiEEEESE_SE_iNS9_10multipliesIiEENS9_8equal_toIiEEiEE10hipError_tPvRmT2_T3_T4_T5_mT6_T7_P12ihipStream_tbENKUlT_T0_E_clISt17integral_constantIbLb1EESY_IbLb0EEEEDaSU_SV_EUlSU_E_NS1_11comp_targetILNS1_3genE8ELNS1_11target_archE1030ELNS1_3gpuE2ELNS1_3repE0EEENS1_30default_config_static_selectorELNS0_4arch9wavefront6targetE0EEEvT1_.has_dyn_sized_stack, 0
	.set _ZN7rocprim17ROCPRIM_400000_NS6detail17trampoline_kernelINS0_14default_configENS1_27scan_by_key_config_selectorIiiEEZZNS1_16scan_by_key_implILNS1_25lookback_scan_determinismE0ELb0ES3_N6thrust23THRUST_200600_302600_NS6detail15normal_iteratorINS9_10device_ptrIiEEEESE_SE_iNS9_10multipliesIiEENS9_8equal_toIiEEiEE10hipError_tPvRmT2_T3_T4_T5_mT6_T7_P12ihipStream_tbENKUlT_T0_E_clISt17integral_constantIbLb1EESY_IbLb0EEEEDaSU_SV_EUlSU_E_NS1_11comp_targetILNS1_3genE8ELNS1_11target_archE1030ELNS1_3gpuE2ELNS1_3repE0EEENS1_30default_config_static_selectorELNS0_4arch9wavefront6targetE0EEEvT1_.has_recursion, 0
	.set _ZN7rocprim17ROCPRIM_400000_NS6detail17trampoline_kernelINS0_14default_configENS1_27scan_by_key_config_selectorIiiEEZZNS1_16scan_by_key_implILNS1_25lookback_scan_determinismE0ELb0ES3_N6thrust23THRUST_200600_302600_NS6detail15normal_iteratorINS9_10device_ptrIiEEEESE_SE_iNS9_10multipliesIiEENS9_8equal_toIiEEiEE10hipError_tPvRmT2_T3_T4_T5_mT6_T7_P12ihipStream_tbENKUlT_T0_E_clISt17integral_constantIbLb1EESY_IbLb0EEEEDaSU_SV_EUlSU_E_NS1_11comp_targetILNS1_3genE8ELNS1_11target_archE1030ELNS1_3gpuE2ELNS1_3repE0EEENS1_30default_config_static_selectorELNS0_4arch9wavefront6targetE0EEEvT1_.has_indirect_call, 0
	.section	.AMDGPU.csdata,"",@progbits
; Kernel info:
; codeLenInByte = 0
; TotalNumSgprs: 0
; NumVgprs: 0
; ScratchSize: 0
; MemoryBound: 0
; FloatMode: 240
; IeeeMode: 1
; LDSByteSize: 0 bytes/workgroup (compile time only)
; SGPRBlocks: 0
; VGPRBlocks: 0
; NumSGPRsForWavesPerEU: 1
; NumVGPRsForWavesPerEU: 1
; NamedBarCnt: 0
; Occupancy: 16
; WaveLimiterHint : 0
; COMPUTE_PGM_RSRC2:SCRATCH_EN: 0
; COMPUTE_PGM_RSRC2:USER_SGPR: 2
; COMPUTE_PGM_RSRC2:TRAP_HANDLER: 0
; COMPUTE_PGM_RSRC2:TGID_X_EN: 1
; COMPUTE_PGM_RSRC2:TGID_Y_EN: 0
; COMPUTE_PGM_RSRC2:TGID_Z_EN: 0
; COMPUTE_PGM_RSRC2:TIDIG_COMP_CNT: 0
	.section	.text._ZN7rocprim17ROCPRIM_400000_NS6detail17trampoline_kernelINS0_14default_configENS1_27scan_by_key_config_selectorIiiEEZZNS1_16scan_by_key_implILNS1_25lookback_scan_determinismE0ELb0ES3_N6thrust23THRUST_200600_302600_NS6detail15normal_iteratorINS9_10device_ptrIiEEEESE_SE_iNS9_10multipliesIiEENS9_8equal_toIiEEiEE10hipError_tPvRmT2_T3_T4_T5_mT6_T7_P12ihipStream_tbENKUlT_T0_E_clISt17integral_constantIbLb0EESY_IbLb1EEEEDaSU_SV_EUlSU_E_NS1_11comp_targetILNS1_3genE0ELNS1_11target_archE4294967295ELNS1_3gpuE0ELNS1_3repE0EEENS1_30default_config_static_selectorELNS0_4arch9wavefront6targetE0EEEvT1_,"axG",@progbits,_ZN7rocprim17ROCPRIM_400000_NS6detail17trampoline_kernelINS0_14default_configENS1_27scan_by_key_config_selectorIiiEEZZNS1_16scan_by_key_implILNS1_25lookback_scan_determinismE0ELb0ES3_N6thrust23THRUST_200600_302600_NS6detail15normal_iteratorINS9_10device_ptrIiEEEESE_SE_iNS9_10multipliesIiEENS9_8equal_toIiEEiEE10hipError_tPvRmT2_T3_T4_T5_mT6_T7_P12ihipStream_tbENKUlT_T0_E_clISt17integral_constantIbLb0EESY_IbLb1EEEEDaSU_SV_EUlSU_E_NS1_11comp_targetILNS1_3genE0ELNS1_11target_archE4294967295ELNS1_3gpuE0ELNS1_3repE0EEENS1_30default_config_static_selectorELNS0_4arch9wavefront6targetE0EEEvT1_,comdat
	.protected	_ZN7rocprim17ROCPRIM_400000_NS6detail17trampoline_kernelINS0_14default_configENS1_27scan_by_key_config_selectorIiiEEZZNS1_16scan_by_key_implILNS1_25lookback_scan_determinismE0ELb0ES3_N6thrust23THRUST_200600_302600_NS6detail15normal_iteratorINS9_10device_ptrIiEEEESE_SE_iNS9_10multipliesIiEENS9_8equal_toIiEEiEE10hipError_tPvRmT2_T3_T4_T5_mT6_T7_P12ihipStream_tbENKUlT_T0_E_clISt17integral_constantIbLb0EESY_IbLb1EEEEDaSU_SV_EUlSU_E_NS1_11comp_targetILNS1_3genE0ELNS1_11target_archE4294967295ELNS1_3gpuE0ELNS1_3repE0EEENS1_30default_config_static_selectorELNS0_4arch9wavefront6targetE0EEEvT1_ ; -- Begin function _ZN7rocprim17ROCPRIM_400000_NS6detail17trampoline_kernelINS0_14default_configENS1_27scan_by_key_config_selectorIiiEEZZNS1_16scan_by_key_implILNS1_25lookback_scan_determinismE0ELb0ES3_N6thrust23THRUST_200600_302600_NS6detail15normal_iteratorINS9_10device_ptrIiEEEESE_SE_iNS9_10multipliesIiEENS9_8equal_toIiEEiEE10hipError_tPvRmT2_T3_T4_T5_mT6_T7_P12ihipStream_tbENKUlT_T0_E_clISt17integral_constantIbLb0EESY_IbLb1EEEEDaSU_SV_EUlSU_E_NS1_11comp_targetILNS1_3genE0ELNS1_11target_archE4294967295ELNS1_3gpuE0ELNS1_3repE0EEENS1_30default_config_static_selectorELNS0_4arch9wavefront6targetE0EEEvT1_
	.globl	_ZN7rocprim17ROCPRIM_400000_NS6detail17trampoline_kernelINS0_14default_configENS1_27scan_by_key_config_selectorIiiEEZZNS1_16scan_by_key_implILNS1_25lookback_scan_determinismE0ELb0ES3_N6thrust23THRUST_200600_302600_NS6detail15normal_iteratorINS9_10device_ptrIiEEEESE_SE_iNS9_10multipliesIiEENS9_8equal_toIiEEiEE10hipError_tPvRmT2_T3_T4_T5_mT6_T7_P12ihipStream_tbENKUlT_T0_E_clISt17integral_constantIbLb0EESY_IbLb1EEEEDaSU_SV_EUlSU_E_NS1_11comp_targetILNS1_3genE0ELNS1_11target_archE4294967295ELNS1_3gpuE0ELNS1_3repE0EEENS1_30default_config_static_selectorELNS0_4arch9wavefront6targetE0EEEvT1_
	.p2align	8
	.type	_ZN7rocprim17ROCPRIM_400000_NS6detail17trampoline_kernelINS0_14default_configENS1_27scan_by_key_config_selectorIiiEEZZNS1_16scan_by_key_implILNS1_25lookback_scan_determinismE0ELb0ES3_N6thrust23THRUST_200600_302600_NS6detail15normal_iteratorINS9_10device_ptrIiEEEESE_SE_iNS9_10multipliesIiEENS9_8equal_toIiEEiEE10hipError_tPvRmT2_T3_T4_T5_mT6_T7_P12ihipStream_tbENKUlT_T0_E_clISt17integral_constantIbLb0EESY_IbLb1EEEEDaSU_SV_EUlSU_E_NS1_11comp_targetILNS1_3genE0ELNS1_11target_archE4294967295ELNS1_3gpuE0ELNS1_3repE0EEENS1_30default_config_static_selectorELNS0_4arch9wavefront6targetE0EEEvT1_,@function
_ZN7rocprim17ROCPRIM_400000_NS6detail17trampoline_kernelINS0_14default_configENS1_27scan_by_key_config_selectorIiiEEZZNS1_16scan_by_key_implILNS1_25lookback_scan_determinismE0ELb0ES3_N6thrust23THRUST_200600_302600_NS6detail15normal_iteratorINS9_10device_ptrIiEEEESE_SE_iNS9_10multipliesIiEENS9_8equal_toIiEEiEE10hipError_tPvRmT2_T3_T4_T5_mT6_T7_P12ihipStream_tbENKUlT_T0_E_clISt17integral_constantIbLb0EESY_IbLb1EEEEDaSU_SV_EUlSU_E_NS1_11comp_targetILNS1_3genE0ELNS1_11target_archE4294967295ELNS1_3gpuE0ELNS1_3repE0EEENS1_30default_config_static_selectorELNS0_4arch9wavefront6targetE0EEEvT1_: ; @_ZN7rocprim17ROCPRIM_400000_NS6detail17trampoline_kernelINS0_14default_configENS1_27scan_by_key_config_selectorIiiEEZZNS1_16scan_by_key_implILNS1_25lookback_scan_determinismE0ELb0ES3_N6thrust23THRUST_200600_302600_NS6detail15normal_iteratorINS9_10device_ptrIiEEEESE_SE_iNS9_10multipliesIiEENS9_8equal_toIiEEiEE10hipError_tPvRmT2_T3_T4_T5_mT6_T7_P12ihipStream_tbENKUlT_T0_E_clISt17integral_constantIbLb0EESY_IbLb1EEEEDaSU_SV_EUlSU_E_NS1_11comp_targetILNS1_3genE0ELNS1_11target_archE4294967295ELNS1_3gpuE0ELNS1_3repE0EEENS1_30default_config_static_selectorELNS0_4arch9wavefront6targetE0EEEvT1_
; %bb.0:
	s_clause 0x1
	s_load_b128 s[24:27], s[0:1], 0x28
	s_load_b64 s[30:31], s[0:1], 0x38
	v_cmp_ne_u32_e64 s3, 0, v0
	v_cmp_eq_u32_e64 s2, 0, v0
	s_and_saveexec_b32 s4, s2
	s_cbranch_execz .LBB191_4
; %bb.1:
	s_mov_b32 s6, exec_lo
	s_mov_b32 s5, exec_lo
	v_mbcnt_lo_u32_b32 v1, s6, 0
                                        ; implicit-def: $vgpr2
	s_delay_alu instid0(VALU_DEP_1)
	v_cmpx_eq_u32_e32 0, v1
	s_cbranch_execz .LBB191_3
; %bb.2:
	s_load_b64 s[8:9], s[0:1], 0x68
	s_bcnt1_i32_b32 s6, s6
	s_delay_alu instid0(SALU_CYCLE_1)
	v_dual_mov_b32 v2, 0 :: v_dual_mov_b32 v3, s6
	s_wait_xcnt 0x0
	s_wait_kmcnt 0x0
	global_atomic_add_u32 v2, v2, v3, s[8:9] th:TH_ATOMIC_RETURN scope:SCOPE_DEV
.LBB191_3:
	s_wait_xcnt 0x0
	s_or_b32 exec_lo, exec_lo, s5
	s_wait_loadcnt 0x0
	v_readfirstlane_b32 s5, v2
	s_delay_alu instid0(VALU_DEP_1)
	v_dual_mov_b32 v2, 0 :: v_dual_add_nc_u32 v1, s5, v1
	ds_store_b32 v2, v1
.LBB191_4:
	s_or_b32 exec_lo, exec_lo, s4
	v_mov_b32_e32 v1, 0
	s_clause 0x2
	s_load_b256 s[8:15], s[0:1], 0x0
	s_load_b32 s34, s[0:1], 0x40
	s_load_b256 s[16:23], s[0:1], 0x48
	s_wait_dscnt 0x0
	s_barrier_signal -1
	s_barrier_wait -1
	ds_load_b32 v2, v1
	s_mov_b32 s35, 0
	s_wait_dscnt 0x0
	s_barrier_signal -1
	s_barrier_wait -1
	s_barrier_signal -1
	s_barrier_wait -1
	s_wait_kmcnt 0x0
	s_lshl_b64 s[28:29], s[10:11], 2
	s_mul_u64 s[6:7], s[30:31], s[34:35]
	s_cmp_lg_u64 s[20:21], 0
	s_add_nc_u64 s[0:1], s[8:9], s[28:29]
	s_mov_b32 s9, s35
	s_add_nc_u64 s[4:5], s[12:13], s[28:29]
	s_cselect_b32 s42, -1, 0
	v_readfirstlane_b32 s34, v2
	s_add_nc_u64 s[38:39], s[6:7], s[34:35]
	s_add_nc_u64 s[6:7], s[16:17], -1
	s_mul_i32 s8, s34, 0xc00
	v_cmp_ge_u64_e64 s27, s[38:39], s[6:7]
	s_lshl_b64 s[16:17], s[8:9], 2
	s_mul_i32 s33, s6, 0xfffff400
	s_add_nc_u64 s[36:37], s[0:1], s[16:17]
	s_add_nc_u64 s[20:21], s[4:5], s[16:17]
	s_and_b32 vcc_lo, exec_lo, s27
	s_cbranch_vccz .LBB191_32
; %bb.5:
	flat_load_b32 v1, v1, s[36:37]
	s_add_co_i32 s43, s33, s26
	s_delay_alu instid0(SALU_CYCLE_1)
	v_cmp_gt_u32_e64 s0, s43, v0
	s_wait_loadcnt_dscnt 0x0
	v_mov_b32_e32 v2, v1
	s_and_saveexec_b32 s1, s0
	s_cbranch_execz .LBB191_7
; %bb.6:
	flat_load_b32 v2, v0, s[36:37] scale_offset
.LBB191_7:
	s_wait_xcnt 0x0
	s_or_b32 exec_lo, exec_lo, s1
	v_or_b32_e32 v3, 0x100, v0
	v_mov_b32_e32 v4, v1
	s_delay_alu instid0(VALU_DEP_2)
	v_cmp_gt_u32_e64 s1, s43, v3
	s_and_saveexec_b32 s4, s1
	s_cbranch_execz .LBB191_9
; %bb.8:
	flat_load_b32 v4, v0, s[36:37] offset:1024 scale_offset
.LBB191_9:
	s_wait_xcnt 0x0
	s_or_b32 exec_lo, exec_lo, s4
	v_or_b32_e32 v3, 0x200, v0
	v_mov_b32_e32 v5, v1
	s_delay_alu instid0(VALU_DEP_2)
	v_cmp_gt_u32_e64 s4, s43, v3
	s_and_saveexec_b32 s5, s4
	s_cbranch_execz .LBB191_11
; %bb.10:
	flat_load_b32 v5, v0, s[36:37] offset:2048 scale_offset
.LBB191_11:
	;; [unrolled: 11-line block ×10, first 2 shown]
	s_wait_xcnt 0x0
	s_or_b32 exec_lo, exec_lo, s13
	v_or_b32_e32 v3, 0xb00, v0
	s_mov_b32 s35, exec_lo
	s_delay_alu instid0(VALU_DEP_1) | instskip(SKIP_2) | instid1(SALU_CYCLE_1)
	v_cmp_gt_u32_e64 s13, s43, v3
	v_cmpx_le_u32_e64 s43, v3
	s_xor_b32 s35, exec_lo, s35
	s_and_not1_saveexec_b32 s35, s35
	s_cbranch_execz .LBB191_29
; %bb.28:
	flat_load_b32 v1, v0, s[36:37] offset:11264 scale_offset
.LBB191_29:
	s_wait_xcnt 0x0
	s_or_b32 exec_lo, exec_lo, s35
	v_lshlrev_b32_e32 v3, 2, v0
	s_cmp_eq_u64 s[38:39], 0
	s_mov_b64 s[40:41], s[36:37]
	s_wait_loadcnt_dscnt 0x0
	ds_store_2addr_stride64_b32 v3, v2, v4 offset1:4
	ds_store_2addr_stride64_b32 v3, v5, v6 offset0:8 offset1:12
	ds_store_2addr_stride64_b32 v3, v7, v8 offset0:16 offset1:20
	;; [unrolled: 1-line block ×5, first 2 shown]
	v_mad_u32_u24 v1, v0, 44, v3
	s_wait_dscnt 0x0
	s_barrier_signal -1
	s_barrier_wait -1
	ds_load_b128 v[14:17], v1
	ds_load_b128 v[10:13], v1 offset:16
	ds_load_b128 v[6:9], v1 offset:32
	s_cbranch_scc1 .LBB191_35
; %bb.30:
	s_and_not1_b32 vcc_lo, exec_lo, s42
	s_cbranch_vccnz .LBB191_33
; %bb.31:
	s_lshl_b64 s[40:41], s[38:39], 2
	s_mov_b32 s35, 0
	s_add_nc_u64 s[40:41], s[22:23], s[40:41]
	s_delay_alu instid0(SALU_CYCLE_1)
	s_add_nc_u64 s[40:41], s[40:41], -4
	s_branch .LBB191_34
.LBB191_32:
                                        ; implicit-def: $sgpr4
                                        ; implicit-def: $vgpr5
                                        ; implicit-def: $vgpr18_vgpr19
                                        ; implicit-def: $vgpr42_vgpr43
                                        ; implicit-def: $vgpr46_vgpr47
                                        ; implicit-def: $vgpr44_vgpr45
                                        ; implicit-def: $vgpr48_vgpr49
                                        ; implicit-def: $vgpr50_vgpr51
                                        ; implicit-def: $vgpr52_vgpr53
                                        ; implicit-def: $vgpr54_vgpr55
                                        ; implicit-def: $vgpr56_vgpr57
                                        ; implicit-def: $vgpr58_vgpr59
                                        ; implicit-def: $vgpr38_vgpr39
                                        ; implicit-def: $vgpr36_vgpr37
                                        ; implicit-def: $vgpr34_vgpr35
                                        ; implicit-def: $vgpr32_vgpr33
                                        ; implicit-def: $vgpr30_vgpr31
                                        ; implicit-def: $vgpr28_vgpr29
                                        ; implicit-def: $vgpr26_vgpr27
                                        ; implicit-def: $vgpr24_vgpr25
                                        ; implicit-def: $vgpr22_vgpr23
                                        ; implicit-def: $vgpr20_vgpr21
	v_lshlrev_b32_e32 v16, 2, v0
	s_cbranch_execnz .LBB191_73
	s_branch .LBB191_92
.LBB191_33:
	s_add_nc_u64 s[40:41], s[36:37], -4
	s_mov_b32 s35, -1
.LBB191_34:
	s_delay_alu instid0(SALU_CYCLE_1)
	s_and_not1_b32 vcc_lo, exec_lo, s35
.LBB191_35:
	v_mov_b32_e32 v2, 0
	v_mad_i32_i24 v4, 0xffffffd4, v0, v1
	flat_load_b32 v2, v2, s[40:41]
	s_wait_dscnt 0x1
	ds_store_b32 v4, v9 offset:12288
	s_wait_loadcnt_dscnt 0x0
	s_barrier_signal -1
	s_barrier_wait -1
	s_and_saveexec_b32 s35, s3
; %bb.36:
	v_mul_i32_i24_e32 v2, 0xffffffd4, v0
	s_delay_alu instid0(VALU_DEP_1)
	v_add_nc_u32_e32 v2, v1, v2
	ds_load_b32 v2, v2 offset:12284
; %bb.37:
	s_or_b32 exec_lo, exec_lo, s35
	s_wait_dscnt 0x0
	s_barrier_signal -1
	s_barrier_wait -1
                                        ; implicit-def: $vgpr5
	s_and_saveexec_b32 s35, s0
	s_cbranch_execnz .LBB191_76
; %bb.38:
	s_or_b32 exec_lo, exec_lo, s35
                                        ; implicit-def: $vgpr18
	s_and_saveexec_b32 s0, s1
	s_cbranch_execnz .LBB191_77
.LBB191_39:
	s_or_b32 exec_lo, exec_lo, s0
                                        ; implicit-def: $vgpr19
	s_and_saveexec_b32 s0, s4
	s_cbranch_execnz .LBB191_78
.LBB191_40:
	s_or_b32 exec_lo, exec_lo, s0
                                        ; implicit-def: $vgpr20
	s_and_saveexec_b32 s0, s5
	s_cbranch_execnz .LBB191_79
.LBB191_41:
	s_or_b32 exec_lo, exec_lo, s0
                                        ; implicit-def: $vgpr21
	s_and_saveexec_b32 s0, s6
	s_cbranch_execnz .LBB191_80
.LBB191_42:
	s_or_b32 exec_lo, exec_lo, s0
                                        ; implicit-def: $vgpr22
	s_and_saveexec_b32 s0, s7
	s_cbranch_execnz .LBB191_81
.LBB191_43:
	s_or_b32 exec_lo, exec_lo, s0
                                        ; implicit-def: $vgpr23
	s_and_saveexec_b32 s0, s8
	s_cbranch_execnz .LBB191_82
.LBB191_44:
	s_or_b32 exec_lo, exec_lo, s0
                                        ; implicit-def: $vgpr24
	s_and_saveexec_b32 s0, s9
	s_cbranch_execnz .LBB191_83
.LBB191_45:
	s_or_b32 exec_lo, exec_lo, s0
                                        ; implicit-def: $vgpr25
	s_and_saveexec_b32 s0, s10
	s_cbranch_execnz .LBB191_84
.LBB191_46:
	s_or_b32 exec_lo, exec_lo, s0
                                        ; implicit-def: $vgpr26
	s_and_saveexec_b32 s0, s11
	s_cbranch_execnz .LBB191_85
.LBB191_47:
	s_or_b32 exec_lo, exec_lo, s0
                                        ; implicit-def: $vgpr27
	s_and_saveexec_b32 s0, s12
	s_cbranch_execnz .LBB191_86
.LBB191_48:
	s_or_b32 exec_lo, exec_lo, s0
                                        ; implicit-def: $vgpr28
	s_and_saveexec_b32 s0, s13
	s_cbranch_execz .LBB191_50
.LBB191_49:
	flat_load_b32 v28, v0, s[20:21] offset:11264 scale_offset
.LBB191_50:
	s_wait_xcnt 0x0
	s_or_b32 exec_lo, exec_lo, s0
	s_wait_loadcnt_dscnt 0x0
	ds_store_2addr_stride64_b32 v3, v5, v18 offset1:4
	ds_store_2addr_stride64_b32 v3, v19, v20 offset0:8 offset1:12
	ds_store_2addr_stride64_b32 v3, v21, v22 offset0:16 offset1:20
	ds_store_2addr_stride64_b32 v3, v23, v24 offset0:24 offset1:28
	ds_store_2addr_stride64_b32 v3, v25, v26 offset0:32 offset1:36
	ds_store_2addr_stride64_b32 v3, v27, v28 offset0:40 offset1:44
	v_mov_b64_e32 v[18:19], 0
	v_mov_b64_e32 v[42:43], 0
	;; [unrolled: 1-line block ×20, first 2 shown]
	v_mul_u32_u24_e32 v4, 12, v0
	s_mov_b32 s1, 0
	s_mov_b32 s35, 0
	s_mov_b32 s5, exec_lo
	s_wait_dscnt 0x0
	s_barrier_signal -1
	s_barrier_wait -1
                                        ; implicit-def: $sgpr4
                                        ; implicit-def: $vgpr5
	v_cmpx_gt_u32_e64 s43, v4
	s_cbranch_execz .LBB191_72
; %bb.51:
	ds_load_b32 v18, v1
	v_cmp_ne_u32_e32 vcc_lo, v2, v14
	v_mov_b64_e32 v[42:43], 0
	v_mov_b64_e32 v[46:47], 0
	;; [unrolled: 1-line block ×18, first 2 shown]
	v_or_b32_e32 v3, 1, v4
	v_cndmask_b32_e64 v19, 0, 1, vcc_lo
	s_mov_b32 s0, 0
	s_mov_b32 s6, exec_lo
                                        ; implicit-def: $sgpr4
                                        ; implicit-def: $vgpr5
	s_delay_alu instid0(VALU_DEP_2)
	v_cmpx_gt_u32_e64 s43, v3
	s_cbranch_execz .LBB191_71
; %bb.52:
	ds_load_2addr_b32 v[42:43], v1 offset0:1 offset1:2
	v_cmp_ne_u32_e32 vcc_lo, v14, v15
	v_mov_b64_e32 v[46:47], 0
	v_mov_b64_e32 v[44:45], 0
	;; [unrolled: 1-line block ×16, first 2 shown]
	v_or_b32_e32 v3, 2, v4
	v_cndmask_b32_e64 v2, 0, 1, vcc_lo
	s_mov_b32 s7, exec_lo
                                        ; implicit-def: $sgpr4
                                        ; implicit-def: $vgpr5
	s_delay_alu instid0(VALU_DEP_2)
	v_cmpx_gt_u32_e64 s43, v3
	s_cbranch_execz .LBB191_70
; %bb.53:
	v_cmp_ne_u32_e32 vcc_lo, v15, v16
	v_mov_b64_e32 v[44:45], 0
	v_mov_b64_e32 v[48:49], 0
	;; [unrolled: 1-line block ×14, first 2 shown]
	v_or_b32_e32 v3, 3, v4
	v_cndmask_b32_e64 v47, 0, 1, vcc_lo
	s_mov_b32 s8, exec_lo
                                        ; implicit-def: $sgpr4
                                        ; implicit-def: $vgpr5
	s_delay_alu instid0(VALU_DEP_2)
	v_cmpx_gt_u32_e64 s43, v3
	s_cbranch_execz .LBB191_69
; %bb.54:
	ds_load_2addr_b32 v[44:45], v1 offset0:3 offset1:4
	v_add_nc_u32_e32 v5, 4, v4
	v_cmp_ne_u32_e32 vcc_lo, v16, v17
	v_mov_b64_e32 v[48:49], 0
	v_mov_b64_e32 v[50:51], 0
	;; [unrolled: 1-line block ×12, first 2 shown]
	v_cndmask_b32_e64 v3, 0, 1, vcc_lo
	v_cmp_gt_u32_e32 vcc_lo, s43, v5
                                        ; implicit-def: $sgpr4
                                        ; implicit-def: $vgpr5
	s_and_saveexec_b32 s9, vcc_lo
	s_cbranch_execz .LBB191_68
; %bb.55:
	v_add_nc_u32_e32 v5, 5, v4
	v_cmp_ne_u32_e32 vcc_lo, v17, v10
	v_mov_b64_e32 v[50:51], 0
	v_mov_b64_e32 v[52:53], 0
	;; [unrolled: 1-line block ×10, first 2 shown]
	v_cndmask_b32_e64 v49, 0, 1, vcc_lo
	v_cmp_gt_u32_e32 vcc_lo, s43, v5
                                        ; implicit-def: $sgpr4
                                        ; implicit-def: $vgpr5
	s_and_saveexec_b32 s10, vcc_lo
	s_cbranch_execz .LBB191_67
; %bb.56:
	ds_load_2addr_b32 v[50:51], v1 offset0:5 offset1:6
	v_add_nc_u32_e32 v5, 6, v4
	v_cmp_ne_u32_e32 vcc_lo, v10, v11
	v_mov_b64_e32 v[52:53], 0
	v_mov_b64_e32 v[54:55], 0
	;; [unrolled: 1-line block ×8, first 2 shown]
	v_cndmask_b32_e64 v10, 0, 1, vcc_lo
	v_cmp_gt_u32_e32 vcc_lo, s43, v5
                                        ; implicit-def: $sgpr4
                                        ; implicit-def: $vgpr5
	s_and_saveexec_b32 s11, vcc_lo
	s_cbranch_execz .LBB191_66
; %bb.57:
	v_add_nc_u32_e32 v5, 7, v4
	v_cmp_ne_u32_e32 vcc_lo, v11, v12
	v_mov_b64_e32 v[54:55], 0
	v_mov_b64_e32 v[56:57], 0
	;; [unrolled: 1-line block ×6, first 2 shown]
	v_cndmask_b32_e64 v53, 0, 1, vcc_lo
	v_cmp_gt_u32_e32 vcc_lo, s43, v5
                                        ; implicit-def: $sgpr4
                                        ; implicit-def: $vgpr5
	s_and_saveexec_b32 s12, vcc_lo
	s_cbranch_execz .LBB191_65
; %bb.58:
	ds_load_2addr_b32 v[54:55], v1 offset0:7 offset1:8
	v_add_nc_u32_e32 v5, 8, v4
	v_cmp_ne_u32_e32 vcc_lo, v12, v13
	v_mov_b64_e32 v[56:57], 0
	v_mov_b64_e32 v[58:59], 0
	;; [unrolled: 1-line block ×4, first 2 shown]
	v_cndmask_b32_e64 v11, 0, 1, vcc_lo
	v_cmp_gt_u32_e32 vcc_lo, s43, v5
                                        ; implicit-def: $sgpr4
                                        ; implicit-def: $vgpr5
	s_and_saveexec_b32 s13, vcc_lo
	s_cbranch_execz .LBB191_64
; %bb.59:
	v_add_nc_u32_e32 v5, 9, v4
	v_cmp_ne_u32_e32 vcc_lo, v13, v6
	v_mov_b64_e32 v[58:59], 0
	v_mov_b64_e32 v[20:21], 0
                                        ; implicit-def: $sgpr4
	v_cndmask_b32_e64 v57, 0, 1, vcc_lo
	v_cmp_gt_u32_e32 vcc_lo, s43, v5
                                        ; implicit-def: $vgpr5
	s_and_saveexec_b32 s35, vcc_lo
	s_cbranch_execz .LBB191_63
; %bb.60:
	ds_load_2addr_b32 v[58:59], v1 offset0:9 offset1:10
	v_add_nc_u32_e32 v5, 10, v4
	v_cmp_ne_u32_e32 vcc_lo, v6, v7
	v_mov_b64_e32 v[20:21], 0
                                        ; implicit-def: $sgpr4
	v_cndmask_b32_e64 v6, 0, 1, vcc_lo
	s_delay_alu instid0(VALU_DEP_4) | instskip(SKIP_1) | instid1(SALU_CYCLE_1)
	v_cmp_gt_u32_e32 vcc_lo, s43, v5
                                        ; implicit-def: $vgpr5
	s_and_saveexec_b32 s40, vcc_lo
	s_xor_b32 s40, exec_lo, s40
	s_cbranch_execz .LBB191_62
; %bb.61:
	ds_load_b32 v5, v1 offset:44
	s_wait_dscnt 0x1
	v_dual_mov_b32 v20, v59 :: v_dual_add_nc_u32 v1, 11, v4
	v_cmp_ne_u32_e64 s0, v7, v8
	v_cmp_ne_u32_e64 s4, v8, v9
	s_delay_alu instid0(VALU_DEP_3) | instskip(NEXT) | instid1(VALU_DEP_3)
	v_cmp_gt_u32_e32 vcc_lo, s43, v1
	v_cndmask_b32_e64 v21, 0, 1, s0
	s_and_b32 s0, vcc_lo, exec_lo
.LBB191_62:
	s_or_b32 exec_lo, exec_lo, s40
	s_wait_dscnt 0x0
	v_mov_b32_e32 v59, v6
	s_and_b32 s0, s0, exec_lo
.LBB191_63:
	s_or_b32 exec_lo, exec_lo, s35
	s_delay_alu instid0(VALU_DEP_1)
	v_mov_b64_e32 v[22:23], v[58:59]
	s_wait_dscnt 0x0
	v_mov_b32_e32 v56, v55
	s_and_b32 s0, s0, exec_lo
.LBB191_64:
	s_or_b32 exec_lo, exec_lo, s13
	s_delay_alu instid0(VALU_DEP_1)
	v_mov_b64_e32 v[24:25], v[56:57]
	s_wait_dscnt 0x0
	v_mov_b32_e32 v55, v11
	s_and_b32 s0, s0, exec_lo
.LBB191_65:
	s_or_b32 exec_lo, exec_lo, s12
	s_delay_alu instid0(VALU_DEP_1)
	v_mov_b64_e32 v[26:27], v[54:55]
	s_wait_dscnt 0x0
	v_mov_b32_e32 v52, v51
	s_and_b32 s0, s0, exec_lo
.LBB191_66:
	s_or_b32 exec_lo, exec_lo, s11
	s_delay_alu instid0(VALU_DEP_1)
	v_mov_b64_e32 v[28:29], v[52:53]
	s_wait_dscnt 0x0
	v_mov_b32_e32 v51, v10
	s_and_b32 s0, s0, exec_lo
.LBB191_67:
	s_or_b32 exec_lo, exec_lo, s10
	s_delay_alu instid0(VALU_DEP_1)
	v_mov_b64_e32 v[30:31], v[50:51]
	s_wait_dscnt 0x0
	v_mov_b32_e32 v48, v45
	s_and_b32 s0, s0, exec_lo
.LBB191_68:
	s_or_b32 exec_lo, exec_lo, s9
	s_delay_alu instid0(VALU_DEP_1)
	v_mov_b64_e32 v[32:33], v[48:49]
	s_wait_dscnt 0x0
	v_mov_b32_e32 v45, v3
	s_and_b32 s0, s0, exec_lo
.LBB191_69:
	s_or_b32 exec_lo, exec_lo, s8
	s_delay_alu instid0(VALU_DEP_1)
	v_mov_b64_e32 v[34:35], v[44:45]
	s_wait_dscnt 0x0
	v_mov_b32_e32 v46, v43
	s_and_b32 s0, s0, exec_lo
.LBB191_70:
	s_or_b32 exec_lo, exec_lo, s7
	s_delay_alu instid0(VALU_DEP_1)
	v_mov_b64_e32 v[36:37], v[46:47]
	s_wait_dscnt 0x0
	v_mov_b32_e32 v43, v2
	s_and_b32 s0, s0, exec_lo
.LBB191_71:
	s_or_b32 exec_lo, exec_lo, s6
	s_delay_alu instid0(VALU_DEP_1)
	v_mov_b64_e32 v[38:39], v[42:43]
	s_and_b32 s35, s0, exec_lo
.LBB191_72:
	s_or_b32 exec_lo, exec_lo, s5
	v_lshlrev_b32_e32 v16, 2, v0
	s_and_b32 vcc_lo, exec_lo, s1
	s_cbranch_vccz .LBB191_92
.LBB191_73:
	s_clause 0xb
	flat_load_b32 v2, v0, s[36:37] scale_offset
	flat_load_b32 v3, v0, s[36:37] offset:1024 scale_offset
	flat_load_b32 v4, v0, s[36:37] offset:2048 scale_offset
	;; [unrolled: 1-line block ×11, first 2 shown]
	v_mad_u32_u24 v1, v0, 44, v16
	v_mov_b32_e32 v14, 0
	s_cmp_eq_u64 s[38:39], 0
	s_wait_loadcnt_dscnt 0xa0a
	ds_store_2addr_stride64_b32 v16, v2, v3 offset1:4
	s_wait_loadcnt_dscnt 0x809
	ds_store_2addr_stride64_b32 v16, v4, v5 offset0:8 offset1:12
	s_wait_loadcnt_dscnt 0x608
	ds_store_2addr_stride64_b32 v16, v6, v7 offset0:16 offset1:20
	;; [unrolled: 2-line block ×5, first 2 shown]
	s_wait_dscnt 0x0
	s_barrier_signal -1
	s_barrier_wait -1
	ds_load_b128 v[2:5], v1
	ds_load_b128 v[10:13], v1 offset:16
	ds_load_b128 v[6:9], v1 offset:32
	s_cbranch_scc1 .LBB191_89
; %bb.74:
	s_and_not1_b32 vcc_lo, exec_lo, s42
	s_cbranch_vccnz .LBB191_87
; %bb.75:
	s_lshl_b64 s[0:1], s[38:39], 2
	s_delay_alu instid0(SALU_CYCLE_1) | instskip(NEXT) | instid1(SALU_CYCLE_1)
	s_add_nc_u64 s[0:1], s[22:23], s[0:1]
	s_add_nc_u64 s[36:37], s[0:1], -4
	s_mov_b32 s0, 0
	s_branch .LBB191_88
.LBB191_76:
	flat_load_b32 v5, v0, s[20:21] scale_offset
	s_wait_xcnt 0x0
	s_or_b32 exec_lo, exec_lo, s35
                                        ; implicit-def: $vgpr18
	s_and_saveexec_b32 s0, s1
	s_cbranch_execz .LBB191_39
.LBB191_77:
	flat_load_b32 v18, v0, s[20:21] offset:1024 scale_offset
	s_wait_xcnt 0x0
	s_or_b32 exec_lo, exec_lo, s0
                                        ; implicit-def: $vgpr19
	s_and_saveexec_b32 s0, s4
	s_cbranch_execz .LBB191_40
.LBB191_78:
	flat_load_b32 v19, v0, s[20:21] offset:2048 scale_offset
	s_wait_xcnt 0x0
	s_or_b32 exec_lo, exec_lo, s0
                                        ; implicit-def: $vgpr20
	s_and_saveexec_b32 s0, s5
	s_cbranch_execz .LBB191_41
.LBB191_79:
	flat_load_b32 v20, v0, s[20:21] offset:3072 scale_offset
	s_wait_xcnt 0x0
	s_or_b32 exec_lo, exec_lo, s0
                                        ; implicit-def: $vgpr21
	s_and_saveexec_b32 s0, s6
	s_cbranch_execz .LBB191_42
.LBB191_80:
	flat_load_b32 v21, v0, s[20:21] offset:4096 scale_offset
	s_wait_xcnt 0x0
	s_or_b32 exec_lo, exec_lo, s0
                                        ; implicit-def: $vgpr22
	s_and_saveexec_b32 s0, s7
	s_cbranch_execz .LBB191_43
.LBB191_81:
	flat_load_b32 v22, v0, s[20:21] offset:5120 scale_offset
	s_wait_xcnt 0x0
	s_or_b32 exec_lo, exec_lo, s0
                                        ; implicit-def: $vgpr23
	s_and_saveexec_b32 s0, s8
	s_cbranch_execz .LBB191_44
.LBB191_82:
	flat_load_b32 v23, v0, s[20:21] offset:6144 scale_offset
	s_wait_xcnt 0x0
	s_or_b32 exec_lo, exec_lo, s0
                                        ; implicit-def: $vgpr24
	s_and_saveexec_b32 s0, s9
	s_cbranch_execz .LBB191_45
.LBB191_83:
	flat_load_b32 v24, v0, s[20:21] offset:7168 scale_offset
	s_wait_xcnt 0x0
	s_or_b32 exec_lo, exec_lo, s0
                                        ; implicit-def: $vgpr25
	s_and_saveexec_b32 s0, s10
	s_cbranch_execz .LBB191_46
.LBB191_84:
	flat_load_b32 v25, v0, s[20:21] offset:8192 scale_offset
	s_wait_xcnt 0x0
	s_or_b32 exec_lo, exec_lo, s0
                                        ; implicit-def: $vgpr26
	s_and_saveexec_b32 s0, s11
	s_cbranch_execz .LBB191_47
.LBB191_85:
	flat_load_b32 v26, v0, s[20:21] offset:9216 scale_offset
	s_wait_xcnt 0x0
	s_or_b32 exec_lo, exec_lo, s0
                                        ; implicit-def: $vgpr27
	s_and_saveexec_b32 s0, s12
	s_cbranch_execz .LBB191_48
.LBB191_86:
	flat_load_b32 v27, v0, s[20:21] offset:10240 scale_offset
	s_wait_xcnt 0x0
	s_or_b32 exec_lo, exec_lo, s0
                                        ; implicit-def: $vgpr28
	s_and_saveexec_b32 s0, s13
	s_cbranch_execnz .LBB191_49
	s_branch .LBB191_50
.LBB191_87:
	s_add_nc_u64 s[36:37], s[36:37], -4
	s_mov_b32 s0, -1
.LBB191_88:
	s_delay_alu instid0(SALU_CYCLE_1)
	s_and_not1_b32 vcc_lo, exec_lo, s0
.LBB191_89:
	flat_load_b32 v14, v14, s[36:37]
	v_mad_i32_i24 v15, 0xffffffd4, v0, v1
	s_wait_dscnt 0x1
	ds_store_b32 v15, v9 offset:12288
	s_wait_loadcnt_dscnt 0x0
	s_barrier_signal -1
	s_barrier_wait -1
	s_and_saveexec_b32 s0, s3
; %bb.90:
	v_mul_i32_i24_e32 v14, 0xffffffd4, v0
	s_delay_alu instid0(VALU_DEP_1)
	v_add_nc_u32_e32 v14, v1, v14
	ds_load_b32 v14, v14 offset:12284
; %bb.91:
	s_or_b32 exec_lo, exec_lo, s0
	s_wait_dscnt 0x0
	s_barrier_signal -1
	s_barrier_wait -1
	s_clause 0xb
	flat_load_b32 v15, v0, s[20:21] scale_offset
	flat_load_b32 v17, v0, s[20:21] offset:1024 scale_offset
	flat_load_b32 v18, v0, s[20:21] offset:2048 scale_offset
	;; [unrolled: 1-line block ×11, first 2 shown]
	v_cmp_ne_u32_e32 vcc_lo, v14, v2
	v_cmp_ne_u32_e64 s4, v8, v9
	s_mov_b32 s35, -1
	s_wait_loadcnt_dscnt 0xa0a
	ds_store_2addr_stride64_b32 v16, v15, v17 offset1:4
	s_wait_loadcnt_dscnt 0x809
	ds_store_2addr_stride64_b32 v16, v18, v20 offset0:8 offset1:12
	s_wait_loadcnt_dscnt 0x608
	ds_store_2addr_stride64_b32 v16, v21, v22 offset0:16 offset1:20
	;; [unrolled: 2-line block ×5, first 2 shown]
	v_cndmask_b32_e64 v19, 0, 1, vcc_lo
	v_cmp_ne_u32_e32 vcc_lo, v2, v3
	s_wait_dscnt 0x0
	s_barrier_signal -1
	s_barrier_wait -1
	v_cndmask_b32_e64 v43, 0, 1, vcc_lo
	v_cmp_ne_u32_e32 vcc_lo, v3, v4
	ds_load_b128 v[22:25], v1
	ds_load_b128 v[26:29], v1 offset:16
	v_cndmask_b32_e64 v47, 0, 1, vcc_lo
	v_cmp_ne_u32_e32 vcc_lo, v4, v5
	v_cndmask_b32_e64 v45, 0, 1, vcc_lo
	v_cmp_ne_u32_e32 vcc_lo, v5, v10
	ds_load_b128 v[2:5], v1 offset:32
	v_cndmask_b32_e64 v49, 0, 1, vcc_lo
	v_cmp_ne_u32_e32 vcc_lo, v10, v11
	s_wait_dscnt 0x2
	v_dual_mov_b32 v18, v22 :: v_dual_mov_b32 v42, v23
	v_cndmask_b32_e64 v51, 0, 1, vcc_lo
	v_cmp_ne_u32_e32 vcc_lo, v11, v12
	v_dual_mov_b32 v46, v24 :: v_dual_mov_b32 v44, v25
	s_wait_dscnt 0x1
	v_dual_mov_b32 v48, v26 :: v_dual_mov_b32 v50, v27
	v_cndmask_b32_e64 v53, 0, 1, vcc_lo
	v_cmp_ne_u32_e32 vcc_lo, v12, v13
	v_dual_mov_b32 v52, v28 :: v_dual_mov_b32 v54, v29
	s_wait_dscnt 0x0
	v_dual_mov_b32 v56, v2 :: v_dual_mov_b32 v58, v3
	v_cndmask_b32_e64 v55, 0, 1, vcc_lo
	v_cmp_ne_u32_e32 vcc_lo, v13, v6
	v_mov_b64_e32 v[38:39], v[42:43]
	v_mov_b64_e32 v[36:37], v[46:47]
	;; [unrolled: 1-line block ×4, first 2 shown]
	v_cndmask_b32_e64 v57, 0, 1, vcc_lo
	v_cmp_ne_u32_e32 vcc_lo, v6, v7
	v_mov_b64_e32 v[30:31], v[50:51]
	v_mov_b64_e32 v[28:29], v[52:53]
	;; [unrolled: 1-line block ×4, first 2 shown]
	v_cndmask_b32_e64 v59, 0, 1, vcc_lo
	v_cmp_ne_u32_e32 vcc_lo, v7, v8
	v_mov_b32_e32 v20, v4
	s_delay_alu instid0(VALU_DEP_3)
	v_mov_b64_e32 v[22:23], v[58:59]
	v_cndmask_b32_e64 v21, 0, 1, vcc_lo
.LBB191_92:
	v_mov_b64_e32 v[40:41], 0
	s_and_saveexec_b32 s0, s35
	s_cbranch_execz .LBB191_94
; %bb.93:
	v_mov_b64_e32 v[22:23], v[58:59]
	v_mov_b64_e32 v[24:25], v[56:57]
	;; [unrolled: 1-line block ×9, first 2 shown]
	v_cndmask_b32_e64 v41, 0, 1, s4
	v_mov_b32_e32 v40, v5
.LBB191_94:
	s_or_b32 exec_lo, exec_lo, s0
	v_dual_lshrrev_b32 v1, 2, v0 :: v_dual_bitop2_b32 v42, v27, v25 bitop3:0x54
	v_or_b32_e32 v17, v23, v21
	s_cmp_lg_u32 s34, 0
	s_wait_dscnt 0x0
	v_cmp_gt_u32_e32 vcc_lo, 32, v0
	s_barrier_signal -1
	s_barrier_wait -1
	s_cbranch_scc0 .LBB191_144
; %bb.95:
	s_mov_b64 s[12:13], 0x100000000
	v_or3_b32 v3, v42, v29, v31
	v_cmp_gt_u64_e64 s0, s[12:13], v[38:39]
	v_cmp_gt_u64_e64 s1, s[12:13], v[36:37]
	;; [unrolled: 1-line block ×7, first 2 shown]
	v_dual_cndmask_b32 v2, 1, v18, s0 :: v_dual_bitop2_b32 v5, 56, v1 bitop3:0x40
	v_cmp_gt_u64_e64 s9, s[12:13], v[24:25]
	v_cmp_gt_u64_e64 s10, s[12:13], v[22:23]
	;; [unrolled: 1-line block ×3, first 2 shown]
	s_delay_alu instid0(VALU_DEP_4) | instskip(SKIP_2) | instid1(VALU_DEP_2)
	v_mul_lo_u32 v2, v2, v38
	v_or3_b32 v3, v3, v33, v35
	v_cmp_gt_u64_e64 s12, s[12:13], v[40:41]
	v_or3_b32 v3, v3, v37, v39
	s_delay_alu instid0(VALU_DEP_1) | instskip(SKIP_1) | instid1(VALU_DEP_2)
	v_or3_b32 v3, v41, v17, v3
	v_cndmask_b32_e64 v2, 1, v2, s1
	v_and_b32_e32 v3, 0xff, v3
	s_delay_alu instid0(VALU_DEP_2) | instskip(NEXT) | instid1(VALU_DEP_1)
	v_mul_lo_u32 v2, v2, v36
	v_cndmask_b32_e64 v2, 1, v2, s4
	s_delay_alu instid0(VALU_DEP_1) | instskip(NEXT) | instid1(VALU_DEP_1)
	v_mul_lo_u32 v2, v2, v34
	v_cndmask_b32_e64 v2, 1, v2, s5
	s_delay_alu instid0(VALU_DEP_1) | instskip(NEXT) | instid1(VALU_DEP_1)
	;; [unrolled: 3-line block ×8, first 2 shown]
	v_mul_lo_u32 v2, v2, v20
	v_dual_cndmask_b32 v4, 1, v2, s12 :: v_dual_mov_b32 v2, 0
	s_delay_alu instid0(VALU_DEP_1) | instskip(NEXT) | instid1(VALU_DEP_2)
	v_mul_lo_u32 v12, v4, v40
	v_cmp_eq_u64_e64 s13, 0, v[2:3]
	v_lshl_add_u32 v4, v0, 3, v5
	s_delay_alu instid0(VALU_DEP_2)
	v_cndmask_b32_e64 v13, 1, v19, s13
	ds_store_b32 v4, v12
	ds_store_b8 v4, v13 offset:4
	s_wait_dscnt 0x0
	s_barrier_signal -1
	s_barrier_wait -1
	s_and_saveexec_b32 s20, vcc_lo
	s_cbranch_execz .LBB191_107
; %bb.96:
	v_dual_lshlrev_b32 v2, 1, v0 :: v_dual_lshlrev_b32 v3, 6, v0
	s_mov_b32 s21, exec_lo
	s_delay_alu instid0(VALU_DEP_1) | instskip(NEXT) | instid1(VALU_DEP_1)
	v_and_b32_e32 v2, 0x1f8, v2
	v_add_nc_u32_e32 v4, v2, v3
	ds_load_u8 v5, v4 offset:12
	ds_load_b64 v[2:3], v4
	ds_load_2addr_b32 v[6:7], v4 offset0:2 offset1:4
	ds_load_u8 v10, v4 offset:20
	ds_load_u8 v11, v4 offset:28
	;; [unrolled: 1-line block ×5, first 2 shown]
	ds_load_b32 v44, v4 offset:56
	s_wait_dscnt 0x8
	v_cmp_eq_u16_e64 s13, 0, v5
	s_wait_dscnt 0x5
	s_delay_alu instid0(VALU_DEP_1)
	v_dual_cndmask_b32 v8, 1, v2, s13 :: v_dual_bitop2_b32 v5, v10, v5 bitop3:0x54
	v_cmp_eq_u16_e64 s13, 0, v10
	ds_load_u8 v45, v4 offset:60
	s_wait_dscnt 0x4
	v_bitop3_b16 v5, v5, v14, v11 bitop3:0xfe
	v_mul_lo_u32 v6, v8, v6
	ds_load_2addr_b32 v[8:9], v4 offset0:6 offset1:8
	v_cndmask_b32_e64 v6, 1, v6, s13
	v_cmp_eq_u16_e64 s13, 0, v11
	s_delay_alu instid0(VALU_DEP_2) | instskip(NEXT) | instid1(VALU_DEP_1)
	v_mul_lo_u32 v6, v6, v7
	v_cndmask_b32_e64 v6, 1, v6, s13
	v_cmp_eq_u16_e64 s13, 0, v14
	s_wait_dscnt 0x0
	s_delay_alu instid0(VALU_DEP_2) | instskip(NEXT) | instid1(VALU_DEP_1)
	v_mul_lo_u32 v6, v6, v8
	v_cndmask_b32_e64 v8, 1, v6, s13
	ds_load_2addr_b32 v[6:7], v4 offset0:10 offset1:12
	v_cmp_eq_u16_e64 s13, 0, v15
	v_mul_lo_u32 v8, v8, v9
	s_delay_alu instid0(VALU_DEP_1) | instskip(SKIP_2) | instid1(VALU_DEP_2)
	v_cndmask_b32_e64 v8, 1, v8, s13
	v_cmp_eq_u16_e64 s13, 0, v43
	s_wait_dscnt 0x0
	v_mul_lo_u32 v6, v8, v6
	v_bitop3_b16 v8, v5, v43, v15 bitop3:0xfe
	s_delay_alu instid0(VALU_DEP_2) | instskip(NEXT) | instid1(VALU_DEP_2)
	v_cndmask_b32_e64 v6, 1, v6, s13
	v_cmp_eq_u16_e64 s13, 0, v8
	s_delay_alu instid0(VALU_DEP_2) | instskip(SKIP_2) | instid1(VALU_DEP_2)
	v_mul_lo_u32 v6, v6, v7
	v_and_b32_e32 v5, 1, v3
	v_and_b32_e32 v7, 1, v45
	v_cndmask_b32_e64 v8, 1, v5, s13
	s_delay_alu instid0(VALU_DEP_2) | instskip(NEXT) | instid1(VALU_DEP_1)
	v_cmp_eq_u32_e64 s13, 1, v7
	v_cndmask_b32_e64 v9, v8, 1, s13
	v_cmp_eq_u16_e64 s13, 0, v45
	v_mbcnt_lo_u32_b32 v8, -1, 0
	s_delay_alu instid0(VALU_DEP_3) | instskip(NEXT) | instid1(VALU_DEP_3)
	v_and_b32_e32 v10, 0xffff, v9
	v_cndmask_b32_e64 v7, 1, v6, s13
	v_and_b32_e32 v6, 0xffffff00, v3
	s_delay_alu instid0(VALU_DEP_2) | instskip(NEXT) | instid1(VALU_DEP_2)
	v_mul_lo_u32 v7, v7, v44
	v_or_b32_e32 v11, v6, v10
	v_and_b32_e32 v10, 15, v8
	s_delay_alu instid0(VALU_DEP_2) | instskip(NEXT) | instid1(VALU_DEP_4)
	v_mov_b32_dpp v15, v11 row_shr:1 row_mask:0xf bank_mask:0xf
	v_mov_b32_dpp v14, v7 row_shr:1 row_mask:0xf bank_mask:0xf
	s_delay_alu instid0(VALU_DEP_3)
	v_cmpx_ne_u32_e32 0, v10
	s_cbranch_execz .LBB191_98
; %bb.97:
	v_cmp_eq_u16_e64 s13, 0, v9
	v_and_b32_e32 v11, 1, v9
	s_delay_alu instid0(VALU_DEP_2) | instskip(NEXT) | instid1(VALU_DEP_2)
	v_dual_cndmask_b32 v14, 1, v14, s13 :: v_dual_bitop2_b32 v15, 1, v15 bitop3:0x40
	v_cmp_eq_u32_e64 s13, 1, v11
	s_delay_alu instid0(VALU_DEP_2) | instskip(NEXT) | instid1(VALU_DEP_2)
	v_mul_lo_u32 v7, v14, v7
	v_cndmask_b32_e64 v9, v15, 1, s13
	s_delay_alu instid0(VALU_DEP_1) | instskip(NEXT) | instid1(VALU_DEP_1)
	v_and_b32_e32 v11, 0xffff, v9
	v_or_b32_e32 v11, v6, v11
.LBB191_98:
	s_or_b32 exec_lo, exec_lo, s21
	s_delay_alu instid0(VALU_DEP_2) | instskip(NEXT) | instid1(VALU_DEP_2)
	v_mov_b32_dpp v14, v7 row_shr:2 row_mask:0xf bank_mask:0xf
	v_mov_b32_dpp v15, v11 row_shr:2 row_mask:0xf bank_mask:0xf
	s_mov_b32 s21, exec_lo
	v_cmpx_lt_u32_e32 1, v10
	s_cbranch_execz .LBB191_100
; %bb.99:
	v_cmp_eq_u16_e64 s13, 0, v9
	v_and_b32_e32 v11, 1, v9
	s_delay_alu instid0(VALU_DEP_2) | instskip(NEXT) | instid1(VALU_DEP_2)
	v_dual_cndmask_b32 v14, 1, v14, s13 :: v_dual_bitop2_b32 v15, 1, v15 bitop3:0x40
	v_cmp_eq_u32_e64 s13, 1, v11
	s_delay_alu instid0(VALU_DEP_2) | instskip(NEXT) | instid1(VALU_DEP_2)
	v_mul_lo_u32 v7, v14, v7
	v_cndmask_b32_e64 v9, v15, 1, s13
	s_delay_alu instid0(VALU_DEP_1) | instskip(NEXT) | instid1(VALU_DEP_1)
	v_and_b32_e32 v11, 0xffff, v9
	v_or_b32_e32 v11, v6, v11
.LBB191_100:
	s_or_b32 exec_lo, exec_lo, s21
	s_delay_alu instid0(VALU_DEP_4) | instskip(NEXT) | instid1(VALU_DEP_2)
	v_mov_b32_dpp v14, v7 row_shr:4 row_mask:0xf bank_mask:0xf
	v_mov_b32_dpp v15, v11 row_shr:4 row_mask:0xf bank_mask:0xf
	s_mov_b32 s21, exec_lo
	v_cmpx_lt_u32_e32 3, v10
	s_cbranch_execz .LBB191_102
; %bb.101:
	v_cmp_eq_u16_e64 s13, 0, v9
	v_and_b32_e32 v11, 1, v9
	s_delay_alu instid0(VALU_DEP_2) | instskip(NEXT) | instid1(VALU_DEP_2)
	v_dual_cndmask_b32 v14, 1, v14, s13 :: v_dual_bitop2_b32 v15, 1, v15 bitop3:0x40
	v_cmp_eq_u32_e64 s13, 1, v11
	s_delay_alu instid0(VALU_DEP_2) | instskip(NEXT) | instid1(VALU_DEP_2)
	v_mul_lo_u32 v7, v14, v7
	v_cndmask_b32_e64 v9, v15, 1, s13
	s_delay_alu instid0(VALU_DEP_1) | instskip(NEXT) | instid1(VALU_DEP_1)
	v_and_b32_e32 v11, 0xffff, v9
	v_or_b32_e32 v11, v6, v11
.LBB191_102:
	s_or_b32 exec_lo, exec_lo, s21
	s_delay_alu instid0(VALU_DEP_4) | instskip(NEXT) | instid1(VALU_DEP_2)
	v_mov_b32_dpp v14, v7 row_shr:8 row_mask:0xf bank_mask:0xf
	v_mov_b32_dpp v15, v11 row_shr:8 row_mask:0xf bank_mask:0xf
	s_mov_b32 s21, exec_lo
	v_cmpx_lt_u32_e32 7, v10
	s_cbranch_execz .LBB191_104
; %bb.103:
	v_cmp_eq_u16_e64 s13, 0, v9
	v_and_b32_e32 v10, 1, v9
	s_delay_alu instid0(VALU_DEP_2) | instskip(NEXT) | instid1(VALU_DEP_2)
	v_dual_cndmask_b32 v14, 1, v14, s13 :: v_dual_bitop2_b32 v11, 1, v15 bitop3:0x40
	v_cmp_eq_u32_e64 s13, 1, v10
	s_delay_alu instid0(VALU_DEP_2) | instskip(NEXT) | instid1(VALU_DEP_2)
	v_mul_lo_u32 v7, v14, v7
	v_cndmask_b32_e64 v9, v11, 1, s13
	s_delay_alu instid0(VALU_DEP_1) | instskip(NEXT) | instid1(VALU_DEP_1)
	v_and_b32_e32 v10, 0xffff, v9
	v_or_b32_e32 v11, v6, v10
.LBB191_104:
	s_or_b32 exec_lo, exec_lo, s21
	ds_swizzle_b32 v14, v7 offset:swizzle(BROADCAST,32,15)
	ds_swizzle_b32 v10, v11 offset:swizzle(BROADCAST,32,15)
	v_and_b32_e32 v11, 16, v8
	s_mov_b32 s21, exec_lo
	s_delay_alu instid0(VALU_DEP_1)
	v_cmpx_ne_u32_e32 0, v11
	s_cbranch_execz .LBB191_106
; %bb.105:
	v_cmp_eq_u16_e64 s13, 0, v9
	s_wait_dscnt 0x0
	v_and_b32_e32 v10, 1, v10
	s_delay_alu instid0(VALU_DEP_2) | instskip(NEXT) | instid1(VALU_DEP_1)
	v_dual_cndmask_b32 v11, 1, v14, s13 :: v_dual_bitop2_b32 v9, 1, v9 bitop3:0x40
	v_cmp_eq_u32_e64 s13, 1, v9
	s_delay_alu instid0(VALU_DEP_2) | instskip(NEXT) | instid1(VALU_DEP_2)
	v_mul_lo_u32 v7, v11, v7
	v_cndmask_b32_e64 v9, v10, 1, s13
.LBB191_106:
	s_or_b32 exec_lo, exec_lo, s21
	s_wait_dscnt 0x0
	v_add_nc_u32_e32 v10, -1, v8
	s_delay_alu instid0(VALU_DEP_2) | instskip(SKIP_1) | instid1(VALU_DEP_3)
	v_and_b32_e32 v9, 0xffff, v9
	v_and_b32_e32 v3, 0xff, v3
	; wave barrier
	v_cmp_gt_i32_e64 s13, 0, v10
	s_delay_alu instid0(VALU_DEP_3) | instskip(NEXT) | instid1(VALU_DEP_2)
	v_or_b32_e32 v6, v6, v9
	v_cndmask_b32_e64 v8, v10, v8, s13
	s_delay_alu instid0(VALU_DEP_4) | instskip(NEXT) | instid1(VALU_DEP_2)
	v_cmp_eq_u16_e64 s13, 0, v3
	v_lshlrev_b32_e32 v8, 2, v8
	ds_bpermute_b32 v7, v8, v7
	ds_bpermute_b32 v6, v8, v6
	s_wait_dscnt 0x1
	v_cndmask_b32_e64 v3, 1, v7, s13
	v_cmp_eq_u32_e64 s13, 1, v5
	s_delay_alu instid0(VALU_DEP_2) | instskip(SKIP_1) | instid1(VALU_DEP_1)
	v_mul_lo_u32 v2, v3, v2
	s_wait_dscnt 0x0
	v_dual_cndmask_b32 v5, v2, v12, s2 :: v_dual_bitop2_b32 v3, 1, v6 bitop3:0x40
	s_delay_alu instid0(VALU_DEP_1) | instskip(NEXT) | instid1(VALU_DEP_1)
	v_cndmask_b32_e64 v3, v3, 1, s13
	v_cndmask_b32_e64 v8, v3, v13, s2
	ds_store_b32 v4, v5
	ds_store_b8 v4, v8 offset:4
	; wave barrier
	ds_load_u8 v9, v4 offset:12
	ds_load_2addr_b32 v[2:3], v4 offset0:2 offset1:4
	ds_load_u8 v10, v4 offset:20
	ds_load_u8 v11, v4 offset:28
	;; [unrolled: 1-line block ×5, first 2 shown]
	ds_load_b32 v44, v4 offset:56
	ds_load_u8 v45, v4 offset:60
	ds_load_2addr_b32 v[6:7], v4 offset0:6 offset1:8
	s_wait_dscnt 0x9
	v_cmp_eq_u16_e64 s13, 0, v9
	s_delay_alu instid0(VALU_DEP_1) | instskip(SKIP_3) | instid1(VALU_DEP_3)
	v_cndmask_b32_e64 v5, 1, v5, s13
	s_wait_dscnt 0x7
	v_cmp_eq_u16_e64 s13, 0, v10
	v_and_b32_e32 v10, 1, v10
	v_mul_lo_u32 v5, v5, v2
	s_delay_alu instid0(VALU_DEP_1) | instskip(SKIP_2) | instid1(VALU_DEP_2)
	v_cndmask_b32_e64 v2, 1, v5, s13
	s_wait_dscnt 0x6
	v_cmp_eq_u16_e64 s13, 0, v11
	v_mul_lo_u32 v46, v2, v3
	s_delay_alu instid0(VALU_DEP_1)
	v_cndmask_b32_e64 v2, 1, v46, s13
	s_wait_dscnt 0x5
	v_cmp_eq_u16_e64 s13, 0, v14
	ds_store_2addr_b32 v4, v5, v46 offset0:2 offset1:4
	s_wait_dscnt 0x1
	v_mul_lo_u32 v6, v2, v6
	ds_load_2addr_b32 v[2:3], v4 offset0:10 offset1:12
	v_cndmask_b32_e64 v47, 1, v6, s13
	v_cmp_eq_u16_e64 s13, 0, v15
	s_delay_alu instid0(VALU_DEP_2) | instskip(NEXT) | instid1(VALU_DEP_1)
	v_mul_lo_u32 v7, v47, v7
	v_cndmask_b32_e64 v47, 1, v7, s13
	s_wait_dscnt 0x0
	s_delay_alu instid0(VALU_DEP_1) | instskip(SKIP_1) | instid1(VALU_DEP_1)
	v_mul_lo_u32 v2, v47, v2
	v_and_b32_e32 v9, 1, v9
	v_cmp_eq_u32_e64 s13, 1, v9
	v_and_b32_e32 v9, 1, v11
	s_delay_alu instid0(VALU_DEP_2) | instskip(SKIP_1) | instid1(VALU_DEP_1)
	v_cndmask_b32_e64 v8, v8, 1, s13
	v_cmp_eq_u32_e64 s13, 1, v10
	v_cndmask_b32_e64 v10, v8, 1, s13
	v_cmp_eq_u16_e64 s13, 0, v43
	s_delay_alu instid0(VALU_DEP_1) | instskip(SKIP_1) | instid1(VALU_DEP_2)
	v_cndmask_b32_e64 v11, 1, v2, s13
	v_cmp_eq_u32_e64 s13, 1, v9
	v_mul_lo_u32 v3, v11, v3
	v_and_b32_e32 v14, 1, v14
	s_delay_alu instid0(VALU_DEP_3) | instskip(SKIP_4) | instid1(VALU_DEP_1)
	v_cndmask_b32_e64 v9, v10, 1, s13
	v_and_b32_e32 v11, 1, v15
	v_and_b32_e32 v15, 1, v43
	;; [unrolled: 1-line block ×3, first 2 shown]
	v_cmp_eq_u32_e64 s13, 1, v14
	v_cndmask_b32_e64 v14, v9, 1, s13
	v_cmp_eq_u32_e64 s13, 1, v11
	s_delay_alu instid0(VALU_DEP_1) | instskip(SKIP_1) | instid1(VALU_DEP_1)
	v_cndmask_b32_e64 v11, v14, 1, s13
	v_cmp_eq_u16_e64 s13, 0, v45
	v_cndmask_b32_e64 v45, 1, v3, s13
	v_cmp_eq_u32_e64 s13, 1, v15
	s_delay_alu instid0(VALU_DEP_2) | instskip(NEXT) | instid1(VALU_DEP_2)
	v_mul_lo_u32 v5, v45, v44
	v_cndmask_b32_e64 v15, v11, 1, s13
	v_cmp_eq_u32_e64 s13, 1, v43
	s_delay_alu instid0(VALU_DEP_1)
	v_cndmask_b32_e64 v43, v15, 1, s13
	ds_store_2addr_b32 v4, v6, v7 offset0:6 offset1:8
	ds_store_2addr_b32 v4, v2, v3 offset0:10 offset1:12
	ds_store_b8 v4, v8 offset:12
	ds_store_b8 v4, v10 offset:20
	;; [unrolled: 1-line block ×6, first 2 shown]
	ds_store_b32 v4, v5 offset:56
	ds_store_b8 v4, v43 offset:60
.LBB191_107:
	s_or_b32 exec_lo, exec_lo, s20
	s_wait_dscnt 0x0
	s_barrier_signal -1
	s_barrier_wait -1
	s_and_saveexec_b32 s13, s3
	s_cbranch_execz .LBB191_109
; %bb.108:
	v_add_nc_u32_e32 v2, -1, v0
	s_delay_alu instid0(VALU_DEP_1) | instskip(NEXT) | instid1(VALU_DEP_1)
	v_lshrrev_b32_e32 v3, 2, v2
	v_and_b32_e32 v3, 0x3ffffff8, v3
	s_delay_alu instid0(VALU_DEP_1)
	v_lshl_add_u32 v2, v2, 3, v3
	ds_load_b32 v12, v2
	ds_load_u8 v13, v2 offset:4
.LBB191_109:
	s_or_b32 exec_lo, exec_lo, s13
	s_and_saveexec_b32 s22, vcc_lo
	s_cbranch_execz .LBB191_189
; %bb.110:
	v_mov_b32_e32 v5, 0
	v_mbcnt_lo_u32_b32 v14, -1, 0
	s_mov_b32 s21, 0
	ds_load_b64 v[2:3], v5 offset:2096
	v_cmp_eq_u32_e64 s13, 0, v14
	s_and_saveexec_b32 s23, s13
	s_cbranch_execz .LBB191_112
; %bb.111:
	s_add_co_i32 s20, s34, 32
	v_mov_b32_e32 v4, 1
	s_lshl_b64 s[20:21], s[20:21], 4
	s_delay_alu instid0(SALU_CYCLE_1) | instskip(NEXT) | instid1(SALU_CYCLE_1)
	s_add_nc_u64 s[20:21], s[24:25], s[20:21]
	v_mov_b64_e32 v[6:7], s[20:21]
	s_wait_dscnt 0x0
	;;#ASMSTART
	global_store_b128 v[6:7], v[2:5] off scope:SCOPE_DEV	
s_wait_storecnt 0x0
	;;#ASMEND
.LBB191_112:
	s_or_b32 exec_lo, exec_lo, s23
	v_xad_u32 v8, v14, -1, s34
	s_mov_b32 s20, exec_lo
	s_delay_alu instid0(VALU_DEP_1) | instskip(NEXT) | instid1(VALU_DEP_1)
	v_add_nc_u32_e32 v4, 32, v8
	v_lshl_add_u64 v[10:11], v[4:5], 4, s[24:25]
	;;#ASMSTART
	global_load_b128 v[4:7], v[10:11] off scope:SCOPE_DEV	
s_wait_loadcnt 0x0
	;;#ASMEND
	v_and_b32_e32 v7, 0xff, v6
	v_and_b32_e32 v5, 0xff, v5
	s_delay_alu instid0(VALU_DEP_2)
	v_cmpx_eq_u16_e32 0, v7
	s_cbranch_execz .LBB191_116
; %bb.113:
	s_mov_b32 s21, 0
.LBB191_114:                            ; =>This Inner Loop Header: Depth=1
	;;#ASMSTART
	global_load_b128 v[4:7], v[10:11] off scope:SCOPE_DEV	
s_wait_loadcnt 0x0
	;;#ASMEND
	v_and_b32_e32 v7, 0xff, v6
	s_delay_alu instid0(VALU_DEP_1) | instskip(SKIP_1) | instid1(SALU_CYCLE_1)
	v_cmp_ne_u16_e32 vcc_lo, 0, v7
	s_or_b32 s21, vcc_lo, s21
	s_and_not1_b32 exec_lo, exec_lo, s21
	s_cbranch_execnz .LBB191_114
; %bb.115:
	s_or_b32 exec_lo, exec_lo, s21
	v_and_b32_e32 v5, 0xff, v5
.LBB191_116:
	s_or_b32 exec_lo, exec_lo, s20
	v_cmp_ne_u32_e32 vcc_lo, 31, v14
	v_and_b32_e32 v9, 0xff, v6
	v_lshlrev_b32_e64 v43, v14, -1
	s_mov_b32 s20, exec_lo
	v_add_co_ci_u32_e64 v7, null, 0, v14, vcc_lo
	s_delay_alu instid0(VALU_DEP_3) | instskip(NEXT) | instid1(VALU_DEP_2)
	v_cmp_eq_u16_e32 vcc_lo, 2, v9
	v_dual_mov_b32 v9, v5 :: v_dual_lshlrev_b32 v15, 2, v7
	v_and_or_b32 v7, vcc_lo, v43, 0x80000000
	ds_bpermute_b32 v11, v15, v4
	ds_bpermute_b32 v10, v15, v5
	v_ctz_i32_b32_e32 v7, v7
	s_delay_alu instid0(VALU_DEP_1)
	v_cmpx_lt_u32_e64 v14, v7
	s_cbranch_execz .LBB191_118
; %bb.117:
	s_mov_b64 s[36:37], 0x100000000
	s_wait_dscnt 0x0
	v_and_b32_e32 v10, 1, v10
	v_cmp_gt_u64_e32 vcc_lo, s[36:37], v[4:5]
	v_dual_cndmask_b32 v9, 1, v11, vcc_lo :: v_dual_bitop2_b32 v5, 1, v5 bitop3:0x40
	s_delay_alu instid0(VALU_DEP_1) | instskip(NEXT) | instid1(VALU_DEP_2)
	v_cmp_eq_u32_e32 vcc_lo, 1, v5
	v_mul_lo_u32 v4, v9, v4
	v_cndmask_b32_e64 v5, v10, 1, vcc_lo
	s_delay_alu instid0(VALU_DEP_1)
	v_and_b32_e32 v9, 0xffff, v5
.LBB191_118:
	s_or_b32 exec_lo, exec_lo, s20
	v_cmp_gt_u32_e32 vcc_lo, 30, v14
	v_add_nc_u32_e32 v45, 2, v14
	s_mov_b32 s20, exec_lo
	s_wait_dscnt 0x0
	v_cndmask_b32_e64 v10, 0, 2, vcc_lo
	s_delay_alu instid0(VALU_DEP_1)
	v_add_lshl_u32 v44, v10, v14, 2
	ds_bpermute_b32 v11, v44, v4
	ds_bpermute_b32 v10, v44, v9
	v_cmpx_le_u32_e64 v45, v7
	s_cbranch_execz .LBB191_120
; %bb.119:
	v_cmp_eq_u16_e32 vcc_lo, 0, v5
	s_wait_dscnt 0x0
	v_and_b32_e32 v10, 1, v10
	v_dual_cndmask_b32 v9, 1, v11, vcc_lo :: v_dual_bitop2_b32 v5, 1, v5 bitop3:0x40
	s_delay_alu instid0(VALU_DEP_1) | instskip(NEXT) | instid1(VALU_DEP_2)
	v_cmp_eq_u32_e32 vcc_lo, 1, v5
	v_mul_lo_u32 v4, v9, v4
	s_delay_alu instid0(VALU_DEP_4) | instskip(NEXT) | instid1(VALU_DEP_1)
	v_cndmask_b32_e64 v5, v10, 1, vcc_lo
	v_and_b32_e32 v9, 0xffff, v5
.LBB191_120:
	s_or_b32 exec_lo, exec_lo, s20
	v_cmp_gt_u32_e32 vcc_lo, 28, v14
	v_add_nc_u32_e32 v47, 4, v14
	s_mov_b32 s20, exec_lo
	s_wait_dscnt 0x0
	v_cndmask_b32_e64 v10, 0, 4, vcc_lo
	s_delay_alu instid0(VALU_DEP_1)
	v_add_lshl_u32 v46, v10, v14, 2
	ds_bpermute_b32 v11, v46, v4
	ds_bpermute_b32 v10, v46, v9
	v_cmpx_le_u32_e64 v47, v7
	s_cbranch_execz .LBB191_122
; %bb.121:
	v_cmp_eq_u16_e32 vcc_lo, 0, v5
	s_wait_dscnt 0x0
	v_and_b32_e32 v10, 1, v10
	v_dual_cndmask_b32 v9, 1, v11, vcc_lo :: v_dual_bitop2_b32 v5, 1, v5 bitop3:0x40
	s_delay_alu instid0(VALU_DEP_1) | instskip(NEXT) | instid1(VALU_DEP_2)
	v_cmp_eq_u32_e32 vcc_lo, 1, v5
	v_mul_lo_u32 v4, v9, v4
	s_delay_alu instid0(VALU_DEP_4) | instskip(NEXT) | instid1(VALU_DEP_1)
	v_cndmask_b32_e64 v5, v10, 1, vcc_lo
	v_and_b32_e32 v9, 0xffff, v5
.LBB191_122:
	s_or_b32 exec_lo, exec_lo, s20
	v_cmp_gt_u32_e32 vcc_lo, 24, v14
	v_add_nc_u32_e32 v49, 8, v14
	s_mov_b32 s20, exec_lo
	s_wait_dscnt 0x0
	v_cndmask_b32_e64 v10, 0, 8, vcc_lo
	s_delay_alu instid0(VALU_DEP_1)
	v_add_lshl_u32 v48, v10, v14, 2
	ds_bpermute_b32 v11, v48, v4
	ds_bpermute_b32 v10, v48, v9
	v_cmpx_le_u32_e64 v49, v7
	s_cbranch_execz .LBB191_124
; %bb.123:
	v_cmp_eq_u16_e32 vcc_lo, 0, v5
	s_wait_dscnt 0x0
	v_and_b32_e32 v10, 1, v10
	v_dual_cndmask_b32 v9, 1, v11, vcc_lo :: v_dual_bitop2_b32 v5, 1, v5 bitop3:0x40
	s_delay_alu instid0(VALU_DEP_1) | instskip(NEXT) | instid1(VALU_DEP_2)
	v_cmp_eq_u32_e32 vcc_lo, 1, v5
	v_mul_lo_u32 v4, v9, v4
	s_delay_alu instid0(VALU_DEP_4) | instskip(NEXT) | instid1(VALU_DEP_1)
	v_cndmask_b32_e64 v5, v10, 1, vcc_lo
	v_and_b32_e32 v9, 0xffff, v5
.LBB191_124:
	s_or_b32 exec_lo, exec_lo, s20
	v_lshl_or_b32 v52, v14, 2, 64
	v_add_nc_u32_e32 v53, 16, v14
	s_mov_b32 s20, exec_lo
	s_wait_dscnt 0x0
	ds_bpermute_b32 v10, v52, v4
	ds_bpermute_b32 v9, v52, v9
	v_cmpx_le_u32_e64 v53, v7
	s_cbranch_execz .LBB191_126
; %bb.125:
	v_cmp_eq_u16_e32 vcc_lo, 0, v5
	s_wait_dscnt 0x1
	v_dual_cndmask_b32 v7, 1, v10, vcc_lo :: v_dual_bitop2_b32 v5, 1, v5 bitop3:0x40
	s_delay_alu instid0(VALU_DEP_1) | instskip(NEXT) | instid1(VALU_DEP_2)
	v_cmp_eq_u32_e32 vcc_lo, 1, v5
	v_mul_lo_u32 v4, v7, v4
	s_wait_dscnt 0x0
	v_and_b32_e32 v7, 1, v9
	s_delay_alu instid0(VALU_DEP_1)
	v_cndmask_b32_e64 v5, v7, 1, vcc_lo
.LBB191_126:
	s_or_b32 exec_lo, exec_lo, s20
	s_wait_dscnt 0x0
	v_mov_b32_e32 v9, 0
	s_mov_b64 s[20:21], 0x100000000
	s_branch .LBB191_129
.LBB191_127:                            ;   in Loop: Header=BB191_129 Depth=1
	s_or_b32 exec_lo, exec_lo, s23
	v_and_b32_e32 v7, 0xff, v50
	s_delay_alu instid0(VALU_DEP_2) | instskip(SKIP_2) | instid1(VALU_DEP_3)
	v_and_b32_e32 v5, 1, v5
	v_subrev_nc_u32_e32 v8, 32, v8
	s_mov_b32 s23, 0
	v_cmp_eq_u16_e32 vcc_lo, 0, v7
	v_dual_cndmask_b32 v4, 1, v4, vcc_lo :: v_dual_bitop2_b32 v7, 1, v50 bitop3:0x40
	s_delay_alu instid0(VALU_DEP_1) | instskip(NEXT) | instid1(VALU_DEP_2)
	v_cmp_eq_u32_e32 vcc_lo, 1, v7
	v_mul_lo_u32 v4, v4, v51
	v_cndmask_b32_e64 v5, v5, 1, vcc_lo
.LBB191_128:                            ;   in Loop: Header=BB191_129 Depth=1
	s_and_b32 vcc_lo, exec_lo, s23
	s_cbranch_vccnz .LBB191_185
.LBB191_129:                            ; =>This Loop Header: Depth=1
                                        ;     Child Loop BB191_132 Depth 2
	v_and_b32_e32 v6, 0xff, v6
	s_delay_alu instid0(VALU_DEP_2) | instskip(SKIP_1) | instid1(VALU_DEP_2)
	v_dual_mov_b32 v50, v5 :: v_dual_mov_b32 v51, v4
	s_mov_b32 s23, -1
	v_cmp_ne_u16_e32 vcc_lo, 2, v6
                                        ; implicit-def: $vgpr5
	s_cmp_lg_u32 vcc_lo, exec_lo
	s_cbranch_scc1 .LBB191_128
; %bb.130:                              ;   in Loop: Header=BB191_129 Depth=1
	s_wait_dscnt 0x0
	v_lshl_add_u64 v[10:11], v[8:9], 4, s[24:25]
	;;#ASMSTART
	global_load_b128 v[4:7], v[10:11] off scope:SCOPE_DEV	
s_wait_loadcnt 0x0
	;;#ASMEND
	v_and_b32_e32 v7, 0xff, v6
	v_and_b32_e32 v5, 0xff, v5
	s_mov_b32 s23, exec_lo
	s_delay_alu instid0(VALU_DEP_2)
	v_cmpx_eq_u16_e32 0, v7
	s_cbranch_execz .LBB191_134
; %bb.131:                              ;   in Loop: Header=BB191_129 Depth=1
	s_mov_b32 s35, 0
.LBB191_132:                            ;   Parent Loop BB191_129 Depth=1
                                        ; =>  This Inner Loop Header: Depth=2
	;;#ASMSTART
	global_load_b128 v[4:7], v[10:11] off scope:SCOPE_DEV	
s_wait_loadcnt 0x0
	;;#ASMEND
	v_and_b32_e32 v7, 0xff, v6
	s_delay_alu instid0(VALU_DEP_1) | instskip(SKIP_1) | instid1(SALU_CYCLE_1)
	v_cmp_ne_u16_e32 vcc_lo, 0, v7
	s_or_b32 s35, vcc_lo, s35
	s_and_not1_b32 exec_lo, exec_lo, s35
	s_cbranch_execnz .LBB191_132
; %bb.133:                              ;   in Loop: Header=BB191_129 Depth=1
	s_or_b32 exec_lo, exec_lo, s35
	v_and_b32_e32 v5, 0xff, v5
.LBB191_134:                            ;   in Loop: Header=BB191_129 Depth=1
	s_or_b32 exec_lo, exec_lo, s23
	v_and_b32_e32 v7, 0xff, v6
	ds_bpermute_b32 v54, v15, v4
	ds_bpermute_b32 v11, v15, v5
	v_mov_b32_e32 v10, v5
	s_mov_b32 s23, exec_lo
	v_cmp_eq_u16_e32 vcc_lo, 2, v7
	v_and_or_b32 v7, vcc_lo, v43, 0x80000000
	s_delay_alu instid0(VALU_DEP_1) | instskip(NEXT) | instid1(VALU_DEP_1)
	v_ctz_i32_b32_e32 v7, v7
	v_cmpx_lt_u32_e64 v14, v7
	s_cbranch_execz .LBB191_136
; %bb.135:                              ;   in Loop: Header=BB191_129 Depth=1
	v_cmp_gt_u64_e32 vcc_lo, s[20:21], v[4:5]
	s_wait_dscnt 0x0
	v_and_b32_e32 v11, 1, v11
	v_dual_cndmask_b32 v10, 1, v54, vcc_lo :: v_dual_bitop2_b32 v5, 1, v5 bitop3:0x40
	s_delay_alu instid0(VALU_DEP_1) | instskip(NEXT) | instid1(VALU_DEP_2)
	v_cmp_eq_u32_e32 vcc_lo, 1, v5
	v_mul_lo_u32 v4, v10, v4
	s_delay_alu instid0(VALU_DEP_4) | instskip(NEXT) | instid1(VALU_DEP_1)
	v_cndmask_b32_e64 v5, v11, 1, vcc_lo
	v_and_b32_e32 v10, 0xffff, v5
.LBB191_136:                            ;   in Loop: Header=BB191_129 Depth=1
	s_or_b32 exec_lo, exec_lo, s23
	s_wait_dscnt 0x1
	ds_bpermute_b32 v54, v44, v4
	s_wait_dscnt 0x1
	ds_bpermute_b32 v11, v44, v10
	s_mov_b32 s23, exec_lo
	v_cmpx_le_u32_e64 v45, v7
	s_cbranch_execz .LBB191_138
; %bb.137:                              ;   in Loop: Header=BB191_129 Depth=1
	v_cmp_eq_u16_e32 vcc_lo, 0, v5
	s_wait_dscnt 0x0
	v_and_b32_e32 v11, 1, v11
	v_dual_cndmask_b32 v10, 1, v54, vcc_lo :: v_dual_bitop2_b32 v5, 1, v5 bitop3:0x40
	s_delay_alu instid0(VALU_DEP_1) | instskip(NEXT) | instid1(VALU_DEP_2)
	v_cmp_eq_u32_e32 vcc_lo, 1, v5
	v_mul_lo_u32 v4, v10, v4
	s_delay_alu instid0(VALU_DEP_4) | instskip(NEXT) | instid1(VALU_DEP_1)
	v_cndmask_b32_e64 v5, v11, 1, vcc_lo
	v_and_b32_e32 v10, 0xffff, v5
.LBB191_138:                            ;   in Loop: Header=BB191_129 Depth=1
	s_or_b32 exec_lo, exec_lo, s23
	s_wait_dscnt 0x1
	ds_bpermute_b32 v54, v46, v4
	s_wait_dscnt 0x1
	ds_bpermute_b32 v11, v46, v10
	s_mov_b32 s23, exec_lo
	v_cmpx_le_u32_e64 v47, v7
	s_cbranch_execz .LBB191_140
; %bb.139:                              ;   in Loop: Header=BB191_129 Depth=1
	v_cmp_eq_u16_e32 vcc_lo, 0, v5
	s_wait_dscnt 0x0
	v_and_b32_e32 v11, 1, v11
	v_dual_cndmask_b32 v10, 1, v54, vcc_lo :: v_dual_bitop2_b32 v5, 1, v5 bitop3:0x40
	s_delay_alu instid0(VALU_DEP_1) | instskip(NEXT) | instid1(VALU_DEP_2)
	v_cmp_eq_u32_e32 vcc_lo, 1, v5
	v_mul_lo_u32 v4, v10, v4
	s_delay_alu instid0(VALU_DEP_4) | instskip(NEXT) | instid1(VALU_DEP_1)
	v_cndmask_b32_e64 v5, v11, 1, vcc_lo
	v_and_b32_e32 v10, 0xffff, v5
.LBB191_140:                            ;   in Loop: Header=BB191_129 Depth=1
	;; [unrolled: 20-line block ×3, first 2 shown]
	s_or_b32 exec_lo, exec_lo, s23
	s_wait_dscnt 0x0
	ds_bpermute_b32 v11, v52, v4
	ds_bpermute_b32 v10, v52, v10
	s_mov_b32 s23, exec_lo
	v_cmpx_le_u32_e64 v53, v7
	s_cbranch_execz .LBB191_127
; %bb.143:                              ;   in Loop: Header=BB191_129 Depth=1
	v_cmp_eq_u16_e32 vcc_lo, 0, v5
	s_wait_dscnt 0x1
	v_dual_cndmask_b32 v7, 1, v11, vcc_lo :: v_dual_bitop2_b32 v5, 1, v5 bitop3:0x40
	s_delay_alu instid0(VALU_DEP_1) | instskip(NEXT) | instid1(VALU_DEP_2)
	v_cmp_eq_u32_e32 vcc_lo, 1, v5
	v_mul_lo_u32 v4, v7, v4
	s_wait_dscnt 0x0
	v_cndmask_b32_e64 v5, v10, 1, vcc_lo
	s_branch .LBB191_127
.LBB191_144:
                                        ; implicit-def: $vgpr13
                                        ; implicit-def: $vgpr5
                                        ; implicit-def: $vgpr9
                                        ; implicit-def: $vgpr14_vgpr15
	s_cbranch_execnz .LBB191_192
.LBB191_145:
	s_add_nc_u64 s[0:1], s[14:15], s[28:29]
	s_and_b32 vcc_lo, exec_lo, s27
	s_add_nc_u64 s[0:1], s[0:1], s[16:17]
	s_cbranch_vccz .LBB191_211
.LBB191_146:
	v_mul_u32_u24_e32 v1, 12, v0
	s_add_co_i32 s33, s33, s26
	s_mov_b32 s2, exec_lo
	s_delay_alu instid0(VALU_DEP_1)
	v_cmpx_gt_u32_e64 s33, v1
	s_cbranch_execz .LBB191_162
; %bb.147:
	v_or_b32_e32 v17, 1, v1
	s_mov_b32 s3, exec_lo
	s_delay_alu instid0(VALU_DEP_1)
	v_cmpx_gt_u32_e64 s33, v17
	s_cbranch_execz .LBB191_161
; %bb.148:
	v_or_b32_e32 v17, 2, v1
	;; [unrolled: 6-line block ×3, first 2 shown]
	s_mov_b32 s5, exec_lo
	s_delay_alu instid0(VALU_DEP_1)
	v_cmpx_gt_u32_e64 s33, v17
	s_cbranch_execz .LBB191_159
; %bb.150:
	v_add_nc_u32_e32 v17, 4, v1
	s_mov_b32 s6, exec_lo
	s_delay_alu instid0(VALU_DEP_1)
	v_cmpx_gt_u32_e64 s33, v17
	s_cbranch_execz .LBB191_158
; %bb.151:
	v_add_nc_u32_e32 v17, 5, v1
	;; [unrolled: 6-line block ×4, first 2 shown]
	s_mov_b32 s9, exec_lo
	s_delay_alu instid0(VALU_DEP_1)
	v_cmpx_gt_u32_e64 s33, v17
; %bb.154:
	v_add_nc_u32_e32 v17, 8, v1
	s_mov_b32 s10, exec_lo
	s_delay_alu instid0(VALU_DEP_1)
	v_cmpx_gt_u32_e64 s33, v17
	s_or_b32 exec_lo, exec_lo, s10
; %bb.155:
	s_delay_alu instid0(SALU_CYCLE_1)
	s_or_b32 exec_lo, exec_lo, s9
.LBB191_156:
	s_delay_alu instid0(SALU_CYCLE_1)
	s_or_b32 exec_lo, exec_lo, s8
.LBB191_157:
	s_delay_alu instid0(SALU_CYCLE_1)
	s_or_b32 exec_lo, exec_lo, s7
.LBB191_158:
	s_delay_alu instid0(SALU_CYCLE_1)
	s_or_b32 exec_lo, exec_lo, s6
.LBB191_159:
	s_delay_alu instid0(SALU_CYCLE_1)
	s_or_b32 exec_lo, exec_lo, s5
.LBB191_160:
	s_delay_alu instid0(SALU_CYCLE_1)
	s_or_b32 exec_lo, exec_lo, s4
.LBB191_161:
	s_delay_alu instid0(SALU_CYCLE_1)
	s_or_b32 exec_lo, exec_lo, s3
.LBB191_162:
	s_delay_alu instid0(SALU_CYCLE_1)
	s_or_b32 exec_lo, exec_lo, s2
	v_dual_lshlrev_b32 v1, 2, v1 :: v_dual_mov_b32 v17, 0
	s_barrier_signal -1
	s_barrier_wait -1
	ds_store_b128 v1, v[6:9]
	ds_store_b128 v1, v[2:5] offset:16
	ds_store_b128 v1, v[10:13] offset:32
	v_mad_i32_i24 v6, 0xffffffd4, v0, v1
	s_wait_dscnt 0x0
	s_barrier_signal -1
	s_barrier_wait -1
	ds_load_2addr_stride64_b32 v[26:27], v6 offset0:4 offset1:8
	ds_load_2addr_stride64_b32 v[24:25], v6 offset0:12 offset1:16
	;; [unrolled: 1-line block ×5, first 2 shown]
	ds_load_b32 v7, v6 offset:11264
	v_add_nc_u64_e32 v[16:17], s[0:1], v[16:17]
	s_mov_b32 s2, exec_lo
	v_cmpx_gt_u32_e64 s33, v0
	s_cbranch_execz .LBB191_164
; %bb.163:
	v_mul_i32_i24_e32 v6, 0xffffffd4, v0
	s_delay_alu instid0(VALU_DEP_1)
	v_add_nc_u32_e32 v1, v1, v6
	ds_load_b32 v1, v1
	s_wait_dscnt 0x0
	flat_store_b32 v[16:17], v1
.LBB191_164:
	s_wait_xcnt 0x0
	s_or_b32 exec_lo, exec_lo, s2
	v_or_b32_e32 v1, 0x100, v0
	s_mov_b32 s2, exec_lo
	s_delay_alu instid0(VALU_DEP_1)
	v_cmpx_gt_u32_e64 s33, v1
	s_cbranch_execz .LBB191_166
; %bb.165:
	s_wait_dscnt 0x5
	flat_store_b32 v[16:17], v26 offset:1024
.LBB191_166:
	s_wait_xcnt 0x0
	s_or_b32 exec_lo, exec_lo, s2
	v_or_b32_e32 v1, 0x200, v0
	s_mov_b32 s2, exec_lo
	s_delay_alu instid0(VALU_DEP_1)
	v_cmpx_gt_u32_e64 s33, v1
	s_cbranch_execz .LBB191_168
; %bb.167:
	s_wait_dscnt 0x5
	flat_store_b32 v[16:17], v27 offset:2048
.LBB191_168:
	;; [unrolled: 11-line block ×10, first 2 shown]
	s_wait_xcnt 0x0
	s_or_b32 exec_lo, exec_lo, s2
	v_or_b32_e32 v1, 0xb00, v0
	s_delay_alu instid0(VALU_DEP_1)
	v_cmp_gt_u32_e64 s2, s33, v1
	s_branch .LBB191_213
.LBB191_185:
	s_and_saveexec_b32 s20, s13
	s_cbranch_execz .LBB191_187
; %bb.186:
	v_and_b32_e32 v4, 0xff, v3
	v_and_b32_e32 v3, 1, v3
	s_mov_b32 s35, 0
	s_add_co_i32 s34, s34, 32
	v_and_b32_e32 v5, 1, v50
	v_cmp_eq_u32_e32 vcc_lo, 0, v4
	s_lshl_b64 s[34:35], s[34:35], 4
	s_delay_alu instid0(SALU_CYCLE_1) | instskip(SKIP_2) | instid1(VALU_DEP_2)
	s_add_nc_u64 s[34:35], s[24:25], s[34:35]
	v_cndmask_b32_e32 v4, 1, v51, vcc_lo
	v_mov_b64_e32 v[6:7], s[34:35]
	v_mul_lo_u32 v2, v4, v2
	v_mov_b32_e32 v4, 2
	v_cmp_eq_u32_e32 vcc_lo, 1, v3
	v_cndmask_b32_e64 v3, v5, 1, vcc_lo
	v_mov_b32_e32 v5, 0
	;;#ASMSTART
	global_store_b128 v[6:7], v[2:5] off scope:SCOPE_DEV	
s_wait_storecnt 0x0
	;;#ASMEND
.LBB191_187:
	s_or_b32 exec_lo, exec_lo, s20
	s_delay_alu instid0(SALU_CYCLE_1)
	s_and_b32 exec_lo, exec_lo, s2
	s_cbranch_execz .LBB191_189
; %bb.188:
	v_mov_b32_e32 v2, 0
	ds_store_b32 v2, v51
	ds_store_b8 v2, v50 offset:4
.LBB191_189:
	s_or_b32 exec_lo, exec_lo, s22
	v_dual_mov_b32 v2, 0 :: v_dual_mov_b32 v4, v19
	s_wait_dscnt 0x0
	s_barrier_signal -1
	s_barrier_wait -1
	ds_load_b32 v2, v2
	v_mov_b32_e32 v3, v18
	s_and_saveexec_b32 s13, s3
	s_cbranch_execz .LBB191_191
; %bb.190:
	s_mov_b64 s[20:21], 0x100000000
	v_and_b32_e32 v4, 1, v19
	v_cmp_gt_u64_e32 vcc_lo, s[20:21], v[18:19]
	v_cndmask_b32_e32 v3, 1, v12, vcc_lo
	s_delay_alu instid0(VALU_DEP_3) | instskip(NEXT) | instid1(VALU_DEP_2)
	v_cmp_eq_u32_e32 vcc_lo, 1, v4
	v_mul_lo_u32 v3, v3, v18
	v_cndmask_b32_e64 v4, v13, 1, vcc_lo
.LBB191_191:
	s_or_b32 exec_lo, exec_lo, s13
	s_delay_alu instid0(VALU_DEP_1) | instskip(NEXT) | instid1(VALU_DEP_1)
	v_and_b32_e32 v4, 0xff, v4
	v_cmp_eq_u16_e32 vcc_lo, 0, v4
	s_wait_dscnt 0x0
	v_cndmask_b32_e32 v2, 1, v2, vcc_lo
	s_delay_alu instid0(VALU_DEP_1) | instskip(NEXT) | instid1(VALU_DEP_1)
	v_mul_lo_u32 v6, v2, v3
	v_cndmask_b32_e64 v2, 1, v6, s0
	s_delay_alu instid0(VALU_DEP_1) | instskip(NEXT) | instid1(VALU_DEP_1)
	v_mul_lo_u32 v7, v2, v38
	v_cndmask_b32_e64 v2, 1, v7, s1
	v_mov_b64_e32 v[14:15], v[6:7]
	s_delay_alu instid0(VALU_DEP_2) | instskip(NEXT) | instid1(VALU_DEP_1)
	v_mul_lo_u32 v8, v2, v36
	v_cndmask_b32_e64 v2, 1, v8, s4
	s_delay_alu instid0(VALU_DEP_1) | instskip(NEXT) | instid1(VALU_DEP_1)
	v_mul_lo_u32 v9, v2, v34
	v_cndmask_b32_e64 v2, 1, v9, s5
	s_delay_alu instid0(VALU_DEP_1) | instskip(NEXT) | instid1(VALU_DEP_1)
	;; [unrolled: 3-line block ×8, first 2 shown]
	v_mul_lo_u32 v12, v12, v20
	v_cndmask_b32_e64 v13, 1, v12, s12
	s_delay_alu instid0(VALU_DEP_1)
	v_mul_lo_u32 v13, v13, v40
	s_branch .LBB191_145
.LBB191_192:
	s_cmp_lg_u64 s[30:31], 0
	s_cselect_b32 s0, -1, 0
	s_cmp_lg_u64 s[18:19], 0
	s_cselect_b32 s1, -1, 0
	s_delay_alu instid0(SALU_CYCLE_1) | instskip(NEXT) | instid1(SALU_CYCLE_1)
	s_and_b32 s0, s0, s1
	s_and_b32 s1, s2, s0
	s_delay_alu instid0(SALU_CYCLE_1)
	s_and_saveexec_b32 s0, s1
	s_cbranch_execz .LBB191_194
; %bb.193:
	s_mov_b64 s[4:5], 0x100000000
	s_delay_alu instid0(SALU_CYCLE_1)
	v_cmp_gt_u64_e32 vcc_lo, s[4:5], v[18:19]
	v_mov_b32_e32 v2, 0
	s_clause 0x1
	global_load_b32 v3, v2, s[18:19]
	global_load_u8 v4, v2, s[18:19] offset:4
	s_wait_loadcnt 0x0
	v_dual_cndmask_b32 v3, 1, v3, vcc_lo :: v_dual_bitop2_b32 v4, 1, v4 bitop3:0x40
	s_delay_alu instid0(VALU_DEP_1) | instskip(SKIP_1) | instid1(VALU_DEP_1)
	v_mul_lo_u32 v18, v3, v18
	v_and_b32_e32 v3, 1, v19
	v_cmp_eq_u64_e32 vcc_lo, 0, v[2:3]
	s_delay_alu instid0(VALU_DEP_4)
	v_cndmask_b32_e32 v19, 1, v4, vcc_lo
.LBB191_194:
	s_or_b32 exec_lo, exec_lo, s0
	s_mov_b64 s[12:13], 0x100000000
	v_or3_b32 v13, v42, v29, v31
	v_cmp_gt_u64_e32 vcc_lo, s[12:13], v[38:39]
	v_cmp_gt_u64_e64 s6, s[12:13], v[28:29]
	v_cmp_gt_u64_e64 s0, s[12:13], v[36:37]
	;; [unrolled: 1-line block ×6, first 2 shown]
	v_cndmask_b32_e32 v2, 1, v18, vcc_lo
	v_cmp_gt_u64_e64 s9, s[12:13], v[22:23]
	v_cmp_gt_u64_e64 s5, s[12:13], v[30:31]
	;; [unrolled: 1-line block ×4, first 2 shown]
	v_mul_lo_u32 v7, v2, v38
	s_mov_b32 s13, exec_lo
	s_delay_alu instid0(VALU_DEP_1) | instskip(NEXT) | instid1(VALU_DEP_1)
	v_dual_mov_b32 v14, 0 :: v_dual_cndmask_b32 v2, 1, v7, s0
	v_mul_lo_u32 v8, v2, v36
	s_delay_alu instid0(VALU_DEP_1) | instskip(NEXT) | instid1(VALU_DEP_1)
	v_cndmask_b32_e64 v2, 1, v8, s1
	v_mul_lo_u32 v9, v2, v34
	s_delay_alu instid0(VALU_DEP_1) | instskip(NEXT) | instid1(VALU_DEP_1)
	v_cndmask_b32_e64 v2, 1, v9, s4
	;; [unrolled: 3-line block ×8, first 2 shown]
	v_mul_lo_u32 v12, v6, v20
	v_or3_b32 v6, v13, v33, v35
	s_delay_alu instid0(VALU_DEP_1) | instskip(NEXT) | instid1(VALU_DEP_1)
	v_or3_b32 v6, v6, v37, v39
	v_or3_b32 v6, v41, v17, v6
	s_delay_alu instid0(VALU_DEP_4) | instskip(NEXT) | instid1(VALU_DEP_2)
	v_cndmask_b32_e64 v13, 1, v12, s11
	v_and_b32_e32 v15, 0xff, v6
	s_delay_alu instid0(VALU_DEP_2) | instskip(NEXT) | instid1(VALU_DEP_2)
	v_mul_lo_u32 v13, v13, v40
	v_cmp_eq_u64_e64 s12, 0, v[14:15]
	s_delay_alu instid0(VALU_DEP_1) | instskip(NEXT) | instid1(VALU_DEP_1)
	v_dual_cndmask_b32 v6, 1, v19, s12 :: v_dual_bitop2_b32 v1, 56, v1 bitop3:0x40
	v_lshl_add_u32 v1, v0, 3, v1
	ds_store_b32 v1, v13
	ds_store_b8 v1, v6 offset:4
	s_wait_dscnt 0x0
	s_barrier_signal -1
	s_barrier_wait -1
	v_cmpx_gt_u32_e32 32, v0
	s_cbranch_execz .LBB191_206
; %bb.195:
	v_dual_lshlrev_b32 v1, 1, v0 :: v_dual_lshlrev_b32 v14, 6, v0
	s_mov_b32 s18, exec_lo
	s_delay_alu instid0(VALU_DEP_1) | instskip(NEXT) | instid1(VALU_DEP_1)
	v_and_b32_e32 v1, 0x1f8, v1
	v_add_nc_u32_e32 v1, v1, v14
	ds_load_u8 v17, v1 offset:12
	ds_load_b64 v[14:15], v1
	ds_load_2addr_b32 v[42:43], v1 offset0:2 offset1:4
	ds_load_u8 v21, v1 offset:20
	ds_load_u8 v23, v1 offset:28
	;; [unrolled: 1-line block ×5, first 2 shown]
	ds_load_b32 v31, v1 offset:56
	s_wait_dscnt 0x8
	v_cmp_eq_u16_e64 s12, 0, v17
	s_wait_dscnt 0x5
	s_delay_alu instid0(VALU_DEP_1)
	v_dual_cndmask_b32 v33, 1, v14, s12 :: v_dual_bitop2_b32 v17, v21, v17 bitop3:0x54
	v_cmp_eq_u16_e64 s12, 0, v21
	ds_load_2addr_b32 v[44:45], v1 offset0:6 offset1:8
	s_wait_dscnt 0x4
	v_bitop3_b16 v17, v17, v25, v23 bitop3:0xfe
	ds_load_u8 v35, v1 offset:60
	v_mul_lo_u32 v33, v33, v42
	s_delay_alu instid0(VALU_DEP_1)
	v_cndmask_b32_e64 v33, 1, v33, s12
	v_cmp_eq_u16_e64 s12, 0, v23
	s_wait_dscnt 0x3
	v_bitop3_b16 v23, v17, v29, v27 bitop3:0xfe
	v_and_b32_e32 v17, 1, v15
	v_mul_lo_u32 v33, v33, v43
	ds_load_2addr_b32 v[42:43], v1 offset0:10 offset1:12
	v_cndmask_b32_e64 v33, 1, v33, s12
	v_cmp_eq_u16_e64 s12, 0, v25
	s_wait_dscnt 0x1
	v_and_b32_e32 v25, 1, v35
	s_delay_alu instid0(VALU_DEP_3) | instskip(NEXT) | instid1(VALU_DEP_1)
	v_mul_lo_u32 v33, v33, v44
	v_cndmask_b32_e64 v33, 1, v33, s12
	v_cmp_eq_u16_e64 s12, 0, v27
	s_delay_alu instid0(VALU_DEP_2) | instskip(NEXT) | instid1(VALU_DEP_1)
	v_mul_lo_u32 v33, v33, v45
	v_cndmask_b32_e64 v33, 1, v33, s12
	v_cmp_eq_u16_e64 s12, 0, v29
	s_wait_dscnt 0x0
	s_delay_alu instid0(VALU_DEP_2) | instskip(NEXT) | instid1(VALU_DEP_1)
	v_mul_lo_u32 v33, v33, v42
	v_cndmask_b32_e64 v21, 1, v33, s12
	v_cmp_eq_u16_e64 s12, 0, v23
	s_delay_alu instid0(VALU_DEP_2) | instskip(NEXT) | instid1(VALU_DEP_2)
	v_mul_lo_u32 v21, v21, v43
	v_cndmask_b32_e64 v23, 1, v17, s12
	v_cmp_eq_u32_e64 s12, 1, v25
	v_mbcnt_lo_u32_b32 v25, -1, 0
	s_delay_alu instid0(VALU_DEP_2) | instskip(SKIP_1) | instid1(VALU_DEP_2)
	v_cndmask_b32_e64 v27, v23, 1, s12
	v_cmp_eq_u16_e64 s12, 0, v35
	v_and_b32_e32 v29, 0xffff, v27
	s_delay_alu instid0(VALU_DEP_2) | instskip(SKIP_1) | instid1(VALU_DEP_2)
	v_cndmask_b32_e64 v23, 1, v21, s12
	v_and_b32_e32 v21, 0xffffff00, v15
	v_mul_lo_u32 v23, v23, v31
	s_delay_alu instid0(VALU_DEP_2) | instskip(SKIP_1) | instid1(VALU_DEP_2)
	v_or_b32_e32 v31, v21, v29
	v_and_b32_e32 v29, 15, v25
	v_mov_b32_dpp v35, v31 row_shr:1 row_mask:0xf bank_mask:0xf
	s_delay_alu instid0(VALU_DEP_4) | instskip(NEXT) | instid1(VALU_DEP_3)
	v_mov_b32_dpp v33, v23 row_shr:1 row_mask:0xf bank_mask:0xf
	v_cmpx_ne_u32_e32 0, v29
	s_cbranch_execz .LBB191_197
; %bb.196:
	v_cmp_eq_u16_e64 s12, 0, v27
	v_and_b32_e32 v31, 1, v27
	s_delay_alu instid0(VALU_DEP_2) | instskip(NEXT) | instid1(VALU_DEP_2)
	v_dual_cndmask_b32 v33, 1, v33, s12 :: v_dual_bitop2_b32 v35, 1, v35 bitop3:0x40
	v_cmp_eq_u32_e64 s12, 1, v31
	s_delay_alu instid0(VALU_DEP_2) | instskip(NEXT) | instid1(VALU_DEP_2)
	v_mul_lo_u32 v23, v33, v23
	v_cndmask_b32_e64 v27, v35, 1, s12
	s_delay_alu instid0(VALU_DEP_1) | instskip(NEXT) | instid1(VALU_DEP_1)
	v_and_b32_e32 v31, 0xffff, v27
	v_or_b32_e32 v31, v21, v31
.LBB191_197:
	s_or_b32 exec_lo, exec_lo, s18
	s_delay_alu instid0(VALU_DEP_2) | instskip(NEXT) | instid1(VALU_DEP_2)
	v_mov_b32_dpp v33, v23 row_shr:2 row_mask:0xf bank_mask:0xf
	v_mov_b32_dpp v35, v31 row_shr:2 row_mask:0xf bank_mask:0xf
	s_mov_b32 s18, exec_lo
	v_cmpx_lt_u32_e32 1, v29
	s_cbranch_execz .LBB191_199
; %bb.198:
	v_cmp_eq_u16_e64 s12, 0, v27
	v_and_b32_e32 v31, 1, v27
	s_delay_alu instid0(VALU_DEP_2) | instskip(NEXT) | instid1(VALU_DEP_2)
	v_dual_cndmask_b32 v33, 1, v33, s12 :: v_dual_bitop2_b32 v35, 1, v35 bitop3:0x40
	v_cmp_eq_u32_e64 s12, 1, v31
	s_delay_alu instid0(VALU_DEP_2) | instskip(NEXT) | instid1(VALU_DEP_2)
	v_mul_lo_u32 v23, v33, v23
	v_cndmask_b32_e64 v27, v35, 1, s12
	s_delay_alu instid0(VALU_DEP_1) | instskip(NEXT) | instid1(VALU_DEP_1)
	v_and_b32_e32 v31, 0xffff, v27
	v_or_b32_e32 v31, v21, v31
.LBB191_199:
	s_or_b32 exec_lo, exec_lo, s18
	s_delay_alu instid0(VALU_DEP_4) | instskip(NEXT) | instid1(VALU_DEP_2)
	v_mov_b32_dpp v33, v23 row_shr:4 row_mask:0xf bank_mask:0xf
	v_mov_b32_dpp v35, v31 row_shr:4 row_mask:0xf bank_mask:0xf
	s_mov_b32 s18, exec_lo
	v_cmpx_lt_u32_e32 3, v29
	s_cbranch_execz .LBB191_201
; %bb.200:
	v_cmp_eq_u16_e64 s12, 0, v27
	v_and_b32_e32 v31, 1, v27
	s_delay_alu instid0(VALU_DEP_2) | instskip(NEXT) | instid1(VALU_DEP_2)
	v_dual_cndmask_b32 v33, 1, v33, s12 :: v_dual_bitop2_b32 v35, 1, v35 bitop3:0x40
	v_cmp_eq_u32_e64 s12, 1, v31
	s_delay_alu instid0(VALU_DEP_2) | instskip(NEXT) | instid1(VALU_DEP_2)
	v_mul_lo_u32 v23, v33, v23
	v_cndmask_b32_e64 v27, v35, 1, s12
	s_delay_alu instid0(VALU_DEP_1) | instskip(NEXT) | instid1(VALU_DEP_1)
	v_and_b32_e32 v31, 0xffff, v27
	v_or_b32_e32 v31, v21, v31
.LBB191_201:
	s_or_b32 exec_lo, exec_lo, s18
	s_delay_alu instid0(VALU_DEP_4) | instskip(NEXT) | instid1(VALU_DEP_2)
	v_mov_b32_dpp v33, v23 row_shr:8 row_mask:0xf bank_mask:0xf
	v_mov_b32_dpp v35, v31 row_shr:8 row_mask:0xf bank_mask:0xf
	s_mov_b32 s18, exec_lo
	v_cmpx_lt_u32_e32 7, v29
	s_cbranch_execz .LBB191_203
; %bb.202:
	v_cmp_eq_u16_e64 s12, 0, v27
	v_and_b32_e32 v29, 1, v27
	s_delay_alu instid0(VALU_DEP_2) | instskip(NEXT) | instid1(VALU_DEP_2)
	v_dual_cndmask_b32 v33, 1, v33, s12 :: v_dual_bitop2_b32 v31, 1, v35 bitop3:0x40
	v_cmp_eq_u32_e64 s12, 1, v29
	s_delay_alu instid0(VALU_DEP_2) | instskip(NEXT) | instid1(VALU_DEP_2)
	v_mul_lo_u32 v23, v33, v23
	v_cndmask_b32_e64 v27, v31, 1, s12
	s_delay_alu instid0(VALU_DEP_1) | instskip(NEXT) | instid1(VALU_DEP_1)
	v_and_b32_e32 v29, 0xffff, v27
	v_or_b32_e32 v31, v21, v29
.LBB191_203:
	s_or_b32 exec_lo, exec_lo, s18
	ds_swizzle_b32 v33, v23 offset:swizzle(BROADCAST,32,15)
	ds_swizzle_b32 v29, v31 offset:swizzle(BROADCAST,32,15)
	v_and_b32_e32 v31, 16, v25
	s_mov_b32 s18, exec_lo
	s_delay_alu instid0(VALU_DEP_1)
	v_cmpx_ne_u32_e32 0, v31
	s_cbranch_execz .LBB191_205
; %bb.204:
	v_cmp_eq_u16_e64 s12, 0, v27
	s_wait_dscnt 0x0
	v_and_b32_e32 v29, 1, v29
	s_delay_alu instid0(VALU_DEP_2) | instskip(NEXT) | instid1(VALU_DEP_1)
	v_dual_cndmask_b32 v31, 1, v33, s12 :: v_dual_bitop2_b32 v27, 1, v27 bitop3:0x40
	v_cmp_eq_u32_e64 s12, 1, v27
	s_delay_alu instid0(VALU_DEP_2) | instskip(NEXT) | instid1(VALU_DEP_2)
	v_mul_lo_u32 v23, v31, v23
	v_cndmask_b32_e64 v27, v29, 1, s12
.LBB191_205:
	s_or_b32 exec_lo, exec_lo, s18
	s_wait_dscnt 0x0
	v_add_nc_u32_e32 v29, -1, v25
	v_and_b32_e32 v15, 0xff, v15
	v_and_b32_e32 v27, 0xffff, v27
	; wave barrier
	s_delay_alu instid0(VALU_DEP_3) | instskip(NEXT) | instid1(VALU_DEP_1)
	v_cmp_gt_i32_e64 s12, 0, v29
	v_cndmask_b32_e64 v25, v29, v25, s12
	s_delay_alu instid0(VALU_DEP_4) | instskip(NEXT) | instid1(VALU_DEP_2)
	v_cmp_eq_u16_e64 s12, 0, v15
	v_lshlrev_b32_e32 v25, 2, v25
	ds_bpermute_b32 v23, v25, v23
	s_wait_dscnt 0x0
	v_cndmask_b32_e64 v15, 1, v23, s12
	v_cmp_eq_u32_e64 s12, 1, v17
	s_delay_alu instid0(VALU_DEP_2) | instskip(NEXT) | instid1(VALU_DEP_1)
	v_mul_lo_u32 v14, v15, v14
	v_dual_cndmask_b32 v17, v14, v13, s2 :: v_dual_bitop2_b32 v21, v21, v27 bitop3:0x54
	ds_bpermute_b32 v21, v25, v21
	s_wait_dscnt 0x0
	v_and_b32_e32 v15, 1, v21
	s_delay_alu instid0(VALU_DEP_1) | instskip(NEXT) | instid1(VALU_DEP_1)
	v_cndmask_b32_e64 v15, v15, 1, s12
	v_cndmask_b32_e64 v6, v15, v6, s2
	ds_store_b32 v1, v17
	ds_store_b8 v1, v6 offset:4
	; wave barrier
	ds_load_u8 v21, v1 offset:12
	ds_load_2addr_b32 v[14:15], v1 offset0:2 offset1:4
	ds_load_u8 v23, v1 offset:20
	ds_load_u8 v25, v1 offset:28
	;; [unrolled: 1-line block ×5, first 2 shown]
	ds_load_b32 v33, v1 offset:56
	ds_load_u8 v35, v1 offset:60
	ds_load_2addr_b32 v[42:43], v1 offset0:6 offset1:8
	s_wait_dscnt 0x9
	v_cmp_eq_u16_e64 s12, 0, v21
	v_and_b32_e32 v21, 1, v21
	s_delay_alu instid0(VALU_DEP_2) | instskip(SKIP_3) | instid1(VALU_DEP_3)
	v_cndmask_b32_e64 v17, 1, v17, s12
	s_wait_dscnt 0x7
	v_cmp_eq_u16_e64 s12, 0, v23
	v_and_b32_e32 v23, 1, v23
	v_mul_lo_u32 v17, v17, v14
	s_delay_alu instid0(VALU_DEP_1) | instskip(SKIP_2) | instid1(VALU_DEP_2)
	v_cndmask_b32_e64 v14, 1, v17, s12
	s_wait_dscnt 0x6
	v_cmp_eq_u16_e64 s12, 0, v25
	v_mul_lo_u32 v37, v14, v15
	s_delay_alu instid0(VALU_DEP_1)
	v_cndmask_b32_e64 v14, 1, v37, s12
	s_wait_dscnt 0x5
	v_cmp_eq_u16_e64 s12, 0, v27
	v_and_b32_e32 v27, 1, v27
	ds_store_2addr_b32 v1, v17, v37 offset0:2 offset1:4
	s_wait_dscnt 0x1
	v_mul_lo_u32 v39, v14, v42
	ds_load_2addr_b32 v[14:15], v1 offset0:10 offset1:12
	v_cndmask_b32_e64 v41, 1, v39, s12
	v_cmp_eq_u16_e64 s12, 0, v29
	s_delay_alu instid0(VALU_DEP_2) | instskip(NEXT) | instid1(VALU_DEP_1)
	v_mul_lo_u32 v41, v41, v43
	v_cndmask_b32_e64 v42, 1, v41, s12
	v_cmp_eq_u32_e64 s12, 1, v21
	v_and_b32_e32 v21, 1, v25
	s_wait_dscnt 0x0
	s_delay_alu instid0(VALU_DEP_3) | instskip(NEXT) | instid1(VALU_DEP_3)
	v_mul_lo_u32 v14, v42, v14
	v_cndmask_b32_e64 v6, v6, 1, s12
	v_cmp_eq_u32_e64 s12, 1, v23
	s_delay_alu instid0(VALU_DEP_1) | instskip(SKIP_1) | instid1(VALU_DEP_1)
	v_cndmask_b32_e64 v23, v6, 1, s12
	v_cmp_eq_u16_e64 s12, 0, v31
	v_cndmask_b32_e64 v25, 1, v14, s12
	v_cmp_eq_u32_e64 s12, 1, v21
	s_delay_alu instid0(VALU_DEP_2) | instskip(NEXT) | instid1(VALU_DEP_2)
	v_mul_lo_u32 v15, v25, v15
	v_cndmask_b32_e64 v21, v23, 1, s12
	v_and_b32_e32 v25, 1, v29
	v_cmp_eq_u32_e64 s12, 1, v27
	v_and_b32_e32 v29, 1, v31
	v_and_b32_e32 v31, 1, v35
	s_delay_alu instid0(VALU_DEP_3) | instskip(SKIP_1) | instid1(VALU_DEP_1)
	v_cndmask_b32_e64 v27, v21, 1, s12
	v_cmp_eq_u32_e64 s12, 1, v25
	v_cndmask_b32_e64 v25, v27, 1, s12
	v_cmp_eq_u16_e64 s12, 0, v35
	s_delay_alu instid0(VALU_DEP_1) | instskip(SKIP_1) | instid1(VALU_DEP_2)
	v_cndmask_b32_e64 v35, 1, v15, s12
	v_cmp_eq_u32_e64 s12, 1, v29
	v_mul_lo_u32 v17, v35, v33
	s_delay_alu instid0(VALU_DEP_2) | instskip(SKIP_1) | instid1(VALU_DEP_1)
	v_cndmask_b32_e64 v29, v25, 1, s12
	v_cmp_eq_u32_e64 s12, 1, v31
	v_cndmask_b32_e64 v31, v29, 1, s12
	ds_store_2addr_b32 v1, v39, v41 offset0:6 offset1:8
	ds_store_2addr_b32 v1, v14, v15 offset0:10 offset1:12
	ds_store_b8 v1, v6 offset:12
	ds_store_b8 v1, v23 offset:20
	;; [unrolled: 1-line block ×6, first 2 shown]
	ds_store_b32 v1, v17 offset:56
	ds_store_b8 v1, v31 offset:60
.LBB191_206:
	s_or_b32 exec_lo, exec_lo, s13
	v_mov_b32_e32 v6, v18
	s_wait_dscnt 0x0
	s_barrier_signal -1
	s_barrier_wait -1
	s_delay_alu instid0(VALU_DEP_1)
	v_mov_b64_e32 v[14:15], v[6:7]
	s_and_saveexec_b32 s12, s3
	s_cbranch_execz .LBB191_208
; %bb.207:
	v_add_nc_u32_e32 v1, -1, v0
	v_and_b32_e32 v3, 0xff, v19
	s_delay_alu instid0(VALU_DEP_2) | instskip(NEXT) | instid1(VALU_DEP_1)
	v_lshrrev_b32_e32 v2, 2, v1
	v_and_b32_e32 v2, 0x3ffffff8, v2
	s_delay_alu instid0(VALU_DEP_1)
	v_lshl_add_u32 v1, v1, 3, v2
	v_mov_b32_e32 v2, 0
	ds_load_b32 v1, v1
	v_cmp_eq_u64_e64 s3, 0, v[2:3]
	;;#ASMSTART
	;;#ASMEND
	s_wait_dscnt 0x0
	s_delay_alu instid0(VALU_DEP_1) | instskip(NEXT) | instid1(VALU_DEP_1)
	v_cndmask_b32_e64 v1, 1, v1, s3
	v_mul_lo_u32 v14, v1, v18
	s_delay_alu instid0(VALU_DEP_1) | instskip(NEXT) | instid1(VALU_DEP_1)
	v_dual_cndmask_b32 v1, 1, v14 :: v_dual_mov_b32 v18, v14
	v_mul_lo_u32 v15, v1, v38
	s_delay_alu instid0(VALU_DEP_1) | instskip(NEXT) | instid1(VALU_DEP_1)
	v_dual_cndmask_b32 v1, 1, v15, s0 :: v_dual_mov_b32 v7, v15
	v_mul_lo_u32 v8, v1, v36
	s_delay_alu instid0(VALU_DEP_1) | instskip(NEXT) | instid1(VALU_DEP_1)
	v_cndmask_b32_e64 v1, 1, v8, s1
	v_mul_lo_u32 v9, v1, v34
	s_delay_alu instid0(VALU_DEP_1) | instskip(NEXT) | instid1(VALU_DEP_1)
	v_cndmask_b32_e64 v1, 1, v9, s4
	;; [unrolled: 3-line block ×9, first 2 shown]
	v_mul_lo_u32 v13, v1, v40
.LBB191_208:
	s_or_b32 exec_lo, exec_lo, s12
	s_and_saveexec_b32 s0, s2
	s_cbranch_execz .LBB191_210
; %bb.209:
	v_dual_mov_b32 v23, 0 :: v_dual_mov_b32 v22, 2
	s_add_nc_u64 s[2:3], s[24:25], 0x200
	ds_load_b32 v20, v23 offset:2096
	ds_load_u8 v21, v23 offset:2100
	v_mov_b64_e32 v[24:25], s[2:3]
	s_wait_dscnt 0x0
	;;#ASMSTART
	global_store_b128 v[24:25], v[20:23] off scope:SCOPE_DEV	
s_wait_storecnt 0x0
	;;#ASMEND
.LBB191_210:
	s_or_b32 exec_lo, exec_lo, s0
	v_mov_b32_e32 v6, v18
	s_add_nc_u64 s[0:1], s[14:15], s[28:29]
	s_and_b32 vcc_lo, exec_lo, s27
	s_add_nc_u64 s[0:1], s[0:1], s[16:17]
	s_cbranch_vccnz .LBB191_146
.LBB191_211:
	s_mov_b32 s2, 0
                                        ; implicit-def: $vgpr7
	s_cbranch_execz .LBB191_213
; %bb.212:
	v_mul_u32_u24_e32 v1, 48, v0
	v_dual_mov_b32 v16, v8 :: v_dual_mov_b32 v17, v9
	v_mul_i32_i24_e32 v6, 0xffffffd4, v0
	s_wait_storecnt_dscnt 0x0
	s_barrier_signal -1
	s_barrier_wait -1
	ds_store_b128 v1, v[14:17]
	ds_store_b128 v1, v[2:5] offset:16
	ds_store_b128 v1, v[10:13] offset:32
	v_mad_u32_u24 v1, v0, 48, v6
	s_wait_dscnt 0x0
	s_barrier_signal -1
	s_barrier_wait -1
	ds_load_2addr_stride64_b32 v[2:3], v1 offset1:4
	ds_load_2addr_stride64_b32 v[4:5], v1 offset0:8 offset1:12
	ds_load_2addr_stride64_b32 v[8:9], v1 offset0:16 offset1:20
	;; [unrolled: 1-line block ×5, first 2 shown]
	s_or_b32 s2, s2, exec_lo
	s_wait_dscnt 0x5
	s_clause 0x1
	flat_store_b32 v0, v2, s[0:1] scale_offset
	flat_store_b32 v0, v3, s[0:1] offset:1024 scale_offset
	s_wait_dscnt 0x6
	s_clause 0x1
	flat_store_b32 v0, v4, s[0:1] offset:2048 scale_offset
	flat_store_b32 v0, v5, s[0:1] offset:3072 scale_offset
	s_wait_dscnt 0x7
	s_clause 0x1
	flat_store_b32 v0, v8, s[0:1] offset:4096 scale_offset
	;; [unrolled: 4-line block ×4, first 2 shown]
	flat_store_b32 v0, v13, s[0:1] offset:9216 scale_offset
	s_wait_dscnt 0xa
	flat_store_b32 v0, v6, s[0:1] offset:10240 scale_offset
.LBB191_213:
	s_wait_xcnt 0x0
	s_delay_alu instid0(VALU_DEP_1)
	s_and_saveexec_b32 s3, s2
	s_cbranch_execnz .LBB191_215
; %bb.214:
	s_endpgm
.LBB191_215:
	s_wait_dscnt 0x0
	flat_store_b32 v0, v7, s[0:1] offset:11264 scale_offset
	s_endpgm
	.section	.rodata,"a",@progbits
	.p2align	6, 0x0
	.amdhsa_kernel _ZN7rocprim17ROCPRIM_400000_NS6detail17trampoline_kernelINS0_14default_configENS1_27scan_by_key_config_selectorIiiEEZZNS1_16scan_by_key_implILNS1_25lookback_scan_determinismE0ELb0ES3_N6thrust23THRUST_200600_302600_NS6detail15normal_iteratorINS9_10device_ptrIiEEEESE_SE_iNS9_10multipliesIiEENS9_8equal_toIiEEiEE10hipError_tPvRmT2_T3_T4_T5_mT6_T7_P12ihipStream_tbENKUlT_T0_E_clISt17integral_constantIbLb0EESY_IbLb1EEEEDaSU_SV_EUlSU_E_NS1_11comp_targetILNS1_3genE0ELNS1_11target_archE4294967295ELNS1_3gpuE0ELNS1_3repE0EEENS1_30default_config_static_selectorELNS0_4arch9wavefront6targetE0EEEvT1_
		.amdhsa_group_segment_fixed_size 14336
		.amdhsa_private_segment_fixed_size 0
		.amdhsa_kernarg_size 112
		.amdhsa_user_sgpr_count 2
		.amdhsa_user_sgpr_dispatch_ptr 0
		.amdhsa_user_sgpr_queue_ptr 0
		.amdhsa_user_sgpr_kernarg_segment_ptr 1
		.amdhsa_user_sgpr_dispatch_id 0
		.amdhsa_user_sgpr_kernarg_preload_length 0
		.amdhsa_user_sgpr_kernarg_preload_offset 0
		.amdhsa_user_sgpr_private_segment_size 0
		.amdhsa_wavefront_size32 1
		.amdhsa_uses_dynamic_stack 0
		.amdhsa_enable_private_segment 0
		.amdhsa_system_sgpr_workgroup_id_x 1
		.amdhsa_system_sgpr_workgroup_id_y 0
		.amdhsa_system_sgpr_workgroup_id_z 0
		.amdhsa_system_sgpr_workgroup_info 0
		.amdhsa_system_vgpr_workitem_id 0
		.amdhsa_next_free_vgpr 60
		.amdhsa_next_free_sgpr 44
		.amdhsa_named_barrier_count 0
		.amdhsa_reserve_vcc 1
		.amdhsa_float_round_mode_32 0
		.amdhsa_float_round_mode_16_64 0
		.amdhsa_float_denorm_mode_32 3
		.amdhsa_float_denorm_mode_16_64 3
		.amdhsa_fp16_overflow 0
		.amdhsa_memory_ordered 1
		.amdhsa_forward_progress 1
		.amdhsa_inst_pref_size 97
		.amdhsa_round_robin_scheduling 0
		.amdhsa_exception_fp_ieee_invalid_op 0
		.amdhsa_exception_fp_denorm_src 0
		.amdhsa_exception_fp_ieee_div_zero 0
		.amdhsa_exception_fp_ieee_overflow 0
		.amdhsa_exception_fp_ieee_underflow 0
		.amdhsa_exception_fp_ieee_inexact 0
		.amdhsa_exception_int_div_zero 0
	.end_amdhsa_kernel
	.section	.text._ZN7rocprim17ROCPRIM_400000_NS6detail17trampoline_kernelINS0_14default_configENS1_27scan_by_key_config_selectorIiiEEZZNS1_16scan_by_key_implILNS1_25lookback_scan_determinismE0ELb0ES3_N6thrust23THRUST_200600_302600_NS6detail15normal_iteratorINS9_10device_ptrIiEEEESE_SE_iNS9_10multipliesIiEENS9_8equal_toIiEEiEE10hipError_tPvRmT2_T3_T4_T5_mT6_T7_P12ihipStream_tbENKUlT_T0_E_clISt17integral_constantIbLb0EESY_IbLb1EEEEDaSU_SV_EUlSU_E_NS1_11comp_targetILNS1_3genE0ELNS1_11target_archE4294967295ELNS1_3gpuE0ELNS1_3repE0EEENS1_30default_config_static_selectorELNS0_4arch9wavefront6targetE0EEEvT1_,"axG",@progbits,_ZN7rocprim17ROCPRIM_400000_NS6detail17trampoline_kernelINS0_14default_configENS1_27scan_by_key_config_selectorIiiEEZZNS1_16scan_by_key_implILNS1_25lookback_scan_determinismE0ELb0ES3_N6thrust23THRUST_200600_302600_NS6detail15normal_iteratorINS9_10device_ptrIiEEEESE_SE_iNS9_10multipliesIiEENS9_8equal_toIiEEiEE10hipError_tPvRmT2_T3_T4_T5_mT6_T7_P12ihipStream_tbENKUlT_T0_E_clISt17integral_constantIbLb0EESY_IbLb1EEEEDaSU_SV_EUlSU_E_NS1_11comp_targetILNS1_3genE0ELNS1_11target_archE4294967295ELNS1_3gpuE0ELNS1_3repE0EEENS1_30default_config_static_selectorELNS0_4arch9wavefront6targetE0EEEvT1_,comdat
.Lfunc_end191:
	.size	_ZN7rocprim17ROCPRIM_400000_NS6detail17trampoline_kernelINS0_14default_configENS1_27scan_by_key_config_selectorIiiEEZZNS1_16scan_by_key_implILNS1_25lookback_scan_determinismE0ELb0ES3_N6thrust23THRUST_200600_302600_NS6detail15normal_iteratorINS9_10device_ptrIiEEEESE_SE_iNS9_10multipliesIiEENS9_8equal_toIiEEiEE10hipError_tPvRmT2_T3_T4_T5_mT6_T7_P12ihipStream_tbENKUlT_T0_E_clISt17integral_constantIbLb0EESY_IbLb1EEEEDaSU_SV_EUlSU_E_NS1_11comp_targetILNS1_3genE0ELNS1_11target_archE4294967295ELNS1_3gpuE0ELNS1_3repE0EEENS1_30default_config_static_selectorELNS0_4arch9wavefront6targetE0EEEvT1_, .Lfunc_end191-_ZN7rocprim17ROCPRIM_400000_NS6detail17trampoline_kernelINS0_14default_configENS1_27scan_by_key_config_selectorIiiEEZZNS1_16scan_by_key_implILNS1_25lookback_scan_determinismE0ELb0ES3_N6thrust23THRUST_200600_302600_NS6detail15normal_iteratorINS9_10device_ptrIiEEEESE_SE_iNS9_10multipliesIiEENS9_8equal_toIiEEiEE10hipError_tPvRmT2_T3_T4_T5_mT6_T7_P12ihipStream_tbENKUlT_T0_E_clISt17integral_constantIbLb0EESY_IbLb1EEEEDaSU_SV_EUlSU_E_NS1_11comp_targetILNS1_3genE0ELNS1_11target_archE4294967295ELNS1_3gpuE0ELNS1_3repE0EEENS1_30default_config_static_selectorELNS0_4arch9wavefront6targetE0EEEvT1_
                                        ; -- End function
	.set _ZN7rocprim17ROCPRIM_400000_NS6detail17trampoline_kernelINS0_14default_configENS1_27scan_by_key_config_selectorIiiEEZZNS1_16scan_by_key_implILNS1_25lookback_scan_determinismE0ELb0ES3_N6thrust23THRUST_200600_302600_NS6detail15normal_iteratorINS9_10device_ptrIiEEEESE_SE_iNS9_10multipliesIiEENS9_8equal_toIiEEiEE10hipError_tPvRmT2_T3_T4_T5_mT6_T7_P12ihipStream_tbENKUlT_T0_E_clISt17integral_constantIbLb0EESY_IbLb1EEEEDaSU_SV_EUlSU_E_NS1_11comp_targetILNS1_3genE0ELNS1_11target_archE4294967295ELNS1_3gpuE0ELNS1_3repE0EEENS1_30default_config_static_selectorELNS0_4arch9wavefront6targetE0EEEvT1_.num_vgpr, 60
	.set _ZN7rocprim17ROCPRIM_400000_NS6detail17trampoline_kernelINS0_14default_configENS1_27scan_by_key_config_selectorIiiEEZZNS1_16scan_by_key_implILNS1_25lookback_scan_determinismE0ELb0ES3_N6thrust23THRUST_200600_302600_NS6detail15normal_iteratorINS9_10device_ptrIiEEEESE_SE_iNS9_10multipliesIiEENS9_8equal_toIiEEiEE10hipError_tPvRmT2_T3_T4_T5_mT6_T7_P12ihipStream_tbENKUlT_T0_E_clISt17integral_constantIbLb0EESY_IbLb1EEEEDaSU_SV_EUlSU_E_NS1_11comp_targetILNS1_3genE0ELNS1_11target_archE4294967295ELNS1_3gpuE0ELNS1_3repE0EEENS1_30default_config_static_selectorELNS0_4arch9wavefront6targetE0EEEvT1_.num_agpr, 0
	.set _ZN7rocprim17ROCPRIM_400000_NS6detail17trampoline_kernelINS0_14default_configENS1_27scan_by_key_config_selectorIiiEEZZNS1_16scan_by_key_implILNS1_25lookback_scan_determinismE0ELb0ES3_N6thrust23THRUST_200600_302600_NS6detail15normal_iteratorINS9_10device_ptrIiEEEESE_SE_iNS9_10multipliesIiEENS9_8equal_toIiEEiEE10hipError_tPvRmT2_T3_T4_T5_mT6_T7_P12ihipStream_tbENKUlT_T0_E_clISt17integral_constantIbLb0EESY_IbLb1EEEEDaSU_SV_EUlSU_E_NS1_11comp_targetILNS1_3genE0ELNS1_11target_archE4294967295ELNS1_3gpuE0ELNS1_3repE0EEENS1_30default_config_static_selectorELNS0_4arch9wavefront6targetE0EEEvT1_.numbered_sgpr, 44
	.set _ZN7rocprim17ROCPRIM_400000_NS6detail17trampoline_kernelINS0_14default_configENS1_27scan_by_key_config_selectorIiiEEZZNS1_16scan_by_key_implILNS1_25lookback_scan_determinismE0ELb0ES3_N6thrust23THRUST_200600_302600_NS6detail15normal_iteratorINS9_10device_ptrIiEEEESE_SE_iNS9_10multipliesIiEENS9_8equal_toIiEEiEE10hipError_tPvRmT2_T3_T4_T5_mT6_T7_P12ihipStream_tbENKUlT_T0_E_clISt17integral_constantIbLb0EESY_IbLb1EEEEDaSU_SV_EUlSU_E_NS1_11comp_targetILNS1_3genE0ELNS1_11target_archE4294967295ELNS1_3gpuE0ELNS1_3repE0EEENS1_30default_config_static_selectorELNS0_4arch9wavefront6targetE0EEEvT1_.num_named_barrier, 0
	.set _ZN7rocprim17ROCPRIM_400000_NS6detail17trampoline_kernelINS0_14default_configENS1_27scan_by_key_config_selectorIiiEEZZNS1_16scan_by_key_implILNS1_25lookback_scan_determinismE0ELb0ES3_N6thrust23THRUST_200600_302600_NS6detail15normal_iteratorINS9_10device_ptrIiEEEESE_SE_iNS9_10multipliesIiEENS9_8equal_toIiEEiEE10hipError_tPvRmT2_T3_T4_T5_mT6_T7_P12ihipStream_tbENKUlT_T0_E_clISt17integral_constantIbLb0EESY_IbLb1EEEEDaSU_SV_EUlSU_E_NS1_11comp_targetILNS1_3genE0ELNS1_11target_archE4294967295ELNS1_3gpuE0ELNS1_3repE0EEENS1_30default_config_static_selectorELNS0_4arch9wavefront6targetE0EEEvT1_.private_seg_size, 0
	.set _ZN7rocprim17ROCPRIM_400000_NS6detail17trampoline_kernelINS0_14default_configENS1_27scan_by_key_config_selectorIiiEEZZNS1_16scan_by_key_implILNS1_25lookback_scan_determinismE0ELb0ES3_N6thrust23THRUST_200600_302600_NS6detail15normal_iteratorINS9_10device_ptrIiEEEESE_SE_iNS9_10multipliesIiEENS9_8equal_toIiEEiEE10hipError_tPvRmT2_T3_T4_T5_mT6_T7_P12ihipStream_tbENKUlT_T0_E_clISt17integral_constantIbLb0EESY_IbLb1EEEEDaSU_SV_EUlSU_E_NS1_11comp_targetILNS1_3genE0ELNS1_11target_archE4294967295ELNS1_3gpuE0ELNS1_3repE0EEENS1_30default_config_static_selectorELNS0_4arch9wavefront6targetE0EEEvT1_.uses_vcc, 1
	.set _ZN7rocprim17ROCPRIM_400000_NS6detail17trampoline_kernelINS0_14default_configENS1_27scan_by_key_config_selectorIiiEEZZNS1_16scan_by_key_implILNS1_25lookback_scan_determinismE0ELb0ES3_N6thrust23THRUST_200600_302600_NS6detail15normal_iteratorINS9_10device_ptrIiEEEESE_SE_iNS9_10multipliesIiEENS9_8equal_toIiEEiEE10hipError_tPvRmT2_T3_T4_T5_mT6_T7_P12ihipStream_tbENKUlT_T0_E_clISt17integral_constantIbLb0EESY_IbLb1EEEEDaSU_SV_EUlSU_E_NS1_11comp_targetILNS1_3genE0ELNS1_11target_archE4294967295ELNS1_3gpuE0ELNS1_3repE0EEENS1_30default_config_static_selectorELNS0_4arch9wavefront6targetE0EEEvT1_.uses_flat_scratch, 1
	.set _ZN7rocprim17ROCPRIM_400000_NS6detail17trampoline_kernelINS0_14default_configENS1_27scan_by_key_config_selectorIiiEEZZNS1_16scan_by_key_implILNS1_25lookback_scan_determinismE0ELb0ES3_N6thrust23THRUST_200600_302600_NS6detail15normal_iteratorINS9_10device_ptrIiEEEESE_SE_iNS9_10multipliesIiEENS9_8equal_toIiEEiEE10hipError_tPvRmT2_T3_T4_T5_mT6_T7_P12ihipStream_tbENKUlT_T0_E_clISt17integral_constantIbLb0EESY_IbLb1EEEEDaSU_SV_EUlSU_E_NS1_11comp_targetILNS1_3genE0ELNS1_11target_archE4294967295ELNS1_3gpuE0ELNS1_3repE0EEENS1_30default_config_static_selectorELNS0_4arch9wavefront6targetE0EEEvT1_.has_dyn_sized_stack, 0
	.set _ZN7rocprim17ROCPRIM_400000_NS6detail17trampoline_kernelINS0_14default_configENS1_27scan_by_key_config_selectorIiiEEZZNS1_16scan_by_key_implILNS1_25lookback_scan_determinismE0ELb0ES3_N6thrust23THRUST_200600_302600_NS6detail15normal_iteratorINS9_10device_ptrIiEEEESE_SE_iNS9_10multipliesIiEENS9_8equal_toIiEEiEE10hipError_tPvRmT2_T3_T4_T5_mT6_T7_P12ihipStream_tbENKUlT_T0_E_clISt17integral_constantIbLb0EESY_IbLb1EEEEDaSU_SV_EUlSU_E_NS1_11comp_targetILNS1_3genE0ELNS1_11target_archE4294967295ELNS1_3gpuE0ELNS1_3repE0EEENS1_30default_config_static_selectorELNS0_4arch9wavefront6targetE0EEEvT1_.has_recursion, 0
	.set _ZN7rocprim17ROCPRIM_400000_NS6detail17trampoline_kernelINS0_14default_configENS1_27scan_by_key_config_selectorIiiEEZZNS1_16scan_by_key_implILNS1_25lookback_scan_determinismE0ELb0ES3_N6thrust23THRUST_200600_302600_NS6detail15normal_iteratorINS9_10device_ptrIiEEEESE_SE_iNS9_10multipliesIiEENS9_8equal_toIiEEiEE10hipError_tPvRmT2_T3_T4_T5_mT6_T7_P12ihipStream_tbENKUlT_T0_E_clISt17integral_constantIbLb0EESY_IbLb1EEEEDaSU_SV_EUlSU_E_NS1_11comp_targetILNS1_3genE0ELNS1_11target_archE4294967295ELNS1_3gpuE0ELNS1_3repE0EEENS1_30default_config_static_selectorELNS0_4arch9wavefront6targetE0EEEvT1_.has_indirect_call, 0
	.section	.AMDGPU.csdata,"",@progbits
; Kernel info:
; codeLenInByte = 12304
; TotalNumSgprs: 46
; NumVgprs: 60
; ScratchSize: 0
; MemoryBound: 0
; FloatMode: 240
; IeeeMode: 1
; LDSByteSize: 14336 bytes/workgroup (compile time only)
; SGPRBlocks: 0
; VGPRBlocks: 3
; NumSGPRsForWavesPerEU: 46
; NumVGPRsForWavesPerEU: 60
; NamedBarCnt: 0
; Occupancy: 16
; WaveLimiterHint : 1
; COMPUTE_PGM_RSRC2:SCRATCH_EN: 0
; COMPUTE_PGM_RSRC2:USER_SGPR: 2
; COMPUTE_PGM_RSRC2:TRAP_HANDLER: 0
; COMPUTE_PGM_RSRC2:TGID_X_EN: 1
; COMPUTE_PGM_RSRC2:TGID_Y_EN: 0
; COMPUTE_PGM_RSRC2:TGID_Z_EN: 0
; COMPUTE_PGM_RSRC2:TIDIG_COMP_CNT: 0
	.section	.text._ZN7rocprim17ROCPRIM_400000_NS6detail17trampoline_kernelINS0_14default_configENS1_27scan_by_key_config_selectorIiiEEZZNS1_16scan_by_key_implILNS1_25lookback_scan_determinismE0ELb0ES3_N6thrust23THRUST_200600_302600_NS6detail15normal_iteratorINS9_10device_ptrIiEEEESE_SE_iNS9_10multipliesIiEENS9_8equal_toIiEEiEE10hipError_tPvRmT2_T3_T4_T5_mT6_T7_P12ihipStream_tbENKUlT_T0_E_clISt17integral_constantIbLb0EESY_IbLb1EEEEDaSU_SV_EUlSU_E_NS1_11comp_targetILNS1_3genE10ELNS1_11target_archE1201ELNS1_3gpuE5ELNS1_3repE0EEENS1_30default_config_static_selectorELNS0_4arch9wavefront6targetE0EEEvT1_,"axG",@progbits,_ZN7rocprim17ROCPRIM_400000_NS6detail17trampoline_kernelINS0_14default_configENS1_27scan_by_key_config_selectorIiiEEZZNS1_16scan_by_key_implILNS1_25lookback_scan_determinismE0ELb0ES3_N6thrust23THRUST_200600_302600_NS6detail15normal_iteratorINS9_10device_ptrIiEEEESE_SE_iNS9_10multipliesIiEENS9_8equal_toIiEEiEE10hipError_tPvRmT2_T3_T4_T5_mT6_T7_P12ihipStream_tbENKUlT_T0_E_clISt17integral_constantIbLb0EESY_IbLb1EEEEDaSU_SV_EUlSU_E_NS1_11comp_targetILNS1_3genE10ELNS1_11target_archE1201ELNS1_3gpuE5ELNS1_3repE0EEENS1_30default_config_static_selectorELNS0_4arch9wavefront6targetE0EEEvT1_,comdat
	.protected	_ZN7rocprim17ROCPRIM_400000_NS6detail17trampoline_kernelINS0_14default_configENS1_27scan_by_key_config_selectorIiiEEZZNS1_16scan_by_key_implILNS1_25lookback_scan_determinismE0ELb0ES3_N6thrust23THRUST_200600_302600_NS6detail15normal_iteratorINS9_10device_ptrIiEEEESE_SE_iNS9_10multipliesIiEENS9_8equal_toIiEEiEE10hipError_tPvRmT2_T3_T4_T5_mT6_T7_P12ihipStream_tbENKUlT_T0_E_clISt17integral_constantIbLb0EESY_IbLb1EEEEDaSU_SV_EUlSU_E_NS1_11comp_targetILNS1_3genE10ELNS1_11target_archE1201ELNS1_3gpuE5ELNS1_3repE0EEENS1_30default_config_static_selectorELNS0_4arch9wavefront6targetE0EEEvT1_ ; -- Begin function _ZN7rocprim17ROCPRIM_400000_NS6detail17trampoline_kernelINS0_14default_configENS1_27scan_by_key_config_selectorIiiEEZZNS1_16scan_by_key_implILNS1_25lookback_scan_determinismE0ELb0ES3_N6thrust23THRUST_200600_302600_NS6detail15normal_iteratorINS9_10device_ptrIiEEEESE_SE_iNS9_10multipliesIiEENS9_8equal_toIiEEiEE10hipError_tPvRmT2_T3_T4_T5_mT6_T7_P12ihipStream_tbENKUlT_T0_E_clISt17integral_constantIbLb0EESY_IbLb1EEEEDaSU_SV_EUlSU_E_NS1_11comp_targetILNS1_3genE10ELNS1_11target_archE1201ELNS1_3gpuE5ELNS1_3repE0EEENS1_30default_config_static_selectorELNS0_4arch9wavefront6targetE0EEEvT1_
	.globl	_ZN7rocprim17ROCPRIM_400000_NS6detail17trampoline_kernelINS0_14default_configENS1_27scan_by_key_config_selectorIiiEEZZNS1_16scan_by_key_implILNS1_25lookback_scan_determinismE0ELb0ES3_N6thrust23THRUST_200600_302600_NS6detail15normal_iteratorINS9_10device_ptrIiEEEESE_SE_iNS9_10multipliesIiEENS9_8equal_toIiEEiEE10hipError_tPvRmT2_T3_T4_T5_mT6_T7_P12ihipStream_tbENKUlT_T0_E_clISt17integral_constantIbLb0EESY_IbLb1EEEEDaSU_SV_EUlSU_E_NS1_11comp_targetILNS1_3genE10ELNS1_11target_archE1201ELNS1_3gpuE5ELNS1_3repE0EEENS1_30default_config_static_selectorELNS0_4arch9wavefront6targetE0EEEvT1_
	.p2align	8
	.type	_ZN7rocprim17ROCPRIM_400000_NS6detail17trampoline_kernelINS0_14default_configENS1_27scan_by_key_config_selectorIiiEEZZNS1_16scan_by_key_implILNS1_25lookback_scan_determinismE0ELb0ES3_N6thrust23THRUST_200600_302600_NS6detail15normal_iteratorINS9_10device_ptrIiEEEESE_SE_iNS9_10multipliesIiEENS9_8equal_toIiEEiEE10hipError_tPvRmT2_T3_T4_T5_mT6_T7_P12ihipStream_tbENKUlT_T0_E_clISt17integral_constantIbLb0EESY_IbLb1EEEEDaSU_SV_EUlSU_E_NS1_11comp_targetILNS1_3genE10ELNS1_11target_archE1201ELNS1_3gpuE5ELNS1_3repE0EEENS1_30default_config_static_selectorELNS0_4arch9wavefront6targetE0EEEvT1_,@function
_ZN7rocprim17ROCPRIM_400000_NS6detail17trampoline_kernelINS0_14default_configENS1_27scan_by_key_config_selectorIiiEEZZNS1_16scan_by_key_implILNS1_25lookback_scan_determinismE0ELb0ES3_N6thrust23THRUST_200600_302600_NS6detail15normal_iteratorINS9_10device_ptrIiEEEESE_SE_iNS9_10multipliesIiEENS9_8equal_toIiEEiEE10hipError_tPvRmT2_T3_T4_T5_mT6_T7_P12ihipStream_tbENKUlT_T0_E_clISt17integral_constantIbLb0EESY_IbLb1EEEEDaSU_SV_EUlSU_E_NS1_11comp_targetILNS1_3genE10ELNS1_11target_archE1201ELNS1_3gpuE5ELNS1_3repE0EEENS1_30default_config_static_selectorELNS0_4arch9wavefront6targetE0EEEvT1_: ; @_ZN7rocprim17ROCPRIM_400000_NS6detail17trampoline_kernelINS0_14default_configENS1_27scan_by_key_config_selectorIiiEEZZNS1_16scan_by_key_implILNS1_25lookback_scan_determinismE0ELb0ES3_N6thrust23THRUST_200600_302600_NS6detail15normal_iteratorINS9_10device_ptrIiEEEESE_SE_iNS9_10multipliesIiEENS9_8equal_toIiEEiEE10hipError_tPvRmT2_T3_T4_T5_mT6_T7_P12ihipStream_tbENKUlT_T0_E_clISt17integral_constantIbLb0EESY_IbLb1EEEEDaSU_SV_EUlSU_E_NS1_11comp_targetILNS1_3genE10ELNS1_11target_archE1201ELNS1_3gpuE5ELNS1_3repE0EEENS1_30default_config_static_selectorELNS0_4arch9wavefront6targetE0EEEvT1_
; %bb.0:
	.section	.rodata,"a",@progbits
	.p2align	6, 0x0
	.amdhsa_kernel _ZN7rocprim17ROCPRIM_400000_NS6detail17trampoline_kernelINS0_14default_configENS1_27scan_by_key_config_selectorIiiEEZZNS1_16scan_by_key_implILNS1_25lookback_scan_determinismE0ELb0ES3_N6thrust23THRUST_200600_302600_NS6detail15normal_iteratorINS9_10device_ptrIiEEEESE_SE_iNS9_10multipliesIiEENS9_8equal_toIiEEiEE10hipError_tPvRmT2_T3_T4_T5_mT6_T7_P12ihipStream_tbENKUlT_T0_E_clISt17integral_constantIbLb0EESY_IbLb1EEEEDaSU_SV_EUlSU_E_NS1_11comp_targetILNS1_3genE10ELNS1_11target_archE1201ELNS1_3gpuE5ELNS1_3repE0EEENS1_30default_config_static_selectorELNS0_4arch9wavefront6targetE0EEEvT1_
		.amdhsa_group_segment_fixed_size 0
		.amdhsa_private_segment_fixed_size 0
		.amdhsa_kernarg_size 112
		.amdhsa_user_sgpr_count 2
		.amdhsa_user_sgpr_dispatch_ptr 0
		.amdhsa_user_sgpr_queue_ptr 0
		.amdhsa_user_sgpr_kernarg_segment_ptr 1
		.amdhsa_user_sgpr_dispatch_id 0
		.amdhsa_user_sgpr_kernarg_preload_length 0
		.amdhsa_user_sgpr_kernarg_preload_offset 0
		.amdhsa_user_sgpr_private_segment_size 0
		.amdhsa_wavefront_size32 1
		.amdhsa_uses_dynamic_stack 0
		.amdhsa_enable_private_segment 0
		.amdhsa_system_sgpr_workgroup_id_x 1
		.amdhsa_system_sgpr_workgroup_id_y 0
		.amdhsa_system_sgpr_workgroup_id_z 0
		.amdhsa_system_sgpr_workgroup_info 0
		.amdhsa_system_vgpr_workitem_id 0
		.amdhsa_next_free_vgpr 1
		.amdhsa_next_free_sgpr 1
		.amdhsa_named_barrier_count 0
		.amdhsa_reserve_vcc 0
		.amdhsa_float_round_mode_32 0
		.amdhsa_float_round_mode_16_64 0
		.amdhsa_float_denorm_mode_32 3
		.amdhsa_float_denorm_mode_16_64 3
		.amdhsa_fp16_overflow 0
		.amdhsa_memory_ordered 1
		.amdhsa_forward_progress 1
		.amdhsa_inst_pref_size 0
		.amdhsa_round_robin_scheduling 0
		.amdhsa_exception_fp_ieee_invalid_op 0
		.amdhsa_exception_fp_denorm_src 0
		.amdhsa_exception_fp_ieee_div_zero 0
		.amdhsa_exception_fp_ieee_overflow 0
		.amdhsa_exception_fp_ieee_underflow 0
		.amdhsa_exception_fp_ieee_inexact 0
		.amdhsa_exception_int_div_zero 0
	.end_amdhsa_kernel
	.section	.text._ZN7rocprim17ROCPRIM_400000_NS6detail17trampoline_kernelINS0_14default_configENS1_27scan_by_key_config_selectorIiiEEZZNS1_16scan_by_key_implILNS1_25lookback_scan_determinismE0ELb0ES3_N6thrust23THRUST_200600_302600_NS6detail15normal_iteratorINS9_10device_ptrIiEEEESE_SE_iNS9_10multipliesIiEENS9_8equal_toIiEEiEE10hipError_tPvRmT2_T3_T4_T5_mT6_T7_P12ihipStream_tbENKUlT_T0_E_clISt17integral_constantIbLb0EESY_IbLb1EEEEDaSU_SV_EUlSU_E_NS1_11comp_targetILNS1_3genE10ELNS1_11target_archE1201ELNS1_3gpuE5ELNS1_3repE0EEENS1_30default_config_static_selectorELNS0_4arch9wavefront6targetE0EEEvT1_,"axG",@progbits,_ZN7rocprim17ROCPRIM_400000_NS6detail17trampoline_kernelINS0_14default_configENS1_27scan_by_key_config_selectorIiiEEZZNS1_16scan_by_key_implILNS1_25lookback_scan_determinismE0ELb0ES3_N6thrust23THRUST_200600_302600_NS6detail15normal_iteratorINS9_10device_ptrIiEEEESE_SE_iNS9_10multipliesIiEENS9_8equal_toIiEEiEE10hipError_tPvRmT2_T3_T4_T5_mT6_T7_P12ihipStream_tbENKUlT_T0_E_clISt17integral_constantIbLb0EESY_IbLb1EEEEDaSU_SV_EUlSU_E_NS1_11comp_targetILNS1_3genE10ELNS1_11target_archE1201ELNS1_3gpuE5ELNS1_3repE0EEENS1_30default_config_static_selectorELNS0_4arch9wavefront6targetE0EEEvT1_,comdat
.Lfunc_end192:
	.size	_ZN7rocprim17ROCPRIM_400000_NS6detail17trampoline_kernelINS0_14default_configENS1_27scan_by_key_config_selectorIiiEEZZNS1_16scan_by_key_implILNS1_25lookback_scan_determinismE0ELb0ES3_N6thrust23THRUST_200600_302600_NS6detail15normal_iteratorINS9_10device_ptrIiEEEESE_SE_iNS9_10multipliesIiEENS9_8equal_toIiEEiEE10hipError_tPvRmT2_T3_T4_T5_mT6_T7_P12ihipStream_tbENKUlT_T0_E_clISt17integral_constantIbLb0EESY_IbLb1EEEEDaSU_SV_EUlSU_E_NS1_11comp_targetILNS1_3genE10ELNS1_11target_archE1201ELNS1_3gpuE5ELNS1_3repE0EEENS1_30default_config_static_selectorELNS0_4arch9wavefront6targetE0EEEvT1_, .Lfunc_end192-_ZN7rocprim17ROCPRIM_400000_NS6detail17trampoline_kernelINS0_14default_configENS1_27scan_by_key_config_selectorIiiEEZZNS1_16scan_by_key_implILNS1_25lookback_scan_determinismE0ELb0ES3_N6thrust23THRUST_200600_302600_NS6detail15normal_iteratorINS9_10device_ptrIiEEEESE_SE_iNS9_10multipliesIiEENS9_8equal_toIiEEiEE10hipError_tPvRmT2_T3_T4_T5_mT6_T7_P12ihipStream_tbENKUlT_T0_E_clISt17integral_constantIbLb0EESY_IbLb1EEEEDaSU_SV_EUlSU_E_NS1_11comp_targetILNS1_3genE10ELNS1_11target_archE1201ELNS1_3gpuE5ELNS1_3repE0EEENS1_30default_config_static_selectorELNS0_4arch9wavefront6targetE0EEEvT1_
                                        ; -- End function
	.set _ZN7rocprim17ROCPRIM_400000_NS6detail17trampoline_kernelINS0_14default_configENS1_27scan_by_key_config_selectorIiiEEZZNS1_16scan_by_key_implILNS1_25lookback_scan_determinismE0ELb0ES3_N6thrust23THRUST_200600_302600_NS6detail15normal_iteratorINS9_10device_ptrIiEEEESE_SE_iNS9_10multipliesIiEENS9_8equal_toIiEEiEE10hipError_tPvRmT2_T3_T4_T5_mT6_T7_P12ihipStream_tbENKUlT_T0_E_clISt17integral_constantIbLb0EESY_IbLb1EEEEDaSU_SV_EUlSU_E_NS1_11comp_targetILNS1_3genE10ELNS1_11target_archE1201ELNS1_3gpuE5ELNS1_3repE0EEENS1_30default_config_static_selectorELNS0_4arch9wavefront6targetE0EEEvT1_.num_vgpr, 0
	.set _ZN7rocprim17ROCPRIM_400000_NS6detail17trampoline_kernelINS0_14default_configENS1_27scan_by_key_config_selectorIiiEEZZNS1_16scan_by_key_implILNS1_25lookback_scan_determinismE0ELb0ES3_N6thrust23THRUST_200600_302600_NS6detail15normal_iteratorINS9_10device_ptrIiEEEESE_SE_iNS9_10multipliesIiEENS9_8equal_toIiEEiEE10hipError_tPvRmT2_T3_T4_T5_mT6_T7_P12ihipStream_tbENKUlT_T0_E_clISt17integral_constantIbLb0EESY_IbLb1EEEEDaSU_SV_EUlSU_E_NS1_11comp_targetILNS1_3genE10ELNS1_11target_archE1201ELNS1_3gpuE5ELNS1_3repE0EEENS1_30default_config_static_selectorELNS0_4arch9wavefront6targetE0EEEvT1_.num_agpr, 0
	.set _ZN7rocprim17ROCPRIM_400000_NS6detail17trampoline_kernelINS0_14default_configENS1_27scan_by_key_config_selectorIiiEEZZNS1_16scan_by_key_implILNS1_25lookback_scan_determinismE0ELb0ES3_N6thrust23THRUST_200600_302600_NS6detail15normal_iteratorINS9_10device_ptrIiEEEESE_SE_iNS9_10multipliesIiEENS9_8equal_toIiEEiEE10hipError_tPvRmT2_T3_T4_T5_mT6_T7_P12ihipStream_tbENKUlT_T0_E_clISt17integral_constantIbLb0EESY_IbLb1EEEEDaSU_SV_EUlSU_E_NS1_11comp_targetILNS1_3genE10ELNS1_11target_archE1201ELNS1_3gpuE5ELNS1_3repE0EEENS1_30default_config_static_selectorELNS0_4arch9wavefront6targetE0EEEvT1_.numbered_sgpr, 0
	.set _ZN7rocprim17ROCPRIM_400000_NS6detail17trampoline_kernelINS0_14default_configENS1_27scan_by_key_config_selectorIiiEEZZNS1_16scan_by_key_implILNS1_25lookback_scan_determinismE0ELb0ES3_N6thrust23THRUST_200600_302600_NS6detail15normal_iteratorINS9_10device_ptrIiEEEESE_SE_iNS9_10multipliesIiEENS9_8equal_toIiEEiEE10hipError_tPvRmT2_T3_T4_T5_mT6_T7_P12ihipStream_tbENKUlT_T0_E_clISt17integral_constantIbLb0EESY_IbLb1EEEEDaSU_SV_EUlSU_E_NS1_11comp_targetILNS1_3genE10ELNS1_11target_archE1201ELNS1_3gpuE5ELNS1_3repE0EEENS1_30default_config_static_selectorELNS0_4arch9wavefront6targetE0EEEvT1_.num_named_barrier, 0
	.set _ZN7rocprim17ROCPRIM_400000_NS6detail17trampoline_kernelINS0_14default_configENS1_27scan_by_key_config_selectorIiiEEZZNS1_16scan_by_key_implILNS1_25lookback_scan_determinismE0ELb0ES3_N6thrust23THRUST_200600_302600_NS6detail15normal_iteratorINS9_10device_ptrIiEEEESE_SE_iNS9_10multipliesIiEENS9_8equal_toIiEEiEE10hipError_tPvRmT2_T3_T4_T5_mT6_T7_P12ihipStream_tbENKUlT_T0_E_clISt17integral_constantIbLb0EESY_IbLb1EEEEDaSU_SV_EUlSU_E_NS1_11comp_targetILNS1_3genE10ELNS1_11target_archE1201ELNS1_3gpuE5ELNS1_3repE0EEENS1_30default_config_static_selectorELNS0_4arch9wavefront6targetE0EEEvT1_.private_seg_size, 0
	.set _ZN7rocprim17ROCPRIM_400000_NS6detail17trampoline_kernelINS0_14default_configENS1_27scan_by_key_config_selectorIiiEEZZNS1_16scan_by_key_implILNS1_25lookback_scan_determinismE0ELb0ES3_N6thrust23THRUST_200600_302600_NS6detail15normal_iteratorINS9_10device_ptrIiEEEESE_SE_iNS9_10multipliesIiEENS9_8equal_toIiEEiEE10hipError_tPvRmT2_T3_T4_T5_mT6_T7_P12ihipStream_tbENKUlT_T0_E_clISt17integral_constantIbLb0EESY_IbLb1EEEEDaSU_SV_EUlSU_E_NS1_11comp_targetILNS1_3genE10ELNS1_11target_archE1201ELNS1_3gpuE5ELNS1_3repE0EEENS1_30default_config_static_selectorELNS0_4arch9wavefront6targetE0EEEvT1_.uses_vcc, 0
	.set _ZN7rocprim17ROCPRIM_400000_NS6detail17trampoline_kernelINS0_14default_configENS1_27scan_by_key_config_selectorIiiEEZZNS1_16scan_by_key_implILNS1_25lookback_scan_determinismE0ELb0ES3_N6thrust23THRUST_200600_302600_NS6detail15normal_iteratorINS9_10device_ptrIiEEEESE_SE_iNS9_10multipliesIiEENS9_8equal_toIiEEiEE10hipError_tPvRmT2_T3_T4_T5_mT6_T7_P12ihipStream_tbENKUlT_T0_E_clISt17integral_constantIbLb0EESY_IbLb1EEEEDaSU_SV_EUlSU_E_NS1_11comp_targetILNS1_3genE10ELNS1_11target_archE1201ELNS1_3gpuE5ELNS1_3repE0EEENS1_30default_config_static_selectorELNS0_4arch9wavefront6targetE0EEEvT1_.uses_flat_scratch, 0
	.set _ZN7rocprim17ROCPRIM_400000_NS6detail17trampoline_kernelINS0_14default_configENS1_27scan_by_key_config_selectorIiiEEZZNS1_16scan_by_key_implILNS1_25lookback_scan_determinismE0ELb0ES3_N6thrust23THRUST_200600_302600_NS6detail15normal_iteratorINS9_10device_ptrIiEEEESE_SE_iNS9_10multipliesIiEENS9_8equal_toIiEEiEE10hipError_tPvRmT2_T3_T4_T5_mT6_T7_P12ihipStream_tbENKUlT_T0_E_clISt17integral_constantIbLb0EESY_IbLb1EEEEDaSU_SV_EUlSU_E_NS1_11comp_targetILNS1_3genE10ELNS1_11target_archE1201ELNS1_3gpuE5ELNS1_3repE0EEENS1_30default_config_static_selectorELNS0_4arch9wavefront6targetE0EEEvT1_.has_dyn_sized_stack, 0
	.set _ZN7rocprim17ROCPRIM_400000_NS6detail17trampoline_kernelINS0_14default_configENS1_27scan_by_key_config_selectorIiiEEZZNS1_16scan_by_key_implILNS1_25lookback_scan_determinismE0ELb0ES3_N6thrust23THRUST_200600_302600_NS6detail15normal_iteratorINS9_10device_ptrIiEEEESE_SE_iNS9_10multipliesIiEENS9_8equal_toIiEEiEE10hipError_tPvRmT2_T3_T4_T5_mT6_T7_P12ihipStream_tbENKUlT_T0_E_clISt17integral_constantIbLb0EESY_IbLb1EEEEDaSU_SV_EUlSU_E_NS1_11comp_targetILNS1_3genE10ELNS1_11target_archE1201ELNS1_3gpuE5ELNS1_3repE0EEENS1_30default_config_static_selectorELNS0_4arch9wavefront6targetE0EEEvT1_.has_recursion, 0
	.set _ZN7rocprim17ROCPRIM_400000_NS6detail17trampoline_kernelINS0_14default_configENS1_27scan_by_key_config_selectorIiiEEZZNS1_16scan_by_key_implILNS1_25lookback_scan_determinismE0ELb0ES3_N6thrust23THRUST_200600_302600_NS6detail15normal_iteratorINS9_10device_ptrIiEEEESE_SE_iNS9_10multipliesIiEENS9_8equal_toIiEEiEE10hipError_tPvRmT2_T3_T4_T5_mT6_T7_P12ihipStream_tbENKUlT_T0_E_clISt17integral_constantIbLb0EESY_IbLb1EEEEDaSU_SV_EUlSU_E_NS1_11comp_targetILNS1_3genE10ELNS1_11target_archE1201ELNS1_3gpuE5ELNS1_3repE0EEENS1_30default_config_static_selectorELNS0_4arch9wavefront6targetE0EEEvT1_.has_indirect_call, 0
	.section	.AMDGPU.csdata,"",@progbits
; Kernel info:
; codeLenInByte = 0
; TotalNumSgprs: 0
; NumVgprs: 0
; ScratchSize: 0
; MemoryBound: 0
; FloatMode: 240
; IeeeMode: 1
; LDSByteSize: 0 bytes/workgroup (compile time only)
; SGPRBlocks: 0
; VGPRBlocks: 0
; NumSGPRsForWavesPerEU: 1
; NumVGPRsForWavesPerEU: 1
; NamedBarCnt: 0
; Occupancy: 16
; WaveLimiterHint : 0
; COMPUTE_PGM_RSRC2:SCRATCH_EN: 0
; COMPUTE_PGM_RSRC2:USER_SGPR: 2
; COMPUTE_PGM_RSRC2:TRAP_HANDLER: 0
; COMPUTE_PGM_RSRC2:TGID_X_EN: 1
; COMPUTE_PGM_RSRC2:TGID_Y_EN: 0
; COMPUTE_PGM_RSRC2:TGID_Z_EN: 0
; COMPUTE_PGM_RSRC2:TIDIG_COMP_CNT: 0
	.section	.text._ZN7rocprim17ROCPRIM_400000_NS6detail17trampoline_kernelINS0_14default_configENS1_27scan_by_key_config_selectorIiiEEZZNS1_16scan_by_key_implILNS1_25lookback_scan_determinismE0ELb0ES3_N6thrust23THRUST_200600_302600_NS6detail15normal_iteratorINS9_10device_ptrIiEEEESE_SE_iNS9_10multipliesIiEENS9_8equal_toIiEEiEE10hipError_tPvRmT2_T3_T4_T5_mT6_T7_P12ihipStream_tbENKUlT_T0_E_clISt17integral_constantIbLb0EESY_IbLb1EEEEDaSU_SV_EUlSU_E_NS1_11comp_targetILNS1_3genE5ELNS1_11target_archE942ELNS1_3gpuE9ELNS1_3repE0EEENS1_30default_config_static_selectorELNS0_4arch9wavefront6targetE0EEEvT1_,"axG",@progbits,_ZN7rocprim17ROCPRIM_400000_NS6detail17trampoline_kernelINS0_14default_configENS1_27scan_by_key_config_selectorIiiEEZZNS1_16scan_by_key_implILNS1_25lookback_scan_determinismE0ELb0ES3_N6thrust23THRUST_200600_302600_NS6detail15normal_iteratorINS9_10device_ptrIiEEEESE_SE_iNS9_10multipliesIiEENS9_8equal_toIiEEiEE10hipError_tPvRmT2_T3_T4_T5_mT6_T7_P12ihipStream_tbENKUlT_T0_E_clISt17integral_constantIbLb0EESY_IbLb1EEEEDaSU_SV_EUlSU_E_NS1_11comp_targetILNS1_3genE5ELNS1_11target_archE942ELNS1_3gpuE9ELNS1_3repE0EEENS1_30default_config_static_selectorELNS0_4arch9wavefront6targetE0EEEvT1_,comdat
	.protected	_ZN7rocprim17ROCPRIM_400000_NS6detail17trampoline_kernelINS0_14default_configENS1_27scan_by_key_config_selectorIiiEEZZNS1_16scan_by_key_implILNS1_25lookback_scan_determinismE0ELb0ES3_N6thrust23THRUST_200600_302600_NS6detail15normal_iteratorINS9_10device_ptrIiEEEESE_SE_iNS9_10multipliesIiEENS9_8equal_toIiEEiEE10hipError_tPvRmT2_T3_T4_T5_mT6_T7_P12ihipStream_tbENKUlT_T0_E_clISt17integral_constantIbLb0EESY_IbLb1EEEEDaSU_SV_EUlSU_E_NS1_11comp_targetILNS1_3genE5ELNS1_11target_archE942ELNS1_3gpuE9ELNS1_3repE0EEENS1_30default_config_static_selectorELNS0_4arch9wavefront6targetE0EEEvT1_ ; -- Begin function _ZN7rocprim17ROCPRIM_400000_NS6detail17trampoline_kernelINS0_14default_configENS1_27scan_by_key_config_selectorIiiEEZZNS1_16scan_by_key_implILNS1_25lookback_scan_determinismE0ELb0ES3_N6thrust23THRUST_200600_302600_NS6detail15normal_iteratorINS9_10device_ptrIiEEEESE_SE_iNS9_10multipliesIiEENS9_8equal_toIiEEiEE10hipError_tPvRmT2_T3_T4_T5_mT6_T7_P12ihipStream_tbENKUlT_T0_E_clISt17integral_constantIbLb0EESY_IbLb1EEEEDaSU_SV_EUlSU_E_NS1_11comp_targetILNS1_3genE5ELNS1_11target_archE942ELNS1_3gpuE9ELNS1_3repE0EEENS1_30default_config_static_selectorELNS0_4arch9wavefront6targetE0EEEvT1_
	.globl	_ZN7rocprim17ROCPRIM_400000_NS6detail17trampoline_kernelINS0_14default_configENS1_27scan_by_key_config_selectorIiiEEZZNS1_16scan_by_key_implILNS1_25lookback_scan_determinismE0ELb0ES3_N6thrust23THRUST_200600_302600_NS6detail15normal_iteratorINS9_10device_ptrIiEEEESE_SE_iNS9_10multipliesIiEENS9_8equal_toIiEEiEE10hipError_tPvRmT2_T3_T4_T5_mT6_T7_P12ihipStream_tbENKUlT_T0_E_clISt17integral_constantIbLb0EESY_IbLb1EEEEDaSU_SV_EUlSU_E_NS1_11comp_targetILNS1_3genE5ELNS1_11target_archE942ELNS1_3gpuE9ELNS1_3repE0EEENS1_30default_config_static_selectorELNS0_4arch9wavefront6targetE0EEEvT1_
	.p2align	8
	.type	_ZN7rocprim17ROCPRIM_400000_NS6detail17trampoline_kernelINS0_14default_configENS1_27scan_by_key_config_selectorIiiEEZZNS1_16scan_by_key_implILNS1_25lookback_scan_determinismE0ELb0ES3_N6thrust23THRUST_200600_302600_NS6detail15normal_iteratorINS9_10device_ptrIiEEEESE_SE_iNS9_10multipliesIiEENS9_8equal_toIiEEiEE10hipError_tPvRmT2_T3_T4_T5_mT6_T7_P12ihipStream_tbENKUlT_T0_E_clISt17integral_constantIbLb0EESY_IbLb1EEEEDaSU_SV_EUlSU_E_NS1_11comp_targetILNS1_3genE5ELNS1_11target_archE942ELNS1_3gpuE9ELNS1_3repE0EEENS1_30default_config_static_selectorELNS0_4arch9wavefront6targetE0EEEvT1_,@function
_ZN7rocprim17ROCPRIM_400000_NS6detail17trampoline_kernelINS0_14default_configENS1_27scan_by_key_config_selectorIiiEEZZNS1_16scan_by_key_implILNS1_25lookback_scan_determinismE0ELb0ES3_N6thrust23THRUST_200600_302600_NS6detail15normal_iteratorINS9_10device_ptrIiEEEESE_SE_iNS9_10multipliesIiEENS9_8equal_toIiEEiEE10hipError_tPvRmT2_T3_T4_T5_mT6_T7_P12ihipStream_tbENKUlT_T0_E_clISt17integral_constantIbLb0EESY_IbLb1EEEEDaSU_SV_EUlSU_E_NS1_11comp_targetILNS1_3genE5ELNS1_11target_archE942ELNS1_3gpuE9ELNS1_3repE0EEENS1_30default_config_static_selectorELNS0_4arch9wavefront6targetE0EEEvT1_: ; @_ZN7rocprim17ROCPRIM_400000_NS6detail17trampoline_kernelINS0_14default_configENS1_27scan_by_key_config_selectorIiiEEZZNS1_16scan_by_key_implILNS1_25lookback_scan_determinismE0ELb0ES3_N6thrust23THRUST_200600_302600_NS6detail15normal_iteratorINS9_10device_ptrIiEEEESE_SE_iNS9_10multipliesIiEENS9_8equal_toIiEEiEE10hipError_tPvRmT2_T3_T4_T5_mT6_T7_P12ihipStream_tbENKUlT_T0_E_clISt17integral_constantIbLb0EESY_IbLb1EEEEDaSU_SV_EUlSU_E_NS1_11comp_targetILNS1_3genE5ELNS1_11target_archE942ELNS1_3gpuE9ELNS1_3repE0EEENS1_30default_config_static_selectorELNS0_4arch9wavefront6targetE0EEEvT1_
; %bb.0:
	.section	.rodata,"a",@progbits
	.p2align	6, 0x0
	.amdhsa_kernel _ZN7rocprim17ROCPRIM_400000_NS6detail17trampoline_kernelINS0_14default_configENS1_27scan_by_key_config_selectorIiiEEZZNS1_16scan_by_key_implILNS1_25lookback_scan_determinismE0ELb0ES3_N6thrust23THRUST_200600_302600_NS6detail15normal_iteratorINS9_10device_ptrIiEEEESE_SE_iNS9_10multipliesIiEENS9_8equal_toIiEEiEE10hipError_tPvRmT2_T3_T4_T5_mT6_T7_P12ihipStream_tbENKUlT_T0_E_clISt17integral_constantIbLb0EESY_IbLb1EEEEDaSU_SV_EUlSU_E_NS1_11comp_targetILNS1_3genE5ELNS1_11target_archE942ELNS1_3gpuE9ELNS1_3repE0EEENS1_30default_config_static_selectorELNS0_4arch9wavefront6targetE0EEEvT1_
		.amdhsa_group_segment_fixed_size 0
		.amdhsa_private_segment_fixed_size 0
		.amdhsa_kernarg_size 112
		.amdhsa_user_sgpr_count 2
		.amdhsa_user_sgpr_dispatch_ptr 0
		.amdhsa_user_sgpr_queue_ptr 0
		.amdhsa_user_sgpr_kernarg_segment_ptr 1
		.amdhsa_user_sgpr_dispatch_id 0
		.amdhsa_user_sgpr_kernarg_preload_length 0
		.amdhsa_user_sgpr_kernarg_preload_offset 0
		.amdhsa_user_sgpr_private_segment_size 0
		.amdhsa_wavefront_size32 1
		.amdhsa_uses_dynamic_stack 0
		.amdhsa_enable_private_segment 0
		.amdhsa_system_sgpr_workgroup_id_x 1
		.amdhsa_system_sgpr_workgroup_id_y 0
		.amdhsa_system_sgpr_workgroup_id_z 0
		.amdhsa_system_sgpr_workgroup_info 0
		.amdhsa_system_vgpr_workitem_id 0
		.amdhsa_next_free_vgpr 1
		.amdhsa_next_free_sgpr 1
		.amdhsa_named_barrier_count 0
		.amdhsa_reserve_vcc 0
		.amdhsa_float_round_mode_32 0
		.amdhsa_float_round_mode_16_64 0
		.amdhsa_float_denorm_mode_32 3
		.amdhsa_float_denorm_mode_16_64 3
		.amdhsa_fp16_overflow 0
		.amdhsa_memory_ordered 1
		.amdhsa_forward_progress 1
		.amdhsa_inst_pref_size 0
		.amdhsa_round_robin_scheduling 0
		.amdhsa_exception_fp_ieee_invalid_op 0
		.amdhsa_exception_fp_denorm_src 0
		.amdhsa_exception_fp_ieee_div_zero 0
		.amdhsa_exception_fp_ieee_overflow 0
		.amdhsa_exception_fp_ieee_underflow 0
		.amdhsa_exception_fp_ieee_inexact 0
		.amdhsa_exception_int_div_zero 0
	.end_amdhsa_kernel
	.section	.text._ZN7rocprim17ROCPRIM_400000_NS6detail17trampoline_kernelINS0_14default_configENS1_27scan_by_key_config_selectorIiiEEZZNS1_16scan_by_key_implILNS1_25lookback_scan_determinismE0ELb0ES3_N6thrust23THRUST_200600_302600_NS6detail15normal_iteratorINS9_10device_ptrIiEEEESE_SE_iNS9_10multipliesIiEENS9_8equal_toIiEEiEE10hipError_tPvRmT2_T3_T4_T5_mT6_T7_P12ihipStream_tbENKUlT_T0_E_clISt17integral_constantIbLb0EESY_IbLb1EEEEDaSU_SV_EUlSU_E_NS1_11comp_targetILNS1_3genE5ELNS1_11target_archE942ELNS1_3gpuE9ELNS1_3repE0EEENS1_30default_config_static_selectorELNS0_4arch9wavefront6targetE0EEEvT1_,"axG",@progbits,_ZN7rocprim17ROCPRIM_400000_NS6detail17trampoline_kernelINS0_14default_configENS1_27scan_by_key_config_selectorIiiEEZZNS1_16scan_by_key_implILNS1_25lookback_scan_determinismE0ELb0ES3_N6thrust23THRUST_200600_302600_NS6detail15normal_iteratorINS9_10device_ptrIiEEEESE_SE_iNS9_10multipliesIiEENS9_8equal_toIiEEiEE10hipError_tPvRmT2_T3_T4_T5_mT6_T7_P12ihipStream_tbENKUlT_T0_E_clISt17integral_constantIbLb0EESY_IbLb1EEEEDaSU_SV_EUlSU_E_NS1_11comp_targetILNS1_3genE5ELNS1_11target_archE942ELNS1_3gpuE9ELNS1_3repE0EEENS1_30default_config_static_selectorELNS0_4arch9wavefront6targetE0EEEvT1_,comdat
.Lfunc_end193:
	.size	_ZN7rocprim17ROCPRIM_400000_NS6detail17trampoline_kernelINS0_14default_configENS1_27scan_by_key_config_selectorIiiEEZZNS1_16scan_by_key_implILNS1_25lookback_scan_determinismE0ELb0ES3_N6thrust23THRUST_200600_302600_NS6detail15normal_iteratorINS9_10device_ptrIiEEEESE_SE_iNS9_10multipliesIiEENS9_8equal_toIiEEiEE10hipError_tPvRmT2_T3_T4_T5_mT6_T7_P12ihipStream_tbENKUlT_T0_E_clISt17integral_constantIbLb0EESY_IbLb1EEEEDaSU_SV_EUlSU_E_NS1_11comp_targetILNS1_3genE5ELNS1_11target_archE942ELNS1_3gpuE9ELNS1_3repE0EEENS1_30default_config_static_selectorELNS0_4arch9wavefront6targetE0EEEvT1_, .Lfunc_end193-_ZN7rocprim17ROCPRIM_400000_NS6detail17trampoline_kernelINS0_14default_configENS1_27scan_by_key_config_selectorIiiEEZZNS1_16scan_by_key_implILNS1_25lookback_scan_determinismE0ELb0ES3_N6thrust23THRUST_200600_302600_NS6detail15normal_iteratorINS9_10device_ptrIiEEEESE_SE_iNS9_10multipliesIiEENS9_8equal_toIiEEiEE10hipError_tPvRmT2_T3_T4_T5_mT6_T7_P12ihipStream_tbENKUlT_T0_E_clISt17integral_constantIbLb0EESY_IbLb1EEEEDaSU_SV_EUlSU_E_NS1_11comp_targetILNS1_3genE5ELNS1_11target_archE942ELNS1_3gpuE9ELNS1_3repE0EEENS1_30default_config_static_selectorELNS0_4arch9wavefront6targetE0EEEvT1_
                                        ; -- End function
	.set _ZN7rocprim17ROCPRIM_400000_NS6detail17trampoline_kernelINS0_14default_configENS1_27scan_by_key_config_selectorIiiEEZZNS1_16scan_by_key_implILNS1_25lookback_scan_determinismE0ELb0ES3_N6thrust23THRUST_200600_302600_NS6detail15normal_iteratorINS9_10device_ptrIiEEEESE_SE_iNS9_10multipliesIiEENS9_8equal_toIiEEiEE10hipError_tPvRmT2_T3_T4_T5_mT6_T7_P12ihipStream_tbENKUlT_T0_E_clISt17integral_constantIbLb0EESY_IbLb1EEEEDaSU_SV_EUlSU_E_NS1_11comp_targetILNS1_3genE5ELNS1_11target_archE942ELNS1_3gpuE9ELNS1_3repE0EEENS1_30default_config_static_selectorELNS0_4arch9wavefront6targetE0EEEvT1_.num_vgpr, 0
	.set _ZN7rocprim17ROCPRIM_400000_NS6detail17trampoline_kernelINS0_14default_configENS1_27scan_by_key_config_selectorIiiEEZZNS1_16scan_by_key_implILNS1_25lookback_scan_determinismE0ELb0ES3_N6thrust23THRUST_200600_302600_NS6detail15normal_iteratorINS9_10device_ptrIiEEEESE_SE_iNS9_10multipliesIiEENS9_8equal_toIiEEiEE10hipError_tPvRmT2_T3_T4_T5_mT6_T7_P12ihipStream_tbENKUlT_T0_E_clISt17integral_constantIbLb0EESY_IbLb1EEEEDaSU_SV_EUlSU_E_NS1_11comp_targetILNS1_3genE5ELNS1_11target_archE942ELNS1_3gpuE9ELNS1_3repE0EEENS1_30default_config_static_selectorELNS0_4arch9wavefront6targetE0EEEvT1_.num_agpr, 0
	.set _ZN7rocprim17ROCPRIM_400000_NS6detail17trampoline_kernelINS0_14default_configENS1_27scan_by_key_config_selectorIiiEEZZNS1_16scan_by_key_implILNS1_25lookback_scan_determinismE0ELb0ES3_N6thrust23THRUST_200600_302600_NS6detail15normal_iteratorINS9_10device_ptrIiEEEESE_SE_iNS9_10multipliesIiEENS9_8equal_toIiEEiEE10hipError_tPvRmT2_T3_T4_T5_mT6_T7_P12ihipStream_tbENKUlT_T0_E_clISt17integral_constantIbLb0EESY_IbLb1EEEEDaSU_SV_EUlSU_E_NS1_11comp_targetILNS1_3genE5ELNS1_11target_archE942ELNS1_3gpuE9ELNS1_3repE0EEENS1_30default_config_static_selectorELNS0_4arch9wavefront6targetE0EEEvT1_.numbered_sgpr, 0
	.set _ZN7rocprim17ROCPRIM_400000_NS6detail17trampoline_kernelINS0_14default_configENS1_27scan_by_key_config_selectorIiiEEZZNS1_16scan_by_key_implILNS1_25lookback_scan_determinismE0ELb0ES3_N6thrust23THRUST_200600_302600_NS6detail15normal_iteratorINS9_10device_ptrIiEEEESE_SE_iNS9_10multipliesIiEENS9_8equal_toIiEEiEE10hipError_tPvRmT2_T3_T4_T5_mT6_T7_P12ihipStream_tbENKUlT_T0_E_clISt17integral_constantIbLb0EESY_IbLb1EEEEDaSU_SV_EUlSU_E_NS1_11comp_targetILNS1_3genE5ELNS1_11target_archE942ELNS1_3gpuE9ELNS1_3repE0EEENS1_30default_config_static_selectorELNS0_4arch9wavefront6targetE0EEEvT1_.num_named_barrier, 0
	.set _ZN7rocprim17ROCPRIM_400000_NS6detail17trampoline_kernelINS0_14default_configENS1_27scan_by_key_config_selectorIiiEEZZNS1_16scan_by_key_implILNS1_25lookback_scan_determinismE0ELb0ES3_N6thrust23THRUST_200600_302600_NS6detail15normal_iteratorINS9_10device_ptrIiEEEESE_SE_iNS9_10multipliesIiEENS9_8equal_toIiEEiEE10hipError_tPvRmT2_T3_T4_T5_mT6_T7_P12ihipStream_tbENKUlT_T0_E_clISt17integral_constantIbLb0EESY_IbLb1EEEEDaSU_SV_EUlSU_E_NS1_11comp_targetILNS1_3genE5ELNS1_11target_archE942ELNS1_3gpuE9ELNS1_3repE0EEENS1_30default_config_static_selectorELNS0_4arch9wavefront6targetE0EEEvT1_.private_seg_size, 0
	.set _ZN7rocprim17ROCPRIM_400000_NS6detail17trampoline_kernelINS0_14default_configENS1_27scan_by_key_config_selectorIiiEEZZNS1_16scan_by_key_implILNS1_25lookback_scan_determinismE0ELb0ES3_N6thrust23THRUST_200600_302600_NS6detail15normal_iteratorINS9_10device_ptrIiEEEESE_SE_iNS9_10multipliesIiEENS9_8equal_toIiEEiEE10hipError_tPvRmT2_T3_T4_T5_mT6_T7_P12ihipStream_tbENKUlT_T0_E_clISt17integral_constantIbLb0EESY_IbLb1EEEEDaSU_SV_EUlSU_E_NS1_11comp_targetILNS1_3genE5ELNS1_11target_archE942ELNS1_3gpuE9ELNS1_3repE0EEENS1_30default_config_static_selectorELNS0_4arch9wavefront6targetE0EEEvT1_.uses_vcc, 0
	.set _ZN7rocprim17ROCPRIM_400000_NS6detail17trampoline_kernelINS0_14default_configENS1_27scan_by_key_config_selectorIiiEEZZNS1_16scan_by_key_implILNS1_25lookback_scan_determinismE0ELb0ES3_N6thrust23THRUST_200600_302600_NS6detail15normal_iteratorINS9_10device_ptrIiEEEESE_SE_iNS9_10multipliesIiEENS9_8equal_toIiEEiEE10hipError_tPvRmT2_T3_T4_T5_mT6_T7_P12ihipStream_tbENKUlT_T0_E_clISt17integral_constantIbLb0EESY_IbLb1EEEEDaSU_SV_EUlSU_E_NS1_11comp_targetILNS1_3genE5ELNS1_11target_archE942ELNS1_3gpuE9ELNS1_3repE0EEENS1_30default_config_static_selectorELNS0_4arch9wavefront6targetE0EEEvT1_.uses_flat_scratch, 0
	.set _ZN7rocprim17ROCPRIM_400000_NS6detail17trampoline_kernelINS0_14default_configENS1_27scan_by_key_config_selectorIiiEEZZNS1_16scan_by_key_implILNS1_25lookback_scan_determinismE0ELb0ES3_N6thrust23THRUST_200600_302600_NS6detail15normal_iteratorINS9_10device_ptrIiEEEESE_SE_iNS9_10multipliesIiEENS9_8equal_toIiEEiEE10hipError_tPvRmT2_T3_T4_T5_mT6_T7_P12ihipStream_tbENKUlT_T0_E_clISt17integral_constantIbLb0EESY_IbLb1EEEEDaSU_SV_EUlSU_E_NS1_11comp_targetILNS1_3genE5ELNS1_11target_archE942ELNS1_3gpuE9ELNS1_3repE0EEENS1_30default_config_static_selectorELNS0_4arch9wavefront6targetE0EEEvT1_.has_dyn_sized_stack, 0
	.set _ZN7rocprim17ROCPRIM_400000_NS6detail17trampoline_kernelINS0_14default_configENS1_27scan_by_key_config_selectorIiiEEZZNS1_16scan_by_key_implILNS1_25lookback_scan_determinismE0ELb0ES3_N6thrust23THRUST_200600_302600_NS6detail15normal_iteratorINS9_10device_ptrIiEEEESE_SE_iNS9_10multipliesIiEENS9_8equal_toIiEEiEE10hipError_tPvRmT2_T3_T4_T5_mT6_T7_P12ihipStream_tbENKUlT_T0_E_clISt17integral_constantIbLb0EESY_IbLb1EEEEDaSU_SV_EUlSU_E_NS1_11comp_targetILNS1_3genE5ELNS1_11target_archE942ELNS1_3gpuE9ELNS1_3repE0EEENS1_30default_config_static_selectorELNS0_4arch9wavefront6targetE0EEEvT1_.has_recursion, 0
	.set _ZN7rocprim17ROCPRIM_400000_NS6detail17trampoline_kernelINS0_14default_configENS1_27scan_by_key_config_selectorIiiEEZZNS1_16scan_by_key_implILNS1_25lookback_scan_determinismE0ELb0ES3_N6thrust23THRUST_200600_302600_NS6detail15normal_iteratorINS9_10device_ptrIiEEEESE_SE_iNS9_10multipliesIiEENS9_8equal_toIiEEiEE10hipError_tPvRmT2_T3_T4_T5_mT6_T7_P12ihipStream_tbENKUlT_T0_E_clISt17integral_constantIbLb0EESY_IbLb1EEEEDaSU_SV_EUlSU_E_NS1_11comp_targetILNS1_3genE5ELNS1_11target_archE942ELNS1_3gpuE9ELNS1_3repE0EEENS1_30default_config_static_selectorELNS0_4arch9wavefront6targetE0EEEvT1_.has_indirect_call, 0
	.section	.AMDGPU.csdata,"",@progbits
; Kernel info:
; codeLenInByte = 0
; TotalNumSgprs: 0
; NumVgprs: 0
; ScratchSize: 0
; MemoryBound: 0
; FloatMode: 240
; IeeeMode: 1
; LDSByteSize: 0 bytes/workgroup (compile time only)
; SGPRBlocks: 0
; VGPRBlocks: 0
; NumSGPRsForWavesPerEU: 1
; NumVGPRsForWavesPerEU: 1
; NamedBarCnt: 0
; Occupancy: 16
; WaveLimiterHint : 0
; COMPUTE_PGM_RSRC2:SCRATCH_EN: 0
; COMPUTE_PGM_RSRC2:USER_SGPR: 2
; COMPUTE_PGM_RSRC2:TRAP_HANDLER: 0
; COMPUTE_PGM_RSRC2:TGID_X_EN: 1
; COMPUTE_PGM_RSRC2:TGID_Y_EN: 0
; COMPUTE_PGM_RSRC2:TGID_Z_EN: 0
; COMPUTE_PGM_RSRC2:TIDIG_COMP_CNT: 0
	.section	.text._ZN7rocprim17ROCPRIM_400000_NS6detail17trampoline_kernelINS0_14default_configENS1_27scan_by_key_config_selectorIiiEEZZNS1_16scan_by_key_implILNS1_25lookback_scan_determinismE0ELb0ES3_N6thrust23THRUST_200600_302600_NS6detail15normal_iteratorINS9_10device_ptrIiEEEESE_SE_iNS9_10multipliesIiEENS9_8equal_toIiEEiEE10hipError_tPvRmT2_T3_T4_T5_mT6_T7_P12ihipStream_tbENKUlT_T0_E_clISt17integral_constantIbLb0EESY_IbLb1EEEEDaSU_SV_EUlSU_E_NS1_11comp_targetILNS1_3genE4ELNS1_11target_archE910ELNS1_3gpuE8ELNS1_3repE0EEENS1_30default_config_static_selectorELNS0_4arch9wavefront6targetE0EEEvT1_,"axG",@progbits,_ZN7rocprim17ROCPRIM_400000_NS6detail17trampoline_kernelINS0_14default_configENS1_27scan_by_key_config_selectorIiiEEZZNS1_16scan_by_key_implILNS1_25lookback_scan_determinismE0ELb0ES3_N6thrust23THRUST_200600_302600_NS6detail15normal_iteratorINS9_10device_ptrIiEEEESE_SE_iNS9_10multipliesIiEENS9_8equal_toIiEEiEE10hipError_tPvRmT2_T3_T4_T5_mT6_T7_P12ihipStream_tbENKUlT_T0_E_clISt17integral_constantIbLb0EESY_IbLb1EEEEDaSU_SV_EUlSU_E_NS1_11comp_targetILNS1_3genE4ELNS1_11target_archE910ELNS1_3gpuE8ELNS1_3repE0EEENS1_30default_config_static_selectorELNS0_4arch9wavefront6targetE0EEEvT1_,comdat
	.protected	_ZN7rocprim17ROCPRIM_400000_NS6detail17trampoline_kernelINS0_14default_configENS1_27scan_by_key_config_selectorIiiEEZZNS1_16scan_by_key_implILNS1_25lookback_scan_determinismE0ELb0ES3_N6thrust23THRUST_200600_302600_NS6detail15normal_iteratorINS9_10device_ptrIiEEEESE_SE_iNS9_10multipliesIiEENS9_8equal_toIiEEiEE10hipError_tPvRmT2_T3_T4_T5_mT6_T7_P12ihipStream_tbENKUlT_T0_E_clISt17integral_constantIbLb0EESY_IbLb1EEEEDaSU_SV_EUlSU_E_NS1_11comp_targetILNS1_3genE4ELNS1_11target_archE910ELNS1_3gpuE8ELNS1_3repE0EEENS1_30default_config_static_selectorELNS0_4arch9wavefront6targetE0EEEvT1_ ; -- Begin function _ZN7rocprim17ROCPRIM_400000_NS6detail17trampoline_kernelINS0_14default_configENS1_27scan_by_key_config_selectorIiiEEZZNS1_16scan_by_key_implILNS1_25lookback_scan_determinismE0ELb0ES3_N6thrust23THRUST_200600_302600_NS6detail15normal_iteratorINS9_10device_ptrIiEEEESE_SE_iNS9_10multipliesIiEENS9_8equal_toIiEEiEE10hipError_tPvRmT2_T3_T4_T5_mT6_T7_P12ihipStream_tbENKUlT_T0_E_clISt17integral_constantIbLb0EESY_IbLb1EEEEDaSU_SV_EUlSU_E_NS1_11comp_targetILNS1_3genE4ELNS1_11target_archE910ELNS1_3gpuE8ELNS1_3repE0EEENS1_30default_config_static_selectorELNS0_4arch9wavefront6targetE0EEEvT1_
	.globl	_ZN7rocprim17ROCPRIM_400000_NS6detail17trampoline_kernelINS0_14default_configENS1_27scan_by_key_config_selectorIiiEEZZNS1_16scan_by_key_implILNS1_25lookback_scan_determinismE0ELb0ES3_N6thrust23THRUST_200600_302600_NS6detail15normal_iteratorINS9_10device_ptrIiEEEESE_SE_iNS9_10multipliesIiEENS9_8equal_toIiEEiEE10hipError_tPvRmT2_T3_T4_T5_mT6_T7_P12ihipStream_tbENKUlT_T0_E_clISt17integral_constantIbLb0EESY_IbLb1EEEEDaSU_SV_EUlSU_E_NS1_11comp_targetILNS1_3genE4ELNS1_11target_archE910ELNS1_3gpuE8ELNS1_3repE0EEENS1_30default_config_static_selectorELNS0_4arch9wavefront6targetE0EEEvT1_
	.p2align	8
	.type	_ZN7rocprim17ROCPRIM_400000_NS6detail17trampoline_kernelINS0_14default_configENS1_27scan_by_key_config_selectorIiiEEZZNS1_16scan_by_key_implILNS1_25lookback_scan_determinismE0ELb0ES3_N6thrust23THRUST_200600_302600_NS6detail15normal_iteratorINS9_10device_ptrIiEEEESE_SE_iNS9_10multipliesIiEENS9_8equal_toIiEEiEE10hipError_tPvRmT2_T3_T4_T5_mT6_T7_P12ihipStream_tbENKUlT_T0_E_clISt17integral_constantIbLb0EESY_IbLb1EEEEDaSU_SV_EUlSU_E_NS1_11comp_targetILNS1_3genE4ELNS1_11target_archE910ELNS1_3gpuE8ELNS1_3repE0EEENS1_30default_config_static_selectorELNS0_4arch9wavefront6targetE0EEEvT1_,@function
_ZN7rocprim17ROCPRIM_400000_NS6detail17trampoline_kernelINS0_14default_configENS1_27scan_by_key_config_selectorIiiEEZZNS1_16scan_by_key_implILNS1_25lookback_scan_determinismE0ELb0ES3_N6thrust23THRUST_200600_302600_NS6detail15normal_iteratorINS9_10device_ptrIiEEEESE_SE_iNS9_10multipliesIiEENS9_8equal_toIiEEiEE10hipError_tPvRmT2_T3_T4_T5_mT6_T7_P12ihipStream_tbENKUlT_T0_E_clISt17integral_constantIbLb0EESY_IbLb1EEEEDaSU_SV_EUlSU_E_NS1_11comp_targetILNS1_3genE4ELNS1_11target_archE910ELNS1_3gpuE8ELNS1_3repE0EEENS1_30default_config_static_selectorELNS0_4arch9wavefront6targetE0EEEvT1_: ; @_ZN7rocprim17ROCPRIM_400000_NS6detail17trampoline_kernelINS0_14default_configENS1_27scan_by_key_config_selectorIiiEEZZNS1_16scan_by_key_implILNS1_25lookback_scan_determinismE0ELb0ES3_N6thrust23THRUST_200600_302600_NS6detail15normal_iteratorINS9_10device_ptrIiEEEESE_SE_iNS9_10multipliesIiEENS9_8equal_toIiEEiEE10hipError_tPvRmT2_T3_T4_T5_mT6_T7_P12ihipStream_tbENKUlT_T0_E_clISt17integral_constantIbLb0EESY_IbLb1EEEEDaSU_SV_EUlSU_E_NS1_11comp_targetILNS1_3genE4ELNS1_11target_archE910ELNS1_3gpuE8ELNS1_3repE0EEENS1_30default_config_static_selectorELNS0_4arch9wavefront6targetE0EEEvT1_
; %bb.0:
	.section	.rodata,"a",@progbits
	.p2align	6, 0x0
	.amdhsa_kernel _ZN7rocprim17ROCPRIM_400000_NS6detail17trampoline_kernelINS0_14default_configENS1_27scan_by_key_config_selectorIiiEEZZNS1_16scan_by_key_implILNS1_25lookback_scan_determinismE0ELb0ES3_N6thrust23THRUST_200600_302600_NS6detail15normal_iteratorINS9_10device_ptrIiEEEESE_SE_iNS9_10multipliesIiEENS9_8equal_toIiEEiEE10hipError_tPvRmT2_T3_T4_T5_mT6_T7_P12ihipStream_tbENKUlT_T0_E_clISt17integral_constantIbLb0EESY_IbLb1EEEEDaSU_SV_EUlSU_E_NS1_11comp_targetILNS1_3genE4ELNS1_11target_archE910ELNS1_3gpuE8ELNS1_3repE0EEENS1_30default_config_static_selectorELNS0_4arch9wavefront6targetE0EEEvT1_
		.amdhsa_group_segment_fixed_size 0
		.amdhsa_private_segment_fixed_size 0
		.amdhsa_kernarg_size 112
		.amdhsa_user_sgpr_count 2
		.amdhsa_user_sgpr_dispatch_ptr 0
		.amdhsa_user_sgpr_queue_ptr 0
		.amdhsa_user_sgpr_kernarg_segment_ptr 1
		.amdhsa_user_sgpr_dispatch_id 0
		.amdhsa_user_sgpr_kernarg_preload_length 0
		.amdhsa_user_sgpr_kernarg_preload_offset 0
		.amdhsa_user_sgpr_private_segment_size 0
		.amdhsa_wavefront_size32 1
		.amdhsa_uses_dynamic_stack 0
		.amdhsa_enable_private_segment 0
		.amdhsa_system_sgpr_workgroup_id_x 1
		.amdhsa_system_sgpr_workgroup_id_y 0
		.amdhsa_system_sgpr_workgroup_id_z 0
		.amdhsa_system_sgpr_workgroup_info 0
		.amdhsa_system_vgpr_workitem_id 0
		.amdhsa_next_free_vgpr 1
		.amdhsa_next_free_sgpr 1
		.amdhsa_named_barrier_count 0
		.amdhsa_reserve_vcc 0
		.amdhsa_float_round_mode_32 0
		.amdhsa_float_round_mode_16_64 0
		.amdhsa_float_denorm_mode_32 3
		.amdhsa_float_denorm_mode_16_64 3
		.amdhsa_fp16_overflow 0
		.amdhsa_memory_ordered 1
		.amdhsa_forward_progress 1
		.amdhsa_inst_pref_size 0
		.amdhsa_round_robin_scheduling 0
		.amdhsa_exception_fp_ieee_invalid_op 0
		.amdhsa_exception_fp_denorm_src 0
		.amdhsa_exception_fp_ieee_div_zero 0
		.amdhsa_exception_fp_ieee_overflow 0
		.amdhsa_exception_fp_ieee_underflow 0
		.amdhsa_exception_fp_ieee_inexact 0
		.amdhsa_exception_int_div_zero 0
	.end_amdhsa_kernel
	.section	.text._ZN7rocprim17ROCPRIM_400000_NS6detail17trampoline_kernelINS0_14default_configENS1_27scan_by_key_config_selectorIiiEEZZNS1_16scan_by_key_implILNS1_25lookback_scan_determinismE0ELb0ES3_N6thrust23THRUST_200600_302600_NS6detail15normal_iteratorINS9_10device_ptrIiEEEESE_SE_iNS9_10multipliesIiEENS9_8equal_toIiEEiEE10hipError_tPvRmT2_T3_T4_T5_mT6_T7_P12ihipStream_tbENKUlT_T0_E_clISt17integral_constantIbLb0EESY_IbLb1EEEEDaSU_SV_EUlSU_E_NS1_11comp_targetILNS1_3genE4ELNS1_11target_archE910ELNS1_3gpuE8ELNS1_3repE0EEENS1_30default_config_static_selectorELNS0_4arch9wavefront6targetE0EEEvT1_,"axG",@progbits,_ZN7rocprim17ROCPRIM_400000_NS6detail17trampoline_kernelINS0_14default_configENS1_27scan_by_key_config_selectorIiiEEZZNS1_16scan_by_key_implILNS1_25lookback_scan_determinismE0ELb0ES3_N6thrust23THRUST_200600_302600_NS6detail15normal_iteratorINS9_10device_ptrIiEEEESE_SE_iNS9_10multipliesIiEENS9_8equal_toIiEEiEE10hipError_tPvRmT2_T3_T4_T5_mT6_T7_P12ihipStream_tbENKUlT_T0_E_clISt17integral_constantIbLb0EESY_IbLb1EEEEDaSU_SV_EUlSU_E_NS1_11comp_targetILNS1_3genE4ELNS1_11target_archE910ELNS1_3gpuE8ELNS1_3repE0EEENS1_30default_config_static_selectorELNS0_4arch9wavefront6targetE0EEEvT1_,comdat
.Lfunc_end194:
	.size	_ZN7rocprim17ROCPRIM_400000_NS6detail17trampoline_kernelINS0_14default_configENS1_27scan_by_key_config_selectorIiiEEZZNS1_16scan_by_key_implILNS1_25lookback_scan_determinismE0ELb0ES3_N6thrust23THRUST_200600_302600_NS6detail15normal_iteratorINS9_10device_ptrIiEEEESE_SE_iNS9_10multipliesIiEENS9_8equal_toIiEEiEE10hipError_tPvRmT2_T3_T4_T5_mT6_T7_P12ihipStream_tbENKUlT_T0_E_clISt17integral_constantIbLb0EESY_IbLb1EEEEDaSU_SV_EUlSU_E_NS1_11comp_targetILNS1_3genE4ELNS1_11target_archE910ELNS1_3gpuE8ELNS1_3repE0EEENS1_30default_config_static_selectorELNS0_4arch9wavefront6targetE0EEEvT1_, .Lfunc_end194-_ZN7rocprim17ROCPRIM_400000_NS6detail17trampoline_kernelINS0_14default_configENS1_27scan_by_key_config_selectorIiiEEZZNS1_16scan_by_key_implILNS1_25lookback_scan_determinismE0ELb0ES3_N6thrust23THRUST_200600_302600_NS6detail15normal_iteratorINS9_10device_ptrIiEEEESE_SE_iNS9_10multipliesIiEENS9_8equal_toIiEEiEE10hipError_tPvRmT2_T3_T4_T5_mT6_T7_P12ihipStream_tbENKUlT_T0_E_clISt17integral_constantIbLb0EESY_IbLb1EEEEDaSU_SV_EUlSU_E_NS1_11comp_targetILNS1_3genE4ELNS1_11target_archE910ELNS1_3gpuE8ELNS1_3repE0EEENS1_30default_config_static_selectorELNS0_4arch9wavefront6targetE0EEEvT1_
                                        ; -- End function
	.set _ZN7rocprim17ROCPRIM_400000_NS6detail17trampoline_kernelINS0_14default_configENS1_27scan_by_key_config_selectorIiiEEZZNS1_16scan_by_key_implILNS1_25lookback_scan_determinismE0ELb0ES3_N6thrust23THRUST_200600_302600_NS6detail15normal_iteratorINS9_10device_ptrIiEEEESE_SE_iNS9_10multipliesIiEENS9_8equal_toIiEEiEE10hipError_tPvRmT2_T3_T4_T5_mT6_T7_P12ihipStream_tbENKUlT_T0_E_clISt17integral_constantIbLb0EESY_IbLb1EEEEDaSU_SV_EUlSU_E_NS1_11comp_targetILNS1_3genE4ELNS1_11target_archE910ELNS1_3gpuE8ELNS1_3repE0EEENS1_30default_config_static_selectorELNS0_4arch9wavefront6targetE0EEEvT1_.num_vgpr, 0
	.set _ZN7rocprim17ROCPRIM_400000_NS6detail17trampoline_kernelINS0_14default_configENS1_27scan_by_key_config_selectorIiiEEZZNS1_16scan_by_key_implILNS1_25lookback_scan_determinismE0ELb0ES3_N6thrust23THRUST_200600_302600_NS6detail15normal_iteratorINS9_10device_ptrIiEEEESE_SE_iNS9_10multipliesIiEENS9_8equal_toIiEEiEE10hipError_tPvRmT2_T3_T4_T5_mT6_T7_P12ihipStream_tbENKUlT_T0_E_clISt17integral_constantIbLb0EESY_IbLb1EEEEDaSU_SV_EUlSU_E_NS1_11comp_targetILNS1_3genE4ELNS1_11target_archE910ELNS1_3gpuE8ELNS1_3repE0EEENS1_30default_config_static_selectorELNS0_4arch9wavefront6targetE0EEEvT1_.num_agpr, 0
	.set _ZN7rocprim17ROCPRIM_400000_NS6detail17trampoline_kernelINS0_14default_configENS1_27scan_by_key_config_selectorIiiEEZZNS1_16scan_by_key_implILNS1_25lookback_scan_determinismE0ELb0ES3_N6thrust23THRUST_200600_302600_NS6detail15normal_iteratorINS9_10device_ptrIiEEEESE_SE_iNS9_10multipliesIiEENS9_8equal_toIiEEiEE10hipError_tPvRmT2_T3_T4_T5_mT6_T7_P12ihipStream_tbENKUlT_T0_E_clISt17integral_constantIbLb0EESY_IbLb1EEEEDaSU_SV_EUlSU_E_NS1_11comp_targetILNS1_3genE4ELNS1_11target_archE910ELNS1_3gpuE8ELNS1_3repE0EEENS1_30default_config_static_selectorELNS0_4arch9wavefront6targetE0EEEvT1_.numbered_sgpr, 0
	.set _ZN7rocprim17ROCPRIM_400000_NS6detail17trampoline_kernelINS0_14default_configENS1_27scan_by_key_config_selectorIiiEEZZNS1_16scan_by_key_implILNS1_25lookback_scan_determinismE0ELb0ES3_N6thrust23THRUST_200600_302600_NS6detail15normal_iteratorINS9_10device_ptrIiEEEESE_SE_iNS9_10multipliesIiEENS9_8equal_toIiEEiEE10hipError_tPvRmT2_T3_T4_T5_mT6_T7_P12ihipStream_tbENKUlT_T0_E_clISt17integral_constantIbLb0EESY_IbLb1EEEEDaSU_SV_EUlSU_E_NS1_11comp_targetILNS1_3genE4ELNS1_11target_archE910ELNS1_3gpuE8ELNS1_3repE0EEENS1_30default_config_static_selectorELNS0_4arch9wavefront6targetE0EEEvT1_.num_named_barrier, 0
	.set _ZN7rocprim17ROCPRIM_400000_NS6detail17trampoline_kernelINS0_14default_configENS1_27scan_by_key_config_selectorIiiEEZZNS1_16scan_by_key_implILNS1_25lookback_scan_determinismE0ELb0ES3_N6thrust23THRUST_200600_302600_NS6detail15normal_iteratorINS9_10device_ptrIiEEEESE_SE_iNS9_10multipliesIiEENS9_8equal_toIiEEiEE10hipError_tPvRmT2_T3_T4_T5_mT6_T7_P12ihipStream_tbENKUlT_T0_E_clISt17integral_constantIbLb0EESY_IbLb1EEEEDaSU_SV_EUlSU_E_NS1_11comp_targetILNS1_3genE4ELNS1_11target_archE910ELNS1_3gpuE8ELNS1_3repE0EEENS1_30default_config_static_selectorELNS0_4arch9wavefront6targetE0EEEvT1_.private_seg_size, 0
	.set _ZN7rocprim17ROCPRIM_400000_NS6detail17trampoline_kernelINS0_14default_configENS1_27scan_by_key_config_selectorIiiEEZZNS1_16scan_by_key_implILNS1_25lookback_scan_determinismE0ELb0ES3_N6thrust23THRUST_200600_302600_NS6detail15normal_iteratorINS9_10device_ptrIiEEEESE_SE_iNS9_10multipliesIiEENS9_8equal_toIiEEiEE10hipError_tPvRmT2_T3_T4_T5_mT6_T7_P12ihipStream_tbENKUlT_T0_E_clISt17integral_constantIbLb0EESY_IbLb1EEEEDaSU_SV_EUlSU_E_NS1_11comp_targetILNS1_3genE4ELNS1_11target_archE910ELNS1_3gpuE8ELNS1_3repE0EEENS1_30default_config_static_selectorELNS0_4arch9wavefront6targetE0EEEvT1_.uses_vcc, 0
	.set _ZN7rocprim17ROCPRIM_400000_NS6detail17trampoline_kernelINS0_14default_configENS1_27scan_by_key_config_selectorIiiEEZZNS1_16scan_by_key_implILNS1_25lookback_scan_determinismE0ELb0ES3_N6thrust23THRUST_200600_302600_NS6detail15normal_iteratorINS9_10device_ptrIiEEEESE_SE_iNS9_10multipliesIiEENS9_8equal_toIiEEiEE10hipError_tPvRmT2_T3_T4_T5_mT6_T7_P12ihipStream_tbENKUlT_T0_E_clISt17integral_constantIbLb0EESY_IbLb1EEEEDaSU_SV_EUlSU_E_NS1_11comp_targetILNS1_3genE4ELNS1_11target_archE910ELNS1_3gpuE8ELNS1_3repE0EEENS1_30default_config_static_selectorELNS0_4arch9wavefront6targetE0EEEvT1_.uses_flat_scratch, 0
	.set _ZN7rocprim17ROCPRIM_400000_NS6detail17trampoline_kernelINS0_14default_configENS1_27scan_by_key_config_selectorIiiEEZZNS1_16scan_by_key_implILNS1_25lookback_scan_determinismE0ELb0ES3_N6thrust23THRUST_200600_302600_NS6detail15normal_iteratorINS9_10device_ptrIiEEEESE_SE_iNS9_10multipliesIiEENS9_8equal_toIiEEiEE10hipError_tPvRmT2_T3_T4_T5_mT6_T7_P12ihipStream_tbENKUlT_T0_E_clISt17integral_constantIbLb0EESY_IbLb1EEEEDaSU_SV_EUlSU_E_NS1_11comp_targetILNS1_3genE4ELNS1_11target_archE910ELNS1_3gpuE8ELNS1_3repE0EEENS1_30default_config_static_selectorELNS0_4arch9wavefront6targetE0EEEvT1_.has_dyn_sized_stack, 0
	.set _ZN7rocprim17ROCPRIM_400000_NS6detail17trampoline_kernelINS0_14default_configENS1_27scan_by_key_config_selectorIiiEEZZNS1_16scan_by_key_implILNS1_25lookback_scan_determinismE0ELb0ES3_N6thrust23THRUST_200600_302600_NS6detail15normal_iteratorINS9_10device_ptrIiEEEESE_SE_iNS9_10multipliesIiEENS9_8equal_toIiEEiEE10hipError_tPvRmT2_T3_T4_T5_mT6_T7_P12ihipStream_tbENKUlT_T0_E_clISt17integral_constantIbLb0EESY_IbLb1EEEEDaSU_SV_EUlSU_E_NS1_11comp_targetILNS1_3genE4ELNS1_11target_archE910ELNS1_3gpuE8ELNS1_3repE0EEENS1_30default_config_static_selectorELNS0_4arch9wavefront6targetE0EEEvT1_.has_recursion, 0
	.set _ZN7rocprim17ROCPRIM_400000_NS6detail17trampoline_kernelINS0_14default_configENS1_27scan_by_key_config_selectorIiiEEZZNS1_16scan_by_key_implILNS1_25lookback_scan_determinismE0ELb0ES3_N6thrust23THRUST_200600_302600_NS6detail15normal_iteratorINS9_10device_ptrIiEEEESE_SE_iNS9_10multipliesIiEENS9_8equal_toIiEEiEE10hipError_tPvRmT2_T3_T4_T5_mT6_T7_P12ihipStream_tbENKUlT_T0_E_clISt17integral_constantIbLb0EESY_IbLb1EEEEDaSU_SV_EUlSU_E_NS1_11comp_targetILNS1_3genE4ELNS1_11target_archE910ELNS1_3gpuE8ELNS1_3repE0EEENS1_30default_config_static_selectorELNS0_4arch9wavefront6targetE0EEEvT1_.has_indirect_call, 0
	.section	.AMDGPU.csdata,"",@progbits
; Kernel info:
; codeLenInByte = 0
; TotalNumSgprs: 0
; NumVgprs: 0
; ScratchSize: 0
; MemoryBound: 0
; FloatMode: 240
; IeeeMode: 1
; LDSByteSize: 0 bytes/workgroup (compile time only)
; SGPRBlocks: 0
; VGPRBlocks: 0
; NumSGPRsForWavesPerEU: 1
; NumVGPRsForWavesPerEU: 1
; NamedBarCnt: 0
; Occupancy: 16
; WaveLimiterHint : 0
; COMPUTE_PGM_RSRC2:SCRATCH_EN: 0
; COMPUTE_PGM_RSRC2:USER_SGPR: 2
; COMPUTE_PGM_RSRC2:TRAP_HANDLER: 0
; COMPUTE_PGM_RSRC2:TGID_X_EN: 1
; COMPUTE_PGM_RSRC2:TGID_Y_EN: 0
; COMPUTE_PGM_RSRC2:TGID_Z_EN: 0
; COMPUTE_PGM_RSRC2:TIDIG_COMP_CNT: 0
	.section	.text._ZN7rocprim17ROCPRIM_400000_NS6detail17trampoline_kernelINS0_14default_configENS1_27scan_by_key_config_selectorIiiEEZZNS1_16scan_by_key_implILNS1_25lookback_scan_determinismE0ELb0ES3_N6thrust23THRUST_200600_302600_NS6detail15normal_iteratorINS9_10device_ptrIiEEEESE_SE_iNS9_10multipliesIiEENS9_8equal_toIiEEiEE10hipError_tPvRmT2_T3_T4_T5_mT6_T7_P12ihipStream_tbENKUlT_T0_E_clISt17integral_constantIbLb0EESY_IbLb1EEEEDaSU_SV_EUlSU_E_NS1_11comp_targetILNS1_3genE3ELNS1_11target_archE908ELNS1_3gpuE7ELNS1_3repE0EEENS1_30default_config_static_selectorELNS0_4arch9wavefront6targetE0EEEvT1_,"axG",@progbits,_ZN7rocprim17ROCPRIM_400000_NS6detail17trampoline_kernelINS0_14default_configENS1_27scan_by_key_config_selectorIiiEEZZNS1_16scan_by_key_implILNS1_25lookback_scan_determinismE0ELb0ES3_N6thrust23THRUST_200600_302600_NS6detail15normal_iteratorINS9_10device_ptrIiEEEESE_SE_iNS9_10multipliesIiEENS9_8equal_toIiEEiEE10hipError_tPvRmT2_T3_T4_T5_mT6_T7_P12ihipStream_tbENKUlT_T0_E_clISt17integral_constantIbLb0EESY_IbLb1EEEEDaSU_SV_EUlSU_E_NS1_11comp_targetILNS1_3genE3ELNS1_11target_archE908ELNS1_3gpuE7ELNS1_3repE0EEENS1_30default_config_static_selectorELNS0_4arch9wavefront6targetE0EEEvT1_,comdat
	.protected	_ZN7rocprim17ROCPRIM_400000_NS6detail17trampoline_kernelINS0_14default_configENS1_27scan_by_key_config_selectorIiiEEZZNS1_16scan_by_key_implILNS1_25lookback_scan_determinismE0ELb0ES3_N6thrust23THRUST_200600_302600_NS6detail15normal_iteratorINS9_10device_ptrIiEEEESE_SE_iNS9_10multipliesIiEENS9_8equal_toIiEEiEE10hipError_tPvRmT2_T3_T4_T5_mT6_T7_P12ihipStream_tbENKUlT_T0_E_clISt17integral_constantIbLb0EESY_IbLb1EEEEDaSU_SV_EUlSU_E_NS1_11comp_targetILNS1_3genE3ELNS1_11target_archE908ELNS1_3gpuE7ELNS1_3repE0EEENS1_30default_config_static_selectorELNS0_4arch9wavefront6targetE0EEEvT1_ ; -- Begin function _ZN7rocprim17ROCPRIM_400000_NS6detail17trampoline_kernelINS0_14default_configENS1_27scan_by_key_config_selectorIiiEEZZNS1_16scan_by_key_implILNS1_25lookback_scan_determinismE0ELb0ES3_N6thrust23THRUST_200600_302600_NS6detail15normal_iteratorINS9_10device_ptrIiEEEESE_SE_iNS9_10multipliesIiEENS9_8equal_toIiEEiEE10hipError_tPvRmT2_T3_T4_T5_mT6_T7_P12ihipStream_tbENKUlT_T0_E_clISt17integral_constantIbLb0EESY_IbLb1EEEEDaSU_SV_EUlSU_E_NS1_11comp_targetILNS1_3genE3ELNS1_11target_archE908ELNS1_3gpuE7ELNS1_3repE0EEENS1_30default_config_static_selectorELNS0_4arch9wavefront6targetE0EEEvT1_
	.globl	_ZN7rocprim17ROCPRIM_400000_NS6detail17trampoline_kernelINS0_14default_configENS1_27scan_by_key_config_selectorIiiEEZZNS1_16scan_by_key_implILNS1_25lookback_scan_determinismE0ELb0ES3_N6thrust23THRUST_200600_302600_NS6detail15normal_iteratorINS9_10device_ptrIiEEEESE_SE_iNS9_10multipliesIiEENS9_8equal_toIiEEiEE10hipError_tPvRmT2_T3_T4_T5_mT6_T7_P12ihipStream_tbENKUlT_T0_E_clISt17integral_constantIbLb0EESY_IbLb1EEEEDaSU_SV_EUlSU_E_NS1_11comp_targetILNS1_3genE3ELNS1_11target_archE908ELNS1_3gpuE7ELNS1_3repE0EEENS1_30default_config_static_selectorELNS0_4arch9wavefront6targetE0EEEvT1_
	.p2align	8
	.type	_ZN7rocprim17ROCPRIM_400000_NS6detail17trampoline_kernelINS0_14default_configENS1_27scan_by_key_config_selectorIiiEEZZNS1_16scan_by_key_implILNS1_25lookback_scan_determinismE0ELb0ES3_N6thrust23THRUST_200600_302600_NS6detail15normal_iteratorINS9_10device_ptrIiEEEESE_SE_iNS9_10multipliesIiEENS9_8equal_toIiEEiEE10hipError_tPvRmT2_T3_T4_T5_mT6_T7_P12ihipStream_tbENKUlT_T0_E_clISt17integral_constantIbLb0EESY_IbLb1EEEEDaSU_SV_EUlSU_E_NS1_11comp_targetILNS1_3genE3ELNS1_11target_archE908ELNS1_3gpuE7ELNS1_3repE0EEENS1_30default_config_static_selectorELNS0_4arch9wavefront6targetE0EEEvT1_,@function
_ZN7rocprim17ROCPRIM_400000_NS6detail17trampoline_kernelINS0_14default_configENS1_27scan_by_key_config_selectorIiiEEZZNS1_16scan_by_key_implILNS1_25lookback_scan_determinismE0ELb0ES3_N6thrust23THRUST_200600_302600_NS6detail15normal_iteratorINS9_10device_ptrIiEEEESE_SE_iNS9_10multipliesIiEENS9_8equal_toIiEEiEE10hipError_tPvRmT2_T3_T4_T5_mT6_T7_P12ihipStream_tbENKUlT_T0_E_clISt17integral_constantIbLb0EESY_IbLb1EEEEDaSU_SV_EUlSU_E_NS1_11comp_targetILNS1_3genE3ELNS1_11target_archE908ELNS1_3gpuE7ELNS1_3repE0EEENS1_30default_config_static_selectorELNS0_4arch9wavefront6targetE0EEEvT1_: ; @_ZN7rocprim17ROCPRIM_400000_NS6detail17trampoline_kernelINS0_14default_configENS1_27scan_by_key_config_selectorIiiEEZZNS1_16scan_by_key_implILNS1_25lookback_scan_determinismE0ELb0ES3_N6thrust23THRUST_200600_302600_NS6detail15normal_iteratorINS9_10device_ptrIiEEEESE_SE_iNS9_10multipliesIiEENS9_8equal_toIiEEiEE10hipError_tPvRmT2_T3_T4_T5_mT6_T7_P12ihipStream_tbENKUlT_T0_E_clISt17integral_constantIbLb0EESY_IbLb1EEEEDaSU_SV_EUlSU_E_NS1_11comp_targetILNS1_3genE3ELNS1_11target_archE908ELNS1_3gpuE7ELNS1_3repE0EEENS1_30default_config_static_selectorELNS0_4arch9wavefront6targetE0EEEvT1_
; %bb.0:
	.section	.rodata,"a",@progbits
	.p2align	6, 0x0
	.amdhsa_kernel _ZN7rocprim17ROCPRIM_400000_NS6detail17trampoline_kernelINS0_14default_configENS1_27scan_by_key_config_selectorIiiEEZZNS1_16scan_by_key_implILNS1_25lookback_scan_determinismE0ELb0ES3_N6thrust23THRUST_200600_302600_NS6detail15normal_iteratorINS9_10device_ptrIiEEEESE_SE_iNS9_10multipliesIiEENS9_8equal_toIiEEiEE10hipError_tPvRmT2_T3_T4_T5_mT6_T7_P12ihipStream_tbENKUlT_T0_E_clISt17integral_constantIbLb0EESY_IbLb1EEEEDaSU_SV_EUlSU_E_NS1_11comp_targetILNS1_3genE3ELNS1_11target_archE908ELNS1_3gpuE7ELNS1_3repE0EEENS1_30default_config_static_selectorELNS0_4arch9wavefront6targetE0EEEvT1_
		.amdhsa_group_segment_fixed_size 0
		.amdhsa_private_segment_fixed_size 0
		.amdhsa_kernarg_size 112
		.amdhsa_user_sgpr_count 2
		.amdhsa_user_sgpr_dispatch_ptr 0
		.amdhsa_user_sgpr_queue_ptr 0
		.amdhsa_user_sgpr_kernarg_segment_ptr 1
		.amdhsa_user_sgpr_dispatch_id 0
		.amdhsa_user_sgpr_kernarg_preload_length 0
		.amdhsa_user_sgpr_kernarg_preload_offset 0
		.amdhsa_user_sgpr_private_segment_size 0
		.amdhsa_wavefront_size32 1
		.amdhsa_uses_dynamic_stack 0
		.amdhsa_enable_private_segment 0
		.amdhsa_system_sgpr_workgroup_id_x 1
		.amdhsa_system_sgpr_workgroup_id_y 0
		.amdhsa_system_sgpr_workgroup_id_z 0
		.amdhsa_system_sgpr_workgroup_info 0
		.amdhsa_system_vgpr_workitem_id 0
		.amdhsa_next_free_vgpr 1
		.amdhsa_next_free_sgpr 1
		.amdhsa_named_barrier_count 0
		.amdhsa_reserve_vcc 0
		.amdhsa_float_round_mode_32 0
		.amdhsa_float_round_mode_16_64 0
		.amdhsa_float_denorm_mode_32 3
		.amdhsa_float_denorm_mode_16_64 3
		.amdhsa_fp16_overflow 0
		.amdhsa_memory_ordered 1
		.amdhsa_forward_progress 1
		.amdhsa_inst_pref_size 0
		.amdhsa_round_robin_scheduling 0
		.amdhsa_exception_fp_ieee_invalid_op 0
		.amdhsa_exception_fp_denorm_src 0
		.amdhsa_exception_fp_ieee_div_zero 0
		.amdhsa_exception_fp_ieee_overflow 0
		.amdhsa_exception_fp_ieee_underflow 0
		.amdhsa_exception_fp_ieee_inexact 0
		.amdhsa_exception_int_div_zero 0
	.end_amdhsa_kernel
	.section	.text._ZN7rocprim17ROCPRIM_400000_NS6detail17trampoline_kernelINS0_14default_configENS1_27scan_by_key_config_selectorIiiEEZZNS1_16scan_by_key_implILNS1_25lookback_scan_determinismE0ELb0ES3_N6thrust23THRUST_200600_302600_NS6detail15normal_iteratorINS9_10device_ptrIiEEEESE_SE_iNS9_10multipliesIiEENS9_8equal_toIiEEiEE10hipError_tPvRmT2_T3_T4_T5_mT6_T7_P12ihipStream_tbENKUlT_T0_E_clISt17integral_constantIbLb0EESY_IbLb1EEEEDaSU_SV_EUlSU_E_NS1_11comp_targetILNS1_3genE3ELNS1_11target_archE908ELNS1_3gpuE7ELNS1_3repE0EEENS1_30default_config_static_selectorELNS0_4arch9wavefront6targetE0EEEvT1_,"axG",@progbits,_ZN7rocprim17ROCPRIM_400000_NS6detail17trampoline_kernelINS0_14default_configENS1_27scan_by_key_config_selectorIiiEEZZNS1_16scan_by_key_implILNS1_25lookback_scan_determinismE0ELb0ES3_N6thrust23THRUST_200600_302600_NS6detail15normal_iteratorINS9_10device_ptrIiEEEESE_SE_iNS9_10multipliesIiEENS9_8equal_toIiEEiEE10hipError_tPvRmT2_T3_T4_T5_mT6_T7_P12ihipStream_tbENKUlT_T0_E_clISt17integral_constantIbLb0EESY_IbLb1EEEEDaSU_SV_EUlSU_E_NS1_11comp_targetILNS1_3genE3ELNS1_11target_archE908ELNS1_3gpuE7ELNS1_3repE0EEENS1_30default_config_static_selectorELNS0_4arch9wavefront6targetE0EEEvT1_,comdat
.Lfunc_end195:
	.size	_ZN7rocprim17ROCPRIM_400000_NS6detail17trampoline_kernelINS0_14default_configENS1_27scan_by_key_config_selectorIiiEEZZNS1_16scan_by_key_implILNS1_25lookback_scan_determinismE0ELb0ES3_N6thrust23THRUST_200600_302600_NS6detail15normal_iteratorINS9_10device_ptrIiEEEESE_SE_iNS9_10multipliesIiEENS9_8equal_toIiEEiEE10hipError_tPvRmT2_T3_T4_T5_mT6_T7_P12ihipStream_tbENKUlT_T0_E_clISt17integral_constantIbLb0EESY_IbLb1EEEEDaSU_SV_EUlSU_E_NS1_11comp_targetILNS1_3genE3ELNS1_11target_archE908ELNS1_3gpuE7ELNS1_3repE0EEENS1_30default_config_static_selectorELNS0_4arch9wavefront6targetE0EEEvT1_, .Lfunc_end195-_ZN7rocprim17ROCPRIM_400000_NS6detail17trampoline_kernelINS0_14default_configENS1_27scan_by_key_config_selectorIiiEEZZNS1_16scan_by_key_implILNS1_25lookback_scan_determinismE0ELb0ES3_N6thrust23THRUST_200600_302600_NS6detail15normal_iteratorINS9_10device_ptrIiEEEESE_SE_iNS9_10multipliesIiEENS9_8equal_toIiEEiEE10hipError_tPvRmT2_T3_T4_T5_mT6_T7_P12ihipStream_tbENKUlT_T0_E_clISt17integral_constantIbLb0EESY_IbLb1EEEEDaSU_SV_EUlSU_E_NS1_11comp_targetILNS1_3genE3ELNS1_11target_archE908ELNS1_3gpuE7ELNS1_3repE0EEENS1_30default_config_static_selectorELNS0_4arch9wavefront6targetE0EEEvT1_
                                        ; -- End function
	.set _ZN7rocprim17ROCPRIM_400000_NS6detail17trampoline_kernelINS0_14default_configENS1_27scan_by_key_config_selectorIiiEEZZNS1_16scan_by_key_implILNS1_25lookback_scan_determinismE0ELb0ES3_N6thrust23THRUST_200600_302600_NS6detail15normal_iteratorINS9_10device_ptrIiEEEESE_SE_iNS9_10multipliesIiEENS9_8equal_toIiEEiEE10hipError_tPvRmT2_T3_T4_T5_mT6_T7_P12ihipStream_tbENKUlT_T0_E_clISt17integral_constantIbLb0EESY_IbLb1EEEEDaSU_SV_EUlSU_E_NS1_11comp_targetILNS1_3genE3ELNS1_11target_archE908ELNS1_3gpuE7ELNS1_3repE0EEENS1_30default_config_static_selectorELNS0_4arch9wavefront6targetE0EEEvT1_.num_vgpr, 0
	.set _ZN7rocprim17ROCPRIM_400000_NS6detail17trampoline_kernelINS0_14default_configENS1_27scan_by_key_config_selectorIiiEEZZNS1_16scan_by_key_implILNS1_25lookback_scan_determinismE0ELb0ES3_N6thrust23THRUST_200600_302600_NS6detail15normal_iteratorINS9_10device_ptrIiEEEESE_SE_iNS9_10multipliesIiEENS9_8equal_toIiEEiEE10hipError_tPvRmT2_T3_T4_T5_mT6_T7_P12ihipStream_tbENKUlT_T0_E_clISt17integral_constantIbLb0EESY_IbLb1EEEEDaSU_SV_EUlSU_E_NS1_11comp_targetILNS1_3genE3ELNS1_11target_archE908ELNS1_3gpuE7ELNS1_3repE0EEENS1_30default_config_static_selectorELNS0_4arch9wavefront6targetE0EEEvT1_.num_agpr, 0
	.set _ZN7rocprim17ROCPRIM_400000_NS6detail17trampoline_kernelINS0_14default_configENS1_27scan_by_key_config_selectorIiiEEZZNS1_16scan_by_key_implILNS1_25lookback_scan_determinismE0ELb0ES3_N6thrust23THRUST_200600_302600_NS6detail15normal_iteratorINS9_10device_ptrIiEEEESE_SE_iNS9_10multipliesIiEENS9_8equal_toIiEEiEE10hipError_tPvRmT2_T3_T4_T5_mT6_T7_P12ihipStream_tbENKUlT_T0_E_clISt17integral_constantIbLb0EESY_IbLb1EEEEDaSU_SV_EUlSU_E_NS1_11comp_targetILNS1_3genE3ELNS1_11target_archE908ELNS1_3gpuE7ELNS1_3repE0EEENS1_30default_config_static_selectorELNS0_4arch9wavefront6targetE0EEEvT1_.numbered_sgpr, 0
	.set _ZN7rocprim17ROCPRIM_400000_NS6detail17trampoline_kernelINS0_14default_configENS1_27scan_by_key_config_selectorIiiEEZZNS1_16scan_by_key_implILNS1_25lookback_scan_determinismE0ELb0ES3_N6thrust23THRUST_200600_302600_NS6detail15normal_iteratorINS9_10device_ptrIiEEEESE_SE_iNS9_10multipliesIiEENS9_8equal_toIiEEiEE10hipError_tPvRmT2_T3_T4_T5_mT6_T7_P12ihipStream_tbENKUlT_T0_E_clISt17integral_constantIbLb0EESY_IbLb1EEEEDaSU_SV_EUlSU_E_NS1_11comp_targetILNS1_3genE3ELNS1_11target_archE908ELNS1_3gpuE7ELNS1_3repE0EEENS1_30default_config_static_selectorELNS0_4arch9wavefront6targetE0EEEvT1_.num_named_barrier, 0
	.set _ZN7rocprim17ROCPRIM_400000_NS6detail17trampoline_kernelINS0_14default_configENS1_27scan_by_key_config_selectorIiiEEZZNS1_16scan_by_key_implILNS1_25lookback_scan_determinismE0ELb0ES3_N6thrust23THRUST_200600_302600_NS6detail15normal_iteratorINS9_10device_ptrIiEEEESE_SE_iNS9_10multipliesIiEENS9_8equal_toIiEEiEE10hipError_tPvRmT2_T3_T4_T5_mT6_T7_P12ihipStream_tbENKUlT_T0_E_clISt17integral_constantIbLb0EESY_IbLb1EEEEDaSU_SV_EUlSU_E_NS1_11comp_targetILNS1_3genE3ELNS1_11target_archE908ELNS1_3gpuE7ELNS1_3repE0EEENS1_30default_config_static_selectorELNS0_4arch9wavefront6targetE0EEEvT1_.private_seg_size, 0
	.set _ZN7rocprim17ROCPRIM_400000_NS6detail17trampoline_kernelINS0_14default_configENS1_27scan_by_key_config_selectorIiiEEZZNS1_16scan_by_key_implILNS1_25lookback_scan_determinismE0ELb0ES3_N6thrust23THRUST_200600_302600_NS6detail15normal_iteratorINS9_10device_ptrIiEEEESE_SE_iNS9_10multipliesIiEENS9_8equal_toIiEEiEE10hipError_tPvRmT2_T3_T4_T5_mT6_T7_P12ihipStream_tbENKUlT_T0_E_clISt17integral_constantIbLb0EESY_IbLb1EEEEDaSU_SV_EUlSU_E_NS1_11comp_targetILNS1_3genE3ELNS1_11target_archE908ELNS1_3gpuE7ELNS1_3repE0EEENS1_30default_config_static_selectorELNS0_4arch9wavefront6targetE0EEEvT1_.uses_vcc, 0
	.set _ZN7rocprim17ROCPRIM_400000_NS6detail17trampoline_kernelINS0_14default_configENS1_27scan_by_key_config_selectorIiiEEZZNS1_16scan_by_key_implILNS1_25lookback_scan_determinismE0ELb0ES3_N6thrust23THRUST_200600_302600_NS6detail15normal_iteratorINS9_10device_ptrIiEEEESE_SE_iNS9_10multipliesIiEENS9_8equal_toIiEEiEE10hipError_tPvRmT2_T3_T4_T5_mT6_T7_P12ihipStream_tbENKUlT_T0_E_clISt17integral_constantIbLb0EESY_IbLb1EEEEDaSU_SV_EUlSU_E_NS1_11comp_targetILNS1_3genE3ELNS1_11target_archE908ELNS1_3gpuE7ELNS1_3repE0EEENS1_30default_config_static_selectorELNS0_4arch9wavefront6targetE0EEEvT1_.uses_flat_scratch, 0
	.set _ZN7rocprim17ROCPRIM_400000_NS6detail17trampoline_kernelINS0_14default_configENS1_27scan_by_key_config_selectorIiiEEZZNS1_16scan_by_key_implILNS1_25lookback_scan_determinismE0ELb0ES3_N6thrust23THRUST_200600_302600_NS6detail15normal_iteratorINS9_10device_ptrIiEEEESE_SE_iNS9_10multipliesIiEENS9_8equal_toIiEEiEE10hipError_tPvRmT2_T3_T4_T5_mT6_T7_P12ihipStream_tbENKUlT_T0_E_clISt17integral_constantIbLb0EESY_IbLb1EEEEDaSU_SV_EUlSU_E_NS1_11comp_targetILNS1_3genE3ELNS1_11target_archE908ELNS1_3gpuE7ELNS1_3repE0EEENS1_30default_config_static_selectorELNS0_4arch9wavefront6targetE0EEEvT1_.has_dyn_sized_stack, 0
	.set _ZN7rocprim17ROCPRIM_400000_NS6detail17trampoline_kernelINS0_14default_configENS1_27scan_by_key_config_selectorIiiEEZZNS1_16scan_by_key_implILNS1_25lookback_scan_determinismE0ELb0ES3_N6thrust23THRUST_200600_302600_NS6detail15normal_iteratorINS9_10device_ptrIiEEEESE_SE_iNS9_10multipliesIiEENS9_8equal_toIiEEiEE10hipError_tPvRmT2_T3_T4_T5_mT6_T7_P12ihipStream_tbENKUlT_T0_E_clISt17integral_constantIbLb0EESY_IbLb1EEEEDaSU_SV_EUlSU_E_NS1_11comp_targetILNS1_3genE3ELNS1_11target_archE908ELNS1_3gpuE7ELNS1_3repE0EEENS1_30default_config_static_selectorELNS0_4arch9wavefront6targetE0EEEvT1_.has_recursion, 0
	.set _ZN7rocprim17ROCPRIM_400000_NS6detail17trampoline_kernelINS0_14default_configENS1_27scan_by_key_config_selectorIiiEEZZNS1_16scan_by_key_implILNS1_25lookback_scan_determinismE0ELb0ES3_N6thrust23THRUST_200600_302600_NS6detail15normal_iteratorINS9_10device_ptrIiEEEESE_SE_iNS9_10multipliesIiEENS9_8equal_toIiEEiEE10hipError_tPvRmT2_T3_T4_T5_mT6_T7_P12ihipStream_tbENKUlT_T0_E_clISt17integral_constantIbLb0EESY_IbLb1EEEEDaSU_SV_EUlSU_E_NS1_11comp_targetILNS1_3genE3ELNS1_11target_archE908ELNS1_3gpuE7ELNS1_3repE0EEENS1_30default_config_static_selectorELNS0_4arch9wavefront6targetE0EEEvT1_.has_indirect_call, 0
	.section	.AMDGPU.csdata,"",@progbits
; Kernel info:
; codeLenInByte = 0
; TotalNumSgprs: 0
; NumVgprs: 0
; ScratchSize: 0
; MemoryBound: 0
; FloatMode: 240
; IeeeMode: 1
; LDSByteSize: 0 bytes/workgroup (compile time only)
; SGPRBlocks: 0
; VGPRBlocks: 0
; NumSGPRsForWavesPerEU: 1
; NumVGPRsForWavesPerEU: 1
; NamedBarCnt: 0
; Occupancy: 16
; WaveLimiterHint : 0
; COMPUTE_PGM_RSRC2:SCRATCH_EN: 0
; COMPUTE_PGM_RSRC2:USER_SGPR: 2
; COMPUTE_PGM_RSRC2:TRAP_HANDLER: 0
; COMPUTE_PGM_RSRC2:TGID_X_EN: 1
; COMPUTE_PGM_RSRC2:TGID_Y_EN: 0
; COMPUTE_PGM_RSRC2:TGID_Z_EN: 0
; COMPUTE_PGM_RSRC2:TIDIG_COMP_CNT: 0
	.section	.text._ZN7rocprim17ROCPRIM_400000_NS6detail17trampoline_kernelINS0_14default_configENS1_27scan_by_key_config_selectorIiiEEZZNS1_16scan_by_key_implILNS1_25lookback_scan_determinismE0ELb0ES3_N6thrust23THRUST_200600_302600_NS6detail15normal_iteratorINS9_10device_ptrIiEEEESE_SE_iNS9_10multipliesIiEENS9_8equal_toIiEEiEE10hipError_tPvRmT2_T3_T4_T5_mT6_T7_P12ihipStream_tbENKUlT_T0_E_clISt17integral_constantIbLb0EESY_IbLb1EEEEDaSU_SV_EUlSU_E_NS1_11comp_targetILNS1_3genE2ELNS1_11target_archE906ELNS1_3gpuE6ELNS1_3repE0EEENS1_30default_config_static_selectorELNS0_4arch9wavefront6targetE0EEEvT1_,"axG",@progbits,_ZN7rocprim17ROCPRIM_400000_NS6detail17trampoline_kernelINS0_14default_configENS1_27scan_by_key_config_selectorIiiEEZZNS1_16scan_by_key_implILNS1_25lookback_scan_determinismE0ELb0ES3_N6thrust23THRUST_200600_302600_NS6detail15normal_iteratorINS9_10device_ptrIiEEEESE_SE_iNS9_10multipliesIiEENS9_8equal_toIiEEiEE10hipError_tPvRmT2_T3_T4_T5_mT6_T7_P12ihipStream_tbENKUlT_T0_E_clISt17integral_constantIbLb0EESY_IbLb1EEEEDaSU_SV_EUlSU_E_NS1_11comp_targetILNS1_3genE2ELNS1_11target_archE906ELNS1_3gpuE6ELNS1_3repE0EEENS1_30default_config_static_selectorELNS0_4arch9wavefront6targetE0EEEvT1_,comdat
	.protected	_ZN7rocprim17ROCPRIM_400000_NS6detail17trampoline_kernelINS0_14default_configENS1_27scan_by_key_config_selectorIiiEEZZNS1_16scan_by_key_implILNS1_25lookback_scan_determinismE0ELb0ES3_N6thrust23THRUST_200600_302600_NS6detail15normal_iteratorINS9_10device_ptrIiEEEESE_SE_iNS9_10multipliesIiEENS9_8equal_toIiEEiEE10hipError_tPvRmT2_T3_T4_T5_mT6_T7_P12ihipStream_tbENKUlT_T0_E_clISt17integral_constantIbLb0EESY_IbLb1EEEEDaSU_SV_EUlSU_E_NS1_11comp_targetILNS1_3genE2ELNS1_11target_archE906ELNS1_3gpuE6ELNS1_3repE0EEENS1_30default_config_static_selectorELNS0_4arch9wavefront6targetE0EEEvT1_ ; -- Begin function _ZN7rocprim17ROCPRIM_400000_NS6detail17trampoline_kernelINS0_14default_configENS1_27scan_by_key_config_selectorIiiEEZZNS1_16scan_by_key_implILNS1_25lookback_scan_determinismE0ELb0ES3_N6thrust23THRUST_200600_302600_NS6detail15normal_iteratorINS9_10device_ptrIiEEEESE_SE_iNS9_10multipliesIiEENS9_8equal_toIiEEiEE10hipError_tPvRmT2_T3_T4_T5_mT6_T7_P12ihipStream_tbENKUlT_T0_E_clISt17integral_constantIbLb0EESY_IbLb1EEEEDaSU_SV_EUlSU_E_NS1_11comp_targetILNS1_3genE2ELNS1_11target_archE906ELNS1_3gpuE6ELNS1_3repE0EEENS1_30default_config_static_selectorELNS0_4arch9wavefront6targetE0EEEvT1_
	.globl	_ZN7rocprim17ROCPRIM_400000_NS6detail17trampoline_kernelINS0_14default_configENS1_27scan_by_key_config_selectorIiiEEZZNS1_16scan_by_key_implILNS1_25lookback_scan_determinismE0ELb0ES3_N6thrust23THRUST_200600_302600_NS6detail15normal_iteratorINS9_10device_ptrIiEEEESE_SE_iNS9_10multipliesIiEENS9_8equal_toIiEEiEE10hipError_tPvRmT2_T3_T4_T5_mT6_T7_P12ihipStream_tbENKUlT_T0_E_clISt17integral_constantIbLb0EESY_IbLb1EEEEDaSU_SV_EUlSU_E_NS1_11comp_targetILNS1_3genE2ELNS1_11target_archE906ELNS1_3gpuE6ELNS1_3repE0EEENS1_30default_config_static_selectorELNS0_4arch9wavefront6targetE0EEEvT1_
	.p2align	8
	.type	_ZN7rocprim17ROCPRIM_400000_NS6detail17trampoline_kernelINS0_14default_configENS1_27scan_by_key_config_selectorIiiEEZZNS1_16scan_by_key_implILNS1_25lookback_scan_determinismE0ELb0ES3_N6thrust23THRUST_200600_302600_NS6detail15normal_iteratorINS9_10device_ptrIiEEEESE_SE_iNS9_10multipliesIiEENS9_8equal_toIiEEiEE10hipError_tPvRmT2_T3_T4_T5_mT6_T7_P12ihipStream_tbENKUlT_T0_E_clISt17integral_constantIbLb0EESY_IbLb1EEEEDaSU_SV_EUlSU_E_NS1_11comp_targetILNS1_3genE2ELNS1_11target_archE906ELNS1_3gpuE6ELNS1_3repE0EEENS1_30default_config_static_selectorELNS0_4arch9wavefront6targetE0EEEvT1_,@function
_ZN7rocprim17ROCPRIM_400000_NS6detail17trampoline_kernelINS0_14default_configENS1_27scan_by_key_config_selectorIiiEEZZNS1_16scan_by_key_implILNS1_25lookback_scan_determinismE0ELb0ES3_N6thrust23THRUST_200600_302600_NS6detail15normal_iteratorINS9_10device_ptrIiEEEESE_SE_iNS9_10multipliesIiEENS9_8equal_toIiEEiEE10hipError_tPvRmT2_T3_T4_T5_mT6_T7_P12ihipStream_tbENKUlT_T0_E_clISt17integral_constantIbLb0EESY_IbLb1EEEEDaSU_SV_EUlSU_E_NS1_11comp_targetILNS1_3genE2ELNS1_11target_archE906ELNS1_3gpuE6ELNS1_3repE0EEENS1_30default_config_static_selectorELNS0_4arch9wavefront6targetE0EEEvT1_: ; @_ZN7rocprim17ROCPRIM_400000_NS6detail17trampoline_kernelINS0_14default_configENS1_27scan_by_key_config_selectorIiiEEZZNS1_16scan_by_key_implILNS1_25lookback_scan_determinismE0ELb0ES3_N6thrust23THRUST_200600_302600_NS6detail15normal_iteratorINS9_10device_ptrIiEEEESE_SE_iNS9_10multipliesIiEENS9_8equal_toIiEEiEE10hipError_tPvRmT2_T3_T4_T5_mT6_T7_P12ihipStream_tbENKUlT_T0_E_clISt17integral_constantIbLb0EESY_IbLb1EEEEDaSU_SV_EUlSU_E_NS1_11comp_targetILNS1_3genE2ELNS1_11target_archE906ELNS1_3gpuE6ELNS1_3repE0EEENS1_30default_config_static_selectorELNS0_4arch9wavefront6targetE0EEEvT1_
; %bb.0:
	.section	.rodata,"a",@progbits
	.p2align	6, 0x0
	.amdhsa_kernel _ZN7rocprim17ROCPRIM_400000_NS6detail17trampoline_kernelINS0_14default_configENS1_27scan_by_key_config_selectorIiiEEZZNS1_16scan_by_key_implILNS1_25lookback_scan_determinismE0ELb0ES3_N6thrust23THRUST_200600_302600_NS6detail15normal_iteratorINS9_10device_ptrIiEEEESE_SE_iNS9_10multipliesIiEENS9_8equal_toIiEEiEE10hipError_tPvRmT2_T3_T4_T5_mT6_T7_P12ihipStream_tbENKUlT_T0_E_clISt17integral_constantIbLb0EESY_IbLb1EEEEDaSU_SV_EUlSU_E_NS1_11comp_targetILNS1_3genE2ELNS1_11target_archE906ELNS1_3gpuE6ELNS1_3repE0EEENS1_30default_config_static_selectorELNS0_4arch9wavefront6targetE0EEEvT1_
		.amdhsa_group_segment_fixed_size 0
		.amdhsa_private_segment_fixed_size 0
		.amdhsa_kernarg_size 112
		.amdhsa_user_sgpr_count 2
		.amdhsa_user_sgpr_dispatch_ptr 0
		.amdhsa_user_sgpr_queue_ptr 0
		.amdhsa_user_sgpr_kernarg_segment_ptr 1
		.amdhsa_user_sgpr_dispatch_id 0
		.amdhsa_user_sgpr_kernarg_preload_length 0
		.amdhsa_user_sgpr_kernarg_preload_offset 0
		.amdhsa_user_sgpr_private_segment_size 0
		.amdhsa_wavefront_size32 1
		.amdhsa_uses_dynamic_stack 0
		.amdhsa_enable_private_segment 0
		.amdhsa_system_sgpr_workgroup_id_x 1
		.amdhsa_system_sgpr_workgroup_id_y 0
		.amdhsa_system_sgpr_workgroup_id_z 0
		.amdhsa_system_sgpr_workgroup_info 0
		.amdhsa_system_vgpr_workitem_id 0
		.amdhsa_next_free_vgpr 1
		.amdhsa_next_free_sgpr 1
		.amdhsa_named_barrier_count 0
		.amdhsa_reserve_vcc 0
		.amdhsa_float_round_mode_32 0
		.amdhsa_float_round_mode_16_64 0
		.amdhsa_float_denorm_mode_32 3
		.amdhsa_float_denorm_mode_16_64 3
		.amdhsa_fp16_overflow 0
		.amdhsa_memory_ordered 1
		.amdhsa_forward_progress 1
		.amdhsa_inst_pref_size 0
		.amdhsa_round_robin_scheduling 0
		.amdhsa_exception_fp_ieee_invalid_op 0
		.amdhsa_exception_fp_denorm_src 0
		.amdhsa_exception_fp_ieee_div_zero 0
		.amdhsa_exception_fp_ieee_overflow 0
		.amdhsa_exception_fp_ieee_underflow 0
		.amdhsa_exception_fp_ieee_inexact 0
		.amdhsa_exception_int_div_zero 0
	.end_amdhsa_kernel
	.section	.text._ZN7rocprim17ROCPRIM_400000_NS6detail17trampoline_kernelINS0_14default_configENS1_27scan_by_key_config_selectorIiiEEZZNS1_16scan_by_key_implILNS1_25lookback_scan_determinismE0ELb0ES3_N6thrust23THRUST_200600_302600_NS6detail15normal_iteratorINS9_10device_ptrIiEEEESE_SE_iNS9_10multipliesIiEENS9_8equal_toIiEEiEE10hipError_tPvRmT2_T3_T4_T5_mT6_T7_P12ihipStream_tbENKUlT_T0_E_clISt17integral_constantIbLb0EESY_IbLb1EEEEDaSU_SV_EUlSU_E_NS1_11comp_targetILNS1_3genE2ELNS1_11target_archE906ELNS1_3gpuE6ELNS1_3repE0EEENS1_30default_config_static_selectorELNS0_4arch9wavefront6targetE0EEEvT1_,"axG",@progbits,_ZN7rocprim17ROCPRIM_400000_NS6detail17trampoline_kernelINS0_14default_configENS1_27scan_by_key_config_selectorIiiEEZZNS1_16scan_by_key_implILNS1_25lookback_scan_determinismE0ELb0ES3_N6thrust23THRUST_200600_302600_NS6detail15normal_iteratorINS9_10device_ptrIiEEEESE_SE_iNS9_10multipliesIiEENS9_8equal_toIiEEiEE10hipError_tPvRmT2_T3_T4_T5_mT6_T7_P12ihipStream_tbENKUlT_T0_E_clISt17integral_constantIbLb0EESY_IbLb1EEEEDaSU_SV_EUlSU_E_NS1_11comp_targetILNS1_3genE2ELNS1_11target_archE906ELNS1_3gpuE6ELNS1_3repE0EEENS1_30default_config_static_selectorELNS0_4arch9wavefront6targetE0EEEvT1_,comdat
.Lfunc_end196:
	.size	_ZN7rocprim17ROCPRIM_400000_NS6detail17trampoline_kernelINS0_14default_configENS1_27scan_by_key_config_selectorIiiEEZZNS1_16scan_by_key_implILNS1_25lookback_scan_determinismE0ELb0ES3_N6thrust23THRUST_200600_302600_NS6detail15normal_iteratorINS9_10device_ptrIiEEEESE_SE_iNS9_10multipliesIiEENS9_8equal_toIiEEiEE10hipError_tPvRmT2_T3_T4_T5_mT6_T7_P12ihipStream_tbENKUlT_T0_E_clISt17integral_constantIbLb0EESY_IbLb1EEEEDaSU_SV_EUlSU_E_NS1_11comp_targetILNS1_3genE2ELNS1_11target_archE906ELNS1_3gpuE6ELNS1_3repE0EEENS1_30default_config_static_selectorELNS0_4arch9wavefront6targetE0EEEvT1_, .Lfunc_end196-_ZN7rocprim17ROCPRIM_400000_NS6detail17trampoline_kernelINS0_14default_configENS1_27scan_by_key_config_selectorIiiEEZZNS1_16scan_by_key_implILNS1_25lookback_scan_determinismE0ELb0ES3_N6thrust23THRUST_200600_302600_NS6detail15normal_iteratorINS9_10device_ptrIiEEEESE_SE_iNS9_10multipliesIiEENS9_8equal_toIiEEiEE10hipError_tPvRmT2_T3_T4_T5_mT6_T7_P12ihipStream_tbENKUlT_T0_E_clISt17integral_constantIbLb0EESY_IbLb1EEEEDaSU_SV_EUlSU_E_NS1_11comp_targetILNS1_3genE2ELNS1_11target_archE906ELNS1_3gpuE6ELNS1_3repE0EEENS1_30default_config_static_selectorELNS0_4arch9wavefront6targetE0EEEvT1_
                                        ; -- End function
	.set _ZN7rocprim17ROCPRIM_400000_NS6detail17trampoline_kernelINS0_14default_configENS1_27scan_by_key_config_selectorIiiEEZZNS1_16scan_by_key_implILNS1_25lookback_scan_determinismE0ELb0ES3_N6thrust23THRUST_200600_302600_NS6detail15normal_iteratorINS9_10device_ptrIiEEEESE_SE_iNS9_10multipliesIiEENS9_8equal_toIiEEiEE10hipError_tPvRmT2_T3_T4_T5_mT6_T7_P12ihipStream_tbENKUlT_T0_E_clISt17integral_constantIbLb0EESY_IbLb1EEEEDaSU_SV_EUlSU_E_NS1_11comp_targetILNS1_3genE2ELNS1_11target_archE906ELNS1_3gpuE6ELNS1_3repE0EEENS1_30default_config_static_selectorELNS0_4arch9wavefront6targetE0EEEvT1_.num_vgpr, 0
	.set _ZN7rocprim17ROCPRIM_400000_NS6detail17trampoline_kernelINS0_14default_configENS1_27scan_by_key_config_selectorIiiEEZZNS1_16scan_by_key_implILNS1_25lookback_scan_determinismE0ELb0ES3_N6thrust23THRUST_200600_302600_NS6detail15normal_iteratorINS9_10device_ptrIiEEEESE_SE_iNS9_10multipliesIiEENS9_8equal_toIiEEiEE10hipError_tPvRmT2_T3_T4_T5_mT6_T7_P12ihipStream_tbENKUlT_T0_E_clISt17integral_constantIbLb0EESY_IbLb1EEEEDaSU_SV_EUlSU_E_NS1_11comp_targetILNS1_3genE2ELNS1_11target_archE906ELNS1_3gpuE6ELNS1_3repE0EEENS1_30default_config_static_selectorELNS0_4arch9wavefront6targetE0EEEvT1_.num_agpr, 0
	.set _ZN7rocprim17ROCPRIM_400000_NS6detail17trampoline_kernelINS0_14default_configENS1_27scan_by_key_config_selectorIiiEEZZNS1_16scan_by_key_implILNS1_25lookback_scan_determinismE0ELb0ES3_N6thrust23THRUST_200600_302600_NS6detail15normal_iteratorINS9_10device_ptrIiEEEESE_SE_iNS9_10multipliesIiEENS9_8equal_toIiEEiEE10hipError_tPvRmT2_T3_T4_T5_mT6_T7_P12ihipStream_tbENKUlT_T0_E_clISt17integral_constantIbLb0EESY_IbLb1EEEEDaSU_SV_EUlSU_E_NS1_11comp_targetILNS1_3genE2ELNS1_11target_archE906ELNS1_3gpuE6ELNS1_3repE0EEENS1_30default_config_static_selectorELNS0_4arch9wavefront6targetE0EEEvT1_.numbered_sgpr, 0
	.set _ZN7rocprim17ROCPRIM_400000_NS6detail17trampoline_kernelINS0_14default_configENS1_27scan_by_key_config_selectorIiiEEZZNS1_16scan_by_key_implILNS1_25lookback_scan_determinismE0ELb0ES3_N6thrust23THRUST_200600_302600_NS6detail15normal_iteratorINS9_10device_ptrIiEEEESE_SE_iNS9_10multipliesIiEENS9_8equal_toIiEEiEE10hipError_tPvRmT2_T3_T4_T5_mT6_T7_P12ihipStream_tbENKUlT_T0_E_clISt17integral_constantIbLb0EESY_IbLb1EEEEDaSU_SV_EUlSU_E_NS1_11comp_targetILNS1_3genE2ELNS1_11target_archE906ELNS1_3gpuE6ELNS1_3repE0EEENS1_30default_config_static_selectorELNS0_4arch9wavefront6targetE0EEEvT1_.num_named_barrier, 0
	.set _ZN7rocprim17ROCPRIM_400000_NS6detail17trampoline_kernelINS0_14default_configENS1_27scan_by_key_config_selectorIiiEEZZNS1_16scan_by_key_implILNS1_25lookback_scan_determinismE0ELb0ES3_N6thrust23THRUST_200600_302600_NS6detail15normal_iteratorINS9_10device_ptrIiEEEESE_SE_iNS9_10multipliesIiEENS9_8equal_toIiEEiEE10hipError_tPvRmT2_T3_T4_T5_mT6_T7_P12ihipStream_tbENKUlT_T0_E_clISt17integral_constantIbLb0EESY_IbLb1EEEEDaSU_SV_EUlSU_E_NS1_11comp_targetILNS1_3genE2ELNS1_11target_archE906ELNS1_3gpuE6ELNS1_3repE0EEENS1_30default_config_static_selectorELNS0_4arch9wavefront6targetE0EEEvT1_.private_seg_size, 0
	.set _ZN7rocprim17ROCPRIM_400000_NS6detail17trampoline_kernelINS0_14default_configENS1_27scan_by_key_config_selectorIiiEEZZNS1_16scan_by_key_implILNS1_25lookback_scan_determinismE0ELb0ES3_N6thrust23THRUST_200600_302600_NS6detail15normal_iteratorINS9_10device_ptrIiEEEESE_SE_iNS9_10multipliesIiEENS9_8equal_toIiEEiEE10hipError_tPvRmT2_T3_T4_T5_mT6_T7_P12ihipStream_tbENKUlT_T0_E_clISt17integral_constantIbLb0EESY_IbLb1EEEEDaSU_SV_EUlSU_E_NS1_11comp_targetILNS1_3genE2ELNS1_11target_archE906ELNS1_3gpuE6ELNS1_3repE0EEENS1_30default_config_static_selectorELNS0_4arch9wavefront6targetE0EEEvT1_.uses_vcc, 0
	.set _ZN7rocprim17ROCPRIM_400000_NS6detail17trampoline_kernelINS0_14default_configENS1_27scan_by_key_config_selectorIiiEEZZNS1_16scan_by_key_implILNS1_25lookback_scan_determinismE0ELb0ES3_N6thrust23THRUST_200600_302600_NS6detail15normal_iteratorINS9_10device_ptrIiEEEESE_SE_iNS9_10multipliesIiEENS9_8equal_toIiEEiEE10hipError_tPvRmT2_T3_T4_T5_mT6_T7_P12ihipStream_tbENKUlT_T0_E_clISt17integral_constantIbLb0EESY_IbLb1EEEEDaSU_SV_EUlSU_E_NS1_11comp_targetILNS1_3genE2ELNS1_11target_archE906ELNS1_3gpuE6ELNS1_3repE0EEENS1_30default_config_static_selectorELNS0_4arch9wavefront6targetE0EEEvT1_.uses_flat_scratch, 0
	.set _ZN7rocprim17ROCPRIM_400000_NS6detail17trampoline_kernelINS0_14default_configENS1_27scan_by_key_config_selectorIiiEEZZNS1_16scan_by_key_implILNS1_25lookback_scan_determinismE0ELb0ES3_N6thrust23THRUST_200600_302600_NS6detail15normal_iteratorINS9_10device_ptrIiEEEESE_SE_iNS9_10multipliesIiEENS9_8equal_toIiEEiEE10hipError_tPvRmT2_T3_T4_T5_mT6_T7_P12ihipStream_tbENKUlT_T0_E_clISt17integral_constantIbLb0EESY_IbLb1EEEEDaSU_SV_EUlSU_E_NS1_11comp_targetILNS1_3genE2ELNS1_11target_archE906ELNS1_3gpuE6ELNS1_3repE0EEENS1_30default_config_static_selectorELNS0_4arch9wavefront6targetE0EEEvT1_.has_dyn_sized_stack, 0
	.set _ZN7rocprim17ROCPRIM_400000_NS6detail17trampoline_kernelINS0_14default_configENS1_27scan_by_key_config_selectorIiiEEZZNS1_16scan_by_key_implILNS1_25lookback_scan_determinismE0ELb0ES3_N6thrust23THRUST_200600_302600_NS6detail15normal_iteratorINS9_10device_ptrIiEEEESE_SE_iNS9_10multipliesIiEENS9_8equal_toIiEEiEE10hipError_tPvRmT2_T3_T4_T5_mT6_T7_P12ihipStream_tbENKUlT_T0_E_clISt17integral_constantIbLb0EESY_IbLb1EEEEDaSU_SV_EUlSU_E_NS1_11comp_targetILNS1_3genE2ELNS1_11target_archE906ELNS1_3gpuE6ELNS1_3repE0EEENS1_30default_config_static_selectorELNS0_4arch9wavefront6targetE0EEEvT1_.has_recursion, 0
	.set _ZN7rocprim17ROCPRIM_400000_NS6detail17trampoline_kernelINS0_14default_configENS1_27scan_by_key_config_selectorIiiEEZZNS1_16scan_by_key_implILNS1_25lookback_scan_determinismE0ELb0ES3_N6thrust23THRUST_200600_302600_NS6detail15normal_iteratorINS9_10device_ptrIiEEEESE_SE_iNS9_10multipliesIiEENS9_8equal_toIiEEiEE10hipError_tPvRmT2_T3_T4_T5_mT6_T7_P12ihipStream_tbENKUlT_T0_E_clISt17integral_constantIbLb0EESY_IbLb1EEEEDaSU_SV_EUlSU_E_NS1_11comp_targetILNS1_3genE2ELNS1_11target_archE906ELNS1_3gpuE6ELNS1_3repE0EEENS1_30default_config_static_selectorELNS0_4arch9wavefront6targetE0EEEvT1_.has_indirect_call, 0
	.section	.AMDGPU.csdata,"",@progbits
; Kernel info:
; codeLenInByte = 0
; TotalNumSgprs: 0
; NumVgprs: 0
; ScratchSize: 0
; MemoryBound: 0
; FloatMode: 240
; IeeeMode: 1
; LDSByteSize: 0 bytes/workgroup (compile time only)
; SGPRBlocks: 0
; VGPRBlocks: 0
; NumSGPRsForWavesPerEU: 1
; NumVGPRsForWavesPerEU: 1
; NamedBarCnt: 0
; Occupancy: 16
; WaveLimiterHint : 0
; COMPUTE_PGM_RSRC2:SCRATCH_EN: 0
; COMPUTE_PGM_RSRC2:USER_SGPR: 2
; COMPUTE_PGM_RSRC2:TRAP_HANDLER: 0
; COMPUTE_PGM_RSRC2:TGID_X_EN: 1
; COMPUTE_PGM_RSRC2:TGID_Y_EN: 0
; COMPUTE_PGM_RSRC2:TGID_Z_EN: 0
; COMPUTE_PGM_RSRC2:TIDIG_COMP_CNT: 0
	.section	.text._ZN7rocprim17ROCPRIM_400000_NS6detail17trampoline_kernelINS0_14default_configENS1_27scan_by_key_config_selectorIiiEEZZNS1_16scan_by_key_implILNS1_25lookback_scan_determinismE0ELb0ES3_N6thrust23THRUST_200600_302600_NS6detail15normal_iteratorINS9_10device_ptrIiEEEESE_SE_iNS9_10multipliesIiEENS9_8equal_toIiEEiEE10hipError_tPvRmT2_T3_T4_T5_mT6_T7_P12ihipStream_tbENKUlT_T0_E_clISt17integral_constantIbLb0EESY_IbLb1EEEEDaSU_SV_EUlSU_E_NS1_11comp_targetILNS1_3genE10ELNS1_11target_archE1200ELNS1_3gpuE4ELNS1_3repE0EEENS1_30default_config_static_selectorELNS0_4arch9wavefront6targetE0EEEvT1_,"axG",@progbits,_ZN7rocprim17ROCPRIM_400000_NS6detail17trampoline_kernelINS0_14default_configENS1_27scan_by_key_config_selectorIiiEEZZNS1_16scan_by_key_implILNS1_25lookback_scan_determinismE0ELb0ES3_N6thrust23THRUST_200600_302600_NS6detail15normal_iteratorINS9_10device_ptrIiEEEESE_SE_iNS9_10multipliesIiEENS9_8equal_toIiEEiEE10hipError_tPvRmT2_T3_T4_T5_mT6_T7_P12ihipStream_tbENKUlT_T0_E_clISt17integral_constantIbLb0EESY_IbLb1EEEEDaSU_SV_EUlSU_E_NS1_11comp_targetILNS1_3genE10ELNS1_11target_archE1200ELNS1_3gpuE4ELNS1_3repE0EEENS1_30default_config_static_selectorELNS0_4arch9wavefront6targetE0EEEvT1_,comdat
	.protected	_ZN7rocprim17ROCPRIM_400000_NS6detail17trampoline_kernelINS0_14default_configENS1_27scan_by_key_config_selectorIiiEEZZNS1_16scan_by_key_implILNS1_25lookback_scan_determinismE0ELb0ES3_N6thrust23THRUST_200600_302600_NS6detail15normal_iteratorINS9_10device_ptrIiEEEESE_SE_iNS9_10multipliesIiEENS9_8equal_toIiEEiEE10hipError_tPvRmT2_T3_T4_T5_mT6_T7_P12ihipStream_tbENKUlT_T0_E_clISt17integral_constantIbLb0EESY_IbLb1EEEEDaSU_SV_EUlSU_E_NS1_11comp_targetILNS1_3genE10ELNS1_11target_archE1200ELNS1_3gpuE4ELNS1_3repE0EEENS1_30default_config_static_selectorELNS0_4arch9wavefront6targetE0EEEvT1_ ; -- Begin function _ZN7rocprim17ROCPRIM_400000_NS6detail17trampoline_kernelINS0_14default_configENS1_27scan_by_key_config_selectorIiiEEZZNS1_16scan_by_key_implILNS1_25lookback_scan_determinismE0ELb0ES3_N6thrust23THRUST_200600_302600_NS6detail15normal_iteratorINS9_10device_ptrIiEEEESE_SE_iNS9_10multipliesIiEENS9_8equal_toIiEEiEE10hipError_tPvRmT2_T3_T4_T5_mT6_T7_P12ihipStream_tbENKUlT_T0_E_clISt17integral_constantIbLb0EESY_IbLb1EEEEDaSU_SV_EUlSU_E_NS1_11comp_targetILNS1_3genE10ELNS1_11target_archE1200ELNS1_3gpuE4ELNS1_3repE0EEENS1_30default_config_static_selectorELNS0_4arch9wavefront6targetE0EEEvT1_
	.globl	_ZN7rocprim17ROCPRIM_400000_NS6detail17trampoline_kernelINS0_14default_configENS1_27scan_by_key_config_selectorIiiEEZZNS1_16scan_by_key_implILNS1_25lookback_scan_determinismE0ELb0ES3_N6thrust23THRUST_200600_302600_NS6detail15normal_iteratorINS9_10device_ptrIiEEEESE_SE_iNS9_10multipliesIiEENS9_8equal_toIiEEiEE10hipError_tPvRmT2_T3_T4_T5_mT6_T7_P12ihipStream_tbENKUlT_T0_E_clISt17integral_constantIbLb0EESY_IbLb1EEEEDaSU_SV_EUlSU_E_NS1_11comp_targetILNS1_3genE10ELNS1_11target_archE1200ELNS1_3gpuE4ELNS1_3repE0EEENS1_30default_config_static_selectorELNS0_4arch9wavefront6targetE0EEEvT1_
	.p2align	8
	.type	_ZN7rocprim17ROCPRIM_400000_NS6detail17trampoline_kernelINS0_14default_configENS1_27scan_by_key_config_selectorIiiEEZZNS1_16scan_by_key_implILNS1_25lookback_scan_determinismE0ELb0ES3_N6thrust23THRUST_200600_302600_NS6detail15normal_iteratorINS9_10device_ptrIiEEEESE_SE_iNS9_10multipliesIiEENS9_8equal_toIiEEiEE10hipError_tPvRmT2_T3_T4_T5_mT6_T7_P12ihipStream_tbENKUlT_T0_E_clISt17integral_constantIbLb0EESY_IbLb1EEEEDaSU_SV_EUlSU_E_NS1_11comp_targetILNS1_3genE10ELNS1_11target_archE1200ELNS1_3gpuE4ELNS1_3repE0EEENS1_30default_config_static_selectorELNS0_4arch9wavefront6targetE0EEEvT1_,@function
_ZN7rocprim17ROCPRIM_400000_NS6detail17trampoline_kernelINS0_14default_configENS1_27scan_by_key_config_selectorIiiEEZZNS1_16scan_by_key_implILNS1_25lookback_scan_determinismE0ELb0ES3_N6thrust23THRUST_200600_302600_NS6detail15normal_iteratorINS9_10device_ptrIiEEEESE_SE_iNS9_10multipliesIiEENS9_8equal_toIiEEiEE10hipError_tPvRmT2_T3_T4_T5_mT6_T7_P12ihipStream_tbENKUlT_T0_E_clISt17integral_constantIbLb0EESY_IbLb1EEEEDaSU_SV_EUlSU_E_NS1_11comp_targetILNS1_3genE10ELNS1_11target_archE1200ELNS1_3gpuE4ELNS1_3repE0EEENS1_30default_config_static_selectorELNS0_4arch9wavefront6targetE0EEEvT1_: ; @_ZN7rocprim17ROCPRIM_400000_NS6detail17trampoline_kernelINS0_14default_configENS1_27scan_by_key_config_selectorIiiEEZZNS1_16scan_by_key_implILNS1_25lookback_scan_determinismE0ELb0ES3_N6thrust23THRUST_200600_302600_NS6detail15normal_iteratorINS9_10device_ptrIiEEEESE_SE_iNS9_10multipliesIiEENS9_8equal_toIiEEiEE10hipError_tPvRmT2_T3_T4_T5_mT6_T7_P12ihipStream_tbENKUlT_T0_E_clISt17integral_constantIbLb0EESY_IbLb1EEEEDaSU_SV_EUlSU_E_NS1_11comp_targetILNS1_3genE10ELNS1_11target_archE1200ELNS1_3gpuE4ELNS1_3repE0EEENS1_30default_config_static_selectorELNS0_4arch9wavefront6targetE0EEEvT1_
; %bb.0:
	.section	.rodata,"a",@progbits
	.p2align	6, 0x0
	.amdhsa_kernel _ZN7rocprim17ROCPRIM_400000_NS6detail17trampoline_kernelINS0_14default_configENS1_27scan_by_key_config_selectorIiiEEZZNS1_16scan_by_key_implILNS1_25lookback_scan_determinismE0ELb0ES3_N6thrust23THRUST_200600_302600_NS6detail15normal_iteratorINS9_10device_ptrIiEEEESE_SE_iNS9_10multipliesIiEENS9_8equal_toIiEEiEE10hipError_tPvRmT2_T3_T4_T5_mT6_T7_P12ihipStream_tbENKUlT_T0_E_clISt17integral_constantIbLb0EESY_IbLb1EEEEDaSU_SV_EUlSU_E_NS1_11comp_targetILNS1_3genE10ELNS1_11target_archE1200ELNS1_3gpuE4ELNS1_3repE0EEENS1_30default_config_static_selectorELNS0_4arch9wavefront6targetE0EEEvT1_
		.amdhsa_group_segment_fixed_size 0
		.amdhsa_private_segment_fixed_size 0
		.amdhsa_kernarg_size 112
		.amdhsa_user_sgpr_count 2
		.amdhsa_user_sgpr_dispatch_ptr 0
		.amdhsa_user_sgpr_queue_ptr 0
		.amdhsa_user_sgpr_kernarg_segment_ptr 1
		.amdhsa_user_sgpr_dispatch_id 0
		.amdhsa_user_sgpr_kernarg_preload_length 0
		.amdhsa_user_sgpr_kernarg_preload_offset 0
		.amdhsa_user_sgpr_private_segment_size 0
		.amdhsa_wavefront_size32 1
		.amdhsa_uses_dynamic_stack 0
		.amdhsa_enable_private_segment 0
		.amdhsa_system_sgpr_workgroup_id_x 1
		.amdhsa_system_sgpr_workgroup_id_y 0
		.amdhsa_system_sgpr_workgroup_id_z 0
		.amdhsa_system_sgpr_workgroup_info 0
		.amdhsa_system_vgpr_workitem_id 0
		.amdhsa_next_free_vgpr 1
		.amdhsa_next_free_sgpr 1
		.amdhsa_named_barrier_count 0
		.amdhsa_reserve_vcc 0
		.amdhsa_float_round_mode_32 0
		.amdhsa_float_round_mode_16_64 0
		.amdhsa_float_denorm_mode_32 3
		.amdhsa_float_denorm_mode_16_64 3
		.amdhsa_fp16_overflow 0
		.amdhsa_memory_ordered 1
		.amdhsa_forward_progress 1
		.amdhsa_inst_pref_size 0
		.amdhsa_round_robin_scheduling 0
		.amdhsa_exception_fp_ieee_invalid_op 0
		.amdhsa_exception_fp_denorm_src 0
		.amdhsa_exception_fp_ieee_div_zero 0
		.amdhsa_exception_fp_ieee_overflow 0
		.amdhsa_exception_fp_ieee_underflow 0
		.amdhsa_exception_fp_ieee_inexact 0
		.amdhsa_exception_int_div_zero 0
	.end_amdhsa_kernel
	.section	.text._ZN7rocprim17ROCPRIM_400000_NS6detail17trampoline_kernelINS0_14default_configENS1_27scan_by_key_config_selectorIiiEEZZNS1_16scan_by_key_implILNS1_25lookback_scan_determinismE0ELb0ES3_N6thrust23THRUST_200600_302600_NS6detail15normal_iteratorINS9_10device_ptrIiEEEESE_SE_iNS9_10multipliesIiEENS9_8equal_toIiEEiEE10hipError_tPvRmT2_T3_T4_T5_mT6_T7_P12ihipStream_tbENKUlT_T0_E_clISt17integral_constantIbLb0EESY_IbLb1EEEEDaSU_SV_EUlSU_E_NS1_11comp_targetILNS1_3genE10ELNS1_11target_archE1200ELNS1_3gpuE4ELNS1_3repE0EEENS1_30default_config_static_selectorELNS0_4arch9wavefront6targetE0EEEvT1_,"axG",@progbits,_ZN7rocprim17ROCPRIM_400000_NS6detail17trampoline_kernelINS0_14default_configENS1_27scan_by_key_config_selectorIiiEEZZNS1_16scan_by_key_implILNS1_25lookback_scan_determinismE0ELb0ES3_N6thrust23THRUST_200600_302600_NS6detail15normal_iteratorINS9_10device_ptrIiEEEESE_SE_iNS9_10multipliesIiEENS9_8equal_toIiEEiEE10hipError_tPvRmT2_T3_T4_T5_mT6_T7_P12ihipStream_tbENKUlT_T0_E_clISt17integral_constantIbLb0EESY_IbLb1EEEEDaSU_SV_EUlSU_E_NS1_11comp_targetILNS1_3genE10ELNS1_11target_archE1200ELNS1_3gpuE4ELNS1_3repE0EEENS1_30default_config_static_selectorELNS0_4arch9wavefront6targetE0EEEvT1_,comdat
.Lfunc_end197:
	.size	_ZN7rocprim17ROCPRIM_400000_NS6detail17trampoline_kernelINS0_14default_configENS1_27scan_by_key_config_selectorIiiEEZZNS1_16scan_by_key_implILNS1_25lookback_scan_determinismE0ELb0ES3_N6thrust23THRUST_200600_302600_NS6detail15normal_iteratorINS9_10device_ptrIiEEEESE_SE_iNS9_10multipliesIiEENS9_8equal_toIiEEiEE10hipError_tPvRmT2_T3_T4_T5_mT6_T7_P12ihipStream_tbENKUlT_T0_E_clISt17integral_constantIbLb0EESY_IbLb1EEEEDaSU_SV_EUlSU_E_NS1_11comp_targetILNS1_3genE10ELNS1_11target_archE1200ELNS1_3gpuE4ELNS1_3repE0EEENS1_30default_config_static_selectorELNS0_4arch9wavefront6targetE0EEEvT1_, .Lfunc_end197-_ZN7rocprim17ROCPRIM_400000_NS6detail17trampoline_kernelINS0_14default_configENS1_27scan_by_key_config_selectorIiiEEZZNS1_16scan_by_key_implILNS1_25lookback_scan_determinismE0ELb0ES3_N6thrust23THRUST_200600_302600_NS6detail15normal_iteratorINS9_10device_ptrIiEEEESE_SE_iNS9_10multipliesIiEENS9_8equal_toIiEEiEE10hipError_tPvRmT2_T3_T4_T5_mT6_T7_P12ihipStream_tbENKUlT_T0_E_clISt17integral_constantIbLb0EESY_IbLb1EEEEDaSU_SV_EUlSU_E_NS1_11comp_targetILNS1_3genE10ELNS1_11target_archE1200ELNS1_3gpuE4ELNS1_3repE0EEENS1_30default_config_static_selectorELNS0_4arch9wavefront6targetE0EEEvT1_
                                        ; -- End function
	.set _ZN7rocprim17ROCPRIM_400000_NS6detail17trampoline_kernelINS0_14default_configENS1_27scan_by_key_config_selectorIiiEEZZNS1_16scan_by_key_implILNS1_25lookback_scan_determinismE0ELb0ES3_N6thrust23THRUST_200600_302600_NS6detail15normal_iteratorINS9_10device_ptrIiEEEESE_SE_iNS9_10multipliesIiEENS9_8equal_toIiEEiEE10hipError_tPvRmT2_T3_T4_T5_mT6_T7_P12ihipStream_tbENKUlT_T0_E_clISt17integral_constantIbLb0EESY_IbLb1EEEEDaSU_SV_EUlSU_E_NS1_11comp_targetILNS1_3genE10ELNS1_11target_archE1200ELNS1_3gpuE4ELNS1_3repE0EEENS1_30default_config_static_selectorELNS0_4arch9wavefront6targetE0EEEvT1_.num_vgpr, 0
	.set _ZN7rocprim17ROCPRIM_400000_NS6detail17trampoline_kernelINS0_14default_configENS1_27scan_by_key_config_selectorIiiEEZZNS1_16scan_by_key_implILNS1_25lookback_scan_determinismE0ELb0ES3_N6thrust23THRUST_200600_302600_NS6detail15normal_iteratorINS9_10device_ptrIiEEEESE_SE_iNS9_10multipliesIiEENS9_8equal_toIiEEiEE10hipError_tPvRmT2_T3_T4_T5_mT6_T7_P12ihipStream_tbENKUlT_T0_E_clISt17integral_constantIbLb0EESY_IbLb1EEEEDaSU_SV_EUlSU_E_NS1_11comp_targetILNS1_3genE10ELNS1_11target_archE1200ELNS1_3gpuE4ELNS1_3repE0EEENS1_30default_config_static_selectorELNS0_4arch9wavefront6targetE0EEEvT1_.num_agpr, 0
	.set _ZN7rocprim17ROCPRIM_400000_NS6detail17trampoline_kernelINS0_14default_configENS1_27scan_by_key_config_selectorIiiEEZZNS1_16scan_by_key_implILNS1_25lookback_scan_determinismE0ELb0ES3_N6thrust23THRUST_200600_302600_NS6detail15normal_iteratorINS9_10device_ptrIiEEEESE_SE_iNS9_10multipliesIiEENS9_8equal_toIiEEiEE10hipError_tPvRmT2_T3_T4_T5_mT6_T7_P12ihipStream_tbENKUlT_T0_E_clISt17integral_constantIbLb0EESY_IbLb1EEEEDaSU_SV_EUlSU_E_NS1_11comp_targetILNS1_3genE10ELNS1_11target_archE1200ELNS1_3gpuE4ELNS1_3repE0EEENS1_30default_config_static_selectorELNS0_4arch9wavefront6targetE0EEEvT1_.numbered_sgpr, 0
	.set _ZN7rocprim17ROCPRIM_400000_NS6detail17trampoline_kernelINS0_14default_configENS1_27scan_by_key_config_selectorIiiEEZZNS1_16scan_by_key_implILNS1_25lookback_scan_determinismE0ELb0ES3_N6thrust23THRUST_200600_302600_NS6detail15normal_iteratorINS9_10device_ptrIiEEEESE_SE_iNS9_10multipliesIiEENS9_8equal_toIiEEiEE10hipError_tPvRmT2_T3_T4_T5_mT6_T7_P12ihipStream_tbENKUlT_T0_E_clISt17integral_constantIbLb0EESY_IbLb1EEEEDaSU_SV_EUlSU_E_NS1_11comp_targetILNS1_3genE10ELNS1_11target_archE1200ELNS1_3gpuE4ELNS1_3repE0EEENS1_30default_config_static_selectorELNS0_4arch9wavefront6targetE0EEEvT1_.num_named_barrier, 0
	.set _ZN7rocprim17ROCPRIM_400000_NS6detail17trampoline_kernelINS0_14default_configENS1_27scan_by_key_config_selectorIiiEEZZNS1_16scan_by_key_implILNS1_25lookback_scan_determinismE0ELb0ES3_N6thrust23THRUST_200600_302600_NS6detail15normal_iteratorINS9_10device_ptrIiEEEESE_SE_iNS9_10multipliesIiEENS9_8equal_toIiEEiEE10hipError_tPvRmT2_T3_T4_T5_mT6_T7_P12ihipStream_tbENKUlT_T0_E_clISt17integral_constantIbLb0EESY_IbLb1EEEEDaSU_SV_EUlSU_E_NS1_11comp_targetILNS1_3genE10ELNS1_11target_archE1200ELNS1_3gpuE4ELNS1_3repE0EEENS1_30default_config_static_selectorELNS0_4arch9wavefront6targetE0EEEvT1_.private_seg_size, 0
	.set _ZN7rocprim17ROCPRIM_400000_NS6detail17trampoline_kernelINS0_14default_configENS1_27scan_by_key_config_selectorIiiEEZZNS1_16scan_by_key_implILNS1_25lookback_scan_determinismE0ELb0ES3_N6thrust23THRUST_200600_302600_NS6detail15normal_iteratorINS9_10device_ptrIiEEEESE_SE_iNS9_10multipliesIiEENS9_8equal_toIiEEiEE10hipError_tPvRmT2_T3_T4_T5_mT6_T7_P12ihipStream_tbENKUlT_T0_E_clISt17integral_constantIbLb0EESY_IbLb1EEEEDaSU_SV_EUlSU_E_NS1_11comp_targetILNS1_3genE10ELNS1_11target_archE1200ELNS1_3gpuE4ELNS1_3repE0EEENS1_30default_config_static_selectorELNS0_4arch9wavefront6targetE0EEEvT1_.uses_vcc, 0
	.set _ZN7rocprim17ROCPRIM_400000_NS6detail17trampoline_kernelINS0_14default_configENS1_27scan_by_key_config_selectorIiiEEZZNS1_16scan_by_key_implILNS1_25lookback_scan_determinismE0ELb0ES3_N6thrust23THRUST_200600_302600_NS6detail15normal_iteratorINS9_10device_ptrIiEEEESE_SE_iNS9_10multipliesIiEENS9_8equal_toIiEEiEE10hipError_tPvRmT2_T3_T4_T5_mT6_T7_P12ihipStream_tbENKUlT_T0_E_clISt17integral_constantIbLb0EESY_IbLb1EEEEDaSU_SV_EUlSU_E_NS1_11comp_targetILNS1_3genE10ELNS1_11target_archE1200ELNS1_3gpuE4ELNS1_3repE0EEENS1_30default_config_static_selectorELNS0_4arch9wavefront6targetE0EEEvT1_.uses_flat_scratch, 0
	.set _ZN7rocprim17ROCPRIM_400000_NS6detail17trampoline_kernelINS0_14default_configENS1_27scan_by_key_config_selectorIiiEEZZNS1_16scan_by_key_implILNS1_25lookback_scan_determinismE0ELb0ES3_N6thrust23THRUST_200600_302600_NS6detail15normal_iteratorINS9_10device_ptrIiEEEESE_SE_iNS9_10multipliesIiEENS9_8equal_toIiEEiEE10hipError_tPvRmT2_T3_T4_T5_mT6_T7_P12ihipStream_tbENKUlT_T0_E_clISt17integral_constantIbLb0EESY_IbLb1EEEEDaSU_SV_EUlSU_E_NS1_11comp_targetILNS1_3genE10ELNS1_11target_archE1200ELNS1_3gpuE4ELNS1_3repE0EEENS1_30default_config_static_selectorELNS0_4arch9wavefront6targetE0EEEvT1_.has_dyn_sized_stack, 0
	.set _ZN7rocprim17ROCPRIM_400000_NS6detail17trampoline_kernelINS0_14default_configENS1_27scan_by_key_config_selectorIiiEEZZNS1_16scan_by_key_implILNS1_25lookback_scan_determinismE0ELb0ES3_N6thrust23THRUST_200600_302600_NS6detail15normal_iteratorINS9_10device_ptrIiEEEESE_SE_iNS9_10multipliesIiEENS9_8equal_toIiEEiEE10hipError_tPvRmT2_T3_T4_T5_mT6_T7_P12ihipStream_tbENKUlT_T0_E_clISt17integral_constantIbLb0EESY_IbLb1EEEEDaSU_SV_EUlSU_E_NS1_11comp_targetILNS1_3genE10ELNS1_11target_archE1200ELNS1_3gpuE4ELNS1_3repE0EEENS1_30default_config_static_selectorELNS0_4arch9wavefront6targetE0EEEvT1_.has_recursion, 0
	.set _ZN7rocprim17ROCPRIM_400000_NS6detail17trampoline_kernelINS0_14default_configENS1_27scan_by_key_config_selectorIiiEEZZNS1_16scan_by_key_implILNS1_25lookback_scan_determinismE0ELb0ES3_N6thrust23THRUST_200600_302600_NS6detail15normal_iteratorINS9_10device_ptrIiEEEESE_SE_iNS9_10multipliesIiEENS9_8equal_toIiEEiEE10hipError_tPvRmT2_T3_T4_T5_mT6_T7_P12ihipStream_tbENKUlT_T0_E_clISt17integral_constantIbLb0EESY_IbLb1EEEEDaSU_SV_EUlSU_E_NS1_11comp_targetILNS1_3genE10ELNS1_11target_archE1200ELNS1_3gpuE4ELNS1_3repE0EEENS1_30default_config_static_selectorELNS0_4arch9wavefront6targetE0EEEvT1_.has_indirect_call, 0
	.section	.AMDGPU.csdata,"",@progbits
; Kernel info:
; codeLenInByte = 0
; TotalNumSgprs: 0
; NumVgprs: 0
; ScratchSize: 0
; MemoryBound: 0
; FloatMode: 240
; IeeeMode: 1
; LDSByteSize: 0 bytes/workgroup (compile time only)
; SGPRBlocks: 0
; VGPRBlocks: 0
; NumSGPRsForWavesPerEU: 1
; NumVGPRsForWavesPerEU: 1
; NamedBarCnt: 0
; Occupancy: 16
; WaveLimiterHint : 0
; COMPUTE_PGM_RSRC2:SCRATCH_EN: 0
; COMPUTE_PGM_RSRC2:USER_SGPR: 2
; COMPUTE_PGM_RSRC2:TRAP_HANDLER: 0
; COMPUTE_PGM_RSRC2:TGID_X_EN: 1
; COMPUTE_PGM_RSRC2:TGID_Y_EN: 0
; COMPUTE_PGM_RSRC2:TGID_Z_EN: 0
; COMPUTE_PGM_RSRC2:TIDIG_COMP_CNT: 0
	.section	.text._ZN7rocprim17ROCPRIM_400000_NS6detail17trampoline_kernelINS0_14default_configENS1_27scan_by_key_config_selectorIiiEEZZNS1_16scan_by_key_implILNS1_25lookback_scan_determinismE0ELb0ES3_N6thrust23THRUST_200600_302600_NS6detail15normal_iteratorINS9_10device_ptrIiEEEESE_SE_iNS9_10multipliesIiEENS9_8equal_toIiEEiEE10hipError_tPvRmT2_T3_T4_T5_mT6_T7_P12ihipStream_tbENKUlT_T0_E_clISt17integral_constantIbLb0EESY_IbLb1EEEEDaSU_SV_EUlSU_E_NS1_11comp_targetILNS1_3genE9ELNS1_11target_archE1100ELNS1_3gpuE3ELNS1_3repE0EEENS1_30default_config_static_selectorELNS0_4arch9wavefront6targetE0EEEvT1_,"axG",@progbits,_ZN7rocprim17ROCPRIM_400000_NS6detail17trampoline_kernelINS0_14default_configENS1_27scan_by_key_config_selectorIiiEEZZNS1_16scan_by_key_implILNS1_25lookback_scan_determinismE0ELb0ES3_N6thrust23THRUST_200600_302600_NS6detail15normal_iteratorINS9_10device_ptrIiEEEESE_SE_iNS9_10multipliesIiEENS9_8equal_toIiEEiEE10hipError_tPvRmT2_T3_T4_T5_mT6_T7_P12ihipStream_tbENKUlT_T0_E_clISt17integral_constantIbLb0EESY_IbLb1EEEEDaSU_SV_EUlSU_E_NS1_11comp_targetILNS1_3genE9ELNS1_11target_archE1100ELNS1_3gpuE3ELNS1_3repE0EEENS1_30default_config_static_selectorELNS0_4arch9wavefront6targetE0EEEvT1_,comdat
	.protected	_ZN7rocprim17ROCPRIM_400000_NS6detail17trampoline_kernelINS0_14default_configENS1_27scan_by_key_config_selectorIiiEEZZNS1_16scan_by_key_implILNS1_25lookback_scan_determinismE0ELb0ES3_N6thrust23THRUST_200600_302600_NS6detail15normal_iteratorINS9_10device_ptrIiEEEESE_SE_iNS9_10multipliesIiEENS9_8equal_toIiEEiEE10hipError_tPvRmT2_T3_T4_T5_mT6_T7_P12ihipStream_tbENKUlT_T0_E_clISt17integral_constantIbLb0EESY_IbLb1EEEEDaSU_SV_EUlSU_E_NS1_11comp_targetILNS1_3genE9ELNS1_11target_archE1100ELNS1_3gpuE3ELNS1_3repE0EEENS1_30default_config_static_selectorELNS0_4arch9wavefront6targetE0EEEvT1_ ; -- Begin function _ZN7rocprim17ROCPRIM_400000_NS6detail17trampoline_kernelINS0_14default_configENS1_27scan_by_key_config_selectorIiiEEZZNS1_16scan_by_key_implILNS1_25lookback_scan_determinismE0ELb0ES3_N6thrust23THRUST_200600_302600_NS6detail15normal_iteratorINS9_10device_ptrIiEEEESE_SE_iNS9_10multipliesIiEENS9_8equal_toIiEEiEE10hipError_tPvRmT2_T3_T4_T5_mT6_T7_P12ihipStream_tbENKUlT_T0_E_clISt17integral_constantIbLb0EESY_IbLb1EEEEDaSU_SV_EUlSU_E_NS1_11comp_targetILNS1_3genE9ELNS1_11target_archE1100ELNS1_3gpuE3ELNS1_3repE0EEENS1_30default_config_static_selectorELNS0_4arch9wavefront6targetE0EEEvT1_
	.globl	_ZN7rocprim17ROCPRIM_400000_NS6detail17trampoline_kernelINS0_14default_configENS1_27scan_by_key_config_selectorIiiEEZZNS1_16scan_by_key_implILNS1_25lookback_scan_determinismE0ELb0ES3_N6thrust23THRUST_200600_302600_NS6detail15normal_iteratorINS9_10device_ptrIiEEEESE_SE_iNS9_10multipliesIiEENS9_8equal_toIiEEiEE10hipError_tPvRmT2_T3_T4_T5_mT6_T7_P12ihipStream_tbENKUlT_T0_E_clISt17integral_constantIbLb0EESY_IbLb1EEEEDaSU_SV_EUlSU_E_NS1_11comp_targetILNS1_3genE9ELNS1_11target_archE1100ELNS1_3gpuE3ELNS1_3repE0EEENS1_30default_config_static_selectorELNS0_4arch9wavefront6targetE0EEEvT1_
	.p2align	8
	.type	_ZN7rocprim17ROCPRIM_400000_NS6detail17trampoline_kernelINS0_14default_configENS1_27scan_by_key_config_selectorIiiEEZZNS1_16scan_by_key_implILNS1_25lookback_scan_determinismE0ELb0ES3_N6thrust23THRUST_200600_302600_NS6detail15normal_iteratorINS9_10device_ptrIiEEEESE_SE_iNS9_10multipliesIiEENS9_8equal_toIiEEiEE10hipError_tPvRmT2_T3_T4_T5_mT6_T7_P12ihipStream_tbENKUlT_T0_E_clISt17integral_constantIbLb0EESY_IbLb1EEEEDaSU_SV_EUlSU_E_NS1_11comp_targetILNS1_3genE9ELNS1_11target_archE1100ELNS1_3gpuE3ELNS1_3repE0EEENS1_30default_config_static_selectorELNS0_4arch9wavefront6targetE0EEEvT1_,@function
_ZN7rocprim17ROCPRIM_400000_NS6detail17trampoline_kernelINS0_14default_configENS1_27scan_by_key_config_selectorIiiEEZZNS1_16scan_by_key_implILNS1_25lookback_scan_determinismE0ELb0ES3_N6thrust23THRUST_200600_302600_NS6detail15normal_iteratorINS9_10device_ptrIiEEEESE_SE_iNS9_10multipliesIiEENS9_8equal_toIiEEiEE10hipError_tPvRmT2_T3_T4_T5_mT6_T7_P12ihipStream_tbENKUlT_T0_E_clISt17integral_constantIbLb0EESY_IbLb1EEEEDaSU_SV_EUlSU_E_NS1_11comp_targetILNS1_3genE9ELNS1_11target_archE1100ELNS1_3gpuE3ELNS1_3repE0EEENS1_30default_config_static_selectorELNS0_4arch9wavefront6targetE0EEEvT1_: ; @_ZN7rocprim17ROCPRIM_400000_NS6detail17trampoline_kernelINS0_14default_configENS1_27scan_by_key_config_selectorIiiEEZZNS1_16scan_by_key_implILNS1_25lookback_scan_determinismE0ELb0ES3_N6thrust23THRUST_200600_302600_NS6detail15normal_iteratorINS9_10device_ptrIiEEEESE_SE_iNS9_10multipliesIiEENS9_8equal_toIiEEiEE10hipError_tPvRmT2_T3_T4_T5_mT6_T7_P12ihipStream_tbENKUlT_T0_E_clISt17integral_constantIbLb0EESY_IbLb1EEEEDaSU_SV_EUlSU_E_NS1_11comp_targetILNS1_3genE9ELNS1_11target_archE1100ELNS1_3gpuE3ELNS1_3repE0EEENS1_30default_config_static_selectorELNS0_4arch9wavefront6targetE0EEEvT1_
; %bb.0:
	.section	.rodata,"a",@progbits
	.p2align	6, 0x0
	.amdhsa_kernel _ZN7rocprim17ROCPRIM_400000_NS6detail17trampoline_kernelINS0_14default_configENS1_27scan_by_key_config_selectorIiiEEZZNS1_16scan_by_key_implILNS1_25lookback_scan_determinismE0ELb0ES3_N6thrust23THRUST_200600_302600_NS6detail15normal_iteratorINS9_10device_ptrIiEEEESE_SE_iNS9_10multipliesIiEENS9_8equal_toIiEEiEE10hipError_tPvRmT2_T3_T4_T5_mT6_T7_P12ihipStream_tbENKUlT_T0_E_clISt17integral_constantIbLb0EESY_IbLb1EEEEDaSU_SV_EUlSU_E_NS1_11comp_targetILNS1_3genE9ELNS1_11target_archE1100ELNS1_3gpuE3ELNS1_3repE0EEENS1_30default_config_static_selectorELNS0_4arch9wavefront6targetE0EEEvT1_
		.amdhsa_group_segment_fixed_size 0
		.amdhsa_private_segment_fixed_size 0
		.amdhsa_kernarg_size 112
		.amdhsa_user_sgpr_count 2
		.amdhsa_user_sgpr_dispatch_ptr 0
		.amdhsa_user_sgpr_queue_ptr 0
		.amdhsa_user_sgpr_kernarg_segment_ptr 1
		.amdhsa_user_sgpr_dispatch_id 0
		.amdhsa_user_sgpr_kernarg_preload_length 0
		.amdhsa_user_sgpr_kernarg_preload_offset 0
		.amdhsa_user_sgpr_private_segment_size 0
		.amdhsa_wavefront_size32 1
		.amdhsa_uses_dynamic_stack 0
		.amdhsa_enable_private_segment 0
		.amdhsa_system_sgpr_workgroup_id_x 1
		.amdhsa_system_sgpr_workgroup_id_y 0
		.amdhsa_system_sgpr_workgroup_id_z 0
		.amdhsa_system_sgpr_workgroup_info 0
		.amdhsa_system_vgpr_workitem_id 0
		.amdhsa_next_free_vgpr 1
		.amdhsa_next_free_sgpr 1
		.amdhsa_named_barrier_count 0
		.amdhsa_reserve_vcc 0
		.amdhsa_float_round_mode_32 0
		.amdhsa_float_round_mode_16_64 0
		.amdhsa_float_denorm_mode_32 3
		.amdhsa_float_denorm_mode_16_64 3
		.amdhsa_fp16_overflow 0
		.amdhsa_memory_ordered 1
		.amdhsa_forward_progress 1
		.amdhsa_inst_pref_size 0
		.amdhsa_round_robin_scheduling 0
		.amdhsa_exception_fp_ieee_invalid_op 0
		.amdhsa_exception_fp_denorm_src 0
		.amdhsa_exception_fp_ieee_div_zero 0
		.amdhsa_exception_fp_ieee_overflow 0
		.amdhsa_exception_fp_ieee_underflow 0
		.amdhsa_exception_fp_ieee_inexact 0
		.amdhsa_exception_int_div_zero 0
	.end_amdhsa_kernel
	.section	.text._ZN7rocprim17ROCPRIM_400000_NS6detail17trampoline_kernelINS0_14default_configENS1_27scan_by_key_config_selectorIiiEEZZNS1_16scan_by_key_implILNS1_25lookback_scan_determinismE0ELb0ES3_N6thrust23THRUST_200600_302600_NS6detail15normal_iteratorINS9_10device_ptrIiEEEESE_SE_iNS9_10multipliesIiEENS9_8equal_toIiEEiEE10hipError_tPvRmT2_T3_T4_T5_mT6_T7_P12ihipStream_tbENKUlT_T0_E_clISt17integral_constantIbLb0EESY_IbLb1EEEEDaSU_SV_EUlSU_E_NS1_11comp_targetILNS1_3genE9ELNS1_11target_archE1100ELNS1_3gpuE3ELNS1_3repE0EEENS1_30default_config_static_selectorELNS0_4arch9wavefront6targetE0EEEvT1_,"axG",@progbits,_ZN7rocprim17ROCPRIM_400000_NS6detail17trampoline_kernelINS0_14default_configENS1_27scan_by_key_config_selectorIiiEEZZNS1_16scan_by_key_implILNS1_25lookback_scan_determinismE0ELb0ES3_N6thrust23THRUST_200600_302600_NS6detail15normal_iteratorINS9_10device_ptrIiEEEESE_SE_iNS9_10multipliesIiEENS9_8equal_toIiEEiEE10hipError_tPvRmT2_T3_T4_T5_mT6_T7_P12ihipStream_tbENKUlT_T0_E_clISt17integral_constantIbLb0EESY_IbLb1EEEEDaSU_SV_EUlSU_E_NS1_11comp_targetILNS1_3genE9ELNS1_11target_archE1100ELNS1_3gpuE3ELNS1_3repE0EEENS1_30default_config_static_selectorELNS0_4arch9wavefront6targetE0EEEvT1_,comdat
.Lfunc_end198:
	.size	_ZN7rocprim17ROCPRIM_400000_NS6detail17trampoline_kernelINS0_14default_configENS1_27scan_by_key_config_selectorIiiEEZZNS1_16scan_by_key_implILNS1_25lookback_scan_determinismE0ELb0ES3_N6thrust23THRUST_200600_302600_NS6detail15normal_iteratorINS9_10device_ptrIiEEEESE_SE_iNS9_10multipliesIiEENS9_8equal_toIiEEiEE10hipError_tPvRmT2_T3_T4_T5_mT6_T7_P12ihipStream_tbENKUlT_T0_E_clISt17integral_constantIbLb0EESY_IbLb1EEEEDaSU_SV_EUlSU_E_NS1_11comp_targetILNS1_3genE9ELNS1_11target_archE1100ELNS1_3gpuE3ELNS1_3repE0EEENS1_30default_config_static_selectorELNS0_4arch9wavefront6targetE0EEEvT1_, .Lfunc_end198-_ZN7rocprim17ROCPRIM_400000_NS6detail17trampoline_kernelINS0_14default_configENS1_27scan_by_key_config_selectorIiiEEZZNS1_16scan_by_key_implILNS1_25lookback_scan_determinismE0ELb0ES3_N6thrust23THRUST_200600_302600_NS6detail15normal_iteratorINS9_10device_ptrIiEEEESE_SE_iNS9_10multipliesIiEENS9_8equal_toIiEEiEE10hipError_tPvRmT2_T3_T4_T5_mT6_T7_P12ihipStream_tbENKUlT_T0_E_clISt17integral_constantIbLb0EESY_IbLb1EEEEDaSU_SV_EUlSU_E_NS1_11comp_targetILNS1_3genE9ELNS1_11target_archE1100ELNS1_3gpuE3ELNS1_3repE0EEENS1_30default_config_static_selectorELNS0_4arch9wavefront6targetE0EEEvT1_
                                        ; -- End function
	.set _ZN7rocprim17ROCPRIM_400000_NS6detail17trampoline_kernelINS0_14default_configENS1_27scan_by_key_config_selectorIiiEEZZNS1_16scan_by_key_implILNS1_25lookback_scan_determinismE0ELb0ES3_N6thrust23THRUST_200600_302600_NS6detail15normal_iteratorINS9_10device_ptrIiEEEESE_SE_iNS9_10multipliesIiEENS9_8equal_toIiEEiEE10hipError_tPvRmT2_T3_T4_T5_mT6_T7_P12ihipStream_tbENKUlT_T0_E_clISt17integral_constantIbLb0EESY_IbLb1EEEEDaSU_SV_EUlSU_E_NS1_11comp_targetILNS1_3genE9ELNS1_11target_archE1100ELNS1_3gpuE3ELNS1_3repE0EEENS1_30default_config_static_selectorELNS0_4arch9wavefront6targetE0EEEvT1_.num_vgpr, 0
	.set _ZN7rocprim17ROCPRIM_400000_NS6detail17trampoline_kernelINS0_14default_configENS1_27scan_by_key_config_selectorIiiEEZZNS1_16scan_by_key_implILNS1_25lookback_scan_determinismE0ELb0ES3_N6thrust23THRUST_200600_302600_NS6detail15normal_iteratorINS9_10device_ptrIiEEEESE_SE_iNS9_10multipliesIiEENS9_8equal_toIiEEiEE10hipError_tPvRmT2_T3_T4_T5_mT6_T7_P12ihipStream_tbENKUlT_T0_E_clISt17integral_constantIbLb0EESY_IbLb1EEEEDaSU_SV_EUlSU_E_NS1_11comp_targetILNS1_3genE9ELNS1_11target_archE1100ELNS1_3gpuE3ELNS1_3repE0EEENS1_30default_config_static_selectorELNS0_4arch9wavefront6targetE0EEEvT1_.num_agpr, 0
	.set _ZN7rocprim17ROCPRIM_400000_NS6detail17trampoline_kernelINS0_14default_configENS1_27scan_by_key_config_selectorIiiEEZZNS1_16scan_by_key_implILNS1_25lookback_scan_determinismE0ELb0ES3_N6thrust23THRUST_200600_302600_NS6detail15normal_iteratorINS9_10device_ptrIiEEEESE_SE_iNS9_10multipliesIiEENS9_8equal_toIiEEiEE10hipError_tPvRmT2_T3_T4_T5_mT6_T7_P12ihipStream_tbENKUlT_T0_E_clISt17integral_constantIbLb0EESY_IbLb1EEEEDaSU_SV_EUlSU_E_NS1_11comp_targetILNS1_3genE9ELNS1_11target_archE1100ELNS1_3gpuE3ELNS1_3repE0EEENS1_30default_config_static_selectorELNS0_4arch9wavefront6targetE0EEEvT1_.numbered_sgpr, 0
	.set _ZN7rocprim17ROCPRIM_400000_NS6detail17trampoline_kernelINS0_14default_configENS1_27scan_by_key_config_selectorIiiEEZZNS1_16scan_by_key_implILNS1_25lookback_scan_determinismE0ELb0ES3_N6thrust23THRUST_200600_302600_NS6detail15normal_iteratorINS9_10device_ptrIiEEEESE_SE_iNS9_10multipliesIiEENS9_8equal_toIiEEiEE10hipError_tPvRmT2_T3_T4_T5_mT6_T7_P12ihipStream_tbENKUlT_T0_E_clISt17integral_constantIbLb0EESY_IbLb1EEEEDaSU_SV_EUlSU_E_NS1_11comp_targetILNS1_3genE9ELNS1_11target_archE1100ELNS1_3gpuE3ELNS1_3repE0EEENS1_30default_config_static_selectorELNS0_4arch9wavefront6targetE0EEEvT1_.num_named_barrier, 0
	.set _ZN7rocprim17ROCPRIM_400000_NS6detail17trampoline_kernelINS0_14default_configENS1_27scan_by_key_config_selectorIiiEEZZNS1_16scan_by_key_implILNS1_25lookback_scan_determinismE0ELb0ES3_N6thrust23THRUST_200600_302600_NS6detail15normal_iteratorINS9_10device_ptrIiEEEESE_SE_iNS9_10multipliesIiEENS9_8equal_toIiEEiEE10hipError_tPvRmT2_T3_T4_T5_mT6_T7_P12ihipStream_tbENKUlT_T0_E_clISt17integral_constantIbLb0EESY_IbLb1EEEEDaSU_SV_EUlSU_E_NS1_11comp_targetILNS1_3genE9ELNS1_11target_archE1100ELNS1_3gpuE3ELNS1_3repE0EEENS1_30default_config_static_selectorELNS0_4arch9wavefront6targetE0EEEvT1_.private_seg_size, 0
	.set _ZN7rocprim17ROCPRIM_400000_NS6detail17trampoline_kernelINS0_14default_configENS1_27scan_by_key_config_selectorIiiEEZZNS1_16scan_by_key_implILNS1_25lookback_scan_determinismE0ELb0ES3_N6thrust23THRUST_200600_302600_NS6detail15normal_iteratorINS9_10device_ptrIiEEEESE_SE_iNS9_10multipliesIiEENS9_8equal_toIiEEiEE10hipError_tPvRmT2_T3_T4_T5_mT6_T7_P12ihipStream_tbENKUlT_T0_E_clISt17integral_constantIbLb0EESY_IbLb1EEEEDaSU_SV_EUlSU_E_NS1_11comp_targetILNS1_3genE9ELNS1_11target_archE1100ELNS1_3gpuE3ELNS1_3repE0EEENS1_30default_config_static_selectorELNS0_4arch9wavefront6targetE0EEEvT1_.uses_vcc, 0
	.set _ZN7rocprim17ROCPRIM_400000_NS6detail17trampoline_kernelINS0_14default_configENS1_27scan_by_key_config_selectorIiiEEZZNS1_16scan_by_key_implILNS1_25lookback_scan_determinismE0ELb0ES3_N6thrust23THRUST_200600_302600_NS6detail15normal_iteratorINS9_10device_ptrIiEEEESE_SE_iNS9_10multipliesIiEENS9_8equal_toIiEEiEE10hipError_tPvRmT2_T3_T4_T5_mT6_T7_P12ihipStream_tbENKUlT_T0_E_clISt17integral_constantIbLb0EESY_IbLb1EEEEDaSU_SV_EUlSU_E_NS1_11comp_targetILNS1_3genE9ELNS1_11target_archE1100ELNS1_3gpuE3ELNS1_3repE0EEENS1_30default_config_static_selectorELNS0_4arch9wavefront6targetE0EEEvT1_.uses_flat_scratch, 0
	.set _ZN7rocprim17ROCPRIM_400000_NS6detail17trampoline_kernelINS0_14default_configENS1_27scan_by_key_config_selectorIiiEEZZNS1_16scan_by_key_implILNS1_25lookback_scan_determinismE0ELb0ES3_N6thrust23THRUST_200600_302600_NS6detail15normal_iteratorINS9_10device_ptrIiEEEESE_SE_iNS9_10multipliesIiEENS9_8equal_toIiEEiEE10hipError_tPvRmT2_T3_T4_T5_mT6_T7_P12ihipStream_tbENKUlT_T0_E_clISt17integral_constantIbLb0EESY_IbLb1EEEEDaSU_SV_EUlSU_E_NS1_11comp_targetILNS1_3genE9ELNS1_11target_archE1100ELNS1_3gpuE3ELNS1_3repE0EEENS1_30default_config_static_selectorELNS0_4arch9wavefront6targetE0EEEvT1_.has_dyn_sized_stack, 0
	.set _ZN7rocprim17ROCPRIM_400000_NS6detail17trampoline_kernelINS0_14default_configENS1_27scan_by_key_config_selectorIiiEEZZNS1_16scan_by_key_implILNS1_25lookback_scan_determinismE0ELb0ES3_N6thrust23THRUST_200600_302600_NS6detail15normal_iteratorINS9_10device_ptrIiEEEESE_SE_iNS9_10multipliesIiEENS9_8equal_toIiEEiEE10hipError_tPvRmT2_T3_T4_T5_mT6_T7_P12ihipStream_tbENKUlT_T0_E_clISt17integral_constantIbLb0EESY_IbLb1EEEEDaSU_SV_EUlSU_E_NS1_11comp_targetILNS1_3genE9ELNS1_11target_archE1100ELNS1_3gpuE3ELNS1_3repE0EEENS1_30default_config_static_selectorELNS0_4arch9wavefront6targetE0EEEvT1_.has_recursion, 0
	.set _ZN7rocprim17ROCPRIM_400000_NS6detail17trampoline_kernelINS0_14default_configENS1_27scan_by_key_config_selectorIiiEEZZNS1_16scan_by_key_implILNS1_25lookback_scan_determinismE0ELb0ES3_N6thrust23THRUST_200600_302600_NS6detail15normal_iteratorINS9_10device_ptrIiEEEESE_SE_iNS9_10multipliesIiEENS9_8equal_toIiEEiEE10hipError_tPvRmT2_T3_T4_T5_mT6_T7_P12ihipStream_tbENKUlT_T0_E_clISt17integral_constantIbLb0EESY_IbLb1EEEEDaSU_SV_EUlSU_E_NS1_11comp_targetILNS1_3genE9ELNS1_11target_archE1100ELNS1_3gpuE3ELNS1_3repE0EEENS1_30default_config_static_selectorELNS0_4arch9wavefront6targetE0EEEvT1_.has_indirect_call, 0
	.section	.AMDGPU.csdata,"",@progbits
; Kernel info:
; codeLenInByte = 0
; TotalNumSgprs: 0
; NumVgprs: 0
; ScratchSize: 0
; MemoryBound: 0
; FloatMode: 240
; IeeeMode: 1
; LDSByteSize: 0 bytes/workgroup (compile time only)
; SGPRBlocks: 0
; VGPRBlocks: 0
; NumSGPRsForWavesPerEU: 1
; NumVGPRsForWavesPerEU: 1
; NamedBarCnt: 0
; Occupancy: 16
; WaveLimiterHint : 0
; COMPUTE_PGM_RSRC2:SCRATCH_EN: 0
; COMPUTE_PGM_RSRC2:USER_SGPR: 2
; COMPUTE_PGM_RSRC2:TRAP_HANDLER: 0
; COMPUTE_PGM_RSRC2:TGID_X_EN: 1
; COMPUTE_PGM_RSRC2:TGID_Y_EN: 0
; COMPUTE_PGM_RSRC2:TGID_Z_EN: 0
; COMPUTE_PGM_RSRC2:TIDIG_COMP_CNT: 0
	.section	.text._ZN7rocprim17ROCPRIM_400000_NS6detail17trampoline_kernelINS0_14default_configENS1_27scan_by_key_config_selectorIiiEEZZNS1_16scan_by_key_implILNS1_25lookback_scan_determinismE0ELb0ES3_N6thrust23THRUST_200600_302600_NS6detail15normal_iteratorINS9_10device_ptrIiEEEESE_SE_iNS9_10multipliesIiEENS9_8equal_toIiEEiEE10hipError_tPvRmT2_T3_T4_T5_mT6_T7_P12ihipStream_tbENKUlT_T0_E_clISt17integral_constantIbLb0EESY_IbLb1EEEEDaSU_SV_EUlSU_E_NS1_11comp_targetILNS1_3genE8ELNS1_11target_archE1030ELNS1_3gpuE2ELNS1_3repE0EEENS1_30default_config_static_selectorELNS0_4arch9wavefront6targetE0EEEvT1_,"axG",@progbits,_ZN7rocprim17ROCPRIM_400000_NS6detail17trampoline_kernelINS0_14default_configENS1_27scan_by_key_config_selectorIiiEEZZNS1_16scan_by_key_implILNS1_25lookback_scan_determinismE0ELb0ES3_N6thrust23THRUST_200600_302600_NS6detail15normal_iteratorINS9_10device_ptrIiEEEESE_SE_iNS9_10multipliesIiEENS9_8equal_toIiEEiEE10hipError_tPvRmT2_T3_T4_T5_mT6_T7_P12ihipStream_tbENKUlT_T0_E_clISt17integral_constantIbLb0EESY_IbLb1EEEEDaSU_SV_EUlSU_E_NS1_11comp_targetILNS1_3genE8ELNS1_11target_archE1030ELNS1_3gpuE2ELNS1_3repE0EEENS1_30default_config_static_selectorELNS0_4arch9wavefront6targetE0EEEvT1_,comdat
	.protected	_ZN7rocprim17ROCPRIM_400000_NS6detail17trampoline_kernelINS0_14default_configENS1_27scan_by_key_config_selectorIiiEEZZNS1_16scan_by_key_implILNS1_25lookback_scan_determinismE0ELb0ES3_N6thrust23THRUST_200600_302600_NS6detail15normal_iteratorINS9_10device_ptrIiEEEESE_SE_iNS9_10multipliesIiEENS9_8equal_toIiEEiEE10hipError_tPvRmT2_T3_T4_T5_mT6_T7_P12ihipStream_tbENKUlT_T0_E_clISt17integral_constantIbLb0EESY_IbLb1EEEEDaSU_SV_EUlSU_E_NS1_11comp_targetILNS1_3genE8ELNS1_11target_archE1030ELNS1_3gpuE2ELNS1_3repE0EEENS1_30default_config_static_selectorELNS0_4arch9wavefront6targetE0EEEvT1_ ; -- Begin function _ZN7rocprim17ROCPRIM_400000_NS6detail17trampoline_kernelINS0_14default_configENS1_27scan_by_key_config_selectorIiiEEZZNS1_16scan_by_key_implILNS1_25lookback_scan_determinismE0ELb0ES3_N6thrust23THRUST_200600_302600_NS6detail15normal_iteratorINS9_10device_ptrIiEEEESE_SE_iNS9_10multipliesIiEENS9_8equal_toIiEEiEE10hipError_tPvRmT2_T3_T4_T5_mT6_T7_P12ihipStream_tbENKUlT_T0_E_clISt17integral_constantIbLb0EESY_IbLb1EEEEDaSU_SV_EUlSU_E_NS1_11comp_targetILNS1_3genE8ELNS1_11target_archE1030ELNS1_3gpuE2ELNS1_3repE0EEENS1_30default_config_static_selectorELNS0_4arch9wavefront6targetE0EEEvT1_
	.globl	_ZN7rocprim17ROCPRIM_400000_NS6detail17trampoline_kernelINS0_14default_configENS1_27scan_by_key_config_selectorIiiEEZZNS1_16scan_by_key_implILNS1_25lookback_scan_determinismE0ELb0ES3_N6thrust23THRUST_200600_302600_NS6detail15normal_iteratorINS9_10device_ptrIiEEEESE_SE_iNS9_10multipliesIiEENS9_8equal_toIiEEiEE10hipError_tPvRmT2_T3_T4_T5_mT6_T7_P12ihipStream_tbENKUlT_T0_E_clISt17integral_constantIbLb0EESY_IbLb1EEEEDaSU_SV_EUlSU_E_NS1_11comp_targetILNS1_3genE8ELNS1_11target_archE1030ELNS1_3gpuE2ELNS1_3repE0EEENS1_30default_config_static_selectorELNS0_4arch9wavefront6targetE0EEEvT1_
	.p2align	8
	.type	_ZN7rocprim17ROCPRIM_400000_NS6detail17trampoline_kernelINS0_14default_configENS1_27scan_by_key_config_selectorIiiEEZZNS1_16scan_by_key_implILNS1_25lookback_scan_determinismE0ELb0ES3_N6thrust23THRUST_200600_302600_NS6detail15normal_iteratorINS9_10device_ptrIiEEEESE_SE_iNS9_10multipliesIiEENS9_8equal_toIiEEiEE10hipError_tPvRmT2_T3_T4_T5_mT6_T7_P12ihipStream_tbENKUlT_T0_E_clISt17integral_constantIbLb0EESY_IbLb1EEEEDaSU_SV_EUlSU_E_NS1_11comp_targetILNS1_3genE8ELNS1_11target_archE1030ELNS1_3gpuE2ELNS1_3repE0EEENS1_30default_config_static_selectorELNS0_4arch9wavefront6targetE0EEEvT1_,@function
_ZN7rocprim17ROCPRIM_400000_NS6detail17trampoline_kernelINS0_14default_configENS1_27scan_by_key_config_selectorIiiEEZZNS1_16scan_by_key_implILNS1_25lookback_scan_determinismE0ELb0ES3_N6thrust23THRUST_200600_302600_NS6detail15normal_iteratorINS9_10device_ptrIiEEEESE_SE_iNS9_10multipliesIiEENS9_8equal_toIiEEiEE10hipError_tPvRmT2_T3_T4_T5_mT6_T7_P12ihipStream_tbENKUlT_T0_E_clISt17integral_constantIbLb0EESY_IbLb1EEEEDaSU_SV_EUlSU_E_NS1_11comp_targetILNS1_3genE8ELNS1_11target_archE1030ELNS1_3gpuE2ELNS1_3repE0EEENS1_30default_config_static_selectorELNS0_4arch9wavefront6targetE0EEEvT1_: ; @_ZN7rocprim17ROCPRIM_400000_NS6detail17trampoline_kernelINS0_14default_configENS1_27scan_by_key_config_selectorIiiEEZZNS1_16scan_by_key_implILNS1_25lookback_scan_determinismE0ELb0ES3_N6thrust23THRUST_200600_302600_NS6detail15normal_iteratorINS9_10device_ptrIiEEEESE_SE_iNS9_10multipliesIiEENS9_8equal_toIiEEiEE10hipError_tPvRmT2_T3_T4_T5_mT6_T7_P12ihipStream_tbENKUlT_T0_E_clISt17integral_constantIbLb0EESY_IbLb1EEEEDaSU_SV_EUlSU_E_NS1_11comp_targetILNS1_3genE8ELNS1_11target_archE1030ELNS1_3gpuE2ELNS1_3repE0EEENS1_30default_config_static_selectorELNS0_4arch9wavefront6targetE0EEEvT1_
; %bb.0:
	.section	.rodata,"a",@progbits
	.p2align	6, 0x0
	.amdhsa_kernel _ZN7rocprim17ROCPRIM_400000_NS6detail17trampoline_kernelINS0_14default_configENS1_27scan_by_key_config_selectorIiiEEZZNS1_16scan_by_key_implILNS1_25lookback_scan_determinismE0ELb0ES3_N6thrust23THRUST_200600_302600_NS6detail15normal_iteratorINS9_10device_ptrIiEEEESE_SE_iNS9_10multipliesIiEENS9_8equal_toIiEEiEE10hipError_tPvRmT2_T3_T4_T5_mT6_T7_P12ihipStream_tbENKUlT_T0_E_clISt17integral_constantIbLb0EESY_IbLb1EEEEDaSU_SV_EUlSU_E_NS1_11comp_targetILNS1_3genE8ELNS1_11target_archE1030ELNS1_3gpuE2ELNS1_3repE0EEENS1_30default_config_static_selectorELNS0_4arch9wavefront6targetE0EEEvT1_
		.amdhsa_group_segment_fixed_size 0
		.amdhsa_private_segment_fixed_size 0
		.amdhsa_kernarg_size 112
		.amdhsa_user_sgpr_count 2
		.amdhsa_user_sgpr_dispatch_ptr 0
		.amdhsa_user_sgpr_queue_ptr 0
		.amdhsa_user_sgpr_kernarg_segment_ptr 1
		.amdhsa_user_sgpr_dispatch_id 0
		.amdhsa_user_sgpr_kernarg_preload_length 0
		.amdhsa_user_sgpr_kernarg_preload_offset 0
		.amdhsa_user_sgpr_private_segment_size 0
		.amdhsa_wavefront_size32 1
		.amdhsa_uses_dynamic_stack 0
		.amdhsa_enable_private_segment 0
		.amdhsa_system_sgpr_workgroup_id_x 1
		.amdhsa_system_sgpr_workgroup_id_y 0
		.amdhsa_system_sgpr_workgroup_id_z 0
		.amdhsa_system_sgpr_workgroup_info 0
		.amdhsa_system_vgpr_workitem_id 0
		.amdhsa_next_free_vgpr 1
		.amdhsa_next_free_sgpr 1
		.amdhsa_named_barrier_count 0
		.amdhsa_reserve_vcc 0
		.amdhsa_float_round_mode_32 0
		.amdhsa_float_round_mode_16_64 0
		.amdhsa_float_denorm_mode_32 3
		.amdhsa_float_denorm_mode_16_64 3
		.amdhsa_fp16_overflow 0
		.amdhsa_memory_ordered 1
		.amdhsa_forward_progress 1
		.amdhsa_inst_pref_size 0
		.amdhsa_round_robin_scheduling 0
		.amdhsa_exception_fp_ieee_invalid_op 0
		.amdhsa_exception_fp_denorm_src 0
		.amdhsa_exception_fp_ieee_div_zero 0
		.amdhsa_exception_fp_ieee_overflow 0
		.amdhsa_exception_fp_ieee_underflow 0
		.amdhsa_exception_fp_ieee_inexact 0
		.amdhsa_exception_int_div_zero 0
	.end_amdhsa_kernel
	.section	.text._ZN7rocprim17ROCPRIM_400000_NS6detail17trampoline_kernelINS0_14default_configENS1_27scan_by_key_config_selectorIiiEEZZNS1_16scan_by_key_implILNS1_25lookback_scan_determinismE0ELb0ES3_N6thrust23THRUST_200600_302600_NS6detail15normal_iteratorINS9_10device_ptrIiEEEESE_SE_iNS9_10multipliesIiEENS9_8equal_toIiEEiEE10hipError_tPvRmT2_T3_T4_T5_mT6_T7_P12ihipStream_tbENKUlT_T0_E_clISt17integral_constantIbLb0EESY_IbLb1EEEEDaSU_SV_EUlSU_E_NS1_11comp_targetILNS1_3genE8ELNS1_11target_archE1030ELNS1_3gpuE2ELNS1_3repE0EEENS1_30default_config_static_selectorELNS0_4arch9wavefront6targetE0EEEvT1_,"axG",@progbits,_ZN7rocprim17ROCPRIM_400000_NS6detail17trampoline_kernelINS0_14default_configENS1_27scan_by_key_config_selectorIiiEEZZNS1_16scan_by_key_implILNS1_25lookback_scan_determinismE0ELb0ES3_N6thrust23THRUST_200600_302600_NS6detail15normal_iteratorINS9_10device_ptrIiEEEESE_SE_iNS9_10multipliesIiEENS9_8equal_toIiEEiEE10hipError_tPvRmT2_T3_T4_T5_mT6_T7_P12ihipStream_tbENKUlT_T0_E_clISt17integral_constantIbLb0EESY_IbLb1EEEEDaSU_SV_EUlSU_E_NS1_11comp_targetILNS1_3genE8ELNS1_11target_archE1030ELNS1_3gpuE2ELNS1_3repE0EEENS1_30default_config_static_selectorELNS0_4arch9wavefront6targetE0EEEvT1_,comdat
.Lfunc_end199:
	.size	_ZN7rocprim17ROCPRIM_400000_NS6detail17trampoline_kernelINS0_14default_configENS1_27scan_by_key_config_selectorIiiEEZZNS1_16scan_by_key_implILNS1_25lookback_scan_determinismE0ELb0ES3_N6thrust23THRUST_200600_302600_NS6detail15normal_iteratorINS9_10device_ptrIiEEEESE_SE_iNS9_10multipliesIiEENS9_8equal_toIiEEiEE10hipError_tPvRmT2_T3_T4_T5_mT6_T7_P12ihipStream_tbENKUlT_T0_E_clISt17integral_constantIbLb0EESY_IbLb1EEEEDaSU_SV_EUlSU_E_NS1_11comp_targetILNS1_3genE8ELNS1_11target_archE1030ELNS1_3gpuE2ELNS1_3repE0EEENS1_30default_config_static_selectorELNS0_4arch9wavefront6targetE0EEEvT1_, .Lfunc_end199-_ZN7rocprim17ROCPRIM_400000_NS6detail17trampoline_kernelINS0_14default_configENS1_27scan_by_key_config_selectorIiiEEZZNS1_16scan_by_key_implILNS1_25lookback_scan_determinismE0ELb0ES3_N6thrust23THRUST_200600_302600_NS6detail15normal_iteratorINS9_10device_ptrIiEEEESE_SE_iNS9_10multipliesIiEENS9_8equal_toIiEEiEE10hipError_tPvRmT2_T3_T4_T5_mT6_T7_P12ihipStream_tbENKUlT_T0_E_clISt17integral_constantIbLb0EESY_IbLb1EEEEDaSU_SV_EUlSU_E_NS1_11comp_targetILNS1_3genE8ELNS1_11target_archE1030ELNS1_3gpuE2ELNS1_3repE0EEENS1_30default_config_static_selectorELNS0_4arch9wavefront6targetE0EEEvT1_
                                        ; -- End function
	.set _ZN7rocprim17ROCPRIM_400000_NS6detail17trampoline_kernelINS0_14default_configENS1_27scan_by_key_config_selectorIiiEEZZNS1_16scan_by_key_implILNS1_25lookback_scan_determinismE0ELb0ES3_N6thrust23THRUST_200600_302600_NS6detail15normal_iteratorINS9_10device_ptrIiEEEESE_SE_iNS9_10multipliesIiEENS9_8equal_toIiEEiEE10hipError_tPvRmT2_T3_T4_T5_mT6_T7_P12ihipStream_tbENKUlT_T0_E_clISt17integral_constantIbLb0EESY_IbLb1EEEEDaSU_SV_EUlSU_E_NS1_11comp_targetILNS1_3genE8ELNS1_11target_archE1030ELNS1_3gpuE2ELNS1_3repE0EEENS1_30default_config_static_selectorELNS0_4arch9wavefront6targetE0EEEvT1_.num_vgpr, 0
	.set _ZN7rocprim17ROCPRIM_400000_NS6detail17trampoline_kernelINS0_14default_configENS1_27scan_by_key_config_selectorIiiEEZZNS1_16scan_by_key_implILNS1_25lookback_scan_determinismE0ELb0ES3_N6thrust23THRUST_200600_302600_NS6detail15normal_iteratorINS9_10device_ptrIiEEEESE_SE_iNS9_10multipliesIiEENS9_8equal_toIiEEiEE10hipError_tPvRmT2_T3_T4_T5_mT6_T7_P12ihipStream_tbENKUlT_T0_E_clISt17integral_constantIbLb0EESY_IbLb1EEEEDaSU_SV_EUlSU_E_NS1_11comp_targetILNS1_3genE8ELNS1_11target_archE1030ELNS1_3gpuE2ELNS1_3repE0EEENS1_30default_config_static_selectorELNS0_4arch9wavefront6targetE0EEEvT1_.num_agpr, 0
	.set _ZN7rocprim17ROCPRIM_400000_NS6detail17trampoline_kernelINS0_14default_configENS1_27scan_by_key_config_selectorIiiEEZZNS1_16scan_by_key_implILNS1_25lookback_scan_determinismE0ELb0ES3_N6thrust23THRUST_200600_302600_NS6detail15normal_iteratorINS9_10device_ptrIiEEEESE_SE_iNS9_10multipliesIiEENS9_8equal_toIiEEiEE10hipError_tPvRmT2_T3_T4_T5_mT6_T7_P12ihipStream_tbENKUlT_T0_E_clISt17integral_constantIbLb0EESY_IbLb1EEEEDaSU_SV_EUlSU_E_NS1_11comp_targetILNS1_3genE8ELNS1_11target_archE1030ELNS1_3gpuE2ELNS1_3repE0EEENS1_30default_config_static_selectorELNS0_4arch9wavefront6targetE0EEEvT1_.numbered_sgpr, 0
	.set _ZN7rocprim17ROCPRIM_400000_NS6detail17trampoline_kernelINS0_14default_configENS1_27scan_by_key_config_selectorIiiEEZZNS1_16scan_by_key_implILNS1_25lookback_scan_determinismE0ELb0ES3_N6thrust23THRUST_200600_302600_NS6detail15normal_iteratorINS9_10device_ptrIiEEEESE_SE_iNS9_10multipliesIiEENS9_8equal_toIiEEiEE10hipError_tPvRmT2_T3_T4_T5_mT6_T7_P12ihipStream_tbENKUlT_T0_E_clISt17integral_constantIbLb0EESY_IbLb1EEEEDaSU_SV_EUlSU_E_NS1_11comp_targetILNS1_3genE8ELNS1_11target_archE1030ELNS1_3gpuE2ELNS1_3repE0EEENS1_30default_config_static_selectorELNS0_4arch9wavefront6targetE0EEEvT1_.num_named_barrier, 0
	.set _ZN7rocprim17ROCPRIM_400000_NS6detail17trampoline_kernelINS0_14default_configENS1_27scan_by_key_config_selectorIiiEEZZNS1_16scan_by_key_implILNS1_25lookback_scan_determinismE0ELb0ES3_N6thrust23THRUST_200600_302600_NS6detail15normal_iteratorINS9_10device_ptrIiEEEESE_SE_iNS9_10multipliesIiEENS9_8equal_toIiEEiEE10hipError_tPvRmT2_T3_T4_T5_mT6_T7_P12ihipStream_tbENKUlT_T0_E_clISt17integral_constantIbLb0EESY_IbLb1EEEEDaSU_SV_EUlSU_E_NS1_11comp_targetILNS1_3genE8ELNS1_11target_archE1030ELNS1_3gpuE2ELNS1_3repE0EEENS1_30default_config_static_selectorELNS0_4arch9wavefront6targetE0EEEvT1_.private_seg_size, 0
	.set _ZN7rocprim17ROCPRIM_400000_NS6detail17trampoline_kernelINS0_14default_configENS1_27scan_by_key_config_selectorIiiEEZZNS1_16scan_by_key_implILNS1_25lookback_scan_determinismE0ELb0ES3_N6thrust23THRUST_200600_302600_NS6detail15normal_iteratorINS9_10device_ptrIiEEEESE_SE_iNS9_10multipliesIiEENS9_8equal_toIiEEiEE10hipError_tPvRmT2_T3_T4_T5_mT6_T7_P12ihipStream_tbENKUlT_T0_E_clISt17integral_constantIbLb0EESY_IbLb1EEEEDaSU_SV_EUlSU_E_NS1_11comp_targetILNS1_3genE8ELNS1_11target_archE1030ELNS1_3gpuE2ELNS1_3repE0EEENS1_30default_config_static_selectorELNS0_4arch9wavefront6targetE0EEEvT1_.uses_vcc, 0
	.set _ZN7rocprim17ROCPRIM_400000_NS6detail17trampoline_kernelINS0_14default_configENS1_27scan_by_key_config_selectorIiiEEZZNS1_16scan_by_key_implILNS1_25lookback_scan_determinismE0ELb0ES3_N6thrust23THRUST_200600_302600_NS6detail15normal_iteratorINS9_10device_ptrIiEEEESE_SE_iNS9_10multipliesIiEENS9_8equal_toIiEEiEE10hipError_tPvRmT2_T3_T4_T5_mT6_T7_P12ihipStream_tbENKUlT_T0_E_clISt17integral_constantIbLb0EESY_IbLb1EEEEDaSU_SV_EUlSU_E_NS1_11comp_targetILNS1_3genE8ELNS1_11target_archE1030ELNS1_3gpuE2ELNS1_3repE0EEENS1_30default_config_static_selectorELNS0_4arch9wavefront6targetE0EEEvT1_.uses_flat_scratch, 0
	.set _ZN7rocprim17ROCPRIM_400000_NS6detail17trampoline_kernelINS0_14default_configENS1_27scan_by_key_config_selectorIiiEEZZNS1_16scan_by_key_implILNS1_25lookback_scan_determinismE0ELb0ES3_N6thrust23THRUST_200600_302600_NS6detail15normal_iteratorINS9_10device_ptrIiEEEESE_SE_iNS9_10multipliesIiEENS9_8equal_toIiEEiEE10hipError_tPvRmT2_T3_T4_T5_mT6_T7_P12ihipStream_tbENKUlT_T0_E_clISt17integral_constantIbLb0EESY_IbLb1EEEEDaSU_SV_EUlSU_E_NS1_11comp_targetILNS1_3genE8ELNS1_11target_archE1030ELNS1_3gpuE2ELNS1_3repE0EEENS1_30default_config_static_selectorELNS0_4arch9wavefront6targetE0EEEvT1_.has_dyn_sized_stack, 0
	.set _ZN7rocprim17ROCPRIM_400000_NS6detail17trampoline_kernelINS0_14default_configENS1_27scan_by_key_config_selectorIiiEEZZNS1_16scan_by_key_implILNS1_25lookback_scan_determinismE0ELb0ES3_N6thrust23THRUST_200600_302600_NS6detail15normal_iteratorINS9_10device_ptrIiEEEESE_SE_iNS9_10multipliesIiEENS9_8equal_toIiEEiEE10hipError_tPvRmT2_T3_T4_T5_mT6_T7_P12ihipStream_tbENKUlT_T0_E_clISt17integral_constantIbLb0EESY_IbLb1EEEEDaSU_SV_EUlSU_E_NS1_11comp_targetILNS1_3genE8ELNS1_11target_archE1030ELNS1_3gpuE2ELNS1_3repE0EEENS1_30default_config_static_selectorELNS0_4arch9wavefront6targetE0EEEvT1_.has_recursion, 0
	.set _ZN7rocprim17ROCPRIM_400000_NS6detail17trampoline_kernelINS0_14default_configENS1_27scan_by_key_config_selectorIiiEEZZNS1_16scan_by_key_implILNS1_25lookback_scan_determinismE0ELb0ES3_N6thrust23THRUST_200600_302600_NS6detail15normal_iteratorINS9_10device_ptrIiEEEESE_SE_iNS9_10multipliesIiEENS9_8equal_toIiEEiEE10hipError_tPvRmT2_T3_T4_T5_mT6_T7_P12ihipStream_tbENKUlT_T0_E_clISt17integral_constantIbLb0EESY_IbLb1EEEEDaSU_SV_EUlSU_E_NS1_11comp_targetILNS1_3genE8ELNS1_11target_archE1030ELNS1_3gpuE2ELNS1_3repE0EEENS1_30default_config_static_selectorELNS0_4arch9wavefront6targetE0EEEvT1_.has_indirect_call, 0
	.section	.AMDGPU.csdata,"",@progbits
; Kernel info:
; codeLenInByte = 0
; TotalNumSgprs: 0
; NumVgprs: 0
; ScratchSize: 0
; MemoryBound: 0
; FloatMode: 240
; IeeeMode: 1
; LDSByteSize: 0 bytes/workgroup (compile time only)
; SGPRBlocks: 0
; VGPRBlocks: 0
; NumSGPRsForWavesPerEU: 1
; NumVGPRsForWavesPerEU: 1
; NamedBarCnt: 0
; Occupancy: 16
; WaveLimiterHint : 0
; COMPUTE_PGM_RSRC2:SCRATCH_EN: 0
; COMPUTE_PGM_RSRC2:USER_SGPR: 2
; COMPUTE_PGM_RSRC2:TRAP_HANDLER: 0
; COMPUTE_PGM_RSRC2:TGID_X_EN: 1
; COMPUTE_PGM_RSRC2:TGID_Y_EN: 0
; COMPUTE_PGM_RSRC2:TGID_Z_EN: 0
; COMPUTE_PGM_RSRC2:TIDIG_COMP_CNT: 0
	.section	.text._ZN7rocprim17ROCPRIM_400000_NS6detail17trampoline_kernelINS0_14default_configENS1_27scan_by_key_config_selectorIiiEEZZNS1_16scan_by_key_implILNS1_25lookback_scan_determinismE0ELb0ES3_N6thrust23THRUST_200600_302600_NS6detail15normal_iteratorINS9_10device_ptrIiEEEESE_SE_iNS9_4plusIvEENS9_8equal_toIiEEiEE10hipError_tPvRmT2_T3_T4_T5_mT6_T7_P12ihipStream_tbENKUlT_T0_E_clISt17integral_constantIbLb0EESZ_EEDaSU_SV_EUlSU_E_NS1_11comp_targetILNS1_3genE0ELNS1_11target_archE4294967295ELNS1_3gpuE0ELNS1_3repE0EEENS1_30default_config_static_selectorELNS0_4arch9wavefront6targetE0EEEvT1_,"axG",@progbits,_ZN7rocprim17ROCPRIM_400000_NS6detail17trampoline_kernelINS0_14default_configENS1_27scan_by_key_config_selectorIiiEEZZNS1_16scan_by_key_implILNS1_25lookback_scan_determinismE0ELb0ES3_N6thrust23THRUST_200600_302600_NS6detail15normal_iteratorINS9_10device_ptrIiEEEESE_SE_iNS9_4plusIvEENS9_8equal_toIiEEiEE10hipError_tPvRmT2_T3_T4_T5_mT6_T7_P12ihipStream_tbENKUlT_T0_E_clISt17integral_constantIbLb0EESZ_EEDaSU_SV_EUlSU_E_NS1_11comp_targetILNS1_3genE0ELNS1_11target_archE4294967295ELNS1_3gpuE0ELNS1_3repE0EEENS1_30default_config_static_selectorELNS0_4arch9wavefront6targetE0EEEvT1_,comdat
	.protected	_ZN7rocprim17ROCPRIM_400000_NS6detail17trampoline_kernelINS0_14default_configENS1_27scan_by_key_config_selectorIiiEEZZNS1_16scan_by_key_implILNS1_25lookback_scan_determinismE0ELb0ES3_N6thrust23THRUST_200600_302600_NS6detail15normal_iteratorINS9_10device_ptrIiEEEESE_SE_iNS9_4plusIvEENS9_8equal_toIiEEiEE10hipError_tPvRmT2_T3_T4_T5_mT6_T7_P12ihipStream_tbENKUlT_T0_E_clISt17integral_constantIbLb0EESZ_EEDaSU_SV_EUlSU_E_NS1_11comp_targetILNS1_3genE0ELNS1_11target_archE4294967295ELNS1_3gpuE0ELNS1_3repE0EEENS1_30default_config_static_selectorELNS0_4arch9wavefront6targetE0EEEvT1_ ; -- Begin function _ZN7rocprim17ROCPRIM_400000_NS6detail17trampoline_kernelINS0_14default_configENS1_27scan_by_key_config_selectorIiiEEZZNS1_16scan_by_key_implILNS1_25lookback_scan_determinismE0ELb0ES3_N6thrust23THRUST_200600_302600_NS6detail15normal_iteratorINS9_10device_ptrIiEEEESE_SE_iNS9_4plusIvEENS9_8equal_toIiEEiEE10hipError_tPvRmT2_T3_T4_T5_mT6_T7_P12ihipStream_tbENKUlT_T0_E_clISt17integral_constantIbLb0EESZ_EEDaSU_SV_EUlSU_E_NS1_11comp_targetILNS1_3genE0ELNS1_11target_archE4294967295ELNS1_3gpuE0ELNS1_3repE0EEENS1_30default_config_static_selectorELNS0_4arch9wavefront6targetE0EEEvT1_
	.globl	_ZN7rocprim17ROCPRIM_400000_NS6detail17trampoline_kernelINS0_14default_configENS1_27scan_by_key_config_selectorIiiEEZZNS1_16scan_by_key_implILNS1_25lookback_scan_determinismE0ELb0ES3_N6thrust23THRUST_200600_302600_NS6detail15normal_iteratorINS9_10device_ptrIiEEEESE_SE_iNS9_4plusIvEENS9_8equal_toIiEEiEE10hipError_tPvRmT2_T3_T4_T5_mT6_T7_P12ihipStream_tbENKUlT_T0_E_clISt17integral_constantIbLb0EESZ_EEDaSU_SV_EUlSU_E_NS1_11comp_targetILNS1_3genE0ELNS1_11target_archE4294967295ELNS1_3gpuE0ELNS1_3repE0EEENS1_30default_config_static_selectorELNS0_4arch9wavefront6targetE0EEEvT1_
	.p2align	8
	.type	_ZN7rocprim17ROCPRIM_400000_NS6detail17trampoline_kernelINS0_14default_configENS1_27scan_by_key_config_selectorIiiEEZZNS1_16scan_by_key_implILNS1_25lookback_scan_determinismE0ELb0ES3_N6thrust23THRUST_200600_302600_NS6detail15normal_iteratorINS9_10device_ptrIiEEEESE_SE_iNS9_4plusIvEENS9_8equal_toIiEEiEE10hipError_tPvRmT2_T3_T4_T5_mT6_T7_P12ihipStream_tbENKUlT_T0_E_clISt17integral_constantIbLb0EESZ_EEDaSU_SV_EUlSU_E_NS1_11comp_targetILNS1_3genE0ELNS1_11target_archE4294967295ELNS1_3gpuE0ELNS1_3repE0EEENS1_30default_config_static_selectorELNS0_4arch9wavefront6targetE0EEEvT1_,@function
_ZN7rocprim17ROCPRIM_400000_NS6detail17trampoline_kernelINS0_14default_configENS1_27scan_by_key_config_selectorIiiEEZZNS1_16scan_by_key_implILNS1_25lookback_scan_determinismE0ELb0ES3_N6thrust23THRUST_200600_302600_NS6detail15normal_iteratorINS9_10device_ptrIiEEEESE_SE_iNS9_4plusIvEENS9_8equal_toIiEEiEE10hipError_tPvRmT2_T3_T4_T5_mT6_T7_P12ihipStream_tbENKUlT_T0_E_clISt17integral_constantIbLb0EESZ_EEDaSU_SV_EUlSU_E_NS1_11comp_targetILNS1_3genE0ELNS1_11target_archE4294967295ELNS1_3gpuE0ELNS1_3repE0EEENS1_30default_config_static_selectorELNS0_4arch9wavefront6targetE0EEEvT1_: ; @_ZN7rocprim17ROCPRIM_400000_NS6detail17trampoline_kernelINS0_14default_configENS1_27scan_by_key_config_selectorIiiEEZZNS1_16scan_by_key_implILNS1_25lookback_scan_determinismE0ELb0ES3_N6thrust23THRUST_200600_302600_NS6detail15normal_iteratorINS9_10device_ptrIiEEEESE_SE_iNS9_4plusIvEENS9_8equal_toIiEEiEE10hipError_tPvRmT2_T3_T4_T5_mT6_T7_P12ihipStream_tbENKUlT_T0_E_clISt17integral_constantIbLb0EESZ_EEDaSU_SV_EUlSU_E_NS1_11comp_targetILNS1_3genE0ELNS1_11target_archE4294967295ELNS1_3gpuE0ELNS1_3repE0EEENS1_30default_config_static_selectorELNS0_4arch9wavefront6targetE0EEEvT1_
; %bb.0:
	s_clause 0x3
	s_load_b256 s[8:15], s[0:1], 0x0
	s_load_b256 s[16:23], s[0:1], 0x48
	s_load_b96 s[28:30], s[0:1], 0x38
	s_load_b128 s[24:27], s[0:1], 0x28
	s_getreg_b32 s4, hwreg(HW_REG_IB_STS2, 6, 4)
	s_wait_xcnt 0x0
	s_mov_b32 s1, 0
	s_barrier_signal -1
	s_barrier_wait -1
	s_wait_kmcnt 0x0
	s_lshl_b64 s[34:35], s[10:11], 2
	s_cmp_lg_u64 s[20:21], 0
	s_mov_b32 s0, s30
	s_cselect_b32 s33, -1, 0
	s_bfe_u32 s2, ttmp6, 0x4000c
	s_and_b32 s5, ttmp6, 15
	s_add_co_i32 s2, s2, 1
	s_mov_b32 s21, s1
	s_mul_i32 s6, ttmp9, s2
	s_add_nc_u64 s[2:3], s[8:9], s[34:35]
	s_add_co_i32 s6, s5, s6
	s_cmp_eq_u32 s4, 0
	s_mul_u64 s[4:5], s[28:29], s[0:1]
	s_cselect_b32 s20, ttmp9, s6
	s_add_nc_u64 s[6:7], s[12:13], s[34:35]
	s_add_nc_u64 s[36:37], s[4:5], s[20:21]
	s_add_nc_u64 s[4:5], s[16:17], -1
	s_mul_i32 s0, s20, 0xc00
	v_cmp_ge_u64_e64 s21, s[36:37], s[4:5]
	s_lshl_b64 s[16:17], s[0:1], 2
	s_mul_i32 s27, s4, 0xfffff400
	s_add_nc_u64 s[30:31], s[2:3], s[16:17]
	s_add_nc_u64 s[12:13], s[6:7], s[16:17]
	s_and_b32 vcc_lo, exec_lo, s21
	s_cbranch_vccz .LBB200_28
; %bb.1:
	v_mov_b32_e32 v1, 0
	s_add_co_i32 s40, s27, s26
	s_delay_alu instid0(SALU_CYCLE_1)
	v_cmp_gt_u32_e64 s0, s40, v0
	flat_load_b32 v1, v1, s[30:31]
	s_wait_loadcnt_dscnt 0x0
	v_mov_b32_e32 v2, v1
	s_and_saveexec_b32 s1, s0
	s_cbranch_execz .LBB200_3
; %bb.2:
	flat_load_b32 v2, v0, s[30:31] scale_offset
.LBB200_3:
	s_wait_xcnt 0x0
	s_or_b32 exec_lo, exec_lo, s1
	v_or_b32_e32 v3, 0x100, v0
	v_mov_b32_e32 v4, v1
	s_delay_alu instid0(VALU_DEP_2)
	v_cmp_gt_u32_e64 s1, s40, v3
	s_and_saveexec_b32 s2, s1
	s_cbranch_execz .LBB200_5
; %bb.4:
	flat_load_b32 v4, v0, s[30:31] offset:1024 scale_offset
.LBB200_5:
	s_wait_xcnt 0x0
	s_or_b32 exec_lo, exec_lo, s2
	v_or_b32_e32 v3, 0x200, v0
	v_mov_b32_e32 v5, v1
	s_delay_alu instid0(VALU_DEP_2)
	v_cmp_gt_u32_e64 s2, s40, v3
	s_and_saveexec_b32 s3, s2
	s_cbranch_execz .LBB200_7
; %bb.6:
	flat_load_b32 v5, v0, s[30:31] offset:2048 scale_offset
.LBB200_7:
	;; [unrolled: 11-line block ×10, first 2 shown]
	s_wait_xcnt 0x0
	s_or_b32 exec_lo, exec_lo, s11
	v_or_b32_e32 v3, 0xb00, v0
	s_mov_b32 s38, exec_lo
	s_delay_alu instid0(VALU_DEP_1) | instskip(SKIP_2) | instid1(SALU_CYCLE_1)
	v_cmp_gt_u32_e64 s11, s40, v3
	v_cmpx_le_u32_e64 s40, v3
	s_xor_b32 s38, exec_lo, s38
	s_and_not1_saveexec_b32 s38, s38
	s_cbranch_execz .LBB200_25
; %bb.24:
	flat_load_b32 v1, v0, s[30:31] offset:11264 scale_offset
.LBB200_25:
	s_wait_xcnt 0x0
	s_or_b32 exec_lo, exec_lo, s38
	v_lshlrev_b32_e32 v3, 2, v0
	s_cmp_eq_u64 s[36:37], 0
	s_mov_b64 s[38:39], s[30:31]
	s_wait_loadcnt_dscnt 0x0
	ds_store_2addr_stride64_b32 v3, v2, v4 offset1:4
	ds_store_2addr_stride64_b32 v3, v5, v6 offset0:8 offset1:12
	ds_store_2addr_stride64_b32 v3, v7, v8 offset0:16 offset1:20
	;; [unrolled: 1-line block ×5, first 2 shown]
	v_mad_u32_u24 v1, v0, 44, v3
	s_wait_dscnt 0x0
	s_barrier_signal -1
	s_barrier_wait -1
	ds_load_b128 v[14:17], v1
	ds_load_b128 v[10:13], v1 offset:16
	ds_load_b128 v[6:9], v1 offset:32
	s_cbranch_scc1 .LBB200_31
; %bb.26:
	s_and_not1_b32 vcc_lo, exec_lo, s33
	s_cbranch_vccnz .LBB200_29
; %bb.27:
	s_lshl_b64 s[38:39], s[36:37], 2
	s_mov_b32 s41, 0
	s_add_nc_u64 s[38:39], s[22:23], s[38:39]
	s_delay_alu instid0(SALU_CYCLE_1)
	s_add_nc_u64 s[38:39], s[38:39], -4
	s_branch .LBB200_30
.LBB200_28:
                                        ; implicit-def: $sgpr3
                                        ; implicit-def: $vgpr5
                                        ; implicit-def: $vgpr18_vgpr19
                                        ; implicit-def: $vgpr42_vgpr43
                                        ; implicit-def: $vgpr46_vgpr47
                                        ; implicit-def: $vgpr44_vgpr45
                                        ; implicit-def: $vgpr48_vgpr49
                                        ; implicit-def: $vgpr50_vgpr51
                                        ; implicit-def: $vgpr52_vgpr53
                                        ; implicit-def: $vgpr54_vgpr55
                                        ; implicit-def: $vgpr56_vgpr57
                                        ; implicit-def: $vgpr58_vgpr59
                                        ; implicit-def: $vgpr38_vgpr39
                                        ; implicit-def: $vgpr36_vgpr37
                                        ; implicit-def: $vgpr34_vgpr35
                                        ; implicit-def: $vgpr32_vgpr33
                                        ; implicit-def: $vgpr30_vgpr31
                                        ; implicit-def: $vgpr28_vgpr29
                                        ; implicit-def: $vgpr26_vgpr27
                                        ; implicit-def: $vgpr24_vgpr25
                                        ; implicit-def: $vgpr22_vgpr23
                                        ; implicit-def: $vgpr20_vgpr21
	v_lshlrev_b32_e32 v16, 2, v0
	s_cbranch_execnz .LBB200_69
	s_branch .LBB200_88
.LBB200_29:
	s_add_nc_u64 s[38:39], s[30:31], -4
	s_mov_b32 s41, -1
.LBB200_30:
	s_delay_alu instid0(SALU_CYCLE_1)
	s_and_not1_b32 vcc_lo, exec_lo, s41
.LBB200_31:
	v_mov_b32_e32 v2, 0
	v_mad_i32_i24 v4, 0xffffffd4, v0, v1
	flat_load_b32 v2, v2, s[38:39]
	s_wait_xcnt 0x0
	s_mov_b32 s38, exec_lo
	s_wait_dscnt 0x1
	ds_store_b32 v4, v9 offset:12288
	s_wait_loadcnt_dscnt 0x0
	s_barrier_signal -1
	s_barrier_wait -1
	v_cmpx_ne_u32_e32 0, v0
; %bb.32:
	v_mul_i32_i24_e32 v2, 0xffffffd4, v0
	s_delay_alu instid0(VALU_DEP_1)
	v_add_nc_u32_e32 v2, v1, v2
	ds_load_b32 v2, v2 offset:12284
; %bb.33:
	s_or_b32 exec_lo, exec_lo, s38
	s_wait_dscnt 0x0
	s_barrier_signal -1
	s_barrier_wait -1
                                        ; implicit-def: $vgpr5
	s_and_saveexec_b32 s38, s0
	s_cbranch_execnz .LBB200_72
; %bb.34:
	s_or_b32 exec_lo, exec_lo, s38
                                        ; implicit-def: $vgpr18
	s_and_saveexec_b32 s0, s1
	s_cbranch_execnz .LBB200_73
.LBB200_35:
	s_or_b32 exec_lo, exec_lo, s0
                                        ; implicit-def: $vgpr19
	s_and_saveexec_b32 s0, s2
	s_cbranch_execnz .LBB200_74
.LBB200_36:
	s_or_b32 exec_lo, exec_lo, s0
                                        ; implicit-def: $vgpr20
	s_and_saveexec_b32 s0, s3
	s_cbranch_execnz .LBB200_75
.LBB200_37:
	s_or_b32 exec_lo, exec_lo, s0
                                        ; implicit-def: $vgpr21
	s_and_saveexec_b32 s0, s4
	s_cbranch_execnz .LBB200_76
.LBB200_38:
	s_or_b32 exec_lo, exec_lo, s0
                                        ; implicit-def: $vgpr22
	s_and_saveexec_b32 s0, s5
	s_cbranch_execnz .LBB200_77
.LBB200_39:
	s_or_b32 exec_lo, exec_lo, s0
                                        ; implicit-def: $vgpr23
	s_and_saveexec_b32 s0, s6
	s_cbranch_execnz .LBB200_78
.LBB200_40:
	s_or_b32 exec_lo, exec_lo, s0
                                        ; implicit-def: $vgpr24
	s_and_saveexec_b32 s0, s7
	s_cbranch_execnz .LBB200_79
.LBB200_41:
	s_or_b32 exec_lo, exec_lo, s0
                                        ; implicit-def: $vgpr25
	s_and_saveexec_b32 s0, s8
	s_cbranch_execnz .LBB200_80
.LBB200_42:
	s_or_b32 exec_lo, exec_lo, s0
                                        ; implicit-def: $vgpr26
	s_and_saveexec_b32 s0, s9
	s_cbranch_execnz .LBB200_81
.LBB200_43:
	s_or_b32 exec_lo, exec_lo, s0
                                        ; implicit-def: $vgpr27
	s_and_saveexec_b32 s0, s10
	s_cbranch_execnz .LBB200_82
.LBB200_44:
	s_or_b32 exec_lo, exec_lo, s0
                                        ; implicit-def: $vgpr28
	s_and_saveexec_b32 s0, s11
	s_cbranch_execz .LBB200_46
.LBB200_45:
	flat_load_b32 v28, v0, s[12:13] offset:11264 scale_offset
.LBB200_46:
	s_wait_xcnt 0x0
	s_or_b32 exec_lo, exec_lo, s0
	s_wait_loadcnt_dscnt 0x0
	ds_store_2addr_stride64_b32 v3, v5, v18 offset1:4
	ds_store_2addr_stride64_b32 v3, v19, v20 offset0:8 offset1:12
	ds_store_2addr_stride64_b32 v3, v21, v22 offset0:16 offset1:20
	;; [unrolled: 1-line block ×5, first 2 shown]
	v_mov_b64_e32 v[18:19], 0
	v_mov_b64_e32 v[42:43], 0
	;; [unrolled: 1-line block ×20, first 2 shown]
	v_mul_u32_u24_e32 v4, 12, v0
	s_mov_b32 s2, 0
	s_mov_b32 s1, 0
	s_mov_b32 s4, exec_lo
	s_wait_dscnt 0x0
	s_barrier_signal -1
	s_barrier_wait -1
                                        ; implicit-def: $sgpr3
                                        ; implicit-def: $vgpr5
	v_cmpx_gt_u32_e64 s40, v4
	s_cbranch_execz .LBB200_68
; %bb.47:
	ds_load_b32 v18, v1
	v_cmp_ne_u32_e32 vcc_lo, v2, v14
	v_mov_b64_e32 v[42:43], 0
	v_mov_b64_e32 v[46:47], 0
	;; [unrolled: 1-line block ×18, first 2 shown]
	v_or_b32_e32 v3, 1, v4
	v_cndmask_b32_e64 v19, 0, 1, vcc_lo
	s_mov_b32 s0, 0
	s_mov_b32 s1, exec_lo
                                        ; implicit-def: $sgpr3
                                        ; implicit-def: $vgpr5
	s_delay_alu instid0(VALU_DEP_2)
	v_cmpx_gt_u32_e64 s40, v3
	s_cbranch_execz .LBB200_67
; %bb.48:
	ds_load_2addr_b32 v[42:43], v1 offset0:1 offset1:2
	v_cmp_ne_u32_e32 vcc_lo, v14, v15
	v_mov_b64_e32 v[46:47], 0
	v_mov_b64_e32 v[44:45], 0
	;; [unrolled: 1-line block ×16, first 2 shown]
	v_or_b32_e32 v3, 2, v4
	v_cndmask_b32_e64 v2, 0, 1, vcc_lo
	s_mov_b32 s5, exec_lo
                                        ; implicit-def: $sgpr3
                                        ; implicit-def: $vgpr5
	s_delay_alu instid0(VALU_DEP_2)
	v_cmpx_gt_u32_e64 s40, v3
	s_cbranch_execz .LBB200_66
; %bb.49:
	v_cmp_ne_u32_e32 vcc_lo, v15, v16
	v_mov_b64_e32 v[44:45], 0
	v_mov_b64_e32 v[48:49], 0
	v_mov_b64_e32 v[50:51], 0
	v_mov_b64_e32 v[52:53], 0
	v_mov_b64_e32 v[54:55], 0
	v_mov_b64_e32 v[56:57], 0
	v_mov_b64_e32 v[58:59], 0
	v_mov_b64_e32 v[32:33], 0
	v_mov_b64_e32 v[30:31], 0
	v_mov_b64_e32 v[28:29], 0
	v_mov_b64_e32 v[26:27], 0
	v_mov_b64_e32 v[24:25], 0
	v_mov_b64_e32 v[22:23], 0
	v_mov_b64_e32 v[20:21], 0
	v_or_b32_e32 v3, 3, v4
	v_cndmask_b32_e64 v47, 0, 1, vcc_lo
	s_mov_b32 s6, exec_lo
                                        ; implicit-def: $sgpr3
                                        ; implicit-def: $vgpr5
	s_delay_alu instid0(VALU_DEP_2)
	v_cmpx_gt_u32_e64 s40, v3
	s_cbranch_execz .LBB200_65
; %bb.50:
	ds_load_2addr_b32 v[44:45], v1 offset0:3 offset1:4
	v_add_nc_u32_e32 v5, 4, v4
	v_cmp_ne_u32_e32 vcc_lo, v16, v17
	v_mov_b64_e32 v[48:49], 0
	v_mov_b64_e32 v[50:51], 0
	;; [unrolled: 1-line block ×12, first 2 shown]
	v_cndmask_b32_e64 v3, 0, 1, vcc_lo
	v_cmp_gt_u32_e32 vcc_lo, s40, v5
                                        ; implicit-def: $sgpr3
                                        ; implicit-def: $vgpr5
	s_and_saveexec_b32 s7, vcc_lo
	s_cbranch_execz .LBB200_64
; %bb.51:
	v_add_nc_u32_e32 v5, 5, v4
	v_cmp_ne_u32_e32 vcc_lo, v17, v10
	v_mov_b64_e32 v[50:51], 0
	v_mov_b64_e32 v[52:53], 0
	;; [unrolled: 1-line block ×10, first 2 shown]
	v_cndmask_b32_e64 v49, 0, 1, vcc_lo
	v_cmp_gt_u32_e32 vcc_lo, s40, v5
                                        ; implicit-def: $sgpr3
                                        ; implicit-def: $vgpr5
	s_and_saveexec_b32 s8, vcc_lo
	s_cbranch_execz .LBB200_63
; %bb.52:
	ds_load_2addr_b32 v[50:51], v1 offset0:5 offset1:6
	v_add_nc_u32_e32 v5, 6, v4
	v_cmp_ne_u32_e32 vcc_lo, v10, v11
	v_mov_b64_e32 v[52:53], 0
	v_mov_b64_e32 v[54:55], 0
	v_mov_b64_e32 v[56:57], 0
	v_mov_b64_e32 v[58:59], 0
	v_mov_b64_e32 v[26:27], 0
	v_mov_b64_e32 v[24:25], 0
	v_mov_b64_e32 v[22:23], 0
	v_mov_b64_e32 v[20:21], 0
	v_cndmask_b32_e64 v10, 0, 1, vcc_lo
	v_cmp_gt_u32_e32 vcc_lo, s40, v5
                                        ; implicit-def: $sgpr3
                                        ; implicit-def: $vgpr5
	s_and_saveexec_b32 s9, vcc_lo
	s_cbranch_execz .LBB200_62
; %bb.53:
	v_add_nc_u32_e32 v5, 7, v4
	v_cmp_ne_u32_e32 vcc_lo, v11, v12
	v_mov_b64_e32 v[54:55], 0
	v_mov_b64_e32 v[56:57], 0
	v_mov_b64_e32 v[58:59], 0
	v_mov_b64_e32 v[24:25], 0
	v_mov_b64_e32 v[22:23], 0
	v_mov_b64_e32 v[20:21], 0
	v_cndmask_b32_e64 v53, 0, 1, vcc_lo
	v_cmp_gt_u32_e32 vcc_lo, s40, v5
                                        ; implicit-def: $sgpr3
                                        ; implicit-def: $vgpr5
	s_and_saveexec_b32 s10, vcc_lo
	s_cbranch_execz .LBB200_61
; %bb.54:
	ds_load_2addr_b32 v[54:55], v1 offset0:7 offset1:8
	v_add_nc_u32_e32 v5, 8, v4
	v_cmp_ne_u32_e32 vcc_lo, v12, v13
	v_mov_b64_e32 v[56:57], 0
	v_mov_b64_e32 v[58:59], 0
	;; [unrolled: 1-line block ×4, first 2 shown]
	v_cndmask_b32_e64 v11, 0, 1, vcc_lo
	v_cmp_gt_u32_e32 vcc_lo, s40, v5
                                        ; implicit-def: $sgpr3
                                        ; implicit-def: $vgpr5
	s_and_saveexec_b32 s11, vcc_lo
	s_cbranch_execz .LBB200_60
; %bb.55:
	v_add_nc_u32_e32 v5, 9, v4
	v_cmp_ne_u32_e32 vcc_lo, v13, v6
	v_mov_b64_e32 v[58:59], 0
	v_mov_b64_e32 v[20:21], 0
                                        ; implicit-def: $sgpr3
	v_cndmask_b32_e64 v57, 0, 1, vcc_lo
	v_cmp_gt_u32_e32 vcc_lo, s40, v5
                                        ; implicit-def: $vgpr5
	s_and_saveexec_b32 s38, vcc_lo
	s_cbranch_execz .LBB200_59
; %bb.56:
	ds_load_2addr_b32 v[58:59], v1 offset0:9 offset1:10
	v_add_nc_u32_e32 v5, 10, v4
	v_cmp_ne_u32_e32 vcc_lo, v6, v7
	v_mov_b64_e32 v[20:21], 0
                                        ; implicit-def: $sgpr3
	v_cndmask_b32_e64 v6, 0, 1, vcc_lo
	s_delay_alu instid0(VALU_DEP_4) | instskip(SKIP_1) | instid1(SALU_CYCLE_1)
	v_cmp_gt_u32_e32 vcc_lo, s40, v5
                                        ; implicit-def: $vgpr5
	s_and_saveexec_b32 s39, vcc_lo
	s_xor_b32 s39, exec_lo, s39
	s_cbranch_execz .LBB200_58
; %bb.57:
	ds_load_b32 v5, v1 offset:44
	s_wait_dscnt 0x1
	v_dual_mov_b32 v20, v59 :: v_dual_add_nc_u32 v1, 11, v4
	v_cmp_ne_u32_e64 s0, v7, v8
	v_cmp_ne_u32_e64 s3, v8, v9
	s_delay_alu instid0(VALU_DEP_3) | instskip(NEXT) | instid1(VALU_DEP_3)
	v_cmp_gt_u32_e32 vcc_lo, s40, v1
	v_cndmask_b32_e64 v21, 0, 1, s0
	s_and_b32 s0, vcc_lo, exec_lo
.LBB200_58:
	s_or_b32 exec_lo, exec_lo, s39
	s_wait_dscnt 0x0
	v_mov_b32_e32 v59, v6
	s_and_b32 s0, s0, exec_lo
.LBB200_59:
	s_or_b32 exec_lo, exec_lo, s38
	s_delay_alu instid0(VALU_DEP_1)
	v_mov_b64_e32 v[22:23], v[58:59]
	s_wait_dscnt 0x0
	v_mov_b32_e32 v56, v55
	s_and_b32 s0, s0, exec_lo
.LBB200_60:
	s_or_b32 exec_lo, exec_lo, s11
	s_delay_alu instid0(VALU_DEP_1)
	v_mov_b64_e32 v[24:25], v[56:57]
	s_wait_dscnt 0x0
	v_mov_b32_e32 v55, v11
	s_and_b32 s0, s0, exec_lo
.LBB200_61:
	s_or_b32 exec_lo, exec_lo, s10
	s_delay_alu instid0(VALU_DEP_1)
	v_mov_b64_e32 v[26:27], v[54:55]
	s_wait_dscnt 0x0
	v_mov_b32_e32 v52, v51
	s_and_b32 s0, s0, exec_lo
.LBB200_62:
	s_or_b32 exec_lo, exec_lo, s9
	s_delay_alu instid0(VALU_DEP_1)
	v_mov_b64_e32 v[28:29], v[52:53]
	s_wait_dscnt 0x0
	v_mov_b32_e32 v51, v10
	s_and_b32 s0, s0, exec_lo
.LBB200_63:
	s_or_b32 exec_lo, exec_lo, s8
	s_delay_alu instid0(VALU_DEP_1)
	v_mov_b64_e32 v[30:31], v[50:51]
	s_wait_dscnt 0x0
	v_mov_b32_e32 v48, v45
	s_and_b32 s0, s0, exec_lo
.LBB200_64:
	s_or_b32 exec_lo, exec_lo, s7
	s_delay_alu instid0(VALU_DEP_1)
	v_mov_b64_e32 v[32:33], v[48:49]
	s_wait_dscnt 0x0
	v_mov_b32_e32 v45, v3
	s_and_b32 s0, s0, exec_lo
.LBB200_65:
	s_or_b32 exec_lo, exec_lo, s6
	s_delay_alu instid0(VALU_DEP_1)
	v_mov_b64_e32 v[34:35], v[44:45]
	s_wait_dscnt 0x0
	v_mov_b32_e32 v46, v43
	s_and_b32 s0, s0, exec_lo
.LBB200_66:
	s_or_b32 exec_lo, exec_lo, s5
	s_delay_alu instid0(VALU_DEP_1)
	v_mov_b64_e32 v[36:37], v[46:47]
	s_wait_dscnt 0x0
	v_mov_b32_e32 v43, v2
	s_and_b32 s0, s0, exec_lo
.LBB200_67:
	s_or_b32 exec_lo, exec_lo, s1
	s_delay_alu instid0(VALU_DEP_1)
	v_mov_b64_e32 v[38:39], v[42:43]
	s_and_b32 s1, s0, exec_lo
.LBB200_68:
	s_or_b32 exec_lo, exec_lo, s4
	v_lshlrev_b32_e32 v16, 2, v0
	s_and_b32 vcc_lo, exec_lo, s2
	s_cbranch_vccz .LBB200_88
.LBB200_69:
	s_clause 0xb
	flat_load_b32 v2, v0, s[30:31] scale_offset
	flat_load_b32 v3, v0, s[30:31] offset:1024 scale_offset
	flat_load_b32 v4, v0, s[30:31] offset:2048 scale_offset
	;; [unrolled: 1-line block ×11, first 2 shown]
	v_mad_u32_u24 v1, v0, 44, v16
	v_mov_b32_e32 v14, 0
	s_cmp_eq_u64 s[36:37], 0
	s_wait_loadcnt_dscnt 0xa0a
	ds_store_2addr_stride64_b32 v16, v2, v3 offset1:4
	s_wait_loadcnt_dscnt 0x809
	ds_store_2addr_stride64_b32 v16, v4, v5 offset0:8 offset1:12
	s_wait_loadcnt_dscnt 0x608
	ds_store_2addr_stride64_b32 v16, v6, v7 offset0:16 offset1:20
	;; [unrolled: 2-line block ×5, first 2 shown]
	s_wait_dscnt 0x0
	s_barrier_signal -1
	s_barrier_wait -1
	ds_load_b128 v[2:5], v1
	ds_load_b128 v[10:13], v1 offset:16
	ds_load_b128 v[6:9], v1 offset:32
	s_cbranch_scc1 .LBB200_85
; %bb.70:
	s_and_not1_b32 vcc_lo, exec_lo, s33
	s_cbranch_vccnz .LBB200_83
; %bb.71:
	s_lshl_b64 s[0:1], s[36:37], 2
	s_delay_alu instid0(SALU_CYCLE_1) | instskip(NEXT) | instid1(SALU_CYCLE_1)
	s_add_nc_u64 s[0:1], s[22:23], s[0:1]
	s_add_nc_u64 s[30:31], s[0:1], -4
	s_mov_b32 s0, 0
	s_branch .LBB200_84
.LBB200_72:
	flat_load_b32 v5, v0, s[12:13] scale_offset
	s_wait_xcnt 0x0
	s_or_b32 exec_lo, exec_lo, s38
                                        ; implicit-def: $vgpr18
	s_and_saveexec_b32 s0, s1
	s_cbranch_execz .LBB200_35
.LBB200_73:
	flat_load_b32 v18, v0, s[12:13] offset:1024 scale_offset
	s_wait_xcnt 0x0
	s_or_b32 exec_lo, exec_lo, s0
                                        ; implicit-def: $vgpr19
	s_and_saveexec_b32 s0, s2
	s_cbranch_execz .LBB200_36
.LBB200_74:
	flat_load_b32 v19, v0, s[12:13] offset:2048 scale_offset
	s_wait_xcnt 0x0
	s_or_b32 exec_lo, exec_lo, s0
                                        ; implicit-def: $vgpr20
	s_and_saveexec_b32 s0, s3
	s_cbranch_execz .LBB200_37
.LBB200_75:
	flat_load_b32 v20, v0, s[12:13] offset:3072 scale_offset
	s_wait_xcnt 0x0
	s_or_b32 exec_lo, exec_lo, s0
                                        ; implicit-def: $vgpr21
	s_and_saveexec_b32 s0, s4
	s_cbranch_execz .LBB200_38
.LBB200_76:
	flat_load_b32 v21, v0, s[12:13] offset:4096 scale_offset
	s_wait_xcnt 0x0
	s_or_b32 exec_lo, exec_lo, s0
                                        ; implicit-def: $vgpr22
	s_and_saveexec_b32 s0, s5
	s_cbranch_execz .LBB200_39
.LBB200_77:
	flat_load_b32 v22, v0, s[12:13] offset:5120 scale_offset
	s_wait_xcnt 0x0
	s_or_b32 exec_lo, exec_lo, s0
                                        ; implicit-def: $vgpr23
	s_and_saveexec_b32 s0, s6
	s_cbranch_execz .LBB200_40
.LBB200_78:
	flat_load_b32 v23, v0, s[12:13] offset:6144 scale_offset
	s_wait_xcnt 0x0
	s_or_b32 exec_lo, exec_lo, s0
                                        ; implicit-def: $vgpr24
	s_and_saveexec_b32 s0, s7
	s_cbranch_execz .LBB200_41
.LBB200_79:
	flat_load_b32 v24, v0, s[12:13] offset:7168 scale_offset
	s_wait_xcnt 0x0
	s_or_b32 exec_lo, exec_lo, s0
                                        ; implicit-def: $vgpr25
	s_and_saveexec_b32 s0, s8
	s_cbranch_execz .LBB200_42
.LBB200_80:
	flat_load_b32 v25, v0, s[12:13] offset:8192 scale_offset
	s_wait_xcnt 0x0
	s_or_b32 exec_lo, exec_lo, s0
                                        ; implicit-def: $vgpr26
	s_and_saveexec_b32 s0, s9
	s_cbranch_execz .LBB200_43
.LBB200_81:
	flat_load_b32 v26, v0, s[12:13] offset:9216 scale_offset
	s_wait_xcnt 0x0
	s_or_b32 exec_lo, exec_lo, s0
                                        ; implicit-def: $vgpr27
	s_and_saveexec_b32 s0, s10
	s_cbranch_execz .LBB200_44
.LBB200_82:
	flat_load_b32 v27, v0, s[12:13] offset:10240 scale_offset
	s_wait_xcnt 0x0
	s_or_b32 exec_lo, exec_lo, s0
                                        ; implicit-def: $vgpr28
	s_and_saveexec_b32 s0, s11
	s_cbranch_execnz .LBB200_45
	s_branch .LBB200_46
.LBB200_83:
	s_add_nc_u64 s[30:31], s[30:31], -4
	s_mov_b32 s0, -1
.LBB200_84:
	s_delay_alu instid0(SALU_CYCLE_1)
	s_and_not1_b32 vcc_lo, exec_lo, s0
.LBB200_85:
	flat_load_b32 v14, v14, s[30:31]
	v_mad_i32_i24 v15, 0xffffffd4, v0, v1
	s_mov_b32 s0, exec_lo
	s_wait_dscnt 0x1
	ds_store_b32 v15, v9 offset:12288
	s_wait_loadcnt_dscnt 0x0
	s_barrier_signal -1
	s_barrier_wait -1
	v_cmpx_ne_u32_e32 0, v0
; %bb.86:
	v_mul_i32_i24_e32 v14, 0xffffffd4, v0
	s_delay_alu instid0(VALU_DEP_1)
	v_add_nc_u32_e32 v14, v1, v14
	ds_load_b32 v14, v14 offset:12284
; %bb.87:
	s_or_b32 exec_lo, exec_lo, s0
	s_wait_dscnt 0x0
	s_barrier_signal -1
	s_barrier_wait -1
	s_clause 0xb
	flat_load_b32 v15, v0, s[12:13] scale_offset
	flat_load_b32 v17, v0, s[12:13] offset:1024 scale_offset
	flat_load_b32 v18, v0, s[12:13] offset:2048 scale_offset
	;; [unrolled: 1-line block ×11, first 2 shown]
	v_cmp_ne_u32_e32 vcc_lo, v14, v2
	v_cmp_ne_u32_e64 s3, v8, v9
	s_mov_b32 s1, -1
	s_wait_loadcnt_dscnt 0xa0a
	ds_store_2addr_stride64_b32 v16, v15, v17 offset1:4
	s_wait_loadcnt_dscnt 0x809
	ds_store_2addr_stride64_b32 v16, v18, v20 offset0:8 offset1:12
	s_wait_loadcnt_dscnt 0x608
	ds_store_2addr_stride64_b32 v16, v21, v22 offset0:16 offset1:20
	;; [unrolled: 2-line block ×5, first 2 shown]
	v_cndmask_b32_e64 v19, 0, 1, vcc_lo
	v_cmp_ne_u32_e32 vcc_lo, v2, v3
	s_wait_dscnt 0x0
	s_barrier_signal -1
	s_barrier_wait -1
	v_cndmask_b32_e64 v43, 0, 1, vcc_lo
	v_cmp_ne_u32_e32 vcc_lo, v3, v4
	ds_load_b128 v[22:25], v1
	ds_load_b128 v[26:29], v1 offset:16
	v_cndmask_b32_e64 v47, 0, 1, vcc_lo
	v_cmp_ne_u32_e32 vcc_lo, v4, v5
	v_cndmask_b32_e64 v45, 0, 1, vcc_lo
	v_cmp_ne_u32_e32 vcc_lo, v5, v10
	ds_load_b128 v[2:5], v1 offset:32
	v_cndmask_b32_e64 v49, 0, 1, vcc_lo
	v_cmp_ne_u32_e32 vcc_lo, v10, v11
	s_wait_dscnt 0x2
	v_dual_mov_b32 v18, v22 :: v_dual_mov_b32 v42, v23
	v_cndmask_b32_e64 v51, 0, 1, vcc_lo
	v_cmp_ne_u32_e32 vcc_lo, v11, v12
	v_dual_mov_b32 v46, v24 :: v_dual_mov_b32 v44, v25
	s_wait_dscnt 0x1
	v_dual_mov_b32 v48, v26 :: v_dual_mov_b32 v50, v27
	v_cndmask_b32_e64 v53, 0, 1, vcc_lo
	v_cmp_ne_u32_e32 vcc_lo, v12, v13
	v_dual_mov_b32 v52, v28 :: v_dual_mov_b32 v54, v29
	s_wait_dscnt 0x0
	v_dual_mov_b32 v56, v2 :: v_dual_mov_b32 v58, v3
	v_cndmask_b32_e64 v55, 0, 1, vcc_lo
	v_cmp_ne_u32_e32 vcc_lo, v13, v6
	v_mov_b64_e32 v[38:39], v[42:43]
	v_mov_b64_e32 v[36:37], v[46:47]
	;; [unrolled: 1-line block ×4, first 2 shown]
	v_cndmask_b32_e64 v57, 0, 1, vcc_lo
	v_cmp_ne_u32_e32 vcc_lo, v6, v7
	v_mov_b64_e32 v[30:31], v[50:51]
	v_mov_b64_e32 v[28:29], v[52:53]
	v_mov_b64_e32 v[26:27], v[54:55]
	v_mov_b64_e32 v[24:25], v[56:57]
	v_cndmask_b32_e64 v59, 0, 1, vcc_lo
	v_cmp_ne_u32_e32 vcc_lo, v7, v8
	v_mov_b32_e32 v20, v4
	s_delay_alu instid0(VALU_DEP_3)
	v_mov_b64_e32 v[22:23], v[58:59]
	v_cndmask_b32_e64 v21, 0, 1, vcc_lo
.LBB200_88:
	v_mov_b64_e32 v[40:41], 0
	s_and_saveexec_b32 s0, s1
	s_cbranch_execz .LBB200_90
; %bb.89:
	v_mov_b64_e32 v[22:23], v[58:59]
	v_mov_b64_e32 v[24:25], v[56:57]
	;; [unrolled: 1-line block ×9, first 2 shown]
	v_cndmask_b32_e64 v41, 0, 1, s3
	v_mov_b32_e32 v40, v5
.LBB200_90:
	s_or_b32 exec_lo, exec_lo, s0
	v_dual_lshrrev_b32 v1, 2, v0 :: v_dual_bitop2_b32 v42, v27, v25 bitop3:0x54
	v_or_b32_e32 v17, v23, v21
	s_cmp_lg_u32 s20, 0
	s_wait_dscnt 0x0
	v_cmp_gt_u32_e32 vcc_lo, 32, v0
	s_barrier_signal -1
	s_barrier_wait -1
	s_cbranch_scc0 .LBB200_118
; %bb.91:
	s_mov_b64 s[10:11], 0x100000000
	v_or3_b32 v3, v42, v29, v31
	v_cmp_gt_u64_e64 s0, s[10:11], v[38:39]
	v_cmp_gt_u64_e64 s1, s[10:11], v[36:37]
	;; [unrolled: 1-line block ×7, first 2 shown]
	v_dual_cndmask_b32 v2, 0, v18, s0 :: v_dual_bitop2_b32 v5, 56, v1 bitop3:0x40
	v_cmp_gt_u64_e64 s7, s[10:11], v[24:25]
	v_cmp_gt_u64_e64 s8, s[10:11], v[22:23]
	;; [unrolled: 1-line block ×4, first 2 shown]
	v_add_nc_u32_e32 v2, v2, v38
	v_or3_b32 v3, v3, v33, v35
	v_lshl_add_u32 v5, v0, 3, v5
	s_delay_alu instid0(VALU_DEP_3) | instskip(NEXT) | instid1(VALU_DEP_3)
	v_cndmask_b32_e64 v2, 0, v2, s1
	v_or3_b32 v3, v3, v37, v39
	s_delay_alu instid0(VALU_DEP_2) | instskip(NEXT) | instid1(VALU_DEP_2)
	v_add_nc_u32_e32 v2, v2, v36
	v_or3_b32 v3, v41, v17, v3
	s_delay_alu instid0(VALU_DEP_2) | instskip(NEXT) | instid1(VALU_DEP_2)
	v_cndmask_b32_e64 v2, 0, v2, s2
	v_and_b32_e32 v3, 0xff, v3
	s_delay_alu instid0(VALU_DEP_2) | instskip(NEXT) | instid1(VALU_DEP_1)
	v_add_nc_u32_e32 v2, v2, v34
	v_cndmask_b32_e64 v2, 0, v2, s3
	s_delay_alu instid0(VALU_DEP_1) | instskip(NEXT) | instid1(VALU_DEP_1)
	v_add_nc_u32_e32 v2, v2, v32
	v_cndmask_b32_e64 v2, 0, v2, s4
	s_delay_alu instid0(VALU_DEP_1) | instskip(NEXT) | instid1(VALU_DEP_1)
	;; [unrolled: 3-line block ×7, first 2 shown]
	v_dual_add_nc_u32 v4, v2, v20 :: v_dual_mov_b32 v2, 0
	v_cndmask_b32_e64 v4, 0, v4, s10
	s_delay_alu instid0(VALU_DEP_2) | instskip(NEXT) | instid1(VALU_DEP_1)
	v_cmp_eq_u64_e64 s11, 0, v[2:3]
	v_dual_add_nc_u32 v12, v4, v40 :: v_dual_cndmask_b32 v13, 1, v19, s11
	ds_store_b32 v5, v12
	ds_store_b8 v5, v13 offset:4
	s_wait_dscnt 0x0
	s_barrier_signal -1
	s_barrier_wait -1
	s_and_saveexec_b32 s12, vcc_lo
	s_cbranch_execz .LBB200_101
; %bb.92:
	v_dual_lshlrev_b32 v2, 1, v0 :: v_dual_lshlrev_b32 v3, 6, v0
	s_mov_b32 s13, exec_lo
	s_delay_alu instid0(VALU_DEP_1) | instskip(NEXT) | instid1(VALU_DEP_1)
	v_and_b32_e32 v2, 0x1f8, v2
	v_add_nc_u32_e32 v4, v2, v3
	ds_load_u8 v5, v4 offset:12
	ds_load_b64 v[2:3], v4
	ds_load_2addr_b32 v[6:7], v4 offset0:2 offset1:4
	ds_load_u8 v10, v4 offset:20
	ds_load_u8 v11, v4 offset:28
	ds_load_u8 v14, v4 offset:36
	ds_load_u8 v15, v4 offset:44
	ds_load_u8 v43, v4 offset:52
	ds_load_b32 v44, v4 offset:56
	s_wait_dscnt 0x8
	v_cmp_eq_u16_e64 s11, 0, v5
	s_wait_dscnt 0x5
	s_delay_alu instid0(VALU_DEP_1)
	v_dual_cndmask_b32 v45, 0, v2, s11 :: v_dual_bitop2_b32 v5, v10, v5 bitop3:0x54
	ds_load_2addr_b32 v[8:9], v4 offset0:6 offset1:8
	v_cmp_eq_u16_e64 s11, 0, v10
	s_wait_dscnt 0x4
	v_bitop3_b16 v5, v5, v14, v11 bitop3:0xfe
	v_add_nc_u32_e32 v6, v45, v6
	s_delay_alu instid0(VALU_DEP_1) | instskip(SKIP_1) | instid1(VALU_DEP_2)
	v_cndmask_b32_e64 v6, 0, v6, s11
	v_cmp_eq_u16_e64 s11, 0, v11
	v_add_nc_u32_e32 v6, v6, v7
	s_delay_alu instid0(VALU_DEP_1)
	v_cndmask_b32_e64 v45, 0, v6, s11
	ds_load_2addr_b32 v[6:7], v4 offset0:10 offset1:12
	v_cmp_eq_u16_e64 s11, 0, v14
	s_wait_dscnt 0x1
	v_add_nc_u32_e32 v8, v45, v8
	ds_load_u8 v45, v4 offset:60
	v_cndmask_b32_e64 v8, 0, v8, s11
	v_cmp_eq_u16_e64 s11, 0, v15
	s_delay_alu instid0(VALU_DEP_2) | instskip(SKIP_1) | instid1(VALU_DEP_2)
	v_add_nc_u32_e32 v8, v8, v9
	v_bitop3_b16 v9, v5, v43, v15 bitop3:0xfe
	v_dual_cndmask_b32 v8, 0, v8, s11 :: v_dual_bitop2_b32 v5, 1, v3 bitop3:0x40
	s_delay_alu instid0(VALU_DEP_2) | instskip(SKIP_1) | instid1(VALU_DEP_2)
	v_cmp_eq_u16_e64 s11, 0, v9
	s_wait_dscnt 0x0
	v_dual_add_nc_u32 v6, v8, v6 :: v_dual_bitop2_b32 v8, 1, v45 bitop3:0x40
	s_delay_alu instid0(VALU_DEP_2) | instskip(SKIP_1) | instid1(VALU_DEP_1)
	v_cndmask_b32_e64 v9, 1, v5, s11
	v_cmp_eq_u16_e64 s11, 0, v43
	v_cndmask_b32_e64 v6, 0, v6, s11
	s_delay_alu instid0(VALU_DEP_4) | instskip(SKIP_1) | instid1(VALU_DEP_2)
	v_cmp_eq_u32_e64 s11, 1, v8
	v_mbcnt_lo_u32_b32 v8, -1, 0
	v_cndmask_b32_e64 v9, v9, 1, s11
	v_cmp_eq_u16_e64 s11, 0, v45
	s_delay_alu instid0(VALU_DEP_2) | instskip(SKIP_2) | instid1(VALU_DEP_1)
	v_and_b32_e32 v10, 0xffff, v9
	v_add_nc_u32_e32 v7, v6, v7
	v_and_b32_e32 v6, 0xffffff00, v3
	v_dual_cndmask_b32 v7, 0, v7, s11 :: v_dual_bitop2_b32 v11, v6, v10 bitop3:0x54
	v_and_b32_e32 v10, 15, v8
	s_delay_alu instid0(VALU_DEP_2) | instskip(NEXT) | instid1(VALU_DEP_3)
	v_mov_b32_dpp v15, v11 row_shr:1 row_mask:0xf bank_mask:0xf
	v_add_nc_u32_e32 v7, v7, v44
	s_delay_alu instid0(VALU_DEP_1) | instskip(NEXT) | instid1(VALU_DEP_4)
	v_mov_b32_dpp v14, v7 row_shr:1 row_mask:0xf bank_mask:0xf
	v_cmpx_ne_u32_e32 0, v10
	s_cbranch_execz .LBB200_94
; %bb.93:
	v_and_b32_e32 v11, 1, v9
	v_and_b32_e32 v15, 1, v15
	s_delay_alu instid0(VALU_DEP_2) | instskip(NEXT) | instid1(VALU_DEP_1)
	v_cmp_eq_u32_e64 s11, 1, v11
	v_cndmask_b32_e64 v15, v15, 1, s11
	v_cmp_eq_u16_e64 s11, 0, v9
	s_delay_alu instid0(VALU_DEP_2) | instskip(NEXT) | instid1(VALU_DEP_1)
	v_and_b32_e32 v11, 0xffff, v15
	v_dual_cndmask_b32 v9, 0, v14, s11 :: v_dual_bitop2_b32 v11, v6, v11 bitop3:0x54
	s_delay_alu instid0(VALU_DEP_1)
	v_dual_add_nc_u32 v7, v9, v7 :: v_dual_mov_b32 v9, v15
.LBB200_94:
	s_or_b32 exec_lo, exec_lo, s13
	s_delay_alu instid0(VALU_DEP_1) | instskip(NEXT) | instid1(VALU_DEP_3)
	v_mov_b32_dpp v14, v7 row_shr:2 row_mask:0xf bank_mask:0xf
	v_mov_b32_dpp v15, v11 row_shr:2 row_mask:0xf bank_mask:0xf
	s_mov_b32 s13, exec_lo
	v_cmpx_lt_u32_e32 1, v10
	s_cbranch_execz .LBB200_96
; %bb.95:
	v_and_b32_e32 v11, 1, v9
	v_and_b32_e32 v15, 1, v15
	s_delay_alu instid0(VALU_DEP_2) | instskip(NEXT) | instid1(VALU_DEP_1)
	v_cmp_eq_u32_e64 s11, 1, v11
	v_cndmask_b32_e64 v15, v15, 1, s11
	v_cmp_eq_u16_e64 s11, 0, v9
	s_delay_alu instid0(VALU_DEP_2) | instskip(NEXT) | instid1(VALU_DEP_1)
	v_and_b32_e32 v11, 0xffff, v15
	v_dual_cndmask_b32 v9, 0, v14, s11 :: v_dual_bitop2_b32 v11, v6, v11 bitop3:0x54
	s_delay_alu instid0(VALU_DEP_1)
	v_dual_add_nc_u32 v7, v9, v7 :: v_dual_mov_b32 v9, v15
.LBB200_96:
	s_or_b32 exec_lo, exec_lo, s13
	s_delay_alu instid0(VALU_DEP_1) | instskip(NEXT) | instid1(VALU_DEP_3)
	v_mov_b32_dpp v14, v7 row_shr:4 row_mask:0xf bank_mask:0xf
	v_mov_b32_dpp v15, v11 row_shr:4 row_mask:0xf bank_mask:0xf
	s_mov_b32 s13, exec_lo
	v_cmpx_lt_u32_e32 3, v10
	;; [unrolled: 20-line block ×3, first 2 shown]
	s_cbranch_execz .LBB200_100
; %bb.99:
	v_and_b32_e32 v10, 1, v9
	v_and_b32_e32 v11, 1, v15
	s_delay_alu instid0(VALU_DEP_2) | instskip(NEXT) | instid1(VALU_DEP_1)
	v_cmp_eq_u32_e64 s11, 1, v10
	v_cndmask_b32_e64 v10, v11, 1, s11
	v_cmp_eq_u16_e64 s11, 0, v9
	s_delay_alu instid0(VALU_DEP_2) | instskip(NEXT) | instid1(VALU_DEP_1)
	v_and_b32_e32 v11, 0xffff, v10
	v_dual_cndmask_b32 v9, 0, v14, s11 :: v_dual_bitop2_b32 v11, v6, v11 bitop3:0x54
	s_delay_alu instid0(VALU_DEP_1)
	v_dual_add_nc_u32 v7, v9, v7 :: v_dual_mov_b32 v9, v10
.LBB200_100:
	s_or_b32 exec_lo, exec_lo, s13
	ds_swizzle_b32 v10, v11 offset:swizzle(BROADCAST,32,15)
	ds_swizzle_b32 v11, v7 offset:swizzle(BROADCAST,32,15)
	v_and_b32_e32 v14, 1, v9
	v_bfe_i32 v43, v8, 4, 1
	v_and_b32_e32 v3, 0xff, v3
	; wave barrier
	s_delay_alu instid0(VALU_DEP_3) | instskip(SKIP_2) | instid1(VALU_DEP_1)
	v_cmp_eq_u32_e64 s11, 1, v14
	s_wait_dscnt 0x1
	v_dual_add_nc_u32 v14, -1, v8 :: v_dual_bitop2_b32 v10, 1, v10 bitop3:0x40
	v_cndmask_b32_e64 v10, v10, 1, s11
	v_and_b32_e32 v15, 16, v8
	v_cmp_eq_u16_e64 s11, 0, v9
	s_wait_dscnt 0x0
	s_delay_alu instid0(VALU_DEP_1) | instskip(NEXT) | instid1(VALU_DEP_3)
	v_cndmask_b32_e64 v11, 0, v11, s11
	v_cmp_eq_u32_e64 s11, 0, v15
	s_delay_alu instid0(VALU_DEP_1) | instskip(SKIP_1) | instid1(VALU_DEP_4)
	v_cndmask_b32_e64 v9, v10, v9, s11
	v_cmp_gt_i32_e64 s11, 0, v14
	v_and_b32_e32 v10, v43, v11
	s_delay_alu instid0(VALU_DEP_3) | instskip(NEXT) | instid1(VALU_DEP_3)
	v_and_b32_e32 v9, 0xffff, v9
	v_cndmask_b32_e64 v8, v14, v8, s11
	s_delay_alu instid0(VALU_DEP_3) | instskip(SKIP_1) | instid1(VALU_DEP_3)
	v_add_nc_u32_e32 v7, v10, v7
	v_cmp_eq_u16_e64 s11, 0, v3
	v_lshlrev_b32_e32 v8, 2, v8
	ds_bpermute_b32 v7, v8, v7
	s_wait_dscnt 0x0
	v_dual_cndmask_b32 v3, 0, v7, s11 :: v_dual_bitop2_b32 v6, v6, v9 bitop3:0x54
	ds_bpermute_b32 v6, v8, v6
	v_cmp_eq_u32_e64 s11, 1, v5
	v_add_nc_u32_e32 v2, v3, v2
	s_wait_dscnt 0x0
	v_and_b32_e32 v6, 1, v6
	s_delay_alu instid0(VALU_DEP_1) | instskip(SKIP_1) | instid1(VALU_DEP_1)
	v_cndmask_b32_e64 v3, v6, 1, s11
	v_cmp_eq_u32_e64 s11, 0, v0
	v_dual_cndmask_b32 v8, v3, v13, s11 :: v_dual_cndmask_b32 v5, v2, v12, s11
	ds_store_b32 v4, v5
	ds_store_b8 v4, v8 offset:4
	; wave barrier
	ds_load_u8 v9, v4 offset:12
	ds_load_2addr_b32 v[2:3], v4 offset0:2 offset1:4
	ds_load_u8 v10, v4 offset:20
	ds_load_u8 v11, v4 offset:28
	;; [unrolled: 1-line block ×5, first 2 shown]
	ds_load_b32 v44, v4 offset:56
	ds_load_u8 v45, v4 offset:60
	ds_load_2addr_b32 v[6:7], v4 offset0:6 offset1:8
	s_wait_dscnt 0x9
	v_cmp_eq_u16_e64 s11, 0, v9
	v_and_b32_e32 v9, 1, v9
	s_delay_alu instid0(VALU_DEP_2) | instskip(SKIP_2) | instid1(VALU_DEP_2)
	v_cndmask_b32_e64 v5, 0, v5, s11
	s_wait_dscnt 0x7
	v_cmp_eq_u16_e64 s11, 0, v10
	v_add_nc_u32_e32 v5, v5, v2
	s_delay_alu instid0(VALU_DEP_1) | instskip(SKIP_2) | instid1(VALU_DEP_2)
	v_cndmask_b32_e64 v2, 0, v5, s11
	s_wait_dscnt 0x6
	v_cmp_eq_u16_e64 s11, 0, v11
	v_add_nc_u32_e32 v46, v2, v3
	ds_load_2addr_b32 v[2:3], v4 offset0:10 offset1:12
	v_cndmask_b32_e64 v47, 0, v46, s11
	s_wait_dscnt 0x6
	v_cmp_eq_u16_e64 s11, 0, v14
	ds_store_2addr_b32 v4, v5, v46 offset0:2 offset1:4
	s_wait_dscnt 0x2
	v_add_nc_u32_e32 v6, v47, v6
	s_delay_alu instid0(VALU_DEP_1) | instskip(SKIP_3) | instid1(VALU_DEP_4)
	v_cndmask_b32_e64 v47, 0, v6, s11
	v_and_b32_e32 v10, 1, v10
	v_cmp_eq_u32_e64 s11, 1, v9
	v_and_b32_e32 v9, 1, v11
	v_dual_add_nc_u32 v7, v47, v7 :: v_dual_bitop2_b32 v11, 1, v14 bitop3:0x40
	s_delay_alu instid0(VALU_DEP_3) | instskip(SKIP_1) | instid1(VALU_DEP_1)
	v_cndmask_b32_e64 v8, v8, 1, s11
	v_cmp_eq_u32_e64 s11, 1, v10
	v_cndmask_b32_e64 v10, v8, 1, s11
	v_cmp_eq_u16_e64 s11, 0, v15
	s_delay_alu instid0(VALU_DEP_1) | instskip(SKIP_2) | instid1(VALU_DEP_2)
	v_cndmask_b32_e64 v14, 0, v7, s11
	v_cmp_eq_u32_e64 s11, 1, v9
	s_wait_dscnt 0x1
	v_dual_add_nc_u32 v2, v14, v2 :: v_dual_bitop2_b32 v15, 1, v15 bitop3:0x40
	s_delay_alu instid0(VALU_DEP_2) | instskip(SKIP_1) | instid1(VALU_DEP_1)
	v_cndmask_b32_e64 v9, v10, 1, s11
	v_cmp_eq_u32_e64 s11, 1, v11
	v_cndmask_b32_e64 v11, v9, 1, s11
	v_cmp_eq_u16_e64 s11, 0, v43
	s_delay_alu instid0(VALU_DEP_1) | instskip(SKIP_1) | instid1(VALU_DEP_2)
	v_dual_cndmask_b32 v43, 0, v2, s11 :: v_dual_bitop2_b32 v14, 1, v43 bitop3:0x40
	v_cmp_eq_u32_e64 s11, 1, v15
	v_add_nc_u32_e32 v3, v43, v3
	s_delay_alu instid0(VALU_DEP_2) | instskip(NEXT) | instid1(VALU_DEP_4)
	v_cndmask_b32_e64 v15, v11, 1, s11
	v_cmp_eq_u32_e64 s11, 1, v14
	ds_store_2addr_b32 v4, v6, v7 offset0:6 offset1:8
	ds_store_2addr_b32 v4, v2, v3 offset0:10 offset1:12
	v_cndmask_b32_e64 v14, v15, 1, s11
	v_cmp_eq_u16_e64 s11, 0, v45
	s_delay_alu instid0(VALU_DEP_1) | instskip(NEXT) | instid1(VALU_DEP_1)
	v_dual_cndmask_b32 v5, 0, v3, s11 :: v_dual_bitop2_b32 v47, 1, v45 bitop3:0x40
	v_cmp_eq_u32_e64 s11, 1, v47
	s_delay_alu instid0(VALU_DEP_2) | instskip(NEXT) | instid1(VALU_DEP_2)
	v_add_nc_u32_e32 v2, v5, v44
	v_cndmask_b32_e64 v43, v14, 1, s11
	ds_store_b8 v4, v8 offset:12
	ds_store_b8 v4, v10 offset:20
	;; [unrolled: 1-line block ×6, first 2 shown]
	ds_store_b32 v4, v2 offset:56
	ds_store_b8 v4, v43 offset:60
.LBB200_101:
	s_or_b32 exec_lo, exec_lo, s12
	v_cmp_eq_u32_e64 s11, 0, v0
	s_mov_b32 s13, exec_lo
	s_wait_dscnt 0x0
	s_barrier_signal -1
	s_barrier_wait -1
	v_cmpx_ne_u32_e32 0, v0
	s_cbranch_execz .LBB200_103
; %bb.102:
	v_add_nc_u32_e32 v2, -1, v0
	s_delay_alu instid0(VALU_DEP_1) | instskip(NEXT) | instid1(VALU_DEP_1)
	v_lshrrev_b32_e32 v3, 2, v2
	v_and_b32_e32 v3, 0x3ffffff8, v3
	s_delay_alu instid0(VALU_DEP_1)
	v_lshl_add_u32 v2, v2, 3, v3
	ds_load_b32 v12, v2
	ds_load_u8 v13, v2 offset:4
.LBB200_103:
	s_or_b32 exec_lo, exec_lo, s13
	s_and_saveexec_b32 s30, vcc_lo
	s_cbranch_execz .LBB200_163
; %bb.104:
	v_mov_b32_e32 v5, 0
	v_mbcnt_lo_u32_b32 v14, -1, 0
	s_mov_b32 s23, 0
	ds_load_b64 v[2:3], v5 offset:2096
	v_cmp_eq_u32_e64 s12, 0, v14
	s_and_saveexec_b32 s13, s12
	s_cbranch_execz .LBB200_106
; %bb.105:
	s_add_co_i32 s22, s20, 32
	v_mov_b32_e32 v4, 1
	s_lshl_b64 s[22:23], s[22:23], 4
	s_delay_alu instid0(SALU_CYCLE_1) | instskip(NEXT) | instid1(SALU_CYCLE_1)
	s_add_nc_u64 s[22:23], s[24:25], s[22:23]
	v_mov_b64_e32 v[6:7], s[22:23]
	s_wait_dscnt 0x0
	;;#ASMSTART
	global_store_b128 v[6:7], v[2:5] off scope:SCOPE_DEV	
s_wait_storecnt 0x0
	;;#ASMEND
.LBB200_106:
	s_or_b32 exec_lo, exec_lo, s13
	v_xad_u32 v8, v14, -1, s20
	s_mov_b32 s13, exec_lo
	s_delay_alu instid0(VALU_DEP_1) | instskip(NEXT) | instid1(VALU_DEP_1)
	v_add_nc_u32_e32 v4, 32, v8
	v_lshl_add_u64 v[10:11], v[4:5], 4, s[24:25]
	;;#ASMSTART
	global_load_b128 v[4:7], v[10:11] off scope:SCOPE_DEV	
s_wait_loadcnt 0x0
	;;#ASMEND
	v_and_b32_e32 v7, 0xff, v6
	v_and_b32_e32 v5, 0xff, v5
	s_delay_alu instid0(VALU_DEP_2)
	v_cmpx_eq_u16_e32 0, v7
	s_cbranch_execz .LBB200_110
; %bb.107:
	s_mov_b32 s22, 0
.LBB200_108:                            ; =>This Inner Loop Header: Depth=1
	;;#ASMSTART
	global_load_b128 v[4:7], v[10:11] off scope:SCOPE_DEV	
s_wait_loadcnt 0x0
	;;#ASMEND
	v_and_b32_e32 v7, 0xff, v6
	s_delay_alu instid0(VALU_DEP_1) | instskip(SKIP_1) | instid1(SALU_CYCLE_1)
	v_cmp_ne_u16_e32 vcc_lo, 0, v7
	s_or_b32 s22, vcc_lo, s22
	s_and_not1_b32 exec_lo, exec_lo, s22
	s_cbranch_execnz .LBB200_108
; %bb.109:
	s_or_b32 exec_lo, exec_lo, s22
	v_and_b32_e32 v5, 0xff, v5
.LBB200_110:
	s_or_b32 exec_lo, exec_lo, s13
	v_cmp_ne_u32_e32 vcc_lo, 31, v14
	v_and_b32_e32 v9, 0xff, v6
	v_lshlrev_b32_e64 v43, v14, -1
	s_mov_b64 s[22:23], 0x100000000
	v_lshl_or_b32 v52, v14, 2, 64
	v_add_co_ci_u32_e64 v7, null, 0, v14, vcc_lo
	v_cmp_eq_u16_e32 vcc_lo, 2, v9
	v_cmp_gt_u64_e64 s13, s[22:23], v[4:5]
	s_delay_alu instid0(VALU_DEP_3) | instskip(SKIP_1) | instid1(VALU_DEP_2)
	v_dual_lshlrev_b32 v15, 2, v7 :: v_dual_bitop2_b32 v10, 1, v5 bitop3:0x40
	v_and_or_b32 v9, vcc_lo, v43, 0x80000000
	v_cmp_eq_u32_e32 vcc_lo, 1, v10
	ds_bpermute_b32 v7, v15, v5
	ds_bpermute_b32 v10, v15, v4
	v_ctz_i32_b32_e32 v9, v9
	s_wait_dscnt 0x1
	v_and_b32_e32 v7, 1, v7
	s_delay_alu instid0(VALU_DEP_1) | instskip(SKIP_1) | instid1(VALU_DEP_2)
	v_cndmask_b32_e64 v7, v7, 1, vcc_lo
	v_cmp_gt_u32_e32 vcc_lo, 30, v14
	v_and_b32_e32 v45, 0xffff, v7
	v_cndmask_b32_e64 v11, 0, 2, vcc_lo
	v_cmp_lt_u32_e32 vcc_lo, v14, v9
	s_delay_alu instid0(VALU_DEP_2) | instskip(NEXT) | instid1(VALU_DEP_4)
	v_add_lshl_u32 v44, v11, v14, 2
	v_dual_cndmask_b32 v11, v5, v45, vcc_lo :: v_dual_cndmask_b32 v7, v5, v7, vcc_lo
	s_and_b32 vcc_lo, vcc_lo, s13
	v_add_nc_u32_e32 v45, 2, v14
	s_wait_dscnt 0x0
	v_cndmask_b32_e32 v10, 0, v10, vcc_lo
	ds_bpermute_b32 v5, v44, v11
	v_and_b32_e32 v46, 1, v7
	v_and_b32_e32 v48, 0xff, v7
	v_add_nc_u32_e32 v4, v10, v4
	s_delay_alu instid0(VALU_DEP_3) | instskip(NEXT) | instid1(VALU_DEP_3)
	v_cmp_eq_u32_e32 vcc_lo, 1, v46
	v_cmp_eq_u16_e64 s13, 0, v48
	ds_bpermute_b32 v10, v44, v4
	s_wait_dscnt 0x1
	v_and_b32_e32 v5, 1, v5
	s_delay_alu instid0(VALU_DEP_1) | instskip(SKIP_3) | instid1(VALU_DEP_3)
	v_cndmask_b32_e64 v5, v5, 1, vcc_lo
	v_cmp_gt_u32_e32 vcc_lo, 28, v14
	s_wait_dscnt 0x0
	v_cndmask_b32_e64 v10, 0, v10, s13
	v_and_b32_e32 v47, 0xffff, v5
	v_cndmask_b32_e64 v46, 0, 4, vcc_lo
	v_cmp_gt_u32_e32 vcc_lo, v45, v9
	s_delay_alu instid0(VALU_DEP_2) | instskip(SKIP_3) | instid1(VALU_DEP_2)
	v_add_lshl_u32 v46, v46, v14, 2
	v_cndmask_b32_e32 v5, v5, v7, vcc_lo
	v_cndmask_b32_e64 v10, v10, 0, vcc_lo
	v_dual_cndmask_b32 v7, v47, v11, vcc_lo :: v_dual_add_nc_u32 v47, 4, v14
	v_dual_add_nc_u32 v4, v10, v4 :: v_dual_bitop2_b32 v48, 1, v5 bitop3:0x40
	ds_bpermute_b32 v11, v46, v7
	v_cmp_eq_u32_e32 vcc_lo, 1, v48
	ds_bpermute_b32 v10, v46, v4
	v_and_b32_e32 v48, 0xff, v5
	s_delay_alu instid0(VALU_DEP_1) | instskip(SKIP_1) | instid1(VALU_DEP_1)
	v_cmp_eq_u16_e64 s13, 0, v48
	s_wait_dscnt 0x0
	v_dual_cndmask_b32 v10, 0, v10, s13 :: v_dual_bitop2_b32 v11, 1, v11 bitop3:0x40
	s_delay_alu instid0(VALU_DEP_1) | instskip(SKIP_1) | instid1(VALU_DEP_2)
	v_cndmask_b32_e64 v11, v11, 1, vcc_lo
	v_cmp_gt_u32_e32 vcc_lo, 24, v14
	v_and_b32_e32 v50, 0xffff, v11
	v_cndmask_b32_e64 v49, 0, 8, vcc_lo
	v_cmp_gt_u32_e32 vcc_lo, v47, v9
	s_delay_alu instid0(VALU_DEP_2) | instskip(NEXT) | instid1(VALU_DEP_4)
	v_add_lshl_u32 v48, v49, v14, 2
	v_dual_cndmask_b32 v5, v11, v5, vcc_lo :: v_dual_cndmask_b32 v7, v50, v7, vcc_lo
	v_cndmask_b32_e64 v10, v10, 0, vcc_lo
	s_delay_alu instid0(VALU_DEP_2)
	v_dual_add_nc_u32 v49, 8, v14 :: v_dual_bitop2_b32 v50, 1, v5 bitop3:0x40
	ds_bpermute_b32 v11, v48, v7
	v_add_nc_u32_e32 v4, v10, v4
	v_and_b32_e32 v51, 0xff, v5
	v_cmp_eq_u32_e32 vcc_lo, 1, v50
	ds_bpermute_b32 v10, v48, v4
	s_wait_dscnt 0x1
	v_and_b32_e32 v11, 1, v11
	s_delay_alu instid0(VALU_DEP_1) | instskip(SKIP_1) | instid1(VALU_DEP_2)
	v_cndmask_b32_e64 v11, v11, 1, vcc_lo
	v_cmp_eq_u16_e32 vcc_lo, 0, v51
	v_and_b32_e32 v50, 0xffff, v11
	s_wait_dscnt 0x0
	v_cndmask_b32_e32 v10, 0, v10, vcc_lo
	v_cmp_gt_u32_e32 vcc_lo, v49, v9
	s_delay_alu instid0(VALU_DEP_3) | instskip(NEXT) | instid1(VALU_DEP_3)
	v_dual_cndmask_b32 v5, v11, v5, vcc_lo :: v_dual_cndmask_b32 v7, v50, v7, vcc_lo
	v_cndmask_b32_e64 v10, v10, 0, vcc_lo
	s_delay_alu instid0(VALU_DEP_2) | instskip(SKIP_3) | instid1(VALU_DEP_1)
	v_and_b32_e32 v50, 1, v5
	ds_bpermute_b32 v7, v52, v7
	v_add_nc_u32_e32 v4, v10, v4
	v_and_b32_e32 v11, 0xff, v5
	v_cmp_eq_u16_e32 vcc_lo, 0, v11
	s_wait_dscnt 0x0
	v_and_b32_e32 v7, 1, v7
	ds_bpermute_b32 v10, v52, v4
	s_wait_dscnt 0x0
	v_cndmask_b32_e32 v10, 0, v10, vcc_lo
	v_cmp_eq_u32_e32 vcc_lo, 1, v50
	v_cndmask_b32_e64 v7, v7, 1, vcc_lo
	v_add_nc_u32_e32 v53, 16, v14
	s_delay_alu instid0(VALU_DEP_1) | instskip(NEXT) | instid1(VALU_DEP_3)
	v_cmp_gt_u32_e32 vcc_lo, v53, v9
	v_dual_mov_b32 v9, 0 :: v_dual_cndmask_b32 v5, v7, v5, vcc_lo
	v_cndmask_b32_e64 v7, v10, 0, vcc_lo
	s_delay_alu instid0(VALU_DEP_1)
	v_add_nc_u32_e32 v4, v7, v4
	s_branch .LBB200_114
.LBB200_111:                            ;   in Loop: Header=BB200_114 Depth=1
	s_or_b32 exec_lo, exec_lo, s31
	v_and_b32_e32 v5, 0xff, v5
.LBB200_112:                            ;   in Loop: Header=BB200_114 Depth=1
	s_or_b32 exec_lo, exec_lo, s13
	ds_bpermute_b32 v7, v15, v5
	v_and_b32_e32 v10, 0xff, v6
	v_cmp_gt_u64_e64 s13, s[22:23], v[4:5]
	v_subrev_nc_u32_e32 v8, 32, v8
	s_delay_alu instid0(VALU_DEP_3) | instskip(SKIP_2) | instid1(VALU_DEP_2)
	v_cmp_eq_u16_e32 vcc_lo, 2, v10
	v_and_b32_e32 v10, 1, v5
	v_and_or_b32 v11, vcc_lo, v43, 0x80000000
	v_cmp_eq_u32_e32 vcc_lo, 1, v10
	s_delay_alu instid0(VALU_DEP_2) | instskip(SKIP_3) | instid1(VALU_DEP_1)
	v_ctz_i32_b32_e32 v10, v11
	ds_bpermute_b32 v11, v15, v4
	s_wait_dscnt 0x1
	v_and_b32_e32 v7, 1, v7
	v_cndmask_b32_e64 v7, v7, 1, vcc_lo
	v_cmp_lt_u32_e32 vcc_lo, v14, v10
	s_delay_alu instid0(VALU_DEP_2) | instskip(NEXT) | instid1(VALU_DEP_1)
	v_and_b32_e32 v54, 0xffff, v7
	v_dual_cndmask_b32 v7, v5, v7 :: v_dual_cndmask_b32 v54, v5, v54
	s_and_b32 vcc_lo, vcc_lo, s13
	s_delay_alu instid0(VALU_DEP_1)
	v_and_b32_e32 v56, 0xff, v7
	v_and_b32_e32 v55, 1, v7
	ds_bpermute_b32 v5, v44, v54
	s_wait_dscnt 0x1
	v_cndmask_b32_e32 v11, 0, v11, vcc_lo
	v_cmp_eq_u16_e64 s13, 0, v56
	v_cmp_eq_u32_e32 vcc_lo, 1, v55
	s_wait_dscnt 0x0
	s_delay_alu instid0(VALU_DEP_3) | instskip(NEXT) | instid1(VALU_DEP_1)
	v_dual_add_nc_u32 v4, v11, v4 :: v_dual_bitop2_b32 v5, 1, v5 bitop3:0x40
	v_cndmask_b32_e64 v5, v5, 1, vcc_lo
	ds_bpermute_b32 v11, v44, v4
	v_cmp_gt_u32_e32 vcc_lo, v45, v10
	v_and_b32_e32 v55, 0xffff, v5
	s_delay_alu instid0(VALU_DEP_1) | instskip(NEXT) | instid1(VALU_DEP_1)
	v_dual_cndmask_b32 v5, v5, v7, vcc_lo :: v_dual_cndmask_b32 v7, v55, v54, vcc_lo
	v_and_b32_e32 v55, 1, v5
	ds_bpermute_b32 v54, v46, v7
	s_wait_dscnt 0x1
	v_cndmask_b32_e64 v11, 0, v11, s13
	s_delay_alu instid0(VALU_DEP_1) | instskip(SKIP_2) | instid1(VALU_DEP_3)
	v_cndmask_b32_e64 v11, v11, 0, vcc_lo
	v_cmp_eq_u32_e32 vcc_lo, 1, v55
	v_and_b32_e32 v55, 0xff, v5
	v_add_nc_u32_e32 v4, v11, v4
	s_delay_alu instid0(VALU_DEP_2)
	v_cmp_eq_u16_e64 s13, 0, v55
	s_wait_dscnt 0x0
	v_and_b32_e32 v54, 1, v54
	ds_bpermute_b32 v11, v46, v4
	v_cndmask_b32_e64 v54, v54, 1, vcc_lo
	v_cmp_gt_u32_e32 vcc_lo, v47, v10
	s_delay_alu instid0(VALU_DEP_2) | instskip(SKIP_3) | instid1(VALU_DEP_1)
	v_and_b32_e32 v56, 0xffff, v54
	s_wait_dscnt 0x0
	v_dual_cndmask_b32 v5, v54, v5, vcc_lo :: v_dual_cndmask_b32 v11, 0, v11, s13
	s_mov_b32 s13, 0
	v_cndmask_b32_e64 v11, v11, 0, vcc_lo
	v_cndmask_b32_e32 v7, v56, v7, vcc_lo
	s_delay_alu instid0(VALU_DEP_3) | instskip(NEXT) | instid1(VALU_DEP_3)
	v_and_b32_e32 v56, 0xff, v5
	v_add_nc_u32_e32 v4, v11, v4
	ds_bpermute_b32 v54, v48, v7
	ds_bpermute_b32 v11, v48, v4
	v_and_b32_e32 v55, 1, v5
	s_delay_alu instid0(VALU_DEP_1) | instskip(SKIP_2) | instid1(VALU_DEP_1)
	v_cmp_eq_u32_e32 vcc_lo, 1, v55
	s_wait_dscnt 0x1
	v_and_b32_e32 v54, 1, v54
	v_cndmask_b32_e64 v54, v54, 1, vcc_lo
	v_cmp_eq_u16_e32 vcc_lo, 0, v56
	s_delay_alu instid0(VALU_DEP_2) | instskip(SKIP_3) | instid1(VALU_DEP_2)
	v_and_b32_e32 v55, 0xffff, v54
	s_wait_dscnt 0x0
	v_cndmask_b32_e32 v11, 0, v11, vcc_lo
	v_cmp_gt_u32_e32 vcc_lo, v49, v10
	v_cndmask_b32_e64 v11, v11, 0, vcc_lo
	v_dual_cndmask_b32 v7, v55, v7, vcc_lo :: v_dual_cndmask_b32 v5, v54, v5, vcc_lo
	s_delay_alu instid0(VALU_DEP_2) | instskip(SKIP_4) | instid1(VALU_DEP_1)
	v_add_nc_u32_e32 v4, v11, v4
	ds_bpermute_b32 v7, v52, v7
	v_and_b32_e32 v55, 0xff, v5
	ds_bpermute_b32 v11, v52, v4
	v_and_b32_e32 v54, 1, v5
	v_cmp_eq_u32_e32 vcc_lo, 1, v54
	s_wait_dscnt 0x1
	v_cndmask_b32_e64 v7, v7, 1, vcc_lo
	v_cmp_eq_u16_e32 vcc_lo, 0, v55
	s_wait_dscnt 0x0
	v_cndmask_b32_e32 v11, 0, v11, vcc_lo
	v_cmp_gt_u32_e32 vcc_lo, v53, v10
	v_and_b32_e32 v10, 0xff, v50
	v_cndmask_b32_e32 v5, v7, v5, vcc_lo
	s_delay_alu instid0(VALU_DEP_4) | instskip(NEXT) | instid1(VALU_DEP_3)
	v_cndmask_b32_e64 v7, v11, 0, vcc_lo
	v_cmp_eq_u16_e32 vcc_lo, 0, v10
	s_delay_alu instid0(VALU_DEP_2) | instskip(NEXT) | instid1(VALU_DEP_1)
	v_dual_add_nc_u32 v4, v7, v4 :: v_dual_bitop2_b32 v7, 1, v50 bitop3:0x40
	v_dual_cndmask_b32 v4, 0, v4, vcc_lo :: v_dual_bitop2_b32 v5, 1, v5 bitop3:0x40
	s_delay_alu instid0(VALU_DEP_2) | instskip(NEXT) | instid1(VALU_DEP_2)
	v_cmp_eq_u32_e32 vcc_lo, 1, v7
	v_add_nc_u32_e32 v4, v4, v51
	s_delay_alu instid0(VALU_DEP_3)
	v_cndmask_b32_e64 v5, v5, 1, vcc_lo
.LBB200_113:                            ;   in Loop: Header=BB200_114 Depth=1
	s_and_b32 vcc_lo, exec_lo, s13
	s_cbranch_vccnz .LBB200_159
.LBB200_114:                            ; =>This Loop Header: Depth=1
                                        ;     Child Loop BB200_117 Depth 2
	v_and_b32_e32 v6, 0xff, v6
	s_delay_alu instid0(VALU_DEP_2) | instskip(SKIP_1) | instid1(VALU_DEP_2)
	v_dual_mov_b32 v50, v5 :: v_dual_mov_b32 v51, v4
	s_mov_b32 s13, -1
                                        ; implicit-def: $vgpr5
                                        ; implicit-def: $vgpr4
	v_cmp_ne_u16_e32 vcc_lo, 2, v6
                                        ; implicit-def: $vgpr6
	s_cmp_lg_u32 vcc_lo, exec_lo
	s_cbranch_scc1 .LBB200_113
; %bb.115:                              ;   in Loop: Header=BB200_114 Depth=1
	v_lshl_add_u64 v[10:11], v[8:9], 4, s[24:25]
	;;#ASMSTART
	global_load_b128 v[4:7], v[10:11] off scope:SCOPE_DEV	
s_wait_loadcnt 0x0
	;;#ASMEND
	v_and_b32_e32 v7, 0xff, v6
	v_and_b32_e32 v5, 0xff, v5
	s_mov_b32 s13, exec_lo
	s_delay_alu instid0(VALU_DEP_2)
	v_cmpx_eq_u16_e32 0, v7
	s_cbranch_execz .LBB200_112
; %bb.116:                              ;   in Loop: Header=BB200_114 Depth=1
	s_mov_b32 s31, 0
.LBB200_117:                            ;   Parent Loop BB200_114 Depth=1
                                        ; =>  This Inner Loop Header: Depth=2
	;;#ASMSTART
	global_load_b128 v[4:7], v[10:11] off scope:SCOPE_DEV	
s_wait_loadcnt 0x0
	;;#ASMEND
	v_and_b32_e32 v7, 0xff, v6
	s_delay_alu instid0(VALU_DEP_1) | instskip(SKIP_1) | instid1(SALU_CYCLE_1)
	v_cmp_ne_u16_e32 vcc_lo, 0, v7
	s_or_b32 s31, vcc_lo, s31
	s_and_not1_b32 exec_lo, exec_lo, s31
	s_cbranch_execnz .LBB200_117
	s_branch .LBB200_111
.LBB200_118:
                                        ; implicit-def: $vgpr13
                                        ; implicit-def: $vgpr5
                                        ; implicit-def: $vgpr9
                                        ; implicit-def: $vgpr14_vgpr15
	s_cbranch_execnz .LBB200_164
.LBB200_119:
	s_add_nc_u64 s[0:1], s[14:15], s[34:35]
	s_and_b32 vcc_lo, exec_lo, s21
	s_add_nc_u64 s[0:1], s[0:1], s[16:17]
	s_cbranch_vccz .LBB200_181
.LBB200_120:
	v_mul_u32_u24_e32 v1, 12, v0
	s_add_co_i32 s27, s27, s26
	s_mov_b32 s2, exec_lo
	s_delay_alu instid0(VALU_DEP_1)
	v_cmpx_gt_u32_e64 s27, v1
	s_cbranch_execz .LBB200_136
; %bb.121:
	v_or_b32_e32 v17, 1, v1
	s_mov_b32 s3, exec_lo
	s_delay_alu instid0(VALU_DEP_1)
	v_cmpx_gt_u32_e64 s27, v17
	s_cbranch_execz .LBB200_135
; %bb.122:
	v_or_b32_e32 v17, 2, v1
	;; [unrolled: 6-line block ×3, first 2 shown]
	s_mov_b32 s5, exec_lo
	s_delay_alu instid0(VALU_DEP_1)
	v_cmpx_gt_u32_e64 s27, v17
	s_cbranch_execz .LBB200_133
; %bb.124:
	v_add_nc_u32_e32 v17, 4, v1
	s_mov_b32 s6, exec_lo
	s_delay_alu instid0(VALU_DEP_1)
	v_cmpx_gt_u32_e64 s27, v17
	s_cbranch_execz .LBB200_132
; %bb.125:
	v_add_nc_u32_e32 v17, 5, v1
	;; [unrolled: 6-line block ×4, first 2 shown]
	s_mov_b32 s9, exec_lo
	s_delay_alu instid0(VALU_DEP_1)
	v_cmpx_gt_u32_e64 s27, v17
; %bb.128:
	v_add_nc_u32_e32 v17, 8, v1
	s_mov_b32 s10, exec_lo
	s_delay_alu instid0(VALU_DEP_1)
	v_cmpx_gt_u32_e64 s27, v17
	s_or_b32 exec_lo, exec_lo, s10
; %bb.129:
	s_delay_alu instid0(SALU_CYCLE_1)
	s_or_b32 exec_lo, exec_lo, s9
.LBB200_130:
	s_delay_alu instid0(SALU_CYCLE_1)
	s_or_b32 exec_lo, exec_lo, s8
.LBB200_131:
	s_delay_alu instid0(SALU_CYCLE_1)
	s_or_b32 exec_lo, exec_lo, s7
.LBB200_132:
	s_delay_alu instid0(SALU_CYCLE_1)
	s_or_b32 exec_lo, exec_lo, s6
.LBB200_133:
	s_delay_alu instid0(SALU_CYCLE_1)
	s_or_b32 exec_lo, exec_lo, s5
.LBB200_134:
	s_delay_alu instid0(SALU_CYCLE_1)
	s_or_b32 exec_lo, exec_lo, s4
.LBB200_135:
	s_delay_alu instid0(SALU_CYCLE_1)
	s_or_b32 exec_lo, exec_lo, s3
.LBB200_136:
	s_delay_alu instid0(SALU_CYCLE_1)
	s_or_b32 exec_lo, exec_lo, s2
	v_dual_lshlrev_b32 v1, 2, v1 :: v_dual_mov_b32 v17, 0
	s_barrier_signal -1
	s_barrier_wait -1
	ds_store_b128 v1, v[6:9]
	ds_store_b128 v1, v[2:5] offset:16
	ds_store_b128 v1, v[10:13] offset:32
	v_mad_i32_i24 v6, 0xffffffd4, v0, v1
	s_wait_dscnt 0x0
	s_barrier_signal -1
	s_barrier_wait -1
	ds_load_2addr_stride64_b32 v[26:27], v6 offset0:4 offset1:8
	ds_load_2addr_stride64_b32 v[24:25], v6 offset0:12 offset1:16
	;; [unrolled: 1-line block ×5, first 2 shown]
	ds_load_b32 v7, v6 offset:11264
	v_add_nc_u64_e32 v[16:17], s[0:1], v[16:17]
	s_mov_b32 s2, exec_lo
	v_cmpx_gt_u32_e64 s27, v0
	s_cbranch_execz .LBB200_138
; %bb.137:
	v_mul_i32_i24_e32 v6, 0xffffffd4, v0
	s_delay_alu instid0(VALU_DEP_1)
	v_add_nc_u32_e32 v1, v1, v6
	ds_load_b32 v1, v1
	s_wait_dscnt 0x0
	flat_store_b32 v[16:17], v1
.LBB200_138:
	s_wait_xcnt 0x0
	s_or_b32 exec_lo, exec_lo, s2
	v_or_b32_e32 v1, 0x100, v0
	s_mov_b32 s2, exec_lo
	s_delay_alu instid0(VALU_DEP_1)
	v_cmpx_gt_u32_e64 s27, v1
	s_cbranch_execz .LBB200_140
; %bb.139:
	s_wait_dscnt 0x5
	flat_store_b32 v[16:17], v26 offset:1024
.LBB200_140:
	s_wait_xcnt 0x0
	s_or_b32 exec_lo, exec_lo, s2
	v_or_b32_e32 v1, 0x200, v0
	s_mov_b32 s2, exec_lo
	s_delay_alu instid0(VALU_DEP_1)
	v_cmpx_gt_u32_e64 s27, v1
	s_cbranch_execz .LBB200_142
; %bb.141:
	s_wait_dscnt 0x5
	flat_store_b32 v[16:17], v27 offset:2048
.LBB200_142:
	;; [unrolled: 11-line block ×10, first 2 shown]
	s_wait_xcnt 0x0
	s_or_b32 exec_lo, exec_lo, s2
	v_or_b32_e32 v1, 0xb00, v0
	s_delay_alu instid0(VALU_DEP_1)
	v_cmp_gt_u32_e64 s2, s27, v1
	s_branch .LBB200_183
.LBB200_159:
	s_and_saveexec_b32 s13, s12
	s_cbranch_execz .LBB200_161
; %bb.160:
	v_and_b32_e32 v4, 0xff, v3
	s_mov_b32 s23, 0
	s_add_co_i32 s22, s20, 32
	v_and_b32_e32 v5, 1, v50
	s_lshl_b64 s[22:23], s[22:23], 4
	v_cmp_eq_u32_e32 vcc_lo, 0, v4
	s_add_nc_u64 s[22:23], s[24:25], s[22:23]
	s_delay_alu instid0(SALU_CYCLE_1) | instskip(SKIP_1) | instid1(VALU_DEP_1)
	v_mov_b64_e32 v[6:7], s[22:23]
	v_cndmask_b32_e32 v4, 0, v51, vcc_lo
	v_dual_add_nc_u32 v2, v4, v2 :: v_dual_bitop2_b32 v3, 1, v3 bitop3:0x40
	s_delay_alu instid0(VALU_DEP_1)
	v_cmp_eq_u32_e32 vcc_lo, 1, v3
	v_mov_b32_e32 v4, 2
	v_cndmask_b32_e64 v3, v5, 1, vcc_lo
	v_mov_b32_e32 v5, 0
	;;#ASMSTART
	global_store_b128 v[6:7], v[2:5] off scope:SCOPE_DEV	
s_wait_storecnt 0x0
	;;#ASMEND
.LBB200_161:
	s_or_b32 exec_lo, exec_lo, s13
	s_delay_alu instid0(SALU_CYCLE_1)
	s_and_b32 exec_lo, exec_lo, s11
	s_cbranch_execz .LBB200_163
; %bb.162:
	v_mov_b32_e32 v2, 0
	ds_store_b32 v2, v51
	ds_store_b8 v2, v50 offset:4
.LBB200_163:
	s_or_b32 exec_lo, exec_lo, s30
	v_dual_mov_b32 v2, 0 :: v_dual_bitop2_b32 v3, 1, v19 bitop3:0x40
	s_wait_dscnt 0x0
	s_barrier_signal -1
	s_barrier_wait -1
	s_delay_alu instid0(VALU_DEP_1) | instskip(SKIP_4) | instid1(VALU_DEP_2)
	v_cmp_eq_u32_e32 vcc_lo, 1, v3
	ds_load_b32 v2, v2
	s_mov_b64 s[12:13], 0x100000000
	v_cndmask_b32_e64 v3, v13, 1, vcc_lo
	v_cmp_gt_u64_e32 vcc_lo, s[12:13], v[18:19]
	v_dual_cndmask_b32 v3, v3, v19, s11 :: v_dual_cndmask_b32 v4, 0, v12, vcc_lo
	s_delay_alu instid0(VALU_DEP_1) | instskip(NEXT) | instid1(VALU_DEP_2)
	v_and_b32_e32 v3, 0xff, v3
	v_cndmask_b32_e64 v4, v4, 0, s11
	s_delay_alu instid0(VALU_DEP_2) | instskip(SKIP_2) | instid1(VALU_DEP_1)
	v_cmp_eq_u16_e32 vcc_lo, 0, v3
	s_wait_dscnt 0x0
	v_cndmask_b32_e32 v2, 0, v2, vcc_lo
	v_add3_u32 v6, v4, v18, v2
	s_delay_alu instid0(VALU_DEP_1) | instskip(NEXT) | instid1(VALU_DEP_1)
	v_cndmask_b32_e64 v2, 0, v6, s0
	v_add_nc_u32_e32 v7, v2, v38
	s_delay_alu instid0(VALU_DEP_1) | instskip(NEXT) | instid1(VALU_DEP_1)
	v_cndmask_b32_e64 v2, 0, v7, s1
	v_add_nc_u32_e32 v8, v2, v36
	v_mov_b64_e32 v[14:15], v[6:7]
	s_delay_alu instid0(VALU_DEP_2) | instskip(NEXT) | instid1(VALU_DEP_1)
	v_cndmask_b32_e64 v2, 0, v8, s2
	v_add_nc_u32_e32 v9, v2, v34
	s_delay_alu instid0(VALU_DEP_1) | instskip(NEXT) | instid1(VALU_DEP_1)
	v_cndmask_b32_e64 v2, 0, v9, s3
	v_add_nc_u32_e32 v2, v2, v32
	s_delay_alu instid0(VALU_DEP_1) | instskip(NEXT) | instid1(VALU_DEP_1)
	;; [unrolled: 3-line block ×8, first 2 shown]
	v_cndmask_b32_e64 v13, 0, v12, s10
	v_add_nc_u32_e32 v13, v13, v40
	s_branch .LBB200_119
.LBB200_164:
	s_cmp_lg_u64 s[28:29], 0
	v_cmp_eq_u32_e32 vcc_lo, 0, v0
	s_cselect_b32 s1, -1, 0
	s_cmp_lg_u64 s[18:19], 0
	v_cmp_ne_u32_e64 s0, 0, v0
	s_cselect_b32 s2, -1, 0
	s_delay_alu instid0(SALU_CYCLE_1) | instskip(NEXT) | instid1(SALU_CYCLE_1)
	s_and_b32 s1, s1, s2
	s_and_b32 s1, vcc_lo, s1
	s_delay_alu instid0(SALU_CYCLE_1)
	s_and_saveexec_b32 s2, s1
	s_cbranch_execz .LBB200_166
; %bb.165:
	s_mov_b64 s[4:5], 0x100000000
	s_delay_alu instid0(SALU_CYCLE_1)
	v_cmp_gt_u64_e64 s1, s[4:5], v[18:19]
	v_mov_b32_e32 v2, 0
	s_clause 0x1
	global_load_b32 v3, v2, s[18:19]
	global_load_u8 v4, v2, s[18:19] offset:4
	s_wait_loadcnt 0x1
	v_cndmask_b32_e64 v5, 0, v3, s1
	v_and_b32_e32 v3, 1, v19
	s_wait_loadcnt 0x0
	s_delay_alu instid0(VALU_DEP_2) | instskip(NEXT) | instid1(VALU_DEP_2)
	v_dual_add_nc_u32 v18, v5, v18 :: v_dual_bitop2_b32 v4, 1, v4 bitop3:0x40
	v_cmp_eq_u64_e64 s1, 0, v[2:3]
	s_delay_alu instid0(VALU_DEP_1)
	v_cndmask_b32_e64 v19, 1, v4, s1
.LBB200_166:
	s_or_b32 exec_lo, exec_lo, s2
	s_mov_b64 s[12:13], 0x100000000
	v_or3_b32 v12, v42, v29, v31
	v_cmp_gt_u64_e64 s1, s[12:13], v[38:39]
	v_cmp_gt_u64_e64 s6, s[12:13], v[28:29]
	;; [unrolled: 1-line block ×7, first 2 shown]
	v_cndmask_b32_e64 v2, 0, v18, s1
	v_cmp_gt_u64_e64 s8, s[12:13], v[24:25]
	v_cmp_gt_u64_e64 s10, s[12:13], v[20:21]
	;; [unrolled: 1-line block ×3, first 2 shown]
	v_dual_mov_b32 v14, 0 :: v_dual_bitop2_b32 v1, 56, v1 bitop3:0x40
	v_add_nc_u32_e32 v7, v2, v38
	v_cmp_gt_u64_e64 s11, s[12:13], v[40:41]
	s_mov_b32 s13, exec_lo
	v_lshl_add_u32 v1, v0, 3, v1
	v_cndmask_b32_e64 v2, 0, v7, s2
	s_delay_alu instid0(VALU_DEP_1) | instskip(NEXT) | instid1(VALU_DEP_1)
	v_add_nc_u32_e32 v8, v2, v36
	v_cndmask_b32_e64 v2, 0, v8, s3
	s_delay_alu instid0(VALU_DEP_1) | instskip(NEXT) | instid1(VALU_DEP_1)
	v_add_nc_u32_e32 v9, v2, v34
	v_cndmask_b32_e64 v2, 0, v9, s4
	s_delay_alu instid0(VALU_DEP_1) | instskip(NEXT) | instid1(VALU_DEP_1)
	v_add_nc_u32_e32 v2, v2, v32
	v_cndmask_b32_e64 v3, 0, v2, s5
	s_delay_alu instid0(VALU_DEP_1) | instskip(NEXT) | instid1(VALU_DEP_1)
	v_add_nc_u32_e32 v3, v3, v30
	v_cndmask_b32_e64 v4, 0, v3, s6
	s_delay_alu instid0(VALU_DEP_1) | instskip(NEXT) | instid1(VALU_DEP_1)
	v_add_nc_u32_e32 v4, v4, v28
	v_cndmask_b32_e64 v5, 0, v4, s7
	s_delay_alu instid0(VALU_DEP_1) | instskip(NEXT) | instid1(VALU_DEP_1)
	v_add_nc_u32_e32 v5, v5, v26
	v_cndmask_b32_e64 v6, 0, v5, s8
	s_delay_alu instid0(VALU_DEP_1) | instskip(NEXT) | instid1(VALU_DEP_1)
	v_add_nc_u32_e32 v10, v6, v24
	v_cndmask_b32_e64 v6, 0, v10, s9
	s_delay_alu instid0(VALU_DEP_1) | instskip(SKIP_1) | instid1(VALU_DEP_2)
	v_add_nc_u32_e32 v11, v6, v22
	v_or3_b32 v6, v12, v33, v35
	v_cndmask_b32_e64 v12, 0, v11, s10
	s_delay_alu instid0(VALU_DEP_2) | instskip(NEXT) | instid1(VALU_DEP_2)
	v_or3_b32 v6, v6, v37, v39
	v_add_nc_u32_e32 v12, v12, v20
	s_delay_alu instid0(VALU_DEP_2) | instskip(NEXT) | instid1(VALU_DEP_1)
	v_or3_b32 v6, v41, v17, v6
	v_and_b32_e32 v15, 0xff, v6
	s_delay_alu instid0(VALU_DEP_1) | instskip(NEXT) | instid1(VALU_DEP_1)
	v_cmp_eq_u64_e64 s12, 0, v[14:15]
	v_dual_cndmask_b32 v13, 0, v12, s11 :: v_dual_cndmask_b32 v6, 1, v19, s12
	s_delay_alu instid0(VALU_DEP_1)
	v_add_nc_u32_e32 v13, v13, v40
	ds_store_b32 v1, v13
	ds_store_b8 v1, v6 offset:4
	s_wait_dscnt 0x0
	s_barrier_signal -1
	s_barrier_wait -1
	v_cmpx_gt_u32_e32 32, v0
	s_cbranch_execz .LBB200_176
; %bb.167:
	v_dual_lshlrev_b32 v1, 1, v0 :: v_dual_lshlrev_b32 v14, 6, v0
	s_mov_b32 s18, exec_lo
	s_delay_alu instid0(VALU_DEP_1) | instskip(NEXT) | instid1(VALU_DEP_1)
	v_and_b32_e32 v1, 0x1f8, v1
	v_add_nc_u32_e32 v1, v1, v14
	ds_load_u8 v17, v1 offset:12
	ds_load_b64 v[14:15], v1
	ds_load_2addr_b32 v[42:43], v1 offset0:2 offset1:4
	ds_load_u8 v21, v1 offset:20
	ds_load_u8 v23, v1 offset:28
	;; [unrolled: 1-line block ×5, first 2 shown]
	ds_load_b32 v33, v1 offset:56
	s_wait_dscnt 0x8
	v_cmp_eq_u16_e64 s12, 0, v17
	s_wait_dscnt 0x5
	s_delay_alu instid0(VALU_DEP_1)
	v_dual_cndmask_b32 v31, 0, v14, s12 :: v_dual_bitop2_b32 v17, v21, v17 bitop3:0x54
	ds_load_2addr_b32 v[44:45], v1 offset0:6 offset1:8
	v_cmp_eq_u16_e64 s12, 0, v21
	ds_load_u8 v35, v1 offset:60
	s_wait_dscnt 0x5
	v_bitop3_b16 v17, v17, v25, v23 bitop3:0xfe
	v_add_nc_u32_e32 v31, v31, v42
	s_delay_alu instid0(VALU_DEP_1)
	v_cndmask_b32_e64 v31, 0, v31, s12
	v_cmp_eq_u16_e64 s12, 0, v23
	s_wait_dscnt 0x3
	v_bitop3_b16 v23, v17, v29, v27 bitop3:0xfe
	v_and_b32_e32 v17, 1, v15
	v_add_nc_u32_e32 v31, v31, v43
	ds_load_2addr_b32 v[42:43], v1 offset0:10 offset1:12
	v_cndmask_b32_e64 v31, 0, v31, s12
	v_cmp_eq_u16_e64 s12, 0, v25
	s_wait_dscnt 0x1
	s_delay_alu instid0(VALU_DEP_2) | instskip(NEXT) | instid1(VALU_DEP_1)
	v_dual_add_nc_u32 v31, v31, v44 :: v_dual_bitop2_b32 v25, 1, v35 bitop3:0x40
	v_cndmask_b32_e64 v31, 0, v31, s12
	v_cmp_eq_u16_e64 s12, 0, v27
	s_delay_alu instid0(VALU_DEP_2) | instskip(NEXT) | instid1(VALU_DEP_1)
	v_add_nc_u32_e32 v21, v31, v45
	v_cndmask_b32_e64 v21, 0, v21, s12
	v_cmp_eq_u16_e64 s12, 0, v23
	s_wait_dscnt 0x0
	s_delay_alu instid0(VALU_DEP_1) | instskip(SKIP_1) | instid1(VALU_DEP_1)
	v_dual_add_nc_u32 v21, v21, v42 :: v_dual_cndmask_b32 v23, 1, v17, s12
	v_cmp_eq_u16_e64 s12, 0, v29
	v_cndmask_b32_e64 v21, 0, v21, s12
	v_cmp_eq_u32_e64 s12, 1, v25
	v_mbcnt_lo_u32_b32 v25, -1, 0
	s_delay_alu instid0(VALU_DEP_2) | instskip(SKIP_1) | instid1(VALU_DEP_2)
	v_cndmask_b32_e64 v27, v23, 1, s12
	v_cmp_eq_u16_e64 s12, 0, v35
	v_and_b32_e32 v29, 0xffff, v27
	v_add_nc_u32_e32 v23, v21, v43
	v_and_b32_e32 v21, 0xffffff00, v15
	s_delay_alu instid0(VALU_DEP_1) | instskip(SKIP_1) | instid1(VALU_DEP_2)
	v_dual_cndmask_b32 v23, 0, v23, s12 :: v_dual_bitop2_b32 v31, v21, v29 bitop3:0x54
	v_and_b32_e32 v29, 15, v25
	v_mov_b32_dpp v35, v31 row_shr:1 row_mask:0xf bank_mask:0xf
	s_delay_alu instid0(VALU_DEP_3) | instskip(NEXT) | instid1(VALU_DEP_1)
	v_add_nc_u32_e32 v23, v23, v33
	v_mov_b32_dpp v33, v23 row_shr:1 row_mask:0xf bank_mask:0xf
	s_delay_alu instid0(VALU_DEP_4)
	v_cmpx_ne_u32_e32 0, v29
	s_cbranch_execz .LBB200_169
; %bb.168:
	v_and_b32_e32 v31, 1, v27
	v_and_b32_e32 v35, 1, v35
	s_delay_alu instid0(VALU_DEP_2) | instskip(NEXT) | instid1(VALU_DEP_1)
	v_cmp_eq_u32_e64 s12, 1, v31
	v_cndmask_b32_e64 v35, v35, 1, s12
	v_cmp_eq_u16_e64 s12, 0, v27
	s_delay_alu instid0(VALU_DEP_2) | instskip(NEXT) | instid1(VALU_DEP_1)
	v_and_b32_e32 v31, 0xffff, v35
	v_dual_cndmask_b32 v27, 0, v33, s12 :: v_dual_bitop2_b32 v31, v21, v31 bitop3:0x54
	s_delay_alu instid0(VALU_DEP_1)
	v_add_nc_u32_e32 v23, v27, v23
	v_mov_b32_e32 v27, v35
.LBB200_169:
	s_or_b32 exec_lo, exec_lo, s18
	s_delay_alu instid0(VALU_DEP_2)
	v_mov_b32_dpp v33, v23 row_shr:2 row_mask:0xf bank_mask:0xf
	v_mov_b32_dpp v35, v31 row_shr:2 row_mask:0xf bank_mask:0xf
	s_mov_b32 s18, exec_lo
	v_cmpx_lt_u32_e32 1, v29
	s_cbranch_execz .LBB200_171
; %bb.170:
	v_and_b32_e32 v31, 1, v27
	v_and_b32_e32 v35, 1, v35
	s_delay_alu instid0(VALU_DEP_2) | instskip(NEXT) | instid1(VALU_DEP_1)
	v_cmp_eq_u32_e64 s12, 1, v31
	v_cndmask_b32_e64 v35, v35, 1, s12
	v_cmp_eq_u16_e64 s12, 0, v27
	s_delay_alu instid0(VALU_DEP_2) | instskip(NEXT) | instid1(VALU_DEP_1)
	v_and_b32_e32 v31, 0xffff, v35
	v_dual_cndmask_b32 v27, 0, v33, s12 :: v_dual_bitop2_b32 v31, v21, v31 bitop3:0x54
	s_delay_alu instid0(VALU_DEP_1)
	v_add_nc_u32_e32 v23, v27, v23
	v_mov_b32_e32 v27, v35
.LBB200_171:
	s_or_b32 exec_lo, exec_lo, s18
	s_delay_alu instid0(VALU_DEP_2)
	v_mov_b32_dpp v33, v23 row_shr:4 row_mask:0xf bank_mask:0xf
	v_mov_b32_dpp v35, v31 row_shr:4 row_mask:0xf bank_mask:0xf
	s_mov_b32 s18, exec_lo
	v_cmpx_lt_u32_e32 3, v29
	;; [unrolled: 21-line block ×3, first 2 shown]
	s_cbranch_execz .LBB200_175
; %bb.174:
	v_and_b32_e32 v29, 1, v27
	v_and_b32_e32 v31, 1, v35
	s_delay_alu instid0(VALU_DEP_2) | instskip(NEXT) | instid1(VALU_DEP_1)
	v_cmp_eq_u32_e64 s12, 1, v29
	v_cndmask_b32_e64 v29, v31, 1, s12
	v_cmp_eq_u16_e64 s12, 0, v27
	s_delay_alu instid0(VALU_DEP_2) | instskip(NEXT) | instid1(VALU_DEP_1)
	v_and_b32_e32 v31, 0xffff, v29
	v_dual_cndmask_b32 v27, 0, v33, s12 :: v_dual_bitop2_b32 v31, v21, v31 bitop3:0x54
	s_delay_alu instid0(VALU_DEP_1)
	v_dual_add_nc_u32 v23, v27, v23 :: v_dual_mov_b32 v27, v29
.LBB200_175:
	s_or_b32 exec_lo, exec_lo, s18
	ds_swizzle_b32 v29, v31 offset:swizzle(BROADCAST,32,15)
	ds_swizzle_b32 v31, v23 offset:swizzle(BROADCAST,32,15)
	v_and_b32_e32 v33, 1, v27
	v_and_b32_e32 v35, 16, v25
	v_bfe_i32 v37, v25, 4, 1
	v_and_b32_e32 v15, 0xff, v15
	s_delay_alu instid0(VALU_DEP_4) | instskip(SKIP_3) | instid1(VALU_DEP_1)
	v_cmp_eq_u32_e64 s12, 1, v33
	v_add_nc_u32_e32 v33, -1, v25
	; wave barrier
	s_wait_dscnt 0x1
	v_and_b32_e32 v29, 1, v29
	v_cndmask_b32_e64 v29, v29, 1, s12
	v_cmp_eq_u16_e64 s12, 0, v27
	s_wait_dscnt 0x0
	s_delay_alu instid0(VALU_DEP_1) | instskip(SKIP_1) | instid1(VALU_DEP_1)
	v_cndmask_b32_e64 v31, 0, v31, s12
	v_cmp_eq_u32_e64 s12, 0, v35
	v_cndmask_b32_e64 v27, v29, v27, s12
	v_cmp_gt_i32_e64 s12, 0, v33
	s_delay_alu instid0(VALU_DEP_2) | instskip(NEXT) | instid1(VALU_DEP_2)
	v_and_b32_e32 v27, 0xffff, v27
	v_cndmask_b32_e64 v25, v33, v25, s12
	v_and_b32_e32 v29, v37, v31
	v_cmp_eq_u16_e64 s12, 0, v15
	s_delay_alu instid0(VALU_DEP_3)
	v_dual_lshlrev_b32 v25, 2, v25 :: v_dual_bitop2_b32 v21, v21, v27 bitop3:0x54
	ds_bpermute_b32 v21, v25, v21
	s_wait_dscnt 0x0
	v_dual_add_nc_u32 v23, v29, v23 :: v_dual_bitop2_b32 v21, 1, v21 bitop3:0x40
	ds_bpermute_b32 v23, v25, v23
	s_wait_dscnt 0x0
	v_cndmask_b32_e64 v15, 0, v23, s12
	v_cmp_eq_u32_e64 s12, 1, v17
	s_delay_alu instid0(VALU_DEP_2) | instskip(NEXT) | instid1(VALU_DEP_2)
	v_add_nc_u32_e32 v14, v15, v14
	v_cndmask_b32_e64 v15, v21, 1, s12
	s_delay_alu instid0(VALU_DEP_1)
	v_dual_cndmask_b32 v17, v14, v13 :: v_dual_cndmask_b32 v6, v15, v6
	ds_store_b32 v1, v17
	ds_store_b8 v1, v6 offset:4
	; wave barrier
	ds_load_u8 v21, v1 offset:12
	ds_load_2addr_b32 v[14:15], v1 offset0:2 offset1:4
	ds_load_u8 v23, v1 offset:20
	ds_load_u8 v25, v1 offset:28
	;; [unrolled: 1-line block ×5, first 2 shown]
	ds_load_b32 v33, v1 offset:56
	ds_load_u8 v35, v1 offset:60
	ds_load_2addr_b32 v[42:43], v1 offset0:6 offset1:8
	s_wait_dscnt 0x9
	v_cmp_eq_u16_e64 s12, 0, v21
	s_delay_alu instid0(VALU_DEP_1) | instskip(SKIP_2) | instid1(VALU_DEP_2)
	v_cndmask_b32_e64 v17, 0, v17, s12
	s_wait_dscnt 0x7
	v_cmp_eq_u16_e64 s12, 0, v23
	v_add_nc_u32_e32 v17, v17, v14
	s_delay_alu instid0(VALU_DEP_1) | instskip(SKIP_2) | instid1(VALU_DEP_2)
	v_cndmask_b32_e64 v14, 0, v17, s12
	s_wait_dscnt 0x6
	v_cmp_eq_u16_e64 s12, 0, v25
	v_add_nc_u32_e32 v37, v14, v15
	ds_load_2addr_b32 v[14:15], v1 offset0:10 offset1:12
	v_cndmask_b32_e64 v39, 0, v37, s12
	s_wait_dscnt 0x6
	v_cmp_eq_u16_e64 s12, 0, v27
	ds_store_2addr_b32 v1, v17, v37 offset0:2 offset1:4
	s_wait_dscnt 0x2
	v_dual_add_nc_u32 v39, v39, v42 :: v_dual_bitop2_b32 v21, 1, v21 bitop3:0x40
	v_and_b32_e32 v42, 1, v35
	s_delay_alu instid0(VALU_DEP_2) | instskip(NEXT) | instid1(VALU_DEP_3)
	v_cndmask_b32_e64 v41, 0, v39, s12
	v_cmp_eq_u32_e64 s12, 1, v21
	s_delay_alu instid0(VALU_DEP_2) | instskip(SKIP_1) | instid1(VALU_DEP_3)
	v_dual_add_nc_u32 v25, v41, v43 :: v_dual_bitop2_b32 v21, 1, v25 bitop3:0x40
	v_and_b32_e32 v23, 1, v23
	v_cndmask_b32_e64 v6, v6, 1, s12
	s_delay_alu instid0(VALU_DEP_2) | instskip(NEXT) | instid1(VALU_DEP_1)
	v_cmp_eq_u32_e64 s12, 1, v23
	v_cndmask_b32_e64 v23, v6, 1, s12
	v_cmp_eq_u16_e64 s12, 0, v29
	s_delay_alu instid0(VALU_DEP_1) | instskip(SKIP_2) | instid1(VALU_DEP_2)
	v_dual_cndmask_b32 v41, 0, v25, s12 :: v_dual_bitop2_b32 v27, 1, v27 bitop3:0x40
	v_cmp_eq_u32_e64 s12, 1, v21
	s_wait_dscnt 0x1
	v_dual_add_nc_u32 v14, v41, v14 :: v_dual_bitop2_b32 v41, 1, v31 bitop3:0x40
	s_delay_alu instid0(VALU_DEP_2) | instskip(SKIP_1) | instid1(VALU_DEP_1)
	v_cndmask_b32_e64 v21, v23, 1, s12
	v_cmp_eq_u32_e64 s12, 1, v27
	v_cndmask_b32_e64 v27, v21, 1, s12
	v_cmp_eq_u16_e64 s12, 0, v31
	s_delay_alu instid0(VALU_DEP_1) | instskip(NEXT) | instid1(VALU_DEP_1)
	v_dual_cndmask_b32 v31, 0, v14, s12 :: v_dual_bitop2_b32 v29, 1, v29 bitop3:0x40
	v_cmp_eq_u32_e64 s12, 1, v29
	s_delay_alu instid0(VALU_DEP_2) | instskip(NEXT) | instid1(VALU_DEP_2)
	v_add_nc_u32_e32 v15, v31, v15
	v_cndmask_b32_e64 v29, v27, 1, s12
	v_cmp_eq_u32_e64 s12, 1, v41
	ds_store_2addr_b32 v1, v39, v25 offset0:6 offset1:8
	ds_store_2addr_b32 v1, v14, v15 offset0:10 offset1:12
	v_cndmask_b32_e64 v31, v29, 1, s12
	v_cmp_eq_u16_e64 s12, 0, v35
	s_delay_alu instid0(VALU_DEP_1) | instskip(SKIP_1) | instid1(VALU_DEP_2)
	v_cndmask_b32_e64 v17, 0, v15, s12
	v_cmp_eq_u32_e64 s12, 1, v42
	v_add_nc_u32_e32 v14, v17, v33
	s_delay_alu instid0(VALU_DEP_2)
	v_cndmask_b32_e64 v35, v31, 1, s12
	ds_store_b8 v1, v6 offset:12
	ds_store_b8 v1, v23 offset:20
	;; [unrolled: 1-line block ×6, first 2 shown]
	ds_store_b32 v1, v14 offset:56
	ds_store_b8 v1, v35 offset:60
.LBB200_176:
	s_or_b32 exec_lo, exec_lo, s13
	v_mov_b32_e32 v6, v18
	s_wait_dscnt 0x0
	s_barrier_signal -1
	s_barrier_wait -1
	s_delay_alu instid0(VALU_DEP_1)
	v_mov_b64_e32 v[14:15], v[6:7]
	s_and_saveexec_b32 s12, s0
	s_cbranch_execz .LBB200_178
; %bb.177:
	v_add_nc_u32_e32 v1, -1, v0
	v_and_b32_e32 v3, 0xff, v19
	s_delay_alu instid0(VALU_DEP_2) | instskip(NEXT) | instid1(VALU_DEP_1)
	v_lshrrev_b32_e32 v2, 2, v1
	v_and_b32_e32 v2, 0x3ffffff8, v2
	s_delay_alu instid0(VALU_DEP_1)
	v_lshl_add_u32 v1, v1, 3, v2
	v_mov_b32_e32 v2, 0
	ds_load_b32 v1, v1
	v_cmp_eq_u64_e64 s0, 0, v[2:3]
	;;#ASMSTART
	;;#ASMEND
	s_wait_dscnt 0x0
	s_delay_alu instid0(VALU_DEP_1) | instskip(NEXT) | instid1(VALU_DEP_1)
	v_cndmask_b32_e64 v1, 0, v1, s0
	v_add_nc_u32_e32 v14, v1, v18
	s_delay_alu instid0(VALU_DEP_1) | instskip(NEXT) | instid1(VALU_DEP_1)
	v_cndmask_b32_e64 v1, 0, v14, s1
	v_add_nc_u32_e32 v15, v1, v38
	s_delay_alu instid0(VALU_DEP_1) | instskip(NEXT) | instid1(VALU_DEP_1)
	v_dual_cndmask_b32 v1, 0, v15, s2 :: v_dual_mov_b32 v18, v14
	v_dual_mov_b32 v7, v15 :: v_dual_add_nc_u32 v8, v1, v36
	s_delay_alu instid0(VALU_DEP_1) | instskip(NEXT) | instid1(VALU_DEP_1)
	v_cndmask_b32_e64 v1, 0, v8, s3
	v_add_nc_u32_e32 v9, v1, v34
	s_delay_alu instid0(VALU_DEP_1) | instskip(NEXT) | instid1(VALU_DEP_1)
	v_cndmask_b32_e64 v1, 0, v9, s4
	v_add_nc_u32_e32 v2, v1, v32
	;; [unrolled: 3-line block ×9, first 2 shown]
.LBB200_178:
	s_or_b32 exec_lo, exec_lo, s12
	s_and_saveexec_b32 s0, vcc_lo
	s_cbranch_execz .LBB200_180
; %bb.179:
	v_dual_mov_b32 v23, 0 :: v_dual_mov_b32 v22, 2
	s_add_nc_u64 s[2:3], s[24:25], 0x200
	ds_load_b32 v20, v23 offset:2096
	ds_load_u8 v21, v23 offset:2100
	v_mov_b64_e32 v[24:25], s[2:3]
	s_wait_dscnt 0x0
	;;#ASMSTART
	global_store_b128 v[24:25], v[20:23] off scope:SCOPE_DEV	
s_wait_storecnt 0x0
	;;#ASMEND
.LBB200_180:
	s_or_b32 exec_lo, exec_lo, s0
	v_mov_b32_e32 v6, v18
	s_add_nc_u64 s[0:1], s[14:15], s[34:35]
	s_and_b32 vcc_lo, exec_lo, s21
	s_add_nc_u64 s[0:1], s[0:1], s[16:17]
	s_cbranch_vccnz .LBB200_120
.LBB200_181:
	s_mov_b32 s2, 0
                                        ; implicit-def: $vgpr7
	s_cbranch_execz .LBB200_183
; %bb.182:
	v_mul_u32_u24_e32 v1, 48, v0
	v_dual_mov_b32 v16, v8 :: v_dual_mov_b32 v17, v9
	v_mul_i32_i24_e32 v6, 0xffffffd4, v0
	s_wait_storecnt_dscnt 0x0
	s_barrier_signal -1
	s_barrier_wait -1
	ds_store_b128 v1, v[14:17]
	ds_store_b128 v1, v[2:5] offset:16
	ds_store_b128 v1, v[10:13] offset:32
	v_mad_u32_u24 v1, v0, 48, v6
	s_wait_dscnt 0x0
	s_barrier_signal -1
	s_barrier_wait -1
	ds_load_2addr_stride64_b32 v[2:3], v1 offset1:4
	ds_load_2addr_stride64_b32 v[4:5], v1 offset0:8 offset1:12
	ds_load_2addr_stride64_b32 v[8:9], v1 offset0:16 offset1:20
	ds_load_2addr_stride64_b32 v[10:11], v1 offset0:24 offset1:28
	ds_load_2addr_stride64_b32 v[12:13], v1 offset0:32 offset1:36
	ds_load_2addr_stride64_b32 v[6:7], v1 offset0:40 offset1:44
	s_or_b32 s2, s2, exec_lo
	s_wait_dscnt 0x5
	s_clause 0x1
	flat_store_b32 v0, v2, s[0:1] scale_offset
	flat_store_b32 v0, v3, s[0:1] offset:1024 scale_offset
	s_wait_dscnt 0x6
	s_clause 0x1
	flat_store_b32 v0, v4, s[0:1] offset:2048 scale_offset
	flat_store_b32 v0, v5, s[0:1] offset:3072 scale_offset
	s_wait_dscnt 0x7
	s_clause 0x1
	flat_store_b32 v0, v8, s[0:1] offset:4096 scale_offset
	;; [unrolled: 4-line block ×4, first 2 shown]
	flat_store_b32 v0, v13, s[0:1] offset:9216 scale_offset
	s_wait_dscnt 0xa
	flat_store_b32 v0, v6, s[0:1] offset:10240 scale_offset
.LBB200_183:
	s_wait_xcnt 0x0
	s_delay_alu instid0(VALU_DEP_1)
	s_and_saveexec_b32 s3, s2
	s_cbranch_execnz .LBB200_185
; %bb.184:
	s_endpgm
.LBB200_185:
	s_wait_dscnt 0x0
	flat_store_b32 v0, v7, s[0:1] offset:11264 scale_offset
	s_endpgm
	.section	.rodata,"a",@progbits
	.p2align	6, 0x0
	.amdhsa_kernel _ZN7rocprim17ROCPRIM_400000_NS6detail17trampoline_kernelINS0_14default_configENS1_27scan_by_key_config_selectorIiiEEZZNS1_16scan_by_key_implILNS1_25lookback_scan_determinismE0ELb0ES3_N6thrust23THRUST_200600_302600_NS6detail15normal_iteratorINS9_10device_ptrIiEEEESE_SE_iNS9_4plusIvEENS9_8equal_toIiEEiEE10hipError_tPvRmT2_T3_T4_T5_mT6_T7_P12ihipStream_tbENKUlT_T0_E_clISt17integral_constantIbLb0EESZ_EEDaSU_SV_EUlSU_E_NS1_11comp_targetILNS1_3genE0ELNS1_11target_archE4294967295ELNS1_3gpuE0ELNS1_3repE0EEENS1_30default_config_static_selectorELNS0_4arch9wavefront6targetE0EEEvT1_
		.amdhsa_group_segment_fixed_size 14336
		.amdhsa_private_segment_fixed_size 0
		.amdhsa_kernarg_size 112
		.amdhsa_user_sgpr_count 2
		.amdhsa_user_sgpr_dispatch_ptr 0
		.amdhsa_user_sgpr_queue_ptr 0
		.amdhsa_user_sgpr_kernarg_segment_ptr 1
		.amdhsa_user_sgpr_dispatch_id 0
		.amdhsa_user_sgpr_kernarg_preload_length 0
		.amdhsa_user_sgpr_kernarg_preload_offset 0
		.amdhsa_user_sgpr_private_segment_size 0
		.amdhsa_wavefront_size32 1
		.amdhsa_uses_dynamic_stack 0
		.amdhsa_enable_private_segment 0
		.amdhsa_system_sgpr_workgroup_id_x 1
		.amdhsa_system_sgpr_workgroup_id_y 0
		.amdhsa_system_sgpr_workgroup_id_z 0
		.amdhsa_system_sgpr_workgroup_info 0
		.amdhsa_system_vgpr_workitem_id 0
		.amdhsa_next_free_vgpr 60
		.amdhsa_next_free_sgpr 42
		.amdhsa_named_barrier_count 0
		.amdhsa_reserve_vcc 1
		.amdhsa_float_round_mode_32 0
		.amdhsa_float_round_mode_16_64 0
		.amdhsa_float_denorm_mode_32 3
		.amdhsa_float_denorm_mode_16_64 3
		.amdhsa_fp16_overflow 0
		.amdhsa_memory_ordered 1
		.amdhsa_forward_progress 1
		.amdhsa_inst_pref_size 94
		.amdhsa_round_robin_scheduling 0
		.amdhsa_exception_fp_ieee_invalid_op 0
		.amdhsa_exception_fp_denorm_src 0
		.amdhsa_exception_fp_ieee_div_zero 0
		.amdhsa_exception_fp_ieee_overflow 0
		.amdhsa_exception_fp_ieee_underflow 0
		.amdhsa_exception_fp_ieee_inexact 0
		.amdhsa_exception_int_div_zero 0
	.end_amdhsa_kernel
	.section	.text._ZN7rocprim17ROCPRIM_400000_NS6detail17trampoline_kernelINS0_14default_configENS1_27scan_by_key_config_selectorIiiEEZZNS1_16scan_by_key_implILNS1_25lookback_scan_determinismE0ELb0ES3_N6thrust23THRUST_200600_302600_NS6detail15normal_iteratorINS9_10device_ptrIiEEEESE_SE_iNS9_4plusIvEENS9_8equal_toIiEEiEE10hipError_tPvRmT2_T3_T4_T5_mT6_T7_P12ihipStream_tbENKUlT_T0_E_clISt17integral_constantIbLb0EESZ_EEDaSU_SV_EUlSU_E_NS1_11comp_targetILNS1_3genE0ELNS1_11target_archE4294967295ELNS1_3gpuE0ELNS1_3repE0EEENS1_30default_config_static_selectorELNS0_4arch9wavefront6targetE0EEEvT1_,"axG",@progbits,_ZN7rocprim17ROCPRIM_400000_NS6detail17trampoline_kernelINS0_14default_configENS1_27scan_by_key_config_selectorIiiEEZZNS1_16scan_by_key_implILNS1_25lookback_scan_determinismE0ELb0ES3_N6thrust23THRUST_200600_302600_NS6detail15normal_iteratorINS9_10device_ptrIiEEEESE_SE_iNS9_4plusIvEENS9_8equal_toIiEEiEE10hipError_tPvRmT2_T3_T4_T5_mT6_T7_P12ihipStream_tbENKUlT_T0_E_clISt17integral_constantIbLb0EESZ_EEDaSU_SV_EUlSU_E_NS1_11comp_targetILNS1_3genE0ELNS1_11target_archE4294967295ELNS1_3gpuE0ELNS1_3repE0EEENS1_30default_config_static_selectorELNS0_4arch9wavefront6targetE0EEEvT1_,comdat
.Lfunc_end200:
	.size	_ZN7rocprim17ROCPRIM_400000_NS6detail17trampoline_kernelINS0_14default_configENS1_27scan_by_key_config_selectorIiiEEZZNS1_16scan_by_key_implILNS1_25lookback_scan_determinismE0ELb0ES3_N6thrust23THRUST_200600_302600_NS6detail15normal_iteratorINS9_10device_ptrIiEEEESE_SE_iNS9_4plusIvEENS9_8equal_toIiEEiEE10hipError_tPvRmT2_T3_T4_T5_mT6_T7_P12ihipStream_tbENKUlT_T0_E_clISt17integral_constantIbLb0EESZ_EEDaSU_SV_EUlSU_E_NS1_11comp_targetILNS1_3genE0ELNS1_11target_archE4294967295ELNS1_3gpuE0ELNS1_3repE0EEENS1_30default_config_static_selectorELNS0_4arch9wavefront6targetE0EEEvT1_, .Lfunc_end200-_ZN7rocprim17ROCPRIM_400000_NS6detail17trampoline_kernelINS0_14default_configENS1_27scan_by_key_config_selectorIiiEEZZNS1_16scan_by_key_implILNS1_25lookback_scan_determinismE0ELb0ES3_N6thrust23THRUST_200600_302600_NS6detail15normal_iteratorINS9_10device_ptrIiEEEESE_SE_iNS9_4plusIvEENS9_8equal_toIiEEiEE10hipError_tPvRmT2_T3_T4_T5_mT6_T7_P12ihipStream_tbENKUlT_T0_E_clISt17integral_constantIbLb0EESZ_EEDaSU_SV_EUlSU_E_NS1_11comp_targetILNS1_3genE0ELNS1_11target_archE4294967295ELNS1_3gpuE0ELNS1_3repE0EEENS1_30default_config_static_selectorELNS0_4arch9wavefront6targetE0EEEvT1_
                                        ; -- End function
	.set _ZN7rocprim17ROCPRIM_400000_NS6detail17trampoline_kernelINS0_14default_configENS1_27scan_by_key_config_selectorIiiEEZZNS1_16scan_by_key_implILNS1_25lookback_scan_determinismE0ELb0ES3_N6thrust23THRUST_200600_302600_NS6detail15normal_iteratorINS9_10device_ptrIiEEEESE_SE_iNS9_4plusIvEENS9_8equal_toIiEEiEE10hipError_tPvRmT2_T3_T4_T5_mT6_T7_P12ihipStream_tbENKUlT_T0_E_clISt17integral_constantIbLb0EESZ_EEDaSU_SV_EUlSU_E_NS1_11comp_targetILNS1_3genE0ELNS1_11target_archE4294967295ELNS1_3gpuE0ELNS1_3repE0EEENS1_30default_config_static_selectorELNS0_4arch9wavefront6targetE0EEEvT1_.num_vgpr, 60
	.set _ZN7rocprim17ROCPRIM_400000_NS6detail17trampoline_kernelINS0_14default_configENS1_27scan_by_key_config_selectorIiiEEZZNS1_16scan_by_key_implILNS1_25lookback_scan_determinismE0ELb0ES3_N6thrust23THRUST_200600_302600_NS6detail15normal_iteratorINS9_10device_ptrIiEEEESE_SE_iNS9_4plusIvEENS9_8equal_toIiEEiEE10hipError_tPvRmT2_T3_T4_T5_mT6_T7_P12ihipStream_tbENKUlT_T0_E_clISt17integral_constantIbLb0EESZ_EEDaSU_SV_EUlSU_E_NS1_11comp_targetILNS1_3genE0ELNS1_11target_archE4294967295ELNS1_3gpuE0ELNS1_3repE0EEENS1_30default_config_static_selectorELNS0_4arch9wavefront6targetE0EEEvT1_.num_agpr, 0
	.set _ZN7rocprim17ROCPRIM_400000_NS6detail17trampoline_kernelINS0_14default_configENS1_27scan_by_key_config_selectorIiiEEZZNS1_16scan_by_key_implILNS1_25lookback_scan_determinismE0ELb0ES3_N6thrust23THRUST_200600_302600_NS6detail15normal_iteratorINS9_10device_ptrIiEEEESE_SE_iNS9_4plusIvEENS9_8equal_toIiEEiEE10hipError_tPvRmT2_T3_T4_T5_mT6_T7_P12ihipStream_tbENKUlT_T0_E_clISt17integral_constantIbLb0EESZ_EEDaSU_SV_EUlSU_E_NS1_11comp_targetILNS1_3genE0ELNS1_11target_archE4294967295ELNS1_3gpuE0ELNS1_3repE0EEENS1_30default_config_static_selectorELNS0_4arch9wavefront6targetE0EEEvT1_.numbered_sgpr, 42
	.set _ZN7rocprim17ROCPRIM_400000_NS6detail17trampoline_kernelINS0_14default_configENS1_27scan_by_key_config_selectorIiiEEZZNS1_16scan_by_key_implILNS1_25lookback_scan_determinismE0ELb0ES3_N6thrust23THRUST_200600_302600_NS6detail15normal_iteratorINS9_10device_ptrIiEEEESE_SE_iNS9_4plusIvEENS9_8equal_toIiEEiEE10hipError_tPvRmT2_T3_T4_T5_mT6_T7_P12ihipStream_tbENKUlT_T0_E_clISt17integral_constantIbLb0EESZ_EEDaSU_SV_EUlSU_E_NS1_11comp_targetILNS1_3genE0ELNS1_11target_archE4294967295ELNS1_3gpuE0ELNS1_3repE0EEENS1_30default_config_static_selectorELNS0_4arch9wavefront6targetE0EEEvT1_.num_named_barrier, 0
	.set _ZN7rocprim17ROCPRIM_400000_NS6detail17trampoline_kernelINS0_14default_configENS1_27scan_by_key_config_selectorIiiEEZZNS1_16scan_by_key_implILNS1_25lookback_scan_determinismE0ELb0ES3_N6thrust23THRUST_200600_302600_NS6detail15normal_iteratorINS9_10device_ptrIiEEEESE_SE_iNS9_4plusIvEENS9_8equal_toIiEEiEE10hipError_tPvRmT2_T3_T4_T5_mT6_T7_P12ihipStream_tbENKUlT_T0_E_clISt17integral_constantIbLb0EESZ_EEDaSU_SV_EUlSU_E_NS1_11comp_targetILNS1_3genE0ELNS1_11target_archE4294967295ELNS1_3gpuE0ELNS1_3repE0EEENS1_30default_config_static_selectorELNS0_4arch9wavefront6targetE0EEEvT1_.private_seg_size, 0
	.set _ZN7rocprim17ROCPRIM_400000_NS6detail17trampoline_kernelINS0_14default_configENS1_27scan_by_key_config_selectorIiiEEZZNS1_16scan_by_key_implILNS1_25lookback_scan_determinismE0ELb0ES3_N6thrust23THRUST_200600_302600_NS6detail15normal_iteratorINS9_10device_ptrIiEEEESE_SE_iNS9_4plusIvEENS9_8equal_toIiEEiEE10hipError_tPvRmT2_T3_T4_T5_mT6_T7_P12ihipStream_tbENKUlT_T0_E_clISt17integral_constantIbLb0EESZ_EEDaSU_SV_EUlSU_E_NS1_11comp_targetILNS1_3genE0ELNS1_11target_archE4294967295ELNS1_3gpuE0ELNS1_3repE0EEENS1_30default_config_static_selectorELNS0_4arch9wavefront6targetE0EEEvT1_.uses_vcc, 1
	.set _ZN7rocprim17ROCPRIM_400000_NS6detail17trampoline_kernelINS0_14default_configENS1_27scan_by_key_config_selectorIiiEEZZNS1_16scan_by_key_implILNS1_25lookback_scan_determinismE0ELb0ES3_N6thrust23THRUST_200600_302600_NS6detail15normal_iteratorINS9_10device_ptrIiEEEESE_SE_iNS9_4plusIvEENS9_8equal_toIiEEiEE10hipError_tPvRmT2_T3_T4_T5_mT6_T7_P12ihipStream_tbENKUlT_T0_E_clISt17integral_constantIbLb0EESZ_EEDaSU_SV_EUlSU_E_NS1_11comp_targetILNS1_3genE0ELNS1_11target_archE4294967295ELNS1_3gpuE0ELNS1_3repE0EEENS1_30default_config_static_selectorELNS0_4arch9wavefront6targetE0EEEvT1_.uses_flat_scratch, 1
	.set _ZN7rocprim17ROCPRIM_400000_NS6detail17trampoline_kernelINS0_14default_configENS1_27scan_by_key_config_selectorIiiEEZZNS1_16scan_by_key_implILNS1_25lookback_scan_determinismE0ELb0ES3_N6thrust23THRUST_200600_302600_NS6detail15normal_iteratorINS9_10device_ptrIiEEEESE_SE_iNS9_4plusIvEENS9_8equal_toIiEEiEE10hipError_tPvRmT2_T3_T4_T5_mT6_T7_P12ihipStream_tbENKUlT_T0_E_clISt17integral_constantIbLb0EESZ_EEDaSU_SV_EUlSU_E_NS1_11comp_targetILNS1_3genE0ELNS1_11target_archE4294967295ELNS1_3gpuE0ELNS1_3repE0EEENS1_30default_config_static_selectorELNS0_4arch9wavefront6targetE0EEEvT1_.has_dyn_sized_stack, 0
	.set _ZN7rocprim17ROCPRIM_400000_NS6detail17trampoline_kernelINS0_14default_configENS1_27scan_by_key_config_selectorIiiEEZZNS1_16scan_by_key_implILNS1_25lookback_scan_determinismE0ELb0ES3_N6thrust23THRUST_200600_302600_NS6detail15normal_iteratorINS9_10device_ptrIiEEEESE_SE_iNS9_4plusIvEENS9_8equal_toIiEEiEE10hipError_tPvRmT2_T3_T4_T5_mT6_T7_P12ihipStream_tbENKUlT_T0_E_clISt17integral_constantIbLb0EESZ_EEDaSU_SV_EUlSU_E_NS1_11comp_targetILNS1_3genE0ELNS1_11target_archE4294967295ELNS1_3gpuE0ELNS1_3repE0EEENS1_30default_config_static_selectorELNS0_4arch9wavefront6targetE0EEEvT1_.has_recursion, 0
	.set _ZN7rocprim17ROCPRIM_400000_NS6detail17trampoline_kernelINS0_14default_configENS1_27scan_by_key_config_selectorIiiEEZZNS1_16scan_by_key_implILNS1_25lookback_scan_determinismE0ELb0ES3_N6thrust23THRUST_200600_302600_NS6detail15normal_iteratorINS9_10device_ptrIiEEEESE_SE_iNS9_4plusIvEENS9_8equal_toIiEEiEE10hipError_tPvRmT2_T3_T4_T5_mT6_T7_P12ihipStream_tbENKUlT_T0_E_clISt17integral_constantIbLb0EESZ_EEDaSU_SV_EUlSU_E_NS1_11comp_targetILNS1_3genE0ELNS1_11target_archE4294967295ELNS1_3gpuE0ELNS1_3repE0EEENS1_30default_config_static_selectorELNS0_4arch9wavefront6targetE0EEEvT1_.has_indirect_call, 0
	.section	.AMDGPU.csdata,"",@progbits
; Kernel info:
; codeLenInByte = 11992
; TotalNumSgprs: 44
; NumVgprs: 60
; ScratchSize: 0
; MemoryBound: 0
; FloatMode: 240
; IeeeMode: 1
; LDSByteSize: 14336 bytes/workgroup (compile time only)
; SGPRBlocks: 0
; VGPRBlocks: 3
; NumSGPRsForWavesPerEU: 44
; NumVGPRsForWavesPerEU: 60
; NamedBarCnt: 0
; Occupancy: 16
; WaveLimiterHint : 1
; COMPUTE_PGM_RSRC2:SCRATCH_EN: 0
; COMPUTE_PGM_RSRC2:USER_SGPR: 2
; COMPUTE_PGM_RSRC2:TRAP_HANDLER: 0
; COMPUTE_PGM_RSRC2:TGID_X_EN: 1
; COMPUTE_PGM_RSRC2:TGID_Y_EN: 0
; COMPUTE_PGM_RSRC2:TGID_Z_EN: 0
; COMPUTE_PGM_RSRC2:TIDIG_COMP_CNT: 0
	.section	.text._ZN7rocprim17ROCPRIM_400000_NS6detail17trampoline_kernelINS0_14default_configENS1_27scan_by_key_config_selectorIiiEEZZNS1_16scan_by_key_implILNS1_25lookback_scan_determinismE0ELb0ES3_N6thrust23THRUST_200600_302600_NS6detail15normal_iteratorINS9_10device_ptrIiEEEESE_SE_iNS9_4plusIvEENS9_8equal_toIiEEiEE10hipError_tPvRmT2_T3_T4_T5_mT6_T7_P12ihipStream_tbENKUlT_T0_E_clISt17integral_constantIbLb0EESZ_EEDaSU_SV_EUlSU_E_NS1_11comp_targetILNS1_3genE10ELNS1_11target_archE1201ELNS1_3gpuE5ELNS1_3repE0EEENS1_30default_config_static_selectorELNS0_4arch9wavefront6targetE0EEEvT1_,"axG",@progbits,_ZN7rocprim17ROCPRIM_400000_NS6detail17trampoline_kernelINS0_14default_configENS1_27scan_by_key_config_selectorIiiEEZZNS1_16scan_by_key_implILNS1_25lookback_scan_determinismE0ELb0ES3_N6thrust23THRUST_200600_302600_NS6detail15normal_iteratorINS9_10device_ptrIiEEEESE_SE_iNS9_4plusIvEENS9_8equal_toIiEEiEE10hipError_tPvRmT2_T3_T4_T5_mT6_T7_P12ihipStream_tbENKUlT_T0_E_clISt17integral_constantIbLb0EESZ_EEDaSU_SV_EUlSU_E_NS1_11comp_targetILNS1_3genE10ELNS1_11target_archE1201ELNS1_3gpuE5ELNS1_3repE0EEENS1_30default_config_static_selectorELNS0_4arch9wavefront6targetE0EEEvT1_,comdat
	.protected	_ZN7rocprim17ROCPRIM_400000_NS6detail17trampoline_kernelINS0_14default_configENS1_27scan_by_key_config_selectorIiiEEZZNS1_16scan_by_key_implILNS1_25lookback_scan_determinismE0ELb0ES3_N6thrust23THRUST_200600_302600_NS6detail15normal_iteratorINS9_10device_ptrIiEEEESE_SE_iNS9_4plusIvEENS9_8equal_toIiEEiEE10hipError_tPvRmT2_T3_T4_T5_mT6_T7_P12ihipStream_tbENKUlT_T0_E_clISt17integral_constantIbLb0EESZ_EEDaSU_SV_EUlSU_E_NS1_11comp_targetILNS1_3genE10ELNS1_11target_archE1201ELNS1_3gpuE5ELNS1_3repE0EEENS1_30default_config_static_selectorELNS0_4arch9wavefront6targetE0EEEvT1_ ; -- Begin function _ZN7rocprim17ROCPRIM_400000_NS6detail17trampoline_kernelINS0_14default_configENS1_27scan_by_key_config_selectorIiiEEZZNS1_16scan_by_key_implILNS1_25lookback_scan_determinismE0ELb0ES3_N6thrust23THRUST_200600_302600_NS6detail15normal_iteratorINS9_10device_ptrIiEEEESE_SE_iNS9_4plusIvEENS9_8equal_toIiEEiEE10hipError_tPvRmT2_T3_T4_T5_mT6_T7_P12ihipStream_tbENKUlT_T0_E_clISt17integral_constantIbLb0EESZ_EEDaSU_SV_EUlSU_E_NS1_11comp_targetILNS1_3genE10ELNS1_11target_archE1201ELNS1_3gpuE5ELNS1_3repE0EEENS1_30default_config_static_selectorELNS0_4arch9wavefront6targetE0EEEvT1_
	.globl	_ZN7rocprim17ROCPRIM_400000_NS6detail17trampoline_kernelINS0_14default_configENS1_27scan_by_key_config_selectorIiiEEZZNS1_16scan_by_key_implILNS1_25lookback_scan_determinismE0ELb0ES3_N6thrust23THRUST_200600_302600_NS6detail15normal_iteratorINS9_10device_ptrIiEEEESE_SE_iNS9_4plusIvEENS9_8equal_toIiEEiEE10hipError_tPvRmT2_T3_T4_T5_mT6_T7_P12ihipStream_tbENKUlT_T0_E_clISt17integral_constantIbLb0EESZ_EEDaSU_SV_EUlSU_E_NS1_11comp_targetILNS1_3genE10ELNS1_11target_archE1201ELNS1_3gpuE5ELNS1_3repE0EEENS1_30default_config_static_selectorELNS0_4arch9wavefront6targetE0EEEvT1_
	.p2align	8
	.type	_ZN7rocprim17ROCPRIM_400000_NS6detail17trampoline_kernelINS0_14default_configENS1_27scan_by_key_config_selectorIiiEEZZNS1_16scan_by_key_implILNS1_25lookback_scan_determinismE0ELb0ES3_N6thrust23THRUST_200600_302600_NS6detail15normal_iteratorINS9_10device_ptrIiEEEESE_SE_iNS9_4plusIvEENS9_8equal_toIiEEiEE10hipError_tPvRmT2_T3_T4_T5_mT6_T7_P12ihipStream_tbENKUlT_T0_E_clISt17integral_constantIbLb0EESZ_EEDaSU_SV_EUlSU_E_NS1_11comp_targetILNS1_3genE10ELNS1_11target_archE1201ELNS1_3gpuE5ELNS1_3repE0EEENS1_30default_config_static_selectorELNS0_4arch9wavefront6targetE0EEEvT1_,@function
_ZN7rocprim17ROCPRIM_400000_NS6detail17trampoline_kernelINS0_14default_configENS1_27scan_by_key_config_selectorIiiEEZZNS1_16scan_by_key_implILNS1_25lookback_scan_determinismE0ELb0ES3_N6thrust23THRUST_200600_302600_NS6detail15normal_iteratorINS9_10device_ptrIiEEEESE_SE_iNS9_4plusIvEENS9_8equal_toIiEEiEE10hipError_tPvRmT2_T3_T4_T5_mT6_T7_P12ihipStream_tbENKUlT_T0_E_clISt17integral_constantIbLb0EESZ_EEDaSU_SV_EUlSU_E_NS1_11comp_targetILNS1_3genE10ELNS1_11target_archE1201ELNS1_3gpuE5ELNS1_3repE0EEENS1_30default_config_static_selectorELNS0_4arch9wavefront6targetE0EEEvT1_: ; @_ZN7rocprim17ROCPRIM_400000_NS6detail17trampoline_kernelINS0_14default_configENS1_27scan_by_key_config_selectorIiiEEZZNS1_16scan_by_key_implILNS1_25lookback_scan_determinismE0ELb0ES3_N6thrust23THRUST_200600_302600_NS6detail15normal_iteratorINS9_10device_ptrIiEEEESE_SE_iNS9_4plusIvEENS9_8equal_toIiEEiEE10hipError_tPvRmT2_T3_T4_T5_mT6_T7_P12ihipStream_tbENKUlT_T0_E_clISt17integral_constantIbLb0EESZ_EEDaSU_SV_EUlSU_E_NS1_11comp_targetILNS1_3genE10ELNS1_11target_archE1201ELNS1_3gpuE5ELNS1_3repE0EEENS1_30default_config_static_selectorELNS0_4arch9wavefront6targetE0EEEvT1_
; %bb.0:
	.section	.rodata,"a",@progbits
	.p2align	6, 0x0
	.amdhsa_kernel _ZN7rocprim17ROCPRIM_400000_NS6detail17trampoline_kernelINS0_14default_configENS1_27scan_by_key_config_selectorIiiEEZZNS1_16scan_by_key_implILNS1_25lookback_scan_determinismE0ELb0ES3_N6thrust23THRUST_200600_302600_NS6detail15normal_iteratorINS9_10device_ptrIiEEEESE_SE_iNS9_4plusIvEENS9_8equal_toIiEEiEE10hipError_tPvRmT2_T3_T4_T5_mT6_T7_P12ihipStream_tbENKUlT_T0_E_clISt17integral_constantIbLb0EESZ_EEDaSU_SV_EUlSU_E_NS1_11comp_targetILNS1_3genE10ELNS1_11target_archE1201ELNS1_3gpuE5ELNS1_3repE0EEENS1_30default_config_static_selectorELNS0_4arch9wavefront6targetE0EEEvT1_
		.amdhsa_group_segment_fixed_size 0
		.amdhsa_private_segment_fixed_size 0
		.amdhsa_kernarg_size 112
		.amdhsa_user_sgpr_count 2
		.amdhsa_user_sgpr_dispatch_ptr 0
		.amdhsa_user_sgpr_queue_ptr 0
		.amdhsa_user_sgpr_kernarg_segment_ptr 1
		.amdhsa_user_sgpr_dispatch_id 0
		.amdhsa_user_sgpr_kernarg_preload_length 0
		.amdhsa_user_sgpr_kernarg_preload_offset 0
		.amdhsa_user_sgpr_private_segment_size 0
		.amdhsa_wavefront_size32 1
		.amdhsa_uses_dynamic_stack 0
		.amdhsa_enable_private_segment 0
		.amdhsa_system_sgpr_workgroup_id_x 1
		.amdhsa_system_sgpr_workgroup_id_y 0
		.amdhsa_system_sgpr_workgroup_id_z 0
		.amdhsa_system_sgpr_workgroup_info 0
		.amdhsa_system_vgpr_workitem_id 0
		.amdhsa_next_free_vgpr 1
		.amdhsa_next_free_sgpr 1
		.amdhsa_named_barrier_count 0
		.amdhsa_reserve_vcc 0
		.amdhsa_float_round_mode_32 0
		.amdhsa_float_round_mode_16_64 0
		.amdhsa_float_denorm_mode_32 3
		.amdhsa_float_denorm_mode_16_64 3
		.amdhsa_fp16_overflow 0
		.amdhsa_memory_ordered 1
		.amdhsa_forward_progress 1
		.amdhsa_inst_pref_size 0
		.amdhsa_round_robin_scheduling 0
		.amdhsa_exception_fp_ieee_invalid_op 0
		.amdhsa_exception_fp_denorm_src 0
		.amdhsa_exception_fp_ieee_div_zero 0
		.amdhsa_exception_fp_ieee_overflow 0
		.amdhsa_exception_fp_ieee_underflow 0
		.amdhsa_exception_fp_ieee_inexact 0
		.amdhsa_exception_int_div_zero 0
	.end_amdhsa_kernel
	.section	.text._ZN7rocprim17ROCPRIM_400000_NS6detail17trampoline_kernelINS0_14default_configENS1_27scan_by_key_config_selectorIiiEEZZNS1_16scan_by_key_implILNS1_25lookback_scan_determinismE0ELb0ES3_N6thrust23THRUST_200600_302600_NS6detail15normal_iteratorINS9_10device_ptrIiEEEESE_SE_iNS9_4plusIvEENS9_8equal_toIiEEiEE10hipError_tPvRmT2_T3_T4_T5_mT6_T7_P12ihipStream_tbENKUlT_T0_E_clISt17integral_constantIbLb0EESZ_EEDaSU_SV_EUlSU_E_NS1_11comp_targetILNS1_3genE10ELNS1_11target_archE1201ELNS1_3gpuE5ELNS1_3repE0EEENS1_30default_config_static_selectorELNS0_4arch9wavefront6targetE0EEEvT1_,"axG",@progbits,_ZN7rocprim17ROCPRIM_400000_NS6detail17trampoline_kernelINS0_14default_configENS1_27scan_by_key_config_selectorIiiEEZZNS1_16scan_by_key_implILNS1_25lookback_scan_determinismE0ELb0ES3_N6thrust23THRUST_200600_302600_NS6detail15normal_iteratorINS9_10device_ptrIiEEEESE_SE_iNS9_4plusIvEENS9_8equal_toIiEEiEE10hipError_tPvRmT2_T3_T4_T5_mT6_T7_P12ihipStream_tbENKUlT_T0_E_clISt17integral_constantIbLb0EESZ_EEDaSU_SV_EUlSU_E_NS1_11comp_targetILNS1_3genE10ELNS1_11target_archE1201ELNS1_3gpuE5ELNS1_3repE0EEENS1_30default_config_static_selectorELNS0_4arch9wavefront6targetE0EEEvT1_,comdat
.Lfunc_end201:
	.size	_ZN7rocprim17ROCPRIM_400000_NS6detail17trampoline_kernelINS0_14default_configENS1_27scan_by_key_config_selectorIiiEEZZNS1_16scan_by_key_implILNS1_25lookback_scan_determinismE0ELb0ES3_N6thrust23THRUST_200600_302600_NS6detail15normal_iteratorINS9_10device_ptrIiEEEESE_SE_iNS9_4plusIvEENS9_8equal_toIiEEiEE10hipError_tPvRmT2_T3_T4_T5_mT6_T7_P12ihipStream_tbENKUlT_T0_E_clISt17integral_constantIbLb0EESZ_EEDaSU_SV_EUlSU_E_NS1_11comp_targetILNS1_3genE10ELNS1_11target_archE1201ELNS1_3gpuE5ELNS1_3repE0EEENS1_30default_config_static_selectorELNS0_4arch9wavefront6targetE0EEEvT1_, .Lfunc_end201-_ZN7rocprim17ROCPRIM_400000_NS6detail17trampoline_kernelINS0_14default_configENS1_27scan_by_key_config_selectorIiiEEZZNS1_16scan_by_key_implILNS1_25lookback_scan_determinismE0ELb0ES3_N6thrust23THRUST_200600_302600_NS6detail15normal_iteratorINS9_10device_ptrIiEEEESE_SE_iNS9_4plusIvEENS9_8equal_toIiEEiEE10hipError_tPvRmT2_T3_T4_T5_mT6_T7_P12ihipStream_tbENKUlT_T0_E_clISt17integral_constantIbLb0EESZ_EEDaSU_SV_EUlSU_E_NS1_11comp_targetILNS1_3genE10ELNS1_11target_archE1201ELNS1_3gpuE5ELNS1_3repE0EEENS1_30default_config_static_selectorELNS0_4arch9wavefront6targetE0EEEvT1_
                                        ; -- End function
	.set _ZN7rocprim17ROCPRIM_400000_NS6detail17trampoline_kernelINS0_14default_configENS1_27scan_by_key_config_selectorIiiEEZZNS1_16scan_by_key_implILNS1_25lookback_scan_determinismE0ELb0ES3_N6thrust23THRUST_200600_302600_NS6detail15normal_iteratorINS9_10device_ptrIiEEEESE_SE_iNS9_4plusIvEENS9_8equal_toIiEEiEE10hipError_tPvRmT2_T3_T4_T5_mT6_T7_P12ihipStream_tbENKUlT_T0_E_clISt17integral_constantIbLb0EESZ_EEDaSU_SV_EUlSU_E_NS1_11comp_targetILNS1_3genE10ELNS1_11target_archE1201ELNS1_3gpuE5ELNS1_3repE0EEENS1_30default_config_static_selectorELNS0_4arch9wavefront6targetE0EEEvT1_.num_vgpr, 0
	.set _ZN7rocprim17ROCPRIM_400000_NS6detail17trampoline_kernelINS0_14default_configENS1_27scan_by_key_config_selectorIiiEEZZNS1_16scan_by_key_implILNS1_25lookback_scan_determinismE0ELb0ES3_N6thrust23THRUST_200600_302600_NS6detail15normal_iteratorINS9_10device_ptrIiEEEESE_SE_iNS9_4plusIvEENS9_8equal_toIiEEiEE10hipError_tPvRmT2_T3_T4_T5_mT6_T7_P12ihipStream_tbENKUlT_T0_E_clISt17integral_constantIbLb0EESZ_EEDaSU_SV_EUlSU_E_NS1_11comp_targetILNS1_3genE10ELNS1_11target_archE1201ELNS1_3gpuE5ELNS1_3repE0EEENS1_30default_config_static_selectorELNS0_4arch9wavefront6targetE0EEEvT1_.num_agpr, 0
	.set _ZN7rocprim17ROCPRIM_400000_NS6detail17trampoline_kernelINS0_14default_configENS1_27scan_by_key_config_selectorIiiEEZZNS1_16scan_by_key_implILNS1_25lookback_scan_determinismE0ELb0ES3_N6thrust23THRUST_200600_302600_NS6detail15normal_iteratorINS9_10device_ptrIiEEEESE_SE_iNS9_4plusIvEENS9_8equal_toIiEEiEE10hipError_tPvRmT2_T3_T4_T5_mT6_T7_P12ihipStream_tbENKUlT_T0_E_clISt17integral_constantIbLb0EESZ_EEDaSU_SV_EUlSU_E_NS1_11comp_targetILNS1_3genE10ELNS1_11target_archE1201ELNS1_3gpuE5ELNS1_3repE0EEENS1_30default_config_static_selectorELNS0_4arch9wavefront6targetE0EEEvT1_.numbered_sgpr, 0
	.set _ZN7rocprim17ROCPRIM_400000_NS6detail17trampoline_kernelINS0_14default_configENS1_27scan_by_key_config_selectorIiiEEZZNS1_16scan_by_key_implILNS1_25lookback_scan_determinismE0ELb0ES3_N6thrust23THRUST_200600_302600_NS6detail15normal_iteratorINS9_10device_ptrIiEEEESE_SE_iNS9_4plusIvEENS9_8equal_toIiEEiEE10hipError_tPvRmT2_T3_T4_T5_mT6_T7_P12ihipStream_tbENKUlT_T0_E_clISt17integral_constantIbLb0EESZ_EEDaSU_SV_EUlSU_E_NS1_11comp_targetILNS1_3genE10ELNS1_11target_archE1201ELNS1_3gpuE5ELNS1_3repE0EEENS1_30default_config_static_selectorELNS0_4arch9wavefront6targetE0EEEvT1_.num_named_barrier, 0
	.set _ZN7rocprim17ROCPRIM_400000_NS6detail17trampoline_kernelINS0_14default_configENS1_27scan_by_key_config_selectorIiiEEZZNS1_16scan_by_key_implILNS1_25lookback_scan_determinismE0ELb0ES3_N6thrust23THRUST_200600_302600_NS6detail15normal_iteratorINS9_10device_ptrIiEEEESE_SE_iNS9_4plusIvEENS9_8equal_toIiEEiEE10hipError_tPvRmT2_T3_T4_T5_mT6_T7_P12ihipStream_tbENKUlT_T0_E_clISt17integral_constantIbLb0EESZ_EEDaSU_SV_EUlSU_E_NS1_11comp_targetILNS1_3genE10ELNS1_11target_archE1201ELNS1_3gpuE5ELNS1_3repE0EEENS1_30default_config_static_selectorELNS0_4arch9wavefront6targetE0EEEvT1_.private_seg_size, 0
	.set _ZN7rocprim17ROCPRIM_400000_NS6detail17trampoline_kernelINS0_14default_configENS1_27scan_by_key_config_selectorIiiEEZZNS1_16scan_by_key_implILNS1_25lookback_scan_determinismE0ELb0ES3_N6thrust23THRUST_200600_302600_NS6detail15normal_iteratorINS9_10device_ptrIiEEEESE_SE_iNS9_4plusIvEENS9_8equal_toIiEEiEE10hipError_tPvRmT2_T3_T4_T5_mT6_T7_P12ihipStream_tbENKUlT_T0_E_clISt17integral_constantIbLb0EESZ_EEDaSU_SV_EUlSU_E_NS1_11comp_targetILNS1_3genE10ELNS1_11target_archE1201ELNS1_3gpuE5ELNS1_3repE0EEENS1_30default_config_static_selectorELNS0_4arch9wavefront6targetE0EEEvT1_.uses_vcc, 0
	.set _ZN7rocprim17ROCPRIM_400000_NS6detail17trampoline_kernelINS0_14default_configENS1_27scan_by_key_config_selectorIiiEEZZNS1_16scan_by_key_implILNS1_25lookback_scan_determinismE0ELb0ES3_N6thrust23THRUST_200600_302600_NS6detail15normal_iteratorINS9_10device_ptrIiEEEESE_SE_iNS9_4plusIvEENS9_8equal_toIiEEiEE10hipError_tPvRmT2_T3_T4_T5_mT6_T7_P12ihipStream_tbENKUlT_T0_E_clISt17integral_constantIbLb0EESZ_EEDaSU_SV_EUlSU_E_NS1_11comp_targetILNS1_3genE10ELNS1_11target_archE1201ELNS1_3gpuE5ELNS1_3repE0EEENS1_30default_config_static_selectorELNS0_4arch9wavefront6targetE0EEEvT1_.uses_flat_scratch, 0
	.set _ZN7rocprim17ROCPRIM_400000_NS6detail17trampoline_kernelINS0_14default_configENS1_27scan_by_key_config_selectorIiiEEZZNS1_16scan_by_key_implILNS1_25lookback_scan_determinismE0ELb0ES3_N6thrust23THRUST_200600_302600_NS6detail15normal_iteratorINS9_10device_ptrIiEEEESE_SE_iNS9_4plusIvEENS9_8equal_toIiEEiEE10hipError_tPvRmT2_T3_T4_T5_mT6_T7_P12ihipStream_tbENKUlT_T0_E_clISt17integral_constantIbLb0EESZ_EEDaSU_SV_EUlSU_E_NS1_11comp_targetILNS1_3genE10ELNS1_11target_archE1201ELNS1_3gpuE5ELNS1_3repE0EEENS1_30default_config_static_selectorELNS0_4arch9wavefront6targetE0EEEvT1_.has_dyn_sized_stack, 0
	.set _ZN7rocprim17ROCPRIM_400000_NS6detail17trampoline_kernelINS0_14default_configENS1_27scan_by_key_config_selectorIiiEEZZNS1_16scan_by_key_implILNS1_25lookback_scan_determinismE0ELb0ES3_N6thrust23THRUST_200600_302600_NS6detail15normal_iteratorINS9_10device_ptrIiEEEESE_SE_iNS9_4plusIvEENS9_8equal_toIiEEiEE10hipError_tPvRmT2_T3_T4_T5_mT6_T7_P12ihipStream_tbENKUlT_T0_E_clISt17integral_constantIbLb0EESZ_EEDaSU_SV_EUlSU_E_NS1_11comp_targetILNS1_3genE10ELNS1_11target_archE1201ELNS1_3gpuE5ELNS1_3repE0EEENS1_30default_config_static_selectorELNS0_4arch9wavefront6targetE0EEEvT1_.has_recursion, 0
	.set _ZN7rocprim17ROCPRIM_400000_NS6detail17trampoline_kernelINS0_14default_configENS1_27scan_by_key_config_selectorIiiEEZZNS1_16scan_by_key_implILNS1_25lookback_scan_determinismE0ELb0ES3_N6thrust23THRUST_200600_302600_NS6detail15normal_iteratorINS9_10device_ptrIiEEEESE_SE_iNS9_4plusIvEENS9_8equal_toIiEEiEE10hipError_tPvRmT2_T3_T4_T5_mT6_T7_P12ihipStream_tbENKUlT_T0_E_clISt17integral_constantIbLb0EESZ_EEDaSU_SV_EUlSU_E_NS1_11comp_targetILNS1_3genE10ELNS1_11target_archE1201ELNS1_3gpuE5ELNS1_3repE0EEENS1_30default_config_static_selectorELNS0_4arch9wavefront6targetE0EEEvT1_.has_indirect_call, 0
	.section	.AMDGPU.csdata,"",@progbits
; Kernel info:
; codeLenInByte = 0
; TotalNumSgprs: 0
; NumVgprs: 0
; ScratchSize: 0
; MemoryBound: 0
; FloatMode: 240
; IeeeMode: 1
; LDSByteSize: 0 bytes/workgroup (compile time only)
; SGPRBlocks: 0
; VGPRBlocks: 0
; NumSGPRsForWavesPerEU: 1
; NumVGPRsForWavesPerEU: 1
; NamedBarCnt: 0
; Occupancy: 16
; WaveLimiterHint : 0
; COMPUTE_PGM_RSRC2:SCRATCH_EN: 0
; COMPUTE_PGM_RSRC2:USER_SGPR: 2
; COMPUTE_PGM_RSRC2:TRAP_HANDLER: 0
; COMPUTE_PGM_RSRC2:TGID_X_EN: 1
; COMPUTE_PGM_RSRC2:TGID_Y_EN: 0
; COMPUTE_PGM_RSRC2:TGID_Z_EN: 0
; COMPUTE_PGM_RSRC2:TIDIG_COMP_CNT: 0
	.section	.text._ZN7rocprim17ROCPRIM_400000_NS6detail17trampoline_kernelINS0_14default_configENS1_27scan_by_key_config_selectorIiiEEZZNS1_16scan_by_key_implILNS1_25lookback_scan_determinismE0ELb0ES3_N6thrust23THRUST_200600_302600_NS6detail15normal_iteratorINS9_10device_ptrIiEEEESE_SE_iNS9_4plusIvEENS9_8equal_toIiEEiEE10hipError_tPvRmT2_T3_T4_T5_mT6_T7_P12ihipStream_tbENKUlT_T0_E_clISt17integral_constantIbLb0EESZ_EEDaSU_SV_EUlSU_E_NS1_11comp_targetILNS1_3genE5ELNS1_11target_archE942ELNS1_3gpuE9ELNS1_3repE0EEENS1_30default_config_static_selectorELNS0_4arch9wavefront6targetE0EEEvT1_,"axG",@progbits,_ZN7rocprim17ROCPRIM_400000_NS6detail17trampoline_kernelINS0_14default_configENS1_27scan_by_key_config_selectorIiiEEZZNS1_16scan_by_key_implILNS1_25lookback_scan_determinismE0ELb0ES3_N6thrust23THRUST_200600_302600_NS6detail15normal_iteratorINS9_10device_ptrIiEEEESE_SE_iNS9_4plusIvEENS9_8equal_toIiEEiEE10hipError_tPvRmT2_T3_T4_T5_mT6_T7_P12ihipStream_tbENKUlT_T0_E_clISt17integral_constantIbLb0EESZ_EEDaSU_SV_EUlSU_E_NS1_11comp_targetILNS1_3genE5ELNS1_11target_archE942ELNS1_3gpuE9ELNS1_3repE0EEENS1_30default_config_static_selectorELNS0_4arch9wavefront6targetE0EEEvT1_,comdat
	.protected	_ZN7rocprim17ROCPRIM_400000_NS6detail17trampoline_kernelINS0_14default_configENS1_27scan_by_key_config_selectorIiiEEZZNS1_16scan_by_key_implILNS1_25lookback_scan_determinismE0ELb0ES3_N6thrust23THRUST_200600_302600_NS6detail15normal_iteratorINS9_10device_ptrIiEEEESE_SE_iNS9_4plusIvEENS9_8equal_toIiEEiEE10hipError_tPvRmT2_T3_T4_T5_mT6_T7_P12ihipStream_tbENKUlT_T0_E_clISt17integral_constantIbLb0EESZ_EEDaSU_SV_EUlSU_E_NS1_11comp_targetILNS1_3genE5ELNS1_11target_archE942ELNS1_3gpuE9ELNS1_3repE0EEENS1_30default_config_static_selectorELNS0_4arch9wavefront6targetE0EEEvT1_ ; -- Begin function _ZN7rocprim17ROCPRIM_400000_NS6detail17trampoline_kernelINS0_14default_configENS1_27scan_by_key_config_selectorIiiEEZZNS1_16scan_by_key_implILNS1_25lookback_scan_determinismE0ELb0ES3_N6thrust23THRUST_200600_302600_NS6detail15normal_iteratorINS9_10device_ptrIiEEEESE_SE_iNS9_4plusIvEENS9_8equal_toIiEEiEE10hipError_tPvRmT2_T3_T4_T5_mT6_T7_P12ihipStream_tbENKUlT_T0_E_clISt17integral_constantIbLb0EESZ_EEDaSU_SV_EUlSU_E_NS1_11comp_targetILNS1_3genE5ELNS1_11target_archE942ELNS1_3gpuE9ELNS1_3repE0EEENS1_30default_config_static_selectorELNS0_4arch9wavefront6targetE0EEEvT1_
	.globl	_ZN7rocprim17ROCPRIM_400000_NS6detail17trampoline_kernelINS0_14default_configENS1_27scan_by_key_config_selectorIiiEEZZNS1_16scan_by_key_implILNS1_25lookback_scan_determinismE0ELb0ES3_N6thrust23THRUST_200600_302600_NS6detail15normal_iteratorINS9_10device_ptrIiEEEESE_SE_iNS9_4plusIvEENS9_8equal_toIiEEiEE10hipError_tPvRmT2_T3_T4_T5_mT6_T7_P12ihipStream_tbENKUlT_T0_E_clISt17integral_constantIbLb0EESZ_EEDaSU_SV_EUlSU_E_NS1_11comp_targetILNS1_3genE5ELNS1_11target_archE942ELNS1_3gpuE9ELNS1_3repE0EEENS1_30default_config_static_selectorELNS0_4arch9wavefront6targetE0EEEvT1_
	.p2align	8
	.type	_ZN7rocprim17ROCPRIM_400000_NS6detail17trampoline_kernelINS0_14default_configENS1_27scan_by_key_config_selectorIiiEEZZNS1_16scan_by_key_implILNS1_25lookback_scan_determinismE0ELb0ES3_N6thrust23THRUST_200600_302600_NS6detail15normal_iteratorINS9_10device_ptrIiEEEESE_SE_iNS9_4plusIvEENS9_8equal_toIiEEiEE10hipError_tPvRmT2_T3_T4_T5_mT6_T7_P12ihipStream_tbENKUlT_T0_E_clISt17integral_constantIbLb0EESZ_EEDaSU_SV_EUlSU_E_NS1_11comp_targetILNS1_3genE5ELNS1_11target_archE942ELNS1_3gpuE9ELNS1_3repE0EEENS1_30default_config_static_selectorELNS0_4arch9wavefront6targetE0EEEvT1_,@function
_ZN7rocprim17ROCPRIM_400000_NS6detail17trampoline_kernelINS0_14default_configENS1_27scan_by_key_config_selectorIiiEEZZNS1_16scan_by_key_implILNS1_25lookback_scan_determinismE0ELb0ES3_N6thrust23THRUST_200600_302600_NS6detail15normal_iteratorINS9_10device_ptrIiEEEESE_SE_iNS9_4plusIvEENS9_8equal_toIiEEiEE10hipError_tPvRmT2_T3_T4_T5_mT6_T7_P12ihipStream_tbENKUlT_T0_E_clISt17integral_constantIbLb0EESZ_EEDaSU_SV_EUlSU_E_NS1_11comp_targetILNS1_3genE5ELNS1_11target_archE942ELNS1_3gpuE9ELNS1_3repE0EEENS1_30default_config_static_selectorELNS0_4arch9wavefront6targetE0EEEvT1_: ; @_ZN7rocprim17ROCPRIM_400000_NS6detail17trampoline_kernelINS0_14default_configENS1_27scan_by_key_config_selectorIiiEEZZNS1_16scan_by_key_implILNS1_25lookback_scan_determinismE0ELb0ES3_N6thrust23THRUST_200600_302600_NS6detail15normal_iteratorINS9_10device_ptrIiEEEESE_SE_iNS9_4plusIvEENS9_8equal_toIiEEiEE10hipError_tPvRmT2_T3_T4_T5_mT6_T7_P12ihipStream_tbENKUlT_T0_E_clISt17integral_constantIbLb0EESZ_EEDaSU_SV_EUlSU_E_NS1_11comp_targetILNS1_3genE5ELNS1_11target_archE942ELNS1_3gpuE9ELNS1_3repE0EEENS1_30default_config_static_selectorELNS0_4arch9wavefront6targetE0EEEvT1_
; %bb.0:
	.section	.rodata,"a",@progbits
	.p2align	6, 0x0
	.amdhsa_kernel _ZN7rocprim17ROCPRIM_400000_NS6detail17trampoline_kernelINS0_14default_configENS1_27scan_by_key_config_selectorIiiEEZZNS1_16scan_by_key_implILNS1_25lookback_scan_determinismE0ELb0ES3_N6thrust23THRUST_200600_302600_NS6detail15normal_iteratorINS9_10device_ptrIiEEEESE_SE_iNS9_4plusIvEENS9_8equal_toIiEEiEE10hipError_tPvRmT2_T3_T4_T5_mT6_T7_P12ihipStream_tbENKUlT_T0_E_clISt17integral_constantIbLb0EESZ_EEDaSU_SV_EUlSU_E_NS1_11comp_targetILNS1_3genE5ELNS1_11target_archE942ELNS1_3gpuE9ELNS1_3repE0EEENS1_30default_config_static_selectorELNS0_4arch9wavefront6targetE0EEEvT1_
		.amdhsa_group_segment_fixed_size 0
		.amdhsa_private_segment_fixed_size 0
		.amdhsa_kernarg_size 112
		.amdhsa_user_sgpr_count 2
		.amdhsa_user_sgpr_dispatch_ptr 0
		.amdhsa_user_sgpr_queue_ptr 0
		.amdhsa_user_sgpr_kernarg_segment_ptr 1
		.amdhsa_user_sgpr_dispatch_id 0
		.amdhsa_user_sgpr_kernarg_preload_length 0
		.amdhsa_user_sgpr_kernarg_preload_offset 0
		.amdhsa_user_sgpr_private_segment_size 0
		.amdhsa_wavefront_size32 1
		.amdhsa_uses_dynamic_stack 0
		.amdhsa_enable_private_segment 0
		.amdhsa_system_sgpr_workgroup_id_x 1
		.amdhsa_system_sgpr_workgroup_id_y 0
		.amdhsa_system_sgpr_workgroup_id_z 0
		.amdhsa_system_sgpr_workgroup_info 0
		.amdhsa_system_vgpr_workitem_id 0
		.amdhsa_next_free_vgpr 1
		.amdhsa_next_free_sgpr 1
		.amdhsa_named_barrier_count 0
		.amdhsa_reserve_vcc 0
		.amdhsa_float_round_mode_32 0
		.amdhsa_float_round_mode_16_64 0
		.amdhsa_float_denorm_mode_32 3
		.amdhsa_float_denorm_mode_16_64 3
		.amdhsa_fp16_overflow 0
		.amdhsa_memory_ordered 1
		.amdhsa_forward_progress 1
		.amdhsa_inst_pref_size 0
		.amdhsa_round_robin_scheduling 0
		.amdhsa_exception_fp_ieee_invalid_op 0
		.amdhsa_exception_fp_denorm_src 0
		.amdhsa_exception_fp_ieee_div_zero 0
		.amdhsa_exception_fp_ieee_overflow 0
		.amdhsa_exception_fp_ieee_underflow 0
		.amdhsa_exception_fp_ieee_inexact 0
		.amdhsa_exception_int_div_zero 0
	.end_amdhsa_kernel
	.section	.text._ZN7rocprim17ROCPRIM_400000_NS6detail17trampoline_kernelINS0_14default_configENS1_27scan_by_key_config_selectorIiiEEZZNS1_16scan_by_key_implILNS1_25lookback_scan_determinismE0ELb0ES3_N6thrust23THRUST_200600_302600_NS6detail15normal_iteratorINS9_10device_ptrIiEEEESE_SE_iNS9_4plusIvEENS9_8equal_toIiEEiEE10hipError_tPvRmT2_T3_T4_T5_mT6_T7_P12ihipStream_tbENKUlT_T0_E_clISt17integral_constantIbLb0EESZ_EEDaSU_SV_EUlSU_E_NS1_11comp_targetILNS1_3genE5ELNS1_11target_archE942ELNS1_3gpuE9ELNS1_3repE0EEENS1_30default_config_static_selectorELNS0_4arch9wavefront6targetE0EEEvT1_,"axG",@progbits,_ZN7rocprim17ROCPRIM_400000_NS6detail17trampoline_kernelINS0_14default_configENS1_27scan_by_key_config_selectorIiiEEZZNS1_16scan_by_key_implILNS1_25lookback_scan_determinismE0ELb0ES3_N6thrust23THRUST_200600_302600_NS6detail15normal_iteratorINS9_10device_ptrIiEEEESE_SE_iNS9_4plusIvEENS9_8equal_toIiEEiEE10hipError_tPvRmT2_T3_T4_T5_mT6_T7_P12ihipStream_tbENKUlT_T0_E_clISt17integral_constantIbLb0EESZ_EEDaSU_SV_EUlSU_E_NS1_11comp_targetILNS1_3genE5ELNS1_11target_archE942ELNS1_3gpuE9ELNS1_3repE0EEENS1_30default_config_static_selectorELNS0_4arch9wavefront6targetE0EEEvT1_,comdat
.Lfunc_end202:
	.size	_ZN7rocprim17ROCPRIM_400000_NS6detail17trampoline_kernelINS0_14default_configENS1_27scan_by_key_config_selectorIiiEEZZNS1_16scan_by_key_implILNS1_25lookback_scan_determinismE0ELb0ES3_N6thrust23THRUST_200600_302600_NS6detail15normal_iteratorINS9_10device_ptrIiEEEESE_SE_iNS9_4plusIvEENS9_8equal_toIiEEiEE10hipError_tPvRmT2_T3_T4_T5_mT6_T7_P12ihipStream_tbENKUlT_T0_E_clISt17integral_constantIbLb0EESZ_EEDaSU_SV_EUlSU_E_NS1_11comp_targetILNS1_3genE5ELNS1_11target_archE942ELNS1_3gpuE9ELNS1_3repE0EEENS1_30default_config_static_selectorELNS0_4arch9wavefront6targetE0EEEvT1_, .Lfunc_end202-_ZN7rocprim17ROCPRIM_400000_NS6detail17trampoline_kernelINS0_14default_configENS1_27scan_by_key_config_selectorIiiEEZZNS1_16scan_by_key_implILNS1_25lookback_scan_determinismE0ELb0ES3_N6thrust23THRUST_200600_302600_NS6detail15normal_iteratorINS9_10device_ptrIiEEEESE_SE_iNS9_4plusIvEENS9_8equal_toIiEEiEE10hipError_tPvRmT2_T3_T4_T5_mT6_T7_P12ihipStream_tbENKUlT_T0_E_clISt17integral_constantIbLb0EESZ_EEDaSU_SV_EUlSU_E_NS1_11comp_targetILNS1_3genE5ELNS1_11target_archE942ELNS1_3gpuE9ELNS1_3repE0EEENS1_30default_config_static_selectorELNS0_4arch9wavefront6targetE0EEEvT1_
                                        ; -- End function
	.set _ZN7rocprim17ROCPRIM_400000_NS6detail17trampoline_kernelINS0_14default_configENS1_27scan_by_key_config_selectorIiiEEZZNS1_16scan_by_key_implILNS1_25lookback_scan_determinismE0ELb0ES3_N6thrust23THRUST_200600_302600_NS6detail15normal_iteratorINS9_10device_ptrIiEEEESE_SE_iNS9_4plusIvEENS9_8equal_toIiEEiEE10hipError_tPvRmT2_T3_T4_T5_mT6_T7_P12ihipStream_tbENKUlT_T0_E_clISt17integral_constantIbLb0EESZ_EEDaSU_SV_EUlSU_E_NS1_11comp_targetILNS1_3genE5ELNS1_11target_archE942ELNS1_3gpuE9ELNS1_3repE0EEENS1_30default_config_static_selectorELNS0_4arch9wavefront6targetE0EEEvT1_.num_vgpr, 0
	.set _ZN7rocprim17ROCPRIM_400000_NS6detail17trampoline_kernelINS0_14default_configENS1_27scan_by_key_config_selectorIiiEEZZNS1_16scan_by_key_implILNS1_25lookback_scan_determinismE0ELb0ES3_N6thrust23THRUST_200600_302600_NS6detail15normal_iteratorINS9_10device_ptrIiEEEESE_SE_iNS9_4plusIvEENS9_8equal_toIiEEiEE10hipError_tPvRmT2_T3_T4_T5_mT6_T7_P12ihipStream_tbENKUlT_T0_E_clISt17integral_constantIbLb0EESZ_EEDaSU_SV_EUlSU_E_NS1_11comp_targetILNS1_3genE5ELNS1_11target_archE942ELNS1_3gpuE9ELNS1_3repE0EEENS1_30default_config_static_selectorELNS0_4arch9wavefront6targetE0EEEvT1_.num_agpr, 0
	.set _ZN7rocprim17ROCPRIM_400000_NS6detail17trampoline_kernelINS0_14default_configENS1_27scan_by_key_config_selectorIiiEEZZNS1_16scan_by_key_implILNS1_25lookback_scan_determinismE0ELb0ES3_N6thrust23THRUST_200600_302600_NS6detail15normal_iteratorINS9_10device_ptrIiEEEESE_SE_iNS9_4plusIvEENS9_8equal_toIiEEiEE10hipError_tPvRmT2_T3_T4_T5_mT6_T7_P12ihipStream_tbENKUlT_T0_E_clISt17integral_constantIbLb0EESZ_EEDaSU_SV_EUlSU_E_NS1_11comp_targetILNS1_3genE5ELNS1_11target_archE942ELNS1_3gpuE9ELNS1_3repE0EEENS1_30default_config_static_selectorELNS0_4arch9wavefront6targetE0EEEvT1_.numbered_sgpr, 0
	.set _ZN7rocprim17ROCPRIM_400000_NS6detail17trampoline_kernelINS0_14default_configENS1_27scan_by_key_config_selectorIiiEEZZNS1_16scan_by_key_implILNS1_25lookback_scan_determinismE0ELb0ES3_N6thrust23THRUST_200600_302600_NS6detail15normal_iteratorINS9_10device_ptrIiEEEESE_SE_iNS9_4plusIvEENS9_8equal_toIiEEiEE10hipError_tPvRmT2_T3_T4_T5_mT6_T7_P12ihipStream_tbENKUlT_T0_E_clISt17integral_constantIbLb0EESZ_EEDaSU_SV_EUlSU_E_NS1_11comp_targetILNS1_3genE5ELNS1_11target_archE942ELNS1_3gpuE9ELNS1_3repE0EEENS1_30default_config_static_selectorELNS0_4arch9wavefront6targetE0EEEvT1_.num_named_barrier, 0
	.set _ZN7rocprim17ROCPRIM_400000_NS6detail17trampoline_kernelINS0_14default_configENS1_27scan_by_key_config_selectorIiiEEZZNS1_16scan_by_key_implILNS1_25lookback_scan_determinismE0ELb0ES3_N6thrust23THRUST_200600_302600_NS6detail15normal_iteratorINS9_10device_ptrIiEEEESE_SE_iNS9_4plusIvEENS9_8equal_toIiEEiEE10hipError_tPvRmT2_T3_T4_T5_mT6_T7_P12ihipStream_tbENKUlT_T0_E_clISt17integral_constantIbLb0EESZ_EEDaSU_SV_EUlSU_E_NS1_11comp_targetILNS1_3genE5ELNS1_11target_archE942ELNS1_3gpuE9ELNS1_3repE0EEENS1_30default_config_static_selectorELNS0_4arch9wavefront6targetE0EEEvT1_.private_seg_size, 0
	.set _ZN7rocprim17ROCPRIM_400000_NS6detail17trampoline_kernelINS0_14default_configENS1_27scan_by_key_config_selectorIiiEEZZNS1_16scan_by_key_implILNS1_25lookback_scan_determinismE0ELb0ES3_N6thrust23THRUST_200600_302600_NS6detail15normal_iteratorINS9_10device_ptrIiEEEESE_SE_iNS9_4plusIvEENS9_8equal_toIiEEiEE10hipError_tPvRmT2_T3_T4_T5_mT6_T7_P12ihipStream_tbENKUlT_T0_E_clISt17integral_constantIbLb0EESZ_EEDaSU_SV_EUlSU_E_NS1_11comp_targetILNS1_3genE5ELNS1_11target_archE942ELNS1_3gpuE9ELNS1_3repE0EEENS1_30default_config_static_selectorELNS0_4arch9wavefront6targetE0EEEvT1_.uses_vcc, 0
	.set _ZN7rocprim17ROCPRIM_400000_NS6detail17trampoline_kernelINS0_14default_configENS1_27scan_by_key_config_selectorIiiEEZZNS1_16scan_by_key_implILNS1_25lookback_scan_determinismE0ELb0ES3_N6thrust23THRUST_200600_302600_NS6detail15normal_iteratorINS9_10device_ptrIiEEEESE_SE_iNS9_4plusIvEENS9_8equal_toIiEEiEE10hipError_tPvRmT2_T3_T4_T5_mT6_T7_P12ihipStream_tbENKUlT_T0_E_clISt17integral_constantIbLb0EESZ_EEDaSU_SV_EUlSU_E_NS1_11comp_targetILNS1_3genE5ELNS1_11target_archE942ELNS1_3gpuE9ELNS1_3repE0EEENS1_30default_config_static_selectorELNS0_4arch9wavefront6targetE0EEEvT1_.uses_flat_scratch, 0
	.set _ZN7rocprim17ROCPRIM_400000_NS6detail17trampoline_kernelINS0_14default_configENS1_27scan_by_key_config_selectorIiiEEZZNS1_16scan_by_key_implILNS1_25lookback_scan_determinismE0ELb0ES3_N6thrust23THRUST_200600_302600_NS6detail15normal_iteratorINS9_10device_ptrIiEEEESE_SE_iNS9_4plusIvEENS9_8equal_toIiEEiEE10hipError_tPvRmT2_T3_T4_T5_mT6_T7_P12ihipStream_tbENKUlT_T0_E_clISt17integral_constantIbLb0EESZ_EEDaSU_SV_EUlSU_E_NS1_11comp_targetILNS1_3genE5ELNS1_11target_archE942ELNS1_3gpuE9ELNS1_3repE0EEENS1_30default_config_static_selectorELNS0_4arch9wavefront6targetE0EEEvT1_.has_dyn_sized_stack, 0
	.set _ZN7rocprim17ROCPRIM_400000_NS6detail17trampoline_kernelINS0_14default_configENS1_27scan_by_key_config_selectorIiiEEZZNS1_16scan_by_key_implILNS1_25lookback_scan_determinismE0ELb0ES3_N6thrust23THRUST_200600_302600_NS6detail15normal_iteratorINS9_10device_ptrIiEEEESE_SE_iNS9_4plusIvEENS9_8equal_toIiEEiEE10hipError_tPvRmT2_T3_T4_T5_mT6_T7_P12ihipStream_tbENKUlT_T0_E_clISt17integral_constantIbLb0EESZ_EEDaSU_SV_EUlSU_E_NS1_11comp_targetILNS1_3genE5ELNS1_11target_archE942ELNS1_3gpuE9ELNS1_3repE0EEENS1_30default_config_static_selectorELNS0_4arch9wavefront6targetE0EEEvT1_.has_recursion, 0
	.set _ZN7rocprim17ROCPRIM_400000_NS6detail17trampoline_kernelINS0_14default_configENS1_27scan_by_key_config_selectorIiiEEZZNS1_16scan_by_key_implILNS1_25lookback_scan_determinismE0ELb0ES3_N6thrust23THRUST_200600_302600_NS6detail15normal_iteratorINS9_10device_ptrIiEEEESE_SE_iNS9_4plusIvEENS9_8equal_toIiEEiEE10hipError_tPvRmT2_T3_T4_T5_mT6_T7_P12ihipStream_tbENKUlT_T0_E_clISt17integral_constantIbLb0EESZ_EEDaSU_SV_EUlSU_E_NS1_11comp_targetILNS1_3genE5ELNS1_11target_archE942ELNS1_3gpuE9ELNS1_3repE0EEENS1_30default_config_static_selectorELNS0_4arch9wavefront6targetE0EEEvT1_.has_indirect_call, 0
	.section	.AMDGPU.csdata,"",@progbits
; Kernel info:
; codeLenInByte = 0
; TotalNumSgprs: 0
; NumVgprs: 0
; ScratchSize: 0
; MemoryBound: 0
; FloatMode: 240
; IeeeMode: 1
; LDSByteSize: 0 bytes/workgroup (compile time only)
; SGPRBlocks: 0
; VGPRBlocks: 0
; NumSGPRsForWavesPerEU: 1
; NumVGPRsForWavesPerEU: 1
; NamedBarCnt: 0
; Occupancy: 16
; WaveLimiterHint : 0
; COMPUTE_PGM_RSRC2:SCRATCH_EN: 0
; COMPUTE_PGM_RSRC2:USER_SGPR: 2
; COMPUTE_PGM_RSRC2:TRAP_HANDLER: 0
; COMPUTE_PGM_RSRC2:TGID_X_EN: 1
; COMPUTE_PGM_RSRC2:TGID_Y_EN: 0
; COMPUTE_PGM_RSRC2:TGID_Z_EN: 0
; COMPUTE_PGM_RSRC2:TIDIG_COMP_CNT: 0
	.section	.text._ZN7rocprim17ROCPRIM_400000_NS6detail17trampoline_kernelINS0_14default_configENS1_27scan_by_key_config_selectorIiiEEZZNS1_16scan_by_key_implILNS1_25lookback_scan_determinismE0ELb0ES3_N6thrust23THRUST_200600_302600_NS6detail15normal_iteratorINS9_10device_ptrIiEEEESE_SE_iNS9_4plusIvEENS9_8equal_toIiEEiEE10hipError_tPvRmT2_T3_T4_T5_mT6_T7_P12ihipStream_tbENKUlT_T0_E_clISt17integral_constantIbLb0EESZ_EEDaSU_SV_EUlSU_E_NS1_11comp_targetILNS1_3genE4ELNS1_11target_archE910ELNS1_3gpuE8ELNS1_3repE0EEENS1_30default_config_static_selectorELNS0_4arch9wavefront6targetE0EEEvT1_,"axG",@progbits,_ZN7rocprim17ROCPRIM_400000_NS6detail17trampoline_kernelINS0_14default_configENS1_27scan_by_key_config_selectorIiiEEZZNS1_16scan_by_key_implILNS1_25lookback_scan_determinismE0ELb0ES3_N6thrust23THRUST_200600_302600_NS6detail15normal_iteratorINS9_10device_ptrIiEEEESE_SE_iNS9_4plusIvEENS9_8equal_toIiEEiEE10hipError_tPvRmT2_T3_T4_T5_mT6_T7_P12ihipStream_tbENKUlT_T0_E_clISt17integral_constantIbLb0EESZ_EEDaSU_SV_EUlSU_E_NS1_11comp_targetILNS1_3genE4ELNS1_11target_archE910ELNS1_3gpuE8ELNS1_3repE0EEENS1_30default_config_static_selectorELNS0_4arch9wavefront6targetE0EEEvT1_,comdat
	.protected	_ZN7rocprim17ROCPRIM_400000_NS6detail17trampoline_kernelINS0_14default_configENS1_27scan_by_key_config_selectorIiiEEZZNS1_16scan_by_key_implILNS1_25lookback_scan_determinismE0ELb0ES3_N6thrust23THRUST_200600_302600_NS6detail15normal_iteratorINS9_10device_ptrIiEEEESE_SE_iNS9_4plusIvEENS9_8equal_toIiEEiEE10hipError_tPvRmT2_T3_T4_T5_mT6_T7_P12ihipStream_tbENKUlT_T0_E_clISt17integral_constantIbLb0EESZ_EEDaSU_SV_EUlSU_E_NS1_11comp_targetILNS1_3genE4ELNS1_11target_archE910ELNS1_3gpuE8ELNS1_3repE0EEENS1_30default_config_static_selectorELNS0_4arch9wavefront6targetE0EEEvT1_ ; -- Begin function _ZN7rocprim17ROCPRIM_400000_NS6detail17trampoline_kernelINS0_14default_configENS1_27scan_by_key_config_selectorIiiEEZZNS1_16scan_by_key_implILNS1_25lookback_scan_determinismE0ELb0ES3_N6thrust23THRUST_200600_302600_NS6detail15normal_iteratorINS9_10device_ptrIiEEEESE_SE_iNS9_4plusIvEENS9_8equal_toIiEEiEE10hipError_tPvRmT2_T3_T4_T5_mT6_T7_P12ihipStream_tbENKUlT_T0_E_clISt17integral_constantIbLb0EESZ_EEDaSU_SV_EUlSU_E_NS1_11comp_targetILNS1_3genE4ELNS1_11target_archE910ELNS1_3gpuE8ELNS1_3repE0EEENS1_30default_config_static_selectorELNS0_4arch9wavefront6targetE0EEEvT1_
	.globl	_ZN7rocprim17ROCPRIM_400000_NS6detail17trampoline_kernelINS0_14default_configENS1_27scan_by_key_config_selectorIiiEEZZNS1_16scan_by_key_implILNS1_25lookback_scan_determinismE0ELb0ES3_N6thrust23THRUST_200600_302600_NS6detail15normal_iteratorINS9_10device_ptrIiEEEESE_SE_iNS9_4plusIvEENS9_8equal_toIiEEiEE10hipError_tPvRmT2_T3_T4_T5_mT6_T7_P12ihipStream_tbENKUlT_T0_E_clISt17integral_constantIbLb0EESZ_EEDaSU_SV_EUlSU_E_NS1_11comp_targetILNS1_3genE4ELNS1_11target_archE910ELNS1_3gpuE8ELNS1_3repE0EEENS1_30default_config_static_selectorELNS0_4arch9wavefront6targetE0EEEvT1_
	.p2align	8
	.type	_ZN7rocprim17ROCPRIM_400000_NS6detail17trampoline_kernelINS0_14default_configENS1_27scan_by_key_config_selectorIiiEEZZNS1_16scan_by_key_implILNS1_25lookback_scan_determinismE0ELb0ES3_N6thrust23THRUST_200600_302600_NS6detail15normal_iteratorINS9_10device_ptrIiEEEESE_SE_iNS9_4plusIvEENS9_8equal_toIiEEiEE10hipError_tPvRmT2_T3_T4_T5_mT6_T7_P12ihipStream_tbENKUlT_T0_E_clISt17integral_constantIbLb0EESZ_EEDaSU_SV_EUlSU_E_NS1_11comp_targetILNS1_3genE4ELNS1_11target_archE910ELNS1_3gpuE8ELNS1_3repE0EEENS1_30default_config_static_selectorELNS0_4arch9wavefront6targetE0EEEvT1_,@function
_ZN7rocprim17ROCPRIM_400000_NS6detail17trampoline_kernelINS0_14default_configENS1_27scan_by_key_config_selectorIiiEEZZNS1_16scan_by_key_implILNS1_25lookback_scan_determinismE0ELb0ES3_N6thrust23THRUST_200600_302600_NS6detail15normal_iteratorINS9_10device_ptrIiEEEESE_SE_iNS9_4plusIvEENS9_8equal_toIiEEiEE10hipError_tPvRmT2_T3_T4_T5_mT6_T7_P12ihipStream_tbENKUlT_T0_E_clISt17integral_constantIbLb0EESZ_EEDaSU_SV_EUlSU_E_NS1_11comp_targetILNS1_3genE4ELNS1_11target_archE910ELNS1_3gpuE8ELNS1_3repE0EEENS1_30default_config_static_selectorELNS0_4arch9wavefront6targetE0EEEvT1_: ; @_ZN7rocprim17ROCPRIM_400000_NS6detail17trampoline_kernelINS0_14default_configENS1_27scan_by_key_config_selectorIiiEEZZNS1_16scan_by_key_implILNS1_25lookback_scan_determinismE0ELb0ES3_N6thrust23THRUST_200600_302600_NS6detail15normal_iteratorINS9_10device_ptrIiEEEESE_SE_iNS9_4plusIvEENS9_8equal_toIiEEiEE10hipError_tPvRmT2_T3_T4_T5_mT6_T7_P12ihipStream_tbENKUlT_T0_E_clISt17integral_constantIbLb0EESZ_EEDaSU_SV_EUlSU_E_NS1_11comp_targetILNS1_3genE4ELNS1_11target_archE910ELNS1_3gpuE8ELNS1_3repE0EEENS1_30default_config_static_selectorELNS0_4arch9wavefront6targetE0EEEvT1_
; %bb.0:
	.section	.rodata,"a",@progbits
	.p2align	6, 0x0
	.amdhsa_kernel _ZN7rocprim17ROCPRIM_400000_NS6detail17trampoline_kernelINS0_14default_configENS1_27scan_by_key_config_selectorIiiEEZZNS1_16scan_by_key_implILNS1_25lookback_scan_determinismE0ELb0ES3_N6thrust23THRUST_200600_302600_NS6detail15normal_iteratorINS9_10device_ptrIiEEEESE_SE_iNS9_4plusIvEENS9_8equal_toIiEEiEE10hipError_tPvRmT2_T3_T4_T5_mT6_T7_P12ihipStream_tbENKUlT_T0_E_clISt17integral_constantIbLb0EESZ_EEDaSU_SV_EUlSU_E_NS1_11comp_targetILNS1_3genE4ELNS1_11target_archE910ELNS1_3gpuE8ELNS1_3repE0EEENS1_30default_config_static_selectorELNS0_4arch9wavefront6targetE0EEEvT1_
		.amdhsa_group_segment_fixed_size 0
		.amdhsa_private_segment_fixed_size 0
		.amdhsa_kernarg_size 112
		.amdhsa_user_sgpr_count 2
		.amdhsa_user_sgpr_dispatch_ptr 0
		.amdhsa_user_sgpr_queue_ptr 0
		.amdhsa_user_sgpr_kernarg_segment_ptr 1
		.amdhsa_user_sgpr_dispatch_id 0
		.amdhsa_user_sgpr_kernarg_preload_length 0
		.amdhsa_user_sgpr_kernarg_preload_offset 0
		.amdhsa_user_sgpr_private_segment_size 0
		.amdhsa_wavefront_size32 1
		.amdhsa_uses_dynamic_stack 0
		.amdhsa_enable_private_segment 0
		.amdhsa_system_sgpr_workgroup_id_x 1
		.amdhsa_system_sgpr_workgroup_id_y 0
		.amdhsa_system_sgpr_workgroup_id_z 0
		.amdhsa_system_sgpr_workgroup_info 0
		.amdhsa_system_vgpr_workitem_id 0
		.amdhsa_next_free_vgpr 1
		.amdhsa_next_free_sgpr 1
		.amdhsa_named_barrier_count 0
		.amdhsa_reserve_vcc 0
		.amdhsa_float_round_mode_32 0
		.amdhsa_float_round_mode_16_64 0
		.amdhsa_float_denorm_mode_32 3
		.amdhsa_float_denorm_mode_16_64 3
		.amdhsa_fp16_overflow 0
		.amdhsa_memory_ordered 1
		.amdhsa_forward_progress 1
		.amdhsa_inst_pref_size 0
		.amdhsa_round_robin_scheduling 0
		.amdhsa_exception_fp_ieee_invalid_op 0
		.amdhsa_exception_fp_denorm_src 0
		.amdhsa_exception_fp_ieee_div_zero 0
		.amdhsa_exception_fp_ieee_overflow 0
		.amdhsa_exception_fp_ieee_underflow 0
		.amdhsa_exception_fp_ieee_inexact 0
		.amdhsa_exception_int_div_zero 0
	.end_amdhsa_kernel
	.section	.text._ZN7rocprim17ROCPRIM_400000_NS6detail17trampoline_kernelINS0_14default_configENS1_27scan_by_key_config_selectorIiiEEZZNS1_16scan_by_key_implILNS1_25lookback_scan_determinismE0ELb0ES3_N6thrust23THRUST_200600_302600_NS6detail15normal_iteratorINS9_10device_ptrIiEEEESE_SE_iNS9_4plusIvEENS9_8equal_toIiEEiEE10hipError_tPvRmT2_T3_T4_T5_mT6_T7_P12ihipStream_tbENKUlT_T0_E_clISt17integral_constantIbLb0EESZ_EEDaSU_SV_EUlSU_E_NS1_11comp_targetILNS1_3genE4ELNS1_11target_archE910ELNS1_3gpuE8ELNS1_3repE0EEENS1_30default_config_static_selectorELNS0_4arch9wavefront6targetE0EEEvT1_,"axG",@progbits,_ZN7rocprim17ROCPRIM_400000_NS6detail17trampoline_kernelINS0_14default_configENS1_27scan_by_key_config_selectorIiiEEZZNS1_16scan_by_key_implILNS1_25lookback_scan_determinismE0ELb0ES3_N6thrust23THRUST_200600_302600_NS6detail15normal_iteratorINS9_10device_ptrIiEEEESE_SE_iNS9_4plusIvEENS9_8equal_toIiEEiEE10hipError_tPvRmT2_T3_T4_T5_mT6_T7_P12ihipStream_tbENKUlT_T0_E_clISt17integral_constantIbLb0EESZ_EEDaSU_SV_EUlSU_E_NS1_11comp_targetILNS1_3genE4ELNS1_11target_archE910ELNS1_3gpuE8ELNS1_3repE0EEENS1_30default_config_static_selectorELNS0_4arch9wavefront6targetE0EEEvT1_,comdat
.Lfunc_end203:
	.size	_ZN7rocprim17ROCPRIM_400000_NS6detail17trampoline_kernelINS0_14default_configENS1_27scan_by_key_config_selectorIiiEEZZNS1_16scan_by_key_implILNS1_25lookback_scan_determinismE0ELb0ES3_N6thrust23THRUST_200600_302600_NS6detail15normal_iteratorINS9_10device_ptrIiEEEESE_SE_iNS9_4plusIvEENS9_8equal_toIiEEiEE10hipError_tPvRmT2_T3_T4_T5_mT6_T7_P12ihipStream_tbENKUlT_T0_E_clISt17integral_constantIbLb0EESZ_EEDaSU_SV_EUlSU_E_NS1_11comp_targetILNS1_3genE4ELNS1_11target_archE910ELNS1_3gpuE8ELNS1_3repE0EEENS1_30default_config_static_selectorELNS0_4arch9wavefront6targetE0EEEvT1_, .Lfunc_end203-_ZN7rocprim17ROCPRIM_400000_NS6detail17trampoline_kernelINS0_14default_configENS1_27scan_by_key_config_selectorIiiEEZZNS1_16scan_by_key_implILNS1_25lookback_scan_determinismE0ELb0ES3_N6thrust23THRUST_200600_302600_NS6detail15normal_iteratorINS9_10device_ptrIiEEEESE_SE_iNS9_4plusIvEENS9_8equal_toIiEEiEE10hipError_tPvRmT2_T3_T4_T5_mT6_T7_P12ihipStream_tbENKUlT_T0_E_clISt17integral_constantIbLb0EESZ_EEDaSU_SV_EUlSU_E_NS1_11comp_targetILNS1_3genE4ELNS1_11target_archE910ELNS1_3gpuE8ELNS1_3repE0EEENS1_30default_config_static_selectorELNS0_4arch9wavefront6targetE0EEEvT1_
                                        ; -- End function
	.set _ZN7rocprim17ROCPRIM_400000_NS6detail17trampoline_kernelINS0_14default_configENS1_27scan_by_key_config_selectorIiiEEZZNS1_16scan_by_key_implILNS1_25lookback_scan_determinismE0ELb0ES3_N6thrust23THRUST_200600_302600_NS6detail15normal_iteratorINS9_10device_ptrIiEEEESE_SE_iNS9_4plusIvEENS9_8equal_toIiEEiEE10hipError_tPvRmT2_T3_T4_T5_mT6_T7_P12ihipStream_tbENKUlT_T0_E_clISt17integral_constantIbLb0EESZ_EEDaSU_SV_EUlSU_E_NS1_11comp_targetILNS1_3genE4ELNS1_11target_archE910ELNS1_3gpuE8ELNS1_3repE0EEENS1_30default_config_static_selectorELNS0_4arch9wavefront6targetE0EEEvT1_.num_vgpr, 0
	.set _ZN7rocprim17ROCPRIM_400000_NS6detail17trampoline_kernelINS0_14default_configENS1_27scan_by_key_config_selectorIiiEEZZNS1_16scan_by_key_implILNS1_25lookback_scan_determinismE0ELb0ES3_N6thrust23THRUST_200600_302600_NS6detail15normal_iteratorINS9_10device_ptrIiEEEESE_SE_iNS9_4plusIvEENS9_8equal_toIiEEiEE10hipError_tPvRmT2_T3_T4_T5_mT6_T7_P12ihipStream_tbENKUlT_T0_E_clISt17integral_constantIbLb0EESZ_EEDaSU_SV_EUlSU_E_NS1_11comp_targetILNS1_3genE4ELNS1_11target_archE910ELNS1_3gpuE8ELNS1_3repE0EEENS1_30default_config_static_selectorELNS0_4arch9wavefront6targetE0EEEvT1_.num_agpr, 0
	.set _ZN7rocprim17ROCPRIM_400000_NS6detail17trampoline_kernelINS0_14default_configENS1_27scan_by_key_config_selectorIiiEEZZNS1_16scan_by_key_implILNS1_25lookback_scan_determinismE0ELb0ES3_N6thrust23THRUST_200600_302600_NS6detail15normal_iteratorINS9_10device_ptrIiEEEESE_SE_iNS9_4plusIvEENS9_8equal_toIiEEiEE10hipError_tPvRmT2_T3_T4_T5_mT6_T7_P12ihipStream_tbENKUlT_T0_E_clISt17integral_constantIbLb0EESZ_EEDaSU_SV_EUlSU_E_NS1_11comp_targetILNS1_3genE4ELNS1_11target_archE910ELNS1_3gpuE8ELNS1_3repE0EEENS1_30default_config_static_selectorELNS0_4arch9wavefront6targetE0EEEvT1_.numbered_sgpr, 0
	.set _ZN7rocprim17ROCPRIM_400000_NS6detail17trampoline_kernelINS0_14default_configENS1_27scan_by_key_config_selectorIiiEEZZNS1_16scan_by_key_implILNS1_25lookback_scan_determinismE0ELb0ES3_N6thrust23THRUST_200600_302600_NS6detail15normal_iteratorINS9_10device_ptrIiEEEESE_SE_iNS9_4plusIvEENS9_8equal_toIiEEiEE10hipError_tPvRmT2_T3_T4_T5_mT6_T7_P12ihipStream_tbENKUlT_T0_E_clISt17integral_constantIbLb0EESZ_EEDaSU_SV_EUlSU_E_NS1_11comp_targetILNS1_3genE4ELNS1_11target_archE910ELNS1_3gpuE8ELNS1_3repE0EEENS1_30default_config_static_selectorELNS0_4arch9wavefront6targetE0EEEvT1_.num_named_barrier, 0
	.set _ZN7rocprim17ROCPRIM_400000_NS6detail17trampoline_kernelINS0_14default_configENS1_27scan_by_key_config_selectorIiiEEZZNS1_16scan_by_key_implILNS1_25lookback_scan_determinismE0ELb0ES3_N6thrust23THRUST_200600_302600_NS6detail15normal_iteratorINS9_10device_ptrIiEEEESE_SE_iNS9_4plusIvEENS9_8equal_toIiEEiEE10hipError_tPvRmT2_T3_T4_T5_mT6_T7_P12ihipStream_tbENKUlT_T0_E_clISt17integral_constantIbLb0EESZ_EEDaSU_SV_EUlSU_E_NS1_11comp_targetILNS1_3genE4ELNS1_11target_archE910ELNS1_3gpuE8ELNS1_3repE0EEENS1_30default_config_static_selectorELNS0_4arch9wavefront6targetE0EEEvT1_.private_seg_size, 0
	.set _ZN7rocprim17ROCPRIM_400000_NS6detail17trampoline_kernelINS0_14default_configENS1_27scan_by_key_config_selectorIiiEEZZNS1_16scan_by_key_implILNS1_25lookback_scan_determinismE0ELb0ES3_N6thrust23THRUST_200600_302600_NS6detail15normal_iteratorINS9_10device_ptrIiEEEESE_SE_iNS9_4plusIvEENS9_8equal_toIiEEiEE10hipError_tPvRmT2_T3_T4_T5_mT6_T7_P12ihipStream_tbENKUlT_T0_E_clISt17integral_constantIbLb0EESZ_EEDaSU_SV_EUlSU_E_NS1_11comp_targetILNS1_3genE4ELNS1_11target_archE910ELNS1_3gpuE8ELNS1_3repE0EEENS1_30default_config_static_selectorELNS0_4arch9wavefront6targetE0EEEvT1_.uses_vcc, 0
	.set _ZN7rocprim17ROCPRIM_400000_NS6detail17trampoline_kernelINS0_14default_configENS1_27scan_by_key_config_selectorIiiEEZZNS1_16scan_by_key_implILNS1_25lookback_scan_determinismE0ELb0ES3_N6thrust23THRUST_200600_302600_NS6detail15normal_iteratorINS9_10device_ptrIiEEEESE_SE_iNS9_4plusIvEENS9_8equal_toIiEEiEE10hipError_tPvRmT2_T3_T4_T5_mT6_T7_P12ihipStream_tbENKUlT_T0_E_clISt17integral_constantIbLb0EESZ_EEDaSU_SV_EUlSU_E_NS1_11comp_targetILNS1_3genE4ELNS1_11target_archE910ELNS1_3gpuE8ELNS1_3repE0EEENS1_30default_config_static_selectorELNS0_4arch9wavefront6targetE0EEEvT1_.uses_flat_scratch, 0
	.set _ZN7rocprim17ROCPRIM_400000_NS6detail17trampoline_kernelINS0_14default_configENS1_27scan_by_key_config_selectorIiiEEZZNS1_16scan_by_key_implILNS1_25lookback_scan_determinismE0ELb0ES3_N6thrust23THRUST_200600_302600_NS6detail15normal_iteratorINS9_10device_ptrIiEEEESE_SE_iNS9_4plusIvEENS9_8equal_toIiEEiEE10hipError_tPvRmT2_T3_T4_T5_mT6_T7_P12ihipStream_tbENKUlT_T0_E_clISt17integral_constantIbLb0EESZ_EEDaSU_SV_EUlSU_E_NS1_11comp_targetILNS1_3genE4ELNS1_11target_archE910ELNS1_3gpuE8ELNS1_3repE0EEENS1_30default_config_static_selectorELNS0_4arch9wavefront6targetE0EEEvT1_.has_dyn_sized_stack, 0
	.set _ZN7rocprim17ROCPRIM_400000_NS6detail17trampoline_kernelINS0_14default_configENS1_27scan_by_key_config_selectorIiiEEZZNS1_16scan_by_key_implILNS1_25lookback_scan_determinismE0ELb0ES3_N6thrust23THRUST_200600_302600_NS6detail15normal_iteratorINS9_10device_ptrIiEEEESE_SE_iNS9_4plusIvEENS9_8equal_toIiEEiEE10hipError_tPvRmT2_T3_T4_T5_mT6_T7_P12ihipStream_tbENKUlT_T0_E_clISt17integral_constantIbLb0EESZ_EEDaSU_SV_EUlSU_E_NS1_11comp_targetILNS1_3genE4ELNS1_11target_archE910ELNS1_3gpuE8ELNS1_3repE0EEENS1_30default_config_static_selectorELNS0_4arch9wavefront6targetE0EEEvT1_.has_recursion, 0
	.set _ZN7rocprim17ROCPRIM_400000_NS6detail17trampoline_kernelINS0_14default_configENS1_27scan_by_key_config_selectorIiiEEZZNS1_16scan_by_key_implILNS1_25lookback_scan_determinismE0ELb0ES3_N6thrust23THRUST_200600_302600_NS6detail15normal_iteratorINS9_10device_ptrIiEEEESE_SE_iNS9_4plusIvEENS9_8equal_toIiEEiEE10hipError_tPvRmT2_T3_T4_T5_mT6_T7_P12ihipStream_tbENKUlT_T0_E_clISt17integral_constantIbLb0EESZ_EEDaSU_SV_EUlSU_E_NS1_11comp_targetILNS1_3genE4ELNS1_11target_archE910ELNS1_3gpuE8ELNS1_3repE0EEENS1_30default_config_static_selectorELNS0_4arch9wavefront6targetE0EEEvT1_.has_indirect_call, 0
	.section	.AMDGPU.csdata,"",@progbits
; Kernel info:
; codeLenInByte = 0
; TotalNumSgprs: 0
; NumVgprs: 0
; ScratchSize: 0
; MemoryBound: 0
; FloatMode: 240
; IeeeMode: 1
; LDSByteSize: 0 bytes/workgroup (compile time only)
; SGPRBlocks: 0
; VGPRBlocks: 0
; NumSGPRsForWavesPerEU: 1
; NumVGPRsForWavesPerEU: 1
; NamedBarCnt: 0
; Occupancy: 16
; WaveLimiterHint : 0
; COMPUTE_PGM_RSRC2:SCRATCH_EN: 0
; COMPUTE_PGM_RSRC2:USER_SGPR: 2
; COMPUTE_PGM_RSRC2:TRAP_HANDLER: 0
; COMPUTE_PGM_RSRC2:TGID_X_EN: 1
; COMPUTE_PGM_RSRC2:TGID_Y_EN: 0
; COMPUTE_PGM_RSRC2:TGID_Z_EN: 0
; COMPUTE_PGM_RSRC2:TIDIG_COMP_CNT: 0
	.section	.text._ZN7rocprim17ROCPRIM_400000_NS6detail17trampoline_kernelINS0_14default_configENS1_27scan_by_key_config_selectorIiiEEZZNS1_16scan_by_key_implILNS1_25lookback_scan_determinismE0ELb0ES3_N6thrust23THRUST_200600_302600_NS6detail15normal_iteratorINS9_10device_ptrIiEEEESE_SE_iNS9_4plusIvEENS9_8equal_toIiEEiEE10hipError_tPvRmT2_T3_T4_T5_mT6_T7_P12ihipStream_tbENKUlT_T0_E_clISt17integral_constantIbLb0EESZ_EEDaSU_SV_EUlSU_E_NS1_11comp_targetILNS1_3genE3ELNS1_11target_archE908ELNS1_3gpuE7ELNS1_3repE0EEENS1_30default_config_static_selectorELNS0_4arch9wavefront6targetE0EEEvT1_,"axG",@progbits,_ZN7rocprim17ROCPRIM_400000_NS6detail17trampoline_kernelINS0_14default_configENS1_27scan_by_key_config_selectorIiiEEZZNS1_16scan_by_key_implILNS1_25lookback_scan_determinismE0ELb0ES3_N6thrust23THRUST_200600_302600_NS6detail15normal_iteratorINS9_10device_ptrIiEEEESE_SE_iNS9_4plusIvEENS9_8equal_toIiEEiEE10hipError_tPvRmT2_T3_T4_T5_mT6_T7_P12ihipStream_tbENKUlT_T0_E_clISt17integral_constantIbLb0EESZ_EEDaSU_SV_EUlSU_E_NS1_11comp_targetILNS1_3genE3ELNS1_11target_archE908ELNS1_3gpuE7ELNS1_3repE0EEENS1_30default_config_static_selectorELNS0_4arch9wavefront6targetE0EEEvT1_,comdat
	.protected	_ZN7rocprim17ROCPRIM_400000_NS6detail17trampoline_kernelINS0_14default_configENS1_27scan_by_key_config_selectorIiiEEZZNS1_16scan_by_key_implILNS1_25lookback_scan_determinismE0ELb0ES3_N6thrust23THRUST_200600_302600_NS6detail15normal_iteratorINS9_10device_ptrIiEEEESE_SE_iNS9_4plusIvEENS9_8equal_toIiEEiEE10hipError_tPvRmT2_T3_T4_T5_mT6_T7_P12ihipStream_tbENKUlT_T0_E_clISt17integral_constantIbLb0EESZ_EEDaSU_SV_EUlSU_E_NS1_11comp_targetILNS1_3genE3ELNS1_11target_archE908ELNS1_3gpuE7ELNS1_3repE0EEENS1_30default_config_static_selectorELNS0_4arch9wavefront6targetE0EEEvT1_ ; -- Begin function _ZN7rocprim17ROCPRIM_400000_NS6detail17trampoline_kernelINS0_14default_configENS1_27scan_by_key_config_selectorIiiEEZZNS1_16scan_by_key_implILNS1_25lookback_scan_determinismE0ELb0ES3_N6thrust23THRUST_200600_302600_NS6detail15normal_iteratorINS9_10device_ptrIiEEEESE_SE_iNS9_4plusIvEENS9_8equal_toIiEEiEE10hipError_tPvRmT2_T3_T4_T5_mT6_T7_P12ihipStream_tbENKUlT_T0_E_clISt17integral_constantIbLb0EESZ_EEDaSU_SV_EUlSU_E_NS1_11comp_targetILNS1_3genE3ELNS1_11target_archE908ELNS1_3gpuE7ELNS1_3repE0EEENS1_30default_config_static_selectorELNS0_4arch9wavefront6targetE0EEEvT1_
	.globl	_ZN7rocprim17ROCPRIM_400000_NS6detail17trampoline_kernelINS0_14default_configENS1_27scan_by_key_config_selectorIiiEEZZNS1_16scan_by_key_implILNS1_25lookback_scan_determinismE0ELb0ES3_N6thrust23THRUST_200600_302600_NS6detail15normal_iteratorINS9_10device_ptrIiEEEESE_SE_iNS9_4plusIvEENS9_8equal_toIiEEiEE10hipError_tPvRmT2_T3_T4_T5_mT6_T7_P12ihipStream_tbENKUlT_T0_E_clISt17integral_constantIbLb0EESZ_EEDaSU_SV_EUlSU_E_NS1_11comp_targetILNS1_3genE3ELNS1_11target_archE908ELNS1_3gpuE7ELNS1_3repE0EEENS1_30default_config_static_selectorELNS0_4arch9wavefront6targetE0EEEvT1_
	.p2align	8
	.type	_ZN7rocprim17ROCPRIM_400000_NS6detail17trampoline_kernelINS0_14default_configENS1_27scan_by_key_config_selectorIiiEEZZNS1_16scan_by_key_implILNS1_25lookback_scan_determinismE0ELb0ES3_N6thrust23THRUST_200600_302600_NS6detail15normal_iteratorINS9_10device_ptrIiEEEESE_SE_iNS9_4plusIvEENS9_8equal_toIiEEiEE10hipError_tPvRmT2_T3_T4_T5_mT6_T7_P12ihipStream_tbENKUlT_T0_E_clISt17integral_constantIbLb0EESZ_EEDaSU_SV_EUlSU_E_NS1_11comp_targetILNS1_3genE3ELNS1_11target_archE908ELNS1_3gpuE7ELNS1_3repE0EEENS1_30default_config_static_selectorELNS0_4arch9wavefront6targetE0EEEvT1_,@function
_ZN7rocprim17ROCPRIM_400000_NS6detail17trampoline_kernelINS0_14default_configENS1_27scan_by_key_config_selectorIiiEEZZNS1_16scan_by_key_implILNS1_25lookback_scan_determinismE0ELb0ES3_N6thrust23THRUST_200600_302600_NS6detail15normal_iteratorINS9_10device_ptrIiEEEESE_SE_iNS9_4plusIvEENS9_8equal_toIiEEiEE10hipError_tPvRmT2_T3_T4_T5_mT6_T7_P12ihipStream_tbENKUlT_T0_E_clISt17integral_constantIbLb0EESZ_EEDaSU_SV_EUlSU_E_NS1_11comp_targetILNS1_3genE3ELNS1_11target_archE908ELNS1_3gpuE7ELNS1_3repE0EEENS1_30default_config_static_selectorELNS0_4arch9wavefront6targetE0EEEvT1_: ; @_ZN7rocprim17ROCPRIM_400000_NS6detail17trampoline_kernelINS0_14default_configENS1_27scan_by_key_config_selectorIiiEEZZNS1_16scan_by_key_implILNS1_25lookback_scan_determinismE0ELb0ES3_N6thrust23THRUST_200600_302600_NS6detail15normal_iteratorINS9_10device_ptrIiEEEESE_SE_iNS9_4plusIvEENS9_8equal_toIiEEiEE10hipError_tPvRmT2_T3_T4_T5_mT6_T7_P12ihipStream_tbENKUlT_T0_E_clISt17integral_constantIbLb0EESZ_EEDaSU_SV_EUlSU_E_NS1_11comp_targetILNS1_3genE3ELNS1_11target_archE908ELNS1_3gpuE7ELNS1_3repE0EEENS1_30default_config_static_selectorELNS0_4arch9wavefront6targetE0EEEvT1_
; %bb.0:
	.section	.rodata,"a",@progbits
	.p2align	6, 0x0
	.amdhsa_kernel _ZN7rocprim17ROCPRIM_400000_NS6detail17trampoline_kernelINS0_14default_configENS1_27scan_by_key_config_selectorIiiEEZZNS1_16scan_by_key_implILNS1_25lookback_scan_determinismE0ELb0ES3_N6thrust23THRUST_200600_302600_NS6detail15normal_iteratorINS9_10device_ptrIiEEEESE_SE_iNS9_4plusIvEENS9_8equal_toIiEEiEE10hipError_tPvRmT2_T3_T4_T5_mT6_T7_P12ihipStream_tbENKUlT_T0_E_clISt17integral_constantIbLb0EESZ_EEDaSU_SV_EUlSU_E_NS1_11comp_targetILNS1_3genE3ELNS1_11target_archE908ELNS1_3gpuE7ELNS1_3repE0EEENS1_30default_config_static_selectorELNS0_4arch9wavefront6targetE0EEEvT1_
		.amdhsa_group_segment_fixed_size 0
		.amdhsa_private_segment_fixed_size 0
		.amdhsa_kernarg_size 112
		.amdhsa_user_sgpr_count 2
		.amdhsa_user_sgpr_dispatch_ptr 0
		.amdhsa_user_sgpr_queue_ptr 0
		.amdhsa_user_sgpr_kernarg_segment_ptr 1
		.amdhsa_user_sgpr_dispatch_id 0
		.amdhsa_user_sgpr_kernarg_preload_length 0
		.amdhsa_user_sgpr_kernarg_preload_offset 0
		.amdhsa_user_sgpr_private_segment_size 0
		.amdhsa_wavefront_size32 1
		.amdhsa_uses_dynamic_stack 0
		.amdhsa_enable_private_segment 0
		.amdhsa_system_sgpr_workgroup_id_x 1
		.amdhsa_system_sgpr_workgroup_id_y 0
		.amdhsa_system_sgpr_workgroup_id_z 0
		.amdhsa_system_sgpr_workgroup_info 0
		.amdhsa_system_vgpr_workitem_id 0
		.amdhsa_next_free_vgpr 1
		.amdhsa_next_free_sgpr 1
		.amdhsa_named_barrier_count 0
		.amdhsa_reserve_vcc 0
		.amdhsa_float_round_mode_32 0
		.amdhsa_float_round_mode_16_64 0
		.amdhsa_float_denorm_mode_32 3
		.amdhsa_float_denorm_mode_16_64 3
		.amdhsa_fp16_overflow 0
		.amdhsa_memory_ordered 1
		.amdhsa_forward_progress 1
		.amdhsa_inst_pref_size 0
		.amdhsa_round_robin_scheduling 0
		.amdhsa_exception_fp_ieee_invalid_op 0
		.amdhsa_exception_fp_denorm_src 0
		.amdhsa_exception_fp_ieee_div_zero 0
		.amdhsa_exception_fp_ieee_overflow 0
		.amdhsa_exception_fp_ieee_underflow 0
		.amdhsa_exception_fp_ieee_inexact 0
		.amdhsa_exception_int_div_zero 0
	.end_amdhsa_kernel
	.section	.text._ZN7rocprim17ROCPRIM_400000_NS6detail17trampoline_kernelINS0_14default_configENS1_27scan_by_key_config_selectorIiiEEZZNS1_16scan_by_key_implILNS1_25lookback_scan_determinismE0ELb0ES3_N6thrust23THRUST_200600_302600_NS6detail15normal_iteratorINS9_10device_ptrIiEEEESE_SE_iNS9_4plusIvEENS9_8equal_toIiEEiEE10hipError_tPvRmT2_T3_T4_T5_mT6_T7_P12ihipStream_tbENKUlT_T0_E_clISt17integral_constantIbLb0EESZ_EEDaSU_SV_EUlSU_E_NS1_11comp_targetILNS1_3genE3ELNS1_11target_archE908ELNS1_3gpuE7ELNS1_3repE0EEENS1_30default_config_static_selectorELNS0_4arch9wavefront6targetE0EEEvT1_,"axG",@progbits,_ZN7rocprim17ROCPRIM_400000_NS6detail17trampoline_kernelINS0_14default_configENS1_27scan_by_key_config_selectorIiiEEZZNS1_16scan_by_key_implILNS1_25lookback_scan_determinismE0ELb0ES3_N6thrust23THRUST_200600_302600_NS6detail15normal_iteratorINS9_10device_ptrIiEEEESE_SE_iNS9_4plusIvEENS9_8equal_toIiEEiEE10hipError_tPvRmT2_T3_T4_T5_mT6_T7_P12ihipStream_tbENKUlT_T0_E_clISt17integral_constantIbLb0EESZ_EEDaSU_SV_EUlSU_E_NS1_11comp_targetILNS1_3genE3ELNS1_11target_archE908ELNS1_3gpuE7ELNS1_3repE0EEENS1_30default_config_static_selectorELNS0_4arch9wavefront6targetE0EEEvT1_,comdat
.Lfunc_end204:
	.size	_ZN7rocprim17ROCPRIM_400000_NS6detail17trampoline_kernelINS0_14default_configENS1_27scan_by_key_config_selectorIiiEEZZNS1_16scan_by_key_implILNS1_25lookback_scan_determinismE0ELb0ES3_N6thrust23THRUST_200600_302600_NS6detail15normal_iteratorINS9_10device_ptrIiEEEESE_SE_iNS9_4plusIvEENS9_8equal_toIiEEiEE10hipError_tPvRmT2_T3_T4_T5_mT6_T7_P12ihipStream_tbENKUlT_T0_E_clISt17integral_constantIbLb0EESZ_EEDaSU_SV_EUlSU_E_NS1_11comp_targetILNS1_3genE3ELNS1_11target_archE908ELNS1_3gpuE7ELNS1_3repE0EEENS1_30default_config_static_selectorELNS0_4arch9wavefront6targetE0EEEvT1_, .Lfunc_end204-_ZN7rocprim17ROCPRIM_400000_NS6detail17trampoline_kernelINS0_14default_configENS1_27scan_by_key_config_selectorIiiEEZZNS1_16scan_by_key_implILNS1_25lookback_scan_determinismE0ELb0ES3_N6thrust23THRUST_200600_302600_NS6detail15normal_iteratorINS9_10device_ptrIiEEEESE_SE_iNS9_4plusIvEENS9_8equal_toIiEEiEE10hipError_tPvRmT2_T3_T4_T5_mT6_T7_P12ihipStream_tbENKUlT_T0_E_clISt17integral_constantIbLb0EESZ_EEDaSU_SV_EUlSU_E_NS1_11comp_targetILNS1_3genE3ELNS1_11target_archE908ELNS1_3gpuE7ELNS1_3repE0EEENS1_30default_config_static_selectorELNS0_4arch9wavefront6targetE0EEEvT1_
                                        ; -- End function
	.set _ZN7rocprim17ROCPRIM_400000_NS6detail17trampoline_kernelINS0_14default_configENS1_27scan_by_key_config_selectorIiiEEZZNS1_16scan_by_key_implILNS1_25lookback_scan_determinismE0ELb0ES3_N6thrust23THRUST_200600_302600_NS6detail15normal_iteratorINS9_10device_ptrIiEEEESE_SE_iNS9_4plusIvEENS9_8equal_toIiEEiEE10hipError_tPvRmT2_T3_T4_T5_mT6_T7_P12ihipStream_tbENKUlT_T0_E_clISt17integral_constantIbLb0EESZ_EEDaSU_SV_EUlSU_E_NS1_11comp_targetILNS1_3genE3ELNS1_11target_archE908ELNS1_3gpuE7ELNS1_3repE0EEENS1_30default_config_static_selectorELNS0_4arch9wavefront6targetE0EEEvT1_.num_vgpr, 0
	.set _ZN7rocprim17ROCPRIM_400000_NS6detail17trampoline_kernelINS0_14default_configENS1_27scan_by_key_config_selectorIiiEEZZNS1_16scan_by_key_implILNS1_25lookback_scan_determinismE0ELb0ES3_N6thrust23THRUST_200600_302600_NS6detail15normal_iteratorINS9_10device_ptrIiEEEESE_SE_iNS9_4plusIvEENS9_8equal_toIiEEiEE10hipError_tPvRmT2_T3_T4_T5_mT6_T7_P12ihipStream_tbENKUlT_T0_E_clISt17integral_constantIbLb0EESZ_EEDaSU_SV_EUlSU_E_NS1_11comp_targetILNS1_3genE3ELNS1_11target_archE908ELNS1_3gpuE7ELNS1_3repE0EEENS1_30default_config_static_selectorELNS0_4arch9wavefront6targetE0EEEvT1_.num_agpr, 0
	.set _ZN7rocprim17ROCPRIM_400000_NS6detail17trampoline_kernelINS0_14default_configENS1_27scan_by_key_config_selectorIiiEEZZNS1_16scan_by_key_implILNS1_25lookback_scan_determinismE0ELb0ES3_N6thrust23THRUST_200600_302600_NS6detail15normal_iteratorINS9_10device_ptrIiEEEESE_SE_iNS9_4plusIvEENS9_8equal_toIiEEiEE10hipError_tPvRmT2_T3_T4_T5_mT6_T7_P12ihipStream_tbENKUlT_T0_E_clISt17integral_constantIbLb0EESZ_EEDaSU_SV_EUlSU_E_NS1_11comp_targetILNS1_3genE3ELNS1_11target_archE908ELNS1_3gpuE7ELNS1_3repE0EEENS1_30default_config_static_selectorELNS0_4arch9wavefront6targetE0EEEvT1_.numbered_sgpr, 0
	.set _ZN7rocprim17ROCPRIM_400000_NS6detail17trampoline_kernelINS0_14default_configENS1_27scan_by_key_config_selectorIiiEEZZNS1_16scan_by_key_implILNS1_25lookback_scan_determinismE0ELb0ES3_N6thrust23THRUST_200600_302600_NS6detail15normal_iteratorINS9_10device_ptrIiEEEESE_SE_iNS9_4plusIvEENS9_8equal_toIiEEiEE10hipError_tPvRmT2_T3_T4_T5_mT6_T7_P12ihipStream_tbENKUlT_T0_E_clISt17integral_constantIbLb0EESZ_EEDaSU_SV_EUlSU_E_NS1_11comp_targetILNS1_3genE3ELNS1_11target_archE908ELNS1_3gpuE7ELNS1_3repE0EEENS1_30default_config_static_selectorELNS0_4arch9wavefront6targetE0EEEvT1_.num_named_barrier, 0
	.set _ZN7rocprim17ROCPRIM_400000_NS6detail17trampoline_kernelINS0_14default_configENS1_27scan_by_key_config_selectorIiiEEZZNS1_16scan_by_key_implILNS1_25lookback_scan_determinismE0ELb0ES3_N6thrust23THRUST_200600_302600_NS6detail15normal_iteratorINS9_10device_ptrIiEEEESE_SE_iNS9_4plusIvEENS9_8equal_toIiEEiEE10hipError_tPvRmT2_T3_T4_T5_mT6_T7_P12ihipStream_tbENKUlT_T0_E_clISt17integral_constantIbLb0EESZ_EEDaSU_SV_EUlSU_E_NS1_11comp_targetILNS1_3genE3ELNS1_11target_archE908ELNS1_3gpuE7ELNS1_3repE0EEENS1_30default_config_static_selectorELNS0_4arch9wavefront6targetE0EEEvT1_.private_seg_size, 0
	.set _ZN7rocprim17ROCPRIM_400000_NS6detail17trampoline_kernelINS0_14default_configENS1_27scan_by_key_config_selectorIiiEEZZNS1_16scan_by_key_implILNS1_25lookback_scan_determinismE0ELb0ES3_N6thrust23THRUST_200600_302600_NS6detail15normal_iteratorINS9_10device_ptrIiEEEESE_SE_iNS9_4plusIvEENS9_8equal_toIiEEiEE10hipError_tPvRmT2_T3_T4_T5_mT6_T7_P12ihipStream_tbENKUlT_T0_E_clISt17integral_constantIbLb0EESZ_EEDaSU_SV_EUlSU_E_NS1_11comp_targetILNS1_3genE3ELNS1_11target_archE908ELNS1_3gpuE7ELNS1_3repE0EEENS1_30default_config_static_selectorELNS0_4arch9wavefront6targetE0EEEvT1_.uses_vcc, 0
	.set _ZN7rocprim17ROCPRIM_400000_NS6detail17trampoline_kernelINS0_14default_configENS1_27scan_by_key_config_selectorIiiEEZZNS1_16scan_by_key_implILNS1_25lookback_scan_determinismE0ELb0ES3_N6thrust23THRUST_200600_302600_NS6detail15normal_iteratorINS9_10device_ptrIiEEEESE_SE_iNS9_4plusIvEENS9_8equal_toIiEEiEE10hipError_tPvRmT2_T3_T4_T5_mT6_T7_P12ihipStream_tbENKUlT_T0_E_clISt17integral_constantIbLb0EESZ_EEDaSU_SV_EUlSU_E_NS1_11comp_targetILNS1_3genE3ELNS1_11target_archE908ELNS1_3gpuE7ELNS1_3repE0EEENS1_30default_config_static_selectorELNS0_4arch9wavefront6targetE0EEEvT1_.uses_flat_scratch, 0
	.set _ZN7rocprim17ROCPRIM_400000_NS6detail17trampoline_kernelINS0_14default_configENS1_27scan_by_key_config_selectorIiiEEZZNS1_16scan_by_key_implILNS1_25lookback_scan_determinismE0ELb0ES3_N6thrust23THRUST_200600_302600_NS6detail15normal_iteratorINS9_10device_ptrIiEEEESE_SE_iNS9_4plusIvEENS9_8equal_toIiEEiEE10hipError_tPvRmT2_T3_T4_T5_mT6_T7_P12ihipStream_tbENKUlT_T0_E_clISt17integral_constantIbLb0EESZ_EEDaSU_SV_EUlSU_E_NS1_11comp_targetILNS1_3genE3ELNS1_11target_archE908ELNS1_3gpuE7ELNS1_3repE0EEENS1_30default_config_static_selectorELNS0_4arch9wavefront6targetE0EEEvT1_.has_dyn_sized_stack, 0
	.set _ZN7rocprim17ROCPRIM_400000_NS6detail17trampoline_kernelINS0_14default_configENS1_27scan_by_key_config_selectorIiiEEZZNS1_16scan_by_key_implILNS1_25lookback_scan_determinismE0ELb0ES3_N6thrust23THRUST_200600_302600_NS6detail15normal_iteratorINS9_10device_ptrIiEEEESE_SE_iNS9_4plusIvEENS9_8equal_toIiEEiEE10hipError_tPvRmT2_T3_T4_T5_mT6_T7_P12ihipStream_tbENKUlT_T0_E_clISt17integral_constantIbLb0EESZ_EEDaSU_SV_EUlSU_E_NS1_11comp_targetILNS1_3genE3ELNS1_11target_archE908ELNS1_3gpuE7ELNS1_3repE0EEENS1_30default_config_static_selectorELNS0_4arch9wavefront6targetE0EEEvT1_.has_recursion, 0
	.set _ZN7rocprim17ROCPRIM_400000_NS6detail17trampoline_kernelINS0_14default_configENS1_27scan_by_key_config_selectorIiiEEZZNS1_16scan_by_key_implILNS1_25lookback_scan_determinismE0ELb0ES3_N6thrust23THRUST_200600_302600_NS6detail15normal_iteratorINS9_10device_ptrIiEEEESE_SE_iNS9_4plusIvEENS9_8equal_toIiEEiEE10hipError_tPvRmT2_T3_T4_T5_mT6_T7_P12ihipStream_tbENKUlT_T0_E_clISt17integral_constantIbLb0EESZ_EEDaSU_SV_EUlSU_E_NS1_11comp_targetILNS1_3genE3ELNS1_11target_archE908ELNS1_3gpuE7ELNS1_3repE0EEENS1_30default_config_static_selectorELNS0_4arch9wavefront6targetE0EEEvT1_.has_indirect_call, 0
	.section	.AMDGPU.csdata,"",@progbits
; Kernel info:
; codeLenInByte = 0
; TotalNumSgprs: 0
; NumVgprs: 0
; ScratchSize: 0
; MemoryBound: 0
; FloatMode: 240
; IeeeMode: 1
; LDSByteSize: 0 bytes/workgroup (compile time only)
; SGPRBlocks: 0
; VGPRBlocks: 0
; NumSGPRsForWavesPerEU: 1
; NumVGPRsForWavesPerEU: 1
; NamedBarCnt: 0
; Occupancy: 16
; WaveLimiterHint : 0
; COMPUTE_PGM_RSRC2:SCRATCH_EN: 0
; COMPUTE_PGM_RSRC2:USER_SGPR: 2
; COMPUTE_PGM_RSRC2:TRAP_HANDLER: 0
; COMPUTE_PGM_RSRC2:TGID_X_EN: 1
; COMPUTE_PGM_RSRC2:TGID_Y_EN: 0
; COMPUTE_PGM_RSRC2:TGID_Z_EN: 0
; COMPUTE_PGM_RSRC2:TIDIG_COMP_CNT: 0
	.section	.text._ZN7rocprim17ROCPRIM_400000_NS6detail17trampoline_kernelINS0_14default_configENS1_27scan_by_key_config_selectorIiiEEZZNS1_16scan_by_key_implILNS1_25lookback_scan_determinismE0ELb0ES3_N6thrust23THRUST_200600_302600_NS6detail15normal_iteratorINS9_10device_ptrIiEEEESE_SE_iNS9_4plusIvEENS9_8equal_toIiEEiEE10hipError_tPvRmT2_T3_T4_T5_mT6_T7_P12ihipStream_tbENKUlT_T0_E_clISt17integral_constantIbLb0EESZ_EEDaSU_SV_EUlSU_E_NS1_11comp_targetILNS1_3genE2ELNS1_11target_archE906ELNS1_3gpuE6ELNS1_3repE0EEENS1_30default_config_static_selectorELNS0_4arch9wavefront6targetE0EEEvT1_,"axG",@progbits,_ZN7rocprim17ROCPRIM_400000_NS6detail17trampoline_kernelINS0_14default_configENS1_27scan_by_key_config_selectorIiiEEZZNS1_16scan_by_key_implILNS1_25lookback_scan_determinismE0ELb0ES3_N6thrust23THRUST_200600_302600_NS6detail15normal_iteratorINS9_10device_ptrIiEEEESE_SE_iNS9_4plusIvEENS9_8equal_toIiEEiEE10hipError_tPvRmT2_T3_T4_T5_mT6_T7_P12ihipStream_tbENKUlT_T0_E_clISt17integral_constantIbLb0EESZ_EEDaSU_SV_EUlSU_E_NS1_11comp_targetILNS1_3genE2ELNS1_11target_archE906ELNS1_3gpuE6ELNS1_3repE0EEENS1_30default_config_static_selectorELNS0_4arch9wavefront6targetE0EEEvT1_,comdat
	.protected	_ZN7rocprim17ROCPRIM_400000_NS6detail17trampoline_kernelINS0_14default_configENS1_27scan_by_key_config_selectorIiiEEZZNS1_16scan_by_key_implILNS1_25lookback_scan_determinismE0ELb0ES3_N6thrust23THRUST_200600_302600_NS6detail15normal_iteratorINS9_10device_ptrIiEEEESE_SE_iNS9_4plusIvEENS9_8equal_toIiEEiEE10hipError_tPvRmT2_T3_T4_T5_mT6_T7_P12ihipStream_tbENKUlT_T0_E_clISt17integral_constantIbLb0EESZ_EEDaSU_SV_EUlSU_E_NS1_11comp_targetILNS1_3genE2ELNS1_11target_archE906ELNS1_3gpuE6ELNS1_3repE0EEENS1_30default_config_static_selectorELNS0_4arch9wavefront6targetE0EEEvT1_ ; -- Begin function _ZN7rocprim17ROCPRIM_400000_NS6detail17trampoline_kernelINS0_14default_configENS1_27scan_by_key_config_selectorIiiEEZZNS1_16scan_by_key_implILNS1_25lookback_scan_determinismE0ELb0ES3_N6thrust23THRUST_200600_302600_NS6detail15normal_iteratorINS9_10device_ptrIiEEEESE_SE_iNS9_4plusIvEENS9_8equal_toIiEEiEE10hipError_tPvRmT2_T3_T4_T5_mT6_T7_P12ihipStream_tbENKUlT_T0_E_clISt17integral_constantIbLb0EESZ_EEDaSU_SV_EUlSU_E_NS1_11comp_targetILNS1_3genE2ELNS1_11target_archE906ELNS1_3gpuE6ELNS1_3repE0EEENS1_30default_config_static_selectorELNS0_4arch9wavefront6targetE0EEEvT1_
	.globl	_ZN7rocprim17ROCPRIM_400000_NS6detail17trampoline_kernelINS0_14default_configENS1_27scan_by_key_config_selectorIiiEEZZNS1_16scan_by_key_implILNS1_25lookback_scan_determinismE0ELb0ES3_N6thrust23THRUST_200600_302600_NS6detail15normal_iteratorINS9_10device_ptrIiEEEESE_SE_iNS9_4plusIvEENS9_8equal_toIiEEiEE10hipError_tPvRmT2_T3_T4_T5_mT6_T7_P12ihipStream_tbENKUlT_T0_E_clISt17integral_constantIbLb0EESZ_EEDaSU_SV_EUlSU_E_NS1_11comp_targetILNS1_3genE2ELNS1_11target_archE906ELNS1_3gpuE6ELNS1_3repE0EEENS1_30default_config_static_selectorELNS0_4arch9wavefront6targetE0EEEvT1_
	.p2align	8
	.type	_ZN7rocprim17ROCPRIM_400000_NS6detail17trampoline_kernelINS0_14default_configENS1_27scan_by_key_config_selectorIiiEEZZNS1_16scan_by_key_implILNS1_25lookback_scan_determinismE0ELb0ES3_N6thrust23THRUST_200600_302600_NS6detail15normal_iteratorINS9_10device_ptrIiEEEESE_SE_iNS9_4plusIvEENS9_8equal_toIiEEiEE10hipError_tPvRmT2_T3_T4_T5_mT6_T7_P12ihipStream_tbENKUlT_T0_E_clISt17integral_constantIbLb0EESZ_EEDaSU_SV_EUlSU_E_NS1_11comp_targetILNS1_3genE2ELNS1_11target_archE906ELNS1_3gpuE6ELNS1_3repE0EEENS1_30default_config_static_selectorELNS0_4arch9wavefront6targetE0EEEvT1_,@function
_ZN7rocprim17ROCPRIM_400000_NS6detail17trampoline_kernelINS0_14default_configENS1_27scan_by_key_config_selectorIiiEEZZNS1_16scan_by_key_implILNS1_25lookback_scan_determinismE0ELb0ES3_N6thrust23THRUST_200600_302600_NS6detail15normal_iteratorINS9_10device_ptrIiEEEESE_SE_iNS9_4plusIvEENS9_8equal_toIiEEiEE10hipError_tPvRmT2_T3_T4_T5_mT6_T7_P12ihipStream_tbENKUlT_T0_E_clISt17integral_constantIbLb0EESZ_EEDaSU_SV_EUlSU_E_NS1_11comp_targetILNS1_3genE2ELNS1_11target_archE906ELNS1_3gpuE6ELNS1_3repE0EEENS1_30default_config_static_selectorELNS0_4arch9wavefront6targetE0EEEvT1_: ; @_ZN7rocprim17ROCPRIM_400000_NS6detail17trampoline_kernelINS0_14default_configENS1_27scan_by_key_config_selectorIiiEEZZNS1_16scan_by_key_implILNS1_25lookback_scan_determinismE0ELb0ES3_N6thrust23THRUST_200600_302600_NS6detail15normal_iteratorINS9_10device_ptrIiEEEESE_SE_iNS9_4plusIvEENS9_8equal_toIiEEiEE10hipError_tPvRmT2_T3_T4_T5_mT6_T7_P12ihipStream_tbENKUlT_T0_E_clISt17integral_constantIbLb0EESZ_EEDaSU_SV_EUlSU_E_NS1_11comp_targetILNS1_3genE2ELNS1_11target_archE906ELNS1_3gpuE6ELNS1_3repE0EEENS1_30default_config_static_selectorELNS0_4arch9wavefront6targetE0EEEvT1_
; %bb.0:
	.section	.rodata,"a",@progbits
	.p2align	6, 0x0
	.amdhsa_kernel _ZN7rocprim17ROCPRIM_400000_NS6detail17trampoline_kernelINS0_14default_configENS1_27scan_by_key_config_selectorIiiEEZZNS1_16scan_by_key_implILNS1_25lookback_scan_determinismE0ELb0ES3_N6thrust23THRUST_200600_302600_NS6detail15normal_iteratorINS9_10device_ptrIiEEEESE_SE_iNS9_4plusIvEENS9_8equal_toIiEEiEE10hipError_tPvRmT2_T3_T4_T5_mT6_T7_P12ihipStream_tbENKUlT_T0_E_clISt17integral_constantIbLb0EESZ_EEDaSU_SV_EUlSU_E_NS1_11comp_targetILNS1_3genE2ELNS1_11target_archE906ELNS1_3gpuE6ELNS1_3repE0EEENS1_30default_config_static_selectorELNS0_4arch9wavefront6targetE0EEEvT1_
		.amdhsa_group_segment_fixed_size 0
		.amdhsa_private_segment_fixed_size 0
		.amdhsa_kernarg_size 112
		.amdhsa_user_sgpr_count 2
		.amdhsa_user_sgpr_dispatch_ptr 0
		.amdhsa_user_sgpr_queue_ptr 0
		.amdhsa_user_sgpr_kernarg_segment_ptr 1
		.amdhsa_user_sgpr_dispatch_id 0
		.amdhsa_user_sgpr_kernarg_preload_length 0
		.amdhsa_user_sgpr_kernarg_preload_offset 0
		.amdhsa_user_sgpr_private_segment_size 0
		.amdhsa_wavefront_size32 1
		.amdhsa_uses_dynamic_stack 0
		.amdhsa_enable_private_segment 0
		.amdhsa_system_sgpr_workgroup_id_x 1
		.amdhsa_system_sgpr_workgroup_id_y 0
		.amdhsa_system_sgpr_workgroup_id_z 0
		.amdhsa_system_sgpr_workgroup_info 0
		.amdhsa_system_vgpr_workitem_id 0
		.amdhsa_next_free_vgpr 1
		.amdhsa_next_free_sgpr 1
		.amdhsa_named_barrier_count 0
		.amdhsa_reserve_vcc 0
		.amdhsa_float_round_mode_32 0
		.amdhsa_float_round_mode_16_64 0
		.amdhsa_float_denorm_mode_32 3
		.amdhsa_float_denorm_mode_16_64 3
		.amdhsa_fp16_overflow 0
		.amdhsa_memory_ordered 1
		.amdhsa_forward_progress 1
		.amdhsa_inst_pref_size 0
		.amdhsa_round_robin_scheduling 0
		.amdhsa_exception_fp_ieee_invalid_op 0
		.amdhsa_exception_fp_denorm_src 0
		.amdhsa_exception_fp_ieee_div_zero 0
		.amdhsa_exception_fp_ieee_overflow 0
		.amdhsa_exception_fp_ieee_underflow 0
		.amdhsa_exception_fp_ieee_inexact 0
		.amdhsa_exception_int_div_zero 0
	.end_amdhsa_kernel
	.section	.text._ZN7rocprim17ROCPRIM_400000_NS6detail17trampoline_kernelINS0_14default_configENS1_27scan_by_key_config_selectorIiiEEZZNS1_16scan_by_key_implILNS1_25lookback_scan_determinismE0ELb0ES3_N6thrust23THRUST_200600_302600_NS6detail15normal_iteratorINS9_10device_ptrIiEEEESE_SE_iNS9_4plusIvEENS9_8equal_toIiEEiEE10hipError_tPvRmT2_T3_T4_T5_mT6_T7_P12ihipStream_tbENKUlT_T0_E_clISt17integral_constantIbLb0EESZ_EEDaSU_SV_EUlSU_E_NS1_11comp_targetILNS1_3genE2ELNS1_11target_archE906ELNS1_3gpuE6ELNS1_3repE0EEENS1_30default_config_static_selectorELNS0_4arch9wavefront6targetE0EEEvT1_,"axG",@progbits,_ZN7rocprim17ROCPRIM_400000_NS6detail17trampoline_kernelINS0_14default_configENS1_27scan_by_key_config_selectorIiiEEZZNS1_16scan_by_key_implILNS1_25lookback_scan_determinismE0ELb0ES3_N6thrust23THRUST_200600_302600_NS6detail15normal_iteratorINS9_10device_ptrIiEEEESE_SE_iNS9_4plusIvEENS9_8equal_toIiEEiEE10hipError_tPvRmT2_T3_T4_T5_mT6_T7_P12ihipStream_tbENKUlT_T0_E_clISt17integral_constantIbLb0EESZ_EEDaSU_SV_EUlSU_E_NS1_11comp_targetILNS1_3genE2ELNS1_11target_archE906ELNS1_3gpuE6ELNS1_3repE0EEENS1_30default_config_static_selectorELNS0_4arch9wavefront6targetE0EEEvT1_,comdat
.Lfunc_end205:
	.size	_ZN7rocprim17ROCPRIM_400000_NS6detail17trampoline_kernelINS0_14default_configENS1_27scan_by_key_config_selectorIiiEEZZNS1_16scan_by_key_implILNS1_25lookback_scan_determinismE0ELb0ES3_N6thrust23THRUST_200600_302600_NS6detail15normal_iteratorINS9_10device_ptrIiEEEESE_SE_iNS9_4plusIvEENS9_8equal_toIiEEiEE10hipError_tPvRmT2_T3_T4_T5_mT6_T7_P12ihipStream_tbENKUlT_T0_E_clISt17integral_constantIbLb0EESZ_EEDaSU_SV_EUlSU_E_NS1_11comp_targetILNS1_3genE2ELNS1_11target_archE906ELNS1_3gpuE6ELNS1_3repE0EEENS1_30default_config_static_selectorELNS0_4arch9wavefront6targetE0EEEvT1_, .Lfunc_end205-_ZN7rocprim17ROCPRIM_400000_NS6detail17trampoline_kernelINS0_14default_configENS1_27scan_by_key_config_selectorIiiEEZZNS1_16scan_by_key_implILNS1_25lookback_scan_determinismE0ELb0ES3_N6thrust23THRUST_200600_302600_NS6detail15normal_iteratorINS9_10device_ptrIiEEEESE_SE_iNS9_4plusIvEENS9_8equal_toIiEEiEE10hipError_tPvRmT2_T3_T4_T5_mT6_T7_P12ihipStream_tbENKUlT_T0_E_clISt17integral_constantIbLb0EESZ_EEDaSU_SV_EUlSU_E_NS1_11comp_targetILNS1_3genE2ELNS1_11target_archE906ELNS1_3gpuE6ELNS1_3repE0EEENS1_30default_config_static_selectorELNS0_4arch9wavefront6targetE0EEEvT1_
                                        ; -- End function
	.set _ZN7rocprim17ROCPRIM_400000_NS6detail17trampoline_kernelINS0_14default_configENS1_27scan_by_key_config_selectorIiiEEZZNS1_16scan_by_key_implILNS1_25lookback_scan_determinismE0ELb0ES3_N6thrust23THRUST_200600_302600_NS6detail15normal_iteratorINS9_10device_ptrIiEEEESE_SE_iNS9_4plusIvEENS9_8equal_toIiEEiEE10hipError_tPvRmT2_T3_T4_T5_mT6_T7_P12ihipStream_tbENKUlT_T0_E_clISt17integral_constantIbLb0EESZ_EEDaSU_SV_EUlSU_E_NS1_11comp_targetILNS1_3genE2ELNS1_11target_archE906ELNS1_3gpuE6ELNS1_3repE0EEENS1_30default_config_static_selectorELNS0_4arch9wavefront6targetE0EEEvT1_.num_vgpr, 0
	.set _ZN7rocprim17ROCPRIM_400000_NS6detail17trampoline_kernelINS0_14default_configENS1_27scan_by_key_config_selectorIiiEEZZNS1_16scan_by_key_implILNS1_25lookback_scan_determinismE0ELb0ES3_N6thrust23THRUST_200600_302600_NS6detail15normal_iteratorINS9_10device_ptrIiEEEESE_SE_iNS9_4plusIvEENS9_8equal_toIiEEiEE10hipError_tPvRmT2_T3_T4_T5_mT6_T7_P12ihipStream_tbENKUlT_T0_E_clISt17integral_constantIbLb0EESZ_EEDaSU_SV_EUlSU_E_NS1_11comp_targetILNS1_3genE2ELNS1_11target_archE906ELNS1_3gpuE6ELNS1_3repE0EEENS1_30default_config_static_selectorELNS0_4arch9wavefront6targetE0EEEvT1_.num_agpr, 0
	.set _ZN7rocprim17ROCPRIM_400000_NS6detail17trampoline_kernelINS0_14default_configENS1_27scan_by_key_config_selectorIiiEEZZNS1_16scan_by_key_implILNS1_25lookback_scan_determinismE0ELb0ES3_N6thrust23THRUST_200600_302600_NS6detail15normal_iteratorINS9_10device_ptrIiEEEESE_SE_iNS9_4plusIvEENS9_8equal_toIiEEiEE10hipError_tPvRmT2_T3_T4_T5_mT6_T7_P12ihipStream_tbENKUlT_T0_E_clISt17integral_constantIbLb0EESZ_EEDaSU_SV_EUlSU_E_NS1_11comp_targetILNS1_3genE2ELNS1_11target_archE906ELNS1_3gpuE6ELNS1_3repE0EEENS1_30default_config_static_selectorELNS0_4arch9wavefront6targetE0EEEvT1_.numbered_sgpr, 0
	.set _ZN7rocprim17ROCPRIM_400000_NS6detail17trampoline_kernelINS0_14default_configENS1_27scan_by_key_config_selectorIiiEEZZNS1_16scan_by_key_implILNS1_25lookback_scan_determinismE0ELb0ES3_N6thrust23THRUST_200600_302600_NS6detail15normal_iteratorINS9_10device_ptrIiEEEESE_SE_iNS9_4plusIvEENS9_8equal_toIiEEiEE10hipError_tPvRmT2_T3_T4_T5_mT6_T7_P12ihipStream_tbENKUlT_T0_E_clISt17integral_constantIbLb0EESZ_EEDaSU_SV_EUlSU_E_NS1_11comp_targetILNS1_3genE2ELNS1_11target_archE906ELNS1_3gpuE6ELNS1_3repE0EEENS1_30default_config_static_selectorELNS0_4arch9wavefront6targetE0EEEvT1_.num_named_barrier, 0
	.set _ZN7rocprim17ROCPRIM_400000_NS6detail17trampoline_kernelINS0_14default_configENS1_27scan_by_key_config_selectorIiiEEZZNS1_16scan_by_key_implILNS1_25lookback_scan_determinismE0ELb0ES3_N6thrust23THRUST_200600_302600_NS6detail15normal_iteratorINS9_10device_ptrIiEEEESE_SE_iNS9_4plusIvEENS9_8equal_toIiEEiEE10hipError_tPvRmT2_T3_T4_T5_mT6_T7_P12ihipStream_tbENKUlT_T0_E_clISt17integral_constantIbLb0EESZ_EEDaSU_SV_EUlSU_E_NS1_11comp_targetILNS1_3genE2ELNS1_11target_archE906ELNS1_3gpuE6ELNS1_3repE0EEENS1_30default_config_static_selectorELNS0_4arch9wavefront6targetE0EEEvT1_.private_seg_size, 0
	.set _ZN7rocprim17ROCPRIM_400000_NS6detail17trampoline_kernelINS0_14default_configENS1_27scan_by_key_config_selectorIiiEEZZNS1_16scan_by_key_implILNS1_25lookback_scan_determinismE0ELb0ES3_N6thrust23THRUST_200600_302600_NS6detail15normal_iteratorINS9_10device_ptrIiEEEESE_SE_iNS9_4plusIvEENS9_8equal_toIiEEiEE10hipError_tPvRmT2_T3_T4_T5_mT6_T7_P12ihipStream_tbENKUlT_T0_E_clISt17integral_constantIbLb0EESZ_EEDaSU_SV_EUlSU_E_NS1_11comp_targetILNS1_3genE2ELNS1_11target_archE906ELNS1_3gpuE6ELNS1_3repE0EEENS1_30default_config_static_selectorELNS0_4arch9wavefront6targetE0EEEvT1_.uses_vcc, 0
	.set _ZN7rocprim17ROCPRIM_400000_NS6detail17trampoline_kernelINS0_14default_configENS1_27scan_by_key_config_selectorIiiEEZZNS1_16scan_by_key_implILNS1_25lookback_scan_determinismE0ELb0ES3_N6thrust23THRUST_200600_302600_NS6detail15normal_iteratorINS9_10device_ptrIiEEEESE_SE_iNS9_4plusIvEENS9_8equal_toIiEEiEE10hipError_tPvRmT2_T3_T4_T5_mT6_T7_P12ihipStream_tbENKUlT_T0_E_clISt17integral_constantIbLb0EESZ_EEDaSU_SV_EUlSU_E_NS1_11comp_targetILNS1_3genE2ELNS1_11target_archE906ELNS1_3gpuE6ELNS1_3repE0EEENS1_30default_config_static_selectorELNS0_4arch9wavefront6targetE0EEEvT1_.uses_flat_scratch, 0
	.set _ZN7rocprim17ROCPRIM_400000_NS6detail17trampoline_kernelINS0_14default_configENS1_27scan_by_key_config_selectorIiiEEZZNS1_16scan_by_key_implILNS1_25lookback_scan_determinismE0ELb0ES3_N6thrust23THRUST_200600_302600_NS6detail15normal_iteratorINS9_10device_ptrIiEEEESE_SE_iNS9_4plusIvEENS9_8equal_toIiEEiEE10hipError_tPvRmT2_T3_T4_T5_mT6_T7_P12ihipStream_tbENKUlT_T0_E_clISt17integral_constantIbLb0EESZ_EEDaSU_SV_EUlSU_E_NS1_11comp_targetILNS1_3genE2ELNS1_11target_archE906ELNS1_3gpuE6ELNS1_3repE0EEENS1_30default_config_static_selectorELNS0_4arch9wavefront6targetE0EEEvT1_.has_dyn_sized_stack, 0
	.set _ZN7rocprim17ROCPRIM_400000_NS6detail17trampoline_kernelINS0_14default_configENS1_27scan_by_key_config_selectorIiiEEZZNS1_16scan_by_key_implILNS1_25lookback_scan_determinismE0ELb0ES3_N6thrust23THRUST_200600_302600_NS6detail15normal_iteratorINS9_10device_ptrIiEEEESE_SE_iNS9_4plusIvEENS9_8equal_toIiEEiEE10hipError_tPvRmT2_T3_T4_T5_mT6_T7_P12ihipStream_tbENKUlT_T0_E_clISt17integral_constantIbLb0EESZ_EEDaSU_SV_EUlSU_E_NS1_11comp_targetILNS1_3genE2ELNS1_11target_archE906ELNS1_3gpuE6ELNS1_3repE0EEENS1_30default_config_static_selectorELNS0_4arch9wavefront6targetE0EEEvT1_.has_recursion, 0
	.set _ZN7rocprim17ROCPRIM_400000_NS6detail17trampoline_kernelINS0_14default_configENS1_27scan_by_key_config_selectorIiiEEZZNS1_16scan_by_key_implILNS1_25lookback_scan_determinismE0ELb0ES3_N6thrust23THRUST_200600_302600_NS6detail15normal_iteratorINS9_10device_ptrIiEEEESE_SE_iNS9_4plusIvEENS9_8equal_toIiEEiEE10hipError_tPvRmT2_T3_T4_T5_mT6_T7_P12ihipStream_tbENKUlT_T0_E_clISt17integral_constantIbLb0EESZ_EEDaSU_SV_EUlSU_E_NS1_11comp_targetILNS1_3genE2ELNS1_11target_archE906ELNS1_3gpuE6ELNS1_3repE0EEENS1_30default_config_static_selectorELNS0_4arch9wavefront6targetE0EEEvT1_.has_indirect_call, 0
	.section	.AMDGPU.csdata,"",@progbits
; Kernel info:
; codeLenInByte = 0
; TotalNumSgprs: 0
; NumVgprs: 0
; ScratchSize: 0
; MemoryBound: 0
; FloatMode: 240
; IeeeMode: 1
; LDSByteSize: 0 bytes/workgroup (compile time only)
; SGPRBlocks: 0
; VGPRBlocks: 0
; NumSGPRsForWavesPerEU: 1
; NumVGPRsForWavesPerEU: 1
; NamedBarCnt: 0
; Occupancy: 16
; WaveLimiterHint : 0
; COMPUTE_PGM_RSRC2:SCRATCH_EN: 0
; COMPUTE_PGM_RSRC2:USER_SGPR: 2
; COMPUTE_PGM_RSRC2:TRAP_HANDLER: 0
; COMPUTE_PGM_RSRC2:TGID_X_EN: 1
; COMPUTE_PGM_RSRC2:TGID_Y_EN: 0
; COMPUTE_PGM_RSRC2:TGID_Z_EN: 0
; COMPUTE_PGM_RSRC2:TIDIG_COMP_CNT: 0
	.section	.text._ZN7rocprim17ROCPRIM_400000_NS6detail17trampoline_kernelINS0_14default_configENS1_27scan_by_key_config_selectorIiiEEZZNS1_16scan_by_key_implILNS1_25lookback_scan_determinismE0ELb0ES3_N6thrust23THRUST_200600_302600_NS6detail15normal_iteratorINS9_10device_ptrIiEEEESE_SE_iNS9_4plusIvEENS9_8equal_toIiEEiEE10hipError_tPvRmT2_T3_T4_T5_mT6_T7_P12ihipStream_tbENKUlT_T0_E_clISt17integral_constantIbLb0EESZ_EEDaSU_SV_EUlSU_E_NS1_11comp_targetILNS1_3genE10ELNS1_11target_archE1200ELNS1_3gpuE4ELNS1_3repE0EEENS1_30default_config_static_selectorELNS0_4arch9wavefront6targetE0EEEvT1_,"axG",@progbits,_ZN7rocprim17ROCPRIM_400000_NS6detail17trampoline_kernelINS0_14default_configENS1_27scan_by_key_config_selectorIiiEEZZNS1_16scan_by_key_implILNS1_25lookback_scan_determinismE0ELb0ES3_N6thrust23THRUST_200600_302600_NS6detail15normal_iteratorINS9_10device_ptrIiEEEESE_SE_iNS9_4plusIvEENS9_8equal_toIiEEiEE10hipError_tPvRmT2_T3_T4_T5_mT6_T7_P12ihipStream_tbENKUlT_T0_E_clISt17integral_constantIbLb0EESZ_EEDaSU_SV_EUlSU_E_NS1_11comp_targetILNS1_3genE10ELNS1_11target_archE1200ELNS1_3gpuE4ELNS1_3repE0EEENS1_30default_config_static_selectorELNS0_4arch9wavefront6targetE0EEEvT1_,comdat
	.protected	_ZN7rocprim17ROCPRIM_400000_NS6detail17trampoline_kernelINS0_14default_configENS1_27scan_by_key_config_selectorIiiEEZZNS1_16scan_by_key_implILNS1_25lookback_scan_determinismE0ELb0ES3_N6thrust23THRUST_200600_302600_NS6detail15normal_iteratorINS9_10device_ptrIiEEEESE_SE_iNS9_4plusIvEENS9_8equal_toIiEEiEE10hipError_tPvRmT2_T3_T4_T5_mT6_T7_P12ihipStream_tbENKUlT_T0_E_clISt17integral_constantIbLb0EESZ_EEDaSU_SV_EUlSU_E_NS1_11comp_targetILNS1_3genE10ELNS1_11target_archE1200ELNS1_3gpuE4ELNS1_3repE0EEENS1_30default_config_static_selectorELNS0_4arch9wavefront6targetE0EEEvT1_ ; -- Begin function _ZN7rocprim17ROCPRIM_400000_NS6detail17trampoline_kernelINS0_14default_configENS1_27scan_by_key_config_selectorIiiEEZZNS1_16scan_by_key_implILNS1_25lookback_scan_determinismE0ELb0ES3_N6thrust23THRUST_200600_302600_NS6detail15normal_iteratorINS9_10device_ptrIiEEEESE_SE_iNS9_4plusIvEENS9_8equal_toIiEEiEE10hipError_tPvRmT2_T3_T4_T5_mT6_T7_P12ihipStream_tbENKUlT_T0_E_clISt17integral_constantIbLb0EESZ_EEDaSU_SV_EUlSU_E_NS1_11comp_targetILNS1_3genE10ELNS1_11target_archE1200ELNS1_3gpuE4ELNS1_3repE0EEENS1_30default_config_static_selectorELNS0_4arch9wavefront6targetE0EEEvT1_
	.globl	_ZN7rocprim17ROCPRIM_400000_NS6detail17trampoline_kernelINS0_14default_configENS1_27scan_by_key_config_selectorIiiEEZZNS1_16scan_by_key_implILNS1_25lookback_scan_determinismE0ELb0ES3_N6thrust23THRUST_200600_302600_NS6detail15normal_iteratorINS9_10device_ptrIiEEEESE_SE_iNS9_4plusIvEENS9_8equal_toIiEEiEE10hipError_tPvRmT2_T3_T4_T5_mT6_T7_P12ihipStream_tbENKUlT_T0_E_clISt17integral_constantIbLb0EESZ_EEDaSU_SV_EUlSU_E_NS1_11comp_targetILNS1_3genE10ELNS1_11target_archE1200ELNS1_3gpuE4ELNS1_3repE0EEENS1_30default_config_static_selectorELNS0_4arch9wavefront6targetE0EEEvT1_
	.p2align	8
	.type	_ZN7rocprim17ROCPRIM_400000_NS6detail17trampoline_kernelINS0_14default_configENS1_27scan_by_key_config_selectorIiiEEZZNS1_16scan_by_key_implILNS1_25lookback_scan_determinismE0ELb0ES3_N6thrust23THRUST_200600_302600_NS6detail15normal_iteratorINS9_10device_ptrIiEEEESE_SE_iNS9_4plusIvEENS9_8equal_toIiEEiEE10hipError_tPvRmT2_T3_T4_T5_mT6_T7_P12ihipStream_tbENKUlT_T0_E_clISt17integral_constantIbLb0EESZ_EEDaSU_SV_EUlSU_E_NS1_11comp_targetILNS1_3genE10ELNS1_11target_archE1200ELNS1_3gpuE4ELNS1_3repE0EEENS1_30default_config_static_selectorELNS0_4arch9wavefront6targetE0EEEvT1_,@function
_ZN7rocprim17ROCPRIM_400000_NS6detail17trampoline_kernelINS0_14default_configENS1_27scan_by_key_config_selectorIiiEEZZNS1_16scan_by_key_implILNS1_25lookback_scan_determinismE0ELb0ES3_N6thrust23THRUST_200600_302600_NS6detail15normal_iteratorINS9_10device_ptrIiEEEESE_SE_iNS9_4plusIvEENS9_8equal_toIiEEiEE10hipError_tPvRmT2_T3_T4_T5_mT6_T7_P12ihipStream_tbENKUlT_T0_E_clISt17integral_constantIbLb0EESZ_EEDaSU_SV_EUlSU_E_NS1_11comp_targetILNS1_3genE10ELNS1_11target_archE1200ELNS1_3gpuE4ELNS1_3repE0EEENS1_30default_config_static_selectorELNS0_4arch9wavefront6targetE0EEEvT1_: ; @_ZN7rocprim17ROCPRIM_400000_NS6detail17trampoline_kernelINS0_14default_configENS1_27scan_by_key_config_selectorIiiEEZZNS1_16scan_by_key_implILNS1_25lookback_scan_determinismE0ELb0ES3_N6thrust23THRUST_200600_302600_NS6detail15normal_iteratorINS9_10device_ptrIiEEEESE_SE_iNS9_4plusIvEENS9_8equal_toIiEEiEE10hipError_tPvRmT2_T3_T4_T5_mT6_T7_P12ihipStream_tbENKUlT_T0_E_clISt17integral_constantIbLb0EESZ_EEDaSU_SV_EUlSU_E_NS1_11comp_targetILNS1_3genE10ELNS1_11target_archE1200ELNS1_3gpuE4ELNS1_3repE0EEENS1_30default_config_static_selectorELNS0_4arch9wavefront6targetE0EEEvT1_
; %bb.0:
	.section	.rodata,"a",@progbits
	.p2align	6, 0x0
	.amdhsa_kernel _ZN7rocprim17ROCPRIM_400000_NS6detail17trampoline_kernelINS0_14default_configENS1_27scan_by_key_config_selectorIiiEEZZNS1_16scan_by_key_implILNS1_25lookback_scan_determinismE0ELb0ES3_N6thrust23THRUST_200600_302600_NS6detail15normal_iteratorINS9_10device_ptrIiEEEESE_SE_iNS9_4plusIvEENS9_8equal_toIiEEiEE10hipError_tPvRmT2_T3_T4_T5_mT6_T7_P12ihipStream_tbENKUlT_T0_E_clISt17integral_constantIbLb0EESZ_EEDaSU_SV_EUlSU_E_NS1_11comp_targetILNS1_3genE10ELNS1_11target_archE1200ELNS1_3gpuE4ELNS1_3repE0EEENS1_30default_config_static_selectorELNS0_4arch9wavefront6targetE0EEEvT1_
		.amdhsa_group_segment_fixed_size 0
		.amdhsa_private_segment_fixed_size 0
		.amdhsa_kernarg_size 112
		.amdhsa_user_sgpr_count 2
		.amdhsa_user_sgpr_dispatch_ptr 0
		.amdhsa_user_sgpr_queue_ptr 0
		.amdhsa_user_sgpr_kernarg_segment_ptr 1
		.amdhsa_user_sgpr_dispatch_id 0
		.amdhsa_user_sgpr_kernarg_preload_length 0
		.amdhsa_user_sgpr_kernarg_preload_offset 0
		.amdhsa_user_sgpr_private_segment_size 0
		.amdhsa_wavefront_size32 1
		.amdhsa_uses_dynamic_stack 0
		.amdhsa_enable_private_segment 0
		.amdhsa_system_sgpr_workgroup_id_x 1
		.amdhsa_system_sgpr_workgroup_id_y 0
		.amdhsa_system_sgpr_workgroup_id_z 0
		.amdhsa_system_sgpr_workgroup_info 0
		.amdhsa_system_vgpr_workitem_id 0
		.amdhsa_next_free_vgpr 1
		.amdhsa_next_free_sgpr 1
		.amdhsa_named_barrier_count 0
		.amdhsa_reserve_vcc 0
		.amdhsa_float_round_mode_32 0
		.amdhsa_float_round_mode_16_64 0
		.amdhsa_float_denorm_mode_32 3
		.amdhsa_float_denorm_mode_16_64 3
		.amdhsa_fp16_overflow 0
		.amdhsa_memory_ordered 1
		.amdhsa_forward_progress 1
		.amdhsa_inst_pref_size 0
		.amdhsa_round_robin_scheduling 0
		.amdhsa_exception_fp_ieee_invalid_op 0
		.amdhsa_exception_fp_denorm_src 0
		.amdhsa_exception_fp_ieee_div_zero 0
		.amdhsa_exception_fp_ieee_overflow 0
		.amdhsa_exception_fp_ieee_underflow 0
		.amdhsa_exception_fp_ieee_inexact 0
		.amdhsa_exception_int_div_zero 0
	.end_amdhsa_kernel
	.section	.text._ZN7rocprim17ROCPRIM_400000_NS6detail17trampoline_kernelINS0_14default_configENS1_27scan_by_key_config_selectorIiiEEZZNS1_16scan_by_key_implILNS1_25lookback_scan_determinismE0ELb0ES3_N6thrust23THRUST_200600_302600_NS6detail15normal_iteratorINS9_10device_ptrIiEEEESE_SE_iNS9_4plusIvEENS9_8equal_toIiEEiEE10hipError_tPvRmT2_T3_T4_T5_mT6_T7_P12ihipStream_tbENKUlT_T0_E_clISt17integral_constantIbLb0EESZ_EEDaSU_SV_EUlSU_E_NS1_11comp_targetILNS1_3genE10ELNS1_11target_archE1200ELNS1_3gpuE4ELNS1_3repE0EEENS1_30default_config_static_selectorELNS0_4arch9wavefront6targetE0EEEvT1_,"axG",@progbits,_ZN7rocprim17ROCPRIM_400000_NS6detail17trampoline_kernelINS0_14default_configENS1_27scan_by_key_config_selectorIiiEEZZNS1_16scan_by_key_implILNS1_25lookback_scan_determinismE0ELb0ES3_N6thrust23THRUST_200600_302600_NS6detail15normal_iteratorINS9_10device_ptrIiEEEESE_SE_iNS9_4plusIvEENS9_8equal_toIiEEiEE10hipError_tPvRmT2_T3_T4_T5_mT6_T7_P12ihipStream_tbENKUlT_T0_E_clISt17integral_constantIbLb0EESZ_EEDaSU_SV_EUlSU_E_NS1_11comp_targetILNS1_3genE10ELNS1_11target_archE1200ELNS1_3gpuE4ELNS1_3repE0EEENS1_30default_config_static_selectorELNS0_4arch9wavefront6targetE0EEEvT1_,comdat
.Lfunc_end206:
	.size	_ZN7rocprim17ROCPRIM_400000_NS6detail17trampoline_kernelINS0_14default_configENS1_27scan_by_key_config_selectorIiiEEZZNS1_16scan_by_key_implILNS1_25lookback_scan_determinismE0ELb0ES3_N6thrust23THRUST_200600_302600_NS6detail15normal_iteratorINS9_10device_ptrIiEEEESE_SE_iNS9_4plusIvEENS9_8equal_toIiEEiEE10hipError_tPvRmT2_T3_T4_T5_mT6_T7_P12ihipStream_tbENKUlT_T0_E_clISt17integral_constantIbLb0EESZ_EEDaSU_SV_EUlSU_E_NS1_11comp_targetILNS1_3genE10ELNS1_11target_archE1200ELNS1_3gpuE4ELNS1_3repE0EEENS1_30default_config_static_selectorELNS0_4arch9wavefront6targetE0EEEvT1_, .Lfunc_end206-_ZN7rocprim17ROCPRIM_400000_NS6detail17trampoline_kernelINS0_14default_configENS1_27scan_by_key_config_selectorIiiEEZZNS1_16scan_by_key_implILNS1_25lookback_scan_determinismE0ELb0ES3_N6thrust23THRUST_200600_302600_NS6detail15normal_iteratorINS9_10device_ptrIiEEEESE_SE_iNS9_4plusIvEENS9_8equal_toIiEEiEE10hipError_tPvRmT2_T3_T4_T5_mT6_T7_P12ihipStream_tbENKUlT_T0_E_clISt17integral_constantIbLb0EESZ_EEDaSU_SV_EUlSU_E_NS1_11comp_targetILNS1_3genE10ELNS1_11target_archE1200ELNS1_3gpuE4ELNS1_3repE0EEENS1_30default_config_static_selectorELNS0_4arch9wavefront6targetE0EEEvT1_
                                        ; -- End function
	.set _ZN7rocprim17ROCPRIM_400000_NS6detail17trampoline_kernelINS0_14default_configENS1_27scan_by_key_config_selectorIiiEEZZNS1_16scan_by_key_implILNS1_25lookback_scan_determinismE0ELb0ES3_N6thrust23THRUST_200600_302600_NS6detail15normal_iteratorINS9_10device_ptrIiEEEESE_SE_iNS9_4plusIvEENS9_8equal_toIiEEiEE10hipError_tPvRmT2_T3_T4_T5_mT6_T7_P12ihipStream_tbENKUlT_T0_E_clISt17integral_constantIbLb0EESZ_EEDaSU_SV_EUlSU_E_NS1_11comp_targetILNS1_3genE10ELNS1_11target_archE1200ELNS1_3gpuE4ELNS1_3repE0EEENS1_30default_config_static_selectorELNS0_4arch9wavefront6targetE0EEEvT1_.num_vgpr, 0
	.set _ZN7rocprim17ROCPRIM_400000_NS6detail17trampoline_kernelINS0_14default_configENS1_27scan_by_key_config_selectorIiiEEZZNS1_16scan_by_key_implILNS1_25lookback_scan_determinismE0ELb0ES3_N6thrust23THRUST_200600_302600_NS6detail15normal_iteratorINS9_10device_ptrIiEEEESE_SE_iNS9_4plusIvEENS9_8equal_toIiEEiEE10hipError_tPvRmT2_T3_T4_T5_mT6_T7_P12ihipStream_tbENKUlT_T0_E_clISt17integral_constantIbLb0EESZ_EEDaSU_SV_EUlSU_E_NS1_11comp_targetILNS1_3genE10ELNS1_11target_archE1200ELNS1_3gpuE4ELNS1_3repE0EEENS1_30default_config_static_selectorELNS0_4arch9wavefront6targetE0EEEvT1_.num_agpr, 0
	.set _ZN7rocprim17ROCPRIM_400000_NS6detail17trampoline_kernelINS0_14default_configENS1_27scan_by_key_config_selectorIiiEEZZNS1_16scan_by_key_implILNS1_25lookback_scan_determinismE0ELb0ES3_N6thrust23THRUST_200600_302600_NS6detail15normal_iteratorINS9_10device_ptrIiEEEESE_SE_iNS9_4plusIvEENS9_8equal_toIiEEiEE10hipError_tPvRmT2_T3_T4_T5_mT6_T7_P12ihipStream_tbENKUlT_T0_E_clISt17integral_constantIbLb0EESZ_EEDaSU_SV_EUlSU_E_NS1_11comp_targetILNS1_3genE10ELNS1_11target_archE1200ELNS1_3gpuE4ELNS1_3repE0EEENS1_30default_config_static_selectorELNS0_4arch9wavefront6targetE0EEEvT1_.numbered_sgpr, 0
	.set _ZN7rocprim17ROCPRIM_400000_NS6detail17trampoline_kernelINS0_14default_configENS1_27scan_by_key_config_selectorIiiEEZZNS1_16scan_by_key_implILNS1_25lookback_scan_determinismE0ELb0ES3_N6thrust23THRUST_200600_302600_NS6detail15normal_iteratorINS9_10device_ptrIiEEEESE_SE_iNS9_4plusIvEENS9_8equal_toIiEEiEE10hipError_tPvRmT2_T3_T4_T5_mT6_T7_P12ihipStream_tbENKUlT_T0_E_clISt17integral_constantIbLb0EESZ_EEDaSU_SV_EUlSU_E_NS1_11comp_targetILNS1_3genE10ELNS1_11target_archE1200ELNS1_3gpuE4ELNS1_3repE0EEENS1_30default_config_static_selectorELNS0_4arch9wavefront6targetE0EEEvT1_.num_named_barrier, 0
	.set _ZN7rocprim17ROCPRIM_400000_NS6detail17trampoline_kernelINS0_14default_configENS1_27scan_by_key_config_selectorIiiEEZZNS1_16scan_by_key_implILNS1_25lookback_scan_determinismE0ELb0ES3_N6thrust23THRUST_200600_302600_NS6detail15normal_iteratorINS9_10device_ptrIiEEEESE_SE_iNS9_4plusIvEENS9_8equal_toIiEEiEE10hipError_tPvRmT2_T3_T4_T5_mT6_T7_P12ihipStream_tbENKUlT_T0_E_clISt17integral_constantIbLb0EESZ_EEDaSU_SV_EUlSU_E_NS1_11comp_targetILNS1_3genE10ELNS1_11target_archE1200ELNS1_3gpuE4ELNS1_3repE0EEENS1_30default_config_static_selectorELNS0_4arch9wavefront6targetE0EEEvT1_.private_seg_size, 0
	.set _ZN7rocprim17ROCPRIM_400000_NS6detail17trampoline_kernelINS0_14default_configENS1_27scan_by_key_config_selectorIiiEEZZNS1_16scan_by_key_implILNS1_25lookback_scan_determinismE0ELb0ES3_N6thrust23THRUST_200600_302600_NS6detail15normal_iteratorINS9_10device_ptrIiEEEESE_SE_iNS9_4plusIvEENS9_8equal_toIiEEiEE10hipError_tPvRmT2_T3_T4_T5_mT6_T7_P12ihipStream_tbENKUlT_T0_E_clISt17integral_constantIbLb0EESZ_EEDaSU_SV_EUlSU_E_NS1_11comp_targetILNS1_3genE10ELNS1_11target_archE1200ELNS1_3gpuE4ELNS1_3repE0EEENS1_30default_config_static_selectorELNS0_4arch9wavefront6targetE0EEEvT1_.uses_vcc, 0
	.set _ZN7rocprim17ROCPRIM_400000_NS6detail17trampoline_kernelINS0_14default_configENS1_27scan_by_key_config_selectorIiiEEZZNS1_16scan_by_key_implILNS1_25lookback_scan_determinismE0ELb0ES3_N6thrust23THRUST_200600_302600_NS6detail15normal_iteratorINS9_10device_ptrIiEEEESE_SE_iNS9_4plusIvEENS9_8equal_toIiEEiEE10hipError_tPvRmT2_T3_T4_T5_mT6_T7_P12ihipStream_tbENKUlT_T0_E_clISt17integral_constantIbLb0EESZ_EEDaSU_SV_EUlSU_E_NS1_11comp_targetILNS1_3genE10ELNS1_11target_archE1200ELNS1_3gpuE4ELNS1_3repE0EEENS1_30default_config_static_selectorELNS0_4arch9wavefront6targetE0EEEvT1_.uses_flat_scratch, 0
	.set _ZN7rocprim17ROCPRIM_400000_NS6detail17trampoline_kernelINS0_14default_configENS1_27scan_by_key_config_selectorIiiEEZZNS1_16scan_by_key_implILNS1_25lookback_scan_determinismE0ELb0ES3_N6thrust23THRUST_200600_302600_NS6detail15normal_iteratorINS9_10device_ptrIiEEEESE_SE_iNS9_4plusIvEENS9_8equal_toIiEEiEE10hipError_tPvRmT2_T3_T4_T5_mT6_T7_P12ihipStream_tbENKUlT_T0_E_clISt17integral_constantIbLb0EESZ_EEDaSU_SV_EUlSU_E_NS1_11comp_targetILNS1_3genE10ELNS1_11target_archE1200ELNS1_3gpuE4ELNS1_3repE0EEENS1_30default_config_static_selectorELNS0_4arch9wavefront6targetE0EEEvT1_.has_dyn_sized_stack, 0
	.set _ZN7rocprim17ROCPRIM_400000_NS6detail17trampoline_kernelINS0_14default_configENS1_27scan_by_key_config_selectorIiiEEZZNS1_16scan_by_key_implILNS1_25lookback_scan_determinismE0ELb0ES3_N6thrust23THRUST_200600_302600_NS6detail15normal_iteratorINS9_10device_ptrIiEEEESE_SE_iNS9_4plusIvEENS9_8equal_toIiEEiEE10hipError_tPvRmT2_T3_T4_T5_mT6_T7_P12ihipStream_tbENKUlT_T0_E_clISt17integral_constantIbLb0EESZ_EEDaSU_SV_EUlSU_E_NS1_11comp_targetILNS1_3genE10ELNS1_11target_archE1200ELNS1_3gpuE4ELNS1_3repE0EEENS1_30default_config_static_selectorELNS0_4arch9wavefront6targetE0EEEvT1_.has_recursion, 0
	.set _ZN7rocprim17ROCPRIM_400000_NS6detail17trampoline_kernelINS0_14default_configENS1_27scan_by_key_config_selectorIiiEEZZNS1_16scan_by_key_implILNS1_25lookback_scan_determinismE0ELb0ES3_N6thrust23THRUST_200600_302600_NS6detail15normal_iteratorINS9_10device_ptrIiEEEESE_SE_iNS9_4plusIvEENS9_8equal_toIiEEiEE10hipError_tPvRmT2_T3_T4_T5_mT6_T7_P12ihipStream_tbENKUlT_T0_E_clISt17integral_constantIbLb0EESZ_EEDaSU_SV_EUlSU_E_NS1_11comp_targetILNS1_3genE10ELNS1_11target_archE1200ELNS1_3gpuE4ELNS1_3repE0EEENS1_30default_config_static_selectorELNS0_4arch9wavefront6targetE0EEEvT1_.has_indirect_call, 0
	.section	.AMDGPU.csdata,"",@progbits
; Kernel info:
; codeLenInByte = 0
; TotalNumSgprs: 0
; NumVgprs: 0
; ScratchSize: 0
; MemoryBound: 0
; FloatMode: 240
; IeeeMode: 1
; LDSByteSize: 0 bytes/workgroup (compile time only)
; SGPRBlocks: 0
; VGPRBlocks: 0
; NumSGPRsForWavesPerEU: 1
; NumVGPRsForWavesPerEU: 1
; NamedBarCnt: 0
; Occupancy: 16
; WaveLimiterHint : 0
; COMPUTE_PGM_RSRC2:SCRATCH_EN: 0
; COMPUTE_PGM_RSRC2:USER_SGPR: 2
; COMPUTE_PGM_RSRC2:TRAP_HANDLER: 0
; COMPUTE_PGM_RSRC2:TGID_X_EN: 1
; COMPUTE_PGM_RSRC2:TGID_Y_EN: 0
; COMPUTE_PGM_RSRC2:TGID_Z_EN: 0
; COMPUTE_PGM_RSRC2:TIDIG_COMP_CNT: 0
	.section	.text._ZN7rocprim17ROCPRIM_400000_NS6detail17trampoline_kernelINS0_14default_configENS1_27scan_by_key_config_selectorIiiEEZZNS1_16scan_by_key_implILNS1_25lookback_scan_determinismE0ELb0ES3_N6thrust23THRUST_200600_302600_NS6detail15normal_iteratorINS9_10device_ptrIiEEEESE_SE_iNS9_4plusIvEENS9_8equal_toIiEEiEE10hipError_tPvRmT2_T3_T4_T5_mT6_T7_P12ihipStream_tbENKUlT_T0_E_clISt17integral_constantIbLb0EESZ_EEDaSU_SV_EUlSU_E_NS1_11comp_targetILNS1_3genE9ELNS1_11target_archE1100ELNS1_3gpuE3ELNS1_3repE0EEENS1_30default_config_static_selectorELNS0_4arch9wavefront6targetE0EEEvT1_,"axG",@progbits,_ZN7rocprim17ROCPRIM_400000_NS6detail17trampoline_kernelINS0_14default_configENS1_27scan_by_key_config_selectorIiiEEZZNS1_16scan_by_key_implILNS1_25lookback_scan_determinismE0ELb0ES3_N6thrust23THRUST_200600_302600_NS6detail15normal_iteratorINS9_10device_ptrIiEEEESE_SE_iNS9_4plusIvEENS9_8equal_toIiEEiEE10hipError_tPvRmT2_T3_T4_T5_mT6_T7_P12ihipStream_tbENKUlT_T0_E_clISt17integral_constantIbLb0EESZ_EEDaSU_SV_EUlSU_E_NS1_11comp_targetILNS1_3genE9ELNS1_11target_archE1100ELNS1_3gpuE3ELNS1_3repE0EEENS1_30default_config_static_selectorELNS0_4arch9wavefront6targetE0EEEvT1_,comdat
	.protected	_ZN7rocprim17ROCPRIM_400000_NS6detail17trampoline_kernelINS0_14default_configENS1_27scan_by_key_config_selectorIiiEEZZNS1_16scan_by_key_implILNS1_25lookback_scan_determinismE0ELb0ES3_N6thrust23THRUST_200600_302600_NS6detail15normal_iteratorINS9_10device_ptrIiEEEESE_SE_iNS9_4plusIvEENS9_8equal_toIiEEiEE10hipError_tPvRmT2_T3_T4_T5_mT6_T7_P12ihipStream_tbENKUlT_T0_E_clISt17integral_constantIbLb0EESZ_EEDaSU_SV_EUlSU_E_NS1_11comp_targetILNS1_3genE9ELNS1_11target_archE1100ELNS1_3gpuE3ELNS1_3repE0EEENS1_30default_config_static_selectorELNS0_4arch9wavefront6targetE0EEEvT1_ ; -- Begin function _ZN7rocprim17ROCPRIM_400000_NS6detail17trampoline_kernelINS0_14default_configENS1_27scan_by_key_config_selectorIiiEEZZNS1_16scan_by_key_implILNS1_25lookback_scan_determinismE0ELb0ES3_N6thrust23THRUST_200600_302600_NS6detail15normal_iteratorINS9_10device_ptrIiEEEESE_SE_iNS9_4plusIvEENS9_8equal_toIiEEiEE10hipError_tPvRmT2_T3_T4_T5_mT6_T7_P12ihipStream_tbENKUlT_T0_E_clISt17integral_constantIbLb0EESZ_EEDaSU_SV_EUlSU_E_NS1_11comp_targetILNS1_3genE9ELNS1_11target_archE1100ELNS1_3gpuE3ELNS1_3repE0EEENS1_30default_config_static_selectorELNS0_4arch9wavefront6targetE0EEEvT1_
	.globl	_ZN7rocprim17ROCPRIM_400000_NS6detail17trampoline_kernelINS0_14default_configENS1_27scan_by_key_config_selectorIiiEEZZNS1_16scan_by_key_implILNS1_25lookback_scan_determinismE0ELb0ES3_N6thrust23THRUST_200600_302600_NS6detail15normal_iteratorINS9_10device_ptrIiEEEESE_SE_iNS9_4plusIvEENS9_8equal_toIiEEiEE10hipError_tPvRmT2_T3_T4_T5_mT6_T7_P12ihipStream_tbENKUlT_T0_E_clISt17integral_constantIbLb0EESZ_EEDaSU_SV_EUlSU_E_NS1_11comp_targetILNS1_3genE9ELNS1_11target_archE1100ELNS1_3gpuE3ELNS1_3repE0EEENS1_30default_config_static_selectorELNS0_4arch9wavefront6targetE0EEEvT1_
	.p2align	8
	.type	_ZN7rocprim17ROCPRIM_400000_NS6detail17trampoline_kernelINS0_14default_configENS1_27scan_by_key_config_selectorIiiEEZZNS1_16scan_by_key_implILNS1_25lookback_scan_determinismE0ELb0ES3_N6thrust23THRUST_200600_302600_NS6detail15normal_iteratorINS9_10device_ptrIiEEEESE_SE_iNS9_4plusIvEENS9_8equal_toIiEEiEE10hipError_tPvRmT2_T3_T4_T5_mT6_T7_P12ihipStream_tbENKUlT_T0_E_clISt17integral_constantIbLb0EESZ_EEDaSU_SV_EUlSU_E_NS1_11comp_targetILNS1_3genE9ELNS1_11target_archE1100ELNS1_3gpuE3ELNS1_3repE0EEENS1_30default_config_static_selectorELNS0_4arch9wavefront6targetE0EEEvT1_,@function
_ZN7rocprim17ROCPRIM_400000_NS6detail17trampoline_kernelINS0_14default_configENS1_27scan_by_key_config_selectorIiiEEZZNS1_16scan_by_key_implILNS1_25lookback_scan_determinismE0ELb0ES3_N6thrust23THRUST_200600_302600_NS6detail15normal_iteratorINS9_10device_ptrIiEEEESE_SE_iNS9_4plusIvEENS9_8equal_toIiEEiEE10hipError_tPvRmT2_T3_T4_T5_mT6_T7_P12ihipStream_tbENKUlT_T0_E_clISt17integral_constantIbLb0EESZ_EEDaSU_SV_EUlSU_E_NS1_11comp_targetILNS1_3genE9ELNS1_11target_archE1100ELNS1_3gpuE3ELNS1_3repE0EEENS1_30default_config_static_selectorELNS0_4arch9wavefront6targetE0EEEvT1_: ; @_ZN7rocprim17ROCPRIM_400000_NS6detail17trampoline_kernelINS0_14default_configENS1_27scan_by_key_config_selectorIiiEEZZNS1_16scan_by_key_implILNS1_25lookback_scan_determinismE0ELb0ES3_N6thrust23THRUST_200600_302600_NS6detail15normal_iteratorINS9_10device_ptrIiEEEESE_SE_iNS9_4plusIvEENS9_8equal_toIiEEiEE10hipError_tPvRmT2_T3_T4_T5_mT6_T7_P12ihipStream_tbENKUlT_T0_E_clISt17integral_constantIbLb0EESZ_EEDaSU_SV_EUlSU_E_NS1_11comp_targetILNS1_3genE9ELNS1_11target_archE1100ELNS1_3gpuE3ELNS1_3repE0EEENS1_30default_config_static_selectorELNS0_4arch9wavefront6targetE0EEEvT1_
; %bb.0:
	.section	.rodata,"a",@progbits
	.p2align	6, 0x0
	.amdhsa_kernel _ZN7rocprim17ROCPRIM_400000_NS6detail17trampoline_kernelINS0_14default_configENS1_27scan_by_key_config_selectorIiiEEZZNS1_16scan_by_key_implILNS1_25lookback_scan_determinismE0ELb0ES3_N6thrust23THRUST_200600_302600_NS6detail15normal_iteratorINS9_10device_ptrIiEEEESE_SE_iNS9_4plusIvEENS9_8equal_toIiEEiEE10hipError_tPvRmT2_T3_T4_T5_mT6_T7_P12ihipStream_tbENKUlT_T0_E_clISt17integral_constantIbLb0EESZ_EEDaSU_SV_EUlSU_E_NS1_11comp_targetILNS1_3genE9ELNS1_11target_archE1100ELNS1_3gpuE3ELNS1_3repE0EEENS1_30default_config_static_selectorELNS0_4arch9wavefront6targetE0EEEvT1_
		.amdhsa_group_segment_fixed_size 0
		.amdhsa_private_segment_fixed_size 0
		.amdhsa_kernarg_size 112
		.amdhsa_user_sgpr_count 2
		.amdhsa_user_sgpr_dispatch_ptr 0
		.amdhsa_user_sgpr_queue_ptr 0
		.amdhsa_user_sgpr_kernarg_segment_ptr 1
		.amdhsa_user_sgpr_dispatch_id 0
		.amdhsa_user_sgpr_kernarg_preload_length 0
		.amdhsa_user_sgpr_kernarg_preload_offset 0
		.amdhsa_user_sgpr_private_segment_size 0
		.amdhsa_wavefront_size32 1
		.amdhsa_uses_dynamic_stack 0
		.amdhsa_enable_private_segment 0
		.amdhsa_system_sgpr_workgroup_id_x 1
		.amdhsa_system_sgpr_workgroup_id_y 0
		.amdhsa_system_sgpr_workgroup_id_z 0
		.amdhsa_system_sgpr_workgroup_info 0
		.amdhsa_system_vgpr_workitem_id 0
		.amdhsa_next_free_vgpr 1
		.amdhsa_next_free_sgpr 1
		.amdhsa_named_barrier_count 0
		.amdhsa_reserve_vcc 0
		.amdhsa_float_round_mode_32 0
		.amdhsa_float_round_mode_16_64 0
		.amdhsa_float_denorm_mode_32 3
		.amdhsa_float_denorm_mode_16_64 3
		.amdhsa_fp16_overflow 0
		.amdhsa_memory_ordered 1
		.amdhsa_forward_progress 1
		.amdhsa_inst_pref_size 0
		.amdhsa_round_robin_scheduling 0
		.amdhsa_exception_fp_ieee_invalid_op 0
		.amdhsa_exception_fp_denorm_src 0
		.amdhsa_exception_fp_ieee_div_zero 0
		.amdhsa_exception_fp_ieee_overflow 0
		.amdhsa_exception_fp_ieee_underflow 0
		.amdhsa_exception_fp_ieee_inexact 0
		.amdhsa_exception_int_div_zero 0
	.end_amdhsa_kernel
	.section	.text._ZN7rocprim17ROCPRIM_400000_NS6detail17trampoline_kernelINS0_14default_configENS1_27scan_by_key_config_selectorIiiEEZZNS1_16scan_by_key_implILNS1_25lookback_scan_determinismE0ELb0ES3_N6thrust23THRUST_200600_302600_NS6detail15normal_iteratorINS9_10device_ptrIiEEEESE_SE_iNS9_4plusIvEENS9_8equal_toIiEEiEE10hipError_tPvRmT2_T3_T4_T5_mT6_T7_P12ihipStream_tbENKUlT_T0_E_clISt17integral_constantIbLb0EESZ_EEDaSU_SV_EUlSU_E_NS1_11comp_targetILNS1_3genE9ELNS1_11target_archE1100ELNS1_3gpuE3ELNS1_3repE0EEENS1_30default_config_static_selectorELNS0_4arch9wavefront6targetE0EEEvT1_,"axG",@progbits,_ZN7rocprim17ROCPRIM_400000_NS6detail17trampoline_kernelINS0_14default_configENS1_27scan_by_key_config_selectorIiiEEZZNS1_16scan_by_key_implILNS1_25lookback_scan_determinismE0ELb0ES3_N6thrust23THRUST_200600_302600_NS6detail15normal_iteratorINS9_10device_ptrIiEEEESE_SE_iNS9_4plusIvEENS9_8equal_toIiEEiEE10hipError_tPvRmT2_T3_T4_T5_mT6_T7_P12ihipStream_tbENKUlT_T0_E_clISt17integral_constantIbLb0EESZ_EEDaSU_SV_EUlSU_E_NS1_11comp_targetILNS1_3genE9ELNS1_11target_archE1100ELNS1_3gpuE3ELNS1_3repE0EEENS1_30default_config_static_selectorELNS0_4arch9wavefront6targetE0EEEvT1_,comdat
.Lfunc_end207:
	.size	_ZN7rocprim17ROCPRIM_400000_NS6detail17trampoline_kernelINS0_14default_configENS1_27scan_by_key_config_selectorIiiEEZZNS1_16scan_by_key_implILNS1_25lookback_scan_determinismE0ELb0ES3_N6thrust23THRUST_200600_302600_NS6detail15normal_iteratorINS9_10device_ptrIiEEEESE_SE_iNS9_4plusIvEENS9_8equal_toIiEEiEE10hipError_tPvRmT2_T3_T4_T5_mT6_T7_P12ihipStream_tbENKUlT_T0_E_clISt17integral_constantIbLb0EESZ_EEDaSU_SV_EUlSU_E_NS1_11comp_targetILNS1_3genE9ELNS1_11target_archE1100ELNS1_3gpuE3ELNS1_3repE0EEENS1_30default_config_static_selectorELNS0_4arch9wavefront6targetE0EEEvT1_, .Lfunc_end207-_ZN7rocprim17ROCPRIM_400000_NS6detail17trampoline_kernelINS0_14default_configENS1_27scan_by_key_config_selectorIiiEEZZNS1_16scan_by_key_implILNS1_25lookback_scan_determinismE0ELb0ES3_N6thrust23THRUST_200600_302600_NS6detail15normal_iteratorINS9_10device_ptrIiEEEESE_SE_iNS9_4plusIvEENS9_8equal_toIiEEiEE10hipError_tPvRmT2_T3_T4_T5_mT6_T7_P12ihipStream_tbENKUlT_T0_E_clISt17integral_constantIbLb0EESZ_EEDaSU_SV_EUlSU_E_NS1_11comp_targetILNS1_3genE9ELNS1_11target_archE1100ELNS1_3gpuE3ELNS1_3repE0EEENS1_30default_config_static_selectorELNS0_4arch9wavefront6targetE0EEEvT1_
                                        ; -- End function
	.set _ZN7rocprim17ROCPRIM_400000_NS6detail17trampoline_kernelINS0_14default_configENS1_27scan_by_key_config_selectorIiiEEZZNS1_16scan_by_key_implILNS1_25lookback_scan_determinismE0ELb0ES3_N6thrust23THRUST_200600_302600_NS6detail15normal_iteratorINS9_10device_ptrIiEEEESE_SE_iNS9_4plusIvEENS9_8equal_toIiEEiEE10hipError_tPvRmT2_T3_T4_T5_mT6_T7_P12ihipStream_tbENKUlT_T0_E_clISt17integral_constantIbLb0EESZ_EEDaSU_SV_EUlSU_E_NS1_11comp_targetILNS1_3genE9ELNS1_11target_archE1100ELNS1_3gpuE3ELNS1_3repE0EEENS1_30default_config_static_selectorELNS0_4arch9wavefront6targetE0EEEvT1_.num_vgpr, 0
	.set _ZN7rocprim17ROCPRIM_400000_NS6detail17trampoline_kernelINS0_14default_configENS1_27scan_by_key_config_selectorIiiEEZZNS1_16scan_by_key_implILNS1_25lookback_scan_determinismE0ELb0ES3_N6thrust23THRUST_200600_302600_NS6detail15normal_iteratorINS9_10device_ptrIiEEEESE_SE_iNS9_4plusIvEENS9_8equal_toIiEEiEE10hipError_tPvRmT2_T3_T4_T5_mT6_T7_P12ihipStream_tbENKUlT_T0_E_clISt17integral_constantIbLb0EESZ_EEDaSU_SV_EUlSU_E_NS1_11comp_targetILNS1_3genE9ELNS1_11target_archE1100ELNS1_3gpuE3ELNS1_3repE0EEENS1_30default_config_static_selectorELNS0_4arch9wavefront6targetE0EEEvT1_.num_agpr, 0
	.set _ZN7rocprim17ROCPRIM_400000_NS6detail17trampoline_kernelINS0_14default_configENS1_27scan_by_key_config_selectorIiiEEZZNS1_16scan_by_key_implILNS1_25lookback_scan_determinismE0ELb0ES3_N6thrust23THRUST_200600_302600_NS6detail15normal_iteratorINS9_10device_ptrIiEEEESE_SE_iNS9_4plusIvEENS9_8equal_toIiEEiEE10hipError_tPvRmT2_T3_T4_T5_mT6_T7_P12ihipStream_tbENKUlT_T0_E_clISt17integral_constantIbLb0EESZ_EEDaSU_SV_EUlSU_E_NS1_11comp_targetILNS1_3genE9ELNS1_11target_archE1100ELNS1_3gpuE3ELNS1_3repE0EEENS1_30default_config_static_selectorELNS0_4arch9wavefront6targetE0EEEvT1_.numbered_sgpr, 0
	.set _ZN7rocprim17ROCPRIM_400000_NS6detail17trampoline_kernelINS0_14default_configENS1_27scan_by_key_config_selectorIiiEEZZNS1_16scan_by_key_implILNS1_25lookback_scan_determinismE0ELb0ES3_N6thrust23THRUST_200600_302600_NS6detail15normal_iteratorINS9_10device_ptrIiEEEESE_SE_iNS9_4plusIvEENS9_8equal_toIiEEiEE10hipError_tPvRmT2_T3_T4_T5_mT6_T7_P12ihipStream_tbENKUlT_T0_E_clISt17integral_constantIbLb0EESZ_EEDaSU_SV_EUlSU_E_NS1_11comp_targetILNS1_3genE9ELNS1_11target_archE1100ELNS1_3gpuE3ELNS1_3repE0EEENS1_30default_config_static_selectorELNS0_4arch9wavefront6targetE0EEEvT1_.num_named_barrier, 0
	.set _ZN7rocprim17ROCPRIM_400000_NS6detail17trampoline_kernelINS0_14default_configENS1_27scan_by_key_config_selectorIiiEEZZNS1_16scan_by_key_implILNS1_25lookback_scan_determinismE0ELb0ES3_N6thrust23THRUST_200600_302600_NS6detail15normal_iteratorINS9_10device_ptrIiEEEESE_SE_iNS9_4plusIvEENS9_8equal_toIiEEiEE10hipError_tPvRmT2_T3_T4_T5_mT6_T7_P12ihipStream_tbENKUlT_T0_E_clISt17integral_constantIbLb0EESZ_EEDaSU_SV_EUlSU_E_NS1_11comp_targetILNS1_3genE9ELNS1_11target_archE1100ELNS1_3gpuE3ELNS1_3repE0EEENS1_30default_config_static_selectorELNS0_4arch9wavefront6targetE0EEEvT1_.private_seg_size, 0
	.set _ZN7rocprim17ROCPRIM_400000_NS6detail17trampoline_kernelINS0_14default_configENS1_27scan_by_key_config_selectorIiiEEZZNS1_16scan_by_key_implILNS1_25lookback_scan_determinismE0ELb0ES3_N6thrust23THRUST_200600_302600_NS6detail15normal_iteratorINS9_10device_ptrIiEEEESE_SE_iNS9_4plusIvEENS9_8equal_toIiEEiEE10hipError_tPvRmT2_T3_T4_T5_mT6_T7_P12ihipStream_tbENKUlT_T0_E_clISt17integral_constantIbLb0EESZ_EEDaSU_SV_EUlSU_E_NS1_11comp_targetILNS1_3genE9ELNS1_11target_archE1100ELNS1_3gpuE3ELNS1_3repE0EEENS1_30default_config_static_selectorELNS0_4arch9wavefront6targetE0EEEvT1_.uses_vcc, 0
	.set _ZN7rocprim17ROCPRIM_400000_NS6detail17trampoline_kernelINS0_14default_configENS1_27scan_by_key_config_selectorIiiEEZZNS1_16scan_by_key_implILNS1_25lookback_scan_determinismE0ELb0ES3_N6thrust23THRUST_200600_302600_NS6detail15normal_iteratorINS9_10device_ptrIiEEEESE_SE_iNS9_4plusIvEENS9_8equal_toIiEEiEE10hipError_tPvRmT2_T3_T4_T5_mT6_T7_P12ihipStream_tbENKUlT_T0_E_clISt17integral_constantIbLb0EESZ_EEDaSU_SV_EUlSU_E_NS1_11comp_targetILNS1_3genE9ELNS1_11target_archE1100ELNS1_3gpuE3ELNS1_3repE0EEENS1_30default_config_static_selectorELNS0_4arch9wavefront6targetE0EEEvT1_.uses_flat_scratch, 0
	.set _ZN7rocprim17ROCPRIM_400000_NS6detail17trampoline_kernelINS0_14default_configENS1_27scan_by_key_config_selectorIiiEEZZNS1_16scan_by_key_implILNS1_25lookback_scan_determinismE0ELb0ES3_N6thrust23THRUST_200600_302600_NS6detail15normal_iteratorINS9_10device_ptrIiEEEESE_SE_iNS9_4plusIvEENS9_8equal_toIiEEiEE10hipError_tPvRmT2_T3_T4_T5_mT6_T7_P12ihipStream_tbENKUlT_T0_E_clISt17integral_constantIbLb0EESZ_EEDaSU_SV_EUlSU_E_NS1_11comp_targetILNS1_3genE9ELNS1_11target_archE1100ELNS1_3gpuE3ELNS1_3repE0EEENS1_30default_config_static_selectorELNS0_4arch9wavefront6targetE0EEEvT1_.has_dyn_sized_stack, 0
	.set _ZN7rocprim17ROCPRIM_400000_NS6detail17trampoline_kernelINS0_14default_configENS1_27scan_by_key_config_selectorIiiEEZZNS1_16scan_by_key_implILNS1_25lookback_scan_determinismE0ELb0ES3_N6thrust23THRUST_200600_302600_NS6detail15normal_iteratorINS9_10device_ptrIiEEEESE_SE_iNS9_4plusIvEENS9_8equal_toIiEEiEE10hipError_tPvRmT2_T3_T4_T5_mT6_T7_P12ihipStream_tbENKUlT_T0_E_clISt17integral_constantIbLb0EESZ_EEDaSU_SV_EUlSU_E_NS1_11comp_targetILNS1_3genE9ELNS1_11target_archE1100ELNS1_3gpuE3ELNS1_3repE0EEENS1_30default_config_static_selectorELNS0_4arch9wavefront6targetE0EEEvT1_.has_recursion, 0
	.set _ZN7rocprim17ROCPRIM_400000_NS6detail17trampoline_kernelINS0_14default_configENS1_27scan_by_key_config_selectorIiiEEZZNS1_16scan_by_key_implILNS1_25lookback_scan_determinismE0ELb0ES3_N6thrust23THRUST_200600_302600_NS6detail15normal_iteratorINS9_10device_ptrIiEEEESE_SE_iNS9_4plusIvEENS9_8equal_toIiEEiEE10hipError_tPvRmT2_T3_T4_T5_mT6_T7_P12ihipStream_tbENKUlT_T0_E_clISt17integral_constantIbLb0EESZ_EEDaSU_SV_EUlSU_E_NS1_11comp_targetILNS1_3genE9ELNS1_11target_archE1100ELNS1_3gpuE3ELNS1_3repE0EEENS1_30default_config_static_selectorELNS0_4arch9wavefront6targetE0EEEvT1_.has_indirect_call, 0
	.section	.AMDGPU.csdata,"",@progbits
; Kernel info:
; codeLenInByte = 0
; TotalNumSgprs: 0
; NumVgprs: 0
; ScratchSize: 0
; MemoryBound: 0
; FloatMode: 240
; IeeeMode: 1
; LDSByteSize: 0 bytes/workgroup (compile time only)
; SGPRBlocks: 0
; VGPRBlocks: 0
; NumSGPRsForWavesPerEU: 1
; NumVGPRsForWavesPerEU: 1
; NamedBarCnt: 0
; Occupancy: 16
; WaveLimiterHint : 0
; COMPUTE_PGM_RSRC2:SCRATCH_EN: 0
; COMPUTE_PGM_RSRC2:USER_SGPR: 2
; COMPUTE_PGM_RSRC2:TRAP_HANDLER: 0
; COMPUTE_PGM_RSRC2:TGID_X_EN: 1
; COMPUTE_PGM_RSRC2:TGID_Y_EN: 0
; COMPUTE_PGM_RSRC2:TGID_Z_EN: 0
; COMPUTE_PGM_RSRC2:TIDIG_COMP_CNT: 0
	.section	.text._ZN7rocprim17ROCPRIM_400000_NS6detail17trampoline_kernelINS0_14default_configENS1_27scan_by_key_config_selectorIiiEEZZNS1_16scan_by_key_implILNS1_25lookback_scan_determinismE0ELb0ES3_N6thrust23THRUST_200600_302600_NS6detail15normal_iteratorINS9_10device_ptrIiEEEESE_SE_iNS9_4plusIvEENS9_8equal_toIiEEiEE10hipError_tPvRmT2_T3_T4_T5_mT6_T7_P12ihipStream_tbENKUlT_T0_E_clISt17integral_constantIbLb0EESZ_EEDaSU_SV_EUlSU_E_NS1_11comp_targetILNS1_3genE8ELNS1_11target_archE1030ELNS1_3gpuE2ELNS1_3repE0EEENS1_30default_config_static_selectorELNS0_4arch9wavefront6targetE0EEEvT1_,"axG",@progbits,_ZN7rocprim17ROCPRIM_400000_NS6detail17trampoline_kernelINS0_14default_configENS1_27scan_by_key_config_selectorIiiEEZZNS1_16scan_by_key_implILNS1_25lookback_scan_determinismE0ELb0ES3_N6thrust23THRUST_200600_302600_NS6detail15normal_iteratorINS9_10device_ptrIiEEEESE_SE_iNS9_4plusIvEENS9_8equal_toIiEEiEE10hipError_tPvRmT2_T3_T4_T5_mT6_T7_P12ihipStream_tbENKUlT_T0_E_clISt17integral_constantIbLb0EESZ_EEDaSU_SV_EUlSU_E_NS1_11comp_targetILNS1_3genE8ELNS1_11target_archE1030ELNS1_3gpuE2ELNS1_3repE0EEENS1_30default_config_static_selectorELNS0_4arch9wavefront6targetE0EEEvT1_,comdat
	.protected	_ZN7rocprim17ROCPRIM_400000_NS6detail17trampoline_kernelINS0_14default_configENS1_27scan_by_key_config_selectorIiiEEZZNS1_16scan_by_key_implILNS1_25lookback_scan_determinismE0ELb0ES3_N6thrust23THRUST_200600_302600_NS6detail15normal_iteratorINS9_10device_ptrIiEEEESE_SE_iNS9_4plusIvEENS9_8equal_toIiEEiEE10hipError_tPvRmT2_T3_T4_T5_mT6_T7_P12ihipStream_tbENKUlT_T0_E_clISt17integral_constantIbLb0EESZ_EEDaSU_SV_EUlSU_E_NS1_11comp_targetILNS1_3genE8ELNS1_11target_archE1030ELNS1_3gpuE2ELNS1_3repE0EEENS1_30default_config_static_selectorELNS0_4arch9wavefront6targetE0EEEvT1_ ; -- Begin function _ZN7rocprim17ROCPRIM_400000_NS6detail17trampoline_kernelINS0_14default_configENS1_27scan_by_key_config_selectorIiiEEZZNS1_16scan_by_key_implILNS1_25lookback_scan_determinismE0ELb0ES3_N6thrust23THRUST_200600_302600_NS6detail15normal_iteratorINS9_10device_ptrIiEEEESE_SE_iNS9_4plusIvEENS9_8equal_toIiEEiEE10hipError_tPvRmT2_T3_T4_T5_mT6_T7_P12ihipStream_tbENKUlT_T0_E_clISt17integral_constantIbLb0EESZ_EEDaSU_SV_EUlSU_E_NS1_11comp_targetILNS1_3genE8ELNS1_11target_archE1030ELNS1_3gpuE2ELNS1_3repE0EEENS1_30default_config_static_selectorELNS0_4arch9wavefront6targetE0EEEvT1_
	.globl	_ZN7rocprim17ROCPRIM_400000_NS6detail17trampoline_kernelINS0_14default_configENS1_27scan_by_key_config_selectorIiiEEZZNS1_16scan_by_key_implILNS1_25lookback_scan_determinismE0ELb0ES3_N6thrust23THRUST_200600_302600_NS6detail15normal_iteratorINS9_10device_ptrIiEEEESE_SE_iNS9_4plusIvEENS9_8equal_toIiEEiEE10hipError_tPvRmT2_T3_T4_T5_mT6_T7_P12ihipStream_tbENKUlT_T0_E_clISt17integral_constantIbLb0EESZ_EEDaSU_SV_EUlSU_E_NS1_11comp_targetILNS1_3genE8ELNS1_11target_archE1030ELNS1_3gpuE2ELNS1_3repE0EEENS1_30default_config_static_selectorELNS0_4arch9wavefront6targetE0EEEvT1_
	.p2align	8
	.type	_ZN7rocprim17ROCPRIM_400000_NS6detail17trampoline_kernelINS0_14default_configENS1_27scan_by_key_config_selectorIiiEEZZNS1_16scan_by_key_implILNS1_25lookback_scan_determinismE0ELb0ES3_N6thrust23THRUST_200600_302600_NS6detail15normal_iteratorINS9_10device_ptrIiEEEESE_SE_iNS9_4plusIvEENS9_8equal_toIiEEiEE10hipError_tPvRmT2_T3_T4_T5_mT6_T7_P12ihipStream_tbENKUlT_T0_E_clISt17integral_constantIbLb0EESZ_EEDaSU_SV_EUlSU_E_NS1_11comp_targetILNS1_3genE8ELNS1_11target_archE1030ELNS1_3gpuE2ELNS1_3repE0EEENS1_30default_config_static_selectorELNS0_4arch9wavefront6targetE0EEEvT1_,@function
_ZN7rocprim17ROCPRIM_400000_NS6detail17trampoline_kernelINS0_14default_configENS1_27scan_by_key_config_selectorIiiEEZZNS1_16scan_by_key_implILNS1_25lookback_scan_determinismE0ELb0ES3_N6thrust23THRUST_200600_302600_NS6detail15normal_iteratorINS9_10device_ptrIiEEEESE_SE_iNS9_4plusIvEENS9_8equal_toIiEEiEE10hipError_tPvRmT2_T3_T4_T5_mT6_T7_P12ihipStream_tbENKUlT_T0_E_clISt17integral_constantIbLb0EESZ_EEDaSU_SV_EUlSU_E_NS1_11comp_targetILNS1_3genE8ELNS1_11target_archE1030ELNS1_3gpuE2ELNS1_3repE0EEENS1_30default_config_static_selectorELNS0_4arch9wavefront6targetE0EEEvT1_: ; @_ZN7rocprim17ROCPRIM_400000_NS6detail17trampoline_kernelINS0_14default_configENS1_27scan_by_key_config_selectorIiiEEZZNS1_16scan_by_key_implILNS1_25lookback_scan_determinismE0ELb0ES3_N6thrust23THRUST_200600_302600_NS6detail15normal_iteratorINS9_10device_ptrIiEEEESE_SE_iNS9_4plusIvEENS9_8equal_toIiEEiEE10hipError_tPvRmT2_T3_T4_T5_mT6_T7_P12ihipStream_tbENKUlT_T0_E_clISt17integral_constantIbLb0EESZ_EEDaSU_SV_EUlSU_E_NS1_11comp_targetILNS1_3genE8ELNS1_11target_archE1030ELNS1_3gpuE2ELNS1_3repE0EEENS1_30default_config_static_selectorELNS0_4arch9wavefront6targetE0EEEvT1_
; %bb.0:
	.section	.rodata,"a",@progbits
	.p2align	6, 0x0
	.amdhsa_kernel _ZN7rocprim17ROCPRIM_400000_NS6detail17trampoline_kernelINS0_14default_configENS1_27scan_by_key_config_selectorIiiEEZZNS1_16scan_by_key_implILNS1_25lookback_scan_determinismE0ELb0ES3_N6thrust23THRUST_200600_302600_NS6detail15normal_iteratorINS9_10device_ptrIiEEEESE_SE_iNS9_4plusIvEENS9_8equal_toIiEEiEE10hipError_tPvRmT2_T3_T4_T5_mT6_T7_P12ihipStream_tbENKUlT_T0_E_clISt17integral_constantIbLb0EESZ_EEDaSU_SV_EUlSU_E_NS1_11comp_targetILNS1_3genE8ELNS1_11target_archE1030ELNS1_3gpuE2ELNS1_3repE0EEENS1_30default_config_static_selectorELNS0_4arch9wavefront6targetE0EEEvT1_
		.amdhsa_group_segment_fixed_size 0
		.amdhsa_private_segment_fixed_size 0
		.amdhsa_kernarg_size 112
		.amdhsa_user_sgpr_count 2
		.amdhsa_user_sgpr_dispatch_ptr 0
		.amdhsa_user_sgpr_queue_ptr 0
		.amdhsa_user_sgpr_kernarg_segment_ptr 1
		.amdhsa_user_sgpr_dispatch_id 0
		.amdhsa_user_sgpr_kernarg_preload_length 0
		.amdhsa_user_sgpr_kernarg_preload_offset 0
		.amdhsa_user_sgpr_private_segment_size 0
		.amdhsa_wavefront_size32 1
		.amdhsa_uses_dynamic_stack 0
		.amdhsa_enable_private_segment 0
		.amdhsa_system_sgpr_workgroup_id_x 1
		.amdhsa_system_sgpr_workgroup_id_y 0
		.amdhsa_system_sgpr_workgroup_id_z 0
		.amdhsa_system_sgpr_workgroup_info 0
		.amdhsa_system_vgpr_workitem_id 0
		.amdhsa_next_free_vgpr 1
		.amdhsa_next_free_sgpr 1
		.amdhsa_named_barrier_count 0
		.amdhsa_reserve_vcc 0
		.amdhsa_float_round_mode_32 0
		.amdhsa_float_round_mode_16_64 0
		.amdhsa_float_denorm_mode_32 3
		.amdhsa_float_denorm_mode_16_64 3
		.amdhsa_fp16_overflow 0
		.amdhsa_memory_ordered 1
		.amdhsa_forward_progress 1
		.amdhsa_inst_pref_size 0
		.amdhsa_round_robin_scheduling 0
		.amdhsa_exception_fp_ieee_invalid_op 0
		.amdhsa_exception_fp_denorm_src 0
		.amdhsa_exception_fp_ieee_div_zero 0
		.amdhsa_exception_fp_ieee_overflow 0
		.amdhsa_exception_fp_ieee_underflow 0
		.amdhsa_exception_fp_ieee_inexact 0
		.amdhsa_exception_int_div_zero 0
	.end_amdhsa_kernel
	.section	.text._ZN7rocprim17ROCPRIM_400000_NS6detail17trampoline_kernelINS0_14default_configENS1_27scan_by_key_config_selectorIiiEEZZNS1_16scan_by_key_implILNS1_25lookback_scan_determinismE0ELb0ES3_N6thrust23THRUST_200600_302600_NS6detail15normal_iteratorINS9_10device_ptrIiEEEESE_SE_iNS9_4plusIvEENS9_8equal_toIiEEiEE10hipError_tPvRmT2_T3_T4_T5_mT6_T7_P12ihipStream_tbENKUlT_T0_E_clISt17integral_constantIbLb0EESZ_EEDaSU_SV_EUlSU_E_NS1_11comp_targetILNS1_3genE8ELNS1_11target_archE1030ELNS1_3gpuE2ELNS1_3repE0EEENS1_30default_config_static_selectorELNS0_4arch9wavefront6targetE0EEEvT1_,"axG",@progbits,_ZN7rocprim17ROCPRIM_400000_NS6detail17trampoline_kernelINS0_14default_configENS1_27scan_by_key_config_selectorIiiEEZZNS1_16scan_by_key_implILNS1_25lookback_scan_determinismE0ELb0ES3_N6thrust23THRUST_200600_302600_NS6detail15normal_iteratorINS9_10device_ptrIiEEEESE_SE_iNS9_4plusIvEENS9_8equal_toIiEEiEE10hipError_tPvRmT2_T3_T4_T5_mT6_T7_P12ihipStream_tbENKUlT_T0_E_clISt17integral_constantIbLb0EESZ_EEDaSU_SV_EUlSU_E_NS1_11comp_targetILNS1_3genE8ELNS1_11target_archE1030ELNS1_3gpuE2ELNS1_3repE0EEENS1_30default_config_static_selectorELNS0_4arch9wavefront6targetE0EEEvT1_,comdat
.Lfunc_end208:
	.size	_ZN7rocprim17ROCPRIM_400000_NS6detail17trampoline_kernelINS0_14default_configENS1_27scan_by_key_config_selectorIiiEEZZNS1_16scan_by_key_implILNS1_25lookback_scan_determinismE0ELb0ES3_N6thrust23THRUST_200600_302600_NS6detail15normal_iteratorINS9_10device_ptrIiEEEESE_SE_iNS9_4plusIvEENS9_8equal_toIiEEiEE10hipError_tPvRmT2_T3_T4_T5_mT6_T7_P12ihipStream_tbENKUlT_T0_E_clISt17integral_constantIbLb0EESZ_EEDaSU_SV_EUlSU_E_NS1_11comp_targetILNS1_3genE8ELNS1_11target_archE1030ELNS1_3gpuE2ELNS1_3repE0EEENS1_30default_config_static_selectorELNS0_4arch9wavefront6targetE0EEEvT1_, .Lfunc_end208-_ZN7rocprim17ROCPRIM_400000_NS6detail17trampoline_kernelINS0_14default_configENS1_27scan_by_key_config_selectorIiiEEZZNS1_16scan_by_key_implILNS1_25lookback_scan_determinismE0ELb0ES3_N6thrust23THRUST_200600_302600_NS6detail15normal_iteratorINS9_10device_ptrIiEEEESE_SE_iNS9_4plusIvEENS9_8equal_toIiEEiEE10hipError_tPvRmT2_T3_T4_T5_mT6_T7_P12ihipStream_tbENKUlT_T0_E_clISt17integral_constantIbLb0EESZ_EEDaSU_SV_EUlSU_E_NS1_11comp_targetILNS1_3genE8ELNS1_11target_archE1030ELNS1_3gpuE2ELNS1_3repE0EEENS1_30default_config_static_selectorELNS0_4arch9wavefront6targetE0EEEvT1_
                                        ; -- End function
	.set _ZN7rocprim17ROCPRIM_400000_NS6detail17trampoline_kernelINS0_14default_configENS1_27scan_by_key_config_selectorIiiEEZZNS1_16scan_by_key_implILNS1_25lookback_scan_determinismE0ELb0ES3_N6thrust23THRUST_200600_302600_NS6detail15normal_iteratorINS9_10device_ptrIiEEEESE_SE_iNS9_4plusIvEENS9_8equal_toIiEEiEE10hipError_tPvRmT2_T3_T4_T5_mT6_T7_P12ihipStream_tbENKUlT_T0_E_clISt17integral_constantIbLb0EESZ_EEDaSU_SV_EUlSU_E_NS1_11comp_targetILNS1_3genE8ELNS1_11target_archE1030ELNS1_3gpuE2ELNS1_3repE0EEENS1_30default_config_static_selectorELNS0_4arch9wavefront6targetE0EEEvT1_.num_vgpr, 0
	.set _ZN7rocprim17ROCPRIM_400000_NS6detail17trampoline_kernelINS0_14default_configENS1_27scan_by_key_config_selectorIiiEEZZNS1_16scan_by_key_implILNS1_25lookback_scan_determinismE0ELb0ES3_N6thrust23THRUST_200600_302600_NS6detail15normal_iteratorINS9_10device_ptrIiEEEESE_SE_iNS9_4plusIvEENS9_8equal_toIiEEiEE10hipError_tPvRmT2_T3_T4_T5_mT6_T7_P12ihipStream_tbENKUlT_T0_E_clISt17integral_constantIbLb0EESZ_EEDaSU_SV_EUlSU_E_NS1_11comp_targetILNS1_3genE8ELNS1_11target_archE1030ELNS1_3gpuE2ELNS1_3repE0EEENS1_30default_config_static_selectorELNS0_4arch9wavefront6targetE0EEEvT1_.num_agpr, 0
	.set _ZN7rocprim17ROCPRIM_400000_NS6detail17trampoline_kernelINS0_14default_configENS1_27scan_by_key_config_selectorIiiEEZZNS1_16scan_by_key_implILNS1_25lookback_scan_determinismE0ELb0ES3_N6thrust23THRUST_200600_302600_NS6detail15normal_iteratorINS9_10device_ptrIiEEEESE_SE_iNS9_4plusIvEENS9_8equal_toIiEEiEE10hipError_tPvRmT2_T3_T4_T5_mT6_T7_P12ihipStream_tbENKUlT_T0_E_clISt17integral_constantIbLb0EESZ_EEDaSU_SV_EUlSU_E_NS1_11comp_targetILNS1_3genE8ELNS1_11target_archE1030ELNS1_3gpuE2ELNS1_3repE0EEENS1_30default_config_static_selectorELNS0_4arch9wavefront6targetE0EEEvT1_.numbered_sgpr, 0
	.set _ZN7rocprim17ROCPRIM_400000_NS6detail17trampoline_kernelINS0_14default_configENS1_27scan_by_key_config_selectorIiiEEZZNS1_16scan_by_key_implILNS1_25lookback_scan_determinismE0ELb0ES3_N6thrust23THRUST_200600_302600_NS6detail15normal_iteratorINS9_10device_ptrIiEEEESE_SE_iNS9_4plusIvEENS9_8equal_toIiEEiEE10hipError_tPvRmT2_T3_T4_T5_mT6_T7_P12ihipStream_tbENKUlT_T0_E_clISt17integral_constantIbLb0EESZ_EEDaSU_SV_EUlSU_E_NS1_11comp_targetILNS1_3genE8ELNS1_11target_archE1030ELNS1_3gpuE2ELNS1_3repE0EEENS1_30default_config_static_selectorELNS0_4arch9wavefront6targetE0EEEvT1_.num_named_barrier, 0
	.set _ZN7rocprim17ROCPRIM_400000_NS6detail17trampoline_kernelINS0_14default_configENS1_27scan_by_key_config_selectorIiiEEZZNS1_16scan_by_key_implILNS1_25lookback_scan_determinismE0ELb0ES3_N6thrust23THRUST_200600_302600_NS6detail15normal_iteratorINS9_10device_ptrIiEEEESE_SE_iNS9_4plusIvEENS9_8equal_toIiEEiEE10hipError_tPvRmT2_T3_T4_T5_mT6_T7_P12ihipStream_tbENKUlT_T0_E_clISt17integral_constantIbLb0EESZ_EEDaSU_SV_EUlSU_E_NS1_11comp_targetILNS1_3genE8ELNS1_11target_archE1030ELNS1_3gpuE2ELNS1_3repE0EEENS1_30default_config_static_selectorELNS0_4arch9wavefront6targetE0EEEvT1_.private_seg_size, 0
	.set _ZN7rocprim17ROCPRIM_400000_NS6detail17trampoline_kernelINS0_14default_configENS1_27scan_by_key_config_selectorIiiEEZZNS1_16scan_by_key_implILNS1_25lookback_scan_determinismE0ELb0ES3_N6thrust23THRUST_200600_302600_NS6detail15normal_iteratorINS9_10device_ptrIiEEEESE_SE_iNS9_4plusIvEENS9_8equal_toIiEEiEE10hipError_tPvRmT2_T3_T4_T5_mT6_T7_P12ihipStream_tbENKUlT_T0_E_clISt17integral_constantIbLb0EESZ_EEDaSU_SV_EUlSU_E_NS1_11comp_targetILNS1_3genE8ELNS1_11target_archE1030ELNS1_3gpuE2ELNS1_3repE0EEENS1_30default_config_static_selectorELNS0_4arch9wavefront6targetE0EEEvT1_.uses_vcc, 0
	.set _ZN7rocprim17ROCPRIM_400000_NS6detail17trampoline_kernelINS0_14default_configENS1_27scan_by_key_config_selectorIiiEEZZNS1_16scan_by_key_implILNS1_25lookback_scan_determinismE0ELb0ES3_N6thrust23THRUST_200600_302600_NS6detail15normal_iteratorINS9_10device_ptrIiEEEESE_SE_iNS9_4plusIvEENS9_8equal_toIiEEiEE10hipError_tPvRmT2_T3_T4_T5_mT6_T7_P12ihipStream_tbENKUlT_T0_E_clISt17integral_constantIbLb0EESZ_EEDaSU_SV_EUlSU_E_NS1_11comp_targetILNS1_3genE8ELNS1_11target_archE1030ELNS1_3gpuE2ELNS1_3repE0EEENS1_30default_config_static_selectorELNS0_4arch9wavefront6targetE0EEEvT1_.uses_flat_scratch, 0
	.set _ZN7rocprim17ROCPRIM_400000_NS6detail17trampoline_kernelINS0_14default_configENS1_27scan_by_key_config_selectorIiiEEZZNS1_16scan_by_key_implILNS1_25lookback_scan_determinismE0ELb0ES3_N6thrust23THRUST_200600_302600_NS6detail15normal_iteratorINS9_10device_ptrIiEEEESE_SE_iNS9_4plusIvEENS9_8equal_toIiEEiEE10hipError_tPvRmT2_T3_T4_T5_mT6_T7_P12ihipStream_tbENKUlT_T0_E_clISt17integral_constantIbLb0EESZ_EEDaSU_SV_EUlSU_E_NS1_11comp_targetILNS1_3genE8ELNS1_11target_archE1030ELNS1_3gpuE2ELNS1_3repE0EEENS1_30default_config_static_selectorELNS0_4arch9wavefront6targetE0EEEvT1_.has_dyn_sized_stack, 0
	.set _ZN7rocprim17ROCPRIM_400000_NS6detail17trampoline_kernelINS0_14default_configENS1_27scan_by_key_config_selectorIiiEEZZNS1_16scan_by_key_implILNS1_25lookback_scan_determinismE0ELb0ES3_N6thrust23THRUST_200600_302600_NS6detail15normal_iteratorINS9_10device_ptrIiEEEESE_SE_iNS9_4plusIvEENS9_8equal_toIiEEiEE10hipError_tPvRmT2_T3_T4_T5_mT6_T7_P12ihipStream_tbENKUlT_T0_E_clISt17integral_constantIbLb0EESZ_EEDaSU_SV_EUlSU_E_NS1_11comp_targetILNS1_3genE8ELNS1_11target_archE1030ELNS1_3gpuE2ELNS1_3repE0EEENS1_30default_config_static_selectorELNS0_4arch9wavefront6targetE0EEEvT1_.has_recursion, 0
	.set _ZN7rocprim17ROCPRIM_400000_NS6detail17trampoline_kernelINS0_14default_configENS1_27scan_by_key_config_selectorIiiEEZZNS1_16scan_by_key_implILNS1_25lookback_scan_determinismE0ELb0ES3_N6thrust23THRUST_200600_302600_NS6detail15normal_iteratorINS9_10device_ptrIiEEEESE_SE_iNS9_4plusIvEENS9_8equal_toIiEEiEE10hipError_tPvRmT2_T3_T4_T5_mT6_T7_P12ihipStream_tbENKUlT_T0_E_clISt17integral_constantIbLb0EESZ_EEDaSU_SV_EUlSU_E_NS1_11comp_targetILNS1_3genE8ELNS1_11target_archE1030ELNS1_3gpuE2ELNS1_3repE0EEENS1_30default_config_static_selectorELNS0_4arch9wavefront6targetE0EEEvT1_.has_indirect_call, 0
	.section	.AMDGPU.csdata,"",@progbits
; Kernel info:
; codeLenInByte = 0
; TotalNumSgprs: 0
; NumVgprs: 0
; ScratchSize: 0
; MemoryBound: 0
; FloatMode: 240
; IeeeMode: 1
; LDSByteSize: 0 bytes/workgroup (compile time only)
; SGPRBlocks: 0
; VGPRBlocks: 0
; NumSGPRsForWavesPerEU: 1
; NumVGPRsForWavesPerEU: 1
; NamedBarCnt: 0
; Occupancy: 16
; WaveLimiterHint : 0
; COMPUTE_PGM_RSRC2:SCRATCH_EN: 0
; COMPUTE_PGM_RSRC2:USER_SGPR: 2
; COMPUTE_PGM_RSRC2:TRAP_HANDLER: 0
; COMPUTE_PGM_RSRC2:TGID_X_EN: 1
; COMPUTE_PGM_RSRC2:TGID_Y_EN: 0
; COMPUTE_PGM_RSRC2:TGID_Z_EN: 0
; COMPUTE_PGM_RSRC2:TIDIG_COMP_CNT: 0
	.section	.text._ZN7rocprim17ROCPRIM_400000_NS6detail17trampoline_kernelINS0_14default_configENS1_27scan_by_key_config_selectorIiiEEZZNS1_16scan_by_key_implILNS1_25lookback_scan_determinismE0ELb0ES3_N6thrust23THRUST_200600_302600_NS6detail15normal_iteratorINS9_10device_ptrIiEEEESE_SE_iNS9_4plusIvEENS9_8equal_toIiEEiEE10hipError_tPvRmT2_T3_T4_T5_mT6_T7_P12ihipStream_tbENKUlT_T0_E_clISt17integral_constantIbLb1EESZ_EEDaSU_SV_EUlSU_E_NS1_11comp_targetILNS1_3genE0ELNS1_11target_archE4294967295ELNS1_3gpuE0ELNS1_3repE0EEENS1_30default_config_static_selectorELNS0_4arch9wavefront6targetE0EEEvT1_,"axG",@progbits,_ZN7rocprim17ROCPRIM_400000_NS6detail17trampoline_kernelINS0_14default_configENS1_27scan_by_key_config_selectorIiiEEZZNS1_16scan_by_key_implILNS1_25lookback_scan_determinismE0ELb0ES3_N6thrust23THRUST_200600_302600_NS6detail15normal_iteratorINS9_10device_ptrIiEEEESE_SE_iNS9_4plusIvEENS9_8equal_toIiEEiEE10hipError_tPvRmT2_T3_T4_T5_mT6_T7_P12ihipStream_tbENKUlT_T0_E_clISt17integral_constantIbLb1EESZ_EEDaSU_SV_EUlSU_E_NS1_11comp_targetILNS1_3genE0ELNS1_11target_archE4294967295ELNS1_3gpuE0ELNS1_3repE0EEENS1_30default_config_static_selectorELNS0_4arch9wavefront6targetE0EEEvT1_,comdat
	.protected	_ZN7rocprim17ROCPRIM_400000_NS6detail17trampoline_kernelINS0_14default_configENS1_27scan_by_key_config_selectorIiiEEZZNS1_16scan_by_key_implILNS1_25lookback_scan_determinismE0ELb0ES3_N6thrust23THRUST_200600_302600_NS6detail15normal_iteratorINS9_10device_ptrIiEEEESE_SE_iNS9_4plusIvEENS9_8equal_toIiEEiEE10hipError_tPvRmT2_T3_T4_T5_mT6_T7_P12ihipStream_tbENKUlT_T0_E_clISt17integral_constantIbLb1EESZ_EEDaSU_SV_EUlSU_E_NS1_11comp_targetILNS1_3genE0ELNS1_11target_archE4294967295ELNS1_3gpuE0ELNS1_3repE0EEENS1_30default_config_static_selectorELNS0_4arch9wavefront6targetE0EEEvT1_ ; -- Begin function _ZN7rocprim17ROCPRIM_400000_NS6detail17trampoline_kernelINS0_14default_configENS1_27scan_by_key_config_selectorIiiEEZZNS1_16scan_by_key_implILNS1_25lookback_scan_determinismE0ELb0ES3_N6thrust23THRUST_200600_302600_NS6detail15normal_iteratorINS9_10device_ptrIiEEEESE_SE_iNS9_4plusIvEENS9_8equal_toIiEEiEE10hipError_tPvRmT2_T3_T4_T5_mT6_T7_P12ihipStream_tbENKUlT_T0_E_clISt17integral_constantIbLb1EESZ_EEDaSU_SV_EUlSU_E_NS1_11comp_targetILNS1_3genE0ELNS1_11target_archE4294967295ELNS1_3gpuE0ELNS1_3repE0EEENS1_30default_config_static_selectorELNS0_4arch9wavefront6targetE0EEEvT1_
	.globl	_ZN7rocprim17ROCPRIM_400000_NS6detail17trampoline_kernelINS0_14default_configENS1_27scan_by_key_config_selectorIiiEEZZNS1_16scan_by_key_implILNS1_25lookback_scan_determinismE0ELb0ES3_N6thrust23THRUST_200600_302600_NS6detail15normal_iteratorINS9_10device_ptrIiEEEESE_SE_iNS9_4plusIvEENS9_8equal_toIiEEiEE10hipError_tPvRmT2_T3_T4_T5_mT6_T7_P12ihipStream_tbENKUlT_T0_E_clISt17integral_constantIbLb1EESZ_EEDaSU_SV_EUlSU_E_NS1_11comp_targetILNS1_3genE0ELNS1_11target_archE4294967295ELNS1_3gpuE0ELNS1_3repE0EEENS1_30default_config_static_selectorELNS0_4arch9wavefront6targetE0EEEvT1_
	.p2align	8
	.type	_ZN7rocprim17ROCPRIM_400000_NS6detail17trampoline_kernelINS0_14default_configENS1_27scan_by_key_config_selectorIiiEEZZNS1_16scan_by_key_implILNS1_25lookback_scan_determinismE0ELb0ES3_N6thrust23THRUST_200600_302600_NS6detail15normal_iteratorINS9_10device_ptrIiEEEESE_SE_iNS9_4plusIvEENS9_8equal_toIiEEiEE10hipError_tPvRmT2_T3_T4_T5_mT6_T7_P12ihipStream_tbENKUlT_T0_E_clISt17integral_constantIbLb1EESZ_EEDaSU_SV_EUlSU_E_NS1_11comp_targetILNS1_3genE0ELNS1_11target_archE4294967295ELNS1_3gpuE0ELNS1_3repE0EEENS1_30default_config_static_selectorELNS0_4arch9wavefront6targetE0EEEvT1_,@function
_ZN7rocprim17ROCPRIM_400000_NS6detail17trampoline_kernelINS0_14default_configENS1_27scan_by_key_config_selectorIiiEEZZNS1_16scan_by_key_implILNS1_25lookback_scan_determinismE0ELb0ES3_N6thrust23THRUST_200600_302600_NS6detail15normal_iteratorINS9_10device_ptrIiEEEESE_SE_iNS9_4plusIvEENS9_8equal_toIiEEiEE10hipError_tPvRmT2_T3_T4_T5_mT6_T7_P12ihipStream_tbENKUlT_T0_E_clISt17integral_constantIbLb1EESZ_EEDaSU_SV_EUlSU_E_NS1_11comp_targetILNS1_3genE0ELNS1_11target_archE4294967295ELNS1_3gpuE0ELNS1_3repE0EEENS1_30default_config_static_selectorELNS0_4arch9wavefront6targetE0EEEvT1_: ; @_ZN7rocprim17ROCPRIM_400000_NS6detail17trampoline_kernelINS0_14default_configENS1_27scan_by_key_config_selectorIiiEEZZNS1_16scan_by_key_implILNS1_25lookback_scan_determinismE0ELb0ES3_N6thrust23THRUST_200600_302600_NS6detail15normal_iteratorINS9_10device_ptrIiEEEESE_SE_iNS9_4plusIvEENS9_8equal_toIiEEiEE10hipError_tPvRmT2_T3_T4_T5_mT6_T7_P12ihipStream_tbENKUlT_T0_E_clISt17integral_constantIbLb1EESZ_EEDaSU_SV_EUlSU_E_NS1_11comp_targetILNS1_3genE0ELNS1_11target_archE4294967295ELNS1_3gpuE0ELNS1_3repE0EEENS1_30default_config_static_selectorELNS0_4arch9wavefront6targetE0EEEvT1_
; %bb.0:
	s_endpgm
	.section	.rodata,"a",@progbits
	.p2align	6, 0x0
	.amdhsa_kernel _ZN7rocprim17ROCPRIM_400000_NS6detail17trampoline_kernelINS0_14default_configENS1_27scan_by_key_config_selectorIiiEEZZNS1_16scan_by_key_implILNS1_25lookback_scan_determinismE0ELb0ES3_N6thrust23THRUST_200600_302600_NS6detail15normal_iteratorINS9_10device_ptrIiEEEESE_SE_iNS9_4plusIvEENS9_8equal_toIiEEiEE10hipError_tPvRmT2_T3_T4_T5_mT6_T7_P12ihipStream_tbENKUlT_T0_E_clISt17integral_constantIbLb1EESZ_EEDaSU_SV_EUlSU_E_NS1_11comp_targetILNS1_3genE0ELNS1_11target_archE4294967295ELNS1_3gpuE0ELNS1_3repE0EEENS1_30default_config_static_selectorELNS0_4arch9wavefront6targetE0EEEvT1_
		.amdhsa_group_segment_fixed_size 0
		.amdhsa_private_segment_fixed_size 0
		.amdhsa_kernarg_size 112
		.amdhsa_user_sgpr_count 2
		.amdhsa_user_sgpr_dispatch_ptr 0
		.amdhsa_user_sgpr_queue_ptr 0
		.amdhsa_user_sgpr_kernarg_segment_ptr 1
		.amdhsa_user_sgpr_dispatch_id 0
		.amdhsa_user_sgpr_kernarg_preload_length 0
		.amdhsa_user_sgpr_kernarg_preload_offset 0
		.amdhsa_user_sgpr_private_segment_size 0
		.amdhsa_wavefront_size32 1
		.amdhsa_uses_dynamic_stack 0
		.amdhsa_enable_private_segment 0
		.amdhsa_system_sgpr_workgroup_id_x 1
		.amdhsa_system_sgpr_workgroup_id_y 0
		.amdhsa_system_sgpr_workgroup_id_z 0
		.amdhsa_system_sgpr_workgroup_info 0
		.amdhsa_system_vgpr_workitem_id 0
		.amdhsa_next_free_vgpr 1
		.amdhsa_next_free_sgpr 1
		.amdhsa_named_barrier_count 0
		.amdhsa_reserve_vcc 0
		.amdhsa_float_round_mode_32 0
		.amdhsa_float_round_mode_16_64 0
		.amdhsa_float_denorm_mode_32 3
		.amdhsa_float_denorm_mode_16_64 3
		.amdhsa_fp16_overflow 0
		.amdhsa_memory_ordered 1
		.amdhsa_forward_progress 1
		.amdhsa_inst_pref_size 1
		.amdhsa_round_robin_scheduling 0
		.amdhsa_exception_fp_ieee_invalid_op 0
		.amdhsa_exception_fp_denorm_src 0
		.amdhsa_exception_fp_ieee_div_zero 0
		.amdhsa_exception_fp_ieee_overflow 0
		.amdhsa_exception_fp_ieee_underflow 0
		.amdhsa_exception_fp_ieee_inexact 0
		.amdhsa_exception_int_div_zero 0
	.end_amdhsa_kernel
	.section	.text._ZN7rocprim17ROCPRIM_400000_NS6detail17trampoline_kernelINS0_14default_configENS1_27scan_by_key_config_selectorIiiEEZZNS1_16scan_by_key_implILNS1_25lookback_scan_determinismE0ELb0ES3_N6thrust23THRUST_200600_302600_NS6detail15normal_iteratorINS9_10device_ptrIiEEEESE_SE_iNS9_4plusIvEENS9_8equal_toIiEEiEE10hipError_tPvRmT2_T3_T4_T5_mT6_T7_P12ihipStream_tbENKUlT_T0_E_clISt17integral_constantIbLb1EESZ_EEDaSU_SV_EUlSU_E_NS1_11comp_targetILNS1_3genE0ELNS1_11target_archE4294967295ELNS1_3gpuE0ELNS1_3repE0EEENS1_30default_config_static_selectorELNS0_4arch9wavefront6targetE0EEEvT1_,"axG",@progbits,_ZN7rocprim17ROCPRIM_400000_NS6detail17trampoline_kernelINS0_14default_configENS1_27scan_by_key_config_selectorIiiEEZZNS1_16scan_by_key_implILNS1_25lookback_scan_determinismE0ELb0ES3_N6thrust23THRUST_200600_302600_NS6detail15normal_iteratorINS9_10device_ptrIiEEEESE_SE_iNS9_4plusIvEENS9_8equal_toIiEEiEE10hipError_tPvRmT2_T3_T4_T5_mT6_T7_P12ihipStream_tbENKUlT_T0_E_clISt17integral_constantIbLb1EESZ_EEDaSU_SV_EUlSU_E_NS1_11comp_targetILNS1_3genE0ELNS1_11target_archE4294967295ELNS1_3gpuE0ELNS1_3repE0EEENS1_30default_config_static_selectorELNS0_4arch9wavefront6targetE0EEEvT1_,comdat
.Lfunc_end209:
	.size	_ZN7rocprim17ROCPRIM_400000_NS6detail17trampoline_kernelINS0_14default_configENS1_27scan_by_key_config_selectorIiiEEZZNS1_16scan_by_key_implILNS1_25lookback_scan_determinismE0ELb0ES3_N6thrust23THRUST_200600_302600_NS6detail15normal_iteratorINS9_10device_ptrIiEEEESE_SE_iNS9_4plusIvEENS9_8equal_toIiEEiEE10hipError_tPvRmT2_T3_T4_T5_mT6_T7_P12ihipStream_tbENKUlT_T0_E_clISt17integral_constantIbLb1EESZ_EEDaSU_SV_EUlSU_E_NS1_11comp_targetILNS1_3genE0ELNS1_11target_archE4294967295ELNS1_3gpuE0ELNS1_3repE0EEENS1_30default_config_static_selectorELNS0_4arch9wavefront6targetE0EEEvT1_, .Lfunc_end209-_ZN7rocprim17ROCPRIM_400000_NS6detail17trampoline_kernelINS0_14default_configENS1_27scan_by_key_config_selectorIiiEEZZNS1_16scan_by_key_implILNS1_25lookback_scan_determinismE0ELb0ES3_N6thrust23THRUST_200600_302600_NS6detail15normal_iteratorINS9_10device_ptrIiEEEESE_SE_iNS9_4plusIvEENS9_8equal_toIiEEiEE10hipError_tPvRmT2_T3_T4_T5_mT6_T7_P12ihipStream_tbENKUlT_T0_E_clISt17integral_constantIbLb1EESZ_EEDaSU_SV_EUlSU_E_NS1_11comp_targetILNS1_3genE0ELNS1_11target_archE4294967295ELNS1_3gpuE0ELNS1_3repE0EEENS1_30default_config_static_selectorELNS0_4arch9wavefront6targetE0EEEvT1_
                                        ; -- End function
	.set _ZN7rocprim17ROCPRIM_400000_NS6detail17trampoline_kernelINS0_14default_configENS1_27scan_by_key_config_selectorIiiEEZZNS1_16scan_by_key_implILNS1_25lookback_scan_determinismE0ELb0ES3_N6thrust23THRUST_200600_302600_NS6detail15normal_iteratorINS9_10device_ptrIiEEEESE_SE_iNS9_4plusIvEENS9_8equal_toIiEEiEE10hipError_tPvRmT2_T3_T4_T5_mT6_T7_P12ihipStream_tbENKUlT_T0_E_clISt17integral_constantIbLb1EESZ_EEDaSU_SV_EUlSU_E_NS1_11comp_targetILNS1_3genE0ELNS1_11target_archE4294967295ELNS1_3gpuE0ELNS1_3repE0EEENS1_30default_config_static_selectorELNS0_4arch9wavefront6targetE0EEEvT1_.num_vgpr, 0
	.set _ZN7rocprim17ROCPRIM_400000_NS6detail17trampoline_kernelINS0_14default_configENS1_27scan_by_key_config_selectorIiiEEZZNS1_16scan_by_key_implILNS1_25lookback_scan_determinismE0ELb0ES3_N6thrust23THRUST_200600_302600_NS6detail15normal_iteratorINS9_10device_ptrIiEEEESE_SE_iNS9_4plusIvEENS9_8equal_toIiEEiEE10hipError_tPvRmT2_T3_T4_T5_mT6_T7_P12ihipStream_tbENKUlT_T0_E_clISt17integral_constantIbLb1EESZ_EEDaSU_SV_EUlSU_E_NS1_11comp_targetILNS1_3genE0ELNS1_11target_archE4294967295ELNS1_3gpuE0ELNS1_3repE0EEENS1_30default_config_static_selectorELNS0_4arch9wavefront6targetE0EEEvT1_.num_agpr, 0
	.set _ZN7rocprim17ROCPRIM_400000_NS6detail17trampoline_kernelINS0_14default_configENS1_27scan_by_key_config_selectorIiiEEZZNS1_16scan_by_key_implILNS1_25lookback_scan_determinismE0ELb0ES3_N6thrust23THRUST_200600_302600_NS6detail15normal_iteratorINS9_10device_ptrIiEEEESE_SE_iNS9_4plusIvEENS9_8equal_toIiEEiEE10hipError_tPvRmT2_T3_T4_T5_mT6_T7_P12ihipStream_tbENKUlT_T0_E_clISt17integral_constantIbLb1EESZ_EEDaSU_SV_EUlSU_E_NS1_11comp_targetILNS1_3genE0ELNS1_11target_archE4294967295ELNS1_3gpuE0ELNS1_3repE0EEENS1_30default_config_static_selectorELNS0_4arch9wavefront6targetE0EEEvT1_.numbered_sgpr, 0
	.set _ZN7rocprim17ROCPRIM_400000_NS6detail17trampoline_kernelINS0_14default_configENS1_27scan_by_key_config_selectorIiiEEZZNS1_16scan_by_key_implILNS1_25lookback_scan_determinismE0ELb0ES3_N6thrust23THRUST_200600_302600_NS6detail15normal_iteratorINS9_10device_ptrIiEEEESE_SE_iNS9_4plusIvEENS9_8equal_toIiEEiEE10hipError_tPvRmT2_T3_T4_T5_mT6_T7_P12ihipStream_tbENKUlT_T0_E_clISt17integral_constantIbLb1EESZ_EEDaSU_SV_EUlSU_E_NS1_11comp_targetILNS1_3genE0ELNS1_11target_archE4294967295ELNS1_3gpuE0ELNS1_3repE0EEENS1_30default_config_static_selectorELNS0_4arch9wavefront6targetE0EEEvT1_.num_named_barrier, 0
	.set _ZN7rocprim17ROCPRIM_400000_NS6detail17trampoline_kernelINS0_14default_configENS1_27scan_by_key_config_selectorIiiEEZZNS1_16scan_by_key_implILNS1_25lookback_scan_determinismE0ELb0ES3_N6thrust23THRUST_200600_302600_NS6detail15normal_iteratorINS9_10device_ptrIiEEEESE_SE_iNS9_4plusIvEENS9_8equal_toIiEEiEE10hipError_tPvRmT2_T3_T4_T5_mT6_T7_P12ihipStream_tbENKUlT_T0_E_clISt17integral_constantIbLb1EESZ_EEDaSU_SV_EUlSU_E_NS1_11comp_targetILNS1_3genE0ELNS1_11target_archE4294967295ELNS1_3gpuE0ELNS1_3repE0EEENS1_30default_config_static_selectorELNS0_4arch9wavefront6targetE0EEEvT1_.private_seg_size, 0
	.set _ZN7rocprim17ROCPRIM_400000_NS6detail17trampoline_kernelINS0_14default_configENS1_27scan_by_key_config_selectorIiiEEZZNS1_16scan_by_key_implILNS1_25lookback_scan_determinismE0ELb0ES3_N6thrust23THRUST_200600_302600_NS6detail15normal_iteratorINS9_10device_ptrIiEEEESE_SE_iNS9_4plusIvEENS9_8equal_toIiEEiEE10hipError_tPvRmT2_T3_T4_T5_mT6_T7_P12ihipStream_tbENKUlT_T0_E_clISt17integral_constantIbLb1EESZ_EEDaSU_SV_EUlSU_E_NS1_11comp_targetILNS1_3genE0ELNS1_11target_archE4294967295ELNS1_3gpuE0ELNS1_3repE0EEENS1_30default_config_static_selectorELNS0_4arch9wavefront6targetE0EEEvT1_.uses_vcc, 0
	.set _ZN7rocprim17ROCPRIM_400000_NS6detail17trampoline_kernelINS0_14default_configENS1_27scan_by_key_config_selectorIiiEEZZNS1_16scan_by_key_implILNS1_25lookback_scan_determinismE0ELb0ES3_N6thrust23THRUST_200600_302600_NS6detail15normal_iteratorINS9_10device_ptrIiEEEESE_SE_iNS9_4plusIvEENS9_8equal_toIiEEiEE10hipError_tPvRmT2_T3_T4_T5_mT6_T7_P12ihipStream_tbENKUlT_T0_E_clISt17integral_constantIbLb1EESZ_EEDaSU_SV_EUlSU_E_NS1_11comp_targetILNS1_3genE0ELNS1_11target_archE4294967295ELNS1_3gpuE0ELNS1_3repE0EEENS1_30default_config_static_selectorELNS0_4arch9wavefront6targetE0EEEvT1_.uses_flat_scratch, 0
	.set _ZN7rocprim17ROCPRIM_400000_NS6detail17trampoline_kernelINS0_14default_configENS1_27scan_by_key_config_selectorIiiEEZZNS1_16scan_by_key_implILNS1_25lookback_scan_determinismE0ELb0ES3_N6thrust23THRUST_200600_302600_NS6detail15normal_iteratorINS9_10device_ptrIiEEEESE_SE_iNS9_4plusIvEENS9_8equal_toIiEEiEE10hipError_tPvRmT2_T3_T4_T5_mT6_T7_P12ihipStream_tbENKUlT_T0_E_clISt17integral_constantIbLb1EESZ_EEDaSU_SV_EUlSU_E_NS1_11comp_targetILNS1_3genE0ELNS1_11target_archE4294967295ELNS1_3gpuE0ELNS1_3repE0EEENS1_30default_config_static_selectorELNS0_4arch9wavefront6targetE0EEEvT1_.has_dyn_sized_stack, 0
	.set _ZN7rocprim17ROCPRIM_400000_NS6detail17trampoline_kernelINS0_14default_configENS1_27scan_by_key_config_selectorIiiEEZZNS1_16scan_by_key_implILNS1_25lookback_scan_determinismE0ELb0ES3_N6thrust23THRUST_200600_302600_NS6detail15normal_iteratorINS9_10device_ptrIiEEEESE_SE_iNS9_4plusIvEENS9_8equal_toIiEEiEE10hipError_tPvRmT2_T3_T4_T5_mT6_T7_P12ihipStream_tbENKUlT_T0_E_clISt17integral_constantIbLb1EESZ_EEDaSU_SV_EUlSU_E_NS1_11comp_targetILNS1_3genE0ELNS1_11target_archE4294967295ELNS1_3gpuE0ELNS1_3repE0EEENS1_30default_config_static_selectorELNS0_4arch9wavefront6targetE0EEEvT1_.has_recursion, 0
	.set _ZN7rocprim17ROCPRIM_400000_NS6detail17trampoline_kernelINS0_14default_configENS1_27scan_by_key_config_selectorIiiEEZZNS1_16scan_by_key_implILNS1_25lookback_scan_determinismE0ELb0ES3_N6thrust23THRUST_200600_302600_NS6detail15normal_iteratorINS9_10device_ptrIiEEEESE_SE_iNS9_4plusIvEENS9_8equal_toIiEEiEE10hipError_tPvRmT2_T3_T4_T5_mT6_T7_P12ihipStream_tbENKUlT_T0_E_clISt17integral_constantIbLb1EESZ_EEDaSU_SV_EUlSU_E_NS1_11comp_targetILNS1_3genE0ELNS1_11target_archE4294967295ELNS1_3gpuE0ELNS1_3repE0EEENS1_30default_config_static_selectorELNS0_4arch9wavefront6targetE0EEEvT1_.has_indirect_call, 0
	.section	.AMDGPU.csdata,"",@progbits
; Kernel info:
; codeLenInByte = 4
; TotalNumSgprs: 0
; NumVgprs: 0
; ScratchSize: 0
; MemoryBound: 0
; FloatMode: 240
; IeeeMode: 1
; LDSByteSize: 0 bytes/workgroup (compile time only)
; SGPRBlocks: 0
; VGPRBlocks: 0
; NumSGPRsForWavesPerEU: 1
; NumVGPRsForWavesPerEU: 1
; NamedBarCnt: 0
; Occupancy: 16
; WaveLimiterHint : 0
; COMPUTE_PGM_RSRC2:SCRATCH_EN: 0
; COMPUTE_PGM_RSRC2:USER_SGPR: 2
; COMPUTE_PGM_RSRC2:TRAP_HANDLER: 0
; COMPUTE_PGM_RSRC2:TGID_X_EN: 1
; COMPUTE_PGM_RSRC2:TGID_Y_EN: 0
; COMPUTE_PGM_RSRC2:TGID_Z_EN: 0
; COMPUTE_PGM_RSRC2:TIDIG_COMP_CNT: 0
	.section	.text._ZN7rocprim17ROCPRIM_400000_NS6detail17trampoline_kernelINS0_14default_configENS1_27scan_by_key_config_selectorIiiEEZZNS1_16scan_by_key_implILNS1_25lookback_scan_determinismE0ELb0ES3_N6thrust23THRUST_200600_302600_NS6detail15normal_iteratorINS9_10device_ptrIiEEEESE_SE_iNS9_4plusIvEENS9_8equal_toIiEEiEE10hipError_tPvRmT2_T3_T4_T5_mT6_T7_P12ihipStream_tbENKUlT_T0_E_clISt17integral_constantIbLb1EESZ_EEDaSU_SV_EUlSU_E_NS1_11comp_targetILNS1_3genE10ELNS1_11target_archE1201ELNS1_3gpuE5ELNS1_3repE0EEENS1_30default_config_static_selectorELNS0_4arch9wavefront6targetE0EEEvT1_,"axG",@progbits,_ZN7rocprim17ROCPRIM_400000_NS6detail17trampoline_kernelINS0_14default_configENS1_27scan_by_key_config_selectorIiiEEZZNS1_16scan_by_key_implILNS1_25lookback_scan_determinismE0ELb0ES3_N6thrust23THRUST_200600_302600_NS6detail15normal_iteratorINS9_10device_ptrIiEEEESE_SE_iNS9_4plusIvEENS9_8equal_toIiEEiEE10hipError_tPvRmT2_T3_T4_T5_mT6_T7_P12ihipStream_tbENKUlT_T0_E_clISt17integral_constantIbLb1EESZ_EEDaSU_SV_EUlSU_E_NS1_11comp_targetILNS1_3genE10ELNS1_11target_archE1201ELNS1_3gpuE5ELNS1_3repE0EEENS1_30default_config_static_selectorELNS0_4arch9wavefront6targetE0EEEvT1_,comdat
	.protected	_ZN7rocprim17ROCPRIM_400000_NS6detail17trampoline_kernelINS0_14default_configENS1_27scan_by_key_config_selectorIiiEEZZNS1_16scan_by_key_implILNS1_25lookback_scan_determinismE0ELb0ES3_N6thrust23THRUST_200600_302600_NS6detail15normal_iteratorINS9_10device_ptrIiEEEESE_SE_iNS9_4plusIvEENS9_8equal_toIiEEiEE10hipError_tPvRmT2_T3_T4_T5_mT6_T7_P12ihipStream_tbENKUlT_T0_E_clISt17integral_constantIbLb1EESZ_EEDaSU_SV_EUlSU_E_NS1_11comp_targetILNS1_3genE10ELNS1_11target_archE1201ELNS1_3gpuE5ELNS1_3repE0EEENS1_30default_config_static_selectorELNS0_4arch9wavefront6targetE0EEEvT1_ ; -- Begin function _ZN7rocprim17ROCPRIM_400000_NS6detail17trampoline_kernelINS0_14default_configENS1_27scan_by_key_config_selectorIiiEEZZNS1_16scan_by_key_implILNS1_25lookback_scan_determinismE0ELb0ES3_N6thrust23THRUST_200600_302600_NS6detail15normal_iteratorINS9_10device_ptrIiEEEESE_SE_iNS9_4plusIvEENS9_8equal_toIiEEiEE10hipError_tPvRmT2_T3_T4_T5_mT6_T7_P12ihipStream_tbENKUlT_T0_E_clISt17integral_constantIbLb1EESZ_EEDaSU_SV_EUlSU_E_NS1_11comp_targetILNS1_3genE10ELNS1_11target_archE1201ELNS1_3gpuE5ELNS1_3repE0EEENS1_30default_config_static_selectorELNS0_4arch9wavefront6targetE0EEEvT1_
	.globl	_ZN7rocprim17ROCPRIM_400000_NS6detail17trampoline_kernelINS0_14default_configENS1_27scan_by_key_config_selectorIiiEEZZNS1_16scan_by_key_implILNS1_25lookback_scan_determinismE0ELb0ES3_N6thrust23THRUST_200600_302600_NS6detail15normal_iteratorINS9_10device_ptrIiEEEESE_SE_iNS9_4plusIvEENS9_8equal_toIiEEiEE10hipError_tPvRmT2_T3_T4_T5_mT6_T7_P12ihipStream_tbENKUlT_T0_E_clISt17integral_constantIbLb1EESZ_EEDaSU_SV_EUlSU_E_NS1_11comp_targetILNS1_3genE10ELNS1_11target_archE1201ELNS1_3gpuE5ELNS1_3repE0EEENS1_30default_config_static_selectorELNS0_4arch9wavefront6targetE0EEEvT1_
	.p2align	8
	.type	_ZN7rocprim17ROCPRIM_400000_NS6detail17trampoline_kernelINS0_14default_configENS1_27scan_by_key_config_selectorIiiEEZZNS1_16scan_by_key_implILNS1_25lookback_scan_determinismE0ELb0ES3_N6thrust23THRUST_200600_302600_NS6detail15normal_iteratorINS9_10device_ptrIiEEEESE_SE_iNS9_4plusIvEENS9_8equal_toIiEEiEE10hipError_tPvRmT2_T3_T4_T5_mT6_T7_P12ihipStream_tbENKUlT_T0_E_clISt17integral_constantIbLb1EESZ_EEDaSU_SV_EUlSU_E_NS1_11comp_targetILNS1_3genE10ELNS1_11target_archE1201ELNS1_3gpuE5ELNS1_3repE0EEENS1_30default_config_static_selectorELNS0_4arch9wavefront6targetE0EEEvT1_,@function
_ZN7rocprim17ROCPRIM_400000_NS6detail17trampoline_kernelINS0_14default_configENS1_27scan_by_key_config_selectorIiiEEZZNS1_16scan_by_key_implILNS1_25lookback_scan_determinismE0ELb0ES3_N6thrust23THRUST_200600_302600_NS6detail15normal_iteratorINS9_10device_ptrIiEEEESE_SE_iNS9_4plusIvEENS9_8equal_toIiEEiEE10hipError_tPvRmT2_T3_T4_T5_mT6_T7_P12ihipStream_tbENKUlT_T0_E_clISt17integral_constantIbLb1EESZ_EEDaSU_SV_EUlSU_E_NS1_11comp_targetILNS1_3genE10ELNS1_11target_archE1201ELNS1_3gpuE5ELNS1_3repE0EEENS1_30default_config_static_selectorELNS0_4arch9wavefront6targetE0EEEvT1_: ; @_ZN7rocprim17ROCPRIM_400000_NS6detail17trampoline_kernelINS0_14default_configENS1_27scan_by_key_config_selectorIiiEEZZNS1_16scan_by_key_implILNS1_25lookback_scan_determinismE0ELb0ES3_N6thrust23THRUST_200600_302600_NS6detail15normal_iteratorINS9_10device_ptrIiEEEESE_SE_iNS9_4plusIvEENS9_8equal_toIiEEiEE10hipError_tPvRmT2_T3_T4_T5_mT6_T7_P12ihipStream_tbENKUlT_T0_E_clISt17integral_constantIbLb1EESZ_EEDaSU_SV_EUlSU_E_NS1_11comp_targetILNS1_3genE10ELNS1_11target_archE1201ELNS1_3gpuE5ELNS1_3repE0EEENS1_30default_config_static_selectorELNS0_4arch9wavefront6targetE0EEEvT1_
; %bb.0:
	.section	.rodata,"a",@progbits
	.p2align	6, 0x0
	.amdhsa_kernel _ZN7rocprim17ROCPRIM_400000_NS6detail17trampoline_kernelINS0_14default_configENS1_27scan_by_key_config_selectorIiiEEZZNS1_16scan_by_key_implILNS1_25lookback_scan_determinismE0ELb0ES3_N6thrust23THRUST_200600_302600_NS6detail15normal_iteratorINS9_10device_ptrIiEEEESE_SE_iNS9_4plusIvEENS9_8equal_toIiEEiEE10hipError_tPvRmT2_T3_T4_T5_mT6_T7_P12ihipStream_tbENKUlT_T0_E_clISt17integral_constantIbLb1EESZ_EEDaSU_SV_EUlSU_E_NS1_11comp_targetILNS1_3genE10ELNS1_11target_archE1201ELNS1_3gpuE5ELNS1_3repE0EEENS1_30default_config_static_selectorELNS0_4arch9wavefront6targetE0EEEvT1_
		.amdhsa_group_segment_fixed_size 0
		.amdhsa_private_segment_fixed_size 0
		.amdhsa_kernarg_size 112
		.amdhsa_user_sgpr_count 2
		.amdhsa_user_sgpr_dispatch_ptr 0
		.amdhsa_user_sgpr_queue_ptr 0
		.amdhsa_user_sgpr_kernarg_segment_ptr 1
		.amdhsa_user_sgpr_dispatch_id 0
		.amdhsa_user_sgpr_kernarg_preload_length 0
		.amdhsa_user_sgpr_kernarg_preload_offset 0
		.amdhsa_user_sgpr_private_segment_size 0
		.amdhsa_wavefront_size32 1
		.amdhsa_uses_dynamic_stack 0
		.amdhsa_enable_private_segment 0
		.amdhsa_system_sgpr_workgroup_id_x 1
		.amdhsa_system_sgpr_workgroup_id_y 0
		.amdhsa_system_sgpr_workgroup_id_z 0
		.amdhsa_system_sgpr_workgroup_info 0
		.amdhsa_system_vgpr_workitem_id 0
		.amdhsa_next_free_vgpr 1
		.amdhsa_next_free_sgpr 1
		.amdhsa_named_barrier_count 0
		.amdhsa_reserve_vcc 0
		.amdhsa_float_round_mode_32 0
		.amdhsa_float_round_mode_16_64 0
		.amdhsa_float_denorm_mode_32 3
		.amdhsa_float_denorm_mode_16_64 3
		.amdhsa_fp16_overflow 0
		.amdhsa_memory_ordered 1
		.amdhsa_forward_progress 1
		.amdhsa_inst_pref_size 0
		.amdhsa_round_robin_scheduling 0
		.amdhsa_exception_fp_ieee_invalid_op 0
		.amdhsa_exception_fp_denorm_src 0
		.amdhsa_exception_fp_ieee_div_zero 0
		.amdhsa_exception_fp_ieee_overflow 0
		.amdhsa_exception_fp_ieee_underflow 0
		.amdhsa_exception_fp_ieee_inexact 0
		.amdhsa_exception_int_div_zero 0
	.end_amdhsa_kernel
	.section	.text._ZN7rocprim17ROCPRIM_400000_NS6detail17trampoline_kernelINS0_14default_configENS1_27scan_by_key_config_selectorIiiEEZZNS1_16scan_by_key_implILNS1_25lookback_scan_determinismE0ELb0ES3_N6thrust23THRUST_200600_302600_NS6detail15normal_iteratorINS9_10device_ptrIiEEEESE_SE_iNS9_4plusIvEENS9_8equal_toIiEEiEE10hipError_tPvRmT2_T3_T4_T5_mT6_T7_P12ihipStream_tbENKUlT_T0_E_clISt17integral_constantIbLb1EESZ_EEDaSU_SV_EUlSU_E_NS1_11comp_targetILNS1_3genE10ELNS1_11target_archE1201ELNS1_3gpuE5ELNS1_3repE0EEENS1_30default_config_static_selectorELNS0_4arch9wavefront6targetE0EEEvT1_,"axG",@progbits,_ZN7rocprim17ROCPRIM_400000_NS6detail17trampoline_kernelINS0_14default_configENS1_27scan_by_key_config_selectorIiiEEZZNS1_16scan_by_key_implILNS1_25lookback_scan_determinismE0ELb0ES3_N6thrust23THRUST_200600_302600_NS6detail15normal_iteratorINS9_10device_ptrIiEEEESE_SE_iNS9_4plusIvEENS9_8equal_toIiEEiEE10hipError_tPvRmT2_T3_T4_T5_mT6_T7_P12ihipStream_tbENKUlT_T0_E_clISt17integral_constantIbLb1EESZ_EEDaSU_SV_EUlSU_E_NS1_11comp_targetILNS1_3genE10ELNS1_11target_archE1201ELNS1_3gpuE5ELNS1_3repE0EEENS1_30default_config_static_selectorELNS0_4arch9wavefront6targetE0EEEvT1_,comdat
.Lfunc_end210:
	.size	_ZN7rocprim17ROCPRIM_400000_NS6detail17trampoline_kernelINS0_14default_configENS1_27scan_by_key_config_selectorIiiEEZZNS1_16scan_by_key_implILNS1_25lookback_scan_determinismE0ELb0ES3_N6thrust23THRUST_200600_302600_NS6detail15normal_iteratorINS9_10device_ptrIiEEEESE_SE_iNS9_4plusIvEENS9_8equal_toIiEEiEE10hipError_tPvRmT2_T3_T4_T5_mT6_T7_P12ihipStream_tbENKUlT_T0_E_clISt17integral_constantIbLb1EESZ_EEDaSU_SV_EUlSU_E_NS1_11comp_targetILNS1_3genE10ELNS1_11target_archE1201ELNS1_3gpuE5ELNS1_3repE0EEENS1_30default_config_static_selectorELNS0_4arch9wavefront6targetE0EEEvT1_, .Lfunc_end210-_ZN7rocprim17ROCPRIM_400000_NS6detail17trampoline_kernelINS0_14default_configENS1_27scan_by_key_config_selectorIiiEEZZNS1_16scan_by_key_implILNS1_25lookback_scan_determinismE0ELb0ES3_N6thrust23THRUST_200600_302600_NS6detail15normal_iteratorINS9_10device_ptrIiEEEESE_SE_iNS9_4plusIvEENS9_8equal_toIiEEiEE10hipError_tPvRmT2_T3_T4_T5_mT6_T7_P12ihipStream_tbENKUlT_T0_E_clISt17integral_constantIbLb1EESZ_EEDaSU_SV_EUlSU_E_NS1_11comp_targetILNS1_3genE10ELNS1_11target_archE1201ELNS1_3gpuE5ELNS1_3repE0EEENS1_30default_config_static_selectorELNS0_4arch9wavefront6targetE0EEEvT1_
                                        ; -- End function
	.set _ZN7rocprim17ROCPRIM_400000_NS6detail17trampoline_kernelINS0_14default_configENS1_27scan_by_key_config_selectorIiiEEZZNS1_16scan_by_key_implILNS1_25lookback_scan_determinismE0ELb0ES3_N6thrust23THRUST_200600_302600_NS6detail15normal_iteratorINS9_10device_ptrIiEEEESE_SE_iNS9_4plusIvEENS9_8equal_toIiEEiEE10hipError_tPvRmT2_T3_T4_T5_mT6_T7_P12ihipStream_tbENKUlT_T0_E_clISt17integral_constantIbLb1EESZ_EEDaSU_SV_EUlSU_E_NS1_11comp_targetILNS1_3genE10ELNS1_11target_archE1201ELNS1_3gpuE5ELNS1_3repE0EEENS1_30default_config_static_selectorELNS0_4arch9wavefront6targetE0EEEvT1_.num_vgpr, 0
	.set _ZN7rocprim17ROCPRIM_400000_NS6detail17trampoline_kernelINS0_14default_configENS1_27scan_by_key_config_selectorIiiEEZZNS1_16scan_by_key_implILNS1_25lookback_scan_determinismE0ELb0ES3_N6thrust23THRUST_200600_302600_NS6detail15normal_iteratorINS9_10device_ptrIiEEEESE_SE_iNS9_4plusIvEENS9_8equal_toIiEEiEE10hipError_tPvRmT2_T3_T4_T5_mT6_T7_P12ihipStream_tbENKUlT_T0_E_clISt17integral_constantIbLb1EESZ_EEDaSU_SV_EUlSU_E_NS1_11comp_targetILNS1_3genE10ELNS1_11target_archE1201ELNS1_3gpuE5ELNS1_3repE0EEENS1_30default_config_static_selectorELNS0_4arch9wavefront6targetE0EEEvT1_.num_agpr, 0
	.set _ZN7rocprim17ROCPRIM_400000_NS6detail17trampoline_kernelINS0_14default_configENS1_27scan_by_key_config_selectorIiiEEZZNS1_16scan_by_key_implILNS1_25lookback_scan_determinismE0ELb0ES3_N6thrust23THRUST_200600_302600_NS6detail15normal_iteratorINS9_10device_ptrIiEEEESE_SE_iNS9_4plusIvEENS9_8equal_toIiEEiEE10hipError_tPvRmT2_T3_T4_T5_mT6_T7_P12ihipStream_tbENKUlT_T0_E_clISt17integral_constantIbLb1EESZ_EEDaSU_SV_EUlSU_E_NS1_11comp_targetILNS1_3genE10ELNS1_11target_archE1201ELNS1_3gpuE5ELNS1_3repE0EEENS1_30default_config_static_selectorELNS0_4arch9wavefront6targetE0EEEvT1_.numbered_sgpr, 0
	.set _ZN7rocprim17ROCPRIM_400000_NS6detail17trampoline_kernelINS0_14default_configENS1_27scan_by_key_config_selectorIiiEEZZNS1_16scan_by_key_implILNS1_25lookback_scan_determinismE0ELb0ES3_N6thrust23THRUST_200600_302600_NS6detail15normal_iteratorINS9_10device_ptrIiEEEESE_SE_iNS9_4plusIvEENS9_8equal_toIiEEiEE10hipError_tPvRmT2_T3_T4_T5_mT6_T7_P12ihipStream_tbENKUlT_T0_E_clISt17integral_constantIbLb1EESZ_EEDaSU_SV_EUlSU_E_NS1_11comp_targetILNS1_3genE10ELNS1_11target_archE1201ELNS1_3gpuE5ELNS1_3repE0EEENS1_30default_config_static_selectorELNS0_4arch9wavefront6targetE0EEEvT1_.num_named_barrier, 0
	.set _ZN7rocprim17ROCPRIM_400000_NS6detail17trampoline_kernelINS0_14default_configENS1_27scan_by_key_config_selectorIiiEEZZNS1_16scan_by_key_implILNS1_25lookback_scan_determinismE0ELb0ES3_N6thrust23THRUST_200600_302600_NS6detail15normal_iteratorINS9_10device_ptrIiEEEESE_SE_iNS9_4plusIvEENS9_8equal_toIiEEiEE10hipError_tPvRmT2_T3_T4_T5_mT6_T7_P12ihipStream_tbENKUlT_T0_E_clISt17integral_constantIbLb1EESZ_EEDaSU_SV_EUlSU_E_NS1_11comp_targetILNS1_3genE10ELNS1_11target_archE1201ELNS1_3gpuE5ELNS1_3repE0EEENS1_30default_config_static_selectorELNS0_4arch9wavefront6targetE0EEEvT1_.private_seg_size, 0
	.set _ZN7rocprim17ROCPRIM_400000_NS6detail17trampoline_kernelINS0_14default_configENS1_27scan_by_key_config_selectorIiiEEZZNS1_16scan_by_key_implILNS1_25lookback_scan_determinismE0ELb0ES3_N6thrust23THRUST_200600_302600_NS6detail15normal_iteratorINS9_10device_ptrIiEEEESE_SE_iNS9_4plusIvEENS9_8equal_toIiEEiEE10hipError_tPvRmT2_T3_T4_T5_mT6_T7_P12ihipStream_tbENKUlT_T0_E_clISt17integral_constantIbLb1EESZ_EEDaSU_SV_EUlSU_E_NS1_11comp_targetILNS1_3genE10ELNS1_11target_archE1201ELNS1_3gpuE5ELNS1_3repE0EEENS1_30default_config_static_selectorELNS0_4arch9wavefront6targetE0EEEvT1_.uses_vcc, 0
	.set _ZN7rocprim17ROCPRIM_400000_NS6detail17trampoline_kernelINS0_14default_configENS1_27scan_by_key_config_selectorIiiEEZZNS1_16scan_by_key_implILNS1_25lookback_scan_determinismE0ELb0ES3_N6thrust23THRUST_200600_302600_NS6detail15normal_iteratorINS9_10device_ptrIiEEEESE_SE_iNS9_4plusIvEENS9_8equal_toIiEEiEE10hipError_tPvRmT2_T3_T4_T5_mT6_T7_P12ihipStream_tbENKUlT_T0_E_clISt17integral_constantIbLb1EESZ_EEDaSU_SV_EUlSU_E_NS1_11comp_targetILNS1_3genE10ELNS1_11target_archE1201ELNS1_3gpuE5ELNS1_3repE0EEENS1_30default_config_static_selectorELNS0_4arch9wavefront6targetE0EEEvT1_.uses_flat_scratch, 0
	.set _ZN7rocprim17ROCPRIM_400000_NS6detail17trampoline_kernelINS0_14default_configENS1_27scan_by_key_config_selectorIiiEEZZNS1_16scan_by_key_implILNS1_25lookback_scan_determinismE0ELb0ES3_N6thrust23THRUST_200600_302600_NS6detail15normal_iteratorINS9_10device_ptrIiEEEESE_SE_iNS9_4plusIvEENS9_8equal_toIiEEiEE10hipError_tPvRmT2_T3_T4_T5_mT6_T7_P12ihipStream_tbENKUlT_T0_E_clISt17integral_constantIbLb1EESZ_EEDaSU_SV_EUlSU_E_NS1_11comp_targetILNS1_3genE10ELNS1_11target_archE1201ELNS1_3gpuE5ELNS1_3repE0EEENS1_30default_config_static_selectorELNS0_4arch9wavefront6targetE0EEEvT1_.has_dyn_sized_stack, 0
	.set _ZN7rocprim17ROCPRIM_400000_NS6detail17trampoline_kernelINS0_14default_configENS1_27scan_by_key_config_selectorIiiEEZZNS1_16scan_by_key_implILNS1_25lookback_scan_determinismE0ELb0ES3_N6thrust23THRUST_200600_302600_NS6detail15normal_iteratorINS9_10device_ptrIiEEEESE_SE_iNS9_4plusIvEENS9_8equal_toIiEEiEE10hipError_tPvRmT2_T3_T4_T5_mT6_T7_P12ihipStream_tbENKUlT_T0_E_clISt17integral_constantIbLb1EESZ_EEDaSU_SV_EUlSU_E_NS1_11comp_targetILNS1_3genE10ELNS1_11target_archE1201ELNS1_3gpuE5ELNS1_3repE0EEENS1_30default_config_static_selectorELNS0_4arch9wavefront6targetE0EEEvT1_.has_recursion, 0
	.set _ZN7rocprim17ROCPRIM_400000_NS6detail17trampoline_kernelINS0_14default_configENS1_27scan_by_key_config_selectorIiiEEZZNS1_16scan_by_key_implILNS1_25lookback_scan_determinismE0ELb0ES3_N6thrust23THRUST_200600_302600_NS6detail15normal_iteratorINS9_10device_ptrIiEEEESE_SE_iNS9_4plusIvEENS9_8equal_toIiEEiEE10hipError_tPvRmT2_T3_T4_T5_mT6_T7_P12ihipStream_tbENKUlT_T0_E_clISt17integral_constantIbLb1EESZ_EEDaSU_SV_EUlSU_E_NS1_11comp_targetILNS1_3genE10ELNS1_11target_archE1201ELNS1_3gpuE5ELNS1_3repE0EEENS1_30default_config_static_selectorELNS0_4arch9wavefront6targetE0EEEvT1_.has_indirect_call, 0
	.section	.AMDGPU.csdata,"",@progbits
; Kernel info:
; codeLenInByte = 0
; TotalNumSgprs: 0
; NumVgprs: 0
; ScratchSize: 0
; MemoryBound: 0
; FloatMode: 240
; IeeeMode: 1
; LDSByteSize: 0 bytes/workgroup (compile time only)
; SGPRBlocks: 0
; VGPRBlocks: 0
; NumSGPRsForWavesPerEU: 1
; NumVGPRsForWavesPerEU: 1
; NamedBarCnt: 0
; Occupancy: 16
; WaveLimiterHint : 0
; COMPUTE_PGM_RSRC2:SCRATCH_EN: 0
; COMPUTE_PGM_RSRC2:USER_SGPR: 2
; COMPUTE_PGM_RSRC2:TRAP_HANDLER: 0
; COMPUTE_PGM_RSRC2:TGID_X_EN: 1
; COMPUTE_PGM_RSRC2:TGID_Y_EN: 0
; COMPUTE_PGM_RSRC2:TGID_Z_EN: 0
; COMPUTE_PGM_RSRC2:TIDIG_COMP_CNT: 0
	.section	.text._ZN7rocprim17ROCPRIM_400000_NS6detail17trampoline_kernelINS0_14default_configENS1_27scan_by_key_config_selectorIiiEEZZNS1_16scan_by_key_implILNS1_25lookback_scan_determinismE0ELb0ES3_N6thrust23THRUST_200600_302600_NS6detail15normal_iteratorINS9_10device_ptrIiEEEESE_SE_iNS9_4plusIvEENS9_8equal_toIiEEiEE10hipError_tPvRmT2_T3_T4_T5_mT6_T7_P12ihipStream_tbENKUlT_T0_E_clISt17integral_constantIbLb1EESZ_EEDaSU_SV_EUlSU_E_NS1_11comp_targetILNS1_3genE5ELNS1_11target_archE942ELNS1_3gpuE9ELNS1_3repE0EEENS1_30default_config_static_selectorELNS0_4arch9wavefront6targetE0EEEvT1_,"axG",@progbits,_ZN7rocprim17ROCPRIM_400000_NS6detail17trampoline_kernelINS0_14default_configENS1_27scan_by_key_config_selectorIiiEEZZNS1_16scan_by_key_implILNS1_25lookback_scan_determinismE0ELb0ES3_N6thrust23THRUST_200600_302600_NS6detail15normal_iteratorINS9_10device_ptrIiEEEESE_SE_iNS9_4plusIvEENS9_8equal_toIiEEiEE10hipError_tPvRmT2_T3_T4_T5_mT6_T7_P12ihipStream_tbENKUlT_T0_E_clISt17integral_constantIbLb1EESZ_EEDaSU_SV_EUlSU_E_NS1_11comp_targetILNS1_3genE5ELNS1_11target_archE942ELNS1_3gpuE9ELNS1_3repE0EEENS1_30default_config_static_selectorELNS0_4arch9wavefront6targetE0EEEvT1_,comdat
	.protected	_ZN7rocprim17ROCPRIM_400000_NS6detail17trampoline_kernelINS0_14default_configENS1_27scan_by_key_config_selectorIiiEEZZNS1_16scan_by_key_implILNS1_25lookback_scan_determinismE0ELb0ES3_N6thrust23THRUST_200600_302600_NS6detail15normal_iteratorINS9_10device_ptrIiEEEESE_SE_iNS9_4plusIvEENS9_8equal_toIiEEiEE10hipError_tPvRmT2_T3_T4_T5_mT6_T7_P12ihipStream_tbENKUlT_T0_E_clISt17integral_constantIbLb1EESZ_EEDaSU_SV_EUlSU_E_NS1_11comp_targetILNS1_3genE5ELNS1_11target_archE942ELNS1_3gpuE9ELNS1_3repE0EEENS1_30default_config_static_selectorELNS0_4arch9wavefront6targetE0EEEvT1_ ; -- Begin function _ZN7rocprim17ROCPRIM_400000_NS6detail17trampoline_kernelINS0_14default_configENS1_27scan_by_key_config_selectorIiiEEZZNS1_16scan_by_key_implILNS1_25lookback_scan_determinismE0ELb0ES3_N6thrust23THRUST_200600_302600_NS6detail15normal_iteratorINS9_10device_ptrIiEEEESE_SE_iNS9_4plusIvEENS9_8equal_toIiEEiEE10hipError_tPvRmT2_T3_T4_T5_mT6_T7_P12ihipStream_tbENKUlT_T0_E_clISt17integral_constantIbLb1EESZ_EEDaSU_SV_EUlSU_E_NS1_11comp_targetILNS1_3genE5ELNS1_11target_archE942ELNS1_3gpuE9ELNS1_3repE0EEENS1_30default_config_static_selectorELNS0_4arch9wavefront6targetE0EEEvT1_
	.globl	_ZN7rocprim17ROCPRIM_400000_NS6detail17trampoline_kernelINS0_14default_configENS1_27scan_by_key_config_selectorIiiEEZZNS1_16scan_by_key_implILNS1_25lookback_scan_determinismE0ELb0ES3_N6thrust23THRUST_200600_302600_NS6detail15normal_iteratorINS9_10device_ptrIiEEEESE_SE_iNS9_4plusIvEENS9_8equal_toIiEEiEE10hipError_tPvRmT2_T3_T4_T5_mT6_T7_P12ihipStream_tbENKUlT_T0_E_clISt17integral_constantIbLb1EESZ_EEDaSU_SV_EUlSU_E_NS1_11comp_targetILNS1_3genE5ELNS1_11target_archE942ELNS1_3gpuE9ELNS1_3repE0EEENS1_30default_config_static_selectorELNS0_4arch9wavefront6targetE0EEEvT1_
	.p2align	8
	.type	_ZN7rocprim17ROCPRIM_400000_NS6detail17trampoline_kernelINS0_14default_configENS1_27scan_by_key_config_selectorIiiEEZZNS1_16scan_by_key_implILNS1_25lookback_scan_determinismE0ELb0ES3_N6thrust23THRUST_200600_302600_NS6detail15normal_iteratorINS9_10device_ptrIiEEEESE_SE_iNS9_4plusIvEENS9_8equal_toIiEEiEE10hipError_tPvRmT2_T3_T4_T5_mT6_T7_P12ihipStream_tbENKUlT_T0_E_clISt17integral_constantIbLb1EESZ_EEDaSU_SV_EUlSU_E_NS1_11comp_targetILNS1_3genE5ELNS1_11target_archE942ELNS1_3gpuE9ELNS1_3repE0EEENS1_30default_config_static_selectorELNS0_4arch9wavefront6targetE0EEEvT1_,@function
_ZN7rocprim17ROCPRIM_400000_NS6detail17trampoline_kernelINS0_14default_configENS1_27scan_by_key_config_selectorIiiEEZZNS1_16scan_by_key_implILNS1_25lookback_scan_determinismE0ELb0ES3_N6thrust23THRUST_200600_302600_NS6detail15normal_iteratorINS9_10device_ptrIiEEEESE_SE_iNS9_4plusIvEENS9_8equal_toIiEEiEE10hipError_tPvRmT2_T3_T4_T5_mT6_T7_P12ihipStream_tbENKUlT_T0_E_clISt17integral_constantIbLb1EESZ_EEDaSU_SV_EUlSU_E_NS1_11comp_targetILNS1_3genE5ELNS1_11target_archE942ELNS1_3gpuE9ELNS1_3repE0EEENS1_30default_config_static_selectorELNS0_4arch9wavefront6targetE0EEEvT1_: ; @_ZN7rocprim17ROCPRIM_400000_NS6detail17trampoline_kernelINS0_14default_configENS1_27scan_by_key_config_selectorIiiEEZZNS1_16scan_by_key_implILNS1_25lookback_scan_determinismE0ELb0ES3_N6thrust23THRUST_200600_302600_NS6detail15normal_iteratorINS9_10device_ptrIiEEEESE_SE_iNS9_4plusIvEENS9_8equal_toIiEEiEE10hipError_tPvRmT2_T3_T4_T5_mT6_T7_P12ihipStream_tbENKUlT_T0_E_clISt17integral_constantIbLb1EESZ_EEDaSU_SV_EUlSU_E_NS1_11comp_targetILNS1_3genE5ELNS1_11target_archE942ELNS1_3gpuE9ELNS1_3repE0EEENS1_30default_config_static_selectorELNS0_4arch9wavefront6targetE0EEEvT1_
; %bb.0:
	.section	.rodata,"a",@progbits
	.p2align	6, 0x0
	.amdhsa_kernel _ZN7rocprim17ROCPRIM_400000_NS6detail17trampoline_kernelINS0_14default_configENS1_27scan_by_key_config_selectorIiiEEZZNS1_16scan_by_key_implILNS1_25lookback_scan_determinismE0ELb0ES3_N6thrust23THRUST_200600_302600_NS6detail15normal_iteratorINS9_10device_ptrIiEEEESE_SE_iNS9_4plusIvEENS9_8equal_toIiEEiEE10hipError_tPvRmT2_T3_T4_T5_mT6_T7_P12ihipStream_tbENKUlT_T0_E_clISt17integral_constantIbLb1EESZ_EEDaSU_SV_EUlSU_E_NS1_11comp_targetILNS1_3genE5ELNS1_11target_archE942ELNS1_3gpuE9ELNS1_3repE0EEENS1_30default_config_static_selectorELNS0_4arch9wavefront6targetE0EEEvT1_
		.amdhsa_group_segment_fixed_size 0
		.amdhsa_private_segment_fixed_size 0
		.amdhsa_kernarg_size 112
		.amdhsa_user_sgpr_count 2
		.amdhsa_user_sgpr_dispatch_ptr 0
		.amdhsa_user_sgpr_queue_ptr 0
		.amdhsa_user_sgpr_kernarg_segment_ptr 1
		.amdhsa_user_sgpr_dispatch_id 0
		.amdhsa_user_sgpr_kernarg_preload_length 0
		.amdhsa_user_sgpr_kernarg_preload_offset 0
		.amdhsa_user_sgpr_private_segment_size 0
		.amdhsa_wavefront_size32 1
		.amdhsa_uses_dynamic_stack 0
		.amdhsa_enable_private_segment 0
		.amdhsa_system_sgpr_workgroup_id_x 1
		.amdhsa_system_sgpr_workgroup_id_y 0
		.amdhsa_system_sgpr_workgroup_id_z 0
		.amdhsa_system_sgpr_workgroup_info 0
		.amdhsa_system_vgpr_workitem_id 0
		.amdhsa_next_free_vgpr 1
		.amdhsa_next_free_sgpr 1
		.amdhsa_named_barrier_count 0
		.amdhsa_reserve_vcc 0
		.amdhsa_float_round_mode_32 0
		.amdhsa_float_round_mode_16_64 0
		.amdhsa_float_denorm_mode_32 3
		.amdhsa_float_denorm_mode_16_64 3
		.amdhsa_fp16_overflow 0
		.amdhsa_memory_ordered 1
		.amdhsa_forward_progress 1
		.amdhsa_inst_pref_size 0
		.amdhsa_round_robin_scheduling 0
		.amdhsa_exception_fp_ieee_invalid_op 0
		.amdhsa_exception_fp_denorm_src 0
		.amdhsa_exception_fp_ieee_div_zero 0
		.amdhsa_exception_fp_ieee_overflow 0
		.amdhsa_exception_fp_ieee_underflow 0
		.amdhsa_exception_fp_ieee_inexact 0
		.amdhsa_exception_int_div_zero 0
	.end_amdhsa_kernel
	.section	.text._ZN7rocprim17ROCPRIM_400000_NS6detail17trampoline_kernelINS0_14default_configENS1_27scan_by_key_config_selectorIiiEEZZNS1_16scan_by_key_implILNS1_25lookback_scan_determinismE0ELb0ES3_N6thrust23THRUST_200600_302600_NS6detail15normal_iteratorINS9_10device_ptrIiEEEESE_SE_iNS9_4plusIvEENS9_8equal_toIiEEiEE10hipError_tPvRmT2_T3_T4_T5_mT6_T7_P12ihipStream_tbENKUlT_T0_E_clISt17integral_constantIbLb1EESZ_EEDaSU_SV_EUlSU_E_NS1_11comp_targetILNS1_3genE5ELNS1_11target_archE942ELNS1_3gpuE9ELNS1_3repE0EEENS1_30default_config_static_selectorELNS0_4arch9wavefront6targetE0EEEvT1_,"axG",@progbits,_ZN7rocprim17ROCPRIM_400000_NS6detail17trampoline_kernelINS0_14default_configENS1_27scan_by_key_config_selectorIiiEEZZNS1_16scan_by_key_implILNS1_25lookback_scan_determinismE0ELb0ES3_N6thrust23THRUST_200600_302600_NS6detail15normal_iteratorINS9_10device_ptrIiEEEESE_SE_iNS9_4plusIvEENS9_8equal_toIiEEiEE10hipError_tPvRmT2_T3_T4_T5_mT6_T7_P12ihipStream_tbENKUlT_T0_E_clISt17integral_constantIbLb1EESZ_EEDaSU_SV_EUlSU_E_NS1_11comp_targetILNS1_3genE5ELNS1_11target_archE942ELNS1_3gpuE9ELNS1_3repE0EEENS1_30default_config_static_selectorELNS0_4arch9wavefront6targetE0EEEvT1_,comdat
.Lfunc_end211:
	.size	_ZN7rocprim17ROCPRIM_400000_NS6detail17trampoline_kernelINS0_14default_configENS1_27scan_by_key_config_selectorIiiEEZZNS1_16scan_by_key_implILNS1_25lookback_scan_determinismE0ELb0ES3_N6thrust23THRUST_200600_302600_NS6detail15normal_iteratorINS9_10device_ptrIiEEEESE_SE_iNS9_4plusIvEENS9_8equal_toIiEEiEE10hipError_tPvRmT2_T3_T4_T5_mT6_T7_P12ihipStream_tbENKUlT_T0_E_clISt17integral_constantIbLb1EESZ_EEDaSU_SV_EUlSU_E_NS1_11comp_targetILNS1_3genE5ELNS1_11target_archE942ELNS1_3gpuE9ELNS1_3repE0EEENS1_30default_config_static_selectorELNS0_4arch9wavefront6targetE0EEEvT1_, .Lfunc_end211-_ZN7rocprim17ROCPRIM_400000_NS6detail17trampoline_kernelINS0_14default_configENS1_27scan_by_key_config_selectorIiiEEZZNS1_16scan_by_key_implILNS1_25lookback_scan_determinismE0ELb0ES3_N6thrust23THRUST_200600_302600_NS6detail15normal_iteratorINS9_10device_ptrIiEEEESE_SE_iNS9_4plusIvEENS9_8equal_toIiEEiEE10hipError_tPvRmT2_T3_T4_T5_mT6_T7_P12ihipStream_tbENKUlT_T0_E_clISt17integral_constantIbLb1EESZ_EEDaSU_SV_EUlSU_E_NS1_11comp_targetILNS1_3genE5ELNS1_11target_archE942ELNS1_3gpuE9ELNS1_3repE0EEENS1_30default_config_static_selectorELNS0_4arch9wavefront6targetE0EEEvT1_
                                        ; -- End function
	.set _ZN7rocprim17ROCPRIM_400000_NS6detail17trampoline_kernelINS0_14default_configENS1_27scan_by_key_config_selectorIiiEEZZNS1_16scan_by_key_implILNS1_25lookback_scan_determinismE0ELb0ES3_N6thrust23THRUST_200600_302600_NS6detail15normal_iteratorINS9_10device_ptrIiEEEESE_SE_iNS9_4plusIvEENS9_8equal_toIiEEiEE10hipError_tPvRmT2_T3_T4_T5_mT6_T7_P12ihipStream_tbENKUlT_T0_E_clISt17integral_constantIbLb1EESZ_EEDaSU_SV_EUlSU_E_NS1_11comp_targetILNS1_3genE5ELNS1_11target_archE942ELNS1_3gpuE9ELNS1_3repE0EEENS1_30default_config_static_selectorELNS0_4arch9wavefront6targetE0EEEvT1_.num_vgpr, 0
	.set _ZN7rocprim17ROCPRIM_400000_NS6detail17trampoline_kernelINS0_14default_configENS1_27scan_by_key_config_selectorIiiEEZZNS1_16scan_by_key_implILNS1_25lookback_scan_determinismE0ELb0ES3_N6thrust23THRUST_200600_302600_NS6detail15normal_iteratorINS9_10device_ptrIiEEEESE_SE_iNS9_4plusIvEENS9_8equal_toIiEEiEE10hipError_tPvRmT2_T3_T4_T5_mT6_T7_P12ihipStream_tbENKUlT_T0_E_clISt17integral_constantIbLb1EESZ_EEDaSU_SV_EUlSU_E_NS1_11comp_targetILNS1_3genE5ELNS1_11target_archE942ELNS1_3gpuE9ELNS1_3repE0EEENS1_30default_config_static_selectorELNS0_4arch9wavefront6targetE0EEEvT1_.num_agpr, 0
	.set _ZN7rocprim17ROCPRIM_400000_NS6detail17trampoline_kernelINS0_14default_configENS1_27scan_by_key_config_selectorIiiEEZZNS1_16scan_by_key_implILNS1_25lookback_scan_determinismE0ELb0ES3_N6thrust23THRUST_200600_302600_NS6detail15normal_iteratorINS9_10device_ptrIiEEEESE_SE_iNS9_4plusIvEENS9_8equal_toIiEEiEE10hipError_tPvRmT2_T3_T4_T5_mT6_T7_P12ihipStream_tbENKUlT_T0_E_clISt17integral_constantIbLb1EESZ_EEDaSU_SV_EUlSU_E_NS1_11comp_targetILNS1_3genE5ELNS1_11target_archE942ELNS1_3gpuE9ELNS1_3repE0EEENS1_30default_config_static_selectorELNS0_4arch9wavefront6targetE0EEEvT1_.numbered_sgpr, 0
	.set _ZN7rocprim17ROCPRIM_400000_NS6detail17trampoline_kernelINS0_14default_configENS1_27scan_by_key_config_selectorIiiEEZZNS1_16scan_by_key_implILNS1_25lookback_scan_determinismE0ELb0ES3_N6thrust23THRUST_200600_302600_NS6detail15normal_iteratorINS9_10device_ptrIiEEEESE_SE_iNS9_4plusIvEENS9_8equal_toIiEEiEE10hipError_tPvRmT2_T3_T4_T5_mT6_T7_P12ihipStream_tbENKUlT_T0_E_clISt17integral_constantIbLb1EESZ_EEDaSU_SV_EUlSU_E_NS1_11comp_targetILNS1_3genE5ELNS1_11target_archE942ELNS1_3gpuE9ELNS1_3repE0EEENS1_30default_config_static_selectorELNS0_4arch9wavefront6targetE0EEEvT1_.num_named_barrier, 0
	.set _ZN7rocprim17ROCPRIM_400000_NS6detail17trampoline_kernelINS0_14default_configENS1_27scan_by_key_config_selectorIiiEEZZNS1_16scan_by_key_implILNS1_25lookback_scan_determinismE0ELb0ES3_N6thrust23THRUST_200600_302600_NS6detail15normal_iteratorINS9_10device_ptrIiEEEESE_SE_iNS9_4plusIvEENS9_8equal_toIiEEiEE10hipError_tPvRmT2_T3_T4_T5_mT6_T7_P12ihipStream_tbENKUlT_T0_E_clISt17integral_constantIbLb1EESZ_EEDaSU_SV_EUlSU_E_NS1_11comp_targetILNS1_3genE5ELNS1_11target_archE942ELNS1_3gpuE9ELNS1_3repE0EEENS1_30default_config_static_selectorELNS0_4arch9wavefront6targetE0EEEvT1_.private_seg_size, 0
	.set _ZN7rocprim17ROCPRIM_400000_NS6detail17trampoline_kernelINS0_14default_configENS1_27scan_by_key_config_selectorIiiEEZZNS1_16scan_by_key_implILNS1_25lookback_scan_determinismE0ELb0ES3_N6thrust23THRUST_200600_302600_NS6detail15normal_iteratorINS9_10device_ptrIiEEEESE_SE_iNS9_4plusIvEENS9_8equal_toIiEEiEE10hipError_tPvRmT2_T3_T4_T5_mT6_T7_P12ihipStream_tbENKUlT_T0_E_clISt17integral_constantIbLb1EESZ_EEDaSU_SV_EUlSU_E_NS1_11comp_targetILNS1_3genE5ELNS1_11target_archE942ELNS1_3gpuE9ELNS1_3repE0EEENS1_30default_config_static_selectorELNS0_4arch9wavefront6targetE0EEEvT1_.uses_vcc, 0
	.set _ZN7rocprim17ROCPRIM_400000_NS6detail17trampoline_kernelINS0_14default_configENS1_27scan_by_key_config_selectorIiiEEZZNS1_16scan_by_key_implILNS1_25lookback_scan_determinismE0ELb0ES3_N6thrust23THRUST_200600_302600_NS6detail15normal_iteratorINS9_10device_ptrIiEEEESE_SE_iNS9_4plusIvEENS9_8equal_toIiEEiEE10hipError_tPvRmT2_T3_T4_T5_mT6_T7_P12ihipStream_tbENKUlT_T0_E_clISt17integral_constantIbLb1EESZ_EEDaSU_SV_EUlSU_E_NS1_11comp_targetILNS1_3genE5ELNS1_11target_archE942ELNS1_3gpuE9ELNS1_3repE0EEENS1_30default_config_static_selectorELNS0_4arch9wavefront6targetE0EEEvT1_.uses_flat_scratch, 0
	.set _ZN7rocprim17ROCPRIM_400000_NS6detail17trampoline_kernelINS0_14default_configENS1_27scan_by_key_config_selectorIiiEEZZNS1_16scan_by_key_implILNS1_25lookback_scan_determinismE0ELb0ES3_N6thrust23THRUST_200600_302600_NS6detail15normal_iteratorINS9_10device_ptrIiEEEESE_SE_iNS9_4plusIvEENS9_8equal_toIiEEiEE10hipError_tPvRmT2_T3_T4_T5_mT6_T7_P12ihipStream_tbENKUlT_T0_E_clISt17integral_constantIbLb1EESZ_EEDaSU_SV_EUlSU_E_NS1_11comp_targetILNS1_3genE5ELNS1_11target_archE942ELNS1_3gpuE9ELNS1_3repE0EEENS1_30default_config_static_selectorELNS0_4arch9wavefront6targetE0EEEvT1_.has_dyn_sized_stack, 0
	.set _ZN7rocprim17ROCPRIM_400000_NS6detail17trampoline_kernelINS0_14default_configENS1_27scan_by_key_config_selectorIiiEEZZNS1_16scan_by_key_implILNS1_25lookback_scan_determinismE0ELb0ES3_N6thrust23THRUST_200600_302600_NS6detail15normal_iteratorINS9_10device_ptrIiEEEESE_SE_iNS9_4plusIvEENS9_8equal_toIiEEiEE10hipError_tPvRmT2_T3_T4_T5_mT6_T7_P12ihipStream_tbENKUlT_T0_E_clISt17integral_constantIbLb1EESZ_EEDaSU_SV_EUlSU_E_NS1_11comp_targetILNS1_3genE5ELNS1_11target_archE942ELNS1_3gpuE9ELNS1_3repE0EEENS1_30default_config_static_selectorELNS0_4arch9wavefront6targetE0EEEvT1_.has_recursion, 0
	.set _ZN7rocprim17ROCPRIM_400000_NS6detail17trampoline_kernelINS0_14default_configENS1_27scan_by_key_config_selectorIiiEEZZNS1_16scan_by_key_implILNS1_25lookback_scan_determinismE0ELb0ES3_N6thrust23THRUST_200600_302600_NS6detail15normal_iteratorINS9_10device_ptrIiEEEESE_SE_iNS9_4plusIvEENS9_8equal_toIiEEiEE10hipError_tPvRmT2_T3_T4_T5_mT6_T7_P12ihipStream_tbENKUlT_T0_E_clISt17integral_constantIbLb1EESZ_EEDaSU_SV_EUlSU_E_NS1_11comp_targetILNS1_3genE5ELNS1_11target_archE942ELNS1_3gpuE9ELNS1_3repE0EEENS1_30default_config_static_selectorELNS0_4arch9wavefront6targetE0EEEvT1_.has_indirect_call, 0
	.section	.AMDGPU.csdata,"",@progbits
; Kernel info:
; codeLenInByte = 0
; TotalNumSgprs: 0
; NumVgprs: 0
; ScratchSize: 0
; MemoryBound: 0
; FloatMode: 240
; IeeeMode: 1
; LDSByteSize: 0 bytes/workgroup (compile time only)
; SGPRBlocks: 0
; VGPRBlocks: 0
; NumSGPRsForWavesPerEU: 1
; NumVGPRsForWavesPerEU: 1
; NamedBarCnt: 0
; Occupancy: 16
; WaveLimiterHint : 0
; COMPUTE_PGM_RSRC2:SCRATCH_EN: 0
; COMPUTE_PGM_RSRC2:USER_SGPR: 2
; COMPUTE_PGM_RSRC2:TRAP_HANDLER: 0
; COMPUTE_PGM_RSRC2:TGID_X_EN: 1
; COMPUTE_PGM_RSRC2:TGID_Y_EN: 0
; COMPUTE_PGM_RSRC2:TGID_Z_EN: 0
; COMPUTE_PGM_RSRC2:TIDIG_COMP_CNT: 0
	.section	.text._ZN7rocprim17ROCPRIM_400000_NS6detail17trampoline_kernelINS0_14default_configENS1_27scan_by_key_config_selectorIiiEEZZNS1_16scan_by_key_implILNS1_25lookback_scan_determinismE0ELb0ES3_N6thrust23THRUST_200600_302600_NS6detail15normal_iteratorINS9_10device_ptrIiEEEESE_SE_iNS9_4plusIvEENS9_8equal_toIiEEiEE10hipError_tPvRmT2_T3_T4_T5_mT6_T7_P12ihipStream_tbENKUlT_T0_E_clISt17integral_constantIbLb1EESZ_EEDaSU_SV_EUlSU_E_NS1_11comp_targetILNS1_3genE4ELNS1_11target_archE910ELNS1_3gpuE8ELNS1_3repE0EEENS1_30default_config_static_selectorELNS0_4arch9wavefront6targetE0EEEvT1_,"axG",@progbits,_ZN7rocprim17ROCPRIM_400000_NS6detail17trampoline_kernelINS0_14default_configENS1_27scan_by_key_config_selectorIiiEEZZNS1_16scan_by_key_implILNS1_25lookback_scan_determinismE0ELb0ES3_N6thrust23THRUST_200600_302600_NS6detail15normal_iteratorINS9_10device_ptrIiEEEESE_SE_iNS9_4plusIvEENS9_8equal_toIiEEiEE10hipError_tPvRmT2_T3_T4_T5_mT6_T7_P12ihipStream_tbENKUlT_T0_E_clISt17integral_constantIbLb1EESZ_EEDaSU_SV_EUlSU_E_NS1_11comp_targetILNS1_3genE4ELNS1_11target_archE910ELNS1_3gpuE8ELNS1_3repE0EEENS1_30default_config_static_selectorELNS0_4arch9wavefront6targetE0EEEvT1_,comdat
	.protected	_ZN7rocprim17ROCPRIM_400000_NS6detail17trampoline_kernelINS0_14default_configENS1_27scan_by_key_config_selectorIiiEEZZNS1_16scan_by_key_implILNS1_25lookback_scan_determinismE0ELb0ES3_N6thrust23THRUST_200600_302600_NS6detail15normal_iteratorINS9_10device_ptrIiEEEESE_SE_iNS9_4plusIvEENS9_8equal_toIiEEiEE10hipError_tPvRmT2_T3_T4_T5_mT6_T7_P12ihipStream_tbENKUlT_T0_E_clISt17integral_constantIbLb1EESZ_EEDaSU_SV_EUlSU_E_NS1_11comp_targetILNS1_3genE4ELNS1_11target_archE910ELNS1_3gpuE8ELNS1_3repE0EEENS1_30default_config_static_selectorELNS0_4arch9wavefront6targetE0EEEvT1_ ; -- Begin function _ZN7rocprim17ROCPRIM_400000_NS6detail17trampoline_kernelINS0_14default_configENS1_27scan_by_key_config_selectorIiiEEZZNS1_16scan_by_key_implILNS1_25lookback_scan_determinismE0ELb0ES3_N6thrust23THRUST_200600_302600_NS6detail15normal_iteratorINS9_10device_ptrIiEEEESE_SE_iNS9_4plusIvEENS9_8equal_toIiEEiEE10hipError_tPvRmT2_T3_T4_T5_mT6_T7_P12ihipStream_tbENKUlT_T0_E_clISt17integral_constantIbLb1EESZ_EEDaSU_SV_EUlSU_E_NS1_11comp_targetILNS1_3genE4ELNS1_11target_archE910ELNS1_3gpuE8ELNS1_3repE0EEENS1_30default_config_static_selectorELNS0_4arch9wavefront6targetE0EEEvT1_
	.globl	_ZN7rocprim17ROCPRIM_400000_NS6detail17trampoline_kernelINS0_14default_configENS1_27scan_by_key_config_selectorIiiEEZZNS1_16scan_by_key_implILNS1_25lookback_scan_determinismE0ELb0ES3_N6thrust23THRUST_200600_302600_NS6detail15normal_iteratorINS9_10device_ptrIiEEEESE_SE_iNS9_4plusIvEENS9_8equal_toIiEEiEE10hipError_tPvRmT2_T3_T4_T5_mT6_T7_P12ihipStream_tbENKUlT_T0_E_clISt17integral_constantIbLb1EESZ_EEDaSU_SV_EUlSU_E_NS1_11comp_targetILNS1_3genE4ELNS1_11target_archE910ELNS1_3gpuE8ELNS1_3repE0EEENS1_30default_config_static_selectorELNS0_4arch9wavefront6targetE0EEEvT1_
	.p2align	8
	.type	_ZN7rocprim17ROCPRIM_400000_NS6detail17trampoline_kernelINS0_14default_configENS1_27scan_by_key_config_selectorIiiEEZZNS1_16scan_by_key_implILNS1_25lookback_scan_determinismE0ELb0ES3_N6thrust23THRUST_200600_302600_NS6detail15normal_iteratorINS9_10device_ptrIiEEEESE_SE_iNS9_4plusIvEENS9_8equal_toIiEEiEE10hipError_tPvRmT2_T3_T4_T5_mT6_T7_P12ihipStream_tbENKUlT_T0_E_clISt17integral_constantIbLb1EESZ_EEDaSU_SV_EUlSU_E_NS1_11comp_targetILNS1_3genE4ELNS1_11target_archE910ELNS1_3gpuE8ELNS1_3repE0EEENS1_30default_config_static_selectorELNS0_4arch9wavefront6targetE0EEEvT1_,@function
_ZN7rocprim17ROCPRIM_400000_NS6detail17trampoline_kernelINS0_14default_configENS1_27scan_by_key_config_selectorIiiEEZZNS1_16scan_by_key_implILNS1_25lookback_scan_determinismE0ELb0ES3_N6thrust23THRUST_200600_302600_NS6detail15normal_iteratorINS9_10device_ptrIiEEEESE_SE_iNS9_4plusIvEENS9_8equal_toIiEEiEE10hipError_tPvRmT2_T3_T4_T5_mT6_T7_P12ihipStream_tbENKUlT_T0_E_clISt17integral_constantIbLb1EESZ_EEDaSU_SV_EUlSU_E_NS1_11comp_targetILNS1_3genE4ELNS1_11target_archE910ELNS1_3gpuE8ELNS1_3repE0EEENS1_30default_config_static_selectorELNS0_4arch9wavefront6targetE0EEEvT1_: ; @_ZN7rocprim17ROCPRIM_400000_NS6detail17trampoline_kernelINS0_14default_configENS1_27scan_by_key_config_selectorIiiEEZZNS1_16scan_by_key_implILNS1_25lookback_scan_determinismE0ELb0ES3_N6thrust23THRUST_200600_302600_NS6detail15normal_iteratorINS9_10device_ptrIiEEEESE_SE_iNS9_4plusIvEENS9_8equal_toIiEEiEE10hipError_tPvRmT2_T3_T4_T5_mT6_T7_P12ihipStream_tbENKUlT_T0_E_clISt17integral_constantIbLb1EESZ_EEDaSU_SV_EUlSU_E_NS1_11comp_targetILNS1_3genE4ELNS1_11target_archE910ELNS1_3gpuE8ELNS1_3repE0EEENS1_30default_config_static_selectorELNS0_4arch9wavefront6targetE0EEEvT1_
; %bb.0:
	.section	.rodata,"a",@progbits
	.p2align	6, 0x0
	.amdhsa_kernel _ZN7rocprim17ROCPRIM_400000_NS6detail17trampoline_kernelINS0_14default_configENS1_27scan_by_key_config_selectorIiiEEZZNS1_16scan_by_key_implILNS1_25lookback_scan_determinismE0ELb0ES3_N6thrust23THRUST_200600_302600_NS6detail15normal_iteratorINS9_10device_ptrIiEEEESE_SE_iNS9_4plusIvEENS9_8equal_toIiEEiEE10hipError_tPvRmT2_T3_T4_T5_mT6_T7_P12ihipStream_tbENKUlT_T0_E_clISt17integral_constantIbLb1EESZ_EEDaSU_SV_EUlSU_E_NS1_11comp_targetILNS1_3genE4ELNS1_11target_archE910ELNS1_3gpuE8ELNS1_3repE0EEENS1_30default_config_static_selectorELNS0_4arch9wavefront6targetE0EEEvT1_
		.amdhsa_group_segment_fixed_size 0
		.amdhsa_private_segment_fixed_size 0
		.amdhsa_kernarg_size 112
		.amdhsa_user_sgpr_count 2
		.amdhsa_user_sgpr_dispatch_ptr 0
		.amdhsa_user_sgpr_queue_ptr 0
		.amdhsa_user_sgpr_kernarg_segment_ptr 1
		.amdhsa_user_sgpr_dispatch_id 0
		.amdhsa_user_sgpr_kernarg_preload_length 0
		.amdhsa_user_sgpr_kernarg_preload_offset 0
		.amdhsa_user_sgpr_private_segment_size 0
		.amdhsa_wavefront_size32 1
		.amdhsa_uses_dynamic_stack 0
		.amdhsa_enable_private_segment 0
		.amdhsa_system_sgpr_workgroup_id_x 1
		.amdhsa_system_sgpr_workgroup_id_y 0
		.amdhsa_system_sgpr_workgroup_id_z 0
		.amdhsa_system_sgpr_workgroup_info 0
		.amdhsa_system_vgpr_workitem_id 0
		.amdhsa_next_free_vgpr 1
		.amdhsa_next_free_sgpr 1
		.amdhsa_named_barrier_count 0
		.amdhsa_reserve_vcc 0
		.amdhsa_float_round_mode_32 0
		.amdhsa_float_round_mode_16_64 0
		.amdhsa_float_denorm_mode_32 3
		.amdhsa_float_denorm_mode_16_64 3
		.amdhsa_fp16_overflow 0
		.amdhsa_memory_ordered 1
		.amdhsa_forward_progress 1
		.amdhsa_inst_pref_size 0
		.amdhsa_round_robin_scheduling 0
		.amdhsa_exception_fp_ieee_invalid_op 0
		.amdhsa_exception_fp_denorm_src 0
		.amdhsa_exception_fp_ieee_div_zero 0
		.amdhsa_exception_fp_ieee_overflow 0
		.amdhsa_exception_fp_ieee_underflow 0
		.amdhsa_exception_fp_ieee_inexact 0
		.amdhsa_exception_int_div_zero 0
	.end_amdhsa_kernel
	.section	.text._ZN7rocprim17ROCPRIM_400000_NS6detail17trampoline_kernelINS0_14default_configENS1_27scan_by_key_config_selectorIiiEEZZNS1_16scan_by_key_implILNS1_25lookback_scan_determinismE0ELb0ES3_N6thrust23THRUST_200600_302600_NS6detail15normal_iteratorINS9_10device_ptrIiEEEESE_SE_iNS9_4plusIvEENS9_8equal_toIiEEiEE10hipError_tPvRmT2_T3_T4_T5_mT6_T7_P12ihipStream_tbENKUlT_T0_E_clISt17integral_constantIbLb1EESZ_EEDaSU_SV_EUlSU_E_NS1_11comp_targetILNS1_3genE4ELNS1_11target_archE910ELNS1_3gpuE8ELNS1_3repE0EEENS1_30default_config_static_selectorELNS0_4arch9wavefront6targetE0EEEvT1_,"axG",@progbits,_ZN7rocprim17ROCPRIM_400000_NS6detail17trampoline_kernelINS0_14default_configENS1_27scan_by_key_config_selectorIiiEEZZNS1_16scan_by_key_implILNS1_25lookback_scan_determinismE0ELb0ES3_N6thrust23THRUST_200600_302600_NS6detail15normal_iteratorINS9_10device_ptrIiEEEESE_SE_iNS9_4plusIvEENS9_8equal_toIiEEiEE10hipError_tPvRmT2_T3_T4_T5_mT6_T7_P12ihipStream_tbENKUlT_T0_E_clISt17integral_constantIbLb1EESZ_EEDaSU_SV_EUlSU_E_NS1_11comp_targetILNS1_3genE4ELNS1_11target_archE910ELNS1_3gpuE8ELNS1_3repE0EEENS1_30default_config_static_selectorELNS0_4arch9wavefront6targetE0EEEvT1_,comdat
.Lfunc_end212:
	.size	_ZN7rocprim17ROCPRIM_400000_NS6detail17trampoline_kernelINS0_14default_configENS1_27scan_by_key_config_selectorIiiEEZZNS1_16scan_by_key_implILNS1_25lookback_scan_determinismE0ELb0ES3_N6thrust23THRUST_200600_302600_NS6detail15normal_iteratorINS9_10device_ptrIiEEEESE_SE_iNS9_4plusIvEENS9_8equal_toIiEEiEE10hipError_tPvRmT2_T3_T4_T5_mT6_T7_P12ihipStream_tbENKUlT_T0_E_clISt17integral_constantIbLb1EESZ_EEDaSU_SV_EUlSU_E_NS1_11comp_targetILNS1_3genE4ELNS1_11target_archE910ELNS1_3gpuE8ELNS1_3repE0EEENS1_30default_config_static_selectorELNS0_4arch9wavefront6targetE0EEEvT1_, .Lfunc_end212-_ZN7rocprim17ROCPRIM_400000_NS6detail17trampoline_kernelINS0_14default_configENS1_27scan_by_key_config_selectorIiiEEZZNS1_16scan_by_key_implILNS1_25lookback_scan_determinismE0ELb0ES3_N6thrust23THRUST_200600_302600_NS6detail15normal_iteratorINS9_10device_ptrIiEEEESE_SE_iNS9_4plusIvEENS9_8equal_toIiEEiEE10hipError_tPvRmT2_T3_T4_T5_mT6_T7_P12ihipStream_tbENKUlT_T0_E_clISt17integral_constantIbLb1EESZ_EEDaSU_SV_EUlSU_E_NS1_11comp_targetILNS1_3genE4ELNS1_11target_archE910ELNS1_3gpuE8ELNS1_3repE0EEENS1_30default_config_static_selectorELNS0_4arch9wavefront6targetE0EEEvT1_
                                        ; -- End function
	.set _ZN7rocprim17ROCPRIM_400000_NS6detail17trampoline_kernelINS0_14default_configENS1_27scan_by_key_config_selectorIiiEEZZNS1_16scan_by_key_implILNS1_25lookback_scan_determinismE0ELb0ES3_N6thrust23THRUST_200600_302600_NS6detail15normal_iteratorINS9_10device_ptrIiEEEESE_SE_iNS9_4plusIvEENS9_8equal_toIiEEiEE10hipError_tPvRmT2_T3_T4_T5_mT6_T7_P12ihipStream_tbENKUlT_T0_E_clISt17integral_constantIbLb1EESZ_EEDaSU_SV_EUlSU_E_NS1_11comp_targetILNS1_3genE4ELNS1_11target_archE910ELNS1_3gpuE8ELNS1_3repE0EEENS1_30default_config_static_selectorELNS0_4arch9wavefront6targetE0EEEvT1_.num_vgpr, 0
	.set _ZN7rocprim17ROCPRIM_400000_NS6detail17trampoline_kernelINS0_14default_configENS1_27scan_by_key_config_selectorIiiEEZZNS1_16scan_by_key_implILNS1_25lookback_scan_determinismE0ELb0ES3_N6thrust23THRUST_200600_302600_NS6detail15normal_iteratorINS9_10device_ptrIiEEEESE_SE_iNS9_4plusIvEENS9_8equal_toIiEEiEE10hipError_tPvRmT2_T3_T4_T5_mT6_T7_P12ihipStream_tbENKUlT_T0_E_clISt17integral_constantIbLb1EESZ_EEDaSU_SV_EUlSU_E_NS1_11comp_targetILNS1_3genE4ELNS1_11target_archE910ELNS1_3gpuE8ELNS1_3repE0EEENS1_30default_config_static_selectorELNS0_4arch9wavefront6targetE0EEEvT1_.num_agpr, 0
	.set _ZN7rocprim17ROCPRIM_400000_NS6detail17trampoline_kernelINS0_14default_configENS1_27scan_by_key_config_selectorIiiEEZZNS1_16scan_by_key_implILNS1_25lookback_scan_determinismE0ELb0ES3_N6thrust23THRUST_200600_302600_NS6detail15normal_iteratorINS9_10device_ptrIiEEEESE_SE_iNS9_4plusIvEENS9_8equal_toIiEEiEE10hipError_tPvRmT2_T3_T4_T5_mT6_T7_P12ihipStream_tbENKUlT_T0_E_clISt17integral_constantIbLb1EESZ_EEDaSU_SV_EUlSU_E_NS1_11comp_targetILNS1_3genE4ELNS1_11target_archE910ELNS1_3gpuE8ELNS1_3repE0EEENS1_30default_config_static_selectorELNS0_4arch9wavefront6targetE0EEEvT1_.numbered_sgpr, 0
	.set _ZN7rocprim17ROCPRIM_400000_NS6detail17trampoline_kernelINS0_14default_configENS1_27scan_by_key_config_selectorIiiEEZZNS1_16scan_by_key_implILNS1_25lookback_scan_determinismE0ELb0ES3_N6thrust23THRUST_200600_302600_NS6detail15normal_iteratorINS9_10device_ptrIiEEEESE_SE_iNS9_4plusIvEENS9_8equal_toIiEEiEE10hipError_tPvRmT2_T3_T4_T5_mT6_T7_P12ihipStream_tbENKUlT_T0_E_clISt17integral_constantIbLb1EESZ_EEDaSU_SV_EUlSU_E_NS1_11comp_targetILNS1_3genE4ELNS1_11target_archE910ELNS1_3gpuE8ELNS1_3repE0EEENS1_30default_config_static_selectorELNS0_4arch9wavefront6targetE0EEEvT1_.num_named_barrier, 0
	.set _ZN7rocprim17ROCPRIM_400000_NS6detail17trampoline_kernelINS0_14default_configENS1_27scan_by_key_config_selectorIiiEEZZNS1_16scan_by_key_implILNS1_25lookback_scan_determinismE0ELb0ES3_N6thrust23THRUST_200600_302600_NS6detail15normal_iteratorINS9_10device_ptrIiEEEESE_SE_iNS9_4plusIvEENS9_8equal_toIiEEiEE10hipError_tPvRmT2_T3_T4_T5_mT6_T7_P12ihipStream_tbENKUlT_T0_E_clISt17integral_constantIbLb1EESZ_EEDaSU_SV_EUlSU_E_NS1_11comp_targetILNS1_3genE4ELNS1_11target_archE910ELNS1_3gpuE8ELNS1_3repE0EEENS1_30default_config_static_selectorELNS0_4arch9wavefront6targetE0EEEvT1_.private_seg_size, 0
	.set _ZN7rocprim17ROCPRIM_400000_NS6detail17trampoline_kernelINS0_14default_configENS1_27scan_by_key_config_selectorIiiEEZZNS1_16scan_by_key_implILNS1_25lookback_scan_determinismE0ELb0ES3_N6thrust23THRUST_200600_302600_NS6detail15normal_iteratorINS9_10device_ptrIiEEEESE_SE_iNS9_4plusIvEENS9_8equal_toIiEEiEE10hipError_tPvRmT2_T3_T4_T5_mT6_T7_P12ihipStream_tbENKUlT_T0_E_clISt17integral_constantIbLb1EESZ_EEDaSU_SV_EUlSU_E_NS1_11comp_targetILNS1_3genE4ELNS1_11target_archE910ELNS1_3gpuE8ELNS1_3repE0EEENS1_30default_config_static_selectorELNS0_4arch9wavefront6targetE0EEEvT1_.uses_vcc, 0
	.set _ZN7rocprim17ROCPRIM_400000_NS6detail17trampoline_kernelINS0_14default_configENS1_27scan_by_key_config_selectorIiiEEZZNS1_16scan_by_key_implILNS1_25lookback_scan_determinismE0ELb0ES3_N6thrust23THRUST_200600_302600_NS6detail15normal_iteratorINS9_10device_ptrIiEEEESE_SE_iNS9_4plusIvEENS9_8equal_toIiEEiEE10hipError_tPvRmT2_T3_T4_T5_mT6_T7_P12ihipStream_tbENKUlT_T0_E_clISt17integral_constantIbLb1EESZ_EEDaSU_SV_EUlSU_E_NS1_11comp_targetILNS1_3genE4ELNS1_11target_archE910ELNS1_3gpuE8ELNS1_3repE0EEENS1_30default_config_static_selectorELNS0_4arch9wavefront6targetE0EEEvT1_.uses_flat_scratch, 0
	.set _ZN7rocprim17ROCPRIM_400000_NS6detail17trampoline_kernelINS0_14default_configENS1_27scan_by_key_config_selectorIiiEEZZNS1_16scan_by_key_implILNS1_25lookback_scan_determinismE0ELb0ES3_N6thrust23THRUST_200600_302600_NS6detail15normal_iteratorINS9_10device_ptrIiEEEESE_SE_iNS9_4plusIvEENS9_8equal_toIiEEiEE10hipError_tPvRmT2_T3_T4_T5_mT6_T7_P12ihipStream_tbENKUlT_T0_E_clISt17integral_constantIbLb1EESZ_EEDaSU_SV_EUlSU_E_NS1_11comp_targetILNS1_3genE4ELNS1_11target_archE910ELNS1_3gpuE8ELNS1_3repE0EEENS1_30default_config_static_selectorELNS0_4arch9wavefront6targetE0EEEvT1_.has_dyn_sized_stack, 0
	.set _ZN7rocprim17ROCPRIM_400000_NS6detail17trampoline_kernelINS0_14default_configENS1_27scan_by_key_config_selectorIiiEEZZNS1_16scan_by_key_implILNS1_25lookback_scan_determinismE0ELb0ES3_N6thrust23THRUST_200600_302600_NS6detail15normal_iteratorINS9_10device_ptrIiEEEESE_SE_iNS9_4plusIvEENS9_8equal_toIiEEiEE10hipError_tPvRmT2_T3_T4_T5_mT6_T7_P12ihipStream_tbENKUlT_T0_E_clISt17integral_constantIbLb1EESZ_EEDaSU_SV_EUlSU_E_NS1_11comp_targetILNS1_3genE4ELNS1_11target_archE910ELNS1_3gpuE8ELNS1_3repE0EEENS1_30default_config_static_selectorELNS0_4arch9wavefront6targetE0EEEvT1_.has_recursion, 0
	.set _ZN7rocprim17ROCPRIM_400000_NS6detail17trampoline_kernelINS0_14default_configENS1_27scan_by_key_config_selectorIiiEEZZNS1_16scan_by_key_implILNS1_25lookback_scan_determinismE0ELb0ES3_N6thrust23THRUST_200600_302600_NS6detail15normal_iteratorINS9_10device_ptrIiEEEESE_SE_iNS9_4plusIvEENS9_8equal_toIiEEiEE10hipError_tPvRmT2_T3_T4_T5_mT6_T7_P12ihipStream_tbENKUlT_T0_E_clISt17integral_constantIbLb1EESZ_EEDaSU_SV_EUlSU_E_NS1_11comp_targetILNS1_3genE4ELNS1_11target_archE910ELNS1_3gpuE8ELNS1_3repE0EEENS1_30default_config_static_selectorELNS0_4arch9wavefront6targetE0EEEvT1_.has_indirect_call, 0
	.section	.AMDGPU.csdata,"",@progbits
; Kernel info:
; codeLenInByte = 0
; TotalNumSgprs: 0
; NumVgprs: 0
; ScratchSize: 0
; MemoryBound: 0
; FloatMode: 240
; IeeeMode: 1
; LDSByteSize: 0 bytes/workgroup (compile time only)
; SGPRBlocks: 0
; VGPRBlocks: 0
; NumSGPRsForWavesPerEU: 1
; NumVGPRsForWavesPerEU: 1
; NamedBarCnt: 0
; Occupancy: 16
; WaveLimiterHint : 0
; COMPUTE_PGM_RSRC2:SCRATCH_EN: 0
; COMPUTE_PGM_RSRC2:USER_SGPR: 2
; COMPUTE_PGM_RSRC2:TRAP_HANDLER: 0
; COMPUTE_PGM_RSRC2:TGID_X_EN: 1
; COMPUTE_PGM_RSRC2:TGID_Y_EN: 0
; COMPUTE_PGM_RSRC2:TGID_Z_EN: 0
; COMPUTE_PGM_RSRC2:TIDIG_COMP_CNT: 0
	.section	.text._ZN7rocprim17ROCPRIM_400000_NS6detail17trampoline_kernelINS0_14default_configENS1_27scan_by_key_config_selectorIiiEEZZNS1_16scan_by_key_implILNS1_25lookback_scan_determinismE0ELb0ES3_N6thrust23THRUST_200600_302600_NS6detail15normal_iteratorINS9_10device_ptrIiEEEESE_SE_iNS9_4plusIvEENS9_8equal_toIiEEiEE10hipError_tPvRmT2_T3_T4_T5_mT6_T7_P12ihipStream_tbENKUlT_T0_E_clISt17integral_constantIbLb1EESZ_EEDaSU_SV_EUlSU_E_NS1_11comp_targetILNS1_3genE3ELNS1_11target_archE908ELNS1_3gpuE7ELNS1_3repE0EEENS1_30default_config_static_selectorELNS0_4arch9wavefront6targetE0EEEvT1_,"axG",@progbits,_ZN7rocprim17ROCPRIM_400000_NS6detail17trampoline_kernelINS0_14default_configENS1_27scan_by_key_config_selectorIiiEEZZNS1_16scan_by_key_implILNS1_25lookback_scan_determinismE0ELb0ES3_N6thrust23THRUST_200600_302600_NS6detail15normal_iteratorINS9_10device_ptrIiEEEESE_SE_iNS9_4plusIvEENS9_8equal_toIiEEiEE10hipError_tPvRmT2_T3_T4_T5_mT6_T7_P12ihipStream_tbENKUlT_T0_E_clISt17integral_constantIbLb1EESZ_EEDaSU_SV_EUlSU_E_NS1_11comp_targetILNS1_3genE3ELNS1_11target_archE908ELNS1_3gpuE7ELNS1_3repE0EEENS1_30default_config_static_selectorELNS0_4arch9wavefront6targetE0EEEvT1_,comdat
	.protected	_ZN7rocprim17ROCPRIM_400000_NS6detail17trampoline_kernelINS0_14default_configENS1_27scan_by_key_config_selectorIiiEEZZNS1_16scan_by_key_implILNS1_25lookback_scan_determinismE0ELb0ES3_N6thrust23THRUST_200600_302600_NS6detail15normal_iteratorINS9_10device_ptrIiEEEESE_SE_iNS9_4plusIvEENS9_8equal_toIiEEiEE10hipError_tPvRmT2_T3_T4_T5_mT6_T7_P12ihipStream_tbENKUlT_T0_E_clISt17integral_constantIbLb1EESZ_EEDaSU_SV_EUlSU_E_NS1_11comp_targetILNS1_3genE3ELNS1_11target_archE908ELNS1_3gpuE7ELNS1_3repE0EEENS1_30default_config_static_selectorELNS0_4arch9wavefront6targetE0EEEvT1_ ; -- Begin function _ZN7rocprim17ROCPRIM_400000_NS6detail17trampoline_kernelINS0_14default_configENS1_27scan_by_key_config_selectorIiiEEZZNS1_16scan_by_key_implILNS1_25lookback_scan_determinismE0ELb0ES3_N6thrust23THRUST_200600_302600_NS6detail15normal_iteratorINS9_10device_ptrIiEEEESE_SE_iNS9_4plusIvEENS9_8equal_toIiEEiEE10hipError_tPvRmT2_T3_T4_T5_mT6_T7_P12ihipStream_tbENKUlT_T0_E_clISt17integral_constantIbLb1EESZ_EEDaSU_SV_EUlSU_E_NS1_11comp_targetILNS1_3genE3ELNS1_11target_archE908ELNS1_3gpuE7ELNS1_3repE0EEENS1_30default_config_static_selectorELNS0_4arch9wavefront6targetE0EEEvT1_
	.globl	_ZN7rocprim17ROCPRIM_400000_NS6detail17trampoline_kernelINS0_14default_configENS1_27scan_by_key_config_selectorIiiEEZZNS1_16scan_by_key_implILNS1_25lookback_scan_determinismE0ELb0ES3_N6thrust23THRUST_200600_302600_NS6detail15normal_iteratorINS9_10device_ptrIiEEEESE_SE_iNS9_4plusIvEENS9_8equal_toIiEEiEE10hipError_tPvRmT2_T3_T4_T5_mT6_T7_P12ihipStream_tbENKUlT_T0_E_clISt17integral_constantIbLb1EESZ_EEDaSU_SV_EUlSU_E_NS1_11comp_targetILNS1_3genE3ELNS1_11target_archE908ELNS1_3gpuE7ELNS1_3repE0EEENS1_30default_config_static_selectorELNS0_4arch9wavefront6targetE0EEEvT1_
	.p2align	8
	.type	_ZN7rocprim17ROCPRIM_400000_NS6detail17trampoline_kernelINS0_14default_configENS1_27scan_by_key_config_selectorIiiEEZZNS1_16scan_by_key_implILNS1_25lookback_scan_determinismE0ELb0ES3_N6thrust23THRUST_200600_302600_NS6detail15normal_iteratorINS9_10device_ptrIiEEEESE_SE_iNS9_4plusIvEENS9_8equal_toIiEEiEE10hipError_tPvRmT2_T3_T4_T5_mT6_T7_P12ihipStream_tbENKUlT_T0_E_clISt17integral_constantIbLb1EESZ_EEDaSU_SV_EUlSU_E_NS1_11comp_targetILNS1_3genE3ELNS1_11target_archE908ELNS1_3gpuE7ELNS1_3repE0EEENS1_30default_config_static_selectorELNS0_4arch9wavefront6targetE0EEEvT1_,@function
_ZN7rocprim17ROCPRIM_400000_NS6detail17trampoline_kernelINS0_14default_configENS1_27scan_by_key_config_selectorIiiEEZZNS1_16scan_by_key_implILNS1_25lookback_scan_determinismE0ELb0ES3_N6thrust23THRUST_200600_302600_NS6detail15normal_iteratorINS9_10device_ptrIiEEEESE_SE_iNS9_4plusIvEENS9_8equal_toIiEEiEE10hipError_tPvRmT2_T3_T4_T5_mT6_T7_P12ihipStream_tbENKUlT_T0_E_clISt17integral_constantIbLb1EESZ_EEDaSU_SV_EUlSU_E_NS1_11comp_targetILNS1_3genE3ELNS1_11target_archE908ELNS1_3gpuE7ELNS1_3repE0EEENS1_30default_config_static_selectorELNS0_4arch9wavefront6targetE0EEEvT1_: ; @_ZN7rocprim17ROCPRIM_400000_NS6detail17trampoline_kernelINS0_14default_configENS1_27scan_by_key_config_selectorIiiEEZZNS1_16scan_by_key_implILNS1_25lookback_scan_determinismE0ELb0ES3_N6thrust23THRUST_200600_302600_NS6detail15normal_iteratorINS9_10device_ptrIiEEEESE_SE_iNS9_4plusIvEENS9_8equal_toIiEEiEE10hipError_tPvRmT2_T3_T4_T5_mT6_T7_P12ihipStream_tbENKUlT_T0_E_clISt17integral_constantIbLb1EESZ_EEDaSU_SV_EUlSU_E_NS1_11comp_targetILNS1_3genE3ELNS1_11target_archE908ELNS1_3gpuE7ELNS1_3repE0EEENS1_30default_config_static_selectorELNS0_4arch9wavefront6targetE0EEEvT1_
; %bb.0:
	.section	.rodata,"a",@progbits
	.p2align	6, 0x0
	.amdhsa_kernel _ZN7rocprim17ROCPRIM_400000_NS6detail17trampoline_kernelINS0_14default_configENS1_27scan_by_key_config_selectorIiiEEZZNS1_16scan_by_key_implILNS1_25lookback_scan_determinismE0ELb0ES3_N6thrust23THRUST_200600_302600_NS6detail15normal_iteratorINS9_10device_ptrIiEEEESE_SE_iNS9_4plusIvEENS9_8equal_toIiEEiEE10hipError_tPvRmT2_T3_T4_T5_mT6_T7_P12ihipStream_tbENKUlT_T0_E_clISt17integral_constantIbLb1EESZ_EEDaSU_SV_EUlSU_E_NS1_11comp_targetILNS1_3genE3ELNS1_11target_archE908ELNS1_3gpuE7ELNS1_3repE0EEENS1_30default_config_static_selectorELNS0_4arch9wavefront6targetE0EEEvT1_
		.amdhsa_group_segment_fixed_size 0
		.amdhsa_private_segment_fixed_size 0
		.amdhsa_kernarg_size 112
		.amdhsa_user_sgpr_count 2
		.amdhsa_user_sgpr_dispatch_ptr 0
		.amdhsa_user_sgpr_queue_ptr 0
		.amdhsa_user_sgpr_kernarg_segment_ptr 1
		.amdhsa_user_sgpr_dispatch_id 0
		.amdhsa_user_sgpr_kernarg_preload_length 0
		.amdhsa_user_sgpr_kernarg_preload_offset 0
		.amdhsa_user_sgpr_private_segment_size 0
		.amdhsa_wavefront_size32 1
		.amdhsa_uses_dynamic_stack 0
		.amdhsa_enable_private_segment 0
		.amdhsa_system_sgpr_workgroup_id_x 1
		.amdhsa_system_sgpr_workgroup_id_y 0
		.amdhsa_system_sgpr_workgroup_id_z 0
		.amdhsa_system_sgpr_workgroup_info 0
		.amdhsa_system_vgpr_workitem_id 0
		.amdhsa_next_free_vgpr 1
		.amdhsa_next_free_sgpr 1
		.amdhsa_named_barrier_count 0
		.amdhsa_reserve_vcc 0
		.amdhsa_float_round_mode_32 0
		.amdhsa_float_round_mode_16_64 0
		.amdhsa_float_denorm_mode_32 3
		.amdhsa_float_denorm_mode_16_64 3
		.amdhsa_fp16_overflow 0
		.amdhsa_memory_ordered 1
		.amdhsa_forward_progress 1
		.amdhsa_inst_pref_size 0
		.amdhsa_round_robin_scheduling 0
		.amdhsa_exception_fp_ieee_invalid_op 0
		.amdhsa_exception_fp_denorm_src 0
		.amdhsa_exception_fp_ieee_div_zero 0
		.amdhsa_exception_fp_ieee_overflow 0
		.amdhsa_exception_fp_ieee_underflow 0
		.amdhsa_exception_fp_ieee_inexact 0
		.amdhsa_exception_int_div_zero 0
	.end_amdhsa_kernel
	.section	.text._ZN7rocprim17ROCPRIM_400000_NS6detail17trampoline_kernelINS0_14default_configENS1_27scan_by_key_config_selectorIiiEEZZNS1_16scan_by_key_implILNS1_25lookback_scan_determinismE0ELb0ES3_N6thrust23THRUST_200600_302600_NS6detail15normal_iteratorINS9_10device_ptrIiEEEESE_SE_iNS9_4plusIvEENS9_8equal_toIiEEiEE10hipError_tPvRmT2_T3_T4_T5_mT6_T7_P12ihipStream_tbENKUlT_T0_E_clISt17integral_constantIbLb1EESZ_EEDaSU_SV_EUlSU_E_NS1_11comp_targetILNS1_3genE3ELNS1_11target_archE908ELNS1_3gpuE7ELNS1_3repE0EEENS1_30default_config_static_selectorELNS0_4arch9wavefront6targetE0EEEvT1_,"axG",@progbits,_ZN7rocprim17ROCPRIM_400000_NS6detail17trampoline_kernelINS0_14default_configENS1_27scan_by_key_config_selectorIiiEEZZNS1_16scan_by_key_implILNS1_25lookback_scan_determinismE0ELb0ES3_N6thrust23THRUST_200600_302600_NS6detail15normal_iteratorINS9_10device_ptrIiEEEESE_SE_iNS9_4plusIvEENS9_8equal_toIiEEiEE10hipError_tPvRmT2_T3_T4_T5_mT6_T7_P12ihipStream_tbENKUlT_T0_E_clISt17integral_constantIbLb1EESZ_EEDaSU_SV_EUlSU_E_NS1_11comp_targetILNS1_3genE3ELNS1_11target_archE908ELNS1_3gpuE7ELNS1_3repE0EEENS1_30default_config_static_selectorELNS0_4arch9wavefront6targetE0EEEvT1_,comdat
.Lfunc_end213:
	.size	_ZN7rocprim17ROCPRIM_400000_NS6detail17trampoline_kernelINS0_14default_configENS1_27scan_by_key_config_selectorIiiEEZZNS1_16scan_by_key_implILNS1_25lookback_scan_determinismE0ELb0ES3_N6thrust23THRUST_200600_302600_NS6detail15normal_iteratorINS9_10device_ptrIiEEEESE_SE_iNS9_4plusIvEENS9_8equal_toIiEEiEE10hipError_tPvRmT2_T3_T4_T5_mT6_T7_P12ihipStream_tbENKUlT_T0_E_clISt17integral_constantIbLb1EESZ_EEDaSU_SV_EUlSU_E_NS1_11comp_targetILNS1_3genE3ELNS1_11target_archE908ELNS1_3gpuE7ELNS1_3repE0EEENS1_30default_config_static_selectorELNS0_4arch9wavefront6targetE0EEEvT1_, .Lfunc_end213-_ZN7rocprim17ROCPRIM_400000_NS6detail17trampoline_kernelINS0_14default_configENS1_27scan_by_key_config_selectorIiiEEZZNS1_16scan_by_key_implILNS1_25lookback_scan_determinismE0ELb0ES3_N6thrust23THRUST_200600_302600_NS6detail15normal_iteratorINS9_10device_ptrIiEEEESE_SE_iNS9_4plusIvEENS9_8equal_toIiEEiEE10hipError_tPvRmT2_T3_T4_T5_mT6_T7_P12ihipStream_tbENKUlT_T0_E_clISt17integral_constantIbLb1EESZ_EEDaSU_SV_EUlSU_E_NS1_11comp_targetILNS1_3genE3ELNS1_11target_archE908ELNS1_3gpuE7ELNS1_3repE0EEENS1_30default_config_static_selectorELNS0_4arch9wavefront6targetE0EEEvT1_
                                        ; -- End function
	.set _ZN7rocprim17ROCPRIM_400000_NS6detail17trampoline_kernelINS0_14default_configENS1_27scan_by_key_config_selectorIiiEEZZNS1_16scan_by_key_implILNS1_25lookback_scan_determinismE0ELb0ES3_N6thrust23THRUST_200600_302600_NS6detail15normal_iteratorINS9_10device_ptrIiEEEESE_SE_iNS9_4plusIvEENS9_8equal_toIiEEiEE10hipError_tPvRmT2_T3_T4_T5_mT6_T7_P12ihipStream_tbENKUlT_T0_E_clISt17integral_constantIbLb1EESZ_EEDaSU_SV_EUlSU_E_NS1_11comp_targetILNS1_3genE3ELNS1_11target_archE908ELNS1_3gpuE7ELNS1_3repE0EEENS1_30default_config_static_selectorELNS0_4arch9wavefront6targetE0EEEvT1_.num_vgpr, 0
	.set _ZN7rocprim17ROCPRIM_400000_NS6detail17trampoline_kernelINS0_14default_configENS1_27scan_by_key_config_selectorIiiEEZZNS1_16scan_by_key_implILNS1_25lookback_scan_determinismE0ELb0ES3_N6thrust23THRUST_200600_302600_NS6detail15normal_iteratorINS9_10device_ptrIiEEEESE_SE_iNS9_4plusIvEENS9_8equal_toIiEEiEE10hipError_tPvRmT2_T3_T4_T5_mT6_T7_P12ihipStream_tbENKUlT_T0_E_clISt17integral_constantIbLb1EESZ_EEDaSU_SV_EUlSU_E_NS1_11comp_targetILNS1_3genE3ELNS1_11target_archE908ELNS1_3gpuE7ELNS1_3repE0EEENS1_30default_config_static_selectorELNS0_4arch9wavefront6targetE0EEEvT1_.num_agpr, 0
	.set _ZN7rocprim17ROCPRIM_400000_NS6detail17trampoline_kernelINS0_14default_configENS1_27scan_by_key_config_selectorIiiEEZZNS1_16scan_by_key_implILNS1_25lookback_scan_determinismE0ELb0ES3_N6thrust23THRUST_200600_302600_NS6detail15normal_iteratorINS9_10device_ptrIiEEEESE_SE_iNS9_4plusIvEENS9_8equal_toIiEEiEE10hipError_tPvRmT2_T3_T4_T5_mT6_T7_P12ihipStream_tbENKUlT_T0_E_clISt17integral_constantIbLb1EESZ_EEDaSU_SV_EUlSU_E_NS1_11comp_targetILNS1_3genE3ELNS1_11target_archE908ELNS1_3gpuE7ELNS1_3repE0EEENS1_30default_config_static_selectorELNS0_4arch9wavefront6targetE0EEEvT1_.numbered_sgpr, 0
	.set _ZN7rocprim17ROCPRIM_400000_NS6detail17trampoline_kernelINS0_14default_configENS1_27scan_by_key_config_selectorIiiEEZZNS1_16scan_by_key_implILNS1_25lookback_scan_determinismE0ELb0ES3_N6thrust23THRUST_200600_302600_NS6detail15normal_iteratorINS9_10device_ptrIiEEEESE_SE_iNS9_4plusIvEENS9_8equal_toIiEEiEE10hipError_tPvRmT2_T3_T4_T5_mT6_T7_P12ihipStream_tbENKUlT_T0_E_clISt17integral_constantIbLb1EESZ_EEDaSU_SV_EUlSU_E_NS1_11comp_targetILNS1_3genE3ELNS1_11target_archE908ELNS1_3gpuE7ELNS1_3repE0EEENS1_30default_config_static_selectorELNS0_4arch9wavefront6targetE0EEEvT1_.num_named_barrier, 0
	.set _ZN7rocprim17ROCPRIM_400000_NS6detail17trampoline_kernelINS0_14default_configENS1_27scan_by_key_config_selectorIiiEEZZNS1_16scan_by_key_implILNS1_25lookback_scan_determinismE0ELb0ES3_N6thrust23THRUST_200600_302600_NS6detail15normal_iteratorINS9_10device_ptrIiEEEESE_SE_iNS9_4plusIvEENS9_8equal_toIiEEiEE10hipError_tPvRmT2_T3_T4_T5_mT6_T7_P12ihipStream_tbENKUlT_T0_E_clISt17integral_constantIbLb1EESZ_EEDaSU_SV_EUlSU_E_NS1_11comp_targetILNS1_3genE3ELNS1_11target_archE908ELNS1_3gpuE7ELNS1_3repE0EEENS1_30default_config_static_selectorELNS0_4arch9wavefront6targetE0EEEvT1_.private_seg_size, 0
	.set _ZN7rocprim17ROCPRIM_400000_NS6detail17trampoline_kernelINS0_14default_configENS1_27scan_by_key_config_selectorIiiEEZZNS1_16scan_by_key_implILNS1_25lookback_scan_determinismE0ELb0ES3_N6thrust23THRUST_200600_302600_NS6detail15normal_iteratorINS9_10device_ptrIiEEEESE_SE_iNS9_4plusIvEENS9_8equal_toIiEEiEE10hipError_tPvRmT2_T3_T4_T5_mT6_T7_P12ihipStream_tbENKUlT_T0_E_clISt17integral_constantIbLb1EESZ_EEDaSU_SV_EUlSU_E_NS1_11comp_targetILNS1_3genE3ELNS1_11target_archE908ELNS1_3gpuE7ELNS1_3repE0EEENS1_30default_config_static_selectorELNS0_4arch9wavefront6targetE0EEEvT1_.uses_vcc, 0
	.set _ZN7rocprim17ROCPRIM_400000_NS6detail17trampoline_kernelINS0_14default_configENS1_27scan_by_key_config_selectorIiiEEZZNS1_16scan_by_key_implILNS1_25lookback_scan_determinismE0ELb0ES3_N6thrust23THRUST_200600_302600_NS6detail15normal_iteratorINS9_10device_ptrIiEEEESE_SE_iNS9_4plusIvEENS9_8equal_toIiEEiEE10hipError_tPvRmT2_T3_T4_T5_mT6_T7_P12ihipStream_tbENKUlT_T0_E_clISt17integral_constantIbLb1EESZ_EEDaSU_SV_EUlSU_E_NS1_11comp_targetILNS1_3genE3ELNS1_11target_archE908ELNS1_3gpuE7ELNS1_3repE0EEENS1_30default_config_static_selectorELNS0_4arch9wavefront6targetE0EEEvT1_.uses_flat_scratch, 0
	.set _ZN7rocprim17ROCPRIM_400000_NS6detail17trampoline_kernelINS0_14default_configENS1_27scan_by_key_config_selectorIiiEEZZNS1_16scan_by_key_implILNS1_25lookback_scan_determinismE0ELb0ES3_N6thrust23THRUST_200600_302600_NS6detail15normal_iteratorINS9_10device_ptrIiEEEESE_SE_iNS9_4plusIvEENS9_8equal_toIiEEiEE10hipError_tPvRmT2_T3_T4_T5_mT6_T7_P12ihipStream_tbENKUlT_T0_E_clISt17integral_constantIbLb1EESZ_EEDaSU_SV_EUlSU_E_NS1_11comp_targetILNS1_3genE3ELNS1_11target_archE908ELNS1_3gpuE7ELNS1_3repE0EEENS1_30default_config_static_selectorELNS0_4arch9wavefront6targetE0EEEvT1_.has_dyn_sized_stack, 0
	.set _ZN7rocprim17ROCPRIM_400000_NS6detail17trampoline_kernelINS0_14default_configENS1_27scan_by_key_config_selectorIiiEEZZNS1_16scan_by_key_implILNS1_25lookback_scan_determinismE0ELb0ES3_N6thrust23THRUST_200600_302600_NS6detail15normal_iteratorINS9_10device_ptrIiEEEESE_SE_iNS9_4plusIvEENS9_8equal_toIiEEiEE10hipError_tPvRmT2_T3_T4_T5_mT6_T7_P12ihipStream_tbENKUlT_T0_E_clISt17integral_constantIbLb1EESZ_EEDaSU_SV_EUlSU_E_NS1_11comp_targetILNS1_3genE3ELNS1_11target_archE908ELNS1_3gpuE7ELNS1_3repE0EEENS1_30default_config_static_selectorELNS0_4arch9wavefront6targetE0EEEvT1_.has_recursion, 0
	.set _ZN7rocprim17ROCPRIM_400000_NS6detail17trampoline_kernelINS0_14default_configENS1_27scan_by_key_config_selectorIiiEEZZNS1_16scan_by_key_implILNS1_25lookback_scan_determinismE0ELb0ES3_N6thrust23THRUST_200600_302600_NS6detail15normal_iteratorINS9_10device_ptrIiEEEESE_SE_iNS9_4plusIvEENS9_8equal_toIiEEiEE10hipError_tPvRmT2_T3_T4_T5_mT6_T7_P12ihipStream_tbENKUlT_T0_E_clISt17integral_constantIbLb1EESZ_EEDaSU_SV_EUlSU_E_NS1_11comp_targetILNS1_3genE3ELNS1_11target_archE908ELNS1_3gpuE7ELNS1_3repE0EEENS1_30default_config_static_selectorELNS0_4arch9wavefront6targetE0EEEvT1_.has_indirect_call, 0
	.section	.AMDGPU.csdata,"",@progbits
; Kernel info:
; codeLenInByte = 0
; TotalNumSgprs: 0
; NumVgprs: 0
; ScratchSize: 0
; MemoryBound: 0
; FloatMode: 240
; IeeeMode: 1
; LDSByteSize: 0 bytes/workgroup (compile time only)
; SGPRBlocks: 0
; VGPRBlocks: 0
; NumSGPRsForWavesPerEU: 1
; NumVGPRsForWavesPerEU: 1
; NamedBarCnt: 0
; Occupancy: 16
; WaveLimiterHint : 0
; COMPUTE_PGM_RSRC2:SCRATCH_EN: 0
; COMPUTE_PGM_RSRC2:USER_SGPR: 2
; COMPUTE_PGM_RSRC2:TRAP_HANDLER: 0
; COMPUTE_PGM_RSRC2:TGID_X_EN: 1
; COMPUTE_PGM_RSRC2:TGID_Y_EN: 0
; COMPUTE_PGM_RSRC2:TGID_Z_EN: 0
; COMPUTE_PGM_RSRC2:TIDIG_COMP_CNT: 0
	.section	.text._ZN7rocprim17ROCPRIM_400000_NS6detail17trampoline_kernelINS0_14default_configENS1_27scan_by_key_config_selectorIiiEEZZNS1_16scan_by_key_implILNS1_25lookback_scan_determinismE0ELb0ES3_N6thrust23THRUST_200600_302600_NS6detail15normal_iteratorINS9_10device_ptrIiEEEESE_SE_iNS9_4plusIvEENS9_8equal_toIiEEiEE10hipError_tPvRmT2_T3_T4_T5_mT6_T7_P12ihipStream_tbENKUlT_T0_E_clISt17integral_constantIbLb1EESZ_EEDaSU_SV_EUlSU_E_NS1_11comp_targetILNS1_3genE2ELNS1_11target_archE906ELNS1_3gpuE6ELNS1_3repE0EEENS1_30default_config_static_selectorELNS0_4arch9wavefront6targetE0EEEvT1_,"axG",@progbits,_ZN7rocprim17ROCPRIM_400000_NS6detail17trampoline_kernelINS0_14default_configENS1_27scan_by_key_config_selectorIiiEEZZNS1_16scan_by_key_implILNS1_25lookback_scan_determinismE0ELb0ES3_N6thrust23THRUST_200600_302600_NS6detail15normal_iteratorINS9_10device_ptrIiEEEESE_SE_iNS9_4plusIvEENS9_8equal_toIiEEiEE10hipError_tPvRmT2_T3_T4_T5_mT6_T7_P12ihipStream_tbENKUlT_T0_E_clISt17integral_constantIbLb1EESZ_EEDaSU_SV_EUlSU_E_NS1_11comp_targetILNS1_3genE2ELNS1_11target_archE906ELNS1_3gpuE6ELNS1_3repE0EEENS1_30default_config_static_selectorELNS0_4arch9wavefront6targetE0EEEvT1_,comdat
	.protected	_ZN7rocprim17ROCPRIM_400000_NS6detail17trampoline_kernelINS0_14default_configENS1_27scan_by_key_config_selectorIiiEEZZNS1_16scan_by_key_implILNS1_25lookback_scan_determinismE0ELb0ES3_N6thrust23THRUST_200600_302600_NS6detail15normal_iteratorINS9_10device_ptrIiEEEESE_SE_iNS9_4plusIvEENS9_8equal_toIiEEiEE10hipError_tPvRmT2_T3_T4_T5_mT6_T7_P12ihipStream_tbENKUlT_T0_E_clISt17integral_constantIbLb1EESZ_EEDaSU_SV_EUlSU_E_NS1_11comp_targetILNS1_3genE2ELNS1_11target_archE906ELNS1_3gpuE6ELNS1_3repE0EEENS1_30default_config_static_selectorELNS0_4arch9wavefront6targetE0EEEvT1_ ; -- Begin function _ZN7rocprim17ROCPRIM_400000_NS6detail17trampoline_kernelINS0_14default_configENS1_27scan_by_key_config_selectorIiiEEZZNS1_16scan_by_key_implILNS1_25lookback_scan_determinismE0ELb0ES3_N6thrust23THRUST_200600_302600_NS6detail15normal_iteratorINS9_10device_ptrIiEEEESE_SE_iNS9_4plusIvEENS9_8equal_toIiEEiEE10hipError_tPvRmT2_T3_T4_T5_mT6_T7_P12ihipStream_tbENKUlT_T0_E_clISt17integral_constantIbLb1EESZ_EEDaSU_SV_EUlSU_E_NS1_11comp_targetILNS1_3genE2ELNS1_11target_archE906ELNS1_3gpuE6ELNS1_3repE0EEENS1_30default_config_static_selectorELNS0_4arch9wavefront6targetE0EEEvT1_
	.globl	_ZN7rocprim17ROCPRIM_400000_NS6detail17trampoline_kernelINS0_14default_configENS1_27scan_by_key_config_selectorIiiEEZZNS1_16scan_by_key_implILNS1_25lookback_scan_determinismE0ELb0ES3_N6thrust23THRUST_200600_302600_NS6detail15normal_iteratorINS9_10device_ptrIiEEEESE_SE_iNS9_4plusIvEENS9_8equal_toIiEEiEE10hipError_tPvRmT2_T3_T4_T5_mT6_T7_P12ihipStream_tbENKUlT_T0_E_clISt17integral_constantIbLb1EESZ_EEDaSU_SV_EUlSU_E_NS1_11comp_targetILNS1_3genE2ELNS1_11target_archE906ELNS1_3gpuE6ELNS1_3repE0EEENS1_30default_config_static_selectorELNS0_4arch9wavefront6targetE0EEEvT1_
	.p2align	8
	.type	_ZN7rocprim17ROCPRIM_400000_NS6detail17trampoline_kernelINS0_14default_configENS1_27scan_by_key_config_selectorIiiEEZZNS1_16scan_by_key_implILNS1_25lookback_scan_determinismE0ELb0ES3_N6thrust23THRUST_200600_302600_NS6detail15normal_iteratorINS9_10device_ptrIiEEEESE_SE_iNS9_4plusIvEENS9_8equal_toIiEEiEE10hipError_tPvRmT2_T3_T4_T5_mT6_T7_P12ihipStream_tbENKUlT_T0_E_clISt17integral_constantIbLb1EESZ_EEDaSU_SV_EUlSU_E_NS1_11comp_targetILNS1_3genE2ELNS1_11target_archE906ELNS1_3gpuE6ELNS1_3repE0EEENS1_30default_config_static_selectorELNS0_4arch9wavefront6targetE0EEEvT1_,@function
_ZN7rocprim17ROCPRIM_400000_NS6detail17trampoline_kernelINS0_14default_configENS1_27scan_by_key_config_selectorIiiEEZZNS1_16scan_by_key_implILNS1_25lookback_scan_determinismE0ELb0ES3_N6thrust23THRUST_200600_302600_NS6detail15normal_iteratorINS9_10device_ptrIiEEEESE_SE_iNS9_4plusIvEENS9_8equal_toIiEEiEE10hipError_tPvRmT2_T3_T4_T5_mT6_T7_P12ihipStream_tbENKUlT_T0_E_clISt17integral_constantIbLb1EESZ_EEDaSU_SV_EUlSU_E_NS1_11comp_targetILNS1_3genE2ELNS1_11target_archE906ELNS1_3gpuE6ELNS1_3repE0EEENS1_30default_config_static_selectorELNS0_4arch9wavefront6targetE0EEEvT1_: ; @_ZN7rocprim17ROCPRIM_400000_NS6detail17trampoline_kernelINS0_14default_configENS1_27scan_by_key_config_selectorIiiEEZZNS1_16scan_by_key_implILNS1_25lookback_scan_determinismE0ELb0ES3_N6thrust23THRUST_200600_302600_NS6detail15normal_iteratorINS9_10device_ptrIiEEEESE_SE_iNS9_4plusIvEENS9_8equal_toIiEEiEE10hipError_tPvRmT2_T3_T4_T5_mT6_T7_P12ihipStream_tbENKUlT_T0_E_clISt17integral_constantIbLb1EESZ_EEDaSU_SV_EUlSU_E_NS1_11comp_targetILNS1_3genE2ELNS1_11target_archE906ELNS1_3gpuE6ELNS1_3repE0EEENS1_30default_config_static_selectorELNS0_4arch9wavefront6targetE0EEEvT1_
; %bb.0:
	.section	.rodata,"a",@progbits
	.p2align	6, 0x0
	.amdhsa_kernel _ZN7rocprim17ROCPRIM_400000_NS6detail17trampoline_kernelINS0_14default_configENS1_27scan_by_key_config_selectorIiiEEZZNS1_16scan_by_key_implILNS1_25lookback_scan_determinismE0ELb0ES3_N6thrust23THRUST_200600_302600_NS6detail15normal_iteratorINS9_10device_ptrIiEEEESE_SE_iNS9_4plusIvEENS9_8equal_toIiEEiEE10hipError_tPvRmT2_T3_T4_T5_mT6_T7_P12ihipStream_tbENKUlT_T0_E_clISt17integral_constantIbLb1EESZ_EEDaSU_SV_EUlSU_E_NS1_11comp_targetILNS1_3genE2ELNS1_11target_archE906ELNS1_3gpuE6ELNS1_3repE0EEENS1_30default_config_static_selectorELNS0_4arch9wavefront6targetE0EEEvT1_
		.amdhsa_group_segment_fixed_size 0
		.amdhsa_private_segment_fixed_size 0
		.amdhsa_kernarg_size 112
		.amdhsa_user_sgpr_count 2
		.amdhsa_user_sgpr_dispatch_ptr 0
		.amdhsa_user_sgpr_queue_ptr 0
		.amdhsa_user_sgpr_kernarg_segment_ptr 1
		.amdhsa_user_sgpr_dispatch_id 0
		.amdhsa_user_sgpr_kernarg_preload_length 0
		.amdhsa_user_sgpr_kernarg_preload_offset 0
		.amdhsa_user_sgpr_private_segment_size 0
		.amdhsa_wavefront_size32 1
		.amdhsa_uses_dynamic_stack 0
		.amdhsa_enable_private_segment 0
		.amdhsa_system_sgpr_workgroup_id_x 1
		.amdhsa_system_sgpr_workgroup_id_y 0
		.amdhsa_system_sgpr_workgroup_id_z 0
		.amdhsa_system_sgpr_workgroup_info 0
		.amdhsa_system_vgpr_workitem_id 0
		.amdhsa_next_free_vgpr 1
		.amdhsa_next_free_sgpr 1
		.amdhsa_named_barrier_count 0
		.amdhsa_reserve_vcc 0
		.amdhsa_float_round_mode_32 0
		.amdhsa_float_round_mode_16_64 0
		.amdhsa_float_denorm_mode_32 3
		.amdhsa_float_denorm_mode_16_64 3
		.amdhsa_fp16_overflow 0
		.amdhsa_memory_ordered 1
		.amdhsa_forward_progress 1
		.amdhsa_inst_pref_size 0
		.amdhsa_round_robin_scheduling 0
		.amdhsa_exception_fp_ieee_invalid_op 0
		.amdhsa_exception_fp_denorm_src 0
		.amdhsa_exception_fp_ieee_div_zero 0
		.amdhsa_exception_fp_ieee_overflow 0
		.amdhsa_exception_fp_ieee_underflow 0
		.amdhsa_exception_fp_ieee_inexact 0
		.amdhsa_exception_int_div_zero 0
	.end_amdhsa_kernel
	.section	.text._ZN7rocprim17ROCPRIM_400000_NS6detail17trampoline_kernelINS0_14default_configENS1_27scan_by_key_config_selectorIiiEEZZNS1_16scan_by_key_implILNS1_25lookback_scan_determinismE0ELb0ES3_N6thrust23THRUST_200600_302600_NS6detail15normal_iteratorINS9_10device_ptrIiEEEESE_SE_iNS9_4plusIvEENS9_8equal_toIiEEiEE10hipError_tPvRmT2_T3_T4_T5_mT6_T7_P12ihipStream_tbENKUlT_T0_E_clISt17integral_constantIbLb1EESZ_EEDaSU_SV_EUlSU_E_NS1_11comp_targetILNS1_3genE2ELNS1_11target_archE906ELNS1_3gpuE6ELNS1_3repE0EEENS1_30default_config_static_selectorELNS0_4arch9wavefront6targetE0EEEvT1_,"axG",@progbits,_ZN7rocprim17ROCPRIM_400000_NS6detail17trampoline_kernelINS0_14default_configENS1_27scan_by_key_config_selectorIiiEEZZNS1_16scan_by_key_implILNS1_25lookback_scan_determinismE0ELb0ES3_N6thrust23THRUST_200600_302600_NS6detail15normal_iteratorINS9_10device_ptrIiEEEESE_SE_iNS9_4plusIvEENS9_8equal_toIiEEiEE10hipError_tPvRmT2_T3_T4_T5_mT6_T7_P12ihipStream_tbENKUlT_T0_E_clISt17integral_constantIbLb1EESZ_EEDaSU_SV_EUlSU_E_NS1_11comp_targetILNS1_3genE2ELNS1_11target_archE906ELNS1_3gpuE6ELNS1_3repE0EEENS1_30default_config_static_selectorELNS0_4arch9wavefront6targetE0EEEvT1_,comdat
.Lfunc_end214:
	.size	_ZN7rocprim17ROCPRIM_400000_NS6detail17trampoline_kernelINS0_14default_configENS1_27scan_by_key_config_selectorIiiEEZZNS1_16scan_by_key_implILNS1_25lookback_scan_determinismE0ELb0ES3_N6thrust23THRUST_200600_302600_NS6detail15normal_iteratorINS9_10device_ptrIiEEEESE_SE_iNS9_4plusIvEENS9_8equal_toIiEEiEE10hipError_tPvRmT2_T3_T4_T5_mT6_T7_P12ihipStream_tbENKUlT_T0_E_clISt17integral_constantIbLb1EESZ_EEDaSU_SV_EUlSU_E_NS1_11comp_targetILNS1_3genE2ELNS1_11target_archE906ELNS1_3gpuE6ELNS1_3repE0EEENS1_30default_config_static_selectorELNS0_4arch9wavefront6targetE0EEEvT1_, .Lfunc_end214-_ZN7rocprim17ROCPRIM_400000_NS6detail17trampoline_kernelINS0_14default_configENS1_27scan_by_key_config_selectorIiiEEZZNS1_16scan_by_key_implILNS1_25lookback_scan_determinismE0ELb0ES3_N6thrust23THRUST_200600_302600_NS6detail15normal_iteratorINS9_10device_ptrIiEEEESE_SE_iNS9_4plusIvEENS9_8equal_toIiEEiEE10hipError_tPvRmT2_T3_T4_T5_mT6_T7_P12ihipStream_tbENKUlT_T0_E_clISt17integral_constantIbLb1EESZ_EEDaSU_SV_EUlSU_E_NS1_11comp_targetILNS1_3genE2ELNS1_11target_archE906ELNS1_3gpuE6ELNS1_3repE0EEENS1_30default_config_static_selectorELNS0_4arch9wavefront6targetE0EEEvT1_
                                        ; -- End function
	.set _ZN7rocprim17ROCPRIM_400000_NS6detail17trampoline_kernelINS0_14default_configENS1_27scan_by_key_config_selectorIiiEEZZNS1_16scan_by_key_implILNS1_25lookback_scan_determinismE0ELb0ES3_N6thrust23THRUST_200600_302600_NS6detail15normal_iteratorINS9_10device_ptrIiEEEESE_SE_iNS9_4plusIvEENS9_8equal_toIiEEiEE10hipError_tPvRmT2_T3_T4_T5_mT6_T7_P12ihipStream_tbENKUlT_T0_E_clISt17integral_constantIbLb1EESZ_EEDaSU_SV_EUlSU_E_NS1_11comp_targetILNS1_3genE2ELNS1_11target_archE906ELNS1_3gpuE6ELNS1_3repE0EEENS1_30default_config_static_selectorELNS0_4arch9wavefront6targetE0EEEvT1_.num_vgpr, 0
	.set _ZN7rocprim17ROCPRIM_400000_NS6detail17trampoline_kernelINS0_14default_configENS1_27scan_by_key_config_selectorIiiEEZZNS1_16scan_by_key_implILNS1_25lookback_scan_determinismE0ELb0ES3_N6thrust23THRUST_200600_302600_NS6detail15normal_iteratorINS9_10device_ptrIiEEEESE_SE_iNS9_4plusIvEENS9_8equal_toIiEEiEE10hipError_tPvRmT2_T3_T4_T5_mT6_T7_P12ihipStream_tbENKUlT_T0_E_clISt17integral_constantIbLb1EESZ_EEDaSU_SV_EUlSU_E_NS1_11comp_targetILNS1_3genE2ELNS1_11target_archE906ELNS1_3gpuE6ELNS1_3repE0EEENS1_30default_config_static_selectorELNS0_4arch9wavefront6targetE0EEEvT1_.num_agpr, 0
	.set _ZN7rocprim17ROCPRIM_400000_NS6detail17trampoline_kernelINS0_14default_configENS1_27scan_by_key_config_selectorIiiEEZZNS1_16scan_by_key_implILNS1_25lookback_scan_determinismE0ELb0ES3_N6thrust23THRUST_200600_302600_NS6detail15normal_iteratorINS9_10device_ptrIiEEEESE_SE_iNS9_4plusIvEENS9_8equal_toIiEEiEE10hipError_tPvRmT2_T3_T4_T5_mT6_T7_P12ihipStream_tbENKUlT_T0_E_clISt17integral_constantIbLb1EESZ_EEDaSU_SV_EUlSU_E_NS1_11comp_targetILNS1_3genE2ELNS1_11target_archE906ELNS1_3gpuE6ELNS1_3repE0EEENS1_30default_config_static_selectorELNS0_4arch9wavefront6targetE0EEEvT1_.numbered_sgpr, 0
	.set _ZN7rocprim17ROCPRIM_400000_NS6detail17trampoline_kernelINS0_14default_configENS1_27scan_by_key_config_selectorIiiEEZZNS1_16scan_by_key_implILNS1_25lookback_scan_determinismE0ELb0ES3_N6thrust23THRUST_200600_302600_NS6detail15normal_iteratorINS9_10device_ptrIiEEEESE_SE_iNS9_4plusIvEENS9_8equal_toIiEEiEE10hipError_tPvRmT2_T3_T4_T5_mT6_T7_P12ihipStream_tbENKUlT_T0_E_clISt17integral_constantIbLb1EESZ_EEDaSU_SV_EUlSU_E_NS1_11comp_targetILNS1_3genE2ELNS1_11target_archE906ELNS1_3gpuE6ELNS1_3repE0EEENS1_30default_config_static_selectorELNS0_4arch9wavefront6targetE0EEEvT1_.num_named_barrier, 0
	.set _ZN7rocprim17ROCPRIM_400000_NS6detail17trampoline_kernelINS0_14default_configENS1_27scan_by_key_config_selectorIiiEEZZNS1_16scan_by_key_implILNS1_25lookback_scan_determinismE0ELb0ES3_N6thrust23THRUST_200600_302600_NS6detail15normal_iteratorINS9_10device_ptrIiEEEESE_SE_iNS9_4plusIvEENS9_8equal_toIiEEiEE10hipError_tPvRmT2_T3_T4_T5_mT6_T7_P12ihipStream_tbENKUlT_T0_E_clISt17integral_constantIbLb1EESZ_EEDaSU_SV_EUlSU_E_NS1_11comp_targetILNS1_3genE2ELNS1_11target_archE906ELNS1_3gpuE6ELNS1_3repE0EEENS1_30default_config_static_selectorELNS0_4arch9wavefront6targetE0EEEvT1_.private_seg_size, 0
	.set _ZN7rocprim17ROCPRIM_400000_NS6detail17trampoline_kernelINS0_14default_configENS1_27scan_by_key_config_selectorIiiEEZZNS1_16scan_by_key_implILNS1_25lookback_scan_determinismE0ELb0ES3_N6thrust23THRUST_200600_302600_NS6detail15normal_iteratorINS9_10device_ptrIiEEEESE_SE_iNS9_4plusIvEENS9_8equal_toIiEEiEE10hipError_tPvRmT2_T3_T4_T5_mT6_T7_P12ihipStream_tbENKUlT_T0_E_clISt17integral_constantIbLb1EESZ_EEDaSU_SV_EUlSU_E_NS1_11comp_targetILNS1_3genE2ELNS1_11target_archE906ELNS1_3gpuE6ELNS1_3repE0EEENS1_30default_config_static_selectorELNS0_4arch9wavefront6targetE0EEEvT1_.uses_vcc, 0
	.set _ZN7rocprim17ROCPRIM_400000_NS6detail17trampoline_kernelINS0_14default_configENS1_27scan_by_key_config_selectorIiiEEZZNS1_16scan_by_key_implILNS1_25lookback_scan_determinismE0ELb0ES3_N6thrust23THRUST_200600_302600_NS6detail15normal_iteratorINS9_10device_ptrIiEEEESE_SE_iNS9_4plusIvEENS9_8equal_toIiEEiEE10hipError_tPvRmT2_T3_T4_T5_mT6_T7_P12ihipStream_tbENKUlT_T0_E_clISt17integral_constantIbLb1EESZ_EEDaSU_SV_EUlSU_E_NS1_11comp_targetILNS1_3genE2ELNS1_11target_archE906ELNS1_3gpuE6ELNS1_3repE0EEENS1_30default_config_static_selectorELNS0_4arch9wavefront6targetE0EEEvT1_.uses_flat_scratch, 0
	.set _ZN7rocprim17ROCPRIM_400000_NS6detail17trampoline_kernelINS0_14default_configENS1_27scan_by_key_config_selectorIiiEEZZNS1_16scan_by_key_implILNS1_25lookback_scan_determinismE0ELb0ES3_N6thrust23THRUST_200600_302600_NS6detail15normal_iteratorINS9_10device_ptrIiEEEESE_SE_iNS9_4plusIvEENS9_8equal_toIiEEiEE10hipError_tPvRmT2_T3_T4_T5_mT6_T7_P12ihipStream_tbENKUlT_T0_E_clISt17integral_constantIbLb1EESZ_EEDaSU_SV_EUlSU_E_NS1_11comp_targetILNS1_3genE2ELNS1_11target_archE906ELNS1_3gpuE6ELNS1_3repE0EEENS1_30default_config_static_selectorELNS0_4arch9wavefront6targetE0EEEvT1_.has_dyn_sized_stack, 0
	.set _ZN7rocprim17ROCPRIM_400000_NS6detail17trampoline_kernelINS0_14default_configENS1_27scan_by_key_config_selectorIiiEEZZNS1_16scan_by_key_implILNS1_25lookback_scan_determinismE0ELb0ES3_N6thrust23THRUST_200600_302600_NS6detail15normal_iteratorINS9_10device_ptrIiEEEESE_SE_iNS9_4plusIvEENS9_8equal_toIiEEiEE10hipError_tPvRmT2_T3_T4_T5_mT6_T7_P12ihipStream_tbENKUlT_T0_E_clISt17integral_constantIbLb1EESZ_EEDaSU_SV_EUlSU_E_NS1_11comp_targetILNS1_3genE2ELNS1_11target_archE906ELNS1_3gpuE6ELNS1_3repE0EEENS1_30default_config_static_selectorELNS0_4arch9wavefront6targetE0EEEvT1_.has_recursion, 0
	.set _ZN7rocprim17ROCPRIM_400000_NS6detail17trampoline_kernelINS0_14default_configENS1_27scan_by_key_config_selectorIiiEEZZNS1_16scan_by_key_implILNS1_25lookback_scan_determinismE0ELb0ES3_N6thrust23THRUST_200600_302600_NS6detail15normal_iteratorINS9_10device_ptrIiEEEESE_SE_iNS9_4plusIvEENS9_8equal_toIiEEiEE10hipError_tPvRmT2_T3_T4_T5_mT6_T7_P12ihipStream_tbENKUlT_T0_E_clISt17integral_constantIbLb1EESZ_EEDaSU_SV_EUlSU_E_NS1_11comp_targetILNS1_3genE2ELNS1_11target_archE906ELNS1_3gpuE6ELNS1_3repE0EEENS1_30default_config_static_selectorELNS0_4arch9wavefront6targetE0EEEvT1_.has_indirect_call, 0
	.section	.AMDGPU.csdata,"",@progbits
; Kernel info:
; codeLenInByte = 0
; TotalNumSgprs: 0
; NumVgprs: 0
; ScratchSize: 0
; MemoryBound: 0
; FloatMode: 240
; IeeeMode: 1
; LDSByteSize: 0 bytes/workgroup (compile time only)
; SGPRBlocks: 0
; VGPRBlocks: 0
; NumSGPRsForWavesPerEU: 1
; NumVGPRsForWavesPerEU: 1
; NamedBarCnt: 0
; Occupancy: 16
; WaveLimiterHint : 0
; COMPUTE_PGM_RSRC2:SCRATCH_EN: 0
; COMPUTE_PGM_RSRC2:USER_SGPR: 2
; COMPUTE_PGM_RSRC2:TRAP_HANDLER: 0
; COMPUTE_PGM_RSRC2:TGID_X_EN: 1
; COMPUTE_PGM_RSRC2:TGID_Y_EN: 0
; COMPUTE_PGM_RSRC2:TGID_Z_EN: 0
; COMPUTE_PGM_RSRC2:TIDIG_COMP_CNT: 0
	.section	.text._ZN7rocprim17ROCPRIM_400000_NS6detail17trampoline_kernelINS0_14default_configENS1_27scan_by_key_config_selectorIiiEEZZNS1_16scan_by_key_implILNS1_25lookback_scan_determinismE0ELb0ES3_N6thrust23THRUST_200600_302600_NS6detail15normal_iteratorINS9_10device_ptrIiEEEESE_SE_iNS9_4plusIvEENS9_8equal_toIiEEiEE10hipError_tPvRmT2_T3_T4_T5_mT6_T7_P12ihipStream_tbENKUlT_T0_E_clISt17integral_constantIbLb1EESZ_EEDaSU_SV_EUlSU_E_NS1_11comp_targetILNS1_3genE10ELNS1_11target_archE1200ELNS1_3gpuE4ELNS1_3repE0EEENS1_30default_config_static_selectorELNS0_4arch9wavefront6targetE0EEEvT1_,"axG",@progbits,_ZN7rocprim17ROCPRIM_400000_NS6detail17trampoline_kernelINS0_14default_configENS1_27scan_by_key_config_selectorIiiEEZZNS1_16scan_by_key_implILNS1_25lookback_scan_determinismE0ELb0ES3_N6thrust23THRUST_200600_302600_NS6detail15normal_iteratorINS9_10device_ptrIiEEEESE_SE_iNS9_4plusIvEENS9_8equal_toIiEEiEE10hipError_tPvRmT2_T3_T4_T5_mT6_T7_P12ihipStream_tbENKUlT_T0_E_clISt17integral_constantIbLb1EESZ_EEDaSU_SV_EUlSU_E_NS1_11comp_targetILNS1_3genE10ELNS1_11target_archE1200ELNS1_3gpuE4ELNS1_3repE0EEENS1_30default_config_static_selectorELNS0_4arch9wavefront6targetE0EEEvT1_,comdat
	.protected	_ZN7rocprim17ROCPRIM_400000_NS6detail17trampoline_kernelINS0_14default_configENS1_27scan_by_key_config_selectorIiiEEZZNS1_16scan_by_key_implILNS1_25lookback_scan_determinismE0ELb0ES3_N6thrust23THRUST_200600_302600_NS6detail15normal_iteratorINS9_10device_ptrIiEEEESE_SE_iNS9_4plusIvEENS9_8equal_toIiEEiEE10hipError_tPvRmT2_T3_T4_T5_mT6_T7_P12ihipStream_tbENKUlT_T0_E_clISt17integral_constantIbLb1EESZ_EEDaSU_SV_EUlSU_E_NS1_11comp_targetILNS1_3genE10ELNS1_11target_archE1200ELNS1_3gpuE4ELNS1_3repE0EEENS1_30default_config_static_selectorELNS0_4arch9wavefront6targetE0EEEvT1_ ; -- Begin function _ZN7rocprim17ROCPRIM_400000_NS6detail17trampoline_kernelINS0_14default_configENS1_27scan_by_key_config_selectorIiiEEZZNS1_16scan_by_key_implILNS1_25lookback_scan_determinismE0ELb0ES3_N6thrust23THRUST_200600_302600_NS6detail15normal_iteratorINS9_10device_ptrIiEEEESE_SE_iNS9_4plusIvEENS9_8equal_toIiEEiEE10hipError_tPvRmT2_T3_T4_T5_mT6_T7_P12ihipStream_tbENKUlT_T0_E_clISt17integral_constantIbLb1EESZ_EEDaSU_SV_EUlSU_E_NS1_11comp_targetILNS1_3genE10ELNS1_11target_archE1200ELNS1_3gpuE4ELNS1_3repE0EEENS1_30default_config_static_selectorELNS0_4arch9wavefront6targetE0EEEvT1_
	.globl	_ZN7rocprim17ROCPRIM_400000_NS6detail17trampoline_kernelINS0_14default_configENS1_27scan_by_key_config_selectorIiiEEZZNS1_16scan_by_key_implILNS1_25lookback_scan_determinismE0ELb0ES3_N6thrust23THRUST_200600_302600_NS6detail15normal_iteratorINS9_10device_ptrIiEEEESE_SE_iNS9_4plusIvEENS9_8equal_toIiEEiEE10hipError_tPvRmT2_T3_T4_T5_mT6_T7_P12ihipStream_tbENKUlT_T0_E_clISt17integral_constantIbLb1EESZ_EEDaSU_SV_EUlSU_E_NS1_11comp_targetILNS1_3genE10ELNS1_11target_archE1200ELNS1_3gpuE4ELNS1_3repE0EEENS1_30default_config_static_selectorELNS0_4arch9wavefront6targetE0EEEvT1_
	.p2align	8
	.type	_ZN7rocprim17ROCPRIM_400000_NS6detail17trampoline_kernelINS0_14default_configENS1_27scan_by_key_config_selectorIiiEEZZNS1_16scan_by_key_implILNS1_25lookback_scan_determinismE0ELb0ES3_N6thrust23THRUST_200600_302600_NS6detail15normal_iteratorINS9_10device_ptrIiEEEESE_SE_iNS9_4plusIvEENS9_8equal_toIiEEiEE10hipError_tPvRmT2_T3_T4_T5_mT6_T7_P12ihipStream_tbENKUlT_T0_E_clISt17integral_constantIbLb1EESZ_EEDaSU_SV_EUlSU_E_NS1_11comp_targetILNS1_3genE10ELNS1_11target_archE1200ELNS1_3gpuE4ELNS1_3repE0EEENS1_30default_config_static_selectorELNS0_4arch9wavefront6targetE0EEEvT1_,@function
_ZN7rocprim17ROCPRIM_400000_NS6detail17trampoline_kernelINS0_14default_configENS1_27scan_by_key_config_selectorIiiEEZZNS1_16scan_by_key_implILNS1_25lookback_scan_determinismE0ELb0ES3_N6thrust23THRUST_200600_302600_NS6detail15normal_iteratorINS9_10device_ptrIiEEEESE_SE_iNS9_4plusIvEENS9_8equal_toIiEEiEE10hipError_tPvRmT2_T3_T4_T5_mT6_T7_P12ihipStream_tbENKUlT_T0_E_clISt17integral_constantIbLb1EESZ_EEDaSU_SV_EUlSU_E_NS1_11comp_targetILNS1_3genE10ELNS1_11target_archE1200ELNS1_3gpuE4ELNS1_3repE0EEENS1_30default_config_static_selectorELNS0_4arch9wavefront6targetE0EEEvT1_: ; @_ZN7rocprim17ROCPRIM_400000_NS6detail17trampoline_kernelINS0_14default_configENS1_27scan_by_key_config_selectorIiiEEZZNS1_16scan_by_key_implILNS1_25lookback_scan_determinismE0ELb0ES3_N6thrust23THRUST_200600_302600_NS6detail15normal_iteratorINS9_10device_ptrIiEEEESE_SE_iNS9_4plusIvEENS9_8equal_toIiEEiEE10hipError_tPvRmT2_T3_T4_T5_mT6_T7_P12ihipStream_tbENKUlT_T0_E_clISt17integral_constantIbLb1EESZ_EEDaSU_SV_EUlSU_E_NS1_11comp_targetILNS1_3genE10ELNS1_11target_archE1200ELNS1_3gpuE4ELNS1_3repE0EEENS1_30default_config_static_selectorELNS0_4arch9wavefront6targetE0EEEvT1_
; %bb.0:
	.section	.rodata,"a",@progbits
	.p2align	6, 0x0
	.amdhsa_kernel _ZN7rocprim17ROCPRIM_400000_NS6detail17trampoline_kernelINS0_14default_configENS1_27scan_by_key_config_selectorIiiEEZZNS1_16scan_by_key_implILNS1_25lookback_scan_determinismE0ELb0ES3_N6thrust23THRUST_200600_302600_NS6detail15normal_iteratorINS9_10device_ptrIiEEEESE_SE_iNS9_4plusIvEENS9_8equal_toIiEEiEE10hipError_tPvRmT2_T3_T4_T5_mT6_T7_P12ihipStream_tbENKUlT_T0_E_clISt17integral_constantIbLb1EESZ_EEDaSU_SV_EUlSU_E_NS1_11comp_targetILNS1_3genE10ELNS1_11target_archE1200ELNS1_3gpuE4ELNS1_3repE0EEENS1_30default_config_static_selectorELNS0_4arch9wavefront6targetE0EEEvT1_
		.amdhsa_group_segment_fixed_size 0
		.amdhsa_private_segment_fixed_size 0
		.amdhsa_kernarg_size 112
		.amdhsa_user_sgpr_count 2
		.amdhsa_user_sgpr_dispatch_ptr 0
		.amdhsa_user_sgpr_queue_ptr 0
		.amdhsa_user_sgpr_kernarg_segment_ptr 1
		.amdhsa_user_sgpr_dispatch_id 0
		.amdhsa_user_sgpr_kernarg_preload_length 0
		.amdhsa_user_sgpr_kernarg_preload_offset 0
		.amdhsa_user_sgpr_private_segment_size 0
		.amdhsa_wavefront_size32 1
		.amdhsa_uses_dynamic_stack 0
		.amdhsa_enable_private_segment 0
		.amdhsa_system_sgpr_workgroup_id_x 1
		.amdhsa_system_sgpr_workgroup_id_y 0
		.amdhsa_system_sgpr_workgroup_id_z 0
		.amdhsa_system_sgpr_workgroup_info 0
		.amdhsa_system_vgpr_workitem_id 0
		.amdhsa_next_free_vgpr 1
		.amdhsa_next_free_sgpr 1
		.amdhsa_named_barrier_count 0
		.amdhsa_reserve_vcc 0
		.amdhsa_float_round_mode_32 0
		.amdhsa_float_round_mode_16_64 0
		.amdhsa_float_denorm_mode_32 3
		.amdhsa_float_denorm_mode_16_64 3
		.amdhsa_fp16_overflow 0
		.amdhsa_memory_ordered 1
		.amdhsa_forward_progress 1
		.amdhsa_inst_pref_size 0
		.amdhsa_round_robin_scheduling 0
		.amdhsa_exception_fp_ieee_invalid_op 0
		.amdhsa_exception_fp_denorm_src 0
		.amdhsa_exception_fp_ieee_div_zero 0
		.amdhsa_exception_fp_ieee_overflow 0
		.amdhsa_exception_fp_ieee_underflow 0
		.amdhsa_exception_fp_ieee_inexact 0
		.amdhsa_exception_int_div_zero 0
	.end_amdhsa_kernel
	.section	.text._ZN7rocprim17ROCPRIM_400000_NS6detail17trampoline_kernelINS0_14default_configENS1_27scan_by_key_config_selectorIiiEEZZNS1_16scan_by_key_implILNS1_25lookback_scan_determinismE0ELb0ES3_N6thrust23THRUST_200600_302600_NS6detail15normal_iteratorINS9_10device_ptrIiEEEESE_SE_iNS9_4plusIvEENS9_8equal_toIiEEiEE10hipError_tPvRmT2_T3_T4_T5_mT6_T7_P12ihipStream_tbENKUlT_T0_E_clISt17integral_constantIbLb1EESZ_EEDaSU_SV_EUlSU_E_NS1_11comp_targetILNS1_3genE10ELNS1_11target_archE1200ELNS1_3gpuE4ELNS1_3repE0EEENS1_30default_config_static_selectorELNS0_4arch9wavefront6targetE0EEEvT1_,"axG",@progbits,_ZN7rocprim17ROCPRIM_400000_NS6detail17trampoline_kernelINS0_14default_configENS1_27scan_by_key_config_selectorIiiEEZZNS1_16scan_by_key_implILNS1_25lookback_scan_determinismE0ELb0ES3_N6thrust23THRUST_200600_302600_NS6detail15normal_iteratorINS9_10device_ptrIiEEEESE_SE_iNS9_4plusIvEENS9_8equal_toIiEEiEE10hipError_tPvRmT2_T3_T4_T5_mT6_T7_P12ihipStream_tbENKUlT_T0_E_clISt17integral_constantIbLb1EESZ_EEDaSU_SV_EUlSU_E_NS1_11comp_targetILNS1_3genE10ELNS1_11target_archE1200ELNS1_3gpuE4ELNS1_3repE0EEENS1_30default_config_static_selectorELNS0_4arch9wavefront6targetE0EEEvT1_,comdat
.Lfunc_end215:
	.size	_ZN7rocprim17ROCPRIM_400000_NS6detail17trampoline_kernelINS0_14default_configENS1_27scan_by_key_config_selectorIiiEEZZNS1_16scan_by_key_implILNS1_25lookback_scan_determinismE0ELb0ES3_N6thrust23THRUST_200600_302600_NS6detail15normal_iteratorINS9_10device_ptrIiEEEESE_SE_iNS9_4plusIvEENS9_8equal_toIiEEiEE10hipError_tPvRmT2_T3_T4_T5_mT6_T7_P12ihipStream_tbENKUlT_T0_E_clISt17integral_constantIbLb1EESZ_EEDaSU_SV_EUlSU_E_NS1_11comp_targetILNS1_3genE10ELNS1_11target_archE1200ELNS1_3gpuE4ELNS1_3repE0EEENS1_30default_config_static_selectorELNS0_4arch9wavefront6targetE0EEEvT1_, .Lfunc_end215-_ZN7rocprim17ROCPRIM_400000_NS6detail17trampoline_kernelINS0_14default_configENS1_27scan_by_key_config_selectorIiiEEZZNS1_16scan_by_key_implILNS1_25lookback_scan_determinismE0ELb0ES3_N6thrust23THRUST_200600_302600_NS6detail15normal_iteratorINS9_10device_ptrIiEEEESE_SE_iNS9_4plusIvEENS9_8equal_toIiEEiEE10hipError_tPvRmT2_T3_T4_T5_mT6_T7_P12ihipStream_tbENKUlT_T0_E_clISt17integral_constantIbLb1EESZ_EEDaSU_SV_EUlSU_E_NS1_11comp_targetILNS1_3genE10ELNS1_11target_archE1200ELNS1_3gpuE4ELNS1_3repE0EEENS1_30default_config_static_selectorELNS0_4arch9wavefront6targetE0EEEvT1_
                                        ; -- End function
	.set _ZN7rocprim17ROCPRIM_400000_NS6detail17trampoline_kernelINS0_14default_configENS1_27scan_by_key_config_selectorIiiEEZZNS1_16scan_by_key_implILNS1_25lookback_scan_determinismE0ELb0ES3_N6thrust23THRUST_200600_302600_NS6detail15normal_iteratorINS9_10device_ptrIiEEEESE_SE_iNS9_4plusIvEENS9_8equal_toIiEEiEE10hipError_tPvRmT2_T3_T4_T5_mT6_T7_P12ihipStream_tbENKUlT_T0_E_clISt17integral_constantIbLb1EESZ_EEDaSU_SV_EUlSU_E_NS1_11comp_targetILNS1_3genE10ELNS1_11target_archE1200ELNS1_3gpuE4ELNS1_3repE0EEENS1_30default_config_static_selectorELNS0_4arch9wavefront6targetE0EEEvT1_.num_vgpr, 0
	.set _ZN7rocprim17ROCPRIM_400000_NS6detail17trampoline_kernelINS0_14default_configENS1_27scan_by_key_config_selectorIiiEEZZNS1_16scan_by_key_implILNS1_25lookback_scan_determinismE0ELb0ES3_N6thrust23THRUST_200600_302600_NS6detail15normal_iteratorINS9_10device_ptrIiEEEESE_SE_iNS9_4plusIvEENS9_8equal_toIiEEiEE10hipError_tPvRmT2_T3_T4_T5_mT6_T7_P12ihipStream_tbENKUlT_T0_E_clISt17integral_constantIbLb1EESZ_EEDaSU_SV_EUlSU_E_NS1_11comp_targetILNS1_3genE10ELNS1_11target_archE1200ELNS1_3gpuE4ELNS1_3repE0EEENS1_30default_config_static_selectorELNS0_4arch9wavefront6targetE0EEEvT1_.num_agpr, 0
	.set _ZN7rocprim17ROCPRIM_400000_NS6detail17trampoline_kernelINS0_14default_configENS1_27scan_by_key_config_selectorIiiEEZZNS1_16scan_by_key_implILNS1_25lookback_scan_determinismE0ELb0ES3_N6thrust23THRUST_200600_302600_NS6detail15normal_iteratorINS9_10device_ptrIiEEEESE_SE_iNS9_4plusIvEENS9_8equal_toIiEEiEE10hipError_tPvRmT2_T3_T4_T5_mT6_T7_P12ihipStream_tbENKUlT_T0_E_clISt17integral_constantIbLb1EESZ_EEDaSU_SV_EUlSU_E_NS1_11comp_targetILNS1_3genE10ELNS1_11target_archE1200ELNS1_3gpuE4ELNS1_3repE0EEENS1_30default_config_static_selectorELNS0_4arch9wavefront6targetE0EEEvT1_.numbered_sgpr, 0
	.set _ZN7rocprim17ROCPRIM_400000_NS6detail17trampoline_kernelINS0_14default_configENS1_27scan_by_key_config_selectorIiiEEZZNS1_16scan_by_key_implILNS1_25lookback_scan_determinismE0ELb0ES3_N6thrust23THRUST_200600_302600_NS6detail15normal_iteratorINS9_10device_ptrIiEEEESE_SE_iNS9_4plusIvEENS9_8equal_toIiEEiEE10hipError_tPvRmT2_T3_T4_T5_mT6_T7_P12ihipStream_tbENKUlT_T0_E_clISt17integral_constantIbLb1EESZ_EEDaSU_SV_EUlSU_E_NS1_11comp_targetILNS1_3genE10ELNS1_11target_archE1200ELNS1_3gpuE4ELNS1_3repE0EEENS1_30default_config_static_selectorELNS0_4arch9wavefront6targetE0EEEvT1_.num_named_barrier, 0
	.set _ZN7rocprim17ROCPRIM_400000_NS6detail17trampoline_kernelINS0_14default_configENS1_27scan_by_key_config_selectorIiiEEZZNS1_16scan_by_key_implILNS1_25lookback_scan_determinismE0ELb0ES3_N6thrust23THRUST_200600_302600_NS6detail15normal_iteratorINS9_10device_ptrIiEEEESE_SE_iNS9_4plusIvEENS9_8equal_toIiEEiEE10hipError_tPvRmT2_T3_T4_T5_mT6_T7_P12ihipStream_tbENKUlT_T0_E_clISt17integral_constantIbLb1EESZ_EEDaSU_SV_EUlSU_E_NS1_11comp_targetILNS1_3genE10ELNS1_11target_archE1200ELNS1_3gpuE4ELNS1_3repE0EEENS1_30default_config_static_selectorELNS0_4arch9wavefront6targetE0EEEvT1_.private_seg_size, 0
	.set _ZN7rocprim17ROCPRIM_400000_NS6detail17trampoline_kernelINS0_14default_configENS1_27scan_by_key_config_selectorIiiEEZZNS1_16scan_by_key_implILNS1_25lookback_scan_determinismE0ELb0ES3_N6thrust23THRUST_200600_302600_NS6detail15normal_iteratorINS9_10device_ptrIiEEEESE_SE_iNS9_4plusIvEENS9_8equal_toIiEEiEE10hipError_tPvRmT2_T3_T4_T5_mT6_T7_P12ihipStream_tbENKUlT_T0_E_clISt17integral_constantIbLb1EESZ_EEDaSU_SV_EUlSU_E_NS1_11comp_targetILNS1_3genE10ELNS1_11target_archE1200ELNS1_3gpuE4ELNS1_3repE0EEENS1_30default_config_static_selectorELNS0_4arch9wavefront6targetE0EEEvT1_.uses_vcc, 0
	.set _ZN7rocprim17ROCPRIM_400000_NS6detail17trampoline_kernelINS0_14default_configENS1_27scan_by_key_config_selectorIiiEEZZNS1_16scan_by_key_implILNS1_25lookback_scan_determinismE0ELb0ES3_N6thrust23THRUST_200600_302600_NS6detail15normal_iteratorINS9_10device_ptrIiEEEESE_SE_iNS9_4plusIvEENS9_8equal_toIiEEiEE10hipError_tPvRmT2_T3_T4_T5_mT6_T7_P12ihipStream_tbENKUlT_T0_E_clISt17integral_constantIbLb1EESZ_EEDaSU_SV_EUlSU_E_NS1_11comp_targetILNS1_3genE10ELNS1_11target_archE1200ELNS1_3gpuE4ELNS1_3repE0EEENS1_30default_config_static_selectorELNS0_4arch9wavefront6targetE0EEEvT1_.uses_flat_scratch, 0
	.set _ZN7rocprim17ROCPRIM_400000_NS6detail17trampoline_kernelINS0_14default_configENS1_27scan_by_key_config_selectorIiiEEZZNS1_16scan_by_key_implILNS1_25lookback_scan_determinismE0ELb0ES3_N6thrust23THRUST_200600_302600_NS6detail15normal_iteratorINS9_10device_ptrIiEEEESE_SE_iNS9_4plusIvEENS9_8equal_toIiEEiEE10hipError_tPvRmT2_T3_T4_T5_mT6_T7_P12ihipStream_tbENKUlT_T0_E_clISt17integral_constantIbLb1EESZ_EEDaSU_SV_EUlSU_E_NS1_11comp_targetILNS1_3genE10ELNS1_11target_archE1200ELNS1_3gpuE4ELNS1_3repE0EEENS1_30default_config_static_selectorELNS0_4arch9wavefront6targetE0EEEvT1_.has_dyn_sized_stack, 0
	.set _ZN7rocprim17ROCPRIM_400000_NS6detail17trampoline_kernelINS0_14default_configENS1_27scan_by_key_config_selectorIiiEEZZNS1_16scan_by_key_implILNS1_25lookback_scan_determinismE0ELb0ES3_N6thrust23THRUST_200600_302600_NS6detail15normal_iteratorINS9_10device_ptrIiEEEESE_SE_iNS9_4plusIvEENS9_8equal_toIiEEiEE10hipError_tPvRmT2_T3_T4_T5_mT6_T7_P12ihipStream_tbENKUlT_T0_E_clISt17integral_constantIbLb1EESZ_EEDaSU_SV_EUlSU_E_NS1_11comp_targetILNS1_3genE10ELNS1_11target_archE1200ELNS1_3gpuE4ELNS1_3repE0EEENS1_30default_config_static_selectorELNS0_4arch9wavefront6targetE0EEEvT1_.has_recursion, 0
	.set _ZN7rocprim17ROCPRIM_400000_NS6detail17trampoline_kernelINS0_14default_configENS1_27scan_by_key_config_selectorIiiEEZZNS1_16scan_by_key_implILNS1_25lookback_scan_determinismE0ELb0ES3_N6thrust23THRUST_200600_302600_NS6detail15normal_iteratorINS9_10device_ptrIiEEEESE_SE_iNS9_4plusIvEENS9_8equal_toIiEEiEE10hipError_tPvRmT2_T3_T4_T5_mT6_T7_P12ihipStream_tbENKUlT_T0_E_clISt17integral_constantIbLb1EESZ_EEDaSU_SV_EUlSU_E_NS1_11comp_targetILNS1_3genE10ELNS1_11target_archE1200ELNS1_3gpuE4ELNS1_3repE0EEENS1_30default_config_static_selectorELNS0_4arch9wavefront6targetE0EEEvT1_.has_indirect_call, 0
	.section	.AMDGPU.csdata,"",@progbits
; Kernel info:
; codeLenInByte = 0
; TotalNumSgprs: 0
; NumVgprs: 0
; ScratchSize: 0
; MemoryBound: 0
; FloatMode: 240
; IeeeMode: 1
; LDSByteSize: 0 bytes/workgroup (compile time only)
; SGPRBlocks: 0
; VGPRBlocks: 0
; NumSGPRsForWavesPerEU: 1
; NumVGPRsForWavesPerEU: 1
; NamedBarCnt: 0
; Occupancy: 16
; WaveLimiterHint : 0
; COMPUTE_PGM_RSRC2:SCRATCH_EN: 0
; COMPUTE_PGM_RSRC2:USER_SGPR: 2
; COMPUTE_PGM_RSRC2:TRAP_HANDLER: 0
; COMPUTE_PGM_RSRC2:TGID_X_EN: 1
; COMPUTE_PGM_RSRC2:TGID_Y_EN: 0
; COMPUTE_PGM_RSRC2:TGID_Z_EN: 0
; COMPUTE_PGM_RSRC2:TIDIG_COMP_CNT: 0
	.section	.text._ZN7rocprim17ROCPRIM_400000_NS6detail17trampoline_kernelINS0_14default_configENS1_27scan_by_key_config_selectorIiiEEZZNS1_16scan_by_key_implILNS1_25lookback_scan_determinismE0ELb0ES3_N6thrust23THRUST_200600_302600_NS6detail15normal_iteratorINS9_10device_ptrIiEEEESE_SE_iNS9_4plusIvEENS9_8equal_toIiEEiEE10hipError_tPvRmT2_T3_T4_T5_mT6_T7_P12ihipStream_tbENKUlT_T0_E_clISt17integral_constantIbLb1EESZ_EEDaSU_SV_EUlSU_E_NS1_11comp_targetILNS1_3genE9ELNS1_11target_archE1100ELNS1_3gpuE3ELNS1_3repE0EEENS1_30default_config_static_selectorELNS0_4arch9wavefront6targetE0EEEvT1_,"axG",@progbits,_ZN7rocprim17ROCPRIM_400000_NS6detail17trampoline_kernelINS0_14default_configENS1_27scan_by_key_config_selectorIiiEEZZNS1_16scan_by_key_implILNS1_25lookback_scan_determinismE0ELb0ES3_N6thrust23THRUST_200600_302600_NS6detail15normal_iteratorINS9_10device_ptrIiEEEESE_SE_iNS9_4plusIvEENS9_8equal_toIiEEiEE10hipError_tPvRmT2_T3_T4_T5_mT6_T7_P12ihipStream_tbENKUlT_T0_E_clISt17integral_constantIbLb1EESZ_EEDaSU_SV_EUlSU_E_NS1_11comp_targetILNS1_3genE9ELNS1_11target_archE1100ELNS1_3gpuE3ELNS1_3repE0EEENS1_30default_config_static_selectorELNS0_4arch9wavefront6targetE0EEEvT1_,comdat
	.protected	_ZN7rocprim17ROCPRIM_400000_NS6detail17trampoline_kernelINS0_14default_configENS1_27scan_by_key_config_selectorIiiEEZZNS1_16scan_by_key_implILNS1_25lookback_scan_determinismE0ELb0ES3_N6thrust23THRUST_200600_302600_NS6detail15normal_iteratorINS9_10device_ptrIiEEEESE_SE_iNS9_4plusIvEENS9_8equal_toIiEEiEE10hipError_tPvRmT2_T3_T4_T5_mT6_T7_P12ihipStream_tbENKUlT_T0_E_clISt17integral_constantIbLb1EESZ_EEDaSU_SV_EUlSU_E_NS1_11comp_targetILNS1_3genE9ELNS1_11target_archE1100ELNS1_3gpuE3ELNS1_3repE0EEENS1_30default_config_static_selectorELNS0_4arch9wavefront6targetE0EEEvT1_ ; -- Begin function _ZN7rocprim17ROCPRIM_400000_NS6detail17trampoline_kernelINS0_14default_configENS1_27scan_by_key_config_selectorIiiEEZZNS1_16scan_by_key_implILNS1_25lookback_scan_determinismE0ELb0ES3_N6thrust23THRUST_200600_302600_NS6detail15normal_iteratorINS9_10device_ptrIiEEEESE_SE_iNS9_4plusIvEENS9_8equal_toIiEEiEE10hipError_tPvRmT2_T3_T4_T5_mT6_T7_P12ihipStream_tbENKUlT_T0_E_clISt17integral_constantIbLb1EESZ_EEDaSU_SV_EUlSU_E_NS1_11comp_targetILNS1_3genE9ELNS1_11target_archE1100ELNS1_3gpuE3ELNS1_3repE0EEENS1_30default_config_static_selectorELNS0_4arch9wavefront6targetE0EEEvT1_
	.globl	_ZN7rocprim17ROCPRIM_400000_NS6detail17trampoline_kernelINS0_14default_configENS1_27scan_by_key_config_selectorIiiEEZZNS1_16scan_by_key_implILNS1_25lookback_scan_determinismE0ELb0ES3_N6thrust23THRUST_200600_302600_NS6detail15normal_iteratorINS9_10device_ptrIiEEEESE_SE_iNS9_4plusIvEENS9_8equal_toIiEEiEE10hipError_tPvRmT2_T3_T4_T5_mT6_T7_P12ihipStream_tbENKUlT_T0_E_clISt17integral_constantIbLb1EESZ_EEDaSU_SV_EUlSU_E_NS1_11comp_targetILNS1_3genE9ELNS1_11target_archE1100ELNS1_3gpuE3ELNS1_3repE0EEENS1_30default_config_static_selectorELNS0_4arch9wavefront6targetE0EEEvT1_
	.p2align	8
	.type	_ZN7rocprim17ROCPRIM_400000_NS6detail17trampoline_kernelINS0_14default_configENS1_27scan_by_key_config_selectorIiiEEZZNS1_16scan_by_key_implILNS1_25lookback_scan_determinismE0ELb0ES3_N6thrust23THRUST_200600_302600_NS6detail15normal_iteratorINS9_10device_ptrIiEEEESE_SE_iNS9_4plusIvEENS9_8equal_toIiEEiEE10hipError_tPvRmT2_T3_T4_T5_mT6_T7_P12ihipStream_tbENKUlT_T0_E_clISt17integral_constantIbLb1EESZ_EEDaSU_SV_EUlSU_E_NS1_11comp_targetILNS1_3genE9ELNS1_11target_archE1100ELNS1_3gpuE3ELNS1_3repE0EEENS1_30default_config_static_selectorELNS0_4arch9wavefront6targetE0EEEvT1_,@function
_ZN7rocprim17ROCPRIM_400000_NS6detail17trampoline_kernelINS0_14default_configENS1_27scan_by_key_config_selectorIiiEEZZNS1_16scan_by_key_implILNS1_25lookback_scan_determinismE0ELb0ES3_N6thrust23THRUST_200600_302600_NS6detail15normal_iteratorINS9_10device_ptrIiEEEESE_SE_iNS9_4plusIvEENS9_8equal_toIiEEiEE10hipError_tPvRmT2_T3_T4_T5_mT6_T7_P12ihipStream_tbENKUlT_T0_E_clISt17integral_constantIbLb1EESZ_EEDaSU_SV_EUlSU_E_NS1_11comp_targetILNS1_3genE9ELNS1_11target_archE1100ELNS1_3gpuE3ELNS1_3repE0EEENS1_30default_config_static_selectorELNS0_4arch9wavefront6targetE0EEEvT1_: ; @_ZN7rocprim17ROCPRIM_400000_NS6detail17trampoline_kernelINS0_14default_configENS1_27scan_by_key_config_selectorIiiEEZZNS1_16scan_by_key_implILNS1_25lookback_scan_determinismE0ELb0ES3_N6thrust23THRUST_200600_302600_NS6detail15normal_iteratorINS9_10device_ptrIiEEEESE_SE_iNS9_4plusIvEENS9_8equal_toIiEEiEE10hipError_tPvRmT2_T3_T4_T5_mT6_T7_P12ihipStream_tbENKUlT_T0_E_clISt17integral_constantIbLb1EESZ_EEDaSU_SV_EUlSU_E_NS1_11comp_targetILNS1_3genE9ELNS1_11target_archE1100ELNS1_3gpuE3ELNS1_3repE0EEENS1_30default_config_static_selectorELNS0_4arch9wavefront6targetE0EEEvT1_
; %bb.0:
	.section	.rodata,"a",@progbits
	.p2align	6, 0x0
	.amdhsa_kernel _ZN7rocprim17ROCPRIM_400000_NS6detail17trampoline_kernelINS0_14default_configENS1_27scan_by_key_config_selectorIiiEEZZNS1_16scan_by_key_implILNS1_25lookback_scan_determinismE0ELb0ES3_N6thrust23THRUST_200600_302600_NS6detail15normal_iteratorINS9_10device_ptrIiEEEESE_SE_iNS9_4plusIvEENS9_8equal_toIiEEiEE10hipError_tPvRmT2_T3_T4_T5_mT6_T7_P12ihipStream_tbENKUlT_T0_E_clISt17integral_constantIbLb1EESZ_EEDaSU_SV_EUlSU_E_NS1_11comp_targetILNS1_3genE9ELNS1_11target_archE1100ELNS1_3gpuE3ELNS1_3repE0EEENS1_30default_config_static_selectorELNS0_4arch9wavefront6targetE0EEEvT1_
		.amdhsa_group_segment_fixed_size 0
		.amdhsa_private_segment_fixed_size 0
		.amdhsa_kernarg_size 112
		.amdhsa_user_sgpr_count 2
		.amdhsa_user_sgpr_dispatch_ptr 0
		.amdhsa_user_sgpr_queue_ptr 0
		.amdhsa_user_sgpr_kernarg_segment_ptr 1
		.amdhsa_user_sgpr_dispatch_id 0
		.amdhsa_user_sgpr_kernarg_preload_length 0
		.amdhsa_user_sgpr_kernarg_preload_offset 0
		.amdhsa_user_sgpr_private_segment_size 0
		.amdhsa_wavefront_size32 1
		.amdhsa_uses_dynamic_stack 0
		.amdhsa_enable_private_segment 0
		.amdhsa_system_sgpr_workgroup_id_x 1
		.amdhsa_system_sgpr_workgroup_id_y 0
		.amdhsa_system_sgpr_workgroup_id_z 0
		.amdhsa_system_sgpr_workgroup_info 0
		.amdhsa_system_vgpr_workitem_id 0
		.amdhsa_next_free_vgpr 1
		.amdhsa_next_free_sgpr 1
		.amdhsa_named_barrier_count 0
		.amdhsa_reserve_vcc 0
		.amdhsa_float_round_mode_32 0
		.amdhsa_float_round_mode_16_64 0
		.amdhsa_float_denorm_mode_32 3
		.amdhsa_float_denorm_mode_16_64 3
		.amdhsa_fp16_overflow 0
		.amdhsa_memory_ordered 1
		.amdhsa_forward_progress 1
		.amdhsa_inst_pref_size 0
		.amdhsa_round_robin_scheduling 0
		.amdhsa_exception_fp_ieee_invalid_op 0
		.amdhsa_exception_fp_denorm_src 0
		.amdhsa_exception_fp_ieee_div_zero 0
		.amdhsa_exception_fp_ieee_overflow 0
		.amdhsa_exception_fp_ieee_underflow 0
		.amdhsa_exception_fp_ieee_inexact 0
		.amdhsa_exception_int_div_zero 0
	.end_amdhsa_kernel
	.section	.text._ZN7rocprim17ROCPRIM_400000_NS6detail17trampoline_kernelINS0_14default_configENS1_27scan_by_key_config_selectorIiiEEZZNS1_16scan_by_key_implILNS1_25lookback_scan_determinismE0ELb0ES3_N6thrust23THRUST_200600_302600_NS6detail15normal_iteratorINS9_10device_ptrIiEEEESE_SE_iNS9_4plusIvEENS9_8equal_toIiEEiEE10hipError_tPvRmT2_T3_T4_T5_mT6_T7_P12ihipStream_tbENKUlT_T0_E_clISt17integral_constantIbLb1EESZ_EEDaSU_SV_EUlSU_E_NS1_11comp_targetILNS1_3genE9ELNS1_11target_archE1100ELNS1_3gpuE3ELNS1_3repE0EEENS1_30default_config_static_selectorELNS0_4arch9wavefront6targetE0EEEvT1_,"axG",@progbits,_ZN7rocprim17ROCPRIM_400000_NS6detail17trampoline_kernelINS0_14default_configENS1_27scan_by_key_config_selectorIiiEEZZNS1_16scan_by_key_implILNS1_25lookback_scan_determinismE0ELb0ES3_N6thrust23THRUST_200600_302600_NS6detail15normal_iteratorINS9_10device_ptrIiEEEESE_SE_iNS9_4plusIvEENS9_8equal_toIiEEiEE10hipError_tPvRmT2_T3_T4_T5_mT6_T7_P12ihipStream_tbENKUlT_T0_E_clISt17integral_constantIbLb1EESZ_EEDaSU_SV_EUlSU_E_NS1_11comp_targetILNS1_3genE9ELNS1_11target_archE1100ELNS1_3gpuE3ELNS1_3repE0EEENS1_30default_config_static_selectorELNS0_4arch9wavefront6targetE0EEEvT1_,comdat
.Lfunc_end216:
	.size	_ZN7rocprim17ROCPRIM_400000_NS6detail17trampoline_kernelINS0_14default_configENS1_27scan_by_key_config_selectorIiiEEZZNS1_16scan_by_key_implILNS1_25lookback_scan_determinismE0ELb0ES3_N6thrust23THRUST_200600_302600_NS6detail15normal_iteratorINS9_10device_ptrIiEEEESE_SE_iNS9_4plusIvEENS9_8equal_toIiEEiEE10hipError_tPvRmT2_T3_T4_T5_mT6_T7_P12ihipStream_tbENKUlT_T0_E_clISt17integral_constantIbLb1EESZ_EEDaSU_SV_EUlSU_E_NS1_11comp_targetILNS1_3genE9ELNS1_11target_archE1100ELNS1_3gpuE3ELNS1_3repE0EEENS1_30default_config_static_selectorELNS0_4arch9wavefront6targetE0EEEvT1_, .Lfunc_end216-_ZN7rocprim17ROCPRIM_400000_NS6detail17trampoline_kernelINS0_14default_configENS1_27scan_by_key_config_selectorIiiEEZZNS1_16scan_by_key_implILNS1_25lookback_scan_determinismE0ELb0ES3_N6thrust23THRUST_200600_302600_NS6detail15normal_iteratorINS9_10device_ptrIiEEEESE_SE_iNS9_4plusIvEENS9_8equal_toIiEEiEE10hipError_tPvRmT2_T3_T4_T5_mT6_T7_P12ihipStream_tbENKUlT_T0_E_clISt17integral_constantIbLb1EESZ_EEDaSU_SV_EUlSU_E_NS1_11comp_targetILNS1_3genE9ELNS1_11target_archE1100ELNS1_3gpuE3ELNS1_3repE0EEENS1_30default_config_static_selectorELNS0_4arch9wavefront6targetE0EEEvT1_
                                        ; -- End function
	.set _ZN7rocprim17ROCPRIM_400000_NS6detail17trampoline_kernelINS0_14default_configENS1_27scan_by_key_config_selectorIiiEEZZNS1_16scan_by_key_implILNS1_25lookback_scan_determinismE0ELb0ES3_N6thrust23THRUST_200600_302600_NS6detail15normal_iteratorINS9_10device_ptrIiEEEESE_SE_iNS9_4plusIvEENS9_8equal_toIiEEiEE10hipError_tPvRmT2_T3_T4_T5_mT6_T7_P12ihipStream_tbENKUlT_T0_E_clISt17integral_constantIbLb1EESZ_EEDaSU_SV_EUlSU_E_NS1_11comp_targetILNS1_3genE9ELNS1_11target_archE1100ELNS1_3gpuE3ELNS1_3repE0EEENS1_30default_config_static_selectorELNS0_4arch9wavefront6targetE0EEEvT1_.num_vgpr, 0
	.set _ZN7rocprim17ROCPRIM_400000_NS6detail17trampoline_kernelINS0_14default_configENS1_27scan_by_key_config_selectorIiiEEZZNS1_16scan_by_key_implILNS1_25lookback_scan_determinismE0ELb0ES3_N6thrust23THRUST_200600_302600_NS6detail15normal_iteratorINS9_10device_ptrIiEEEESE_SE_iNS9_4plusIvEENS9_8equal_toIiEEiEE10hipError_tPvRmT2_T3_T4_T5_mT6_T7_P12ihipStream_tbENKUlT_T0_E_clISt17integral_constantIbLb1EESZ_EEDaSU_SV_EUlSU_E_NS1_11comp_targetILNS1_3genE9ELNS1_11target_archE1100ELNS1_3gpuE3ELNS1_3repE0EEENS1_30default_config_static_selectorELNS0_4arch9wavefront6targetE0EEEvT1_.num_agpr, 0
	.set _ZN7rocprim17ROCPRIM_400000_NS6detail17trampoline_kernelINS0_14default_configENS1_27scan_by_key_config_selectorIiiEEZZNS1_16scan_by_key_implILNS1_25lookback_scan_determinismE0ELb0ES3_N6thrust23THRUST_200600_302600_NS6detail15normal_iteratorINS9_10device_ptrIiEEEESE_SE_iNS9_4plusIvEENS9_8equal_toIiEEiEE10hipError_tPvRmT2_T3_T4_T5_mT6_T7_P12ihipStream_tbENKUlT_T0_E_clISt17integral_constantIbLb1EESZ_EEDaSU_SV_EUlSU_E_NS1_11comp_targetILNS1_3genE9ELNS1_11target_archE1100ELNS1_3gpuE3ELNS1_3repE0EEENS1_30default_config_static_selectorELNS0_4arch9wavefront6targetE0EEEvT1_.numbered_sgpr, 0
	.set _ZN7rocprim17ROCPRIM_400000_NS6detail17trampoline_kernelINS0_14default_configENS1_27scan_by_key_config_selectorIiiEEZZNS1_16scan_by_key_implILNS1_25lookback_scan_determinismE0ELb0ES3_N6thrust23THRUST_200600_302600_NS6detail15normal_iteratorINS9_10device_ptrIiEEEESE_SE_iNS9_4plusIvEENS9_8equal_toIiEEiEE10hipError_tPvRmT2_T3_T4_T5_mT6_T7_P12ihipStream_tbENKUlT_T0_E_clISt17integral_constantIbLb1EESZ_EEDaSU_SV_EUlSU_E_NS1_11comp_targetILNS1_3genE9ELNS1_11target_archE1100ELNS1_3gpuE3ELNS1_3repE0EEENS1_30default_config_static_selectorELNS0_4arch9wavefront6targetE0EEEvT1_.num_named_barrier, 0
	.set _ZN7rocprim17ROCPRIM_400000_NS6detail17trampoline_kernelINS0_14default_configENS1_27scan_by_key_config_selectorIiiEEZZNS1_16scan_by_key_implILNS1_25lookback_scan_determinismE0ELb0ES3_N6thrust23THRUST_200600_302600_NS6detail15normal_iteratorINS9_10device_ptrIiEEEESE_SE_iNS9_4plusIvEENS9_8equal_toIiEEiEE10hipError_tPvRmT2_T3_T4_T5_mT6_T7_P12ihipStream_tbENKUlT_T0_E_clISt17integral_constantIbLb1EESZ_EEDaSU_SV_EUlSU_E_NS1_11comp_targetILNS1_3genE9ELNS1_11target_archE1100ELNS1_3gpuE3ELNS1_3repE0EEENS1_30default_config_static_selectorELNS0_4arch9wavefront6targetE0EEEvT1_.private_seg_size, 0
	.set _ZN7rocprim17ROCPRIM_400000_NS6detail17trampoline_kernelINS0_14default_configENS1_27scan_by_key_config_selectorIiiEEZZNS1_16scan_by_key_implILNS1_25lookback_scan_determinismE0ELb0ES3_N6thrust23THRUST_200600_302600_NS6detail15normal_iteratorINS9_10device_ptrIiEEEESE_SE_iNS9_4plusIvEENS9_8equal_toIiEEiEE10hipError_tPvRmT2_T3_T4_T5_mT6_T7_P12ihipStream_tbENKUlT_T0_E_clISt17integral_constantIbLb1EESZ_EEDaSU_SV_EUlSU_E_NS1_11comp_targetILNS1_3genE9ELNS1_11target_archE1100ELNS1_3gpuE3ELNS1_3repE0EEENS1_30default_config_static_selectorELNS0_4arch9wavefront6targetE0EEEvT1_.uses_vcc, 0
	.set _ZN7rocprim17ROCPRIM_400000_NS6detail17trampoline_kernelINS0_14default_configENS1_27scan_by_key_config_selectorIiiEEZZNS1_16scan_by_key_implILNS1_25lookback_scan_determinismE0ELb0ES3_N6thrust23THRUST_200600_302600_NS6detail15normal_iteratorINS9_10device_ptrIiEEEESE_SE_iNS9_4plusIvEENS9_8equal_toIiEEiEE10hipError_tPvRmT2_T3_T4_T5_mT6_T7_P12ihipStream_tbENKUlT_T0_E_clISt17integral_constantIbLb1EESZ_EEDaSU_SV_EUlSU_E_NS1_11comp_targetILNS1_3genE9ELNS1_11target_archE1100ELNS1_3gpuE3ELNS1_3repE0EEENS1_30default_config_static_selectorELNS0_4arch9wavefront6targetE0EEEvT1_.uses_flat_scratch, 0
	.set _ZN7rocprim17ROCPRIM_400000_NS6detail17trampoline_kernelINS0_14default_configENS1_27scan_by_key_config_selectorIiiEEZZNS1_16scan_by_key_implILNS1_25lookback_scan_determinismE0ELb0ES3_N6thrust23THRUST_200600_302600_NS6detail15normal_iteratorINS9_10device_ptrIiEEEESE_SE_iNS9_4plusIvEENS9_8equal_toIiEEiEE10hipError_tPvRmT2_T3_T4_T5_mT6_T7_P12ihipStream_tbENKUlT_T0_E_clISt17integral_constantIbLb1EESZ_EEDaSU_SV_EUlSU_E_NS1_11comp_targetILNS1_3genE9ELNS1_11target_archE1100ELNS1_3gpuE3ELNS1_3repE0EEENS1_30default_config_static_selectorELNS0_4arch9wavefront6targetE0EEEvT1_.has_dyn_sized_stack, 0
	.set _ZN7rocprim17ROCPRIM_400000_NS6detail17trampoline_kernelINS0_14default_configENS1_27scan_by_key_config_selectorIiiEEZZNS1_16scan_by_key_implILNS1_25lookback_scan_determinismE0ELb0ES3_N6thrust23THRUST_200600_302600_NS6detail15normal_iteratorINS9_10device_ptrIiEEEESE_SE_iNS9_4plusIvEENS9_8equal_toIiEEiEE10hipError_tPvRmT2_T3_T4_T5_mT6_T7_P12ihipStream_tbENKUlT_T0_E_clISt17integral_constantIbLb1EESZ_EEDaSU_SV_EUlSU_E_NS1_11comp_targetILNS1_3genE9ELNS1_11target_archE1100ELNS1_3gpuE3ELNS1_3repE0EEENS1_30default_config_static_selectorELNS0_4arch9wavefront6targetE0EEEvT1_.has_recursion, 0
	.set _ZN7rocprim17ROCPRIM_400000_NS6detail17trampoline_kernelINS0_14default_configENS1_27scan_by_key_config_selectorIiiEEZZNS1_16scan_by_key_implILNS1_25lookback_scan_determinismE0ELb0ES3_N6thrust23THRUST_200600_302600_NS6detail15normal_iteratorINS9_10device_ptrIiEEEESE_SE_iNS9_4plusIvEENS9_8equal_toIiEEiEE10hipError_tPvRmT2_T3_T4_T5_mT6_T7_P12ihipStream_tbENKUlT_T0_E_clISt17integral_constantIbLb1EESZ_EEDaSU_SV_EUlSU_E_NS1_11comp_targetILNS1_3genE9ELNS1_11target_archE1100ELNS1_3gpuE3ELNS1_3repE0EEENS1_30default_config_static_selectorELNS0_4arch9wavefront6targetE0EEEvT1_.has_indirect_call, 0
	.section	.AMDGPU.csdata,"",@progbits
; Kernel info:
; codeLenInByte = 0
; TotalNumSgprs: 0
; NumVgprs: 0
; ScratchSize: 0
; MemoryBound: 0
; FloatMode: 240
; IeeeMode: 1
; LDSByteSize: 0 bytes/workgroup (compile time only)
; SGPRBlocks: 0
; VGPRBlocks: 0
; NumSGPRsForWavesPerEU: 1
; NumVGPRsForWavesPerEU: 1
; NamedBarCnt: 0
; Occupancy: 16
; WaveLimiterHint : 0
; COMPUTE_PGM_RSRC2:SCRATCH_EN: 0
; COMPUTE_PGM_RSRC2:USER_SGPR: 2
; COMPUTE_PGM_RSRC2:TRAP_HANDLER: 0
; COMPUTE_PGM_RSRC2:TGID_X_EN: 1
; COMPUTE_PGM_RSRC2:TGID_Y_EN: 0
; COMPUTE_PGM_RSRC2:TGID_Z_EN: 0
; COMPUTE_PGM_RSRC2:TIDIG_COMP_CNT: 0
	.section	.text._ZN7rocprim17ROCPRIM_400000_NS6detail17trampoline_kernelINS0_14default_configENS1_27scan_by_key_config_selectorIiiEEZZNS1_16scan_by_key_implILNS1_25lookback_scan_determinismE0ELb0ES3_N6thrust23THRUST_200600_302600_NS6detail15normal_iteratorINS9_10device_ptrIiEEEESE_SE_iNS9_4plusIvEENS9_8equal_toIiEEiEE10hipError_tPvRmT2_T3_T4_T5_mT6_T7_P12ihipStream_tbENKUlT_T0_E_clISt17integral_constantIbLb1EESZ_EEDaSU_SV_EUlSU_E_NS1_11comp_targetILNS1_3genE8ELNS1_11target_archE1030ELNS1_3gpuE2ELNS1_3repE0EEENS1_30default_config_static_selectorELNS0_4arch9wavefront6targetE0EEEvT1_,"axG",@progbits,_ZN7rocprim17ROCPRIM_400000_NS6detail17trampoline_kernelINS0_14default_configENS1_27scan_by_key_config_selectorIiiEEZZNS1_16scan_by_key_implILNS1_25lookback_scan_determinismE0ELb0ES3_N6thrust23THRUST_200600_302600_NS6detail15normal_iteratorINS9_10device_ptrIiEEEESE_SE_iNS9_4plusIvEENS9_8equal_toIiEEiEE10hipError_tPvRmT2_T3_T4_T5_mT6_T7_P12ihipStream_tbENKUlT_T0_E_clISt17integral_constantIbLb1EESZ_EEDaSU_SV_EUlSU_E_NS1_11comp_targetILNS1_3genE8ELNS1_11target_archE1030ELNS1_3gpuE2ELNS1_3repE0EEENS1_30default_config_static_selectorELNS0_4arch9wavefront6targetE0EEEvT1_,comdat
	.protected	_ZN7rocprim17ROCPRIM_400000_NS6detail17trampoline_kernelINS0_14default_configENS1_27scan_by_key_config_selectorIiiEEZZNS1_16scan_by_key_implILNS1_25lookback_scan_determinismE0ELb0ES3_N6thrust23THRUST_200600_302600_NS6detail15normal_iteratorINS9_10device_ptrIiEEEESE_SE_iNS9_4plusIvEENS9_8equal_toIiEEiEE10hipError_tPvRmT2_T3_T4_T5_mT6_T7_P12ihipStream_tbENKUlT_T0_E_clISt17integral_constantIbLb1EESZ_EEDaSU_SV_EUlSU_E_NS1_11comp_targetILNS1_3genE8ELNS1_11target_archE1030ELNS1_3gpuE2ELNS1_3repE0EEENS1_30default_config_static_selectorELNS0_4arch9wavefront6targetE0EEEvT1_ ; -- Begin function _ZN7rocprim17ROCPRIM_400000_NS6detail17trampoline_kernelINS0_14default_configENS1_27scan_by_key_config_selectorIiiEEZZNS1_16scan_by_key_implILNS1_25lookback_scan_determinismE0ELb0ES3_N6thrust23THRUST_200600_302600_NS6detail15normal_iteratorINS9_10device_ptrIiEEEESE_SE_iNS9_4plusIvEENS9_8equal_toIiEEiEE10hipError_tPvRmT2_T3_T4_T5_mT6_T7_P12ihipStream_tbENKUlT_T0_E_clISt17integral_constantIbLb1EESZ_EEDaSU_SV_EUlSU_E_NS1_11comp_targetILNS1_3genE8ELNS1_11target_archE1030ELNS1_3gpuE2ELNS1_3repE0EEENS1_30default_config_static_selectorELNS0_4arch9wavefront6targetE0EEEvT1_
	.globl	_ZN7rocprim17ROCPRIM_400000_NS6detail17trampoline_kernelINS0_14default_configENS1_27scan_by_key_config_selectorIiiEEZZNS1_16scan_by_key_implILNS1_25lookback_scan_determinismE0ELb0ES3_N6thrust23THRUST_200600_302600_NS6detail15normal_iteratorINS9_10device_ptrIiEEEESE_SE_iNS9_4plusIvEENS9_8equal_toIiEEiEE10hipError_tPvRmT2_T3_T4_T5_mT6_T7_P12ihipStream_tbENKUlT_T0_E_clISt17integral_constantIbLb1EESZ_EEDaSU_SV_EUlSU_E_NS1_11comp_targetILNS1_3genE8ELNS1_11target_archE1030ELNS1_3gpuE2ELNS1_3repE0EEENS1_30default_config_static_selectorELNS0_4arch9wavefront6targetE0EEEvT1_
	.p2align	8
	.type	_ZN7rocprim17ROCPRIM_400000_NS6detail17trampoline_kernelINS0_14default_configENS1_27scan_by_key_config_selectorIiiEEZZNS1_16scan_by_key_implILNS1_25lookback_scan_determinismE0ELb0ES3_N6thrust23THRUST_200600_302600_NS6detail15normal_iteratorINS9_10device_ptrIiEEEESE_SE_iNS9_4plusIvEENS9_8equal_toIiEEiEE10hipError_tPvRmT2_T3_T4_T5_mT6_T7_P12ihipStream_tbENKUlT_T0_E_clISt17integral_constantIbLb1EESZ_EEDaSU_SV_EUlSU_E_NS1_11comp_targetILNS1_3genE8ELNS1_11target_archE1030ELNS1_3gpuE2ELNS1_3repE0EEENS1_30default_config_static_selectorELNS0_4arch9wavefront6targetE0EEEvT1_,@function
_ZN7rocprim17ROCPRIM_400000_NS6detail17trampoline_kernelINS0_14default_configENS1_27scan_by_key_config_selectorIiiEEZZNS1_16scan_by_key_implILNS1_25lookback_scan_determinismE0ELb0ES3_N6thrust23THRUST_200600_302600_NS6detail15normal_iteratorINS9_10device_ptrIiEEEESE_SE_iNS9_4plusIvEENS9_8equal_toIiEEiEE10hipError_tPvRmT2_T3_T4_T5_mT6_T7_P12ihipStream_tbENKUlT_T0_E_clISt17integral_constantIbLb1EESZ_EEDaSU_SV_EUlSU_E_NS1_11comp_targetILNS1_3genE8ELNS1_11target_archE1030ELNS1_3gpuE2ELNS1_3repE0EEENS1_30default_config_static_selectorELNS0_4arch9wavefront6targetE0EEEvT1_: ; @_ZN7rocprim17ROCPRIM_400000_NS6detail17trampoline_kernelINS0_14default_configENS1_27scan_by_key_config_selectorIiiEEZZNS1_16scan_by_key_implILNS1_25lookback_scan_determinismE0ELb0ES3_N6thrust23THRUST_200600_302600_NS6detail15normal_iteratorINS9_10device_ptrIiEEEESE_SE_iNS9_4plusIvEENS9_8equal_toIiEEiEE10hipError_tPvRmT2_T3_T4_T5_mT6_T7_P12ihipStream_tbENKUlT_T0_E_clISt17integral_constantIbLb1EESZ_EEDaSU_SV_EUlSU_E_NS1_11comp_targetILNS1_3genE8ELNS1_11target_archE1030ELNS1_3gpuE2ELNS1_3repE0EEENS1_30default_config_static_selectorELNS0_4arch9wavefront6targetE0EEEvT1_
; %bb.0:
	.section	.rodata,"a",@progbits
	.p2align	6, 0x0
	.amdhsa_kernel _ZN7rocprim17ROCPRIM_400000_NS6detail17trampoline_kernelINS0_14default_configENS1_27scan_by_key_config_selectorIiiEEZZNS1_16scan_by_key_implILNS1_25lookback_scan_determinismE0ELb0ES3_N6thrust23THRUST_200600_302600_NS6detail15normal_iteratorINS9_10device_ptrIiEEEESE_SE_iNS9_4plusIvEENS9_8equal_toIiEEiEE10hipError_tPvRmT2_T3_T4_T5_mT6_T7_P12ihipStream_tbENKUlT_T0_E_clISt17integral_constantIbLb1EESZ_EEDaSU_SV_EUlSU_E_NS1_11comp_targetILNS1_3genE8ELNS1_11target_archE1030ELNS1_3gpuE2ELNS1_3repE0EEENS1_30default_config_static_selectorELNS0_4arch9wavefront6targetE0EEEvT1_
		.amdhsa_group_segment_fixed_size 0
		.amdhsa_private_segment_fixed_size 0
		.amdhsa_kernarg_size 112
		.amdhsa_user_sgpr_count 2
		.amdhsa_user_sgpr_dispatch_ptr 0
		.amdhsa_user_sgpr_queue_ptr 0
		.amdhsa_user_sgpr_kernarg_segment_ptr 1
		.amdhsa_user_sgpr_dispatch_id 0
		.amdhsa_user_sgpr_kernarg_preload_length 0
		.amdhsa_user_sgpr_kernarg_preload_offset 0
		.amdhsa_user_sgpr_private_segment_size 0
		.amdhsa_wavefront_size32 1
		.amdhsa_uses_dynamic_stack 0
		.amdhsa_enable_private_segment 0
		.amdhsa_system_sgpr_workgroup_id_x 1
		.amdhsa_system_sgpr_workgroup_id_y 0
		.amdhsa_system_sgpr_workgroup_id_z 0
		.amdhsa_system_sgpr_workgroup_info 0
		.amdhsa_system_vgpr_workitem_id 0
		.amdhsa_next_free_vgpr 1
		.amdhsa_next_free_sgpr 1
		.amdhsa_named_barrier_count 0
		.amdhsa_reserve_vcc 0
		.amdhsa_float_round_mode_32 0
		.amdhsa_float_round_mode_16_64 0
		.amdhsa_float_denorm_mode_32 3
		.amdhsa_float_denorm_mode_16_64 3
		.amdhsa_fp16_overflow 0
		.amdhsa_memory_ordered 1
		.amdhsa_forward_progress 1
		.amdhsa_inst_pref_size 0
		.amdhsa_round_robin_scheduling 0
		.amdhsa_exception_fp_ieee_invalid_op 0
		.amdhsa_exception_fp_denorm_src 0
		.amdhsa_exception_fp_ieee_div_zero 0
		.amdhsa_exception_fp_ieee_overflow 0
		.amdhsa_exception_fp_ieee_underflow 0
		.amdhsa_exception_fp_ieee_inexact 0
		.amdhsa_exception_int_div_zero 0
	.end_amdhsa_kernel
	.section	.text._ZN7rocprim17ROCPRIM_400000_NS6detail17trampoline_kernelINS0_14default_configENS1_27scan_by_key_config_selectorIiiEEZZNS1_16scan_by_key_implILNS1_25lookback_scan_determinismE0ELb0ES3_N6thrust23THRUST_200600_302600_NS6detail15normal_iteratorINS9_10device_ptrIiEEEESE_SE_iNS9_4plusIvEENS9_8equal_toIiEEiEE10hipError_tPvRmT2_T3_T4_T5_mT6_T7_P12ihipStream_tbENKUlT_T0_E_clISt17integral_constantIbLb1EESZ_EEDaSU_SV_EUlSU_E_NS1_11comp_targetILNS1_3genE8ELNS1_11target_archE1030ELNS1_3gpuE2ELNS1_3repE0EEENS1_30default_config_static_selectorELNS0_4arch9wavefront6targetE0EEEvT1_,"axG",@progbits,_ZN7rocprim17ROCPRIM_400000_NS6detail17trampoline_kernelINS0_14default_configENS1_27scan_by_key_config_selectorIiiEEZZNS1_16scan_by_key_implILNS1_25lookback_scan_determinismE0ELb0ES3_N6thrust23THRUST_200600_302600_NS6detail15normal_iteratorINS9_10device_ptrIiEEEESE_SE_iNS9_4plusIvEENS9_8equal_toIiEEiEE10hipError_tPvRmT2_T3_T4_T5_mT6_T7_P12ihipStream_tbENKUlT_T0_E_clISt17integral_constantIbLb1EESZ_EEDaSU_SV_EUlSU_E_NS1_11comp_targetILNS1_3genE8ELNS1_11target_archE1030ELNS1_3gpuE2ELNS1_3repE0EEENS1_30default_config_static_selectorELNS0_4arch9wavefront6targetE0EEEvT1_,comdat
.Lfunc_end217:
	.size	_ZN7rocprim17ROCPRIM_400000_NS6detail17trampoline_kernelINS0_14default_configENS1_27scan_by_key_config_selectorIiiEEZZNS1_16scan_by_key_implILNS1_25lookback_scan_determinismE0ELb0ES3_N6thrust23THRUST_200600_302600_NS6detail15normal_iteratorINS9_10device_ptrIiEEEESE_SE_iNS9_4plusIvEENS9_8equal_toIiEEiEE10hipError_tPvRmT2_T3_T4_T5_mT6_T7_P12ihipStream_tbENKUlT_T0_E_clISt17integral_constantIbLb1EESZ_EEDaSU_SV_EUlSU_E_NS1_11comp_targetILNS1_3genE8ELNS1_11target_archE1030ELNS1_3gpuE2ELNS1_3repE0EEENS1_30default_config_static_selectorELNS0_4arch9wavefront6targetE0EEEvT1_, .Lfunc_end217-_ZN7rocprim17ROCPRIM_400000_NS6detail17trampoline_kernelINS0_14default_configENS1_27scan_by_key_config_selectorIiiEEZZNS1_16scan_by_key_implILNS1_25lookback_scan_determinismE0ELb0ES3_N6thrust23THRUST_200600_302600_NS6detail15normal_iteratorINS9_10device_ptrIiEEEESE_SE_iNS9_4plusIvEENS9_8equal_toIiEEiEE10hipError_tPvRmT2_T3_T4_T5_mT6_T7_P12ihipStream_tbENKUlT_T0_E_clISt17integral_constantIbLb1EESZ_EEDaSU_SV_EUlSU_E_NS1_11comp_targetILNS1_3genE8ELNS1_11target_archE1030ELNS1_3gpuE2ELNS1_3repE0EEENS1_30default_config_static_selectorELNS0_4arch9wavefront6targetE0EEEvT1_
                                        ; -- End function
	.set _ZN7rocprim17ROCPRIM_400000_NS6detail17trampoline_kernelINS0_14default_configENS1_27scan_by_key_config_selectorIiiEEZZNS1_16scan_by_key_implILNS1_25lookback_scan_determinismE0ELb0ES3_N6thrust23THRUST_200600_302600_NS6detail15normal_iteratorINS9_10device_ptrIiEEEESE_SE_iNS9_4plusIvEENS9_8equal_toIiEEiEE10hipError_tPvRmT2_T3_T4_T5_mT6_T7_P12ihipStream_tbENKUlT_T0_E_clISt17integral_constantIbLb1EESZ_EEDaSU_SV_EUlSU_E_NS1_11comp_targetILNS1_3genE8ELNS1_11target_archE1030ELNS1_3gpuE2ELNS1_3repE0EEENS1_30default_config_static_selectorELNS0_4arch9wavefront6targetE0EEEvT1_.num_vgpr, 0
	.set _ZN7rocprim17ROCPRIM_400000_NS6detail17trampoline_kernelINS0_14default_configENS1_27scan_by_key_config_selectorIiiEEZZNS1_16scan_by_key_implILNS1_25lookback_scan_determinismE0ELb0ES3_N6thrust23THRUST_200600_302600_NS6detail15normal_iteratorINS9_10device_ptrIiEEEESE_SE_iNS9_4plusIvEENS9_8equal_toIiEEiEE10hipError_tPvRmT2_T3_T4_T5_mT6_T7_P12ihipStream_tbENKUlT_T0_E_clISt17integral_constantIbLb1EESZ_EEDaSU_SV_EUlSU_E_NS1_11comp_targetILNS1_3genE8ELNS1_11target_archE1030ELNS1_3gpuE2ELNS1_3repE0EEENS1_30default_config_static_selectorELNS0_4arch9wavefront6targetE0EEEvT1_.num_agpr, 0
	.set _ZN7rocprim17ROCPRIM_400000_NS6detail17trampoline_kernelINS0_14default_configENS1_27scan_by_key_config_selectorIiiEEZZNS1_16scan_by_key_implILNS1_25lookback_scan_determinismE0ELb0ES3_N6thrust23THRUST_200600_302600_NS6detail15normal_iteratorINS9_10device_ptrIiEEEESE_SE_iNS9_4plusIvEENS9_8equal_toIiEEiEE10hipError_tPvRmT2_T3_T4_T5_mT6_T7_P12ihipStream_tbENKUlT_T0_E_clISt17integral_constantIbLb1EESZ_EEDaSU_SV_EUlSU_E_NS1_11comp_targetILNS1_3genE8ELNS1_11target_archE1030ELNS1_3gpuE2ELNS1_3repE0EEENS1_30default_config_static_selectorELNS0_4arch9wavefront6targetE0EEEvT1_.numbered_sgpr, 0
	.set _ZN7rocprim17ROCPRIM_400000_NS6detail17trampoline_kernelINS0_14default_configENS1_27scan_by_key_config_selectorIiiEEZZNS1_16scan_by_key_implILNS1_25lookback_scan_determinismE0ELb0ES3_N6thrust23THRUST_200600_302600_NS6detail15normal_iteratorINS9_10device_ptrIiEEEESE_SE_iNS9_4plusIvEENS9_8equal_toIiEEiEE10hipError_tPvRmT2_T3_T4_T5_mT6_T7_P12ihipStream_tbENKUlT_T0_E_clISt17integral_constantIbLb1EESZ_EEDaSU_SV_EUlSU_E_NS1_11comp_targetILNS1_3genE8ELNS1_11target_archE1030ELNS1_3gpuE2ELNS1_3repE0EEENS1_30default_config_static_selectorELNS0_4arch9wavefront6targetE0EEEvT1_.num_named_barrier, 0
	.set _ZN7rocprim17ROCPRIM_400000_NS6detail17trampoline_kernelINS0_14default_configENS1_27scan_by_key_config_selectorIiiEEZZNS1_16scan_by_key_implILNS1_25lookback_scan_determinismE0ELb0ES3_N6thrust23THRUST_200600_302600_NS6detail15normal_iteratorINS9_10device_ptrIiEEEESE_SE_iNS9_4plusIvEENS9_8equal_toIiEEiEE10hipError_tPvRmT2_T3_T4_T5_mT6_T7_P12ihipStream_tbENKUlT_T0_E_clISt17integral_constantIbLb1EESZ_EEDaSU_SV_EUlSU_E_NS1_11comp_targetILNS1_3genE8ELNS1_11target_archE1030ELNS1_3gpuE2ELNS1_3repE0EEENS1_30default_config_static_selectorELNS0_4arch9wavefront6targetE0EEEvT1_.private_seg_size, 0
	.set _ZN7rocprim17ROCPRIM_400000_NS6detail17trampoline_kernelINS0_14default_configENS1_27scan_by_key_config_selectorIiiEEZZNS1_16scan_by_key_implILNS1_25lookback_scan_determinismE0ELb0ES3_N6thrust23THRUST_200600_302600_NS6detail15normal_iteratorINS9_10device_ptrIiEEEESE_SE_iNS9_4plusIvEENS9_8equal_toIiEEiEE10hipError_tPvRmT2_T3_T4_T5_mT6_T7_P12ihipStream_tbENKUlT_T0_E_clISt17integral_constantIbLb1EESZ_EEDaSU_SV_EUlSU_E_NS1_11comp_targetILNS1_3genE8ELNS1_11target_archE1030ELNS1_3gpuE2ELNS1_3repE0EEENS1_30default_config_static_selectorELNS0_4arch9wavefront6targetE0EEEvT1_.uses_vcc, 0
	.set _ZN7rocprim17ROCPRIM_400000_NS6detail17trampoline_kernelINS0_14default_configENS1_27scan_by_key_config_selectorIiiEEZZNS1_16scan_by_key_implILNS1_25lookback_scan_determinismE0ELb0ES3_N6thrust23THRUST_200600_302600_NS6detail15normal_iteratorINS9_10device_ptrIiEEEESE_SE_iNS9_4plusIvEENS9_8equal_toIiEEiEE10hipError_tPvRmT2_T3_T4_T5_mT6_T7_P12ihipStream_tbENKUlT_T0_E_clISt17integral_constantIbLb1EESZ_EEDaSU_SV_EUlSU_E_NS1_11comp_targetILNS1_3genE8ELNS1_11target_archE1030ELNS1_3gpuE2ELNS1_3repE0EEENS1_30default_config_static_selectorELNS0_4arch9wavefront6targetE0EEEvT1_.uses_flat_scratch, 0
	.set _ZN7rocprim17ROCPRIM_400000_NS6detail17trampoline_kernelINS0_14default_configENS1_27scan_by_key_config_selectorIiiEEZZNS1_16scan_by_key_implILNS1_25lookback_scan_determinismE0ELb0ES3_N6thrust23THRUST_200600_302600_NS6detail15normal_iteratorINS9_10device_ptrIiEEEESE_SE_iNS9_4plusIvEENS9_8equal_toIiEEiEE10hipError_tPvRmT2_T3_T4_T5_mT6_T7_P12ihipStream_tbENKUlT_T0_E_clISt17integral_constantIbLb1EESZ_EEDaSU_SV_EUlSU_E_NS1_11comp_targetILNS1_3genE8ELNS1_11target_archE1030ELNS1_3gpuE2ELNS1_3repE0EEENS1_30default_config_static_selectorELNS0_4arch9wavefront6targetE0EEEvT1_.has_dyn_sized_stack, 0
	.set _ZN7rocprim17ROCPRIM_400000_NS6detail17trampoline_kernelINS0_14default_configENS1_27scan_by_key_config_selectorIiiEEZZNS1_16scan_by_key_implILNS1_25lookback_scan_determinismE0ELb0ES3_N6thrust23THRUST_200600_302600_NS6detail15normal_iteratorINS9_10device_ptrIiEEEESE_SE_iNS9_4plusIvEENS9_8equal_toIiEEiEE10hipError_tPvRmT2_T3_T4_T5_mT6_T7_P12ihipStream_tbENKUlT_T0_E_clISt17integral_constantIbLb1EESZ_EEDaSU_SV_EUlSU_E_NS1_11comp_targetILNS1_3genE8ELNS1_11target_archE1030ELNS1_3gpuE2ELNS1_3repE0EEENS1_30default_config_static_selectorELNS0_4arch9wavefront6targetE0EEEvT1_.has_recursion, 0
	.set _ZN7rocprim17ROCPRIM_400000_NS6detail17trampoline_kernelINS0_14default_configENS1_27scan_by_key_config_selectorIiiEEZZNS1_16scan_by_key_implILNS1_25lookback_scan_determinismE0ELb0ES3_N6thrust23THRUST_200600_302600_NS6detail15normal_iteratorINS9_10device_ptrIiEEEESE_SE_iNS9_4plusIvEENS9_8equal_toIiEEiEE10hipError_tPvRmT2_T3_T4_T5_mT6_T7_P12ihipStream_tbENKUlT_T0_E_clISt17integral_constantIbLb1EESZ_EEDaSU_SV_EUlSU_E_NS1_11comp_targetILNS1_3genE8ELNS1_11target_archE1030ELNS1_3gpuE2ELNS1_3repE0EEENS1_30default_config_static_selectorELNS0_4arch9wavefront6targetE0EEEvT1_.has_indirect_call, 0
	.section	.AMDGPU.csdata,"",@progbits
; Kernel info:
; codeLenInByte = 0
; TotalNumSgprs: 0
; NumVgprs: 0
; ScratchSize: 0
; MemoryBound: 0
; FloatMode: 240
; IeeeMode: 1
; LDSByteSize: 0 bytes/workgroup (compile time only)
; SGPRBlocks: 0
; VGPRBlocks: 0
; NumSGPRsForWavesPerEU: 1
; NumVGPRsForWavesPerEU: 1
; NamedBarCnt: 0
; Occupancy: 16
; WaveLimiterHint : 0
; COMPUTE_PGM_RSRC2:SCRATCH_EN: 0
; COMPUTE_PGM_RSRC2:USER_SGPR: 2
; COMPUTE_PGM_RSRC2:TRAP_HANDLER: 0
; COMPUTE_PGM_RSRC2:TGID_X_EN: 1
; COMPUTE_PGM_RSRC2:TGID_Y_EN: 0
; COMPUTE_PGM_RSRC2:TGID_Z_EN: 0
; COMPUTE_PGM_RSRC2:TIDIG_COMP_CNT: 0
	.section	.text._ZN7rocprim17ROCPRIM_400000_NS6detail17trampoline_kernelINS0_14default_configENS1_27scan_by_key_config_selectorIiiEEZZNS1_16scan_by_key_implILNS1_25lookback_scan_determinismE0ELb0ES3_N6thrust23THRUST_200600_302600_NS6detail15normal_iteratorINS9_10device_ptrIiEEEESE_SE_iNS9_4plusIvEENS9_8equal_toIiEEiEE10hipError_tPvRmT2_T3_T4_T5_mT6_T7_P12ihipStream_tbENKUlT_T0_E_clISt17integral_constantIbLb1EESY_IbLb0EEEEDaSU_SV_EUlSU_E_NS1_11comp_targetILNS1_3genE0ELNS1_11target_archE4294967295ELNS1_3gpuE0ELNS1_3repE0EEENS1_30default_config_static_selectorELNS0_4arch9wavefront6targetE0EEEvT1_,"axG",@progbits,_ZN7rocprim17ROCPRIM_400000_NS6detail17trampoline_kernelINS0_14default_configENS1_27scan_by_key_config_selectorIiiEEZZNS1_16scan_by_key_implILNS1_25lookback_scan_determinismE0ELb0ES3_N6thrust23THRUST_200600_302600_NS6detail15normal_iteratorINS9_10device_ptrIiEEEESE_SE_iNS9_4plusIvEENS9_8equal_toIiEEiEE10hipError_tPvRmT2_T3_T4_T5_mT6_T7_P12ihipStream_tbENKUlT_T0_E_clISt17integral_constantIbLb1EESY_IbLb0EEEEDaSU_SV_EUlSU_E_NS1_11comp_targetILNS1_3genE0ELNS1_11target_archE4294967295ELNS1_3gpuE0ELNS1_3repE0EEENS1_30default_config_static_selectorELNS0_4arch9wavefront6targetE0EEEvT1_,comdat
	.protected	_ZN7rocprim17ROCPRIM_400000_NS6detail17trampoline_kernelINS0_14default_configENS1_27scan_by_key_config_selectorIiiEEZZNS1_16scan_by_key_implILNS1_25lookback_scan_determinismE0ELb0ES3_N6thrust23THRUST_200600_302600_NS6detail15normal_iteratorINS9_10device_ptrIiEEEESE_SE_iNS9_4plusIvEENS9_8equal_toIiEEiEE10hipError_tPvRmT2_T3_T4_T5_mT6_T7_P12ihipStream_tbENKUlT_T0_E_clISt17integral_constantIbLb1EESY_IbLb0EEEEDaSU_SV_EUlSU_E_NS1_11comp_targetILNS1_3genE0ELNS1_11target_archE4294967295ELNS1_3gpuE0ELNS1_3repE0EEENS1_30default_config_static_selectorELNS0_4arch9wavefront6targetE0EEEvT1_ ; -- Begin function _ZN7rocprim17ROCPRIM_400000_NS6detail17trampoline_kernelINS0_14default_configENS1_27scan_by_key_config_selectorIiiEEZZNS1_16scan_by_key_implILNS1_25lookback_scan_determinismE0ELb0ES3_N6thrust23THRUST_200600_302600_NS6detail15normal_iteratorINS9_10device_ptrIiEEEESE_SE_iNS9_4plusIvEENS9_8equal_toIiEEiEE10hipError_tPvRmT2_T3_T4_T5_mT6_T7_P12ihipStream_tbENKUlT_T0_E_clISt17integral_constantIbLb1EESY_IbLb0EEEEDaSU_SV_EUlSU_E_NS1_11comp_targetILNS1_3genE0ELNS1_11target_archE4294967295ELNS1_3gpuE0ELNS1_3repE0EEENS1_30default_config_static_selectorELNS0_4arch9wavefront6targetE0EEEvT1_
	.globl	_ZN7rocprim17ROCPRIM_400000_NS6detail17trampoline_kernelINS0_14default_configENS1_27scan_by_key_config_selectorIiiEEZZNS1_16scan_by_key_implILNS1_25lookback_scan_determinismE0ELb0ES3_N6thrust23THRUST_200600_302600_NS6detail15normal_iteratorINS9_10device_ptrIiEEEESE_SE_iNS9_4plusIvEENS9_8equal_toIiEEiEE10hipError_tPvRmT2_T3_T4_T5_mT6_T7_P12ihipStream_tbENKUlT_T0_E_clISt17integral_constantIbLb1EESY_IbLb0EEEEDaSU_SV_EUlSU_E_NS1_11comp_targetILNS1_3genE0ELNS1_11target_archE4294967295ELNS1_3gpuE0ELNS1_3repE0EEENS1_30default_config_static_selectorELNS0_4arch9wavefront6targetE0EEEvT1_
	.p2align	8
	.type	_ZN7rocprim17ROCPRIM_400000_NS6detail17trampoline_kernelINS0_14default_configENS1_27scan_by_key_config_selectorIiiEEZZNS1_16scan_by_key_implILNS1_25lookback_scan_determinismE0ELb0ES3_N6thrust23THRUST_200600_302600_NS6detail15normal_iteratorINS9_10device_ptrIiEEEESE_SE_iNS9_4plusIvEENS9_8equal_toIiEEiEE10hipError_tPvRmT2_T3_T4_T5_mT6_T7_P12ihipStream_tbENKUlT_T0_E_clISt17integral_constantIbLb1EESY_IbLb0EEEEDaSU_SV_EUlSU_E_NS1_11comp_targetILNS1_3genE0ELNS1_11target_archE4294967295ELNS1_3gpuE0ELNS1_3repE0EEENS1_30default_config_static_selectorELNS0_4arch9wavefront6targetE0EEEvT1_,@function
_ZN7rocprim17ROCPRIM_400000_NS6detail17trampoline_kernelINS0_14default_configENS1_27scan_by_key_config_selectorIiiEEZZNS1_16scan_by_key_implILNS1_25lookback_scan_determinismE0ELb0ES3_N6thrust23THRUST_200600_302600_NS6detail15normal_iteratorINS9_10device_ptrIiEEEESE_SE_iNS9_4plusIvEENS9_8equal_toIiEEiEE10hipError_tPvRmT2_T3_T4_T5_mT6_T7_P12ihipStream_tbENKUlT_T0_E_clISt17integral_constantIbLb1EESY_IbLb0EEEEDaSU_SV_EUlSU_E_NS1_11comp_targetILNS1_3genE0ELNS1_11target_archE4294967295ELNS1_3gpuE0ELNS1_3repE0EEENS1_30default_config_static_selectorELNS0_4arch9wavefront6targetE0EEEvT1_: ; @_ZN7rocprim17ROCPRIM_400000_NS6detail17trampoline_kernelINS0_14default_configENS1_27scan_by_key_config_selectorIiiEEZZNS1_16scan_by_key_implILNS1_25lookback_scan_determinismE0ELb0ES3_N6thrust23THRUST_200600_302600_NS6detail15normal_iteratorINS9_10device_ptrIiEEEESE_SE_iNS9_4plusIvEENS9_8equal_toIiEEiEE10hipError_tPvRmT2_T3_T4_T5_mT6_T7_P12ihipStream_tbENKUlT_T0_E_clISt17integral_constantIbLb1EESY_IbLb0EEEEDaSU_SV_EUlSU_E_NS1_11comp_targetILNS1_3genE0ELNS1_11target_archE4294967295ELNS1_3gpuE0ELNS1_3repE0EEENS1_30default_config_static_selectorELNS0_4arch9wavefront6targetE0EEEvT1_
; %bb.0:
	s_endpgm
	.section	.rodata,"a",@progbits
	.p2align	6, 0x0
	.amdhsa_kernel _ZN7rocprim17ROCPRIM_400000_NS6detail17trampoline_kernelINS0_14default_configENS1_27scan_by_key_config_selectorIiiEEZZNS1_16scan_by_key_implILNS1_25lookback_scan_determinismE0ELb0ES3_N6thrust23THRUST_200600_302600_NS6detail15normal_iteratorINS9_10device_ptrIiEEEESE_SE_iNS9_4plusIvEENS9_8equal_toIiEEiEE10hipError_tPvRmT2_T3_T4_T5_mT6_T7_P12ihipStream_tbENKUlT_T0_E_clISt17integral_constantIbLb1EESY_IbLb0EEEEDaSU_SV_EUlSU_E_NS1_11comp_targetILNS1_3genE0ELNS1_11target_archE4294967295ELNS1_3gpuE0ELNS1_3repE0EEENS1_30default_config_static_selectorELNS0_4arch9wavefront6targetE0EEEvT1_
		.amdhsa_group_segment_fixed_size 0
		.amdhsa_private_segment_fixed_size 0
		.amdhsa_kernarg_size 112
		.amdhsa_user_sgpr_count 2
		.amdhsa_user_sgpr_dispatch_ptr 0
		.amdhsa_user_sgpr_queue_ptr 0
		.amdhsa_user_sgpr_kernarg_segment_ptr 1
		.amdhsa_user_sgpr_dispatch_id 0
		.amdhsa_user_sgpr_kernarg_preload_length 0
		.amdhsa_user_sgpr_kernarg_preload_offset 0
		.amdhsa_user_sgpr_private_segment_size 0
		.amdhsa_wavefront_size32 1
		.amdhsa_uses_dynamic_stack 0
		.amdhsa_enable_private_segment 0
		.amdhsa_system_sgpr_workgroup_id_x 1
		.amdhsa_system_sgpr_workgroup_id_y 0
		.amdhsa_system_sgpr_workgroup_id_z 0
		.amdhsa_system_sgpr_workgroup_info 0
		.amdhsa_system_vgpr_workitem_id 0
		.amdhsa_next_free_vgpr 1
		.amdhsa_next_free_sgpr 1
		.amdhsa_named_barrier_count 0
		.amdhsa_reserve_vcc 0
		.amdhsa_float_round_mode_32 0
		.amdhsa_float_round_mode_16_64 0
		.amdhsa_float_denorm_mode_32 3
		.amdhsa_float_denorm_mode_16_64 3
		.amdhsa_fp16_overflow 0
		.amdhsa_memory_ordered 1
		.amdhsa_forward_progress 1
		.amdhsa_inst_pref_size 1
		.amdhsa_round_robin_scheduling 0
		.amdhsa_exception_fp_ieee_invalid_op 0
		.amdhsa_exception_fp_denorm_src 0
		.amdhsa_exception_fp_ieee_div_zero 0
		.amdhsa_exception_fp_ieee_overflow 0
		.amdhsa_exception_fp_ieee_underflow 0
		.amdhsa_exception_fp_ieee_inexact 0
		.amdhsa_exception_int_div_zero 0
	.end_amdhsa_kernel
	.section	.text._ZN7rocprim17ROCPRIM_400000_NS6detail17trampoline_kernelINS0_14default_configENS1_27scan_by_key_config_selectorIiiEEZZNS1_16scan_by_key_implILNS1_25lookback_scan_determinismE0ELb0ES3_N6thrust23THRUST_200600_302600_NS6detail15normal_iteratorINS9_10device_ptrIiEEEESE_SE_iNS9_4plusIvEENS9_8equal_toIiEEiEE10hipError_tPvRmT2_T3_T4_T5_mT6_T7_P12ihipStream_tbENKUlT_T0_E_clISt17integral_constantIbLb1EESY_IbLb0EEEEDaSU_SV_EUlSU_E_NS1_11comp_targetILNS1_3genE0ELNS1_11target_archE4294967295ELNS1_3gpuE0ELNS1_3repE0EEENS1_30default_config_static_selectorELNS0_4arch9wavefront6targetE0EEEvT1_,"axG",@progbits,_ZN7rocprim17ROCPRIM_400000_NS6detail17trampoline_kernelINS0_14default_configENS1_27scan_by_key_config_selectorIiiEEZZNS1_16scan_by_key_implILNS1_25lookback_scan_determinismE0ELb0ES3_N6thrust23THRUST_200600_302600_NS6detail15normal_iteratorINS9_10device_ptrIiEEEESE_SE_iNS9_4plusIvEENS9_8equal_toIiEEiEE10hipError_tPvRmT2_T3_T4_T5_mT6_T7_P12ihipStream_tbENKUlT_T0_E_clISt17integral_constantIbLb1EESY_IbLb0EEEEDaSU_SV_EUlSU_E_NS1_11comp_targetILNS1_3genE0ELNS1_11target_archE4294967295ELNS1_3gpuE0ELNS1_3repE0EEENS1_30default_config_static_selectorELNS0_4arch9wavefront6targetE0EEEvT1_,comdat
.Lfunc_end218:
	.size	_ZN7rocprim17ROCPRIM_400000_NS6detail17trampoline_kernelINS0_14default_configENS1_27scan_by_key_config_selectorIiiEEZZNS1_16scan_by_key_implILNS1_25lookback_scan_determinismE0ELb0ES3_N6thrust23THRUST_200600_302600_NS6detail15normal_iteratorINS9_10device_ptrIiEEEESE_SE_iNS9_4plusIvEENS9_8equal_toIiEEiEE10hipError_tPvRmT2_T3_T4_T5_mT6_T7_P12ihipStream_tbENKUlT_T0_E_clISt17integral_constantIbLb1EESY_IbLb0EEEEDaSU_SV_EUlSU_E_NS1_11comp_targetILNS1_3genE0ELNS1_11target_archE4294967295ELNS1_3gpuE0ELNS1_3repE0EEENS1_30default_config_static_selectorELNS0_4arch9wavefront6targetE0EEEvT1_, .Lfunc_end218-_ZN7rocprim17ROCPRIM_400000_NS6detail17trampoline_kernelINS0_14default_configENS1_27scan_by_key_config_selectorIiiEEZZNS1_16scan_by_key_implILNS1_25lookback_scan_determinismE0ELb0ES3_N6thrust23THRUST_200600_302600_NS6detail15normal_iteratorINS9_10device_ptrIiEEEESE_SE_iNS9_4plusIvEENS9_8equal_toIiEEiEE10hipError_tPvRmT2_T3_T4_T5_mT6_T7_P12ihipStream_tbENKUlT_T0_E_clISt17integral_constantIbLb1EESY_IbLb0EEEEDaSU_SV_EUlSU_E_NS1_11comp_targetILNS1_3genE0ELNS1_11target_archE4294967295ELNS1_3gpuE0ELNS1_3repE0EEENS1_30default_config_static_selectorELNS0_4arch9wavefront6targetE0EEEvT1_
                                        ; -- End function
	.set _ZN7rocprim17ROCPRIM_400000_NS6detail17trampoline_kernelINS0_14default_configENS1_27scan_by_key_config_selectorIiiEEZZNS1_16scan_by_key_implILNS1_25lookback_scan_determinismE0ELb0ES3_N6thrust23THRUST_200600_302600_NS6detail15normal_iteratorINS9_10device_ptrIiEEEESE_SE_iNS9_4plusIvEENS9_8equal_toIiEEiEE10hipError_tPvRmT2_T3_T4_T5_mT6_T7_P12ihipStream_tbENKUlT_T0_E_clISt17integral_constantIbLb1EESY_IbLb0EEEEDaSU_SV_EUlSU_E_NS1_11comp_targetILNS1_3genE0ELNS1_11target_archE4294967295ELNS1_3gpuE0ELNS1_3repE0EEENS1_30default_config_static_selectorELNS0_4arch9wavefront6targetE0EEEvT1_.num_vgpr, 0
	.set _ZN7rocprim17ROCPRIM_400000_NS6detail17trampoline_kernelINS0_14default_configENS1_27scan_by_key_config_selectorIiiEEZZNS1_16scan_by_key_implILNS1_25lookback_scan_determinismE0ELb0ES3_N6thrust23THRUST_200600_302600_NS6detail15normal_iteratorINS9_10device_ptrIiEEEESE_SE_iNS9_4plusIvEENS9_8equal_toIiEEiEE10hipError_tPvRmT2_T3_T4_T5_mT6_T7_P12ihipStream_tbENKUlT_T0_E_clISt17integral_constantIbLb1EESY_IbLb0EEEEDaSU_SV_EUlSU_E_NS1_11comp_targetILNS1_3genE0ELNS1_11target_archE4294967295ELNS1_3gpuE0ELNS1_3repE0EEENS1_30default_config_static_selectorELNS0_4arch9wavefront6targetE0EEEvT1_.num_agpr, 0
	.set _ZN7rocprim17ROCPRIM_400000_NS6detail17trampoline_kernelINS0_14default_configENS1_27scan_by_key_config_selectorIiiEEZZNS1_16scan_by_key_implILNS1_25lookback_scan_determinismE0ELb0ES3_N6thrust23THRUST_200600_302600_NS6detail15normal_iteratorINS9_10device_ptrIiEEEESE_SE_iNS9_4plusIvEENS9_8equal_toIiEEiEE10hipError_tPvRmT2_T3_T4_T5_mT6_T7_P12ihipStream_tbENKUlT_T0_E_clISt17integral_constantIbLb1EESY_IbLb0EEEEDaSU_SV_EUlSU_E_NS1_11comp_targetILNS1_3genE0ELNS1_11target_archE4294967295ELNS1_3gpuE0ELNS1_3repE0EEENS1_30default_config_static_selectorELNS0_4arch9wavefront6targetE0EEEvT1_.numbered_sgpr, 0
	.set _ZN7rocprim17ROCPRIM_400000_NS6detail17trampoline_kernelINS0_14default_configENS1_27scan_by_key_config_selectorIiiEEZZNS1_16scan_by_key_implILNS1_25lookback_scan_determinismE0ELb0ES3_N6thrust23THRUST_200600_302600_NS6detail15normal_iteratorINS9_10device_ptrIiEEEESE_SE_iNS9_4plusIvEENS9_8equal_toIiEEiEE10hipError_tPvRmT2_T3_T4_T5_mT6_T7_P12ihipStream_tbENKUlT_T0_E_clISt17integral_constantIbLb1EESY_IbLb0EEEEDaSU_SV_EUlSU_E_NS1_11comp_targetILNS1_3genE0ELNS1_11target_archE4294967295ELNS1_3gpuE0ELNS1_3repE0EEENS1_30default_config_static_selectorELNS0_4arch9wavefront6targetE0EEEvT1_.num_named_barrier, 0
	.set _ZN7rocprim17ROCPRIM_400000_NS6detail17trampoline_kernelINS0_14default_configENS1_27scan_by_key_config_selectorIiiEEZZNS1_16scan_by_key_implILNS1_25lookback_scan_determinismE0ELb0ES3_N6thrust23THRUST_200600_302600_NS6detail15normal_iteratorINS9_10device_ptrIiEEEESE_SE_iNS9_4plusIvEENS9_8equal_toIiEEiEE10hipError_tPvRmT2_T3_T4_T5_mT6_T7_P12ihipStream_tbENKUlT_T0_E_clISt17integral_constantIbLb1EESY_IbLb0EEEEDaSU_SV_EUlSU_E_NS1_11comp_targetILNS1_3genE0ELNS1_11target_archE4294967295ELNS1_3gpuE0ELNS1_3repE0EEENS1_30default_config_static_selectorELNS0_4arch9wavefront6targetE0EEEvT1_.private_seg_size, 0
	.set _ZN7rocprim17ROCPRIM_400000_NS6detail17trampoline_kernelINS0_14default_configENS1_27scan_by_key_config_selectorIiiEEZZNS1_16scan_by_key_implILNS1_25lookback_scan_determinismE0ELb0ES3_N6thrust23THRUST_200600_302600_NS6detail15normal_iteratorINS9_10device_ptrIiEEEESE_SE_iNS9_4plusIvEENS9_8equal_toIiEEiEE10hipError_tPvRmT2_T3_T4_T5_mT6_T7_P12ihipStream_tbENKUlT_T0_E_clISt17integral_constantIbLb1EESY_IbLb0EEEEDaSU_SV_EUlSU_E_NS1_11comp_targetILNS1_3genE0ELNS1_11target_archE4294967295ELNS1_3gpuE0ELNS1_3repE0EEENS1_30default_config_static_selectorELNS0_4arch9wavefront6targetE0EEEvT1_.uses_vcc, 0
	.set _ZN7rocprim17ROCPRIM_400000_NS6detail17trampoline_kernelINS0_14default_configENS1_27scan_by_key_config_selectorIiiEEZZNS1_16scan_by_key_implILNS1_25lookback_scan_determinismE0ELb0ES3_N6thrust23THRUST_200600_302600_NS6detail15normal_iteratorINS9_10device_ptrIiEEEESE_SE_iNS9_4plusIvEENS9_8equal_toIiEEiEE10hipError_tPvRmT2_T3_T4_T5_mT6_T7_P12ihipStream_tbENKUlT_T0_E_clISt17integral_constantIbLb1EESY_IbLb0EEEEDaSU_SV_EUlSU_E_NS1_11comp_targetILNS1_3genE0ELNS1_11target_archE4294967295ELNS1_3gpuE0ELNS1_3repE0EEENS1_30default_config_static_selectorELNS0_4arch9wavefront6targetE0EEEvT1_.uses_flat_scratch, 0
	.set _ZN7rocprim17ROCPRIM_400000_NS6detail17trampoline_kernelINS0_14default_configENS1_27scan_by_key_config_selectorIiiEEZZNS1_16scan_by_key_implILNS1_25lookback_scan_determinismE0ELb0ES3_N6thrust23THRUST_200600_302600_NS6detail15normal_iteratorINS9_10device_ptrIiEEEESE_SE_iNS9_4plusIvEENS9_8equal_toIiEEiEE10hipError_tPvRmT2_T3_T4_T5_mT6_T7_P12ihipStream_tbENKUlT_T0_E_clISt17integral_constantIbLb1EESY_IbLb0EEEEDaSU_SV_EUlSU_E_NS1_11comp_targetILNS1_3genE0ELNS1_11target_archE4294967295ELNS1_3gpuE0ELNS1_3repE0EEENS1_30default_config_static_selectorELNS0_4arch9wavefront6targetE0EEEvT1_.has_dyn_sized_stack, 0
	.set _ZN7rocprim17ROCPRIM_400000_NS6detail17trampoline_kernelINS0_14default_configENS1_27scan_by_key_config_selectorIiiEEZZNS1_16scan_by_key_implILNS1_25lookback_scan_determinismE0ELb0ES3_N6thrust23THRUST_200600_302600_NS6detail15normal_iteratorINS9_10device_ptrIiEEEESE_SE_iNS9_4plusIvEENS9_8equal_toIiEEiEE10hipError_tPvRmT2_T3_T4_T5_mT6_T7_P12ihipStream_tbENKUlT_T0_E_clISt17integral_constantIbLb1EESY_IbLb0EEEEDaSU_SV_EUlSU_E_NS1_11comp_targetILNS1_3genE0ELNS1_11target_archE4294967295ELNS1_3gpuE0ELNS1_3repE0EEENS1_30default_config_static_selectorELNS0_4arch9wavefront6targetE0EEEvT1_.has_recursion, 0
	.set _ZN7rocprim17ROCPRIM_400000_NS6detail17trampoline_kernelINS0_14default_configENS1_27scan_by_key_config_selectorIiiEEZZNS1_16scan_by_key_implILNS1_25lookback_scan_determinismE0ELb0ES3_N6thrust23THRUST_200600_302600_NS6detail15normal_iteratorINS9_10device_ptrIiEEEESE_SE_iNS9_4plusIvEENS9_8equal_toIiEEiEE10hipError_tPvRmT2_T3_T4_T5_mT6_T7_P12ihipStream_tbENKUlT_T0_E_clISt17integral_constantIbLb1EESY_IbLb0EEEEDaSU_SV_EUlSU_E_NS1_11comp_targetILNS1_3genE0ELNS1_11target_archE4294967295ELNS1_3gpuE0ELNS1_3repE0EEENS1_30default_config_static_selectorELNS0_4arch9wavefront6targetE0EEEvT1_.has_indirect_call, 0
	.section	.AMDGPU.csdata,"",@progbits
; Kernel info:
; codeLenInByte = 4
; TotalNumSgprs: 0
; NumVgprs: 0
; ScratchSize: 0
; MemoryBound: 0
; FloatMode: 240
; IeeeMode: 1
; LDSByteSize: 0 bytes/workgroup (compile time only)
; SGPRBlocks: 0
; VGPRBlocks: 0
; NumSGPRsForWavesPerEU: 1
; NumVGPRsForWavesPerEU: 1
; NamedBarCnt: 0
; Occupancy: 16
; WaveLimiterHint : 0
; COMPUTE_PGM_RSRC2:SCRATCH_EN: 0
; COMPUTE_PGM_RSRC2:USER_SGPR: 2
; COMPUTE_PGM_RSRC2:TRAP_HANDLER: 0
; COMPUTE_PGM_RSRC2:TGID_X_EN: 1
; COMPUTE_PGM_RSRC2:TGID_Y_EN: 0
; COMPUTE_PGM_RSRC2:TGID_Z_EN: 0
; COMPUTE_PGM_RSRC2:TIDIG_COMP_CNT: 0
	.section	.text._ZN7rocprim17ROCPRIM_400000_NS6detail17trampoline_kernelINS0_14default_configENS1_27scan_by_key_config_selectorIiiEEZZNS1_16scan_by_key_implILNS1_25lookback_scan_determinismE0ELb0ES3_N6thrust23THRUST_200600_302600_NS6detail15normal_iteratorINS9_10device_ptrIiEEEESE_SE_iNS9_4plusIvEENS9_8equal_toIiEEiEE10hipError_tPvRmT2_T3_T4_T5_mT6_T7_P12ihipStream_tbENKUlT_T0_E_clISt17integral_constantIbLb1EESY_IbLb0EEEEDaSU_SV_EUlSU_E_NS1_11comp_targetILNS1_3genE10ELNS1_11target_archE1201ELNS1_3gpuE5ELNS1_3repE0EEENS1_30default_config_static_selectorELNS0_4arch9wavefront6targetE0EEEvT1_,"axG",@progbits,_ZN7rocprim17ROCPRIM_400000_NS6detail17trampoline_kernelINS0_14default_configENS1_27scan_by_key_config_selectorIiiEEZZNS1_16scan_by_key_implILNS1_25lookback_scan_determinismE0ELb0ES3_N6thrust23THRUST_200600_302600_NS6detail15normal_iteratorINS9_10device_ptrIiEEEESE_SE_iNS9_4plusIvEENS9_8equal_toIiEEiEE10hipError_tPvRmT2_T3_T4_T5_mT6_T7_P12ihipStream_tbENKUlT_T0_E_clISt17integral_constantIbLb1EESY_IbLb0EEEEDaSU_SV_EUlSU_E_NS1_11comp_targetILNS1_3genE10ELNS1_11target_archE1201ELNS1_3gpuE5ELNS1_3repE0EEENS1_30default_config_static_selectorELNS0_4arch9wavefront6targetE0EEEvT1_,comdat
	.protected	_ZN7rocprim17ROCPRIM_400000_NS6detail17trampoline_kernelINS0_14default_configENS1_27scan_by_key_config_selectorIiiEEZZNS1_16scan_by_key_implILNS1_25lookback_scan_determinismE0ELb0ES3_N6thrust23THRUST_200600_302600_NS6detail15normal_iteratorINS9_10device_ptrIiEEEESE_SE_iNS9_4plusIvEENS9_8equal_toIiEEiEE10hipError_tPvRmT2_T3_T4_T5_mT6_T7_P12ihipStream_tbENKUlT_T0_E_clISt17integral_constantIbLb1EESY_IbLb0EEEEDaSU_SV_EUlSU_E_NS1_11comp_targetILNS1_3genE10ELNS1_11target_archE1201ELNS1_3gpuE5ELNS1_3repE0EEENS1_30default_config_static_selectorELNS0_4arch9wavefront6targetE0EEEvT1_ ; -- Begin function _ZN7rocprim17ROCPRIM_400000_NS6detail17trampoline_kernelINS0_14default_configENS1_27scan_by_key_config_selectorIiiEEZZNS1_16scan_by_key_implILNS1_25lookback_scan_determinismE0ELb0ES3_N6thrust23THRUST_200600_302600_NS6detail15normal_iteratorINS9_10device_ptrIiEEEESE_SE_iNS9_4plusIvEENS9_8equal_toIiEEiEE10hipError_tPvRmT2_T3_T4_T5_mT6_T7_P12ihipStream_tbENKUlT_T0_E_clISt17integral_constantIbLb1EESY_IbLb0EEEEDaSU_SV_EUlSU_E_NS1_11comp_targetILNS1_3genE10ELNS1_11target_archE1201ELNS1_3gpuE5ELNS1_3repE0EEENS1_30default_config_static_selectorELNS0_4arch9wavefront6targetE0EEEvT1_
	.globl	_ZN7rocprim17ROCPRIM_400000_NS6detail17trampoline_kernelINS0_14default_configENS1_27scan_by_key_config_selectorIiiEEZZNS1_16scan_by_key_implILNS1_25lookback_scan_determinismE0ELb0ES3_N6thrust23THRUST_200600_302600_NS6detail15normal_iteratorINS9_10device_ptrIiEEEESE_SE_iNS9_4plusIvEENS9_8equal_toIiEEiEE10hipError_tPvRmT2_T3_T4_T5_mT6_T7_P12ihipStream_tbENKUlT_T0_E_clISt17integral_constantIbLb1EESY_IbLb0EEEEDaSU_SV_EUlSU_E_NS1_11comp_targetILNS1_3genE10ELNS1_11target_archE1201ELNS1_3gpuE5ELNS1_3repE0EEENS1_30default_config_static_selectorELNS0_4arch9wavefront6targetE0EEEvT1_
	.p2align	8
	.type	_ZN7rocprim17ROCPRIM_400000_NS6detail17trampoline_kernelINS0_14default_configENS1_27scan_by_key_config_selectorIiiEEZZNS1_16scan_by_key_implILNS1_25lookback_scan_determinismE0ELb0ES3_N6thrust23THRUST_200600_302600_NS6detail15normal_iteratorINS9_10device_ptrIiEEEESE_SE_iNS9_4plusIvEENS9_8equal_toIiEEiEE10hipError_tPvRmT2_T3_T4_T5_mT6_T7_P12ihipStream_tbENKUlT_T0_E_clISt17integral_constantIbLb1EESY_IbLb0EEEEDaSU_SV_EUlSU_E_NS1_11comp_targetILNS1_3genE10ELNS1_11target_archE1201ELNS1_3gpuE5ELNS1_3repE0EEENS1_30default_config_static_selectorELNS0_4arch9wavefront6targetE0EEEvT1_,@function
_ZN7rocprim17ROCPRIM_400000_NS6detail17trampoline_kernelINS0_14default_configENS1_27scan_by_key_config_selectorIiiEEZZNS1_16scan_by_key_implILNS1_25lookback_scan_determinismE0ELb0ES3_N6thrust23THRUST_200600_302600_NS6detail15normal_iteratorINS9_10device_ptrIiEEEESE_SE_iNS9_4plusIvEENS9_8equal_toIiEEiEE10hipError_tPvRmT2_T3_T4_T5_mT6_T7_P12ihipStream_tbENKUlT_T0_E_clISt17integral_constantIbLb1EESY_IbLb0EEEEDaSU_SV_EUlSU_E_NS1_11comp_targetILNS1_3genE10ELNS1_11target_archE1201ELNS1_3gpuE5ELNS1_3repE0EEENS1_30default_config_static_selectorELNS0_4arch9wavefront6targetE0EEEvT1_: ; @_ZN7rocprim17ROCPRIM_400000_NS6detail17trampoline_kernelINS0_14default_configENS1_27scan_by_key_config_selectorIiiEEZZNS1_16scan_by_key_implILNS1_25lookback_scan_determinismE0ELb0ES3_N6thrust23THRUST_200600_302600_NS6detail15normal_iteratorINS9_10device_ptrIiEEEESE_SE_iNS9_4plusIvEENS9_8equal_toIiEEiEE10hipError_tPvRmT2_T3_T4_T5_mT6_T7_P12ihipStream_tbENKUlT_T0_E_clISt17integral_constantIbLb1EESY_IbLb0EEEEDaSU_SV_EUlSU_E_NS1_11comp_targetILNS1_3genE10ELNS1_11target_archE1201ELNS1_3gpuE5ELNS1_3repE0EEENS1_30default_config_static_selectorELNS0_4arch9wavefront6targetE0EEEvT1_
; %bb.0:
	.section	.rodata,"a",@progbits
	.p2align	6, 0x0
	.amdhsa_kernel _ZN7rocprim17ROCPRIM_400000_NS6detail17trampoline_kernelINS0_14default_configENS1_27scan_by_key_config_selectorIiiEEZZNS1_16scan_by_key_implILNS1_25lookback_scan_determinismE0ELb0ES3_N6thrust23THRUST_200600_302600_NS6detail15normal_iteratorINS9_10device_ptrIiEEEESE_SE_iNS9_4plusIvEENS9_8equal_toIiEEiEE10hipError_tPvRmT2_T3_T4_T5_mT6_T7_P12ihipStream_tbENKUlT_T0_E_clISt17integral_constantIbLb1EESY_IbLb0EEEEDaSU_SV_EUlSU_E_NS1_11comp_targetILNS1_3genE10ELNS1_11target_archE1201ELNS1_3gpuE5ELNS1_3repE0EEENS1_30default_config_static_selectorELNS0_4arch9wavefront6targetE0EEEvT1_
		.amdhsa_group_segment_fixed_size 0
		.amdhsa_private_segment_fixed_size 0
		.amdhsa_kernarg_size 112
		.amdhsa_user_sgpr_count 2
		.amdhsa_user_sgpr_dispatch_ptr 0
		.amdhsa_user_sgpr_queue_ptr 0
		.amdhsa_user_sgpr_kernarg_segment_ptr 1
		.amdhsa_user_sgpr_dispatch_id 0
		.amdhsa_user_sgpr_kernarg_preload_length 0
		.amdhsa_user_sgpr_kernarg_preload_offset 0
		.amdhsa_user_sgpr_private_segment_size 0
		.amdhsa_wavefront_size32 1
		.amdhsa_uses_dynamic_stack 0
		.amdhsa_enable_private_segment 0
		.amdhsa_system_sgpr_workgroup_id_x 1
		.amdhsa_system_sgpr_workgroup_id_y 0
		.amdhsa_system_sgpr_workgroup_id_z 0
		.amdhsa_system_sgpr_workgroup_info 0
		.amdhsa_system_vgpr_workitem_id 0
		.amdhsa_next_free_vgpr 1
		.amdhsa_next_free_sgpr 1
		.amdhsa_named_barrier_count 0
		.amdhsa_reserve_vcc 0
		.amdhsa_float_round_mode_32 0
		.amdhsa_float_round_mode_16_64 0
		.amdhsa_float_denorm_mode_32 3
		.amdhsa_float_denorm_mode_16_64 3
		.amdhsa_fp16_overflow 0
		.amdhsa_memory_ordered 1
		.amdhsa_forward_progress 1
		.amdhsa_inst_pref_size 0
		.amdhsa_round_robin_scheduling 0
		.amdhsa_exception_fp_ieee_invalid_op 0
		.amdhsa_exception_fp_denorm_src 0
		.amdhsa_exception_fp_ieee_div_zero 0
		.amdhsa_exception_fp_ieee_overflow 0
		.amdhsa_exception_fp_ieee_underflow 0
		.amdhsa_exception_fp_ieee_inexact 0
		.amdhsa_exception_int_div_zero 0
	.end_amdhsa_kernel
	.section	.text._ZN7rocprim17ROCPRIM_400000_NS6detail17trampoline_kernelINS0_14default_configENS1_27scan_by_key_config_selectorIiiEEZZNS1_16scan_by_key_implILNS1_25lookback_scan_determinismE0ELb0ES3_N6thrust23THRUST_200600_302600_NS6detail15normal_iteratorINS9_10device_ptrIiEEEESE_SE_iNS9_4plusIvEENS9_8equal_toIiEEiEE10hipError_tPvRmT2_T3_T4_T5_mT6_T7_P12ihipStream_tbENKUlT_T0_E_clISt17integral_constantIbLb1EESY_IbLb0EEEEDaSU_SV_EUlSU_E_NS1_11comp_targetILNS1_3genE10ELNS1_11target_archE1201ELNS1_3gpuE5ELNS1_3repE0EEENS1_30default_config_static_selectorELNS0_4arch9wavefront6targetE0EEEvT1_,"axG",@progbits,_ZN7rocprim17ROCPRIM_400000_NS6detail17trampoline_kernelINS0_14default_configENS1_27scan_by_key_config_selectorIiiEEZZNS1_16scan_by_key_implILNS1_25lookback_scan_determinismE0ELb0ES3_N6thrust23THRUST_200600_302600_NS6detail15normal_iteratorINS9_10device_ptrIiEEEESE_SE_iNS9_4plusIvEENS9_8equal_toIiEEiEE10hipError_tPvRmT2_T3_T4_T5_mT6_T7_P12ihipStream_tbENKUlT_T0_E_clISt17integral_constantIbLb1EESY_IbLb0EEEEDaSU_SV_EUlSU_E_NS1_11comp_targetILNS1_3genE10ELNS1_11target_archE1201ELNS1_3gpuE5ELNS1_3repE0EEENS1_30default_config_static_selectorELNS0_4arch9wavefront6targetE0EEEvT1_,comdat
.Lfunc_end219:
	.size	_ZN7rocprim17ROCPRIM_400000_NS6detail17trampoline_kernelINS0_14default_configENS1_27scan_by_key_config_selectorIiiEEZZNS1_16scan_by_key_implILNS1_25lookback_scan_determinismE0ELb0ES3_N6thrust23THRUST_200600_302600_NS6detail15normal_iteratorINS9_10device_ptrIiEEEESE_SE_iNS9_4plusIvEENS9_8equal_toIiEEiEE10hipError_tPvRmT2_T3_T4_T5_mT6_T7_P12ihipStream_tbENKUlT_T0_E_clISt17integral_constantIbLb1EESY_IbLb0EEEEDaSU_SV_EUlSU_E_NS1_11comp_targetILNS1_3genE10ELNS1_11target_archE1201ELNS1_3gpuE5ELNS1_3repE0EEENS1_30default_config_static_selectorELNS0_4arch9wavefront6targetE0EEEvT1_, .Lfunc_end219-_ZN7rocprim17ROCPRIM_400000_NS6detail17trampoline_kernelINS0_14default_configENS1_27scan_by_key_config_selectorIiiEEZZNS1_16scan_by_key_implILNS1_25lookback_scan_determinismE0ELb0ES3_N6thrust23THRUST_200600_302600_NS6detail15normal_iteratorINS9_10device_ptrIiEEEESE_SE_iNS9_4plusIvEENS9_8equal_toIiEEiEE10hipError_tPvRmT2_T3_T4_T5_mT6_T7_P12ihipStream_tbENKUlT_T0_E_clISt17integral_constantIbLb1EESY_IbLb0EEEEDaSU_SV_EUlSU_E_NS1_11comp_targetILNS1_3genE10ELNS1_11target_archE1201ELNS1_3gpuE5ELNS1_3repE0EEENS1_30default_config_static_selectorELNS0_4arch9wavefront6targetE0EEEvT1_
                                        ; -- End function
	.set _ZN7rocprim17ROCPRIM_400000_NS6detail17trampoline_kernelINS0_14default_configENS1_27scan_by_key_config_selectorIiiEEZZNS1_16scan_by_key_implILNS1_25lookback_scan_determinismE0ELb0ES3_N6thrust23THRUST_200600_302600_NS6detail15normal_iteratorINS9_10device_ptrIiEEEESE_SE_iNS9_4plusIvEENS9_8equal_toIiEEiEE10hipError_tPvRmT2_T3_T4_T5_mT6_T7_P12ihipStream_tbENKUlT_T0_E_clISt17integral_constantIbLb1EESY_IbLb0EEEEDaSU_SV_EUlSU_E_NS1_11comp_targetILNS1_3genE10ELNS1_11target_archE1201ELNS1_3gpuE5ELNS1_3repE0EEENS1_30default_config_static_selectorELNS0_4arch9wavefront6targetE0EEEvT1_.num_vgpr, 0
	.set _ZN7rocprim17ROCPRIM_400000_NS6detail17trampoline_kernelINS0_14default_configENS1_27scan_by_key_config_selectorIiiEEZZNS1_16scan_by_key_implILNS1_25lookback_scan_determinismE0ELb0ES3_N6thrust23THRUST_200600_302600_NS6detail15normal_iteratorINS9_10device_ptrIiEEEESE_SE_iNS9_4plusIvEENS9_8equal_toIiEEiEE10hipError_tPvRmT2_T3_T4_T5_mT6_T7_P12ihipStream_tbENKUlT_T0_E_clISt17integral_constantIbLb1EESY_IbLb0EEEEDaSU_SV_EUlSU_E_NS1_11comp_targetILNS1_3genE10ELNS1_11target_archE1201ELNS1_3gpuE5ELNS1_3repE0EEENS1_30default_config_static_selectorELNS0_4arch9wavefront6targetE0EEEvT1_.num_agpr, 0
	.set _ZN7rocprim17ROCPRIM_400000_NS6detail17trampoline_kernelINS0_14default_configENS1_27scan_by_key_config_selectorIiiEEZZNS1_16scan_by_key_implILNS1_25lookback_scan_determinismE0ELb0ES3_N6thrust23THRUST_200600_302600_NS6detail15normal_iteratorINS9_10device_ptrIiEEEESE_SE_iNS9_4plusIvEENS9_8equal_toIiEEiEE10hipError_tPvRmT2_T3_T4_T5_mT6_T7_P12ihipStream_tbENKUlT_T0_E_clISt17integral_constantIbLb1EESY_IbLb0EEEEDaSU_SV_EUlSU_E_NS1_11comp_targetILNS1_3genE10ELNS1_11target_archE1201ELNS1_3gpuE5ELNS1_3repE0EEENS1_30default_config_static_selectorELNS0_4arch9wavefront6targetE0EEEvT1_.numbered_sgpr, 0
	.set _ZN7rocprim17ROCPRIM_400000_NS6detail17trampoline_kernelINS0_14default_configENS1_27scan_by_key_config_selectorIiiEEZZNS1_16scan_by_key_implILNS1_25lookback_scan_determinismE0ELb0ES3_N6thrust23THRUST_200600_302600_NS6detail15normal_iteratorINS9_10device_ptrIiEEEESE_SE_iNS9_4plusIvEENS9_8equal_toIiEEiEE10hipError_tPvRmT2_T3_T4_T5_mT6_T7_P12ihipStream_tbENKUlT_T0_E_clISt17integral_constantIbLb1EESY_IbLb0EEEEDaSU_SV_EUlSU_E_NS1_11comp_targetILNS1_3genE10ELNS1_11target_archE1201ELNS1_3gpuE5ELNS1_3repE0EEENS1_30default_config_static_selectorELNS0_4arch9wavefront6targetE0EEEvT1_.num_named_barrier, 0
	.set _ZN7rocprim17ROCPRIM_400000_NS6detail17trampoline_kernelINS0_14default_configENS1_27scan_by_key_config_selectorIiiEEZZNS1_16scan_by_key_implILNS1_25lookback_scan_determinismE0ELb0ES3_N6thrust23THRUST_200600_302600_NS6detail15normal_iteratorINS9_10device_ptrIiEEEESE_SE_iNS9_4plusIvEENS9_8equal_toIiEEiEE10hipError_tPvRmT2_T3_T4_T5_mT6_T7_P12ihipStream_tbENKUlT_T0_E_clISt17integral_constantIbLb1EESY_IbLb0EEEEDaSU_SV_EUlSU_E_NS1_11comp_targetILNS1_3genE10ELNS1_11target_archE1201ELNS1_3gpuE5ELNS1_3repE0EEENS1_30default_config_static_selectorELNS0_4arch9wavefront6targetE0EEEvT1_.private_seg_size, 0
	.set _ZN7rocprim17ROCPRIM_400000_NS6detail17trampoline_kernelINS0_14default_configENS1_27scan_by_key_config_selectorIiiEEZZNS1_16scan_by_key_implILNS1_25lookback_scan_determinismE0ELb0ES3_N6thrust23THRUST_200600_302600_NS6detail15normal_iteratorINS9_10device_ptrIiEEEESE_SE_iNS9_4plusIvEENS9_8equal_toIiEEiEE10hipError_tPvRmT2_T3_T4_T5_mT6_T7_P12ihipStream_tbENKUlT_T0_E_clISt17integral_constantIbLb1EESY_IbLb0EEEEDaSU_SV_EUlSU_E_NS1_11comp_targetILNS1_3genE10ELNS1_11target_archE1201ELNS1_3gpuE5ELNS1_3repE0EEENS1_30default_config_static_selectorELNS0_4arch9wavefront6targetE0EEEvT1_.uses_vcc, 0
	.set _ZN7rocprim17ROCPRIM_400000_NS6detail17trampoline_kernelINS0_14default_configENS1_27scan_by_key_config_selectorIiiEEZZNS1_16scan_by_key_implILNS1_25lookback_scan_determinismE0ELb0ES3_N6thrust23THRUST_200600_302600_NS6detail15normal_iteratorINS9_10device_ptrIiEEEESE_SE_iNS9_4plusIvEENS9_8equal_toIiEEiEE10hipError_tPvRmT2_T3_T4_T5_mT6_T7_P12ihipStream_tbENKUlT_T0_E_clISt17integral_constantIbLb1EESY_IbLb0EEEEDaSU_SV_EUlSU_E_NS1_11comp_targetILNS1_3genE10ELNS1_11target_archE1201ELNS1_3gpuE5ELNS1_3repE0EEENS1_30default_config_static_selectorELNS0_4arch9wavefront6targetE0EEEvT1_.uses_flat_scratch, 0
	.set _ZN7rocprim17ROCPRIM_400000_NS6detail17trampoline_kernelINS0_14default_configENS1_27scan_by_key_config_selectorIiiEEZZNS1_16scan_by_key_implILNS1_25lookback_scan_determinismE0ELb0ES3_N6thrust23THRUST_200600_302600_NS6detail15normal_iteratorINS9_10device_ptrIiEEEESE_SE_iNS9_4plusIvEENS9_8equal_toIiEEiEE10hipError_tPvRmT2_T3_T4_T5_mT6_T7_P12ihipStream_tbENKUlT_T0_E_clISt17integral_constantIbLb1EESY_IbLb0EEEEDaSU_SV_EUlSU_E_NS1_11comp_targetILNS1_3genE10ELNS1_11target_archE1201ELNS1_3gpuE5ELNS1_3repE0EEENS1_30default_config_static_selectorELNS0_4arch9wavefront6targetE0EEEvT1_.has_dyn_sized_stack, 0
	.set _ZN7rocprim17ROCPRIM_400000_NS6detail17trampoline_kernelINS0_14default_configENS1_27scan_by_key_config_selectorIiiEEZZNS1_16scan_by_key_implILNS1_25lookback_scan_determinismE0ELb0ES3_N6thrust23THRUST_200600_302600_NS6detail15normal_iteratorINS9_10device_ptrIiEEEESE_SE_iNS9_4plusIvEENS9_8equal_toIiEEiEE10hipError_tPvRmT2_T3_T4_T5_mT6_T7_P12ihipStream_tbENKUlT_T0_E_clISt17integral_constantIbLb1EESY_IbLb0EEEEDaSU_SV_EUlSU_E_NS1_11comp_targetILNS1_3genE10ELNS1_11target_archE1201ELNS1_3gpuE5ELNS1_3repE0EEENS1_30default_config_static_selectorELNS0_4arch9wavefront6targetE0EEEvT1_.has_recursion, 0
	.set _ZN7rocprim17ROCPRIM_400000_NS6detail17trampoline_kernelINS0_14default_configENS1_27scan_by_key_config_selectorIiiEEZZNS1_16scan_by_key_implILNS1_25lookback_scan_determinismE0ELb0ES3_N6thrust23THRUST_200600_302600_NS6detail15normal_iteratorINS9_10device_ptrIiEEEESE_SE_iNS9_4plusIvEENS9_8equal_toIiEEiEE10hipError_tPvRmT2_T3_T4_T5_mT6_T7_P12ihipStream_tbENKUlT_T0_E_clISt17integral_constantIbLb1EESY_IbLb0EEEEDaSU_SV_EUlSU_E_NS1_11comp_targetILNS1_3genE10ELNS1_11target_archE1201ELNS1_3gpuE5ELNS1_3repE0EEENS1_30default_config_static_selectorELNS0_4arch9wavefront6targetE0EEEvT1_.has_indirect_call, 0
	.section	.AMDGPU.csdata,"",@progbits
; Kernel info:
; codeLenInByte = 0
; TotalNumSgprs: 0
; NumVgprs: 0
; ScratchSize: 0
; MemoryBound: 0
; FloatMode: 240
; IeeeMode: 1
; LDSByteSize: 0 bytes/workgroup (compile time only)
; SGPRBlocks: 0
; VGPRBlocks: 0
; NumSGPRsForWavesPerEU: 1
; NumVGPRsForWavesPerEU: 1
; NamedBarCnt: 0
; Occupancy: 16
; WaveLimiterHint : 0
; COMPUTE_PGM_RSRC2:SCRATCH_EN: 0
; COMPUTE_PGM_RSRC2:USER_SGPR: 2
; COMPUTE_PGM_RSRC2:TRAP_HANDLER: 0
; COMPUTE_PGM_RSRC2:TGID_X_EN: 1
; COMPUTE_PGM_RSRC2:TGID_Y_EN: 0
; COMPUTE_PGM_RSRC2:TGID_Z_EN: 0
; COMPUTE_PGM_RSRC2:TIDIG_COMP_CNT: 0
	.section	.text._ZN7rocprim17ROCPRIM_400000_NS6detail17trampoline_kernelINS0_14default_configENS1_27scan_by_key_config_selectorIiiEEZZNS1_16scan_by_key_implILNS1_25lookback_scan_determinismE0ELb0ES3_N6thrust23THRUST_200600_302600_NS6detail15normal_iteratorINS9_10device_ptrIiEEEESE_SE_iNS9_4plusIvEENS9_8equal_toIiEEiEE10hipError_tPvRmT2_T3_T4_T5_mT6_T7_P12ihipStream_tbENKUlT_T0_E_clISt17integral_constantIbLb1EESY_IbLb0EEEEDaSU_SV_EUlSU_E_NS1_11comp_targetILNS1_3genE5ELNS1_11target_archE942ELNS1_3gpuE9ELNS1_3repE0EEENS1_30default_config_static_selectorELNS0_4arch9wavefront6targetE0EEEvT1_,"axG",@progbits,_ZN7rocprim17ROCPRIM_400000_NS6detail17trampoline_kernelINS0_14default_configENS1_27scan_by_key_config_selectorIiiEEZZNS1_16scan_by_key_implILNS1_25lookback_scan_determinismE0ELb0ES3_N6thrust23THRUST_200600_302600_NS6detail15normal_iteratorINS9_10device_ptrIiEEEESE_SE_iNS9_4plusIvEENS9_8equal_toIiEEiEE10hipError_tPvRmT2_T3_T4_T5_mT6_T7_P12ihipStream_tbENKUlT_T0_E_clISt17integral_constantIbLb1EESY_IbLb0EEEEDaSU_SV_EUlSU_E_NS1_11comp_targetILNS1_3genE5ELNS1_11target_archE942ELNS1_3gpuE9ELNS1_3repE0EEENS1_30default_config_static_selectorELNS0_4arch9wavefront6targetE0EEEvT1_,comdat
	.protected	_ZN7rocprim17ROCPRIM_400000_NS6detail17trampoline_kernelINS0_14default_configENS1_27scan_by_key_config_selectorIiiEEZZNS1_16scan_by_key_implILNS1_25lookback_scan_determinismE0ELb0ES3_N6thrust23THRUST_200600_302600_NS6detail15normal_iteratorINS9_10device_ptrIiEEEESE_SE_iNS9_4plusIvEENS9_8equal_toIiEEiEE10hipError_tPvRmT2_T3_T4_T5_mT6_T7_P12ihipStream_tbENKUlT_T0_E_clISt17integral_constantIbLb1EESY_IbLb0EEEEDaSU_SV_EUlSU_E_NS1_11comp_targetILNS1_3genE5ELNS1_11target_archE942ELNS1_3gpuE9ELNS1_3repE0EEENS1_30default_config_static_selectorELNS0_4arch9wavefront6targetE0EEEvT1_ ; -- Begin function _ZN7rocprim17ROCPRIM_400000_NS6detail17trampoline_kernelINS0_14default_configENS1_27scan_by_key_config_selectorIiiEEZZNS1_16scan_by_key_implILNS1_25lookback_scan_determinismE0ELb0ES3_N6thrust23THRUST_200600_302600_NS6detail15normal_iteratorINS9_10device_ptrIiEEEESE_SE_iNS9_4plusIvEENS9_8equal_toIiEEiEE10hipError_tPvRmT2_T3_T4_T5_mT6_T7_P12ihipStream_tbENKUlT_T0_E_clISt17integral_constantIbLb1EESY_IbLb0EEEEDaSU_SV_EUlSU_E_NS1_11comp_targetILNS1_3genE5ELNS1_11target_archE942ELNS1_3gpuE9ELNS1_3repE0EEENS1_30default_config_static_selectorELNS0_4arch9wavefront6targetE0EEEvT1_
	.globl	_ZN7rocprim17ROCPRIM_400000_NS6detail17trampoline_kernelINS0_14default_configENS1_27scan_by_key_config_selectorIiiEEZZNS1_16scan_by_key_implILNS1_25lookback_scan_determinismE0ELb0ES3_N6thrust23THRUST_200600_302600_NS6detail15normal_iteratorINS9_10device_ptrIiEEEESE_SE_iNS9_4plusIvEENS9_8equal_toIiEEiEE10hipError_tPvRmT2_T3_T4_T5_mT6_T7_P12ihipStream_tbENKUlT_T0_E_clISt17integral_constantIbLb1EESY_IbLb0EEEEDaSU_SV_EUlSU_E_NS1_11comp_targetILNS1_3genE5ELNS1_11target_archE942ELNS1_3gpuE9ELNS1_3repE0EEENS1_30default_config_static_selectorELNS0_4arch9wavefront6targetE0EEEvT1_
	.p2align	8
	.type	_ZN7rocprim17ROCPRIM_400000_NS6detail17trampoline_kernelINS0_14default_configENS1_27scan_by_key_config_selectorIiiEEZZNS1_16scan_by_key_implILNS1_25lookback_scan_determinismE0ELb0ES3_N6thrust23THRUST_200600_302600_NS6detail15normal_iteratorINS9_10device_ptrIiEEEESE_SE_iNS9_4plusIvEENS9_8equal_toIiEEiEE10hipError_tPvRmT2_T3_T4_T5_mT6_T7_P12ihipStream_tbENKUlT_T0_E_clISt17integral_constantIbLb1EESY_IbLb0EEEEDaSU_SV_EUlSU_E_NS1_11comp_targetILNS1_3genE5ELNS1_11target_archE942ELNS1_3gpuE9ELNS1_3repE0EEENS1_30default_config_static_selectorELNS0_4arch9wavefront6targetE0EEEvT1_,@function
_ZN7rocprim17ROCPRIM_400000_NS6detail17trampoline_kernelINS0_14default_configENS1_27scan_by_key_config_selectorIiiEEZZNS1_16scan_by_key_implILNS1_25lookback_scan_determinismE0ELb0ES3_N6thrust23THRUST_200600_302600_NS6detail15normal_iteratorINS9_10device_ptrIiEEEESE_SE_iNS9_4plusIvEENS9_8equal_toIiEEiEE10hipError_tPvRmT2_T3_T4_T5_mT6_T7_P12ihipStream_tbENKUlT_T0_E_clISt17integral_constantIbLb1EESY_IbLb0EEEEDaSU_SV_EUlSU_E_NS1_11comp_targetILNS1_3genE5ELNS1_11target_archE942ELNS1_3gpuE9ELNS1_3repE0EEENS1_30default_config_static_selectorELNS0_4arch9wavefront6targetE0EEEvT1_: ; @_ZN7rocprim17ROCPRIM_400000_NS6detail17trampoline_kernelINS0_14default_configENS1_27scan_by_key_config_selectorIiiEEZZNS1_16scan_by_key_implILNS1_25lookback_scan_determinismE0ELb0ES3_N6thrust23THRUST_200600_302600_NS6detail15normal_iteratorINS9_10device_ptrIiEEEESE_SE_iNS9_4plusIvEENS9_8equal_toIiEEiEE10hipError_tPvRmT2_T3_T4_T5_mT6_T7_P12ihipStream_tbENKUlT_T0_E_clISt17integral_constantIbLb1EESY_IbLb0EEEEDaSU_SV_EUlSU_E_NS1_11comp_targetILNS1_3genE5ELNS1_11target_archE942ELNS1_3gpuE9ELNS1_3repE0EEENS1_30default_config_static_selectorELNS0_4arch9wavefront6targetE0EEEvT1_
; %bb.0:
	.section	.rodata,"a",@progbits
	.p2align	6, 0x0
	.amdhsa_kernel _ZN7rocprim17ROCPRIM_400000_NS6detail17trampoline_kernelINS0_14default_configENS1_27scan_by_key_config_selectorIiiEEZZNS1_16scan_by_key_implILNS1_25lookback_scan_determinismE0ELb0ES3_N6thrust23THRUST_200600_302600_NS6detail15normal_iteratorINS9_10device_ptrIiEEEESE_SE_iNS9_4plusIvEENS9_8equal_toIiEEiEE10hipError_tPvRmT2_T3_T4_T5_mT6_T7_P12ihipStream_tbENKUlT_T0_E_clISt17integral_constantIbLb1EESY_IbLb0EEEEDaSU_SV_EUlSU_E_NS1_11comp_targetILNS1_3genE5ELNS1_11target_archE942ELNS1_3gpuE9ELNS1_3repE0EEENS1_30default_config_static_selectorELNS0_4arch9wavefront6targetE0EEEvT1_
		.amdhsa_group_segment_fixed_size 0
		.amdhsa_private_segment_fixed_size 0
		.amdhsa_kernarg_size 112
		.amdhsa_user_sgpr_count 2
		.amdhsa_user_sgpr_dispatch_ptr 0
		.amdhsa_user_sgpr_queue_ptr 0
		.amdhsa_user_sgpr_kernarg_segment_ptr 1
		.amdhsa_user_sgpr_dispatch_id 0
		.amdhsa_user_sgpr_kernarg_preload_length 0
		.amdhsa_user_sgpr_kernarg_preload_offset 0
		.amdhsa_user_sgpr_private_segment_size 0
		.amdhsa_wavefront_size32 1
		.amdhsa_uses_dynamic_stack 0
		.amdhsa_enable_private_segment 0
		.amdhsa_system_sgpr_workgroup_id_x 1
		.amdhsa_system_sgpr_workgroup_id_y 0
		.amdhsa_system_sgpr_workgroup_id_z 0
		.amdhsa_system_sgpr_workgroup_info 0
		.amdhsa_system_vgpr_workitem_id 0
		.amdhsa_next_free_vgpr 1
		.amdhsa_next_free_sgpr 1
		.amdhsa_named_barrier_count 0
		.amdhsa_reserve_vcc 0
		.amdhsa_float_round_mode_32 0
		.amdhsa_float_round_mode_16_64 0
		.amdhsa_float_denorm_mode_32 3
		.amdhsa_float_denorm_mode_16_64 3
		.amdhsa_fp16_overflow 0
		.amdhsa_memory_ordered 1
		.amdhsa_forward_progress 1
		.amdhsa_inst_pref_size 0
		.amdhsa_round_robin_scheduling 0
		.amdhsa_exception_fp_ieee_invalid_op 0
		.amdhsa_exception_fp_denorm_src 0
		.amdhsa_exception_fp_ieee_div_zero 0
		.amdhsa_exception_fp_ieee_overflow 0
		.amdhsa_exception_fp_ieee_underflow 0
		.amdhsa_exception_fp_ieee_inexact 0
		.amdhsa_exception_int_div_zero 0
	.end_amdhsa_kernel
	.section	.text._ZN7rocprim17ROCPRIM_400000_NS6detail17trampoline_kernelINS0_14default_configENS1_27scan_by_key_config_selectorIiiEEZZNS1_16scan_by_key_implILNS1_25lookback_scan_determinismE0ELb0ES3_N6thrust23THRUST_200600_302600_NS6detail15normal_iteratorINS9_10device_ptrIiEEEESE_SE_iNS9_4plusIvEENS9_8equal_toIiEEiEE10hipError_tPvRmT2_T3_T4_T5_mT6_T7_P12ihipStream_tbENKUlT_T0_E_clISt17integral_constantIbLb1EESY_IbLb0EEEEDaSU_SV_EUlSU_E_NS1_11comp_targetILNS1_3genE5ELNS1_11target_archE942ELNS1_3gpuE9ELNS1_3repE0EEENS1_30default_config_static_selectorELNS0_4arch9wavefront6targetE0EEEvT1_,"axG",@progbits,_ZN7rocprim17ROCPRIM_400000_NS6detail17trampoline_kernelINS0_14default_configENS1_27scan_by_key_config_selectorIiiEEZZNS1_16scan_by_key_implILNS1_25lookback_scan_determinismE0ELb0ES3_N6thrust23THRUST_200600_302600_NS6detail15normal_iteratorINS9_10device_ptrIiEEEESE_SE_iNS9_4plusIvEENS9_8equal_toIiEEiEE10hipError_tPvRmT2_T3_T4_T5_mT6_T7_P12ihipStream_tbENKUlT_T0_E_clISt17integral_constantIbLb1EESY_IbLb0EEEEDaSU_SV_EUlSU_E_NS1_11comp_targetILNS1_3genE5ELNS1_11target_archE942ELNS1_3gpuE9ELNS1_3repE0EEENS1_30default_config_static_selectorELNS0_4arch9wavefront6targetE0EEEvT1_,comdat
.Lfunc_end220:
	.size	_ZN7rocprim17ROCPRIM_400000_NS6detail17trampoline_kernelINS0_14default_configENS1_27scan_by_key_config_selectorIiiEEZZNS1_16scan_by_key_implILNS1_25lookback_scan_determinismE0ELb0ES3_N6thrust23THRUST_200600_302600_NS6detail15normal_iteratorINS9_10device_ptrIiEEEESE_SE_iNS9_4plusIvEENS9_8equal_toIiEEiEE10hipError_tPvRmT2_T3_T4_T5_mT6_T7_P12ihipStream_tbENKUlT_T0_E_clISt17integral_constantIbLb1EESY_IbLb0EEEEDaSU_SV_EUlSU_E_NS1_11comp_targetILNS1_3genE5ELNS1_11target_archE942ELNS1_3gpuE9ELNS1_3repE0EEENS1_30default_config_static_selectorELNS0_4arch9wavefront6targetE0EEEvT1_, .Lfunc_end220-_ZN7rocprim17ROCPRIM_400000_NS6detail17trampoline_kernelINS0_14default_configENS1_27scan_by_key_config_selectorIiiEEZZNS1_16scan_by_key_implILNS1_25lookback_scan_determinismE0ELb0ES3_N6thrust23THRUST_200600_302600_NS6detail15normal_iteratorINS9_10device_ptrIiEEEESE_SE_iNS9_4plusIvEENS9_8equal_toIiEEiEE10hipError_tPvRmT2_T3_T4_T5_mT6_T7_P12ihipStream_tbENKUlT_T0_E_clISt17integral_constantIbLb1EESY_IbLb0EEEEDaSU_SV_EUlSU_E_NS1_11comp_targetILNS1_3genE5ELNS1_11target_archE942ELNS1_3gpuE9ELNS1_3repE0EEENS1_30default_config_static_selectorELNS0_4arch9wavefront6targetE0EEEvT1_
                                        ; -- End function
	.set _ZN7rocprim17ROCPRIM_400000_NS6detail17trampoline_kernelINS0_14default_configENS1_27scan_by_key_config_selectorIiiEEZZNS1_16scan_by_key_implILNS1_25lookback_scan_determinismE0ELb0ES3_N6thrust23THRUST_200600_302600_NS6detail15normal_iteratorINS9_10device_ptrIiEEEESE_SE_iNS9_4plusIvEENS9_8equal_toIiEEiEE10hipError_tPvRmT2_T3_T4_T5_mT6_T7_P12ihipStream_tbENKUlT_T0_E_clISt17integral_constantIbLb1EESY_IbLb0EEEEDaSU_SV_EUlSU_E_NS1_11comp_targetILNS1_3genE5ELNS1_11target_archE942ELNS1_3gpuE9ELNS1_3repE0EEENS1_30default_config_static_selectorELNS0_4arch9wavefront6targetE0EEEvT1_.num_vgpr, 0
	.set _ZN7rocprim17ROCPRIM_400000_NS6detail17trampoline_kernelINS0_14default_configENS1_27scan_by_key_config_selectorIiiEEZZNS1_16scan_by_key_implILNS1_25lookback_scan_determinismE0ELb0ES3_N6thrust23THRUST_200600_302600_NS6detail15normal_iteratorINS9_10device_ptrIiEEEESE_SE_iNS9_4plusIvEENS9_8equal_toIiEEiEE10hipError_tPvRmT2_T3_T4_T5_mT6_T7_P12ihipStream_tbENKUlT_T0_E_clISt17integral_constantIbLb1EESY_IbLb0EEEEDaSU_SV_EUlSU_E_NS1_11comp_targetILNS1_3genE5ELNS1_11target_archE942ELNS1_3gpuE9ELNS1_3repE0EEENS1_30default_config_static_selectorELNS0_4arch9wavefront6targetE0EEEvT1_.num_agpr, 0
	.set _ZN7rocprim17ROCPRIM_400000_NS6detail17trampoline_kernelINS0_14default_configENS1_27scan_by_key_config_selectorIiiEEZZNS1_16scan_by_key_implILNS1_25lookback_scan_determinismE0ELb0ES3_N6thrust23THRUST_200600_302600_NS6detail15normal_iteratorINS9_10device_ptrIiEEEESE_SE_iNS9_4plusIvEENS9_8equal_toIiEEiEE10hipError_tPvRmT2_T3_T4_T5_mT6_T7_P12ihipStream_tbENKUlT_T0_E_clISt17integral_constantIbLb1EESY_IbLb0EEEEDaSU_SV_EUlSU_E_NS1_11comp_targetILNS1_3genE5ELNS1_11target_archE942ELNS1_3gpuE9ELNS1_3repE0EEENS1_30default_config_static_selectorELNS0_4arch9wavefront6targetE0EEEvT1_.numbered_sgpr, 0
	.set _ZN7rocprim17ROCPRIM_400000_NS6detail17trampoline_kernelINS0_14default_configENS1_27scan_by_key_config_selectorIiiEEZZNS1_16scan_by_key_implILNS1_25lookback_scan_determinismE0ELb0ES3_N6thrust23THRUST_200600_302600_NS6detail15normal_iteratorINS9_10device_ptrIiEEEESE_SE_iNS9_4plusIvEENS9_8equal_toIiEEiEE10hipError_tPvRmT2_T3_T4_T5_mT6_T7_P12ihipStream_tbENKUlT_T0_E_clISt17integral_constantIbLb1EESY_IbLb0EEEEDaSU_SV_EUlSU_E_NS1_11comp_targetILNS1_3genE5ELNS1_11target_archE942ELNS1_3gpuE9ELNS1_3repE0EEENS1_30default_config_static_selectorELNS0_4arch9wavefront6targetE0EEEvT1_.num_named_barrier, 0
	.set _ZN7rocprim17ROCPRIM_400000_NS6detail17trampoline_kernelINS0_14default_configENS1_27scan_by_key_config_selectorIiiEEZZNS1_16scan_by_key_implILNS1_25lookback_scan_determinismE0ELb0ES3_N6thrust23THRUST_200600_302600_NS6detail15normal_iteratorINS9_10device_ptrIiEEEESE_SE_iNS9_4plusIvEENS9_8equal_toIiEEiEE10hipError_tPvRmT2_T3_T4_T5_mT6_T7_P12ihipStream_tbENKUlT_T0_E_clISt17integral_constantIbLb1EESY_IbLb0EEEEDaSU_SV_EUlSU_E_NS1_11comp_targetILNS1_3genE5ELNS1_11target_archE942ELNS1_3gpuE9ELNS1_3repE0EEENS1_30default_config_static_selectorELNS0_4arch9wavefront6targetE0EEEvT1_.private_seg_size, 0
	.set _ZN7rocprim17ROCPRIM_400000_NS6detail17trampoline_kernelINS0_14default_configENS1_27scan_by_key_config_selectorIiiEEZZNS1_16scan_by_key_implILNS1_25lookback_scan_determinismE0ELb0ES3_N6thrust23THRUST_200600_302600_NS6detail15normal_iteratorINS9_10device_ptrIiEEEESE_SE_iNS9_4plusIvEENS9_8equal_toIiEEiEE10hipError_tPvRmT2_T3_T4_T5_mT6_T7_P12ihipStream_tbENKUlT_T0_E_clISt17integral_constantIbLb1EESY_IbLb0EEEEDaSU_SV_EUlSU_E_NS1_11comp_targetILNS1_3genE5ELNS1_11target_archE942ELNS1_3gpuE9ELNS1_3repE0EEENS1_30default_config_static_selectorELNS0_4arch9wavefront6targetE0EEEvT1_.uses_vcc, 0
	.set _ZN7rocprim17ROCPRIM_400000_NS6detail17trampoline_kernelINS0_14default_configENS1_27scan_by_key_config_selectorIiiEEZZNS1_16scan_by_key_implILNS1_25lookback_scan_determinismE0ELb0ES3_N6thrust23THRUST_200600_302600_NS6detail15normal_iteratorINS9_10device_ptrIiEEEESE_SE_iNS9_4plusIvEENS9_8equal_toIiEEiEE10hipError_tPvRmT2_T3_T4_T5_mT6_T7_P12ihipStream_tbENKUlT_T0_E_clISt17integral_constantIbLb1EESY_IbLb0EEEEDaSU_SV_EUlSU_E_NS1_11comp_targetILNS1_3genE5ELNS1_11target_archE942ELNS1_3gpuE9ELNS1_3repE0EEENS1_30default_config_static_selectorELNS0_4arch9wavefront6targetE0EEEvT1_.uses_flat_scratch, 0
	.set _ZN7rocprim17ROCPRIM_400000_NS6detail17trampoline_kernelINS0_14default_configENS1_27scan_by_key_config_selectorIiiEEZZNS1_16scan_by_key_implILNS1_25lookback_scan_determinismE0ELb0ES3_N6thrust23THRUST_200600_302600_NS6detail15normal_iteratorINS9_10device_ptrIiEEEESE_SE_iNS9_4plusIvEENS9_8equal_toIiEEiEE10hipError_tPvRmT2_T3_T4_T5_mT6_T7_P12ihipStream_tbENKUlT_T0_E_clISt17integral_constantIbLb1EESY_IbLb0EEEEDaSU_SV_EUlSU_E_NS1_11comp_targetILNS1_3genE5ELNS1_11target_archE942ELNS1_3gpuE9ELNS1_3repE0EEENS1_30default_config_static_selectorELNS0_4arch9wavefront6targetE0EEEvT1_.has_dyn_sized_stack, 0
	.set _ZN7rocprim17ROCPRIM_400000_NS6detail17trampoline_kernelINS0_14default_configENS1_27scan_by_key_config_selectorIiiEEZZNS1_16scan_by_key_implILNS1_25lookback_scan_determinismE0ELb0ES3_N6thrust23THRUST_200600_302600_NS6detail15normal_iteratorINS9_10device_ptrIiEEEESE_SE_iNS9_4plusIvEENS9_8equal_toIiEEiEE10hipError_tPvRmT2_T3_T4_T5_mT6_T7_P12ihipStream_tbENKUlT_T0_E_clISt17integral_constantIbLb1EESY_IbLb0EEEEDaSU_SV_EUlSU_E_NS1_11comp_targetILNS1_3genE5ELNS1_11target_archE942ELNS1_3gpuE9ELNS1_3repE0EEENS1_30default_config_static_selectorELNS0_4arch9wavefront6targetE0EEEvT1_.has_recursion, 0
	.set _ZN7rocprim17ROCPRIM_400000_NS6detail17trampoline_kernelINS0_14default_configENS1_27scan_by_key_config_selectorIiiEEZZNS1_16scan_by_key_implILNS1_25lookback_scan_determinismE0ELb0ES3_N6thrust23THRUST_200600_302600_NS6detail15normal_iteratorINS9_10device_ptrIiEEEESE_SE_iNS9_4plusIvEENS9_8equal_toIiEEiEE10hipError_tPvRmT2_T3_T4_T5_mT6_T7_P12ihipStream_tbENKUlT_T0_E_clISt17integral_constantIbLb1EESY_IbLb0EEEEDaSU_SV_EUlSU_E_NS1_11comp_targetILNS1_3genE5ELNS1_11target_archE942ELNS1_3gpuE9ELNS1_3repE0EEENS1_30default_config_static_selectorELNS0_4arch9wavefront6targetE0EEEvT1_.has_indirect_call, 0
	.section	.AMDGPU.csdata,"",@progbits
; Kernel info:
; codeLenInByte = 0
; TotalNumSgprs: 0
; NumVgprs: 0
; ScratchSize: 0
; MemoryBound: 0
; FloatMode: 240
; IeeeMode: 1
; LDSByteSize: 0 bytes/workgroup (compile time only)
; SGPRBlocks: 0
; VGPRBlocks: 0
; NumSGPRsForWavesPerEU: 1
; NumVGPRsForWavesPerEU: 1
; NamedBarCnt: 0
; Occupancy: 16
; WaveLimiterHint : 0
; COMPUTE_PGM_RSRC2:SCRATCH_EN: 0
; COMPUTE_PGM_RSRC2:USER_SGPR: 2
; COMPUTE_PGM_RSRC2:TRAP_HANDLER: 0
; COMPUTE_PGM_RSRC2:TGID_X_EN: 1
; COMPUTE_PGM_RSRC2:TGID_Y_EN: 0
; COMPUTE_PGM_RSRC2:TGID_Z_EN: 0
; COMPUTE_PGM_RSRC2:TIDIG_COMP_CNT: 0
	.section	.text._ZN7rocprim17ROCPRIM_400000_NS6detail17trampoline_kernelINS0_14default_configENS1_27scan_by_key_config_selectorIiiEEZZNS1_16scan_by_key_implILNS1_25lookback_scan_determinismE0ELb0ES3_N6thrust23THRUST_200600_302600_NS6detail15normal_iteratorINS9_10device_ptrIiEEEESE_SE_iNS9_4plusIvEENS9_8equal_toIiEEiEE10hipError_tPvRmT2_T3_T4_T5_mT6_T7_P12ihipStream_tbENKUlT_T0_E_clISt17integral_constantIbLb1EESY_IbLb0EEEEDaSU_SV_EUlSU_E_NS1_11comp_targetILNS1_3genE4ELNS1_11target_archE910ELNS1_3gpuE8ELNS1_3repE0EEENS1_30default_config_static_selectorELNS0_4arch9wavefront6targetE0EEEvT1_,"axG",@progbits,_ZN7rocprim17ROCPRIM_400000_NS6detail17trampoline_kernelINS0_14default_configENS1_27scan_by_key_config_selectorIiiEEZZNS1_16scan_by_key_implILNS1_25lookback_scan_determinismE0ELb0ES3_N6thrust23THRUST_200600_302600_NS6detail15normal_iteratorINS9_10device_ptrIiEEEESE_SE_iNS9_4plusIvEENS9_8equal_toIiEEiEE10hipError_tPvRmT2_T3_T4_T5_mT6_T7_P12ihipStream_tbENKUlT_T0_E_clISt17integral_constantIbLb1EESY_IbLb0EEEEDaSU_SV_EUlSU_E_NS1_11comp_targetILNS1_3genE4ELNS1_11target_archE910ELNS1_3gpuE8ELNS1_3repE0EEENS1_30default_config_static_selectorELNS0_4arch9wavefront6targetE0EEEvT1_,comdat
	.protected	_ZN7rocprim17ROCPRIM_400000_NS6detail17trampoline_kernelINS0_14default_configENS1_27scan_by_key_config_selectorIiiEEZZNS1_16scan_by_key_implILNS1_25lookback_scan_determinismE0ELb0ES3_N6thrust23THRUST_200600_302600_NS6detail15normal_iteratorINS9_10device_ptrIiEEEESE_SE_iNS9_4plusIvEENS9_8equal_toIiEEiEE10hipError_tPvRmT2_T3_T4_T5_mT6_T7_P12ihipStream_tbENKUlT_T0_E_clISt17integral_constantIbLb1EESY_IbLb0EEEEDaSU_SV_EUlSU_E_NS1_11comp_targetILNS1_3genE4ELNS1_11target_archE910ELNS1_3gpuE8ELNS1_3repE0EEENS1_30default_config_static_selectorELNS0_4arch9wavefront6targetE0EEEvT1_ ; -- Begin function _ZN7rocprim17ROCPRIM_400000_NS6detail17trampoline_kernelINS0_14default_configENS1_27scan_by_key_config_selectorIiiEEZZNS1_16scan_by_key_implILNS1_25lookback_scan_determinismE0ELb0ES3_N6thrust23THRUST_200600_302600_NS6detail15normal_iteratorINS9_10device_ptrIiEEEESE_SE_iNS9_4plusIvEENS9_8equal_toIiEEiEE10hipError_tPvRmT2_T3_T4_T5_mT6_T7_P12ihipStream_tbENKUlT_T0_E_clISt17integral_constantIbLb1EESY_IbLb0EEEEDaSU_SV_EUlSU_E_NS1_11comp_targetILNS1_3genE4ELNS1_11target_archE910ELNS1_3gpuE8ELNS1_3repE0EEENS1_30default_config_static_selectorELNS0_4arch9wavefront6targetE0EEEvT1_
	.globl	_ZN7rocprim17ROCPRIM_400000_NS6detail17trampoline_kernelINS0_14default_configENS1_27scan_by_key_config_selectorIiiEEZZNS1_16scan_by_key_implILNS1_25lookback_scan_determinismE0ELb0ES3_N6thrust23THRUST_200600_302600_NS6detail15normal_iteratorINS9_10device_ptrIiEEEESE_SE_iNS9_4plusIvEENS9_8equal_toIiEEiEE10hipError_tPvRmT2_T3_T4_T5_mT6_T7_P12ihipStream_tbENKUlT_T0_E_clISt17integral_constantIbLb1EESY_IbLb0EEEEDaSU_SV_EUlSU_E_NS1_11comp_targetILNS1_3genE4ELNS1_11target_archE910ELNS1_3gpuE8ELNS1_3repE0EEENS1_30default_config_static_selectorELNS0_4arch9wavefront6targetE0EEEvT1_
	.p2align	8
	.type	_ZN7rocprim17ROCPRIM_400000_NS6detail17trampoline_kernelINS0_14default_configENS1_27scan_by_key_config_selectorIiiEEZZNS1_16scan_by_key_implILNS1_25lookback_scan_determinismE0ELb0ES3_N6thrust23THRUST_200600_302600_NS6detail15normal_iteratorINS9_10device_ptrIiEEEESE_SE_iNS9_4plusIvEENS9_8equal_toIiEEiEE10hipError_tPvRmT2_T3_T4_T5_mT6_T7_P12ihipStream_tbENKUlT_T0_E_clISt17integral_constantIbLb1EESY_IbLb0EEEEDaSU_SV_EUlSU_E_NS1_11comp_targetILNS1_3genE4ELNS1_11target_archE910ELNS1_3gpuE8ELNS1_3repE0EEENS1_30default_config_static_selectorELNS0_4arch9wavefront6targetE0EEEvT1_,@function
_ZN7rocprim17ROCPRIM_400000_NS6detail17trampoline_kernelINS0_14default_configENS1_27scan_by_key_config_selectorIiiEEZZNS1_16scan_by_key_implILNS1_25lookback_scan_determinismE0ELb0ES3_N6thrust23THRUST_200600_302600_NS6detail15normal_iteratorINS9_10device_ptrIiEEEESE_SE_iNS9_4plusIvEENS9_8equal_toIiEEiEE10hipError_tPvRmT2_T3_T4_T5_mT6_T7_P12ihipStream_tbENKUlT_T0_E_clISt17integral_constantIbLb1EESY_IbLb0EEEEDaSU_SV_EUlSU_E_NS1_11comp_targetILNS1_3genE4ELNS1_11target_archE910ELNS1_3gpuE8ELNS1_3repE0EEENS1_30default_config_static_selectorELNS0_4arch9wavefront6targetE0EEEvT1_: ; @_ZN7rocprim17ROCPRIM_400000_NS6detail17trampoline_kernelINS0_14default_configENS1_27scan_by_key_config_selectorIiiEEZZNS1_16scan_by_key_implILNS1_25lookback_scan_determinismE0ELb0ES3_N6thrust23THRUST_200600_302600_NS6detail15normal_iteratorINS9_10device_ptrIiEEEESE_SE_iNS9_4plusIvEENS9_8equal_toIiEEiEE10hipError_tPvRmT2_T3_T4_T5_mT6_T7_P12ihipStream_tbENKUlT_T0_E_clISt17integral_constantIbLb1EESY_IbLb0EEEEDaSU_SV_EUlSU_E_NS1_11comp_targetILNS1_3genE4ELNS1_11target_archE910ELNS1_3gpuE8ELNS1_3repE0EEENS1_30default_config_static_selectorELNS0_4arch9wavefront6targetE0EEEvT1_
; %bb.0:
	.section	.rodata,"a",@progbits
	.p2align	6, 0x0
	.amdhsa_kernel _ZN7rocprim17ROCPRIM_400000_NS6detail17trampoline_kernelINS0_14default_configENS1_27scan_by_key_config_selectorIiiEEZZNS1_16scan_by_key_implILNS1_25lookback_scan_determinismE0ELb0ES3_N6thrust23THRUST_200600_302600_NS6detail15normal_iteratorINS9_10device_ptrIiEEEESE_SE_iNS9_4plusIvEENS9_8equal_toIiEEiEE10hipError_tPvRmT2_T3_T4_T5_mT6_T7_P12ihipStream_tbENKUlT_T0_E_clISt17integral_constantIbLb1EESY_IbLb0EEEEDaSU_SV_EUlSU_E_NS1_11comp_targetILNS1_3genE4ELNS1_11target_archE910ELNS1_3gpuE8ELNS1_3repE0EEENS1_30default_config_static_selectorELNS0_4arch9wavefront6targetE0EEEvT1_
		.amdhsa_group_segment_fixed_size 0
		.amdhsa_private_segment_fixed_size 0
		.amdhsa_kernarg_size 112
		.amdhsa_user_sgpr_count 2
		.amdhsa_user_sgpr_dispatch_ptr 0
		.amdhsa_user_sgpr_queue_ptr 0
		.amdhsa_user_sgpr_kernarg_segment_ptr 1
		.amdhsa_user_sgpr_dispatch_id 0
		.amdhsa_user_sgpr_kernarg_preload_length 0
		.amdhsa_user_sgpr_kernarg_preload_offset 0
		.amdhsa_user_sgpr_private_segment_size 0
		.amdhsa_wavefront_size32 1
		.amdhsa_uses_dynamic_stack 0
		.amdhsa_enable_private_segment 0
		.amdhsa_system_sgpr_workgroup_id_x 1
		.amdhsa_system_sgpr_workgroup_id_y 0
		.amdhsa_system_sgpr_workgroup_id_z 0
		.amdhsa_system_sgpr_workgroup_info 0
		.amdhsa_system_vgpr_workitem_id 0
		.amdhsa_next_free_vgpr 1
		.amdhsa_next_free_sgpr 1
		.amdhsa_named_barrier_count 0
		.amdhsa_reserve_vcc 0
		.amdhsa_float_round_mode_32 0
		.amdhsa_float_round_mode_16_64 0
		.amdhsa_float_denorm_mode_32 3
		.amdhsa_float_denorm_mode_16_64 3
		.amdhsa_fp16_overflow 0
		.amdhsa_memory_ordered 1
		.amdhsa_forward_progress 1
		.amdhsa_inst_pref_size 0
		.amdhsa_round_robin_scheduling 0
		.amdhsa_exception_fp_ieee_invalid_op 0
		.amdhsa_exception_fp_denorm_src 0
		.amdhsa_exception_fp_ieee_div_zero 0
		.amdhsa_exception_fp_ieee_overflow 0
		.amdhsa_exception_fp_ieee_underflow 0
		.amdhsa_exception_fp_ieee_inexact 0
		.amdhsa_exception_int_div_zero 0
	.end_amdhsa_kernel
	.section	.text._ZN7rocprim17ROCPRIM_400000_NS6detail17trampoline_kernelINS0_14default_configENS1_27scan_by_key_config_selectorIiiEEZZNS1_16scan_by_key_implILNS1_25lookback_scan_determinismE0ELb0ES3_N6thrust23THRUST_200600_302600_NS6detail15normal_iteratorINS9_10device_ptrIiEEEESE_SE_iNS9_4plusIvEENS9_8equal_toIiEEiEE10hipError_tPvRmT2_T3_T4_T5_mT6_T7_P12ihipStream_tbENKUlT_T0_E_clISt17integral_constantIbLb1EESY_IbLb0EEEEDaSU_SV_EUlSU_E_NS1_11comp_targetILNS1_3genE4ELNS1_11target_archE910ELNS1_3gpuE8ELNS1_3repE0EEENS1_30default_config_static_selectorELNS0_4arch9wavefront6targetE0EEEvT1_,"axG",@progbits,_ZN7rocprim17ROCPRIM_400000_NS6detail17trampoline_kernelINS0_14default_configENS1_27scan_by_key_config_selectorIiiEEZZNS1_16scan_by_key_implILNS1_25lookback_scan_determinismE0ELb0ES3_N6thrust23THRUST_200600_302600_NS6detail15normal_iteratorINS9_10device_ptrIiEEEESE_SE_iNS9_4plusIvEENS9_8equal_toIiEEiEE10hipError_tPvRmT2_T3_T4_T5_mT6_T7_P12ihipStream_tbENKUlT_T0_E_clISt17integral_constantIbLb1EESY_IbLb0EEEEDaSU_SV_EUlSU_E_NS1_11comp_targetILNS1_3genE4ELNS1_11target_archE910ELNS1_3gpuE8ELNS1_3repE0EEENS1_30default_config_static_selectorELNS0_4arch9wavefront6targetE0EEEvT1_,comdat
.Lfunc_end221:
	.size	_ZN7rocprim17ROCPRIM_400000_NS6detail17trampoline_kernelINS0_14default_configENS1_27scan_by_key_config_selectorIiiEEZZNS1_16scan_by_key_implILNS1_25lookback_scan_determinismE0ELb0ES3_N6thrust23THRUST_200600_302600_NS6detail15normal_iteratorINS9_10device_ptrIiEEEESE_SE_iNS9_4plusIvEENS9_8equal_toIiEEiEE10hipError_tPvRmT2_T3_T4_T5_mT6_T7_P12ihipStream_tbENKUlT_T0_E_clISt17integral_constantIbLb1EESY_IbLb0EEEEDaSU_SV_EUlSU_E_NS1_11comp_targetILNS1_3genE4ELNS1_11target_archE910ELNS1_3gpuE8ELNS1_3repE0EEENS1_30default_config_static_selectorELNS0_4arch9wavefront6targetE0EEEvT1_, .Lfunc_end221-_ZN7rocprim17ROCPRIM_400000_NS6detail17trampoline_kernelINS0_14default_configENS1_27scan_by_key_config_selectorIiiEEZZNS1_16scan_by_key_implILNS1_25lookback_scan_determinismE0ELb0ES3_N6thrust23THRUST_200600_302600_NS6detail15normal_iteratorINS9_10device_ptrIiEEEESE_SE_iNS9_4plusIvEENS9_8equal_toIiEEiEE10hipError_tPvRmT2_T3_T4_T5_mT6_T7_P12ihipStream_tbENKUlT_T0_E_clISt17integral_constantIbLb1EESY_IbLb0EEEEDaSU_SV_EUlSU_E_NS1_11comp_targetILNS1_3genE4ELNS1_11target_archE910ELNS1_3gpuE8ELNS1_3repE0EEENS1_30default_config_static_selectorELNS0_4arch9wavefront6targetE0EEEvT1_
                                        ; -- End function
	.set _ZN7rocprim17ROCPRIM_400000_NS6detail17trampoline_kernelINS0_14default_configENS1_27scan_by_key_config_selectorIiiEEZZNS1_16scan_by_key_implILNS1_25lookback_scan_determinismE0ELb0ES3_N6thrust23THRUST_200600_302600_NS6detail15normal_iteratorINS9_10device_ptrIiEEEESE_SE_iNS9_4plusIvEENS9_8equal_toIiEEiEE10hipError_tPvRmT2_T3_T4_T5_mT6_T7_P12ihipStream_tbENKUlT_T0_E_clISt17integral_constantIbLb1EESY_IbLb0EEEEDaSU_SV_EUlSU_E_NS1_11comp_targetILNS1_3genE4ELNS1_11target_archE910ELNS1_3gpuE8ELNS1_3repE0EEENS1_30default_config_static_selectorELNS0_4arch9wavefront6targetE0EEEvT1_.num_vgpr, 0
	.set _ZN7rocprim17ROCPRIM_400000_NS6detail17trampoline_kernelINS0_14default_configENS1_27scan_by_key_config_selectorIiiEEZZNS1_16scan_by_key_implILNS1_25lookback_scan_determinismE0ELb0ES3_N6thrust23THRUST_200600_302600_NS6detail15normal_iteratorINS9_10device_ptrIiEEEESE_SE_iNS9_4plusIvEENS9_8equal_toIiEEiEE10hipError_tPvRmT2_T3_T4_T5_mT6_T7_P12ihipStream_tbENKUlT_T0_E_clISt17integral_constantIbLb1EESY_IbLb0EEEEDaSU_SV_EUlSU_E_NS1_11comp_targetILNS1_3genE4ELNS1_11target_archE910ELNS1_3gpuE8ELNS1_3repE0EEENS1_30default_config_static_selectorELNS0_4arch9wavefront6targetE0EEEvT1_.num_agpr, 0
	.set _ZN7rocprim17ROCPRIM_400000_NS6detail17trampoline_kernelINS0_14default_configENS1_27scan_by_key_config_selectorIiiEEZZNS1_16scan_by_key_implILNS1_25lookback_scan_determinismE0ELb0ES3_N6thrust23THRUST_200600_302600_NS6detail15normal_iteratorINS9_10device_ptrIiEEEESE_SE_iNS9_4plusIvEENS9_8equal_toIiEEiEE10hipError_tPvRmT2_T3_T4_T5_mT6_T7_P12ihipStream_tbENKUlT_T0_E_clISt17integral_constantIbLb1EESY_IbLb0EEEEDaSU_SV_EUlSU_E_NS1_11comp_targetILNS1_3genE4ELNS1_11target_archE910ELNS1_3gpuE8ELNS1_3repE0EEENS1_30default_config_static_selectorELNS0_4arch9wavefront6targetE0EEEvT1_.numbered_sgpr, 0
	.set _ZN7rocprim17ROCPRIM_400000_NS6detail17trampoline_kernelINS0_14default_configENS1_27scan_by_key_config_selectorIiiEEZZNS1_16scan_by_key_implILNS1_25lookback_scan_determinismE0ELb0ES3_N6thrust23THRUST_200600_302600_NS6detail15normal_iteratorINS9_10device_ptrIiEEEESE_SE_iNS9_4plusIvEENS9_8equal_toIiEEiEE10hipError_tPvRmT2_T3_T4_T5_mT6_T7_P12ihipStream_tbENKUlT_T0_E_clISt17integral_constantIbLb1EESY_IbLb0EEEEDaSU_SV_EUlSU_E_NS1_11comp_targetILNS1_3genE4ELNS1_11target_archE910ELNS1_3gpuE8ELNS1_3repE0EEENS1_30default_config_static_selectorELNS0_4arch9wavefront6targetE0EEEvT1_.num_named_barrier, 0
	.set _ZN7rocprim17ROCPRIM_400000_NS6detail17trampoline_kernelINS0_14default_configENS1_27scan_by_key_config_selectorIiiEEZZNS1_16scan_by_key_implILNS1_25lookback_scan_determinismE0ELb0ES3_N6thrust23THRUST_200600_302600_NS6detail15normal_iteratorINS9_10device_ptrIiEEEESE_SE_iNS9_4plusIvEENS9_8equal_toIiEEiEE10hipError_tPvRmT2_T3_T4_T5_mT6_T7_P12ihipStream_tbENKUlT_T0_E_clISt17integral_constantIbLb1EESY_IbLb0EEEEDaSU_SV_EUlSU_E_NS1_11comp_targetILNS1_3genE4ELNS1_11target_archE910ELNS1_3gpuE8ELNS1_3repE0EEENS1_30default_config_static_selectorELNS0_4arch9wavefront6targetE0EEEvT1_.private_seg_size, 0
	.set _ZN7rocprim17ROCPRIM_400000_NS6detail17trampoline_kernelINS0_14default_configENS1_27scan_by_key_config_selectorIiiEEZZNS1_16scan_by_key_implILNS1_25lookback_scan_determinismE0ELb0ES3_N6thrust23THRUST_200600_302600_NS6detail15normal_iteratorINS9_10device_ptrIiEEEESE_SE_iNS9_4plusIvEENS9_8equal_toIiEEiEE10hipError_tPvRmT2_T3_T4_T5_mT6_T7_P12ihipStream_tbENKUlT_T0_E_clISt17integral_constantIbLb1EESY_IbLb0EEEEDaSU_SV_EUlSU_E_NS1_11comp_targetILNS1_3genE4ELNS1_11target_archE910ELNS1_3gpuE8ELNS1_3repE0EEENS1_30default_config_static_selectorELNS0_4arch9wavefront6targetE0EEEvT1_.uses_vcc, 0
	.set _ZN7rocprim17ROCPRIM_400000_NS6detail17trampoline_kernelINS0_14default_configENS1_27scan_by_key_config_selectorIiiEEZZNS1_16scan_by_key_implILNS1_25lookback_scan_determinismE0ELb0ES3_N6thrust23THRUST_200600_302600_NS6detail15normal_iteratorINS9_10device_ptrIiEEEESE_SE_iNS9_4plusIvEENS9_8equal_toIiEEiEE10hipError_tPvRmT2_T3_T4_T5_mT6_T7_P12ihipStream_tbENKUlT_T0_E_clISt17integral_constantIbLb1EESY_IbLb0EEEEDaSU_SV_EUlSU_E_NS1_11comp_targetILNS1_3genE4ELNS1_11target_archE910ELNS1_3gpuE8ELNS1_3repE0EEENS1_30default_config_static_selectorELNS0_4arch9wavefront6targetE0EEEvT1_.uses_flat_scratch, 0
	.set _ZN7rocprim17ROCPRIM_400000_NS6detail17trampoline_kernelINS0_14default_configENS1_27scan_by_key_config_selectorIiiEEZZNS1_16scan_by_key_implILNS1_25lookback_scan_determinismE0ELb0ES3_N6thrust23THRUST_200600_302600_NS6detail15normal_iteratorINS9_10device_ptrIiEEEESE_SE_iNS9_4plusIvEENS9_8equal_toIiEEiEE10hipError_tPvRmT2_T3_T4_T5_mT6_T7_P12ihipStream_tbENKUlT_T0_E_clISt17integral_constantIbLb1EESY_IbLb0EEEEDaSU_SV_EUlSU_E_NS1_11comp_targetILNS1_3genE4ELNS1_11target_archE910ELNS1_3gpuE8ELNS1_3repE0EEENS1_30default_config_static_selectorELNS0_4arch9wavefront6targetE0EEEvT1_.has_dyn_sized_stack, 0
	.set _ZN7rocprim17ROCPRIM_400000_NS6detail17trampoline_kernelINS0_14default_configENS1_27scan_by_key_config_selectorIiiEEZZNS1_16scan_by_key_implILNS1_25lookback_scan_determinismE0ELb0ES3_N6thrust23THRUST_200600_302600_NS6detail15normal_iteratorINS9_10device_ptrIiEEEESE_SE_iNS9_4plusIvEENS9_8equal_toIiEEiEE10hipError_tPvRmT2_T3_T4_T5_mT6_T7_P12ihipStream_tbENKUlT_T0_E_clISt17integral_constantIbLb1EESY_IbLb0EEEEDaSU_SV_EUlSU_E_NS1_11comp_targetILNS1_3genE4ELNS1_11target_archE910ELNS1_3gpuE8ELNS1_3repE0EEENS1_30default_config_static_selectorELNS0_4arch9wavefront6targetE0EEEvT1_.has_recursion, 0
	.set _ZN7rocprim17ROCPRIM_400000_NS6detail17trampoline_kernelINS0_14default_configENS1_27scan_by_key_config_selectorIiiEEZZNS1_16scan_by_key_implILNS1_25lookback_scan_determinismE0ELb0ES3_N6thrust23THRUST_200600_302600_NS6detail15normal_iteratorINS9_10device_ptrIiEEEESE_SE_iNS9_4plusIvEENS9_8equal_toIiEEiEE10hipError_tPvRmT2_T3_T4_T5_mT6_T7_P12ihipStream_tbENKUlT_T0_E_clISt17integral_constantIbLb1EESY_IbLb0EEEEDaSU_SV_EUlSU_E_NS1_11comp_targetILNS1_3genE4ELNS1_11target_archE910ELNS1_3gpuE8ELNS1_3repE0EEENS1_30default_config_static_selectorELNS0_4arch9wavefront6targetE0EEEvT1_.has_indirect_call, 0
	.section	.AMDGPU.csdata,"",@progbits
; Kernel info:
; codeLenInByte = 0
; TotalNumSgprs: 0
; NumVgprs: 0
; ScratchSize: 0
; MemoryBound: 0
; FloatMode: 240
; IeeeMode: 1
; LDSByteSize: 0 bytes/workgroup (compile time only)
; SGPRBlocks: 0
; VGPRBlocks: 0
; NumSGPRsForWavesPerEU: 1
; NumVGPRsForWavesPerEU: 1
; NamedBarCnt: 0
; Occupancy: 16
; WaveLimiterHint : 0
; COMPUTE_PGM_RSRC2:SCRATCH_EN: 0
; COMPUTE_PGM_RSRC2:USER_SGPR: 2
; COMPUTE_PGM_RSRC2:TRAP_HANDLER: 0
; COMPUTE_PGM_RSRC2:TGID_X_EN: 1
; COMPUTE_PGM_RSRC2:TGID_Y_EN: 0
; COMPUTE_PGM_RSRC2:TGID_Z_EN: 0
; COMPUTE_PGM_RSRC2:TIDIG_COMP_CNT: 0
	.section	.text._ZN7rocprim17ROCPRIM_400000_NS6detail17trampoline_kernelINS0_14default_configENS1_27scan_by_key_config_selectorIiiEEZZNS1_16scan_by_key_implILNS1_25lookback_scan_determinismE0ELb0ES3_N6thrust23THRUST_200600_302600_NS6detail15normal_iteratorINS9_10device_ptrIiEEEESE_SE_iNS9_4plusIvEENS9_8equal_toIiEEiEE10hipError_tPvRmT2_T3_T4_T5_mT6_T7_P12ihipStream_tbENKUlT_T0_E_clISt17integral_constantIbLb1EESY_IbLb0EEEEDaSU_SV_EUlSU_E_NS1_11comp_targetILNS1_3genE3ELNS1_11target_archE908ELNS1_3gpuE7ELNS1_3repE0EEENS1_30default_config_static_selectorELNS0_4arch9wavefront6targetE0EEEvT1_,"axG",@progbits,_ZN7rocprim17ROCPRIM_400000_NS6detail17trampoline_kernelINS0_14default_configENS1_27scan_by_key_config_selectorIiiEEZZNS1_16scan_by_key_implILNS1_25lookback_scan_determinismE0ELb0ES3_N6thrust23THRUST_200600_302600_NS6detail15normal_iteratorINS9_10device_ptrIiEEEESE_SE_iNS9_4plusIvEENS9_8equal_toIiEEiEE10hipError_tPvRmT2_T3_T4_T5_mT6_T7_P12ihipStream_tbENKUlT_T0_E_clISt17integral_constantIbLb1EESY_IbLb0EEEEDaSU_SV_EUlSU_E_NS1_11comp_targetILNS1_3genE3ELNS1_11target_archE908ELNS1_3gpuE7ELNS1_3repE0EEENS1_30default_config_static_selectorELNS0_4arch9wavefront6targetE0EEEvT1_,comdat
	.protected	_ZN7rocprim17ROCPRIM_400000_NS6detail17trampoline_kernelINS0_14default_configENS1_27scan_by_key_config_selectorIiiEEZZNS1_16scan_by_key_implILNS1_25lookback_scan_determinismE0ELb0ES3_N6thrust23THRUST_200600_302600_NS6detail15normal_iteratorINS9_10device_ptrIiEEEESE_SE_iNS9_4plusIvEENS9_8equal_toIiEEiEE10hipError_tPvRmT2_T3_T4_T5_mT6_T7_P12ihipStream_tbENKUlT_T0_E_clISt17integral_constantIbLb1EESY_IbLb0EEEEDaSU_SV_EUlSU_E_NS1_11comp_targetILNS1_3genE3ELNS1_11target_archE908ELNS1_3gpuE7ELNS1_3repE0EEENS1_30default_config_static_selectorELNS0_4arch9wavefront6targetE0EEEvT1_ ; -- Begin function _ZN7rocprim17ROCPRIM_400000_NS6detail17trampoline_kernelINS0_14default_configENS1_27scan_by_key_config_selectorIiiEEZZNS1_16scan_by_key_implILNS1_25lookback_scan_determinismE0ELb0ES3_N6thrust23THRUST_200600_302600_NS6detail15normal_iteratorINS9_10device_ptrIiEEEESE_SE_iNS9_4plusIvEENS9_8equal_toIiEEiEE10hipError_tPvRmT2_T3_T4_T5_mT6_T7_P12ihipStream_tbENKUlT_T0_E_clISt17integral_constantIbLb1EESY_IbLb0EEEEDaSU_SV_EUlSU_E_NS1_11comp_targetILNS1_3genE3ELNS1_11target_archE908ELNS1_3gpuE7ELNS1_3repE0EEENS1_30default_config_static_selectorELNS0_4arch9wavefront6targetE0EEEvT1_
	.globl	_ZN7rocprim17ROCPRIM_400000_NS6detail17trampoline_kernelINS0_14default_configENS1_27scan_by_key_config_selectorIiiEEZZNS1_16scan_by_key_implILNS1_25lookback_scan_determinismE0ELb0ES3_N6thrust23THRUST_200600_302600_NS6detail15normal_iteratorINS9_10device_ptrIiEEEESE_SE_iNS9_4plusIvEENS9_8equal_toIiEEiEE10hipError_tPvRmT2_T3_T4_T5_mT6_T7_P12ihipStream_tbENKUlT_T0_E_clISt17integral_constantIbLb1EESY_IbLb0EEEEDaSU_SV_EUlSU_E_NS1_11comp_targetILNS1_3genE3ELNS1_11target_archE908ELNS1_3gpuE7ELNS1_3repE0EEENS1_30default_config_static_selectorELNS0_4arch9wavefront6targetE0EEEvT1_
	.p2align	8
	.type	_ZN7rocprim17ROCPRIM_400000_NS6detail17trampoline_kernelINS0_14default_configENS1_27scan_by_key_config_selectorIiiEEZZNS1_16scan_by_key_implILNS1_25lookback_scan_determinismE0ELb0ES3_N6thrust23THRUST_200600_302600_NS6detail15normal_iteratorINS9_10device_ptrIiEEEESE_SE_iNS9_4plusIvEENS9_8equal_toIiEEiEE10hipError_tPvRmT2_T3_T4_T5_mT6_T7_P12ihipStream_tbENKUlT_T0_E_clISt17integral_constantIbLb1EESY_IbLb0EEEEDaSU_SV_EUlSU_E_NS1_11comp_targetILNS1_3genE3ELNS1_11target_archE908ELNS1_3gpuE7ELNS1_3repE0EEENS1_30default_config_static_selectorELNS0_4arch9wavefront6targetE0EEEvT1_,@function
_ZN7rocprim17ROCPRIM_400000_NS6detail17trampoline_kernelINS0_14default_configENS1_27scan_by_key_config_selectorIiiEEZZNS1_16scan_by_key_implILNS1_25lookback_scan_determinismE0ELb0ES3_N6thrust23THRUST_200600_302600_NS6detail15normal_iteratorINS9_10device_ptrIiEEEESE_SE_iNS9_4plusIvEENS9_8equal_toIiEEiEE10hipError_tPvRmT2_T3_T4_T5_mT6_T7_P12ihipStream_tbENKUlT_T0_E_clISt17integral_constantIbLb1EESY_IbLb0EEEEDaSU_SV_EUlSU_E_NS1_11comp_targetILNS1_3genE3ELNS1_11target_archE908ELNS1_3gpuE7ELNS1_3repE0EEENS1_30default_config_static_selectorELNS0_4arch9wavefront6targetE0EEEvT1_: ; @_ZN7rocprim17ROCPRIM_400000_NS6detail17trampoline_kernelINS0_14default_configENS1_27scan_by_key_config_selectorIiiEEZZNS1_16scan_by_key_implILNS1_25lookback_scan_determinismE0ELb0ES3_N6thrust23THRUST_200600_302600_NS6detail15normal_iteratorINS9_10device_ptrIiEEEESE_SE_iNS9_4plusIvEENS9_8equal_toIiEEiEE10hipError_tPvRmT2_T3_T4_T5_mT6_T7_P12ihipStream_tbENKUlT_T0_E_clISt17integral_constantIbLb1EESY_IbLb0EEEEDaSU_SV_EUlSU_E_NS1_11comp_targetILNS1_3genE3ELNS1_11target_archE908ELNS1_3gpuE7ELNS1_3repE0EEENS1_30default_config_static_selectorELNS0_4arch9wavefront6targetE0EEEvT1_
; %bb.0:
	.section	.rodata,"a",@progbits
	.p2align	6, 0x0
	.amdhsa_kernel _ZN7rocprim17ROCPRIM_400000_NS6detail17trampoline_kernelINS0_14default_configENS1_27scan_by_key_config_selectorIiiEEZZNS1_16scan_by_key_implILNS1_25lookback_scan_determinismE0ELb0ES3_N6thrust23THRUST_200600_302600_NS6detail15normal_iteratorINS9_10device_ptrIiEEEESE_SE_iNS9_4plusIvEENS9_8equal_toIiEEiEE10hipError_tPvRmT2_T3_T4_T5_mT6_T7_P12ihipStream_tbENKUlT_T0_E_clISt17integral_constantIbLb1EESY_IbLb0EEEEDaSU_SV_EUlSU_E_NS1_11comp_targetILNS1_3genE3ELNS1_11target_archE908ELNS1_3gpuE7ELNS1_3repE0EEENS1_30default_config_static_selectorELNS0_4arch9wavefront6targetE0EEEvT1_
		.amdhsa_group_segment_fixed_size 0
		.amdhsa_private_segment_fixed_size 0
		.amdhsa_kernarg_size 112
		.amdhsa_user_sgpr_count 2
		.amdhsa_user_sgpr_dispatch_ptr 0
		.amdhsa_user_sgpr_queue_ptr 0
		.amdhsa_user_sgpr_kernarg_segment_ptr 1
		.amdhsa_user_sgpr_dispatch_id 0
		.amdhsa_user_sgpr_kernarg_preload_length 0
		.amdhsa_user_sgpr_kernarg_preload_offset 0
		.amdhsa_user_sgpr_private_segment_size 0
		.amdhsa_wavefront_size32 1
		.amdhsa_uses_dynamic_stack 0
		.amdhsa_enable_private_segment 0
		.amdhsa_system_sgpr_workgroup_id_x 1
		.amdhsa_system_sgpr_workgroup_id_y 0
		.amdhsa_system_sgpr_workgroup_id_z 0
		.amdhsa_system_sgpr_workgroup_info 0
		.amdhsa_system_vgpr_workitem_id 0
		.amdhsa_next_free_vgpr 1
		.amdhsa_next_free_sgpr 1
		.amdhsa_named_barrier_count 0
		.amdhsa_reserve_vcc 0
		.amdhsa_float_round_mode_32 0
		.amdhsa_float_round_mode_16_64 0
		.amdhsa_float_denorm_mode_32 3
		.amdhsa_float_denorm_mode_16_64 3
		.amdhsa_fp16_overflow 0
		.amdhsa_memory_ordered 1
		.amdhsa_forward_progress 1
		.amdhsa_inst_pref_size 0
		.amdhsa_round_robin_scheduling 0
		.amdhsa_exception_fp_ieee_invalid_op 0
		.amdhsa_exception_fp_denorm_src 0
		.amdhsa_exception_fp_ieee_div_zero 0
		.amdhsa_exception_fp_ieee_overflow 0
		.amdhsa_exception_fp_ieee_underflow 0
		.amdhsa_exception_fp_ieee_inexact 0
		.amdhsa_exception_int_div_zero 0
	.end_amdhsa_kernel
	.section	.text._ZN7rocprim17ROCPRIM_400000_NS6detail17trampoline_kernelINS0_14default_configENS1_27scan_by_key_config_selectorIiiEEZZNS1_16scan_by_key_implILNS1_25lookback_scan_determinismE0ELb0ES3_N6thrust23THRUST_200600_302600_NS6detail15normal_iteratorINS9_10device_ptrIiEEEESE_SE_iNS9_4plusIvEENS9_8equal_toIiEEiEE10hipError_tPvRmT2_T3_T4_T5_mT6_T7_P12ihipStream_tbENKUlT_T0_E_clISt17integral_constantIbLb1EESY_IbLb0EEEEDaSU_SV_EUlSU_E_NS1_11comp_targetILNS1_3genE3ELNS1_11target_archE908ELNS1_3gpuE7ELNS1_3repE0EEENS1_30default_config_static_selectorELNS0_4arch9wavefront6targetE0EEEvT1_,"axG",@progbits,_ZN7rocprim17ROCPRIM_400000_NS6detail17trampoline_kernelINS0_14default_configENS1_27scan_by_key_config_selectorIiiEEZZNS1_16scan_by_key_implILNS1_25lookback_scan_determinismE0ELb0ES3_N6thrust23THRUST_200600_302600_NS6detail15normal_iteratorINS9_10device_ptrIiEEEESE_SE_iNS9_4plusIvEENS9_8equal_toIiEEiEE10hipError_tPvRmT2_T3_T4_T5_mT6_T7_P12ihipStream_tbENKUlT_T0_E_clISt17integral_constantIbLb1EESY_IbLb0EEEEDaSU_SV_EUlSU_E_NS1_11comp_targetILNS1_3genE3ELNS1_11target_archE908ELNS1_3gpuE7ELNS1_3repE0EEENS1_30default_config_static_selectorELNS0_4arch9wavefront6targetE0EEEvT1_,comdat
.Lfunc_end222:
	.size	_ZN7rocprim17ROCPRIM_400000_NS6detail17trampoline_kernelINS0_14default_configENS1_27scan_by_key_config_selectorIiiEEZZNS1_16scan_by_key_implILNS1_25lookback_scan_determinismE0ELb0ES3_N6thrust23THRUST_200600_302600_NS6detail15normal_iteratorINS9_10device_ptrIiEEEESE_SE_iNS9_4plusIvEENS9_8equal_toIiEEiEE10hipError_tPvRmT2_T3_T4_T5_mT6_T7_P12ihipStream_tbENKUlT_T0_E_clISt17integral_constantIbLb1EESY_IbLb0EEEEDaSU_SV_EUlSU_E_NS1_11comp_targetILNS1_3genE3ELNS1_11target_archE908ELNS1_3gpuE7ELNS1_3repE0EEENS1_30default_config_static_selectorELNS0_4arch9wavefront6targetE0EEEvT1_, .Lfunc_end222-_ZN7rocprim17ROCPRIM_400000_NS6detail17trampoline_kernelINS0_14default_configENS1_27scan_by_key_config_selectorIiiEEZZNS1_16scan_by_key_implILNS1_25lookback_scan_determinismE0ELb0ES3_N6thrust23THRUST_200600_302600_NS6detail15normal_iteratorINS9_10device_ptrIiEEEESE_SE_iNS9_4plusIvEENS9_8equal_toIiEEiEE10hipError_tPvRmT2_T3_T4_T5_mT6_T7_P12ihipStream_tbENKUlT_T0_E_clISt17integral_constantIbLb1EESY_IbLb0EEEEDaSU_SV_EUlSU_E_NS1_11comp_targetILNS1_3genE3ELNS1_11target_archE908ELNS1_3gpuE7ELNS1_3repE0EEENS1_30default_config_static_selectorELNS0_4arch9wavefront6targetE0EEEvT1_
                                        ; -- End function
	.set _ZN7rocprim17ROCPRIM_400000_NS6detail17trampoline_kernelINS0_14default_configENS1_27scan_by_key_config_selectorIiiEEZZNS1_16scan_by_key_implILNS1_25lookback_scan_determinismE0ELb0ES3_N6thrust23THRUST_200600_302600_NS6detail15normal_iteratorINS9_10device_ptrIiEEEESE_SE_iNS9_4plusIvEENS9_8equal_toIiEEiEE10hipError_tPvRmT2_T3_T4_T5_mT6_T7_P12ihipStream_tbENKUlT_T0_E_clISt17integral_constantIbLb1EESY_IbLb0EEEEDaSU_SV_EUlSU_E_NS1_11comp_targetILNS1_3genE3ELNS1_11target_archE908ELNS1_3gpuE7ELNS1_3repE0EEENS1_30default_config_static_selectorELNS0_4arch9wavefront6targetE0EEEvT1_.num_vgpr, 0
	.set _ZN7rocprim17ROCPRIM_400000_NS6detail17trampoline_kernelINS0_14default_configENS1_27scan_by_key_config_selectorIiiEEZZNS1_16scan_by_key_implILNS1_25lookback_scan_determinismE0ELb0ES3_N6thrust23THRUST_200600_302600_NS6detail15normal_iteratorINS9_10device_ptrIiEEEESE_SE_iNS9_4plusIvEENS9_8equal_toIiEEiEE10hipError_tPvRmT2_T3_T4_T5_mT6_T7_P12ihipStream_tbENKUlT_T0_E_clISt17integral_constantIbLb1EESY_IbLb0EEEEDaSU_SV_EUlSU_E_NS1_11comp_targetILNS1_3genE3ELNS1_11target_archE908ELNS1_3gpuE7ELNS1_3repE0EEENS1_30default_config_static_selectorELNS0_4arch9wavefront6targetE0EEEvT1_.num_agpr, 0
	.set _ZN7rocprim17ROCPRIM_400000_NS6detail17trampoline_kernelINS0_14default_configENS1_27scan_by_key_config_selectorIiiEEZZNS1_16scan_by_key_implILNS1_25lookback_scan_determinismE0ELb0ES3_N6thrust23THRUST_200600_302600_NS6detail15normal_iteratorINS9_10device_ptrIiEEEESE_SE_iNS9_4plusIvEENS9_8equal_toIiEEiEE10hipError_tPvRmT2_T3_T4_T5_mT6_T7_P12ihipStream_tbENKUlT_T0_E_clISt17integral_constantIbLb1EESY_IbLb0EEEEDaSU_SV_EUlSU_E_NS1_11comp_targetILNS1_3genE3ELNS1_11target_archE908ELNS1_3gpuE7ELNS1_3repE0EEENS1_30default_config_static_selectorELNS0_4arch9wavefront6targetE0EEEvT1_.numbered_sgpr, 0
	.set _ZN7rocprim17ROCPRIM_400000_NS6detail17trampoline_kernelINS0_14default_configENS1_27scan_by_key_config_selectorIiiEEZZNS1_16scan_by_key_implILNS1_25lookback_scan_determinismE0ELb0ES3_N6thrust23THRUST_200600_302600_NS6detail15normal_iteratorINS9_10device_ptrIiEEEESE_SE_iNS9_4plusIvEENS9_8equal_toIiEEiEE10hipError_tPvRmT2_T3_T4_T5_mT6_T7_P12ihipStream_tbENKUlT_T0_E_clISt17integral_constantIbLb1EESY_IbLb0EEEEDaSU_SV_EUlSU_E_NS1_11comp_targetILNS1_3genE3ELNS1_11target_archE908ELNS1_3gpuE7ELNS1_3repE0EEENS1_30default_config_static_selectorELNS0_4arch9wavefront6targetE0EEEvT1_.num_named_barrier, 0
	.set _ZN7rocprim17ROCPRIM_400000_NS6detail17trampoline_kernelINS0_14default_configENS1_27scan_by_key_config_selectorIiiEEZZNS1_16scan_by_key_implILNS1_25lookback_scan_determinismE0ELb0ES3_N6thrust23THRUST_200600_302600_NS6detail15normal_iteratorINS9_10device_ptrIiEEEESE_SE_iNS9_4plusIvEENS9_8equal_toIiEEiEE10hipError_tPvRmT2_T3_T4_T5_mT6_T7_P12ihipStream_tbENKUlT_T0_E_clISt17integral_constantIbLb1EESY_IbLb0EEEEDaSU_SV_EUlSU_E_NS1_11comp_targetILNS1_3genE3ELNS1_11target_archE908ELNS1_3gpuE7ELNS1_3repE0EEENS1_30default_config_static_selectorELNS0_4arch9wavefront6targetE0EEEvT1_.private_seg_size, 0
	.set _ZN7rocprim17ROCPRIM_400000_NS6detail17trampoline_kernelINS0_14default_configENS1_27scan_by_key_config_selectorIiiEEZZNS1_16scan_by_key_implILNS1_25lookback_scan_determinismE0ELb0ES3_N6thrust23THRUST_200600_302600_NS6detail15normal_iteratorINS9_10device_ptrIiEEEESE_SE_iNS9_4plusIvEENS9_8equal_toIiEEiEE10hipError_tPvRmT2_T3_T4_T5_mT6_T7_P12ihipStream_tbENKUlT_T0_E_clISt17integral_constantIbLb1EESY_IbLb0EEEEDaSU_SV_EUlSU_E_NS1_11comp_targetILNS1_3genE3ELNS1_11target_archE908ELNS1_3gpuE7ELNS1_3repE0EEENS1_30default_config_static_selectorELNS0_4arch9wavefront6targetE0EEEvT1_.uses_vcc, 0
	.set _ZN7rocprim17ROCPRIM_400000_NS6detail17trampoline_kernelINS0_14default_configENS1_27scan_by_key_config_selectorIiiEEZZNS1_16scan_by_key_implILNS1_25lookback_scan_determinismE0ELb0ES3_N6thrust23THRUST_200600_302600_NS6detail15normal_iteratorINS9_10device_ptrIiEEEESE_SE_iNS9_4plusIvEENS9_8equal_toIiEEiEE10hipError_tPvRmT2_T3_T4_T5_mT6_T7_P12ihipStream_tbENKUlT_T0_E_clISt17integral_constantIbLb1EESY_IbLb0EEEEDaSU_SV_EUlSU_E_NS1_11comp_targetILNS1_3genE3ELNS1_11target_archE908ELNS1_3gpuE7ELNS1_3repE0EEENS1_30default_config_static_selectorELNS0_4arch9wavefront6targetE0EEEvT1_.uses_flat_scratch, 0
	.set _ZN7rocprim17ROCPRIM_400000_NS6detail17trampoline_kernelINS0_14default_configENS1_27scan_by_key_config_selectorIiiEEZZNS1_16scan_by_key_implILNS1_25lookback_scan_determinismE0ELb0ES3_N6thrust23THRUST_200600_302600_NS6detail15normal_iteratorINS9_10device_ptrIiEEEESE_SE_iNS9_4plusIvEENS9_8equal_toIiEEiEE10hipError_tPvRmT2_T3_T4_T5_mT6_T7_P12ihipStream_tbENKUlT_T0_E_clISt17integral_constantIbLb1EESY_IbLb0EEEEDaSU_SV_EUlSU_E_NS1_11comp_targetILNS1_3genE3ELNS1_11target_archE908ELNS1_3gpuE7ELNS1_3repE0EEENS1_30default_config_static_selectorELNS0_4arch9wavefront6targetE0EEEvT1_.has_dyn_sized_stack, 0
	.set _ZN7rocprim17ROCPRIM_400000_NS6detail17trampoline_kernelINS0_14default_configENS1_27scan_by_key_config_selectorIiiEEZZNS1_16scan_by_key_implILNS1_25lookback_scan_determinismE0ELb0ES3_N6thrust23THRUST_200600_302600_NS6detail15normal_iteratorINS9_10device_ptrIiEEEESE_SE_iNS9_4plusIvEENS9_8equal_toIiEEiEE10hipError_tPvRmT2_T3_T4_T5_mT6_T7_P12ihipStream_tbENKUlT_T0_E_clISt17integral_constantIbLb1EESY_IbLb0EEEEDaSU_SV_EUlSU_E_NS1_11comp_targetILNS1_3genE3ELNS1_11target_archE908ELNS1_3gpuE7ELNS1_3repE0EEENS1_30default_config_static_selectorELNS0_4arch9wavefront6targetE0EEEvT1_.has_recursion, 0
	.set _ZN7rocprim17ROCPRIM_400000_NS6detail17trampoline_kernelINS0_14default_configENS1_27scan_by_key_config_selectorIiiEEZZNS1_16scan_by_key_implILNS1_25lookback_scan_determinismE0ELb0ES3_N6thrust23THRUST_200600_302600_NS6detail15normal_iteratorINS9_10device_ptrIiEEEESE_SE_iNS9_4plusIvEENS9_8equal_toIiEEiEE10hipError_tPvRmT2_T3_T4_T5_mT6_T7_P12ihipStream_tbENKUlT_T0_E_clISt17integral_constantIbLb1EESY_IbLb0EEEEDaSU_SV_EUlSU_E_NS1_11comp_targetILNS1_3genE3ELNS1_11target_archE908ELNS1_3gpuE7ELNS1_3repE0EEENS1_30default_config_static_selectorELNS0_4arch9wavefront6targetE0EEEvT1_.has_indirect_call, 0
	.section	.AMDGPU.csdata,"",@progbits
; Kernel info:
; codeLenInByte = 0
; TotalNumSgprs: 0
; NumVgprs: 0
; ScratchSize: 0
; MemoryBound: 0
; FloatMode: 240
; IeeeMode: 1
; LDSByteSize: 0 bytes/workgroup (compile time only)
; SGPRBlocks: 0
; VGPRBlocks: 0
; NumSGPRsForWavesPerEU: 1
; NumVGPRsForWavesPerEU: 1
; NamedBarCnt: 0
; Occupancy: 16
; WaveLimiterHint : 0
; COMPUTE_PGM_RSRC2:SCRATCH_EN: 0
; COMPUTE_PGM_RSRC2:USER_SGPR: 2
; COMPUTE_PGM_RSRC2:TRAP_HANDLER: 0
; COMPUTE_PGM_RSRC2:TGID_X_EN: 1
; COMPUTE_PGM_RSRC2:TGID_Y_EN: 0
; COMPUTE_PGM_RSRC2:TGID_Z_EN: 0
; COMPUTE_PGM_RSRC2:TIDIG_COMP_CNT: 0
	.section	.text._ZN7rocprim17ROCPRIM_400000_NS6detail17trampoline_kernelINS0_14default_configENS1_27scan_by_key_config_selectorIiiEEZZNS1_16scan_by_key_implILNS1_25lookback_scan_determinismE0ELb0ES3_N6thrust23THRUST_200600_302600_NS6detail15normal_iteratorINS9_10device_ptrIiEEEESE_SE_iNS9_4plusIvEENS9_8equal_toIiEEiEE10hipError_tPvRmT2_T3_T4_T5_mT6_T7_P12ihipStream_tbENKUlT_T0_E_clISt17integral_constantIbLb1EESY_IbLb0EEEEDaSU_SV_EUlSU_E_NS1_11comp_targetILNS1_3genE2ELNS1_11target_archE906ELNS1_3gpuE6ELNS1_3repE0EEENS1_30default_config_static_selectorELNS0_4arch9wavefront6targetE0EEEvT1_,"axG",@progbits,_ZN7rocprim17ROCPRIM_400000_NS6detail17trampoline_kernelINS0_14default_configENS1_27scan_by_key_config_selectorIiiEEZZNS1_16scan_by_key_implILNS1_25lookback_scan_determinismE0ELb0ES3_N6thrust23THRUST_200600_302600_NS6detail15normal_iteratorINS9_10device_ptrIiEEEESE_SE_iNS9_4plusIvEENS9_8equal_toIiEEiEE10hipError_tPvRmT2_T3_T4_T5_mT6_T7_P12ihipStream_tbENKUlT_T0_E_clISt17integral_constantIbLb1EESY_IbLb0EEEEDaSU_SV_EUlSU_E_NS1_11comp_targetILNS1_3genE2ELNS1_11target_archE906ELNS1_3gpuE6ELNS1_3repE0EEENS1_30default_config_static_selectorELNS0_4arch9wavefront6targetE0EEEvT1_,comdat
	.protected	_ZN7rocprim17ROCPRIM_400000_NS6detail17trampoline_kernelINS0_14default_configENS1_27scan_by_key_config_selectorIiiEEZZNS1_16scan_by_key_implILNS1_25lookback_scan_determinismE0ELb0ES3_N6thrust23THRUST_200600_302600_NS6detail15normal_iteratorINS9_10device_ptrIiEEEESE_SE_iNS9_4plusIvEENS9_8equal_toIiEEiEE10hipError_tPvRmT2_T3_T4_T5_mT6_T7_P12ihipStream_tbENKUlT_T0_E_clISt17integral_constantIbLb1EESY_IbLb0EEEEDaSU_SV_EUlSU_E_NS1_11comp_targetILNS1_3genE2ELNS1_11target_archE906ELNS1_3gpuE6ELNS1_3repE0EEENS1_30default_config_static_selectorELNS0_4arch9wavefront6targetE0EEEvT1_ ; -- Begin function _ZN7rocprim17ROCPRIM_400000_NS6detail17trampoline_kernelINS0_14default_configENS1_27scan_by_key_config_selectorIiiEEZZNS1_16scan_by_key_implILNS1_25lookback_scan_determinismE0ELb0ES3_N6thrust23THRUST_200600_302600_NS6detail15normal_iteratorINS9_10device_ptrIiEEEESE_SE_iNS9_4plusIvEENS9_8equal_toIiEEiEE10hipError_tPvRmT2_T3_T4_T5_mT6_T7_P12ihipStream_tbENKUlT_T0_E_clISt17integral_constantIbLb1EESY_IbLb0EEEEDaSU_SV_EUlSU_E_NS1_11comp_targetILNS1_3genE2ELNS1_11target_archE906ELNS1_3gpuE6ELNS1_3repE0EEENS1_30default_config_static_selectorELNS0_4arch9wavefront6targetE0EEEvT1_
	.globl	_ZN7rocprim17ROCPRIM_400000_NS6detail17trampoline_kernelINS0_14default_configENS1_27scan_by_key_config_selectorIiiEEZZNS1_16scan_by_key_implILNS1_25lookback_scan_determinismE0ELb0ES3_N6thrust23THRUST_200600_302600_NS6detail15normal_iteratorINS9_10device_ptrIiEEEESE_SE_iNS9_4plusIvEENS9_8equal_toIiEEiEE10hipError_tPvRmT2_T3_T4_T5_mT6_T7_P12ihipStream_tbENKUlT_T0_E_clISt17integral_constantIbLb1EESY_IbLb0EEEEDaSU_SV_EUlSU_E_NS1_11comp_targetILNS1_3genE2ELNS1_11target_archE906ELNS1_3gpuE6ELNS1_3repE0EEENS1_30default_config_static_selectorELNS0_4arch9wavefront6targetE0EEEvT1_
	.p2align	8
	.type	_ZN7rocprim17ROCPRIM_400000_NS6detail17trampoline_kernelINS0_14default_configENS1_27scan_by_key_config_selectorIiiEEZZNS1_16scan_by_key_implILNS1_25lookback_scan_determinismE0ELb0ES3_N6thrust23THRUST_200600_302600_NS6detail15normal_iteratorINS9_10device_ptrIiEEEESE_SE_iNS9_4plusIvEENS9_8equal_toIiEEiEE10hipError_tPvRmT2_T3_T4_T5_mT6_T7_P12ihipStream_tbENKUlT_T0_E_clISt17integral_constantIbLb1EESY_IbLb0EEEEDaSU_SV_EUlSU_E_NS1_11comp_targetILNS1_3genE2ELNS1_11target_archE906ELNS1_3gpuE6ELNS1_3repE0EEENS1_30default_config_static_selectorELNS0_4arch9wavefront6targetE0EEEvT1_,@function
_ZN7rocprim17ROCPRIM_400000_NS6detail17trampoline_kernelINS0_14default_configENS1_27scan_by_key_config_selectorIiiEEZZNS1_16scan_by_key_implILNS1_25lookback_scan_determinismE0ELb0ES3_N6thrust23THRUST_200600_302600_NS6detail15normal_iteratorINS9_10device_ptrIiEEEESE_SE_iNS9_4plusIvEENS9_8equal_toIiEEiEE10hipError_tPvRmT2_T3_T4_T5_mT6_T7_P12ihipStream_tbENKUlT_T0_E_clISt17integral_constantIbLb1EESY_IbLb0EEEEDaSU_SV_EUlSU_E_NS1_11comp_targetILNS1_3genE2ELNS1_11target_archE906ELNS1_3gpuE6ELNS1_3repE0EEENS1_30default_config_static_selectorELNS0_4arch9wavefront6targetE0EEEvT1_: ; @_ZN7rocprim17ROCPRIM_400000_NS6detail17trampoline_kernelINS0_14default_configENS1_27scan_by_key_config_selectorIiiEEZZNS1_16scan_by_key_implILNS1_25lookback_scan_determinismE0ELb0ES3_N6thrust23THRUST_200600_302600_NS6detail15normal_iteratorINS9_10device_ptrIiEEEESE_SE_iNS9_4plusIvEENS9_8equal_toIiEEiEE10hipError_tPvRmT2_T3_T4_T5_mT6_T7_P12ihipStream_tbENKUlT_T0_E_clISt17integral_constantIbLb1EESY_IbLb0EEEEDaSU_SV_EUlSU_E_NS1_11comp_targetILNS1_3genE2ELNS1_11target_archE906ELNS1_3gpuE6ELNS1_3repE0EEENS1_30default_config_static_selectorELNS0_4arch9wavefront6targetE0EEEvT1_
; %bb.0:
	.section	.rodata,"a",@progbits
	.p2align	6, 0x0
	.amdhsa_kernel _ZN7rocprim17ROCPRIM_400000_NS6detail17trampoline_kernelINS0_14default_configENS1_27scan_by_key_config_selectorIiiEEZZNS1_16scan_by_key_implILNS1_25lookback_scan_determinismE0ELb0ES3_N6thrust23THRUST_200600_302600_NS6detail15normal_iteratorINS9_10device_ptrIiEEEESE_SE_iNS9_4plusIvEENS9_8equal_toIiEEiEE10hipError_tPvRmT2_T3_T4_T5_mT6_T7_P12ihipStream_tbENKUlT_T0_E_clISt17integral_constantIbLb1EESY_IbLb0EEEEDaSU_SV_EUlSU_E_NS1_11comp_targetILNS1_3genE2ELNS1_11target_archE906ELNS1_3gpuE6ELNS1_3repE0EEENS1_30default_config_static_selectorELNS0_4arch9wavefront6targetE0EEEvT1_
		.amdhsa_group_segment_fixed_size 0
		.amdhsa_private_segment_fixed_size 0
		.amdhsa_kernarg_size 112
		.amdhsa_user_sgpr_count 2
		.amdhsa_user_sgpr_dispatch_ptr 0
		.amdhsa_user_sgpr_queue_ptr 0
		.amdhsa_user_sgpr_kernarg_segment_ptr 1
		.amdhsa_user_sgpr_dispatch_id 0
		.amdhsa_user_sgpr_kernarg_preload_length 0
		.amdhsa_user_sgpr_kernarg_preload_offset 0
		.amdhsa_user_sgpr_private_segment_size 0
		.amdhsa_wavefront_size32 1
		.amdhsa_uses_dynamic_stack 0
		.amdhsa_enable_private_segment 0
		.amdhsa_system_sgpr_workgroup_id_x 1
		.amdhsa_system_sgpr_workgroup_id_y 0
		.amdhsa_system_sgpr_workgroup_id_z 0
		.amdhsa_system_sgpr_workgroup_info 0
		.amdhsa_system_vgpr_workitem_id 0
		.amdhsa_next_free_vgpr 1
		.amdhsa_next_free_sgpr 1
		.amdhsa_named_barrier_count 0
		.amdhsa_reserve_vcc 0
		.amdhsa_float_round_mode_32 0
		.amdhsa_float_round_mode_16_64 0
		.amdhsa_float_denorm_mode_32 3
		.amdhsa_float_denorm_mode_16_64 3
		.amdhsa_fp16_overflow 0
		.amdhsa_memory_ordered 1
		.amdhsa_forward_progress 1
		.amdhsa_inst_pref_size 0
		.amdhsa_round_robin_scheduling 0
		.amdhsa_exception_fp_ieee_invalid_op 0
		.amdhsa_exception_fp_denorm_src 0
		.amdhsa_exception_fp_ieee_div_zero 0
		.amdhsa_exception_fp_ieee_overflow 0
		.amdhsa_exception_fp_ieee_underflow 0
		.amdhsa_exception_fp_ieee_inexact 0
		.amdhsa_exception_int_div_zero 0
	.end_amdhsa_kernel
	.section	.text._ZN7rocprim17ROCPRIM_400000_NS6detail17trampoline_kernelINS0_14default_configENS1_27scan_by_key_config_selectorIiiEEZZNS1_16scan_by_key_implILNS1_25lookback_scan_determinismE0ELb0ES3_N6thrust23THRUST_200600_302600_NS6detail15normal_iteratorINS9_10device_ptrIiEEEESE_SE_iNS9_4plusIvEENS9_8equal_toIiEEiEE10hipError_tPvRmT2_T3_T4_T5_mT6_T7_P12ihipStream_tbENKUlT_T0_E_clISt17integral_constantIbLb1EESY_IbLb0EEEEDaSU_SV_EUlSU_E_NS1_11comp_targetILNS1_3genE2ELNS1_11target_archE906ELNS1_3gpuE6ELNS1_3repE0EEENS1_30default_config_static_selectorELNS0_4arch9wavefront6targetE0EEEvT1_,"axG",@progbits,_ZN7rocprim17ROCPRIM_400000_NS6detail17trampoline_kernelINS0_14default_configENS1_27scan_by_key_config_selectorIiiEEZZNS1_16scan_by_key_implILNS1_25lookback_scan_determinismE0ELb0ES3_N6thrust23THRUST_200600_302600_NS6detail15normal_iteratorINS9_10device_ptrIiEEEESE_SE_iNS9_4plusIvEENS9_8equal_toIiEEiEE10hipError_tPvRmT2_T3_T4_T5_mT6_T7_P12ihipStream_tbENKUlT_T0_E_clISt17integral_constantIbLb1EESY_IbLb0EEEEDaSU_SV_EUlSU_E_NS1_11comp_targetILNS1_3genE2ELNS1_11target_archE906ELNS1_3gpuE6ELNS1_3repE0EEENS1_30default_config_static_selectorELNS0_4arch9wavefront6targetE0EEEvT1_,comdat
.Lfunc_end223:
	.size	_ZN7rocprim17ROCPRIM_400000_NS6detail17trampoline_kernelINS0_14default_configENS1_27scan_by_key_config_selectorIiiEEZZNS1_16scan_by_key_implILNS1_25lookback_scan_determinismE0ELb0ES3_N6thrust23THRUST_200600_302600_NS6detail15normal_iteratorINS9_10device_ptrIiEEEESE_SE_iNS9_4plusIvEENS9_8equal_toIiEEiEE10hipError_tPvRmT2_T3_T4_T5_mT6_T7_P12ihipStream_tbENKUlT_T0_E_clISt17integral_constantIbLb1EESY_IbLb0EEEEDaSU_SV_EUlSU_E_NS1_11comp_targetILNS1_3genE2ELNS1_11target_archE906ELNS1_3gpuE6ELNS1_3repE0EEENS1_30default_config_static_selectorELNS0_4arch9wavefront6targetE0EEEvT1_, .Lfunc_end223-_ZN7rocprim17ROCPRIM_400000_NS6detail17trampoline_kernelINS0_14default_configENS1_27scan_by_key_config_selectorIiiEEZZNS1_16scan_by_key_implILNS1_25lookback_scan_determinismE0ELb0ES3_N6thrust23THRUST_200600_302600_NS6detail15normal_iteratorINS9_10device_ptrIiEEEESE_SE_iNS9_4plusIvEENS9_8equal_toIiEEiEE10hipError_tPvRmT2_T3_T4_T5_mT6_T7_P12ihipStream_tbENKUlT_T0_E_clISt17integral_constantIbLb1EESY_IbLb0EEEEDaSU_SV_EUlSU_E_NS1_11comp_targetILNS1_3genE2ELNS1_11target_archE906ELNS1_3gpuE6ELNS1_3repE0EEENS1_30default_config_static_selectorELNS0_4arch9wavefront6targetE0EEEvT1_
                                        ; -- End function
	.set _ZN7rocprim17ROCPRIM_400000_NS6detail17trampoline_kernelINS0_14default_configENS1_27scan_by_key_config_selectorIiiEEZZNS1_16scan_by_key_implILNS1_25lookback_scan_determinismE0ELb0ES3_N6thrust23THRUST_200600_302600_NS6detail15normal_iteratorINS9_10device_ptrIiEEEESE_SE_iNS9_4plusIvEENS9_8equal_toIiEEiEE10hipError_tPvRmT2_T3_T4_T5_mT6_T7_P12ihipStream_tbENKUlT_T0_E_clISt17integral_constantIbLb1EESY_IbLb0EEEEDaSU_SV_EUlSU_E_NS1_11comp_targetILNS1_3genE2ELNS1_11target_archE906ELNS1_3gpuE6ELNS1_3repE0EEENS1_30default_config_static_selectorELNS0_4arch9wavefront6targetE0EEEvT1_.num_vgpr, 0
	.set _ZN7rocprim17ROCPRIM_400000_NS6detail17trampoline_kernelINS0_14default_configENS1_27scan_by_key_config_selectorIiiEEZZNS1_16scan_by_key_implILNS1_25lookback_scan_determinismE0ELb0ES3_N6thrust23THRUST_200600_302600_NS6detail15normal_iteratorINS9_10device_ptrIiEEEESE_SE_iNS9_4plusIvEENS9_8equal_toIiEEiEE10hipError_tPvRmT2_T3_T4_T5_mT6_T7_P12ihipStream_tbENKUlT_T0_E_clISt17integral_constantIbLb1EESY_IbLb0EEEEDaSU_SV_EUlSU_E_NS1_11comp_targetILNS1_3genE2ELNS1_11target_archE906ELNS1_3gpuE6ELNS1_3repE0EEENS1_30default_config_static_selectorELNS0_4arch9wavefront6targetE0EEEvT1_.num_agpr, 0
	.set _ZN7rocprim17ROCPRIM_400000_NS6detail17trampoline_kernelINS0_14default_configENS1_27scan_by_key_config_selectorIiiEEZZNS1_16scan_by_key_implILNS1_25lookback_scan_determinismE0ELb0ES3_N6thrust23THRUST_200600_302600_NS6detail15normal_iteratorINS9_10device_ptrIiEEEESE_SE_iNS9_4plusIvEENS9_8equal_toIiEEiEE10hipError_tPvRmT2_T3_T4_T5_mT6_T7_P12ihipStream_tbENKUlT_T0_E_clISt17integral_constantIbLb1EESY_IbLb0EEEEDaSU_SV_EUlSU_E_NS1_11comp_targetILNS1_3genE2ELNS1_11target_archE906ELNS1_3gpuE6ELNS1_3repE0EEENS1_30default_config_static_selectorELNS0_4arch9wavefront6targetE0EEEvT1_.numbered_sgpr, 0
	.set _ZN7rocprim17ROCPRIM_400000_NS6detail17trampoline_kernelINS0_14default_configENS1_27scan_by_key_config_selectorIiiEEZZNS1_16scan_by_key_implILNS1_25lookback_scan_determinismE0ELb0ES3_N6thrust23THRUST_200600_302600_NS6detail15normal_iteratorINS9_10device_ptrIiEEEESE_SE_iNS9_4plusIvEENS9_8equal_toIiEEiEE10hipError_tPvRmT2_T3_T4_T5_mT6_T7_P12ihipStream_tbENKUlT_T0_E_clISt17integral_constantIbLb1EESY_IbLb0EEEEDaSU_SV_EUlSU_E_NS1_11comp_targetILNS1_3genE2ELNS1_11target_archE906ELNS1_3gpuE6ELNS1_3repE0EEENS1_30default_config_static_selectorELNS0_4arch9wavefront6targetE0EEEvT1_.num_named_barrier, 0
	.set _ZN7rocprim17ROCPRIM_400000_NS6detail17trampoline_kernelINS0_14default_configENS1_27scan_by_key_config_selectorIiiEEZZNS1_16scan_by_key_implILNS1_25lookback_scan_determinismE0ELb0ES3_N6thrust23THRUST_200600_302600_NS6detail15normal_iteratorINS9_10device_ptrIiEEEESE_SE_iNS9_4plusIvEENS9_8equal_toIiEEiEE10hipError_tPvRmT2_T3_T4_T5_mT6_T7_P12ihipStream_tbENKUlT_T0_E_clISt17integral_constantIbLb1EESY_IbLb0EEEEDaSU_SV_EUlSU_E_NS1_11comp_targetILNS1_3genE2ELNS1_11target_archE906ELNS1_3gpuE6ELNS1_3repE0EEENS1_30default_config_static_selectorELNS0_4arch9wavefront6targetE0EEEvT1_.private_seg_size, 0
	.set _ZN7rocprim17ROCPRIM_400000_NS6detail17trampoline_kernelINS0_14default_configENS1_27scan_by_key_config_selectorIiiEEZZNS1_16scan_by_key_implILNS1_25lookback_scan_determinismE0ELb0ES3_N6thrust23THRUST_200600_302600_NS6detail15normal_iteratorINS9_10device_ptrIiEEEESE_SE_iNS9_4plusIvEENS9_8equal_toIiEEiEE10hipError_tPvRmT2_T3_T4_T5_mT6_T7_P12ihipStream_tbENKUlT_T0_E_clISt17integral_constantIbLb1EESY_IbLb0EEEEDaSU_SV_EUlSU_E_NS1_11comp_targetILNS1_3genE2ELNS1_11target_archE906ELNS1_3gpuE6ELNS1_3repE0EEENS1_30default_config_static_selectorELNS0_4arch9wavefront6targetE0EEEvT1_.uses_vcc, 0
	.set _ZN7rocprim17ROCPRIM_400000_NS6detail17trampoline_kernelINS0_14default_configENS1_27scan_by_key_config_selectorIiiEEZZNS1_16scan_by_key_implILNS1_25lookback_scan_determinismE0ELb0ES3_N6thrust23THRUST_200600_302600_NS6detail15normal_iteratorINS9_10device_ptrIiEEEESE_SE_iNS9_4plusIvEENS9_8equal_toIiEEiEE10hipError_tPvRmT2_T3_T4_T5_mT6_T7_P12ihipStream_tbENKUlT_T0_E_clISt17integral_constantIbLb1EESY_IbLb0EEEEDaSU_SV_EUlSU_E_NS1_11comp_targetILNS1_3genE2ELNS1_11target_archE906ELNS1_3gpuE6ELNS1_3repE0EEENS1_30default_config_static_selectorELNS0_4arch9wavefront6targetE0EEEvT1_.uses_flat_scratch, 0
	.set _ZN7rocprim17ROCPRIM_400000_NS6detail17trampoline_kernelINS0_14default_configENS1_27scan_by_key_config_selectorIiiEEZZNS1_16scan_by_key_implILNS1_25lookback_scan_determinismE0ELb0ES3_N6thrust23THRUST_200600_302600_NS6detail15normal_iteratorINS9_10device_ptrIiEEEESE_SE_iNS9_4plusIvEENS9_8equal_toIiEEiEE10hipError_tPvRmT2_T3_T4_T5_mT6_T7_P12ihipStream_tbENKUlT_T0_E_clISt17integral_constantIbLb1EESY_IbLb0EEEEDaSU_SV_EUlSU_E_NS1_11comp_targetILNS1_3genE2ELNS1_11target_archE906ELNS1_3gpuE6ELNS1_3repE0EEENS1_30default_config_static_selectorELNS0_4arch9wavefront6targetE0EEEvT1_.has_dyn_sized_stack, 0
	.set _ZN7rocprim17ROCPRIM_400000_NS6detail17trampoline_kernelINS0_14default_configENS1_27scan_by_key_config_selectorIiiEEZZNS1_16scan_by_key_implILNS1_25lookback_scan_determinismE0ELb0ES3_N6thrust23THRUST_200600_302600_NS6detail15normal_iteratorINS9_10device_ptrIiEEEESE_SE_iNS9_4plusIvEENS9_8equal_toIiEEiEE10hipError_tPvRmT2_T3_T4_T5_mT6_T7_P12ihipStream_tbENKUlT_T0_E_clISt17integral_constantIbLb1EESY_IbLb0EEEEDaSU_SV_EUlSU_E_NS1_11comp_targetILNS1_3genE2ELNS1_11target_archE906ELNS1_3gpuE6ELNS1_3repE0EEENS1_30default_config_static_selectorELNS0_4arch9wavefront6targetE0EEEvT1_.has_recursion, 0
	.set _ZN7rocprim17ROCPRIM_400000_NS6detail17trampoline_kernelINS0_14default_configENS1_27scan_by_key_config_selectorIiiEEZZNS1_16scan_by_key_implILNS1_25lookback_scan_determinismE0ELb0ES3_N6thrust23THRUST_200600_302600_NS6detail15normal_iteratorINS9_10device_ptrIiEEEESE_SE_iNS9_4plusIvEENS9_8equal_toIiEEiEE10hipError_tPvRmT2_T3_T4_T5_mT6_T7_P12ihipStream_tbENKUlT_T0_E_clISt17integral_constantIbLb1EESY_IbLb0EEEEDaSU_SV_EUlSU_E_NS1_11comp_targetILNS1_3genE2ELNS1_11target_archE906ELNS1_3gpuE6ELNS1_3repE0EEENS1_30default_config_static_selectorELNS0_4arch9wavefront6targetE0EEEvT1_.has_indirect_call, 0
	.section	.AMDGPU.csdata,"",@progbits
; Kernel info:
; codeLenInByte = 0
; TotalNumSgprs: 0
; NumVgprs: 0
; ScratchSize: 0
; MemoryBound: 0
; FloatMode: 240
; IeeeMode: 1
; LDSByteSize: 0 bytes/workgroup (compile time only)
; SGPRBlocks: 0
; VGPRBlocks: 0
; NumSGPRsForWavesPerEU: 1
; NumVGPRsForWavesPerEU: 1
; NamedBarCnt: 0
; Occupancy: 16
; WaveLimiterHint : 0
; COMPUTE_PGM_RSRC2:SCRATCH_EN: 0
; COMPUTE_PGM_RSRC2:USER_SGPR: 2
; COMPUTE_PGM_RSRC2:TRAP_HANDLER: 0
; COMPUTE_PGM_RSRC2:TGID_X_EN: 1
; COMPUTE_PGM_RSRC2:TGID_Y_EN: 0
; COMPUTE_PGM_RSRC2:TGID_Z_EN: 0
; COMPUTE_PGM_RSRC2:TIDIG_COMP_CNT: 0
	.section	.text._ZN7rocprim17ROCPRIM_400000_NS6detail17trampoline_kernelINS0_14default_configENS1_27scan_by_key_config_selectorIiiEEZZNS1_16scan_by_key_implILNS1_25lookback_scan_determinismE0ELb0ES3_N6thrust23THRUST_200600_302600_NS6detail15normal_iteratorINS9_10device_ptrIiEEEESE_SE_iNS9_4plusIvEENS9_8equal_toIiEEiEE10hipError_tPvRmT2_T3_T4_T5_mT6_T7_P12ihipStream_tbENKUlT_T0_E_clISt17integral_constantIbLb1EESY_IbLb0EEEEDaSU_SV_EUlSU_E_NS1_11comp_targetILNS1_3genE10ELNS1_11target_archE1200ELNS1_3gpuE4ELNS1_3repE0EEENS1_30default_config_static_selectorELNS0_4arch9wavefront6targetE0EEEvT1_,"axG",@progbits,_ZN7rocprim17ROCPRIM_400000_NS6detail17trampoline_kernelINS0_14default_configENS1_27scan_by_key_config_selectorIiiEEZZNS1_16scan_by_key_implILNS1_25lookback_scan_determinismE0ELb0ES3_N6thrust23THRUST_200600_302600_NS6detail15normal_iteratorINS9_10device_ptrIiEEEESE_SE_iNS9_4plusIvEENS9_8equal_toIiEEiEE10hipError_tPvRmT2_T3_T4_T5_mT6_T7_P12ihipStream_tbENKUlT_T0_E_clISt17integral_constantIbLb1EESY_IbLb0EEEEDaSU_SV_EUlSU_E_NS1_11comp_targetILNS1_3genE10ELNS1_11target_archE1200ELNS1_3gpuE4ELNS1_3repE0EEENS1_30default_config_static_selectorELNS0_4arch9wavefront6targetE0EEEvT1_,comdat
	.protected	_ZN7rocprim17ROCPRIM_400000_NS6detail17trampoline_kernelINS0_14default_configENS1_27scan_by_key_config_selectorIiiEEZZNS1_16scan_by_key_implILNS1_25lookback_scan_determinismE0ELb0ES3_N6thrust23THRUST_200600_302600_NS6detail15normal_iteratorINS9_10device_ptrIiEEEESE_SE_iNS9_4plusIvEENS9_8equal_toIiEEiEE10hipError_tPvRmT2_T3_T4_T5_mT6_T7_P12ihipStream_tbENKUlT_T0_E_clISt17integral_constantIbLb1EESY_IbLb0EEEEDaSU_SV_EUlSU_E_NS1_11comp_targetILNS1_3genE10ELNS1_11target_archE1200ELNS1_3gpuE4ELNS1_3repE0EEENS1_30default_config_static_selectorELNS0_4arch9wavefront6targetE0EEEvT1_ ; -- Begin function _ZN7rocprim17ROCPRIM_400000_NS6detail17trampoline_kernelINS0_14default_configENS1_27scan_by_key_config_selectorIiiEEZZNS1_16scan_by_key_implILNS1_25lookback_scan_determinismE0ELb0ES3_N6thrust23THRUST_200600_302600_NS6detail15normal_iteratorINS9_10device_ptrIiEEEESE_SE_iNS9_4plusIvEENS9_8equal_toIiEEiEE10hipError_tPvRmT2_T3_T4_T5_mT6_T7_P12ihipStream_tbENKUlT_T0_E_clISt17integral_constantIbLb1EESY_IbLb0EEEEDaSU_SV_EUlSU_E_NS1_11comp_targetILNS1_3genE10ELNS1_11target_archE1200ELNS1_3gpuE4ELNS1_3repE0EEENS1_30default_config_static_selectorELNS0_4arch9wavefront6targetE0EEEvT1_
	.globl	_ZN7rocprim17ROCPRIM_400000_NS6detail17trampoline_kernelINS0_14default_configENS1_27scan_by_key_config_selectorIiiEEZZNS1_16scan_by_key_implILNS1_25lookback_scan_determinismE0ELb0ES3_N6thrust23THRUST_200600_302600_NS6detail15normal_iteratorINS9_10device_ptrIiEEEESE_SE_iNS9_4plusIvEENS9_8equal_toIiEEiEE10hipError_tPvRmT2_T3_T4_T5_mT6_T7_P12ihipStream_tbENKUlT_T0_E_clISt17integral_constantIbLb1EESY_IbLb0EEEEDaSU_SV_EUlSU_E_NS1_11comp_targetILNS1_3genE10ELNS1_11target_archE1200ELNS1_3gpuE4ELNS1_3repE0EEENS1_30default_config_static_selectorELNS0_4arch9wavefront6targetE0EEEvT1_
	.p2align	8
	.type	_ZN7rocprim17ROCPRIM_400000_NS6detail17trampoline_kernelINS0_14default_configENS1_27scan_by_key_config_selectorIiiEEZZNS1_16scan_by_key_implILNS1_25lookback_scan_determinismE0ELb0ES3_N6thrust23THRUST_200600_302600_NS6detail15normal_iteratorINS9_10device_ptrIiEEEESE_SE_iNS9_4plusIvEENS9_8equal_toIiEEiEE10hipError_tPvRmT2_T3_T4_T5_mT6_T7_P12ihipStream_tbENKUlT_T0_E_clISt17integral_constantIbLb1EESY_IbLb0EEEEDaSU_SV_EUlSU_E_NS1_11comp_targetILNS1_3genE10ELNS1_11target_archE1200ELNS1_3gpuE4ELNS1_3repE0EEENS1_30default_config_static_selectorELNS0_4arch9wavefront6targetE0EEEvT1_,@function
_ZN7rocprim17ROCPRIM_400000_NS6detail17trampoline_kernelINS0_14default_configENS1_27scan_by_key_config_selectorIiiEEZZNS1_16scan_by_key_implILNS1_25lookback_scan_determinismE0ELb0ES3_N6thrust23THRUST_200600_302600_NS6detail15normal_iteratorINS9_10device_ptrIiEEEESE_SE_iNS9_4plusIvEENS9_8equal_toIiEEiEE10hipError_tPvRmT2_T3_T4_T5_mT6_T7_P12ihipStream_tbENKUlT_T0_E_clISt17integral_constantIbLb1EESY_IbLb0EEEEDaSU_SV_EUlSU_E_NS1_11comp_targetILNS1_3genE10ELNS1_11target_archE1200ELNS1_3gpuE4ELNS1_3repE0EEENS1_30default_config_static_selectorELNS0_4arch9wavefront6targetE0EEEvT1_: ; @_ZN7rocprim17ROCPRIM_400000_NS6detail17trampoline_kernelINS0_14default_configENS1_27scan_by_key_config_selectorIiiEEZZNS1_16scan_by_key_implILNS1_25lookback_scan_determinismE0ELb0ES3_N6thrust23THRUST_200600_302600_NS6detail15normal_iteratorINS9_10device_ptrIiEEEESE_SE_iNS9_4plusIvEENS9_8equal_toIiEEiEE10hipError_tPvRmT2_T3_T4_T5_mT6_T7_P12ihipStream_tbENKUlT_T0_E_clISt17integral_constantIbLb1EESY_IbLb0EEEEDaSU_SV_EUlSU_E_NS1_11comp_targetILNS1_3genE10ELNS1_11target_archE1200ELNS1_3gpuE4ELNS1_3repE0EEENS1_30default_config_static_selectorELNS0_4arch9wavefront6targetE0EEEvT1_
; %bb.0:
	.section	.rodata,"a",@progbits
	.p2align	6, 0x0
	.amdhsa_kernel _ZN7rocprim17ROCPRIM_400000_NS6detail17trampoline_kernelINS0_14default_configENS1_27scan_by_key_config_selectorIiiEEZZNS1_16scan_by_key_implILNS1_25lookback_scan_determinismE0ELb0ES3_N6thrust23THRUST_200600_302600_NS6detail15normal_iteratorINS9_10device_ptrIiEEEESE_SE_iNS9_4plusIvEENS9_8equal_toIiEEiEE10hipError_tPvRmT2_T3_T4_T5_mT6_T7_P12ihipStream_tbENKUlT_T0_E_clISt17integral_constantIbLb1EESY_IbLb0EEEEDaSU_SV_EUlSU_E_NS1_11comp_targetILNS1_3genE10ELNS1_11target_archE1200ELNS1_3gpuE4ELNS1_3repE0EEENS1_30default_config_static_selectorELNS0_4arch9wavefront6targetE0EEEvT1_
		.amdhsa_group_segment_fixed_size 0
		.amdhsa_private_segment_fixed_size 0
		.amdhsa_kernarg_size 112
		.amdhsa_user_sgpr_count 2
		.amdhsa_user_sgpr_dispatch_ptr 0
		.amdhsa_user_sgpr_queue_ptr 0
		.amdhsa_user_sgpr_kernarg_segment_ptr 1
		.amdhsa_user_sgpr_dispatch_id 0
		.amdhsa_user_sgpr_kernarg_preload_length 0
		.amdhsa_user_sgpr_kernarg_preload_offset 0
		.amdhsa_user_sgpr_private_segment_size 0
		.amdhsa_wavefront_size32 1
		.amdhsa_uses_dynamic_stack 0
		.amdhsa_enable_private_segment 0
		.amdhsa_system_sgpr_workgroup_id_x 1
		.amdhsa_system_sgpr_workgroup_id_y 0
		.amdhsa_system_sgpr_workgroup_id_z 0
		.amdhsa_system_sgpr_workgroup_info 0
		.amdhsa_system_vgpr_workitem_id 0
		.amdhsa_next_free_vgpr 1
		.amdhsa_next_free_sgpr 1
		.amdhsa_named_barrier_count 0
		.amdhsa_reserve_vcc 0
		.amdhsa_float_round_mode_32 0
		.amdhsa_float_round_mode_16_64 0
		.amdhsa_float_denorm_mode_32 3
		.amdhsa_float_denorm_mode_16_64 3
		.amdhsa_fp16_overflow 0
		.amdhsa_memory_ordered 1
		.amdhsa_forward_progress 1
		.amdhsa_inst_pref_size 0
		.amdhsa_round_robin_scheduling 0
		.amdhsa_exception_fp_ieee_invalid_op 0
		.amdhsa_exception_fp_denorm_src 0
		.amdhsa_exception_fp_ieee_div_zero 0
		.amdhsa_exception_fp_ieee_overflow 0
		.amdhsa_exception_fp_ieee_underflow 0
		.amdhsa_exception_fp_ieee_inexact 0
		.amdhsa_exception_int_div_zero 0
	.end_amdhsa_kernel
	.section	.text._ZN7rocprim17ROCPRIM_400000_NS6detail17trampoline_kernelINS0_14default_configENS1_27scan_by_key_config_selectorIiiEEZZNS1_16scan_by_key_implILNS1_25lookback_scan_determinismE0ELb0ES3_N6thrust23THRUST_200600_302600_NS6detail15normal_iteratorINS9_10device_ptrIiEEEESE_SE_iNS9_4plusIvEENS9_8equal_toIiEEiEE10hipError_tPvRmT2_T3_T4_T5_mT6_T7_P12ihipStream_tbENKUlT_T0_E_clISt17integral_constantIbLb1EESY_IbLb0EEEEDaSU_SV_EUlSU_E_NS1_11comp_targetILNS1_3genE10ELNS1_11target_archE1200ELNS1_3gpuE4ELNS1_3repE0EEENS1_30default_config_static_selectorELNS0_4arch9wavefront6targetE0EEEvT1_,"axG",@progbits,_ZN7rocprim17ROCPRIM_400000_NS6detail17trampoline_kernelINS0_14default_configENS1_27scan_by_key_config_selectorIiiEEZZNS1_16scan_by_key_implILNS1_25lookback_scan_determinismE0ELb0ES3_N6thrust23THRUST_200600_302600_NS6detail15normal_iteratorINS9_10device_ptrIiEEEESE_SE_iNS9_4plusIvEENS9_8equal_toIiEEiEE10hipError_tPvRmT2_T3_T4_T5_mT6_T7_P12ihipStream_tbENKUlT_T0_E_clISt17integral_constantIbLb1EESY_IbLb0EEEEDaSU_SV_EUlSU_E_NS1_11comp_targetILNS1_3genE10ELNS1_11target_archE1200ELNS1_3gpuE4ELNS1_3repE0EEENS1_30default_config_static_selectorELNS0_4arch9wavefront6targetE0EEEvT1_,comdat
.Lfunc_end224:
	.size	_ZN7rocprim17ROCPRIM_400000_NS6detail17trampoline_kernelINS0_14default_configENS1_27scan_by_key_config_selectorIiiEEZZNS1_16scan_by_key_implILNS1_25lookback_scan_determinismE0ELb0ES3_N6thrust23THRUST_200600_302600_NS6detail15normal_iteratorINS9_10device_ptrIiEEEESE_SE_iNS9_4plusIvEENS9_8equal_toIiEEiEE10hipError_tPvRmT2_T3_T4_T5_mT6_T7_P12ihipStream_tbENKUlT_T0_E_clISt17integral_constantIbLb1EESY_IbLb0EEEEDaSU_SV_EUlSU_E_NS1_11comp_targetILNS1_3genE10ELNS1_11target_archE1200ELNS1_3gpuE4ELNS1_3repE0EEENS1_30default_config_static_selectorELNS0_4arch9wavefront6targetE0EEEvT1_, .Lfunc_end224-_ZN7rocprim17ROCPRIM_400000_NS6detail17trampoline_kernelINS0_14default_configENS1_27scan_by_key_config_selectorIiiEEZZNS1_16scan_by_key_implILNS1_25lookback_scan_determinismE0ELb0ES3_N6thrust23THRUST_200600_302600_NS6detail15normal_iteratorINS9_10device_ptrIiEEEESE_SE_iNS9_4plusIvEENS9_8equal_toIiEEiEE10hipError_tPvRmT2_T3_T4_T5_mT6_T7_P12ihipStream_tbENKUlT_T0_E_clISt17integral_constantIbLb1EESY_IbLb0EEEEDaSU_SV_EUlSU_E_NS1_11comp_targetILNS1_3genE10ELNS1_11target_archE1200ELNS1_3gpuE4ELNS1_3repE0EEENS1_30default_config_static_selectorELNS0_4arch9wavefront6targetE0EEEvT1_
                                        ; -- End function
	.set _ZN7rocprim17ROCPRIM_400000_NS6detail17trampoline_kernelINS0_14default_configENS1_27scan_by_key_config_selectorIiiEEZZNS1_16scan_by_key_implILNS1_25lookback_scan_determinismE0ELb0ES3_N6thrust23THRUST_200600_302600_NS6detail15normal_iteratorINS9_10device_ptrIiEEEESE_SE_iNS9_4plusIvEENS9_8equal_toIiEEiEE10hipError_tPvRmT2_T3_T4_T5_mT6_T7_P12ihipStream_tbENKUlT_T0_E_clISt17integral_constantIbLb1EESY_IbLb0EEEEDaSU_SV_EUlSU_E_NS1_11comp_targetILNS1_3genE10ELNS1_11target_archE1200ELNS1_3gpuE4ELNS1_3repE0EEENS1_30default_config_static_selectorELNS0_4arch9wavefront6targetE0EEEvT1_.num_vgpr, 0
	.set _ZN7rocprim17ROCPRIM_400000_NS6detail17trampoline_kernelINS0_14default_configENS1_27scan_by_key_config_selectorIiiEEZZNS1_16scan_by_key_implILNS1_25lookback_scan_determinismE0ELb0ES3_N6thrust23THRUST_200600_302600_NS6detail15normal_iteratorINS9_10device_ptrIiEEEESE_SE_iNS9_4plusIvEENS9_8equal_toIiEEiEE10hipError_tPvRmT2_T3_T4_T5_mT6_T7_P12ihipStream_tbENKUlT_T0_E_clISt17integral_constantIbLb1EESY_IbLb0EEEEDaSU_SV_EUlSU_E_NS1_11comp_targetILNS1_3genE10ELNS1_11target_archE1200ELNS1_3gpuE4ELNS1_3repE0EEENS1_30default_config_static_selectorELNS0_4arch9wavefront6targetE0EEEvT1_.num_agpr, 0
	.set _ZN7rocprim17ROCPRIM_400000_NS6detail17trampoline_kernelINS0_14default_configENS1_27scan_by_key_config_selectorIiiEEZZNS1_16scan_by_key_implILNS1_25lookback_scan_determinismE0ELb0ES3_N6thrust23THRUST_200600_302600_NS6detail15normal_iteratorINS9_10device_ptrIiEEEESE_SE_iNS9_4plusIvEENS9_8equal_toIiEEiEE10hipError_tPvRmT2_T3_T4_T5_mT6_T7_P12ihipStream_tbENKUlT_T0_E_clISt17integral_constantIbLb1EESY_IbLb0EEEEDaSU_SV_EUlSU_E_NS1_11comp_targetILNS1_3genE10ELNS1_11target_archE1200ELNS1_3gpuE4ELNS1_3repE0EEENS1_30default_config_static_selectorELNS0_4arch9wavefront6targetE0EEEvT1_.numbered_sgpr, 0
	.set _ZN7rocprim17ROCPRIM_400000_NS6detail17trampoline_kernelINS0_14default_configENS1_27scan_by_key_config_selectorIiiEEZZNS1_16scan_by_key_implILNS1_25lookback_scan_determinismE0ELb0ES3_N6thrust23THRUST_200600_302600_NS6detail15normal_iteratorINS9_10device_ptrIiEEEESE_SE_iNS9_4plusIvEENS9_8equal_toIiEEiEE10hipError_tPvRmT2_T3_T4_T5_mT6_T7_P12ihipStream_tbENKUlT_T0_E_clISt17integral_constantIbLb1EESY_IbLb0EEEEDaSU_SV_EUlSU_E_NS1_11comp_targetILNS1_3genE10ELNS1_11target_archE1200ELNS1_3gpuE4ELNS1_3repE0EEENS1_30default_config_static_selectorELNS0_4arch9wavefront6targetE0EEEvT1_.num_named_barrier, 0
	.set _ZN7rocprim17ROCPRIM_400000_NS6detail17trampoline_kernelINS0_14default_configENS1_27scan_by_key_config_selectorIiiEEZZNS1_16scan_by_key_implILNS1_25lookback_scan_determinismE0ELb0ES3_N6thrust23THRUST_200600_302600_NS6detail15normal_iteratorINS9_10device_ptrIiEEEESE_SE_iNS9_4plusIvEENS9_8equal_toIiEEiEE10hipError_tPvRmT2_T3_T4_T5_mT6_T7_P12ihipStream_tbENKUlT_T0_E_clISt17integral_constantIbLb1EESY_IbLb0EEEEDaSU_SV_EUlSU_E_NS1_11comp_targetILNS1_3genE10ELNS1_11target_archE1200ELNS1_3gpuE4ELNS1_3repE0EEENS1_30default_config_static_selectorELNS0_4arch9wavefront6targetE0EEEvT1_.private_seg_size, 0
	.set _ZN7rocprim17ROCPRIM_400000_NS6detail17trampoline_kernelINS0_14default_configENS1_27scan_by_key_config_selectorIiiEEZZNS1_16scan_by_key_implILNS1_25lookback_scan_determinismE0ELb0ES3_N6thrust23THRUST_200600_302600_NS6detail15normal_iteratorINS9_10device_ptrIiEEEESE_SE_iNS9_4plusIvEENS9_8equal_toIiEEiEE10hipError_tPvRmT2_T3_T4_T5_mT6_T7_P12ihipStream_tbENKUlT_T0_E_clISt17integral_constantIbLb1EESY_IbLb0EEEEDaSU_SV_EUlSU_E_NS1_11comp_targetILNS1_3genE10ELNS1_11target_archE1200ELNS1_3gpuE4ELNS1_3repE0EEENS1_30default_config_static_selectorELNS0_4arch9wavefront6targetE0EEEvT1_.uses_vcc, 0
	.set _ZN7rocprim17ROCPRIM_400000_NS6detail17trampoline_kernelINS0_14default_configENS1_27scan_by_key_config_selectorIiiEEZZNS1_16scan_by_key_implILNS1_25lookback_scan_determinismE0ELb0ES3_N6thrust23THRUST_200600_302600_NS6detail15normal_iteratorINS9_10device_ptrIiEEEESE_SE_iNS9_4plusIvEENS9_8equal_toIiEEiEE10hipError_tPvRmT2_T3_T4_T5_mT6_T7_P12ihipStream_tbENKUlT_T0_E_clISt17integral_constantIbLb1EESY_IbLb0EEEEDaSU_SV_EUlSU_E_NS1_11comp_targetILNS1_3genE10ELNS1_11target_archE1200ELNS1_3gpuE4ELNS1_3repE0EEENS1_30default_config_static_selectorELNS0_4arch9wavefront6targetE0EEEvT1_.uses_flat_scratch, 0
	.set _ZN7rocprim17ROCPRIM_400000_NS6detail17trampoline_kernelINS0_14default_configENS1_27scan_by_key_config_selectorIiiEEZZNS1_16scan_by_key_implILNS1_25lookback_scan_determinismE0ELb0ES3_N6thrust23THRUST_200600_302600_NS6detail15normal_iteratorINS9_10device_ptrIiEEEESE_SE_iNS9_4plusIvEENS9_8equal_toIiEEiEE10hipError_tPvRmT2_T3_T4_T5_mT6_T7_P12ihipStream_tbENKUlT_T0_E_clISt17integral_constantIbLb1EESY_IbLb0EEEEDaSU_SV_EUlSU_E_NS1_11comp_targetILNS1_3genE10ELNS1_11target_archE1200ELNS1_3gpuE4ELNS1_3repE0EEENS1_30default_config_static_selectorELNS0_4arch9wavefront6targetE0EEEvT1_.has_dyn_sized_stack, 0
	.set _ZN7rocprim17ROCPRIM_400000_NS6detail17trampoline_kernelINS0_14default_configENS1_27scan_by_key_config_selectorIiiEEZZNS1_16scan_by_key_implILNS1_25lookback_scan_determinismE0ELb0ES3_N6thrust23THRUST_200600_302600_NS6detail15normal_iteratorINS9_10device_ptrIiEEEESE_SE_iNS9_4plusIvEENS9_8equal_toIiEEiEE10hipError_tPvRmT2_T3_T4_T5_mT6_T7_P12ihipStream_tbENKUlT_T0_E_clISt17integral_constantIbLb1EESY_IbLb0EEEEDaSU_SV_EUlSU_E_NS1_11comp_targetILNS1_3genE10ELNS1_11target_archE1200ELNS1_3gpuE4ELNS1_3repE0EEENS1_30default_config_static_selectorELNS0_4arch9wavefront6targetE0EEEvT1_.has_recursion, 0
	.set _ZN7rocprim17ROCPRIM_400000_NS6detail17trampoline_kernelINS0_14default_configENS1_27scan_by_key_config_selectorIiiEEZZNS1_16scan_by_key_implILNS1_25lookback_scan_determinismE0ELb0ES3_N6thrust23THRUST_200600_302600_NS6detail15normal_iteratorINS9_10device_ptrIiEEEESE_SE_iNS9_4plusIvEENS9_8equal_toIiEEiEE10hipError_tPvRmT2_T3_T4_T5_mT6_T7_P12ihipStream_tbENKUlT_T0_E_clISt17integral_constantIbLb1EESY_IbLb0EEEEDaSU_SV_EUlSU_E_NS1_11comp_targetILNS1_3genE10ELNS1_11target_archE1200ELNS1_3gpuE4ELNS1_3repE0EEENS1_30default_config_static_selectorELNS0_4arch9wavefront6targetE0EEEvT1_.has_indirect_call, 0
	.section	.AMDGPU.csdata,"",@progbits
; Kernel info:
; codeLenInByte = 0
; TotalNumSgprs: 0
; NumVgprs: 0
; ScratchSize: 0
; MemoryBound: 0
; FloatMode: 240
; IeeeMode: 1
; LDSByteSize: 0 bytes/workgroup (compile time only)
; SGPRBlocks: 0
; VGPRBlocks: 0
; NumSGPRsForWavesPerEU: 1
; NumVGPRsForWavesPerEU: 1
; NamedBarCnt: 0
; Occupancy: 16
; WaveLimiterHint : 0
; COMPUTE_PGM_RSRC2:SCRATCH_EN: 0
; COMPUTE_PGM_RSRC2:USER_SGPR: 2
; COMPUTE_PGM_RSRC2:TRAP_HANDLER: 0
; COMPUTE_PGM_RSRC2:TGID_X_EN: 1
; COMPUTE_PGM_RSRC2:TGID_Y_EN: 0
; COMPUTE_PGM_RSRC2:TGID_Z_EN: 0
; COMPUTE_PGM_RSRC2:TIDIG_COMP_CNT: 0
	.section	.text._ZN7rocprim17ROCPRIM_400000_NS6detail17trampoline_kernelINS0_14default_configENS1_27scan_by_key_config_selectorIiiEEZZNS1_16scan_by_key_implILNS1_25lookback_scan_determinismE0ELb0ES3_N6thrust23THRUST_200600_302600_NS6detail15normal_iteratorINS9_10device_ptrIiEEEESE_SE_iNS9_4plusIvEENS9_8equal_toIiEEiEE10hipError_tPvRmT2_T3_T4_T5_mT6_T7_P12ihipStream_tbENKUlT_T0_E_clISt17integral_constantIbLb1EESY_IbLb0EEEEDaSU_SV_EUlSU_E_NS1_11comp_targetILNS1_3genE9ELNS1_11target_archE1100ELNS1_3gpuE3ELNS1_3repE0EEENS1_30default_config_static_selectorELNS0_4arch9wavefront6targetE0EEEvT1_,"axG",@progbits,_ZN7rocprim17ROCPRIM_400000_NS6detail17trampoline_kernelINS0_14default_configENS1_27scan_by_key_config_selectorIiiEEZZNS1_16scan_by_key_implILNS1_25lookback_scan_determinismE0ELb0ES3_N6thrust23THRUST_200600_302600_NS6detail15normal_iteratorINS9_10device_ptrIiEEEESE_SE_iNS9_4plusIvEENS9_8equal_toIiEEiEE10hipError_tPvRmT2_T3_T4_T5_mT6_T7_P12ihipStream_tbENKUlT_T0_E_clISt17integral_constantIbLb1EESY_IbLb0EEEEDaSU_SV_EUlSU_E_NS1_11comp_targetILNS1_3genE9ELNS1_11target_archE1100ELNS1_3gpuE3ELNS1_3repE0EEENS1_30default_config_static_selectorELNS0_4arch9wavefront6targetE0EEEvT1_,comdat
	.protected	_ZN7rocprim17ROCPRIM_400000_NS6detail17trampoline_kernelINS0_14default_configENS1_27scan_by_key_config_selectorIiiEEZZNS1_16scan_by_key_implILNS1_25lookback_scan_determinismE0ELb0ES3_N6thrust23THRUST_200600_302600_NS6detail15normal_iteratorINS9_10device_ptrIiEEEESE_SE_iNS9_4plusIvEENS9_8equal_toIiEEiEE10hipError_tPvRmT2_T3_T4_T5_mT6_T7_P12ihipStream_tbENKUlT_T0_E_clISt17integral_constantIbLb1EESY_IbLb0EEEEDaSU_SV_EUlSU_E_NS1_11comp_targetILNS1_3genE9ELNS1_11target_archE1100ELNS1_3gpuE3ELNS1_3repE0EEENS1_30default_config_static_selectorELNS0_4arch9wavefront6targetE0EEEvT1_ ; -- Begin function _ZN7rocprim17ROCPRIM_400000_NS6detail17trampoline_kernelINS0_14default_configENS1_27scan_by_key_config_selectorIiiEEZZNS1_16scan_by_key_implILNS1_25lookback_scan_determinismE0ELb0ES3_N6thrust23THRUST_200600_302600_NS6detail15normal_iteratorINS9_10device_ptrIiEEEESE_SE_iNS9_4plusIvEENS9_8equal_toIiEEiEE10hipError_tPvRmT2_T3_T4_T5_mT6_T7_P12ihipStream_tbENKUlT_T0_E_clISt17integral_constantIbLb1EESY_IbLb0EEEEDaSU_SV_EUlSU_E_NS1_11comp_targetILNS1_3genE9ELNS1_11target_archE1100ELNS1_3gpuE3ELNS1_3repE0EEENS1_30default_config_static_selectorELNS0_4arch9wavefront6targetE0EEEvT1_
	.globl	_ZN7rocprim17ROCPRIM_400000_NS6detail17trampoline_kernelINS0_14default_configENS1_27scan_by_key_config_selectorIiiEEZZNS1_16scan_by_key_implILNS1_25lookback_scan_determinismE0ELb0ES3_N6thrust23THRUST_200600_302600_NS6detail15normal_iteratorINS9_10device_ptrIiEEEESE_SE_iNS9_4plusIvEENS9_8equal_toIiEEiEE10hipError_tPvRmT2_T3_T4_T5_mT6_T7_P12ihipStream_tbENKUlT_T0_E_clISt17integral_constantIbLb1EESY_IbLb0EEEEDaSU_SV_EUlSU_E_NS1_11comp_targetILNS1_3genE9ELNS1_11target_archE1100ELNS1_3gpuE3ELNS1_3repE0EEENS1_30default_config_static_selectorELNS0_4arch9wavefront6targetE0EEEvT1_
	.p2align	8
	.type	_ZN7rocprim17ROCPRIM_400000_NS6detail17trampoline_kernelINS0_14default_configENS1_27scan_by_key_config_selectorIiiEEZZNS1_16scan_by_key_implILNS1_25lookback_scan_determinismE0ELb0ES3_N6thrust23THRUST_200600_302600_NS6detail15normal_iteratorINS9_10device_ptrIiEEEESE_SE_iNS9_4plusIvEENS9_8equal_toIiEEiEE10hipError_tPvRmT2_T3_T4_T5_mT6_T7_P12ihipStream_tbENKUlT_T0_E_clISt17integral_constantIbLb1EESY_IbLb0EEEEDaSU_SV_EUlSU_E_NS1_11comp_targetILNS1_3genE9ELNS1_11target_archE1100ELNS1_3gpuE3ELNS1_3repE0EEENS1_30default_config_static_selectorELNS0_4arch9wavefront6targetE0EEEvT1_,@function
_ZN7rocprim17ROCPRIM_400000_NS6detail17trampoline_kernelINS0_14default_configENS1_27scan_by_key_config_selectorIiiEEZZNS1_16scan_by_key_implILNS1_25lookback_scan_determinismE0ELb0ES3_N6thrust23THRUST_200600_302600_NS6detail15normal_iteratorINS9_10device_ptrIiEEEESE_SE_iNS9_4plusIvEENS9_8equal_toIiEEiEE10hipError_tPvRmT2_T3_T4_T5_mT6_T7_P12ihipStream_tbENKUlT_T0_E_clISt17integral_constantIbLb1EESY_IbLb0EEEEDaSU_SV_EUlSU_E_NS1_11comp_targetILNS1_3genE9ELNS1_11target_archE1100ELNS1_3gpuE3ELNS1_3repE0EEENS1_30default_config_static_selectorELNS0_4arch9wavefront6targetE0EEEvT1_: ; @_ZN7rocprim17ROCPRIM_400000_NS6detail17trampoline_kernelINS0_14default_configENS1_27scan_by_key_config_selectorIiiEEZZNS1_16scan_by_key_implILNS1_25lookback_scan_determinismE0ELb0ES3_N6thrust23THRUST_200600_302600_NS6detail15normal_iteratorINS9_10device_ptrIiEEEESE_SE_iNS9_4plusIvEENS9_8equal_toIiEEiEE10hipError_tPvRmT2_T3_T4_T5_mT6_T7_P12ihipStream_tbENKUlT_T0_E_clISt17integral_constantIbLb1EESY_IbLb0EEEEDaSU_SV_EUlSU_E_NS1_11comp_targetILNS1_3genE9ELNS1_11target_archE1100ELNS1_3gpuE3ELNS1_3repE0EEENS1_30default_config_static_selectorELNS0_4arch9wavefront6targetE0EEEvT1_
; %bb.0:
	.section	.rodata,"a",@progbits
	.p2align	6, 0x0
	.amdhsa_kernel _ZN7rocprim17ROCPRIM_400000_NS6detail17trampoline_kernelINS0_14default_configENS1_27scan_by_key_config_selectorIiiEEZZNS1_16scan_by_key_implILNS1_25lookback_scan_determinismE0ELb0ES3_N6thrust23THRUST_200600_302600_NS6detail15normal_iteratorINS9_10device_ptrIiEEEESE_SE_iNS9_4plusIvEENS9_8equal_toIiEEiEE10hipError_tPvRmT2_T3_T4_T5_mT6_T7_P12ihipStream_tbENKUlT_T0_E_clISt17integral_constantIbLb1EESY_IbLb0EEEEDaSU_SV_EUlSU_E_NS1_11comp_targetILNS1_3genE9ELNS1_11target_archE1100ELNS1_3gpuE3ELNS1_3repE0EEENS1_30default_config_static_selectorELNS0_4arch9wavefront6targetE0EEEvT1_
		.amdhsa_group_segment_fixed_size 0
		.amdhsa_private_segment_fixed_size 0
		.amdhsa_kernarg_size 112
		.amdhsa_user_sgpr_count 2
		.amdhsa_user_sgpr_dispatch_ptr 0
		.amdhsa_user_sgpr_queue_ptr 0
		.amdhsa_user_sgpr_kernarg_segment_ptr 1
		.amdhsa_user_sgpr_dispatch_id 0
		.amdhsa_user_sgpr_kernarg_preload_length 0
		.amdhsa_user_sgpr_kernarg_preload_offset 0
		.amdhsa_user_sgpr_private_segment_size 0
		.amdhsa_wavefront_size32 1
		.amdhsa_uses_dynamic_stack 0
		.amdhsa_enable_private_segment 0
		.amdhsa_system_sgpr_workgroup_id_x 1
		.amdhsa_system_sgpr_workgroup_id_y 0
		.amdhsa_system_sgpr_workgroup_id_z 0
		.amdhsa_system_sgpr_workgroup_info 0
		.amdhsa_system_vgpr_workitem_id 0
		.amdhsa_next_free_vgpr 1
		.amdhsa_next_free_sgpr 1
		.amdhsa_named_barrier_count 0
		.amdhsa_reserve_vcc 0
		.amdhsa_float_round_mode_32 0
		.amdhsa_float_round_mode_16_64 0
		.amdhsa_float_denorm_mode_32 3
		.amdhsa_float_denorm_mode_16_64 3
		.amdhsa_fp16_overflow 0
		.amdhsa_memory_ordered 1
		.amdhsa_forward_progress 1
		.amdhsa_inst_pref_size 0
		.amdhsa_round_robin_scheduling 0
		.amdhsa_exception_fp_ieee_invalid_op 0
		.amdhsa_exception_fp_denorm_src 0
		.amdhsa_exception_fp_ieee_div_zero 0
		.amdhsa_exception_fp_ieee_overflow 0
		.amdhsa_exception_fp_ieee_underflow 0
		.amdhsa_exception_fp_ieee_inexact 0
		.amdhsa_exception_int_div_zero 0
	.end_amdhsa_kernel
	.section	.text._ZN7rocprim17ROCPRIM_400000_NS6detail17trampoline_kernelINS0_14default_configENS1_27scan_by_key_config_selectorIiiEEZZNS1_16scan_by_key_implILNS1_25lookback_scan_determinismE0ELb0ES3_N6thrust23THRUST_200600_302600_NS6detail15normal_iteratorINS9_10device_ptrIiEEEESE_SE_iNS9_4plusIvEENS9_8equal_toIiEEiEE10hipError_tPvRmT2_T3_T4_T5_mT6_T7_P12ihipStream_tbENKUlT_T0_E_clISt17integral_constantIbLb1EESY_IbLb0EEEEDaSU_SV_EUlSU_E_NS1_11comp_targetILNS1_3genE9ELNS1_11target_archE1100ELNS1_3gpuE3ELNS1_3repE0EEENS1_30default_config_static_selectorELNS0_4arch9wavefront6targetE0EEEvT1_,"axG",@progbits,_ZN7rocprim17ROCPRIM_400000_NS6detail17trampoline_kernelINS0_14default_configENS1_27scan_by_key_config_selectorIiiEEZZNS1_16scan_by_key_implILNS1_25lookback_scan_determinismE0ELb0ES3_N6thrust23THRUST_200600_302600_NS6detail15normal_iteratorINS9_10device_ptrIiEEEESE_SE_iNS9_4plusIvEENS9_8equal_toIiEEiEE10hipError_tPvRmT2_T3_T4_T5_mT6_T7_P12ihipStream_tbENKUlT_T0_E_clISt17integral_constantIbLb1EESY_IbLb0EEEEDaSU_SV_EUlSU_E_NS1_11comp_targetILNS1_3genE9ELNS1_11target_archE1100ELNS1_3gpuE3ELNS1_3repE0EEENS1_30default_config_static_selectorELNS0_4arch9wavefront6targetE0EEEvT1_,comdat
.Lfunc_end225:
	.size	_ZN7rocprim17ROCPRIM_400000_NS6detail17trampoline_kernelINS0_14default_configENS1_27scan_by_key_config_selectorIiiEEZZNS1_16scan_by_key_implILNS1_25lookback_scan_determinismE0ELb0ES3_N6thrust23THRUST_200600_302600_NS6detail15normal_iteratorINS9_10device_ptrIiEEEESE_SE_iNS9_4plusIvEENS9_8equal_toIiEEiEE10hipError_tPvRmT2_T3_T4_T5_mT6_T7_P12ihipStream_tbENKUlT_T0_E_clISt17integral_constantIbLb1EESY_IbLb0EEEEDaSU_SV_EUlSU_E_NS1_11comp_targetILNS1_3genE9ELNS1_11target_archE1100ELNS1_3gpuE3ELNS1_3repE0EEENS1_30default_config_static_selectorELNS0_4arch9wavefront6targetE0EEEvT1_, .Lfunc_end225-_ZN7rocprim17ROCPRIM_400000_NS6detail17trampoline_kernelINS0_14default_configENS1_27scan_by_key_config_selectorIiiEEZZNS1_16scan_by_key_implILNS1_25lookback_scan_determinismE0ELb0ES3_N6thrust23THRUST_200600_302600_NS6detail15normal_iteratorINS9_10device_ptrIiEEEESE_SE_iNS9_4plusIvEENS9_8equal_toIiEEiEE10hipError_tPvRmT2_T3_T4_T5_mT6_T7_P12ihipStream_tbENKUlT_T0_E_clISt17integral_constantIbLb1EESY_IbLb0EEEEDaSU_SV_EUlSU_E_NS1_11comp_targetILNS1_3genE9ELNS1_11target_archE1100ELNS1_3gpuE3ELNS1_3repE0EEENS1_30default_config_static_selectorELNS0_4arch9wavefront6targetE0EEEvT1_
                                        ; -- End function
	.set _ZN7rocprim17ROCPRIM_400000_NS6detail17trampoline_kernelINS0_14default_configENS1_27scan_by_key_config_selectorIiiEEZZNS1_16scan_by_key_implILNS1_25lookback_scan_determinismE0ELb0ES3_N6thrust23THRUST_200600_302600_NS6detail15normal_iteratorINS9_10device_ptrIiEEEESE_SE_iNS9_4plusIvEENS9_8equal_toIiEEiEE10hipError_tPvRmT2_T3_T4_T5_mT6_T7_P12ihipStream_tbENKUlT_T0_E_clISt17integral_constantIbLb1EESY_IbLb0EEEEDaSU_SV_EUlSU_E_NS1_11comp_targetILNS1_3genE9ELNS1_11target_archE1100ELNS1_3gpuE3ELNS1_3repE0EEENS1_30default_config_static_selectorELNS0_4arch9wavefront6targetE0EEEvT1_.num_vgpr, 0
	.set _ZN7rocprim17ROCPRIM_400000_NS6detail17trampoline_kernelINS0_14default_configENS1_27scan_by_key_config_selectorIiiEEZZNS1_16scan_by_key_implILNS1_25lookback_scan_determinismE0ELb0ES3_N6thrust23THRUST_200600_302600_NS6detail15normal_iteratorINS9_10device_ptrIiEEEESE_SE_iNS9_4plusIvEENS9_8equal_toIiEEiEE10hipError_tPvRmT2_T3_T4_T5_mT6_T7_P12ihipStream_tbENKUlT_T0_E_clISt17integral_constantIbLb1EESY_IbLb0EEEEDaSU_SV_EUlSU_E_NS1_11comp_targetILNS1_3genE9ELNS1_11target_archE1100ELNS1_3gpuE3ELNS1_3repE0EEENS1_30default_config_static_selectorELNS0_4arch9wavefront6targetE0EEEvT1_.num_agpr, 0
	.set _ZN7rocprim17ROCPRIM_400000_NS6detail17trampoline_kernelINS0_14default_configENS1_27scan_by_key_config_selectorIiiEEZZNS1_16scan_by_key_implILNS1_25lookback_scan_determinismE0ELb0ES3_N6thrust23THRUST_200600_302600_NS6detail15normal_iteratorINS9_10device_ptrIiEEEESE_SE_iNS9_4plusIvEENS9_8equal_toIiEEiEE10hipError_tPvRmT2_T3_T4_T5_mT6_T7_P12ihipStream_tbENKUlT_T0_E_clISt17integral_constantIbLb1EESY_IbLb0EEEEDaSU_SV_EUlSU_E_NS1_11comp_targetILNS1_3genE9ELNS1_11target_archE1100ELNS1_3gpuE3ELNS1_3repE0EEENS1_30default_config_static_selectorELNS0_4arch9wavefront6targetE0EEEvT1_.numbered_sgpr, 0
	.set _ZN7rocprim17ROCPRIM_400000_NS6detail17trampoline_kernelINS0_14default_configENS1_27scan_by_key_config_selectorIiiEEZZNS1_16scan_by_key_implILNS1_25lookback_scan_determinismE0ELb0ES3_N6thrust23THRUST_200600_302600_NS6detail15normal_iteratorINS9_10device_ptrIiEEEESE_SE_iNS9_4plusIvEENS9_8equal_toIiEEiEE10hipError_tPvRmT2_T3_T4_T5_mT6_T7_P12ihipStream_tbENKUlT_T0_E_clISt17integral_constantIbLb1EESY_IbLb0EEEEDaSU_SV_EUlSU_E_NS1_11comp_targetILNS1_3genE9ELNS1_11target_archE1100ELNS1_3gpuE3ELNS1_3repE0EEENS1_30default_config_static_selectorELNS0_4arch9wavefront6targetE0EEEvT1_.num_named_barrier, 0
	.set _ZN7rocprim17ROCPRIM_400000_NS6detail17trampoline_kernelINS0_14default_configENS1_27scan_by_key_config_selectorIiiEEZZNS1_16scan_by_key_implILNS1_25lookback_scan_determinismE0ELb0ES3_N6thrust23THRUST_200600_302600_NS6detail15normal_iteratorINS9_10device_ptrIiEEEESE_SE_iNS9_4plusIvEENS9_8equal_toIiEEiEE10hipError_tPvRmT2_T3_T4_T5_mT6_T7_P12ihipStream_tbENKUlT_T0_E_clISt17integral_constantIbLb1EESY_IbLb0EEEEDaSU_SV_EUlSU_E_NS1_11comp_targetILNS1_3genE9ELNS1_11target_archE1100ELNS1_3gpuE3ELNS1_3repE0EEENS1_30default_config_static_selectorELNS0_4arch9wavefront6targetE0EEEvT1_.private_seg_size, 0
	.set _ZN7rocprim17ROCPRIM_400000_NS6detail17trampoline_kernelINS0_14default_configENS1_27scan_by_key_config_selectorIiiEEZZNS1_16scan_by_key_implILNS1_25lookback_scan_determinismE0ELb0ES3_N6thrust23THRUST_200600_302600_NS6detail15normal_iteratorINS9_10device_ptrIiEEEESE_SE_iNS9_4plusIvEENS9_8equal_toIiEEiEE10hipError_tPvRmT2_T3_T4_T5_mT6_T7_P12ihipStream_tbENKUlT_T0_E_clISt17integral_constantIbLb1EESY_IbLb0EEEEDaSU_SV_EUlSU_E_NS1_11comp_targetILNS1_3genE9ELNS1_11target_archE1100ELNS1_3gpuE3ELNS1_3repE0EEENS1_30default_config_static_selectorELNS0_4arch9wavefront6targetE0EEEvT1_.uses_vcc, 0
	.set _ZN7rocprim17ROCPRIM_400000_NS6detail17trampoline_kernelINS0_14default_configENS1_27scan_by_key_config_selectorIiiEEZZNS1_16scan_by_key_implILNS1_25lookback_scan_determinismE0ELb0ES3_N6thrust23THRUST_200600_302600_NS6detail15normal_iteratorINS9_10device_ptrIiEEEESE_SE_iNS9_4plusIvEENS9_8equal_toIiEEiEE10hipError_tPvRmT2_T3_T4_T5_mT6_T7_P12ihipStream_tbENKUlT_T0_E_clISt17integral_constantIbLb1EESY_IbLb0EEEEDaSU_SV_EUlSU_E_NS1_11comp_targetILNS1_3genE9ELNS1_11target_archE1100ELNS1_3gpuE3ELNS1_3repE0EEENS1_30default_config_static_selectorELNS0_4arch9wavefront6targetE0EEEvT1_.uses_flat_scratch, 0
	.set _ZN7rocprim17ROCPRIM_400000_NS6detail17trampoline_kernelINS0_14default_configENS1_27scan_by_key_config_selectorIiiEEZZNS1_16scan_by_key_implILNS1_25lookback_scan_determinismE0ELb0ES3_N6thrust23THRUST_200600_302600_NS6detail15normal_iteratorINS9_10device_ptrIiEEEESE_SE_iNS9_4plusIvEENS9_8equal_toIiEEiEE10hipError_tPvRmT2_T3_T4_T5_mT6_T7_P12ihipStream_tbENKUlT_T0_E_clISt17integral_constantIbLb1EESY_IbLb0EEEEDaSU_SV_EUlSU_E_NS1_11comp_targetILNS1_3genE9ELNS1_11target_archE1100ELNS1_3gpuE3ELNS1_3repE0EEENS1_30default_config_static_selectorELNS0_4arch9wavefront6targetE0EEEvT1_.has_dyn_sized_stack, 0
	.set _ZN7rocprim17ROCPRIM_400000_NS6detail17trampoline_kernelINS0_14default_configENS1_27scan_by_key_config_selectorIiiEEZZNS1_16scan_by_key_implILNS1_25lookback_scan_determinismE0ELb0ES3_N6thrust23THRUST_200600_302600_NS6detail15normal_iteratorINS9_10device_ptrIiEEEESE_SE_iNS9_4plusIvEENS9_8equal_toIiEEiEE10hipError_tPvRmT2_T3_T4_T5_mT6_T7_P12ihipStream_tbENKUlT_T0_E_clISt17integral_constantIbLb1EESY_IbLb0EEEEDaSU_SV_EUlSU_E_NS1_11comp_targetILNS1_3genE9ELNS1_11target_archE1100ELNS1_3gpuE3ELNS1_3repE0EEENS1_30default_config_static_selectorELNS0_4arch9wavefront6targetE0EEEvT1_.has_recursion, 0
	.set _ZN7rocprim17ROCPRIM_400000_NS6detail17trampoline_kernelINS0_14default_configENS1_27scan_by_key_config_selectorIiiEEZZNS1_16scan_by_key_implILNS1_25lookback_scan_determinismE0ELb0ES3_N6thrust23THRUST_200600_302600_NS6detail15normal_iteratorINS9_10device_ptrIiEEEESE_SE_iNS9_4plusIvEENS9_8equal_toIiEEiEE10hipError_tPvRmT2_T3_T4_T5_mT6_T7_P12ihipStream_tbENKUlT_T0_E_clISt17integral_constantIbLb1EESY_IbLb0EEEEDaSU_SV_EUlSU_E_NS1_11comp_targetILNS1_3genE9ELNS1_11target_archE1100ELNS1_3gpuE3ELNS1_3repE0EEENS1_30default_config_static_selectorELNS0_4arch9wavefront6targetE0EEEvT1_.has_indirect_call, 0
	.section	.AMDGPU.csdata,"",@progbits
; Kernel info:
; codeLenInByte = 0
; TotalNumSgprs: 0
; NumVgprs: 0
; ScratchSize: 0
; MemoryBound: 0
; FloatMode: 240
; IeeeMode: 1
; LDSByteSize: 0 bytes/workgroup (compile time only)
; SGPRBlocks: 0
; VGPRBlocks: 0
; NumSGPRsForWavesPerEU: 1
; NumVGPRsForWavesPerEU: 1
; NamedBarCnt: 0
; Occupancy: 16
; WaveLimiterHint : 0
; COMPUTE_PGM_RSRC2:SCRATCH_EN: 0
; COMPUTE_PGM_RSRC2:USER_SGPR: 2
; COMPUTE_PGM_RSRC2:TRAP_HANDLER: 0
; COMPUTE_PGM_RSRC2:TGID_X_EN: 1
; COMPUTE_PGM_RSRC2:TGID_Y_EN: 0
; COMPUTE_PGM_RSRC2:TGID_Z_EN: 0
; COMPUTE_PGM_RSRC2:TIDIG_COMP_CNT: 0
	.section	.text._ZN7rocprim17ROCPRIM_400000_NS6detail17trampoline_kernelINS0_14default_configENS1_27scan_by_key_config_selectorIiiEEZZNS1_16scan_by_key_implILNS1_25lookback_scan_determinismE0ELb0ES3_N6thrust23THRUST_200600_302600_NS6detail15normal_iteratorINS9_10device_ptrIiEEEESE_SE_iNS9_4plusIvEENS9_8equal_toIiEEiEE10hipError_tPvRmT2_T3_T4_T5_mT6_T7_P12ihipStream_tbENKUlT_T0_E_clISt17integral_constantIbLb1EESY_IbLb0EEEEDaSU_SV_EUlSU_E_NS1_11comp_targetILNS1_3genE8ELNS1_11target_archE1030ELNS1_3gpuE2ELNS1_3repE0EEENS1_30default_config_static_selectorELNS0_4arch9wavefront6targetE0EEEvT1_,"axG",@progbits,_ZN7rocprim17ROCPRIM_400000_NS6detail17trampoline_kernelINS0_14default_configENS1_27scan_by_key_config_selectorIiiEEZZNS1_16scan_by_key_implILNS1_25lookback_scan_determinismE0ELb0ES3_N6thrust23THRUST_200600_302600_NS6detail15normal_iteratorINS9_10device_ptrIiEEEESE_SE_iNS9_4plusIvEENS9_8equal_toIiEEiEE10hipError_tPvRmT2_T3_T4_T5_mT6_T7_P12ihipStream_tbENKUlT_T0_E_clISt17integral_constantIbLb1EESY_IbLb0EEEEDaSU_SV_EUlSU_E_NS1_11comp_targetILNS1_3genE8ELNS1_11target_archE1030ELNS1_3gpuE2ELNS1_3repE0EEENS1_30default_config_static_selectorELNS0_4arch9wavefront6targetE0EEEvT1_,comdat
	.protected	_ZN7rocprim17ROCPRIM_400000_NS6detail17trampoline_kernelINS0_14default_configENS1_27scan_by_key_config_selectorIiiEEZZNS1_16scan_by_key_implILNS1_25lookback_scan_determinismE0ELb0ES3_N6thrust23THRUST_200600_302600_NS6detail15normal_iteratorINS9_10device_ptrIiEEEESE_SE_iNS9_4plusIvEENS9_8equal_toIiEEiEE10hipError_tPvRmT2_T3_T4_T5_mT6_T7_P12ihipStream_tbENKUlT_T0_E_clISt17integral_constantIbLb1EESY_IbLb0EEEEDaSU_SV_EUlSU_E_NS1_11comp_targetILNS1_3genE8ELNS1_11target_archE1030ELNS1_3gpuE2ELNS1_3repE0EEENS1_30default_config_static_selectorELNS0_4arch9wavefront6targetE0EEEvT1_ ; -- Begin function _ZN7rocprim17ROCPRIM_400000_NS6detail17trampoline_kernelINS0_14default_configENS1_27scan_by_key_config_selectorIiiEEZZNS1_16scan_by_key_implILNS1_25lookback_scan_determinismE0ELb0ES3_N6thrust23THRUST_200600_302600_NS6detail15normal_iteratorINS9_10device_ptrIiEEEESE_SE_iNS9_4plusIvEENS9_8equal_toIiEEiEE10hipError_tPvRmT2_T3_T4_T5_mT6_T7_P12ihipStream_tbENKUlT_T0_E_clISt17integral_constantIbLb1EESY_IbLb0EEEEDaSU_SV_EUlSU_E_NS1_11comp_targetILNS1_3genE8ELNS1_11target_archE1030ELNS1_3gpuE2ELNS1_3repE0EEENS1_30default_config_static_selectorELNS0_4arch9wavefront6targetE0EEEvT1_
	.globl	_ZN7rocprim17ROCPRIM_400000_NS6detail17trampoline_kernelINS0_14default_configENS1_27scan_by_key_config_selectorIiiEEZZNS1_16scan_by_key_implILNS1_25lookback_scan_determinismE0ELb0ES3_N6thrust23THRUST_200600_302600_NS6detail15normal_iteratorINS9_10device_ptrIiEEEESE_SE_iNS9_4plusIvEENS9_8equal_toIiEEiEE10hipError_tPvRmT2_T3_T4_T5_mT6_T7_P12ihipStream_tbENKUlT_T0_E_clISt17integral_constantIbLb1EESY_IbLb0EEEEDaSU_SV_EUlSU_E_NS1_11comp_targetILNS1_3genE8ELNS1_11target_archE1030ELNS1_3gpuE2ELNS1_3repE0EEENS1_30default_config_static_selectorELNS0_4arch9wavefront6targetE0EEEvT1_
	.p2align	8
	.type	_ZN7rocprim17ROCPRIM_400000_NS6detail17trampoline_kernelINS0_14default_configENS1_27scan_by_key_config_selectorIiiEEZZNS1_16scan_by_key_implILNS1_25lookback_scan_determinismE0ELb0ES3_N6thrust23THRUST_200600_302600_NS6detail15normal_iteratorINS9_10device_ptrIiEEEESE_SE_iNS9_4plusIvEENS9_8equal_toIiEEiEE10hipError_tPvRmT2_T3_T4_T5_mT6_T7_P12ihipStream_tbENKUlT_T0_E_clISt17integral_constantIbLb1EESY_IbLb0EEEEDaSU_SV_EUlSU_E_NS1_11comp_targetILNS1_3genE8ELNS1_11target_archE1030ELNS1_3gpuE2ELNS1_3repE0EEENS1_30default_config_static_selectorELNS0_4arch9wavefront6targetE0EEEvT1_,@function
_ZN7rocprim17ROCPRIM_400000_NS6detail17trampoline_kernelINS0_14default_configENS1_27scan_by_key_config_selectorIiiEEZZNS1_16scan_by_key_implILNS1_25lookback_scan_determinismE0ELb0ES3_N6thrust23THRUST_200600_302600_NS6detail15normal_iteratorINS9_10device_ptrIiEEEESE_SE_iNS9_4plusIvEENS9_8equal_toIiEEiEE10hipError_tPvRmT2_T3_T4_T5_mT6_T7_P12ihipStream_tbENKUlT_T0_E_clISt17integral_constantIbLb1EESY_IbLb0EEEEDaSU_SV_EUlSU_E_NS1_11comp_targetILNS1_3genE8ELNS1_11target_archE1030ELNS1_3gpuE2ELNS1_3repE0EEENS1_30default_config_static_selectorELNS0_4arch9wavefront6targetE0EEEvT1_: ; @_ZN7rocprim17ROCPRIM_400000_NS6detail17trampoline_kernelINS0_14default_configENS1_27scan_by_key_config_selectorIiiEEZZNS1_16scan_by_key_implILNS1_25lookback_scan_determinismE0ELb0ES3_N6thrust23THRUST_200600_302600_NS6detail15normal_iteratorINS9_10device_ptrIiEEEESE_SE_iNS9_4plusIvEENS9_8equal_toIiEEiEE10hipError_tPvRmT2_T3_T4_T5_mT6_T7_P12ihipStream_tbENKUlT_T0_E_clISt17integral_constantIbLb1EESY_IbLb0EEEEDaSU_SV_EUlSU_E_NS1_11comp_targetILNS1_3genE8ELNS1_11target_archE1030ELNS1_3gpuE2ELNS1_3repE0EEENS1_30default_config_static_selectorELNS0_4arch9wavefront6targetE0EEEvT1_
; %bb.0:
	.section	.rodata,"a",@progbits
	.p2align	6, 0x0
	.amdhsa_kernel _ZN7rocprim17ROCPRIM_400000_NS6detail17trampoline_kernelINS0_14default_configENS1_27scan_by_key_config_selectorIiiEEZZNS1_16scan_by_key_implILNS1_25lookback_scan_determinismE0ELb0ES3_N6thrust23THRUST_200600_302600_NS6detail15normal_iteratorINS9_10device_ptrIiEEEESE_SE_iNS9_4plusIvEENS9_8equal_toIiEEiEE10hipError_tPvRmT2_T3_T4_T5_mT6_T7_P12ihipStream_tbENKUlT_T0_E_clISt17integral_constantIbLb1EESY_IbLb0EEEEDaSU_SV_EUlSU_E_NS1_11comp_targetILNS1_3genE8ELNS1_11target_archE1030ELNS1_3gpuE2ELNS1_3repE0EEENS1_30default_config_static_selectorELNS0_4arch9wavefront6targetE0EEEvT1_
		.amdhsa_group_segment_fixed_size 0
		.amdhsa_private_segment_fixed_size 0
		.amdhsa_kernarg_size 112
		.amdhsa_user_sgpr_count 2
		.amdhsa_user_sgpr_dispatch_ptr 0
		.amdhsa_user_sgpr_queue_ptr 0
		.amdhsa_user_sgpr_kernarg_segment_ptr 1
		.amdhsa_user_sgpr_dispatch_id 0
		.amdhsa_user_sgpr_kernarg_preload_length 0
		.amdhsa_user_sgpr_kernarg_preload_offset 0
		.amdhsa_user_sgpr_private_segment_size 0
		.amdhsa_wavefront_size32 1
		.amdhsa_uses_dynamic_stack 0
		.amdhsa_enable_private_segment 0
		.amdhsa_system_sgpr_workgroup_id_x 1
		.amdhsa_system_sgpr_workgroup_id_y 0
		.amdhsa_system_sgpr_workgroup_id_z 0
		.amdhsa_system_sgpr_workgroup_info 0
		.amdhsa_system_vgpr_workitem_id 0
		.amdhsa_next_free_vgpr 1
		.amdhsa_next_free_sgpr 1
		.amdhsa_named_barrier_count 0
		.amdhsa_reserve_vcc 0
		.amdhsa_float_round_mode_32 0
		.amdhsa_float_round_mode_16_64 0
		.amdhsa_float_denorm_mode_32 3
		.amdhsa_float_denorm_mode_16_64 3
		.amdhsa_fp16_overflow 0
		.amdhsa_memory_ordered 1
		.amdhsa_forward_progress 1
		.amdhsa_inst_pref_size 0
		.amdhsa_round_robin_scheduling 0
		.amdhsa_exception_fp_ieee_invalid_op 0
		.amdhsa_exception_fp_denorm_src 0
		.amdhsa_exception_fp_ieee_div_zero 0
		.amdhsa_exception_fp_ieee_overflow 0
		.amdhsa_exception_fp_ieee_underflow 0
		.amdhsa_exception_fp_ieee_inexact 0
		.amdhsa_exception_int_div_zero 0
	.end_amdhsa_kernel
	.section	.text._ZN7rocprim17ROCPRIM_400000_NS6detail17trampoline_kernelINS0_14default_configENS1_27scan_by_key_config_selectorIiiEEZZNS1_16scan_by_key_implILNS1_25lookback_scan_determinismE0ELb0ES3_N6thrust23THRUST_200600_302600_NS6detail15normal_iteratorINS9_10device_ptrIiEEEESE_SE_iNS9_4plusIvEENS9_8equal_toIiEEiEE10hipError_tPvRmT2_T3_T4_T5_mT6_T7_P12ihipStream_tbENKUlT_T0_E_clISt17integral_constantIbLb1EESY_IbLb0EEEEDaSU_SV_EUlSU_E_NS1_11comp_targetILNS1_3genE8ELNS1_11target_archE1030ELNS1_3gpuE2ELNS1_3repE0EEENS1_30default_config_static_selectorELNS0_4arch9wavefront6targetE0EEEvT1_,"axG",@progbits,_ZN7rocprim17ROCPRIM_400000_NS6detail17trampoline_kernelINS0_14default_configENS1_27scan_by_key_config_selectorIiiEEZZNS1_16scan_by_key_implILNS1_25lookback_scan_determinismE0ELb0ES3_N6thrust23THRUST_200600_302600_NS6detail15normal_iteratorINS9_10device_ptrIiEEEESE_SE_iNS9_4plusIvEENS9_8equal_toIiEEiEE10hipError_tPvRmT2_T3_T4_T5_mT6_T7_P12ihipStream_tbENKUlT_T0_E_clISt17integral_constantIbLb1EESY_IbLb0EEEEDaSU_SV_EUlSU_E_NS1_11comp_targetILNS1_3genE8ELNS1_11target_archE1030ELNS1_3gpuE2ELNS1_3repE0EEENS1_30default_config_static_selectorELNS0_4arch9wavefront6targetE0EEEvT1_,comdat
.Lfunc_end226:
	.size	_ZN7rocprim17ROCPRIM_400000_NS6detail17trampoline_kernelINS0_14default_configENS1_27scan_by_key_config_selectorIiiEEZZNS1_16scan_by_key_implILNS1_25lookback_scan_determinismE0ELb0ES3_N6thrust23THRUST_200600_302600_NS6detail15normal_iteratorINS9_10device_ptrIiEEEESE_SE_iNS9_4plusIvEENS9_8equal_toIiEEiEE10hipError_tPvRmT2_T3_T4_T5_mT6_T7_P12ihipStream_tbENKUlT_T0_E_clISt17integral_constantIbLb1EESY_IbLb0EEEEDaSU_SV_EUlSU_E_NS1_11comp_targetILNS1_3genE8ELNS1_11target_archE1030ELNS1_3gpuE2ELNS1_3repE0EEENS1_30default_config_static_selectorELNS0_4arch9wavefront6targetE0EEEvT1_, .Lfunc_end226-_ZN7rocprim17ROCPRIM_400000_NS6detail17trampoline_kernelINS0_14default_configENS1_27scan_by_key_config_selectorIiiEEZZNS1_16scan_by_key_implILNS1_25lookback_scan_determinismE0ELb0ES3_N6thrust23THRUST_200600_302600_NS6detail15normal_iteratorINS9_10device_ptrIiEEEESE_SE_iNS9_4plusIvEENS9_8equal_toIiEEiEE10hipError_tPvRmT2_T3_T4_T5_mT6_T7_P12ihipStream_tbENKUlT_T0_E_clISt17integral_constantIbLb1EESY_IbLb0EEEEDaSU_SV_EUlSU_E_NS1_11comp_targetILNS1_3genE8ELNS1_11target_archE1030ELNS1_3gpuE2ELNS1_3repE0EEENS1_30default_config_static_selectorELNS0_4arch9wavefront6targetE0EEEvT1_
                                        ; -- End function
	.set _ZN7rocprim17ROCPRIM_400000_NS6detail17trampoline_kernelINS0_14default_configENS1_27scan_by_key_config_selectorIiiEEZZNS1_16scan_by_key_implILNS1_25lookback_scan_determinismE0ELb0ES3_N6thrust23THRUST_200600_302600_NS6detail15normal_iteratorINS9_10device_ptrIiEEEESE_SE_iNS9_4plusIvEENS9_8equal_toIiEEiEE10hipError_tPvRmT2_T3_T4_T5_mT6_T7_P12ihipStream_tbENKUlT_T0_E_clISt17integral_constantIbLb1EESY_IbLb0EEEEDaSU_SV_EUlSU_E_NS1_11comp_targetILNS1_3genE8ELNS1_11target_archE1030ELNS1_3gpuE2ELNS1_3repE0EEENS1_30default_config_static_selectorELNS0_4arch9wavefront6targetE0EEEvT1_.num_vgpr, 0
	.set _ZN7rocprim17ROCPRIM_400000_NS6detail17trampoline_kernelINS0_14default_configENS1_27scan_by_key_config_selectorIiiEEZZNS1_16scan_by_key_implILNS1_25lookback_scan_determinismE0ELb0ES3_N6thrust23THRUST_200600_302600_NS6detail15normal_iteratorINS9_10device_ptrIiEEEESE_SE_iNS9_4plusIvEENS9_8equal_toIiEEiEE10hipError_tPvRmT2_T3_T4_T5_mT6_T7_P12ihipStream_tbENKUlT_T0_E_clISt17integral_constantIbLb1EESY_IbLb0EEEEDaSU_SV_EUlSU_E_NS1_11comp_targetILNS1_3genE8ELNS1_11target_archE1030ELNS1_3gpuE2ELNS1_3repE0EEENS1_30default_config_static_selectorELNS0_4arch9wavefront6targetE0EEEvT1_.num_agpr, 0
	.set _ZN7rocprim17ROCPRIM_400000_NS6detail17trampoline_kernelINS0_14default_configENS1_27scan_by_key_config_selectorIiiEEZZNS1_16scan_by_key_implILNS1_25lookback_scan_determinismE0ELb0ES3_N6thrust23THRUST_200600_302600_NS6detail15normal_iteratorINS9_10device_ptrIiEEEESE_SE_iNS9_4plusIvEENS9_8equal_toIiEEiEE10hipError_tPvRmT2_T3_T4_T5_mT6_T7_P12ihipStream_tbENKUlT_T0_E_clISt17integral_constantIbLb1EESY_IbLb0EEEEDaSU_SV_EUlSU_E_NS1_11comp_targetILNS1_3genE8ELNS1_11target_archE1030ELNS1_3gpuE2ELNS1_3repE0EEENS1_30default_config_static_selectorELNS0_4arch9wavefront6targetE0EEEvT1_.numbered_sgpr, 0
	.set _ZN7rocprim17ROCPRIM_400000_NS6detail17trampoline_kernelINS0_14default_configENS1_27scan_by_key_config_selectorIiiEEZZNS1_16scan_by_key_implILNS1_25lookback_scan_determinismE0ELb0ES3_N6thrust23THRUST_200600_302600_NS6detail15normal_iteratorINS9_10device_ptrIiEEEESE_SE_iNS9_4plusIvEENS9_8equal_toIiEEiEE10hipError_tPvRmT2_T3_T4_T5_mT6_T7_P12ihipStream_tbENKUlT_T0_E_clISt17integral_constantIbLb1EESY_IbLb0EEEEDaSU_SV_EUlSU_E_NS1_11comp_targetILNS1_3genE8ELNS1_11target_archE1030ELNS1_3gpuE2ELNS1_3repE0EEENS1_30default_config_static_selectorELNS0_4arch9wavefront6targetE0EEEvT1_.num_named_barrier, 0
	.set _ZN7rocprim17ROCPRIM_400000_NS6detail17trampoline_kernelINS0_14default_configENS1_27scan_by_key_config_selectorIiiEEZZNS1_16scan_by_key_implILNS1_25lookback_scan_determinismE0ELb0ES3_N6thrust23THRUST_200600_302600_NS6detail15normal_iteratorINS9_10device_ptrIiEEEESE_SE_iNS9_4plusIvEENS9_8equal_toIiEEiEE10hipError_tPvRmT2_T3_T4_T5_mT6_T7_P12ihipStream_tbENKUlT_T0_E_clISt17integral_constantIbLb1EESY_IbLb0EEEEDaSU_SV_EUlSU_E_NS1_11comp_targetILNS1_3genE8ELNS1_11target_archE1030ELNS1_3gpuE2ELNS1_3repE0EEENS1_30default_config_static_selectorELNS0_4arch9wavefront6targetE0EEEvT1_.private_seg_size, 0
	.set _ZN7rocprim17ROCPRIM_400000_NS6detail17trampoline_kernelINS0_14default_configENS1_27scan_by_key_config_selectorIiiEEZZNS1_16scan_by_key_implILNS1_25lookback_scan_determinismE0ELb0ES3_N6thrust23THRUST_200600_302600_NS6detail15normal_iteratorINS9_10device_ptrIiEEEESE_SE_iNS9_4plusIvEENS9_8equal_toIiEEiEE10hipError_tPvRmT2_T3_T4_T5_mT6_T7_P12ihipStream_tbENKUlT_T0_E_clISt17integral_constantIbLb1EESY_IbLb0EEEEDaSU_SV_EUlSU_E_NS1_11comp_targetILNS1_3genE8ELNS1_11target_archE1030ELNS1_3gpuE2ELNS1_3repE0EEENS1_30default_config_static_selectorELNS0_4arch9wavefront6targetE0EEEvT1_.uses_vcc, 0
	.set _ZN7rocprim17ROCPRIM_400000_NS6detail17trampoline_kernelINS0_14default_configENS1_27scan_by_key_config_selectorIiiEEZZNS1_16scan_by_key_implILNS1_25lookback_scan_determinismE0ELb0ES3_N6thrust23THRUST_200600_302600_NS6detail15normal_iteratorINS9_10device_ptrIiEEEESE_SE_iNS9_4plusIvEENS9_8equal_toIiEEiEE10hipError_tPvRmT2_T3_T4_T5_mT6_T7_P12ihipStream_tbENKUlT_T0_E_clISt17integral_constantIbLb1EESY_IbLb0EEEEDaSU_SV_EUlSU_E_NS1_11comp_targetILNS1_3genE8ELNS1_11target_archE1030ELNS1_3gpuE2ELNS1_3repE0EEENS1_30default_config_static_selectorELNS0_4arch9wavefront6targetE0EEEvT1_.uses_flat_scratch, 0
	.set _ZN7rocprim17ROCPRIM_400000_NS6detail17trampoline_kernelINS0_14default_configENS1_27scan_by_key_config_selectorIiiEEZZNS1_16scan_by_key_implILNS1_25lookback_scan_determinismE0ELb0ES3_N6thrust23THRUST_200600_302600_NS6detail15normal_iteratorINS9_10device_ptrIiEEEESE_SE_iNS9_4plusIvEENS9_8equal_toIiEEiEE10hipError_tPvRmT2_T3_T4_T5_mT6_T7_P12ihipStream_tbENKUlT_T0_E_clISt17integral_constantIbLb1EESY_IbLb0EEEEDaSU_SV_EUlSU_E_NS1_11comp_targetILNS1_3genE8ELNS1_11target_archE1030ELNS1_3gpuE2ELNS1_3repE0EEENS1_30default_config_static_selectorELNS0_4arch9wavefront6targetE0EEEvT1_.has_dyn_sized_stack, 0
	.set _ZN7rocprim17ROCPRIM_400000_NS6detail17trampoline_kernelINS0_14default_configENS1_27scan_by_key_config_selectorIiiEEZZNS1_16scan_by_key_implILNS1_25lookback_scan_determinismE0ELb0ES3_N6thrust23THRUST_200600_302600_NS6detail15normal_iteratorINS9_10device_ptrIiEEEESE_SE_iNS9_4plusIvEENS9_8equal_toIiEEiEE10hipError_tPvRmT2_T3_T4_T5_mT6_T7_P12ihipStream_tbENKUlT_T0_E_clISt17integral_constantIbLb1EESY_IbLb0EEEEDaSU_SV_EUlSU_E_NS1_11comp_targetILNS1_3genE8ELNS1_11target_archE1030ELNS1_3gpuE2ELNS1_3repE0EEENS1_30default_config_static_selectorELNS0_4arch9wavefront6targetE0EEEvT1_.has_recursion, 0
	.set _ZN7rocprim17ROCPRIM_400000_NS6detail17trampoline_kernelINS0_14default_configENS1_27scan_by_key_config_selectorIiiEEZZNS1_16scan_by_key_implILNS1_25lookback_scan_determinismE0ELb0ES3_N6thrust23THRUST_200600_302600_NS6detail15normal_iteratorINS9_10device_ptrIiEEEESE_SE_iNS9_4plusIvEENS9_8equal_toIiEEiEE10hipError_tPvRmT2_T3_T4_T5_mT6_T7_P12ihipStream_tbENKUlT_T0_E_clISt17integral_constantIbLb1EESY_IbLb0EEEEDaSU_SV_EUlSU_E_NS1_11comp_targetILNS1_3genE8ELNS1_11target_archE1030ELNS1_3gpuE2ELNS1_3repE0EEENS1_30default_config_static_selectorELNS0_4arch9wavefront6targetE0EEEvT1_.has_indirect_call, 0
	.section	.AMDGPU.csdata,"",@progbits
; Kernel info:
; codeLenInByte = 0
; TotalNumSgprs: 0
; NumVgprs: 0
; ScratchSize: 0
; MemoryBound: 0
; FloatMode: 240
; IeeeMode: 1
; LDSByteSize: 0 bytes/workgroup (compile time only)
; SGPRBlocks: 0
; VGPRBlocks: 0
; NumSGPRsForWavesPerEU: 1
; NumVGPRsForWavesPerEU: 1
; NamedBarCnt: 0
; Occupancy: 16
; WaveLimiterHint : 0
; COMPUTE_PGM_RSRC2:SCRATCH_EN: 0
; COMPUTE_PGM_RSRC2:USER_SGPR: 2
; COMPUTE_PGM_RSRC2:TRAP_HANDLER: 0
; COMPUTE_PGM_RSRC2:TGID_X_EN: 1
; COMPUTE_PGM_RSRC2:TGID_Y_EN: 0
; COMPUTE_PGM_RSRC2:TGID_Z_EN: 0
; COMPUTE_PGM_RSRC2:TIDIG_COMP_CNT: 0
	.section	.text._ZN7rocprim17ROCPRIM_400000_NS6detail17trampoline_kernelINS0_14default_configENS1_27scan_by_key_config_selectorIiiEEZZNS1_16scan_by_key_implILNS1_25lookback_scan_determinismE0ELb0ES3_N6thrust23THRUST_200600_302600_NS6detail15normal_iteratorINS9_10device_ptrIiEEEESE_SE_iNS9_4plusIvEENS9_8equal_toIiEEiEE10hipError_tPvRmT2_T3_T4_T5_mT6_T7_P12ihipStream_tbENKUlT_T0_E_clISt17integral_constantIbLb0EESY_IbLb1EEEEDaSU_SV_EUlSU_E_NS1_11comp_targetILNS1_3genE0ELNS1_11target_archE4294967295ELNS1_3gpuE0ELNS1_3repE0EEENS1_30default_config_static_selectorELNS0_4arch9wavefront6targetE0EEEvT1_,"axG",@progbits,_ZN7rocprim17ROCPRIM_400000_NS6detail17trampoline_kernelINS0_14default_configENS1_27scan_by_key_config_selectorIiiEEZZNS1_16scan_by_key_implILNS1_25lookback_scan_determinismE0ELb0ES3_N6thrust23THRUST_200600_302600_NS6detail15normal_iteratorINS9_10device_ptrIiEEEESE_SE_iNS9_4plusIvEENS9_8equal_toIiEEiEE10hipError_tPvRmT2_T3_T4_T5_mT6_T7_P12ihipStream_tbENKUlT_T0_E_clISt17integral_constantIbLb0EESY_IbLb1EEEEDaSU_SV_EUlSU_E_NS1_11comp_targetILNS1_3genE0ELNS1_11target_archE4294967295ELNS1_3gpuE0ELNS1_3repE0EEENS1_30default_config_static_selectorELNS0_4arch9wavefront6targetE0EEEvT1_,comdat
	.protected	_ZN7rocprim17ROCPRIM_400000_NS6detail17trampoline_kernelINS0_14default_configENS1_27scan_by_key_config_selectorIiiEEZZNS1_16scan_by_key_implILNS1_25lookback_scan_determinismE0ELb0ES3_N6thrust23THRUST_200600_302600_NS6detail15normal_iteratorINS9_10device_ptrIiEEEESE_SE_iNS9_4plusIvEENS9_8equal_toIiEEiEE10hipError_tPvRmT2_T3_T4_T5_mT6_T7_P12ihipStream_tbENKUlT_T0_E_clISt17integral_constantIbLb0EESY_IbLb1EEEEDaSU_SV_EUlSU_E_NS1_11comp_targetILNS1_3genE0ELNS1_11target_archE4294967295ELNS1_3gpuE0ELNS1_3repE0EEENS1_30default_config_static_selectorELNS0_4arch9wavefront6targetE0EEEvT1_ ; -- Begin function _ZN7rocprim17ROCPRIM_400000_NS6detail17trampoline_kernelINS0_14default_configENS1_27scan_by_key_config_selectorIiiEEZZNS1_16scan_by_key_implILNS1_25lookback_scan_determinismE0ELb0ES3_N6thrust23THRUST_200600_302600_NS6detail15normal_iteratorINS9_10device_ptrIiEEEESE_SE_iNS9_4plusIvEENS9_8equal_toIiEEiEE10hipError_tPvRmT2_T3_T4_T5_mT6_T7_P12ihipStream_tbENKUlT_T0_E_clISt17integral_constantIbLb0EESY_IbLb1EEEEDaSU_SV_EUlSU_E_NS1_11comp_targetILNS1_3genE0ELNS1_11target_archE4294967295ELNS1_3gpuE0ELNS1_3repE0EEENS1_30default_config_static_selectorELNS0_4arch9wavefront6targetE0EEEvT1_
	.globl	_ZN7rocprim17ROCPRIM_400000_NS6detail17trampoline_kernelINS0_14default_configENS1_27scan_by_key_config_selectorIiiEEZZNS1_16scan_by_key_implILNS1_25lookback_scan_determinismE0ELb0ES3_N6thrust23THRUST_200600_302600_NS6detail15normal_iteratorINS9_10device_ptrIiEEEESE_SE_iNS9_4plusIvEENS9_8equal_toIiEEiEE10hipError_tPvRmT2_T3_T4_T5_mT6_T7_P12ihipStream_tbENKUlT_T0_E_clISt17integral_constantIbLb0EESY_IbLb1EEEEDaSU_SV_EUlSU_E_NS1_11comp_targetILNS1_3genE0ELNS1_11target_archE4294967295ELNS1_3gpuE0ELNS1_3repE0EEENS1_30default_config_static_selectorELNS0_4arch9wavefront6targetE0EEEvT1_
	.p2align	8
	.type	_ZN7rocprim17ROCPRIM_400000_NS6detail17trampoline_kernelINS0_14default_configENS1_27scan_by_key_config_selectorIiiEEZZNS1_16scan_by_key_implILNS1_25lookback_scan_determinismE0ELb0ES3_N6thrust23THRUST_200600_302600_NS6detail15normal_iteratorINS9_10device_ptrIiEEEESE_SE_iNS9_4plusIvEENS9_8equal_toIiEEiEE10hipError_tPvRmT2_T3_T4_T5_mT6_T7_P12ihipStream_tbENKUlT_T0_E_clISt17integral_constantIbLb0EESY_IbLb1EEEEDaSU_SV_EUlSU_E_NS1_11comp_targetILNS1_3genE0ELNS1_11target_archE4294967295ELNS1_3gpuE0ELNS1_3repE0EEENS1_30default_config_static_selectorELNS0_4arch9wavefront6targetE0EEEvT1_,@function
_ZN7rocprim17ROCPRIM_400000_NS6detail17trampoline_kernelINS0_14default_configENS1_27scan_by_key_config_selectorIiiEEZZNS1_16scan_by_key_implILNS1_25lookback_scan_determinismE0ELb0ES3_N6thrust23THRUST_200600_302600_NS6detail15normal_iteratorINS9_10device_ptrIiEEEESE_SE_iNS9_4plusIvEENS9_8equal_toIiEEiEE10hipError_tPvRmT2_T3_T4_T5_mT6_T7_P12ihipStream_tbENKUlT_T0_E_clISt17integral_constantIbLb0EESY_IbLb1EEEEDaSU_SV_EUlSU_E_NS1_11comp_targetILNS1_3genE0ELNS1_11target_archE4294967295ELNS1_3gpuE0ELNS1_3repE0EEENS1_30default_config_static_selectorELNS0_4arch9wavefront6targetE0EEEvT1_: ; @_ZN7rocprim17ROCPRIM_400000_NS6detail17trampoline_kernelINS0_14default_configENS1_27scan_by_key_config_selectorIiiEEZZNS1_16scan_by_key_implILNS1_25lookback_scan_determinismE0ELb0ES3_N6thrust23THRUST_200600_302600_NS6detail15normal_iteratorINS9_10device_ptrIiEEEESE_SE_iNS9_4plusIvEENS9_8equal_toIiEEiEE10hipError_tPvRmT2_T3_T4_T5_mT6_T7_P12ihipStream_tbENKUlT_T0_E_clISt17integral_constantIbLb0EESY_IbLb1EEEEDaSU_SV_EUlSU_E_NS1_11comp_targetILNS1_3genE0ELNS1_11target_archE4294967295ELNS1_3gpuE0ELNS1_3repE0EEENS1_30default_config_static_selectorELNS0_4arch9wavefront6targetE0EEEvT1_
; %bb.0:
	s_clause 0x1
	s_load_b128 s[28:31], s[0:1], 0x28
	s_load_b64 s[36:37], s[0:1], 0x38
	v_cmp_ne_u32_e64 s3, 0, v0
	v_cmp_eq_u32_e64 s2, 0, v0
	s_and_saveexec_b32 s4, s2
	s_cbranch_execz .LBB227_4
; %bb.1:
	s_mov_b32 s6, exec_lo
	s_mov_b32 s5, exec_lo
	v_mbcnt_lo_u32_b32 v1, s6, 0
                                        ; implicit-def: $vgpr2
	s_delay_alu instid0(VALU_DEP_1)
	v_cmpx_eq_u32_e32 0, v1
	s_cbranch_execz .LBB227_3
; %bb.2:
	s_load_b64 s[8:9], s[0:1], 0x68
	s_bcnt1_i32_b32 s6, s6
	s_delay_alu instid0(SALU_CYCLE_1)
	v_dual_mov_b32 v2, 0 :: v_dual_mov_b32 v3, s6
	s_wait_xcnt 0x0
	s_wait_kmcnt 0x0
	global_atomic_add_u32 v2, v2, v3, s[8:9] th:TH_ATOMIC_RETURN scope:SCOPE_DEV
.LBB227_3:
	s_wait_xcnt 0x0
	s_or_b32 exec_lo, exec_lo, s5
	s_wait_loadcnt 0x0
	v_readfirstlane_b32 s5, v2
	s_delay_alu instid0(VALU_DEP_1)
	v_dual_mov_b32 v2, 0 :: v_dual_add_nc_u32 v1, s5, v1
	ds_store_b32 v2, v1
.LBB227_4:
	s_or_b32 exec_lo, exec_lo, s4
	v_mov_b32_e32 v1, 0
	s_clause 0x2
	s_load_b256 s[12:19], s[0:1], 0x0
	s_load_b32 s38, s[0:1], 0x40
	s_load_b256 s[20:27], s[0:1], 0x48
	s_wait_dscnt 0x0
	s_barrier_signal -1
	s_barrier_wait -1
	ds_load_b32 v2, v1
	s_mov_b32 s39, 0
	s_wait_dscnt 0x0
	s_mov_b32 s9, s39
	s_barrier_signal -1
	s_barrier_wait -1
	s_barrier_signal -1
	s_barrier_wait -1
	s_wait_kmcnt 0x0
	s_lshl_b64 s[34:35], s[14:15], 2
	s_mul_u64 s[6:7], s[36:37], s[38:39]
	s_cmp_lg_u64 s[24:25], 0
	s_add_nc_u64 s[0:1], s[12:13], s[34:35]
	s_add_nc_u64 s[4:5], s[16:17], s[34:35]
	s_cselect_b32 s42, -1, 0
	v_readfirstlane_b32 s38, v2
	s_add_nc_u64 s[24:25], s[6:7], s[38:39]
	s_add_nc_u64 s[6:7], s[20:21], -1
	s_mul_i32 s8, s38, 0xc00
	v_cmp_ge_u64_e64 s31, s[24:25], s[6:7]
	s_lshl_b64 s[16:17], s[8:9], 2
	s_mul_i32 s33, s6, 0xfffff400
	s_add_nc_u64 s[20:21], s[0:1], s[16:17]
	s_add_nc_u64 s[14:15], s[4:5], s[16:17]
	s_and_b32 vcc_lo, exec_lo, s31
	s_cbranch_vccz .LBB227_32
; %bb.5:
	flat_load_b32 v1, v1, s[20:21]
	s_add_co_i32 s43, s33, s30
	s_delay_alu instid0(SALU_CYCLE_1)
	v_cmp_gt_u32_e64 s0, s43, v0
	s_wait_loadcnt_dscnt 0x0
	v_mov_b32_e32 v2, v1
	s_and_saveexec_b32 s1, s0
	s_cbranch_execz .LBB227_7
; %bb.6:
	flat_load_b32 v2, v0, s[20:21] scale_offset
.LBB227_7:
	s_wait_xcnt 0x0
	s_or_b32 exec_lo, exec_lo, s1
	v_or_b32_e32 v3, 0x100, v0
	v_mov_b32_e32 v4, v1
	s_delay_alu instid0(VALU_DEP_2)
	v_cmp_gt_u32_e64 s1, s43, v3
	s_and_saveexec_b32 s4, s1
	s_cbranch_execz .LBB227_9
; %bb.8:
	flat_load_b32 v4, v0, s[20:21] offset:1024 scale_offset
.LBB227_9:
	s_wait_xcnt 0x0
	s_or_b32 exec_lo, exec_lo, s4
	v_or_b32_e32 v3, 0x200, v0
	v_mov_b32_e32 v5, v1
	s_delay_alu instid0(VALU_DEP_2)
	v_cmp_gt_u32_e64 s4, s43, v3
	s_and_saveexec_b32 s5, s4
	s_cbranch_execz .LBB227_11
; %bb.10:
	flat_load_b32 v5, v0, s[20:21] offset:2048 scale_offset
.LBB227_11:
	;; [unrolled: 11-line block ×10, first 2 shown]
	s_wait_xcnt 0x0
	s_or_b32 exec_lo, exec_lo, s13
	v_or_b32_e32 v3, 0xb00, v0
	s_mov_b32 s39, exec_lo
	s_delay_alu instid0(VALU_DEP_1) | instskip(SKIP_2) | instid1(SALU_CYCLE_1)
	v_cmp_gt_u32_e64 s13, s43, v3
	v_cmpx_le_u32_e64 s43, v3
	s_xor_b32 s39, exec_lo, s39
	s_and_not1_saveexec_b32 s39, s39
	s_cbranch_execz .LBB227_29
; %bb.28:
	flat_load_b32 v1, v0, s[20:21] offset:11264 scale_offset
.LBB227_29:
	s_wait_xcnt 0x0
	s_or_b32 exec_lo, exec_lo, s39
	v_lshlrev_b32_e32 v3, 2, v0
	s_cmp_eq_u64 s[24:25], 0
	s_mov_b64 s[40:41], s[20:21]
	s_wait_loadcnt_dscnt 0x0
	ds_store_2addr_stride64_b32 v3, v2, v4 offset1:4
	ds_store_2addr_stride64_b32 v3, v5, v6 offset0:8 offset1:12
	ds_store_2addr_stride64_b32 v3, v7, v8 offset0:16 offset1:20
	;; [unrolled: 1-line block ×5, first 2 shown]
	v_mad_u32_u24 v1, v0, 44, v3
	s_wait_dscnt 0x0
	s_barrier_signal -1
	s_barrier_wait -1
	ds_load_b128 v[14:17], v1
	ds_load_b128 v[10:13], v1 offset:16
	ds_load_b128 v[6:9], v1 offset:32
	s_cbranch_scc1 .LBB227_35
; %bb.30:
	s_and_not1_b32 vcc_lo, exec_lo, s42
	s_cbranch_vccnz .LBB227_33
; %bb.31:
	s_lshl_b64 s[40:41], s[24:25], 2
	s_mov_b32 s39, 0
	s_add_nc_u64 s[40:41], s[26:27], s[40:41]
	s_delay_alu instid0(SALU_CYCLE_1)
	s_add_nc_u64 s[40:41], s[40:41], -4
	s_branch .LBB227_34
.LBB227_32:
                                        ; implicit-def: $sgpr4
                                        ; implicit-def: $vgpr5
                                        ; implicit-def: $vgpr18_vgpr19
                                        ; implicit-def: $vgpr42_vgpr43
                                        ; implicit-def: $vgpr46_vgpr47
                                        ; implicit-def: $vgpr44_vgpr45
                                        ; implicit-def: $vgpr48_vgpr49
                                        ; implicit-def: $vgpr50_vgpr51
                                        ; implicit-def: $vgpr52_vgpr53
                                        ; implicit-def: $vgpr54_vgpr55
                                        ; implicit-def: $vgpr56_vgpr57
                                        ; implicit-def: $vgpr58_vgpr59
                                        ; implicit-def: $vgpr38_vgpr39
                                        ; implicit-def: $vgpr36_vgpr37
                                        ; implicit-def: $vgpr34_vgpr35
                                        ; implicit-def: $vgpr32_vgpr33
                                        ; implicit-def: $vgpr30_vgpr31
                                        ; implicit-def: $vgpr28_vgpr29
                                        ; implicit-def: $vgpr26_vgpr27
                                        ; implicit-def: $vgpr24_vgpr25
                                        ; implicit-def: $vgpr22_vgpr23
                                        ; implicit-def: $vgpr20_vgpr21
	v_lshlrev_b32_e32 v16, 2, v0
	s_cbranch_execnz .LBB227_73
	s_branch .LBB227_92
.LBB227_33:
	s_add_nc_u64 s[40:41], s[20:21], -4
	s_mov_b32 s39, -1
.LBB227_34:
	s_delay_alu instid0(SALU_CYCLE_1)
	s_and_not1_b32 vcc_lo, exec_lo, s39
.LBB227_35:
	v_mov_b32_e32 v2, 0
	v_mad_i32_i24 v4, 0xffffffd4, v0, v1
	flat_load_b32 v2, v2, s[40:41]
	s_wait_dscnt 0x1
	ds_store_b32 v4, v9 offset:12288
	s_wait_loadcnt_dscnt 0x0
	s_barrier_signal -1
	s_barrier_wait -1
	s_and_saveexec_b32 s39, s3
; %bb.36:
	v_mul_i32_i24_e32 v2, 0xffffffd4, v0
	s_delay_alu instid0(VALU_DEP_1)
	v_add_nc_u32_e32 v2, v1, v2
	ds_load_b32 v2, v2 offset:12284
; %bb.37:
	s_or_b32 exec_lo, exec_lo, s39
	s_wait_dscnt 0x0
	s_barrier_signal -1
	s_barrier_wait -1
                                        ; implicit-def: $vgpr5
	s_and_saveexec_b32 s39, s0
	s_cbranch_execnz .LBB227_76
; %bb.38:
	s_or_b32 exec_lo, exec_lo, s39
                                        ; implicit-def: $vgpr18
	s_and_saveexec_b32 s0, s1
	s_cbranch_execnz .LBB227_77
.LBB227_39:
	s_or_b32 exec_lo, exec_lo, s0
                                        ; implicit-def: $vgpr19
	s_and_saveexec_b32 s0, s4
	s_cbranch_execnz .LBB227_78
.LBB227_40:
	s_or_b32 exec_lo, exec_lo, s0
                                        ; implicit-def: $vgpr20
	s_and_saveexec_b32 s0, s5
	s_cbranch_execnz .LBB227_79
.LBB227_41:
	s_or_b32 exec_lo, exec_lo, s0
                                        ; implicit-def: $vgpr21
	s_and_saveexec_b32 s0, s6
	s_cbranch_execnz .LBB227_80
.LBB227_42:
	s_or_b32 exec_lo, exec_lo, s0
                                        ; implicit-def: $vgpr22
	s_and_saveexec_b32 s0, s7
	s_cbranch_execnz .LBB227_81
.LBB227_43:
	s_or_b32 exec_lo, exec_lo, s0
                                        ; implicit-def: $vgpr23
	s_and_saveexec_b32 s0, s8
	s_cbranch_execnz .LBB227_82
.LBB227_44:
	s_or_b32 exec_lo, exec_lo, s0
                                        ; implicit-def: $vgpr24
	s_and_saveexec_b32 s0, s9
	s_cbranch_execnz .LBB227_83
.LBB227_45:
	s_or_b32 exec_lo, exec_lo, s0
                                        ; implicit-def: $vgpr25
	s_and_saveexec_b32 s0, s10
	s_cbranch_execnz .LBB227_84
.LBB227_46:
	s_or_b32 exec_lo, exec_lo, s0
                                        ; implicit-def: $vgpr26
	s_and_saveexec_b32 s0, s11
	s_cbranch_execnz .LBB227_85
.LBB227_47:
	s_or_b32 exec_lo, exec_lo, s0
                                        ; implicit-def: $vgpr27
	s_and_saveexec_b32 s0, s12
	s_cbranch_execnz .LBB227_86
.LBB227_48:
	s_or_b32 exec_lo, exec_lo, s0
                                        ; implicit-def: $vgpr28
	s_and_saveexec_b32 s0, s13
	s_cbranch_execz .LBB227_50
.LBB227_49:
	flat_load_b32 v28, v0, s[14:15] offset:11264 scale_offset
.LBB227_50:
	s_wait_xcnt 0x0
	s_or_b32 exec_lo, exec_lo, s0
	s_wait_loadcnt_dscnt 0x0
	ds_store_2addr_stride64_b32 v3, v5, v18 offset1:4
	ds_store_2addr_stride64_b32 v3, v19, v20 offset0:8 offset1:12
	ds_store_2addr_stride64_b32 v3, v21, v22 offset0:16 offset1:20
	;; [unrolled: 1-line block ×5, first 2 shown]
	v_mov_b64_e32 v[18:19], 0
	v_mov_b64_e32 v[42:43], 0
	;; [unrolled: 1-line block ×20, first 2 shown]
	v_mul_u32_u24_e32 v4, 12, v0
	s_mov_b32 s1, 0
	s_mov_b32 s39, 0
	s_mov_b32 s5, exec_lo
	s_wait_dscnt 0x0
	s_barrier_signal -1
	s_barrier_wait -1
                                        ; implicit-def: $sgpr4
                                        ; implicit-def: $vgpr5
	v_cmpx_gt_u32_e64 s43, v4
	s_cbranch_execz .LBB227_72
; %bb.51:
	ds_load_b32 v18, v1
	v_cmp_ne_u32_e32 vcc_lo, v2, v14
	v_mov_b64_e32 v[42:43], 0
	v_mov_b64_e32 v[46:47], 0
	;; [unrolled: 1-line block ×18, first 2 shown]
	v_or_b32_e32 v3, 1, v4
	v_cndmask_b32_e64 v19, 0, 1, vcc_lo
	s_mov_b32 s0, 0
	s_mov_b32 s6, exec_lo
                                        ; implicit-def: $sgpr4
                                        ; implicit-def: $vgpr5
	s_delay_alu instid0(VALU_DEP_2)
	v_cmpx_gt_u32_e64 s43, v3
	s_cbranch_execz .LBB227_71
; %bb.52:
	ds_load_2addr_b32 v[42:43], v1 offset0:1 offset1:2
	v_cmp_ne_u32_e32 vcc_lo, v14, v15
	v_mov_b64_e32 v[46:47], 0
	v_mov_b64_e32 v[44:45], 0
	;; [unrolled: 1-line block ×16, first 2 shown]
	v_or_b32_e32 v3, 2, v4
	v_cndmask_b32_e64 v2, 0, 1, vcc_lo
	s_mov_b32 s7, exec_lo
                                        ; implicit-def: $sgpr4
                                        ; implicit-def: $vgpr5
	s_delay_alu instid0(VALU_DEP_2)
	v_cmpx_gt_u32_e64 s43, v3
	s_cbranch_execz .LBB227_70
; %bb.53:
	v_cmp_ne_u32_e32 vcc_lo, v15, v16
	v_mov_b64_e32 v[44:45], 0
	v_mov_b64_e32 v[48:49], 0
	;; [unrolled: 1-line block ×14, first 2 shown]
	v_or_b32_e32 v3, 3, v4
	v_cndmask_b32_e64 v47, 0, 1, vcc_lo
	s_mov_b32 s8, exec_lo
                                        ; implicit-def: $sgpr4
                                        ; implicit-def: $vgpr5
	s_delay_alu instid0(VALU_DEP_2)
	v_cmpx_gt_u32_e64 s43, v3
	s_cbranch_execz .LBB227_69
; %bb.54:
	ds_load_2addr_b32 v[44:45], v1 offset0:3 offset1:4
	v_add_nc_u32_e32 v5, 4, v4
	v_cmp_ne_u32_e32 vcc_lo, v16, v17
	v_mov_b64_e32 v[48:49], 0
	v_mov_b64_e32 v[50:51], 0
	;; [unrolled: 1-line block ×12, first 2 shown]
	v_cndmask_b32_e64 v3, 0, 1, vcc_lo
	v_cmp_gt_u32_e32 vcc_lo, s43, v5
                                        ; implicit-def: $sgpr4
                                        ; implicit-def: $vgpr5
	s_and_saveexec_b32 s9, vcc_lo
	s_cbranch_execz .LBB227_68
; %bb.55:
	v_add_nc_u32_e32 v5, 5, v4
	v_cmp_ne_u32_e32 vcc_lo, v17, v10
	v_mov_b64_e32 v[50:51], 0
	v_mov_b64_e32 v[52:53], 0
	;; [unrolled: 1-line block ×10, first 2 shown]
	v_cndmask_b32_e64 v49, 0, 1, vcc_lo
	v_cmp_gt_u32_e32 vcc_lo, s43, v5
                                        ; implicit-def: $sgpr4
                                        ; implicit-def: $vgpr5
	s_and_saveexec_b32 s10, vcc_lo
	s_cbranch_execz .LBB227_67
; %bb.56:
	ds_load_2addr_b32 v[50:51], v1 offset0:5 offset1:6
	v_add_nc_u32_e32 v5, 6, v4
	v_cmp_ne_u32_e32 vcc_lo, v10, v11
	v_mov_b64_e32 v[52:53], 0
	v_mov_b64_e32 v[54:55], 0
	v_mov_b64_e32 v[56:57], 0
	v_mov_b64_e32 v[58:59], 0
	v_mov_b64_e32 v[26:27], 0
	v_mov_b64_e32 v[24:25], 0
	v_mov_b64_e32 v[22:23], 0
	v_mov_b64_e32 v[20:21], 0
	v_cndmask_b32_e64 v10, 0, 1, vcc_lo
	v_cmp_gt_u32_e32 vcc_lo, s43, v5
                                        ; implicit-def: $sgpr4
                                        ; implicit-def: $vgpr5
	s_and_saveexec_b32 s11, vcc_lo
	s_cbranch_execz .LBB227_66
; %bb.57:
	v_add_nc_u32_e32 v5, 7, v4
	v_cmp_ne_u32_e32 vcc_lo, v11, v12
	v_mov_b64_e32 v[54:55], 0
	v_mov_b64_e32 v[56:57], 0
	;; [unrolled: 1-line block ×6, first 2 shown]
	v_cndmask_b32_e64 v53, 0, 1, vcc_lo
	v_cmp_gt_u32_e32 vcc_lo, s43, v5
                                        ; implicit-def: $sgpr4
                                        ; implicit-def: $vgpr5
	s_and_saveexec_b32 s12, vcc_lo
	s_cbranch_execz .LBB227_65
; %bb.58:
	ds_load_2addr_b32 v[54:55], v1 offset0:7 offset1:8
	v_add_nc_u32_e32 v5, 8, v4
	v_cmp_ne_u32_e32 vcc_lo, v12, v13
	v_mov_b64_e32 v[56:57], 0
	v_mov_b64_e32 v[58:59], 0
	;; [unrolled: 1-line block ×4, first 2 shown]
	v_cndmask_b32_e64 v11, 0, 1, vcc_lo
	v_cmp_gt_u32_e32 vcc_lo, s43, v5
                                        ; implicit-def: $sgpr4
                                        ; implicit-def: $vgpr5
	s_and_saveexec_b32 s13, vcc_lo
	s_cbranch_execz .LBB227_64
; %bb.59:
	v_add_nc_u32_e32 v5, 9, v4
	v_cmp_ne_u32_e32 vcc_lo, v13, v6
	v_mov_b64_e32 v[58:59], 0
	v_mov_b64_e32 v[20:21], 0
                                        ; implicit-def: $sgpr4
	v_cndmask_b32_e64 v57, 0, 1, vcc_lo
	v_cmp_gt_u32_e32 vcc_lo, s43, v5
                                        ; implicit-def: $vgpr5
	s_and_saveexec_b32 s39, vcc_lo
	s_cbranch_execz .LBB227_63
; %bb.60:
	ds_load_2addr_b32 v[58:59], v1 offset0:9 offset1:10
	v_add_nc_u32_e32 v5, 10, v4
	v_cmp_ne_u32_e32 vcc_lo, v6, v7
	v_mov_b64_e32 v[20:21], 0
                                        ; implicit-def: $sgpr4
	v_cndmask_b32_e64 v6, 0, 1, vcc_lo
	s_delay_alu instid0(VALU_DEP_4) | instskip(SKIP_1) | instid1(SALU_CYCLE_1)
	v_cmp_gt_u32_e32 vcc_lo, s43, v5
                                        ; implicit-def: $vgpr5
	s_and_saveexec_b32 s40, vcc_lo
	s_xor_b32 s40, exec_lo, s40
	s_cbranch_execz .LBB227_62
; %bb.61:
	ds_load_b32 v5, v1 offset:44
	s_wait_dscnt 0x1
	v_dual_mov_b32 v20, v59 :: v_dual_add_nc_u32 v1, 11, v4
	v_cmp_ne_u32_e64 s0, v7, v8
	v_cmp_ne_u32_e64 s4, v8, v9
	s_delay_alu instid0(VALU_DEP_3) | instskip(NEXT) | instid1(VALU_DEP_3)
	v_cmp_gt_u32_e32 vcc_lo, s43, v1
	v_cndmask_b32_e64 v21, 0, 1, s0
	s_and_b32 s0, vcc_lo, exec_lo
.LBB227_62:
	s_or_b32 exec_lo, exec_lo, s40
	s_wait_dscnt 0x0
	v_mov_b32_e32 v59, v6
	s_and_b32 s0, s0, exec_lo
.LBB227_63:
	s_or_b32 exec_lo, exec_lo, s39
	s_delay_alu instid0(VALU_DEP_1)
	v_mov_b64_e32 v[22:23], v[58:59]
	s_wait_dscnt 0x0
	v_mov_b32_e32 v56, v55
	s_and_b32 s0, s0, exec_lo
.LBB227_64:
	s_or_b32 exec_lo, exec_lo, s13
	s_delay_alu instid0(VALU_DEP_1)
	v_mov_b64_e32 v[24:25], v[56:57]
	s_wait_dscnt 0x0
	v_mov_b32_e32 v55, v11
	s_and_b32 s0, s0, exec_lo
.LBB227_65:
	s_or_b32 exec_lo, exec_lo, s12
	s_delay_alu instid0(VALU_DEP_1)
	v_mov_b64_e32 v[26:27], v[54:55]
	s_wait_dscnt 0x0
	v_mov_b32_e32 v52, v51
	s_and_b32 s0, s0, exec_lo
.LBB227_66:
	s_or_b32 exec_lo, exec_lo, s11
	s_delay_alu instid0(VALU_DEP_1)
	v_mov_b64_e32 v[28:29], v[52:53]
	s_wait_dscnt 0x0
	v_mov_b32_e32 v51, v10
	s_and_b32 s0, s0, exec_lo
.LBB227_67:
	s_or_b32 exec_lo, exec_lo, s10
	s_delay_alu instid0(VALU_DEP_1)
	v_mov_b64_e32 v[30:31], v[50:51]
	s_wait_dscnt 0x0
	v_mov_b32_e32 v48, v45
	s_and_b32 s0, s0, exec_lo
.LBB227_68:
	s_or_b32 exec_lo, exec_lo, s9
	s_delay_alu instid0(VALU_DEP_1)
	v_mov_b64_e32 v[32:33], v[48:49]
	s_wait_dscnt 0x0
	v_mov_b32_e32 v45, v3
	s_and_b32 s0, s0, exec_lo
.LBB227_69:
	s_or_b32 exec_lo, exec_lo, s8
	s_delay_alu instid0(VALU_DEP_1)
	v_mov_b64_e32 v[34:35], v[44:45]
	s_wait_dscnt 0x0
	v_mov_b32_e32 v46, v43
	s_and_b32 s0, s0, exec_lo
.LBB227_70:
	s_or_b32 exec_lo, exec_lo, s7
	s_delay_alu instid0(VALU_DEP_1)
	v_mov_b64_e32 v[36:37], v[46:47]
	s_wait_dscnt 0x0
	v_mov_b32_e32 v43, v2
	s_and_b32 s0, s0, exec_lo
.LBB227_71:
	s_or_b32 exec_lo, exec_lo, s6
	s_delay_alu instid0(VALU_DEP_1)
	v_mov_b64_e32 v[38:39], v[42:43]
	s_and_b32 s39, s0, exec_lo
.LBB227_72:
	s_or_b32 exec_lo, exec_lo, s5
	v_lshlrev_b32_e32 v16, 2, v0
	s_and_b32 vcc_lo, exec_lo, s1
	s_cbranch_vccz .LBB227_92
.LBB227_73:
	s_clause 0xb
	flat_load_b32 v2, v0, s[20:21] scale_offset
	flat_load_b32 v3, v0, s[20:21] offset:1024 scale_offset
	flat_load_b32 v4, v0, s[20:21] offset:2048 scale_offset
	;; [unrolled: 1-line block ×11, first 2 shown]
	v_mad_u32_u24 v1, v0, 44, v16
	v_mov_b32_e32 v14, 0
	s_cmp_eq_u64 s[24:25], 0
	s_wait_loadcnt_dscnt 0xa0a
	ds_store_2addr_stride64_b32 v16, v2, v3 offset1:4
	s_wait_loadcnt_dscnt 0x809
	ds_store_2addr_stride64_b32 v16, v4, v5 offset0:8 offset1:12
	s_wait_loadcnt_dscnt 0x608
	ds_store_2addr_stride64_b32 v16, v6, v7 offset0:16 offset1:20
	;; [unrolled: 2-line block ×5, first 2 shown]
	s_wait_dscnt 0x0
	s_barrier_signal -1
	s_barrier_wait -1
	ds_load_b128 v[2:5], v1
	ds_load_b128 v[10:13], v1 offset:16
	ds_load_b128 v[6:9], v1 offset:32
	s_cbranch_scc1 .LBB227_89
; %bb.74:
	s_and_not1_b32 vcc_lo, exec_lo, s42
	s_cbranch_vccnz .LBB227_87
; %bb.75:
	s_lshl_b64 s[0:1], s[24:25], 2
	s_delay_alu instid0(SALU_CYCLE_1) | instskip(NEXT) | instid1(SALU_CYCLE_1)
	s_add_nc_u64 s[0:1], s[26:27], s[0:1]
	s_add_nc_u64 s[20:21], s[0:1], -4
	s_mov_b32 s0, 0
	s_branch .LBB227_88
.LBB227_76:
	flat_load_b32 v5, v0, s[14:15] scale_offset
	s_wait_xcnt 0x0
	s_or_b32 exec_lo, exec_lo, s39
                                        ; implicit-def: $vgpr18
	s_and_saveexec_b32 s0, s1
	s_cbranch_execz .LBB227_39
.LBB227_77:
	flat_load_b32 v18, v0, s[14:15] offset:1024 scale_offset
	s_wait_xcnt 0x0
	s_or_b32 exec_lo, exec_lo, s0
                                        ; implicit-def: $vgpr19
	s_and_saveexec_b32 s0, s4
	s_cbranch_execz .LBB227_40
.LBB227_78:
	flat_load_b32 v19, v0, s[14:15] offset:2048 scale_offset
	s_wait_xcnt 0x0
	s_or_b32 exec_lo, exec_lo, s0
                                        ; implicit-def: $vgpr20
	s_and_saveexec_b32 s0, s5
	s_cbranch_execz .LBB227_41
.LBB227_79:
	flat_load_b32 v20, v0, s[14:15] offset:3072 scale_offset
	s_wait_xcnt 0x0
	s_or_b32 exec_lo, exec_lo, s0
                                        ; implicit-def: $vgpr21
	s_and_saveexec_b32 s0, s6
	s_cbranch_execz .LBB227_42
.LBB227_80:
	flat_load_b32 v21, v0, s[14:15] offset:4096 scale_offset
	s_wait_xcnt 0x0
	s_or_b32 exec_lo, exec_lo, s0
                                        ; implicit-def: $vgpr22
	s_and_saveexec_b32 s0, s7
	s_cbranch_execz .LBB227_43
.LBB227_81:
	flat_load_b32 v22, v0, s[14:15] offset:5120 scale_offset
	s_wait_xcnt 0x0
	s_or_b32 exec_lo, exec_lo, s0
                                        ; implicit-def: $vgpr23
	s_and_saveexec_b32 s0, s8
	s_cbranch_execz .LBB227_44
.LBB227_82:
	flat_load_b32 v23, v0, s[14:15] offset:6144 scale_offset
	s_wait_xcnt 0x0
	s_or_b32 exec_lo, exec_lo, s0
                                        ; implicit-def: $vgpr24
	s_and_saveexec_b32 s0, s9
	s_cbranch_execz .LBB227_45
.LBB227_83:
	flat_load_b32 v24, v0, s[14:15] offset:7168 scale_offset
	s_wait_xcnt 0x0
	s_or_b32 exec_lo, exec_lo, s0
                                        ; implicit-def: $vgpr25
	s_and_saveexec_b32 s0, s10
	s_cbranch_execz .LBB227_46
.LBB227_84:
	flat_load_b32 v25, v0, s[14:15] offset:8192 scale_offset
	s_wait_xcnt 0x0
	s_or_b32 exec_lo, exec_lo, s0
                                        ; implicit-def: $vgpr26
	s_and_saveexec_b32 s0, s11
	s_cbranch_execz .LBB227_47
.LBB227_85:
	flat_load_b32 v26, v0, s[14:15] offset:9216 scale_offset
	s_wait_xcnt 0x0
	s_or_b32 exec_lo, exec_lo, s0
                                        ; implicit-def: $vgpr27
	s_and_saveexec_b32 s0, s12
	s_cbranch_execz .LBB227_48
.LBB227_86:
	flat_load_b32 v27, v0, s[14:15] offset:10240 scale_offset
	s_wait_xcnt 0x0
	s_or_b32 exec_lo, exec_lo, s0
                                        ; implicit-def: $vgpr28
	s_and_saveexec_b32 s0, s13
	s_cbranch_execnz .LBB227_49
	s_branch .LBB227_50
.LBB227_87:
	s_add_nc_u64 s[20:21], s[20:21], -4
	s_mov_b32 s0, -1
.LBB227_88:
	s_delay_alu instid0(SALU_CYCLE_1)
	s_and_not1_b32 vcc_lo, exec_lo, s0
.LBB227_89:
	flat_load_b32 v14, v14, s[20:21]
	v_mad_i32_i24 v15, 0xffffffd4, v0, v1
	s_wait_dscnt 0x1
	ds_store_b32 v15, v9 offset:12288
	s_wait_loadcnt_dscnt 0x0
	s_barrier_signal -1
	s_barrier_wait -1
	s_and_saveexec_b32 s0, s3
; %bb.90:
	v_mul_i32_i24_e32 v14, 0xffffffd4, v0
	s_delay_alu instid0(VALU_DEP_1)
	v_add_nc_u32_e32 v14, v1, v14
	ds_load_b32 v14, v14 offset:12284
; %bb.91:
	s_or_b32 exec_lo, exec_lo, s0
	s_wait_dscnt 0x0
	s_barrier_signal -1
	s_barrier_wait -1
	s_clause 0xb
	flat_load_b32 v15, v0, s[14:15] scale_offset
	flat_load_b32 v17, v0, s[14:15] offset:1024 scale_offset
	flat_load_b32 v18, v0, s[14:15] offset:2048 scale_offset
	;; [unrolled: 1-line block ×11, first 2 shown]
	v_cmp_ne_u32_e32 vcc_lo, v14, v2
	v_cmp_ne_u32_e64 s4, v8, v9
	s_mov_b32 s39, -1
	s_wait_loadcnt_dscnt 0xa0a
	ds_store_2addr_stride64_b32 v16, v15, v17 offset1:4
	s_wait_loadcnt_dscnt 0x809
	ds_store_2addr_stride64_b32 v16, v18, v20 offset0:8 offset1:12
	s_wait_loadcnt_dscnt 0x608
	ds_store_2addr_stride64_b32 v16, v21, v22 offset0:16 offset1:20
	;; [unrolled: 2-line block ×5, first 2 shown]
	v_cndmask_b32_e64 v19, 0, 1, vcc_lo
	v_cmp_ne_u32_e32 vcc_lo, v2, v3
	s_wait_dscnt 0x0
	s_barrier_signal -1
	s_barrier_wait -1
	v_cndmask_b32_e64 v43, 0, 1, vcc_lo
	v_cmp_ne_u32_e32 vcc_lo, v3, v4
	ds_load_b128 v[22:25], v1
	ds_load_b128 v[26:29], v1 offset:16
	v_cndmask_b32_e64 v47, 0, 1, vcc_lo
	v_cmp_ne_u32_e32 vcc_lo, v4, v5
	v_cndmask_b32_e64 v45, 0, 1, vcc_lo
	v_cmp_ne_u32_e32 vcc_lo, v5, v10
	ds_load_b128 v[2:5], v1 offset:32
	v_cndmask_b32_e64 v49, 0, 1, vcc_lo
	v_cmp_ne_u32_e32 vcc_lo, v10, v11
	s_wait_dscnt 0x2
	v_dual_mov_b32 v18, v22 :: v_dual_mov_b32 v42, v23
	v_cndmask_b32_e64 v51, 0, 1, vcc_lo
	v_cmp_ne_u32_e32 vcc_lo, v11, v12
	v_dual_mov_b32 v46, v24 :: v_dual_mov_b32 v44, v25
	s_wait_dscnt 0x1
	v_dual_mov_b32 v48, v26 :: v_dual_mov_b32 v50, v27
	v_cndmask_b32_e64 v53, 0, 1, vcc_lo
	v_cmp_ne_u32_e32 vcc_lo, v12, v13
	v_dual_mov_b32 v52, v28 :: v_dual_mov_b32 v54, v29
	s_wait_dscnt 0x0
	v_dual_mov_b32 v56, v2 :: v_dual_mov_b32 v58, v3
	v_cndmask_b32_e64 v55, 0, 1, vcc_lo
	v_cmp_ne_u32_e32 vcc_lo, v13, v6
	v_mov_b64_e32 v[38:39], v[42:43]
	v_mov_b64_e32 v[36:37], v[46:47]
	;; [unrolled: 1-line block ×4, first 2 shown]
	v_cndmask_b32_e64 v57, 0, 1, vcc_lo
	v_cmp_ne_u32_e32 vcc_lo, v6, v7
	v_mov_b64_e32 v[30:31], v[50:51]
	v_mov_b64_e32 v[28:29], v[52:53]
	;; [unrolled: 1-line block ×4, first 2 shown]
	v_cndmask_b32_e64 v59, 0, 1, vcc_lo
	v_cmp_ne_u32_e32 vcc_lo, v7, v8
	v_mov_b32_e32 v20, v4
	s_delay_alu instid0(VALU_DEP_3)
	v_mov_b64_e32 v[22:23], v[58:59]
	v_cndmask_b32_e64 v21, 0, 1, vcc_lo
.LBB227_92:
	v_mov_b64_e32 v[40:41], 0
	s_and_saveexec_b32 s0, s39
	s_cbranch_execz .LBB227_94
; %bb.93:
	v_mov_b64_e32 v[22:23], v[58:59]
	v_mov_b64_e32 v[24:25], v[56:57]
	v_mov_b64_e32 v[26:27], v[54:55]
	v_mov_b64_e32 v[28:29], v[52:53]
	v_mov_b64_e32 v[30:31], v[50:51]
	v_mov_b64_e32 v[32:33], v[48:49]
	v_mov_b64_e32 v[34:35], v[44:45]
	v_mov_b64_e32 v[36:37], v[46:47]
	v_mov_b64_e32 v[38:39], v[42:43]
	v_cndmask_b32_e64 v41, 0, 1, s4
	v_mov_b32_e32 v40, v5
.LBB227_94:
	s_or_b32 exec_lo, exec_lo, s0
	v_dual_lshrrev_b32 v1, 2, v0 :: v_dual_bitop2_b32 v42, v27, v25 bitop3:0x54
	v_or_b32_e32 v17, v23, v21
	s_cmp_lg_u32 s38, 0
	s_wait_dscnt 0x0
	v_cmp_gt_u32_e32 vcc_lo, 32, v0
	s_barrier_signal -1
	s_barrier_wait -1
	s_cbranch_scc0 .LBB227_122
; %bb.95:
	s_mov_b64 s[12:13], 0x100000000
	v_or3_b32 v3, v42, v29, v31
	v_cmp_gt_u64_e64 s0, s[12:13], v[38:39]
	v_cmp_gt_u64_e64 s1, s[12:13], v[36:37]
	;; [unrolled: 1-line block ×7, first 2 shown]
	v_dual_cndmask_b32 v2, 0, v18, s0 :: v_dual_bitop2_b32 v5, 56, v1 bitop3:0x40
	v_cmp_gt_u64_e64 s9, s[12:13], v[24:25]
	v_cmp_gt_u64_e64 s10, s[12:13], v[22:23]
	;; [unrolled: 1-line block ×4, first 2 shown]
	v_add_nc_u32_e32 v2, v2, v38
	v_or3_b32 v3, v3, v33, v35
	v_lshl_add_u32 v5, v0, 3, v5
	s_delay_alu instid0(VALU_DEP_3) | instskip(NEXT) | instid1(VALU_DEP_3)
	v_cndmask_b32_e64 v2, 0, v2, s1
	v_or3_b32 v3, v3, v37, v39
	s_delay_alu instid0(VALU_DEP_2) | instskip(NEXT) | instid1(VALU_DEP_2)
	v_add_nc_u32_e32 v2, v2, v36
	v_or3_b32 v3, v41, v17, v3
	s_delay_alu instid0(VALU_DEP_2) | instskip(NEXT) | instid1(VALU_DEP_2)
	v_cndmask_b32_e64 v2, 0, v2, s4
	v_and_b32_e32 v3, 0xff, v3
	s_delay_alu instid0(VALU_DEP_2) | instskip(NEXT) | instid1(VALU_DEP_1)
	v_add_nc_u32_e32 v2, v2, v34
	v_cndmask_b32_e64 v2, 0, v2, s5
	s_delay_alu instid0(VALU_DEP_1) | instskip(NEXT) | instid1(VALU_DEP_1)
	v_add_nc_u32_e32 v2, v2, v32
	v_cndmask_b32_e64 v2, 0, v2, s6
	s_delay_alu instid0(VALU_DEP_1) | instskip(NEXT) | instid1(VALU_DEP_1)
	;; [unrolled: 3-line block ×7, first 2 shown]
	v_dual_add_nc_u32 v4, v2, v20 :: v_dual_mov_b32 v2, 0
	v_cndmask_b32_e64 v4, 0, v4, s12
	s_delay_alu instid0(VALU_DEP_2) | instskip(NEXT) | instid1(VALU_DEP_1)
	v_cmp_eq_u64_e64 s13, 0, v[2:3]
	v_dual_add_nc_u32 v12, v4, v40 :: v_dual_cndmask_b32 v13, 1, v19, s13
	ds_store_b32 v5, v12
	ds_store_b8 v5, v13 offset:4
	s_wait_dscnt 0x0
	s_barrier_signal -1
	s_barrier_wait -1
	s_and_saveexec_b32 s14, vcc_lo
	s_cbranch_execz .LBB227_105
; %bb.96:
	v_dual_lshlrev_b32 v2, 1, v0 :: v_dual_lshlrev_b32 v3, 6, v0
	s_mov_b32 s15, exec_lo
	s_delay_alu instid0(VALU_DEP_1) | instskip(NEXT) | instid1(VALU_DEP_1)
	v_and_b32_e32 v2, 0x1f8, v2
	v_add_nc_u32_e32 v4, v2, v3
	ds_load_u8 v5, v4 offset:12
	ds_load_b64 v[2:3], v4
	ds_load_2addr_b32 v[6:7], v4 offset0:2 offset1:4
	ds_load_u8 v10, v4 offset:20
	ds_load_u8 v11, v4 offset:28
	ds_load_u8 v14, v4 offset:36
	ds_load_u8 v15, v4 offset:44
	ds_load_u8 v43, v4 offset:52
	ds_load_b32 v44, v4 offset:56
	s_wait_dscnt 0x8
	v_cmp_eq_u16_e64 s13, 0, v5
	s_wait_dscnt 0x5
	s_delay_alu instid0(VALU_DEP_1)
	v_dual_cndmask_b32 v45, 0, v2, s13 :: v_dual_bitop2_b32 v5, v10, v5 bitop3:0x54
	ds_load_2addr_b32 v[8:9], v4 offset0:6 offset1:8
	v_cmp_eq_u16_e64 s13, 0, v10
	s_wait_dscnt 0x4
	v_bitop3_b16 v5, v5, v14, v11 bitop3:0xfe
	v_add_nc_u32_e32 v6, v45, v6
	s_delay_alu instid0(VALU_DEP_1) | instskip(SKIP_1) | instid1(VALU_DEP_2)
	v_cndmask_b32_e64 v6, 0, v6, s13
	v_cmp_eq_u16_e64 s13, 0, v11
	v_add_nc_u32_e32 v6, v6, v7
	s_delay_alu instid0(VALU_DEP_1)
	v_cndmask_b32_e64 v45, 0, v6, s13
	ds_load_2addr_b32 v[6:7], v4 offset0:10 offset1:12
	v_cmp_eq_u16_e64 s13, 0, v14
	s_wait_dscnt 0x1
	v_add_nc_u32_e32 v8, v45, v8
	ds_load_u8 v45, v4 offset:60
	v_cndmask_b32_e64 v8, 0, v8, s13
	v_cmp_eq_u16_e64 s13, 0, v15
	s_delay_alu instid0(VALU_DEP_2) | instskip(SKIP_1) | instid1(VALU_DEP_2)
	v_add_nc_u32_e32 v8, v8, v9
	v_bitop3_b16 v9, v5, v43, v15 bitop3:0xfe
	v_dual_cndmask_b32 v8, 0, v8, s13 :: v_dual_bitop2_b32 v5, 1, v3 bitop3:0x40
	s_delay_alu instid0(VALU_DEP_2) | instskip(SKIP_1) | instid1(VALU_DEP_2)
	v_cmp_eq_u16_e64 s13, 0, v9
	s_wait_dscnt 0x0
	v_dual_add_nc_u32 v6, v8, v6 :: v_dual_bitop2_b32 v8, 1, v45 bitop3:0x40
	s_delay_alu instid0(VALU_DEP_2) | instskip(SKIP_1) | instid1(VALU_DEP_1)
	v_cndmask_b32_e64 v9, 1, v5, s13
	v_cmp_eq_u16_e64 s13, 0, v43
	v_cndmask_b32_e64 v6, 0, v6, s13
	s_delay_alu instid0(VALU_DEP_4) | instskip(SKIP_1) | instid1(VALU_DEP_2)
	v_cmp_eq_u32_e64 s13, 1, v8
	v_mbcnt_lo_u32_b32 v8, -1, 0
	v_cndmask_b32_e64 v9, v9, 1, s13
	v_cmp_eq_u16_e64 s13, 0, v45
	s_delay_alu instid0(VALU_DEP_2) | instskip(SKIP_2) | instid1(VALU_DEP_1)
	v_and_b32_e32 v10, 0xffff, v9
	v_add_nc_u32_e32 v7, v6, v7
	v_and_b32_e32 v6, 0xffffff00, v3
	v_dual_cndmask_b32 v7, 0, v7, s13 :: v_dual_bitop2_b32 v11, v6, v10 bitop3:0x54
	v_and_b32_e32 v10, 15, v8
	s_delay_alu instid0(VALU_DEP_2) | instskip(NEXT) | instid1(VALU_DEP_3)
	v_mov_b32_dpp v15, v11 row_shr:1 row_mask:0xf bank_mask:0xf
	v_add_nc_u32_e32 v7, v7, v44
	s_delay_alu instid0(VALU_DEP_1) | instskip(NEXT) | instid1(VALU_DEP_4)
	v_mov_b32_dpp v14, v7 row_shr:1 row_mask:0xf bank_mask:0xf
	v_cmpx_ne_u32_e32 0, v10
	s_cbranch_execz .LBB227_98
; %bb.97:
	v_and_b32_e32 v11, 1, v9
	v_and_b32_e32 v15, 1, v15
	s_delay_alu instid0(VALU_DEP_2) | instskip(NEXT) | instid1(VALU_DEP_1)
	v_cmp_eq_u32_e64 s13, 1, v11
	v_cndmask_b32_e64 v15, v15, 1, s13
	v_cmp_eq_u16_e64 s13, 0, v9
	s_delay_alu instid0(VALU_DEP_2) | instskip(NEXT) | instid1(VALU_DEP_1)
	v_and_b32_e32 v11, 0xffff, v15
	v_dual_cndmask_b32 v9, 0, v14, s13 :: v_dual_bitop2_b32 v11, v6, v11 bitop3:0x54
	s_delay_alu instid0(VALU_DEP_1)
	v_dual_add_nc_u32 v7, v9, v7 :: v_dual_mov_b32 v9, v15
.LBB227_98:
	s_or_b32 exec_lo, exec_lo, s15
	s_delay_alu instid0(VALU_DEP_1) | instskip(NEXT) | instid1(VALU_DEP_3)
	v_mov_b32_dpp v14, v7 row_shr:2 row_mask:0xf bank_mask:0xf
	v_mov_b32_dpp v15, v11 row_shr:2 row_mask:0xf bank_mask:0xf
	s_mov_b32 s15, exec_lo
	v_cmpx_lt_u32_e32 1, v10
	s_cbranch_execz .LBB227_100
; %bb.99:
	v_and_b32_e32 v11, 1, v9
	v_and_b32_e32 v15, 1, v15
	s_delay_alu instid0(VALU_DEP_2) | instskip(NEXT) | instid1(VALU_DEP_1)
	v_cmp_eq_u32_e64 s13, 1, v11
	v_cndmask_b32_e64 v15, v15, 1, s13
	v_cmp_eq_u16_e64 s13, 0, v9
	s_delay_alu instid0(VALU_DEP_2) | instskip(NEXT) | instid1(VALU_DEP_1)
	v_and_b32_e32 v11, 0xffff, v15
	v_dual_cndmask_b32 v9, 0, v14, s13 :: v_dual_bitop2_b32 v11, v6, v11 bitop3:0x54
	s_delay_alu instid0(VALU_DEP_1)
	v_dual_add_nc_u32 v7, v9, v7 :: v_dual_mov_b32 v9, v15
.LBB227_100:
	s_or_b32 exec_lo, exec_lo, s15
	s_delay_alu instid0(VALU_DEP_1) | instskip(NEXT) | instid1(VALU_DEP_3)
	v_mov_b32_dpp v14, v7 row_shr:4 row_mask:0xf bank_mask:0xf
	v_mov_b32_dpp v15, v11 row_shr:4 row_mask:0xf bank_mask:0xf
	s_mov_b32 s15, exec_lo
	v_cmpx_lt_u32_e32 3, v10
	;; [unrolled: 20-line block ×3, first 2 shown]
	s_cbranch_execz .LBB227_104
; %bb.103:
	v_and_b32_e32 v10, 1, v9
	v_and_b32_e32 v11, 1, v15
	s_delay_alu instid0(VALU_DEP_2) | instskip(NEXT) | instid1(VALU_DEP_1)
	v_cmp_eq_u32_e64 s13, 1, v10
	v_cndmask_b32_e64 v10, v11, 1, s13
	v_cmp_eq_u16_e64 s13, 0, v9
	s_delay_alu instid0(VALU_DEP_2) | instskip(NEXT) | instid1(VALU_DEP_1)
	v_and_b32_e32 v11, 0xffff, v10
	v_dual_cndmask_b32 v9, 0, v14, s13 :: v_dual_bitop2_b32 v11, v6, v11 bitop3:0x54
	s_delay_alu instid0(VALU_DEP_1)
	v_dual_add_nc_u32 v7, v9, v7 :: v_dual_mov_b32 v9, v10
.LBB227_104:
	s_or_b32 exec_lo, exec_lo, s15
	ds_swizzle_b32 v10, v11 offset:swizzle(BROADCAST,32,15)
	ds_swizzle_b32 v11, v7 offset:swizzle(BROADCAST,32,15)
	v_and_b32_e32 v14, 1, v9
	v_bfe_i32 v43, v8, 4, 1
	v_and_b32_e32 v3, 0xff, v3
	; wave barrier
	s_delay_alu instid0(VALU_DEP_3) | instskip(SKIP_2) | instid1(VALU_DEP_1)
	v_cmp_eq_u32_e64 s13, 1, v14
	s_wait_dscnt 0x1
	v_dual_add_nc_u32 v14, -1, v8 :: v_dual_bitop2_b32 v10, 1, v10 bitop3:0x40
	v_cndmask_b32_e64 v10, v10, 1, s13
	v_and_b32_e32 v15, 16, v8
	v_cmp_eq_u16_e64 s13, 0, v9
	s_wait_dscnt 0x0
	s_delay_alu instid0(VALU_DEP_1) | instskip(NEXT) | instid1(VALU_DEP_3)
	v_cndmask_b32_e64 v11, 0, v11, s13
	v_cmp_eq_u32_e64 s13, 0, v15
	s_delay_alu instid0(VALU_DEP_1) | instskip(SKIP_1) | instid1(VALU_DEP_4)
	v_cndmask_b32_e64 v9, v10, v9, s13
	v_cmp_gt_i32_e64 s13, 0, v14
	v_and_b32_e32 v10, v43, v11
	s_delay_alu instid0(VALU_DEP_3) | instskip(NEXT) | instid1(VALU_DEP_3)
	v_and_b32_e32 v9, 0xffff, v9
	v_cndmask_b32_e64 v8, v14, v8, s13
	s_delay_alu instid0(VALU_DEP_3) | instskip(SKIP_1) | instid1(VALU_DEP_3)
	v_add_nc_u32_e32 v7, v10, v7
	v_cmp_eq_u16_e64 s13, 0, v3
	v_lshlrev_b32_e32 v8, 2, v8
	ds_bpermute_b32 v7, v8, v7
	s_wait_dscnt 0x0
	v_dual_cndmask_b32 v3, 0, v7, s13 :: v_dual_bitop2_b32 v6, v6, v9 bitop3:0x54
	ds_bpermute_b32 v6, v8, v6
	v_cmp_eq_u32_e64 s13, 1, v5
	v_add_nc_u32_e32 v2, v3, v2
	s_wait_dscnt 0x0
	s_delay_alu instid0(VALU_DEP_1) | instskip(NEXT) | instid1(VALU_DEP_1)
	v_dual_cndmask_b32 v5, v2, v12, s2 :: v_dual_bitop2_b32 v6, 1, v6 bitop3:0x40
	v_cndmask_b32_e64 v3, v6, 1, s13
	s_delay_alu instid0(VALU_DEP_1)
	v_cndmask_b32_e64 v8, v3, v13, s2
	ds_store_b32 v4, v5
	ds_store_b8 v4, v8 offset:4
	; wave barrier
	ds_load_u8 v9, v4 offset:12
	ds_load_2addr_b32 v[2:3], v4 offset0:2 offset1:4
	ds_load_u8 v10, v4 offset:20
	ds_load_u8 v11, v4 offset:28
	;; [unrolled: 1-line block ×5, first 2 shown]
	ds_load_b32 v44, v4 offset:56
	ds_load_u8 v45, v4 offset:60
	ds_load_2addr_b32 v[6:7], v4 offset0:6 offset1:8
	s_wait_dscnt 0x9
	v_cmp_eq_u16_e64 s13, 0, v9
	v_and_b32_e32 v9, 1, v9
	s_delay_alu instid0(VALU_DEP_2) | instskip(SKIP_2) | instid1(VALU_DEP_2)
	v_cndmask_b32_e64 v5, 0, v5, s13
	s_wait_dscnt 0x7
	v_cmp_eq_u16_e64 s13, 0, v10
	v_add_nc_u32_e32 v5, v5, v2
	s_delay_alu instid0(VALU_DEP_1) | instskip(SKIP_2) | instid1(VALU_DEP_2)
	v_cndmask_b32_e64 v2, 0, v5, s13
	s_wait_dscnt 0x6
	v_cmp_eq_u16_e64 s13, 0, v11
	v_add_nc_u32_e32 v46, v2, v3
	ds_load_2addr_b32 v[2:3], v4 offset0:10 offset1:12
	v_cndmask_b32_e64 v47, 0, v46, s13
	s_wait_dscnt 0x6
	v_cmp_eq_u16_e64 s13, 0, v14
	ds_store_2addr_b32 v4, v5, v46 offset0:2 offset1:4
	s_wait_dscnt 0x2
	v_add_nc_u32_e32 v6, v47, v6
	s_delay_alu instid0(VALU_DEP_1) | instskip(SKIP_3) | instid1(VALU_DEP_4)
	v_cndmask_b32_e64 v47, 0, v6, s13
	v_and_b32_e32 v10, 1, v10
	v_cmp_eq_u32_e64 s13, 1, v9
	v_and_b32_e32 v9, 1, v11
	v_dual_add_nc_u32 v7, v47, v7 :: v_dual_bitop2_b32 v11, 1, v14 bitop3:0x40
	s_delay_alu instid0(VALU_DEP_3) | instskip(SKIP_1) | instid1(VALU_DEP_1)
	v_cndmask_b32_e64 v8, v8, 1, s13
	v_cmp_eq_u32_e64 s13, 1, v10
	v_cndmask_b32_e64 v10, v8, 1, s13
	v_cmp_eq_u16_e64 s13, 0, v15
	s_delay_alu instid0(VALU_DEP_1) | instskip(SKIP_2) | instid1(VALU_DEP_2)
	v_cndmask_b32_e64 v14, 0, v7, s13
	v_cmp_eq_u32_e64 s13, 1, v9
	s_wait_dscnt 0x1
	v_dual_add_nc_u32 v2, v14, v2 :: v_dual_bitop2_b32 v15, 1, v15 bitop3:0x40
	s_delay_alu instid0(VALU_DEP_2) | instskip(SKIP_1) | instid1(VALU_DEP_1)
	v_cndmask_b32_e64 v9, v10, 1, s13
	v_cmp_eq_u32_e64 s13, 1, v11
	v_cndmask_b32_e64 v11, v9, 1, s13
	v_cmp_eq_u16_e64 s13, 0, v43
	s_delay_alu instid0(VALU_DEP_1) | instskip(SKIP_1) | instid1(VALU_DEP_2)
	v_dual_cndmask_b32 v43, 0, v2, s13 :: v_dual_bitop2_b32 v14, 1, v43 bitop3:0x40
	v_cmp_eq_u32_e64 s13, 1, v15
	v_add_nc_u32_e32 v3, v43, v3
	s_delay_alu instid0(VALU_DEP_2) | instskip(NEXT) | instid1(VALU_DEP_4)
	v_cndmask_b32_e64 v15, v11, 1, s13
	v_cmp_eq_u32_e64 s13, 1, v14
	ds_store_2addr_b32 v4, v6, v7 offset0:6 offset1:8
	ds_store_2addr_b32 v4, v2, v3 offset0:10 offset1:12
	v_cndmask_b32_e64 v14, v15, 1, s13
	v_cmp_eq_u16_e64 s13, 0, v45
	s_delay_alu instid0(VALU_DEP_1) | instskip(NEXT) | instid1(VALU_DEP_1)
	v_dual_cndmask_b32 v5, 0, v3, s13 :: v_dual_bitop2_b32 v47, 1, v45 bitop3:0x40
	v_cmp_eq_u32_e64 s13, 1, v47
	s_delay_alu instid0(VALU_DEP_2) | instskip(NEXT) | instid1(VALU_DEP_2)
	v_add_nc_u32_e32 v2, v5, v44
	v_cndmask_b32_e64 v43, v14, 1, s13
	ds_store_b8 v4, v8 offset:12
	ds_store_b8 v4, v10 offset:20
	;; [unrolled: 1-line block ×6, first 2 shown]
	ds_store_b32 v4, v2 offset:56
	ds_store_b8 v4, v43 offset:60
.LBB227_105:
	s_or_b32 exec_lo, exec_lo, s14
	s_wait_dscnt 0x0
	s_barrier_signal -1
	s_barrier_wait -1
	s_and_saveexec_b32 s13, s3
	s_cbranch_execz .LBB227_107
; %bb.106:
	v_add_nc_u32_e32 v2, -1, v0
	s_delay_alu instid0(VALU_DEP_1) | instskip(NEXT) | instid1(VALU_DEP_1)
	v_lshrrev_b32_e32 v3, 2, v2
	v_and_b32_e32 v3, 0x3ffffff8, v3
	s_delay_alu instid0(VALU_DEP_1)
	v_lshl_add_u32 v2, v2, 3, v3
	ds_load_b32 v12, v2
	ds_load_u8 v13, v2 offset:4
.LBB227_107:
	s_or_b32 exec_lo, exec_lo, s13
	s_and_saveexec_b32 s24, vcc_lo
	s_cbranch_execz .LBB227_167
; %bb.108:
	v_mov_b32_e32 v5, 0
	v_mbcnt_lo_u32_b32 v14, -1, 0
	s_mov_b32 s15, 0
	ds_load_b64 v[2:3], v5 offset:2096
	v_cmp_eq_u32_e64 s13, 0, v14
	s_and_saveexec_b32 s20, s13
	s_cbranch_execz .LBB227_110
; %bb.109:
	s_add_co_i32 s14, s38, 32
	v_mov_b32_e32 v4, 1
	s_lshl_b64 s[14:15], s[14:15], 4
	s_delay_alu instid0(SALU_CYCLE_1) | instskip(NEXT) | instid1(SALU_CYCLE_1)
	s_add_nc_u64 s[14:15], s[28:29], s[14:15]
	v_mov_b64_e32 v[6:7], s[14:15]
	s_wait_dscnt 0x0
	;;#ASMSTART
	global_store_b128 v[6:7], v[2:5] off scope:SCOPE_DEV	
s_wait_storecnt 0x0
	;;#ASMEND
.LBB227_110:
	s_or_b32 exec_lo, exec_lo, s20
	v_xad_u32 v8, v14, -1, s38
	s_mov_b32 s14, exec_lo
	s_delay_alu instid0(VALU_DEP_1) | instskip(NEXT) | instid1(VALU_DEP_1)
	v_add_nc_u32_e32 v4, 32, v8
	v_lshl_add_u64 v[10:11], v[4:5], 4, s[28:29]
	;;#ASMSTART
	global_load_b128 v[4:7], v[10:11] off scope:SCOPE_DEV	
s_wait_loadcnt 0x0
	;;#ASMEND
	v_and_b32_e32 v7, 0xff, v6
	v_and_b32_e32 v5, 0xff, v5
	s_delay_alu instid0(VALU_DEP_2)
	v_cmpx_eq_u16_e32 0, v7
	s_cbranch_execz .LBB227_114
; %bb.111:
	s_mov_b32 s15, 0
.LBB227_112:                            ; =>This Inner Loop Header: Depth=1
	;;#ASMSTART
	global_load_b128 v[4:7], v[10:11] off scope:SCOPE_DEV	
s_wait_loadcnt 0x0
	;;#ASMEND
	v_and_b32_e32 v7, 0xff, v6
	s_delay_alu instid0(VALU_DEP_1) | instskip(SKIP_1) | instid1(SALU_CYCLE_1)
	v_cmp_ne_u16_e32 vcc_lo, 0, v7
	s_or_b32 s15, vcc_lo, s15
	s_and_not1_b32 exec_lo, exec_lo, s15
	s_cbranch_execnz .LBB227_112
; %bb.113:
	s_or_b32 exec_lo, exec_lo, s15
	v_and_b32_e32 v5, 0xff, v5
.LBB227_114:
	s_or_b32 exec_lo, exec_lo, s14
	v_cmp_ne_u32_e32 vcc_lo, 31, v14
	v_and_b32_e32 v9, 0xff, v6
	v_lshlrev_b32_e64 v43, v14, -1
	s_mov_b64 s[20:21], 0x100000000
	v_lshl_or_b32 v52, v14, 2, 64
	v_add_co_ci_u32_e64 v7, null, 0, v14, vcc_lo
	v_cmp_eq_u16_e32 vcc_lo, 2, v9
	v_cmp_gt_u64_e64 s14, s[20:21], v[4:5]
	s_delay_alu instid0(VALU_DEP_3) | instskip(SKIP_1) | instid1(VALU_DEP_2)
	v_dual_lshlrev_b32 v15, 2, v7 :: v_dual_bitop2_b32 v10, 1, v5 bitop3:0x40
	v_and_or_b32 v9, vcc_lo, v43, 0x80000000
	v_cmp_eq_u32_e32 vcc_lo, 1, v10
	ds_bpermute_b32 v7, v15, v5
	ds_bpermute_b32 v10, v15, v4
	v_ctz_i32_b32_e32 v9, v9
	s_wait_dscnt 0x1
	v_and_b32_e32 v7, 1, v7
	s_delay_alu instid0(VALU_DEP_1) | instskip(SKIP_1) | instid1(VALU_DEP_2)
	v_cndmask_b32_e64 v7, v7, 1, vcc_lo
	v_cmp_gt_u32_e32 vcc_lo, 30, v14
	v_and_b32_e32 v45, 0xffff, v7
	v_cndmask_b32_e64 v11, 0, 2, vcc_lo
	v_cmp_lt_u32_e32 vcc_lo, v14, v9
	s_delay_alu instid0(VALU_DEP_2) | instskip(NEXT) | instid1(VALU_DEP_4)
	v_add_lshl_u32 v44, v11, v14, 2
	v_dual_cndmask_b32 v11, v5, v45, vcc_lo :: v_dual_cndmask_b32 v7, v5, v7, vcc_lo
	s_and_b32 vcc_lo, vcc_lo, s14
	v_add_nc_u32_e32 v45, 2, v14
	s_wait_dscnt 0x0
	v_cndmask_b32_e32 v10, 0, v10, vcc_lo
	ds_bpermute_b32 v5, v44, v11
	v_and_b32_e32 v46, 1, v7
	v_and_b32_e32 v48, 0xff, v7
	v_add_nc_u32_e32 v4, v10, v4
	s_delay_alu instid0(VALU_DEP_3) | instskip(NEXT) | instid1(VALU_DEP_3)
	v_cmp_eq_u32_e32 vcc_lo, 1, v46
	v_cmp_eq_u16_e64 s14, 0, v48
	ds_bpermute_b32 v10, v44, v4
	s_wait_dscnt 0x1
	v_and_b32_e32 v5, 1, v5
	s_delay_alu instid0(VALU_DEP_1) | instskip(SKIP_3) | instid1(VALU_DEP_3)
	v_cndmask_b32_e64 v5, v5, 1, vcc_lo
	v_cmp_gt_u32_e32 vcc_lo, 28, v14
	s_wait_dscnt 0x0
	v_cndmask_b32_e64 v10, 0, v10, s14
	v_and_b32_e32 v47, 0xffff, v5
	v_cndmask_b32_e64 v46, 0, 4, vcc_lo
	v_cmp_gt_u32_e32 vcc_lo, v45, v9
	s_delay_alu instid0(VALU_DEP_2) | instskip(SKIP_3) | instid1(VALU_DEP_2)
	v_add_lshl_u32 v46, v46, v14, 2
	v_cndmask_b32_e32 v5, v5, v7, vcc_lo
	v_cndmask_b32_e64 v10, v10, 0, vcc_lo
	v_dual_cndmask_b32 v7, v47, v11, vcc_lo :: v_dual_add_nc_u32 v47, 4, v14
	v_dual_add_nc_u32 v4, v10, v4 :: v_dual_bitop2_b32 v48, 1, v5 bitop3:0x40
	ds_bpermute_b32 v11, v46, v7
	v_cmp_eq_u32_e32 vcc_lo, 1, v48
	ds_bpermute_b32 v10, v46, v4
	v_and_b32_e32 v48, 0xff, v5
	s_delay_alu instid0(VALU_DEP_1) | instskip(SKIP_1) | instid1(VALU_DEP_1)
	v_cmp_eq_u16_e64 s14, 0, v48
	s_wait_dscnt 0x0
	v_dual_cndmask_b32 v10, 0, v10, s14 :: v_dual_bitop2_b32 v11, 1, v11 bitop3:0x40
	s_delay_alu instid0(VALU_DEP_1) | instskip(SKIP_1) | instid1(VALU_DEP_2)
	v_cndmask_b32_e64 v11, v11, 1, vcc_lo
	v_cmp_gt_u32_e32 vcc_lo, 24, v14
	v_and_b32_e32 v50, 0xffff, v11
	v_cndmask_b32_e64 v49, 0, 8, vcc_lo
	v_cmp_gt_u32_e32 vcc_lo, v47, v9
	s_delay_alu instid0(VALU_DEP_2) | instskip(NEXT) | instid1(VALU_DEP_4)
	v_add_lshl_u32 v48, v49, v14, 2
	v_dual_cndmask_b32 v5, v11, v5, vcc_lo :: v_dual_cndmask_b32 v7, v50, v7, vcc_lo
	v_cndmask_b32_e64 v10, v10, 0, vcc_lo
	s_delay_alu instid0(VALU_DEP_2)
	v_dual_add_nc_u32 v49, 8, v14 :: v_dual_bitop2_b32 v50, 1, v5 bitop3:0x40
	ds_bpermute_b32 v11, v48, v7
	v_add_nc_u32_e32 v4, v10, v4
	v_and_b32_e32 v51, 0xff, v5
	v_cmp_eq_u32_e32 vcc_lo, 1, v50
	ds_bpermute_b32 v10, v48, v4
	s_wait_dscnt 0x1
	v_and_b32_e32 v11, 1, v11
	s_delay_alu instid0(VALU_DEP_1) | instskip(SKIP_1) | instid1(VALU_DEP_2)
	v_cndmask_b32_e64 v11, v11, 1, vcc_lo
	v_cmp_eq_u16_e32 vcc_lo, 0, v51
	v_and_b32_e32 v50, 0xffff, v11
	s_wait_dscnt 0x0
	v_cndmask_b32_e32 v10, 0, v10, vcc_lo
	v_cmp_gt_u32_e32 vcc_lo, v49, v9
	s_delay_alu instid0(VALU_DEP_3) | instskip(NEXT) | instid1(VALU_DEP_3)
	v_dual_cndmask_b32 v5, v11, v5, vcc_lo :: v_dual_cndmask_b32 v7, v50, v7, vcc_lo
	v_cndmask_b32_e64 v10, v10, 0, vcc_lo
	s_delay_alu instid0(VALU_DEP_2) | instskip(SKIP_3) | instid1(VALU_DEP_1)
	v_and_b32_e32 v50, 1, v5
	ds_bpermute_b32 v7, v52, v7
	v_add_nc_u32_e32 v4, v10, v4
	v_and_b32_e32 v11, 0xff, v5
	v_cmp_eq_u16_e32 vcc_lo, 0, v11
	s_wait_dscnt 0x0
	v_and_b32_e32 v7, 1, v7
	ds_bpermute_b32 v10, v52, v4
	s_wait_dscnt 0x0
	v_cndmask_b32_e32 v10, 0, v10, vcc_lo
	v_cmp_eq_u32_e32 vcc_lo, 1, v50
	v_cndmask_b32_e64 v7, v7, 1, vcc_lo
	v_add_nc_u32_e32 v53, 16, v14
	s_delay_alu instid0(VALU_DEP_1) | instskip(NEXT) | instid1(VALU_DEP_3)
	v_cmp_gt_u32_e32 vcc_lo, v53, v9
	v_dual_mov_b32 v9, 0 :: v_dual_cndmask_b32 v5, v7, v5, vcc_lo
	v_cndmask_b32_e64 v7, v10, 0, vcc_lo
	s_delay_alu instid0(VALU_DEP_1)
	v_add_nc_u32_e32 v4, v7, v4
	s_branch .LBB227_118
.LBB227_115:                            ;   in Loop: Header=BB227_118 Depth=1
	s_or_b32 exec_lo, exec_lo, s15
	v_and_b32_e32 v5, 0xff, v5
.LBB227_116:                            ;   in Loop: Header=BB227_118 Depth=1
	s_or_b32 exec_lo, exec_lo, s14
	ds_bpermute_b32 v7, v15, v5
	v_and_b32_e32 v10, 0xff, v6
	v_cmp_gt_u64_e64 s14, s[20:21], v[4:5]
	v_subrev_nc_u32_e32 v8, 32, v8
	s_delay_alu instid0(VALU_DEP_3) | instskip(SKIP_2) | instid1(VALU_DEP_2)
	v_cmp_eq_u16_e32 vcc_lo, 2, v10
	v_and_b32_e32 v10, 1, v5
	v_and_or_b32 v11, vcc_lo, v43, 0x80000000
	v_cmp_eq_u32_e32 vcc_lo, 1, v10
	s_delay_alu instid0(VALU_DEP_2) | instskip(SKIP_3) | instid1(VALU_DEP_1)
	v_ctz_i32_b32_e32 v10, v11
	ds_bpermute_b32 v11, v15, v4
	s_wait_dscnt 0x1
	v_and_b32_e32 v7, 1, v7
	v_cndmask_b32_e64 v7, v7, 1, vcc_lo
	v_cmp_lt_u32_e32 vcc_lo, v14, v10
	s_delay_alu instid0(VALU_DEP_2) | instskip(NEXT) | instid1(VALU_DEP_1)
	v_and_b32_e32 v54, 0xffff, v7
	v_dual_cndmask_b32 v7, v5, v7 :: v_dual_cndmask_b32 v54, v5, v54
	s_and_b32 vcc_lo, vcc_lo, s14
	s_delay_alu instid0(VALU_DEP_1)
	v_and_b32_e32 v56, 0xff, v7
	v_and_b32_e32 v55, 1, v7
	ds_bpermute_b32 v5, v44, v54
	s_wait_dscnt 0x1
	v_cndmask_b32_e32 v11, 0, v11, vcc_lo
	v_cmp_eq_u16_e64 s14, 0, v56
	v_cmp_eq_u32_e32 vcc_lo, 1, v55
	s_wait_dscnt 0x0
	s_delay_alu instid0(VALU_DEP_3) | instskip(NEXT) | instid1(VALU_DEP_1)
	v_dual_add_nc_u32 v4, v11, v4 :: v_dual_bitop2_b32 v5, 1, v5 bitop3:0x40
	v_cndmask_b32_e64 v5, v5, 1, vcc_lo
	ds_bpermute_b32 v11, v44, v4
	v_cmp_gt_u32_e32 vcc_lo, v45, v10
	v_and_b32_e32 v55, 0xffff, v5
	s_delay_alu instid0(VALU_DEP_1) | instskip(NEXT) | instid1(VALU_DEP_1)
	v_dual_cndmask_b32 v5, v5, v7, vcc_lo :: v_dual_cndmask_b32 v7, v55, v54, vcc_lo
	v_and_b32_e32 v55, 1, v5
	ds_bpermute_b32 v54, v46, v7
	s_wait_dscnt 0x1
	v_cndmask_b32_e64 v11, 0, v11, s14
	s_delay_alu instid0(VALU_DEP_1) | instskip(SKIP_2) | instid1(VALU_DEP_3)
	v_cndmask_b32_e64 v11, v11, 0, vcc_lo
	v_cmp_eq_u32_e32 vcc_lo, 1, v55
	v_and_b32_e32 v55, 0xff, v5
	v_add_nc_u32_e32 v4, v11, v4
	s_delay_alu instid0(VALU_DEP_2)
	v_cmp_eq_u16_e64 s14, 0, v55
	s_wait_dscnt 0x0
	v_and_b32_e32 v54, 1, v54
	ds_bpermute_b32 v11, v46, v4
	v_cndmask_b32_e64 v54, v54, 1, vcc_lo
	v_cmp_gt_u32_e32 vcc_lo, v47, v10
	s_delay_alu instid0(VALU_DEP_2) | instskip(SKIP_3) | instid1(VALU_DEP_1)
	v_and_b32_e32 v56, 0xffff, v54
	s_wait_dscnt 0x0
	v_dual_cndmask_b32 v5, v54, v5, vcc_lo :: v_dual_cndmask_b32 v11, 0, v11, s14
	s_mov_b32 s14, 0
	v_cndmask_b32_e64 v11, v11, 0, vcc_lo
	v_cndmask_b32_e32 v7, v56, v7, vcc_lo
	s_delay_alu instid0(VALU_DEP_3) | instskip(NEXT) | instid1(VALU_DEP_3)
	v_and_b32_e32 v56, 0xff, v5
	v_add_nc_u32_e32 v4, v11, v4
	ds_bpermute_b32 v54, v48, v7
	ds_bpermute_b32 v11, v48, v4
	v_and_b32_e32 v55, 1, v5
	s_delay_alu instid0(VALU_DEP_1) | instskip(SKIP_2) | instid1(VALU_DEP_1)
	v_cmp_eq_u32_e32 vcc_lo, 1, v55
	s_wait_dscnt 0x1
	v_and_b32_e32 v54, 1, v54
	v_cndmask_b32_e64 v54, v54, 1, vcc_lo
	v_cmp_eq_u16_e32 vcc_lo, 0, v56
	s_delay_alu instid0(VALU_DEP_2) | instskip(SKIP_3) | instid1(VALU_DEP_2)
	v_and_b32_e32 v55, 0xffff, v54
	s_wait_dscnt 0x0
	v_cndmask_b32_e32 v11, 0, v11, vcc_lo
	v_cmp_gt_u32_e32 vcc_lo, v49, v10
	v_cndmask_b32_e64 v11, v11, 0, vcc_lo
	v_dual_cndmask_b32 v7, v55, v7, vcc_lo :: v_dual_cndmask_b32 v5, v54, v5, vcc_lo
	s_delay_alu instid0(VALU_DEP_2) | instskip(SKIP_4) | instid1(VALU_DEP_1)
	v_add_nc_u32_e32 v4, v11, v4
	ds_bpermute_b32 v7, v52, v7
	v_and_b32_e32 v55, 0xff, v5
	ds_bpermute_b32 v11, v52, v4
	v_and_b32_e32 v54, 1, v5
	v_cmp_eq_u32_e32 vcc_lo, 1, v54
	s_wait_dscnt 0x1
	v_cndmask_b32_e64 v7, v7, 1, vcc_lo
	v_cmp_eq_u16_e32 vcc_lo, 0, v55
	s_wait_dscnt 0x0
	v_cndmask_b32_e32 v11, 0, v11, vcc_lo
	v_cmp_gt_u32_e32 vcc_lo, v53, v10
	v_and_b32_e32 v10, 0xff, v50
	v_cndmask_b32_e32 v5, v7, v5, vcc_lo
	s_delay_alu instid0(VALU_DEP_4) | instskip(NEXT) | instid1(VALU_DEP_3)
	v_cndmask_b32_e64 v7, v11, 0, vcc_lo
	v_cmp_eq_u16_e32 vcc_lo, 0, v10
	s_delay_alu instid0(VALU_DEP_2) | instskip(NEXT) | instid1(VALU_DEP_1)
	v_dual_add_nc_u32 v4, v7, v4 :: v_dual_bitop2_b32 v7, 1, v50 bitop3:0x40
	v_dual_cndmask_b32 v4, 0, v4, vcc_lo :: v_dual_bitop2_b32 v5, 1, v5 bitop3:0x40
	s_delay_alu instid0(VALU_DEP_2) | instskip(NEXT) | instid1(VALU_DEP_2)
	v_cmp_eq_u32_e32 vcc_lo, 1, v7
	v_add_nc_u32_e32 v4, v4, v51
	s_delay_alu instid0(VALU_DEP_3)
	v_cndmask_b32_e64 v5, v5, 1, vcc_lo
.LBB227_117:                            ;   in Loop: Header=BB227_118 Depth=1
	s_and_b32 vcc_lo, exec_lo, s14
	s_cbranch_vccnz .LBB227_163
.LBB227_118:                            ; =>This Loop Header: Depth=1
                                        ;     Child Loop BB227_121 Depth 2
	v_and_b32_e32 v6, 0xff, v6
	s_delay_alu instid0(VALU_DEP_2) | instskip(SKIP_1) | instid1(VALU_DEP_2)
	v_dual_mov_b32 v50, v5 :: v_dual_mov_b32 v51, v4
	s_mov_b32 s14, -1
                                        ; implicit-def: $vgpr5
                                        ; implicit-def: $vgpr4
	v_cmp_ne_u16_e32 vcc_lo, 2, v6
                                        ; implicit-def: $vgpr6
	s_cmp_lg_u32 vcc_lo, exec_lo
	s_cbranch_scc1 .LBB227_117
; %bb.119:                              ;   in Loop: Header=BB227_118 Depth=1
	v_lshl_add_u64 v[10:11], v[8:9], 4, s[28:29]
	;;#ASMSTART
	global_load_b128 v[4:7], v[10:11] off scope:SCOPE_DEV	
s_wait_loadcnt 0x0
	;;#ASMEND
	v_and_b32_e32 v7, 0xff, v6
	v_and_b32_e32 v5, 0xff, v5
	s_mov_b32 s14, exec_lo
	s_delay_alu instid0(VALU_DEP_2)
	v_cmpx_eq_u16_e32 0, v7
	s_cbranch_execz .LBB227_116
; %bb.120:                              ;   in Loop: Header=BB227_118 Depth=1
	s_mov_b32 s15, 0
.LBB227_121:                            ;   Parent Loop BB227_118 Depth=1
                                        ; =>  This Inner Loop Header: Depth=2
	;;#ASMSTART
	global_load_b128 v[4:7], v[10:11] off scope:SCOPE_DEV	
s_wait_loadcnt 0x0
	;;#ASMEND
	v_and_b32_e32 v7, 0xff, v6
	s_delay_alu instid0(VALU_DEP_1) | instskip(SKIP_1) | instid1(SALU_CYCLE_1)
	v_cmp_ne_u16_e32 vcc_lo, 0, v7
	s_or_b32 s15, vcc_lo, s15
	s_and_not1_b32 exec_lo, exec_lo, s15
	s_cbranch_execnz .LBB227_121
	s_branch .LBB227_115
.LBB227_122:
                                        ; implicit-def: $vgpr13
                                        ; implicit-def: $vgpr5
                                        ; implicit-def: $vgpr9
                                        ; implicit-def: $vgpr14_vgpr15
	s_cbranch_execnz .LBB227_168
.LBB227_123:
	s_add_nc_u64 s[0:1], s[18:19], s[34:35]
	s_and_b32 vcc_lo, exec_lo, s31
	s_add_nc_u64 s[0:1], s[0:1], s[16:17]
	s_cbranch_vccz .LBB227_185
.LBB227_124:
	v_mul_u32_u24_e32 v1, 12, v0
	s_add_co_i32 s33, s33, s30
	s_mov_b32 s2, exec_lo
	s_delay_alu instid0(VALU_DEP_1)
	v_cmpx_gt_u32_e64 s33, v1
	s_cbranch_execz .LBB227_140
; %bb.125:
	v_or_b32_e32 v17, 1, v1
	s_mov_b32 s3, exec_lo
	s_delay_alu instid0(VALU_DEP_1)
	v_cmpx_gt_u32_e64 s33, v17
	s_cbranch_execz .LBB227_139
; %bb.126:
	v_or_b32_e32 v17, 2, v1
	;; [unrolled: 6-line block ×3, first 2 shown]
	s_mov_b32 s5, exec_lo
	s_delay_alu instid0(VALU_DEP_1)
	v_cmpx_gt_u32_e64 s33, v17
	s_cbranch_execz .LBB227_137
; %bb.128:
	v_add_nc_u32_e32 v17, 4, v1
	s_mov_b32 s6, exec_lo
	s_delay_alu instid0(VALU_DEP_1)
	v_cmpx_gt_u32_e64 s33, v17
	s_cbranch_execz .LBB227_136
; %bb.129:
	v_add_nc_u32_e32 v17, 5, v1
	;; [unrolled: 6-line block ×4, first 2 shown]
	s_mov_b32 s9, exec_lo
	s_delay_alu instid0(VALU_DEP_1)
	v_cmpx_gt_u32_e64 s33, v17
; %bb.132:
	v_add_nc_u32_e32 v17, 8, v1
	s_mov_b32 s10, exec_lo
	s_delay_alu instid0(VALU_DEP_1)
	v_cmpx_gt_u32_e64 s33, v17
	s_or_b32 exec_lo, exec_lo, s10
; %bb.133:
	s_delay_alu instid0(SALU_CYCLE_1)
	s_or_b32 exec_lo, exec_lo, s9
.LBB227_134:
	s_delay_alu instid0(SALU_CYCLE_1)
	s_or_b32 exec_lo, exec_lo, s8
.LBB227_135:
	s_delay_alu instid0(SALU_CYCLE_1)
	s_or_b32 exec_lo, exec_lo, s7
.LBB227_136:
	s_delay_alu instid0(SALU_CYCLE_1)
	s_or_b32 exec_lo, exec_lo, s6
.LBB227_137:
	s_delay_alu instid0(SALU_CYCLE_1)
	s_or_b32 exec_lo, exec_lo, s5
.LBB227_138:
	s_delay_alu instid0(SALU_CYCLE_1)
	s_or_b32 exec_lo, exec_lo, s4
.LBB227_139:
	s_delay_alu instid0(SALU_CYCLE_1)
	s_or_b32 exec_lo, exec_lo, s3
.LBB227_140:
	s_delay_alu instid0(SALU_CYCLE_1)
	s_or_b32 exec_lo, exec_lo, s2
	v_dual_lshlrev_b32 v1, 2, v1 :: v_dual_mov_b32 v17, 0
	s_barrier_signal -1
	s_barrier_wait -1
	ds_store_b128 v1, v[6:9]
	ds_store_b128 v1, v[2:5] offset:16
	ds_store_b128 v1, v[10:13] offset:32
	v_mad_i32_i24 v6, 0xffffffd4, v0, v1
	s_wait_dscnt 0x0
	s_barrier_signal -1
	s_barrier_wait -1
	ds_load_2addr_stride64_b32 v[26:27], v6 offset0:4 offset1:8
	ds_load_2addr_stride64_b32 v[24:25], v6 offset0:12 offset1:16
	;; [unrolled: 1-line block ×5, first 2 shown]
	ds_load_b32 v7, v6 offset:11264
	v_add_nc_u64_e32 v[16:17], s[0:1], v[16:17]
	s_mov_b32 s2, exec_lo
	v_cmpx_gt_u32_e64 s33, v0
	s_cbranch_execz .LBB227_142
; %bb.141:
	v_mul_i32_i24_e32 v6, 0xffffffd4, v0
	s_delay_alu instid0(VALU_DEP_1)
	v_add_nc_u32_e32 v1, v1, v6
	ds_load_b32 v1, v1
	s_wait_dscnt 0x0
	flat_store_b32 v[16:17], v1
.LBB227_142:
	s_wait_xcnt 0x0
	s_or_b32 exec_lo, exec_lo, s2
	v_or_b32_e32 v1, 0x100, v0
	s_mov_b32 s2, exec_lo
	s_delay_alu instid0(VALU_DEP_1)
	v_cmpx_gt_u32_e64 s33, v1
	s_cbranch_execz .LBB227_144
; %bb.143:
	s_wait_dscnt 0x5
	flat_store_b32 v[16:17], v26 offset:1024
.LBB227_144:
	s_wait_xcnt 0x0
	s_or_b32 exec_lo, exec_lo, s2
	v_or_b32_e32 v1, 0x200, v0
	s_mov_b32 s2, exec_lo
	s_delay_alu instid0(VALU_DEP_1)
	v_cmpx_gt_u32_e64 s33, v1
	s_cbranch_execz .LBB227_146
; %bb.145:
	s_wait_dscnt 0x5
	flat_store_b32 v[16:17], v27 offset:2048
.LBB227_146:
	;; [unrolled: 11-line block ×10, first 2 shown]
	s_wait_xcnt 0x0
	s_or_b32 exec_lo, exec_lo, s2
	v_or_b32_e32 v1, 0xb00, v0
	s_delay_alu instid0(VALU_DEP_1)
	v_cmp_gt_u32_e64 s2, s33, v1
	s_branch .LBB227_187
.LBB227_163:
	s_and_saveexec_b32 s14, s13
	s_cbranch_execz .LBB227_165
; %bb.164:
	v_and_b32_e32 v4, 0xff, v3
	s_mov_b32 s21, 0
	s_add_co_i32 s20, s38, 32
	v_and_b32_e32 v5, 1, v50
	s_lshl_b64 s[20:21], s[20:21], 4
	v_cmp_eq_u32_e32 vcc_lo, 0, v4
	s_add_nc_u64 s[20:21], s[28:29], s[20:21]
	s_delay_alu instid0(SALU_CYCLE_1) | instskip(SKIP_1) | instid1(VALU_DEP_1)
	v_mov_b64_e32 v[6:7], s[20:21]
	v_cndmask_b32_e32 v4, 0, v51, vcc_lo
	v_dual_add_nc_u32 v2, v4, v2 :: v_dual_bitop2_b32 v3, 1, v3 bitop3:0x40
	s_delay_alu instid0(VALU_DEP_1)
	v_cmp_eq_u32_e32 vcc_lo, 1, v3
	v_mov_b32_e32 v4, 2
	v_cndmask_b32_e64 v3, v5, 1, vcc_lo
	v_mov_b32_e32 v5, 0
	;;#ASMSTART
	global_store_b128 v[6:7], v[2:5] off scope:SCOPE_DEV	
s_wait_storecnt 0x0
	;;#ASMEND
.LBB227_165:
	s_or_b32 exec_lo, exec_lo, s14
	s_delay_alu instid0(SALU_CYCLE_1)
	s_and_b32 exec_lo, exec_lo, s2
	s_cbranch_execz .LBB227_167
; %bb.166:
	v_mov_b32_e32 v2, 0
	ds_store_b32 v2, v51
	ds_store_b8 v2, v50 offset:4
.LBB227_167:
	s_or_b32 exec_lo, exec_lo, s24
	v_dual_mov_b32 v2, 0 :: v_dual_bitop2_b32 v3, 1, v19 bitop3:0x40
	s_wait_dscnt 0x0
	s_barrier_signal -1
	s_barrier_wait -1
	s_delay_alu instid0(VALU_DEP_1) | instskip(SKIP_4) | instid1(VALU_DEP_2)
	v_cmp_eq_u32_e32 vcc_lo, 1, v3
	ds_load_b32 v2, v2
	s_mov_b64 s[14:15], 0x100000000
	v_cndmask_b32_e64 v3, v13, 1, vcc_lo
	v_cmp_gt_u64_e32 vcc_lo, s[14:15], v[18:19]
	v_dual_cndmask_b32 v3, v3, v19, s2 :: v_dual_cndmask_b32 v4, 0, v12, vcc_lo
	s_delay_alu instid0(VALU_DEP_1) | instskip(NEXT) | instid1(VALU_DEP_2)
	v_and_b32_e32 v3, 0xff, v3
	v_cndmask_b32_e64 v4, v4, 0, s2
	s_delay_alu instid0(VALU_DEP_2) | instskip(SKIP_2) | instid1(VALU_DEP_1)
	v_cmp_eq_u16_e32 vcc_lo, 0, v3
	s_wait_dscnt 0x0
	v_cndmask_b32_e32 v2, 0, v2, vcc_lo
	v_add3_u32 v6, v4, v18, v2
	s_delay_alu instid0(VALU_DEP_1) | instskip(NEXT) | instid1(VALU_DEP_1)
	v_cndmask_b32_e64 v2, 0, v6, s0
	v_add_nc_u32_e32 v7, v2, v38
	s_delay_alu instid0(VALU_DEP_1) | instskip(NEXT) | instid1(VALU_DEP_1)
	v_cndmask_b32_e64 v2, 0, v7, s1
	v_add_nc_u32_e32 v8, v2, v36
	v_mov_b64_e32 v[14:15], v[6:7]
	s_delay_alu instid0(VALU_DEP_2) | instskip(NEXT) | instid1(VALU_DEP_1)
	v_cndmask_b32_e64 v2, 0, v8, s4
	v_add_nc_u32_e32 v9, v2, v34
	s_delay_alu instid0(VALU_DEP_1) | instskip(NEXT) | instid1(VALU_DEP_1)
	v_cndmask_b32_e64 v2, 0, v9, s5
	v_add_nc_u32_e32 v2, v2, v32
	s_delay_alu instid0(VALU_DEP_1) | instskip(NEXT) | instid1(VALU_DEP_1)
	;; [unrolled: 3-line block ×8, first 2 shown]
	v_cndmask_b32_e64 v13, 0, v12, s12
	v_add_nc_u32_e32 v13, v13, v40
	s_branch .LBB227_123
.LBB227_168:
	s_cmp_lg_u64 s[36:37], 0
	s_cselect_b32 s0, -1, 0
	s_cmp_lg_u64 s[22:23], 0
	s_cselect_b32 s1, -1, 0
	s_delay_alu instid0(SALU_CYCLE_1) | instskip(NEXT) | instid1(SALU_CYCLE_1)
	s_and_b32 s0, s0, s1
	s_and_b32 s1, s2, s0
	s_delay_alu instid0(SALU_CYCLE_1)
	s_and_saveexec_b32 s0, s1
	s_cbranch_execz .LBB227_170
; %bb.169:
	s_mov_b64 s[4:5], 0x100000000
	s_delay_alu instid0(SALU_CYCLE_1)
	v_cmp_gt_u64_e32 vcc_lo, s[4:5], v[18:19]
	v_mov_b32_e32 v2, 0
	s_clause 0x1
	global_load_b32 v3, v2, s[22:23]
	global_load_u8 v4, v2, s[22:23] offset:4
	s_wait_loadcnt 0x1
	v_cndmask_b32_e32 v5, 0, v3, vcc_lo
	v_and_b32_e32 v3, 1, v19
	s_wait_loadcnt 0x0
	s_delay_alu instid0(VALU_DEP_2) | instskip(NEXT) | instid1(VALU_DEP_2)
	v_dual_add_nc_u32 v18, v5, v18 :: v_dual_bitop2_b32 v4, 1, v4 bitop3:0x40
	v_cmp_eq_u64_e32 vcc_lo, 0, v[2:3]
	s_delay_alu instid0(VALU_DEP_2)
	v_cndmask_b32_e32 v19, 1, v4, vcc_lo
.LBB227_170:
	s_or_b32 exec_lo, exec_lo, s0
	s_mov_b64 s[12:13], 0x100000000
	v_or3_b32 v12, v42, v29, v31
	v_cmp_gt_u64_e32 vcc_lo, s[12:13], v[38:39]
	v_cmp_gt_u64_e64 s6, s[12:13], v[28:29]
	v_cmp_gt_u64_e64 s0, s[12:13], v[36:37]
	v_cmp_gt_u64_e64 s1, s[12:13], v[34:35]
	v_cmp_gt_u64_e64 s4, s[12:13], v[32:33]
	v_cmp_gt_u64_e64 s5, s[12:13], v[30:31]
	v_cmp_gt_u64_e64 s7, s[12:13], v[26:27]
	v_cndmask_b32_e32 v2, 0, v18, vcc_lo
	v_cmp_gt_u64_e64 s8, s[12:13], v[24:25]
	v_cmp_gt_u64_e64 s10, s[12:13], v[20:21]
	;; [unrolled: 1-line block ×3, first 2 shown]
	v_dual_mov_b32 v14, 0 :: v_dual_bitop2_b32 v1, 56, v1 bitop3:0x40
	v_add_nc_u32_e32 v7, v2, v38
	v_cmp_gt_u64_e64 s11, s[12:13], v[40:41]
	s_mov_b32 s13, exec_lo
	v_lshl_add_u32 v1, v0, 3, v1
	v_cndmask_b32_e64 v2, 0, v7, s0
	s_delay_alu instid0(VALU_DEP_1) | instskip(NEXT) | instid1(VALU_DEP_1)
	v_add_nc_u32_e32 v8, v2, v36
	v_cndmask_b32_e64 v2, 0, v8, s1
	s_delay_alu instid0(VALU_DEP_1) | instskip(NEXT) | instid1(VALU_DEP_1)
	v_add_nc_u32_e32 v9, v2, v34
	;; [unrolled: 3-line block ×7, first 2 shown]
	v_cndmask_b32_e64 v6, 0, v10, s9
	s_delay_alu instid0(VALU_DEP_1) | instskip(SKIP_1) | instid1(VALU_DEP_2)
	v_add_nc_u32_e32 v11, v6, v22
	v_or3_b32 v6, v12, v33, v35
	v_cndmask_b32_e64 v12, 0, v11, s10
	s_delay_alu instid0(VALU_DEP_2) | instskip(NEXT) | instid1(VALU_DEP_2)
	v_or3_b32 v6, v6, v37, v39
	v_add_nc_u32_e32 v12, v12, v20
	s_delay_alu instid0(VALU_DEP_2) | instskip(NEXT) | instid1(VALU_DEP_1)
	v_or3_b32 v6, v41, v17, v6
	v_and_b32_e32 v15, 0xff, v6
	s_delay_alu instid0(VALU_DEP_1) | instskip(NEXT) | instid1(VALU_DEP_1)
	v_cmp_eq_u64_e64 s12, 0, v[14:15]
	v_dual_cndmask_b32 v13, 0, v12, s11 :: v_dual_cndmask_b32 v6, 1, v19, s12
	s_delay_alu instid0(VALU_DEP_1)
	v_add_nc_u32_e32 v13, v13, v40
	ds_store_b32 v1, v13
	ds_store_b8 v1, v6 offset:4
	s_wait_dscnt 0x0
	s_barrier_signal -1
	s_barrier_wait -1
	v_cmpx_gt_u32_e32 32, v0
	s_cbranch_execz .LBB227_180
; %bb.171:
	v_dual_lshlrev_b32 v1, 1, v0 :: v_dual_lshlrev_b32 v14, 6, v0
	s_mov_b32 s14, exec_lo
	s_delay_alu instid0(VALU_DEP_1) | instskip(NEXT) | instid1(VALU_DEP_1)
	v_and_b32_e32 v1, 0x1f8, v1
	v_add_nc_u32_e32 v1, v1, v14
	ds_load_u8 v17, v1 offset:12
	ds_load_b64 v[14:15], v1
	ds_load_2addr_b32 v[42:43], v1 offset0:2 offset1:4
	ds_load_u8 v21, v1 offset:20
	ds_load_u8 v23, v1 offset:28
	ds_load_u8 v25, v1 offset:36
	ds_load_u8 v27, v1 offset:44
	ds_load_u8 v29, v1 offset:52
	ds_load_b32 v33, v1 offset:56
	s_wait_dscnt 0x8
	v_cmp_eq_u16_e64 s12, 0, v17
	s_wait_dscnt 0x5
	s_delay_alu instid0(VALU_DEP_1)
	v_dual_cndmask_b32 v31, 0, v14, s12 :: v_dual_bitop2_b32 v17, v21, v17 bitop3:0x54
	ds_load_2addr_b32 v[44:45], v1 offset0:6 offset1:8
	v_cmp_eq_u16_e64 s12, 0, v21
	ds_load_u8 v35, v1 offset:60
	s_wait_dscnt 0x5
	v_bitop3_b16 v17, v17, v25, v23 bitop3:0xfe
	v_add_nc_u32_e32 v31, v31, v42
	s_delay_alu instid0(VALU_DEP_1)
	v_cndmask_b32_e64 v31, 0, v31, s12
	v_cmp_eq_u16_e64 s12, 0, v23
	s_wait_dscnt 0x3
	v_bitop3_b16 v23, v17, v29, v27 bitop3:0xfe
	v_and_b32_e32 v17, 1, v15
	v_add_nc_u32_e32 v31, v31, v43
	ds_load_2addr_b32 v[42:43], v1 offset0:10 offset1:12
	v_cndmask_b32_e64 v31, 0, v31, s12
	v_cmp_eq_u16_e64 s12, 0, v25
	s_wait_dscnt 0x1
	s_delay_alu instid0(VALU_DEP_2) | instskip(NEXT) | instid1(VALU_DEP_1)
	v_dual_add_nc_u32 v31, v31, v44 :: v_dual_bitop2_b32 v25, 1, v35 bitop3:0x40
	v_cndmask_b32_e64 v31, 0, v31, s12
	v_cmp_eq_u16_e64 s12, 0, v27
	s_delay_alu instid0(VALU_DEP_2) | instskip(NEXT) | instid1(VALU_DEP_1)
	v_add_nc_u32_e32 v21, v31, v45
	v_cndmask_b32_e64 v21, 0, v21, s12
	v_cmp_eq_u16_e64 s12, 0, v23
	s_wait_dscnt 0x0
	s_delay_alu instid0(VALU_DEP_1) | instskip(SKIP_1) | instid1(VALU_DEP_1)
	v_dual_add_nc_u32 v21, v21, v42 :: v_dual_cndmask_b32 v23, 1, v17, s12
	v_cmp_eq_u16_e64 s12, 0, v29
	v_cndmask_b32_e64 v21, 0, v21, s12
	v_cmp_eq_u32_e64 s12, 1, v25
	v_mbcnt_lo_u32_b32 v25, -1, 0
	s_delay_alu instid0(VALU_DEP_2) | instskip(SKIP_1) | instid1(VALU_DEP_2)
	v_cndmask_b32_e64 v27, v23, 1, s12
	v_cmp_eq_u16_e64 s12, 0, v35
	v_and_b32_e32 v29, 0xffff, v27
	v_add_nc_u32_e32 v23, v21, v43
	v_and_b32_e32 v21, 0xffffff00, v15
	s_delay_alu instid0(VALU_DEP_1) | instskip(SKIP_1) | instid1(VALU_DEP_2)
	v_dual_cndmask_b32 v23, 0, v23, s12 :: v_dual_bitop2_b32 v31, v21, v29 bitop3:0x54
	v_and_b32_e32 v29, 15, v25
	v_mov_b32_dpp v35, v31 row_shr:1 row_mask:0xf bank_mask:0xf
	s_delay_alu instid0(VALU_DEP_3) | instskip(NEXT) | instid1(VALU_DEP_1)
	v_add_nc_u32_e32 v23, v23, v33
	v_mov_b32_dpp v33, v23 row_shr:1 row_mask:0xf bank_mask:0xf
	s_delay_alu instid0(VALU_DEP_4)
	v_cmpx_ne_u32_e32 0, v29
	s_cbranch_execz .LBB227_173
; %bb.172:
	v_and_b32_e32 v31, 1, v27
	v_and_b32_e32 v35, 1, v35
	s_delay_alu instid0(VALU_DEP_2) | instskip(NEXT) | instid1(VALU_DEP_1)
	v_cmp_eq_u32_e64 s12, 1, v31
	v_cndmask_b32_e64 v35, v35, 1, s12
	v_cmp_eq_u16_e64 s12, 0, v27
	s_delay_alu instid0(VALU_DEP_2) | instskip(NEXT) | instid1(VALU_DEP_1)
	v_and_b32_e32 v31, 0xffff, v35
	v_dual_cndmask_b32 v27, 0, v33, s12 :: v_dual_bitop2_b32 v31, v21, v31 bitop3:0x54
	s_delay_alu instid0(VALU_DEP_1)
	v_add_nc_u32_e32 v23, v27, v23
	v_mov_b32_e32 v27, v35
.LBB227_173:
	s_or_b32 exec_lo, exec_lo, s14
	s_delay_alu instid0(VALU_DEP_2)
	v_mov_b32_dpp v33, v23 row_shr:2 row_mask:0xf bank_mask:0xf
	v_mov_b32_dpp v35, v31 row_shr:2 row_mask:0xf bank_mask:0xf
	s_mov_b32 s14, exec_lo
	v_cmpx_lt_u32_e32 1, v29
	s_cbranch_execz .LBB227_175
; %bb.174:
	v_and_b32_e32 v31, 1, v27
	v_and_b32_e32 v35, 1, v35
	s_delay_alu instid0(VALU_DEP_2) | instskip(NEXT) | instid1(VALU_DEP_1)
	v_cmp_eq_u32_e64 s12, 1, v31
	v_cndmask_b32_e64 v35, v35, 1, s12
	v_cmp_eq_u16_e64 s12, 0, v27
	s_delay_alu instid0(VALU_DEP_2) | instskip(NEXT) | instid1(VALU_DEP_1)
	v_and_b32_e32 v31, 0xffff, v35
	v_dual_cndmask_b32 v27, 0, v33, s12 :: v_dual_bitop2_b32 v31, v21, v31 bitop3:0x54
	s_delay_alu instid0(VALU_DEP_1)
	v_add_nc_u32_e32 v23, v27, v23
	v_mov_b32_e32 v27, v35
.LBB227_175:
	s_or_b32 exec_lo, exec_lo, s14
	s_delay_alu instid0(VALU_DEP_2)
	v_mov_b32_dpp v33, v23 row_shr:4 row_mask:0xf bank_mask:0xf
	v_mov_b32_dpp v35, v31 row_shr:4 row_mask:0xf bank_mask:0xf
	s_mov_b32 s14, exec_lo
	v_cmpx_lt_u32_e32 3, v29
	;; [unrolled: 21-line block ×3, first 2 shown]
	s_cbranch_execz .LBB227_179
; %bb.178:
	v_and_b32_e32 v29, 1, v27
	v_and_b32_e32 v31, 1, v35
	s_delay_alu instid0(VALU_DEP_2) | instskip(NEXT) | instid1(VALU_DEP_1)
	v_cmp_eq_u32_e64 s12, 1, v29
	v_cndmask_b32_e64 v29, v31, 1, s12
	v_cmp_eq_u16_e64 s12, 0, v27
	s_delay_alu instid0(VALU_DEP_2) | instskip(NEXT) | instid1(VALU_DEP_1)
	v_and_b32_e32 v31, 0xffff, v29
	v_dual_cndmask_b32 v27, 0, v33, s12 :: v_dual_bitop2_b32 v31, v21, v31 bitop3:0x54
	s_delay_alu instid0(VALU_DEP_1)
	v_dual_add_nc_u32 v23, v27, v23 :: v_dual_mov_b32 v27, v29
.LBB227_179:
	s_or_b32 exec_lo, exec_lo, s14
	ds_swizzle_b32 v29, v31 offset:swizzle(BROADCAST,32,15)
	ds_swizzle_b32 v31, v23 offset:swizzle(BROADCAST,32,15)
	v_and_b32_e32 v33, 1, v27
	v_and_b32_e32 v35, 16, v25
	v_bfe_i32 v37, v25, 4, 1
	v_and_b32_e32 v15, 0xff, v15
	s_delay_alu instid0(VALU_DEP_4) | instskip(SKIP_3) | instid1(VALU_DEP_1)
	v_cmp_eq_u32_e64 s12, 1, v33
	v_add_nc_u32_e32 v33, -1, v25
	; wave barrier
	s_wait_dscnt 0x1
	v_and_b32_e32 v29, 1, v29
	v_cndmask_b32_e64 v29, v29, 1, s12
	v_cmp_eq_u16_e64 s12, 0, v27
	s_wait_dscnt 0x0
	s_delay_alu instid0(VALU_DEP_1) | instskip(SKIP_1) | instid1(VALU_DEP_1)
	v_cndmask_b32_e64 v31, 0, v31, s12
	v_cmp_eq_u32_e64 s12, 0, v35
	v_cndmask_b32_e64 v27, v29, v27, s12
	v_cmp_gt_i32_e64 s12, 0, v33
	s_delay_alu instid0(VALU_DEP_2) | instskip(NEXT) | instid1(VALU_DEP_2)
	v_and_b32_e32 v27, 0xffff, v27
	v_cndmask_b32_e64 v25, v33, v25, s12
	v_and_b32_e32 v29, v37, v31
	v_cmp_eq_u16_e64 s12, 0, v15
	s_delay_alu instid0(VALU_DEP_3)
	v_dual_lshlrev_b32 v25, 2, v25 :: v_dual_bitop2_b32 v21, v21, v27 bitop3:0x54
	ds_bpermute_b32 v21, v25, v21
	s_wait_dscnt 0x0
	v_dual_add_nc_u32 v23, v29, v23 :: v_dual_bitop2_b32 v21, 1, v21 bitop3:0x40
	ds_bpermute_b32 v23, v25, v23
	s_wait_dscnt 0x0
	v_cndmask_b32_e64 v15, 0, v23, s12
	v_cmp_eq_u32_e64 s12, 1, v17
	s_delay_alu instid0(VALU_DEP_2) | instskip(NEXT) | instid1(VALU_DEP_2)
	v_add_nc_u32_e32 v14, v15, v14
	v_cndmask_b32_e64 v15, v21, 1, s12
	s_delay_alu instid0(VALU_DEP_1)
	v_dual_cndmask_b32 v17, v14, v13, s2 :: v_dual_cndmask_b32 v6, v15, v6, s2
	ds_store_b32 v1, v17
	ds_store_b8 v1, v6 offset:4
	; wave barrier
	ds_load_u8 v21, v1 offset:12
	ds_load_2addr_b32 v[14:15], v1 offset0:2 offset1:4
	ds_load_u8 v23, v1 offset:20
	ds_load_u8 v25, v1 offset:28
	;; [unrolled: 1-line block ×5, first 2 shown]
	ds_load_b32 v33, v1 offset:56
	ds_load_u8 v35, v1 offset:60
	ds_load_2addr_b32 v[42:43], v1 offset0:6 offset1:8
	s_wait_dscnt 0x9
	v_cmp_eq_u16_e64 s12, 0, v21
	s_delay_alu instid0(VALU_DEP_1) | instskip(SKIP_2) | instid1(VALU_DEP_2)
	v_cndmask_b32_e64 v17, 0, v17, s12
	s_wait_dscnt 0x7
	v_cmp_eq_u16_e64 s12, 0, v23
	v_add_nc_u32_e32 v17, v17, v14
	s_delay_alu instid0(VALU_DEP_1) | instskip(SKIP_2) | instid1(VALU_DEP_2)
	v_cndmask_b32_e64 v14, 0, v17, s12
	s_wait_dscnt 0x6
	v_cmp_eq_u16_e64 s12, 0, v25
	v_add_nc_u32_e32 v37, v14, v15
	ds_load_2addr_b32 v[14:15], v1 offset0:10 offset1:12
	v_cndmask_b32_e64 v39, 0, v37, s12
	s_wait_dscnt 0x6
	v_cmp_eq_u16_e64 s12, 0, v27
	ds_store_2addr_b32 v1, v17, v37 offset0:2 offset1:4
	s_wait_dscnt 0x2
	v_dual_add_nc_u32 v39, v39, v42 :: v_dual_bitop2_b32 v21, 1, v21 bitop3:0x40
	v_and_b32_e32 v42, 1, v35
	s_delay_alu instid0(VALU_DEP_2) | instskip(NEXT) | instid1(VALU_DEP_3)
	v_cndmask_b32_e64 v41, 0, v39, s12
	v_cmp_eq_u32_e64 s12, 1, v21
	s_delay_alu instid0(VALU_DEP_2) | instskip(SKIP_1) | instid1(VALU_DEP_3)
	v_dual_add_nc_u32 v25, v41, v43 :: v_dual_bitop2_b32 v21, 1, v25 bitop3:0x40
	v_and_b32_e32 v23, 1, v23
	v_cndmask_b32_e64 v6, v6, 1, s12
	s_delay_alu instid0(VALU_DEP_2) | instskip(NEXT) | instid1(VALU_DEP_1)
	v_cmp_eq_u32_e64 s12, 1, v23
	v_cndmask_b32_e64 v23, v6, 1, s12
	v_cmp_eq_u16_e64 s12, 0, v29
	s_delay_alu instid0(VALU_DEP_1) | instskip(SKIP_2) | instid1(VALU_DEP_2)
	v_dual_cndmask_b32 v41, 0, v25, s12 :: v_dual_bitop2_b32 v27, 1, v27 bitop3:0x40
	v_cmp_eq_u32_e64 s12, 1, v21
	s_wait_dscnt 0x1
	v_dual_add_nc_u32 v14, v41, v14 :: v_dual_bitop2_b32 v41, 1, v31 bitop3:0x40
	s_delay_alu instid0(VALU_DEP_2) | instskip(SKIP_1) | instid1(VALU_DEP_1)
	v_cndmask_b32_e64 v21, v23, 1, s12
	v_cmp_eq_u32_e64 s12, 1, v27
	v_cndmask_b32_e64 v27, v21, 1, s12
	v_cmp_eq_u16_e64 s12, 0, v31
	s_delay_alu instid0(VALU_DEP_1) | instskip(NEXT) | instid1(VALU_DEP_1)
	v_dual_cndmask_b32 v31, 0, v14, s12 :: v_dual_bitop2_b32 v29, 1, v29 bitop3:0x40
	v_cmp_eq_u32_e64 s12, 1, v29
	s_delay_alu instid0(VALU_DEP_2) | instskip(NEXT) | instid1(VALU_DEP_2)
	v_add_nc_u32_e32 v15, v31, v15
	v_cndmask_b32_e64 v29, v27, 1, s12
	v_cmp_eq_u32_e64 s12, 1, v41
	ds_store_2addr_b32 v1, v39, v25 offset0:6 offset1:8
	ds_store_2addr_b32 v1, v14, v15 offset0:10 offset1:12
	v_cndmask_b32_e64 v31, v29, 1, s12
	v_cmp_eq_u16_e64 s12, 0, v35
	s_delay_alu instid0(VALU_DEP_1) | instskip(SKIP_1) | instid1(VALU_DEP_2)
	v_cndmask_b32_e64 v17, 0, v15, s12
	v_cmp_eq_u32_e64 s12, 1, v42
	v_add_nc_u32_e32 v14, v17, v33
	s_delay_alu instid0(VALU_DEP_2)
	v_cndmask_b32_e64 v35, v31, 1, s12
	ds_store_b8 v1, v6 offset:12
	ds_store_b8 v1, v23 offset:20
	;; [unrolled: 1-line block ×6, first 2 shown]
	ds_store_b32 v1, v14 offset:56
	ds_store_b8 v1, v35 offset:60
.LBB227_180:
	s_or_b32 exec_lo, exec_lo, s13
	v_mov_b32_e32 v6, v18
	s_wait_dscnt 0x0
	s_barrier_signal -1
	s_barrier_wait -1
	s_delay_alu instid0(VALU_DEP_1)
	v_mov_b64_e32 v[14:15], v[6:7]
	s_and_saveexec_b32 s12, s3
	s_cbranch_execz .LBB227_182
; %bb.181:
	v_add_nc_u32_e32 v1, -1, v0
	v_and_b32_e32 v3, 0xff, v19
	s_delay_alu instid0(VALU_DEP_2) | instskip(NEXT) | instid1(VALU_DEP_1)
	v_lshrrev_b32_e32 v2, 2, v1
	v_and_b32_e32 v2, 0x3ffffff8, v2
	s_delay_alu instid0(VALU_DEP_1)
	v_lshl_add_u32 v1, v1, 3, v2
	v_mov_b32_e32 v2, 0
	ds_load_b32 v1, v1
	v_cmp_eq_u64_e64 s3, 0, v[2:3]
	;;#ASMSTART
	;;#ASMEND
	s_wait_dscnt 0x0
	s_delay_alu instid0(VALU_DEP_1) | instskip(NEXT) | instid1(VALU_DEP_1)
	v_cndmask_b32_e64 v1, 0, v1, s3
	v_add_nc_u32_e32 v14, v1, v18
	s_delay_alu instid0(VALU_DEP_1) | instskip(NEXT) | instid1(VALU_DEP_1)
	v_cndmask_b32_e32 v1, 0, v14, vcc_lo
	v_add_nc_u32_e32 v15, v1, v38
	s_delay_alu instid0(VALU_DEP_1) | instskip(NEXT) | instid1(VALU_DEP_1)
	v_dual_cndmask_b32 v1, 0, v15, s0 :: v_dual_mov_b32 v18, v14
	v_dual_mov_b32 v7, v15 :: v_dual_add_nc_u32 v8, v1, v36
	s_delay_alu instid0(VALU_DEP_1) | instskip(NEXT) | instid1(VALU_DEP_1)
	v_cndmask_b32_e64 v1, 0, v8, s1
	v_add_nc_u32_e32 v9, v1, v34
	s_delay_alu instid0(VALU_DEP_1) | instskip(NEXT) | instid1(VALU_DEP_1)
	v_cndmask_b32_e64 v1, 0, v9, s4
	v_add_nc_u32_e32 v2, v1, v32
	;; [unrolled: 3-line block ×9, first 2 shown]
.LBB227_182:
	s_or_b32 exec_lo, exec_lo, s12
	s_and_saveexec_b32 s0, s2
	s_cbranch_execz .LBB227_184
; %bb.183:
	v_dual_mov_b32 v23, 0 :: v_dual_mov_b32 v22, 2
	s_add_nc_u64 s[2:3], s[28:29], 0x200
	ds_load_b32 v20, v23 offset:2096
	ds_load_u8 v21, v23 offset:2100
	v_mov_b64_e32 v[24:25], s[2:3]
	s_wait_dscnt 0x0
	;;#ASMSTART
	global_store_b128 v[24:25], v[20:23] off scope:SCOPE_DEV	
s_wait_storecnt 0x0
	;;#ASMEND
.LBB227_184:
	s_or_b32 exec_lo, exec_lo, s0
	v_mov_b32_e32 v6, v18
	s_add_nc_u64 s[0:1], s[18:19], s[34:35]
	s_and_b32 vcc_lo, exec_lo, s31
	s_add_nc_u64 s[0:1], s[0:1], s[16:17]
	s_cbranch_vccnz .LBB227_124
.LBB227_185:
	s_mov_b32 s2, 0
                                        ; implicit-def: $vgpr7
	s_cbranch_execz .LBB227_187
; %bb.186:
	v_mul_u32_u24_e32 v1, 48, v0
	v_dual_mov_b32 v16, v8 :: v_dual_mov_b32 v17, v9
	v_mul_i32_i24_e32 v6, 0xffffffd4, v0
	s_wait_storecnt_dscnt 0x0
	s_barrier_signal -1
	s_barrier_wait -1
	ds_store_b128 v1, v[14:17]
	ds_store_b128 v1, v[2:5] offset:16
	ds_store_b128 v1, v[10:13] offset:32
	v_mad_u32_u24 v1, v0, 48, v6
	s_wait_dscnt 0x0
	s_barrier_signal -1
	s_barrier_wait -1
	ds_load_2addr_stride64_b32 v[2:3], v1 offset1:4
	ds_load_2addr_stride64_b32 v[4:5], v1 offset0:8 offset1:12
	ds_load_2addr_stride64_b32 v[8:9], v1 offset0:16 offset1:20
	;; [unrolled: 1-line block ×5, first 2 shown]
	s_or_b32 s2, s2, exec_lo
	s_wait_dscnt 0x5
	s_clause 0x1
	flat_store_b32 v0, v2, s[0:1] scale_offset
	flat_store_b32 v0, v3, s[0:1] offset:1024 scale_offset
	s_wait_dscnt 0x6
	s_clause 0x1
	flat_store_b32 v0, v4, s[0:1] offset:2048 scale_offset
	flat_store_b32 v0, v5, s[0:1] offset:3072 scale_offset
	s_wait_dscnt 0x7
	s_clause 0x1
	flat_store_b32 v0, v8, s[0:1] offset:4096 scale_offset
	;; [unrolled: 4-line block ×4, first 2 shown]
	flat_store_b32 v0, v13, s[0:1] offset:9216 scale_offset
	s_wait_dscnt 0xa
	flat_store_b32 v0, v6, s[0:1] offset:10240 scale_offset
.LBB227_187:
	s_wait_xcnt 0x0
	s_delay_alu instid0(VALU_DEP_1)
	s_and_saveexec_b32 s3, s2
	s_cbranch_execnz .LBB227_189
; %bb.188:
	s_endpgm
.LBB227_189:
	s_wait_dscnt 0x0
	flat_store_b32 v0, v7, s[0:1] offset:11264 scale_offset
	s_endpgm
	.section	.rodata,"a",@progbits
	.p2align	6, 0x0
	.amdhsa_kernel _ZN7rocprim17ROCPRIM_400000_NS6detail17trampoline_kernelINS0_14default_configENS1_27scan_by_key_config_selectorIiiEEZZNS1_16scan_by_key_implILNS1_25lookback_scan_determinismE0ELb0ES3_N6thrust23THRUST_200600_302600_NS6detail15normal_iteratorINS9_10device_ptrIiEEEESE_SE_iNS9_4plusIvEENS9_8equal_toIiEEiEE10hipError_tPvRmT2_T3_T4_T5_mT6_T7_P12ihipStream_tbENKUlT_T0_E_clISt17integral_constantIbLb0EESY_IbLb1EEEEDaSU_SV_EUlSU_E_NS1_11comp_targetILNS1_3genE0ELNS1_11target_archE4294967295ELNS1_3gpuE0ELNS1_3repE0EEENS1_30default_config_static_selectorELNS0_4arch9wavefront6targetE0EEEvT1_
		.amdhsa_group_segment_fixed_size 14336
		.amdhsa_private_segment_fixed_size 0
		.amdhsa_kernarg_size 112
		.amdhsa_user_sgpr_count 2
		.amdhsa_user_sgpr_dispatch_ptr 0
		.amdhsa_user_sgpr_queue_ptr 0
		.amdhsa_user_sgpr_kernarg_segment_ptr 1
		.amdhsa_user_sgpr_dispatch_id 0
		.amdhsa_user_sgpr_kernarg_preload_length 0
		.amdhsa_user_sgpr_kernarg_preload_offset 0
		.amdhsa_user_sgpr_private_segment_size 0
		.amdhsa_wavefront_size32 1
		.amdhsa_uses_dynamic_stack 0
		.amdhsa_enable_private_segment 0
		.amdhsa_system_sgpr_workgroup_id_x 1
		.amdhsa_system_sgpr_workgroup_id_y 0
		.amdhsa_system_sgpr_workgroup_id_z 0
		.amdhsa_system_sgpr_workgroup_info 0
		.amdhsa_system_vgpr_workitem_id 0
		.amdhsa_next_free_vgpr 60
		.amdhsa_next_free_sgpr 44
		.amdhsa_named_barrier_count 0
		.amdhsa_reserve_vcc 1
		.amdhsa_float_round_mode_32 0
		.amdhsa_float_round_mode_16_64 0
		.amdhsa_float_denorm_mode_32 3
		.amdhsa_float_denorm_mode_16_64 3
		.amdhsa_fp16_overflow 0
		.amdhsa_memory_ordered 1
		.amdhsa_forward_progress 1
		.amdhsa_inst_pref_size 95
		.amdhsa_round_robin_scheduling 0
		.amdhsa_exception_fp_ieee_invalid_op 0
		.amdhsa_exception_fp_denorm_src 0
		.amdhsa_exception_fp_ieee_div_zero 0
		.amdhsa_exception_fp_ieee_overflow 0
		.amdhsa_exception_fp_ieee_underflow 0
		.amdhsa_exception_fp_ieee_inexact 0
		.amdhsa_exception_int_div_zero 0
	.end_amdhsa_kernel
	.section	.text._ZN7rocprim17ROCPRIM_400000_NS6detail17trampoline_kernelINS0_14default_configENS1_27scan_by_key_config_selectorIiiEEZZNS1_16scan_by_key_implILNS1_25lookback_scan_determinismE0ELb0ES3_N6thrust23THRUST_200600_302600_NS6detail15normal_iteratorINS9_10device_ptrIiEEEESE_SE_iNS9_4plusIvEENS9_8equal_toIiEEiEE10hipError_tPvRmT2_T3_T4_T5_mT6_T7_P12ihipStream_tbENKUlT_T0_E_clISt17integral_constantIbLb0EESY_IbLb1EEEEDaSU_SV_EUlSU_E_NS1_11comp_targetILNS1_3genE0ELNS1_11target_archE4294967295ELNS1_3gpuE0ELNS1_3repE0EEENS1_30default_config_static_selectorELNS0_4arch9wavefront6targetE0EEEvT1_,"axG",@progbits,_ZN7rocprim17ROCPRIM_400000_NS6detail17trampoline_kernelINS0_14default_configENS1_27scan_by_key_config_selectorIiiEEZZNS1_16scan_by_key_implILNS1_25lookback_scan_determinismE0ELb0ES3_N6thrust23THRUST_200600_302600_NS6detail15normal_iteratorINS9_10device_ptrIiEEEESE_SE_iNS9_4plusIvEENS9_8equal_toIiEEiEE10hipError_tPvRmT2_T3_T4_T5_mT6_T7_P12ihipStream_tbENKUlT_T0_E_clISt17integral_constantIbLb0EESY_IbLb1EEEEDaSU_SV_EUlSU_E_NS1_11comp_targetILNS1_3genE0ELNS1_11target_archE4294967295ELNS1_3gpuE0ELNS1_3repE0EEENS1_30default_config_static_selectorELNS0_4arch9wavefront6targetE0EEEvT1_,comdat
.Lfunc_end227:
	.size	_ZN7rocprim17ROCPRIM_400000_NS6detail17trampoline_kernelINS0_14default_configENS1_27scan_by_key_config_selectorIiiEEZZNS1_16scan_by_key_implILNS1_25lookback_scan_determinismE0ELb0ES3_N6thrust23THRUST_200600_302600_NS6detail15normal_iteratorINS9_10device_ptrIiEEEESE_SE_iNS9_4plusIvEENS9_8equal_toIiEEiEE10hipError_tPvRmT2_T3_T4_T5_mT6_T7_P12ihipStream_tbENKUlT_T0_E_clISt17integral_constantIbLb0EESY_IbLb1EEEEDaSU_SV_EUlSU_E_NS1_11comp_targetILNS1_3genE0ELNS1_11target_archE4294967295ELNS1_3gpuE0ELNS1_3repE0EEENS1_30default_config_static_selectorELNS0_4arch9wavefront6targetE0EEEvT1_, .Lfunc_end227-_ZN7rocprim17ROCPRIM_400000_NS6detail17trampoline_kernelINS0_14default_configENS1_27scan_by_key_config_selectorIiiEEZZNS1_16scan_by_key_implILNS1_25lookback_scan_determinismE0ELb0ES3_N6thrust23THRUST_200600_302600_NS6detail15normal_iteratorINS9_10device_ptrIiEEEESE_SE_iNS9_4plusIvEENS9_8equal_toIiEEiEE10hipError_tPvRmT2_T3_T4_T5_mT6_T7_P12ihipStream_tbENKUlT_T0_E_clISt17integral_constantIbLb0EESY_IbLb1EEEEDaSU_SV_EUlSU_E_NS1_11comp_targetILNS1_3genE0ELNS1_11target_archE4294967295ELNS1_3gpuE0ELNS1_3repE0EEENS1_30default_config_static_selectorELNS0_4arch9wavefront6targetE0EEEvT1_
                                        ; -- End function
	.set _ZN7rocprim17ROCPRIM_400000_NS6detail17trampoline_kernelINS0_14default_configENS1_27scan_by_key_config_selectorIiiEEZZNS1_16scan_by_key_implILNS1_25lookback_scan_determinismE0ELb0ES3_N6thrust23THRUST_200600_302600_NS6detail15normal_iteratorINS9_10device_ptrIiEEEESE_SE_iNS9_4plusIvEENS9_8equal_toIiEEiEE10hipError_tPvRmT2_T3_T4_T5_mT6_T7_P12ihipStream_tbENKUlT_T0_E_clISt17integral_constantIbLb0EESY_IbLb1EEEEDaSU_SV_EUlSU_E_NS1_11comp_targetILNS1_3genE0ELNS1_11target_archE4294967295ELNS1_3gpuE0ELNS1_3repE0EEENS1_30default_config_static_selectorELNS0_4arch9wavefront6targetE0EEEvT1_.num_vgpr, 60
	.set _ZN7rocprim17ROCPRIM_400000_NS6detail17trampoline_kernelINS0_14default_configENS1_27scan_by_key_config_selectorIiiEEZZNS1_16scan_by_key_implILNS1_25lookback_scan_determinismE0ELb0ES3_N6thrust23THRUST_200600_302600_NS6detail15normal_iteratorINS9_10device_ptrIiEEEESE_SE_iNS9_4plusIvEENS9_8equal_toIiEEiEE10hipError_tPvRmT2_T3_T4_T5_mT6_T7_P12ihipStream_tbENKUlT_T0_E_clISt17integral_constantIbLb0EESY_IbLb1EEEEDaSU_SV_EUlSU_E_NS1_11comp_targetILNS1_3genE0ELNS1_11target_archE4294967295ELNS1_3gpuE0ELNS1_3repE0EEENS1_30default_config_static_selectorELNS0_4arch9wavefront6targetE0EEEvT1_.num_agpr, 0
	.set _ZN7rocprim17ROCPRIM_400000_NS6detail17trampoline_kernelINS0_14default_configENS1_27scan_by_key_config_selectorIiiEEZZNS1_16scan_by_key_implILNS1_25lookback_scan_determinismE0ELb0ES3_N6thrust23THRUST_200600_302600_NS6detail15normal_iteratorINS9_10device_ptrIiEEEESE_SE_iNS9_4plusIvEENS9_8equal_toIiEEiEE10hipError_tPvRmT2_T3_T4_T5_mT6_T7_P12ihipStream_tbENKUlT_T0_E_clISt17integral_constantIbLb0EESY_IbLb1EEEEDaSU_SV_EUlSU_E_NS1_11comp_targetILNS1_3genE0ELNS1_11target_archE4294967295ELNS1_3gpuE0ELNS1_3repE0EEENS1_30default_config_static_selectorELNS0_4arch9wavefront6targetE0EEEvT1_.numbered_sgpr, 44
	.set _ZN7rocprim17ROCPRIM_400000_NS6detail17trampoline_kernelINS0_14default_configENS1_27scan_by_key_config_selectorIiiEEZZNS1_16scan_by_key_implILNS1_25lookback_scan_determinismE0ELb0ES3_N6thrust23THRUST_200600_302600_NS6detail15normal_iteratorINS9_10device_ptrIiEEEESE_SE_iNS9_4plusIvEENS9_8equal_toIiEEiEE10hipError_tPvRmT2_T3_T4_T5_mT6_T7_P12ihipStream_tbENKUlT_T0_E_clISt17integral_constantIbLb0EESY_IbLb1EEEEDaSU_SV_EUlSU_E_NS1_11comp_targetILNS1_3genE0ELNS1_11target_archE4294967295ELNS1_3gpuE0ELNS1_3repE0EEENS1_30default_config_static_selectorELNS0_4arch9wavefront6targetE0EEEvT1_.num_named_barrier, 0
	.set _ZN7rocprim17ROCPRIM_400000_NS6detail17trampoline_kernelINS0_14default_configENS1_27scan_by_key_config_selectorIiiEEZZNS1_16scan_by_key_implILNS1_25lookback_scan_determinismE0ELb0ES3_N6thrust23THRUST_200600_302600_NS6detail15normal_iteratorINS9_10device_ptrIiEEEESE_SE_iNS9_4plusIvEENS9_8equal_toIiEEiEE10hipError_tPvRmT2_T3_T4_T5_mT6_T7_P12ihipStream_tbENKUlT_T0_E_clISt17integral_constantIbLb0EESY_IbLb1EEEEDaSU_SV_EUlSU_E_NS1_11comp_targetILNS1_3genE0ELNS1_11target_archE4294967295ELNS1_3gpuE0ELNS1_3repE0EEENS1_30default_config_static_selectorELNS0_4arch9wavefront6targetE0EEEvT1_.private_seg_size, 0
	.set _ZN7rocprim17ROCPRIM_400000_NS6detail17trampoline_kernelINS0_14default_configENS1_27scan_by_key_config_selectorIiiEEZZNS1_16scan_by_key_implILNS1_25lookback_scan_determinismE0ELb0ES3_N6thrust23THRUST_200600_302600_NS6detail15normal_iteratorINS9_10device_ptrIiEEEESE_SE_iNS9_4plusIvEENS9_8equal_toIiEEiEE10hipError_tPvRmT2_T3_T4_T5_mT6_T7_P12ihipStream_tbENKUlT_T0_E_clISt17integral_constantIbLb0EESY_IbLb1EEEEDaSU_SV_EUlSU_E_NS1_11comp_targetILNS1_3genE0ELNS1_11target_archE4294967295ELNS1_3gpuE0ELNS1_3repE0EEENS1_30default_config_static_selectorELNS0_4arch9wavefront6targetE0EEEvT1_.uses_vcc, 1
	.set _ZN7rocprim17ROCPRIM_400000_NS6detail17trampoline_kernelINS0_14default_configENS1_27scan_by_key_config_selectorIiiEEZZNS1_16scan_by_key_implILNS1_25lookback_scan_determinismE0ELb0ES3_N6thrust23THRUST_200600_302600_NS6detail15normal_iteratorINS9_10device_ptrIiEEEESE_SE_iNS9_4plusIvEENS9_8equal_toIiEEiEE10hipError_tPvRmT2_T3_T4_T5_mT6_T7_P12ihipStream_tbENKUlT_T0_E_clISt17integral_constantIbLb0EESY_IbLb1EEEEDaSU_SV_EUlSU_E_NS1_11comp_targetILNS1_3genE0ELNS1_11target_archE4294967295ELNS1_3gpuE0ELNS1_3repE0EEENS1_30default_config_static_selectorELNS0_4arch9wavefront6targetE0EEEvT1_.uses_flat_scratch, 1
	.set _ZN7rocprim17ROCPRIM_400000_NS6detail17trampoline_kernelINS0_14default_configENS1_27scan_by_key_config_selectorIiiEEZZNS1_16scan_by_key_implILNS1_25lookback_scan_determinismE0ELb0ES3_N6thrust23THRUST_200600_302600_NS6detail15normal_iteratorINS9_10device_ptrIiEEEESE_SE_iNS9_4plusIvEENS9_8equal_toIiEEiEE10hipError_tPvRmT2_T3_T4_T5_mT6_T7_P12ihipStream_tbENKUlT_T0_E_clISt17integral_constantIbLb0EESY_IbLb1EEEEDaSU_SV_EUlSU_E_NS1_11comp_targetILNS1_3genE0ELNS1_11target_archE4294967295ELNS1_3gpuE0ELNS1_3repE0EEENS1_30default_config_static_selectorELNS0_4arch9wavefront6targetE0EEEvT1_.has_dyn_sized_stack, 0
	.set _ZN7rocprim17ROCPRIM_400000_NS6detail17trampoline_kernelINS0_14default_configENS1_27scan_by_key_config_selectorIiiEEZZNS1_16scan_by_key_implILNS1_25lookback_scan_determinismE0ELb0ES3_N6thrust23THRUST_200600_302600_NS6detail15normal_iteratorINS9_10device_ptrIiEEEESE_SE_iNS9_4plusIvEENS9_8equal_toIiEEiEE10hipError_tPvRmT2_T3_T4_T5_mT6_T7_P12ihipStream_tbENKUlT_T0_E_clISt17integral_constantIbLb0EESY_IbLb1EEEEDaSU_SV_EUlSU_E_NS1_11comp_targetILNS1_3genE0ELNS1_11target_archE4294967295ELNS1_3gpuE0ELNS1_3repE0EEENS1_30default_config_static_selectorELNS0_4arch9wavefront6targetE0EEEvT1_.has_recursion, 0
	.set _ZN7rocprim17ROCPRIM_400000_NS6detail17trampoline_kernelINS0_14default_configENS1_27scan_by_key_config_selectorIiiEEZZNS1_16scan_by_key_implILNS1_25lookback_scan_determinismE0ELb0ES3_N6thrust23THRUST_200600_302600_NS6detail15normal_iteratorINS9_10device_ptrIiEEEESE_SE_iNS9_4plusIvEENS9_8equal_toIiEEiEE10hipError_tPvRmT2_T3_T4_T5_mT6_T7_P12ihipStream_tbENKUlT_T0_E_clISt17integral_constantIbLb0EESY_IbLb1EEEEDaSU_SV_EUlSU_E_NS1_11comp_targetILNS1_3genE0ELNS1_11target_archE4294967295ELNS1_3gpuE0ELNS1_3repE0EEENS1_30default_config_static_selectorELNS0_4arch9wavefront6targetE0EEEvT1_.has_indirect_call, 0
	.section	.AMDGPU.csdata,"",@progbits
; Kernel info:
; codeLenInByte = 12072
; TotalNumSgprs: 46
; NumVgprs: 60
; ScratchSize: 0
; MemoryBound: 0
; FloatMode: 240
; IeeeMode: 1
; LDSByteSize: 14336 bytes/workgroup (compile time only)
; SGPRBlocks: 0
; VGPRBlocks: 3
; NumSGPRsForWavesPerEU: 46
; NumVGPRsForWavesPerEU: 60
; NamedBarCnt: 0
; Occupancy: 16
; WaveLimiterHint : 1
; COMPUTE_PGM_RSRC2:SCRATCH_EN: 0
; COMPUTE_PGM_RSRC2:USER_SGPR: 2
; COMPUTE_PGM_RSRC2:TRAP_HANDLER: 0
; COMPUTE_PGM_RSRC2:TGID_X_EN: 1
; COMPUTE_PGM_RSRC2:TGID_Y_EN: 0
; COMPUTE_PGM_RSRC2:TGID_Z_EN: 0
; COMPUTE_PGM_RSRC2:TIDIG_COMP_CNT: 0
	.section	.text._ZN7rocprim17ROCPRIM_400000_NS6detail17trampoline_kernelINS0_14default_configENS1_27scan_by_key_config_selectorIiiEEZZNS1_16scan_by_key_implILNS1_25lookback_scan_determinismE0ELb0ES3_N6thrust23THRUST_200600_302600_NS6detail15normal_iteratorINS9_10device_ptrIiEEEESE_SE_iNS9_4plusIvEENS9_8equal_toIiEEiEE10hipError_tPvRmT2_T3_T4_T5_mT6_T7_P12ihipStream_tbENKUlT_T0_E_clISt17integral_constantIbLb0EESY_IbLb1EEEEDaSU_SV_EUlSU_E_NS1_11comp_targetILNS1_3genE10ELNS1_11target_archE1201ELNS1_3gpuE5ELNS1_3repE0EEENS1_30default_config_static_selectorELNS0_4arch9wavefront6targetE0EEEvT1_,"axG",@progbits,_ZN7rocprim17ROCPRIM_400000_NS6detail17trampoline_kernelINS0_14default_configENS1_27scan_by_key_config_selectorIiiEEZZNS1_16scan_by_key_implILNS1_25lookback_scan_determinismE0ELb0ES3_N6thrust23THRUST_200600_302600_NS6detail15normal_iteratorINS9_10device_ptrIiEEEESE_SE_iNS9_4plusIvEENS9_8equal_toIiEEiEE10hipError_tPvRmT2_T3_T4_T5_mT6_T7_P12ihipStream_tbENKUlT_T0_E_clISt17integral_constantIbLb0EESY_IbLb1EEEEDaSU_SV_EUlSU_E_NS1_11comp_targetILNS1_3genE10ELNS1_11target_archE1201ELNS1_3gpuE5ELNS1_3repE0EEENS1_30default_config_static_selectorELNS0_4arch9wavefront6targetE0EEEvT1_,comdat
	.protected	_ZN7rocprim17ROCPRIM_400000_NS6detail17trampoline_kernelINS0_14default_configENS1_27scan_by_key_config_selectorIiiEEZZNS1_16scan_by_key_implILNS1_25lookback_scan_determinismE0ELb0ES3_N6thrust23THRUST_200600_302600_NS6detail15normal_iteratorINS9_10device_ptrIiEEEESE_SE_iNS9_4plusIvEENS9_8equal_toIiEEiEE10hipError_tPvRmT2_T3_T4_T5_mT6_T7_P12ihipStream_tbENKUlT_T0_E_clISt17integral_constantIbLb0EESY_IbLb1EEEEDaSU_SV_EUlSU_E_NS1_11comp_targetILNS1_3genE10ELNS1_11target_archE1201ELNS1_3gpuE5ELNS1_3repE0EEENS1_30default_config_static_selectorELNS0_4arch9wavefront6targetE0EEEvT1_ ; -- Begin function _ZN7rocprim17ROCPRIM_400000_NS6detail17trampoline_kernelINS0_14default_configENS1_27scan_by_key_config_selectorIiiEEZZNS1_16scan_by_key_implILNS1_25lookback_scan_determinismE0ELb0ES3_N6thrust23THRUST_200600_302600_NS6detail15normal_iteratorINS9_10device_ptrIiEEEESE_SE_iNS9_4plusIvEENS9_8equal_toIiEEiEE10hipError_tPvRmT2_T3_T4_T5_mT6_T7_P12ihipStream_tbENKUlT_T0_E_clISt17integral_constantIbLb0EESY_IbLb1EEEEDaSU_SV_EUlSU_E_NS1_11comp_targetILNS1_3genE10ELNS1_11target_archE1201ELNS1_3gpuE5ELNS1_3repE0EEENS1_30default_config_static_selectorELNS0_4arch9wavefront6targetE0EEEvT1_
	.globl	_ZN7rocprim17ROCPRIM_400000_NS6detail17trampoline_kernelINS0_14default_configENS1_27scan_by_key_config_selectorIiiEEZZNS1_16scan_by_key_implILNS1_25lookback_scan_determinismE0ELb0ES3_N6thrust23THRUST_200600_302600_NS6detail15normal_iteratorINS9_10device_ptrIiEEEESE_SE_iNS9_4plusIvEENS9_8equal_toIiEEiEE10hipError_tPvRmT2_T3_T4_T5_mT6_T7_P12ihipStream_tbENKUlT_T0_E_clISt17integral_constantIbLb0EESY_IbLb1EEEEDaSU_SV_EUlSU_E_NS1_11comp_targetILNS1_3genE10ELNS1_11target_archE1201ELNS1_3gpuE5ELNS1_3repE0EEENS1_30default_config_static_selectorELNS0_4arch9wavefront6targetE0EEEvT1_
	.p2align	8
	.type	_ZN7rocprim17ROCPRIM_400000_NS6detail17trampoline_kernelINS0_14default_configENS1_27scan_by_key_config_selectorIiiEEZZNS1_16scan_by_key_implILNS1_25lookback_scan_determinismE0ELb0ES3_N6thrust23THRUST_200600_302600_NS6detail15normal_iteratorINS9_10device_ptrIiEEEESE_SE_iNS9_4plusIvEENS9_8equal_toIiEEiEE10hipError_tPvRmT2_T3_T4_T5_mT6_T7_P12ihipStream_tbENKUlT_T0_E_clISt17integral_constantIbLb0EESY_IbLb1EEEEDaSU_SV_EUlSU_E_NS1_11comp_targetILNS1_3genE10ELNS1_11target_archE1201ELNS1_3gpuE5ELNS1_3repE0EEENS1_30default_config_static_selectorELNS0_4arch9wavefront6targetE0EEEvT1_,@function
_ZN7rocprim17ROCPRIM_400000_NS6detail17trampoline_kernelINS0_14default_configENS1_27scan_by_key_config_selectorIiiEEZZNS1_16scan_by_key_implILNS1_25lookback_scan_determinismE0ELb0ES3_N6thrust23THRUST_200600_302600_NS6detail15normal_iteratorINS9_10device_ptrIiEEEESE_SE_iNS9_4plusIvEENS9_8equal_toIiEEiEE10hipError_tPvRmT2_T3_T4_T5_mT6_T7_P12ihipStream_tbENKUlT_T0_E_clISt17integral_constantIbLb0EESY_IbLb1EEEEDaSU_SV_EUlSU_E_NS1_11comp_targetILNS1_3genE10ELNS1_11target_archE1201ELNS1_3gpuE5ELNS1_3repE0EEENS1_30default_config_static_selectorELNS0_4arch9wavefront6targetE0EEEvT1_: ; @_ZN7rocprim17ROCPRIM_400000_NS6detail17trampoline_kernelINS0_14default_configENS1_27scan_by_key_config_selectorIiiEEZZNS1_16scan_by_key_implILNS1_25lookback_scan_determinismE0ELb0ES3_N6thrust23THRUST_200600_302600_NS6detail15normal_iteratorINS9_10device_ptrIiEEEESE_SE_iNS9_4plusIvEENS9_8equal_toIiEEiEE10hipError_tPvRmT2_T3_T4_T5_mT6_T7_P12ihipStream_tbENKUlT_T0_E_clISt17integral_constantIbLb0EESY_IbLb1EEEEDaSU_SV_EUlSU_E_NS1_11comp_targetILNS1_3genE10ELNS1_11target_archE1201ELNS1_3gpuE5ELNS1_3repE0EEENS1_30default_config_static_selectorELNS0_4arch9wavefront6targetE0EEEvT1_
; %bb.0:
	.section	.rodata,"a",@progbits
	.p2align	6, 0x0
	.amdhsa_kernel _ZN7rocprim17ROCPRIM_400000_NS6detail17trampoline_kernelINS0_14default_configENS1_27scan_by_key_config_selectorIiiEEZZNS1_16scan_by_key_implILNS1_25lookback_scan_determinismE0ELb0ES3_N6thrust23THRUST_200600_302600_NS6detail15normal_iteratorINS9_10device_ptrIiEEEESE_SE_iNS9_4plusIvEENS9_8equal_toIiEEiEE10hipError_tPvRmT2_T3_T4_T5_mT6_T7_P12ihipStream_tbENKUlT_T0_E_clISt17integral_constantIbLb0EESY_IbLb1EEEEDaSU_SV_EUlSU_E_NS1_11comp_targetILNS1_3genE10ELNS1_11target_archE1201ELNS1_3gpuE5ELNS1_3repE0EEENS1_30default_config_static_selectorELNS0_4arch9wavefront6targetE0EEEvT1_
		.amdhsa_group_segment_fixed_size 0
		.amdhsa_private_segment_fixed_size 0
		.amdhsa_kernarg_size 112
		.amdhsa_user_sgpr_count 2
		.amdhsa_user_sgpr_dispatch_ptr 0
		.amdhsa_user_sgpr_queue_ptr 0
		.amdhsa_user_sgpr_kernarg_segment_ptr 1
		.amdhsa_user_sgpr_dispatch_id 0
		.amdhsa_user_sgpr_kernarg_preload_length 0
		.amdhsa_user_sgpr_kernarg_preload_offset 0
		.amdhsa_user_sgpr_private_segment_size 0
		.amdhsa_wavefront_size32 1
		.amdhsa_uses_dynamic_stack 0
		.amdhsa_enable_private_segment 0
		.amdhsa_system_sgpr_workgroup_id_x 1
		.amdhsa_system_sgpr_workgroup_id_y 0
		.amdhsa_system_sgpr_workgroup_id_z 0
		.amdhsa_system_sgpr_workgroup_info 0
		.amdhsa_system_vgpr_workitem_id 0
		.amdhsa_next_free_vgpr 1
		.amdhsa_next_free_sgpr 1
		.amdhsa_named_barrier_count 0
		.amdhsa_reserve_vcc 0
		.amdhsa_float_round_mode_32 0
		.amdhsa_float_round_mode_16_64 0
		.amdhsa_float_denorm_mode_32 3
		.amdhsa_float_denorm_mode_16_64 3
		.amdhsa_fp16_overflow 0
		.amdhsa_memory_ordered 1
		.amdhsa_forward_progress 1
		.amdhsa_inst_pref_size 0
		.amdhsa_round_robin_scheduling 0
		.amdhsa_exception_fp_ieee_invalid_op 0
		.amdhsa_exception_fp_denorm_src 0
		.amdhsa_exception_fp_ieee_div_zero 0
		.amdhsa_exception_fp_ieee_overflow 0
		.amdhsa_exception_fp_ieee_underflow 0
		.amdhsa_exception_fp_ieee_inexact 0
		.amdhsa_exception_int_div_zero 0
	.end_amdhsa_kernel
	.section	.text._ZN7rocprim17ROCPRIM_400000_NS6detail17trampoline_kernelINS0_14default_configENS1_27scan_by_key_config_selectorIiiEEZZNS1_16scan_by_key_implILNS1_25lookback_scan_determinismE0ELb0ES3_N6thrust23THRUST_200600_302600_NS6detail15normal_iteratorINS9_10device_ptrIiEEEESE_SE_iNS9_4plusIvEENS9_8equal_toIiEEiEE10hipError_tPvRmT2_T3_T4_T5_mT6_T7_P12ihipStream_tbENKUlT_T0_E_clISt17integral_constantIbLb0EESY_IbLb1EEEEDaSU_SV_EUlSU_E_NS1_11comp_targetILNS1_3genE10ELNS1_11target_archE1201ELNS1_3gpuE5ELNS1_3repE0EEENS1_30default_config_static_selectorELNS0_4arch9wavefront6targetE0EEEvT1_,"axG",@progbits,_ZN7rocprim17ROCPRIM_400000_NS6detail17trampoline_kernelINS0_14default_configENS1_27scan_by_key_config_selectorIiiEEZZNS1_16scan_by_key_implILNS1_25lookback_scan_determinismE0ELb0ES3_N6thrust23THRUST_200600_302600_NS6detail15normal_iteratorINS9_10device_ptrIiEEEESE_SE_iNS9_4plusIvEENS9_8equal_toIiEEiEE10hipError_tPvRmT2_T3_T4_T5_mT6_T7_P12ihipStream_tbENKUlT_T0_E_clISt17integral_constantIbLb0EESY_IbLb1EEEEDaSU_SV_EUlSU_E_NS1_11comp_targetILNS1_3genE10ELNS1_11target_archE1201ELNS1_3gpuE5ELNS1_3repE0EEENS1_30default_config_static_selectorELNS0_4arch9wavefront6targetE0EEEvT1_,comdat
.Lfunc_end228:
	.size	_ZN7rocprim17ROCPRIM_400000_NS6detail17trampoline_kernelINS0_14default_configENS1_27scan_by_key_config_selectorIiiEEZZNS1_16scan_by_key_implILNS1_25lookback_scan_determinismE0ELb0ES3_N6thrust23THRUST_200600_302600_NS6detail15normal_iteratorINS9_10device_ptrIiEEEESE_SE_iNS9_4plusIvEENS9_8equal_toIiEEiEE10hipError_tPvRmT2_T3_T4_T5_mT6_T7_P12ihipStream_tbENKUlT_T0_E_clISt17integral_constantIbLb0EESY_IbLb1EEEEDaSU_SV_EUlSU_E_NS1_11comp_targetILNS1_3genE10ELNS1_11target_archE1201ELNS1_3gpuE5ELNS1_3repE0EEENS1_30default_config_static_selectorELNS0_4arch9wavefront6targetE0EEEvT1_, .Lfunc_end228-_ZN7rocprim17ROCPRIM_400000_NS6detail17trampoline_kernelINS0_14default_configENS1_27scan_by_key_config_selectorIiiEEZZNS1_16scan_by_key_implILNS1_25lookback_scan_determinismE0ELb0ES3_N6thrust23THRUST_200600_302600_NS6detail15normal_iteratorINS9_10device_ptrIiEEEESE_SE_iNS9_4plusIvEENS9_8equal_toIiEEiEE10hipError_tPvRmT2_T3_T4_T5_mT6_T7_P12ihipStream_tbENKUlT_T0_E_clISt17integral_constantIbLb0EESY_IbLb1EEEEDaSU_SV_EUlSU_E_NS1_11comp_targetILNS1_3genE10ELNS1_11target_archE1201ELNS1_3gpuE5ELNS1_3repE0EEENS1_30default_config_static_selectorELNS0_4arch9wavefront6targetE0EEEvT1_
                                        ; -- End function
	.set _ZN7rocprim17ROCPRIM_400000_NS6detail17trampoline_kernelINS0_14default_configENS1_27scan_by_key_config_selectorIiiEEZZNS1_16scan_by_key_implILNS1_25lookback_scan_determinismE0ELb0ES3_N6thrust23THRUST_200600_302600_NS6detail15normal_iteratorINS9_10device_ptrIiEEEESE_SE_iNS9_4plusIvEENS9_8equal_toIiEEiEE10hipError_tPvRmT2_T3_T4_T5_mT6_T7_P12ihipStream_tbENKUlT_T0_E_clISt17integral_constantIbLb0EESY_IbLb1EEEEDaSU_SV_EUlSU_E_NS1_11comp_targetILNS1_3genE10ELNS1_11target_archE1201ELNS1_3gpuE5ELNS1_3repE0EEENS1_30default_config_static_selectorELNS0_4arch9wavefront6targetE0EEEvT1_.num_vgpr, 0
	.set _ZN7rocprim17ROCPRIM_400000_NS6detail17trampoline_kernelINS0_14default_configENS1_27scan_by_key_config_selectorIiiEEZZNS1_16scan_by_key_implILNS1_25lookback_scan_determinismE0ELb0ES3_N6thrust23THRUST_200600_302600_NS6detail15normal_iteratorINS9_10device_ptrIiEEEESE_SE_iNS9_4plusIvEENS9_8equal_toIiEEiEE10hipError_tPvRmT2_T3_T4_T5_mT6_T7_P12ihipStream_tbENKUlT_T0_E_clISt17integral_constantIbLb0EESY_IbLb1EEEEDaSU_SV_EUlSU_E_NS1_11comp_targetILNS1_3genE10ELNS1_11target_archE1201ELNS1_3gpuE5ELNS1_3repE0EEENS1_30default_config_static_selectorELNS0_4arch9wavefront6targetE0EEEvT1_.num_agpr, 0
	.set _ZN7rocprim17ROCPRIM_400000_NS6detail17trampoline_kernelINS0_14default_configENS1_27scan_by_key_config_selectorIiiEEZZNS1_16scan_by_key_implILNS1_25lookback_scan_determinismE0ELb0ES3_N6thrust23THRUST_200600_302600_NS6detail15normal_iteratorINS9_10device_ptrIiEEEESE_SE_iNS9_4plusIvEENS9_8equal_toIiEEiEE10hipError_tPvRmT2_T3_T4_T5_mT6_T7_P12ihipStream_tbENKUlT_T0_E_clISt17integral_constantIbLb0EESY_IbLb1EEEEDaSU_SV_EUlSU_E_NS1_11comp_targetILNS1_3genE10ELNS1_11target_archE1201ELNS1_3gpuE5ELNS1_3repE0EEENS1_30default_config_static_selectorELNS0_4arch9wavefront6targetE0EEEvT1_.numbered_sgpr, 0
	.set _ZN7rocprim17ROCPRIM_400000_NS6detail17trampoline_kernelINS0_14default_configENS1_27scan_by_key_config_selectorIiiEEZZNS1_16scan_by_key_implILNS1_25lookback_scan_determinismE0ELb0ES3_N6thrust23THRUST_200600_302600_NS6detail15normal_iteratorINS9_10device_ptrIiEEEESE_SE_iNS9_4plusIvEENS9_8equal_toIiEEiEE10hipError_tPvRmT2_T3_T4_T5_mT6_T7_P12ihipStream_tbENKUlT_T0_E_clISt17integral_constantIbLb0EESY_IbLb1EEEEDaSU_SV_EUlSU_E_NS1_11comp_targetILNS1_3genE10ELNS1_11target_archE1201ELNS1_3gpuE5ELNS1_3repE0EEENS1_30default_config_static_selectorELNS0_4arch9wavefront6targetE0EEEvT1_.num_named_barrier, 0
	.set _ZN7rocprim17ROCPRIM_400000_NS6detail17trampoline_kernelINS0_14default_configENS1_27scan_by_key_config_selectorIiiEEZZNS1_16scan_by_key_implILNS1_25lookback_scan_determinismE0ELb0ES3_N6thrust23THRUST_200600_302600_NS6detail15normal_iteratorINS9_10device_ptrIiEEEESE_SE_iNS9_4plusIvEENS9_8equal_toIiEEiEE10hipError_tPvRmT2_T3_T4_T5_mT6_T7_P12ihipStream_tbENKUlT_T0_E_clISt17integral_constantIbLb0EESY_IbLb1EEEEDaSU_SV_EUlSU_E_NS1_11comp_targetILNS1_3genE10ELNS1_11target_archE1201ELNS1_3gpuE5ELNS1_3repE0EEENS1_30default_config_static_selectorELNS0_4arch9wavefront6targetE0EEEvT1_.private_seg_size, 0
	.set _ZN7rocprim17ROCPRIM_400000_NS6detail17trampoline_kernelINS0_14default_configENS1_27scan_by_key_config_selectorIiiEEZZNS1_16scan_by_key_implILNS1_25lookback_scan_determinismE0ELb0ES3_N6thrust23THRUST_200600_302600_NS6detail15normal_iteratorINS9_10device_ptrIiEEEESE_SE_iNS9_4plusIvEENS9_8equal_toIiEEiEE10hipError_tPvRmT2_T3_T4_T5_mT6_T7_P12ihipStream_tbENKUlT_T0_E_clISt17integral_constantIbLb0EESY_IbLb1EEEEDaSU_SV_EUlSU_E_NS1_11comp_targetILNS1_3genE10ELNS1_11target_archE1201ELNS1_3gpuE5ELNS1_3repE0EEENS1_30default_config_static_selectorELNS0_4arch9wavefront6targetE0EEEvT1_.uses_vcc, 0
	.set _ZN7rocprim17ROCPRIM_400000_NS6detail17trampoline_kernelINS0_14default_configENS1_27scan_by_key_config_selectorIiiEEZZNS1_16scan_by_key_implILNS1_25lookback_scan_determinismE0ELb0ES3_N6thrust23THRUST_200600_302600_NS6detail15normal_iteratorINS9_10device_ptrIiEEEESE_SE_iNS9_4plusIvEENS9_8equal_toIiEEiEE10hipError_tPvRmT2_T3_T4_T5_mT6_T7_P12ihipStream_tbENKUlT_T0_E_clISt17integral_constantIbLb0EESY_IbLb1EEEEDaSU_SV_EUlSU_E_NS1_11comp_targetILNS1_3genE10ELNS1_11target_archE1201ELNS1_3gpuE5ELNS1_3repE0EEENS1_30default_config_static_selectorELNS0_4arch9wavefront6targetE0EEEvT1_.uses_flat_scratch, 0
	.set _ZN7rocprim17ROCPRIM_400000_NS6detail17trampoline_kernelINS0_14default_configENS1_27scan_by_key_config_selectorIiiEEZZNS1_16scan_by_key_implILNS1_25lookback_scan_determinismE0ELb0ES3_N6thrust23THRUST_200600_302600_NS6detail15normal_iteratorINS9_10device_ptrIiEEEESE_SE_iNS9_4plusIvEENS9_8equal_toIiEEiEE10hipError_tPvRmT2_T3_T4_T5_mT6_T7_P12ihipStream_tbENKUlT_T0_E_clISt17integral_constantIbLb0EESY_IbLb1EEEEDaSU_SV_EUlSU_E_NS1_11comp_targetILNS1_3genE10ELNS1_11target_archE1201ELNS1_3gpuE5ELNS1_3repE0EEENS1_30default_config_static_selectorELNS0_4arch9wavefront6targetE0EEEvT1_.has_dyn_sized_stack, 0
	.set _ZN7rocprim17ROCPRIM_400000_NS6detail17trampoline_kernelINS0_14default_configENS1_27scan_by_key_config_selectorIiiEEZZNS1_16scan_by_key_implILNS1_25lookback_scan_determinismE0ELb0ES3_N6thrust23THRUST_200600_302600_NS6detail15normal_iteratorINS9_10device_ptrIiEEEESE_SE_iNS9_4plusIvEENS9_8equal_toIiEEiEE10hipError_tPvRmT2_T3_T4_T5_mT6_T7_P12ihipStream_tbENKUlT_T0_E_clISt17integral_constantIbLb0EESY_IbLb1EEEEDaSU_SV_EUlSU_E_NS1_11comp_targetILNS1_3genE10ELNS1_11target_archE1201ELNS1_3gpuE5ELNS1_3repE0EEENS1_30default_config_static_selectorELNS0_4arch9wavefront6targetE0EEEvT1_.has_recursion, 0
	.set _ZN7rocprim17ROCPRIM_400000_NS6detail17trampoline_kernelINS0_14default_configENS1_27scan_by_key_config_selectorIiiEEZZNS1_16scan_by_key_implILNS1_25lookback_scan_determinismE0ELb0ES3_N6thrust23THRUST_200600_302600_NS6detail15normal_iteratorINS9_10device_ptrIiEEEESE_SE_iNS9_4plusIvEENS9_8equal_toIiEEiEE10hipError_tPvRmT2_T3_T4_T5_mT6_T7_P12ihipStream_tbENKUlT_T0_E_clISt17integral_constantIbLb0EESY_IbLb1EEEEDaSU_SV_EUlSU_E_NS1_11comp_targetILNS1_3genE10ELNS1_11target_archE1201ELNS1_3gpuE5ELNS1_3repE0EEENS1_30default_config_static_selectorELNS0_4arch9wavefront6targetE0EEEvT1_.has_indirect_call, 0
	.section	.AMDGPU.csdata,"",@progbits
; Kernel info:
; codeLenInByte = 0
; TotalNumSgprs: 0
; NumVgprs: 0
; ScratchSize: 0
; MemoryBound: 0
; FloatMode: 240
; IeeeMode: 1
; LDSByteSize: 0 bytes/workgroup (compile time only)
; SGPRBlocks: 0
; VGPRBlocks: 0
; NumSGPRsForWavesPerEU: 1
; NumVGPRsForWavesPerEU: 1
; NamedBarCnt: 0
; Occupancy: 16
; WaveLimiterHint : 0
; COMPUTE_PGM_RSRC2:SCRATCH_EN: 0
; COMPUTE_PGM_RSRC2:USER_SGPR: 2
; COMPUTE_PGM_RSRC2:TRAP_HANDLER: 0
; COMPUTE_PGM_RSRC2:TGID_X_EN: 1
; COMPUTE_PGM_RSRC2:TGID_Y_EN: 0
; COMPUTE_PGM_RSRC2:TGID_Z_EN: 0
; COMPUTE_PGM_RSRC2:TIDIG_COMP_CNT: 0
	.section	.text._ZN7rocprim17ROCPRIM_400000_NS6detail17trampoline_kernelINS0_14default_configENS1_27scan_by_key_config_selectorIiiEEZZNS1_16scan_by_key_implILNS1_25lookback_scan_determinismE0ELb0ES3_N6thrust23THRUST_200600_302600_NS6detail15normal_iteratorINS9_10device_ptrIiEEEESE_SE_iNS9_4plusIvEENS9_8equal_toIiEEiEE10hipError_tPvRmT2_T3_T4_T5_mT6_T7_P12ihipStream_tbENKUlT_T0_E_clISt17integral_constantIbLb0EESY_IbLb1EEEEDaSU_SV_EUlSU_E_NS1_11comp_targetILNS1_3genE5ELNS1_11target_archE942ELNS1_3gpuE9ELNS1_3repE0EEENS1_30default_config_static_selectorELNS0_4arch9wavefront6targetE0EEEvT1_,"axG",@progbits,_ZN7rocprim17ROCPRIM_400000_NS6detail17trampoline_kernelINS0_14default_configENS1_27scan_by_key_config_selectorIiiEEZZNS1_16scan_by_key_implILNS1_25lookback_scan_determinismE0ELb0ES3_N6thrust23THRUST_200600_302600_NS6detail15normal_iteratorINS9_10device_ptrIiEEEESE_SE_iNS9_4plusIvEENS9_8equal_toIiEEiEE10hipError_tPvRmT2_T3_T4_T5_mT6_T7_P12ihipStream_tbENKUlT_T0_E_clISt17integral_constantIbLb0EESY_IbLb1EEEEDaSU_SV_EUlSU_E_NS1_11comp_targetILNS1_3genE5ELNS1_11target_archE942ELNS1_3gpuE9ELNS1_3repE0EEENS1_30default_config_static_selectorELNS0_4arch9wavefront6targetE0EEEvT1_,comdat
	.protected	_ZN7rocprim17ROCPRIM_400000_NS6detail17trampoline_kernelINS0_14default_configENS1_27scan_by_key_config_selectorIiiEEZZNS1_16scan_by_key_implILNS1_25lookback_scan_determinismE0ELb0ES3_N6thrust23THRUST_200600_302600_NS6detail15normal_iteratorINS9_10device_ptrIiEEEESE_SE_iNS9_4plusIvEENS9_8equal_toIiEEiEE10hipError_tPvRmT2_T3_T4_T5_mT6_T7_P12ihipStream_tbENKUlT_T0_E_clISt17integral_constantIbLb0EESY_IbLb1EEEEDaSU_SV_EUlSU_E_NS1_11comp_targetILNS1_3genE5ELNS1_11target_archE942ELNS1_3gpuE9ELNS1_3repE0EEENS1_30default_config_static_selectorELNS0_4arch9wavefront6targetE0EEEvT1_ ; -- Begin function _ZN7rocprim17ROCPRIM_400000_NS6detail17trampoline_kernelINS0_14default_configENS1_27scan_by_key_config_selectorIiiEEZZNS1_16scan_by_key_implILNS1_25lookback_scan_determinismE0ELb0ES3_N6thrust23THRUST_200600_302600_NS6detail15normal_iteratorINS9_10device_ptrIiEEEESE_SE_iNS9_4plusIvEENS9_8equal_toIiEEiEE10hipError_tPvRmT2_T3_T4_T5_mT6_T7_P12ihipStream_tbENKUlT_T0_E_clISt17integral_constantIbLb0EESY_IbLb1EEEEDaSU_SV_EUlSU_E_NS1_11comp_targetILNS1_3genE5ELNS1_11target_archE942ELNS1_3gpuE9ELNS1_3repE0EEENS1_30default_config_static_selectorELNS0_4arch9wavefront6targetE0EEEvT1_
	.globl	_ZN7rocprim17ROCPRIM_400000_NS6detail17trampoline_kernelINS0_14default_configENS1_27scan_by_key_config_selectorIiiEEZZNS1_16scan_by_key_implILNS1_25lookback_scan_determinismE0ELb0ES3_N6thrust23THRUST_200600_302600_NS6detail15normal_iteratorINS9_10device_ptrIiEEEESE_SE_iNS9_4plusIvEENS9_8equal_toIiEEiEE10hipError_tPvRmT2_T3_T4_T5_mT6_T7_P12ihipStream_tbENKUlT_T0_E_clISt17integral_constantIbLb0EESY_IbLb1EEEEDaSU_SV_EUlSU_E_NS1_11comp_targetILNS1_3genE5ELNS1_11target_archE942ELNS1_3gpuE9ELNS1_3repE0EEENS1_30default_config_static_selectorELNS0_4arch9wavefront6targetE0EEEvT1_
	.p2align	8
	.type	_ZN7rocprim17ROCPRIM_400000_NS6detail17trampoline_kernelINS0_14default_configENS1_27scan_by_key_config_selectorIiiEEZZNS1_16scan_by_key_implILNS1_25lookback_scan_determinismE0ELb0ES3_N6thrust23THRUST_200600_302600_NS6detail15normal_iteratorINS9_10device_ptrIiEEEESE_SE_iNS9_4plusIvEENS9_8equal_toIiEEiEE10hipError_tPvRmT2_T3_T4_T5_mT6_T7_P12ihipStream_tbENKUlT_T0_E_clISt17integral_constantIbLb0EESY_IbLb1EEEEDaSU_SV_EUlSU_E_NS1_11comp_targetILNS1_3genE5ELNS1_11target_archE942ELNS1_3gpuE9ELNS1_3repE0EEENS1_30default_config_static_selectorELNS0_4arch9wavefront6targetE0EEEvT1_,@function
_ZN7rocprim17ROCPRIM_400000_NS6detail17trampoline_kernelINS0_14default_configENS1_27scan_by_key_config_selectorIiiEEZZNS1_16scan_by_key_implILNS1_25lookback_scan_determinismE0ELb0ES3_N6thrust23THRUST_200600_302600_NS6detail15normal_iteratorINS9_10device_ptrIiEEEESE_SE_iNS9_4plusIvEENS9_8equal_toIiEEiEE10hipError_tPvRmT2_T3_T4_T5_mT6_T7_P12ihipStream_tbENKUlT_T0_E_clISt17integral_constantIbLb0EESY_IbLb1EEEEDaSU_SV_EUlSU_E_NS1_11comp_targetILNS1_3genE5ELNS1_11target_archE942ELNS1_3gpuE9ELNS1_3repE0EEENS1_30default_config_static_selectorELNS0_4arch9wavefront6targetE0EEEvT1_: ; @_ZN7rocprim17ROCPRIM_400000_NS6detail17trampoline_kernelINS0_14default_configENS1_27scan_by_key_config_selectorIiiEEZZNS1_16scan_by_key_implILNS1_25lookback_scan_determinismE0ELb0ES3_N6thrust23THRUST_200600_302600_NS6detail15normal_iteratorINS9_10device_ptrIiEEEESE_SE_iNS9_4plusIvEENS9_8equal_toIiEEiEE10hipError_tPvRmT2_T3_T4_T5_mT6_T7_P12ihipStream_tbENKUlT_T0_E_clISt17integral_constantIbLb0EESY_IbLb1EEEEDaSU_SV_EUlSU_E_NS1_11comp_targetILNS1_3genE5ELNS1_11target_archE942ELNS1_3gpuE9ELNS1_3repE0EEENS1_30default_config_static_selectorELNS0_4arch9wavefront6targetE0EEEvT1_
; %bb.0:
	.section	.rodata,"a",@progbits
	.p2align	6, 0x0
	.amdhsa_kernel _ZN7rocprim17ROCPRIM_400000_NS6detail17trampoline_kernelINS0_14default_configENS1_27scan_by_key_config_selectorIiiEEZZNS1_16scan_by_key_implILNS1_25lookback_scan_determinismE0ELb0ES3_N6thrust23THRUST_200600_302600_NS6detail15normal_iteratorINS9_10device_ptrIiEEEESE_SE_iNS9_4plusIvEENS9_8equal_toIiEEiEE10hipError_tPvRmT2_T3_T4_T5_mT6_T7_P12ihipStream_tbENKUlT_T0_E_clISt17integral_constantIbLb0EESY_IbLb1EEEEDaSU_SV_EUlSU_E_NS1_11comp_targetILNS1_3genE5ELNS1_11target_archE942ELNS1_3gpuE9ELNS1_3repE0EEENS1_30default_config_static_selectorELNS0_4arch9wavefront6targetE0EEEvT1_
		.amdhsa_group_segment_fixed_size 0
		.amdhsa_private_segment_fixed_size 0
		.amdhsa_kernarg_size 112
		.amdhsa_user_sgpr_count 2
		.amdhsa_user_sgpr_dispatch_ptr 0
		.amdhsa_user_sgpr_queue_ptr 0
		.amdhsa_user_sgpr_kernarg_segment_ptr 1
		.amdhsa_user_sgpr_dispatch_id 0
		.amdhsa_user_sgpr_kernarg_preload_length 0
		.amdhsa_user_sgpr_kernarg_preload_offset 0
		.amdhsa_user_sgpr_private_segment_size 0
		.amdhsa_wavefront_size32 1
		.amdhsa_uses_dynamic_stack 0
		.amdhsa_enable_private_segment 0
		.amdhsa_system_sgpr_workgroup_id_x 1
		.amdhsa_system_sgpr_workgroup_id_y 0
		.amdhsa_system_sgpr_workgroup_id_z 0
		.amdhsa_system_sgpr_workgroup_info 0
		.amdhsa_system_vgpr_workitem_id 0
		.amdhsa_next_free_vgpr 1
		.amdhsa_next_free_sgpr 1
		.amdhsa_named_barrier_count 0
		.amdhsa_reserve_vcc 0
		.amdhsa_float_round_mode_32 0
		.amdhsa_float_round_mode_16_64 0
		.amdhsa_float_denorm_mode_32 3
		.amdhsa_float_denorm_mode_16_64 3
		.amdhsa_fp16_overflow 0
		.amdhsa_memory_ordered 1
		.amdhsa_forward_progress 1
		.amdhsa_inst_pref_size 0
		.amdhsa_round_robin_scheduling 0
		.amdhsa_exception_fp_ieee_invalid_op 0
		.amdhsa_exception_fp_denorm_src 0
		.amdhsa_exception_fp_ieee_div_zero 0
		.amdhsa_exception_fp_ieee_overflow 0
		.amdhsa_exception_fp_ieee_underflow 0
		.amdhsa_exception_fp_ieee_inexact 0
		.amdhsa_exception_int_div_zero 0
	.end_amdhsa_kernel
	.section	.text._ZN7rocprim17ROCPRIM_400000_NS6detail17trampoline_kernelINS0_14default_configENS1_27scan_by_key_config_selectorIiiEEZZNS1_16scan_by_key_implILNS1_25lookback_scan_determinismE0ELb0ES3_N6thrust23THRUST_200600_302600_NS6detail15normal_iteratorINS9_10device_ptrIiEEEESE_SE_iNS9_4plusIvEENS9_8equal_toIiEEiEE10hipError_tPvRmT2_T3_T4_T5_mT6_T7_P12ihipStream_tbENKUlT_T0_E_clISt17integral_constantIbLb0EESY_IbLb1EEEEDaSU_SV_EUlSU_E_NS1_11comp_targetILNS1_3genE5ELNS1_11target_archE942ELNS1_3gpuE9ELNS1_3repE0EEENS1_30default_config_static_selectorELNS0_4arch9wavefront6targetE0EEEvT1_,"axG",@progbits,_ZN7rocprim17ROCPRIM_400000_NS6detail17trampoline_kernelINS0_14default_configENS1_27scan_by_key_config_selectorIiiEEZZNS1_16scan_by_key_implILNS1_25lookback_scan_determinismE0ELb0ES3_N6thrust23THRUST_200600_302600_NS6detail15normal_iteratorINS9_10device_ptrIiEEEESE_SE_iNS9_4plusIvEENS9_8equal_toIiEEiEE10hipError_tPvRmT2_T3_T4_T5_mT6_T7_P12ihipStream_tbENKUlT_T0_E_clISt17integral_constantIbLb0EESY_IbLb1EEEEDaSU_SV_EUlSU_E_NS1_11comp_targetILNS1_3genE5ELNS1_11target_archE942ELNS1_3gpuE9ELNS1_3repE0EEENS1_30default_config_static_selectorELNS0_4arch9wavefront6targetE0EEEvT1_,comdat
.Lfunc_end229:
	.size	_ZN7rocprim17ROCPRIM_400000_NS6detail17trampoline_kernelINS0_14default_configENS1_27scan_by_key_config_selectorIiiEEZZNS1_16scan_by_key_implILNS1_25lookback_scan_determinismE0ELb0ES3_N6thrust23THRUST_200600_302600_NS6detail15normal_iteratorINS9_10device_ptrIiEEEESE_SE_iNS9_4plusIvEENS9_8equal_toIiEEiEE10hipError_tPvRmT2_T3_T4_T5_mT6_T7_P12ihipStream_tbENKUlT_T0_E_clISt17integral_constantIbLb0EESY_IbLb1EEEEDaSU_SV_EUlSU_E_NS1_11comp_targetILNS1_3genE5ELNS1_11target_archE942ELNS1_3gpuE9ELNS1_3repE0EEENS1_30default_config_static_selectorELNS0_4arch9wavefront6targetE0EEEvT1_, .Lfunc_end229-_ZN7rocprim17ROCPRIM_400000_NS6detail17trampoline_kernelINS0_14default_configENS1_27scan_by_key_config_selectorIiiEEZZNS1_16scan_by_key_implILNS1_25lookback_scan_determinismE0ELb0ES3_N6thrust23THRUST_200600_302600_NS6detail15normal_iteratorINS9_10device_ptrIiEEEESE_SE_iNS9_4plusIvEENS9_8equal_toIiEEiEE10hipError_tPvRmT2_T3_T4_T5_mT6_T7_P12ihipStream_tbENKUlT_T0_E_clISt17integral_constantIbLb0EESY_IbLb1EEEEDaSU_SV_EUlSU_E_NS1_11comp_targetILNS1_3genE5ELNS1_11target_archE942ELNS1_3gpuE9ELNS1_3repE0EEENS1_30default_config_static_selectorELNS0_4arch9wavefront6targetE0EEEvT1_
                                        ; -- End function
	.set _ZN7rocprim17ROCPRIM_400000_NS6detail17trampoline_kernelINS0_14default_configENS1_27scan_by_key_config_selectorIiiEEZZNS1_16scan_by_key_implILNS1_25lookback_scan_determinismE0ELb0ES3_N6thrust23THRUST_200600_302600_NS6detail15normal_iteratorINS9_10device_ptrIiEEEESE_SE_iNS9_4plusIvEENS9_8equal_toIiEEiEE10hipError_tPvRmT2_T3_T4_T5_mT6_T7_P12ihipStream_tbENKUlT_T0_E_clISt17integral_constantIbLb0EESY_IbLb1EEEEDaSU_SV_EUlSU_E_NS1_11comp_targetILNS1_3genE5ELNS1_11target_archE942ELNS1_3gpuE9ELNS1_3repE0EEENS1_30default_config_static_selectorELNS0_4arch9wavefront6targetE0EEEvT1_.num_vgpr, 0
	.set _ZN7rocprim17ROCPRIM_400000_NS6detail17trampoline_kernelINS0_14default_configENS1_27scan_by_key_config_selectorIiiEEZZNS1_16scan_by_key_implILNS1_25lookback_scan_determinismE0ELb0ES3_N6thrust23THRUST_200600_302600_NS6detail15normal_iteratorINS9_10device_ptrIiEEEESE_SE_iNS9_4plusIvEENS9_8equal_toIiEEiEE10hipError_tPvRmT2_T3_T4_T5_mT6_T7_P12ihipStream_tbENKUlT_T0_E_clISt17integral_constantIbLb0EESY_IbLb1EEEEDaSU_SV_EUlSU_E_NS1_11comp_targetILNS1_3genE5ELNS1_11target_archE942ELNS1_3gpuE9ELNS1_3repE0EEENS1_30default_config_static_selectorELNS0_4arch9wavefront6targetE0EEEvT1_.num_agpr, 0
	.set _ZN7rocprim17ROCPRIM_400000_NS6detail17trampoline_kernelINS0_14default_configENS1_27scan_by_key_config_selectorIiiEEZZNS1_16scan_by_key_implILNS1_25lookback_scan_determinismE0ELb0ES3_N6thrust23THRUST_200600_302600_NS6detail15normal_iteratorINS9_10device_ptrIiEEEESE_SE_iNS9_4plusIvEENS9_8equal_toIiEEiEE10hipError_tPvRmT2_T3_T4_T5_mT6_T7_P12ihipStream_tbENKUlT_T0_E_clISt17integral_constantIbLb0EESY_IbLb1EEEEDaSU_SV_EUlSU_E_NS1_11comp_targetILNS1_3genE5ELNS1_11target_archE942ELNS1_3gpuE9ELNS1_3repE0EEENS1_30default_config_static_selectorELNS0_4arch9wavefront6targetE0EEEvT1_.numbered_sgpr, 0
	.set _ZN7rocprim17ROCPRIM_400000_NS6detail17trampoline_kernelINS0_14default_configENS1_27scan_by_key_config_selectorIiiEEZZNS1_16scan_by_key_implILNS1_25lookback_scan_determinismE0ELb0ES3_N6thrust23THRUST_200600_302600_NS6detail15normal_iteratorINS9_10device_ptrIiEEEESE_SE_iNS9_4plusIvEENS9_8equal_toIiEEiEE10hipError_tPvRmT2_T3_T4_T5_mT6_T7_P12ihipStream_tbENKUlT_T0_E_clISt17integral_constantIbLb0EESY_IbLb1EEEEDaSU_SV_EUlSU_E_NS1_11comp_targetILNS1_3genE5ELNS1_11target_archE942ELNS1_3gpuE9ELNS1_3repE0EEENS1_30default_config_static_selectorELNS0_4arch9wavefront6targetE0EEEvT1_.num_named_barrier, 0
	.set _ZN7rocprim17ROCPRIM_400000_NS6detail17trampoline_kernelINS0_14default_configENS1_27scan_by_key_config_selectorIiiEEZZNS1_16scan_by_key_implILNS1_25lookback_scan_determinismE0ELb0ES3_N6thrust23THRUST_200600_302600_NS6detail15normal_iteratorINS9_10device_ptrIiEEEESE_SE_iNS9_4plusIvEENS9_8equal_toIiEEiEE10hipError_tPvRmT2_T3_T4_T5_mT6_T7_P12ihipStream_tbENKUlT_T0_E_clISt17integral_constantIbLb0EESY_IbLb1EEEEDaSU_SV_EUlSU_E_NS1_11comp_targetILNS1_3genE5ELNS1_11target_archE942ELNS1_3gpuE9ELNS1_3repE0EEENS1_30default_config_static_selectorELNS0_4arch9wavefront6targetE0EEEvT1_.private_seg_size, 0
	.set _ZN7rocprim17ROCPRIM_400000_NS6detail17trampoline_kernelINS0_14default_configENS1_27scan_by_key_config_selectorIiiEEZZNS1_16scan_by_key_implILNS1_25lookback_scan_determinismE0ELb0ES3_N6thrust23THRUST_200600_302600_NS6detail15normal_iteratorINS9_10device_ptrIiEEEESE_SE_iNS9_4plusIvEENS9_8equal_toIiEEiEE10hipError_tPvRmT2_T3_T4_T5_mT6_T7_P12ihipStream_tbENKUlT_T0_E_clISt17integral_constantIbLb0EESY_IbLb1EEEEDaSU_SV_EUlSU_E_NS1_11comp_targetILNS1_3genE5ELNS1_11target_archE942ELNS1_3gpuE9ELNS1_3repE0EEENS1_30default_config_static_selectorELNS0_4arch9wavefront6targetE0EEEvT1_.uses_vcc, 0
	.set _ZN7rocprim17ROCPRIM_400000_NS6detail17trampoline_kernelINS0_14default_configENS1_27scan_by_key_config_selectorIiiEEZZNS1_16scan_by_key_implILNS1_25lookback_scan_determinismE0ELb0ES3_N6thrust23THRUST_200600_302600_NS6detail15normal_iteratorINS9_10device_ptrIiEEEESE_SE_iNS9_4plusIvEENS9_8equal_toIiEEiEE10hipError_tPvRmT2_T3_T4_T5_mT6_T7_P12ihipStream_tbENKUlT_T0_E_clISt17integral_constantIbLb0EESY_IbLb1EEEEDaSU_SV_EUlSU_E_NS1_11comp_targetILNS1_3genE5ELNS1_11target_archE942ELNS1_3gpuE9ELNS1_3repE0EEENS1_30default_config_static_selectorELNS0_4arch9wavefront6targetE0EEEvT1_.uses_flat_scratch, 0
	.set _ZN7rocprim17ROCPRIM_400000_NS6detail17trampoline_kernelINS0_14default_configENS1_27scan_by_key_config_selectorIiiEEZZNS1_16scan_by_key_implILNS1_25lookback_scan_determinismE0ELb0ES3_N6thrust23THRUST_200600_302600_NS6detail15normal_iteratorINS9_10device_ptrIiEEEESE_SE_iNS9_4plusIvEENS9_8equal_toIiEEiEE10hipError_tPvRmT2_T3_T4_T5_mT6_T7_P12ihipStream_tbENKUlT_T0_E_clISt17integral_constantIbLb0EESY_IbLb1EEEEDaSU_SV_EUlSU_E_NS1_11comp_targetILNS1_3genE5ELNS1_11target_archE942ELNS1_3gpuE9ELNS1_3repE0EEENS1_30default_config_static_selectorELNS0_4arch9wavefront6targetE0EEEvT1_.has_dyn_sized_stack, 0
	.set _ZN7rocprim17ROCPRIM_400000_NS6detail17trampoline_kernelINS0_14default_configENS1_27scan_by_key_config_selectorIiiEEZZNS1_16scan_by_key_implILNS1_25lookback_scan_determinismE0ELb0ES3_N6thrust23THRUST_200600_302600_NS6detail15normal_iteratorINS9_10device_ptrIiEEEESE_SE_iNS9_4plusIvEENS9_8equal_toIiEEiEE10hipError_tPvRmT2_T3_T4_T5_mT6_T7_P12ihipStream_tbENKUlT_T0_E_clISt17integral_constantIbLb0EESY_IbLb1EEEEDaSU_SV_EUlSU_E_NS1_11comp_targetILNS1_3genE5ELNS1_11target_archE942ELNS1_3gpuE9ELNS1_3repE0EEENS1_30default_config_static_selectorELNS0_4arch9wavefront6targetE0EEEvT1_.has_recursion, 0
	.set _ZN7rocprim17ROCPRIM_400000_NS6detail17trampoline_kernelINS0_14default_configENS1_27scan_by_key_config_selectorIiiEEZZNS1_16scan_by_key_implILNS1_25lookback_scan_determinismE0ELb0ES3_N6thrust23THRUST_200600_302600_NS6detail15normal_iteratorINS9_10device_ptrIiEEEESE_SE_iNS9_4plusIvEENS9_8equal_toIiEEiEE10hipError_tPvRmT2_T3_T4_T5_mT6_T7_P12ihipStream_tbENKUlT_T0_E_clISt17integral_constantIbLb0EESY_IbLb1EEEEDaSU_SV_EUlSU_E_NS1_11comp_targetILNS1_3genE5ELNS1_11target_archE942ELNS1_3gpuE9ELNS1_3repE0EEENS1_30default_config_static_selectorELNS0_4arch9wavefront6targetE0EEEvT1_.has_indirect_call, 0
	.section	.AMDGPU.csdata,"",@progbits
; Kernel info:
; codeLenInByte = 0
; TotalNumSgprs: 0
; NumVgprs: 0
; ScratchSize: 0
; MemoryBound: 0
; FloatMode: 240
; IeeeMode: 1
; LDSByteSize: 0 bytes/workgroup (compile time only)
; SGPRBlocks: 0
; VGPRBlocks: 0
; NumSGPRsForWavesPerEU: 1
; NumVGPRsForWavesPerEU: 1
; NamedBarCnt: 0
; Occupancy: 16
; WaveLimiterHint : 0
; COMPUTE_PGM_RSRC2:SCRATCH_EN: 0
; COMPUTE_PGM_RSRC2:USER_SGPR: 2
; COMPUTE_PGM_RSRC2:TRAP_HANDLER: 0
; COMPUTE_PGM_RSRC2:TGID_X_EN: 1
; COMPUTE_PGM_RSRC2:TGID_Y_EN: 0
; COMPUTE_PGM_RSRC2:TGID_Z_EN: 0
; COMPUTE_PGM_RSRC2:TIDIG_COMP_CNT: 0
	.section	.text._ZN7rocprim17ROCPRIM_400000_NS6detail17trampoline_kernelINS0_14default_configENS1_27scan_by_key_config_selectorIiiEEZZNS1_16scan_by_key_implILNS1_25lookback_scan_determinismE0ELb0ES3_N6thrust23THRUST_200600_302600_NS6detail15normal_iteratorINS9_10device_ptrIiEEEESE_SE_iNS9_4plusIvEENS9_8equal_toIiEEiEE10hipError_tPvRmT2_T3_T4_T5_mT6_T7_P12ihipStream_tbENKUlT_T0_E_clISt17integral_constantIbLb0EESY_IbLb1EEEEDaSU_SV_EUlSU_E_NS1_11comp_targetILNS1_3genE4ELNS1_11target_archE910ELNS1_3gpuE8ELNS1_3repE0EEENS1_30default_config_static_selectorELNS0_4arch9wavefront6targetE0EEEvT1_,"axG",@progbits,_ZN7rocprim17ROCPRIM_400000_NS6detail17trampoline_kernelINS0_14default_configENS1_27scan_by_key_config_selectorIiiEEZZNS1_16scan_by_key_implILNS1_25lookback_scan_determinismE0ELb0ES3_N6thrust23THRUST_200600_302600_NS6detail15normal_iteratorINS9_10device_ptrIiEEEESE_SE_iNS9_4plusIvEENS9_8equal_toIiEEiEE10hipError_tPvRmT2_T3_T4_T5_mT6_T7_P12ihipStream_tbENKUlT_T0_E_clISt17integral_constantIbLb0EESY_IbLb1EEEEDaSU_SV_EUlSU_E_NS1_11comp_targetILNS1_3genE4ELNS1_11target_archE910ELNS1_3gpuE8ELNS1_3repE0EEENS1_30default_config_static_selectorELNS0_4arch9wavefront6targetE0EEEvT1_,comdat
	.protected	_ZN7rocprim17ROCPRIM_400000_NS6detail17trampoline_kernelINS0_14default_configENS1_27scan_by_key_config_selectorIiiEEZZNS1_16scan_by_key_implILNS1_25lookback_scan_determinismE0ELb0ES3_N6thrust23THRUST_200600_302600_NS6detail15normal_iteratorINS9_10device_ptrIiEEEESE_SE_iNS9_4plusIvEENS9_8equal_toIiEEiEE10hipError_tPvRmT2_T3_T4_T5_mT6_T7_P12ihipStream_tbENKUlT_T0_E_clISt17integral_constantIbLb0EESY_IbLb1EEEEDaSU_SV_EUlSU_E_NS1_11comp_targetILNS1_3genE4ELNS1_11target_archE910ELNS1_3gpuE8ELNS1_3repE0EEENS1_30default_config_static_selectorELNS0_4arch9wavefront6targetE0EEEvT1_ ; -- Begin function _ZN7rocprim17ROCPRIM_400000_NS6detail17trampoline_kernelINS0_14default_configENS1_27scan_by_key_config_selectorIiiEEZZNS1_16scan_by_key_implILNS1_25lookback_scan_determinismE0ELb0ES3_N6thrust23THRUST_200600_302600_NS6detail15normal_iteratorINS9_10device_ptrIiEEEESE_SE_iNS9_4plusIvEENS9_8equal_toIiEEiEE10hipError_tPvRmT2_T3_T4_T5_mT6_T7_P12ihipStream_tbENKUlT_T0_E_clISt17integral_constantIbLb0EESY_IbLb1EEEEDaSU_SV_EUlSU_E_NS1_11comp_targetILNS1_3genE4ELNS1_11target_archE910ELNS1_3gpuE8ELNS1_3repE0EEENS1_30default_config_static_selectorELNS0_4arch9wavefront6targetE0EEEvT1_
	.globl	_ZN7rocprim17ROCPRIM_400000_NS6detail17trampoline_kernelINS0_14default_configENS1_27scan_by_key_config_selectorIiiEEZZNS1_16scan_by_key_implILNS1_25lookback_scan_determinismE0ELb0ES3_N6thrust23THRUST_200600_302600_NS6detail15normal_iteratorINS9_10device_ptrIiEEEESE_SE_iNS9_4plusIvEENS9_8equal_toIiEEiEE10hipError_tPvRmT2_T3_T4_T5_mT6_T7_P12ihipStream_tbENKUlT_T0_E_clISt17integral_constantIbLb0EESY_IbLb1EEEEDaSU_SV_EUlSU_E_NS1_11comp_targetILNS1_3genE4ELNS1_11target_archE910ELNS1_3gpuE8ELNS1_3repE0EEENS1_30default_config_static_selectorELNS0_4arch9wavefront6targetE0EEEvT1_
	.p2align	8
	.type	_ZN7rocprim17ROCPRIM_400000_NS6detail17trampoline_kernelINS0_14default_configENS1_27scan_by_key_config_selectorIiiEEZZNS1_16scan_by_key_implILNS1_25lookback_scan_determinismE0ELb0ES3_N6thrust23THRUST_200600_302600_NS6detail15normal_iteratorINS9_10device_ptrIiEEEESE_SE_iNS9_4plusIvEENS9_8equal_toIiEEiEE10hipError_tPvRmT2_T3_T4_T5_mT6_T7_P12ihipStream_tbENKUlT_T0_E_clISt17integral_constantIbLb0EESY_IbLb1EEEEDaSU_SV_EUlSU_E_NS1_11comp_targetILNS1_3genE4ELNS1_11target_archE910ELNS1_3gpuE8ELNS1_3repE0EEENS1_30default_config_static_selectorELNS0_4arch9wavefront6targetE0EEEvT1_,@function
_ZN7rocprim17ROCPRIM_400000_NS6detail17trampoline_kernelINS0_14default_configENS1_27scan_by_key_config_selectorIiiEEZZNS1_16scan_by_key_implILNS1_25lookback_scan_determinismE0ELb0ES3_N6thrust23THRUST_200600_302600_NS6detail15normal_iteratorINS9_10device_ptrIiEEEESE_SE_iNS9_4plusIvEENS9_8equal_toIiEEiEE10hipError_tPvRmT2_T3_T4_T5_mT6_T7_P12ihipStream_tbENKUlT_T0_E_clISt17integral_constantIbLb0EESY_IbLb1EEEEDaSU_SV_EUlSU_E_NS1_11comp_targetILNS1_3genE4ELNS1_11target_archE910ELNS1_3gpuE8ELNS1_3repE0EEENS1_30default_config_static_selectorELNS0_4arch9wavefront6targetE0EEEvT1_: ; @_ZN7rocprim17ROCPRIM_400000_NS6detail17trampoline_kernelINS0_14default_configENS1_27scan_by_key_config_selectorIiiEEZZNS1_16scan_by_key_implILNS1_25lookback_scan_determinismE0ELb0ES3_N6thrust23THRUST_200600_302600_NS6detail15normal_iteratorINS9_10device_ptrIiEEEESE_SE_iNS9_4plusIvEENS9_8equal_toIiEEiEE10hipError_tPvRmT2_T3_T4_T5_mT6_T7_P12ihipStream_tbENKUlT_T0_E_clISt17integral_constantIbLb0EESY_IbLb1EEEEDaSU_SV_EUlSU_E_NS1_11comp_targetILNS1_3genE4ELNS1_11target_archE910ELNS1_3gpuE8ELNS1_3repE0EEENS1_30default_config_static_selectorELNS0_4arch9wavefront6targetE0EEEvT1_
; %bb.0:
	.section	.rodata,"a",@progbits
	.p2align	6, 0x0
	.amdhsa_kernel _ZN7rocprim17ROCPRIM_400000_NS6detail17trampoline_kernelINS0_14default_configENS1_27scan_by_key_config_selectorIiiEEZZNS1_16scan_by_key_implILNS1_25lookback_scan_determinismE0ELb0ES3_N6thrust23THRUST_200600_302600_NS6detail15normal_iteratorINS9_10device_ptrIiEEEESE_SE_iNS9_4plusIvEENS9_8equal_toIiEEiEE10hipError_tPvRmT2_T3_T4_T5_mT6_T7_P12ihipStream_tbENKUlT_T0_E_clISt17integral_constantIbLb0EESY_IbLb1EEEEDaSU_SV_EUlSU_E_NS1_11comp_targetILNS1_3genE4ELNS1_11target_archE910ELNS1_3gpuE8ELNS1_3repE0EEENS1_30default_config_static_selectorELNS0_4arch9wavefront6targetE0EEEvT1_
		.amdhsa_group_segment_fixed_size 0
		.amdhsa_private_segment_fixed_size 0
		.amdhsa_kernarg_size 112
		.amdhsa_user_sgpr_count 2
		.amdhsa_user_sgpr_dispatch_ptr 0
		.amdhsa_user_sgpr_queue_ptr 0
		.amdhsa_user_sgpr_kernarg_segment_ptr 1
		.amdhsa_user_sgpr_dispatch_id 0
		.amdhsa_user_sgpr_kernarg_preload_length 0
		.amdhsa_user_sgpr_kernarg_preload_offset 0
		.amdhsa_user_sgpr_private_segment_size 0
		.amdhsa_wavefront_size32 1
		.amdhsa_uses_dynamic_stack 0
		.amdhsa_enable_private_segment 0
		.amdhsa_system_sgpr_workgroup_id_x 1
		.amdhsa_system_sgpr_workgroup_id_y 0
		.amdhsa_system_sgpr_workgroup_id_z 0
		.amdhsa_system_sgpr_workgroup_info 0
		.amdhsa_system_vgpr_workitem_id 0
		.amdhsa_next_free_vgpr 1
		.amdhsa_next_free_sgpr 1
		.amdhsa_named_barrier_count 0
		.amdhsa_reserve_vcc 0
		.amdhsa_float_round_mode_32 0
		.amdhsa_float_round_mode_16_64 0
		.amdhsa_float_denorm_mode_32 3
		.amdhsa_float_denorm_mode_16_64 3
		.amdhsa_fp16_overflow 0
		.amdhsa_memory_ordered 1
		.amdhsa_forward_progress 1
		.amdhsa_inst_pref_size 0
		.amdhsa_round_robin_scheduling 0
		.amdhsa_exception_fp_ieee_invalid_op 0
		.amdhsa_exception_fp_denorm_src 0
		.amdhsa_exception_fp_ieee_div_zero 0
		.amdhsa_exception_fp_ieee_overflow 0
		.amdhsa_exception_fp_ieee_underflow 0
		.amdhsa_exception_fp_ieee_inexact 0
		.amdhsa_exception_int_div_zero 0
	.end_amdhsa_kernel
	.section	.text._ZN7rocprim17ROCPRIM_400000_NS6detail17trampoline_kernelINS0_14default_configENS1_27scan_by_key_config_selectorIiiEEZZNS1_16scan_by_key_implILNS1_25lookback_scan_determinismE0ELb0ES3_N6thrust23THRUST_200600_302600_NS6detail15normal_iteratorINS9_10device_ptrIiEEEESE_SE_iNS9_4plusIvEENS9_8equal_toIiEEiEE10hipError_tPvRmT2_T3_T4_T5_mT6_T7_P12ihipStream_tbENKUlT_T0_E_clISt17integral_constantIbLb0EESY_IbLb1EEEEDaSU_SV_EUlSU_E_NS1_11comp_targetILNS1_3genE4ELNS1_11target_archE910ELNS1_3gpuE8ELNS1_3repE0EEENS1_30default_config_static_selectorELNS0_4arch9wavefront6targetE0EEEvT1_,"axG",@progbits,_ZN7rocprim17ROCPRIM_400000_NS6detail17trampoline_kernelINS0_14default_configENS1_27scan_by_key_config_selectorIiiEEZZNS1_16scan_by_key_implILNS1_25lookback_scan_determinismE0ELb0ES3_N6thrust23THRUST_200600_302600_NS6detail15normal_iteratorINS9_10device_ptrIiEEEESE_SE_iNS9_4plusIvEENS9_8equal_toIiEEiEE10hipError_tPvRmT2_T3_T4_T5_mT6_T7_P12ihipStream_tbENKUlT_T0_E_clISt17integral_constantIbLb0EESY_IbLb1EEEEDaSU_SV_EUlSU_E_NS1_11comp_targetILNS1_3genE4ELNS1_11target_archE910ELNS1_3gpuE8ELNS1_3repE0EEENS1_30default_config_static_selectorELNS0_4arch9wavefront6targetE0EEEvT1_,comdat
.Lfunc_end230:
	.size	_ZN7rocprim17ROCPRIM_400000_NS6detail17trampoline_kernelINS0_14default_configENS1_27scan_by_key_config_selectorIiiEEZZNS1_16scan_by_key_implILNS1_25lookback_scan_determinismE0ELb0ES3_N6thrust23THRUST_200600_302600_NS6detail15normal_iteratorINS9_10device_ptrIiEEEESE_SE_iNS9_4plusIvEENS9_8equal_toIiEEiEE10hipError_tPvRmT2_T3_T4_T5_mT6_T7_P12ihipStream_tbENKUlT_T0_E_clISt17integral_constantIbLb0EESY_IbLb1EEEEDaSU_SV_EUlSU_E_NS1_11comp_targetILNS1_3genE4ELNS1_11target_archE910ELNS1_3gpuE8ELNS1_3repE0EEENS1_30default_config_static_selectorELNS0_4arch9wavefront6targetE0EEEvT1_, .Lfunc_end230-_ZN7rocprim17ROCPRIM_400000_NS6detail17trampoline_kernelINS0_14default_configENS1_27scan_by_key_config_selectorIiiEEZZNS1_16scan_by_key_implILNS1_25lookback_scan_determinismE0ELb0ES3_N6thrust23THRUST_200600_302600_NS6detail15normal_iteratorINS9_10device_ptrIiEEEESE_SE_iNS9_4plusIvEENS9_8equal_toIiEEiEE10hipError_tPvRmT2_T3_T4_T5_mT6_T7_P12ihipStream_tbENKUlT_T0_E_clISt17integral_constantIbLb0EESY_IbLb1EEEEDaSU_SV_EUlSU_E_NS1_11comp_targetILNS1_3genE4ELNS1_11target_archE910ELNS1_3gpuE8ELNS1_3repE0EEENS1_30default_config_static_selectorELNS0_4arch9wavefront6targetE0EEEvT1_
                                        ; -- End function
	.set _ZN7rocprim17ROCPRIM_400000_NS6detail17trampoline_kernelINS0_14default_configENS1_27scan_by_key_config_selectorIiiEEZZNS1_16scan_by_key_implILNS1_25lookback_scan_determinismE0ELb0ES3_N6thrust23THRUST_200600_302600_NS6detail15normal_iteratorINS9_10device_ptrIiEEEESE_SE_iNS9_4plusIvEENS9_8equal_toIiEEiEE10hipError_tPvRmT2_T3_T4_T5_mT6_T7_P12ihipStream_tbENKUlT_T0_E_clISt17integral_constantIbLb0EESY_IbLb1EEEEDaSU_SV_EUlSU_E_NS1_11comp_targetILNS1_3genE4ELNS1_11target_archE910ELNS1_3gpuE8ELNS1_3repE0EEENS1_30default_config_static_selectorELNS0_4arch9wavefront6targetE0EEEvT1_.num_vgpr, 0
	.set _ZN7rocprim17ROCPRIM_400000_NS6detail17trampoline_kernelINS0_14default_configENS1_27scan_by_key_config_selectorIiiEEZZNS1_16scan_by_key_implILNS1_25lookback_scan_determinismE0ELb0ES3_N6thrust23THRUST_200600_302600_NS6detail15normal_iteratorINS9_10device_ptrIiEEEESE_SE_iNS9_4plusIvEENS9_8equal_toIiEEiEE10hipError_tPvRmT2_T3_T4_T5_mT6_T7_P12ihipStream_tbENKUlT_T0_E_clISt17integral_constantIbLb0EESY_IbLb1EEEEDaSU_SV_EUlSU_E_NS1_11comp_targetILNS1_3genE4ELNS1_11target_archE910ELNS1_3gpuE8ELNS1_3repE0EEENS1_30default_config_static_selectorELNS0_4arch9wavefront6targetE0EEEvT1_.num_agpr, 0
	.set _ZN7rocprim17ROCPRIM_400000_NS6detail17trampoline_kernelINS0_14default_configENS1_27scan_by_key_config_selectorIiiEEZZNS1_16scan_by_key_implILNS1_25lookback_scan_determinismE0ELb0ES3_N6thrust23THRUST_200600_302600_NS6detail15normal_iteratorINS9_10device_ptrIiEEEESE_SE_iNS9_4plusIvEENS9_8equal_toIiEEiEE10hipError_tPvRmT2_T3_T4_T5_mT6_T7_P12ihipStream_tbENKUlT_T0_E_clISt17integral_constantIbLb0EESY_IbLb1EEEEDaSU_SV_EUlSU_E_NS1_11comp_targetILNS1_3genE4ELNS1_11target_archE910ELNS1_3gpuE8ELNS1_3repE0EEENS1_30default_config_static_selectorELNS0_4arch9wavefront6targetE0EEEvT1_.numbered_sgpr, 0
	.set _ZN7rocprim17ROCPRIM_400000_NS6detail17trampoline_kernelINS0_14default_configENS1_27scan_by_key_config_selectorIiiEEZZNS1_16scan_by_key_implILNS1_25lookback_scan_determinismE0ELb0ES3_N6thrust23THRUST_200600_302600_NS6detail15normal_iteratorINS9_10device_ptrIiEEEESE_SE_iNS9_4plusIvEENS9_8equal_toIiEEiEE10hipError_tPvRmT2_T3_T4_T5_mT6_T7_P12ihipStream_tbENKUlT_T0_E_clISt17integral_constantIbLb0EESY_IbLb1EEEEDaSU_SV_EUlSU_E_NS1_11comp_targetILNS1_3genE4ELNS1_11target_archE910ELNS1_3gpuE8ELNS1_3repE0EEENS1_30default_config_static_selectorELNS0_4arch9wavefront6targetE0EEEvT1_.num_named_barrier, 0
	.set _ZN7rocprim17ROCPRIM_400000_NS6detail17trampoline_kernelINS0_14default_configENS1_27scan_by_key_config_selectorIiiEEZZNS1_16scan_by_key_implILNS1_25lookback_scan_determinismE0ELb0ES3_N6thrust23THRUST_200600_302600_NS6detail15normal_iteratorINS9_10device_ptrIiEEEESE_SE_iNS9_4plusIvEENS9_8equal_toIiEEiEE10hipError_tPvRmT2_T3_T4_T5_mT6_T7_P12ihipStream_tbENKUlT_T0_E_clISt17integral_constantIbLb0EESY_IbLb1EEEEDaSU_SV_EUlSU_E_NS1_11comp_targetILNS1_3genE4ELNS1_11target_archE910ELNS1_3gpuE8ELNS1_3repE0EEENS1_30default_config_static_selectorELNS0_4arch9wavefront6targetE0EEEvT1_.private_seg_size, 0
	.set _ZN7rocprim17ROCPRIM_400000_NS6detail17trampoline_kernelINS0_14default_configENS1_27scan_by_key_config_selectorIiiEEZZNS1_16scan_by_key_implILNS1_25lookback_scan_determinismE0ELb0ES3_N6thrust23THRUST_200600_302600_NS6detail15normal_iteratorINS9_10device_ptrIiEEEESE_SE_iNS9_4plusIvEENS9_8equal_toIiEEiEE10hipError_tPvRmT2_T3_T4_T5_mT6_T7_P12ihipStream_tbENKUlT_T0_E_clISt17integral_constantIbLb0EESY_IbLb1EEEEDaSU_SV_EUlSU_E_NS1_11comp_targetILNS1_3genE4ELNS1_11target_archE910ELNS1_3gpuE8ELNS1_3repE0EEENS1_30default_config_static_selectorELNS0_4arch9wavefront6targetE0EEEvT1_.uses_vcc, 0
	.set _ZN7rocprim17ROCPRIM_400000_NS6detail17trampoline_kernelINS0_14default_configENS1_27scan_by_key_config_selectorIiiEEZZNS1_16scan_by_key_implILNS1_25lookback_scan_determinismE0ELb0ES3_N6thrust23THRUST_200600_302600_NS6detail15normal_iteratorINS9_10device_ptrIiEEEESE_SE_iNS9_4plusIvEENS9_8equal_toIiEEiEE10hipError_tPvRmT2_T3_T4_T5_mT6_T7_P12ihipStream_tbENKUlT_T0_E_clISt17integral_constantIbLb0EESY_IbLb1EEEEDaSU_SV_EUlSU_E_NS1_11comp_targetILNS1_3genE4ELNS1_11target_archE910ELNS1_3gpuE8ELNS1_3repE0EEENS1_30default_config_static_selectorELNS0_4arch9wavefront6targetE0EEEvT1_.uses_flat_scratch, 0
	.set _ZN7rocprim17ROCPRIM_400000_NS6detail17trampoline_kernelINS0_14default_configENS1_27scan_by_key_config_selectorIiiEEZZNS1_16scan_by_key_implILNS1_25lookback_scan_determinismE0ELb0ES3_N6thrust23THRUST_200600_302600_NS6detail15normal_iteratorINS9_10device_ptrIiEEEESE_SE_iNS9_4plusIvEENS9_8equal_toIiEEiEE10hipError_tPvRmT2_T3_T4_T5_mT6_T7_P12ihipStream_tbENKUlT_T0_E_clISt17integral_constantIbLb0EESY_IbLb1EEEEDaSU_SV_EUlSU_E_NS1_11comp_targetILNS1_3genE4ELNS1_11target_archE910ELNS1_3gpuE8ELNS1_3repE0EEENS1_30default_config_static_selectorELNS0_4arch9wavefront6targetE0EEEvT1_.has_dyn_sized_stack, 0
	.set _ZN7rocprim17ROCPRIM_400000_NS6detail17trampoline_kernelINS0_14default_configENS1_27scan_by_key_config_selectorIiiEEZZNS1_16scan_by_key_implILNS1_25lookback_scan_determinismE0ELb0ES3_N6thrust23THRUST_200600_302600_NS6detail15normal_iteratorINS9_10device_ptrIiEEEESE_SE_iNS9_4plusIvEENS9_8equal_toIiEEiEE10hipError_tPvRmT2_T3_T4_T5_mT6_T7_P12ihipStream_tbENKUlT_T0_E_clISt17integral_constantIbLb0EESY_IbLb1EEEEDaSU_SV_EUlSU_E_NS1_11comp_targetILNS1_3genE4ELNS1_11target_archE910ELNS1_3gpuE8ELNS1_3repE0EEENS1_30default_config_static_selectorELNS0_4arch9wavefront6targetE0EEEvT1_.has_recursion, 0
	.set _ZN7rocprim17ROCPRIM_400000_NS6detail17trampoline_kernelINS0_14default_configENS1_27scan_by_key_config_selectorIiiEEZZNS1_16scan_by_key_implILNS1_25lookback_scan_determinismE0ELb0ES3_N6thrust23THRUST_200600_302600_NS6detail15normal_iteratorINS9_10device_ptrIiEEEESE_SE_iNS9_4plusIvEENS9_8equal_toIiEEiEE10hipError_tPvRmT2_T3_T4_T5_mT6_T7_P12ihipStream_tbENKUlT_T0_E_clISt17integral_constantIbLb0EESY_IbLb1EEEEDaSU_SV_EUlSU_E_NS1_11comp_targetILNS1_3genE4ELNS1_11target_archE910ELNS1_3gpuE8ELNS1_3repE0EEENS1_30default_config_static_selectorELNS0_4arch9wavefront6targetE0EEEvT1_.has_indirect_call, 0
	.section	.AMDGPU.csdata,"",@progbits
; Kernel info:
; codeLenInByte = 0
; TotalNumSgprs: 0
; NumVgprs: 0
; ScratchSize: 0
; MemoryBound: 0
; FloatMode: 240
; IeeeMode: 1
; LDSByteSize: 0 bytes/workgroup (compile time only)
; SGPRBlocks: 0
; VGPRBlocks: 0
; NumSGPRsForWavesPerEU: 1
; NumVGPRsForWavesPerEU: 1
; NamedBarCnt: 0
; Occupancy: 16
; WaveLimiterHint : 0
; COMPUTE_PGM_RSRC2:SCRATCH_EN: 0
; COMPUTE_PGM_RSRC2:USER_SGPR: 2
; COMPUTE_PGM_RSRC2:TRAP_HANDLER: 0
; COMPUTE_PGM_RSRC2:TGID_X_EN: 1
; COMPUTE_PGM_RSRC2:TGID_Y_EN: 0
; COMPUTE_PGM_RSRC2:TGID_Z_EN: 0
; COMPUTE_PGM_RSRC2:TIDIG_COMP_CNT: 0
	.section	.text._ZN7rocprim17ROCPRIM_400000_NS6detail17trampoline_kernelINS0_14default_configENS1_27scan_by_key_config_selectorIiiEEZZNS1_16scan_by_key_implILNS1_25lookback_scan_determinismE0ELb0ES3_N6thrust23THRUST_200600_302600_NS6detail15normal_iteratorINS9_10device_ptrIiEEEESE_SE_iNS9_4plusIvEENS9_8equal_toIiEEiEE10hipError_tPvRmT2_T3_T4_T5_mT6_T7_P12ihipStream_tbENKUlT_T0_E_clISt17integral_constantIbLb0EESY_IbLb1EEEEDaSU_SV_EUlSU_E_NS1_11comp_targetILNS1_3genE3ELNS1_11target_archE908ELNS1_3gpuE7ELNS1_3repE0EEENS1_30default_config_static_selectorELNS0_4arch9wavefront6targetE0EEEvT1_,"axG",@progbits,_ZN7rocprim17ROCPRIM_400000_NS6detail17trampoline_kernelINS0_14default_configENS1_27scan_by_key_config_selectorIiiEEZZNS1_16scan_by_key_implILNS1_25lookback_scan_determinismE0ELb0ES3_N6thrust23THRUST_200600_302600_NS6detail15normal_iteratorINS9_10device_ptrIiEEEESE_SE_iNS9_4plusIvEENS9_8equal_toIiEEiEE10hipError_tPvRmT2_T3_T4_T5_mT6_T7_P12ihipStream_tbENKUlT_T0_E_clISt17integral_constantIbLb0EESY_IbLb1EEEEDaSU_SV_EUlSU_E_NS1_11comp_targetILNS1_3genE3ELNS1_11target_archE908ELNS1_3gpuE7ELNS1_3repE0EEENS1_30default_config_static_selectorELNS0_4arch9wavefront6targetE0EEEvT1_,comdat
	.protected	_ZN7rocprim17ROCPRIM_400000_NS6detail17trampoline_kernelINS0_14default_configENS1_27scan_by_key_config_selectorIiiEEZZNS1_16scan_by_key_implILNS1_25lookback_scan_determinismE0ELb0ES3_N6thrust23THRUST_200600_302600_NS6detail15normal_iteratorINS9_10device_ptrIiEEEESE_SE_iNS9_4plusIvEENS9_8equal_toIiEEiEE10hipError_tPvRmT2_T3_T4_T5_mT6_T7_P12ihipStream_tbENKUlT_T0_E_clISt17integral_constantIbLb0EESY_IbLb1EEEEDaSU_SV_EUlSU_E_NS1_11comp_targetILNS1_3genE3ELNS1_11target_archE908ELNS1_3gpuE7ELNS1_3repE0EEENS1_30default_config_static_selectorELNS0_4arch9wavefront6targetE0EEEvT1_ ; -- Begin function _ZN7rocprim17ROCPRIM_400000_NS6detail17trampoline_kernelINS0_14default_configENS1_27scan_by_key_config_selectorIiiEEZZNS1_16scan_by_key_implILNS1_25lookback_scan_determinismE0ELb0ES3_N6thrust23THRUST_200600_302600_NS6detail15normal_iteratorINS9_10device_ptrIiEEEESE_SE_iNS9_4plusIvEENS9_8equal_toIiEEiEE10hipError_tPvRmT2_T3_T4_T5_mT6_T7_P12ihipStream_tbENKUlT_T0_E_clISt17integral_constantIbLb0EESY_IbLb1EEEEDaSU_SV_EUlSU_E_NS1_11comp_targetILNS1_3genE3ELNS1_11target_archE908ELNS1_3gpuE7ELNS1_3repE0EEENS1_30default_config_static_selectorELNS0_4arch9wavefront6targetE0EEEvT1_
	.globl	_ZN7rocprim17ROCPRIM_400000_NS6detail17trampoline_kernelINS0_14default_configENS1_27scan_by_key_config_selectorIiiEEZZNS1_16scan_by_key_implILNS1_25lookback_scan_determinismE0ELb0ES3_N6thrust23THRUST_200600_302600_NS6detail15normal_iteratorINS9_10device_ptrIiEEEESE_SE_iNS9_4plusIvEENS9_8equal_toIiEEiEE10hipError_tPvRmT2_T3_T4_T5_mT6_T7_P12ihipStream_tbENKUlT_T0_E_clISt17integral_constantIbLb0EESY_IbLb1EEEEDaSU_SV_EUlSU_E_NS1_11comp_targetILNS1_3genE3ELNS1_11target_archE908ELNS1_3gpuE7ELNS1_3repE0EEENS1_30default_config_static_selectorELNS0_4arch9wavefront6targetE0EEEvT1_
	.p2align	8
	.type	_ZN7rocprim17ROCPRIM_400000_NS6detail17trampoline_kernelINS0_14default_configENS1_27scan_by_key_config_selectorIiiEEZZNS1_16scan_by_key_implILNS1_25lookback_scan_determinismE0ELb0ES3_N6thrust23THRUST_200600_302600_NS6detail15normal_iteratorINS9_10device_ptrIiEEEESE_SE_iNS9_4plusIvEENS9_8equal_toIiEEiEE10hipError_tPvRmT2_T3_T4_T5_mT6_T7_P12ihipStream_tbENKUlT_T0_E_clISt17integral_constantIbLb0EESY_IbLb1EEEEDaSU_SV_EUlSU_E_NS1_11comp_targetILNS1_3genE3ELNS1_11target_archE908ELNS1_3gpuE7ELNS1_3repE0EEENS1_30default_config_static_selectorELNS0_4arch9wavefront6targetE0EEEvT1_,@function
_ZN7rocprim17ROCPRIM_400000_NS6detail17trampoline_kernelINS0_14default_configENS1_27scan_by_key_config_selectorIiiEEZZNS1_16scan_by_key_implILNS1_25lookback_scan_determinismE0ELb0ES3_N6thrust23THRUST_200600_302600_NS6detail15normal_iteratorINS9_10device_ptrIiEEEESE_SE_iNS9_4plusIvEENS9_8equal_toIiEEiEE10hipError_tPvRmT2_T3_T4_T5_mT6_T7_P12ihipStream_tbENKUlT_T0_E_clISt17integral_constantIbLb0EESY_IbLb1EEEEDaSU_SV_EUlSU_E_NS1_11comp_targetILNS1_3genE3ELNS1_11target_archE908ELNS1_3gpuE7ELNS1_3repE0EEENS1_30default_config_static_selectorELNS0_4arch9wavefront6targetE0EEEvT1_: ; @_ZN7rocprim17ROCPRIM_400000_NS6detail17trampoline_kernelINS0_14default_configENS1_27scan_by_key_config_selectorIiiEEZZNS1_16scan_by_key_implILNS1_25lookback_scan_determinismE0ELb0ES3_N6thrust23THRUST_200600_302600_NS6detail15normal_iteratorINS9_10device_ptrIiEEEESE_SE_iNS9_4plusIvEENS9_8equal_toIiEEiEE10hipError_tPvRmT2_T3_T4_T5_mT6_T7_P12ihipStream_tbENKUlT_T0_E_clISt17integral_constantIbLb0EESY_IbLb1EEEEDaSU_SV_EUlSU_E_NS1_11comp_targetILNS1_3genE3ELNS1_11target_archE908ELNS1_3gpuE7ELNS1_3repE0EEENS1_30default_config_static_selectorELNS0_4arch9wavefront6targetE0EEEvT1_
; %bb.0:
	.section	.rodata,"a",@progbits
	.p2align	6, 0x0
	.amdhsa_kernel _ZN7rocprim17ROCPRIM_400000_NS6detail17trampoline_kernelINS0_14default_configENS1_27scan_by_key_config_selectorIiiEEZZNS1_16scan_by_key_implILNS1_25lookback_scan_determinismE0ELb0ES3_N6thrust23THRUST_200600_302600_NS6detail15normal_iteratorINS9_10device_ptrIiEEEESE_SE_iNS9_4plusIvEENS9_8equal_toIiEEiEE10hipError_tPvRmT2_T3_T4_T5_mT6_T7_P12ihipStream_tbENKUlT_T0_E_clISt17integral_constantIbLb0EESY_IbLb1EEEEDaSU_SV_EUlSU_E_NS1_11comp_targetILNS1_3genE3ELNS1_11target_archE908ELNS1_3gpuE7ELNS1_3repE0EEENS1_30default_config_static_selectorELNS0_4arch9wavefront6targetE0EEEvT1_
		.amdhsa_group_segment_fixed_size 0
		.amdhsa_private_segment_fixed_size 0
		.amdhsa_kernarg_size 112
		.amdhsa_user_sgpr_count 2
		.amdhsa_user_sgpr_dispatch_ptr 0
		.amdhsa_user_sgpr_queue_ptr 0
		.amdhsa_user_sgpr_kernarg_segment_ptr 1
		.amdhsa_user_sgpr_dispatch_id 0
		.amdhsa_user_sgpr_kernarg_preload_length 0
		.amdhsa_user_sgpr_kernarg_preload_offset 0
		.amdhsa_user_sgpr_private_segment_size 0
		.amdhsa_wavefront_size32 1
		.amdhsa_uses_dynamic_stack 0
		.amdhsa_enable_private_segment 0
		.amdhsa_system_sgpr_workgroup_id_x 1
		.amdhsa_system_sgpr_workgroup_id_y 0
		.amdhsa_system_sgpr_workgroup_id_z 0
		.amdhsa_system_sgpr_workgroup_info 0
		.amdhsa_system_vgpr_workitem_id 0
		.amdhsa_next_free_vgpr 1
		.amdhsa_next_free_sgpr 1
		.amdhsa_named_barrier_count 0
		.amdhsa_reserve_vcc 0
		.amdhsa_float_round_mode_32 0
		.amdhsa_float_round_mode_16_64 0
		.amdhsa_float_denorm_mode_32 3
		.amdhsa_float_denorm_mode_16_64 3
		.amdhsa_fp16_overflow 0
		.amdhsa_memory_ordered 1
		.amdhsa_forward_progress 1
		.amdhsa_inst_pref_size 0
		.amdhsa_round_robin_scheduling 0
		.amdhsa_exception_fp_ieee_invalid_op 0
		.amdhsa_exception_fp_denorm_src 0
		.amdhsa_exception_fp_ieee_div_zero 0
		.amdhsa_exception_fp_ieee_overflow 0
		.amdhsa_exception_fp_ieee_underflow 0
		.amdhsa_exception_fp_ieee_inexact 0
		.amdhsa_exception_int_div_zero 0
	.end_amdhsa_kernel
	.section	.text._ZN7rocprim17ROCPRIM_400000_NS6detail17trampoline_kernelINS0_14default_configENS1_27scan_by_key_config_selectorIiiEEZZNS1_16scan_by_key_implILNS1_25lookback_scan_determinismE0ELb0ES3_N6thrust23THRUST_200600_302600_NS6detail15normal_iteratorINS9_10device_ptrIiEEEESE_SE_iNS9_4plusIvEENS9_8equal_toIiEEiEE10hipError_tPvRmT2_T3_T4_T5_mT6_T7_P12ihipStream_tbENKUlT_T0_E_clISt17integral_constantIbLb0EESY_IbLb1EEEEDaSU_SV_EUlSU_E_NS1_11comp_targetILNS1_3genE3ELNS1_11target_archE908ELNS1_3gpuE7ELNS1_3repE0EEENS1_30default_config_static_selectorELNS0_4arch9wavefront6targetE0EEEvT1_,"axG",@progbits,_ZN7rocprim17ROCPRIM_400000_NS6detail17trampoline_kernelINS0_14default_configENS1_27scan_by_key_config_selectorIiiEEZZNS1_16scan_by_key_implILNS1_25lookback_scan_determinismE0ELb0ES3_N6thrust23THRUST_200600_302600_NS6detail15normal_iteratorINS9_10device_ptrIiEEEESE_SE_iNS9_4plusIvEENS9_8equal_toIiEEiEE10hipError_tPvRmT2_T3_T4_T5_mT6_T7_P12ihipStream_tbENKUlT_T0_E_clISt17integral_constantIbLb0EESY_IbLb1EEEEDaSU_SV_EUlSU_E_NS1_11comp_targetILNS1_3genE3ELNS1_11target_archE908ELNS1_3gpuE7ELNS1_3repE0EEENS1_30default_config_static_selectorELNS0_4arch9wavefront6targetE0EEEvT1_,comdat
.Lfunc_end231:
	.size	_ZN7rocprim17ROCPRIM_400000_NS6detail17trampoline_kernelINS0_14default_configENS1_27scan_by_key_config_selectorIiiEEZZNS1_16scan_by_key_implILNS1_25lookback_scan_determinismE0ELb0ES3_N6thrust23THRUST_200600_302600_NS6detail15normal_iteratorINS9_10device_ptrIiEEEESE_SE_iNS9_4plusIvEENS9_8equal_toIiEEiEE10hipError_tPvRmT2_T3_T4_T5_mT6_T7_P12ihipStream_tbENKUlT_T0_E_clISt17integral_constantIbLb0EESY_IbLb1EEEEDaSU_SV_EUlSU_E_NS1_11comp_targetILNS1_3genE3ELNS1_11target_archE908ELNS1_3gpuE7ELNS1_3repE0EEENS1_30default_config_static_selectorELNS0_4arch9wavefront6targetE0EEEvT1_, .Lfunc_end231-_ZN7rocprim17ROCPRIM_400000_NS6detail17trampoline_kernelINS0_14default_configENS1_27scan_by_key_config_selectorIiiEEZZNS1_16scan_by_key_implILNS1_25lookback_scan_determinismE0ELb0ES3_N6thrust23THRUST_200600_302600_NS6detail15normal_iteratorINS9_10device_ptrIiEEEESE_SE_iNS9_4plusIvEENS9_8equal_toIiEEiEE10hipError_tPvRmT2_T3_T4_T5_mT6_T7_P12ihipStream_tbENKUlT_T0_E_clISt17integral_constantIbLb0EESY_IbLb1EEEEDaSU_SV_EUlSU_E_NS1_11comp_targetILNS1_3genE3ELNS1_11target_archE908ELNS1_3gpuE7ELNS1_3repE0EEENS1_30default_config_static_selectorELNS0_4arch9wavefront6targetE0EEEvT1_
                                        ; -- End function
	.set _ZN7rocprim17ROCPRIM_400000_NS6detail17trampoline_kernelINS0_14default_configENS1_27scan_by_key_config_selectorIiiEEZZNS1_16scan_by_key_implILNS1_25lookback_scan_determinismE0ELb0ES3_N6thrust23THRUST_200600_302600_NS6detail15normal_iteratorINS9_10device_ptrIiEEEESE_SE_iNS9_4plusIvEENS9_8equal_toIiEEiEE10hipError_tPvRmT2_T3_T4_T5_mT6_T7_P12ihipStream_tbENKUlT_T0_E_clISt17integral_constantIbLb0EESY_IbLb1EEEEDaSU_SV_EUlSU_E_NS1_11comp_targetILNS1_3genE3ELNS1_11target_archE908ELNS1_3gpuE7ELNS1_3repE0EEENS1_30default_config_static_selectorELNS0_4arch9wavefront6targetE0EEEvT1_.num_vgpr, 0
	.set _ZN7rocprim17ROCPRIM_400000_NS6detail17trampoline_kernelINS0_14default_configENS1_27scan_by_key_config_selectorIiiEEZZNS1_16scan_by_key_implILNS1_25lookback_scan_determinismE0ELb0ES3_N6thrust23THRUST_200600_302600_NS6detail15normal_iteratorINS9_10device_ptrIiEEEESE_SE_iNS9_4plusIvEENS9_8equal_toIiEEiEE10hipError_tPvRmT2_T3_T4_T5_mT6_T7_P12ihipStream_tbENKUlT_T0_E_clISt17integral_constantIbLb0EESY_IbLb1EEEEDaSU_SV_EUlSU_E_NS1_11comp_targetILNS1_3genE3ELNS1_11target_archE908ELNS1_3gpuE7ELNS1_3repE0EEENS1_30default_config_static_selectorELNS0_4arch9wavefront6targetE0EEEvT1_.num_agpr, 0
	.set _ZN7rocprim17ROCPRIM_400000_NS6detail17trampoline_kernelINS0_14default_configENS1_27scan_by_key_config_selectorIiiEEZZNS1_16scan_by_key_implILNS1_25lookback_scan_determinismE0ELb0ES3_N6thrust23THRUST_200600_302600_NS6detail15normal_iteratorINS9_10device_ptrIiEEEESE_SE_iNS9_4plusIvEENS9_8equal_toIiEEiEE10hipError_tPvRmT2_T3_T4_T5_mT6_T7_P12ihipStream_tbENKUlT_T0_E_clISt17integral_constantIbLb0EESY_IbLb1EEEEDaSU_SV_EUlSU_E_NS1_11comp_targetILNS1_3genE3ELNS1_11target_archE908ELNS1_3gpuE7ELNS1_3repE0EEENS1_30default_config_static_selectorELNS0_4arch9wavefront6targetE0EEEvT1_.numbered_sgpr, 0
	.set _ZN7rocprim17ROCPRIM_400000_NS6detail17trampoline_kernelINS0_14default_configENS1_27scan_by_key_config_selectorIiiEEZZNS1_16scan_by_key_implILNS1_25lookback_scan_determinismE0ELb0ES3_N6thrust23THRUST_200600_302600_NS6detail15normal_iteratorINS9_10device_ptrIiEEEESE_SE_iNS9_4plusIvEENS9_8equal_toIiEEiEE10hipError_tPvRmT2_T3_T4_T5_mT6_T7_P12ihipStream_tbENKUlT_T0_E_clISt17integral_constantIbLb0EESY_IbLb1EEEEDaSU_SV_EUlSU_E_NS1_11comp_targetILNS1_3genE3ELNS1_11target_archE908ELNS1_3gpuE7ELNS1_3repE0EEENS1_30default_config_static_selectorELNS0_4arch9wavefront6targetE0EEEvT1_.num_named_barrier, 0
	.set _ZN7rocprim17ROCPRIM_400000_NS6detail17trampoline_kernelINS0_14default_configENS1_27scan_by_key_config_selectorIiiEEZZNS1_16scan_by_key_implILNS1_25lookback_scan_determinismE0ELb0ES3_N6thrust23THRUST_200600_302600_NS6detail15normal_iteratorINS9_10device_ptrIiEEEESE_SE_iNS9_4plusIvEENS9_8equal_toIiEEiEE10hipError_tPvRmT2_T3_T4_T5_mT6_T7_P12ihipStream_tbENKUlT_T0_E_clISt17integral_constantIbLb0EESY_IbLb1EEEEDaSU_SV_EUlSU_E_NS1_11comp_targetILNS1_3genE3ELNS1_11target_archE908ELNS1_3gpuE7ELNS1_3repE0EEENS1_30default_config_static_selectorELNS0_4arch9wavefront6targetE0EEEvT1_.private_seg_size, 0
	.set _ZN7rocprim17ROCPRIM_400000_NS6detail17trampoline_kernelINS0_14default_configENS1_27scan_by_key_config_selectorIiiEEZZNS1_16scan_by_key_implILNS1_25lookback_scan_determinismE0ELb0ES3_N6thrust23THRUST_200600_302600_NS6detail15normal_iteratorINS9_10device_ptrIiEEEESE_SE_iNS9_4plusIvEENS9_8equal_toIiEEiEE10hipError_tPvRmT2_T3_T4_T5_mT6_T7_P12ihipStream_tbENKUlT_T0_E_clISt17integral_constantIbLb0EESY_IbLb1EEEEDaSU_SV_EUlSU_E_NS1_11comp_targetILNS1_3genE3ELNS1_11target_archE908ELNS1_3gpuE7ELNS1_3repE0EEENS1_30default_config_static_selectorELNS0_4arch9wavefront6targetE0EEEvT1_.uses_vcc, 0
	.set _ZN7rocprim17ROCPRIM_400000_NS6detail17trampoline_kernelINS0_14default_configENS1_27scan_by_key_config_selectorIiiEEZZNS1_16scan_by_key_implILNS1_25lookback_scan_determinismE0ELb0ES3_N6thrust23THRUST_200600_302600_NS6detail15normal_iteratorINS9_10device_ptrIiEEEESE_SE_iNS9_4plusIvEENS9_8equal_toIiEEiEE10hipError_tPvRmT2_T3_T4_T5_mT6_T7_P12ihipStream_tbENKUlT_T0_E_clISt17integral_constantIbLb0EESY_IbLb1EEEEDaSU_SV_EUlSU_E_NS1_11comp_targetILNS1_3genE3ELNS1_11target_archE908ELNS1_3gpuE7ELNS1_3repE0EEENS1_30default_config_static_selectorELNS0_4arch9wavefront6targetE0EEEvT1_.uses_flat_scratch, 0
	.set _ZN7rocprim17ROCPRIM_400000_NS6detail17trampoline_kernelINS0_14default_configENS1_27scan_by_key_config_selectorIiiEEZZNS1_16scan_by_key_implILNS1_25lookback_scan_determinismE0ELb0ES3_N6thrust23THRUST_200600_302600_NS6detail15normal_iteratorINS9_10device_ptrIiEEEESE_SE_iNS9_4plusIvEENS9_8equal_toIiEEiEE10hipError_tPvRmT2_T3_T4_T5_mT6_T7_P12ihipStream_tbENKUlT_T0_E_clISt17integral_constantIbLb0EESY_IbLb1EEEEDaSU_SV_EUlSU_E_NS1_11comp_targetILNS1_3genE3ELNS1_11target_archE908ELNS1_3gpuE7ELNS1_3repE0EEENS1_30default_config_static_selectorELNS0_4arch9wavefront6targetE0EEEvT1_.has_dyn_sized_stack, 0
	.set _ZN7rocprim17ROCPRIM_400000_NS6detail17trampoline_kernelINS0_14default_configENS1_27scan_by_key_config_selectorIiiEEZZNS1_16scan_by_key_implILNS1_25lookback_scan_determinismE0ELb0ES3_N6thrust23THRUST_200600_302600_NS6detail15normal_iteratorINS9_10device_ptrIiEEEESE_SE_iNS9_4plusIvEENS9_8equal_toIiEEiEE10hipError_tPvRmT2_T3_T4_T5_mT6_T7_P12ihipStream_tbENKUlT_T0_E_clISt17integral_constantIbLb0EESY_IbLb1EEEEDaSU_SV_EUlSU_E_NS1_11comp_targetILNS1_3genE3ELNS1_11target_archE908ELNS1_3gpuE7ELNS1_3repE0EEENS1_30default_config_static_selectorELNS0_4arch9wavefront6targetE0EEEvT1_.has_recursion, 0
	.set _ZN7rocprim17ROCPRIM_400000_NS6detail17trampoline_kernelINS0_14default_configENS1_27scan_by_key_config_selectorIiiEEZZNS1_16scan_by_key_implILNS1_25lookback_scan_determinismE0ELb0ES3_N6thrust23THRUST_200600_302600_NS6detail15normal_iteratorINS9_10device_ptrIiEEEESE_SE_iNS9_4plusIvEENS9_8equal_toIiEEiEE10hipError_tPvRmT2_T3_T4_T5_mT6_T7_P12ihipStream_tbENKUlT_T0_E_clISt17integral_constantIbLb0EESY_IbLb1EEEEDaSU_SV_EUlSU_E_NS1_11comp_targetILNS1_3genE3ELNS1_11target_archE908ELNS1_3gpuE7ELNS1_3repE0EEENS1_30default_config_static_selectorELNS0_4arch9wavefront6targetE0EEEvT1_.has_indirect_call, 0
	.section	.AMDGPU.csdata,"",@progbits
; Kernel info:
; codeLenInByte = 0
; TotalNumSgprs: 0
; NumVgprs: 0
; ScratchSize: 0
; MemoryBound: 0
; FloatMode: 240
; IeeeMode: 1
; LDSByteSize: 0 bytes/workgroup (compile time only)
; SGPRBlocks: 0
; VGPRBlocks: 0
; NumSGPRsForWavesPerEU: 1
; NumVGPRsForWavesPerEU: 1
; NamedBarCnt: 0
; Occupancy: 16
; WaveLimiterHint : 0
; COMPUTE_PGM_RSRC2:SCRATCH_EN: 0
; COMPUTE_PGM_RSRC2:USER_SGPR: 2
; COMPUTE_PGM_RSRC2:TRAP_HANDLER: 0
; COMPUTE_PGM_RSRC2:TGID_X_EN: 1
; COMPUTE_PGM_RSRC2:TGID_Y_EN: 0
; COMPUTE_PGM_RSRC2:TGID_Z_EN: 0
; COMPUTE_PGM_RSRC2:TIDIG_COMP_CNT: 0
	.section	.text._ZN7rocprim17ROCPRIM_400000_NS6detail17trampoline_kernelINS0_14default_configENS1_27scan_by_key_config_selectorIiiEEZZNS1_16scan_by_key_implILNS1_25lookback_scan_determinismE0ELb0ES3_N6thrust23THRUST_200600_302600_NS6detail15normal_iteratorINS9_10device_ptrIiEEEESE_SE_iNS9_4plusIvEENS9_8equal_toIiEEiEE10hipError_tPvRmT2_T3_T4_T5_mT6_T7_P12ihipStream_tbENKUlT_T0_E_clISt17integral_constantIbLb0EESY_IbLb1EEEEDaSU_SV_EUlSU_E_NS1_11comp_targetILNS1_3genE2ELNS1_11target_archE906ELNS1_3gpuE6ELNS1_3repE0EEENS1_30default_config_static_selectorELNS0_4arch9wavefront6targetE0EEEvT1_,"axG",@progbits,_ZN7rocprim17ROCPRIM_400000_NS6detail17trampoline_kernelINS0_14default_configENS1_27scan_by_key_config_selectorIiiEEZZNS1_16scan_by_key_implILNS1_25lookback_scan_determinismE0ELb0ES3_N6thrust23THRUST_200600_302600_NS6detail15normal_iteratorINS9_10device_ptrIiEEEESE_SE_iNS9_4plusIvEENS9_8equal_toIiEEiEE10hipError_tPvRmT2_T3_T4_T5_mT6_T7_P12ihipStream_tbENKUlT_T0_E_clISt17integral_constantIbLb0EESY_IbLb1EEEEDaSU_SV_EUlSU_E_NS1_11comp_targetILNS1_3genE2ELNS1_11target_archE906ELNS1_3gpuE6ELNS1_3repE0EEENS1_30default_config_static_selectorELNS0_4arch9wavefront6targetE0EEEvT1_,comdat
	.protected	_ZN7rocprim17ROCPRIM_400000_NS6detail17trampoline_kernelINS0_14default_configENS1_27scan_by_key_config_selectorIiiEEZZNS1_16scan_by_key_implILNS1_25lookback_scan_determinismE0ELb0ES3_N6thrust23THRUST_200600_302600_NS6detail15normal_iteratorINS9_10device_ptrIiEEEESE_SE_iNS9_4plusIvEENS9_8equal_toIiEEiEE10hipError_tPvRmT2_T3_T4_T5_mT6_T7_P12ihipStream_tbENKUlT_T0_E_clISt17integral_constantIbLb0EESY_IbLb1EEEEDaSU_SV_EUlSU_E_NS1_11comp_targetILNS1_3genE2ELNS1_11target_archE906ELNS1_3gpuE6ELNS1_3repE0EEENS1_30default_config_static_selectorELNS0_4arch9wavefront6targetE0EEEvT1_ ; -- Begin function _ZN7rocprim17ROCPRIM_400000_NS6detail17trampoline_kernelINS0_14default_configENS1_27scan_by_key_config_selectorIiiEEZZNS1_16scan_by_key_implILNS1_25lookback_scan_determinismE0ELb0ES3_N6thrust23THRUST_200600_302600_NS6detail15normal_iteratorINS9_10device_ptrIiEEEESE_SE_iNS9_4plusIvEENS9_8equal_toIiEEiEE10hipError_tPvRmT2_T3_T4_T5_mT6_T7_P12ihipStream_tbENKUlT_T0_E_clISt17integral_constantIbLb0EESY_IbLb1EEEEDaSU_SV_EUlSU_E_NS1_11comp_targetILNS1_3genE2ELNS1_11target_archE906ELNS1_3gpuE6ELNS1_3repE0EEENS1_30default_config_static_selectorELNS0_4arch9wavefront6targetE0EEEvT1_
	.globl	_ZN7rocprim17ROCPRIM_400000_NS6detail17trampoline_kernelINS0_14default_configENS1_27scan_by_key_config_selectorIiiEEZZNS1_16scan_by_key_implILNS1_25lookback_scan_determinismE0ELb0ES3_N6thrust23THRUST_200600_302600_NS6detail15normal_iteratorINS9_10device_ptrIiEEEESE_SE_iNS9_4plusIvEENS9_8equal_toIiEEiEE10hipError_tPvRmT2_T3_T4_T5_mT6_T7_P12ihipStream_tbENKUlT_T0_E_clISt17integral_constantIbLb0EESY_IbLb1EEEEDaSU_SV_EUlSU_E_NS1_11comp_targetILNS1_3genE2ELNS1_11target_archE906ELNS1_3gpuE6ELNS1_3repE0EEENS1_30default_config_static_selectorELNS0_4arch9wavefront6targetE0EEEvT1_
	.p2align	8
	.type	_ZN7rocprim17ROCPRIM_400000_NS6detail17trampoline_kernelINS0_14default_configENS1_27scan_by_key_config_selectorIiiEEZZNS1_16scan_by_key_implILNS1_25lookback_scan_determinismE0ELb0ES3_N6thrust23THRUST_200600_302600_NS6detail15normal_iteratorINS9_10device_ptrIiEEEESE_SE_iNS9_4plusIvEENS9_8equal_toIiEEiEE10hipError_tPvRmT2_T3_T4_T5_mT6_T7_P12ihipStream_tbENKUlT_T0_E_clISt17integral_constantIbLb0EESY_IbLb1EEEEDaSU_SV_EUlSU_E_NS1_11comp_targetILNS1_3genE2ELNS1_11target_archE906ELNS1_3gpuE6ELNS1_3repE0EEENS1_30default_config_static_selectorELNS0_4arch9wavefront6targetE0EEEvT1_,@function
_ZN7rocprim17ROCPRIM_400000_NS6detail17trampoline_kernelINS0_14default_configENS1_27scan_by_key_config_selectorIiiEEZZNS1_16scan_by_key_implILNS1_25lookback_scan_determinismE0ELb0ES3_N6thrust23THRUST_200600_302600_NS6detail15normal_iteratorINS9_10device_ptrIiEEEESE_SE_iNS9_4plusIvEENS9_8equal_toIiEEiEE10hipError_tPvRmT2_T3_T4_T5_mT6_T7_P12ihipStream_tbENKUlT_T0_E_clISt17integral_constantIbLb0EESY_IbLb1EEEEDaSU_SV_EUlSU_E_NS1_11comp_targetILNS1_3genE2ELNS1_11target_archE906ELNS1_3gpuE6ELNS1_3repE0EEENS1_30default_config_static_selectorELNS0_4arch9wavefront6targetE0EEEvT1_: ; @_ZN7rocprim17ROCPRIM_400000_NS6detail17trampoline_kernelINS0_14default_configENS1_27scan_by_key_config_selectorIiiEEZZNS1_16scan_by_key_implILNS1_25lookback_scan_determinismE0ELb0ES3_N6thrust23THRUST_200600_302600_NS6detail15normal_iteratorINS9_10device_ptrIiEEEESE_SE_iNS9_4plusIvEENS9_8equal_toIiEEiEE10hipError_tPvRmT2_T3_T4_T5_mT6_T7_P12ihipStream_tbENKUlT_T0_E_clISt17integral_constantIbLb0EESY_IbLb1EEEEDaSU_SV_EUlSU_E_NS1_11comp_targetILNS1_3genE2ELNS1_11target_archE906ELNS1_3gpuE6ELNS1_3repE0EEENS1_30default_config_static_selectorELNS0_4arch9wavefront6targetE0EEEvT1_
; %bb.0:
	.section	.rodata,"a",@progbits
	.p2align	6, 0x0
	.amdhsa_kernel _ZN7rocprim17ROCPRIM_400000_NS6detail17trampoline_kernelINS0_14default_configENS1_27scan_by_key_config_selectorIiiEEZZNS1_16scan_by_key_implILNS1_25lookback_scan_determinismE0ELb0ES3_N6thrust23THRUST_200600_302600_NS6detail15normal_iteratorINS9_10device_ptrIiEEEESE_SE_iNS9_4plusIvEENS9_8equal_toIiEEiEE10hipError_tPvRmT2_T3_T4_T5_mT6_T7_P12ihipStream_tbENKUlT_T0_E_clISt17integral_constantIbLb0EESY_IbLb1EEEEDaSU_SV_EUlSU_E_NS1_11comp_targetILNS1_3genE2ELNS1_11target_archE906ELNS1_3gpuE6ELNS1_3repE0EEENS1_30default_config_static_selectorELNS0_4arch9wavefront6targetE0EEEvT1_
		.amdhsa_group_segment_fixed_size 0
		.amdhsa_private_segment_fixed_size 0
		.amdhsa_kernarg_size 112
		.amdhsa_user_sgpr_count 2
		.amdhsa_user_sgpr_dispatch_ptr 0
		.amdhsa_user_sgpr_queue_ptr 0
		.amdhsa_user_sgpr_kernarg_segment_ptr 1
		.amdhsa_user_sgpr_dispatch_id 0
		.amdhsa_user_sgpr_kernarg_preload_length 0
		.amdhsa_user_sgpr_kernarg_preload_offset 0
		.amdhsa_user_sgpr_private_segment_size 0
		.amdhsa_wavefront_size32 1
		.amdhsa_uses_dynamic_stack 0
		.amdhsa_enable_private_segment 0
		.amdhsa_system_sgpr_workgroup_id_x 1
		.amdhsa_system_sgpr_workgroup_id_y 0
		.amdhsa_system_sgpr_workgroup_id_z 0
		.amdhsa_system_sgpr_workgroup_info 0
		.amdhsa_system_vgpr_workitem_id 0
		.amdhsa_next_free_vgpr 1
		.amdhsa_next_free_sgpr 1
		.amdhsa_named_barrier_count 0
		.amdhsa_reserve_vcc 0
		.amdhsa_float_round_mode_32 0
		.amdhsa_float_round_mode_16_64 0
		.amdhsa_float_denorm_mode_32 3
		.amdhsa_float_denorm_mode_16_64 3
		.amdhsa_fp16_overflow 0
		.amdhsa_memory_ordered 1
		.amdhsa_forward_progress 1
		.amdhsa_inst_pref_size 0
		.amdhsa_round_robin_scheduling 0
		.amdhsa_exception_fp_ieee_invalid_op 0
		.amdhsa_exception_fp_denorm_src 0
		.amdhsa_exception_fp_ieee_div_zero 0
		.amdhsa_exception_fp_ieee_overflow 0
		.amdhsa_exception_fp_ieee_underflow 0
		.amdhsa_exception_fp_ieee_inexact 0
		.amdhsa_exception_int_div_zero 0
	.end_amdhsa_kernel
	.section	.text._ZN7rocprim17ROCPRIM_400000_NS6detail17trampoline_kernelINS0_14default_configENS1_27scan_by_key_config_selectorIiiEEZZNS1_16scan_by_key_implILNS1_25lookback_scan_determinismE0ELb0ES3_N6thrust23THRUST_200600_302600_NS6detail15normal_iteratorINS9_10device_ptrIiEEEESE_SE_iNS9_4plusIvEENS9_8equal_toIiEEiEE10hipError_tPvRmT2_T3_T4_T5_mT6_T7_P12ihipStream_tbENKUlT_T0_E_clISt17integral_constantIbLb0EESY_IbLb1EEEEDaSU_SV_EUlSU_E_NS1_11comp_targetILNS1_3genE2ELNS1_11target_archE906ELNS1_3gpuE6ELNS1_3repE0EEENS1_30default_config_static_selectorELNS0_4arch9wavefront6targetE0EEEvT1_,"axG",@progbits,_ZN7rocprim17ROCPRIM_400000_NS6detail17trampoline_kernelINS0_14default_configENS1_27scan_by_key_config_selectorIiiEEZZNS1_16scan_by_key_implILNS1_25lookback_scan_determinismE0ELb0ES3_N6thrust23THRUST_200600_302600_NS6detail15normal_iteratorINS9_10device_ptrIiEEEESE_SE_iNS9_4plusIvEENS9_8equal_toIiEEiEE10hipError_tPvRmT2_T3_T4_T5_mT6_T7_P12ihipStream_tbENKUlT_T0_E_clISt17integral_constantIbLb0EESY_IbLb1EEEEDaSU_SV_EUlSU_E_NS1_11comp_targetILNS1_3genE2ELNS1_11target_archE906ELNS1_3gpuE6ELNS1_3repE0EEENS1_30default_config_static_selectorELNS0_4arch9wavefront6targetE0EEEvT1_,comdat
.Lfunc_end232:
	.size	_ZN7rocprim17ROCPRIM_400000_NS6detail17trampoline_kernelINS0_14default_configENS1_27scan_by_key_config_selectorIiiEEZZNS1_16scan_by_key_implILNS1_25lookback_scan_determinismE0ELb0ES3_N6thrust23THRUST_200600_302600_NS6detail15normal_iteratorINS9_10device_ptrIiEEEESE_SE_iNS9_4plusIvEENS9_8equal_toIiEEiEE10hipError_tPvRmT2_T3_T4_T5_mT6_T7_P12ihipStream_tbENKUlT_T0_E_clISt17integral_constantIbLb0EESY_IbLb1EEEEDaSU_SV_EUlSU_E_NS1_11comp_targetILNS1_3genE2ELNS1_11target_archE906ELNS1_3gpuE6ELNS1_3repE0EEENS1_30default_config_static_selectorELNS0_4arch9wavefront6targetE0EEEvT1_, .Lfunc_end232-_ZN7rocprim17ROCPRIM_400000_NS6detail17trampoline_kernelINS0_14default_configENS1_27scan_by_key_config_selectorIiiEEZZNS1_16scan_by_key_implILNS1_25lookback_scan_determinismE0ELb0ES3_N6thrust23THRUST_200600_302600_NS6detail15normal_iteratorINS9_10device_ptrIiEEEESE_SE_iNS9_4plusIvEENS9_8equal_toIiEEiEE10hipError_tPvRmT2_T3_T4_T5_mT6_T7_P12ihipStream_tbENKUlT_T0_E_clISt17integral_constantIbLb0EESY_IbLb1EEEEDaSU_SV_EUlSU_E_NS1_11comp_targetILNS1_3genE2ELNS1_11target_archE906ELNS1_3gpuE6ELNS1_3repE0EEENS1_30default_config_static_selectorELNS0_4arch9wavefront6targetE0EEEvT1_
                                        ; -- End function
	.set _ZN7rocprim17ROCPRIM_400000_NS6detail17trampoline_kernelINS0_14default_configENS1_27scan_by_key_config_selectorIiiEEZZNS1_16scan_by_key_implILNS1_25lookback_scan_determinismE0ELb0ES3_N6thrust23THRUST_200600_302600_NS6detail15normal_iteratorINS9_10device_ptrIiEEEESE_SE_iNS9_4plusIvEENS9_8equal_toIiEEiEE10hipError_tPvRmT2_T3_T4_T5_mT6_T7_P12ihipStream_tbENKUlT_T0_E_clISt17integral_constantIbLb0EESY_IbLb1EEEEDaSU_SV_EUlSU_E_NS1_11comp_targetILNS1_3genE2ELNS1_11target_archE906ELNS1_3gpuE6ELNS1_3repE0EEENS1_30default_config_static_selectorELNS0_4arch9wavefront6targetE0EEEvT1_.num_vgpr, 0
	.set _ZN7rocprim17ROCPRIM_400000_NS6detail17trampoline_kernelINS0_14default_configENS1_27scan_by_key_config_selectorIiiEEZZNS1_16scan_by_key_implILNS1_25lookback_scan_determinismE0ELb0ES3_N6thrust23THRUST_200600_302600_NS6detail15normal_iteratorINS9_10device_ptrIiEEEESE_SE_iNS9_4plusIvEENS9_8equal_toIiEEiEE10hipError_tPvRmT2_T3_T4_T5_mT6_T7_P12ihipStream_tbENKUlT_T0_E_clISt17integral_constantIbLb0EESY_IbLb1EEEEDaSU_SV_EUlSU_E_NS1_11comp_targetILNS1_3genE2ELNS1_11target_archE906ELNS1_3gpuE6ELNS1_3repE0EEENS1_30default_config_static_selectorELNS0_4arch9wavefront6targetE0EEEvT1_.num_agpr, 0
	.set _ZN7rocprim17ROCPRIM_400000_NS6detail17trampoline_kernelINS0_14default_configENS1_27scan_by_key_config_selectorIiiEEZZNS1_16scan_by_key_implILNS1_25lookback_scan_determinismE0ELb0ES3_N6thrust23THRUST_200600_302600_NS6detail15normal_iteratorINS9_10device_ptrIiEEEESE_SE_iNS9_4plusIvEENS9_8equal_toIiEEiEE10hipError_tPvRmT2_T3_T4_T5_mT6_T7_P12ihipStream_tbENKUlT_T0_E_clISt17integral_constantIbLb0EESY_IbLb1EEEEDaSU_SV_EUlSU_E_NS1_11comp_targetILNS1_3genE2ELNS1_11target_archE906ELNS1_3gpuE6ELNS1_3repE0EEENS1_30default_config_static_selectorELNS0_4arch9wavefront6targetE0EEEvT1_.numbered_sgpr, 0
	.set _ZN7rocprim17ROCPRIM_400000_NS6detail17trampoline_kernelINS0_14default_configENS1_27scan_by_key_config_selectorIiiEEZZNS1_16scan_by_key_implILNS1_25lookback_scan_determinismE0ELb0ES3_N6thrust23THRUST_200600_302600_NS6detail15normal_iteratorINS9_10device_ptrIiEEEESE_SE_iNS9_4plusIvEENS9_8equal_toIiEEiEE10hipError_tPvRmT2_T3_T4_T5_mT6_T7_P12ihipStream_tbENKUlT_T0_E_clISt17integral_constantIbLb0EESY_IbLb1EEEEDaSU_SV_EUlSU_E_NS1_11comp_targetILNS1_3genE2ELNS1_11target_archE906ELNS1_3gpuE6ELNS1_3repE0EEENS1_30default_config_static_selectorELNS0_4arch9wavefront6targetE0EEEvT1_.num_named_barrier, 0
	.set _ZN7rocprim17ROCPRIM_400000_NS6detail17trampoline_kernelINS0_14default_configENS1_27scan_by_key_config_selectorIiiEEZZNS1_16scan_by_key_implILNS1_25lookback_scan_determinismE0ELb0ES3_N6thrust23THRUST_200600_302600_NS6detail15normal_iteratorINS9_10device_ptrIiEEEESE_SE_iNS9_4plusIvEENS9_8equal_toIiEEiEE10hipError_tPvRmT2_T3_T4_T5_mT6_T7_P12ihipStream_tbENKUlT_T0_E_clISt17integral_constantIbLb0EESY_IbLb1EEEEDaSU_SV_EUlSU_E_NS1_11comp_targetILNS1_3genE2ELNS1_11target_archE906ELNS1_3gpuE6ELNS1_3repE0EEENS1_30default_config_static_selectorELNS0_4arch9wavefront6targetE0EEEvT1_.private_seg_size, 0
	.set _ZN7rocprim17ROCPRIM_400000_NS6detail17trampoline_kernelINS0_14default_configENS1_27scan_by_key_config_selectorIiiEEZZNS1_16scan_by_key_implILNS1_25lookback_scan_determinismE0ELb0ES3_N6thrust23THRUST_200600_302600_NS6detail15normal_iteratorINS9_10device_ptrIiEEEESE_SE_iNS9_4plusIvEENS9_8equal_toIiEEiEE10hipError_tPvRmT2_T3_T4_T5_mT6_T7_P12ihipStream_tbENKUlT_T0_E_clISt17integral_constantIbLb0EESY_IbLb1EEEEDaSU_SV_EUlSU_E_NS1_11comp_targetILNS1_3genE2ELNS1_11target_archE906ELNS1_3gpuE6ELNS1_3repE0EEENS1_30default_config_static_selectorELNS0_4arch9wavefront6targetE0EEEvT1_.uses_vcc, 0
	.set _ZN7rocprim17ROCPRIM_400000_NS6detail17trampoline_kernelINS0_14default_configENS1_27scan_by_key_config_selectorIiiEEZZNS1_16scan_by_key_implILNS1_25lookback_scan_determinismE0ELb0ES3_N6thrust23THRUST_200600_302600_NS6detail15normal_iteratorINS9_10device_ptrIiEEEESE_SE_iNS9_4plusIvEENS9_8equal_toIiEEiEE10hipError_tPvRmT2_T3_T4_T5_mT6_T7_P12ihipStream_tbENKUlT_T0_E_clISt17integral_constantIbLb0EESY_IbLb1EEEEDaSU_SV_EUlSU_E_NS1_11comp_targetILNS1_3genE2ELNS1_11target_archE906ELNS1_3gpuE6ELNS1_3repE0EEENS1_30default_config_static_selectorELNS0_4arch9wavefront6targetE0EEEvT1_.uses_flat_scratch, 0
	.set _ZN7rocprim17ROCPRIM_400000_NS6detail17trampoline_kernelINS0_14default_configENS1_27scan_by_key_config_selectorIiiEEZZNS1_16scan_by_key_implILNS1_25lookback_scan_determinismE0ELb0ES3_N6thrust23THRUST_200600_302600_NS6detail15normal_iteratorINS9_10device_ptrIiEEEESE_SE_iNS9_4plusIvEENS9_8equal_toIiEEiEE10hipError_tPvRmT2_T3_T4_T5_mT6_T7_P12ihipStream_tbENKUlT_T0_E_clISt17integral_constantIbLb0EESY_IbLb1EEEEDaSU_SV_EUlSU_E_NS1_11comp_targetILNS1_3genE2ELNS1_11target_archE906ELNS1_3gpuE6ELNS1_3repE0EEENS1_30default_config_static_selectorELNS0_4arch9wavefront6targetE0EEEvT1_.has_dyn_sized_stack, 0
	.set _ZN7rocprim17ROCPRIM_400000_NS6detail17trampoline_kernelINS0_14default_configENS1_27scan_by_key_config_selectorIiiEEZZNS1_16scan_by_key_implILNS1_25lookback_scan_determinismE0ELb0ES3_N6thrust23THRUST_200600_302600_NS6detail15normal_iteratorINS9_10device_ptrIiEEEESE_SE_iNS9_4plusIvEENS9_8equal_toIiEEiEE10hipError_tPvRmT2_T3_T4_T5_mT6_T7_P12ihipStream_tbENKUlT_T0_E_clISt17integral_constantIbLb0EESY_IbLb1EEEEDaSU_SV_EUlSU_E_NS1_11comp_targetILNS1_3genE2ELNS1_11target_archE906ELNS1_3gpuE6ELNS1_3repE0EEENS1_30default_config_static_selectorELNS0_4arch9wavefront6targetE0EEEvT1_.has_recursion, 0
	.set _ZN7rocprim17ROCPRIM_400000_NS6detail17trampoline_kernelINS0_14default_configENS1_27scan_by_key_config_selectorIiiEEZZNS1_16scan_by_key_implILNS1_25lookback_scan_determinismE0ELb0ES3_N6thrust23THRUST_200600_302600_NS6detail15normal_iteratorINS9_10device_ptrIiEEEESE_SE_iNS9_4plusIvEENS9_8equal_toIiEEiEE10hipError_tPvRmT2_T3_T4_T5_mT6_T7_P12ihipStream_tbENKUlT_T0_E_clISt17integral_constantIbLb0EESY_IbLb1EEEEDaSU_SV_EUlSU_E_NS1_11comp_targetILNS1_3genE2ELNS1_11target_archE906ELNS1_3gpuE6ELNS1_3repE0EEENS1_30default_config_static_selectorELNS0_4arch9wavefront6targetE0EEEvT1_.has_indirect_call, 0
	.section	.AMDGPU.csdata,"",@progbits
; Kernel info:
; codeLenInByte = 0
; TotalNumSgprs: 0
; NumVgprs: 0
; ScratchSize: 0
; MemoryBound: 0
; FloatMode: 240
; IeeeMode: 1
; LDSByteSize: 0 bytes/workgroup (compile time only)
; SGPRBlocks: 0
; VGPRBlocks: 0
; NumSGPRsForWavesPerEU: 1
; NumVGPRsForWavesPerEU: 1
; NamedBarCnt: 0
; Occupancy: 16
; WaveLimiterHint : 0
; COMPUTE_PGM_RSRC2:SCRATCH_EN: 0
; COMPUTE_PGM_RSRC2:USER_SGPR: 2
; COMPUTE_PGM_RSRC2:TRAP_HANDLER: 0
; COMPUTE_PGM_RSRC2:TGID_X_EN: 1
; COMPUTE_PGM_RSRC2:TGID_Y_EN: 0
; COMPUTE_PGM_RSRC2:TGID_Z_EN: 0
; COMPUTE_PGM_RSRC2:TIDIG_COMP_CNT: 0
	.section	.text._ZN7rocprim17ROCPRIM_400000_NS6detail17trampoline_kernelINS0_14default_configENS1_27scan_by_key_config_selectorIiiEEZZNS1_16scan_by_key_implILNS1_25lookback_scan_determinismE0ELb0ES3_N6thrust23THRUST_200600_302600_NS6detail15normal_iteratorINS9_10device_ptrIiEEEESE_SE_iNS9_4plusIvEENS9_8equal_toIiEEiEE10hipError_tPvRmT2_T3_T4_T5_mT6_T7_P12ihipStream_tbENKUlT_T0_E_clISt17integral_constantIbLb0EESY_IbLb1EEEEDaSU_SV_EUlSU_E_NS1_11comp_targetILNS1_3genE10ELNS1_11target_archE1200ELNS1_3gpuE4ELNS1_3repE0EEENS1_30default_config_static_selectorELNS0_4arch9wavefront6targetE0EEEvT1_,"axG",@progbits,_ZN7rocprim17ROCPRIM_400000_NS6detail17trampoline_kernelINS0_14default_configENS1_27scan_by_key_config_selectorIiiEEZZNS1_16scan_by_key_implILNS1_25lookback_scan_determinismE0ELb0ES3_N6thrust23THRUST_200600_302600_NS6detail15normal_iteratorINS9_10device_ptrIiEEEESE_SE_iNS9_4plusIvEENS9_8equal_toIiEEiEE10hipError_tPvRmT2_T3_T4_T5_mT6_T7_P12ihipStream_tbENKUlT_T0_E_clISt17integral_constantIbLb0EESY_IbLb1EEEEDaSU_SV_EUlSU_E_NS1_11comp_targetILNS1_3genE10ELNS1_11target_archE1200ELNS1_3gpuE4ELNS1_3repE0EEENS1_30default_config_static_selectorELNS0_4arch9wavefront6targetE0EEEvT1_,comdat
	.protected	_ZN7rocprim17ROCPRIM_400000_NS6detail17trampoline_kernelINS0_14default_configENS1_27scan_by_key_config_selectorIiiEEZZNS1_16scan_by_key_implILNS1_25lookback_scan_determinismE0ELb0ES3_N6thrust23THRUST_200600_302600_NS6detail15normal_iteratorINS9_10device_ptrIiEEEESE_SE_iNS9_4plusIvEENS9_8equal_toIiEEiEE10hipError_tPvRmT2_T3_T4_T5_mT6_T7_P12ihipStream_tbENKUlT_T0_E_clISt17integral_constantIbLb0EESY_IbLb1EEEEDaSU_SV_EUlSU_E_NS1_11comp_targetILNS1_3genE10ELNS1_11target_archE1200ELNS1_3gpuE4ELNS1_3repE0EEENS1_30default_config_static_selectorELNS0_4arch9wavefront6targetE0EEEvT1_ ; -- Begin function _ZN7rocprim17ROCPRIM_400000_NS6detail17trampoline_kernelINS0_14default_configENS1_27scan_by_key_config_selectorIiiEEZZNS1_16scan_by_key_implILNS1_25lookback_scan_determinismE0ELb0ES3_N6thrust23THRUST_200600_302600_NS6detail15normal_iteratorINS9_10device_ptrIiEEEESE_SE_iNS9_4plusIvEENS9_8equal_toIiEEiEE10hipError_tPvRmT2_T3_T4_T5_mT6_T7_P12ihipStream_tbENKUlT_T0_E_clISt17integral_constantIbLb0EESY_IbLb1EEEEDaSU_SV_EUlSU_E_NS1_11comp_targetILNS1_3genE10ELNS1_11target_archE1200ELNS1_3gpuE4ELNS1_3repE0EEENS1_30default_config_static_selectorELNS0_4arch9wavefront6targetE0EEEvT1_
	.globl	_ZN7rocprim17ROCPRIM_400000_NS6detail17trampoline_kernelINS0_14default_configENS1_27scan_by_key_config_selectorIiiEEZZNS1_16scan_by_key_implILNS1_25lookback_scan_determinismE0ELb0ES3_N6thrust23THRUST_200600_302600_NS6detail15normal_iteratorINS9_10device_ptrIiEEEESE_SE_iNS9_4plusIvEENS9_8equal_toIiEEiEE10hipError_tPvRmT2_T3_T4_T5_mT6_T7_P12ihipStream_tbENKUlT_T0_E_clISt17integral_constantIbLb0EESY_IbLb1EEEEDaSU_SV_EUlSU_E_NS1_11comp_targetILNS1_3genE10ELNS1_11target_archE1200ELNS1_3gpuE4ELNS1_3repE0EEENS1_30default_config_static_selectorELNS0_4arch9wavefront6targetE0EEEvT1_
	.p2align	8
	.type	_ZN7rocprim17ROCPRIM_400000_NS6detail17trampoline_kernelINS0_14default_configENS1_27scan_by_key_config_selectorIiiEEZZNS1_16scan_by_key_implILNS1_25lookback_scan_determinismE0ELb0ES3_N6thrust23THRUST_200600_302600_NS6detail15normal_iteratorINS9_10device_ptrIiEEEESE_SE_iNS9_4plusIvEENS9_8equal_toIiEEiEE10hipError_tPvRmT2_T3_T4_T5_mT6_T7_P12ihipStream_tbENKUlT_T0_E_clISt17integral_constantIbLb0EESY_IbLb1EEEEDaSU_SV_EUlSU_E_NS1_11comp_targetILNS1_3genE10ELNS1_11target_archE1200ELNS1_3gpuE4ELNS1_3repE0EEENS1_30default_config_static_selectorELNS0_4arch9wavefront6targetE0EEEvT1_,@function
_ZN7rocprim17ROCPRIM_400000_NS6detail17trampoline_kernelINS0_14default_configENS1_27scan_by_key_config_selectorIiiEEZZNS1_16scan_by_key_implILNS1_25lookback_scan_determinismE0ELb0ES3_N6thrust23THRUST_200600_302600_NS6detail15normal_iteratorINS9_10device_ptrIiEEEESE_SE_iNS9_4plusIvEENS9_8equal_toIiEEiEE10hipError_tPvRmT2_T3_T4_T5_mT6_T7_P12ihipStream_tbENKUlT_T0_E_clISt17integral_constantIbLb0EESY_IbLb1EEEEDaSU_SV_EUlSU_E_NS1_11comp_targetILNS1_3genE10ELNS1_11target_archE1200ELNS1_3gpuE4ELNS1_3repE0EEENS1_30default_config_static_selectorELNS0_4arch9wavefront6targetE0EEEvT1_: ; @_ZN7rocprim17ROCPRIM_400000_NS6detail17trampoline_kernelINS0_14default_configENS1_27scan_by_key_config_selectorIiiEEZZNS1_16scan_by_key_implILNS1_25lookback_scan_determinismE0ELb0ES3_N6thrust23THRUST_200600_302600_NS6detail15normal_iteratorINS9_10device_ptrIiEEEESE_SE_iNS9_4plusIvEENS9_8equal_toIiEEiEE10hipError_tPvRmT2_T3_T4_T5_mT6_T7_P12ihipStream_tbENKUlT_T0_E_clISt17integral_constantIbLb0EESY_IbLb1EEEEDaSU_SV_EUlSU_E_NS1_11comp_targetILNS1_3genE10ELNS1_11target_archE1200ELNS1_3gpuE4ELNS1_3repE0EEENS1_30default_config_static_selectorELNS0_4arch9wavefront6targetE0EEEvT1_
; %bb.0:
	.section	.rodata,"a",@progbits
	.p2align	6, 0x0
	.amdhsa_kernel _ZN7rocprim17ROCPRIM_400000_NS6detail17trampoline_kernelINS0_14default_configENS1_27scan_by_key_config_selectorIiiEEZZNS1_16scan_by_key_implILNS1_25lookback_scan_determinismE0ELb0ES3_N6thrust23THRUST_200600_302600_NS6detail15normal_iteratorINS9_10device_ptrIiEEEESE_SE_iNS9_4plusIvEENS9_8equal_toIiEEiEE10hipError_tPvRmT2_T3_T4_T5_mT6_T7_P12ihipStream_tbENKUlT_T0_E_clISt17integral_constantIbLb0EESY_IbLb1EEEEDaSU_SV_EUlSU_E_NS1_11comp_targetILNS1_3genE10ELNS1_11target_archE1200ELNS1_3gpuE4ELNS1_3repE0EEENS1_30default_config_static_selectorELNS0_4arch9wavefront6targetE0EEEvT1_
		.amdhsa_group_segment_fixed_size 0
		.amdhsa_private_segment_fixed_size 0
		.amdhsa_kernarg_size 112
		.amdhsa_user_sgpr_count 2
		.amdhsa_user_sgpr_dispatch_ptr 0
		.amdhsa_user_sgpr_queue_ptr 0
		.amdhsa_user_sgpr_kernarg_segment_ptr 1
		.amdhsa_user_sgpr_dispatch_id 0
		.amdhsa_user_sgpr_kernarg_preload_length 0
		.amdhsa_user_sgpr_kernarg_preload_offset 0
		.amdhsa_user_sgpr_private_segment_size 0
		.amdhsa_wavefront_size32 1
		.amdhsa_uses_dynamic_stack 0
		.amdhsa_enable_private_segment 0
		.amdhsa_system_sgpr_workgroup_id_x 1
		.amdhsa_system_sgpr_workgroup_id_y 0
		.amdhsa_system_sgpr_workgroup_id_z 0
		.amdhsa_system_sgpr_workgroup_info 0
		.amdhsa_system_vgpr_workitem_id 0
		.amdhsa_next_free_vgpr 1
		.amdhsa_next_free_sgpr 1
		.amdhsa_named_barrier_count 0
		.amdhsa_reserve_vcc 0
		.amdhsa_float_round_mode_32 0
		.amdhsa_float_round_mode_16_64 0
		.amdhsa_float_denorm_mode_32 3
		.amdhsa_float_denorm_mode_16_64 3
		.amdhsa_fp16_overflow 0
		.amdhsa_memory_ordered 1
		.amdhsa_forward_progress 1
		.amdhsa_inst_pref_size 0
		.amdhsa_round_robin_scheduling 0
		.amdhsa_exception_fp_ieee_invalid_op 0
		.amdhsa_exception_fp_denorm_src 0
		.amdhsa_exception_fp_ieee_div_zero 0
		.amdhsa_exception_fp_ieee_overflow 0
		.amdhsa_exception_fp_ieee_underflow 0
		.amdhsa_exception_fp_ieee_inexact 0
		.amdhsa_exception_int_div_zero 0
	.end_amdhsa_kernel
	.section	.text._ZN7rocprim17ROCPRIM_400000_NS6detail17trampoline_kernelINS0_14default_configENS1_27scan_by_key_config_selectorIiiEEZZNS1_16scan_by_key_implILNS1_25lookback_scan_determinismE0ELb0ES3_N6thrust23THRUST_200600_302600_NS6detail15normal_iteratorINS9_10device_ptrIiEEEESE_SE_iNS9_4plusIvEENS9_8equal_toIiEEiEE10hipError_tPvRmT2_T3_T4_T5_mT6_T7_P12ihipStream_tbENKUlT_T0_E_clISt17integral_constantIbLb0EESY_IbLb1EEEEDaSU_SV_EUlSU_E_NS1_11comp_targetILNS1_3genE10ELNS1_11target_archE1200ELNS1_3gpuE4ELNS1_3repE0EEENS1_30default_config_static_selectorELNS0_4arch9wavefront6targetE0EEEvT1_,"axG",@progbits,_ZN7rocprim17ROCPRIM_400000_NS6detail17trampoline_kernelINS0_14default_configENS1_27scan_by_key_config_selectorIiiEEZZNS1_16scan_by_key_implILNS1_25lookback_scan_determinismE0ELb0ES3_N6thrust23THRUST_200600_302600_NS6detail15normal_iteratorINS9_10device_ptrIiEEEESE_SE_iNS9_4plusIvEENS9_8equal_toIiEEiEE10hipError_tPvRmT2_T3_T4_T5_mT6_T7_P12ihipStream_tbENKUlT_T0_E_clISt17integral_constantIbLb0EESY_IbLb1EEEEDaSU_SV_EUlSU_E_NS1_11comp_targetILNS1_3genE10ELNS1_11target_archE1200ELNS1_3gpuE4ELNS1_3repE0EEENS1_30default_config_static_selectorELNS0_4arch9wavefront6targetE0EEEvT1_,comdat
.Lfunc_end233:
	.size	_ZN7rocprim17ROCPRIM_400000_NS6detail17trampoline_kernelINS0_14default_configENS1_27scan_by_key_config_selectorIiiEEZZNS1_16scan_by_key_implILNS1_25lookback_scan_determinismE0ELb0ES3_N6thrust23THRUST_200600_302600_NS6detail15normal_iteratorINS9_10device_ptrIiEEEESE_SE_iNS9_4plusIvEENS9_8equal_toIiEEiEE10hipError_tPvRmT2_T3_T4_T5_mT6_T7_P12ihipStream_tbENKUlT_T0_E_clISt17integral_constantIbLb0EESY_IbLb1EEEEDaSU_SV_EUlSU_E_NS1_11comp_targetILNS1_3genE10ELNS1_11target_archE1200ELNS1_3gpuE4ELNS1_3repE0EEENS1_30default_config_static_selectorELNS0_4arch9wavefront6targetE0EEEvT1_, .Lfunc_end233-_ZN7rocprim17ROCPRIM_400000_NS6detail17trampoline_kernelINS0_14default_configENS1_27scan_by_key_config_selectorIiiEEZZNS1_16scan_by_key_implILNS1_25lookback_scan_determinismE0ELb0ES3_N6thrust23THRUST_200600_302600_NS6detail15normal_iteratorINS9_10device_ptrIiEEEESE_SE_iNS9_4plusIvEENS9_8equal_toIiEEiEE10hipError_tPvRmT2_T3_T4_T5_mT6_T7_P12ihipStream_tbENKUlT_T0_E_clISt17integral_constantIbLb0EESY_IbLb1EEEEDaSU_SV_EUlSU_E_NS1_11comp_targetILNS1_3genE10ELNS1_11target_archE1200ELNS1_3gpuE4ELNS1_3repE0EEENS1_30default_config_static_selectorELNS0_4arch9wavefront6targetE0EEEvT1_
                                        ; -- End function
	.set _ZN7rocprim17ROCPRIM_400000_NS6detail17trampoline_kernelINS0_14default_configENS1_27scan_by_key_config_selectorIiiEEZZNS1_16scan_by_key_implILNS1_25lookback_scan_determinismE0ELb0ES3_N6thrust23THRUST_200600_302600_NS6detail15normal_iteratorINS9_10device_ptrIiEEEESE_SE_iNS9_4plusIvEENS9_8equal_toIiEEiEE10hipError_tPvRmT2_T3_T4_T5_mT6_T7_P12ihipStream_tbENKUlT_T0_E_clISt17integral_constantIbLb0EESY_IbLb1EEEEDaSU_SV_EUlSU_E_NS1_11comp_targetILNS1_3genE10ELNS1_11target_archE1200ELNS1_3gpuE4ELNS1_3repE0EEENS1_30default_config_static_selectorELNS0_4arch9wavefront6targetE0EEEvT1_.num_vgpr, 0
	.set _ZN7rocprim17ROCPRIM_400000_NS6detail17trampoline_kernelINS0_14default_configENS1_27scan_by_key_config_selectorIiiEEZZNS1_16scan_by_key_implILNS1_25lookback_scan_determinismE0ELb0ES3_N6thrust23THRUST_200600_302600_NS6detail15normal_iteratorINS9_10device_ptrIiEEEESE_SE_iNS9_4plusIvEENS9_8equal_toIiEEiEE10hipError_tPvRmT2_T3_T4_T5_mT6_T7_P12ihipStream_tbENKUlT_T0_E_clISt17integral_constantIbLb0EESY_IbLb1EEEEDaSU_SV_EUlSU_E_NS1_11comp_targetILNS1_3genE10ELNS1_11target_archE1200ELNS1_3gpuE4ELNS1_3repE0EEENS1_30default_config_static_selectorELNS0_4arch9wavefront6targetE0EEEvT1_.num_agpr, 0
	.set _ZN7rocprim17ROCPRIM_400000_NS6detail17trampoline_kernelINS0_14default_configENS1_27scan_by_key_config_selectorIiiEEZZNS1_16scan_by_key_implILNS1_25lookback_scan_determinismE0ELb0ES3_N6thrust23THRUST_200600_302600_NS6detail15normal_iteratorINS9_10device_ptrIiEEEESE_SE_iNS9_4plusIvEENS9_8equal_toIiEEiEE10hipError_tPvRmT2_T3_T4_T5_mT6_T7_P12ihipStream_tbENKUlT_T0_E_clISt17integral_constantIbLb0EESY_IbLb1EEEEDaSU_SV_EUlSU_E_NS1_11comp_targetILNS1_3genE10ELNS1_11target_archE1200ELNS1_3gpuE4ELNS1_3repE0EEENS1_30default_config_static_selectorELNS0_4arch9wavefront6targetE0EEEvT1_.numbered_sgpr, 0
	.set _ZN7rocprim17ROCPRIM_400000_NS6detail17trampoline_kernelINS0_14default_configENS1_27scan_by_key_config_selectorIiiEEZZNS1_16scan_by_key_implILNS1_25lookback_scan_determinismE0ELb0ES3_N6thrust23THRUST_200600_302600_NS6detail15normal_iteratorINS9_10device_ptrIiEEEESE_SE_iNS9_4plusIvEENS9_8equal_toIiEEiEE10hipError_tPvRmT2_T3_T4_T5_mT6_T7_P12ihipStream_tbENKUlT_T0_E_clISt17integral_constantIbLb0EESY_IbLb1EEEEDaSU_SV_EUlSU_E_NS1_11comp_targetILNS1_3genE10ELNS1_11target_archE1200ELNS1_3gpuE4ELNS1_3repE0EEENS1_30default_config_static_selectorELNS0_4arch9wavefront6targetE0EEEvT1_.num_named_barrier, 0
	.set _ZN7rocprim17ROCPRIM_400000_NS6detail17trampoline_kernelINS0_14default_configENS1_27scan_by_key_config_selectorIiiEEZZNS1_16scan_by_key_implILNS1_25lookback_scan_determinismE0ELb0ES3_N6thrust23THRUST_200600_302600_NS6detail15normal_iteratorINS9_10device_ptrIiEEEESE_SE_iNS9_4plusIvEENS9_8equal_toIiEEiEE10hipError_tPvRmT2_T3_T4_T5_mT6_T7_P12ihipStream_tbENKUlT_T0_E_clISt17integral_constantIbLb0EESY_IbLb1EEEEDaSU_SV_EUlSU_E_NS1_11comp_targetILNS1_3genE10ELNS1_11target_archE1200ELNS1_3gpuE4ELNS1_3repE0EEENS1_30default_config_static_selectorELNS0_4arch9wavefront6targetE0EEEvT1_.private_seg_size, 0
	.set _ZN7rocprim17ROCPRIM_400000_NS6detail17trampoline_kernelINS0_14default_configENS1_27scan_by_key_config_selectorIiiEEZZNS1_16scan_by_key_implILNS1_25lookback_scan_determinismE0ELb0ES3_N6thrust23THRUST_200600_302600_NS6detail15normal_iteratorINS9_10device_ptrIiEEEESE_SE_iNS9_4plusIvEENS9_8equal_toIiEEiEE10hipError_tPvRmT2_T3_T4_T5_mT6_T7_P12ihipStream_tbENKUlT_T0_E_clISt17integral_constantIbLb0EESY_IbLb1EEEEDaSU_SV_EUlSU_E_NS1_11comp_targetILNS1_3genE10ELNS1_11target_archE1200ELNS1_3gpuE4ELNS1_3repE0EEENS1_30default_config_static_selectorELNS0_4arch9wavefront6targetE0EEEvT1_.uses_vcc, 0
	.set _ZN7rocprim17ROCPRIM_400000_NS6detail17trampoline_kernelINS0_14default_configENS1_27scan_by_key_config_selectorIiiEEZZNS1_16scan_by_key_implILNS1_25lookback_scan_determinismE0ELb0ES3_N6thrust23THRUST_200600_302600_NS6detail15normal_iteratorINS9_10device_ptrIiEEEESE_SE_iNS9_4plusIvEENS9_8equal_toIiEEiEE10hipError_tPvRmT2_T3_T4_T5_mT6_T7_P12ihipStream_tbENKUlT_T0_E_clISt17integral_constantIbLb0EESY_IbLb1EEEEDaSU_SV_EUlSU_E_NS1_11comp_targetILNS1_3genE10ELNS1_11target_archE1200ELNS1_3gpuE4ELNS1_3repE0EEENS1_30default_config_static_selectorELNS0_4arch9wavefront6targetE0EEEvT1_.uses_flat_scratch, 0
	.set _ZN7rocprim17ROCPRIM_400000_NS6detail17trampoline_kernelINS0_14default_configENS1_27scan_by_key_config_selectorIiiEEZZNS1_16scan_by_key_implILNS1_25lookback_scan_determinismE0ELb0ES3_N6thrust23THRUST_200600_302600_NS6detail15normal_iteratorINS9_10device_ptrIiEEEESE_SE_iNS9_4plusIvEENS9_8equal_toIiEEiEE10hipError_tPvRmT2_T3_T4_T5_mT6_T7_P12ihipStream_tbENKUlT_T0_E_clISt17integral_constantIbLb0EESY_IbLb1EEEEDaSU_SV_EUlSU_E_NS1_11comp_targetILNS1_3genE10ELNS1_11target_archE1200ELNS1_3gpuE4ELNS1_3repE0EEENS1_30default_config_static_selectorELNS0_4arch9wavefront6targetE0EEEvT1_.has_dyn_sized_stack, 0
	.set _ZN7rocprim17ROCPRIM_400000_NS6detail17trampoline_kernelINS0_14default_configENS1_27scan_by_key_config_selectorIiiEEZZNS1_16scan_by_key_implILNS1_25lookback_scan_determinismE0ELb0ES3_N6thrust23THRUST_200600_302600_NS6detail15normal_iteratorINS9_10device_ptrIiEEEESE_SE_iNS9_4plusIvEENS9_8equal_toIiEEiEE10hipError_tPvRmT2_T3_T4_T5_mT6_T7_P12ihipStream_tbENKUlT_T0_E_clISt17integral_constantIbLb0EESY_IbLb1EEEEDaSU_SV_EUlSU_E_NS1_11comp_targetILNS1_3genE10ELNS1_11target_archE1200ELNS1_3gpuE4ELNS1_3repE0EEENS1_30default_config_static_selectorELNS0_4arch9wavefront6targetE0EEEvT1_.has_recursion, 0
	.set _ZN7rocprim17ROCPRIM_400000_NS6detail17trampoline_kernelINS0_14default_configENS1_27scan_by_key_config_selectorIiiEEZZNS1_16scan_by_key_implILNS1_25lookback_scan_determinismE0ELb0ES3_N6thrust23THRUST_200600_302600_NS6detail15normal_iteratorINS9_10device_ptrIiEEEESE_SE_iNS9_4plusIvEENS9_8equal_toIiEEiEE10hipError_tPvRmT2_T3_T4_T5_mT6_T7_P12ihipStream_tbENKUlT_T0_E_clISt17integral_constantIbLb0EESY_IbLb1EEEEDaSU_SV_EUlSU_E_NS1_11comp_targetILNS1_3genE10ELNS1_11target_archE1200ELNS1_3gpuE4ELNS1_3repE0EEENS1_30default_config_static_selectorELNS0_4arch9wavefront6targetE0EEEvT1_.has_indirect_call, 0
	.section	.AMDGPU.csdata,"",@progbits
; Kernel info:
; codeLenInByte = 0
; TotalNumSgprs: 0
; NumVgprs: 0
; ScratchSize: 0
; MemoryBound: 0
; FloatMode: 240
; IeeeMode: 1
; LDSByteSize: 0 bytes/workgroup (compile time only)
; SGPRBlocks: 0
; VGPRBlocks: 0
; NumSGPRsForWavesPerEU: 1
; NumVGPRsForWavesPerEU: 1
; NamedBarCnt: 0
; Occupancy: 16
; WaveLimiterHint : 0
; COMPUTE_PGM_RSRC2:SCRATCH_EN: 0
; COMPUTE_PGM_RSRC2:USER_SGPR: 2
; COMPUTE_PGM_RSRC2:TRAP_HANDLER: 0
; COMPUTE_PGM_RSRC2:TGID_X_EN: 1
; COMPUTE_PGM_RSRC2:TGID_Y_EN: 0
; COMPUTE_PGM_RSRC2:TGID_Z_EN: 0
; COMPUTE_PGM_RSRC2:TIDIG_COMP_CNT: 0
	.section	.text._ZN7rocprim17ROCPRIM_400000_NS6detail17trampoline_kernelINS0_14default_configENS1_27scan_by_key_config_selectorIiiEEZZNS1_16scan_by_key_implILNS1_25lookback_scan_determinismE0ELb0ES3_N6thrust23THRUST_200600_302600_NS6detail15normal_iteratorINS9_10device_ptrIiEEEESE_SE_iNS9_4plusIvEENS9_8equal_toIiEEiEE10hipError_tPvRmT2_T3_T4_T5_mT6_T7_P12ihipStream_tbENKUlT_T0_E_clISt17integral_constantIbLb0EESY_IbLb1EEEEDaSU_SV_EUlSU_E_NS1_11comp_targetILNS1_3genE9ELNS1_11target_archE1100ELNS1_3gpuE3ELNS1_3repE0EEENS1_30default_config_static_selectorELNS0_4arch9wavefront6targetE0EEEvT1_,"axG",@progbits,_ZN7rocprim17ROCPRIM_400000_NS6detail17trampoline_kernelINS0_14default_configENS1_27scan_by_key_config_selectorIiiEEZZNS1_16scan_by_key_implILNS1_25lookback_scan_determinismE0ELb0ES3_N6thrust23THRUST_200600_302600_NS6detail15normal_iteratorINS9_10device_ptrIiEEEESE_SE_iNS9_4plusIvEENS9_8equal_toIiEEiEE10hipError_tPvRmT2_T3_T4_T5_mT6_T7_P12ihipStream_tbENKUlT_T0_E_clISt17integral_constantIbLb0EESY_IbLb1EEEEDaSU_SV_EUlSU_E_NS1_11comp_targetILNS1_3genE9ELNS1_11target_archE1100ELNS1_3gpuE3ELNS1_3repE0EEENS1_30default_config_static_selectorELNS0_4arch9wavefront6targetE0EEEvT1_,comdat
	.protected	_ZN7rocprim17ROCPRIM_400000_NS6detail17trampoline_kernelINS0_14default_configENS1_27scan_by_key_config_selectorIiiEEZZNS1_16scan_by_key_implILNS1_25lookback_scan_determinismE0ELb0ES3_N6thrust23THRUST_200600_302600_NS6detail15normal_iteratorINS9_10device_ptrIiEEEESE_SE_iNS9_4plusIvEENS9_8equal_toIiEEiEE10hipError_tPvRmT2_T3_T4_T5_mT6_T7_P12ihipStream_tbENKUlT_T0_E_clISt17integral_constantIbLb0EESY_IbLb1EEEEDaSU_SV_EUlSU_E_NS1_11comp_targetILNS1_3genE9ELNS1_11target_archE1100ELNS1_3gpuE3ELNS1_3repE0EEENS1_30default_config_static_selectorELNS0_4arch9wavefront6targetE0EEEvT1_ ; -- Begin function _ZN7rocprim17ROCPRIM_400000_NS6detail17trampoline_kernelINS0_14default_configENS1_27scan_by_key_config_selectorIiiEEZZNS1_16scan_by_key_implILNS1_25lookback_scan_determinismE0ELb0ES3_N6thrust23THRUST_200600_302600_NS6detail15normal_iteratorINS9_10device_ptrIiEEEESE_SE_iNS9_4plusIvEENS9_8equal_toIiEEiEE10hipError_tPvRmT2_T3_T4_T5_mT6_T7_P12ihipStream_tbENKUlT_T0_E_clISt17integral_constantIbLb0EESY_IbLb1EEEEDaSU_SV_EUlSU_E_NS1_11comp_targetILNS1_3genE9ELNS1_11target_archE1100ELNS1_3gpuE3ELNS1_3repE0EEENS1_30default_config_static_selectorELNS0_4arch9wavefront6targetE0EEEvT1_
	.globl	_ZN7rocprim17ROCPRIM_400000_NS6detail17trampoline_kernelINS0_14default_configENS1_27scan_by_key_config_selectorIiiEEZZNS1_16scan_by_key_implILNS1_25lookback_scan_determinismE0ELb0ES3_N6thrust23THRUST_200600_302600_NS6detail15normal_iteratorINS9_10device_ptrIiEEEESE_SE_iNS9_4plusIvEENS9_8equal_toIiEEiEE10hipError_tPvRmT2_T3_T4_T5_mT6_T7_P12ihipStream_tbENKUlT_T0_E_clISt17integral_constantIbLb0EESY_IbLb1EEEEDaSU_SV_EUlSU_E_NS1_11comp_targetILNS1_3genE9ELNS1_11target_archE1100ELNS1_3gpuE3ELNS1_3repE0EEENS1_30default_config_static_selectorELNS0_4arch9wavefront6targetE0EEEvT1_
	.p2align	8
	.type	_ZN7rocprim17ROCPRIM_400000_NS6detail17trampoline_kernelINS0_14default_configENS1_27scan_by_key_config_selectorIiiEEZZNS1_16scan_by_key_implILNS1_25lookback_scan_determinismE0ELb0ES3_N6thrust23THRUST_200600_302600_NS6detail15normal_iteratorINS9_10device_ptrIiEEEESE_SE_iNS9_4plusIvEENS9_8equal_toIiEEiEE10hipError_tPvRmT2_T3_T4_T5_mT6_T7_P12ihipStream_tbENKUlT_T0_E_clISt17integral_constantIbLb0EESY_IbLb1EEEEDaSU_SV_EUlSU_E_NS1_11comp_targetILNS1_3genE9ELNS1_11target_archE1100ELNS1_3gpuE3ELNS1_3repE0EEENS1_30default_config_static_selectorELNS0_4arch9wavefront6targetE0EEEvT1_,@function
_ZN7rocprim17ROCPRIM_400000_NS6detail17trampoline_kernelINS0_14default_configENS1_27scan_by_key_config_selectorIiiEEZZNS1_16scan_by_key_implILNS1_25lookback_scan_determinismE0ELb0ES3_N6thrust23THRUST_200600_302600_NS6detail15normal_iteratorINS9_10device_ptrIiEEEESE_SE_iNS9_4plusIvEENS9_8equal_toIiEEiEE10hipError_tPvRmT2_T3_T4_T5_mT6_T7_P12ihipStream_tbENKUlT_T0_E_clISt17integral_constantIbLb0EESY_IbLb1EEEEDaSU_SV_EUlSU_E_NS1_11comp_targetILNS1_3genE9ELNS1_11target_archE1100ELNS1_3gpuE3ELNS1_3repE0EEENS1_30default_config_static_selectorELNS0_4arch9wavefront6targetE0EEEvT1_: ; @_ZN7rocprim17ROCPRIM_400000_NS6detail17trampoline_kernelINS0_14default_configENS1_27scan_by_key_config_selectorIiiEEZZNS1_16scan_by_key_implILNS1_25lookback_scan_determinismE0ELb0ES3_N6thrust23THRUST_200600_302600_NS6detail15normal_iteratorINS9_10device_ptrIiEEEESE_SE_iNS9_4plusIvEENS9_8equal_toIiEEiEE10hipError_tPvRmT2_T3_T4_T5_mT6_T7_P12ihipStream_tbENKUlT_T0_E_clISt17integral_constantIbLb0EESY_IbLb1EEEEDaSU_SV_EUlSU_E_NS1_11comp_targetILNS1_3genE9ELNS1_11target_archE1100ELNS1_3gpuE3ELNS1_3repE0EEENS1_30default_config_static_selectorELNS0_4arch9wavefront6targetE0EEEvT1_
; %bb.0:
	.section	.rodata,"a",@progbits
	.p2align	6, 0x0
	.amdhsa_kernel _ZN7rocprim17ROCPRIM_400000_NS6detail17trampoline_kernelINS0_14default_configENS1_27scan_by_key_config_selectorIiiEEZZNS1_16scan_by_key_implILNS1_25lookback_scan_determinismE0ELb0ES3_N6thrust23THRUST_200600_302600_NS6detail15normal_iteratorINS9_10device_ptrIiEEEESE_SE_iNS9_4plusIvEENS9_8equal_toIiEEiEE10hipError_tPvRmT2_T3_T4_T5_mT6_T7_P12ihipStream_tbENKUlT_T0_E_clISt17integral_constantIbLb0EESY_IbLb1EEEEDaSU_SV_EUlSU_E_NS1_11comp_targetILNS1_3genE9ELNS1_11target_archE1100ELNS1_3gpuE3ELNS1_3repE0EEENS1_30default_config_static_selectorELNS0_4arch9wavefront6targetE0EEEvT1_
		.amdhsa_group_segment_fixed_size 0
		.amdhsa_private_segment_fixed_size 0
		.amdhsa_kernarg_size 112
		.amdhsa_user_sgpr_count 2
		.amdhsa_user_sgpr_dispatch_ptr 0
		.amdhsa_user_sgpr_queue_ptr 0
		.amdhsa_user_sgpr_kernarg_segment_ptr 1
		.amdhsa_user_sgpr_dispatch_id 0
		.amdhsa_user_sgpr_kernarg_preload_length 0
		.amdhsa_user_sgpr_kernarg_preload_offset 0
		.amdhsa_user_sgpr_private_segment_size 0
		.amdhsa_wavefront_size32 1
		.amdhsa_uses_dynamic_stack 0
		.amdhsa_enable_private_segment 0
		.amdhsa_system_sgpr_workgroup_id_x 1
		.amdhsa_system_sgpr_workgroup_id_y 0
		.amdhsa_system_sgpr_workgroup_id_z 0
		.amdhsa_system_sgpr_workgroup_info 0
		.amdhsa_system_vgpr_workitem_id 0
		.amdhsa_next_free_vgpr 1
		.amdhsa_next_free_sgpr 1
		.amdhsa_named_barrier_count 0
		.amdhsa_reserve_vcc 0
		.amdhsa_float_round_mode_32 0
		.amdhsa_float_round_mode_16_64 0
		.amdhsa_float_denorm_mode_32 3
		.amdhsa_float_denorm_mode_16_64 3
		.amdhsa_fp16_overflow 0
		.amdhsa_memory_ordered 1
		.amdhsa_forward_progress 1
		.amdhsa_inst_pref_size 0
		.amdhsa_round_robin_scheduling 0
		.amdhsa_exception_fp_ieee_invalid_op 0
		.amdhsa_exception_fp_denorm_src 0
		.amdhsa_exception_fp_ieee_div_zero 0
		.amdhsa_exception_fp_ieee_overflow 0
		.amdhsa_exception_fp_ieee_underflow 0
		.amdhsa_exception_fp_ieee_inexact 0
		.amdhsa_exception_int_div_zero 0
	.end_amdhsa_kernel
	.section	.text._ZN7rocprim17ROCPRIM_400000_NS6detail17trampoline_kernelINS0_14default_configENS1_27scan_by_key_config_selectorIiiEEZZNS1_16scan_by_key_implILNS1_25lookback_scan_determinismE0ELb0ES3_N6thrust23THRUST_200600_302600_NS6detail15normal_iteratorINS9_10device_ptrIiEEEESE_SE_iNS9_4plusIvEENS9_8equal_toIiEEiEE10hipError_tPvRmT2_T3_T4_T5_mT6_T7_P12ihipStream_tbENKUlT_T0_E_clISt17integral_constantIbLb0EESY_IbLb1EEEEDaSU_SV_EUlSU_E_NS1_11comp_targetILNS1_3genE9ELNS1_11target_archE1100ELNS1_3gpuE3ELNS1_3repE0EEENS1_30default_config_static_selectorELNS0_4arch9wavefront6targetE0EEEvT1_,"axG",@progbits,_ZN7rocprim17ROCPRIM_400000_NS6detail17trampoline_kernelINS0_14default_configENS1_27scan_by_key_config_selectorIiiEEZZNS1_16scan_by_key_implILNS1_25lookback_scan_determinismE0ELb0ES3_N6thrust23THRUST_200600_302600_NS6detail15normal_iteratorINS9_10device_ptrIiEEEESE_SE_iNS9_4plusIvEENS9_8equal_toIiEEiEE10hipError_tPvRmT2_T3_T4_T5_mT6_T7_P12ihipStream_tbENKUlT_T0_E_clISt17integral_constantIbLb0EESY_IbLb1EEEEDaSU_SV_EUlSU_E_NS1_11comp_targetILNS1_3genE9ELNS1_11target_archE1100ELNS1_3gpuE3ELNS1_3repE0EEENS1_30default_config_static_selectorELNS0_4arch9wavefront6targetE0EEEvT1_,comdat
.Lfunc_end234:
	.size	_ZN7rocprim17ROCPRIM_400000_NS6detail17trampoline_kernelINS0_14default_configENS1_27scan_by_key_config_selectorIiiEEZZNS1_16scan_by_key_implILNS1_25lookback_scan_determinismE0ELb0ES3_N6thrust23THRUST_200600_302600_NS6detail15normal_iteratorINS9_10device_ptrIiEEEESE_SE_iNS9_4plusIvEENS9_8equal_toIiEEiEE10hipError_tPvRmT2_T3_T4_T5_mT6_T7_P12ihipStream_tbENKUlT_T0_E_clISt17integral_constantIbLb0EESY_IbLb1EEEEDaSU_SV_EUlSU_E_NS1_11comp_targetILNS1_3genE9ELNS1_11target_archE1100ELNS1_3gpuE3ELNS1_3repE0EEENS1_30default_config_static_selectorELNS0_4arch9wavefront6targetE0EEEvT1_, .Lfunc_end234-_ZN7rocprim17ROCPRIM_400000_NS6detail17trampoline_kernelINS0_14default_configENS1_27scan_by_key_config_selectorIiiEEZZNS1_16scan_by_key_implILNS1_25lookback_scan_determinismE0ELb0ES3_N6thrust23THRUST_200600_302600_NS6detail15normal_iteratorINS9_10device_ptrIiEEEESE_SE_iNS9_4plusIvEENS9_8equal_toIiEEiEE10hipError_tPvRmT2_T3_T4_T5_mT6_T7_P12ihipStream_tbENKUlT_T0_E_clISt17integral_constantIbLb0EESY_IbLb1EEEEDaSU_SV_EUlSU_E_NS1_11comp_targetILNS1_3genE9ELNS1_11target_archE1100ELNS1_3gpuE3ELNS1_3repE0EEENS1_30default_config_static_selectorELNS0_4arch9wavefront6targetE0EEEvT1_
                                        ; -- End function
	.set _ZN7rocprim17ROCPRIM_400000_NS6detail17trampoline_kernelINS0_14default_configENS1_27scan_by_key_config_selectorIiiEEZZNS1_16scan_by_key_implILNS1_25lookback_scan_determinismE0ELb0ES3_N6thrust23THRUST_200600_302600_NS6detail15normal_iteratorINS9_10device_ptrIiEEEESE_SE_iNS9_4plusIvEENS9_8equal_toIiEEiEE10hipError_tPvRmT2_T3_T4_T5_mT6_T7_P12ihipStream_tbENKUlT_T0_E_clISt17integral_constantIbLb0EESY_IbLb1EEEEDaSU_SV_EUlSU_E_NS1_11comp_targetILNS1_3genE9ELNS1_11target_archE1100ELNS1_3gpuE3ELNS1_3repE0EEENS1_30default_config_static_selectorELNS0_4arch9wavefront6targetE0EEEvT1_.num_vgpr, 0
	.set _ZN7rocprim17ROCPRIM_400000_NS6detail17trampoline_kernelINS0_14default_configENS1_27scan_by_key_config_selectorIiiEEZZNS1_16scan_by_key_implILNS1_25lookback_scan_determinismE0ELb0ES3_N6thrust23THRUST_200600_302600_NS6detail15normal_iteratorINS9_10device_ptrIiEEEESE_SE_iNS9_4plusIvEENS9_8equal_toIiEEiEE10hipError_tPvRmT2_T3_T4_T5_mT6_T7_P12ihipStream_tbENKUlT_T0_E_clISt17integral_constantIbLb0EESY_IbLb1EEEEDaSU_SV_EUlSU_E_NS1_11comp_targetILNS1_3genE9ELNS1_11target_archE1100ELNS1_3gpuE3ELNS1_3repE0EEENS1_30default_config_static_selectorELNS0_4arch9wavefront6targetE0EEEvT1_.num_agpr, 0
	.set _ZN7rocprim17ROCPRIM_400000_NS6detail17trampoline_kernelINS0_14default_configENS1_27scan_by_key_config_selectorIiiEEZZNS1_16scan_by_key_implILNS1_25lookback_scan_determinismE0ELb0ES3_N6thrust23THRUST_200600_302600_NS6detail15normal_iteratorINS9_10device_ptrIiEEEESE_SE_iNS9_4plusIvEENS9_8equal_toIiEEiEE10hipError_tPvRmT2_T3_T4_T5_mT6_T7_P12ihipStream_tbENKUlT_T0_E_clISt17integral_constantIbLb0EESY_IbLb1EEEEDaSU_SV_EUlSU_E_NS1_11comp_targetILNS1_3genE9ELNS1_11target_archE1100ELNS1_3gpuE3ELNS1_3repE0EEENS1_30default_config_static_selectorELNS0_4arch9wavefront6targetE0EEEvT1_.numbered_sgpr, 0
	.set _ZN7rocprim17ROCPRIM_400000_NS6detail17trampoline_kernelINS0_14default_configENS1_27scan_by_key_config_selectorIiiEEZZNS1_16scan_by_key_implILNS1_25lookback_scan_determinismE0ELb0ES3_N6thrust23THRUST_200600_302600_NS6detail15normal_iteratorINS9_10device_ptrIiEEEESE_SE_iNS9_4plusIvEENS9_8equal_toIiEEiEE10hipError_tPvRmT2_T3_T4_T5_mT6_T7_P12ihipStream_tbENKUlT_T0_E_clISt17integral_constantIbLb0EESY_IbLb1EEEEDaSU_SV_EUlSU_E_NS1_11comp_targetILNS1_3genE9ELNS1_11target_archE1100ELNS1_3gpuE3ELNS1_3repE0EEENS1_30default_config_static_selectorELNS0_4arch9wavefront6targetE0EEEvT1_.num_named_barrier, 0
	.set _ZN7rocprim17ROCPRIM_400000_NS6detail17trampoline_kernelINS0_14default_configENS1_27scan_by_key_config_selectorIiiEEZZNS1_16scan_by_key_implILNS1_25lookback_scan_determinismE0ELb0ES3_N6thrust23THRUST_200600_302600_NS6detail15normal_iteratorINS9_10device_ptrIiEEEESE_SE_iNS9_4plusIvEENS9_8equal_toIiEEiEE10hipError_tPvRmT2_T3_T4_T5_mT6_T7_P12ihipStream_tbENKUlT_T0_E_clISt17integral_constantIbLb0EESY_IbLb1EEEEDaSU_SV_EUlSU_E_NS1_11comp_targetILNS1_3genE9ELNS1_11target_archE1100ELNS1_3gpuE3ELNS1_3repE0EEENS1_30default_config_static_selectorELNS0_4arch9wavefront6targetE0EEEvT1_.private_seg_size, 0
	.set _ZN7rocprim17ROCPRIM_400000_NS6detail17trampoline_kernelINS0_14default_configENS1_27scan_by_key_config_selectorIiiEEZZNS1_16scan_by_key_implILNS1_25lookback_scan_determinismE0ELb0ES3_N6thrust23THRUST_200600_302600_NS6detail15normal_iteratorINS9_10device_ptrIiEEEESE_SE_iNS9_4plusIvEENS9_8equal_toIiEEiEE10hipError_tPvRmT2_T3_T4_T5_mT6_T7_P12ihipStream_tbENKUlT_T0_E_clISt17integral_constantIbLb0EESY_IbLb1EEEEDaSU_SV_EUlSU_E_NS1_11comp_targetILNS1_3genE9ELNS1_11target_archE1100ELNS1_3gpuE3ELNS1_3repE0EEENS1_30default_config_static_selectorELNS0_4arch9wavefront6targetE0EEEvT1_.uses_vcc, 0
	.set _ZN7rocprim17ROCPRIM_400000_NS6detail17trampoline_kernelINS0_14default_configENS1_27scan_by_key_config_selectorIiiEEZZNS1_16scan_by_key_implILNS1_25lookback_scan_determinismE0ELb0ES3_N6thrust23THRUST_200600_302600_NS6detail15normal_iteratorINS9_10device_ptrIiEEEESE_SE_iNS9_4plusIvEENS9_8equal_toIiEEiEE10hipError_tPvRmT2_T3_T4_T5_mT6_T7_P12ihipStream_tbENKUlT_T0_E_clISt17integral_constantIbLb0EESY_IbLb1EEEEDaSU_SV_EUlSU_E_NS1_11comp_targetILNS1_3genE9ELNS1_11target_archE1100ELNS1_3gpuE3ELNS1_3repE0EEENS1_30default_config_static_selectorELNS0_4arch9wavefront6targetE0EEEvT1_.uses_flat_scratch, 0
	.set _ZN7rocprim17ROCPRIM_400000_NS6detail17trampoline_kernelINS0_14default_configENS1_27scan_by_key_config_selectorIiiEEZZNS1_16scan_by_key_implILNS1_25lookback_scan_determinismE0ELb0ES3_N6thrust23THRUST_200600_302600_NS6detail15normal_iteratorINS9_10device_ptrIiEEEESE_SE_iNS9_4plusIvEENS9_8equal_toIiEEiEE10hipError_tPvRmT2_T3_T4_T5_mT6_T7_P12ihipStream_tbENKUlT_T0_E_clISt17integral_constantIbLb0EESY_IbLb1EEEEDaSU_SV_EUlSU_E_NS1_11comp_targetILNS1_3genE9ELNS1_11target_archE1100ELNS1_3gpuE3ELNS1_3repE0EEENS1_30default_config_static_selectorELNS0_4arch9wavefront6targetE0EEEvT1_.has_dyn_sized_stack, 0
	.set _ZN7rocprim17ROCPRIM_400000_NS6detail17trampoline_kernelINS0_14default_configENS1_27scan_by_key_config_selectorIiiEEZZNS1_16scan_by_key_implILNS1_25lookback_scan_determinismE0ELb0ES3_N6thrust23THRUST_200600_302600_NS6detail15normal_iteratorINS9_10device_ptrIiEEEESE_SE_iNS9_4plusIvEENS9_8equal_toIiEEiEE10hipError_tPvRmT2_T3_T4_T5_mT6_T7_P12ihipStream_tbENKUlT_T0_E_clISt17integral_constantIbLb0EESY_IbLb1EEEEDaSU_SV_EUlSU_E_NS1_11comp_targetILNS1_3genE9ELNS1_11target_archE1100ELNS1_3gpuE3ELNS1_3repE0EEENS1_30default_config_static_selectorELNS0_4arch9wavefront6targetE0EEEvT1_.has_recursion, 0
	.set _ZN7rocprim17ROCPRIM_400000_NS6detail17trampoline_kernelINS0_14default_configENS1_27scan_by_key_config_selectorIiiEEZZNS1_16scan_by_key_implILNS1_25lookback_scan_determinismE0ELb0ES3_N6thrust23THRUST_200600_302600_NS6detail15normal_iteratorINS9_10device_ptrIiEEEESE_SE_iNS9_4plusIvEENS9_8equal_toIiEEiEE10hipError_tPvRmT2_T3_T4_T5_mT6_T7_P12ihipStream_tbENKUlT_T0_E_clISt17integral_constantIbLb0EESY_IbLb1EEEEDaSU_SV_EUlSU_E_NS1_11comp_targetILNS1_3genE9ELNS1_11target_archE1100ELNS1_3gpuE3ELNS1_3repE0EEENS1_30default_config_static_selectorELNS0_4arch9wavefront6targetE0EEEvT1_.has_indirect_call, 0
	.section	.AMDGPU.csdata,"",@progbits
; Kernel info:
; codeLenInByte = 0
; TotalNumSgprs: 0
; NumVgprs: 0
; ScratchSize: 0
; MemoryBound: 0
; FloatMode: 240
; IeeeMode: 1
; LDSByteSize: 0 bytes/workgroup (compile time only)
; SGPRBlocks: 0
; VGPRBlocks: 0
; NumSGPRsForWavesPerEU: 1
; NumVGPRsForWavesPerEU: 1
; NamedBarCnt: 0
; Occupancy: 16
; WaveLimiterHint : 0
; COMPUTE_PGM_RSRC2:SCRATCH_EN: 0
; COMPUTE_PGM_RSRC2:USER_SGPR: 2
; COMPUTE_PGM_RSRC2:TRAP_HANDLER: 0
; COMPUTE_PGM_RSRC2:TGID_X_EN: 1
; COMPUTE_PGM_RSRC2:TGID_Y_EN: 0
; COMPUTE_PGM_RSRC2:TGID_Z_EN: 0
; COMPUTE_PGM_RSRC2:TIDIG_COMP_CNT: 0
	.section	.text._ZN7rocprim17ROCPRIM_400000_NS6detail17trampoline_kernelINS0_14default_configENS1_27scan_by_key_config_selectorIiiEEZZNS1_16scan_by_key_implILNS1_25lookback_scan_determinismE0ELb0ES3_N6thrust23THRUST_200600_302600_NS6detail15normal_iteratorINS9_10device_ptrIiEEEESE_SE_iNS9_4plusIvEENS9_8equal_toIiEEiEE10hipError_tPvRmT2_T3_T4_T5_mT6_T7_P12ihipStream_tbENKUlT_T0_E_clISt17integral_constantIbLb0EESY_IbLb1EEEEDaSU_SV_EUlSU_E_NS1_11comp_targetILNS1_3genE8ELNS1_11target_archE1030ELNS1_3gpuE2ELNS1_3repE0EEENS1_30default_config_static_selectorELNS0_4arch9wavefront6targetE0EEEvT1_,"axG",@progbits,_ZN7rocprim17ROCPRIM_400000_NS6detail17trampoline_kernelINS0_14default_configENS1_27scan_by_key_config_selectorIiiEEZZNS1_16scan_by_key_implILNS1_25lookback_scan_determinismE0ELb0ES3_N6thrust23THRUST_200600_302600_NS6detail15normal_iteratorINS9_10device_ptrIiEEEESE_SE_iNS9_4plusIvEENS9_8equal_toIiEEiEE10hipError_tPvRmT2_T3_T4_T5_mT6_T7_P12ihipStream_tbENKUlT_T0_E_clISt17integral_constantIbLb0EESY_IbLb1EEEEDaSU_SV_EUlSU_E_NS1_11comp_targetILNS1_3genE8ELNS1_11target_archE1030ELNS1_3gpuE2ELNS1_3repE0EEENS1_30default_config_static_selectorELNS0_4arch9wavefront6targetE0EEEvT1_,comdat
	.protected	_ZN7rocprim17ROCPRIM_400000_NS6detail17trampoline_kernelINS0_14default_configENS1_27scan_by_key_config_selectorIiiEEZZNS1_16scan_by_key_implILNS1_25lookback_scan_determinismE0ELb0ES3_N6thrust23THRUST_200600_302600_NS6detail15normal_iteratorINS9_10device_ptrIiEEEESE_SE_iNS9_4plusIvEENS9_8equal_toIiEEiEE10hipError_tPvRmT2_T3_T4_T5_mT6_T7_P12ihipStream_tbENKUlT_T0_E_clISt17integral_constantIbLb0EESY_IbLb1EEEEDaSU_SV_EUlSU_E_NS1_11comp_targetILNS1_3genE8ELNS1_11target_archE1030ELNS1_3gpuE2ELNS1_3repE0EEENS1_30default_config_static_selectorELNS0_4arch9wavefront6targetE0EEEvT1_ ; -- Begin function _ZN7rocprim17ROCPRIM_400000_NS6detail17trampoline_kernelINS0_14default_configENS1_27scan_by_key_config_selectorIiiEEZZNS1_16scan_by_key_implILNS1_25lookback_scan_determinismE0ELb0ES3_N6thrust23THRUST_200600_302600_NS6detail15normal_iteratorINS9_10device_ptrIiEEEESE_SE_iNS9_4plusIvEENS9_8equal_toIiEEiEE10hipError_tPvRmT2_T3_T4_T5_mT6_T7_P12ihipStream_tbENKUlT_T0_E_clISt17integral_constantIbLb0EESY_IbLb1EEEEDaSU_SV_EUlSU_E_NS1_11comp_targetILNS1_3genE8ELNS1_11target_archE1030ELNS1_3gpuE2ELNS1_3repE0EEENS1_30default_config_static_selectorELNS0_4arch9wavefront6targetE0EEEvT1_
	.globl	_ZN7rocprim17ROCPRIM_400000_NS6detail17trampoline_kernelINS0_14default_configENS1_27scan_by_key_config_selectorIiiEEZZNS1_16scan_by_key_implILNS1_25lookback_scan_determinismE0ELb0ES3_N6thrust23THRUST_200600_302600_NS6detail15normal_iteratorINS9_10device_ptrIiEEEESE_SE_iNS9_4plusIvEENS9_8equal_toIiEEiEE10hipError_tPvRmT2_T3_T4_T5_mT6_T7_P12ihipStream_tbENKUlT_T0_E_clISt17integral_constantIbLb0EESY_IbLb1EEEEDaSU_SV_EUlSU_E_NS1_11comp_targetILNS1_3genE8ELNS1_11target_archE1030ELNS1_3gpuE2ELNS1_3repE0EEENS1_30default_config_static_selectorELNS0_4arch9wavefront6targetE0EEEvT1_
	.p2align	8
	.type	_ZN7rocprim17ROCPRIM_400000_NS6detail17trampoline_kernelINS0_14default_configENS1_27scan_by_key_config_selectorIiiEEZZNS1_16scan_by_key_implILNS1_25lookback_scan_determinismE0ELb0ES3_N6thrust23THRUST_200600_302600_NS6detail15normal_iteratorINS9_10device_ptrIiEEEESE_SE_iNS9_4plusIvEENS9_8equal_toIiEEiEE10hipError_tPvRmT2_T3_T4_T5_mT6_T7_P12ihipStream_tbENKUlT_T0_E_clISt17integral_constantIbLb0EESY_IbLb1EEEEDaSU_SV_EUlSU_E_NS1_11comp_targetILNS1_3genE8ELNS1_11target_archE1030ELNS1_3gpuE2ELNS1_3repE0EEENS1_30default_config_static_selectorELNS0_4arch9wavefront6targetE0EEEvT1_,@function
_ZN7rocprim17ROCPRIM_400000_NS6detail17trampoline_kernelINS0_14default_configENS1_27scan_by_key_config_selectorIiiEEZZNS1_16scan_by_key_implILNS1_25lookback_scan_determinismE0ELb0ES3_N6thrust23THRUST_200600_302600_NS6detail15normal_iteratorINS9_10device_ptrIiEEEESE_SE_iNS9_4plusIvEENS9_8equal_toIiEEiEE10hipError_tPvRmT2_T3_T4_T5_mT6_T7_P12ihipStream_tbENKUlT_T0_E_clISt17integral_constantIbLb0EESY_IbLb1EEEEDaSU_SV_EUlSU_E_NS1_11comp_targetILNS1_3genE8ELNS1_11target_archE1030ELNS1_3gpuE2ELNS1_3repE0EEENS1_30default_config_static_selectorELNS0_4arch9wavefront6targetE0EEEvT1_: ; @_ZN7rocprim17ROCPRIM_400000_NS6detail17trampoline_kernelINS0_14default_configENS1_27scan_by_key_config_selectorIiiEEZZNS1_16scan_by_key_implILNS1_25lookback_scan_determinismE0ELb0ES3_N6thrust23THRUST_200600_302600_NS6detail15normal_iteratorINS9_10device_ptrIiEEEESE_SE_iNS9_4plusIvEENS9_8equal_toIiEEiEE10hipError_tPvRmT2_T3_T4_T5_mT6_T7_P12ihipStream_tbENKUlT_T0_E_clISt17integral_constantIbLb0EESY_IbLb1EEEEDaSU_SV_EUlSU_E_NS1_11comp_targetILNS1_3genE8ELNS1_11target_archE1030ELNS1_3gpuE2ELNS1_3repE0EEENS1_30default_config_static_selectorELNS0_4arch9wavefront6targetE0EEEvT1_
; %bb.0:
	.section	.rodata,"a",@progbits
	.p2align	6, 0x0
	.amdhsa_kernel _ZN7rocprim17ROCPRIM_400000_NS6detail17trampoline_kernelINS0_14default_configENS1_27scan_by_key_config_selectorIiiEEZZNS1_16scan_by_key_implILNS1_25lookback_scan_determinismE0ELb0ES3_N6thrust23THRUST_200600_302600_NS6detail15normal_iteratorINS9_10device_ptrIiEEEESE_SE_iNS9_4plusIvEENS9_8equal_toIiEEiEE10hipError_tPvRmT2_T3_T4_T5_mT6_T7_P12ihipStream_tbENKUlT_T0_E_clISt17integral_constantIbLb0EESY_IbLb1EEEEDaSU_SV_EUlSU_E_NS1_11comp_targetILNS1_3genE8ELNS1_11target_archE1030ELNS1_3gpuE2ELNS1_3repE0EEENS1_30default_config_static_selectorELNS0_4arch9wavefront6targetE0EEEvT1_
		.amdhsa_group_segment_fixed_size 0
		.amdhsa_private_segment_fixed_size 0
		.amdhsa_kernarg_size 112
		.amdhsa_user_sgpr_count 2
		.amdhsa_user_sgpr_dispatch_ptr 0
		.amdhsa_user_sgpr_queue_ptr 0
		.amdhsa_user_sgpr_kernarg_segment_ptr 1
		.amdhsa_user_sgpr_dispatch_id 0
		.amdhsa_user_sgpr_kernarg_preload_length 0
		.amdhsa_user_sgpr_kernarg_preload_offset 0
		.amdhsa_user_sgpr_private_segment_size 0
		.amdhsa_wavefront_size32 1
		.amdhsa_uses_dynamic_stack 0
		.amdhsa_enable_private_segment 0
		.amdhsa_system_sgpr_workgroup_id_x 1
		.amdhsa_system_sgpr_workgroup_id_y 0
		.amdhsa_system_sgpr_workgroup_id_z 0
		.amdhsa_system_sgpr_workgroup_info 0
		.amdhsa_system_vgpr_workitem_id 0
		.amdhsa_next_free_vgpr 1
		.amdhsa_next_free_sgpr 1
		.amdhsa_named_barrier_count 0
		.amdhsa_reserve_vcc 0
		.amdhsa_float_round_mode_32 0
		.amdhsa_float_round_mode_16_64 0
		.amdhsa_float_denorm_mode_32 3
		.amdhsa_float_denorm_mode_16_64 3
		.amdhsa_fp16_overflow 0
		.amdhsa_memory_ordered 1
		.amdhsa_forward_progress 1
		.amdhsa_inst_pref_size 0
		.amdhsa_round_robin_scheduling 0
		.amdhsa_exception_fp_ieee_invalid_op 0
		.amdhsa_exception_fp_denorm_src 0
		.amdhsa_exception_fp_ieee_div_zero 0
		.amdhsa_exception_fp_ieee_overflow 0
		.amdhsa_exception_fp_ieee_underflow 0
		.amdhsa_exception_fp_ieee_inexact 0
		.amdhsa_exception_int_div_zero 0
	.end_amdhsa_kernel
	.section	.text._ZN7rocprim17ROCPRIM_400000_NS6detail17trampoline_kernelINS0_14default_configENS1_27scan_by_key_config_selectorIiiEEZZNS1_16scan_by_key_implILNS1_25lookback_scan_determinismE0ELb0ES3_N6thrust23THRUST_200600_302600_NS6detail15normal_iteratorINS9_10device_ptrIiEEEESE_SE_iNS9_4plusIvEENS9_8equal_toIiEEiEE10hipError_tPvRmT2_T3_T4_T5_mT6_T7_P12ihipStream_tbENKUlT_T0_E_clISt17integral_constantIbLb0EESY_IbLb1EEEEDaSU_SV_EUlSU_E_NS1_11comp_targetILNS1_3genE8ELNS1_11target_archE1030ELNS1_3gpuE2ELNS1_3repE0EEENS1_30default_config_static_selectorELNS0_4arch9wavefront6targetE0EEEvT1_,"axG",@progbits,_ZN7rocprim17ROCPRIM_400000_NS6detail17trampoline_kernelINS0_14default_configENS1_27scan_by_key_config_selectorIiiEEZZNS1_16scan_by_key_implILNS1_25lookback_scan_determinismE0ELb0ES3_N6thrust23THRUST_200600_302600_NS6detail15normal_iteratorINS9_10device_ptrIiEEEESE_SE_iNS9_4plusIvEENS9_8equal_toIiEEiEE10hipError_tPvRmT2_T3_T4_T5_mT6_T7_P12ihipStream_tbENKUlT_T0_E_clISt17integral_constantIbLb0EESY_IbLb1EEEEDaSU_SV_EUlSU_E_NS1_11comp_targetILNS1_3genE8ELNS1_11target_archE1030ELNS1_3gpuE2ELNS1_3repE0EEENS1_30default_config_static_selectorELNS0_4arch9wavefront6targetE0EEEvT1_,comdat
.Lfunc_end235:
	.size	_ZN7rocprim17ROCPRIM_400000_NS6detail17trampoline_kernelINS0_14default_configENS1_27scan_by_key_config_selectorIiiEEZZNS1_16scan_by_key_implILNS1_25lookback_scan_determinismE0ELb0ES3_N6thrust23THRUST_200600_302600_NS6detail15normal_iteratorINS9_10device_ptrIiEEEESE_SE_iNS9_4plusIvEENS9_8equal_toIiEEiEE10hipError_tPvRmT2_T3_T4_T5_mT6_T7_P12ihipStream_tbENKUlT_T0_E_clISt17integral_constantIbLb0EESY_IbLb1EEEEDaSU_SV_EUlSU_E_NS1_11comp_targetILNS1_3genE8ELNS1_11target_archE1030ELNS1_3gpuE2ELNS1_3repE0EEENS1_30default_config_static_selectorELNS0_4arch9wavefront6targetE0EEEvT1_, .Lfunc_end235-_ZN7rocprim17ROCPRIM_400000_NS6detail17trampoline_kernelINS0_14default_configENS1_27scan_by_key_config_selectorIiiEEZZNS1_16scan_by_key_implILNS1_25lookback_scan_determinismE0ELb0ES3_N6thrust23THRUST_200600_302600_NS6detail15normal_iteratorINS9_10device_ptrIiEEEESE_SE_iNS9_4plusIvEENS9_8equal_toIiEEiEE10hipError_tPvRmT2_T3_T4_T5_mT6_T7_P12ihipStream_tbENKUlT_T0_E_clISt17integral_constantIbLb0EESY_IbLb1EEEEDaSU_SV_EUlSU_E_NS1_11comp_targetILNS1_3genE8ELNS1_11target_archE1030ELNS1_3gpuE2ELNS1_3repE0EEENS1_30default_config_static_selectorELNS0_4arch9wavefront6targetE0EEEvT1_
                                        ; -- End function
	.set _ZN7rocprim17ROCPRIM_400000_NS6detail17trampoline_kernelINS0_14default_configENS1_27scan_by_key_config_selectorIiiEEZZNS1_16scan_by_key_implILNS1_25lookback_scan_determinismE0ELb0ES3_N6thrust23THRUST_200600_302600_NS6detail15normal_iteratorINS9_10device_ptrIiEEEESE_SE_iNS9_4plusIvEENS9_8equal_toIiEEiEE10hipError_tPvRmT2_T3_T4_T5_mT6_T7_P12ihipStream_tbENKUlT_T0_E_clISt17integral_constantIbLb0EESY_IbLb1EEEEDaSU_SV_EUlSU_E_NS1_11comp_targetILNS1_3genE8ELNS1_11target_archE1030ELNS1_3gpuE2ELNS1_3repE0EEENS1_30default_config_static_selectorELNS0_4arch9wavefront6targetE0EEEvT1_.num_vgpr, 0
	.set _ZN7rocprim17ROCPRIM_400000_NS6detail17trampoline_kernelINS0_14default_configENS1_27scan_by_key_config_selectorIiiEEZZNS1_16scan_by_key_implILNS1_25lookback_scan_determinismE0ELb0ES3_N6thrust23THRUST_200600_302600_NS6detail15normal_iteratorINS9_10device_ptrIiEEEESE_SE_iNS9_4plusIvEENS9_8equal_toIiEEiEE10hipError_tPvRmT2_T3_T4_T5_mT6_T7_P12ihipStream_tbENKUlT_T0_E_clISt17integral_constantIbLb0EESY_IbLb1EEEEDaSU_SV_EUlSU_E_NS1_11comp_targetILNS1_3genE8ELNS1_11target_archE1030ELNS1_3gpuE2ELNS1_3repE0EEENS1_30default_config_static_selectorELNS0_4arch9wavefront6targetE0EEEvT1_.num_agpr, 0
	.set _ZN7rocprim17ROCPRIM_400000_NS6detail17trampoline_kernelINS0_14default_configENS1_27scan_by_key_config_selectorIiiEEZZNS1_16scan_by_key_implILNS1_25lookback_scan_determinismE0ELb0ES3_N6thrust23THRUST_200600_302600_NS6detail15normal_iteratorINS9_10device_ptrIiEEEESE_SE_iNS9_4plusIvEENS9_8equal_toIiEEiEE10hipError_tPvRmT2_T3_T4_T5_mT6_T7_P12ihipStream_tbENKUlT_T0_E_clISt17integral_constantIbLb0EESY_IbLb1EEEEDaSU_SV_EUlSU_E_NS1_11comp_targetILNS1_3genE8ELNS1_11target_archE1030ELNS1_3gpuE2ELNS1_3repE0EEENS1_30default_config_static_selectorELNS0_4arch9wavefront6targetE0EEEvT1_.numbered_sgpr, 0
	.set _ZN7rocprim17ROCPRIM_400000_NS6detail17trampoline_kernelINS0_14default_configENS1_27scan_by_key_config_selectorIiiEEZZNS1_16scan_by_key_implILNS1_25lookback_scan_determinismE0ELb0ES3_N6thrust23THRUST_200600_302600_NS6detail15normal_iteratorINS9_10device_ptrIiEEEESE_SE_iNS9_4plusIvEENS9_8equal_toIiEEiEE10hipError_tPvRmT2_T3_T4_T5_mT6_T7_P12ihipStream_tbENKUlT_T0_E_clISt17integral_constantIbLb0EESY_IbLb1EEEEDaSU_SV_EUlSU_E_NS1_11comp_targetILNS1_3genE8ELNS1_11target_archE1030ELNS1_3gpuE2ELNS1_3repE0EEENS1_30default_config_static_selectorELNS0_4arch9wavefront6targetE0EEEvT1_.num_named_barrier, 0
	.set _ZN7rocprim17ROCPRIM_400000_NS6detail17trampoline_kernelINS0_14default_configENS1_27scan_by_key_config_selectorIiiEEZZNS1_16scan_by_key_implILNS1_25lookback_scan_determinismE0ELb0ES3_N6thrust23THRUST_200600_302600_NS6detail15normal_iteratorINS9_10device_ptrIiEEEESE_SE_iNS9_4plusIvEENS9_8equal_toIiEEiEE10hipError_tPvRmT2_T3_T4_T5_mT6_T7_P12ihipStream_tbENKUlT_T0_E_clISt17integral_constantIbLb0EESY_IbLb1EEEEDaSU_SV_EUlSU_E_NS1_11comp_targetILNS1_3genE8ELNS1_11target_archE1030ELNS1_3gpuE2ELNS1_3repE0EEENS1_30default_config_static_selectorELNS0_4arch9wavefront6targetE0EEEvT1_.private_seg_size, 0
	.set _ZN7rocprim17ROCPRIM_400000_NS6detail17trampoline_kernelINS0_14default_configENS1_27scan_by_key_config_selectorIiiEEZZNS1_16scan_by_key_implILNS1_25lookback_scan_determinismE0ELb0ES3_N6thrust23THRUST_200600_302600_NS6detail15normal_iteratorINS9_10device_ptrIiEEEESE_SE_iNS9_4plusIvEENS9_8equal_toIiEEiEE10hipError_tPvRmT2_T3_T4_T5_mT6_T7_P12ihipStream_tbENKUlT_T0_E_clISt17integral_constantIbLb0EESY_IbLb1EEEEDaSU_SV_EUlSU_E_NS1_11comp_targetILNS1_3genE8ELNS1_11target_archE1030ELNS1_3gpuE2ELNS1_3repE0EEENS1_30default_config_static_selectorELNS0_4arch9wavefront6targetE0EEEvT1_.uses_vcc, 0
	.set _ZN7rocprim17ROCPRIM_400000_NS6detail17trampoline_kernelINS0_14default_configENS1_27scan_by_key_config_selectorIiiEEZZNS1_16scan_by_key_implILNS1_25lookback_scan_determinismE0ELb0ES3_N6thrust23THRUST_200600_302600_NS6detail15normal_iteratorINS9_10device_ptrIiEEEESE_SE_iNS9_4plusIvEENS9_8equal_toIiEEiEE10hipError_tPvRmT2_T3_T4_T5_mT6_T7_P12ihipStream_tbENKUlT_T0_E_clISt17integral_constantIbLb0EESY_IbLb1EEEEDaSU_SV_EUlSU_E_NS1_11comp_targetILNS1_3genE8ELNS1_11target_archE1030ELNS1_3gpuE2ELNS1_3repE0EEENS1_30default_config_static_selectorELNS0_4arch9wavefront6targetE0EEEvT1_.uses_flat_scratch, 0
	.set _ZN7rocprim17ROCPRIM_400000_NS6detail17trampoline_kernelINS0_14default_configENS1_27scan_by_key_config_selectorIiiEEZZNS1_16scan_by_key_implILNS1_25lookback_scan_determinismE0ELb0ES3_N6thrust23THRUST_200600_302600_NS6detail15normal_iteratorINS9_10device_ptrIiEEEESE_SE_iNS9_4plusIvEENS9_8equal_toIiEEiEE10hipError_tPvRmT2_T3_T4_T5_mT6_T7_P12ihipStream_tbENKUlT_T0_E_clISt17integral_constantIbLb0EESY_IbLb1EEEEDaSU_SV_EUlSU_E_NS1_11comp_targetILNS1_3genE8ELNS1_11target_archE1030ELNS1_3gpuE2ELNS1_3repE0EEENS1_30default_config_static_selectorELNS0_4arch9wavefront6targetE0EEEvT1_.has_dyn_sized_stack, 0
	.set _ZN7rocprim17ROCPRIM_400000_NS6detail17trampoline_kernelINS0_14default_configENS1_27scan_by_key_config_selectorIiiEEZZNS1_16scan_by_key_implILNS1_25lookback_scan_determinismE0ELb0ES3_N6thrust23THRUST_200600_302600_NS6detail15normal_iteratorINS9_10device_ptrIiEEEESE_SE_iNS9_4plusIvEENS9_8equal_toIiEEiEE10hipError_tPvRmT2_T3_T4_T5_mT6_T7_P12ihipStream_tbENKUlT_T0_E_clISt17integral_constantIbLb0EESY_IbLb1EEEEDaSU_SV_EUlSU_E_NS1_11comp_targetILNS1_3genE8ELNS1_11target_archE1030ELNS1_3gpuE2ELNS1_3repE0EEENS1_30default_config_static_selectorELNS0_4arch9wavefront6targetE0EEEvT1_.has_recursion, 0
	.set _ZN7rocprim17ROCPRIM_400000_NS6detail17trampoline_kernelINS0_14default_configENS1_27scan_by_key_config_selectorIiiEEZZNS1_16scan_by_key_implILNS1_25lookback_scan_determinismE0ELb0ES3_N6thrust23THRUST_200600_302600_NS6detail15normal_iteratorINS9_10device_ptrIiEEEESE_SE_iNS9_4plusIvEENS9_8equal_toIiEEiEE10hipError_tPvRmT2_T3_T4_T5_mT6_T7_P12ihipStream_tbENKUlT_T0_E_clISt17integral_constantIbLb0EESY_IbLb1EEEEDaSU_SV_EUlSU_E_NS1_11comp_targetILNS1_3genE8ELNS1_11target_archE1030ELNS1_3gpuE2ELNS1_3repE0EEENS1_30default_config_static_selectorELNS0_4arch9wavefront6targetE0EEEvT1_.has_indirect_call, 0
	.section	.AMDGPU.csdata,"",@progbits
; Kernel info:
; codeLenInByte = 0
; TotalNumSgprs: 0
; NumVgprs: 0
; ScratchSize: 0
; MemoryBound: 0
; FloatMode: 240
; IeeeMode: 1
; LDSByteSize: 0 bytes/workgroup (compile time only)
; SGPRBlocks: 0
; VGPRBlocks: 0
; NumSGPRsForWavesPerEU: 1
; NumVGPRsForWavesPerEU: 1
; NamedBarCnt: 0
; Occupancy: 16
; WaveLimiterHint : 0
; COMPUTE_PGM_RSRC2:SCRATCH_EN: 0
; COMPUTE_PGM_RSRC2:USER_SGPR: 2
; COMPUTE_PGM_RSRC2:TRAP_HANDLER: 0
; COMPUTE_PGM_RSRC2:TGID_X_EN: 1
; COMPUTE_PGM_RSRC2:TGID_Y_EN: 0
; COMPUTE_PGM_RSRC2:TGID_Z_EN: 0
; COMPUTE_PGM_RSRC2:TIDIG_COMP_CNT: 0
	.section	.text._ZN6thrust23THRUST_200600_302600_NS11hip_rocprim14__parallel_for6kernelILj256ENS1_20__uninitialized_fill7functorINS0_10device_ptrIsEEsEEmLj1EEEvT0_T1_SA_,"axG",@progbits,_ZN6thrust23THRUST_200600_302600_NS11hip_rocprim14__parallel_for6kernelILj256ENS1_20__uninitialized_fill7functorINS0_10device_ptrIsEEsEEmLj1EEEvT0_T1_SA_,comdat
	.protected	_ZN6thrust23THRUST_200600_302600_NS11hip_rocprim14__parallel_for6kernelILj256ENS1_20__uninitialized_fill7functorINS0_10device_ptrIsEEsEEmLj1EEEvT0_T1_SA_ ; -- Begin function _ZN6thrust23THRUST_200600_302600_NS11hip_rocprim14__parallel_for6kernelILj256ENS1_20__uninitialized_fill7functorINS0_10device_ptrIsEEsEEmLj1EEEvT0_T1_SA_
	.globl	_ZN6thrust23THRUST_200600_302600_NS11hip_rocprim14__parallel_for6kernelILj256ENS1_20__uninitialized_fill7functorINS0_10device_ptrIsEEsEEmLj1EEEvT0_T1_SA_
	.p2align	8
	.type	_ZN6thrust23THRUST_200600_302600_NS11hip_rocprim14__parallel_for6kernelILj256ENS1_20__uninitialized_fill7functorINS0_10device_ptrIsEEsEEmLj1EEEvT0_T1_SA_,@function
_ZN6thrust23THRUST_200600_302600_NS11hip_rocprim14__parallel_for6kernelILj256ENS1_20__uninitialized_fill7functorINS0_10device_ptrIsEEsEEmLj1EEEvT0_T1_SA_: ; @_ZN6thrust23THRUST_200600_302600_NS11hip_rocprim14__parallel_for6kernelILj256ENS1_20__uninitialized_fill7functorINS0_10device_ptrIsEEsEEmLj1EEEvT0_T1_SA_
; %bb.0:
	s_load_b128 s[8:11], s[0:1], 0x10
	s_bfe_u32 s2, ttmp6, 0x4000c
	s_and_b32 s3, ttmp6, 15
	s_add_co_i32 s2, s2, 1
	s_getreg_b32 s4, hwreg(HW_REG_IB_STS2, 6, 4)
	s_mul_i32 s2, ttmp9, s2
	s_delay_alu instid0(SALU_CYCLE_1)
	s_add_co_i32 s3, s3, s2
	s_cmp_eq_u32 s4, 0
	s_load_b96 s[4:6], s[0:1], 0x0
	s_wait_xcnt 0x0
	s_cselect_b32 s0, ttmp9, s3
	s_mov_b32 s1, 0
	s_lshl_b32 s0, s0, 8
	s_wait_kmcnt 0x0
	s_add_nc_u64 s[0:1], s[10:11], s[0:1]
	s_delay_alu instid0(SALU_CYCLE_1) | instskip(NEXT) | instid1(SALU_CYCLE_1)
	s_sub_nc_u64 s[2:3], s[8:9], s[0:1]
	v_cmp_lt_u64_e64 s3, 0xff, s[2:3]
	s_and_b32 vcc_lo, exec_lo, s3
	s_mov_b32 s3, -1
	s_cbranch_vccz .LBB236_3
; %bb.1:
	s_and_not1_b32 vcc_lo, exec_lo, s3
	s_cbranch_vccz .LBB236_6
.LBB236_2:
	s_endpgm
.LBB236_3:
	v_cmp_gt_u32_e32 vcc_lo, s2, v0
	s_and_saveexec_b32 s2, vcc_lo
	s_cbranch_execz .LBB236_5
; %bb.4:
	v_mov_b32_e32 v1, s6
	s_lshl_b64 s[8:9], s[0:1], 1
	s_delay_alu instid0(SALU_CYCLE_1)
	s_add_nc_u64 s[8:9], s[4:5], s[8:9]
	flat_store_b16 v0, v1, s[8:9] scale_offset
.LBB236_5:
	s_wait_xcnt 0x0
	s_or_b32 exec_lo, exec_lo, s2
	s_cbranch_execnz .LBB236_2
.LBB236_6:
	v_mov_b32_e32 v1, s6
	s_lshl_b64 s[0:1], s[0:1], 1
	s_delay_alu instid0(SALU_CYCLE_1)
	s_add_nc_u64 s[0:1], s[4:5], s[0:1]
	flat_store_b16 v0, v1, s[0:1] scale_offset
	s_endpgm
	.section	.rodata,"a",@progbits
	.p2align	6, 0x0
	.amdhsa_kernel _ZN6thrust23THRUST_200600_302600_NS11hip_rocprim14__parallel_for6kernelILj256ENS1_20__uninitialized_fill7functorINS0_10device_ptrIsEEsEEmLj1EEEvT0_T1_SA_
		.amdhsa_group_segment_fixed_size 0
		.amdhsa_private_segment_fixed_size 0
		.amdhsa_kernarg_size 32
		.amdhsa_user_sgpr_count 2
		.amdhsa_user_sgpr_dispatch_ptr 0
		.amdhsa_user_sgpr_queue_ptr 0
		.amdhsa_user_sgpr_kernarg_segment_ptr 1
		.amdhsa_user_sgpr_dispatch_id 0
		.amdhsa_user_sgpr_kernarg_preload_length 0
		.amdhsa_user_sgpr_kernarg_preload_offset 0
		.amdhsa_user_sgpr_private_segment_size 0
		.amdhsa_wavefront_size32 1
		.amdhsa_uses_dynamic_stack 0
		.amdhsa_enable_private_segment 0
		.amdhsa_system_sgpr_workgroup_id_x 1
		.amdhsa_system_sgpr_workgroup_id_y 0
		.amdhsa_system_sgpr_workgroup_id_z 0
		.amdhsa_system_sgpr_workgroup_info 0
		.amdhsa_system_vgpr_workitem_id 0
		.amdhsa_next_free_vgpr 2
		.amdhsa_next_free_sgpr 12
		.amdhsa_named_barrier_count 0
		.amdhsa_reserve_vcc 1
		.amdhsa_float_round_mode_32 0
		.amdhsa_float_round_mode_16_64 0
		.amdhsa_float_denorm_mode_32 3
		.amdhsa_float_denorm_mode_16_64 3
		.amdhsa_fp16_overflow 0
		.amdhsa_memory_ordered 1
		.amdhsa_forward_progress 1
		.amdhsa_inst_pref_size 2
		.amdhsa_round_robin_scheduling 0
		.amdhsa_exception_fp_ieee_invalid_op 0
		.amdhsa_exception_fp_denorm_src 0
		.amdhsa_exception_fp_ieee_div_zero 0
		.amdhsa_exception_fp_ieee_overflow 0
		.amdhsa_exception_fp_ieee_underflow 0
		.amdhsa_exception_fp_ieee_inexact 0
		.amdhsa_exception_int_div_zero 0
	.end_amdhsa_kernel
	.section	.text._ZN6thrust23THRUST_200600_302600_NS11hip_rocprim14__parallel_for6kernelILj256ENS1_20__uninitialized_fill7functorINS0_10device_ptrIsEEsEEmLj1EEEvT0_T1_SA_,"axG",@progbits,_ZN6thrust23THRUST_200600_302600_NS11hip_rocprim14__parallel_for6kernelILj256ENS1_20__uninitialized_fill7functorINS0_10device_ptrIsEEsEEmLj1EEEvT0_T1_SA_,comdat
.Lfunc_end236:
	.size	_ZN6thrust23THRUST_200600_302600_NS11hip_rocprim14__parallel_for6kernelILj256ENS1_20__uninitialized_fill7functorINS0_10device_ptrIsEEsEEmLj1EEEvT0_T1_SA_, .Lfunc_end236-_ZN6thrust23THRUST_200600_302600_NS11hip_rocprim14__parallel_for6kernelILj256ENS1_20__uninitialized_fill7functorINS0_10device_ptrIsEEsEEmLj1EEEvT0_T1_SA_
                                        ; -- End function
	.set _ZN6thrust23THRUST_200600_302600_NS11hip_rocprim14__parallel_for6kernelILj256ENS1_20__uninitialized_fill7functorINS0_10device_ptrIsEEsEEmLj1EEEvT0_T1_SA_.num_vgpr, 2
	.set _ZN6thrust23THRUST_200600_302600_NS11hip_rocprim14__parallel_for6kernelILj256ENS1_20__uninitialized_fill7functorINS0_10device_ptrIsEEsEEmLj1EEEvT0_T1_SA_.num_agpr, 0
	.set _ZN6thrust23THRUST_200600_302600_NS11hip_rocprim14__parallel_for6kernelILj256ENS1_20__uninitialized_fill7functorINS0_10device_ptrIsEEsEEmLj1EEEvT0_T1_SA_.numbered_sgpr, 12
	.set _ZN6thrust23THRUST_200600_302600_NS11hip_rocprim14__parallel_for6kernelILj256ENS1_20__uninitialized_fill7functorINS0_10device_ptrIsEEsEEmLj1EEEvT0_T1_SA_.num_named_barrier, 0
	.set _ZN6thrust23THRUST_200600_302600_NS11hip_rocprim14__parallel_for6kernelILj256ENS1_20__uninitialized_fill7functorINS0_10device_ptrIsEEsEEmLj1EEEvT0_T1_SA_.private_seg_size, 0
	.set _ZN6thrust23THRUST_200600_302600_NS11hip_rocprim14__parallel_for6kernelILj256ENS1_20__uninitialized_fill7functorINS0_10device_ptrIsEEsEEmLj1EEEvT0_T1_SA_.uses_vcc, 1
	.set _ZN6thrust23THRUST_200600_302600_NS11hip_rocprim14__parallel_for6kernelILj256ENS1_20__uninitialized_fill7functorINS0_10device_ptrIsEEsEEmLj1EEEvT0_T1_SA_.uses_flat_scratch, 0
	.set _ZN6thrust23THRUST_200600_302600_NS11hip_rocprim14__parallel_for6kernelILj256ENS1_20__uninitialized_fill7functorINS0_10device_ptrIsEEsEEmLj1EEEvT0_T1_SA_.has_dyn_sized_stack, 0
	.set _ZN6thrust23THRUST_200600_302600_NS11hip_rocprim14__parallel_for6kernelILj256ENS1_20__uninitialized_fill7functorINS0_10device_ptrIsEEsEEmLj1EEEvT0_T1_SA_.has_recursion, 0
	.set _ZN6thrust23THRUST_200600_302600_NS11hip_rocprim14__parallel_for6kernelILj256ENS1_20__uninitialized_fill7functorINS0_10device_ptrIsEEsEEmLj1EEEvT0_T1_SA_.has_indirect_call, 0
	.section	.AMDGPU.csdata,"",@progbits
; Kernel info:
; codeLenInByte = 204
; TotalNumSgprs: 14
; NumVgprs: 2
; ScratchSize: 0
; MemoryBound: 0
; FloatMode: 240
; IeeeMode: 1
; LDSByteSize: 0 bytes/workgroup (compile time only)
; SGPRBlocks: 0
; VGPRBlocks: 0
; NumSGPRsForWavesPerEU: 14
; NumVGPRsForWavesPerEU: 2
; NamedBarCnt: 0
; Occupancy: 16
; WaveLimiterHint : 0
; COMPUTE_PGM_RSRC2:SCRATCH_EN: 0
; COMPUTE_PGM_RSRC2:USER_SGPR: 2
; COMPUTE_PGM_RSRC2:TRAP_HANDLER: 0
; COMPUTE_PGM_RSRC2:TGID_X_EN: 1
; COMPUTE_PGM_RSRC2:TGID_Y_EN: 0
; COMPUTE_PGM_RSRC2:TGID_Z_EN: 0
; COMPUTE_PGM_RSRC2:TIDIG_COMP_CNT: 0
	.section	.text._ZN7rocprim17ROCPRIM_400000_NS6detail30init_device_scan_by_key_kernelINS1_19lookback_scan_stateINS0_5tupleIJsbEEELb0ELb1EEEN6thrust23THRUST_200600_302600_NS6detail15normal_iteratorINS8_10device_ptrIsEEEEjNS1_16block_id_wrapperIjLb0EEEEEvT_jjPNSG_10value_typeET0_PNSt15iterator_traitsISJ_E10value_typeEmT1_T2_,"axG",@progbits,_ZN7rocprim17ROCPRIM_400000_NS6detail30init_device_scan_by_key_kernelINS1_19lookback_scan_stateINS0_5tupleIJsbEEELb0ELb1EEEN6thrust23THRUST_200600_302600_NS6detail15normal_iteratorINS8_10device_ptrIsEEEEjNS1_16block_id_wrapperIjLb0EEEEEvT_jjPNSG_10value_typeET0_PNSt15iterator_traitsISJ_E10value_typeEmT1_T2_,comdat
	.protected	_ZN7rocprim17ROCPRIM_400000_NS6detail30init_device_scan_by_key_kernelINS1_19lookback_scan_stateINS0_5tupleIJsbEEELb0ELb1EEEN6thrust23THRUST_200600_302600_NS6detail15normal_iteratorINS8_10device_ptrIsEEEEjNS1_16block_id_wrapperIjLb0EEEEEvT_jjPNSG_10value_typeET0_PNSt15iterator_traitsISJ_E10value_typeEmT1_T2_ ; -- Begin function _ZN7rocprim17ROCPRIM_400000_NS6detail30init_device_scan_by_key_kernelINS1_19lookback_scan_stateINS0_5tupleIJsbEEELb0ELb1EEEN6thrust23THRUST_200600_302600_NS6detail15normal_iteratorINS8_10device_ptrIsEEEEjNS1_16block_id_wrapperIjLb0EEEEEvT_jjPNSG_10value_typeET0_PNSt15iterator_traitsISJ_E10value_typeEmT1_T2_
	.globl	_ZN7rocprim17ROCPRIM_400000_NS6detail30init_device_scan_by_key_kernelINS1_19lookback_scan_stateINS0_5tupleIJsbEEELb0ELb1EEEN6thrust23THRUST_200600_302600_NS6detail15normal_iteratorINS8_10device_ptrIsEEEEjNS1_16block_id_wrapperIjLb0EEEEEvT_jjPNSG_10value_typeET0_PNSt15iterator_traitsISJ_E10value_typeEmT1_T2_
	.p2align	8
	.type	_ZN7rocprim17ROCPRIM_400000_NS6detail30init_device_scan_by_key_kernelINS1_19lookback_scan_stateINS0_5tupleIJsbEEELb0ELb1EEEN6thrust23THRUST_200600_302600_NS6detail15normal_iteratorINS8_10device_ptrIsEEEEjNS1_16block_id_wrapperIjLb0EEEEEvT_jjPNSG_10value_typeET0_PNSt15iterator_traitsISJ_E10value_typeEmT1_T2_,@function
_ZN7rocprim17ROCPRIM_400000_NS6detail30init_device_scan_by_key_kernelINS1_19lookback_scan_stateINS0_5tupleIJsbEEELb0ELb1EEEN6thrust23THRUST_200600_302600_NS6detail15normal_iteratorINS8_10device_ptrIsEEEEjNS1_16block_id_wrapperIjLb0EEEEEvT_jjPNSG_10value_typeET0_PNSt15iterator_traitsISJ_E10value_typeEmT1_T2_: ; @_ZN7rocprim17ROCPRIM_400000_NS6detail30init_device_scan_by_key_kernelINS1_19lookback_scan_stateINS0_5tupleIJsbEEELb0ELb1EEEN6thrust23THRUST_200600_302600_NS6detail15normal_iteratorINS8_10device_ptrIsEEEEjNS1_16block_id_wrapperIjLb0EEEEEvT_jjPNSG_10value_typeET0_PNSt15iterator_traitsISJ_E10value_typeEmT1_T2_
; %bb.0:
	s_clause 0x2
	s_load_b32 s2, s[0:1], 0x44
	s_load_b32 s12, s[0:1], 0x38
	s_load_b256 s[4:11], s[0:1], 0x0
	s_bfe_u32 s3, ttmp6, 0x4000c
	s_and_b32 s14, ttmp6, 15
	s_add_co_i32 s3, s3, 1
	s_getreg_b32 s15, hwreg(HW_REG_IB_STS2, 6, 4)
	s_mul_i32 s3, ttmp9, s3
	s_delay_alu instid0(SALU_CYCLE_1)
	s_add_co_i32 s14, s14, s3
	s_wait_kmcnt 0x0
	s_and_b32 s13, s2, 0xffff
	s_cmp_eq_u32 s15, 0
	s_cselect_b32 s2, ttmp9, s14
	s_cmp_eq_u64 s[8:9], 0
	v_mad_u32 v0, s2, s13, v0
	s_cbranch_scc1 .LBB237_7
; %bb.1:
	s_cmp_lt_u32 s7, s6
	s_mov_b32 s14, exec_lo
	s_cselect_b32 s2, s7, 0
	s_delay_alu instid0(VALU_DEP_1) | instid1(SALU_CYCLE_1)
	v_cmpx_eq_u32_e64 s2, v0
	s_cbranch_execz .LBB237_6
; %bb.2:
	s_add_co_i32 s2, s7, 32
	s_delay_alu instid0(SALU_CYCLE_1) | instskip(SKIP_3) | instid1(VALU_DEP_1)
	v_dual_mov_b32 v4, 0 :: v_dual_mov_b32 v1, s2
	global_load_b64 v[2:3], v1, s[4:5] scale_offset scope:SCOPE_DEV
	s_wait_loadcnt 0x0
	v_and_b32_e32 v5, 0xff, v3
	v_cmp_ne_u64_e32 vcc_lo, 0, v[4:5]
	s_cbranch_vccnz .LBB237_5
; %bb.3:
	s_mov_b32 s3, 0
	s_delay_alu instid0(SALU_CYCLE_1) | instskip(NEXT) | instid1(SALU_CYCLE_1)
	s_lshl_b64 s[2:3], s[2:3], 3
	s_add_nc_u64 s[2:3], s[4:5], s[2:3]
.LBB237_4:                              ; =>This Inner Loop Header: Depth=1
	global_load_b64 v[2:3], v4, s[2:3] scope:SCOPE_DEV
	s_wait_loadcnt 0x0
	v_and_b32_e32 v5, 0xff, v3
	s_delay_alu instid0(VALU_DEP_1)
	v_cmp_eq_u64_e32 vcc_lo, 0, v[4:5]
	s_cbranch_vccnz .LBB237_4
.LBB237_5:
	v_mov_b32_e32 v1, 0
	s_clause 0x1
	global_store_b16 v1, v2, s[8:9]
	global_store_d16_hi_b8 v1, v2, s[8:9] offset:2
.LBB237_6:
	s_wait_xcnt 0x0
	s_or_b32 exec_lo, exec_lo, s14
.LBB237_7:
	s_delay_alu instid0(SALU_CYCLE_1) | instskip(NEXT) | instid1(VALU_DEP_1)
	s_mov_b32 s2, exec_lo
	v_cmpx_gt_u32_e64 s6, v0
	s_cbranch_execz .LBB237_9
; %bb.8:
	v_mov_b64_e32 v[2:3], 0
	v_add_nc_u32_e32 v1, 32, v0
	global_store_b64 v1, v[2:3], s[4:5] scale_offset
.LBB237_9:
	s_wait_xcnt 0x0
	s_or_b32 exec_lo, exec_lo, s2
	v_mov_b32_e32 v1, 0
	s_mov_b32 s2, exec_lo
	v_cmpx_gt_u32_e32 32, v0
	s_cbranch_execz .LBB237_11
; %bb.10:
	v_mov_b64_e32 v[2:3], 0xff00000000
	v_lshl_add_u64 v[4:5], v[0:1], 3, s[4:5]
	global_store_b64 v[4:5], v[2:3], off
.LBB237_11:
	s_wait_xcnt 0x0
	s_or_b32 exec_lo, exec_lo, s2
	s_load_b64 s[2:3], s[0:1], 0x28
	s_mov_b32 s4, exec_lo
	s_wait_kmcnt 0x0
	v_cmpx_gt_u64_e64 s[2:3], v[0:1]
	s_cbranch_execz .LBB237_14
; %bb.12:
	s_clause 0x1
	s_load_b32 s4, s[0:1], 0x30
	s_load_b64 s[6:7], s[0:1], 0x20
	s_mov_b32 s5, 0
	s_wait_xcnt 0x0
	s_mul_i32 s0, s12, s13
	s_mov_b32 s9, s5
	s_mov_b32 s1, s5
	s_wait_kmcnt 0x0
	v_mul_u64_e32 v[2:3], s[4:5], v[0:1]
	s_add_co_i32 s8, s4, -1
	v_lshl_add_u64 v[4:5], v[0:1], 1, s[6:7]
	s_lshl_b64 s[8:9], s[8:9], 1
	s_delay_alu instid0(SALU_CYCLE_1) | instskip(SKIP_1) | instid1(SALU_CYCLE_1)
	s_add_nc_u64 s[8:9], s[10:11], s[8:9]
	s_mul_u64 s[10:11], s[4:5], s[0:1]
	s_lshl_b64 s[6:7], s[10:11], 1
	s_delay_alu instid0(VALU_DEP_2)
	v_lshl_add_u64 v[2:3], v[2:3], 1, s[8:9]
	s_lshl_b64 s[8:9], s[0:1], 1
.LBB237_13:                             ; =>This Inner Loop Header: Depth=1
	global_load_u16 v6, v[2:3], off
	v_add_nc_u64_e32 v[0:1], s[0:1], v[0:1]
	s_wait_xcnt 0x0
	v_add_nc_u64_e32 v[2:3], s[6:7], v[2:3]
	s_delay_alu instid0(VALU_DEP_2)
	v_cmp_le_u64_e32 vcc_lo, s[2:3], v[0:1]
	s_or_b32 s5, vcc_lo, s5
	s_wait_loadcnt 0x0
	global_store_b16 v[4:5], v6, off
	s_wait_xcnt 0x0
	v_add_nc_u64_e32 v[4:5], s[8:9], v[4:5]
	s_and_not1_b32 exec_lo, exec_lo, s5
	s_cbranch_execnz .LBB237_13
.LBB237_14:
	s_endpgm
	.section	.rodata,"a",@progbits
	.p2align	6, 0x0
	.amdhsa_kernel _ZN7rocprim17ROCPRIM_400000_NS6detail30init_device_scan_by_key_kernelINS1_19lookback_scan_stateINS0_5tupleIJsbEEELb0ELb1EEEN6thrust23THRUST_200600_302600_NS6detail15normal_iteratorINS8_10device_ptrIsEEEEjNS1_16block_id_wrapperIjLb0EEEEEvT_jjPNSG_10value_typeET0_PNSt15iterator_traitsISJ_E10value_typeEmT1_T2_
		.amdhsa_group_segment_fixed_size 0
		.amdhsa_private_segment_fixed_size 0
		.amdhsa_kernarg_size 312
		.amdhsa_user_sgpr_count 2
		.amdhsa_user_sgpr_dispatch_ptr 0
		.amdhsa_user_sgpr_queue_ptr 0
		.amdhsa_user_sgpr_kernarg_segment_ptr 1
		.amdhsa_user_sgpr_dispatch_id 0
		.amdhsa_user_sgpr_kernarg_preload_length 0
		.amdhsa_user_sgpr_kernarg_preload_offset 0
		.amdhsa_user_sgpr_private_segment_size 0
		.amdhsa_wavefront_size32 1
		.amdhsa_uses_dynamic_stack 0
		.amdhsa_enable_private_segment 0
		.amdhsa_system_sgpr_workgroup_id_x 1
		.amdhsa_system_sgpr_workgroup_id_y 0
		.amdhsa_system_sgpr_workgroup_id_z 0
		.amdhsa_system_sgpr_workgroup_info 0
		.amdhsa_system_vgpr_workitem_id 0
		.amdhsa_next_free_vgpr 7
		.amdhsa_next_free_sgpr 16
		.amdhsa_named_barrier_count 0
		.amdhsa_reserve_vcc 1
		.amdhsa_float_round_mode_32 0
		.amdhsa_float_round_mode_16_64 0
		.amdhsa_float_denorm_mode_32 3
		.amdhsa_float_denorm_mode_16_64 3
		.amdhsa_fp16_overflow 0
		.amdhsa_memory_ordered 1
		.amdhsa_forward_progress 1
		.amdhsa_inst_pref_size 5
		.amdhsa_round_robin_scheduling 0
		.amdhsa_exception_fp_ieee_invalid_op 0
		.amdhsa_exception_fp_denorm_src 0
		.amdhsa_exception_fp_ieee_div_zero 0
		.amdhsa_exception_fp_ieee_overflow 0
		.amdhsa_exception_fp_ieee_underflow 0
		.amdhsa_exception_fp_ieee_inexact 0
		.amdhsa_exception_int_div_zero 0
	.end_amdhsa_kernel
	.section	.text._ZN7rocprim17ROCPRIM_400000_NS6detail30init_device_scan_by_key_kernelINS1_19lookback_scan_stateINS0_5tupleIJsbEEELb0ELb1EEEN6thrust23THRUST_200600_302600_NS6detail15normal_iteratorINS8_10device_ptrIsEEEEjNS1_16block_id_wrapperIjLb0EEEEEvT_jjPNSG_10value_typeET0_PNSt15iterator_traitsISJ_E10value_typeEmT1_T2_,"axG",@progbits,_ZN7rocprim17ROCPRIM_400000_NS6detail30init_device_scan_by_key_kernelINS1_19lookback_scan_stateINS0_5tupleIJsbEEELb0ELb1EEEN6thrust23THRUST_200600_302600_NS6detail15normal_iteratorINS8_10device_ptrIsEEEEjNS1_16block_id_wrapperIjLb0EEEEEvT_jjPNSG_10value_typeET0_PNSt15iterator_traitsISJ_E10value_typeEmT1_T2_,comdat
.Lfunc_end237:
	.size	_ZN7rocprim17ROCPRIM_400000_NS6detail30init_device_scan_by_key_kernelINS1_19lookback_scan_stateINS0_5tupleIJsbEEELb0ELb1EEEN6thrust23THRUST_200600_302600_NS6detail15normal_iteratorINS8_10device_ptrIsEEEEjNS1_16block_id_wrapperIjLb0EEEEEvT_jjPNSG_10value_typeET0_PNSt15iterator_traitsISJ_E10value_typeEmT1_T2_, .Lfunc_end237-_ZN7rocprim17ROCPRIM_400000_NS6detail30init_device_scan_by_key_kernelINS1_19lookback_scan_stateINS0_5tupleIJsbEEELb0ELb1EEEN6thrust23THRUST_200600_302600_NS6detail15normal_iteratorINS8_10device_ptrIsEEEEjNS1_16block_id_wrapperIjLb0EEEEEvT_jjPNSG_10value_typeET0_PNSt15iterator_traitsISJ_E10value_typeEmT1_T2_
                                        ; -- End function
	.set _ZN7rocprim17ROCPRIM_400000_NS6detail30init_device_scan_by_key_kernelINS1_19lookback_scan_stateINS0_5tupleIJsbEEELb0ELb1EEEN6thrust23THRUST_200600_302600_NS6detail15normal_iteratorINS8_10device_ptrIsEEEEjNS1_16block_id_wrapperIjLb0EEEEEvT_jjPNSG_10value_typeET0_PNSt15iterator_traitsISJ_E10value_typeEmT1_T2_.num_vgpr, 7
	.set _ZN7rocprim17ROCPRIM_400000_NS6detail30init_device_scan_by_key_kernelINS1_19lookback_scan_stateINS0_5tupleIJsbEEELb0ELb1EEEN6thrust23THRUST_200600_302600_NS6detail15normal_iteratorINS8_10device_ptrIsEEEEjNS1_16block_id_wrapperIjLb0EEEEEvT_jjPNSG_10value_typeET0_PNSt15iterator_traitsISJ_E10value_typeEmT1_T2_.num_agpr, 0
	.set _ZN7rocprim17ROCPRIM_400000_NS6detail30init_device_scan_by_key_kernelINS1_19lookback_scan_stateINS0_5tupleIJsbEEELb0ELb1EEEN6thrust23THRUST_200600_302600_NS6detail15normal_iteratorINS8_10device_ptrIsEEEEjNS1_16block_id_wrapperIjLb0EEEEEvT_jjPNSG_10value_typeET0_PNSt15iterator_traitsISJ_E10value_typeEmT1_T2_.numbered_sgpr, 16
	.set _ZN7rocprim17ROCPRIM_400000_NS6detail30init_device_scan_by_key_kernelINS1_19lookback_scan_stateINS0_5tupleIJsbEEELb0ELb1EEEN6thrust23THRUST_200600_302600_NS6detail15normal_iteratorINS8_10device_ptrIsEEEEjNS1_16block_id_wrapperIjLb0EEEEEvT_jjPNSG_10value_typeET0_PNSt15iterator_traitsISJ_E10value_typeEmT1_T2_.num_named_barrier, 0
	.set _ZN7rocprim17ROCPRIM_400000_NS6detail30init_device_scan_by_key_kernelINS1_19lookback_scan_stateINS0_5tupleIJsbEEELb0ELb1EEEN6thrust23THRUST_200600_302600_NS6detail15normal_iteratorINS8_10device_ptrIsEEEEjNS1_16block_id_wrapperIjLb0EEEEEvT_jjPNSG_10value_typeET0_PNSt15iterator_traitsISJ_E10value_typeEmT1_T2_.private_seg_size, 0
	.set _ZN7rocprim17ROCPRIM_400000_NS6detail30init_device_scan_by_key_kernelINS1_19lookback_scan_stateINS0_5tupleIJsbEEELb0ELb1EEEN6thrust23THRUST_200600_302600_NS6detail15normal_iteratorINS8_10device_ptrIsEEEEjNS1_16block_id_wrapperIjLb0EEEEEvT_jjPNSG_10value_typeET0_PNSt15iterator_traitsISJ_E10value_typeEmT1_T2_.uses_vcc, 1
	.set _ZN7rocprim17ROCPRIM_400000_NS6detail30init_device_scan_by_key_kernelINS1_19lookback_scan_stateINS0_5tupleIJsbEEELb0ELb1EEEN6thrust23THRUST_200600_302600_NS6detail15normal_iteratorINS8_10device_ptrIsEEEEjNS1_16block_id_wrapperIjLb0EEEEEvT_jjPNSG_10value_typeET0_PNSt15iterator_traitsISJ_E10value_typeEmT1_T2_.uses_flat_scratch, 0
	.set _ZN7rocprim17ROCPRIM_400000_NS6detail30init_device_scan_by_key_kernelINS1_19lookback_scan_stateINS0_5tupleIJsbEEELb0ELb1EEEN6thrust23THRUST_200600_302600_NS6detail15normal_iteratorINS8_10device_ptrIsEEEEjNS1_16block_id_wrapperIjLb0EEEEEvT_jjPNSG_10value_typeET0_PNSt15iterator_traitsISJ_E10value_typeEmT1_T2_.has_dyn_sized_stack, 0
	.set _ZN7rocprim17ROCPRIM_400000_NS6detail30init_device_scan_by_key_kernelINS1_19lookback_scan_stateINS0_5tupleIJsbEEELb0ELb1EEEN6thrust23THRUST_200600_302600_NS6detail15normal_iteratorINS8_10device_ptrIsEEEEjNS1_16block_id_wrapperIjLb0EEEEEvT_jjPNSG_10value_typeET0_PNSt15iterator_traitsISJ_E10value_typeEmT1_T2_.has_recursion, 0
	.set _ZN7rocprim17ROCPRIM_400000_NS6detail30init_device_scan_by_key_kernelINS1_19lookback_scan_stateINS0_5tupleIJsbEEELb0ELb1EEEN6thrust23THRUST_200600_302600_NS6detail15normal_iteratorINS8_10device_ptrIsEEEEjNS1_16block_id_wrapperIjLb0EEEEEvT_jjPNSG_10value_typeET0_PNSt15iterator_traitsISJ_E10value_typeEmT1_T2_.has_indirect_call, 0
	.section	.AMDGPU.csdata,"",@progbits
; Kernel info:
; codeLenInByte = 564
; TotalNumSgprs: 18
; NumVgprs: 7
; ScratchSize: 0
; MemoryBound: 0
; FloatMode: 240
; IeeeMode: 1
; LDSByteSize: 0 bytes/workgroup (compile time only)
; SGPRBlocks: 0
; VGPRBlocks: 0
; NumSGPRsForWavesPerEU: 18
; NumVGPRsForWavesPerEU: 7
; NamedBarCnt: 0
; Occupancy: 16
; WaveLimiterHint : 0
; COMPUTE_PGM_RSRC2:SCRATCH_EN: 0
; COMPUTE_PGM_RSRC2:USER_SGPR: 2
; COMPUTE_PGM_RSRC2:TRAP_HANDLER: 0
; COMPUTE_PGM_RSRC2:TGID_X_EN: 1
; COMPUTE_PGM_RSRC2:TGID_Y_EN: 0
; COMPUTE_PGM_RSRC2:TGID_Z_EN: 0
; COMPUTE_PGM_RSRC2:TIDIG_COMP_CNT: 0
	.section	.text._ZN7rocprim17ROCPRIM_400000_NS6detail30init_device_scan_by_key_kernelINS1_19lookback_scan_stateINS0_5tupleIJsbEEELb0ELb1EEENS1_16block_id_wrapperIjLb0EEEEEvT_jjPNS9_10value_typeET0_,"axG",@progbits,_ZN7rocprim17ROCPRIM_400000_NS6detail30init_device_scan_by_key_kernelINS1_19lookback_scan_stateINS0_5tupleIJsbEEELb0ELb1EEENS1_16block_id_wrapperIjLb0EEEEEvT_jjPNS9_10value_typeET0_,comdat
	.protected	_ZN7rocprim17ROCPRIM_400000_NS6detail30init_device_scan_by_key_kernelINS1_19lookback_scan_stateINS0_5tupleIJsbEEELb0ELb1EEENS1_16block_id_wrapperIjLb0EEEEEvT_jjPNS9_10value_typeET0_ ; -- Begin function _ZN7rocprim17ROCPRIM_400000_NS6detail30init_device_scan_by_key_kernelINS1_19lookback_scan_stateINS0_5tupleIJsbEEELb0ELb1EEENS1_16block_id_wrapperIjLb0EEEEEvT_jjPNS9_10value_typeET0_
	.globl	_ZN7rocprim17ROCPRIM_400000_NS6detail30init_device_scan_by_key_kernelINS1_19lookback_scan_stateINS0_5tupleIJsbEEELb0ELb1EEENS1_16block_id_wrapperIjLb0EEEEEvT_jjPNS9_10value_typeET0_
	.p2align	8
	.type	_ZN7rocprim17ROCPRIM_400000_NS6detail30init_device_scan_by_key_kernelINS1_19lookback_scan_stateINS0_5tupleIJsbEEELb0ELb1EEENS1_16block_id_wrapperIjLb0EEEEEvT_jjPNS9_10value_typeET0_,@function
_ZN7rocprim17ROCPRIM_400000_NS6detail30init_device_scan_by_key_kernelINS1_19lookback_scan_stateINS0_5tupleIJsbEEELb0ELb1EEENS1_16block_id_wrapperIjLb0EEEEEvT_jjPNS9_10value_typeET0_: ; @_ZN7rocprim17ROCPRIM_400000_NS6detail30init_device_scan_by_key_kernelINS1_19lookback_scan_stateINS0_5tupleIJsbEEELb0ELb1EEENS1_16block_id_wrapperIjLb0EEEEEvT_jjPNS9_10value_typeET0_
; %bb.0:
	s_clause 0x2
	s_load_b32 s8, s[0:1], 0x2c
	s_load_b128 s[4:7], s[0:1], 0x0
	s_load_b64 s[2:3], s[0:1], 0x10
	s_wait_xcnt 0x0
	s_bfe_u32 s0, ttmp6, 0x4000c
	s_and_b32 s1, ttmp6, 15
	s_add_co_i32 s0, s0, 1
	s_getreg_b32 s9, hwreg(HW_REG_IB_STS2, 6, 4)
	s_mul_i32 s0, ttmp9, s0
	s_delay_alu instid0(SALU_CYCLE_1)
	s_add_co_i32 s1, s1, s0
	s_wait_kmcnt 0x0
	s_and_b32 s8, s8, 0xffff
	s_cmp_eq_u32 s9, 0
	s_cselect_b32 s0, ttmp9, s1
	s_cmp_eq_u64 s[2:3], 0
	v_mad_u32 v4, s0, s8, v0
	s_cbranch_scc1 .LBB238_7
; %bb.1:
	s_cmp_lt_u32 s7, s6
	s_mov_b32 s8, exec_lo
	s_cselect_b32 s0, s7, 0
	s_delay_alu instid0(VALU_DEP_1) | instid1(SALU_CYCLE_1)
	v_cmpx_eq_u32_e64 s0, v4
	s_cbranch_execz .LBB238_6
; %bb.2:
	s_add_co_i32 s0, s7, 32
	s_delay_alu instid0(SALU_CYCLE_1) | instskip(SKIP_3) | instid1(VALU_DEP_1)
	v_dual_mov_b32 v2, 0 :: v_dual_mov_b32 v0, s0
	global_load_b64 v[0:1], v0, s[4:5] scale_offset scope:SCOPE_DEV
	s_wait_loadcnt 0x0
	v_and_b32_e32 v3, 0xff, v1
	v_cmp_ne_u64_e32 vcc_lo, 0, v[2:3]
	s_cbranch_vccnz .LBB238_5
; %bb.3:
	s_mov_b32 s1, 0
	s_delay_alu instid0(SALU_CYCLE_1) | instskip(NEXT) | instid1(SALU_CYCLE_1)
	s_lshl_b64 s[0:1], s[0:1], 3
	s_add_nc_u64 s[0:1], s[4:5], s[0:1]
.LBB238_4:                              ; =>This Inner Loop Header: Depth=1
	global_load_b64 v[0:1], v2, s[0:1] scope:SCOPE_DEV
	s_wait_loadcnt 0x0
	v_and_b32_e32 v3, 0xff, v1
	s_delay_alu instid0(VALU_DEP_1)
	v_cmp_eq_u64_e32 vcc_lo, 0, v[2:3]
	s_cbranch_vccnz .LBB238_4
.LBB238_5:
	v_mov_b32_e32 v1, 0
	s_clause 0x1
	global_store_b16 v1, v0, s[2:3]
	global_store_d16_hi_b8 v1, v0, s[2:3] offset:2
.LBB238_6:
	s_wait_xcnt 0x0
	s_or_b32 exec_lo, exec_lo, s8
.LBB238_7:
	s_delay_alu instid0(SALU_CYCLE_1) | instskip(NEXT) | instid1(VALU_DEP_1)
	s_mov_b32 s0, exec_lo
	v_cmpx_gt_u32_e64 s6, v4
	s_cbranch_execz .LBB238_9
; %bb.8:
	v_mov_b64_e32 v[0:1], 0
	v_add_nc_u32_e32 v2, 32, v4
	global_store_b64 v2, v[0:1], s[4:5] scale_offset
.LBB238_9:
	s_wait_xcnt 0x0
	s_or_b32 exec_lo, exec_lo, s0
	s_delay_alu instid0(SALU_CYCLE_1)
	s_mov_b32 s0, exec_lo
	v_cmpx_gt_u32_e32 32, v4
	s_cbranch_execz .LBB238_11
; %bb.10:
	v_mov_b64_e32 v[0:1], 0xff00000000
	global_store_b64 v4, v[0:1], s[4:5] scale_offset
.LBB238_11:
	s_endpgm
	.section	.rodata,"a",@progbits
	.p2align	6, 0x0
	.amdhsa_kernel _ZN7rocprim17ROCPRIM_400000_NS6detail30init_device_scan_by_key_kernelINS1_19lookback_scan_stateINS0_5tupleIJsbEEELb0ELb1EEENS1_16block_id_wrapperIjLb0EEEEEvT_jjPNS9_10value_typeET0_
		.amdhsa_group_segment_fixed_size 0
		.amdhsa_private_segment_fixed_size 0
		.amdhsa_kernarg_size 288
		.amdhsa_user_sgpr_count 2
		.amdhsa_user_sgpr_dispatch_ptr 0
		.amdhsa_user_sgpr_queue_ptr 0
		.amdhsa_user_sgpr_kernarg_segment_ptr 1
		.amdhsa_user_sgpr_dispatch_id 0
		.amdhsa_user_sgpr_kernarg_preload_length 0
		.amdhsa_user_sgpr_kernarg_preload_offset 0
		.amdhsa_user_sgpr_private_segment_size 0
		.amdhsa_wavefront_size32 1
		.amdhsa_uses_dynamic_stack 0
		.amdhsa_enable_private_segment 0
		.amdhsa_system_sgpr_workgroup_id_x 1
		.amdhsa_system_sgpr_workgroup_id_y 0
		.amdhsa_system_sgpr_workgroup_id_z 0
		.amdhsa_system_sgpr_workgroup_info 0
		.amdhsa_system_vgpr_workitem_id 0
		.amdhsa_next_free_vgpr 5
		.amdhsa_next_free_sgpr 10
		.amdhsa_named_barrier_count 0
		.amdhsa_reserve_vcc 1
		.amdhsa_float_round_mode_32 0
		.amdhsa_float_round_mode_16_64 0
		.amdhsa_float_denorm_mode_32 3
		.amdhsa_float_denorm_mode_16_64 3
		.amdhsa_fp16_overflow 0
		.amdhsa_memory_ordered 1
		.amdhsa_forward_progress 1
		.amdhsa_inst_pref_size 3
		.amdhsa_round_robin_scheduling 0
		.amdhsa_exception_fp_ieee_invalid_op 0
		.amdhsa_exception_fp_denorm_src 0
		.amdhsa_exception_fp_ieee_div_zero 0
		.amdhsa_exception_fp_ieee_overflow 0
		.amdhsa_exception_fp_ieee_underflow 0
		.amdhsa_exception_fp_ieee_inexact 0
		.amdhsa_exception_int_div_zero 0
	.end_amdhsa_kernel
	.section	.text._ZN7rocprim17ROCPRIM_400000_NS6detail30init_device_scan_by_key_kernelINS1_19lookback_scan_stateINS0_5tupleIJsbEEELb0ELb1EEENS1_16block_id_wrapperIjLb0EEEEEvT_jjPNS9_10value_typeET0_,"axG",@progbits,_ZN7rocprim17ROCPRIM_400000_NS6detail30init_device_scan_by_key_kernelINS1_19lookback_scan_stateINS0_5tupleIJsbEEELb0ELb1EEENS1_16block_id_wrapperIjLb0EEEEEvT_jjPNS9_10value_typeET0_,comdat
.Lfunc_end238:
	.size	_ZN7rocprim17ROCPRIM_400000_NS6detail30init_device_scan_by_key_kernelINS1_19lookback_scan_stateINS0_5tupleIJsbEEELb0ELb1EEENS1_16block_id_wrapperIjLb0EEEEEvT_jjPNS9_10value_typeET0_, .Lfunc_end238-_ZN7rocprim17ROCPRIM_400000_NS6detail30init_device_scan_by_key_kernelINS1_19lookback_scan_stateINS0_5tupleIJsbEEELb0ELb1EEENS1_16block_id_wrapperIjLb0EEEEEvT_jjPNS9_10value_typeET0_
                                        ; -- End function
	.set _ZN7rocprim17ROCPRIM_400000_NS6detail30init_device_scan_by_key_kernelINS1_19lookback_scan_stateINS0_5tupleIJsbEEELb0ELb1EEENS1_16block_id_wrapperIjLb0EEEEEvT_jjPNS9_10value_typeET0_.num_vgpr, 5
	.set _ZN7rocprim17ROCPRIM_400000_NS6detail30init_device_scan_by_key_kernelINS1_19lookback_scan_stateINS0_5tupleIJsbEEELb0ELb1EEENS1_16block_id_wrapperIjLb0EEEEEvT_jjPNS9_10value_typeET0_.num_agpr, 0
	.set _ZN7rocprim17ROCPRIM_400000_NS6detail30init_device_scan_by_key_kernelINS1_19lookback_scan_stateINS0_5tupleIJsbEEELb0ELb1EEENS1_16block_id_wrapperIjLb0EEEEEvT_jjPNS9_10value_typeET0_.numbered_sgpr, 10
	.set _ZN7rocprim17ROCPRIM_400000_NS6detail30init_device_scan_by_key_kernelINS1_19lookback_scan_stateINS0_5tupleIJsbEEELb0ELb1EEENS1_16block_id_wrapperIjLb0EEEEEvT_jjPNS9_10value_typeET0_.num_named_barrier, 0
	.set _ZN7rocprim17ROCPRIM_400000_NS6detail30init_device_scan_by_key_kernelINS1_19lookback_scan_stateINS0_5tupleIJsbEEELb0ELb1EEENS1_16block_id_wrapperIjLb0EEEEEvT_jjPNS9_10value_typeET0_.private_seg_size, 0
	.set _ZN7rocprim17ROCPRIM_400000_NS6detail30init_device_scan_by_key_kernelINS1_19lookback_scan_stateINS0_5tupleIJsbEEELb0ELb1EEENS1_16block_id_wrapperIjLb0EEEEEvT_jjPNS9_10value_typeET0_.uses_vcc, 1
	.set _ZN7rocprim17ROCPRIM_400000_NS6detail30init_device_scan_by_key_kernelINS1_19lookback_scan_stateINS0_5tupleIJsbEEELb0ELb1EEENS1_16block_id_wrapperIjLb0EEEEEvT_jjPNS9_10value_typeET0_.uses_flat_scratch, 0
	.set _ZN7rocprim17ROCPRIM_400000_NS6detail30init_device_scan_by_key_kernelINS1_19lookback_scan_stateINS0_5tupleIJsbEEELb0ELb1EEENS1_16block_id_wrapperIjLb0EEEEEvT_jjPNS9_10value_typeET0_.has_dyn_sized_stack, 0
	.set _ZN7rocprim17ROCPRIM_400000_NS6detail30init_device_scan_by_key_kernelINS1_19lookback_scan_stateINS0_5tupleIJsbEEELb0ELb1EEENS1_16block_id_wrapperIjLb0EEEEEvT_jjPNS9_10value_typeET0_.has_recursion, 0
	.set _ZN7rocprim17ROCPRIM_400000_NS6detail30init_device_scan_by_key_kernelINS1_19lookback_scan_stateINS0_5tupleIJsbEEELb0ELb1EEENS1_16block_id_wrapperIjLb0EEEEEvT_jjPNS9_10value_typeET0_.has_indirect_call, 0
	.section	.AMDGPU.csdata,"",@progbits
; Kernel info:
; codeLenInByte = 364
; TotalNumSgprs: 12
; NumVgprs: 5
; ScratchSize: 0
; MemoryBound: 0
; FloatMode: 240
; IeeeMode: 1
; LDSByteSize: 0 bytes/workgroup (compile time only)
; SGPRBlocks: 0
; VGPRBlocks: 0
; NumSGPRsForWavesPerEU: 12
; NumVGPRsForWavesPerEU: 5
; NamedBarCnt: 0
; Occupancy: 16
; WaveLimiterHint : 0
; COMPUTE_PGM_RSRC2:SCRATCH_EN: 0
; COMPUTE_PGM_RSRC2:USER_SGPR: 2
; COMPUTE_PGM_RSRC2:TRAP_HANDLER: 0
; COMPUTE_PGM_RSRC2:TGID_X_EN: 1
; COMPUTE_PGM_RSRC2:TGID_Y_EN: 0
; COMPUTE_PGM_RSRC2:TGID_Z_EN: 0
; COMPUTE_PGM_RSRC2:TIDIG_COMP_CNT: 0
	.section	.text._ZN7rocprim17ROCPRIM_400000_NS6detail17trampoline_kernelINS0_14default_configENS1_27scan_by_key_config_selectorIssEEZZNS1_16scan_by_key_implILNS1_25lookback_scan_determinismE0ELb0ES3_N6thrust23THRUST_200600_302600_NS6detail15normal_iteratorINS9_10device_ptrIsEEEESE_SE_sNS9_4plusIvEENS9_8equal_toIvEEsEE10hipError_tPvRmT2_T3_T4_T5_mT6_T7_P12ihipStream_tbENKUlT_T0_E_clISt17integral_constantIbLb0EESZ_EEDaSU_SV_EUlSU_E_NS1_11comp_targetILNS1_3genE0ELNS1_11target_archE4294967295ELNS1_3gpuE0ELNS1_3repE0EEENS1_30default_config_static_selectorELNS0_4arch9wavefront6targetE0EEEvT1_,"axG",@progbits,_ZN7rocprim17ROCPRIM_400000_NS6detail17trampoline_kernelINS0_14default_configENS1_27scan_by_key_config_selectorIssEEZZNS1_16scan_by_key_implILNS1_25lookback_scan_determinismE0ELb0ES3_N6thrust23THRUST_200600_302600_NS6detail15normal_iteratorINS9_10device_ptrIsEEEESE_SE_sNS9_4plusIvEENS9_8equal_toIvEEsEE10hipError_tPvRmT2_T3_T4_T5_mT6_T7_P12ihipStream_tbENKUlT_T0_E_clISt17integral_constantIbLb0EESZ_EEDaSU_SV_EUlSU_E_NS1_11comp_targetILNS1_3genE0ELNS1_11target_archE4294967295ELNS1_3gpuE0ELNS1_3repE0EEENS1_30default_config_static_selectorELNS0_4arch9wavefront6targetE0EEEvT1_,comdat
	.protected	_ZN7rocprim17ROCPRIM_400000_NS6detail17trampoline_kernelINS0_14default_configENS1_27scan_by_key_config_selectorIssEEZZNS1_16scan_by_key_implILNS1_25lookback_scan_determinismE0ELb0ES3_N6thrust23THRUST_200600_302600_NS6detail15normal_iteratorINS9_10device_ptrIsEEEESE_SE_sNS9_4plusIvEENS9_8equal_toIvEEsEE10hipError_tPvRmT2_T3_T4_T5_mT6_T7_P12ihipStream_tbENKUlT_T0_E_clISt17integral_constantIbLb0EESZ_EEDaSU_SV_EUlSU_E_NS1_11comp_targetILNS1_3genE0ELNS1_11target_archE4294967295ELNS1_3gpuE0ELNS1_3repE0EEENS1_30default_config_static_selectorELNS0_4arch9wavefront6targetE0EEEvT1_ ; -- Begin function _ZN7rocprim17ROCPRIM_400000_NS6detail17trampoline_kernelINS0_14default_configENS1_27scan_by_key_config_selectorIssEEZZNS1_16scan_by_key_implILNS1_25lookback_scan_determinismE0ELb0ES3_N6thrust23THRUST_200600_302600_NS6detail15normal_iteratorINS9_10device_ptrIsEEEESE_SE_sNS9_4plusIvEENS9_8equal_toIvEEsEE10hipError_tPvRmT2_T3_T4_T5_mT6_T7_P12ihipStream_tbENKUlT_T0_E_clISt17integral_constantIbLb0EESZ_EEDaSU_SV_EUlSU_E_NS1_11comp_targetILNS1_3genE0ELNS1_11target_archE4294967295ELNS1_3gpuE0ELNS1_3repE0EEENS1_30default_config_static_selectorELNS0_4arch9wavefront6targetE0EEEvT1_
	.globl	_ZN7rocprim17ROCPRIM_400000_NS6detail17trampoline_kernelINS0_14default_configENS1_27scan_by_key_config_selectorIssEEZZNS1_16scan_by_key_implILNS1_25lookback_scan_determinismE0ELb0ES3_N6thrust23THRUST_200600_302600_NS6detail15normal_iteratorINS9_10device_ptrIsEEEESE_SE_sNS9_4plusIvEENS9_8equal_toIvEEsEE10hipError_tPvRmT2_T3_T4_T5_mT6_T7_P12ihipStream_tbENKUlT_T0_E_clISt17integral_constantIbLb0EESZ_EEDaSU_SV_EUlSU_E_NS1_11comp_targetILNS1_3genE0ELNS1_11target_archE4294967295ELNS1_3gpuE0ELNS1_3repE0EEENS1_30default_config_static_selectorELNS0_4arch9wavefront6targetE0EEEvT1_
	.p2align	8
	.type	_ZN7rocprim17ROCPRIM_400000_NS6detail17trampoline_kernelINS0_14default_configENS1_27scan_by_key_config_selectorIssEEZZNS1_16scan_by_key_implILNS1_25lookback_scan_determinismE0ELb0ES3_N6thrust23THRUST_200600_302600_NS6detail15normal_iteratorINS9_10device_ptrIsEEEESE_SE_sNS9_4plusIvEENS9_8equal_toIvEEsEE10hipError_tPvRmT2_T3_T4_T5_mT6_T7_P12ihipStream_tbENKUlT_T0_E_clISt17integral_constantIbLb0EESZ_EEDaSU_SV_EUlSU_E_NS1_11comp_targetILNS1_3genE0ELNS1_11target_archE4294967295ELNS1_3gpuE0ELNS1_3repE0EEENS1_30default_config_static_selectorELNS0_4arch9wavefront6targetE0EEEvT1_,@function
_ZN7rocprim17ROCPRIM_400000_NS6detail17trampoline_kernelINS0_14default_configENS1_27scan_by_key_config_selectorIssEEZZNS1_16scan_by_key_implILNS1_25lookback_scan_determinismE0ELb0ES3_N6thrust23THRUST_200600_302600_NS6detail15normal_iteratorINS9_10device_ptrIsEEEESE_SE_sNS9_4plusIvEENS9_8equal_toIvEEsEE10hipError_tPvRmT2_T3_T4_T5_mT6_T7_P12ihipStream_tbENKUlT_T0_E_clISt17integral_constantIbLb0EESZ_EEDaSU_SV_EUlSU_E_NS1_11comp_targetILNS1_3genE0ELNS1_11target_archE4294967295ELNS1_3gpuE0ELNS1_3repE0EEENS1_30default_config_static_selectorELNS0_4arch9wavefront6targetE0EEEvT1_: ; @_ZN7rocprim17ROCPRIM_400000_NS6detail17trampoline_kernelINS0_14default_configENS1_27scan_by_key_config_selectorIssEEZZNS1_16scan_by_key_implILNS1_25lookback_scan_determinismE0ELb0ES3_N6thrust23THRUST_200600_302600_NS6detail15normal_iteratorINS9_10device_ptrIsEEEESE_SE_sNS9_4plusIvEENS9_8equal_toIvEEsEE10hipError_tPvRmT2_T3_T4_T5_mT6_T7_P12ihipStream_tbENKUlT_T0_E_clISt17integral_constantIbLb0EESZ_EEDaSU_SV_EUlSU_E_NS1_11comp_targetILNS1_3genE0ELNS1_11target_archE4294967295ELNS1_3gpuE0ELNS1_3repE0EEENS1_30default_config_static_selectorELNS0_4arch9wavefront6targetE0EEEvT1_
; %bb.0:
	s_clause 0x3
	s_load_b256 s[16:23], s[0:1], 0x0
	s_load_b256 s[24:31], s[0:1], 0x48
	s_load_b96 s[40:42], s[0:1], 0x38
	s_load_b128 s[36:39], s[0:1], 0x28
	s_getreg_b32 s4, hwreg(HW_REG_IB_STS2, 6, 4)
	s_wait_xcnt 0x0
	s_mov_b32 s1, 0
	s_barrier_signal -1
	s_barrier_wait -1
	s_wait_kmcnt 0x0
	s_lshl_b64 s[34:35], s[18:19], 1
	s_cmp_lg_u64 s[28:29], 0
	s_mov_b32 s0, s42
	s_cselect_b32 s39, -1, 0
	s_bfe_u32 s2, ttmp6, 0x4000c
	s_and_b32 s5, ttmp6, 15
	s_add_co_i32 s2, s2, 1
	s_mov_b32 s29, s1
	s_mul_i32 s6, ttmp9, s2
	s_add_nc_u64 s[2:3], s[16:17], s[34:35]
	s_add_co_i32 s6, s5, s6
	s_cmp_eq_u32 s4, 0
	s_mul_u64 s[4:5], s[40:41], s[0:1]
	s_cselect_b32 s28, ttmp9, s6
	s_add_nc_u64 s[6:7], s[20:21], s[34:35]
	s_add_nc_u64 s[44:45], s[4:5], s[28:29]
	s_add_nc_u64 s[4:5], s[24:25], -1
	s_mul_i32 s0, s28, 0x1400
	v_cmp_ge_u64_e64 s29, s[44:45], s[4:5]
	s_lshl_b64 s[24:25], s[0:1], 1
	s_mul_i32 s33, s4, 0xffffec00
	s_add_nc_u64 s[42:43], s[2:3], s[24:25]
	s_add_nc_u64 s[20:21], s[6:7], s[24:25]
	s_and_b32 vcc_lo, exec_lo, s29
	s_cbranch_vccz .LBB239_44
; %bb.1:
	v_mov_b32_e32 v1, 0
	s_add_co_i32 s48, s33, s38
	s_delay_alu instid0(SALU_CYCLE_1)
	v_cmp_gt_u32_e64 s0, s48, v0
	flat_load_u16 v2, v1, s[42:43]
	s_wait_loadcnt_dscnt 0x0
	v_mov_b32_e32 v3, v2
	s_and_saveexec_b32 s1, s0
	s_cbranch_execz .LBB239_3
; %bb.2:
	flat_load_u16 v3, v0, s[42:43] scale_offset
.LBB239_3:
	s_wait_xcnt 0x0
	s_or_b32 exec_lo, exec_lo, s1
	v_or_b32_e32 v1, 0x100, v0
	v_mov_b32_e32 v4, v2
	s_delay_alu instid0(VALU_DEP_2)
	v_cmp_gt_u32_e64 s1, s48, v1
	s_and_saveexec_b32 s2, s1
	s_cbranch_execz .LBB239_5
; %bb.4:
	flat_load_u16 v4, v0, s[42:43] offset:512 scale_offset
.LBB239_5:
	s_wait_xcnt 0x0
	s_or_b32 exec_lo, exec_lo, s2
	v_or_b32_e32 v1, 0x200, v0
	v_mov_b32_e32 v5, v2
	s_delay_alu instid0(VALU_DEP_2)
	v_cmp_gt_u32_e64 s2, s48, v1
	s_and_saveexec_b32 s3, s2
	s_cbranch_execz .LBB239_7
; %bb.6:
	flat_load_u16 v5, v0, s[42:43] offset:1024 scale_offset
.LBB239_7:
	;; [unrolled: 11-line block ×18, first 2 shown]
	s_wait_xcnt 0x0
	s_or_b32 exec_lo, exec_lo, s19
	v_or_b32_e32 v1, 0x1300, v0
	s_mov_b32 s46, exec_lo
	s_delay_alu instid0(VALU_DEP_1) | instskip(SKIP_2) | instid1(SALU_CYCLE_1)
	v_cmp_gt_u32_e64 s19, s48, v1
	v_cmpx_le_u32_e64 s48, v1
	s_xor_b32 s46, exec_lo, s46
	s_and_not1_saveexec_b32 s46, s46
	s_cbranch_execz .LBB239_41
; %bb.40:
	flat_load_u16 v2, v0, s[42:43] offset:9728 scale_offset
.LBB239_41:
	s_wait_xcnt 0x0
	s_or_b32 exec_lo, exec_lo, s46
	v_lshlrev_b32_e32 v1, 1, v0
	s_cmp_eq_u64 s[44:45], 0
	s_mov_b64 s[46:47], s[42:43]
	s_wait_loadcnt_dscnt 0x0
	ds_store_b16 v1, v3
	ds_store_b16 v1, v4 offset:512
	ds_store_b16 v1, v5 offset:1024
	;; [unrolled: 1-line block ×19, first 2 shown]
	v_mad_u32_u24 v47, v0, 38, v1
	s_wait_dscnt 0x0
	s_barrier_signal -1
	s_barrier_wait -1
	ds_load_2addr_b64 v[10:13], v47 offset1:1
	ds_load_2addr_b64 v[6:9], v47 offset0:2 offset1:3
	ds_load_b64 v[14:15], v47 offset:32
	s_cbranch_scc1 .LBB239_47
; %bb.42:
	s_and_not1_b32 vcc_lo, exec_lo, s39
	s_cbranch_vccnz .LBB239_45
; %bb.43:
	s_lshl_b64 s[46:47], s[44:45], 1
	s_mov_b32 s49, 0
	s_add_nc_u64 s[46:47], s[30:31], s[46:47]
	s_delay_alu instid0(SALU_CYCLE_1)
	s_add_nc_u64 s[46:47], s[46:47], -2
	s_branch .LBB239_46
.LBB239_44:
                                        ; implicit-def: $sgpr3
                                        ; implicit-def: $vgpr41
                                        ; implicit-def: $vgpr30
                                        ; implicit-def: $vgpr2
                                        ; implicit-def: $vgpr43
                                        ; implicit-def: $vgpr53
                                        ; implicit-def: $vgpr50
                                        ; implicit-def: $vgpr51
                                        ; implicit-def: $vgpr48
                                        ; implicit-def: $vgpr46
                                        ; implicit-def: $vgpr45
                                        ; implicit-def: $vgpr44
                                        ; implicit-def: $vgpr42
                                        ; implicit-def: $vgpr40
                                        ; implicit-def: $vgpr39
                                        ; implicit-def: $vgpr38
                                        ; implicit-def: $vgpr37
                                        ; implicit-def: $vgpr36
                                        ; implicit-def: $vgpr34
                                        ; implicit-def: $vgpr35
                                        ; implicit-def: $vgpr33
                                        ; implicit-def: $vgpr32
                                        ; implicit-def: $vgpr31
                                        ; implicit-def: $vgpr29
                                        ; implicit-def: $vgpr28
                                        ; implicit-def: $vgpr27
                                        ; implicit-def: $vgpr26
                                        ; implicit-def: $vgpr25
                                        ; implicit-def: $vgpr24
                                        ; implicit-def: $vgpr23
                                        ; implicit-def: $vgpr22
                                        ; implicit-def: $vgpr21
                                        ; implicit-def: $vgpr20
                                        ; implicit-def: $vgpr19
                                        ; implicit-def: $vgpr18
                                        ; implicit-def: $vgpr17
                                        ; implicit-def: $vgpr16
                                        ; implicit-def: $vgpr1
	v_lshlrev_b32_e32 v10, 1, v0
	s_cbranch_execnz .LBB239_109
	s_branch .LBB239_136
.LBB239_45:
	s_add_nc_u64 s[46:47], s[42:43], -2
	s_mov_b32 s49, -1
.LBB239_46:
	s_delay_alu instid0(SALU_CYCLE_1)
	s_and_not1_b32 vcc_lo, exec_lo, s49
.LBB239_47:
	s_wait_dscnt 0x0
	v_dual_mov_b32 v2, 0 :: v_dual_lshrrev_b32 v49, 16, v15
	flat_load_u16 v3, v2, s[46:47]
	s_wait_xcnt 0x0
	v_mad_i32_i24 v2, 0xffffffda, v0, v47
	s_mov_b32 s46, exec_lo
	ds_store_b16 v2, v49 offset:10240
	s_wait_loadcnt_dscnt 0x0
	s_barrier_signal -1
	s_barrier_wait -1
	v_cmpx_ne_u32_e32 0, v0
; %bb.48:
	v_mul_i32_i24_e32 v2, 0xffffffda, v0
	s_delay_alu instid0(VALU_DEP_1)
	v_add_nc_u32_e32 v2, v47, v2
	ds_load_u16 v3, v2 offset:10238
; %bb.49:
	s_or_b32 exec_lo, exec_lo, s46
	s_wait_dscnt 0x0
	s_barrier_signal -1
	s_barrier_wait -1
                                        ; implicit-def: $vgpr2
	s_and_saveexec_b32 s46, s0
	s_cbranch_execnz .LBB239_112
; %bb.50:
	s_or_b32 exec_lo, exec_lo, s46
                                        ; implicit-def: $vgpr4
	s_and_saveexec_b32 s0, s1
	s_cbranch_execnz .LBB239_113
.LBB239_51:
	s_or_b32 exec_lo, exec_lo, s0
                                        ; implicit-def: $vgpr5
	s_and_saveexec_b32 s0, s2
	s_cbranch_execnz .LBB239_114
.LBB239_52:
	s_or_b32 exec_lo, exec_lo, s0
                                        ; implicit-def: $vgpr16
	s_and_saveexec_b32 s0, s3
	s_cbranch_execnz .LBB239_115
.LBB239_53:
	s_or_b32 exec_lo, exec_lo, s0
                                        ; implicit-def: $vgpr17
	s_and_saveexec_b32 s0, s4
	s_cbranch_execnz .LBB239_116
.LBB239_54:
	s_or_b32 exec_lo, exec_lo, s0
                                        ; implicit-def: $vgpr18
	s_and_saveexec_b32 s0, s5
	s_cbranch_execnz .LBB239_117
.LBB239_55:
	s_or_b32 exec_lo, exec_lo, s0
                                        ; implicit-def: $vgpr19
	s_and_saveexec_b32 s0, s6
	s_cbranch_execnz .LBB239_118
.LBB239_56:
	s_or_b32 exec_lo, exec_lo, s0
                                        ; implicit-def: $vgpr20
	s_and_saveexec_b32 s0, s7
	s_cbranch_execnz .LBB239_119
.LBB239_57:
	s_or_b32 exec_lo, exec_lo, s0
                                        ; implicit-def: $vgpr21
	s_and_saveexec_b32 s0, s8
	s_cbranch_execnz .LBB239_120
.LBB239_58:
	s_or_b32 exec_lo, exec_lo, s0
                                        ; implicit-def: $vgpr22
	s_and_saveexec_b32 s0, s9
	s_cbranch_execnz .LBB239_121
.LBB239_59:
	s_or_b32 exec_lo, exec_lo, s0
                                        ; implicit-def: $vgpr23
	s_and_saveexec_b32 s0, s10
	s_cbranch_execnz .LBB239_122
.LBB239_60:
	s_or_b32 exec_lo, exec_lo, s0
                                        ; implicit-def: $vgpr24
	s_and_saveexec_b32 s0, s11
	s_cbranch_execnz .LBB239_123
.LBB239_61:
	s_or_b32 exec_lo, exec_lo, s0
                                        ; implicit-def: $vgpr25
	s_and_saveexec_b32 s0, s12
	s_cbranch_execnz .LBB239_124
.LBB239_62:
	s_or_b32 exec_lo, exec_lo, s0
                                        ; implicit-def: $vgpr26
	s_and_saveexec_b32 s0, s13
	s_cbranch_execnz .LBB239_125
.LBB239_63:
	s_or_b32 exec_lo, exec_lo, s0
                                        ; implicit-def: $vgpr27
	s_and_saveexec_b32 s0, s14
	s_cbranch_execnz .LBB239_126
.LBB239_64:
	s_or_b32 exec_lo, exec_lo, s0
                                        ; implicit-def: $vgpr28
	s_and_saveexec_b32 s0, s15
	s_cbranch_execnz .LBB239_127
.LBB239_65:
	s_or_b32 exec_lo, exec_lo, s0
                                        ; implicit-def: $vgpr29
	s_and_saveexec_b32 s0, s16
	s_cbranch_execnz .LBB239_128
.LBB239_66:
	s_or_b32 exec_lo, exec_lo, s0
                                        ; implicit-def: $vgpr30
	s_and_saveexec_b32 s0, s17
	s_cbranch_execnz .LBB239_129
.LBB239_67:
	s_or_b32 exec_lo, exec_lo, s0
                                        ; implicit-def: $vgpr31
	s_and_saveexec_b32 s0, s18
	s_cbranch_execnz .LBB239_130
.LBB239_68:
	s_or_b32 exec_lo, exec_lo, s0
                                        ; implicit-def: $vgpr32
	s_and_saveexec_b32 s0, s19
	s_cbranch_execz .LBB239_70
.LBB239_69:
	flat_load_u16 v32, v0, s[20:21] offset:9728 scale_offset
.LBB239_70:
	s_wait_xcnt 0x0
	s_or_b32 exec_lo, exec_lo, s0
	v_mul_u32_u24_e32 v52, 20, v0
	s_wait_loadcnt_dscnt 0x0
	ds_store_b16 v1, v2
	ds_store_b16 v1, v4 offset:512
	ds_store_b16 v1, v5 offset:1024
	;; [unrolled: 1-line block ×19, first 2 shown]
	v_dual_mov_b32 v30, 0 :: v_dual_mov_b32 v2, 0
	v_dual_mov_b32 v43, 0 :: v_dual_mov_b32 v53, 0
	v_cmp_gt_u32_e32 vcc_lo, s48, v52
	v_dual_mov_b32 v50, 0 :: v_dual_mov_b32 v51, 0
	v_dual_mov_b32 v48, 0 :: v_dual_mov_b32 v46, 0
	;; [unrolled: 1-line block ×16, first 2 shown]
	s_mov_b32 s0, 0
	s_mov_b32 s1, 0
	s_wait_dscnt 0x0
	s_barrier_signal -1
	s_barrier_wait -1
                                        ; implicit-def: $sgpr3
                                        ; implicit-def: $vgpr41
	s_and_saveexec_b32 s2, vcc_lo
	s_cbranch_execz .LBB239_108
; %bb.71:
	ds_load_u16 v30, v47
	v_dual_mov_b32 v2, 0 :: v_dual_bitop2_b32 v1, 1, v52 bitop3:0x54
	v_cmp_eq_u16_e32 vcc_lo, v3, v10
	v_dual_mov_b32 v43, 0 :: v_dual_mov_b32 v53, 0
	v_dual_mov_b32 v50, 0 :: v_dual_mov_b32 v51, 0
	v_cndmask_b32_e64 v33, 0x10000, 0, vcc_lo
	v_cmp_gt_u32_e32 vcc_lo, s48, v1
	v_dual_mov_b32 v48, 0 :: v_dual_mov_b32 v46, 0
	v_dual_mov_b32 v45, 0 :: v_dual_mov_b32 v44, 0
	;; [unrolled: 1-line block ×14, first 2 shown]
	v_mov_b32_e32 v1, 0
	s_mov_b32 s4, 0
                                        ; implicit-def: $sgpr3
                                        ; implicit-def: $vgpr41
	s_and_saveexec_b32 s1, vcc_lo
	s_cbranch_execz .LBB239_107
; %bb.72:
	ds_load_b128 v[2:5], v47 offset:2
	v_dual_lshrrev_b32 v54, 16, v10 :: v_dual_bitop2_b32 v1, 2, v52 bitop3:0x54
	v_dual_mov_b32 v43, 0 :: v_dual_mov_b32 v53, 0
	v_dual_mov_b32 v50, 0 :: v_dual_mov_b32 v51, 0
	s_delay_alu instid0(VALU_DEP_3)
	v_cmp_eq_u16_e32 vcc_lo, v10, v54
	v_dual_mov_b32 v48, 0 :: v_dual_mov_b32 v46, 0
	v_dual_mov_b32 v45, 0 :: v_dual_mov_b32 v44, 0
	v_cndmask_b32_e64 v32, 0x10000, 0, vcc_lo
	v_cmp_gt_u32_e32 vcc_lo, s48, v1
	v_dual_mov_b32 v42, 0 :: v_dual_mov_b32 v40, 0
	v_dual_mov_b32 v39, 0 :: v_dual_mov_b32 v38, 0
	;; [unrolled: 1-line block ×12, first 2 shown]
	s_mov_b32 s5, 0
                                        ; implicit-def: $sgpr3
                                        ; implicit-def: $vgpr41
	s_and_saveexec_b32 s4, vcc_lo
	s_cbranch_execz .LBB239_106
; %bb.73:
	s_wait_dscnt 0x0
	v_dual_lshrrev_b32 v31, 16, v2 :: v_dual_bitop2_b32 v1, 3, v52 bitop3:0x54
	v_cmp_eq_u16_e32 vcc_lo, v54, v11
	v_dual_mov_b32 v53, 0 :: v_dual_mov_b32 v50, 0
	v_dual_mov_b32 v51, 0 :: v_dual_mov_b32 v48, 0
	v_cndmask_b32_e64 v43, 0x10000, 0, vcc_lo
	v_cmp_gt_u32_e32 vcc_lo, s48, v1
	v_dual_mov_b32 v46, 0 :: v_dual_mov_b32 v45, 0
	v_dual_mov_b32 v44, 0 :: v_dual_mov_b32 v42, 0
	v_dual_mov_b32 v40, 0 :: v_dual_mov_b32 v39, 0
	v_dual_mov_b32 v38, 0 :: v_dual_mov_b32 v37, 0
	v_dual_mov_b32 v36, 0 :: v_dual_mov_b32 v34, 0
	v_dual_mov_b32 v35, 0 :: v_dual_mov_b32 v29, 0
	v_dual_mov_b32 v28, 0 :: v_dual_mov_b32 v27, 0
	v_dual_mov_b32 v26, 0 :: v_dual_mov_b32 v25, 0
	v_dual_mov_b32 v24, 0 :: v_dual_mov_b32 v23, 0
	v_dual_mov_b32 v22, 0 :: v_dual_mov_b32 v21, 0
	v_dual_mov_b32 v20, 0 :: v_dual_mov_b32 v19, 0
	v_dual_mov_b32 v18, 0 :: v_dual_mov_b32 v17, 0
	v_dual_mov_b32 v16, 0 :: v_dual_mov_b32 v1, 0
	s_mov_b32 s6, 0
                                        ; implicit-def: $sgpr3
                                        ; implicit-def: $vgpr41
	s_and_saveexec_b32 s5, vcc_lo
	s_cbranch_execz .LBB239_105
; %bb.74:
	v_dual_lshrrev_b32 v10, 16, v11 :: v_dual_add_nc_u32 v1, 4, v52
	v_dual_mov_b32 v50, 0 :: v_dual_mov_b32 v51, 0
	v_dual_mov_b32 v48, 0 :: v_dual_mov_b32 v46, 0
	s_delay_alu instid0(VALU_DEP_3)
	v_cmp_eq_u16_e32 vcc_lo, v11, v10
	v_dual_mov_b32 v45, 0 :: v_dual_mov_b32 v44, 0
	v_dual_mov_b32 v42, 0 :: v_dual_mov_b32 v40, 0
	v_cndmask_b32_e64 v29, 0x10000, 0, vcc_lo
	v_cmp_gt_u32_e32 vcc_lo, s48, v1
	v_dual_mov_b32 v39, 0 :: v_dual_mov_b32 v38, 0
	v_dual_mov_b32 v37, 0 :: v_dual_mov_b32 v36, 0
	;; [unrolled: 1-line block ×10, first 2 shown]
	s_mov_b32 s7, 0
                                        ; implicit-def: $sgpr3
                                        ; implicit-def: $vgpr41
	s_and_saveexec_b32 s6, vcc_lo
	s_cbranch_execz .LBB239_104
; %bb.75:
	v_dual_add_nc_u32 v1, 5, v52 :: v_dual_lshrrev_b32 v28, 16, v3
	v_cmp_eq_u16_e32 vcc_lo, v10, v12
	v_dual_mov_b32 v51, 0 :: v_dual_mov_b32 v48, 0
	v_dual_mov_b32 v46, 0 :: v_dual_mov_b32 v45, 0
	v_cndmask_b32_e64 v50, 0x10000, 0, vcc_lo
	v_cmp_gt_u32_e32 vcc_lo, s48, v1
	v_dual_mov_b32 v44, 0 :: v_dual_mov_b32 v42, 0
	v_dual_mov_b32 v40, 0 :: v_dual_mov_b32 v39, 0
	;; [unrolled: 1-line block ×11, first 2 shown]
	s_mov_b32 s8, 0
                                        ; implicit-def: $sgpr3
                                        ; implicit-def: $vgpr41
	s_and_saveexec_b32 s7, vcc_lo
	s_cbranch_execz .LBB239_103
; %bb.76:
	v_dual_lshrrev_b32 v10, 16, v12 :: v_dual_mov_b32 v48, 0
	v_dual_mov_b32 v46, 0 :: v_dual_add_nc_u32 v1, 6, v52
	v_dual_mov_b32 v45, 0 :: v_dual_mov_b32 v44, 0
	s_delay_alu instid0(VALU_DEP_3)
	v_cmp_eq_u16_e32 vcc_lo, v12, v10
	v_dual_mov_b32 v42, 0 :: v_dual_mov_b32 v40, 0
	v_dual_mov_b32 v39, 0 :: v_dual_mov_b32 v38, 0
	v_cndmask_b32_e64 v27, 0x10000, 0, vcc_lo
	v_cmp_gt_u32_e32 vcc_lo, s48, v1
	v_dual_mov_b32 v37, 0 :: v_dual_mov_b32 v36, 0
	v_dual_mov_b32 v34, 0 :: v_dual_mov_b32 v35, 0
	v_dual_mov_b32 v26, 0 :: v_dual_mov_b32 v25, 0
	v_dual_mov_b32 v24, 0 :: v_dual_mov_b32 v23, 0
	v_dual_mov_b32 v22, 0 :: v_dual_mov_b32 v21, 0
	v_dual_mov_b32 v20, 0 :: v_dual_mov_b32 v19, 0
	v_dual_mov_b32 v18, 0 :: v_dual_mov_b32 v17, 0
	v_dual_mov_b32 v16, 0 :: v_dual_mov_b32 v1, 0
	s_mov_b32 s9, 0
                                        ; implicit-def: $sgpr3
                                        ; implicit-def: $vgpr41
	s_and_saveexec_b32 s8, vcc_lo
	s_cbranch_execz .LBB239_102
; %bb.77:
	v_dual_mov_b32 v46, 0 :: v_dual_add_nc_u32 v1, 7, v52
	v_cmp_eq_u16_e32 vcc_lo, v10, v13
	v_dual_mov_b32 v45, 0 :: v_dual_lshrrev_b32 v26, 16, v4
	v_dual_mov_b32 v44, 0 :: v_dual_mov_b32 v42, 0
	v_cndmask_b32_e64 v48, 0x10000, 0, vcc_lo
	v_cmp_gt_u32_e32 vcc_lo, s48, v1
	v_dual_mov_b32 v40, 0 :: v_dual_mov_b32 v39, 0
	v_dual_mov_b32 v38, 0 :: v_dual_mov_b32 v37, 0
	;; [unrolled: 1-line block ×9, first 2 shown]
	s_mov_b32 s10, 0
                                        ; implicit-def: $sgpr3
                                        ; implicit-def: $vgpr41
	s_and_saveexec_b32 s9, vcc_lo
	s_cbranch_execz .LBB239_101
; %bb.78:
	v_dual_lshrrev_b32 v10, 16, v13 :: v_dual_add_nc_u32 v1, 8, v52
	v_dual_mov_b32 v45, 0 :: v_dual_mov_b32 v44, 0
	v_dual_mov_b32 v42, 0 :: v_dual_mov_b32 v40, 0
	s_delay_alu instid0(VALU_DEP_3)
	v_cmp_eq_u16_e32 vcc_lo, v13, v10
	v_dual_mov_b32 v39, 0 :: v_dual_mov_b32 v38, 0
	v_dual_mov_b32 v37, 0 :: v_dual_mov_b32 v36, 0
	v_cndmask_b32_e64 v25, 0x10000, 0, vcc_lo
	v_cmp_gt_u32_e32 vcc_lo, s48, v1
	v_dual_mov_b32 v34, 0 :: v_dual_mov_b32 v35, 0
	v_dual_mov_b32 v24, 0 :: v_dual_mov_b32 v23, 0
	;; [unrolled: 1-line block ×6, first 2 shown]
	s_mov_b32 s11, 0
                                        ; implicit-def: $sgpr3
                                        ; implicit-def: $vgpr41
	s_and_saveexec_b32 s10, vcc_lo
	s_cbranch_execz .LBB239_100
; %bb.79:
	v_dual_add_nc_u32 v1, 9, v52 :: v_dual_lshrrev_b32 v24, 16, v5
	v_cmp_eq_u16_e32 vcc_lo, v10, v6
	v_dual_mov_b32 v44, 0 :: v_dual_mov_b32 v42, 0
	v_dual_mov_b32 v40, 0 :: v_dual_mov_b32 v39, 0
	v_cndmask_b32_e64 v45, 0x10000, 0, vcc_lo
	v_cmp_gt_u32_e32 vcc_lo, s48, v1
	v_dual_mov_b32 v38, 0 :: v_dual_mov_b32 v37, 0
	v_dual_mov_b32 v36, 0 :: v_dual_mov_b32 v34, 0
	;; [unrolled: 1-line block ×7, first 2 shown]
	s_mov_b32 s12, 0
                                        ; implicit-def: $sgpr3
                                        ; implicit-def: $vgpr41
	s_and_saveexec_b32 s11, vcc_lo
	s_cbranch_execz .LBB239_99
; %bb.80:
	ds_load_b128 v[10:13], v47 offset:18
	v_dual_lshrrev_b32 v23, 16, v6 :: v_dual_add_nc_u32 v1, 10, v52
	v_dual_mov_b32 v42, 0 :: v_dual_mov_b32 v40, 0
	v_dual_mov_b32 v39, 0 :: v_dual_mov_b32 v38, 0
	s_delay_alu instid0(VALU_DEP_3)
	v_cmp_eq_u16_e32 vcc_lo, v6, v23
	v_dual_mov_b32 v37, 0 :: v_dual_mov_b32 v36, 0
	v_dual_mov_b32 v34, 0 :: v_dual_mov_b32 v35, 0
	v_cndmask_b32_e64 v6, 0x10000, 0, vcc_lo
	v_cmp_gt_u32_e32 vcc_lo, s48, v1
	v_dual_mov_b32 v22, 0 :: v_dual_mov_b32 v21, 0
	v_dual_mov_b32 v20, 0 :: v_dual_mov_b32 v19, 0
	;; [unrolled: 1-line block ×4, first 2 shown]
	s_mov_b32 s13, 0
                                        ; implicit-def: $sgpr3
                                        ; implicit-def: $vgpr41
	s_and_saveexec_b32 s12, vcc_lo
	s_cbranch_execz .LBB239_98
; %bb.81:
	s_wait_dscnt 0x0
	v_dual_add_nc_u32 v1, 11, v52 :: v_dual_lshrrev_b32 v22, 16, v10
	v_cmp_eq_u16_e32 vcc_lo, v23, v7
	v_dual_mov_b32 v40, 0 :: v_dual_mov_b32 v39, 0
	v_dual_mov_b32 v38, 0 :: v_dual_mov_b32 v37, 0
	v_cndmask_b32_e64 v23, 0x10000, 0, vcc_lo
	v_cmp_gt_u32_e32 vcc_lo, s48, v1
	v_dual_mov_b32 v36, 0 :: v_dual_mov_b32 v34, 0
	v_dual_mov_b32 v35, 0 :: v_dual_mov_b32 v21, 0
	;; [unrolled: 1-line block ×5, first 2 shown]
	s_mov_b32 s14, 0
                                        ; implicit-def: $sgpr3
                                        ; implicit-def: $vgpr41
	s_and_saveexec_b32 s13, vcc_lo
	s_cbranch_execz .LBB239_97
; %bb.82:
	v_dual_lshrrev_b32 v21, 16, v7 :: v_dual_add_nc_u32 v1, 12, v52
	v_dual_mov_b32 v39, 0 :: v_dual_mov_b32 v38, 0
	v_dual_mov_b32 v37, 0 :: v_dual_mov_b32 v36, 0
	s_delay_alu instid0(VALU_DEP_3)
	v_cmp_eq_u16_e32 vcc_lo, v7, v21
	v_dual_mov_b32 v34, 0 :: v_dual_mov_b32 v35, 0
	v_dual_mov_b32 v20, 0 :: v_dual_mov_b32 v19, 0
	v_cndmask_b32_e64 v7, 0x10000, 0, vcc_lo
	v_cmp_gt_u32_e32 vcc_lo, s48, v1
	v_dual_mov_b32 v18, 0 :: v_dual_mov_b32 v17, 0
	v_dual_mov_b32 v16, 0 :: v_dual_mov_b32 v1, 0
	s_mov_b32 s15, 0
                                        ; implicit-def: $sgpr3
                                        ; implicit-def: $vgpr41
	s_and_saveexec_b32 s14, vcc_lo
	s_cbranch_execz .LBB239_96
; %bb.83:
	v_dual_add_nc_u32 v1, 13, v52 :: v_dual_lshrrev_b32 v20, 16, v11
	v_cmp_eq_u16_e32 vcc_lo, v21, v8
	v_dual_mov_b32 v38, 0 :: v_dual_mov_b32 v37, 0
	v_dual_mov_b32 v36, 0 :: v_dual_mov_b32 v34, 0
	v_cndmask_b32_e64 v21, 0x10000, 0, vcc_lo
	v_cmp_gt_u32_e32 vcc_lo, s48, v1
	v_dual_mov_b32 v35, 0 :: v_dual_mov_b32 v19, 0
	v_dual_mov_b32 v18, 0 :: v_dual_mov_b32 v17, 0
	;; [unrolled: 1-line block ×3, first 2 shown]
	s_mov_b32 s16, 0
                                        ; implicit-def: $sgpr3
                                        ; implicit-def: $vgpr41
	s_and_saveexec_b32 s15, vcc_lo
	s_cbranch_execz .LBB239_95
; %bb.84:
	v_dual_lshrrev_b32 v19, 16, v8 :: v_dual_mov_b32 v37, 0
	v_dual_mov_b32 v36, 0 :: v_dual_add_nc_u32 v1, 14, v52
	v_dual_mov_b32 v34, 0 :: v_dual_mov_b32 v35, 0
	s_delay_alu instid0(VALU_DEP_3)
	v_cmp_eq_u16_e32 vcc_lo, v8, v19
	v_dual_mov_b32 v18, 0 :: v_dual_mov_b32 v17, 0
	v_mov_b32_e32 v16, 0
	s_mov_b32 s17, 0
	v_cndmask_b32_e64 v8, 0x10000, 0, vcc_lo
	v_cmp_gt_u32_e32 vcc_lo, s48, v1
	v_mov_b32_e32 v1, 0
                                        ; implicit-def: $sgpr3
                                        ; implicit-def: $vgpr41
	s_and_saveexec_b32 s16, vcc_lo
	s_cbranch_execz .LBB239_94
; %bb.85:
	v_dual_mov_b32 v36, 0 :: v_dual_add_nc_u32 v1, 15, v52
	v_cmp_eq_u16_e32 vcc_lo, v19, v9
	v_dual_lshrrev_b32 v18, 16, v12 :: v_dual_mov_b32 v34, 0
	v_dual_mov_b32 v35, 0 :: v_dual_mov_b32 v17, 0
	v_cndmask_b32_e64 v19, 0x10000, 0, vcc_lo
	v_cmp_gt_u32_e32 vcc_lo, s48, v1
	v_dual_mov_b32 v16, 0 :: v_dual_mov_b32 v1, 0
	s_mov_b32 s18, 0
                                        ; implicit-def: $sgpr3
                                        ; implicit-def: $vgpr41
	s_and_saveexec_b32 s17, vcc_lo
	s_cbranch_execz .LBB239_93
; %bb.86:
	v_dual_lshrrev_b32 v17, 16, v9 :: v_dual_add_nc_u32 v1, 16, v52
	v_dual_mov_b32 v34, 0 :: v_dual_mov_b32 v35, 0
	v_mov_b32_e32 v16, 0
	s_delay_alu instid0(VALU_DEP_3)
	v_cmp_eq_u16_e32 vcc_lo, v9, v17
	s_mov_b32 s19, 0
                                        ; implicit-def: $sgpr3
                                        ; implicit-def: $vgpr41
	v_cndmask_b32_e64 v9, 0x10000, 0, vcc_lo
	v_cmp_gt_u32_e32 vcc_lo, s48, v1
	v_mov_b32_e32 v1, 0
	s_and_saveexec_b32 s18, vcc_lo
	s_cbranch_execz .LBB239_92
; %bb.87:
	v_dual_add_nc_u32 v1, 17, v52 :: v_dual_lshrrev_b32 v16, 16, v13
	v_cmp_eq_u16_e32 vcc_lo, v17, v14
	v_mov_b32_e32 v35, 0
	s_mov_b32 s46, 0
                                        ; implicit-def: $sgpr3
                                        ; implicit-def: $vgpr41
	v_cndmask_b32_e64 v17, 0x10000, 0, vcc_lo
	v_cmp_gt_u32_e32 vcc_lo, s48, v1
	v_mov_b32_e32 v1, 0
	s_and_saveexec_b32 s19, vcc_lo
	s_cbranch_execz .LBB239_91
; %bb.88:
	ds_load_u16 v34, v47 offset:34
	v_dual_lshrrev_b32 v35, 16, v14 :: v_dual_add_nc_u32 v36, 18, v52
	v_mov_b32_e32 v1, 0
	s_mov_b32 s47, 0
	s_mov_b32 s46, exec_lo
	s_delay_alu instid0(VALU_DEP_2)
	v_cmp_eq_u16_e32 vcc_lo, v14, v35
                                        ; implicit-def: $sgpr3
                                        ; implicit-def: $vgpr41
	v_cndmask_b32_e64 v14, 0x10000, 0, vcc_lo
	v_cmpx_gt_u32_e64 s48, v36
	s_xor_b32 s46, exec_lo, s46
	s_cbranch_execz .LBB239_90
; %bb.89:
	ds_load_b32 v1, v47 offset:36
	v_cmp_eq_u16_e32 vcc_lo, v35, v15
	v_add_nc_u32_e32 v36, 19, v52
	v_cmp_ne_u16_e64 s3, v15, v49
	v_cndmask_b32_e64 v35, 0x10000, 0, vcc_lo
	s_wait_dscnt 0x0
	v_lshrrev_b32_e32 v41, 16, v1
	v_cmp_gt_u32_e32 vcc_lo, s48, v36
	s_delay_alu instid0(VALU_DEP_3)
	v_and_or_b32 v1, 0xffff, v1, v35
	s_and_b32 s47, vcc_lo, exec_lo
.LBB239_90:
	s_or_b32 exec_lo, exec_lo, s46
	s_wait_dscnt 0x0
	v_or_b32_e32 v35, v14, v34
	s_and_b32 s46, s47, exec_lo
.LBB239_91:
	s_or_b32 exec_lo, exec_lo, s19
	s_delay_alu instid0(VALU_DEP_1)
	v_dual_mov_b32 v16, v35 :: v_dual_bitop2_b32 v34, v17, v16 bitop3:0x54
	s_and_b32 s19, s46, exec_lo
.LBB239_92:
	s_or_b32 exec_lo, exec_lo, s18
	v_and_or_b32 v36, 0xffff, v13, v9
	s_delay_alu instid0(VALU_DEP_2)
	v_mov_b32_e32 v17, v34
	s_and_b32 s18, s19, exec_lo
.LBB239_93:
	s_or_b32 exec_lo, exec_lo, s17
	s_delay_alu instid0(VALU_DEP_2)
	v_dual_mov_b32 v18, v36 :: v_dual_bitop2_b32 v37, v19, v18 bitop3:0x54
	s_and_b32 s17, s18, exec_lo
.LBB239_94:
	s_or_b32 exec_lo, exec_lo, s16
	v_and_or_b32 v38, 0xffff, v12, v8
	s_delay_alu instid0(VALU_DEP_2)
	v_mov_b32_e32 v19, v37
	s_and_b32 s16, s17, exec_lo
.LBB239_95:
	s_or_b32 exec_lo, exec_lo, s15
	s_delay_alu instid0(VALU_DEP_2)
	v_dual_mov_b32 v20, v38 :: v_dual_bitop2_b32 v39, v21, v20 bitop3:0x54
	s_and_b32 s15, s16, exec_lo
.LBB239_96:
	s_or_b32 exec_lo, exec_lo, s14
	v_and_or_b32 v40, 0xffff, v11, v7
	s_delay_alu instid0(VALU_DEP_2)
	v_mov_b32_e32 v21, v39
	s_and_b32 s14, s15, exec_lo
.LBB239_97:
	s_or_b32 exec_lo, exec_lo, s13
	s_delay_alu instid0(VALU_DEP_2)
	v_dual_mov_b32 v22, v40 :: v_dual_bitop2_b32 v42, v23, v22 bitop3:0x54
	s_and_b32 s13, s14, exec_lo
.LBB239_98:
	s_or_b32 exec_lo, exec_lo, s12
	s_wait_dscnt 0x0
	v_and_or_b32 v44, 0xffff, v10, v6
	v_mov_b32_e32 v23, v42
	s_and_b32 s12, s13, exec_lo
.LBB239_99:
	s_or_b32 exec_lo, exec_lo, s11
	s_delay_alu instid0(VALU_DEP_2)
	v_dual_mov_b32 v24, v44 :: v_dual_bitop2_b32 v45, v45, v24 bitop3:0x54
	s_and_b32 s11, s12, exec_lo
.LBB239_100:
	s_or_b32 exec_lo, exec_lo, s10
	v_and_or_b32 v46, 0xffff, v5, v25
	s_delay_alu instid0(VALU_DEP_2)
	v_mov_b32_e32 v25, v45
	s_and_b32 s10, s11, exec_lo
.LBB239_101:
	s_or_b32 exec_lo, exec_lo, s9
	s_delay_alu instid0(VALU_DEP_2)
	v_dual_mov_b32 v26, v46 :: v_dual_bitop2_b32 v48, v48, v26 bitop3:0x54
	s_and_b32 s9, s10, exec_lo
.LBB239_102:
	s_or_b32 exec_lo, exec_lo, s8
	v_and_or_b32 v51, 0xffff, v4, v27
	s_delay_alu instid0(VALU_DEP_2)
	v_mov_b32_e32 v27, v48
	s_and_b32 s8, s9, exec_lo
.LBB239_103:
	s_or_b32 exec_lo, exec_lo, s7
	s_delay_alu instid0(VALU_DEP_2)
	v_dual_mov_b32 v28, v51 :: v_dual_bitop2_b32 v50, v50, v28 bitop3:0x54
	s_and_b32 s7, s8, exec_lo
.LBB239_104:
	s_or_b32 exec_lo, exec_lo, s6
	v_and_or_b32 v53, 0xffff, v3, v29
	s_delay_alu instid0(VALU_DEP_2)
	v_mov_b32_e32 v29, v50
	s_and_b32 s6, s7, exec_lo
.LBB239_105:
	s_or_b32 exec_lo, exec_lo, s5
	s_delay_alu instid0(VALU_DEP_2)
	v_dual_mov_b32 v31, v53 :: v_dual_bitop2_b32 v43, v43, v31 bitop3:0x54
	s_and_b32 s5, s6, exec_lo
.LBB239_106:
	s_or_b32 exec_lo, exec_lo, s4
	s_wait_dscnt 0x0
	v_and_or_b32 v2, 0xffff, v2, v32
	v_mov_b32_e32 v32, v43
	s_and_b32 s4, s5, exec_lo
.LBB239_107:
	s_or_b32 exec_lo, exec_lo, s1
	s_wait_dscnt 0x0
	v_dual_mov_b32 v33, v2 :: v_dual_bitop2_b32 v30, v33, v30 bitop3:0x54
	s_and_b32 s1, s4, exec_lo
.LBB239_108:
	s_or_b32 exec_lo, exec_lo, s2
	v_lshlrev_b32_e32 v10, 1, v0
	s_and_b32 vcc_lo, exec_lo, s0
	s_cbranch_vccz .LBB239_136
.LBB239_109:
	s_clause 0x13
	flat_load_u16 v2, v0, s[42:43] scale_offset
	flat_load_u16 v3, v0, s[42:43] offset:512 scale_offset
	flat_load_u16 v4, v0, s[42:43] offset:1024 scale_offset
	;; [unrolled: 1-line block ×19, first 2 shown]
	v_mad_u32_u24 v1, v0, 38, v10
	s_cmp_eq_u64 s[44:45], 0
	s_wait_loadcnt_dscnt 0x1313
	ds_store_b16 v10, v2
	s_wait_loadcnt_dscnt 0x1213
	ds_store_b16 v10, v3 offset:512
	s_wait_loadcnt_dscnt 0x1113
	ds_store_b16 v10, v4 offset:1024
	;; [unrolled: 2-line block ×19, first 2 shown]
	s_wait_dscnt 0x0
	s_barrier_signal -1
	s_barrier_wait -1
	ds_load_2addr_b64 v[6:9], v1 offset1:1
	ds_load_2addr_b64 v[2:5], v1 offset0:2 offset1:3
	ds_load_b64 v[12:13], v1 offset:32
	v_mov_b32_e32 v11, 0
	s_cbranch_scc1 .LBB239_133
; %bb.110:
	s_and_not1_b32 vcc_lo, exec_lo, s39
	s_cbranch_vccnz .LBB239_131
; %bb.111:
	s_lshl_b64 s[0:1], s[44:45], 1
	s_delay_alu instid0(SALU_CYCLE_1) | instskip(NEXT) | instid1(SALU_CYCLE_1)
	s_add_nc_u64 s[0:1], s[30:31], s[0:1]
	s_add_nc_u64 s[42:43], s[0:1], -2
	s_mov_b32 s0, 0
	s_branch .LBB239_132
.LBB239_112:
	flat_load_u16 v2, v0, s[20:21] scale_offset
	s_wait_xcnt 0x0
	s_or_b32 exec_lo, exec_lo, s46
                                        ; implicit-def: $vgpr4
	s_and_saveexec_b32 s0, s1
	s_cbranch_execz .LBB239_51
.LBB239_113:
	flat_load_u16 v4, v0, s[20:21] offset:512 scale_offset
	s_wait_xcnt 0x0
	s_or_b32 exec_lo, exec_lo, s0
                                        ; implicit-def: $vgpr5
	s_and_saveexec_b32 s0, s2
	s_cbranch_execz .LBB239_52
.LBB239_114:
	flat_load_u16 v5, v0, s[20:21] offset:1024 scale_offset
	s_wait_xcnt 0x0
	s_or_b32 exec_lo, exec_lo, s0
                                        ; implicit-def: $vgpr16
	s_and_saveexec_b32 s0, s3
	s_cbranch_execz .LBB239_53
.LBB239_115:
	flat_load_u16 v16, v0, s[20:21] offset:1536 scale_offset
	s_wait_xcnt 0x0
	s_or_b32 exec_lo, exec_lo, s0
                                        ; implicit-def: $vgpr17
	s_and_saveexec_b32 s0, s4
	s_cbranch_execz .LBB239_54
.LBB239_116:
	flat_load_u16 v17, v0, s[20:21] offset:2048 scale_offset
	s_wait_xcnt 0x0
	s_or_b32 exec_lo, exec_lo, s0
                                        ; implicit-def: $vgpr18
	s_and_saveexec_b32 s0, s5
	s_cbranch_execz .LBB239_55
.LBB239_117:
	flat_load_u16 v18, v0, s[20:21] offset:2560 scale_offset
	s_wait_xcnt 0x0
	s_or_b32 exec_lo, exec_lo, s0
                                        ; implicit-def: $vgpr19
	s_and_saveexec_b32 s0, s6
	s_cbranch_execz .LBB239_56
.LBB239_118:
	flat_load_u16 v19, v0, s[20:21] offset:3072 scale_offset
	s_wait_xcnt 0x0
	s_or_b32 exec_lo, exec_lo, s0
                                        ; implicit-def: $vgpr20
	s_and_saveexec_b32 s0, s7
	s_cbranch_execz .LBB239_57
.LBB239_119:
	flat_load_u16 v20, v0, s[20:21] offset:3584 scale_offset
	s_wait_xcnt 0x0
	s_or_b32 exec_lo, exec_lo, s0
                                        ; implicit-def: $vgpr21
	s_and_saveexec_b32 s0, s8
	s_cbranch_execz .LBB239_58
.LBB239_120:
	flat_load_u16 v21, v0, s[20:21] offset:4096 scale_offset
	s_wait_xcnt 0x0
	s_or_b32 exec_lo, exec_lo, s0
                                        ; implicit-def: $vgpr22
	s_and_saveexec_b32 s0, s9
	s_cbranch_execz .LBB239_59
.LBB239_121:
	flat_load_u16 v22, v0, s[20:21] offset:4608 scale_offset
	s_wait_xcnt 0x0
	s_or_b32 exec_lo, exec_lo, s0
                                        ; implicit-def: $vgpr23
	s_and_saveexec_b32 s0, s10
	s_cbranch_execz .LBB239_60
.LBB239_122:
	flat_load_u16 v23, v0, s[20:21] offset:5120 scale_offset
	s_wait_xcnt 0x0
	s_or_b32 exec_lo, exec_lo, s0
                                        ; implicit-def: $vgpr24
	s_and_saveexec_b32 s0, s11
	s_cbranch_execz .LBB239_61
.LBB239_123:
	flat_load_u16 v24, v0, s[20:21] offset:5632 scale_offset
	s_wait_xcnt 0x0
	s_or_b32 exec_lo, exec_lo, s0
                                        ; implicit-def: $vgpr25
	s_and_saveexec_b32 s0, s12
	s_cbranch_execz .LBB239_62
.LBB239_124:
	flat_load_u16 v25, v0, s[20:21] offset:6144 scale_offset
	s_wait_xcnt 0x0
	s_or_b32 exec_lo, exec_lo, s0
                                        ; implicit-def: $vgpr26
	s_and_saveexec_b32 s0, s13
	s_cbranch_execz .LBB239_63
.LBB239_125:
	flat_load_u16 v26, v0, s[20:21] offset:6656 scale_offset
	s_wait_xcnt 0x0
	s_or_b32 exec_lo, exec_lo, s0
                                        ; implicit-def: $vgpr27
	s_and_saveexec_b32 s0, s14
	s_cbranch_execz .LBB239_64
.LBB239_126:
	flat_load_u16 v27, v0, s[20:21] offset:7168 scale_offset
	s_wait_xcnt 0x0
	s_or_b32 exec_lo, exec_lo, s0
                                        ; implicit-def: $vgpr28
	s_and_saveexec_b32 s0, s15
	s_cbranch_execz .LBB239_65
.LBB239_127:
	flat_load_u16 v28, v0, s[20:21] offset:7680 scale_offset
	s_wait_xcnt 0x0
	s_or_b32 exec_lo, exec_lo, s0
                                        ; implicit-def: $vgpr29
	s_and_saveexec_b32 s0, s16
	s_cbranch_execz .LBB239_66
.LBB239_128:
	flat_load_u16 v29, v0, s[20:21] offset:8192 scale_offset
	s_wait_xcnt 0x0
	s_or_b32 exec_lo, exec_lo, s0
                                        ; implicit-def: $vgpr30
	s_and_saveexec_b32 s0, s17
	s_cbranch_execz .LBB239_67
.LBB239_129:
	flat_load_u16 v30, v0, s[20:21] offset:8704 scale_offset
	s_wait_xcnt 0x0
	s_or_b32 exec_lo, exec_lo, s0
                                        ; implicit-def: $vgpr31
	s_and_saveexec_b32 s0, s18
	s_cbranch_execz .LBB239_68
.LBB239_130:
	flat_load_u16 v31, v0, s[20:21] offset:9216 scale_offset
	s_wait_xcnt 0x0
	s_or_b32 exec_lo, exec_lo, s0
                                        ; implicit-def: $vgpr32
	s_and_saveexec_b32 s0, s19
	s_cbranch_execnz .LBB239_69
	s_branch .LBB239_70
.LBB239_131:
	s_add_nc_u64 s[42:43], s[42:43], -2
	s_mov_b32 s0, -1
.LBB239_132:
	s_delay_alu instid0(SALU_CYCLE_1)
	s_and_not1_b32 vcc_lo, exec_lo, s0
.LBB239_133:
	flat_load_u16 v14, v11, s[42:43]
	s_wait_dscnt 0x1
	s_wait_xcnt 0x0
	v_lshrrev_b32_e32 v11, 16, v13
	v_mad_i32_i24 v15, 0xffffffda, v0, v1
	s_mov_b32 s0, exec_lo
	ds_store_b16 v15, v11 offset:10240
	s_wait_loadcnt_dscnt 0x0
	s_barrier_signal -1
	s_barrier_wait -1
	v_cmpx_ne_u32_e32 0, v0
; %bb.134:
	v_mul_i32_i24_e32 v14, 0xffffffda, v0
	s_delay_alu instid0(VALU_DEP_1)
	v_add_nc_u32_e32 v14, v1, v14
	ds_load_u16 v14, v14 offset:10238
; %bb.135:
	s_or_b32 exec_lo, exec_lo, s0
	s_wait_dscnt 0x0
	s_barrier_signal -1
	s_barrier_wait -1
	s_clause 0x13
	flat_load_u16 v15, v0, s[20:21] scale_offset
	flat_load_u16 v16, v0, s[20:21] offset:512 scale_offset
	flat_load_u16 v17, v0, s[20:21] offset:1024 scale_offset
	;; [unrolled: 1-line block ×19, first 2 shown]
	v_dual_lshrrev_b32 v35, 16, v6 :: v_dual_lshrrev_b32 v36, 16, v7
	v_cmp_eq_u16_e32 vcc_lo, v14, v6
	v_cmp_ne_u16_e64 s3, v13, v11
	v_dual_lshrrev_b32 v37, 16, v8 :: v_dual_lshrrev_b32 v38, 16, v9
	v_dual_lshrrev_b32 v39, 16, v2 :: v_dual_lshrrev_b32 v40, 16, v3
	v_cndmask_b32_e64 v11, 0x10000, 0, vcc_lo
	v_cmp_eq_u16_e32 vcc_lo, v6, v35
	v_dual_lshrrev_b32 v41, 16, v4 :: v_dual_lshrrev_b32 v42, 16, v5
	s_mov_b32 s1, -1
	s_wait_loadcnt_dscnt 0x1313
	ds_store_b16 v10, v15
	s_wait_loadcnt_dscnt 0x1213
	ds_store_b16 v10, v16 offset:512
	s_wait_loadcnt_dscnt 0x1113
	ds_store_b16 v10, v17 offset:1024
	;; [unrolled: 2-line block ×19, first 2 shown]
	v_cndmask_b32_e64 v44, 0x10000, 0, vcc_lo
	v_cmp_eq_u16_e32 vcc_lo, v35, v7
	s_wait_dscnt 0x0
	s_barrier_signal -1
	s_barrier_wait -1
	v_cndmask_b32_e64 v35, 0x10000, 0, vcc_lo
	v_cmp_eq_u16_e32 vcc_lo, v7, v36
	ds_load_2addr_b64 v[14:17], v1 offset0:2 offset1:3
	v_cndmask_b32_e64 v46, 0x10000, 0, vcc_lo
	v_cmp_eq_u16_e32 vcc_lo, v36, v8
	v_cndmask_b32_e64 v36, 0x10000, 0, vcc_lo
	v_cmp_eq_u16_e32 vcc_lo, v8, v37
	;; [unrolled: 2-line block ×3, first 2 shown]
	s_wait_dscnt 0x0
	v_dual_lshrrev_b32 v26, 16, v14 :: v_dual_lshrrev_b32 v27, 16, v15
	v_lshrrev_b32_e32 v28, 16, v16
	v_cndmask_b32_e64 v37, 0x10000, 0, vcc_lo
	v_cmp_eq_u16_e32 vcc_lo, v9, v38
	ds_load_2addr_b64 v[6:9], v1 offset1:1
	v_lshrrev_b32_e32 v43, 16, v12
	v_cndmask_b32_e64 v49, 0x10000, 0, vcc_lo
	v_cmp_eq_u16_e32 vcc_lo, v38, v2
	v_cndmask_b32_e64 v38, 0x10000, 0, vcc_lo
	v_cmp_eq_u16_e32 vcc_lo, v2, v39
	s_delay_alu instid0(VALU_DEP_2)
	v_and_or_b32 v45, 0xffff, v14, v38
	v_cndmask_b32_e64 v52, 0x10000, 0, vcc_lo
	v_cmp_eq_u16_e32 vcc_lo, v39, v3
	s_wait_dscnt 0x0
	v_dual_lshrrev_b32 v22, 16, v6 :: v_dual_lshrrev_b32 v23, 16, v7
	v_lshrrev_b32_e32 v24, 16, v8
	v_cndmask_b32_e64 v18, 0x10000, 0, vcc_lo
	v_cmp_eq_u16_e32 vcc_lo, v3, v40
	ds_load_b64 v[2:3], v1 offset:32
	v_lshrrev_b32_e32 v25, 16, v9
	v_lshrrev_b32_e32 v29, 16, v17
	v_and_or_b32 v50, 0xffff, v8, v36
	v_cndmask_b32_e64 v19, 0x10000, 0, vcc_lo
	v_cmp_eq_u16_e32 vcc_lo, v40, v4
	v_and_or_b32 v48, 0xffff, v9, v37
	v_or_b32_e32 v51, v47, v24
	v_and_or_b32 v30, 0xffff, v6, v11
	v_cndmask_b32_e64 v20, 0x10000, 0, vcc_lo
	v_cmp_eq_u16_e32 vcc_lo, v4, v41
	s_delay_alu instid0(VALU_DEP_2)
	v_and_or_b32 v39, 0xffff, v16, v20
	v_cndmask_b32_e64 v4, 0x10000, 0, vcc_lo
	v_cmp_eq_u16_e32 vcc_lo, v41, v5
	s_wait_dscnt 0x0
	v_dual_lshrrev_b32 v31, 16, v2 :: v_dual_lshrrev_b32 v41, 16, v3
	v_cndmask_b32_e64 v1, 0x10000, 0, vcc_lo
	v_cmp_eq_u16_e32 vcc_lo, v5, v42
	v_or_b32_e32 v38, v4, v28
	s_delay_alu instid0(VALU_DEP_3)
	v_and_or_b32 v37, 0xffff, v17, v1
	v_cndmask_b32_e64 v5, 0x10000, 0, vcc_lo
	v_cmp_eq_u16_e32 vcc_lo, v42, v12
	v_and_or_b32 v42, 0xffff, v15, v18
	v_dual_mov_b32 v27, v48 :: v_dual_bitop2_b32 v40, v19, v27 bitop3:0x54
	v_mov_b32_e32 v19, v37
	v_cndmask_b32_e64 v21, 0x10000, 0, vcc_lo
	v_cmp_eq_u16_e32 vcc_lo, v12, v43
	s_delay_alu instid0(VALU_DEP_2)
	v_and_or_b32 v34, 0xffff, v2, v21
	v_cndmask_b32_e64 v12, 0x10000, 0, vcc_lo
	v_cmp_eq_u16_e32 vcc_lo, v43, v13
	v_and_or_b32 v43, 0xffff, v7, v35
	v_or_b32_e32 v2, v44, v22
	v_or_b32_e32 v53, v46, v23
	v_or_b32_e32 v46, v49, v25
	v_cndmask_b32_e64 v13, 0x10000, 0, vcc_lo
	v_dual_mov_b32 v25, v45 :: v_dual_bitop2_b32 v44, v52, v26 bitop3:0x54
	v_dual_mov_b32 v17, v34 :: v_dual_bitop2_b32 v36, v5, v29 bitop3:0x54
	v_or_b32_e32 v35, v12, v31
	s_delay_alu instid0(VALU_DEP_4)
	v_and_or_b32 v1, 0xffff, v3, v13
	v_dual_mov_b32 v32, v43 :: v_dual_mov_b32 v29, v50
	v_dual_mov_b32 v23, v42 :: v_dual_mov_b32 v21, v39
	;; [unrolled: 1-line block ×6, first 2 shown]
	v_mov_b32_e32 v16, v35
.LBB239_136:
	v_mov_b32_e32 v11, 0
	s_and_saveexec_b32 s0, s1
	s_cbranch_execz .LBB239_138
; %bb.137:
	v_and_b32_e32 v3, 0xffff, v41
	v_cndmask_b32_e64 v4, 0, 0x10000, s3
	v_dual_mov_b32 v16, v35 :: v_dual_mov_b32 v17, v34
	v_dual_mov_b32 v18, v36 :: v_dual_mov_b32 v19, v37
	s_delay_alu instid0(VALU_DEP_3)
	v_dual_mov_b32 v20, v38 :: v_dual_bitop2_b32 v11, v4, v3 bitop3:0x54
	v_dual_mov_b32 v21, v39 :: v_dual_mov_b32 v22, v40
	v_dual_mov_b32 v23, v42 :: v_dual_mov_b32 v24, v44
	;; [unrolled: 1-line block ×6, first 2 shown]
.LBB239_138:
	s_or_b32 exec_lo, exec_lo, s0
	v_dual_lshrrev_b32 v45, 3, v0 :: v_dual_bitop2_b32 v2, v26, v25 bitop3:0x54
	v_or_b32_e32 v3, v18, v17
	v_or_b32_e32 v43, v16, v1
	v_cmp_gt_u32_e64 s18, 0x10000, v33
	v_cmp_gt_u32_e64 s17, 0x10000, v32
	;; [unrolled: 1-line block ×8, first 2 shown]
	v_or3_b32 v44, v2, v27, v28
	v_cmp_gt_u32_e64 s11, 0x10000, v24
	v_cmp_gt_u32_e64 s9, 0x10000, v23
	;; [unrolled: 1-line block ×8, first 2 shown]
	v_or3_b32 v46, v3, v19, v20
	v_cmp_gt_u32_e64 s3, 0x10000, v16
	v_cmp_gt_u32_e64 s1, 0x10000, v1
	;; [unrolled: 1-line block ×3, first 2 shown]
	s_cmp_lg_u32 s28, 0
	v_cmp_gt_u32_e32 vcc_lo, 32, v0
	s_barrier_signal -1
	s_barrier_wait -1
	s_cbranch_scc0 .LBB239_188
; %bb.139:
	v_or3_b32 v3, v46, v21, v22
	v_or3_b32 v4, v44, v29, v31
	v_dual_cndmask_b32 v2, 0, v30, s18 :: v_dual_bitop2_b32 v5, 28, v45 bitop3:0x40
	v_lshrrev_b32_e32 v12, 16, v30
	s_delay_alu instid0(VALU_DEP_4) | instskip(NEXT) | instid1(VALU_DEP_4)
	v_or3_b32 v3, v3, v23, v24
	v_or3_b32 v4, v4, v32, v33
	s_delay_alu instid0(VALU_DEP_4) | instskip(NEXT) | instid1(VALU_DEP_3)
	v_add_nc_u16 v2, v2, v33
	v_or3_b32 v3, v11, v43, v3
	s_delay_alu instid0(VALU_DEP_1) | instskip(SKIP_1) | instid1(VALU_DEP_2)
	v_bitop3_b32 v3, v3, 0xff0000, v4 bitop3:0xc8
	v_lshl_add_u32 v4, v0, 2, v5
	v_cmp_eq_u32_e64 s19, 0, v3
	s_delay_alu instid0(VALU_DEP_1) | instskip(NEXT) | instid1(VALU_DEP_1)
	v_dual_cndmask_b32 v2, 0, v2, s17 :: v_dual_cndmask_b32 v14, 1, v12, s19
	v_add_nc_u16 v2, v2, v32
	s_delay_alu instid0(VALU_DEP_1) | instskip(NEXT) | instid1(VALU_DEP_1)
	v_cndmask_b32_e64 v2, 0, v2, s16
	v_add_nc_u16 v2, v2, v31
	s_delay_alu instid0(VALU_DEP_1) | instskip(NEXT) | instid1(VALU_DEP_1)
	v_cndmask_b32_e64 v2, 0, v2, s15
	;; [unrolled: 3-line block ×17, first 2 shown]
	v_add_nc_u16 v13, v2, v11
	ds_store_b16 v4, v13
	ds_store_b8 v4, v14 offset:2
	s_wait_dscnt 0x0
	s_barrier_signal -1
	s_barrier_wait -1
	s_and_saveexec_b32 s20, vcc_lo
	s_cbranch_execz .LBB239_151
; %bb.140:
	v_and_b32_e32 v2, 0xfc, v0
	v_lshlrev_b32_e32 v3, 5, v0
	s_mov_b32 s21, exec_lo
	s_delay_alu instid0(VALU_DEP_1)
	v_add_nc_u32_e32 v2, v2, v3
	ds_load_u8 v4, v2 offset:6
	ds_load_b32 v3, v2
	ds_load_u16 v5, v2 offset:4
	ds_load_u8 v6, v2 offset:10
	ds_load_u16 v7, v2 offset:8
	ds_load_u16 v8, v2 offset:12
	ds_load_u8 v9, v2 offset:14
	ds_load_u16 v15, v2 offset:16
	s_wait_dscnt 0x7
	v_cmp_eq_u16_e64 s19, 0, v4
	s_wait_dscnt 0x4
	s_delay_alu instid0(VALU_DEP_1) | instskip(SKIP_1) | instid1(VALU_DEP_2)
	v_dual_cndmask_b32 v34, 0, v3, s19 :: v_dual_bitop2_b32 v4, v6, v4 bitop3:0x54
	v_cmp_eq_u16_e64 s19, 0, v6
	v_add_nc_u16 v5, v34, v5
	ds_load_u8 v34, v2 offset:18
	v_cndmask_b32_e64 v5, 0, v5, s19
	s_wait_dscnt 0x2
	v_cmp_eq_u16_e64 s19, 0, v9
	s_delay_alu instid0(VALU_DEP_2) | instskip(SKIP_2) | instid1(VALU_DEP_1)
	v_add_nc_u16 v5, v5, v7
	ds_load_u8 v7, v2 offset:22
	v_cndmask_b32_e64 v5, 0, v5, s19
	v_add_nc_u16 v5, v5, v8
	ds_load_u16 v8, v2 offset:20
	ds_load_u16 v35, v2 offset:24
	ds_load_u8 v36, v2 offset:26
	ds_load_u16 v37, v2 offset:28
	ds_load_u8 v38, v2 offset:30
	s_wait_dscnt 0x6
	v_cmp_eq_u16_e64 s19, 0, v34
	v_bitop3_b16 v6, v4, v34, v9 bitop3:0xfe
	v_and_b32_e32 v4, 0x10000, v3
	s_delay_alu instid0(VALU_DEP_3)
	v_cndmask_b32_e64 v5, 0, v5, s19
	s_wait_dscnt 0x5
	v_cmp_eq_u16_e64 s19, 0, v7
	s_wait_dscnt 0x2
	v_bitop3_b16 v6, v6, v36, v7 bitop3:0xfe
	s_wait_dscnt 0x0
	v_and_b32_e32 v7, 1, v38
	v_add_nc_u16 v5, v5, v15
	s_delay_alu instid0(VALU_DEP_1) | instskip(SKIP_1) | instid1(VALU_DEP_2)
	v_cndmask_b32_e64 v5, 0, v5, s19
	v_cmp_eq_u16_e64 s19, 0, v36
	v_add_nc_u16 v5, v5, v8
	s_delay_alu instid0(VALU_DEP_1) | instskip(SKIP_1) | instid1(VALU_DEP_2)
	v_cndmask_b32_e64 v5, 0, v5, s19
	v_cmp_eq_u16_e64 s19, 0, v38
	;; [unrolled: 4-line block ×3, first 2 shown]
	v_add_nc_u16 v6, v5, v37
	s_delay_alu instid0(VALU_DEP_2) | instskip(SKIP_4) | instid1(VALU_DEP_4)
	v_cndmask_b32_e64 v8, 0x10000, v4, s19
	v_cmp_eq_u32_e64 s19, 1, v7
	v_and_b32_e32 v5, 0xff000000, v3
	v_mbcnt_lo_u32_b32 v7, -1, 0
	v_and_b32_e32 v9, 0xffff, v6
	v_cndmask_b32_e64 v8, v8, 0x10000, s19
	s_delay_alu instid0(VALU_DEP_1) | instskip(NEXT) | instid1(VALU_DEP_3)
	v_or_b32_e32 v15, v8, v5
	v_or3_b32 v34, v5, v9, v8
	v_and_b32_e32 v8, 15, v7
	s_delay_alu instid0(VALU_DEP_3) | instskip(NEXT) | instid1(VALU_DEP_3)
	v_lshrrev_b32_e32 v9, 16, v15
	v_mov_b32_dpp v35, v34 row_shr:1 row_mask:0xf bank_mask:0xf
	s_delay_alu instid0(VALU_DEP_3)
	v_cmpx_ne_u32_e32 0, v8
	s_cbranch_execz .LBB239_142
; %bb.141:
	s_delay_alu instid0(VALU_DEP_2) | instskip(SKIP_2) | instid1(VALU_DEP_3)
	v_lshrrev_b32_e32 v34, 16, v35
	v_lshrrev_b32_e32 v9, 16, v15
	v_and_b32_e32 v15, 0x10000, v15
	v_and_b32_e32 v34, 1, v34
	s_delay_alu instid0(VALU_DEP_3) | instskip(NEXT) | instid1(VALU_DEP_1)
	v_and_b32_e32 v9, 0xff, v9
	v_cmp_eq_u16_e64 s19, 0, v9
	s_delay_alu instid0(VALU_DEP_1) | instskip(SKIP_1) | instid1(VALU_DEP_2)
	v_cndmask_b32_e64 v35, 0, v35, s19
	v_cmp_ne_u32_e64 s19, 0, v15
	v_add_nc_u16 v6, v35, v6
	s_delay_alu instid0(VALU_DEP_2) | instskip(NEXT) | instid1(VALU_DEP_2)
	v_cndmask_b32_e64 v9, v34, 1, s19
	v_and_b32_e32 v34, 0xffff, v6
	s_delay_alu instid0(VALU_DEP_2) | instskip(NEXT) | instid1(VALU_DEP_1)
	v_lshlrev_b32_e32 v15, 16, v9
	v_or3_b32 v34, v15, v34, v5
.LBB239_142:
	s_or_b32 exec_lo, exec_lo, s21
	s_delay_alu instid0(VALU_DEP_1)
	v_lshrrev_b32_e32 v15, 16, v34
	v_mov_b32_dpp v35, v34 row_shr:2 row_mask:0xf bank_mask:0xf
	s_mov_b32 s21, exec_lo
	v_cmpx_lt_u32_e32 1, v8
	s_cbranch_execz .LBB239_144
; %bb.143:
	v_and_b32_e32 v15, 0xff, v15
	v_and_b32_e32 v34, 0x10000, v34
	s_delay_alu instid0(VALU_DEP_2) | instskip(NEXT) | instid1(VALU_DEP_1)
	v_cmp_eq_u16_e64 s19, 0, v15
	v_dual_lshrrev_b32 v9, 16, v35 :: v_dual_cndmask_b32 v15, 0, v35, s19
	s_delay_alu instid0(VALU_DEP_1) | instskip(NEXT) | instid1(VALU_DEP_4)
	v_and_b32_e32 v9, 1, v9
	v_cmp_ne_u32_e64 s19, 0, v34
	s_delay_alu instid0(VALU_DEP_3) | instskip(NEXT) | instid1(VALU_DEP_2)
	v_add_nc_u16 v6, v15, v6
	v_cndmask_b32_e64 v9, v9, 1, s19
	s_delay_alu instid0(VALU_DEP_2) | instskip(NEXT) | instid1(VALU_DEP_2)
	v_and_b32_e32 v34, 0xffff, v6
	v_lshlrev_b32_e32 v15, 16, v9
	s_delay_alu instid0(VALU_DEP_1)
	v_or3_b32 v34, v15, v34, v5
	v_mov_b32_e32 v15, v9
.LBB239_144:
	s_or_b32 exec_lo, exec_lo, s21
	s_delay_alu instid0(VALU_DEP_2)
	v_mov_b32_dpp v35, v34 row_shr:4 row_mask:0xf bank_mask:0xf
	s_mov_b32 s21, exec_lo
	v_cmpx_lt_u32_e32 3, v8
	s_cbranch_execz .LBB239_146
; %bb.145:
	v_and_b32_e32 v34, 0xff, v15
	v_and_b32_e32 v15, 1, v15
	s_delay_alu instid0(VALU_DEP_2) | instskip(NEXT) | instid1(VALU_DEP_1)
	v_cmp_eq_u16_e64 s19, 0, v34
	v_dual_lshrrev_b32 v9, 16, v35 :: v_dual_cndmask_b32 v34, 0, v35, s19
	s_delay_alu instid0(VALU_DEP_1) | instskip(NEXT) | instid1(VALU_DEP_4)
	v_and_b32_e32 v9, 1, v9
	v_cmp_eq_u32_e64 s19, 1, v15
	s_delay_alu instid0(VALU_DEP_3) | instskip(NEXT) | instid1(VALU_DEP_2)
	v_add_nc_u16 v6, v34, v6
	v_cndmask_b32_e64 v9, v9, 1, s19
	s_delay_alu instid0(VALU_DEP_2) | instskip(NEXT) | instid1(VALU_DEP_2)
	v_and_b32_e32 v34, 0xffff, v6
	v_lshlrev_b32_e32 v15, 16, v9
	s_delay_alu instid0(VALU_DEP_1)
	v_or3_b32 v34, v15, v34, v5
	v_mov_b32_e32 v15, v9
.LBB239_146:
	s_or_b32 exec_lo, exec_lo, s21
	s_delay_alu instid0(VALU_DEP_2)
	v_mov_b32_dpp v35, v34 row_shr:8 row_mask:0xf bank_mask:0xf
	s_mov_b32 s21, exec_lo
	v_cmpx_lt_u32_e32 7, v8
	s_cbranch_execz .LBB239_148
; %bb.147:
	v_and_b32_e32 v9, 0xff, v15
	v_and_b32_e32 v15, 1, v15
	s_delay_alu instid0(VALU_DEP_2) | instskip(NEXT) | instid1(VALU_DEP_1)
	v_cmp_eq_u16_e64 s19, 0, v9
	v_dual_lshrrev_b32 v8, 16, v35 :: v_dual_cndmask_b32 v34, 0, v35, s19
	s_delay_alu instid0(VALU_DEP_1) | instskip(NEXT) | instid1(VALU_DEP_4)
	v_and_b32_e32 v8, 1, v8
	v_cmp_eq_u32_e64 s19, 1, v15
	s_delay_alu instid0(VALU_DEP_3) | instskip(NEXT) | instid1(VALU_DEP_2)
	v_add_nc_u16 v6, v34, v6
	v_cndmask_b32_e64 v9, v8, 1, s19
	s_delay_alu instid0(VALU_DEP_2) | instskip(NEXT) | instid1(VALU_DEP_2)
	v_and_b32_e32 v15, 0xffff, v6
	v_lshlrev_b32_e32 v8, 16, v9
	s_delay_alu instid0(VALU_DEP_1)
	v_or3_b32 v34, v8, v15, v5
	v_mov_b32_e32 v15, v9
.LBB239_148:
	s_or_b32 exec_lo, exec_lo, s21
	ds_swizzle_b32 v8, v34 offset:swizzle(BROADCAST,32,15)
	v_and_b32_e32 v34, 16, v7
	s_mov_b32 s21, exec_lo
	s_delay_alu instid0(VALU_DEP_1)
	v_cmpx_ne_u32_e32 0, v34
	s_cbranch_execz .LBB239_150
; %bb.149:
	v_and_b32_e32 v9, 0xff, v15
	s_delay_alu instid0(VALU_DEP_1) | instskip(SKIP_2) | instid1(VALU_DEP_1)
	v_cmp_eq_u16_e64 s19, 0, v9
	s_wait_dscnt 0x0
	v_dual_lshrrev_b32 v34, 16, v8 :: v_dual_bitop2_b32 v9, 1, v15 bitop3:0x40
	v_dual_cndmask_b32 v8, 0, v8, s19 :: v_dual_bitop2_b32 v15, 1, v34 bitop3:0x40
	s_delay_alu instid0(VALU_DEP_2) | instskip(NEXT) | instid1(VALU_DEP_2)
	v_cmp_eq_u32_e64 s19, 1, v9
	v_add_nc_u16 v6, v8, v6
	s_delay_alu instid0(VALU_DEP_2)
	v_cndmask_b32_e64 v9, v15, 1, s19
.LBB239_150:
	s_or_b32 exec_lo, exec_lo, s21
	s_wait_dscnt 0x0
	s_delay_alu instid0(VALU_DEP_1) | instskip(SKIP_2) | instid1(VALU_DEP_3)
	v_and_b32_e32 v8, 0xff, v9
	v_add_nc_u32_e32 v9, -1, v7
	v_and_b32_e32 v6, 0xffff, v6
	; wave barrier
	v_lshlrev_b32_e32 v8, 16, v8
	s_delay_alu instid0(VALU_DEP_3) | instskip(NEXT) | instid1(VALU_DEP_2)
	v_cmp_gt_i32_e64 s19, 0, v9
	v_or3_b32 v5, v8, v6, v5
	s_delay_alu instid0(VALU_DEP_2) | instskip(NEXT) | instid1(VALU_DEP_1)
	v_cndmask_b32_e64 v7, v9, v7, s19
	v_lshlrev_b32_e32 v6, 2, v7
	ds_bpermute_b32 v5, v6, v5
	v_and_b32_e32 v6, 0xff0000, v3
	s_delay_alu instid0(VALU_DEP_1) | instskip(SKIP_1) | instid1(VALU_DEP_1)
	v_cmp_eq_u32_e64 s19, 0, v6
	s_wait_dscnt 0x0
	v_dual_lshrrev_b32 v7, 16, v5 :: v_dual_cndmask_b32 v5, 0, v5, s19
	v_cmp_eq_u32_e64 s19, 0, v4
	s_delay_alu instid0(VALU_DEP_2) | instskip(NEXT) | instid1(VALU_DEP_3)
	v_add_nc_u16 v3, v5, v3
	v_and_b32_e32 v6, 1, v7
	s_delay_alu instid0(VALU_DEP_1) | instskip(SKIP_1) | instid1(VALU_DEP_1)
	v_cndmask_b32_e64 v4, 1, v6, s19
	v_cmp_eq_u32_e64 s19, 0, v0
	v_dual_cndmask_b32 v3, v3, v13, s19 :: v_dual_cndmask_b32 v4, v4, v14, s19
	ds_store_b16 v2, v3
	ds_store_b8 v2, v4 offset:2
	; wave barrier
	ds_load_u8 v5, v2 offset:6
	ds_load_u16 v6, v2 offset:4
	ds_load_u8 v7, v2 offset:10
	ds_load_u16 v8, v2 offset:8
	ds_load_u16 v9, v2 offset:12
	ds_load_u8 v15, v2 offset:14
	ds_load_u16 v34, v2 offset:16
	ds_load_u8 v35, v2 offset:18
	s_wait_dscnt 0x7
	v_cmp_eq_u16_e64 s19, 0, v5
	s_delay_alu instid0(VALU_DEP_1) | instskip(SKIP_2) | instid1(VALU_DEP_2)
	v_cndmask_b32_e64 v3, 0, v3, s19
	s_wait_dscnt 0x5
	v_cmp_eq_u16_e64 s19, 0, v7
	v_add_nc_u16 v3, v3, v6
	s_delay_alu instid0(VALU_DEP_1) | instskip(SKIP_2) | instid1(VALU_DEP_2)
	v_cndmask_b32_e64 v6, 0, v3, s19
	s_wait_dscnt 0x2
	v_cmp_eq_u16_e64 s19, 0, v15
	v_add_nc_u16 v6, v6, v8
	v_and_b32_e32 v5, 1, v5
	ds_load_u8 v8, v2 offset:22
	ds_load_u16 v37, v2 offset:20
	ds_load_u8 v38, v2 offset:26
	ds_load_u8 v39, v2 offset:30
	v_cndmask_b32_e64 v36, 0, v6, s19
	v_cmp_eq_u32_e64 s19, 1, v5
	v_and_b32_e32 v5, 1, v15
	s_delay_alu instid0(VALU_DEP_3) | instskip(NEXT) | instid1(VALU_DEP_3)
	v_add_nc_u16 v9, v36, v9
	v_cndmask_b32_e64 v4, v4, 1, s19
	s_wait_dscnt 0x4
	v_cmp_eq_u16_e64 s19, 0, v35
	v_and_b32_e32 v7, 1, v7
	ds_load_u16 v36, v2 offset:24
	ds_load_u16 v40, v2 offset:28
	v_cndmask_b32_e64 v15, 0, v9, s19
	v_cmp_eq_u32_e64 s19, 1, v7
	s_delay_alu instid0(VALU_DEP_2) | instskip(NEXT) | instid1(VALU_DEP_2)
	v_add_nc_u16 v15, v15, v34
	v_cndmask_b32_e64 v7, v4, 1, s19
	v_cmp_eq_u32_e64 s19, 1, v5
	v_and_b32_e32 v34, 1, v35
	s_wait_dscnt 0x2
	v_and_b32_e32 v41, 1, v39
	s_delay_alu instid0(VALU_DEP_3) | instskip(SKIP_1) | instid1(VALU_DEP_1)
	v_cndmask_b32_e64 v5, v7, 1, s19
	v_cmp_eq_u16_e64 s19, 0, v8
	v_dual_cndmask_b32 v35, 0, v15, s19 :: v_dual_bitop2_b32 v8, 1, v8 bitop3:0x40
	v_cmp_eq_u32_e64 s19, 1, v34
	s_delay_alu instid0(VALU_DEP_2) | instskip(NEXT) | instid1(VALU_DEP_2)
	v_add_nc_u16 v35, v35, v37
	v_cndmask_b32_e64 v34, v5, 1, s19
	s_delay_alu instid0(VALU_DEP_4)
	v_cmp_eq_u32_e64 s19, 1, v8
	v_and_b32_e32 v37, 1, v38
	ds_store_b16 v2, v3 offset:4
	ds_store_b8 v2, v4 offset:6
	ds_store_b16 v2, v6 offset:8
	ds_store_b8 v2, v7 offset:10
	;; [unrolled: 2-line block ×4, first 2 shown]
	v_cndmask_b32_e64 v8, v34, 1, s19
	v_cmp_eq_u16_e64 s19, 0, v38
	s_delay_alu instid0(VALU_DEP_1) | instskip(SKIP_2) | instid1(VALU_DEP_2)
	v_cndmask_b32_e64 v38, 0, v35, s19
	v_cmp_eq_u32_e64 s19, 1, v37
	s_wait_dscnt 0x9
	v_add_nc_u16 v36, v38, v36
	s_delay_alu instid0(VALU_DEP_2) | instskip(SKIP_1) | instid1(VALU_DEP_1)
	v_cndmask_b32_e64 v37, v8, 1, s19
	v_cmp_eq_u32_e64 s19, 1, v41
	v_cndmask_b32_e64 v38, v37, 1, s19
	v_cmp_eq_u16_e64 s19, 0, v39
	s_delay_alu instid0(VALU_DEP_1) | instskip(SKIP_1) | instid1(VALU_DEP_1)
	v_cndmask_b32_e64 v39, 0, v36, s19
	s_wait_dscnt 0x8
	v_add_nc_u16 v3, v39, v40
	ds_store_b16 v2, v35 offset:20
	ds_store_b8 v2, v8 offset:22
	ds_store_b16 v2, v36 offset:24
	ds_store_b8 v2, v37 offset:26
	;; [unrolled: 2-line block ×3, first 2 shown]
.LBB239_151:
	s_or_b32 exec_lo, exec_lo, s20
	v_cmp_eq_u32_e64 s19, 0, v0
	s_mov_b32 s21, exec_lo
	s_wait_dscnt 0x0
	s_barrier_signal -1
	s_barrier_wait -1
	v_cmpx_ne_u32_e32 0, v0
	s_cbranch_execz .LBB239_153
; %bb.152:
	v_add_nc_u32_e32 v2, -1, v0
	s_delay_alu instid0(VALU_DEP_1) | instskip(NEXT) | instid1(VALU_DEP_1)
	v_lshrrev_b32_e32 v3, 3, v2
	v_and_b32_e32 v3, 0x1ffffffc, v3
	s_delay_alu instid0(VALU_DEP_1)
	v_lshl_add_u32 v2, v2, 2, v3
	ds_load_u16 v13, v2
	ds_load_u8 v14, v2 offset:2
.LBB239_153:
	s_or_b32 exec_lo, exec_lo, s21
	s_and_saveexec_b32 s21, vcc_lo
	s_cbranch_execz .LBB239_265
; %bb.154:
	v_mov_b32_e32 v9, 0
	v_mbcnt_lo_u32_b32 v15, -1, 0
	ds_load_b32 v2, v9 offset:1048
	v_cmp_eq_u32_e64 s20, 0, v15
	s_and_saveexec_b32 s30, s20
	s_cbranch_execz .LBB239_156
; %bb.155:
	s_add_co_i32 s31, s28, 32
	s_delay_alu instid0(SALU_CYCLE_1)
	v_dual_mov_b32 v3, 1 :: v_dual_mov_b32 v4, s31
	s_wait_dscnt 0x0
	global_store_b64 v4, v[2:3], s[36:37] scale_offset scope:SCOPE_DEV
.LBB239_156:
	s_wait_xcnt 0x0
	s_or_b32 exec_lo, exec_lo, s30
	v_xad_u32 v4, v15, -1, s28
	s_mov_b32 s30, exec_lo
	s_delay_alu instid0(VALU_DEP_1) | instskip(SKIP_4) | instid1(VALU_DEP_1)
	v_add_nc_u32_e32 v8, 32, v4
	global_load_b64 v[6:7], v8, s[36:37] scale_offset scope:SCOPE_DEV
	s_wait_loadcnt 0x0
	v_and_b32_e32 v3, 0xff, v7
	s_wait_xcnt 0x0
	v_cmpx_eq_u16_e32 0, v3
	s_cbranch_execz .LBB239_160
; %bb.157:
	v_lshl_add_u64 v[8:9], v[8:9], 3, s[36:37]
	s_mov_b32 s31, 0
.LBB239_158:                            ; =>This Inner Loop Header: Depth=1
	global_load_b64 v[6:7], v[8:9], off scope:SCOPE_DEV
	s_wait_loadcnt 0x0
	v_and_b32_e32 v3, 0xff, v7
	s_delay_alu instid0(VALU_DEP_1)
	v_cmp_ne_u16_e32 vcc_lo, 0, v3
	s_or_b32 s31, vcc_lo, s31
	s_wait_xcnt 0x0
	s_and_not1_b32 exec_lo, exec_lo, s31
	s_cbranch_execnz .LBB239_158
; %bb.159:
	s_or_b32 exec_lo, exec_lo, s31
.LBB239_160:
	s_delay_alu instid0(SALU_CYCLE_1)
	s_or_b32 exec_lo, exec_lo, s30
	v_cmp_ne_u32_e32 vcc_lo, 31, v15
	v_and_b32_e32 v42, 0xffffff, v6
	v_and_b32_e32 v5, 0xff, v7
	v_lshlrev_b32_e64 v34, v15, -1
	v_bfe_u32 v9, v6, 16, 8
	v_add_co_ci_u32_e64 v3, null, 0, v15, vcc_lo
	s_delay_alu instid0(VALU_DEP_4) | instskip(SKIP_1) | instid1(VALU_DEP_2)
	v_cmp_eq_u16_e32 vcc_lo, 2, v5
	s_mov_b32 s30, exec_lo
	v_dual_lshrrev_b32 v8, 16, v6 :: v_dual_lshlrev_b32 v3, 2, v3
	v_and_or_b32 v5, vcc_lo, v34, 0x80000000
	ds_bpermute_b32 v35, v3, v42
	v_ctz_i32_b32_e32 v5, v5
	s_delay_alu instid0(VALU_DEP_1)
	v_cmpx_lt_u32_e64 v15, v5
	s_cbranch_execz .LBB239_162
; %bb.161:
	v_and_b32_e32 v8, 0xff0000, v6
	s_delay_alu instid0(VALU_DEP_1) | instskip(SKIP_3) | instid1(VALU_DEP_1)
	v_and_b32_e32 v36, 0x10000, v8
	v_cmp_eq_u32_e32 vcc_lo, 0, v8
	s_wait_dscnt 0x0
	v_dual_lshrrev_b32 v9, 16, v35 :: v_dual_cndmask_b32 v35, 0, v35, vcc_lo
	v_and_b32_e32 v9, 1, v9
	v_cmp_ne_u32_e32 vcc_lo, 0, v36
	s_delay_alu instid0(VALU_DEP_3) | instskip(NEXT) | instid1(VALU_DEP_3)
	v_add_nc_u16 v6, v35, v6
	v_cndmask_b32_e64 v8, v9, 1, vcc_lo
	s_delay_alu instid0(VALU_DEP_2) | instskip(NEXT) | instid1(VALU_DEP_2)
	v_and_b32_e32 v35, 0xffff, v6
	v_lshlrev_b32_e32 v9, 16, v8
	s_delay_alu instid0(VALU_DEP_1)
	v_dual_mov_b32 v9, v8 :: v_dual_bitop2_b32 v42, v9, v35 bitop3:0x54
.LBB239_162:
	s_or_b32 exec_lo, exec_lo, s30
	v_cmp_gt_u32_e32 vcc_lo, 30, v15
	v_add_nc_u32_e32 v36, 2, v15
	s_mov_b32 s30, exec_lo
	s_wait_dscnt 0x0
	v_cndmask_b32_e64 v35, 0, 2, vcc_lo
	s_delay_alu instid0(VALU_DEP_1)
	v_add_lshl_u32 v35, v35, v15, 2
	ds_bpermute_b32 v37, v35, v42
	v_cmpx_le_u32_e64 v36, v5
	s_cbranch_execz .LBB239_164
; %bb.163:
	v_cmp_eq_u16_e32 vcc_lo, 0, v9
	s_wait_dscnt 0x0
	v_lshrrev_b32_e32 v8, 16, v37
	v_and_b32_e32 v9, 1, v9
	s_delay_alu instid0(VALU_DEP_2) | instskip(NEXT) | instid1(VALU_DEP_2)
	v_dual_cndmask_b32 v37, 0, v37, vcc_lo :: v_dual_bitop2_b32 v8, 1, v8 bitop3:0x40
	v_cmp_eq_u32_e32 vcc_lo, 1, v9
	s_delay_alu instid0(VALU_DEP_2) | instskip(NEXT) | instid1(VALU_DEP_3)
	v_add_nc_u16 v6, v37, v6
	v_cndmask_b32_e64 v8, v8, 1, vcc_lo
	s_delay_alu instid0(VALU_DEP_2) | instskip(NEXT) | instid1(VALU_DEP_2)
	v_and_b32_e32 v9, 0xffff, v6
	v_lshlrev_b32_e32 v37, 16, v8
	s_delay_alu instid0(VALU_DEP_1)
	v_dual_mov_b32 v9, v8 :: v_dual_bitop2_b32 v42, v37, v9 bitop3:0x54
.LBB239_164:
	s_or_b32 exec_lo, exec_lo, s30
	v_cmp_gt_u32_e32 vcc_lo, 28, v15
	v_add_nc_u32_e32 v38, 4, v15
	s_mov_b32 s30, exec_lo
	s_wait_dscnt 0x0
	v_cndmask_b32_e64 v37, 0, 4, vcc_lo
	s_delay_alu instid0(VALU_DEP_1)
	v_add_lshl_u32 v37, v37, v15, 2
	ds_bpermute_b32 v39, v37, v42
	v_cmpx_le_u32_e64 v38, v5
	s_cbranch_execz .LBB239_166
; %bb.165:
	v_cmp_eq_u16_e32 vcc_lo, 0, v9
	s_wait_dscnt 0x0
	v_dual_lshrrev_b32 v8, 16, v39 :: v_dual_bitop2_b32 v9, 1, v9 bitop3:0x40
	s_delay_alu instid0(VALU_DEP_1) | instskip(NEXT) | instid1(VALU_DEP_2)
	v_dual_cndmask_b32 v39, 0, v39, vcc_lo :: v_dual_bitop2_b32 v8, 1, v8 bitop3:0x40
	v_cmp_eq_u32_e32 vcc_lo, 1, v9
	s_delay_alu instid0(VALU_DEP_2) | instskip(NEXT) | instid1(VALU_DEP_3)
	v_add_nc_u16 v6, v39, v6
	v_cndmask_b32_e64 v8, v8, 1, vcc_lo
	s_delay_alu instid0(VALU_DEP_2) | instskip(NEXT) | instid1(VALU_DEP_2)
	v_and_b32_e32 v9, 0xffff, v6
	v_lshlrev_b32_e32 v39, 16, v8
	s_delay_alu instid0(VALU_DEP_1)
	v_dual_mov_b32 v9, v8 :: v_dual_bitop2_b32 v42, v39, v9 bitop3:0x54
.LBB239_166:
	s_or_b32 exec_lo, exec_lo, s30
	v_cmp_gt_u32_e32 vcc_lo, 24, v15
	v_add_nc_u32_e32 v40, 8, v15
	s_mov_b32 s30, exec_lo
	s_wait_dscnt 0x0
	v_cndmask_b32_e64 v39, 0, 8, vcc_lo
	s_delay_alu instid0(VALU_DEP_1)
	v_add_lshl_u32 v39, v39, v15, 2
	ds_bpermute_b32 v41, v39, v42
	v_cmpx_le_u32_e64 v40, v5
	s_cbranch_execz .LBB239_168
; %bb.167:
	v_cmp_eq_u16_e32 vcc_lo, 0, v9
	s_wait_dscnt 0x0
	v_lshrrev_b32_e32 v8, 16, v41
	v_and_b32_e32 v9, 1, v9
	s_delay_alu instid0(VALU_DEP_2) | instskip(NEXT) | instid1(VALU_DEP_2)
	v_dual_cndmask_b32 v41, 0, v41, vcc_lo :: v_dual_bitop2_b32 v8, 1, v8 bitop3:0x40
	v_cmp_eq_u32_e32 vcc_lo, 1, v9
	s_delay_alu instid0(VALU_DEP_2) | instskip(NEXT) | instid1(VALU_DEP_3)
	v_add_nc_u16 v6, v41, v6
	v_cndmask_b32_e64 v8, v8, 1, vcc_lo
	s_delay_alu instid0(VALU_DEP_2) | instskip(NEXT) | instid1(VALU_DEP_2)
	v_and_b32_e32 v9, 0xffff, v6
	v_lshlrev_b32_e32 v41, 16, v8
	s_delay_alu instid0(VALU_DEP_1)
	v_dual_mov_b32 v9, v8 :: v_dual_bitop2_b32 v42, v41, v9 bitop3:0x54
.LBB239_168:
	s_or_b32 exec_lo, exec_lo, s30
	s_wait_dscnt 0x0
	v_lshl_or_b32 v41, v15, 2, 64
	v_add_nc_u32_e32 v47, 16, v15
	s_mov_b32 s30, exec_lo
	ds_bpermute_b32 v42, v41, v42
	v_cmpx_le_u32_e64 v47, v5
	s_cbranch_execz .LBB239_170
; %bb.169:
	v_cmp_eq_u16_e32 vcc_lo, 0, v9
	s_wait_dscnt 0x0
	v_dual_lshrrev_b32 v5, 16, v42 :: v_dual_bitop2_b32 v9, 1, v9 bitop3:0x40
	s_delay_alu instid0(VALU_DEP_1) | instskip(NEXT) | instid1(VALU_DEP_2)
	v_dual_cndmask_b32 v8, 0, v42, vcc_lo :: v_dual_bitop2_b32 v5, 1, v5 bitop3:0x40
	v_cmp_eq_u32_e32 vcc_lo, 1, v9
	s_delay_alu instid0(VALU_DEP_2) | instskip(NEXT) | instid1(VALU_DEP_3)
	v_add_nc_u16 v6, v8, v6
	v_cndmask_b32_e64 v8, v5, 1, vcc_lo
.LBB239_170:
	s_or_b32 exec_lo, exec_lo, s30
	v_mov_b32_e32 v5, 0
	s_branch .LBB239_173
.LBB239_171:                            ;   in Loop: Header=BB239_173 Depth=1
	s_or_b32 exec_lo, exec_lo, s30
	v_and_b32_e32 v8, 0xff, v42
	v_subrev_nc_u32_e32 v4, 32, v4
	s_mov_b32 s30, 0
	v_and_b32_e32 v9, 1, v9
	s_delay_alu instid0(VALU_DEP_3) | instskip(SKIP_2) | instid1(VALU_DEP_2)
	v_cmp_eq_u16_e32 vcc_lo, 0, v8
	v_and_b32_e32 v8, 1, v42
	v_cndmask_b32_e32 v6, 0, v6, vcc_lo
	v_cmp_eq_u32_e32 vcc_lo, 1, v8
	s_delay_alu instid0(VALU_DEP_2)
	v_add_nc_u16 v6, v6, v48
	v_cndmask_b32_e64 v8, v9, 1, vcc_lo
.LBB239_172:                            ;   in Loop: Header=BB239_173 Depth=1
	s_and_b32 vcc_lo, exec_lo, s30
	s_cbranch_vccnz .LBB239_261
.LBB239_173:                            ; =>This Loop Header: Depth=1
                                        ;     Child Loop BB239_176 Depth 2
	v_and_b32_e32 v7, 0xff, v7
	s_wait_dscnt 0x0
	v_dual_mov_b32 v42, v8 :: v_dual_mov_b32 v48, v6
	s_mov_b32 s30, -1
                                        ; implicit-def: $vgpr8
	s_delay_alu instid0(VALU_DEP_2)
	v_cmp_ne_u16_e32 vcc_lo, 2, v7
                                        ; implicit-def: $vgpr6
	s_cmp_lg_u32 vcc_lo, exec_lo
	s_cbranch_scc1 .LBB239_172
; %bb.174:                              ;   in Loop: Header=BB239_173 Depth=1
	global_load_b64 v[6:7], v4, s[36:37] scale_offset scope:SCOPE_DEV
	s_mov_b32 s30, exec_lo
	s_wait_loadcnt 0x0
	v_and_b32_e32 v8, 0xff, v7
	s_wait_xcnt 0x0
	s_delay_alu instid0(VALU_DEP_1)
	v_cmpx_eq_u16_e32 0, v8
	s_cbranch_execz .LBB239_178
; %bb.175:                              ;   in Loop: Header=BB239_173 Depth=1
	v_lshl_add_u64 v[8:9], v[4:5], 3, s[36:37]
	s_mov_b32 s31, 0
.LBB239_176:                            ;   Parent Loop BB239_173 Depth=1
                                        ; =>  This Inner Loop Header: Depth=2
	global_load_b64 v[6:7], v[8:9], off scope:SCOPE_DEV
	s_wait_loadcnt 0x0
	v_and_b32_e32 v49, 0xff, v7
	s_delay_alu instid0(VALU_DEP_1)
	v_cmp_ne_u16_e32 vcc_lo, 0, v49
	s_or_b32 s31, vcc_lo, s31
	s_wait_xcnt 0x0
	s_and_not1_b32 exec_lo, exec_lo, s31
	s_cbranch_execnz .LBB239_176
; %bb.177:                              ;   in Loop: Header=BB239_173 Depth=1
	s_or_b32 exec_lo, exec_lo, s31
.LBB239_178:                            ;   in Loop: Header=BB239_173 Depth=1
	s_delay_alu instid0(SALU_CYCLE_1)
	s_or_b32 exec_lo, exec_lo, s30
	v_and_b32_e32 v50, 0xffffff, v6
	v_and_b32_e32 v8, 0xff, v7
	v_lshrrev_b32_e32 v9, 16, v6
	v_bfe_u32 v49, v6, 16, 8
	s_mov_b32 s30, exec_lo
	ds_bpermute_b32 v51, v3, v50
	v_cmp_eq_u16_e32 vcc_lo, 2, v8
	v_and_or_b32 v8, vcc_lo, v34, 0x80000000
	s_delay_alu instid0(VALU_DEP_1) | instskip(NEXT) | instid1(VALU_DEP_1)
	v_ctz_i32_b32_e32 v8, v8
	v_cmpx_lt_u32_e64 v15, v8
	s_cbranch_execz .LBB239_180
; %bb.179:                              ;   in Loop: Header=BB239_173 Depth=1
	v_and_b32_e32 v9, 0xff0000, v6
	s_delay_alu instid0(VALU_DEP_1) | instskip(SKIP_3) | instid1(VALU_DEP_1)
	v_and_b32_e32 v50, 0x10000, v9
	v_cmp_eq_u32_e32 vcc_lo, 0, v9
	s_wait_dscnt 0x0
	v_dual_lshrrev_b32 v49, 16, v51 :: v_dual_cndmask_b32 v51, 0, v51, vcc_lo
	v_and_b32_e32 v49, 1, v49
	v_cmp_ne_u32_e32 vcc_lo, 0, v50
	s_delay_alu instid0(VALU_DEP_3) | instskip(NEXT) | instid1(VALU_DEP_3)
	v_add_nc_u16 v6, v51, v6
	v_cndmask_b32_e64 v9, v49, 1, vcc_lo
	s_delay_alu instid0(VALU_DEP_2) | instskip(NEXT) | instid1(VALU_DEP_2)
	v_and_b32_e32 v50, 0xffff, v6
	v_lshlrev_b32_e32 v49, 16, v9
	s_delay_alu instid0(VALU_DEP_1)
	v_or_b32_e32 v50, v49, v50
	v_mov_b32_e32 v49, v9
.LBB239_180:                            ;   in Loop: Header=BB239_173 Depth=1
	s_or_b32 exec_lo, exec_lo, s30
	s_wait_dscnt 0x0
	ds_bpermute_b32 v51, v35, v50
	s_mov_b32 s30, exec_lo
	v_cmpx_le_u32_e64 v36, v8
	s_cbranch_execz .LBB239_182
; %bb.181:                              ;   in Loop: Header=BB239_173 Depth=1
	v_cmp_eq_u16_e32 vcc_lo, 0, v49
	s_wait_dscnt 0x0
	v_dual_lshrrev_b32 v9, 16, v51 :: v_dual_bitop2_b32 v49, 1, v49 bitop3:0x40
	s_delay_alu instid0(VALU_DEP_1) | instskip(NEXT) | instid1(VALU_DEP_2)
	v_dual_cndmask_b32 v50, 0, v51, vcc_lo :: v_dual_bitop2_b32 v9, 1, v9 bitop3:0x40
	v_cmp_eq_u32_e32 vcc_lo, 1, v49
	s_delay_alu instid0(VALU_DEP_2) | instskip(NEXT) | instid1(VALU_DEP_3)
	v_add_nc_u16 v6, v50, v6
	v_cndmask_b32_e64 v9, v9, 1, vcc_lo
	s_delay_alu instid0(VALU_DEP_2) | instskip(NEXT) | instid1(VALU_DEP_2)
	v_and_b32_e32 v49, 0xffff, v6
	v_lshlrev_b32_e32 v50, 16, v9
	s_delay_alu instid0(VALU_DEP_1)
	v_dual_mov_b32 v49, v9 :: v_dual_bitop2_b32 v50, v50, v49 bitop3:0x54
.LBB239_182:                            ;   in Loop: Header=BB239_173 Depth=1
	s_or_b32 exec_lo, exec_lo, s30
	s_wait_dscnt 0x0
	ds_bpermute_b32 v51, v37, v50
	s_mov_b32 s30, exec_lo
	v_cmpx_le_u32_e64 v38, v8
	s_cbranch_execz .LBB239_184
; %bb.183:                              ;   in Loop: Header=BB239_173 Depth=1
	v_cmp_eq_u16_e32 vcc_lo, 0, v49
	s_wait_dscnt 0x0
	v_dual_lshrrev_b32 v9, 16, v51 :: v_dual_bitop2_b32 v49, 1, v49 bitop3:0x40
	s_delay_alu instid0(VALU_DEP_1) | instskip(NEXT) | instid1(VALU_DEP_2)
	v_dual_cndmask_b32 v50, 0, v51, vcc_lo :: v_dual_bitop2_b32 v9, 1, v9 bitop3:0x40
	v_cmp_eq_u32_e32 vcc_lo, 1, v49
	s_delay_alu instid0(VALU_DEP_2) | instskip(NEXT) | instid1(VALU_DEP_3)
	v_add_nc_u16 v6, v50, v6
	v_cndmask_b32_e64 v9, v9, 1, vcc_lo
	s_delay_alu instid0(VALU_DEP_2) | instskip(NEXT) | instid1(VALU_DEP_2)
	v_and_b32_e32 v49, 0xffff, v6
	v_lshlrev_b32_e32 v50, 16, v9
	s_delay_alu instid0(VALU_DEP_1)
	v_dual_mov_b32 v49, v9 :: v_dual_bitop2_b32 v50, v50, v49 bitop3:0x54
.LBB239_184:                            ;   in Loop: Header=BB239_173 Depth=1
	;; [unrolled: 22-line block ×3, first 2 shown]
	s_or_b32 exec_lo, exec_lo, s30
	ds_bpermute_b32 v50, v41, v50
	s_mov_b32 s30, exec_lo
	v_cmpx_le_u32_e64 v47, v8
	s_cbranch_execz .LBB239_171
; %bb.187:                              ;   in Loop: Header=BB239_173 Depth=1
	v_cmp_eq_u16_e32 vcc_lo, 0, v49
	s_wait_dscnt 0x0
	v_dual_lshrrev_b32 v49, 16, v50 :: v_dual_bitop2_b32 v9, 1, v49 bitop3:0x40
	v_cndmask_b32_e32 v8, 0, v50, vcc_lo
	s_delay_alu instid0(VALU_DEP_2) | instskip(NEXT) | instid1(VALU_DEP_2)
	v_cmp_eq_u32_e32 vcc_lo, 1, v9
	v_add_nc_u16 v6, v8, v6
	s_delay_alu instid0(VALU_DEP_4)
	v_cndmask_b32_e64 v9, v49, 1, vcc_lo
	s_branch .LBB239_171
.LBB239_188:
                                        ; implicit-def: $vgpr47
                                        ; implicit-def: $vgpr4
                                        ; implicit-def: $vgpr5
                                        ; implicit-def: $vgpr6
                                        ; implicit-def: $vgpr7
                                        ; implicit-def: $vgpr8
                                        ; implicit-def: $vgpr9
                                        ; implicit-def: $vgpr13
                                        ; implicit-def: $vgpr12
                                        ; implicit-def: $vgpr14
                                        ; implicit-def: $vgpr15
                                        ; implicit-def: $vgpr34
                                        ; implicit-def: $vgpr35
                                        ; implicit-def: $vgpr36
                                        ; implicit-def: $vgpr37
                                        ; implicit-def: $vgpr39
                                        ; implicit-def: $vgpr38
                                        ; implicit-def: $vgpr40
                                        ; implicit-def: $vgpr41
                                        ; implicit-def: $vgpr42
	s_cbranch_execnz .LBB239_266
.LBB239_189:
	s_add_nc_u64 s[0:1], s[22:23], s[34:35]
	s_and_b32 vcc_lo, exec_lo, s29
	s_add_nc_u64 s[0:1], s[0:1], s[24:25]
	s_cbranch_vccz .LBB239_285
.LBB239_190:
	v_mul_u32_u24_e32 v1, 20, v0
	s_add_co_i32 s33, s33, s38
	s_mov_b32 s2, exec_lo
	s_delay_alu instid0(VALU_DEP_1)
	v_cmpx_gt_u32_e64 s33, v1
	s_cbranch_execz .LBB239_222
; %bb.191:
	v_or_b32_e32 v2, 1, v1
	s_mov_b32 s3, exec_lo
	s_delay_alu instid0(VALU_DEP_1)
	v_cmpx_gt_u32_e64 s33, v2
	s_cbranch_execz .LBB239_221
; %bb.192:
	v_or_b32_e32 v2, 2, v1
	;; [unrolled: 6-line block ×3, first 2 shown]
	s_mov_b32 s5, exec_lo
	s_delay_alu instid0(VALU_DEP_1)
	v_cmpx_gt_u32_e64 s33, v2
	s_cbranch_execz .LBB239_219
; %bb.194:
	v_add_nc_u32_e32 v2, 4, v1
	s_mov_b32 s6, exec_lo
	s_delay_alu instid0(VALU_DEP_1)
	v_cmpx_gt_u32_e64 s33, v2
	s_cbranch_execz .LBB239_218
; %bb.195:
	v_add_nc_u32_e32 v2, 5, v1
	;; [unrolled: 6-line block ×12, first 2 shown]
	s_mov_b32 s17, exec_lo
	s_delay_alu instid0(VALU_DEP_1)
	v_cmpx_gt_u32_e64 s33, v2
; %bb.206:
	v_add_nc_u32_e32 v2, 16, v1
	s_mov_b32 s18, exec_lo
	s_delay_alu instid0(VALU_DEP_1)
	v_cmpx_gt_u32_e64 s33, v2
	s_or_b32 exec_lo, exec_lo, s18
; %bb.207:
	s_delay_alu instid0(SALU_CYCLE_1)
	s_or_b32 exec_lo, exec_lo, s17
.LBB239_208:
	s_delay_alu instid0(SALU_CYCLE_1)
	s_or_b32 exec_lo, exec_lo, s16
.LBB239_209:
	s_delay_alu instid0(SALU_CYCLE_1)
	s_or_b32 exec_lo, exec_lo, s15
.LBB239_210:
	s_delay_alu instid0(SALU_CYCLE_1)
	s_or_b32 exec_lo, exec_lo, s14
.LBB239_211:
	s_delay_alu instid0(SALU_CYCLE_1)
	s_or_b32 exec_lo, exec_lo, s13
.LBB239_212:
	s_delay_alu instid0(SALU_CYCLE_1)
	s_or_b32 exec_lo, exec_lo, s12
.LBB239_213:
	s_delay_alu instid0(SALU_CYCLE_1)
	s_or_b32 exec_lo, exec_lo, s11
.LBB239_214:
	s_delay_alu instid0(SALU_CYCLE_1)
	s_or_b32 exec_lo, exec_lo, s10
.LBB239_215:
	s_delay_alu instid0(SALU_CYCLE_1)
	s_or_b32 exec_lo, exec_lo, s9
.LBB239_216:
	s_delay_alu instid0(SALU_CYCLE_1)
	s_or_b32 exec_lo, exec_lo, s8
.LBB239_217:
	s_delay_alu instid0(SALU_CYCLE_1)
	s_or_b32 exec_lo, exec_lo, s7
.LBB239_218:
	s_delay_alu instid0(SALU_CYCLE_1)
	s_or_b32 exec_lo, exec_lo, s6
.LBB239_219:
	s_delay_alu instid0(SALU_CYCLE_1)
	s_or_b32 exec_lo, exec_lo, s5
.LBB239_220:
	s_delay_alu instid0(SALU_CYCLE_1)
	s_or_b32 exec_lo, exec_lo, s4
.LBB239_221:
	s_delay_alu instid0(SALU_CYCLE_1)
	s_or_b32 exec_lo, exec_lo, s3
.LBB239_222:
	s_delay_alu instid0(SALU_CYCLE_1)
	s_or_b32 exec_lo, exec_lo, s2
	v_dual_lshlrev_b32 v31, 1, v1 :: v_dual_mov_b32 v11, 0
	v_perm_b32 v3, v13, v9, 0x5040100
	v_perm_b32 v2, v8, v7, 0x5040100
	;; [unrolled: 1-line block ×4, first 2 shown]
	v_mad_i32_i24 v1, 0xffffffda, v0, v31
	v_perm_b32 v19, v39, v37, 0x5040100
	v_perm_b32 v18, v36, v35, 0x5040100
	;; [unrolled: 1-line block ×6, first 2 shown]
	s_wait_storecnt 0x0
	s_barrier_signal -1
	s_barrier_wait -1
	ds_store_2addr_b64 v31, v[16:17], v[2:3] offset1:1
	ds_store_2addr_b64 v31, v[20:21], v[18:19] offset0:2 offset1:3
	ds_store_b64 v31, v[22:23] offset:32
	s_wait_dscnt 0x0
	s_barrier_signal -1
	s_barrier_wait -1
	ds_load_u16 v43, v1 offset:512
	ds_load_u16 v33, v1 offset:1024
	ds_load_u16 v32, v1 offset:1536
	ds_load_u16 v30, v1 offset:2048
	ds_load_u16 v29, v1 offset:2560
	ds_load_u16 v28, v1 offset:3072
	ds_load_u16 v27, v1 offset:3584
	ds_load_u16 v26, v1 offset:4096
	ds_load_u16 v25, v1 offset:4608
	ds_load_u16 v24, v1 offset:5120
	ds_load_u16 v23, v1 offset:5632
	ds_load_u16 v22, v1 offset:6144
	ds_load_u16 v21, v1 offset:6656
	ds_load_u16 v20, v1 offset:7168
	ds_load_u16 v19, v1 offset:7680
	ds_load_u16 v18, v1 offset:8192
	ds_load_u16 v17, v1 offset:8704
	ds_load_u16 v16, v1 offset:9216
	ds_load_u16 v1, v1 offset:9728
	v_add_nc_u64_e32 v[2:3], s[0:1], v[10:11]
	s_mov_b32 s2, exec_lo
	v_cmpx_gt_u32_e64 s33, v0
	s_cbranch_execz .LBB239_224
; %bb.223:
	v_mul_i32_i24_e32 v10, 0xffffffda, v0
	s_delay_alu instid0(VALU_DEP_1)
	v_add_nc_u32_e32 v10, v31, v10
	ds_load_u16 v10, v10
	s_wait_dscnt 0x0
	flat_store_b16 v[2:3], v10
.LBB239_224:
	s_wait_xcnt 0x0
	s_or_b32 exec_lo, exec_lo, s2
	v_or_b32_e32 v10, 0x100, v0
	s_mov_b32 s2, exec_lo
	s_delay_alu instid0(VALU_DEP_1)
	v_cmpx_gt_u32_e64 s33, v10
	s_cbranch_execz .LBB239_226
; %bb.225:
	s_wait_dscnt 0x12
	flat_store_b16 v[2:3], v43 offset:512
.LBB239_226:
	s_wait_xcnt 0x0
	s_or_b32 exec_lo, exec_lo, s2
	v_or_b32_e32 v10, 0x200, v0
	s_mov_b32 s2, exec_lo
	s_delay_alu instid0(VALU_DEP_1)
	v_cmpx_gt_u32_e64 s33, v10
	s_cbranch_execz .LBB239_228
; %bb.227:
	s_wait_dscnt 0x11
	flat_store_b16 v[2:3], v33 offset:1024
.LBB239_228:
	;; [unrolled: 11-line block ×18, first 2 shown]
	s_wait_xcnt 0x0
	s_or_b32 exec_lo, exec_lo, s2
	v_or_b32_e32 v2, 0x1300, v0
	s_delay_alu instid0(VALU_DEP_1)
	v_cmp_gt_u32_e64 s2, s33, v2
	s_branch .LBB239_287
.LBB239_261:
	s_and_saveexec_b32 s30, s20
	s_cbranch_execz .LBB239_263
; %bb.262:
	v_and_b32_e32 v3, 0xff0000, v2
	v_and_b32_e32 v5, 0x10000, v2
	s_add_co_i32 s20, s28, 32
	s_delay_alu instid0(VALU_DEP_2) | instskip(SKIP_1) | instid1(VALU_DEP_1)
	v_cmp_eq_u32_e32 vcc_lo, 0, v3
	v_dual_cndmask_b32 v3, 0, v48, vcc_lo :: v_dual_bitop2_b32 v4, 1, v42 bitop3:0x40
	v_lshlrev_b32_e32 v4, 16, v4
	v_cmp_eq_u32_e32 vcc_lo, 0, v5
	s_delay_alu instid0(VALU_DEP_3) | instskip(NEXT) | instid1(VALU_DEP_3)
	v_add_nc_u16 v2, v3, v2
	v_dual_mov_b32 v3, 2 :: v_dual_cndmask_b32 v4, 0x10000, v4
	s_delay_alu instid0(VALU_DEP_2) | instskip(NEXT) | instid1(VALU_DEP_1)
	v_and_b32_e32 v2, 0xffff, v2
	v_dual_mov_b32 v4, s20 :: v_dual_bitop2_b32 v2, v4, v2 bitop3:0x54
	global_store_b64 v4, v[2:3], s[36:37] scale_offset scope:SCOPE_DEV
.LBB239_263:
	s_wait_xcnt 0x0
	s_or_b32 exec_lo, exec_lo, s30
	s_delay_alu instid0(SALU_CYCLE_1)
	s_and_b32 exec_lo, exec_lo, s19
	s_cbranch_execz .LBB239_265
; %bb.264:
	v_mov_b32_e32 v2, 0
	ds_store_b16 v2, v48
	ds_store_b8 v2, v42 offset:2
.LBB239_265:
	s_or_b32 exec_lo, exec_lo, s21
	v_and_b32_e32 v3, 0x10000, v30
	s_wait_storecnt_dscnt 0x0
	s_barrier_signal -1
	s_barrier_wait -1
	s_delay_alu instid0(VALU_DEP_1)
	v_cmp_ne_u32_e32 vcc_lo, 0, v3
	v_cndmask_b32_e64 v3, v14, 1, vcc_lo
	v_cmp_gt_u32_e32 vcc_lo, 0x10000, v30
	v_dual_mov_b32 v2, 0 :: v_dual_cndmask_b32 v4, 0, v13, vcc_lo
	ds_load_b32 v2, v2
	v_cndmask_b32_e64 v3, v3, v12, s19
	v_cndmask_b32_e64 v4, v4, 0, s19
	s_delay_alu instid0(VALU_DEP_2) | instskip(NEXT) | instid1(VALU_DEP_2)
	v_and_b32_e32 v3, 0xff, v3
	v_add_nc_u16 v4, v4, v30
	s_delay_alu instid0(VALU_DEP_2) | instskip(SKIP_2) | instid1(VALU_DEP_1)
	v_cmp_eq_u16_e32 vcc_lo, 0, v3
	s_wait_dscnt 0x0
	v_cndmask_b32_e32 v2, 0, v2, vcc_lo
	v_add_nc_u16 v2, v4, v2
	s_delay_alu instid0(VALU_DEP_1) | instskip(SKIP_1) | instid1(VALU_DEP_2)
	v_cndmask_b32_e64 v3, 0, v2, s18
	v_and_b32_e32 v47, 0xffff, v2
	v_add_nc_u16 v4, v3, v33
	s_delay_alu instid0(VALU_DEP_1) | instskip(NEXT) | instid1(VALU_DEP_1)
	v_cndmask_b32_e64 v3, 0, v4, s17
	v_add_nc_u16 v5, v3, v32
	s_delay_alu instid0(VALU_DEP_1) | instskip(NEXT) | instid1(VALU_DEP_1)
	v_cndmask_b32_e64 v3, 0, v5, s16
	;; [unrolled: 3-line block ×18, first 2 shown]
	v_add_nc_u16 v42, v3, v11
	s_branch .LBB239_189
.LBB239_266:
	s_cmp_lg_u64 s[40:41], 0
	v_cmp_eq_u32_e32 vcc_lo, 0, v0
	s_cselect_b32 s1, -1, 0
	s_cmp_lg_u64 s[26:27], 0
	v_cmp_ne_u32_e64 s0, 0, v0
	s_cselect_b32 s2, -1, 0
	s_delay_alu instid0(SALU_CYCLE_1) | instskip(NEXT) | instid1(SALU_CYCLE_1)
	s_and_b32 s1, s1, s2
	s_and_b32 s1, vcc_lo, s1
	s_delay_alu instid0(SALU_CYCLE_1)
	s_and_saveexec_b32 s2, s1
	s_cbranch_execz .LBB239_268
; %bb.267:
	v_mov_b32_e32 v2, 0
	v_cmp_gt_u32_e64 s1, 0x10000, v30
	s_clause 0x1
	global_load_u16 v3, v2, s[26:27]
	global_load_u8 v4, v2, s[26:27] offset:2
	s_wait_loadcnt 0x0
	v_dual_cndmask_b32 v2, 0, v3, s1 :: v_dual_bitop2_b32 v3, 1, v4 bitop3:0x40
	v_and_b32_e32 v4, 0x10000, v30
	s_delay_alu instid0(VALU_DEP_2) | instskip(NEXT) | instid1(VALU_DEP_3)
	v_lshlrev_b32_e32 v3, 16, v3
	v_add_nc_u16 v2, v2, v30
	s_delay_alu instid0(VALU_DEP_3) | instskip(NEXT) | instid1(VALU_DEP_2)
	v_cmp_eq_u32_e64 s1, 0, v4
	v_and_b32_e32 v2, 0xffff, v2
	s_delay_alu instid0(VALU_DEP_2) | instskip(NEXT) | instid1(VALU_DEP_1)
	v_cndmask_b32_e64 v3, 0x10000, v3, s1
	v_or_b32_e32 v30, v3, v2
.LBB239_268:
	s_or_b32 exec_lo, exec_lo, s2
	v_cmp_gt_u32_e64 s1, 0x10000, v33
	v_cmp_gt_u32_e64 s18, 0x10000, v1
	;; [unrolled: 1-line block ×5, first 2 shown]
	v_cndmask_b32_e64 v2, 0, v30, s1
	v_cmp_gt_u32_e64 s19, 0x10000, v11
	v_cmp_gt_u32_e64 s5, 0x10000, v28
	v_cmp_gt_u32_e64 s6, 0x10000, v27
	v_cmp_gt_u32_e64 s7, 0x10000, v26
	v_add_nc_u16 v4, v2, v33
	v_cmp_gt_u32_e64 s8, 0x10000, v25
	v_cmp_gt_u32_e64 s9, 0x10000, v24
	;; [unrolled: 1-line block ×4, first 2 shown]
	v_dual_cndmask_b32 v2, 0, v4, s2 :: v_dual_bitop2_b32 v42, 28, v45 bitop3:0x40
	v_cmp_gt_u32_e64 s12, 0x10000, v21
	v_cmp_gt_u32_e64 s13, 0x10000, v20
	;; [unrolled: 1-line block ×3, first 2 shown]
	s_delay_alu instid0(VALU_DEP_4)
	v_add_nc_u16 v5, v2, v32
	v_cmp_gt_u32_e64 s15, 0x10000, v18
	v_cmp_gt_u32_e64 s16, 0x10000, v17
	;; [unrolled: 1-line block ×3, first 2 shown]
	v_or3_b32 v3, v44, v29, v31
	v_cndmask_b32_e64 v2, 0, v5, s3
	v_lshl_add_u32 v44, v0, 2, v42
	s_mov_b32 s21, exec_lo
	s_delay_alu instid0(VALU_DEP_3) | instskip(NEXT) | instid1(VALU_DEP_3)
	v_or3_b32 v3, v3, v32, v33
	v_add_nc_u16 v6, v2, v31
	s_delay_alu instid0(VALU_DEP_1) | instskip(NEXT) | instid1(VALU_DEP_1)
	v_cndmask_b32_e64 v2, 0, v6, s4
	v_add_nc_u16 v7, v2, v29
	s_delay_alu instid0(VALU_DEP_1) | instskip(NEXT) | instid1(VALU_DEP_1)
	v_cndmask_b32_e64 v2, 0, v7, s5
	;; [unrolled: 3-line block ×14, first 2 shown]
	v_add_nc_u16 v40, v2, v16
	v_or3_b32 v2, v46, v21, v22
	s_delay_alu instid0(VALU_DEP_2) | instskip(NEXT) | instid1(VALU_DEP_2)
	v_cndmask_b32_e64 v41, 0, v40, s18
	v_or3_b32 v2, v2, v23, v24
	s_delay_alu instid0(VALU_DEP_2) | instskip(NEXT) | instid1(VALU_DEP_2)
	v_add_nc_u16 v41, v41, v1
	v_or3_b32 v2, v11, v43, v2
	s_delay_alu instid0(VALU_DEP_2) | instskip(NEXT) | instid1(VALU_DEP_2)
	v_cndmask_b32_e64 v43, 0, v41, s19
	v_bitop3_b32 v2, v2, 0xff0000, v3 bitop3:0xc8
	v_lshrrev_b32_e32 v3, 16, v30
	s_delay_alu instid0(VALU_DEP_3) | instskip(NEXT) | instid1(VALU_DEP_3)
	v_add_nc_u16 v42, v43, v11
	v_cmp_eq_u32_e64 s20, 0, v2
	s_delay_alu instid0(VALU_DEP_1)
	v_cndmask_b32_e64 v3, 1, v3, s20
	ds_store_b16 v44, v42
	ds_store_b8 v44, v3 offset:2
	s_wait_dscnt 0x0
	s_barrier_signal -1
	s_barrier_wait -1
	v_cmpx_gt_u32_e32 32, v0
	s_cbranch_execz .LBB239_280
; %bb.269:
	v_and_b32_e32 v2, 0xfc, v0
	v_lshlrev_b32_e32 v43, 5, v0
	s_mov_b32 s26, exec_lo
	s_delay_alu instid0(VALU_DEP_1)
	v_add_nc_u32_e32 v2, v2, v43
	ds_load_u8 v44, v2 offset:6
	ds_load_b32 v43, v2
	ds_load_u16 v45, v2 offset:4
	ds_load_u8 v46, v2 offset:10
	ds_load_u16 v47, v2 offset:8
	ds_load_u16 v48, v2 offset:12
	ds_load_u8 v49, v2 offset:14
	ds_load_u16 v50, v2 offset:16
	s_wait_dscnt 0x7
	v_cmp_eq_u16_e64 s20, 0, v44
	s_wait_dscnt 0x4
	s_delay_alu instid0(VALU_DEP_1) | instskip(SKIP_1) | instid1(VALU_DEP_2)
	v_dual_cndmask_b32 v51, 0, v43, s20 :: v_dual_bitop2_b32 v44, v46, v44 bitop3:0x54
	v_cmp_eq_u16_e64 s20, 0, v46
	v_add_nc_u16 v45, v51, v45
	ds_load_u8 v51, v2 offset:18
	v_cndmask_b32_e64 v45, 0, v45, s20
	s_wait_dscnt 0x2
	v_cmp_eq_u16_e64 s20, 0, v49
	s_delay_alu instid0(VALU_DEP_2) | instskip(SKIP_2) | instid1(VALU_DEP_1)
	v_add_nc_u16 v45, v45, v47
	ds_load_u8 v47, v2 offset:22
	v_cndmask_b32_e64 v45, 0, v45, s20
	v_add_nc_u16 v45, v45, v48
	ds_load_u16 v48, v2 offset:20
	ds_load_u16 v52, v2 offset:24
	ds_load_u8 v53, v2 offset:26
	ds_load_u16 v54, v2 offset:28
	ds_load_u8 v55, v2 offset:30
	s_wait_dscnt 0x6
	v_cmp_eq_u16_e64 s20, 0, v51
	v_bitop3_b16 v46, v44, v51, v49 bitop3:0xfe
	v_and_b32_e32 v44, 0x10000, v43
	s_delay_alu instid0(VALU_DEP_3)
	v_cndmask_b32_e64 v45, 0, v45, s20
	s_wait_dscnt 0x5
	v_cmp_eq_u16_e64 s20, 0, v47
	s_wait_dscnt 0x2
	v_bitop3_b16 v46, v46, v53, v47 bitop3:0xfe
	s_wait_dscnt 0x0
	v_and_b32_e32 v47, 1, v55
	v_add_nc_u16 v45, v45, v50
	s_delay_alu instid0(VALU_DEP_1) | instskip(SKIP_1) | instid1(VALU_DEP_2)
	v_cndmask_b32_e64 v45, 0, v45, s20
	v_cmp_eq_u16_e64 s20, 0, v53
	v_add_nc_u16 v45, v45, v48
	s_delay_alu instid0(VALU_DEP_1) | instskip(SKIP_1) | instid1(VALU_DEP_2)
	v_cndmask_b32_e64 v45, 0, v45, s20
	v_cmp_eq_u16_e64 s20, 0, v55
	;; [unrolled: 4-line block ×3, first 2 shown]
	v_add_nc_u16 v46, v45, v54
	s_delay_alu instid0(VALU_DEP_2) | instskip(SKIP_4) | instid1(VALU_DEP_4)
	v_cndmask_b32_e64 v48, 0x10000, v44, s20
	v_cmp_eq_u32_e64 s20, 1, v47
	v_and_b32_e32 v45, 0xff000000, v43
	v_mbcnt_lo_u32_b32 v47, -1, 0
	v_and_b32_e32 v49, 0xffff, v46
	v_cndmask_b32_e64 v48, v48, 0x10000, s20
	s_delay_alu instid0(VALU_DEP_1) | instskip(NEXT) | instid1(VALU_DEP_3)
	v_or_b32_e32 v50, v48, v45
	v_or3_b32 v51, v45, v49, v48
	s_delay_alu instid0(VALU_DEP_2) | instskip(NEXT) | instid1(VALU_DEP_2)
	v_dual_lshrrev_b32 v49, 16, v50 :: v_dual_bitop2_b32 v48, 15, v47 bitop3:0x40
	v_mov_b32_dpp v52, v51 row_shr:1 row_mask:0xf bank_mask:0xf
	s_delay_alu instid0(VALU_DEP_2)
	v_cmpx_ne_u32_e32 0, v48
	s_cbranch_execz .LBB239_271
; %bb.270:
	s_delay_alu instid0(VALU_DEP_2) | instskip(SKIP_1) | instid1(VALU_DEP_2)
	v_dual_lshrrev_b32 v49, 16, v50 :: v_dual_lshrrev_b32 v51, 16, v52
	v_and_b32_e32 v50, 0x10000, v50
	v_and_b32_e32 v49, 0xff, v49
	s_delay_alu instid0(VALU_DEP_1) | instskip(NEXT) | instid1(VALU_DEP_1)
	v_cmp_eq_u16_e64 s20, 0, v49
	v_dual_cndmask_b32 v52, 0, v52, s20 :: v_dual_bitop2_b32 v51, 1, v51 bitop3:0x40
	s_delay_alu instid0(VALU_DEP_4) | instskip(NEXT) | instid1(VALU_DEP_2)
	v_cmp_ne_u32_e64 s20, 0, v50
	v_add_nc_u16 v46, v52, v46
	s_delay_alu instid0(VALU_DEP_2) | instskip(NEXT) | instid1(VALU_DEP_2)
	v_cndmask_b32_e64 v49, v51, 1, s20
	v_and_b32_e32 v51, 0xffff, v46
	s_delay_alu instid0(VALU_DEP_2) | instskip(NEXT) | instid1(VALU_DEP_1)
	v_lshlrev_b32_e32 v50, 16, v49
	v_or3_b32 v51, v50, v51, v45
.LBB239_271:
	s_or_b32 exec_lo, exec_lo, s26
	s_delay_alu instid0(VALU_DEP_1)
	v_lshrrev_b32_e32 v50, 16, v51
	v_mov_b32_dpp v52, v51 row_shr:2 row_mask:0xf bank_mask:0xf
	s_mov_b32 s26, exec_lo
	v_cmpx_lt_u32_e32 1, v48
	s_cbranch_execz .LBB239_273
; %bb.272:
	v_and_b32_e32 v50, 0xff, v50
	v_and_b32_e32 v51, 0x10000, v51
	s_delay_alu instid0(VALU_DEP_2) | instskip(NEXT) | instid1(VALU_DEP_1)
	v_cmp_eq_u16_e64 s20, 0, v50
	v_dual_lshrrev_b32 v49, 16, v52 :: v_dual_cndmask_b32 v50, 0, v52, s20
	s_delay_alu instid0(VALU_DEP_1) | instskip(NEXT) | instid1(VALU_DEP_4)
	v_and_b32_e32 v49, 1, v49
	v_cmp_ne_u32_e64 s20, 0, v51
	s_delay_alu instid0(VALU_DEP_3) | instskip(NEXT) | instid1(VALU_DEP_2)
	v_add_nc_u16 v46, v50, v46
	v_cndmask_b32_e64 v49, v49, 1, s20
	s_delay_alu instid0(VALU_DEP_2) | instskip(NEXT) | instid1(VALU_DEP_2)
	v_and_b32_e32 v51, 0xffff, v46
	v_lshlrev_b32_e32 v50, 16, v49
	s_delay_alu instid0(VALU_DEP_1)
	v_or3_b32 v51, v50, v51, v45
	v_mov_b32_e32 v50, v49
.LBB239_273:
	s_or_b32 exec_lo, exec_lo, s26
	s_delay_alu instid0(VALU_DEP_2)
	v_mov_b32_dpp v52, v51 row_shr:4 row_mask:0xf bank_mask:0xf
	s_mov_b32 s26, exec_lo
	v_cmpx_lt_u32_e32 3, v48
	s_cbranch_execz .LBB239_275
; %bb.274:
	v_and_b32_e32 v51, 0xff, v50
	v_dual_lshrrev_b32 v49, 16, v52 :: v_dual_bitop2_b32 v50, 1, v50 bitop3:0x40
	s_delay_alu instid0(VALU_DEP_2) | instskip(NEXT) | instid1(VALU_DEP_1)
	v_cmp_eq_u16_e64 s20, 0, v51
	v_dual_cndmask_b32 v51, 0, v52, s20 :: v_dual_bitop2_b32 v49, 1, v49 bitop3:0x40
	s_delay_alu instid0(VALU_DEP_3) | instskip(NEXT) | instid1(VALU_DEP_2)
	v_cmp_eq_u32_e64 s20, 1, v50
	v_add_nc_u16 v46, v51, v46
	s_delay_alu instid0(VALU_DEP_2) | instskip(NEXT) | instid1(VALU_DEP_2)
	v_cndmask_b32_e64 v49, v49, 1, s20
	v_and_b32_e32 v51, 0xffff, v46
	s_delay_alu instid0(VALU_DEP_2) | instskip(NEXT) | instid1(VALU_DEP_1)
	v_lshlrev_b32_e32 v50, 16, v49
	v_or3_b32 v51, v50, v51, v45
	v_mov_b32_e32 v50, v49
.LBB239_275:
	s_or_b32 exec_lo, exec_lo, s26
	s_delay_alu instid0(VALU_DEP_2)
	v_mov_b32_dpp v52, v51 row_shr:8 row_mask:0xf bank_mask:0xf
	s_mov_b32 s26, exec_lo
	v_cmpx_lt_u32_e32 7, v48
	s_cbranch_execz .LBB239_277
; %bb.276:
	v_and_b32_e32 v49, 0xff, v50
	v_dual_lshrrev_b32 v48, 16, v52 :: v_dual_bitop2_b32 v50, 1, v50 bitop3:0x40
	s_delay_alu instid0(VALU_DEP_2) | instskip(NEXT) | instid1(VALU_DEP_2)
	v_cmp_eq_u16_e64 s20, 0, v49
	v_and_b32_e32 v48, 1, v48
	s_delay_alu instid0(VALU_DEP_2) | instskip(NEXT) | instid1(VALU_DEP_4)
	v_cndmask_b32_e64 v51, 0, v52, s20
	v_cmp_eq_u32_e64 s20, 1, v50
	s_delay_alu instid0(VALU_DEP_1) | instskip(NEXT) | instid1(VALU_DEP_1)
	v_cndmask_b32_e64 v49, v48, 1, s20
	v_lshlrev_b32_e32 v48, 16, v49
	s_delay_alu instid0(VALU_DEP_4) | instskip(NEXT) | instid1(VALU_DEP_1)
	v_add_nc_u16 v46, v51, v46
	v_and_b32_e32 v50, 0xffff, v46
	s_delay_alu instid0(VALU_DEP_1)
	v_or3_b32 v51, v48, v50, v45
	v_mov_b32_e32 v50, v49
.LBB239_277:
	s_or_b32 exec_lo, exec_lo, s26
	ds_swizzle_b32 v48, v51 offset:swizzle(BROADCAST,32,15)
	v_and_b32_e32 v51, 16, v47
	s_mov_b32 s26, exec_lo
	s_delay_alu instid0(VALU_DEP_1)
	v_cmpx_ne_u32_e32 0, v51
	s_cbranch_execz .LBB239_279
; %bb.278:
	v_and_b32_e32 v49, 0xff, v50
	s_delay_alu instid0(VALU_DEP_1) | instskip(SKIP_2) | instid1(VALU_DEP_1)
	v_cmp_eq_u16_e64 s20, 0, v49
	s_wait_dscnt 0x0
	v_dual_lshrrev_b32 v51, 16, v48 :: v_dual_bitop2_b32 v49, 1, v50 bitop3:0x40
	v_dual_cndmask_b32 v48, 0, v48, s20 :: v_dual_bitop2_b32 v50, 1, v51 bitop3:0x40
	s_delay_alu instid0(VALU_DEP_2) | instskip(NEXT) | instid1(VALU_DEP_2)
	v_cmp_eq_u32_e64 s20, 1, v49
	v_add_nc_u16 v46, v48, v46
	s_delay_alu instid0(VALU_DEP_2)
	v_cndmask_b32_e64 v49, v50, 1, s20
.LBB239_279:
	s_or_b32 exec_lo, exec_lo, s26
	s_wait_dscnt 0x0
	s_delay_alu instid0(VALU_DEP_1) | instskip(SKIP_2) | instid1(VALU_DEP_3)
	v_and_b32_e32 v48, 0xff, v49
	v_add_nc_u32_e32 v49, -1, v47
	v_and_b32_e32 v46, 0xffff, v46
	; wave barrier
	v_lshlrev_b32_e32 v48, 16, v48
	s_delay_alu instid0(VALU_DEP_3) | instskip(NEXT) | instid1(VALU_DEP_2)
	v_cmp_gt_i32_e64 s20, 0, v49
	v_or3_b32 v45, v48, v46, v45
	s_delay_alu instid0(VALU_DEP_2) | instskip(NEXT) | instid1(VALU_DEP_1)
	v_cndmask_b32_e64 v47, v49, v47, s20
	v_lshlrev_b32_e32 v46, 2, v47
	ds_bpermute_b32 v45, v46, v45
	v_and_b32_e32 v46, 0xff0000, v43
	s_delay_alu instid0(VALU_DEP_1) | instskip(SKIP_1) | instid1(VALU_DEP_1)
	v_cmp_eq_u32_e64 s20, 0, v46
	s_wait_dscnt 0x0
	v_dual_lshrrev_b32 v47, 16, v45 :: v_dual_cndmask_b32 v45, 0, v45, s20
	v_cmp_eq_u32_e64 s20, 0, v44
	s_delay_alu instid0(VALU_DEP_2) | instskip(NEXT) | instid1(VALU_DEP_1)
	v_add_nc_u16 v43, v45, v43
	v_dual_cndmask_b32 v43, v43, v42, vcc_lo :: v_dual_bitop2_b32 v46, 1, v47 bitop3:0x40
	s_delay_alu instid0(VALU_DEP_1) | instskip(NEXT) | instid1(VALU_DEP_1)
	v_cndmask_b32_e64 v44, 1, v46, s20
	v_cndmask_b32_e32 v3, v44, v3, vcc_lo
	ds_store_b16 v2, v43
	ds_store_b8 v2, v3 offset:2
	; wave barrier
	ds_load_u8 v44, v2 offset:6
	ds_load_u16 v45, v2 offset:4
	ds_load_u8 v46, v2 offset:10
	ds_load_u16 v47, v2 offset:8
	ds_load_u16 v48, v2 offset:12
	ds_load_u8 v49, v2 offset:14
	ds_load_u16 v50, v2 offset:16
	ds_load_u8 v51, v2 offset:18
	s_wait_dscnt 0x7
	v_cmp_eq_u16_e64 s20, 0, v44
	s_delay_alu instid0(VALU_DEP_1) | instskip(SKIP_3) | instid1(VALU_DEP_3)
	v_dual_cndmask_b32 v43, 0, v43, s20 :: v_dual_bitop2_b32 v44, 1, v44 bitop3:0x40
	s_wait_dscnt 0x5
	v_cmp_eq_u16_e64 s20, 0, v46
	v_and_b32_e32 v46, 1, v46
	v_add_nc_u16 v43, v43, v45
	s_delay_alu instid0(VALU_DEP_1) | instskip(SKIP_2) | instid1(VALU_DEP_2)
	v_cndmask_b32_e64 v45, 0, v43, s20
	s_wait_dscnt 0x2
	v_cmp_eq_u16_e64 s20, 0, v49
	v_add_nc_u16 v45, v45, v47
	ds_load_u8 v47, v2 offset:22
	ds_load_u16 v53, v2 offset:20
	ds_load_u8 v54, v2 offset:26
	ds_load_u8 v55, v2 offset:30
	v_cndmask_b32_e64 v52, 0, v45, s20
	v_cmp_eq_u32_e64 s20, 1, v44
	v_and_b32_e32 v44, 1, v49
	s_delay_alu instid0(VALU_DEP_3) | instskip(NEXT) | instid1(VALU_DEP_3)
	v_add_nc_u16 v48, v52, v48
	v_cndmask_b32_e64 v3, v3, 1, s20
	s_wait_dscnt 0x4
	v_cmp_eq_u16_e64 s20, 0, v51
	ds_load_u16 v52, v2 offset:24
	ds_load_u16 v56, v2 offset:28
	v_cndmask_b32_e64 v49, 0, v48, s20
	v_cmp_eq_u32_e64 s20, 1, v46
	s_delay_alu instid0(VALU_DEP_2) | instskip(NEXT) | instid1(VALU_DEP_2)
	v_add_nc_u16 v49, v49, v50
	v_cndmask_b32_e64 v46, v3, 1, s20
	v_cmp_eq_u32_e64 s20, 1, v44
	v_and_b32_e32 v50, 1, v51
	s_wait_dscnt 0x2
	v_and_b32_e32 v57, 1, v55
	s_delay_alu instid0(VALU_DEP_3) | instskip(SKIP_1) | instid1(VALU_DEP_1)
	v_cndmask_b32_e64 v44, v46, 1, s20
	v_cmp_eq_u16_e64 s20, 0, v47
	v_dual_cndmask_b32 v51, 0, v49, s20 :: v_dual_bitop2_b32 v47, 1, v47 bitop3:0x40
	v_cmp_eq_u32_e64 s20, 1, v50
	s_delay_alu instid0(VALU_DEP_2) | instskip(NEXT) | instid1(VALU_DEP_2)
	v_add_nc_u16 v51, v51, v53
	v_cndmask_b32_e64 v50, v44, 1, s20
	s_delay_alu instid0(VALU_DEP_4)
	v_cmp_eq_u32_e64 s20, 1, v47
	v_and_b32_e32 v53, 1, v54
	ds_store_b16 v2, v43 offset:4
	ds_store_b8 v2, v3 offset:6
	ds_store_b16 v2, v45 offset:8
	ds_store_b8 v2, v46 offset:10
	;; [unrolled: 2-line block ×4, first 2 shown]
	v_cndmask_b32_e64 v47, v50, 1, s20
	v_cmp_eq_u16_e64 s20, 0, v54
	s_delay_alu instid0(VALU_DEP_1) | instskip(SKIP_2) | instid1(VALU_DEP_2)
	v_cndmask_b32_e64 v54, 0, v51, s20
	v_cmp_eq_u32_e64 s20, 1, v53
	s_wait_dscnt 0x9
	v_add_nc_u16 v52, v54, v52
	s_delay_alu instid0(VALU_DEP_2) | instskip(SKIP_1) | instid1(VALU_DEP_1)
	v_cndmask_b32_e64 v53, v47, 1, s20
	v_cmp_eq_u32_e64 s20, 1, v57
	v_cndmask_b32_e64 v54, v53, 1, s20
	v_cmp_eq_u16_e64 s20, 0, v55
	s_delay_alu instid0(VALU_DEP_1) | instskip(SKIP_1) | instid1(VALU_DEP_1)
	v_cndmask_b32_e64 v55, 0, v52, s20
	s_wait_dscnt 0x8
	v_add_nc_u16 v3, v55, v56
	ds_store_b16 v2, v51 offset:20
	ds_store_b8 v2, v47 offset:22
	ds_store_b16 v2, v52 offset:24
	ds_store_b8 v2, v53 offset:26
	;; [unrolled: 2-line block ×3, first 2 shown]
.LBB239_280:
	s_or_b32 exec_lo, exec_lo, s21
	s_wait_dscnt 0x0
	s_barrier_signal -1
	s_barrier_wait -1
	s_and_saveexec_b32 s20, s0
	s_cbranch_execz .LBB239_282
; %bb.281:
	v_add_nc_u32_e32 v2, -1, v0
	v_cmp_gt_u32_e64 s0, 0x10000, v30
	s_delay_alu instid0(VALU_DEP_2) | instskip(NEXT) | instid1(VALU_DEP_1)
	v_lshrrev_b32_e32 v3, 3, v2
	v_and_b32_e32 v3, 0x1ffffffc, v3
	s_delay_alu instid0(VALU_DEP_1) | instskip(SKIP_4) | instid1(VALU_DEP_1)
	v_lshl_add_u32 v2, v2, 2, v3
	ds_load_u16 v2, v2
	;;#ASMSTART
	;;#ASMEND
	s_wait_dscnt 0x0
	v_cndmask_b32_e64 v2, 0, v2, s0
	v_add_nc_u32_e32 v30, v2, v30
	s_delay_alu instid0(VALU_DEP_1) | instskip(NEXT) | instid1(VALU_DEP_1)
	v_cndmask_b32_e64 v2, 0, v30, s1
	v_add_nc_u16 v4, v2, v33
	s_delay_alu instid0(VALU_DEP_1) | instskip(NEXT) | instid1(VALU_DEP_1)
	v_cndmask_b32_e64 v2, 0, v4, s2
	v_add_nc_u16 v5, v2, v32
	s_delay_alu instid0(VALU_DEP_1) | instskip(NEXT) | instid1(VALU_DEP_1)
	v_cndmask_b32_e64 v2, 0, v5, s3
	v_add_nc_u16 v6, v2, v31
	s_delay_alu instid0(VALU_DEP_1) | instskip(NEXT) | instid1(VALU_DEP_1)
	v_cndmask_b32_e64 v2, 0, v6, s4
	v_add_nc_u16 v7, v2, v29
	s_delay_alu instid0(VALU_DEP_1) | instskip(NEXT) | instid1(VALU_DEP_1)
	v_cndmask_b32_e64 v2, 0, v7, s5
	v_add_nc_u16 v8, v2, v28
	s_delay_alu instid0(VALU_DEP_1) | instskip(NEXT) | instid1(VALU_DEP_1)
	v_cndmask_b32_e64 v2, 0, v8, s6
	v_add_nc_u16 v9, v2, v27
	s_delay_alu instid0(VALU_DEP_1) | instskip(NEXT) | instid1(VALU_DEP_1)
	v_cndmask_b32_e64 v2, 0, v9, s7
	v_add_nc_u16 v13, v2, v26
	s_delay_alu instid0(VALU_DEP_1) | instskip(NEXT) | instid1(VALU_DEP_1)
	v_cndmask_b32_e64 v2, 0, v13, s8
	v_add_nc_u16 v12, v2, v25
	s_delay_alu instid0(VALU_DEP_1) | instskip(NEXT) | instid1(VALU_DEP_1)
	v_cndmask_b32_e64 v2, 0, v12, s9
	v_add_nc_u16 v14, v2, v24
	s_delay_alu instid0(VALU_DEP_1) | instskip(NEXT) | instid1(VALU_DEP_1)
	v_cndmask_b32_e64 v2, 0, v14, s10
	v_add_nc_u16 v15, v2, v23
	s_delay_alu instid0(VALU_DEP_1) | instskip(NEXT) | instid1(VALU_DEP_1)
	v_cndmask_b32_e64 v2, 0, v15, s11
	v_add_nc_u16 v34, v2, v22
	s_delay_alu instid0(VALU_DEP_1) | instskip(NEXT) | instid1(VALU_DEP_1)
	v_cndmask_b32_e64 v2, 0, v34, s12
	v_add_nc_u16 v35, v2, v21
	s_delay_alu instid0(VALU_DEP_1) | instskip(NEXT) | instid1(VALU_DEP_1)
	v_cndmask_b32_e64 v2, 0, v35, s13
	v_add_nc_u16 v36, v2, v20
	s_delay_alu instid0(VALU_DEP_1) | instskip(NEXT) | instid1(VALU_DEP_1)
	v_cndmask_b32_e64 v2, 0, v36, s14
	v_add_nc_u16 v37, v2, v19
	s_delay_alu instid0(VALU_DEP_1) | instskip(NEXT) | instid1(VALU_DEP_1)
	v_cndmask_b32_e64 v2, 0, v37, s15
	v_add_nc_u16 v39, v2, v18
	s_delay_alu instid0(VALU_DEP_1) | instskip(NEXT) | instid1(VALU_DEP_1)
	v_cndmask_b32_e64 v2, 0, v39, s16
	v_add_nc_u16 v38, v2, v17
	s_delay_alu instid0(VALU_DEP_1) | instskip(NEXT) | instid1(VALU_DEP_1)
	v_cndmask_b32_e64 v2, 0, v38, s17
	v_add_nc_u16 v40, v2, v16
	s_delay_alu instid0(VALU_DEP_1) | instskip(NEXT) | instid1(VALU_DEP_1)
	v_cndmask_b32_e64 v2, 0, v40, s18
	v_add_nc_u16 v41, v2, v1
	s_delay_alu instid0(VALU_DEP_1) | instskip(NEXT) | instid1(VALU_DEP_1)
	v_cndmask_b32_e64 v1, 0, v41, s19
	v_add_nc_u16 v42, v1, v11
.LBB239_282:
	s_or_b32 exec_lo, exec_lo, s20
	s_and_saveexec_b32 s0, vcc_lo
	s_cbranch_execz .LBB239_284
; %bb.283:
	v_mov_b32_e32 v1, 0
	ds_load_u8 v2, v1 offset:1050
	ds_load_u16 v3, v1 offset:1048
	s_wait_dscnt 0x1
	v_lshlrev_b32_e32 v2, 16, v2
	s_wait_dscnt 0x0
	v_and_b32_e32 v3, 0xffff, v3
	s_delay_alu instid0(VALU_DEP_1)
	v_dual_mov_b32 v3, 2 :: v_dual_bitop2_b32 v2, v2, v3 bitop3:0x54
	global_store_b64 v1, v[2:3], s[36:37] offset:256 scope:SCOPE_DEV
.LBB239_284:
	s_wait_xcnt 0x0
	s_or_b32 exec_lo, exec_lo, s0
	v_mov_b32_e32 v47, v30
	s_add_nc_u64 s[0:1], s[22:23], s[34:35]
	s_and_b32 vcc_lo, exec_lo, s29
	s_add_nc_u64 s[0:1], s[0:1], s[24:25]
	s_cbranch_vccnz .LBB239_190
.LBB239_285:
	s_mov_b32 s2, 0
                                        ; implicit-def: $vgpr1
	s_cbranch_execz .LBB239_287
; %bb.286:
	s_wait_dscnt 0x0
	v_mul_u32_u24_e32 v1, 40, v0
	v_perm_b32 v3, v13, v9, 0x5040100
	v_perm_b32 v2, v8, v7, 0x5040100
	;; [unrolled: 1-line block ×5, first 2 shown]
	v_mul_i32_i24_e32 v12, 0xffffffda, v0
	v_perm_b32 v7, v39, v37, 0x5040100
	v_perm_b32 v6, v36, v35, 0x5040100
	;; [unrolled: 1-line block ×5, first 2 shown]
	s_wait_storecnt 0x0
	s_barrier_signal -1
	s_barrier_wait -1
	ds_store_2addr_b64 v1, v[4:5], v[2:3] offset1:1
	ds_store_2addr_b64 v1, v[8:9], v[6:7] offset0:2 offset1:3
	ds_store_b64 v1, v[10:11] offset:32
	v_mad_u32_u24 v1, v0, 40, v12
	s_wait_dscnt 0x0
	s_barrier_signal -1
	s_barrier_wait -1
	ds_load_u16 v2, v1
	ds_load_u16 v3, v1 offset:512
	ds_load_u16 v4, v1 offset:1024
	;; [unrolled: 1-line block ×19, first 2 shown]
	s_or_b32 s2, s2, exec_lo
	s_wait_dscnt 0x13
	flat_store_b16 v0, v2, s[0:1] scale_offset
	s_wait_dscnt 0x13
	flat_store_b16 v0, v3, s[0:1] offset:512 scale_offset
	s_wait_dscnt 0x13
	flat_store_b16 v0, v4, s[0:1] offset:1024 scale_offset
	;; [unrolled: 2-line block ×18, first 2 shown]
.LBB239_287:
	s_wait_xcnt 0x0
	s_delay_alu instid0(VALU_DEP_1)
	s_and_saveexec_b32 s3, s2
	s_cbranch_execnz .LBB239_289
; %bb.288:
	s_endpgm
.LBB239_289:
	s_wait_dscnt 0x0
	flat_store_b16 v0, v1, s[0:1] offset:9728 scale_offset
	s_endpgm
	.section	.rodata,"a",@progbits
	.p2align	6, 0x0
	.amdhsa_kernel _ZN7rocprim17ROCPRIM_400000_NS6detail17trampoline_kernelINS0_14default_configENS1_27scan_by_key_config_selectorIssEEZZNS1_16scan_by_key_implILNS1_25lookback_scan_determinismE0ELb0ES3_N6thrust23THRUST_200600_302600_NS6detail15normal_iteratorINS9_10device_ptrIsEEEESE_SE_sNS9_4plusIvEENS9_8equal_toIvEEsEE10hipError_tPvRmT2_T3_T4_T5_mT6_T7_P12ihipStream_tbENKUlT_T0_E_clISt17integral_constantIbLb0EESZ_EEDaSU_SV_EUlSU_E_NS1_11comp_targetILNS1_3genE0ELNS1_11target_archE4294967295ELNS1_3gpuE0ELNS1_3repE0EEENS1_30default_config_static_selectorELNS0_4arch9wavefront6targetE0EEEvT1_
		.amdhsa_group_segment_fixed_size 11264
		.amdhsa_private_segment_fixed_size 0
		.amdhsa_kernarg_size 112
		.amdhsa_user_sgpr_count 2
		.amdhsa_user_sgpr_dispatch_ptr 0
		.amdhsa_user_sgpr_queue_ptr 0
		.amdhsa_user_sgpr_kernarg_segment_ptr 1
		.amdhsa_user_sgpr_dispatch_id 0
		.amdhsa_user_sgpr_kernarg_preload_length 0
		.amdhsa_user_sgpr_kernarg_preload_offset 0
		.amdhsa_user_sgpr_private_segment_size 0
		.amdhsa_wavefront_size32 1
		.amdhsa_uses_dynamic_stack 0
		.amdhsa_enable_private_segment 0
		.amdhsa_system_sgpr_workgroup_id_x 1
		.amdhsa_system_sgpr_workgroup_id_y 0
		.amdhsa_system_sgpr_workgroup_id_z 0
		.amdhsa_system_sgpr_workgroup_info 0
		.amdhsa_system_vgpr_workitem_id 0
		.amdhsa_next_free_vgpr 58
		.amdhsa_next_free_sgpr 50
		.amdhsa_named_barrier_count 0
		.amdhsa_reserve_vcc 1
		.amdhsa_float_round_mode_32 0
		.amdhsa_float_round_mode_16_64 0
		.amdhsa_float_denorm_mode_32 3
		.amdhsa_float_denorm_mode_16_64 3
		.amdhsa_fp16_overflow 0
		.amdhsa_memory_ordered 1
		.amdhsa_forward_progress 1
		.amdhsa_inst_pref_size 149
		.amdhsa_round_robin_scheduling 0
		.amdhsa_exception_fp_ieee_invalid_op 0
		.amdhsa_exception_fp_denorm_src 0
		.amdhsa_exception_fp_ieee_div_zero 0
		.amdhsa_exception_fp_ieee_overflow 0
		.amdhsa_exception_fp_ieee_underflow 0
		.amdhsa_exception_fp_ieee_inexact 0
		.amdhsa_exception_int_div_zero 0
	.end_amdhsa_kernel
	.section	.text._ZN7rocprim17ROCPRIM_400000_NS6detail17trampoline_kernelINS0_14default_configENS1_27scan_by_key_config_selectorIssEEZZNS1_16scan_by_key_implILNS1_25lookback_scan_determinismE0ELb0ES3_N6thrust23THRUST_200600_302600_NS6detail15normal_iteratorINS9_10device_ptrIsEEEESE_SE_sNS9_4plusIvEENS9_8equal_toIvEEsEE10hipError_tPvRmT2_T3_T4_T5_mT6_T7_P12ihipStream_tbENKUlT_T0_E_clISt17integral_constantIbLb0EESZ_EEDaSU_SV_EUlSU_E_NS1_11comp_targetILNS1_3genE0ELNS1_11target_archE4294967295ELNS1_3gpuE0ELNS1_3repE0EEENS1_30default_config_static_selectorELNS0_4arch9wavefront6targetE0EEEvT1_,"axG",@progbits,_ZN7rocprim17ROCPRIM_400000_NS6detail17trampoline_kernelINS0_14default_configENS1_27scan_by_key_config_selectorIssEEZZNS1_16scan_by_key_implILNS1_25lookback_scan_determinismE0ELb0ES3_N6thrust23THRUST_200600_302600_NS6detail15normal_iteratorINS9_10device_ptrIsEEEESE_SE_sNS9_4plusIvEENS9_8equal_toIvEEsEE10hipError_tPvRmT2_T3_T4_T5_mT6_T7_P12ihipStream_tbENKUlT_T0_E_clISt17integral_constantIbLb0EESZ_EEDaSU_SV_EUlSU_E_NS1_11comp_targetILNS1_3genE0ELNS1_11target_archE4294967295ELNS1_3gpuE0ELNS1_3repE0EEENS1_30default_config_static_selectorELNS0_4arch9wavefront6targetE0EEEvT1_,comdat
.Lfunc_end239:
	.size	_ZN7rocprim17ROCPRIM_400000_NS6detail17trampoline_kernelINS0_14default_configENS1_27scan_by_key_config_selectorIssEEZZNS1_16scan_by_key_implILNS1_25lookback_scan_determinismE0ELb0ES3_N6thrust23THRUST_200600_302600_NS6detail15normal_iteratorINS9_10device_ptrIsEEEESE_SE_sNS9_4plusIvEENS9_8equal_toIvEEsEE10hipError_tPvRmT2_T3_T4_T5_mT6_T7_P12ihipStream_tbENKUlT_T0_E_clISt17integral_constantIbLb0EESZ_EEDaSU_SV_EUlSU_E_NS1_11comp_targetILNS1_3genE0ELNS1_11target_archE4294967295ELNS1_3gpuE0ELNS1_3repE0EEENS1_30default_config_static_selectorELNS0_4arch9wavefront6targetE0EEEvT1_, .Lfunc_end239-_ZN7rocprim17ROCPRIM_400000_NS6detail17trampoline_kernelINS0_14default_configENS1_27scan_by_key_config_selectorIssEEZZNS1_16scan_by_key_implILNS1_25lookback_scan_determinismE0ELb0ES3_N6thrust23THRUST_200600_302600_NS6detail15normal_iteratorINS9_10device_ptrIsEEEESE_SE_sNS9_4plusIvEENS9_8equal_toIvEEsEE10hipError_tPvRmT2_T3_T4_T5_mT6_T7_P12ihipStream_tbENKUlT_T0_E_clISt17integral_constantIbLb0EESZ_EEDaSU_SV_EUlSU_E_NS1_11comp_targetILNS1_3genE0ELNS1_11target_archE4294967295ELNS1_3gpuE0ELNS1_3repE0EEENS1_30default_config_static_selectorELNS0_4arch9wavefront6targetE0EEEvT1_
                                        ; -- End function
	.set _ZN7rocprim17ROCPRIM_400000_NS6detail17trampoline_kernelINS0_14default_configENS1_27scan_by_key_config_selectorIssEEZZNS1_16scan_by_key_implILNS1_25lookback_scan_determinismE0ELb0ES3_N6thrust23THRUST_200600_302600_NS6detail15normal_iteratorINS9_10device_ptrIsEEEESE_SE_sNS9_4plusIvEENS9_8equal_toIvEEsEE10hipError_tPvRmT2_T3_T4_T5_mT6_T7_P12ihipStream_tbENKUlT_T0_E_clISt17integral_constantIbLb0EESZ_EEDaSU_SV_EUlSU_E_NS1_11comp_targetILNS1_3genE0ELNS1_11target_archE4294967295ELNS1_3gpuE0ELNS1_3repE0EEENS1_30default_config_static_selectorELNS0_4arch9wavefront6targetE0EEEvT1_.num_vgpr, 58
	.set _ZN7rocprim17ROCPRIM_400000_NS6detail17trampoline_kernelINS0_14default_configENS1_27scan_by_key_config_selectorIssEEZZNS1_16scan_by_key_implILNS1_25lookback_scan_determinismE0ELb0ES3_N6thrust23THRUST_200600_302600_NS6detail15normal_iteratorINS9_10device_ptrIsEEEESE_SE_sNS9_4plusIvEENS9_8equal_toIvEEsEE10hipError_tPvRmT2_T3_T4_T5_mT6_T7_P12ihipStream_tbENKUlT_T0_E_clISt17integral_constantIbLb0EESZ_EEDaSU_SV_EUlSU_E_NS1_11comp_targetILNS1_3genE0ELNS1_11target_archE4294967295ELNS1_3gpuE0ELNS1_3repE0EEENS1_30default_config_static_selectorELNS0_4arch9wavefront6targetE0EEEvT1_.num_agpr, 0
	.set _ZN7rocprim17ROCPRIM_400000_NS6detail17trampoline_kernelINS0_14default_configENS1_27scan_by_key_config_selectorIssEEZZNS1_16scan_by_key_implILNS1_25lookback_scan_determinismE0ELb0ES3_N6thrust23THRUST_200600_302600_NS6detail15normal_iteratorINS9_10device_ptrIsEEEESE_SE_sNS9_4plusIvEENS9_8equal_toIvEEsEE10hipError_tPvRmT2_T3_T4_T5_mT6_T7_P12ihipStream_tbENKUlT_T0_E_clISt17integral_constantIbLb0EESZ_EEDaSU_SV_EUlSU_E_NS1_11comp_targetILNS1_3genE0ELNS1_11target_archE4294967295ELNS1_3gpuE0ELNS1_3repE0EEENS1_30default_config_static_selectorELNS0_4arch9wavefront6targetE0EEEvT1_.numbered_sgpr, 50
	.set _ZN7rocprim17ROCPRIM_400000_NS6detail17trampoline_kernelINS0_14default_configENS1_27scan_by_key_config_selectorIssEEZZNS1_16scan_by_key_implILNS1_25lookback_scan_determinismE0ELb0ES3_N6thrust23THRUST_200600_302600_NS6detail15normal_iteratorINS9_10device_ptrIsEEEESE_SE_sNS9_4plusIvEENS9_8equal_toIvEEsEE10hipError_tPvRmT2_T3_T4_T5_mT6_T7_P12ihipStream_tbENKUlT_T0_E_clISt17integral_constantIbLb0EESZ_EEDaSU_SV_EUlSU_E_NS1_11comp_targetILNS1_3genE0ELNS1_11target_archE4294967295ELNS1_3gpuE0ELNS1_3repE0EEENS1_30default_config_static_selectorELNS0_4arch9wavefront6targetE0EEEvT1_.num_named_barrier, 0
	.set _ZN7rocprim17ROCPRIM_400000_NS6detail17trampoline_kernelINS0_14default_configENS1_27scan_by_key_config_selectorIssEEZZNS1_16scan_by_key_implILNS1_25lookback_scan_determinismE0ELb0ES3_N6thrust23THRUST_200600_302600_NS6detail15normal_iteratorINS9_10device_ptrIsEEEESE_SE_sNS9_4plusIvEENS9_8equal_toIvEEsEE10hipError_tPvRmT2_T3_T4_T5_mT6_T7_P12ihipStream_tbENKUlT_T0_E_clISt17integral_constantIbLb0EESZ_EEDaSU_SV_EUlSU_E_NS1_11comp_targetILNS1_3genE0ELNS1_11target_archE4294967295ELNS1_3gpuE0ELNS1_3repE0EEENS1_30default_config_static_selectorELNS0_4arch9wavefront6targetE0EEEvT1_.private_seg_size, 0
	.set _ZN7rocprim17ROCPRIM_400000_NS6detail17trampoline_kernelINS0_14default_configENS1_27scan_by_key_config_selectorIssEEZZNS1_16scan_by_key_implILNS1_25lookback_scan_determinismE0ELb0ES3_N6thrust23THRUST_200600_302600_NS6detail15normal_iteratorINS9_10device_ptrIsEEEESE_SE_sNS9_4plusIvEENS9_8equal_toIvEEsEE10hipError_tPvRmT2_T3_T4_T5_mT6_T7_P12ihipStream_tbENKUlT_T0_E_clISt17integral_constantIbLb0EESZ_EEDaSU_SV_EUlSU_E_NS1_11comp_targetILNS1_3genE0ELNS1_11target_archE4294967295ELNS1_3gpuE0ELNS1_3repE0EEENS1_30default_config_static_selectorELNS0_4arch9wavefront6targetE0EEEvT1_.uses_vcc, 1
	.set _ZN7rocprim17ROCPRIM_400000_NS6detail17trampoline_kernelINS0_14default_configENS1_27scan_by_key_config_selectorIssEEZZNS1_16scan_by_key_implILNS1_25lookback_scan_determinismE0ELb0ES3_N6thrust23THRUST_200600_302600_NS6detail15normal_iteratorINS9_10device_ptrIsEEEESE_SE_sNS9_4plusIvEENS9_8equal_toIvEEsEE10hipError_tPvRmT2_T3_T4_T5_mT6_T7_P12ihipStream_tbENKUlT_T0_E_clISt17integral_constantIbLb0EESZ_EEDaSU_SV_EUlSU_E_NS1_11comp_targetILNS1_3genE0ELNS1_11target_archE4294967295ELNS1_3gpuE0ELNS1_3repE0EEENS1_30default_config_static_selectorELNS0_4arch9wavefront6targetE0EEEvT1_.uses_flat_scratch, 1
	.set _ZN7rocprim17ROCPRIM_400000_NS6detail17trampoline_kernelINS0_14default_configENS1_27scan_by_key_config_selectorIssEEZZNS1_16scan_by_key_implILNS1_25lookback_scan_determinismE0ELb0ES3_N6thrust23THRUST_200600_302600_NS6detail15normal_iteratorINS9_10device_ptrIsEEEESE_SE_sNS9_4plusIvEENS9_8equal_toIvEEsEE10hipError_tPvRmT2_T3_T4_T5_mT6_T7_P12ihipStream_tbENKUlT_T0_E_clISt17integral_constantIbLb0EESZ_EEDaSU_SV_EUlSU_E_NS1_11comp_targetILNS1_3genE0ELNS1_11target_archE4294967295ELNS1_3gpuE0ELNS1_3repE0EEENS1_30default_config_static_selectorELNS0_4arch9wavefront6targetE0EEEvT1_.has_dyn_sized_stack, 0
	.set _ZN7rocprim17ROCPRIM_400000_NS6detail17trampoline_kernelINS0_14default_configENS1_27scan_by_key_config_selectorIssEEZZNS1_16scan_by_key_implILNS1_25lookback_scan_determinismE0ELb0ES3_N6thrust23THRUST_200600_302600_NS6detail15normal_iteratorINS9_10device_ptrIsEEEESE_SE_sNS9_4plusIvEENS9_8equal_toIvEEsEE10hipError_tPvRmT2_T3_T4_T5_mT6_T7_P12ihipStream_tbENKUlT_T0_E_clISt17integral_constantIbLb0EESZ_EEDaSU_SV_EUlSU_E_NS1_11comp_targetILNS1_3genE0ELNS1_11target_archE4294967295ELNS1_3gpuE0ELNS1_3repE0EEENS1_30default_config_static_selectorELNS0_4arch9wavefront6targetE0EEEvT1_.has_recursion, 0
	.set _ZN7rocprim17ROCPRIM_400000_NS6detail17trampoline_kernelINS0_14default_configENS1_27scan_by_key_config_selectorIssEEZZNS1_16scan_by_key_implILNS1_25lookback_scan_determinismE0ELb0ES3_N6thrust23THRUST_200600_302600_NS6detail15normal_iteratorINS9_10device_ptrIsEEEESE_SE_sNS9_4plusIvEENS9_8equal_toIvEEsEE10hipError_tPvRmT2_T3_T4_T5_mT6_T7_P12ihipStream_tbENKUlT_T0_E_clISt17integral_constantIbLb0EESZ_EEDaSU_SV_EUlSU_E_NS1_11comp_targetILNS1_3genE0ELNS1_11target_archE4294967295ELNS1_3gpuE0ELNS1_3repE0EEENS1_30default_config_static_selectorELNS0_4arch9wavefront6targetE0EEEvT1_.has_indirect_call, 0
	.section	.AMDGPU.csdata,"",@progbits
; Kernel info:
; codeLenInByte = 18968
; TotalNumSgprs: 52
; NumVgprs: 58
; ScratchSize: 0
; MemoryBound: 0
; FloatMode: 240
; IeeeMode: 1
; LDSByteSize: 11264 bytes/workgroup (compile time only)
; SGPRBlocks: 0
; VGPRBlocks: 3
; NumSGPRsForWavesPerEU: 52
; NumVGPRsForWavesPerEU: 58
; NamedBarCnt: 0
; Occupancy: 16
; WaveLimiterHint : 1
; COMPUTE_PGM_RSRC2:SCRATCH_EN: 0
; COMPUTE_PGM_RSRC2:USER_SGPR: 2
; COMPUTE_PGM_RSRC2:TRAP_HANDLER: 0
; COMPUTE_PGM_RSRC2:TGID_X_EN: 1
; COMPUTE_PGM_RSRC2:TGID_Y_EN: 0
; COMPUTE_PGM_RSRC2:TGID_Z_EN: 0
; COMPUTE_PGM_RSRC2:TIDIG_COMP_CNT: 0
	.section	.text._ZN7rocprim17ROCPRIM_400000_NS6detail17trampoline_kernelINS0_14default_configENS1_27scan_by_key_config_selectorIssEEZZNS1_16scan_by_key_implILNS1_25lookback_scan_determinismE0ELb0ES3_N6thrust23THRUST_200600_302600_NS6detail15normal_iteratorINS9_10device_ptrIsEEEESE_SE_sNS9_4plusIvEENS9_8equal_toIvEEsEE10hipError_tPvRmT2_T3_T4_T5_mT6_T7_P12ihipStream_tbENKUlT_T0_E_clISt17integral_constantIbLb0EESZ_EEDaSU_SV_EUlSU_E_NS1_11comp_targetILNS1_3genE10ELNS1_11target_archE1201ELNS1_3gpuE5ELNS1_3repE0EEENS1_30default_config_static_selectorELNS0_4arch9wavefront6targetE0EEEvT1_,"axG",@progbits,_ZN7rocprim17ROCPRIM_400000_NS6detail17trampoline_kernelINS0_14default_configENS1_27scan_by_key_config_selectorIssEEZZNS1_16scan_by_key_implILNS1_25lookback_scan_determinismE0ELb0ES3_N6thrust23THRUST_200600_302600_NS6detail15normal_iteratorINS9_10device_ptrIsEEEESE_SE_sNS9_4plusIvEENS9_8equal_toIvEEsEE10hipError_tPvRmT2_T3_T4_T5_mT6_T7_P12ihipStream_tbENKUlT_T0_E_clISt17integral_constantIbLb0EESZ_EEDaSU_SV_EUlSU_E_NS1_11comp_targetILNS1_3genE10ELNS1_11target_archE1201ELNS1_3gpuE5ELNS1_3repE0EEENS1_30default_config_static_selectorELNS0_4arch9wavefront6targetE0EEEvT1_,comdat
	.protected	_ZN7rocprim17ROCPRIM_400000_NS6detail17trampoline_kernelINS0_14default_configENS1_27scan_by_key_config_selectorIssEEZZNS1_16scan_by_key_implILNS1_25lookback_scan_determinismE0ELb0ES3_N6thrust23THRUST_200600_302600_NS6detail15normal_iteratorINS9_10device_ptrIsEEEESE_SE_sNS9_4plusIvEENS9_8equal_toIvEEsEE10hipError_tPvRmT2_T3_T4_T5_mT6_T7_P12ihipStream_tbENKUlT_T0_E_clISt17integral_constantIbLb0EESZ_EEDaSU_SV_EUlSU_E_NS1_11comp_targetILNS1_3genE10ELNS1_11target_archE1201ELNS1_3gpuE5ELNS1_3repE0EEENS1_30default_config_static_selectorELNS0_4arch9wavefront6targetE0EEEvT1_ ; -- Begin function _ZN7rocprim17ROCPRIM_400000_NS6detail17trampoline_kernelINS0_14default_configENS1_27scan_by_key_config_selectorIssEEZZNS1_16scan_by_key_implILNS1_25lookback_scan_determinismE0ELb0ES3_N6thrust23THRUST_200600_302600_NS6detail15normal_iteratorINS9_10device_ptrIsEEEESE_SE_sNS9_4plusIvEENS9_8equal_toIvEEsEE10hipError_tPvRmT2_T3_T4_T5_mT6_T7_P12ihipStream_tbENKUlT_T0_E_clISt17integral_constantIbLb0EESZ_EEDaSU_SV_EUlSU_E_NS1_11comp_targetILNS1_3genE10ELNS1_11target_archE1201ELNS1_3gpuE5ELNS1_3repE0EEENS1_30default_config_static_selectorELNS0_4arch9wavefront6targetE0EEEvT1_
	.globl	_ZN7rocprim17ROCPRIM_400000_NS6detail17trampoline_kernelINS0_14default_configENS1_27scan_by_key_config_selectorIssEEZZNS1_16scan_by_key_implILNS1_25lookback_scan_determinismE0ELb0ES3_N6thrust23THRUST_200600_302600_NS6detail15normal_iteratorINS9_10device_ptrIsEEEESE_SE_sNS9_4plusIvEENS9_8equal_toIvEEsEE10hipError_tPvRmT2_T3_T4_T5_mT6_T7_P12ihipStream_tbENKUlT_T0_E_clISt17integral_constantIbLb0EESZ_EEDaSU_SV_EUlSU_E_NS1_11comp_targetILNS1_3genE10ELNS1_11target_archE1201ELNS1_3gpuE5ELNS1_3repE0EEENS1_30default_config_static_selectorELNS0_4arch9wavefront6targetE0EEEvT1_
	.p2align	8
	.type	_ZN7rocprim17ROCPRIM_400000_NS6detail17trampoline_kernelINS0_14default_configENS1_27scan_by_key_config_selectorIssEEZZNS1_16scan_by_key_implILNS1_25lookback_scan_determinismE0ELb0ES3_N6thrust23THRUST_200600_302600_NS6detail15normal_iteratorINS9_10device_ptrIsEEEESE_SE_sNS9_4plusIvEENS9_8equal_toIvEEsEE10hipError_tPvRmT2_T3_T4_T5_mT6_T7_P12ihipStream_tbENKUlT_T0_E_clISt17integral_constantIbLb0EESZ_EEDaSU_SV_EUlSU_E_NS1_11comp_targetILNS1_3genE10ELNS1_11target_archE1201ELNS1_3gpuE5ELNS1_3repE0EEENS1_30default_config_static_selectorELNS0_4arch9wavefront6targetE0EEEvT1_,@function
_ZN7rocprim17ROCPRIM_400000_NS6detail17trampoline_kernelINS0_14default_configENS1_27scan_by_key_config_selectorIssEEZZNS1_16scan_by_key_implILNS1_25lookback_scan_determinismE0ELb0ES3_N6thrust23THRUST_200600_302600_NS6detail15normal_iteratorINS9_10device_ptrIsEEEESE_SE_sNS9_4plusIvEENS9_8equal_toIvEEsEE10hipError_tPvRmT2_T3_T4_T5_mT6_T7_P12ihipStream_tbENKUlT_T0_E_clISt17integral_constantIbLb0EESZ_EEDaSU_SV_EUlSU_E_NS1_11comp_targetILNS1_3genE10ELNS1_11target_archE1201ELNS1_3gpuE5ELNS1_3repE0EEENS1_30default_config_static_selectorELNS0_4arch9wavefront6targetE0EEEvT1_: ; @_ZN7rocprim17ROCPRIM_400000_NS6detail17trampoline_kernelINS0_14default_configENS1_27scan_by_key_config_selectorIssEEZZNS1_16scan_by_key_implILNS1_25lookback_scan_determinismE0ELb0ES3_N6thrust23THRUST_200600_302600_NS6detail15normal_iteratorINS9_10device_ptrIsEEEESE_SE_sNS9_4plusIvEENS9_8equal_toIvEEsEE10hipError_tPvRmT2_T3_T4_T5_mT6_T7_P12ihipStream_tbENKUlT_T0_E_clISt17integral_constantIbLb0EESZ_EEDaSU_SV_EUlSU_E_NS1_11comp_targetILNS1_3genE10ELNS1_11target_archE1201ELNS1_3gpuE5ELNS1_3repE0EEENS1_30default_config_static_selectorELNS0_4arch9wavefront6targetE0EEEvT1_
; %bb.0:
	.section	.rodata,"a",@progbits
	.p2align	6, 0x0
	.amdhsa_kernel _ZN7rocprim17ROCPRIM_400000_NS6detail17trampoline_kernelINS0_14default_configENS1_27scan_by_key_config_selectorIssEEZZNS1_16scan_by_key_implILNS1_25lookback_scan_determinismE0ELb0ES3_N6thrust23THRUST_200600_302600_NS6detail15normal_iteratorINS9_10device_ptrIsEEEESE_SE_sNS9_4plusIvEENS9_8equal_toIvEEsEE10hipError_tPvRmT2_T3_T4_T5_mT6_T7_P12ihipStream_tbENKUlT_T0_E_clISt17integral_constantIbLb0EESZ_EEDaSU_SV_EUlSU_E_NS1_11comp_targetILNS1_3genE10ELNS1_11target_archE1201ELNS1_3gpuE5ELNS1_3repE0EEENS1_30default_config_static_selectorELNS0_4arch9wavefront6targetE0EEEvT1_
		.amdhsa_group_segment_fixed_size 0
		.amdhsa_private_segment_fixed_size 0
		.amdhsa_kernarg_size 112
		.amdhsa_user_sgpr_count 2
		.amdhsa_user_sgpr_dispatch_ptr 0
		.amdhsa_user_sgpr_queue_ptr 0
		.amdhsa_user_sgpr_kernarg_segment_ptr 1
		.amdhsa_user_sgpr_dispatch_id 0
		.amdhsa_user_sgpr_kernarg_preload_length 0
		.amdhsa_user_sgpr_kernarg_preload_offset 0
		.amdhsa_user_sgpr_private_segment_size 0
		.amdhsa_wavefront_size32 1
		.amdhsa_uses_dynamic_stack 0
		.amdhsa_enable_private_segment 0
		.amdhsa_system_sgpr_workgroup_id_x 1
		.amdhsa_system_sgpr_workgroup_id_y 0
		.amdhsa_system_sgpr_workgroup_id_z 0
		.amdhsa_system_sgpr_workgroup_info 0
		.amdhsa_system_vgpr_workitem_id 0
		.amdhsa_next_free_vgpr 1
		.amdhsa_next_free_sgpr 1
		.amdhsa_named_barrier_count 0
		.amdhsa_reserve_vcc 0
		.amdhsa_float_round_mode_32 0
		.amdhsa_float_round_mode_16_64 0
		.amdhsa_float_denorm_mode_32 3
		.amdhsa_float_denorm_mode_16_64 3
		.amdhsa_fp16_overflow 0
		.amdhsa_memory_ordered 1
		.amdhsa_forward_progress 1
		.amdhsa_inst_pref_size 0
		.amdhsa_round_robin_scheduling 0
		.amdhsa_exception_fp_ieee_invalid_op 0
		.amdhsa_exception_fp_denorm_src 0
		.amdhsa_exception_fp_ieee_div_zero 0
		.amdhsa_exception_fp_ieee_overflow 0
		.amdhsa_exception_fp_ieee_underflow 0
		.amdhsa_exception_fp_ieee_inexact 0
		.amdhsa_exception_int_div_zero 0
	.end_amdhsa_kernel
	.section	.text._ZN7rocprim17ROCPRIM_400000_NS6detail17trampoline_kernelINS0_14default_configENS1_27scan_by_key_config_selectorIssEEZZNS1_16scan_by_key_implILNS1_25lookback_scan_determinismE0ELb0ES3_N6thrust23THRUST_200600_302600_NS6detail15normal_iteratorINS9_10device_ptrIsEEEESE_SE_sNS9_4plusIvEENS9_8equal_toIvEEsEE10hipError_tPvRmT2_T3_T4_T5_mT6_T7_P12ihipStream_tbENKUlT_T0_E_clISt17integral_constantIbLb0EESZ_EEDaSU_SV_EUlSU_E_NS1_11comp_targetILNS1_3genE10ELNS1_11target_archE1201ELNS1_3gpuE5ELNS1_3repE0EEENS1_30default_config_static_selectorELNS0_4arch9wavefront6targetE0EEEvT1_,"axG",@progbits,_ZN7rocprim17ROCPRIM_400000_NS6detail17trampoline_kernelINS0_14default_configENS1_27scan_by_key_config_selectorIssEEZZNS1_16scan_by_key_implILNS1_25lookback_scan_determinismE0ELb0ES3_N6thrust23THRUST_200600_302600_NS6detail15normal_iteratorINS9_10device_ptrIsEEEESE_SE_sNS9_4plusIvEENS9_8equal_toIvEEsEE10hipError_tPvRmT2_T3_T4_T5_mT6_T7_P12ihipStream_tbENKUlT_T0_E_clISt17integral_constantIbLb0EESZ_EEDaSU_SV_EUlSU_E_NS1_11comp_targetILNS1_3genE10ELNS1_11target_archE1201ELNS1_3gpuE5ELNS1_3repE0EEENS1_30default_config_static_selectorELNS0_4arch9wavefront6targetE0EEEvT1_,comdat
.Lfunc_end240:
	.size	_ZN7rocprim17ROCPRIM_400000_NS6detail17trampoline_kernelINS0_14default_configENS1_27scan_by_key_config_selectorIssEEZZNS1_16scan_by_key_implILNS1_25lookback_scan_determinismE0ELb0ES3_N6thrust23THRUST_200600_302600_NS6detail15normal_iteratorINS9_10device_ptrIsEEEESE_SE_sNS9_4plusIvEENS9_8equal_toIvEEsEE10hipError_tPvRmT2_T3_T4_T5_mT6_T7_P12ihipStream_tbENKUlT_T0_E_clISt17integral_constantIbLb0EESZ_EEDaSU_SV_EUlSU_E_NS1_11comp_targetILNS1_3genE10ELNS1_11target_archE1201ELNS1_3gpuE5ELNS1_3repE0EEENS1_30default_config_static_selectorELNS0_4arch9wavefront6targetE0EEEvT1_, .Lfunc_end240-_ZN7rocprim17ROCPRIM_400000_NS6detail17trampoline_kernelINS0_14default_configENS1_27scan_by_key_config_selectorIssEEZZNS1_16scan_by_key_implILNS1_25lookback_scan_determinismE0ELb0ES3_N6thrust23THRUST_200600_302600_NS6detail15normal_iteratorINS9_10device_ptrIsEEEESE_SE_sNS9_4plusIvEENS9_8equal_toIvEEsEE10hipError_tPvRmT2_T3_T4_T5_mT6_T7_P12ihipStream_tbENKUlT_T0_E_clISt17integral_constantIbLb0EESZ_EEDaSU_SV_EUlSU_E_NS1_11comp_targetILNS1_3genE10ELNS1_11target_archE1201ELNS1_3gpuE5ELNS1_3repE0EEENS1_30default_config_static_selectorELNS0_4arch9wavefront6targetE0EEEvT1_
                                        ; -- End function
	.set _ZN7rocprim17ROCPRIM_400000_NS6detail17trampoline_kernelINS0_14default_configENS1_27scan_by_key_config_selectorIssEEZZNS1_16scan_by_key_implILNS1_25lookback_scan_determinismE0ELb0ES3_N6thrust23THRUST_200600_302600_NS6detail15normal_iteratorINS9_10device_ptrIsEEEESE_SE_sNS9_4plusIvEENS9_8equal_toIvEEsEE10hipError_tPvRmT2_T3_T4_T5_mT6_T7_P12ihipStream_tbENKUlT_T0_E_clISt17integral_constantIbLb0EESZ_EEDaSU_SV_EUlSU_E_NS1_11comp_targetILNS1_3genE10ELNS1_11target_archE1201ELNS1_3gpuE5ELNS1_3repE0EEENS1_30default_config_static_selectorELNS0_4arch9wavefront6targetE0EEEvT1_.num_vgpr, 0
	.set _ZN7rocprim17ROCPRIM_400000_NS6detail17trampoline_kernelINS0_14default_configENS1_27scan_by_key_config_selectorIssEEZZNS1_16scan_by_key_implILNS1_25lookback_scan_determinismE0ELb0ES3_N6thrust23THRUST_200600_302600_NS6detail15normal_iteratorINS9_10device_ptrIsEEEESE_SE_sNS9_4plusIvEENS9_8equal_toIvEEsEE10hipError_tPvRmT2_T3_T4_T5_mT6_T7_P12ihipStream_tbENKUlT_T0_E_clISt17integral_constantIbLb0EESZ_EEDaSU_SV_EUlSU_E_NS1_11comp_targetILNS1_3genE10ELNS1_11target_archE1201ELNS1_3gpuE5ELNS1_3repE0EEENS1_30default_config_static_selectorELNS0_4arch9wavefront6targetE0EEEvT1_.num_agpr, 0
	.set _ZN7rocprim17ROCPRIM_400000_NS6detail17trampoline_kernelINS0_14default_configENS1_27scan_by_key_config_selectorIssEEZZNS1_16scan_by_key_implILNS1_25lookback_scan_determinismE0ELb0ES3_N6thrust23THRUST_200600_302600_NS6detail15normal_iteratorINS9_10device_ptrIsEEEESE_SE_sNS9_4plusIvEENS9_8equal_toIvEEsEE10hipError_tPvRmT2_T3_T4_T5_mT6_T7_P12ihipStream_tbENKUlT_T0_E_clISt17integral_constantIbLb0EESZ_EEDaSU_SV_EUlSU_E_NS1_11comp_targetILNS1_3genE10ELNS1_11target_archE1201ELNS1_3gpuE5ELNS1_3repE0EEENS1_30default_config_static_selectorELNS0_4arch9wavefront6targetE0EEEvT1_.numbered_sgpr, 0
	.set _ZN7rocprim17ROCPRIM_400000_NS6detail17trampoline_kernelINS0_14default_configENS1_27scan_by_key_config_selectorIssEEZZNS1_16scan_by_key_implILNS1_25lookback_scan_determinismE0ELb0ES3_N6thrust23THRUST_200600_302600_NS6detail15normal_iteratorINS9_10device_ptrIsEEEESE_SE_sNS9_4plusIvEENS9_8equal_toIvEEsEE10hipError_tPvRmT2_T3_T4_T5_mT6_T7_P12ihipStream_tbENKUlT_T0_E_clISt17integral_constantIbLb0EESZ_EEDaSU_SV_EUlSU_E_NS1_11comp_targetILNS1_3genE10ELNS1_11target_archE1201ELNS1_3gpuE5ELNS1_3repE0EEENS1_30default_config_static_selectorELNS0_4arch9wavefront6targetE0EEEvT1_.num_named_barrier, 0
	.set _ZN7rocprim17ROCPRIM_400000_NS6detail17trampoline_kernelINS0_14default_configENS1_27scan_by_key_config_selectorIssEEZZNS1_16scan_by_key_implILNS1_25lookback_scan_determinismE0ELb0ES3_N6thrust23THRUST_200600_302600_NS6detail15normal_iteratorINS9_10device_ptrIsEEEESE_SE_sNS9_4plusIvEENS9_8equal_toIvEEsEE10hipError_tPvRmT2_T3_T4_T5_mT6_T7_P12ihipStream_tbENKUlT_T0_E_clISt17integral_constantIbLb0EESZ_EEDaSU_SV_EUlSU_E_NS1_11comp_targetILNS1_3genE10ELNS1_11target_archE1201ELNS1_3gpuE5ELNS1_3repE0EEENS1_30default_config_static_selectorELNS0_4arch9wavefront6targetE0EEEvT1_.private_seg_size, 0
	.set _ZN7rocprim17ROCPRIM_400000_NS6detail17trampoline_kernelINS0_14default_configENS1_27scan_by_key_config_selectorIssEEZZNS1_16scan_by_key_implILNS1_25lookback_scan_determinismE0ELb0ES3_N6thrust23THRUST_200600_302600_NS6detail15normal_iteratorINS9_10device_ptrIsEEEESE_SE_sNS9_4plusIvEENS9_8equal_toIvEEsEE10hipError_tPvRmT2_T3_T4_T5_mT6_T7_P12ihipStream_tbENKUlT_T0_E_clISt17integral_constantIbLb0EESZ_EEDaSU_SV_EUlSU_E_NS1_11comp_targetILNS1_3genE10ELNS1_11target_archE1201ELNS1_3gpuE5ELNS1_3repE0EEENS1_30default_config_static_selectorELNS0_4arch9wavefront6targetE0EEEvT1_.uses_vcc, 0
	.set _ZN7rocprim17ROCPRIM_400000_NS6detail17trampoline_kernelINS0_14default_configENS1_27scan_by_key_config_selectorIssEEZZNS1_16scan_by_key_implILNS1_25lookback_scan_determinismE0ELb0ES3_N6thrust23THRUST_200600_302600_NS6detail15normal_iteratorINS9_10device_ptrIsEEEESE_SE_sNS9_4plusIvEENS9_8equal_toIvEEsEE10hipError_tPvRmT2_T3_T4_T5_mT6_T7_P12ihipStream_tbENKUlT_T0_E_clISt17integral_constantIbLb0EESZ_EEDaSU_SV_EUlSU_E_NS1_11comp_targetILNS1_3genE10ELNS1_11target_archE1201ELNS1_3gpuE5ELNS1_3repE0EEENS1_30default_config_static_selectorELNS0_4arch9wavefront6targetE0EEEvT1_.uses_flat_scratch, 0
	.set _ZN7rocprim17ROCPRIM_400000_NS6detail17trampoline_kernelINS0_14default_configENS1_27scan_by_key_config_selectorIssEEZZNS1_16scan_by_key_implILNS1_25lookback_scan_determinismE0ELb0ES3_N6thrust23THRUST_200600_302600_NS6detail15normal_iteratorINS9_10device_ptrIsEEEESE_SE_sNS9_4plusIvEENS9_8equal_toIvEEsEE10hipError_tPvRmT2_T3_T4_T5_mT6_T7_P12ihipStream_tbENKUlT_T0_E_clISt17integral_constantIbLb0EESZ_EEDaSU_SV_EUlSU_E_NS1_11comp_targetILNS1_3genE10ELNS1_11target_archE1201ELNS1_3gpuE5ELNS1_3repE0EEENS1_30default_config_static_selectorELNS0_4arch9wavefront6targetE0EEEvT1_.has_dyn_sized_stack, 0
	.set _ZN7rocprim17ROCPRIM_400000_NS6detail17trampoline_kernelINS0_14default_configENS1_27scan_by_key_config_selectorIssEEZZNS1_16scan_by_key_implILNS1_25lookback_scan_determinismE0ELb0ES3_N6thrust23THRUST_200600_302600_NS6detail15normal_iteratorINS9_10device_ptrIsEEEESE_SE_sNS9_4plusIvEENS9_8equal_toIvEEsEE10hipError_tPvRmT2_T3_T4_T5_mT6_T7_P12ihipStream_tbENKUlT_T0_E_clISt17integral_constantIbLb0EESZ_EEDaSU_SV_EUlSU_E_NS1_11comp_targetILNS1_3genE10ELNS1_11target_archE1201ELNS1_3gpuE5ELNS1_3repE0EEENS1_30default_config_static_selectorELNS0_4arch9wavefront6targetE0EEEvT1_.has_recursion, 0
	.set _ZN7rocprim17ROCPRIM_400000_NS6detail17trampoline_kernelINS0_14default_configENS1_27scan_by_key_config_selectorIssEEZZNS1_16scan_by_key_implILNS1_25lookback_scan_determinismE0ELb0ES3_N6thrust23THRUST_200600_302600_NS6detail15normal_iteratorINS9_10device_ptrIsEEEESE_SE_sNS9_4plusIvEENS9_8equal_toIvEEsEE10hipError_tPvRmT2_T3_T4_T5_mT6_T7_P12ihipStream_tbENKUlT_T0_E_clISt17integral_constantIbLb0EESZ_EEDaSU_SV_EUlSU_E_NS1_11comp_targetILNS1_3genE10ELNS1_11target_archE1201ELNS1_3gpuE5ELNS1_3repE0EEENS1_30default_config_static_selectorELNS0_4arch9wavefront6targetE0EEEvT1_.has_indirect_call, 0
	.section	.AMDGPU.csdata,"",@progbits
; Kernel info:
; codeLenInByte = 0
; TotalNumSgprs: 0
; NumVgprs: 0
; ScratchSize: 0
; MemoryBound: 0
; FloatMode: 240
; IeeeMode: 1
; LDSByteSize: 0 bytes/workgroup (compile time only)
; SGPRBlocks: 0
; VGPRBlocks: 0
; NumSGPRsForWavesPerEU: 1
; NumVGPRsForWavesPerEU: 1
; NamedBarCnt: 0
; Occupancy: 16
; WaveLimiterHint : 0
; COMPUTE_PGM_RSRC2:SCRATCH_EN: 0
; COMPUTE_PGM_RSRC2:USER_SGPR: 2
; COMPUTE_PGM_RSRC2:TRAP_HANDLER: 0
; COMPUTE_PGM_RSRC2:TGID_X_EN: 1
; COMPUTE_PGM_RSRC2:TGID_Y_EN: 0
; COMPUTE_PGM_RSRC2:TGID_Z_EN: 0
; COMPUTE_PGM_RSRC2:TIDIG_COMP_CNT: 0
	.section	.text._ZN7rocprim17ROCPRIM_400000_NS6detail17trampoline_kernelINS0_14default_configENS1_27scan_by_key_config_selectorIssEEZZNS1_16scan_by_key_implILNS1_25lookback_scan_determinismE0ELb0ES3_N6thrust23THRUST_200600_302600_NS6detail15normal_iteratorINS9_10device_ptrIsEEEESE_SE_sNS9_4plusIvEENS9_8equal_toIvEEsEE10hipError_tPvRmT2_T3_T4_T5_mT6_T7_P12ihipStream_tbENKUlT_T0_E_clISt17integral_constantIbLb0EESZ_EEDaSU_SV_EUlSU_E_NS1_11comp_targetILNS1_3genE5ELNS1_11target_archE942ELNS1_3gpuE9ELNS1_3repE0EEENS1_30default_config_static_selectorELNS0_4arch9wavefront6targetE0EEEvT1_,"axG",@progbits,_ZN7rocprim17ROCPRIM_400000_NS6detail17trampoline_kernelINS0_14default_configENS1_27scan_by_key_config_selectorIssEEZZNS1_16scan_by_key_implILNS1_25lookback_scan_determinismE0ELb0ES3_N6thrust23THRUST_200600_302600_NS6detail15normal_iteratorINS9_10device_ptrIsEEEESE_SE_sNS9_4plusIvEENS9_8equal_toIvEEsEE10hipError_tPvRmT2_T3_T4_T5_mT6_T7_P12ihipStream_tbENKUlT_T0_E_clISt17integral_constantIbLb0EESZ_EEDaSU_SV_EUlSU_E_NS1_11comp_targetILNS1_3genE5ELNS1_11target_archE942ELNS1_3gpuE9ELNS1_3repE0EEENS1_30default_config_static_selectorELNS0_4arch9wavefront6targetE0EEEvT1_,comdat
	.protected	_ZN7rocprim17ROCPRIM_400000_NS6detail17trampoline_kernelINS0_14default_configENS1_27scan_by_key_config_selectorIssEEZZNS1_16scan_by_key_implILNS1_25lookback_scan_determinismE0ELb0ES3_N6thrust23THRUST_200600_302600_NS6detail15normal_iteratorINS9_10device_ptrIsEEEESE_SE_sNS9_4plusIvEENS9_8equal_toIvEEsEE10hipError_tPvRmT2_T3_T4_T5_mT6_T7_P12ihipStream_tbENKUlT_T0_E_clISt17integral_constantIbLb0EESZ_EEDaSU_SV_EUlSU_E_NS1_11comp_targetILNS1_3genE5ELNS1_11target_archE942ELNS1_3gpuE9ELNS1_3repE0EEENS1_30default_config_static_selectorELNS0_4arch9wavefront6targetE0EEEvT1_ ; -- Begin function _ZN7rocprim17ROCPRIM_400000_NS6detail17trampoline_kernelINS0_14default_configENS1_27scan_by_key_config_selectorIssEEZZNS1_16scan_by_key_implILNS1_25lookback_scan_determinismE0ELb0ES3_N6thrust23THRUST_200600_302600_NS6detail15normal_iteratorINS9_10device_ptrIsEEEESE_SE_sNS9_4plusIvEENS9_8equal_toIvEEsEE10hipError_tPvRmT2_T3_T4_T5_mT6_T7_P12ihipStream_tbENKUlT_T0_E_clISt17integral_constantIbLb0EESZ_EEDaSU_SV_EUlSU_E_NS1_11comp_targetILNS1_3genE5ELNS1_11target_archE942ELNS1_3gpuE9ELNS1_3repE0EEENS1_30default_config_static_selectorELNS0_4arch9wavefront6targetE0EEEvT1_
	.globl	_ZN7rocprim17ROCPRIM_400000_NS6detail17trampoline_kernelINS0_14default_configENS1_27scan_by_key_config_selectorIssEEZZNS1_16scan_by_key_implILNS1_25lookback_scan_determinismE0ELb0ES3_N6thrust23THRUST_200600_302600_NS6detail15normal_iteratorINS9_10device_ptrIsEEEESE_SE_sNS9_4plusIvEENS9_8equal_toIvEEsEE10hipError_tPvRmT2_T3_T4_T5_mT6_T7_P12ihipStream_tbENKUlT_T0_E_clISt17integral_constantIbLb0EESZ_EEDaSU_SV_EUlSU_E_NS1_11comp_targetILNS1_3genE5ELNS1_11target_archE942ELNS1_3gpuE9ELNS1_3repE0EEENS1_30default_config_static_selectorELNS0_4arch9wavefront6targetE0EEEvT1_
	.p2align	8
	.type	_ZN7rocprim17ROCPRIM_400000_NS6detail17trampoline_kernelINS0_14default_configENS1_27scan_by_key_config_selectorIssEEZZNS1_16scan_by_key_implILNS1_25lookback_scan_determinismE0ELb0ES3_N6thrust23THRUST_200600_302600_NS6detail15normal_iteratorINS9_10device_ptrIsEEEESE_SE_sNS9_4plusIvEENS9_8equal_toIvEEsEE10hipError_tPvRmT2_T3_T4_T5_mT6_T7_P12ihipStream_tbENKUlT_T0_E_clISt17integral_constantIbLb0EESZ_EEDaSU_SV_EUlSU_E_NS1_11comp_targetILNS1_3genE5ELNS1_11target_archE942ELNS1_3gpuE9ELNS1_3repE0EEENS1_30default_config_static_selectorELNS0_4arch9wavefront6targetE0EEEvT1_,@function
_ZN7rocprim17ROCPRIM_400000_NS6detail17trampoline_kernelINS0_14default_configENS1_27scan_by_key_config_selectorIssEEZZNS1_16scan_by_key_implILNS1_25lookback_scan_determinismE0ELb0ES3_N6thrust23THRUST_200600_302600_NS6detail15normal_iteratorINS9_10device_ptrIsEEEESE_SE_sNS9_4plusIvEENS9_8equal_toIvEEsEE10hipError_tPvRmT2_T3_T4_T5_mT6_T7_P12ihipStream_tbENKUlT_T0_E_clISt17integral_constantIbLb0EESZ_EEDaSU_SV_EUlSU_E_NS1_11comp_targetILNS1_3genE5ELNS1_11target_archE942ELNS1_3gpuE9ELNS1_3repE0EEENS1_30default_config_static_selectorELNS0_4arch9wavefront6targetE0EEEvT1_: ; @_ZN7rocprim17ROCPRIM_400000_NS6detail17trampoline_kernelINS0_14default_configENS1_27scan_by_key_config_selectorIssEEZZNS1_16scan_by_key_implILNS1_25lookback_scan_determinismE0ELb0ES3_N6thrust23THRUST_200600_302600_NS6detail15normal_iteratorINS9_10device_ptrIsEEEESE_SE_sNS9_4plusIvEENS9_8equal_toIvEEsEE10hipError_tPvRmT2_T3_T4_T5_mT6_T7_P12ihipStream_tbENKUlT_T0_E_clISt17integral_constantIbLb0EESZ_EEDaSU_SV_EUlSU_E_NS1_11comp_targetILNS1_3genE5ELNS1_11target_archE942ELNS1_3gpuE9ELNS1_3repE0EEENS1_30default_config_static_selectorELNS0_4arch9wavefront6targetE0EEEvT1_
; %bb.0:
	.section	.rodata,"a",@progbits
	.p2align	6, 0x0
	.amdhsa_kernel _ZN7rocprim17ROCPRIM_400000_NS6detail17trampoline_kernelINS0_14default_configENS1_27scan_by_key_config_selectorIssEEZZNS1_16scan_by_key_implILNS1_25lookback_scan_determinismE0ELb0ES3_N6thrust23THRUST_200600_302600_NS6detail15normal_iteratorINS9_10device_ptrIsEEEESE_SE_sNS9_4plusIvEENS9_8equal_toIvEEsEE10hipError_tPvRmT2_T3_T4_T5_mT6_T7_P12ihipStream_tbENKUlT_T0_E_clISt17integral_constantIbLb0EESZ_EEDaSU_SV_EUlSU_E_NS1_11comp_targetILNS1_3genE5ELNS1_11target_archE942ELNS1_3gpuE9ELNS1_3repE0EEENS1_30default_config_static_selectorELNS0_4arch9wavefront6targetE0EEEvT1_
		.amdhsa_group_segment_fixed_size 0
		.amdhsa_private_segment_fixed_size 0
		.amdhsa_kernarg_size 112
		.amdhsa_user_sgpr_count 2
		.amdhsa_user_sgpr_dispatch_ptr 0
		.amdhsa_user_sgpr_queue_ptr 0
		.amdhsa_user_sgpr_kernarg_segment_ptr 1
		.amdhsa_user_sgpr_dispatch_id 0
		.amdhsa_user_sgpr_kernarg_preload_length 0
		.amdhsa_user_sgpr_kernarg_preload_offset 0
		.amdhsa_user_sgpr_private_segment_size 0
		.amdhsa_wavefront_size32 1
		.amdhsa_uses_dynamic_stack 0
		.amdhsa_enable_private_segment 0
		.amdhsa_system_sgpr_workgroup_id_x 1
		.amdhsa_system_sgpr_workgroup_id_y 0
		.amdhsa_system_sgpr_workgroup_id_z 0
		.amdhsa_system_sgpr_workgroup_info 0
		.amdhsa_system_vgpr_workitem_id 0
		.amdhsa_next_free_vgpr 1
		.amdhsa_next_free_sgpr 1
		.amdhsa_named_barrier_count 0
		.amdhsa_reserve_vcc 0
		.amdhsa_float_round_mode_32 0
		.amdhsa_float_round_mode_16_64 0
		.amdhsa_float_denorm_mode_32 3
		.amdhsa_float_denorm_mode_16_64 3
		.amdhsa_fp16_overflow 0
		.amdhsa_memory_ordered 1
		.amdhsa_forward_progress 1
		.amdhsa_inst_pref_size 0
		.amdhsa_round_robin_scheduling 0
		.amdhsa_exception_fp_ieee_invalid_op 0
		.amdhsa_exception_fp_denorm_src 0
		.amdhsa_exception_fp_ieee_div_zero 0
		.amdhsa_exception_fp_ieee_overflow 0
		.amdhsa_exception_fp_ieee_underflow 0
		.amdhsa_exception_fp_ieee_inexact 0
		.amdhsa_exception_int_div_zero 0
	.end_amdhsa_kernel
	.section	.text._ZN7rocprim17ROCPRIM_400000_NS6detail17trampoline_kernelINS0_14default_configENS1_27scan_by_key_config_selectorIssEEZZNS1_16scan_by_key_implILNS1_25lookback_scan_determinismE0ELb0ES3_N6thrust23THRUST_200600_302600_NS6detail15normal_iteratorINS9_10device_ptrIsEEEESE_SE_sNS9_4plusIvEENS9_8equal_toIvEEsEE10hipError_tPvRmT2_T3_T4_T5_mT6_T7_P12ihipStream_tbENKUlT_T0_E_clISt17integral_constantIbLb0EESZ_EEDaSU_SV_EUlSU_E_NS1_11comp_targetILNS1_3genE5ELNS1_11target_archE942ELNS1_3gpuE9ELNS1_3repE0EEENS1_30default_config_static_selectorELNS0_4arch9wavefront6targetE0EEEvT1_,"axG",@progbits,_ZN7rocprim17ROCPRIM_400000_NS6detail17trampoline_kernelINS0_14default_configENS1_27scan_by_key_config_selectorIssEEZZNS1_16scan_by_key_implILNS1_25lookback_scan_determinismE0ELb0ES3_N6thrust23THRUST_200600_302600_NS6detail15normal_iteratorINS9_10device_ptrIsEEEESE_SE_sNS9_4plusIvEENS9_8equal_toIvEEsEE10hipError_tPvRmT2_T3_T4_T5_mT6_T7_P12ihipStream_tbENKUlT_T0_E_clISt17integral_constantIbLb0EESZ_EEDaSU_SV_EUlSU_E_NS1_11comp_targetILNS1_3genE5ELNS1_11target_archE942ELNS1_3gpuE9ELNS1_3repE0EEENS1_30default_config_static_selectorELNS0_4arch9wavefront6targetE0EEEvT1_,comdat
.Lfunc_end241:
	.size	_ZN7rocprim17ROCPRIM_400000_NS6detail17trampoline_kernelINS0_14default_configENS1_27scan_by_key_config_selectorIssEEZZNS1_16scan_by_key_implILNS1_25lookback_scan_determinismE0ELb0ES3_N6thrust23THRUST_200600_302600_NS6detail15normal_iteratorINS9_10device_ptrIsEEEESE_SE_sNS9_4plusIvEENS9_8equal_toIvEEsEE10hipError_tPvRmT2_T3_T4_T5_mT6_T7_P12ihipStream_tbENKUlT_T0_E_clISt17integral_constantIbLb0EESZ_EEDaSU_SV_EUlSU_E_NS1_11comp_targetILNS1_3genE5ELNS1_11target_archE942ELNS1_3gpuE9ELNS1_3repE0EEENS1_30default_config_static_selectorELNS0_4arch9wavefront6targetE0EEEvT1_, .Lfunc_end241-_ZN7rocprim17ROCPRIM_400000_NS6detail17trampoline_kernelINS0_14default_configENS1_27scan_by_key_config_selectorIssEEZZNS1_16scan_by_key_implILNS1_25lookback_scan_determinismE0ELb0ES3_N6thrust23THRUST_200600_302600_NS6detail15normal_iteratorINS9_10device_ptrIsEEEESE_SE_sNS9_4plusIvEENS9_8equal_toIvEEsEE10hipError_tPvRmT2_T3_T4_T5_mT6_T7_P12ihipStream_tbENKUlT_T0_E_clISt17integral_constantIbLb0EESZ_EEDaSU_SV_EUlSU_E_NS1_11comp_targetILNS1_3genE5ELNS1_11target_archE942ELNS1_3gpuE9ELNS1_3repE0EEENS1_30default_config_static_selectorELNS0_4arch9wavefront6targetE0EEEvT1_
                                        ; -- End function
	.set _ZN7rocprim17ROCPRIM_400000_NS6detail17trampoline_kernelINS0_14default_configENS1_27scan_by_key_config_selectorIssEEZZNS1_16scan_by_key_implILNS1_25lookback_scan_determinismE0ELb0ES3_N6thrust23THRUST_200600_302600_NS6detail15normal_iteratorINS9_10device_ptrIsEEEESE_SE_sNS9_4plusIvEENS9_8equal_toIvEEsEE10hipError_tPvRmT2_T3_T4_T5_mT6_T7_P12ihipStream_tbENKUlT_T0_E_clISt17integral_constantIbLb0EESZ_EEDaSU_SV_EUlSU_E_NS1_11comp_targetILNS1_3genE5ELNS1_11target_archE942ELNS1_3gpuE9ELNS1_3repE0EEENS1_30default_config_static_selectorELNS0_4arch9wavefront6targetE0EEEvT1_.num_vgpr, 0
	.set _ZN7rocprim17ROCPRIM_400000_NS6detail17trampoline_kernelINS0_14default_configENS1_27scan_by_key_config_selectorIssEEZZNS1_16scan_by_key_implILNS1_25lookback_scan_determinismE0ELb0ES3_N6thrust23THRUST_200600_302600_NS6detail15normal_iteratorINS9_10device_ptrIsEEEESE_SE_sNS9_4plusIvEENS9_8equal_toIvEEsEE10hipError_tPvRmT2_T3_T4_T5_mT6_T7_P12ihipStream_tbENKUlT_T0_E_clISt17integral_constantIbLb0EESZ_EEDaSU_SV_EUlSU_E_NS1_11comp_targetILNS1_3genE5ELNS1_11target_archE942ELNS1_3gpuE9ELNS1_3repE0EEENS1_30default_config_static_selectorELNS0_4arch9wavefront6targetE0EEEvT1_.num_agpr, 0
	.set _ZN7rocprim17ROCPRIM_400000_NS6detail17trampoline_kernelINS0_14default_configENS1_27scan_by_key_config_selectorIssEEZZNS1_16scan_by_key_implILNS1_25lookback_scan_determinismE0ELb0ES3_N6thrust23THRUST_200600_302600_NS6detail15normal_iteratorINS9_10device_ptrIsEEEESE_SE_sNS9_4plusIvEENS9_8equal_toIvEEsEE10hipError_tPvRmT2_T3_T4_T5_mT6_T7_P12ihipStream_tbENKUlT_T0_E_clISt17integral_constantIbLb0EESZ_EEDaSU_SV_EUlSU_E_NS1_11comp_targetILNS1_3genE5ELNS1_11target_archE942ELNS1_3gpuE9ELNS1_3repE0EEENS1_30default_config_static_selectorELNS0_4arch9wavefront6targetE0EEEvT1_.numbered_sgpr, 0
	.set _ZN7rocprim17ROCPRIM_400000_NS6detail17trampoline_kernelINS0_14default_configENS1_27scan_by_key_config_selectorIssEEZZNS1_16scan_by_key_implILNS1_25lookback_scan_determinismE0ELb0ES3_N6thrust23THRUST_200600_302600_NS6detail15normal_iteratorINS9_10device_ptrIsEEEESE_SE_sNS9_4plusIvEENS9_8equal_toIvEEsEE10hipError_tPvRmT2_T3_T4_T5_mT6_T7_P12ihipStream_tbENKUlT_T0_E_clISt17integral_constantIbLb0EESZ_EEDaSU_SV_EUlSU_E_NS1_11comp_targetILNS1_3genE5ELNS1_11target_archE942ELNS1_3gpuE9ELNS1_3repE0EEENS1_30default_config_static_selectorELNS0_4arch9wavefront6targetE0EEEvT1_.num_named_barrier, 0
	.set _ZN7rocprim17ROCPRIM_400000_NS6detail17trampoline_kernelINS0_14default_configENS1_27scan_by_key_config_selectorIssEEZZNS1_16scan_by_key_implILNS1_25lookback_scan_determinismE0ELb0ES3_N6thrust23THRUST_200600_302600_NS6detail15normal_iteratorINS9_10device_ptrIsEEEESE_SE_sNS9_4plusIvEENS9_8equal_toIvEEsEE10hipError_tPvRmT2_T3_T4_T5_mT6_T7_P12ihipStream_tbENKUlT_T0_E_clISt17integral_constantIbLb0EESZ_EEDaSU_SV_EUlSU_E_NS1_11comp_targetILNS1_3genE5ELNS1_11target_archE942ELNS1_3gpuE9ELNS1_3repE0EEENS1_30default_config_static_selectorELNS0_4arch9wavefront6targetE0EEEvT1_.private_seg_size, 0
	.set _ZN7rocprim17ROCPRIM_400000_NS6detail17trampoline_kernelINS0_14default_configENS1_27scan_by_key_config_selectorIssEEZZNS1_16scan_by_key_implILNS1_25lookback_scan_determinismE0ELb0ES3_N6thrust23THRUST_200600_302600_NS6detail15normal_iteratorINS9_10device_ptrIsEEEESE_SE_sNS9_4plusIvEENS9_8equal_toIvEEsEE10hipError_tPvRmT2_T3_T4_T5_mT6_T7_P12ihipStream_tbENKUlT_T0_E_clISt17integral_constantIbLb0EESZ_EEDaSU_SV_EUlSU_E_NS1_11comp_targetILNS1_3genE5ELNS1_11target_archE942ELNS1_3gpuE9ELNS1_3repE0EEENS1_30default_config_static_selectorELNS0_4arch9wavefront6targetE0EEEvT1_.uses_vcc, 0
	.set _ZN7rocprim17ROCPRIM_400000_NS6detail17trampoline_kernelINS0_14default_configENS1_27scan_by_key_config_selectorIssEEZZNS1_16scan_by_key_implILNS1_25lookback_scan_determinismE0ELb0ES3_N6thrust23THRUST_200600_302600_NS6detail15normal_iteratorINS9_10device_ptrIsEEEESE_SE_sNS9_4plusIvEENS9_8equal_toIvEEsEE10hipError_tPvRmT2_T3_T4_T5_mT6_T7_P12ihipStream_tbENKUlT_T0_E_clISt17integral_constantIbLb0EESZ_EEDaSU_SV_EUlSU_E_NS1_11comp_targetILNS1_3genE5ELNS1_11target_archE942ELNS1_3gpuE9ELNS1_3repE0EEENS1_30default_config_static_selectorELNS0_4arch9wavefront6targetE0EEEvT1_.uses_flat_scratch, 0
	.set _ZN7rocprim17ROCPRIM_400000_NS6detail17trampoline_kernelINS0_14default_configENS1_27scan_by_key_config_selectorIssEEZZNS1_16scan_by_key_implILNS1_25lookback_scan_determinismE0ELb0ES3_N6thrust23THRUST_200600_302600_NS6detail15normal_iteratorINS9_10device_ptrIsEEEESE_SE_sNS9_4plusIvEENS9_8equal_toIvEEsEE10hipError_tPvRmT2_T3_T4_T5_mT6_T7_P12ihipStream_tbENKUlT_T0_E_clISt17integral_constantIbLb0EESZ_EEDaSU_SV_EUlSU_E_NS1_11comp_targetILNS1_3genE5ELNS1_11target_archE942ELNS1_3gpuE9ELNS1_3repE0EEENS1_30default_config_static_selectorELNS0_4arch9wavefront6targetE0EEEvT1_.has_dyn_sized_stack, 0
	.set _ZN7rocprim17ROCPRIM_400000_NS6detail17trampoline_kernelINS0_14default_configENS1_27scan_by_key_config_selectorIssEEZZNS1_16scan_by_key_implILNS1_25lookback_scan_determinismE0ELb0ES3_N6thrust23THRUST_200600_302600_NS6detail15normal_iteratorINS9_10device_ptrIsEEEESE_SE_sNS9_4plusIvEENS9_8equal_toIvEEsEE10hipError_tPvRmT2_T3_T4_T5_mT6_T7_P12ihipStream_tbENKUlT_T0_E_clISt17integral_constantIbLb0EESZ_EEDaSU_SV_EUlSU_E_NS1_11comp_targetILNS1_3genE5ELNS1_11target_archE942ELNS1_3gpuE9ELNS1_3repE0EEENS1_30default_config_static_selectorELNS0_4arch9wavefront6targetE0EEEvT1_.has_recursion, 0
	.set _ZN7rocprim17ROCPRIM_400000_NS6detail17trampoline_kernelINS0_14default_configENS1_27scan_by_key_config_selectorIssEEZZNS1_16scan_by_key_implILNS1_25lookback_scan_determinismE0ELb0ES3_N6thrust23THRUST_200600_302600_NS6detail15normal_iteratorINS9_10device_ptrIsEEEESE_SE_sNS9_4plusIvEENS9_8equal_toIvEEsEE10hipError_tPvRmT2_T3_T4_T5_mT6_T7_P12ihipStream_tbENKUlT_T0_E_clISt17integral_constantIbLb0EESZ_EEDaSU_SV_EUlSU_E_NS1_11comp_targetILNS1_3genE5ELNS1_11target_archE942ELNS1_3gpuE9ELNS1_3repE0EEENS1_30default_config_static_selectorELNS0_4arch9wavefront6targetE0EEEvT1_.has_indirect_call, 0
	.section	.AMDGPU.csdata,"",@progbits
; Kernel info:
; codeLenInByte = 0
; TotalNumSgprs: 0
; NumVgprs: 0
; ScratchSize: 0
; MemoryBound: 0
; FloatMode: 240
; IeeeMode: 1
; LDSByteSize: 0 bytes/workgroup (compile time only)
; SGPRBlocks: 0
; VGPRBlocks: 0
; NumSGPRsForWavesPerEU: 1
; NumVGPRsForWavesPerEU: 1
; NamedBarCnt: 0
; Occupancy: 16
; WaveLimiterHint : 0
; COMPUTE_PGM_RSRC2:SCRATCH_EN: 0
; COMPUTE_PGM_RSRC2:USER_SGPR: 2
; COMPUTE_PGM_RSRC2:TRAP_HANDLER: 0
; COMPUTE_PGM_RSRC2:TGID_X_EN: 1
; COMPUTE_PGM_RSRC2:TGID_Y_EN: 0
; COMPUTE_PGM_RSRC2:TGID_Z_EN: 0
; COMPUTE_PGM_RSRC2:TIDIG_COMP_CNT: 0
	.section	.text._ZN7rocprim17ROCPRIM_400000_NS6detail17trampoline_kernelINS0_14default_configENS1_27scan_by_key_config_selectorIssEEZZNS1_16scan_by_key_implILNS1_25lookback_scan_determinismE0ELb0ES3_N6thrust23THRUST_200600_302600_NS6detail15normal_iteratorINS9_10device_ptrIsEEEESE_SE_sNS9_4plusIvEENS9_8equal_toIvEEsEE10hipError_tPvRmT2_T3_T4_T5_mT6_T7_P12ihipStream_tbENKUlT_T0_E_clISt17integral_constantIbLb0EESZ_EEDaSU_SV_EUlSU_E_NS1_11comp_targetILNS1_3genE4ELNS1_11target_archE910ELNS1_3gpuE8ELNS1_3repE0EEENS1_30default_config_static_selectorELNS0_4arch9wavefront6targetE0EEEvT1_,"axG",@progbits,_ZN7rocprim17ROCPRIM_400000_NS6detail17trampoline_kernelINS0_14default_configENS1_27scan_by_key_config_selectorIssEEZZNS1_16scan_by_key_implILNS1_25lookback_scan_determinismE0ELb0ES3_N6thrust23THRUST_200600_302600_NS6detail15normal_iteratorINS9_10device_ptrIsEEEESE_SE_sNS9_4plusIvEENS9_8equal_toIvEEsEE10hipError_tPvRmT2_T3_T4_T5_mT6_T7_P12ihipStream_tbENKUlT_T0_E_clISt17integral_constantIbLb0EESZ_EEDaSU_SV_EUlSU_E_NS1_11comp_targetILNS1_3genE4ELNS1_11target_archE910ELNS1_3gpuE8ELNS1_3repE0EEENS1_30default_config_static_selectorELNS0_4arch9wavefront6targetE0EEEvT1_,comdat
	.protected	_ZN7rocprim17ROCPRIM_400000_NS6detail17trampoline_kernelINS0_14default_configENS1_27scan_by_key_config_selectorIssEEZZNS1_16scan_by_key_implILNS1_25lookback_scan_determinismE0ELb0ES3_N6thrust23THRUST_200600_302600_NS6detail15normal_iteratorINS9_10device_ptrIsEEEESE_SE_sNS9_4plusIvEENS9_8equal_toIvEEsEE10hipError_tPvRmT2_T3_T4_T5_mT6_T7_P12ihipStream_tbENKUlT_T0_E_clISt17integral_constantIbLb0EESZ_EEDaSU_SV_EUlSU_E_NS1_11comp_targetILNS1_3genE4ELNS1_11target_archE910ELNS1_3gpuE8ELNS1_3repE0EEENS1_30default_config_static_selectorELNS0_4arch9wavefront6targetE0EEEvT1_ ; -- Begin function _ZN7rocprim17ROCPRIM_400000_NS6detail17trampoline_kernelINS0_14default_configENS1_27scan_by_key_config_selectorIssEEZZNS1_16scan_by_key_implILNS1_25lookback_scan_determinismE0ELb0ES3_N6thrust23THRUST_200600_302600_NS6detail15normal_iteratorINS9_10device_ptrIsEEEESE_SE_sNS9_4plusIvEENS9_8equal_toIvEEsEE10hipError_tPvRmT2_T3_T4_T5_mT6_T7_P12ihipStream_tbENKUlT_T0_E_clISt17integral_constantIbLb0EESZ_EEDaSU_SV_EUlSU_E_NS1_11comp_targetILNS1_3genE4ELNS1_11target_archE910ELNS1_3gpuE8ELNS1_3repE0EEENS1_30default_config_static_selectorELNS0_4arch9wavefront6targetE0EEEvT1_
	.globl	_ZN7rocprim17ROCPRIM_400000_NS6detail17trampoline_kernelINS0_14default_configENS1_27scan_by_key_config_selectorIssEEZZNS1_16scan_by_key_implILNS1_25lookback_scan_determinismE0ELb0ES3_N6thrust23THRUST_200600_302600_NS6detail15normal_iteratorINS9_10device_ptrIsEEEESE_SE_sNS9_4plusIvEENS9_8equal_toIvEEsEE10hipError_tPvRmT2_T3_T4_T5_mT6_T7_P12ihipStream_tbENKUlT_T0_E_clISt17integral_constantIbLb0EESZ_EEDaSU_SV_EUlSU_E_NS1_11comp_targetILNS1_3genE4ELNS1_11target_archE910ELNS1_3gpuE8ELNS1_3repE0EEENS1_30default_config_static_selectorELNS0_4arch9wavefront6targetE0EEEvT1_
	.p2align	8
	.type	_ZN7rocprim17ROCPRIM_400000_NS6detail17trampoline_kernelINS0_14default_configENS1_27scan_by_key_config_selectorIssEEZZNS1_16scan_by_key_implILNS1_25lookback_scan_determinismE0ELb0ES3_N6thrust23THRUST_200600_302600_NS6detail15normal_iteratorINS9_10device_ptrIsEEEESE_SE_sNS9_4plusIvEENS9_8equal_toIvEEsEE10hipError_tPvRmT2_T3_T4_T5_mT6_T7_P12ihipStream_tbENKUlT_T0_E_clISt17integral_constantIbLb0EESZ_EEDaSU_SV_EUlSU_E_NS1_11comp_targetILNS1_3genE4ELNS1_11target_archE910ELNS1_3gpuE8ELNS1_3repE0EEENS1_30default_config_static_selectorELNS0_4arch9wavefront6targetE0EEEvT1_,@function
_ZN7rocprim17ROCPRIM_400000_NS6detail17trampoline_kernelINS0_14default_configENS1_27scan_by_key_config_selectorIssEEZZNS1_16scan_by_key_implILNS1_25lookback_scan_determinismE0ELb0ES3_N6thrust23THRUST_200600_302600_NS6detail15normal_iteratorINS9_10device_ptrIsEEEESE_SE_sNS9_4plusIvEENS9_8equal_toIvEEsEE10hipError_tPvRmT2_T3_T4_T5_mT6_T7_P12ihipStream_tbENKUlT_T0_E_clISt17integral_constantIbLb0EESZ_EEDaSU_SV_EUlSU_E_NS1_11comp_targetILNS1_3genE4ELNS1_11target_archE910ELNS1_3gpuE8ELNS1_3repE0EEENS1_30default_config_static_selectorELNS0_4arch9wavefront6targetE0EEEvT1_: ; @_ZN7rocprim17ROCPRIM_400000_NS6detail17trampoline_kernelINS0_14default_configENS1_27scan_by_key_config_selectorIssEEZZNS1_16scan_by_key_implILNS1_25lookback_scan_determinismE0ELb0ES3_N6thrust23THRUST_200600_302600_NS6detail15normal_iteratorINS9_10device_ptrIsEEEESE_SE_sNS9_4plusIvEENS9_8equal_toIvEEsEE10hipError_tPvRmT2_T3_T4_T5_mT6_T7_P12ihipStream_tbENKUlT_T0_E_clISt17integral_constantIbLb0EESZ_EEDaSU_SV_EUlSU_E_NS1_11comp_targetILNS1_3genE4ELNS1_11target_archE910ELNS1_3gpuE8ELNS1_3repE0EEENS1_30default_config_static_selectorELNS0_4arch9wavefront6targetE0EEEvT1_
; %bb.0:
	.section	.rodata,"a",@progbits
	.p2align	6, 0x0
	.amdhsa_kernel _ZN7rocprim17ROCPRIM_400000_NS6detail17trampoline_kernelINS0_14default_configENS1_27scan_by_key_config_selectorIssEEZZNS1_16scan_by_key_implILNS1_25lookback_scan_determinismE0ELb0ES3_N6thrust23THRUST_200600_302600_NS6detail15normal_iteratorINS9_10device_ptrIsEEEESE_SE_sNS9_4plusIvEENS9_8equal_toIvEEsEE10hipError_tPvRmT2_T3_T4_T5_mT6_T7_P12ihipStream_tbENKUlT_T0_E_clISt17integral_constantIbLb0EESZ_EEDaSU_SV_EUlSU_E_NS1_11comp_targetILNS1_3genE4ELNS1_11target_archE910ELNS1_3gpuE8ELNS1_3repE0EEENS1_30default_config_static_selectorELNS0_4arch9wavefront6targetE0EEEvT1_
		.amdhsa_group_segment_fixed_size 0
		.amdhsa_private_segment_fixed_size 0
		.amdhsa_kernarg_size 112
		.amdhsa_user_sgpr_count 2
		.amdhsa_user_sgpr_dispatch_ptr 0
		.amdhsa_user_sgpr_queue_ptr 0
		.amdhsa_user_sgpr_kernarg_segment_ptr 1
		.amdhsa_user_sgpr_dispatch_id 0
		.amdhsa_user_sgpr_kernarg_preload_length 0
		.amdhsa_user_sgpr_kernarg_preload_offset 0
		.amdhsa_user_sgpr_private_segment_size 0
		.amdhsa_wavefront_size32 1
		.amdhsa_uses_dynamic_stack 0
		.amdhsa_enable_private_segment 0
		.amdhsa_system_sgpr_workgroup_id_x 1
		.amdhsa_system_sgpr_workgroup_id_y 0
		.amdhsa_system_sgpr_workgroup_id_z 0
		.amdhsa_system_sgpr_workgroup_info 0
		.amdhsa_system_vgpr_workitem_id 0
		.amdhsa_next_free_vgpr 1
		.amdhsa_next_free_sgpr 1
		.amdhsa_named_barrier_count 0
		.amdhsa_reserve_vcc 0
		.amdhsa_float_round_mode_32 0
		.amdhsa_float_round_mode_16_64 0
		.amdhsa_float_denorm_mode_32 3
		.amdhsa_float_denorm_mode_16_64 3
		.amdhsa_fp16_overflow 0
		.amdhsa_memory_ordered 1
		.amdhsa_forward_progress 1
		.amdhsa_inst_pref_size 0
		.amdhsa_round_robin_scheduling 0
		.amdhsa_exception_fp_ieee_invalid_op 0
		.amdhsa_exception_fp_denorm_src 0
		.amdhsa_exception_fp_ieee_div_zero 0
		.amdhsa_exception_fp_ieee_overflow 0
		.amdhsa_exception_fp_ieee_underflow 0
		.amdhsa_exception_fp_ieee_inexact 0
		.amdhsa_exception_int_div_zero 0
	.end_amdhsa_kernel
	.section	.text._ZN7rocprim17ROCPRIM_400000_NS6detail17trampoline_kernelINS0_14default_configENS1_27scan_by_key_config_selectorIssEEZZNS1_16scan_by_key_implILNS1_25lookback_scan_determinismE0ELb0ES3_N6thrust23THRUST_200600_302600_NS6detail15normal_iteratorINS9_10device_ptrIsEEEESE_SE_sNS9_4plusIvEENS9_8equal_toIvEEsEE10hipError_tPvRmT2_T3_T4_T5_mT6_T7_P12ihipStream_tbENKUlT_T0_E_clISt17integral_constantIbLb0EESZ_EEDaSU_SV_EUlSU_E_NS1_11comp_targetILNS1_3genE4ELNS1_11target_archE910ELNS1_3gpuE8ELNS1_3repE0EEENS1_30default_config_static_selectorELNS0_4arch9wavefront6targetE0EEEvT1_,"axG",@progbits,_ZN7rocprim17ROCPRIM_400000_NS6detail17trampoline_kernelINS0_14default_configENS1_27scan_by_key_config_selectorIssEEZZNS1_16scan_by_key_implILNS1_25lookback_scan_determinismE0ELb0ES3_N6thrust23THRUST_200600_302600_NS6detail15normal_iteratorINS9_10device_ptrIsEEEESE_SE_sNS9_4plusIvEENS9_8equal_toIvEEsEE10hipError_tPvRmT2_T3_T4_T5_mT6_T7_P12ihipStream_tbENKUlT_T0_E_clISt17integral_constantIbLb0EESZ_EEDaSU_SV_EUlSU_E_NS1_11comp_targetILNS1_3genE4ELNS1_11target_archE910ELNS1_3gpuE8ELNS1_3repE0EEENS1_30default_config_static_selectorELNS0_4arch9wavefront6targetE0EEEvT1_,comdat
.Lfunc_end242:
	.size	_ZN7rocprim17ROCPRIM_400000_NS6detail17trampoline_kernelINS0_14default_configENS1_27scan_by_key_config_selectorIssEEZZNS1_16scan_by_key_implILNS1_25lookback_scan_determinismE0ELb0ES3_N6thrust23THRUST_200600_302600_NS6detail15normal_iteratorINS9_10device_ptrIsEEEESE_SE_sNS9_4plusIvEENS9_8equal_toIvEEsEE10hipError_tPvRmT2_T3_T4_T5_mT6_T7_P12ihipStream_tbENKUlT_T0_E_clISt17integral_constantIbLb0EESZ_EEDaSU_SV_EUlSU_E_NS1_11comp_targetILNS1_3genE4ELNS1_11target_archE910ELNS1_3gpuE8ELNS1_3repE0EEENS1_30default_config_static_selectorELNS0_4arch9wavefront6targetE0EEEvT1_, .Lfunc_end242-_ZN7rocprim17ROCPRIM_400000_NS6detail17trampoline_kernelINS0_14default_configENS1_27scan_by_key_config_selectorIssEEZZNS1_16scan_by_key_implILNS1_25lookback_scan_determinismE0ELb0ES3_N6thrust23THRUST_200600_302600_NS6detail15normal_iteratorINS9_10device_ptrIsEEEESE_SE_sNS9_4plusIvEENS9_8equal_toIvEEsEE10hipError_tPvRmT2_T3_T4_T5_mT6_T7_P12ihipStream_tbENKUlT_T0_E_clISt17integral_constantIbLb0EESZ_EEDaSU_SV_EUlSU_E_NS1_11comp_targetILNS1_3genE4ELNS1_11target_archE910ELNS1_3gpuE8ELNS1_3repE0EEENS1_30default_config_static_selectorELNS0_4arch9wavefront6targetE0EEEvT1_
                                        ; -- End function
	.set _ZN7rocprim17ROCPRIM_400000_NS6detail17trampoline_kernelINS0_14default_configENS1_27scan_by_key_config_selectorIssEEZZNS1_16scan_by_key_implILNS1_25lookback_scan_determinismE0ELb0ES3_N6thrust23THRUST_200600_302600_NS6detail15normal_iteratorINS9_10device_ptrIsEEEESE_SE_sNS9_4plusIvEENS9_8equal_toIvEEsEE10hipError_tPvRmT2_T3_T4_T5_mT6_T7_P12ihipStream_tbENKUlT_T0_E_clISt17integral_constantIbLb0EESZ_EEDaSU_SV_EUlSU_E_NS1_11comp_targetILNS1_3genE4ELNS1_11target_archE910ELNS1_3gpuE8ELNS1_3repE0EEENS1_30default_config_static_selectorELNS0_4arch9wavefront6targetE0EEEvT1_.num_vgpr, 0
	.set _ZN7rocprim17ROCPRIM_400000_NS6detail17trampoline_kernelINS0_14default_configENS1_27scan_by_key_config_selectorIssEEZZNS1_16scan_by_key_implILNS1_25lookback_scan_determinismE0ELb0ES3_N6thrust23THRUST_200600_302600_NS6detail15normal_iteratorINS9_10device_ptrIsEEEESE_SE_sNS9_4plusIvEENS9_8equal_toIvEEsEE10hipError_tPvRmT2_T3_T4_T5_mT6_T7_P12ihipStream_tbENKUlT_T0_E_clISt17integral_constantIbLb0EESZ_EEDaSU_SV_EUlSU_E_NS1_11comp_targetILNS1_3genE4ELNS1_11target_archE910ELNS1_3gpuE8ELNS1_3repE0EEENS1_30default_config_static_selectorELNS0_4arch9wavefront6targetE0EEEvT1_.num_agpr, 0
	.set _ZN7rocprim17ROCPRIM_400000_NS6detail17trampoline_kernelINS0_14default_configENS1_27scan_by_key_config_selectorIssEEZZNS1_16scan_by_key_implILNS1_25lookback_scan_determinismE0ELb0ES3_N6thrust23THRUST_200600_302600_NS6detail15normal_iteratorINS9_10device_ptrIsEEEESE_SE_sNS9_4plusIvEENS9_8equal_toIvEEsEE10hipError_tPvRmT2_T3_T4_T5_mT6_T7_P12ihipStream_tbENKUlT_T0_E_clISt17integral_constantIbLb0EESZ_EEDaSU_SV_EUlSU_E_NS1_11comp_targetILNS1_3genE4ELNS1_11target_archE910ELNS1_3gpuE8ELNS1_3repE0EEENS1_30default_config_static_selectorELNS0_4arch9wavefront6targetE0EEEvT1_.numbered_sgpr, 0
	.set _ZN7rocprim17ROCPRIM_400000_NS6detail17trampoline_kernelINS0_14default_configENS1_27scan_by_key_config_selectorIssEEZZNS1_16scan_by_key_implILNS1_25lookback_scan_determinismE0ELb0ES3_N6thrust23THRUST_200600_302600_NS6detail15normal_iteratorINS9_10device_ptrIsEEEESE_SE_sNS9_4plusIvEENS9_8equal_toIvEEsEE10hipError_tPvRmT2_T3_T4_T5_mT6_T7_P12ihipStream_tbENKUlT_T0_E_clISt17integral_constantIbLb0EESZ_EEDaSU_SV_EUlSU_E_NS1_11comp_targetILNS1_3genE4ELNS1_11target_archE910ELNS1_3gpuE8ELNS1_3repE0EEENS1_30default_config_static_selectorELNS0_4arch9wavefront6targetE0EEEvT1_.num_named_barrier, 0
	.set _ZN7rocprim17ROCPRIM_400000_NS6detail17trampoline_kernelINS0_14default_configENS1_27scan_by_key_config_selectorIssEEZZNS1_16scan_by_key_implILNS1_25lookback_scan_determinismE0ELb0ES3_N6thrust23THRUST_200600_302600_NS6detail15normal_iteratorINS9_10device_ptrIsEEEESE_SE_sNS9_4plusIvEENS9_8equal_toIvEEsEE10hipError_tPvRmT2_T3_T4_T5_mT6_T7_P12ihipStream_tbENKUlT_T0_E_clISt17integral_constantIbLb0EESZ_EEDaSU_SV_EUlSU_E_NS1_11comp_targetILNS1_3genE4ELNS1_11target_archE910ELNS1_3gpuE8ELNS1_3repE0EEENS1_30default_config_static_selectorELNS0_4arch9wavefront6targetE0EEEvT1_.private_seg_size, 0
	.set _ZN7rocprim17ROCPRIM_400000_NS6detail17trampoline_kernelINS0_14default_configENS1_27scan_by_key_config_selectorIssEEZZNS1_16scan_by_key_implILNS1_25lookback_scan_determinismE0ELb0ES3_N6thrust23THRUST_200600_302600_NS6detail15normal_iteratorINS9_10device_ptrIsEEEESE_SE_sNS9_4plusIvEENS9_8equal_toIvEEsEE10hipError_tPvRmT2_T3_T4_T5_mT6_T7_P12ihipStream_tbENKUlT_T0_E_clISt17integral_constantIbLb0EESZ_EEDaSU_SV_EUlSU_E_NS1_11comp_targetILNS1_3genE4ELNS1_11target_archE910ELNS1_3gpuE8ELNS1_3repE0EEENS1_30default_config_static_selectorELNS0_4arch9wavefront6targetE0EEEvT1_.uses_vcc, 0
	.set _ZN7rocprim17ROCPRIM_400000_NS6detail17trampoline_kernelINS0_14default_configENS1_27scan_by_key_config_selectorIssEEZZNS1_16scan_by_key_implILNS1_25lookback_scan_determinismE0ELb0ES3_N6thrust23THRUST_200600_302600_NS6detail15normal_iteratorINS9_10device_ptrIsEEEESE_SE_sNS9_4plusIvEENS9_8equal_toIvEEsEE10hipError_tPvRmT2_T3_T4_T5_mT6_T7_P12ihipStream_tbENKUlT_T0_E_clISt17integral_constantIbLb0EESZ_EEDaSU_SV_EUlSU_E_NS1_11comp_targetILNS1_3genE4ELNS1_11target_archE910ELNS1_3gpuE8ELNS1_3repE0EEENS1_30default_config_static_selectorELNS0_4arch9wavefront6targetE0EEEvT1_.uses_flat_scratch, 0
	.set _ZN7rocprim17ROCPRIM_400000_NS6detail17trampoline_kernelINS0_14default_configENS1_27scan_by_key_config_selectorIssEEZZNS1_16scan_by_key_implILNS1_25lookback_scan_determinismE0ELb0ES3_N6thrust23THRUST_200600_302600_NS6detail15normal_iteratorINS9_10device_ptrIsEEEESE_SE_sNS9_4plusIvEENS9_8equal_toIvEEsEE10hipError_tPvRmT2_T3_T4_T5_mT6_T7_P12ihipStream_tbENKUlT_T0_E_clISt17integral_constantIbLb0EESZ_EEDaSU_SV_EUlSU_E_NS1_11comp_targetILNS1_3genE4ELNS1_11target_archE910ELNS1_3gpuE8ELNS1_3repE0EEENS1_30default_config_static_selectorELNS0_4arch9wavefront6targetE0EEEvT1_.has_dyn_sized_stack, 0
	.set _ZN7rocprim17ROCPRIM_400000_NS6detail17trampoline_kernelINS0_14default_configENS1_27scan_by_key_config_selectorIssEEZZNS1_16scan_by_key_implILNS1_25lookback_scan_determinismE0ELb0ES3_N6thrust23THRUST_200600_302600_NS6detail15normal_iteratorINS9_10device_ptrIsEEEESE_SE_sNS9_4plusIvEENS9_8equal_toIvEEsEE10hipError_tPvRmT2_T3_T4_T5_mT6_T7_P12ihipStream_tbENKUlT_T0_E_clISt17integral_constantIbLb0EESZ_EEDaSU_SV_EUlSU_E_NS1_11comp_targetILNS1_3genE4ELNS1_11target_archE910ELNS1_3gpuE8ELNS1_3repE0EEENS1_30default_config_static_selectorELNS0_4arch9wavefront6targetE0EEEvT1_.has_recursion, 0
	.set _ZN7rocprim17ROCPRIM_400000_NS6detail17trampoline_kernelINS0_14default_configENS1_27scan_by_key_config_selectorIssEEZZNS1_16scan_by_key_implILNS1_25lookback_scan_determinismE0ELb0ES3_N6thrust23THRUST_200600_302600_NS6detail15normal_iteratorINS9_10device_ptrIsEEEESE_SE_sNS9_4plusIvEENS9_8equal_toIvEEsEE10hipError_tPvRmT2_T3_T4_T5_mT6_T7_P12ihipStream_tbENKUlT_T0_E_clISt17integral_constantIbLb0EESZ_EEDaSU_SV_EUlSU_E_NS1_11comp_targetILNS1_3genE4ELNS1_11target_archE910ELNS1_3gpuE8ELNS1_3repE0EEENS1_30default_config_static_selectorELNS0_4arch9wavefront6targetE0EEEvT1_.has_indirect_call, 0
	.section	.AMDGPU.csdata,"",@progbits
; Kernel info:
; codeLenInByte = 0
; TotalNumSgprs: 0
; NumVgprs: 0
; ScratchSize: 0
; MemoryBound: 0
; FloatMode: 240
; IeeeMode: 1
; LDSByteSize: 0 bytes/workgroup (compile time only)
; SGPRBlocks: 0
; VGPRBlocks: 0
; NumSGPRsForWavesPerEU: 1
; NumVGPRsForWavesPerEU: 1
; NamedBarCnt: 0
; Occupancy: 16
; WaveLimiterHint : 0
; COMPUTE_PGM_RSRC2:SCRATCH_EN: 0
; COMPUTE_PGM_RSRC2:USER_SGPR: 2
; COMPUTE_PGM_RSRC2:TRAP_HANDLER: 0
; COMPUTE_PGM_RSRC2:TGID_X_EN: 1
; COMPUTE_PGM_RSRC2:TGID_Y_EN: 0
; COMPUTE_PGM_RSRC2:TGID_Z_EN: 0
; COMPUTE_PGM_RSRC2:TIDIG_COMP_CNT: 0
	.section	.text._ZN7rocprim17ROCPRIM_400000_NS6detail17trampoline_kernelINS0_14default_configENS1_27scan_by_key_config_selectorIssEEZZNS1_16scan_by_key_implILNS1_25lookback_scan_determinismE0ELb0ES3_N6thrust23THRUST_200600_302600_NS6detail15normal_iteratorINS9_10device_ptrIsEEEESE_SE_sNS9_4plusIvEENS9_8equal_toIvEEsEE10hipError_tPvRmT2_T3_T4_T5_mT6_T7_P12ihipStream_tbENKUlT_T0_E_clISt17integral_constantIbLb0EESZ_EEDaSU_SV_EUlSU_E_NS1_11comp_targetILNS1_3genE3ELNS1_11target_archE908ELNS1_3gpuE7ELNS1_3repE0EEENS1_30default_config_static_selectorELNS0_4arch9wavefront6targetE0EEEvT1_,"axG",@progbits,_ZN7rocprim17ROCPRIM_400000_NS6detail17trampoline_kernelINS0_14default_configENS1_27scan_by_key_config_selectorIssEEZZNS1_16scan_by_key_implILNS1_25lookback_scan_determinismE0ELb0ES3_N6thrust23THRUST_200600_302600_NS6detail15normal_iteratorINS9_10device_ptrIsEEEESE_SE_sNS9_4plusIvEENS9_8equal_toIvEEsEE10hipError_tPvRmT2_T3_T4_T5_mT6_T7_P12ihipStream_tbENKUlT_T0_E_clISt17integral_constantIbLb0EESZ_EEDaSU_SV_EUlSU_E_NS1_11comp_targetILNS1_3genE3ELNS1_11target_archE908ELNS1_3gpuE7ELNS1_3repE0EEENS1_30default_config_static_selectorELNS0_4arch9wavefront6targetE0EEEvT1_,comdat
	.protected	_ZN7rocprim17ROCPRIM_400000_NS6detail17trampoline_kernelINS0_14default_configENS1_27scan_by_key_config_selectorIssEEZZNS1_16scan_by_key_implILNS1_25lookback_scan_determinismE0ELb0ES3_N6thrust23THRUST_200600_302600_NS6detail15normal_iteratorINS9_10device_ptrIsEEEESE_SE_sNS9_4plusIvEENS9_8equal_toIvEEsEE10hipError_tPvRmT2_T3_T4_T5_mT6_T7_P12ihipStream_tbENKUlT_T0_E_clISt17integral_constantIbLb0EESZ_EEDaSU_SV_EUlSU_E_NS1_11comp_targetILNS1_3genE3ELNS1_11target_archE908ELNS1_3gpuE7ELNS1_3repE0EEENS1_30default_config_static_selectorELNS0_4arch9wavefront6targetE0EEEvT1_ ; -- Begin function _ZN7rocprim17ROCPRIM_400000_NS6detail17trampoline_kernelINS0_14default_configENS1_27scan_by_key_config_selectorIssEEZZNS1_16scan_by_key_implILNS1_25lookback_scan_determinismE0ELb0ES3_N6thrust23THRUST_200600_302600_NS6detail15normal_iteratorINS9_10device_ptrIsEEEESE_SE_sNS9_4plusIvEENS9_8equal_toIvEEsEE10hipError_tPvRmT2_T3_T4_T5_mT6_T7_P12ihipStream_tbENKUlT_T0_E_clISt17integral_constantIbLb0EESZ_EEDaSU_SV_EUlSU_E_NS1_11comp_targetILNS1_3genE3ELNS1_11target_archE908ELNS1_3gpuE7ELNS1_3repE0EEENS1_30default_config_static_selectorELNS0_4arch9wavefront6targetE0EEEvT1_
	.globl	_ZN7rocprim17ROCPRIM_400000_NS6detail17trampoline_kernelINS0_14default_configENS1_27scan_by_key_config_selectorIssEEZZNS1_16scan_by_key_implILNS1_25lookback_scan_determinismE0ELb0ES3_N6thrust23THRUST_200600_302600_NS6detail15normal_iteratorINS9_10device_ptrIsEEEESE_SE_sNS9_4plusIvEENS9_8equal_toIvEEsEE10hipError_tPvRmT2_T3_T4_T5_mT6_T7_P12ihipStream_tbENKUlT_T0_E_clISt17integral_constantIbLb0EESZ_EEDaSU_SV_EUlSU_E_NS1_11comp_targetILNS1_3genE3ELNS1_11target_archE908ELNS1_3gpuE7ELNS1_3repE0EEENS1_30default_config_static_selectorELNS0_4arch9wavefront6targetE0EEEvT1_
	.p2align	8
	.type	_ZN7rocprim17ROCPRIM_400000_NS6detail17trampoline_kernelINS0_14default_configENS1_27scan_by_key_config_selectorIssEEZZNS1_16scan_by_key_implILNS1_25lookback_scan_determinismE0ELb0ES3_N6thrust23THRUST_200600_302600_NS6detail15normal_iteratorINS9_10device_ptrIsEEEESE_SE_sNS9_4plusIvEENS9_8equal_toIvEEsEE10hipError_tPvRmT2_T3_T4_T5_mT6_T7_P12ihipStream_tbENKUlT_T0_E_clISt17integral_constantIbLb0EESZ_EEDaSU_SV_EUlSU_E_NS1_11comp_targetILNS1_3genE3ELNS1_11target_archE908ELNS1_3gpuE7ELNS1_3repE0EEENS1_30default_config_static_selectorELNS0_4arch9wavefront6targetE0EEEvT1_,@function
_ZN7rocprim17ROCPRIM_400000_NS6detail17trampoline_kernelINS0_14default_configENS1_27scan_by_key_config_selectorIssEEZZNS1_16scan_by_key_implILNS1_25lookback_scan_determinismE0ELb0ES3_N6thrust23THRUST_200600_302600_NS6detail15normal_iteratorINS9_10device_ptrIsEEEESE_SE_sNS9_4plusIvEENS9_8equal_toIvEEsEE10hipError_tPvRmT2_T3_T4_T5_mT6_T7_P12ihipStream_tbENKUlT_T0_E_clISt17integral_constantIbLb0EESZ_EEDaSU_SV_EUlSU_E_NS1_11comp_targetILNS1_3genE3ELNS1_11target_archE908ELNS1_3gpuE7ELNS1_3repE0EEENS1_30default_config_static_selectorELNS0_4arch9wavefront6targetE0EEEvT1_: ; @_ZN7rocprim17ROCPRIM_400000_NS6detail17trampoline_kernelINS0_14default_configENS1_27scan_by_key_config_selectorIssEEZZNS1_16scan_by_key_implILNS1_25lookback_scan_determinismE0ELb0ES3_N6thrust23THRUST_200600_302600_NS6detail15normal_iteratorINS9_10device_ptrIsEEEESE_SE_sNS9_4plusIvEENS9_8equal_toIvEEsEE10hipError_tPvRmT2_T3_T4_T5_mT6_T7_P12ihipStream_tbENKUlT_T0_E_clISt17integral_constantIbLb0EESZ_EEDaSU_SV_EUlSU_E_NS1_11comp_targetILNS1_3genE3ELNS1_11target_archE908ELNS1_3gpuE7ELNS1_3repE0EEENS1_30default_config_static_selectorELNS0_4arch9wavefront6targetE0EEEvT1_
; %bb.0:
	.section	.rodata,"a",@progbits
	.p2align	6, 0x0
	.amdhsa_kernel _ZN7rocprim17ROCPRIM_400000_NS6detail17trampoline_kernelINS0_14default_configENS1_27scan_by_key_config_selectorIssEEZZNS1_16scan_by_key_implILNS1_25lookback_scan_determinismE0ELb0ES3_N6thrust23THRUST_200600_302600_NS6detail15normal_iteratorINS9_10device_ptrIsEEEESE_SE_sNS9_4plusIvEENS9_8equal_toIvEEsEE10hipError_tPvRmT2_T3_T4_T5_mT6_T7_P12ihipStream_tbENKUlT_T0_E_clISt17integral_constantIbLb0EESZ_EEDaSU_SV_EUlSU_E_NS1_11comp_targetILNS1_3genE3ELNS1_11target_archE908ELNS1_3gpuE7ELNS1_3repE0EEENS1_30default_config_static_selectorELNS0_4arch9wavefront6targetE0EEEvT1_
		.amdhsa_group_segment_fixed_size 0
		.amdhsa_private_segment_fixed_size 0
		.amdhsa_kernarg_size 112
		.amdhsa_user_sgpr_count 2
		.amdhsa_user_sgpr_dispatch_ptr 0
		.amdhsa_user_sgpr_queue_ptr 0
		.amdhsa_user_sgpr_kernarg_segment_ptr 1
		.amdhsa_user_sgpr_dispatch_id 0
		.amdhsa_user_sgpr_kernarg_preload_length 0
		.amdhsa_user_sgpr_kernarg_preload_offset 0
		.amdhsa_user_sgpr_private_segment_size 0
		.amdhsa_wavefront_size32 1
		.amdhsa_uses_dynamic_stack 0
		.amdhsa_enable_private_segment 0
		.amdhsa_system_sgpr_workgroup_id_x 1
		.amdhsa_system_sgpr_workgroup_id_y 0
		.amdhsa_system_sgpr_workgroup_id_z 0
		.amdhsa_system_sgpr_workgroup_info 0
		.amdhsa_system_vgpr_workitem_id 0
		.amdhsa_next_free_vgpr 1
		.amdhsa_next_free_sgpr 1
		.amdhsa_named_barrier_count 0
		.amdhsa_reserve_vcc 0
		.amdhsa_float_round_mode_32 0
		.amdhsa_float_round_mode_16_64 0
		.amdhsa_float_denorm_mode_32 3
		.amdhsa_float_denorm_mode_16_64 3
		.amdhsa_fp16_overflow 0
		.amdhsa_memory_ordered 1
		.amdhsa_forward_progress 1
		.amdhsa_inst_pref_size 0
		.amdhsa_round_robin_scheduling 0
		.amdhsa_exception_fp_ieee_invalid_op 0
		.amdhsa_exception_fp_denorm_src 0
		.amdhsa_exception_fp_ieee_div_zero 0
		.amdhsa_exception_fp_ieee_overflow 0
		.amdhsa_exception_fp_ieee_underflow 0
		.amdhsa_exception_fp_ieee_inexact 0
		.amdhsa_exception_int_div_zero 0
	.end_amdhsa_kernel
	.section	.text._ZN7rocprim17ROCPRIM_400000_NS6detail17trampoline_kernelINS0_14default_configENS1_27scan_by_key_config_selectorIssEEZZNS1_16scan_by_key_implILNS1_25lookback_scan_determinismE0ELb0ES3_N6thrust23THRUST_200600_302600_NS6detail15normal_iteratorINS9_10device_ptrIsEEEESE_SE_sNS9_4plusIvEENS9_8equal_toIvEEsEE10hipError_tPvRmT2_T3_T4_T5_mT6_T7_P12ihipStream_tbENKUlT_T0_E_clISt17integral_constantIbLb0EESZ_EEDaSU_SV_EUlSU_E_NS1_11comp_targetILNS1_3genE3ELNS1_11target_archE908ELNS1_3gpuE7ELNS1_3repE0EEENS1_30default_config_static_selectorELNS0_4arch9wavefront6targetE0EEEvT1_,"axG",@progbits,_ZN7rocprim17ROCPRIM_400000_NS6detail17trampoline_kernelINS0_14default_configENS1_27scan_by_key_config_selectorIssEEZZNS1_16scan_by_key_implILNS1_25lookback_scan_determinismE0ELb0ES3_N6thrust23THRUST_200600_302600_NS6detail15normal_iteratorINS9_10device_ptrIsEEEESE_SE_sNS9_4plusIvEENS9_8equal_toIvEEsEE10hipError_tPvRmT2_T3_T4_T5_mT6_T7_P12ihipStream_tbENKUlT_T0_E_clISt17integral_constantIbLb0EESZ_EEDaSU_SV_EUlSU_E_NS1_11comp_targetILNS1_3genE3ELNS1_11target_archE908ELNS1_3gpuE7ELNS1_3repE0EEENS1_30default_config_static_selectorELNS0_4arch9wavefront6targetE0EEEvT1_,comdat
.Lfunc_end243:
	.size	_ZN7rocprim17ROCPRIM_400000_NS6detail17trampoline_kernelINS0_14default_configENS1_27scan_by_key_config_selectorIssEEZZNS1_16scan_by_key_implILNS1_25lookback_scan_determinismE0ELb0ES3_N6thrust23THRUST_200600_302600_NS6detail15normal_iteratorINS9_10device_ptrIsEEEESE_SE_sNS9_4plusIvEENS9_8equal_toIvEEsEE10hipError_tPvRmT2_T3_T4_T5_mT6_T7_P12ihipStream_tbENKUlT_T0_E_clISt17integral_constantIbLb0EESZ_EEDaSU_SV_EUlSU_E_NS1_11comp_targetILNS1_3genE3ELNS1_11target_archE908ELNS1_3gpuE7ELNS1_3repE0EEENS1_30default_config_static_selectorELNS0_4arch9wavefront6targetE0EEEvT1_, .Lfunc_end243-_ZN7rocprim17ROCPRIM_400000_NS6detail17trampoline_kernelINS0_14default_configENS1_27scan_by_key_config_selectorIssEEZZNS1_16scan_by_key_implILNS1_25lookback_scan_determinismE0ELb0ES3_N6thrust23THRUST_200600_302600_NS6detail15normal_iteratorINS9_10device_ptrIsEEEESE_SE_sNS9_4plusIvEENS9_8equal_toIvEEsEE10hipError_tPvRmT2_T3_T4_T5_mT6_T7_P12ihipStream_tbENKUlT_T0_E_clISt17integral_constantIbLb0EESZ_EEDaSU_SV_EUlSU_E_NS1_11comp_targetILNS1_3genE3ELNS1_11target_archE908ELNS1_3gpuE7ELNS1_3repE0EEENS1_30default_config_static_selectorELNS0_4arch9wavefront6targetE0EEEvT1_
                                        ; -- End function
	.set _ZN7rocprim17ROCPRIM_400000_NS6detail17trampoline_kernelINS0_14default_configENS1_27scan_by_key_config_selectorIssEEZZNS1_16scan_by_key_implILNS1_25lookback_scan_determinismE0ELb0ES3_N6thrust23THRUST_200600_302600_NS6detail15normal_iteratorINS9_10device_ptrIsEEEESE_SE_sNS9_4plusIvEENS9_8equal_toIvEEsEE10hipError_tPvRmT2_T3_T4_T5_mT6_T7_P12ihipStream_tbENKUlT_T0_E_clISt17integral_constantIbLb0EESZ_EEDaSU_SV_EUlSU_E_NS1_11comp_targetILNS1_3genE3ELNS1_11target_archE908ELNS1_3gpuE7ELNS1_3repE0EEENS1_30default_config_static_selectorELNS0_4arch9wavefront6targetE0EEEvT1_.num_vgpr, 0
	.set _ZN7rocprim17ROCPRIM_400000_NS6detail17trampoline_kernelINS0_14default_configENS1_27scan_by_key_config_selectorIssEEZZNS1_16scan_by_key_implILNS1_25lookback_scan_determinismE0ELb0ES3_N6thrust23THRUST_200600_302600_NS6detail15normal_iteratorINS9_10device_ptrIsEEEESE_SE_sNS9_4plusIvEENS9_8equal_toIvEEsEE10hipError_tPvRmT2_T3_T4_T5_mT6_T7_P12ihipStream_tbENKUlT_T0_E_clISt17integral_constantIbLb0EESZ_EEDaSU_SV_EUlSU_E_NS1_11comp_targetILNS1_3genE3ELNS1_11target_archE908ELNS1_3gpuE7ELNS1_3repE0EEENS1_30default_config_static_selectorELNS0_4arch9wavefront6targetE0EEEvT1_.num_agpr, 0
	.set _ZN7rocprim17ROCPRIM_400000_NS6detail17trampoline_kernelINS0_14default_configENS1_27scan_by_key_config_selectorIssEEZZNS1_16scan_by_key_implILNS1_25lookback_scan_determinismE0ELb0ES3_N6thrust23THRUST_200600_302600_NS6detail15normal_iteratorINS9_10device_ptrIsEEEESE_SE_sNS9_4plusIvEENS9_8equal_toIvEEsEE10hipError_tPvRmT2_T3_T4_T5_mT6_T7_P12ihipStream_tbENKUlT_T0_E_clISt17integral_constantIbLb0EESZ_EEDaSU_SV_EUlSU_E_NS1_11comp_targetILNS1_3genE3ELNS1_11target_archE908ELNS1_3gpuE7ELNS1_3repE0EEENS1_30default_config_static_selectorELNS0_4arch9wavefront6targetE0EEEvT1_.numbered_sgpr, 0
	.set _ZN7rocprim17ROCPRIM_400000_NS6detail17trampoline_kernelINS0_14default_configENS1_27scan_by_key_config_selectorIssEEZZNS1_16scan_by_key_implILNS1_25lookback_scan_determinismE0ELb0ES3_N6thrust23THRUST_200600_302600_NS6detail15normal_iteratorINS9_10device_ptrIsEEEESE_SE_sNS9_4plusIvEENS9_8equal_toIvEEsEE10hipError_tPvRmT2_T3_T4_T5_mT6_T7_P12ihipStream_tbENKUlT_T0_E_clISt17integral_constantIbLb0EESZ_EEDaSU_SV_EUlSU_E_NS1_11comp_targetILNS1_3genE3ELNS1_11target_archE908ELNS1_3gpuE7ELNS1_3repE0EEENS1_30default_config_static_selectorELNS0_4arch9wavefront6targetE0EEEvT1_.num_named_barrier, 0
	.set _ZN7rocprim17ROCPRIM_400000_NS6detail17trampoline_kernelINS0_14default_configENS1_27scan_by_key_config_selectorIssEEZZNS1_16scan_by_key_implILNS1_25lookback_scan_determinismE0ELb0ES3_N6thrust23THRUST_200600_302600_NS6detail15normal_iteratorINS9_10device_ptrIsEEEESE_SE_sNS9_4plusIvEENS9_8equal_toIvEEsEE10hipError_tPvRmT2_T3_T4_T5_mT6_T7_P12ihipStream_tbENKUlT_T0_E_clISt17integral_constantIbLb0EESZ_EEDaSU_SV_EUlSU_E_NS1_11comp_targetILNS1_3genE3ELNS1_11target_archE908ELNS1_3gpuE7ELNS1_3repE0EEENS1_30default_config_static_selectorELNS0_4arch9wavefront6targetE0EEEvT1_.private_seg_size, 0
	.set _ZN7rocprim17ROCPRIM_400000_NS6detail17trampoline_kernelINS0_14default_configENS1_27scan_by_key_config_selectorIssEEZZNS1_16scan_by_key_implILNS1_25lookback_scan_determinismE0ELb0ES3_N6thrust23THRUST_200600_302600_NS6detail15normal_iteratorINS9_10device_ptrIsEEEESE_SE_sNS9_4plusIvEENS9_8equal_toIvEEsEE10hipError_tPvRmT2_T3_T4_T5_mT6_T7_P12ihipStream_tbENKUlT_T0_E_clISt17integral_constantIbLb0EESZ_EEDaSU_SV_EUlSU_E_NS1_11comp_targetILNS1_3genE3ELNS1_11target_archE908ELNS1_3gpuE7ELNS1_3repE0EEENS1_30default_config_static_selectorELNS0_4arch9wavefront6targetE0EEEvT1_.uses_vcc, 0
	.set _ZN7rocprim17ROCPRIM_400000_NS6detail17trampoline_kernelINS0_14default_configENS1_27scan_by_key_config_selectorIssEEZZNS1_16scan_by_key_implILNS1_25lookback_scan_determinismE0ELb0ES3_N6thrust23THRUST_200600_302600_NS6detail15normal_iteratorINS9_10device_ptrIsEEEESE_SE_sNS9_4plusIvEENS9_8equal_toIvEEsEE10hipError_tPvRmT2_T3_T4_T5_mT6_T7_P12ihipStream_tbENKUlT_T0_E_clISt17integral_constantIbLb0EESZ_EEDaSU_SV_EUlSU_E_NS1_11comp_targetILNS1_3genE3ELNS1_11target_archE908ELNS1_3gpuE7ELNS1_3repE0EEENS1_30default_config_static_selectorELNS0_4arch9wavefront6targetE0EEEvT1_.uses_flat_scratch, 0
	.set _ZN7rocprim17ROCPRIM_400000_NS6detail17trampoline_kernelINS0_14default_configENS1_27scan_by_key_config_selectorIssEEZZNS1_16scan_by_key_implILNS1_25lookback_scan_determinismE0ELb0ES3_N6thrust23THRUST_200600_302600_NS6detail15normal_iteratorINS9_10device_ptrIsEEEESE_SE_sNS9_4plusIvEENS9_8equal_toIvEEsEE10hipError_tPvRmT2_T3_T4_T5_mT6_T7_P12ihipStream_tbENKUlT_T0_E_clISt17integral_constantIbLb0EESZ_EEDaSU_SV_EUlSU_E_NS1_11comp_targetILNS1_3genE3ELNS1_11target_archE908ELNS1_3gpuE7ELNS1_3repE0EEENS1_30default_config_static_selectorELNS0_4arch9wavefront6targetE0EEEvT1_.has_dyn_sized_stack, 0
	.set _ZN7rocprim17ROCPRIM_400000_NS6detail17trampoline_kernelINS0_14default_configENS1_27scan_by_key_config_selectorIssEEZZNS1_16scan_by_key_implILNS1_25lookback_scan_determinismE0ELb0ES3_N6thrust23THRUST_200600_302600_NS6detail15normal_iteratorINS9_10device_ptrIsEEEESE_SE_sNS9_4plusIvEENS9_8equal_toIvEEsEE10hipError_tPvRmT2_T3_T4_T5_mT6_T7_P12ihipStream_tbENKUlT_T0_E_clISt17integral_constantIbLb0EESZ_EEDaSU_SV_EUlSU_E_NS1_11comp_targetILNS1_3genE3ELNS1_11target_archE908ELNS1_3gpuE7ELNS1_3repE0EEENS1_30default_config_static_selectorELNS0_4arch9wavefront6targetE0EEEvT1_.has_recursion, 0
	.set _ZN7rocprim17ROCPRIM_400000_NS6detail17trampoline_kernelINS0_14default_configENS1_27scan_by_key_config_selectorIssEEZZNS1_16scan_by_key_implILNS1_25lookback_scan_determinismE0ELb0ES3_N6thrust23THRUST_200600_302600_NS6detail15normal_iteratorINS9_10device_ptrIsEEEESE_SE_sNS9_4plusIvEENS9_8equal_toIvEEsEE10hipError_tPvRmT2_T3_T4_T5_mT6_T7_P12ihipStream_tbENKUlT_T0_E_clISt17integral_constantIbLb0EESZ_EEDaSU_SV_EUlSU_E_NS1_11comp_targetILNS1_3genE3ELNS1_11target_archE908ELNS1_3gpuE7ELNS1_3repE0EEENS1_30default_config_static_selectorELNS0_4arch9wavefront6targetE0EEEvT1_.has_indirect_call, 0
	.section	.AMDGPU.csdata,"",@progbits
; Kernel info:
; codeLenInByte = 0
; TotalNumSgprs: 0
; NumVgprs: 0
; ScratchSize: 0
; MemoryBound: 0
; FloatMode: 240
; IeeeMode: 1
; LDSByteSize: 0 bytes/workgroup (compile time only)
; SGPRBlocks: 0
; VGPRBlocks: 0
; NumSGPRsForWavesPerEU: 1
; NumVGPRsForWavesPerEU: 1
; NamedBarCnt: 0
; Occupancy: 16
; WaveLimiterHint : 0
; COMPUTE_PGM_RSRC2:SCRATCH_EN: 0
; COMPUTE_PGM_RSRC2:USER_SGPR: 2
; COMPUTE_PGM_RSRC2:TRAP_HANDLER: 0
; COMPUTE_PGM_RSRC2:TGID_X_EN: 1
; COMPUTE_PGM_RSRC2:TGID_Y_EN: 0
; COMPUTE_PGM_RSRC2:TGID_Z_EN: 0
; COMPUTE_PGM_RSRC2:TIDIG_COMP_CNT: 0
	.section	.text._ZN7rocprim17ROCPRIM_400000_NS6detail17trampoline_kernelINS0_14default_configENS1_27scan_by_key_config_selectorIssEEZZNS1_16scan_by_key_implILNS1_25lookback_scan_determinismE0ELb0ES3_N6thrust23THRUST_200600_302600_NS6detail15normal_iteratorINS9_10device_ptrIsEEEESE_SE_sNS9_4plusIvEENS9_8equal_toIvEEsEE10hipError_tPvRmT2_T3_T4_T5_mT6_T7_P12ihipStream_tbENKUlT_T0_E_clISt17integral_constantIbLb0EESZ_EEDaSU_SV_EUlSU_E_NS1_11comp_targetILNS1_3genE2ELNS1_11target_archE906ELNS1_3gpuE6ELNS1_3repE0EEENS1_30default_config_static_selectorELNS0_4arch9wavefront6targetE0EEEvT1_,"axG",@progbits,_ZN7rocprim17ROCPRIM_400000_NS6detail17trampoline_kernelINS0_14default_configENS1_27scan_by_key_config_selectorIssEEZZNS1_16scan_by_key_implILNS1_25lookback_scan_determinismE0ELb0ES3_N6thrust23THRUST_200600_302600_NS6detail15normal_iteratorINS9_10device_ptrIsEEEESE_SE_sNS9_4plusIvEENS9_8equal_toIvEEsEE10hipError_tPvRmT2_T3_T4_T5_mT6_T7_P12ihipStream_tbENKUlT_T0_E_clISt17integral_constantIbLb0EESZ_EEDaSU_SV_EUlSU_E_NS1_11comp_targetILNS1_3genE2ELNS1_11target_archE906ELNS1_3gpuE6ELNS1_3repE0EEENS1_30default_config_static_selectorELNS0_4arch9wavefront6targetE0EEEvT1_,comdat
	.protected	_ZN7rocprim17ROCPRIM_400000_NS6detail17trampoline_kernelINS0_14default_configENS1_27scan_by_key_config_selectorIssEEZZNS1_16scan_by_key_implILNS1_25lookback_scan_determinismE0ELb0ES3_N6thrust23THRUST_200600_302600_NS6detail15normal_iteratorINS9_10device_ptrIsEEEESE_SE_sNS9_4plusIvEENS9_8equal_toIvEEsEE10hipError_tPvRmT2_T3_T4_T5_mT6_T7_P12ihipStream_tbENKUlT_T0_E_clISt17integral_constantIbLb0EESZ_EEDaSU_SV_EUlSU_E_NS1_11comp_targetILNS1_3genE2ELNS1_11target_archE906ELNS1_3gpuE6ELNS1_3repE0EEENS1_30default_config_static_selectorELNS0_4arch9wavefront6targetE0EEEvT1_ ; -- Begin function _ZN7rocprim17ROCPRIM_400000_NS6detail17trampoline_kernelINS0_14default_configENS1_27scan_by_key_config_selectorIssEEZZNS1_16scan_by_key_implILNS1_25lookback_scan_determinismE0ELb0ES3_N6thrust23THRUST_200600_302600_NS6detail15normal_iteratorINS9_10device_ptrIsEEEESE_SE_sNS9_4plusIvEENS9_8equal_toIvEEsEE10hipError_tPvRmT2_T3_T4_T5_mT6_T7_P12ihipStream_tbENKUlT_T0_E_clISt17integral_constantIbLb0EESZ_EEDaSU_SV_EUlSU_E_NS1_11comp_targetILNS1_3genE2ELNS1_11target_archE906ELNS1_3gpuE6ELNS1_3repE0EEENS1_30default_config_static_selectorELNS0_4arch9wavefront6targetE0EEEvT1_
	.globl	_ZN7rocprim17ROCPRIM_400000_NS6detail17trampoline_kernelINS0_14default_configENS1_27scan_by_key_config_selectorIssEEZZNS1_16scan_by_key_implILNS1_25lookback_scan_determinismE0ELb0ES3_N6thrust23THRUST_200600_302600_NS6detail15normal_iteratorINS9_10device_ptrIsEEEESE_SE_sNS9_4plusIvEENS9_8equal_toIvEEsEE10hipError_tPvRmT2_T3_T4_T5_mT6_T7_P12ihipStream_tbENKUlT_T0_E_clISt17integral_constantIbLb0EESZ_EEDaSU_SV_EUlSU_E_NS1_11comp_targetILNS1_3genE2ELNS1_11target_archE906ELNS1_3gpuE6ELNS1_3repE0EEENS1_30default_config_static_selectorELNS0_4arch9wavefront6targetE0EEEvT1_
	.p2align	8
	.type	_ZN7rocprim17ROCPRIM_400000_NS6detail17trampoline_kernelINS0_14default_configENS1_27scan_by_key_config_selectorIssEEZZNS1_16scan_by_key_implILNS1_25lookback_scan_determinismE0ELb0ES3_N6thrust23THRUST_200600_302600_NS6detail15normal_iteratorINS9_10device_ptrIsEEEESE_SE_sNS9_4plusIvEENS9_8equal_toIvEEsEE10hipError_tPvRmT2_T3_T4_T5_mT6_T7_P12ihipStream_tbENKUlT_T0_E_clISt17integral_constantIbLb0EESZ_EEDaSU_SV_EUlSU_E_NS1_11comp_targetILNS1_3genE2ELNS1_11target_archE906ELNS1_3gpuE6ELNS1_3repE0EEENS1_30default_config_static_selectorELNS0_4arch9wavefront6targetE0EEEvT1_,@function
_ZN7rocprim17ROCPRIM_400000_NS6detail17trampoline_kernelINS0_14default_configENS1_27scan_by_key_config_selectorIssEEZZNS1_16scan_by_key_implILNS1_25lookback_scan_determinismE0ELb0ES3_N6thrust23THRUST_200600_302600_NS6detail15normal_iteratorINS9_10device_ptrIsEEEESE_SE_sNS9_4plusIvEENS9_8equal_toIvEEsEE10hipError_tPvRmT2_T3_T4_T5_mT6_T7_P12ihipStream_tbENKUlT_T0_E_clISt17integral_constantIbLb0EESZ_EEDaSU_SV_EUlSU_E_NS1_11comp_targetILNS1_3genE2ELNS1_11target_archE906ELNS1_3gpuE6ELNS1_3repE0EEENS1_30default_config_static_selectorELNS0_4arch9wavefront6targetE0EEEvT1_: ; @_ZN7rocprim17ROCPRIM_400000_NS6detail17trampoline_kernelINS0_14default_configENS1_27scan_by_key_config_selectorIssEEZZNS1_16scan_by_key_implILNS1_25lookback_scan_determinismE0ELb0ES3_N6thrust23THRUST_200600_302600_NS6detail15normal_iteratorINS9_10device_ptrIsEEEESE_SE_sNS9_4plusIvEENS9_8equal_toIvEEsEE10hipError_tPvRmT2_T3_T4_T5_mT6_T7_P12ihipStream_tbENKUlT_T0_E_clISt17integral_constantIbLb0EESZ_EEDaSU_SV_EUlSU_E_NS1_11comp_targetILNS1_3genE2ELNS1_11target_archE906ELNS1_3gpuE6ELNS1_3repE0EEENS1_30default_config_static_selectorELNS0_4arch9wavefront6targetE0EEEvT1_
; %bb.0:
	.section	.rodata,"a",@progbits
	.p2align	6, 0x0
	.amdhsa_kernel _ZN7rocprim17ROCPRIM_400000_NS6detail17trampoline_kernelINS0_14default_configENS1_27scan_by_key_config_selectorIssEEZZNS1_16scan_by_key_implILNS1_25lookback_scan_determinismE0ELb0ES3_N6thrust23THRUST_200600_302600_NS6detail15normal_iteratorINS9_10device_ptrIsEEEESE_SE_sNS9_4plusIvEENS9_8equal_toIvEEsEE10hipError_tPvRmT2_T3_T4_T5_mT6_T7_P12ihipStream_tbENKUlT_T0_E_clISt17integral_constantIbLb0EESZ_EEDaSU_SV_EUlSU_E_NS1_11comp_targetILNS1_3genE2ELNS1_11target_archE906ELNS1_3gpuE6ELNS1_3repE0EEENS1_30default_config_static_selectorELNS0_4arch9wavefront6targetE0EEEvT1_
		.amdhsa_group_segment_fixed_size 0
		.amdhsa_private_segment_fixed_size 0
		.amdhsa_kernarg_size 112
		.amdhsa_user_sgpr_count 2
		.amdhsa_user_sgpr_dispatch_ptr 0
		.amdhsa_user_sgpr_queue_ptr 0
		.amdhsa_user_sgpr_kernarg_segment_ptr 1
		.amdhsa_user_sgpr_dispatch_id 0
		.amdhsa_user_sgpr_kernarg_preload_length 0
		.amdhsa_user_sgpr_kernarg_preload_offset 0
		.amdhsa_user_sgpr_private_segment_size 0
		.amdhsa_wavefront_size32 1
		.amdhsa_uses_dynamic_stack 0
		.amdhsa_enable_private_segment 0
		.amdhsa_system_sgpr_workgroup_id_x 1
		.amdhsa_system_sgpr_workgroup_id_y 0
		.amdhsa_system_sgpr_workgroup_id_z 0
		.amdhsa_system_sgpr_workgroup_info 0
		.amdhsa_system_vgpr_workitem_id 0
		.amdhsa_next_free_vgpr 1
		.amdhsa_next_free_sgpr 1
		.amdhsa_named_barrier_count 0
		.amdhsa_reserve_vcc 0
		.amdhsa_float_round_mode_32 0
		.amdhsa_float_round_mode_16_64 0
		.amdhsa_float_denorm_mode_32 3
		.amdhsa_float_denorm_mode_16_64 3
		.amdhsa_fp16_overflow 0
		.amdhsa_memory_ordered 1
		.amdhsa_forward_progress 1
		.amdhsa_inst_pref_size 0
		.amdhsa_round_robin_scheduling 0
		.amdhsa_exception_fp_ieee_invalid_op 0
		.amdhsa_exception_fp_denorm_src 0
		.amdhsa_exception_fp_ieee_div_zero 0
		.amdhsa_exception_fp_ieee_overflow 0
		.amdhsa_exception_fp_ieee_underflow 0
		.amdhsa_exception_fp_ieee_inexact 0
		.amdhsa_exception_int_div_zero 0
	.end_amdhsa_kernel
	.section	.text._ZN7rocprim17ROCPRIM_400000_NS6detail17trampoline_kernelINS0_14default_configENS1_27scan_by_key_config_selectorIssEEZZNS1_16scan_by_key_implILNS1_25lookback_scan_determinismE0ELb0ES3_N6thrust23THRUST_200600_302600_NS6detail15normal_iteratorINS9_10device_ptrIsEEEESE_SE_sNS9_4plusIvEENS9_8equal_toIvEEsEE10hipError_tPvRmT2_T3_T4_T5_mT6_T7_P12ihipStream_tbENKUlT_T0_E_clISt17integral_constantIbLb0EESZ_EEDaSU_SV_EUlSU_E_NS1_11comp_targetILNS1_3genE2ELNS1_11target_archE906ELNS1_3gpuE6ELNS1_3repE0EEENS1_30default_config_static_selectorELNS0_4arch9wavefront6targetE0EEEvT1_,"axG",@progbits,_ZN7rocprim17ROCPRIM_400000_NS6detail17trampoline_kernelINS0_14default_configENS1_27scan_by_key_config_selectorIssEEZZNS1_16scan_by_key_implILNS1_25lookback_scan_determinismE0ELb0ES3_N6thrust23THRUST_200600_302600_NS6detail15normal_iteratorINS9_10device_ptrIsEEEESE_SE_sNS9_4plusIvEENS9_8equal_toIvEEsEE10hipError_tPvRmT2_T3_T4_T5_mT6_T7_P12ihipStream_tbENKUlT_T0_E_clISt17integral_constantIbLb0EESZ_EEDaSU_SV_EUlSU_E_NS1_11comp_targetILNS1_3genE2ELNS1_11target_archE906ELNS1_3gpuE6ELNS1_3repE0EEENS1_30default_config_static_selectorELNS0_4arch9wavefront6targetE0EEEvT1_,comdat
.Lfunc_end244:
	.size	_ZN7rocprim17ROCPRIM_400000_NS6detail17trampoline_kernelINS0_14default_configENS1_27scan_by_key_config_selectorIssEEZZNS1_16scan_by_key_implILNS1_25lookback_scan_determinismE0ELb0ES3_N6thrust23THRUST_200600_302600_NS6detail15normal_iteratorINS9_10device_ptrIsEEEESE_SE_sNS9_4plusIvEENS9_8equal_toIvEEsEE10hipError_tPvRmT2_T3_T4_T5_mT6_T7_P12ihipStream_tbENKUlT_T0_E_clISt17integral_constantIbLb0EESZ_EEDaSU_SV_EUlSU_E_NS1_11comp_targetILNS1_3genE2ELNS1_11target_archE906ELNS1_3gpuE6ELNS1_3repE0EEENS1_30default_config_static_selectorELNS0_4arch9wavefront6targetE0EEEvT1_, .Lfunc_end244-_ZN7rocprim17ROCPRIM_400000_NS6detail17trampoline_kernelINS0_14default_configENS1_27scan_by_key_config_selectorIssEEZZNS1_16scan_by_key_implILNS1_25lookback_scan_determinismE0ELb0ES3_N6thrust23THRUST_200600_302600_NS6detail15normal_iteratorINS9_10device_ptrIsEEEESE_SE_sNS9_4plusIvEENS9_8equal_toIvEEsEE10hipError_tPvRmT2_T3_T4_T5_mT6_T7_P12ihipStream_tbENKUlT_T0_E_clISt17integral_constantIbLb0EESZ_EEDaSU_SV_EUlSU_E_NS1_11comp_targetILNS1_3genE2ELNS1_11target_archE906ELNS1_3gpuE6ELNS1_3repE0EEENS1_30default_config_static_selectorELNS0_4arch9wavefront6targetE0EEEvT1_
                                        ; -- End function
	.set _ZN7rocprim17ROCPRIM_400000_NS6detail17trampoline_kernelINS0_14default_configENS1_27scan_by_key_config_selectorIssEEZZNS1_16scan_by_key_implILNS1_25lookback_scan_determinismE0ELb0ES3_N6thrust23THRUST_200600_302600_NS6detail15normal_iteratorINS9_10device_ptrIsEEEESE_SE_sNS9_4plusIvEENS9_8equal_toIvEEsEE10hipError_tPvRmT2_T3_T4_T5_mT6_T7_P12ihipStream_tbENKUlT_T0_E_clISt17integral_constantIbLb0EESZ_EEDaSU_SV_EUlSU_E_NS1_11comp_targetILNS1_3genE2ELNS1_11target_archE906ELNS1_3gpuE6ELNS1_3repE0EEENS1_30default_config_static_selectorELNS0_4arch9wavefront6targetE0EEEvT1_.num_vgpr, 0
	.set _ZN7rocprim17ROCPRIM_400000_NS6detail17trampoline_kernelINS0_14default_configENS1_27scan_by_key_config_selectorIssEEZZNS1_16scan_by_key_implILNS1_25lookback_scan_determinismE0ELb0ES3_N6thrust23THRUST_200600_302600_NS6detail15normal_iteratorINS9_10device_ptrIsEEEESE_SE_sNS9_4plusIvEENS9_8equal_toIvEEsEE10hipError_tPvRmT2_T3_T4_T5_mT6_T7_P12ihipStream_tbENKUlT_T0_E_clISt17integral_constantIbLb0EESZ_EEDaSU_SV_EUlSU_E_NS1_11comp_targetILNS1_3genE2ELNS1_11target_archE906ELNS1_3gpuE6ELNS1_3repE0EEENS1_30default_config_static_selectorELNS0_4arch9wavefront6targetE0EEEvT1_.num_agpr, 0
	.set _ZN7rocprim17ROCPRIM_400000_NS6detail17trampoline_kernelINS0_14default_configENS1_27scan_by_key_config_selectorIssEEZZNS1_16scan_by_key_implILNS1_25lookback_scan_determinismE0ELb0ES3_N6thrust23THRUST_200600_302600_NS6detail15normal_iteratorINS9_10device_ptrIsEEEESE_SE_sNS9_4plusIvEENS9_8equal_toIvEEsEE10hipError_tPvRmT2_T3_T4_T5_mT6_T7_P12ihipStream_tbENKUlT_T0_E_clISt17integral_constantIbLb0EESZ_EEDaSU_SV_EUlSU_E_NS1_11comp_targetILNS1_3genE2ELNS1_11target_archE906ELNS1_3gpuE6ELNS1_3repE0EEENS1_30default_config_static_selectorELNS0_4arch9wavefront6targetE0EEEvT1_.numbered_sgpr, 0
	.set _ZN7rocprim17ROCPRIM_400000_NS6detail17trampoline_kernelINS0_14default_configENS1_27scan_by_key_config_selectorIssEEZZNS1_16scan_by_key_implILNS1_25lookback_scan_determinismE0ELb0ES3_N6thrust23THRUST_200600_302600_NS6detail15normal_iteratorINS9_10device_ptrIsEEEESE_SE_sNS9_4plusIvEENS9_8equal_toIvEEsEE10hipError_tPvRmT2_T3_T4_T5_mT6_T7_P12ihipStream_tbENKUlT_T0_E_clISt17integral_constantIbLb0EESZ_EEDaSU_SV_EUlSU_E_NS1_11comp_targetILNS1_3genE2ELNS1_11target_archE906ELNS1_3gpuE6ELNS1_3repE0EEENS1_30default_config_static_selectorELNS0_4arch9wavefront6targetE0EEEvT1_.num_named_barrier, 0
	.set _ZN7rocprim17ROCPRIM_400000_NS6detail17trampoline_kernelINS0_14default_configENS1_27scan_by_key_config_selectorIssEEZZNS1_16scan_by_key_implILNS1_25lookback_scan_determinismE0ELb0ES3_N6thrust23THRUST_200600_302600_NS6detail15normal_iteratorINS9_10device_ptrIsEEEESE_SE_sNS9_4plusIvEENS9_8equal_toIvEEsEE10hipError_tPvRmT2_T3_T4_T5_mT6_T7_P12ihipStream_tbENKUlT_T0_E_clISt17integral_constantIbLb0EESZ_EEDaSU_SV_EUlSU_E_NS1_11comp_targetILNS1_3genE2ELNS1_11target_archE906ELNS1_3gpuE6ELNS1_3repE0EEENS1_30default_config_static_selectorELNS0_4arch9wavefront6targetE0EEEvT1_.private_seg_size, 0
	.set _ZN7rocprim17ROCPRIM_400000_NS6detail17trampoline_kernelINS0_14default_configENS1_27scan_by_key_config_selectorIssEEZZNS1_16scan_by_key_implILNS1_25lookback_scan_determinismE0ELb0ES3_N6thrust23THRUST_200600_302600_NS6detail15normal_iteratorINS9_10device_ptrIsEEEESE_SE_sNS9_4plusIvEENS9_8equal_toIvEEsEE10hipError_tPvRmT2_T3_T4_T5_mT6_T7_P12ihipStream_tbENKUlT_T0_E_clISt17integral_constantIbLb0EESZ_EEDaSU_SV_EUlSU_E_NS1_11comp_targetILNS1_3genE2ELNS1_11target_archE906ELNS1_3gpuE6ELNS1_3repE0EEENS1_30default_config_static_selectorELNS0_4arch9wavefront6targetE0EEEvT1_.uses_vcc, 0
	.set _ZN7rocprim17ROCPRIM_400000_NS6detail17trampoline_kernelINS0_14default_configENS1_27scan_by_key_config_selectorIssEEZZNS1_16scan_by_key_implILNS1_25lookback_scan_determinismE0ELb0ES3_N6thrust23THRUST_200600_302600_NS6detail15normal_iteratorINS9_10device_ptrIsEEEESE_SE_sNS9_4plusIvEENS9_8equal_toIvEEsEE10hipError_tPvRmT2_T3_T4_T5_mT6_T7_P12ihipStream_tbENKUlT_T0_E_clISt17integral_constantIbLb0EESZ_EEDaSU_SV_EUlSU_E_NS1_11comp_targetILNS1_3genE2ELNS1_11target_archE906ELNS1_3gpuE6ELNS1_3repE0EEENS1_30default_config_static_selectorELNS0_4arch9wavefront6targetE0EEEvT1_.uses_flat_scratch, 0
	.set _ZN7rocprim17ROCPRIM_400000_NS6detail17trampoline_kernelINS0_14default_configENS1_27scan_by_key_config_selectorIssEEZZNS1_16scan_by_key_implILNS1_25lookback_scan_determinismE0ELb0ES3_N6thrust23THRUST_200600_302600_NS6detail15normal_iteratorINS9_10device_ptrIsEEEESE_SE_sNS9_4plusIvEENS9_8equal_toIvEEsEE10hipError_tPvRmT2_T3_T4_T5_mT6_T7_P12ihipStream_tbENKUlT_T0_E_clISt17integral_constantIbLb0EESZ_EEDaSU_SV_EUlSU_E_NS1_11comp_targetILNS1_3genE2ELNS1_11target_archE906ELNS1_3gpuE6ELNS1_3repE0EEENS1_30default_config_static_selectorELNS0_4arch9wavefront6targetE0EEEvT1_.has_dyn_sized_stack, 0
	.set _ZN7rocprim17ROCPRIM_400000_NS6detail17trampoline_kernelINS0_14default_configENS1_27scan_by_key_config_selectorIssEEZZNS1_16scan_by_key_implILNS1_25lookback_scan_determinismE0ELb0ES3_N6thrust23THRUST_200600_302600_NS6detail15normal_iteratorINS9_10device_ptrIsEEEESE_SE_sNS9_4plusIvEENS9_8equal_toIvEEsEE10hipError_tPvRmT2_T3_T4_T5_mT6_T7_P12ihipStream_tbENKUlT_T0_E_clISt17integral_constantIbLb0EESZ_EEDaSU_SV_EUlSU_E_NS1_11comp_targetILNS1_3genE2ELNS1_11target_archE906ELNS1_3gpuE6ELNS1_3repE0EEENS1_30default_config_static_selectorELNS0_4arch9wavefront6targetE0EEEvT1_.has_recursion, 0
	.set _ZN7rocprim17ROCPRIM_400000_NS6detail17trampoline_kernelINS0_14default_configENS1_27scan_by_key_config_selectorIssEEZZNS1_16scan_by_key_implILNS1_25lookback_scan_determinismE0ELb0ES3_N6thrust23THRUST_200600_302600_NS6detail15normal_iteratorINS9_10device_ptrIsEEEESE_SE_sNS9_4plusIvEENS9_8equal_toIvEEsEE10hipError_tPvRmT2_T3_T4_T5_mT6_T7_P12ihipStream_tbENKUlT_T0_E_clISt17integral_constantIbLb0EESZ_EEDaSU_SV_EUlSU_E_NS1_11comp_targetILNS1_3genE2ELNS1_11target_archE906ELNS1_3gpuE6ELNS1_3repE0EEENS1_30default_config_static_selectorELNS0_4arch9wavefront6targetE0EEEvT1_.has_indirect_call, 0
	.section	.AMDGPU.csdata,"",@progbits
; Kernel info:
; codeLenInByte = 0
; TotalNumSgprs: 0
; NumVgprs: 0
; ScratchSize: 0
; MemoryBound: 0
; FloatMode: 240
; IeeeMode: 1
; LDSByteSize: 0 bytes/workgroup (compile time only)
; SGPRBlocks: 0
; VGPRBlocks: 0
; NumSGPRsForWavesPerEU: 1
; NumVGPRsForWavesPerEU: 1
; NamedBarCnt: 0
; Occupancy: 16
; WaveLimiterHint : 0
; COMPUTE_PGM_RSRC2:SCRATCH_EN: 0
; COMPUTE_PGM_RSRC2:USER_SGPR: 2
; COMPUTE_PGM_RSRC2:TRAP_HANDLER: 0
; COMPUTE_PGM_RSRC2:TGID_X_EN: 1
; COMPUTE_PGM_RSRC2:TGID_Y_EN: 0
; COMPUTE_PGM_RSRC2:TGID_Z_EN: 0
; COMPUTE_PGM_RSRC2:TIDIG_COMP_CNT: 0
	.section	.text._ZN7rocprim17ROCPRIM_400000_NS6detail17trampoline_kernelINS0_14default_configENS1_27scan_by_key_config_selectorIssEEZZNS1_16scan_by_key_implILNS1_25lookback_scan_determinismE0ELb0ES3_N6thrust23THRUST_200600_302600_NS6detail15normal_iteratorINS9_10device_ptrIsEEEESE_SE_sNS9_4plusIvEENS9_8equal_toIvEEsEE10hipError_tPvRmT2_T3_T4_T5_mT6_T7_P12ihipStream_tbENKUlT_T0_E_clISt17integral_constantIbLb0EESZ_EEDaSU_SV_EUlSU_E_NS1_11comp_targetILNS1_3genE10ELNS1_11target_archE1200ELNS1_3gpuE4ELNS1_3repE0EEENS1_30default_config_static_selectorELNS0_4arch9wavefront6targetE0EEEvT1_,"axG",@progbits,_ZN7rocprim17ROCPRIM_400000_NS6detail17trampoline_kernelINS0_14default_configENS1_27scan_by_key_config_selectorIssEEZZNS1_16scan_by_key_implILNS1_25lookback_scan_determinismE0ELb0ES3_N6thrust23THRUST_200600_302600_NS6detail15normal_iteratorINS9_10device_ptrIsEEEESE_SE_sNS9_4plusIvEENS9_8equal_toIvEEsEE10hipError_tPvRmT2_T3_T4_T5_mT6_T7_P12ihipStream_tbENKUlT_T0_E_clISt17integral_constantIbLb0EESZ_EEDaSU_SV_EUlSU_E_NS1_11comp_targetILNS1_3genE10ELNS1_11target_archE1200ELNS1_3gpuE4ELNS1_3repE0EEENS1_30default_config_static_selectorELNS0_4arch9wavefront6targetE0EEEvT1_,comdat
	.protected	_ZN7rocprim17ROCPRIM_400000_NS6detail17trampoline_kernelINS0_14default_configENS1_27scan_by_key_config_selectorIssEEZZNS1_16scan_by_key_implILNS1_25lookback_scan_determinismE0ELb0ES3_N6thrust23THRUST_200600_302600_NS6detail15normal_iteratorINS9_10device_ptrIsEEEESE_SE_sNS9_4plusIvEENS9_8equal_toIvEEsEE10hipError_tPvRmT2_T3_T4_T5_mT6_T7_P12ihipStream_tbENKUlT_T0_E_clISt17integral_constantIbLb0EESZ_EEDaSU_SV_EUlSU_E_NS1_11comp_targetILNS1_3genE10ELNS1_11target_archE1200ELNS1_3gpuE4ELNS1_3repE0EEENS1_30default_config_static_selectorELNS0_4arch9wavefront6targetE0EEEvT1_ ; -- Begin function _ZN7rocprim17ROCPRIM_400000_NS6detail17trampoline_kernelINS0_14default_configENS1_27scan_by_key_config_selectorIssEEZZNS1_16scan_by_key_implILNS1_25lookback_scan_determinismE0ELb0ES3_N6thrust23THRUST_200600_302600_NS6detail15normal_iteratorINS9_10device_ptrIsEEEESE_SE_sNS9_4plusIvEENS9_8equal_toIvEEsEE10hipError_tPvRmT2_T3_T4_T5_mT6_T7_P12ihipStream_tbENKUlT_T0_E_clISt17integral_constantIbLb0EESZ_EEDaSU_SV_EUlSU_E_NS1_11comp_targetILNS1_3genE10ELNS1_11target_archE1200ELNS1_3gpuE4ELNS1_3repE0EEENS1_30default_config_static_selectorELNS0_4arch9wavefront6targetE0EEEvT1_
	.globl	_ZN7rocprim17ROCPRIM_400000_NS6detail17trampoline_kernelINS0_14default_configENS1_27scan_by_key_config_selectorIssEEZZNS1_16scan_by_key_implILNS1_25lookback_scan_determinismE0ELb0ES3_N6thrust23THRUST_200600_302600_NS6detail15normal_iteratorINS9_10device_ptrIsEEEESE_SE_sNS9_4plusIvEENS9_8equal_toIvEEsEE10hipError_tPvRmT2_T3_T4_T5_mT6_T7_P12ihipStream_tbENKUlT_T0_E_clISt17integral_constantIbLb0EESZ_EEDaSU_SV_EUlSU_E_NS1_11comp_targetILNS1_3genE10ELNS1_11target_archE1200ELNS1_3gpuE4ELNS1_3repE0EEENS1_30default_config_static_selectorELNS0_4arch9wavefront6targetE0EEEvT1_
	.p2align	8
	.type	_ZN7rocprim17ROCPRIM_400000_NS6detail17trampoline_kernelINS0_14default_configENS1_27scan_by_key_config_selectorIssEEZZNS1_16scan_by_key_implILNS1_25lookback_scan_determinismE0ELb0ES3_N6thrust23THRUST_200600_302600_NS6detail15normal_iteratorINS9_10device_ptrIsEEEESE_SE_sNS9_4plusIvEENS9_8equal_toIvEEsEE10hipError_tPvRmT2_T3_T4_T5_mT6_T7_P12ihipStream_tbENKUlT_T0_E_clISt17integral_constantIbLb0EESZ_EEDaSU_SV_EUlSU_E_NS1_11comp_targetILNS1_3genE10ELNS1_11target_archE1200ELNS1_3gpuE4ELNS1_3repE0EEENS1_30default_config_static_selectorELNS0_4arch9wavefront6targetE0EEEvT1_,@function
_ZN7rocprim17ROCPRIM_400000_NS6detail17trampoline_kernelINS0_14default_configENS1_27scan_by_key_config_selectorIssEEZZNS1_16scan_by_key_implILNS1_25lookback_scan_determinismE0ELb0ES3_N6thrust23THRUST_200600_302600_NS6detail15normal_iteratorINS9_10device_ptrIsEEEESE_SE_sNS9_4plusIvEENS9_8equal_toIvEEsEE10hipError_tPvRmT2_T3_T4_T5_mT6_T7_P12ihipStream_tbENKUlT_T0_E_clISt17integral_constantIbLb0EESZ_EEDaSU_SV_EUlSU_E_NS1_11comp_targetILNS1_3genE10ELNS1_11target_archE1200ELNS1_3gpuE4ELNS1_3repE0EEENS1_30default_config_static_selectorELNS0_4arch9wavefront6targetE0EEEvT1_: ; @_ZN7rocprim17ROCPRIM_400000_NS6detail17trampoline_kernelINS0_14default_configENS1_27scan_by_key_config_selectorIssEEZZNS1_16scan_by_key_implILNS1_25lookback_scan_determinismE0ELb0ES3_N6thrust23THRUST_200600_302600_NS6detail15normal_iteratorINS9_10device_ptrIsEEEESE_SE_sNS9_4plusIvEENS9_8equal_toIvEEsEE10hipError_tPvRmT2_T3_T4_T5_mT6_T7_P12ihipStream_tbENKUlT_T0_E_clISt17integral_constantIbLb0EESZ_EEDaSU_SV_EUlSU_E_NS1_11comp_targetILNS1_3genE10ELNS1_11target_archE1200ELNS1_3gpuE4ELNS1_3repE0EEENS1_30default_config_static_selectorELNS0_4arch9wavefront6targetE0EEEvT1_
; %bb.0:
	.section	.rodata,"a",@progbits
	.p2align	6, 0x0
	.amdhsa_kernel _ZN7rocprim17ROCPRIM_400000_NS6detail17trampoline_kernelINS0_14default_configENS1_27scan_by_key_config_selectorIssEEZZNS1_16scan_by_key_implILNS1_25lookback_scan_determinismE0ELb0ES3_N6thrust23THRUST_200600_302600_NS6detail15normal_iteratorINS9_10device_ptrIsEEEESE_SE_sNS9_4plusIvEENS9_8equal_toIvEEsEE10hipError_tPvRmT2_T3_T4_T5_mT6_T7_P12ihipStream_tbENKUlT_T0_E_clISt17integral_constantIbLb0EESZ_EEDaSU_SV_EUlSU_E_NS1_11comp_targetILNS1_3genE10ELNS1_11target_archE1200ELNS1_3gpuE4ELNS1_3repE0EEENS1_30default_config_static_selectorELNS0_4arch9wavefront6targetE0EEEvT1_
		.amdhsa_group_segment_fixed_size 0
		.amdhsa_private_segment_fixed_size 0
		.amdhsa_kernarg_size 112
		.amdhsa_user_sgpr_count 2
		.amdhsa_user_sgpr_dispatch_ptr 0
		.amdhsa_user_sgpr_queue_ptr 0
		.amdhsa_user_sgpr_kernarg_segment_ptr 1
		.amdhsa_user_sgpr_dispatch_id 0
		.amdhsa_user_sgpr_kernarg_preload_length 0
		.amdhsa_user_sgpr_kernarg_preload_offset 0
		.amdhsa_user_sgpr_private_segment_size 0
		.amdhsa_wavefront_size32 1
		.amdhsa_uses_dynamic_stack 0
		.amdhsa_enable_private_segment 0
		.amdhsa_system_sgpr_workgroup_id_x 1
		.amdhsa_system_sgpr_workgroup_id_y 0
		.amdhsa_system_sgpr_workgroup_id_z 0
		.amdhsa_system_sgpr_workgroup_info 0
		.amdhsa_system_vgpr_workitem_id 0
		.amdhsa_next_free_vgpr 1
		.amdhsa_next_free_sgpr 1
		.amdhsa_named_barrier_count 0
		.amdhsa_reserve_vcc 0
		.amdhsa_float_round_mode_32 0
		.amdhsa_float_round_mode_16_64 0
		.amdhsa_float_denorm_mode_32 3
		.amdhsa_float_denorm_mode_16_64 3
		.amdhsa_fp16_overflow 0
		.amdhsa_memory_ordered 1
		.amdhsa_forward_progress 1
		.amdhsa_inst_pref_size 0
		.amdhsa_round_robin_scheduling 0
		.amdhsa_exception_fp_ieee_invalid_op 0
		.amdhsa_exception_fp_denorm_src 0
		.amdhsa_exception_fp_ieee_div_zero 0
		.amdhsa_exception_fp_ieee_overflow 0
		.amdhsa_exception_fp_ieee_underflow 0
		.amdhsa_exception_fp_ieee_inexact 0
		.amdhsa_exception_int_div_zero 0
	.end_amdhsa_kernel
	.section	.text._ZN7rocprim17ROCPRIM_400000_NS6detail17trampoline_kernelINS0_14default_configENS1_27scan_by_key_config_selectorIssEEZZNS1_16scan_by_key_implILNS1_25lookback_scan_determinismE0ELb0ES3_N6thrust23THRUST_200600_302600_NS6detail15normal_iteratorINS9_10device_ptrIsEEEESE_SE_sNS9_4plusIvEENS9_8equal_toIvEEsEE10hipError_tPvRmT2_T3_T4_T5_mT6_T7_P12ihipStream_tbENKUlT_T0_E_clISt17integral_constantIbLb0EESZ_EEDaSU_SV_EUlSU_E_NS1_11comp_targetILNS1_3genE10ELNS1_11target_archE1200ELNS1_3gpuE4ELNS1_3repE0EEENS1_30default_config_static_selectorELNS0_4arch9wavefront6targetE0EEEvT1_,"axG",@progbits,_ZN7rocprim17ROCPRIM_400000_NS6detail17trampoline_kernelINS0_14default_configENS1_27scan_by_key_config_selectorIssEEZZNS1_16scan_by_key_implILNS1_25lookback_scan_determinismE0ELb0ES3_N6thrust23THRUST_200600_302600_NS6detail15normal_iteratorINS9_10device_ptrIsEEEESE_SE_sNS9_4plusIvEENS9_8equal_toIvEEsEE10hipError_tPvRmT2_T3_T4_T5_mT6_T7_P12ihipStream_tbENKUlT_T0_E_clISt17integral_constantIbLb0EESZ_EEDaSU_SV_EUlSU_E_NS1_11comp_targetILNS1_3genE10ELNS1_11target_archE1200ELNS1_3gpuE4ELNS1_3repE0EEENS1_30default_config_static_selectorELNS0_4arch9wavefront6targetE0EEEvT1_,comdat
.Lfunc_end245:
	.size	_ZN7rocprim17ROCPRIM_400000_NS6detail17trampoline_kernelINS0_14default_configENS1_27scan_by_key_config_selectorIssEEZZNS1_16scan_by_key_implILNS1_25lookback_scan_determinismE0ELb0ES3_N6thrust23THRUST_200600_302600_NS6detail15normal_iteratorINS9_10device_ptrIsEEEESE_SE_sNS9_4plusIvEENS9_8equal_toIvEEsEE10hipError_tPvRmT2_T3_T4_T5_mT6_T7_P12ihipStream_tbENKUlT_T0_E_clISt17integral_constantIbLb0EESZ_EEDaSU_SV_EUlSU_E_NS1_11comp_targetILNS1_3genE10ELNS1_11target_archE1200ELNS1_3gpuE4ELNS1_3repE0EEENS1_30default_config_static_selectorELNS0_4arch9wavefront6targetE0EEEvT1_, .Lfunc_end245-_ZN7rocprim17ROCPRIM_400000_NS6detail17trampoline_kernelINS0_14default_configENS1_27scan_by_key_config_selectorIssEEZZNS1_16scan_by_key_implILNS1_25lookback_scan_determinismE0ELb0ES3_N6thrust23THRUST_200600_302600_NS6detail15normal_iteratorINS9_10device_ptrIsEEEESE_SE_sNS9_4plusIvEENS9_8equal_toIvEEsEE10hipError_tPvRmT2_T3_T4_T5_mT6_T7_P12ihipStream_tbENKUlT_T0_E_clISt17integral_constantIbLb0EESZ_EEDaSU_SV_EUlSU_E_NS1_11comp_targetILNS1_3genE10ELNS1_11target_archE1200ELNS1_3gpuE4ELNS1_3repE0EEENS1_30default_config_static_selectorELNS0_4arch9wavefront6targetE0EEEvT1_
                                        ; -- End function
	.set _ZN7rocprim17ROCPRIM_400000_NS6detail17trampoline_kernelINS0_14default_configENS1_27scan_by_key_config_selectorIssEEZZNS1_16scan_by_key_implILNS1_25lookback_scan_determinismE0ELb0ES3_N6thrust23THRUST_200600_302600_NS6detail15normal_iteratorINS9_10device_ptrIsEEEESE_SE_sNS9_4plusIvEENS9_8equal_toIvEEsEE10hipError_tPvRmT2_T3_T4_T5_mT6_T7_P12ihipStream_tbENKUlT_T0_E_clISt17integral_constantIbLb0EESZ_EEDaSU_SV_EUlSU_E_NS1_11comp_targetILNS1_3genE10ELNS1_11target_archE1200ELNS1_3gpuE4ELNS1_3repE0EEENS1_30default_config_static_selectorELNS0_4arch9wavefront6targetE0EEEvT1_.num_vgpr, 0
	.set _ZN7rocprim17ROCPRIM_400000_NS6detail17trampoline_kernelINS0_14default_configENS1_27scan_by_key_config_selectorIssEEZZNS1_16scan_by_key_implILNS1_25lookback_scan_determinismE0ELb0ES3_N6thrust23THRUST_200600_302600_NS6detail15normal_iteratorINS9_10device_ptrIsEEEESE_SE_sNS9_4plusIvEENS9_8equal_toIvEEsEE10hipError_tPvRmT2_T3_T4_T5_mT6_T7_P12ihipStream_tbENKUlT_T0_E_clISt17integral_constantIbLb0EESZ_EEDaSU_SV_EUlSU_E_NS1_11comp_targetILNS1_3genE10ELNS1_11target_archE1200ELNS1_3gpuE4ELNS1_3repE0EEENS1_30default_config_static_selectorELNS0_4arch9wavefront6targetE0EEEvT1_.num_agpr, 0
	.set _ZN7rocprim17ROCPRIM_400000_NS6detail17trampoline_kernelINS0_14default_configENS1_27scan_by_key_config_selectorIssEEZZNS1_16scan_by_key_implILNS1_25lookback_scan_determinismE0ELb0ES3_N6thrust23THRUST_200600_302600_NS6detail15normal_iteratorINS9_10device_ptrIsEEEESE_SE_sNS9_4plusIvEENS9_8equal_toIvEEsEE10hipError_tPvRmT2_T3_T4_T5_mT6_T7_P12ihipStream_tbENKUlT_T0_E_clISt17integral_constantIbLb0EESZ_EEDaSU_SV_EUlSU_E_NS1_11comp_targetILNS1_3genE10ELNS1_11target_archE1200ELNS1_3gpuE4ELNS1_3repE0EEENS1_30default_config_static_selectorELNS0_4arch9wavefront6targetE0EEEvT1_.numbered_sgpr, 0
	.set _ZN7rocprim17ROCPRIM_400000_NS6detail17trampoline_kernelINS0_14default_configENS1_27scan_by_key_config_selectorIssEEZZNS1_16scan_by_key_implILNS1_25lookback_scan_determinismE0ELb0ES3_N6thrust23THRUST_200600_302600_NS6detail15normal_iteratorINS9_10device_ptrIsEEEESE_SE_sNS9_4plusIvEENS9_8equal_toIvEEsEE10hipError_tPvRmT2_T3_T4_T5_mT6_T7_P12ihipStream_tbENKUlT_T0_E_clISt17integral_constantIbLb0EESZ_EEDaSU_SV_EUlSU_E_NS1_11comp_targetILNS1_3genE10ELNS1_11target_archE1200ELNS1_3gpuE4ELNS1_3repE0EEENS1_30default_config_static_selectorELNS0_4arch9wavefront6targetE0EEEvT1_.num_named_barrier, 0
	.set _ZN7rocprim17ROCPRIM_400000_NS6detail17trampoline_kernelINS0_14default_configENS1_27scan_by_key_config_selectorIssEEZZNS1_16scan_by_key_implILNS1_25lookback_scan_determinismE0ELb0ES3_N6thrust23THRUST_200600_302600_NS6detail15normal_iteratorINS9_10device_ptrIsEEEESE_SE_sNS9_4plusIvEENS9_8equal_toIvEEsEE10hipError_tPvRmT2_T3_T4_T5_mT6_T7_P12ihipStream_tbENKUlT_T0_E_clISt17integral_constantIbLb0EESZ_EEDaSU_SV_EUlSU_E_NS1_11comp_targetILNS1_3genE10ELNS1_11target_archE1200ELNS1_3gpuE4ELNS1_3repE0EEENS1_30default_config_static_selectorELNS0_4arch9wavefront6targetE0EEEvT1_.private_seg_size, 0
	.set _ZN7rocprim17ROCPRIM_400000_NS6detail17trampoline_kernelINS0_14default_configENS1_27scan_by_key_config_selectorIssEEZZNS1_16scan_by_key_implILNS1_25lookback_scan_determinismE0ELb0ES3_N6thrust23THRUST_200600_302600_NS6detail15normal_iteratorINS9_10device_ptrIsEEEESE_SE_sNS9_4plusIvEENS9_8equal_toIvEEsEE10hipError_tPvRmT2_T3_T4_T5_mT6_T7_P12ihipStream_tbENKUlT_T0_E_clISt17integral_constantIbLb0EESZ_EEDaSU_SV_EUlSU_E_NS1_11comp_targetILNS1_3genE10ELNS1_11target_archE1200ELNS1_3gpuE4ELNS1_3repE0EEENS1_30default_config_static_selectorELNS0_4arch9wavefront6targetE0EEEvT1_.uses_vcc, 0
	.set _ZN7rocprim17ROCPRIM_400000_NS6detail17trampoline_kernelINS0_14default_configENS1_27scan_by_key_config_selectorIssEEZZNS1_16scan_by_key_implILNS1_25lookback_scan_determinismE0ELb0ES3_N6thrust23THRUST_200600_302600_NS6detail15normal_iteratorINS9_10device_ptrIsEEEESE_SE_sNS9_4plusIvEENS9_8equal_toIvEEsEE10hipError_tPvRmT2_T3_T4_T5_mT6_T7_P12ihipStream_tbENKUlT_T0_E_clISt17integral_constantIbLb0EESZ_EEDaSU_SV_EUlSU_E_NS1_11comp_targetILNS1_3genE10ELNS1_11target_archE1200ELNS1_3gpuE4ELNS1_3repE0EEENS1_30default_config_static_selectorELNS0_4arch9wavefront6targetE0EEEvT1_.uses_flat_scratch, 0
	.set _ZN7rocprim17ROCPRIM_400000_NS6detail17trampoline_kernelINS0_14default_configENS1_27scan_by_key_config_selectorIssEEZZNS1_16scan_by_key_implILNS1_25lookback_scan_determinismE0ELb0ES3_N6thrust23THRUST_200600_302600_NS6detail15normal_iteratorINS9_10device_ptrIsEEEESE_SE_sNS9_4plusIvEENS9_8equal_toIvEEsEE10hipError_tPvRmT2_T3_T4_T5_mT6_T7_P12ihipStream_tbENKUlT_T0_E_clISt17integral_constantIbLb0EESZ_EEDaSU_SV_EUlSU_E_NS1_11comp_targetILNS1_3genE10ELNS1_11target_archE1200ELNS1_3gpuE4ELNS1_3repE0EEENS1_30default_config_static_selectorELNS0_4arch9wavefront6targetE0EEEvT1_.has_dyn_sized_stack, 0
	.set _ZN7rocprim17ROCPRIM_400000_NS6detail17trampoline_kernelINS0_14default_configENS1_27scan_by_key_config_selectorIssEEZZNS1_16scan_by_key_implILNS1_25lookback_scan_determinismE0ELb0ES3_N6thrust23THRUST_200600_302600_NS6detail15normal_iteratorINS9_10device_ptrIsEEEESE_SE_sNS9_4plusIvEENS9_8equal_toIvEEsEE10hipError_tPvRmT2_T3_T4_T5_mT6_T7_P12ihipStream_tbENKUlT_T0_E_clISt17integral_constantIbLb0EESZ_EEDaSU_SV_EUlSU_E_NS1_11comp_targetILNS1_3genE10ELNS1_11target_archE1200ELNS1_3gpuE4ELNS1_3repE0EEENS1_30default_config_static_selectorELNS0_4arch9wavefront6targetE0EEEvT1_.has_recursion, 0
	.set _ZN7rocprim17ROCPRIM_400000_NS6detail17trampoline_kernelINS0_14default_configENS1_27scan_by_key_config_selectorIssEEZZNS1_16scan_by_key_implILNS1_25lookback_scan_determinismE0ELb0ES3_N6thrust23THRUST_200600_302600_NS6detail15normal_iteratorINS9_10device_ptrIsEEEESE_SE_sNS9_4plusIvEENS9_8equal_toIvEEsEE10hipError_tPvRmT2_T3_T4_T5_mT6_T7_P12ihipStream_tbENKUlT_T0_E_clISt17integral_constantIbLb0EESZ_EEDaSU_SV_EUlSU_E_NS1_11comp_targetILNS1_3genE10ELNS1_11target_archE1200ELNS1_3gpuE4ELNS1_3repE0EEENS1_30default_config_static_selectorELNS0_4arch9wavefront6targetE0EEEvT1_.has_indirect_call, 0
	.section	.AMDGPU.csdata,"",@progbits
; Kernel info:
; codeLenInByte = 0
; TotalNumSgprs: 0
; NumVgprs: 0
; ScratchSize: 0
; MemoryBound: 0
; FloatMode: 240
; IeeeMode: 1
; LDSByteSize: 0 bytes/workgroup (compile time only)
; SGPRBlocks: 0
; VGPRBlocks: 0
; NumSGPRsForWavesPerEU: 1
; NumVGPRsForWavesPerEU: 1
; NamedBarCnt: 0
; Occupancy: 16
; WaveLimiterHint : 0
; COMPUTE_PGM_RSRC2:SCRATCH_EN: 0
; COMPUTE_PGM_RSRC2:USER_SGPR: 2
; COMPUTE_PGM_RSRC2:TRAP_HANDLER: 0
; COMPUTE_PGM_RSRC2:TGID_X_EN: 1
; COMPUTE_PGM_RSRC2:TGID_Y_EN: 0
; COMPUTE_PGM_RSRC2:TGID_Z_EN: 0
; COMPUTE_PGM_RSRC2:TIDIG_COMP_CNT: 0
	.section	.text._ZN7rocprim17ROCPRIM_400000_NS6detail17trampoline_kernelINS0_14default_configENS1_27scan_by_key_config_selectorIssEEZZNS1_16scan_by_key_implILNS1_25lookback_scan_determinismE0ELb0ES3_N6thrust23THRUST_200600_302600_NS6detail15normal_iteratorINS9_10device_ptrIsEEEESE_SE_sNS9_4plusIvEENS9_8equal_toIvEEsEE10hipError_tPvRmT2_T3_T4_T5_mT6_T7_P12ihipStream_tbENKUlT_T0_E_clISt17integral_constantIbLb0EESZ_EEDaSU_SV_EUlSU_E_NS1_11comp_targetILNS1_3genE9ELNS1_11target_archE1100ELNS1_3gpuE3ELNS1_3repE0EEENS1_30default_config_static_selectorELNS0_4arch9wavefront6targetE0EEEvT1_,"axG",@progbits,_ZN7rocprim17ROCPRIM_400000_NS6detail17trampoline_kernelINS0_14default_configENS1_27scan_by_key_config_selectorIssEEZZNS1_16scan_by_key_implILNS1_25lookback_scan_determinismE0ELb0ES3_N6thrust23THRUST_200600_302600_NS6detail15normal_iteratorINS9_10device_ptrIsEEEESE_SE_sNS9_4plusIvEENS9_8equal_toIvEEsEE10hipError_tPvRmT2_T3_T4_T5_mT6_T7_P12ihipStream_tbENKUlT_T0_E_clISt17integral_constantIbLb0EESZ_EEDaSU_SV_EUlSU_E_NS1_11comp_targetILNS1_3genE9ELNS1_11target_archE1100ELNS1_3gpuE3ELNS1_3repE0EEENS1_30default_config_static_selectorELNS0_4arch9wavefront6targetE0EEEvT1_,comdat
	.protected	_ZN7rocprim17ROCPRIM_400000_NS6detail17trampoline_kernelINS0_14default_configENS1_27scan_by_key_config_selectorIssEEZZNS1_16scan_by_key_implILNS1_25lookback_scan_determinismE0ELb0ES3_N6thrust23THRUST_200600_302600_NS6detail15normal_iteratorINS9_10device_ptrIsEEEESE_SE_sNS9_4plusIvEENS9_8equal_toIvEEsEE10hipError_tPvRmT2_T3_T4_T5_mT6_T7_P12ihipStream_tbENKUlT_T0_E_clISt17integral_constantIbLb0EESZ_EEDaSU_SV_EUlSU_E_NS1_11comp_targetILNS1_3genE9ELNS1_11target_archE1100ELNS1_3gpuE3ELNS1_3repE0EEENS1_30default_config_static_selectorELNS0_4arch9wavefront6targetE0EEEvT1_ ; -- Begin function _ZN7rocprim17ROCPRIM_400000_NS6detail17trampoline_kernelINS0_14default_configENS1_27scan_by_key_config_selectorIssEEZZNS1_16scan_by_key_implILNS1_25lookback_scan_determinismE0ELb0ES3_N6thrust23THRUST_200600_302600_NS6detail15normal_iteratorINS9_10device_ptrIsEEEESE_SE_sNS9_4plusIvEENS9_8equal_toIvEEsEE10hipError_tPvRmT2_T3_T4_T5_mT6_T7_P12ihipStream_tbENKUlT_T0_E_clISt17integral_constantIbLb0EESZ_EEDaSU_SV_EUlSU_E_NS1_11comp_targetILNS1_3genE9ELNS1_11target_archE1100ELNS1_3gpuE3ELNS1_3repE0EEENS1_30default_config_static_selectorELNS0_4arch9wavefront6targetE0EEEvT1_
	.globl	_ZN7rocprim17ROCPRIM_400000_NS6detail17trampoline_kernelINS0_14default_configENS1_27scan_by_key_config_selectorIssEEZZNS1_16scan_by_key_implILNS1_25lookback_scan_determinismE0ELb0ES3_N6thrust23THRUST_200600_302600_NS6detail15normal_iteratorINS9_10device_ptrIsEEEESE_SE_sNS9_4plusIvEENS9_8equal_toIvEEsEE10hipError_tPvRmT2_T3_T4_T5_mT6_T7_P12ihipStream_tbENKUlT_T0_E_clISt17integral_constantIbLb0EESZ_EEDaSU_SV_EUlSU_E_NS1_11comp_targetILNS1_3genE9ELNS1_11target_archE1100ELNS1_3gpuE3ELNS1_3repE0EEENS1_30default_config_static_selectorELNS0_4arch9wavefront6targetE0EEEvT1_
	.p2align	8
	.type	_ZN7rocprim17ROCPRIM_400000_NS6detail17trampoline_kernelINS0_14default_configENS1_27scan_by_key_config_selectorIssEEZZNS1_16scan_by_key_implILNS1_25lookback_scan_determinismE0ELb0ES3_N6thrust23THRUST_200600_302600_NS6detail15normal_iteratorINS9_10device_ptrIsEEEESE_SE_sNS9_4plusIvEENS9_8equal_toIvEEsEE10hipError_tPvRmT2_T3_T4_T5_mT6_T7_P12ihipStream_tbENKUlT_T0_E_clISt17integral_constantIbLb0EESZ_EEDaSU_SV_EUlSU_E_NS1_11comp_targetILNS1_3genE9ELNS1_11target_archE1100ELNS1_3gpuE3ELNS1_3repE0EEENS1_30default_config_static_selectorELNS0_4arch9wavefront6targetE0EEEvT1_,@function
_ZN7rocprim17ROCPRIM_400000_NS6detail17trampoline_kernelINS0_14default_configENS1_27scan_by_key_config_selectorIssEEZZNS1_16scan_by_key_implILNS1_25lookback_scan_determinismE0ELb0ES3_N6thrust23THRUST_200600_302600_NS6detail15normal_iteratorINS9_10device_ptrIsEEEESE_SE_sNS9_4plusIvEENS9_8equal_toIvEEsEE10hipError_tPvRmT2_T3_T4_T5_mT6_T7_P12ihipStream_tbENKUlT_T0_E_clISt17integral_constantIbLb0EESZ_EEDaSU_SV_EUlSU_E_NS1_11comp_targetILNS1_3genE9ELNS1_11target_archE1100ELNS1_3gpuE3ELNS1_3repE0EEENS1_30default_config_static_selectorELNS0_4arch9wavefront6targetE0EEEvT1_: ; @_ZN7rocprim17ROCPRIM_400000_NS6detail17trampoline_kernelINS0_14default_configENS1_27scan_by_key_config_selectorIssEEZZNS1_16scan_by_key_implILNS1_25lookback_scan_determinismE0ELb0ES3_N6thrust23THRUST_200600_302600_NS6detail15normal_iteratorINS9_10device_ptrIsEEEESE_SE_sNS9_4plusIvEENS9_8equal_toIvEEsEE10hipError_tPvRmT2_T3_T4_T5_mT6_T7_P12ihipStream_tbENKUlT_T0_E_clISt17integral_constantIbLb0EESZ_EEDaSU_SV_EUlSU_E_NS1_11comp_targetILNS1_3genE9ELNS1_11target_archE1100ELNS1_3gpuE3ELNS1_3repE0EEENS1_30default_config_static_selectorELNS0_4arch9wavefront6targetE0EEEvT1_
; %bb.0:
	.section	.rodata,"a",@progbits
	.p2align	6, 0x0
	.amdhsa_kernel _ZN7rocprim17ROCPRIM_400000_NS6detail17trampoline_kernelINS0_14default_configENS1_27scan_by_key_config_selectorIssEEZZNS1_16scan_by_key_implILNS1_25lookback_scan_determinismE0ELb0ES3_N6thrust23THRUST_200600_302600_NS6detail15normal_iteratorINS9_10device_ptrIsEEEESE_SE_sNS9_4plusIvEENS9_8equal_toIvEEsEE10hipError_tPvRmT2_T3_T4_T5_mT6_T7_P12ihipStream_tbENKUlT_T0_E_clISt17integral_constantIbLb0EESZ_EEDaSU_SV_EUlSU_E_NS1_11comp_targetILNS1_3genE9ELNS1_11target_archE1100ELNS1_3gpuE3ELNS1_3repE0EEENS1_30default_config_static_selectorELNS0_4arch9wavefront6targetE0EEEvT1_
		.amdhsa_group_segment_fixed_size 0
		.amdhsa_private_segment_fixed_size 0
		.amdhsa_kernarg_size 112
		.amdhsa_user_sgpr_count 2
		.amdhsa_user_sgpr_dispatch_ptr 0
		.amdhsa_user_sgpr_queue_ptr 0
		.amdhsa_user_sgpr_kernarg_segment_ptr 1
		.amdhsa_user_sgpr_dispatch_id 0
		.amdhsa_user_sgpr_kernarg_preload_length 0
		.amdhsa_user_sgpr_kernarg_preload_offset 0
		.amdhsa_user_sgpr_private_segment_size 0
		.amdhsa_wavefront_size32 1
		.amdhsa_uses_dynamic_stack 0
		.amdhsa_enable_private_segment 0
		.amdhsa_system_sgpr_workgroup_id_x 1
		.amdhsa_system_sgpr_workgroup_id_y 0
		.amdhsa_system_sgpr_workgroup_id_z 0
		.amdhsa_system_sgpr_workgroup_info 0
		.amdhsa_system_vgpr_workitem_id 0
		.amdhsa_next_free_vgpr 1
		.amdhsa_next_free_sgpr 1
		.amdhsa_named_barrier_count 0
		.amdhsa_reserve_vcc 0
		.amdhsa_float_round_mode_32 0
		.amdhsa_float_round_mode_16_64 0
		.amdhsa_float_denorm_mode_32 3
		.amdhsa_float_denorm_mode_16_64 3
		.amdhsa_fp16_overflow 0
		.amdhsa_memory_ordered 1
		.amdhsa_forward_progress 1
		.amdhsa_inst_pref_size 0
		.amdhsa_round_robin_scheduling 0
		.amdhsa_exception_fp_ieee_invalid_op 0
		.amdhsa_exception_fp_denorm_src 0
		.amdhsa_exception_fp_ieee_div_zero 0
		.amdhsa_exception_fp_ieee_overflow 0
		.amdhsa_exception_fp_ieee_underflow 0
		.amdhsa_exception_fp_ieee_inexact 0
		.amdhsa_exception_int_div_zero 0
	.end_amdhsa_kernel
	.section	.text._ZN7rocprim17ROCPRIM_400000_NS6detail17trampoline_kernelINS0_14default_configENS1_27scan_by_key_config_selectorIssEEZZNS1_16scan_by_key_implILNS1_25lookback_scan_determinismE0ELb0ES3_N6thrust23THRUST_200600_302600_NS6detail15normal_iteratorINS9_10device_ptrIsEEEESE_SE_sNS9_4plusIvEENS9_8equal_toIvEEsEE10hipError_tPvRmT2_T3_T4_T5_mT6_T7_P12ihipStream_tbENKUlT_T0_E_clISt17integral_constantIbLb0EESZ_EEDaSU_SV_EUlSU_E_NS1_11comp_targetILNS1_3genE9ELNS1_11target_archE1100ELNS1_3gpuE3ELNS1_3repE0EEENS1_30default_config_static_selectorELNS0_4arch9wavefront6targetE0EEEvT1_,"axG",@progbits,_ZN7rocprim17ROCPRIM_400000_NS6detail17trampoline_kernelINS0_14default_configENS1_27scan_by_key_config_selectorIssEEZZNS1_16scan_by_key_implILNS1_25lookback_scan_determinismE0ELb0ES3_N6thrust23THRUST_200600_302600_NS6detail15normal_iteratorINS9_10device_ptrIsEEEESE_SE_sNS9_4plusIvEENS9_8equal_toIvEEsEE10hipError_tPvRmT2_T3_T4_T5_mT6_T7_P12ihipStream_tbENKUlT_T0_E_clISt17integral_constantIbLb0EESZ_EEDaSU_SV_EUlSU_E_NS1_11comp_targetILNS1_3genE9ELNS1_11target_archE1100ELNS1_3gpuE3ELNS1_3repE0EEENS1_30default_config_static_selectorELNS0_4arch9wavefront6targetE0EEEvT1_,comdat
.Lfunc_end246:
	.size	_ZN7rocprim17ROCPRIM_400000_NS6detail17trampoline_kernelINS0_14default_configENS1_27scan_by_key_config_selectorIssEEZZNS1_16scan_by_key_implILNS1_25lookback_scan_determinismE0ELb0ES3_N6thrust23THRUST_200600_302600_NS6detail15normal_iteratorINS9_10device_ptrIsEEEESE_SE_sNS9_4plusIvEENS9_8equal_toIvEEsEE10hipError_tPvRmT2_T3_T4_T5_mT6_T7_P12ihipStream_tbENKUlT_T0_E_clISt17integral_constantIbLb0EESZ_EEDaSU_SV_EUlSU_E_NS1_11comp_targetILNS1_3genE9ELNS1_11target_archE1100ELNS1_3gpuE3ELNS1_3repE0EEENS1_30default_config_static_selectorELNS0_4arch9wavefront6targetE0EEEvT1_, .Lfunc_end246-_ZN7rocprim17ROCPRIM_400000_NS6detail17trampoline_kernelINS0_14default_configENS1_27scan_by_key_config_selectorIssEEZZNS1_16scan_by_key_implILNS1_25lookback_scan_determinismE0ELb0ES3_N6thrust23THRUST_200600_302600_NS6detail15normal_iteratorINS9_10device_ptrIsEEEESE_SE_sNS9_4plusIvEENS9_8equal_toIvEEsEE10hipError_tPvRmT2_T3_T4_T5_mT6_T7_P12ihipStream_tbENKUlT_T0_E_clISt17integral_constantIbLb0EESZ_EEDaSU_SV_EUlSU_E_NS1_11comp_targetILNS1_3genE9ELNS1_11target_archE1100ELNS1_3gpuE3ELNS1_3repE0EEENS1_30default_config_static_selectorELNS0_4arch9wavefront6targetE0EEEvT1_
                                        ; -- End function
	.set _ZN7rocprim17ROCPRIM_400000_NS6detail17trampoline_kernelINS0_14default_configENS1_27scan_by_key_config_selectorIssEEZZNS1_16scan_by_key_implILNS1_25lookback_scan_determinismE0ELb0ES3_N6thrust23THRUST_200600_302600_NS6detail15normal_iteratorINS9_10device_ptrIsEEEESE_SE_sNS9_4plusIvEENS9_8equal_toIvEEsEE10hipError_tPvRmT2_T3_T4_T5_mT6_T7_P12ihipStream_tbENKUlT_T0_E_clISt17integral_constantIbLb0EESZ_EEDaSU_SV_EUlSU_E_NS1_11comp_targetILNS1_3genE9ELNS1_11target_archE1100ELNS1_3gpuE3ELNS1_3repE0EEENS1_30default_config_static_selectorELNS0_4arch9wavefront6targetE0EEEvT1_.num_vgpr, 0
	.set _ZN7rocprim17ROCPRIM_400000_NS6detail17trampoline_kernelINS0_14default_configENS1_27scan_by_key_config_selectorIssEEZZNS1_16scan_by_key_implILNS1_25lookback_scan_determinismE0ELb0ES3_N6thrust23THRUST_200600_302600_NS6detail15normal_iteratorINS9_10device_ptrIsEEEESE_SE_sNS9_4plusIvEENS9_8equal_toIvEEsEE10hipError_tPvRmT2_T3_T4_T5_mT6_T7_P12ihipStream_tbENKUlT_T0_E_clISt17integral_constantIbLb0EESZ_EEDaSU_SV_EUlSU_E_NS1_11comp_targetILNS1_3genE9ELNS1_11target_archE1100ELNS1_3gpuE3ELNS1_3repE0EEENS1_30default_config_static_selectorELNS0_4arch9wavefront6targetE0EEEvT1_.num_agpr, 0
	.set _ZN7rocprim17ROCPRIM_400000_NS6detail17trampoline_kernelINS0_14default_configENS1_27scan_by_key_config_selectorIssEEZZNS1_16scan_by_key_implILNS1_25lookback_scan_determinismE0ELb0ES3_N6thrust23THRUST_200600_302600_NS6detail15normal_iteratorINS9_10device_ptrIsEEEESE_SE_sNS9_4plusIvEENS9_8equal_toIvEEsEE10hipError_tPvRmT2_T3_T4_T5_mT6_T7_P12ihipStream_tbENKUlT_T0_E_clISt17integral_constantIbLb0EESZ_EEDaSU_SV_EUlSU_E_NS1_11comp_targetILNS1_3genE9ELNS1_11target_archE1100ELNS1_3gpuE3ELNS1_3repE0EEENS1_30default_config_static_selectorELNS0_4arch9wavefront6targetE0EEEvT1_.numbered_sgpr, 0
	.set _ZN7rocprim17ROCPRIM_400000_NS6detail17trampoline_kernelINS0_14default_configENS1_27scan_by_key_config_selectorIssEEZZNS1_16scan_by_key_implILNS1_25lookback_scan_determinismE0ELb0ES3_N6thrust23THRUST_200600_302600_NS6detail15normal_iteratorINS9_10device_ptrIsEEEESE_SE_sNS9_4plusIvEENS9_8equal_toIvEEsEE10hipError_tPvRmT2_T3_T4_T5_mT6_T7_P12ihipStream_tbENKUlT_T0_E_clISt17integral_constantIbLb0EESZ_EEDaSU_SV_EUlSU_E_NS1_11comp_targetILNS1_3genE9ELNS1_11target_archE1100ELNS1_3gpuE3ELNS1_3repE0EEENS1_30default_config_static_selectorELNS0_4arch9wavefront6targetE0EEEvT1_.num_named_barrier, 0
	.set _ZN7rocprim17ROCPRIM_400000_NS6detail17trampoline_kernelINS0_14default_configENS1_27scan_by_key_config_selectorIssEEZZNS1_16scan_by_key_implILNS1_25lookback_scan_determinismE0ELb0ES3_N6thrust23THRUST_200600_302600_NS6detail15normal_iteratorINS9_10device_ptrIsEEEESE_SE_sNS9_4plusIvEENS9_8equal_toIvEEsEE10hipError_tPvRmT2_T3_T4_T5_mT6_T7_P12ihipStream_tbENKUlT_T0_E_clISt17integral_constantIbLb0EESZ_EEDaSU_SV_EUlSU_E_NS1_11comp_targetILNS1_3genE9ELNS1_11target_archE1100ELNS1_3gpuE3ELNS1_3repE0EEENS1_30default_config_static_selectorELNS0_4arch9wavefront6targetE0EEEvT1_.private_seg_size, 0
	.set _ZN7rocprim17ROCPRIM_400000_NS6detail17trampoline_kernelINS0_14default_configENS1_27scan_by_key_config_selectorIssEEZZNS1_16scan_by_key_implILNS1_25lookback_scan_determinismE0ELb0ES3_N6thrust23THRUST_200600_302600_NS6detail15normal_iteratorINS9_10device_ptrIsEEEESE_SE_sNS9_4plusIvEENS9_8equal_toIvEEsEE10hipError_tPvRmT2_T3_T4_T5_mT6_T7_P12ihipStream_tbENKUlT_T0_E_clISt17integral_constantIbLb0EESZ_EEDaSU_SV_EUlSU_E_NS1_11comp_targetILNS1_3genE9ELNS1_11target_archE1100ELNS1_3gpuE3ELNS1_3repE0EEENS1_30default_config_static_selectorELNS0_4arch9wavefront6targetE0EEEvT1_.uses_vcc, 0
	.set _ZN7rocprim17ROCPRIM_400000_NS6detail17trampoline_kernelINS0_14default_configENS1_27scan_by_key_config_selectorIssEEZZNS1_16scan_by_key_implILNS1_25lookback_scan_determinismE0ELb0ES3_N6thrust23THRUST_200600_302600_NS6detail15normal_iteratorINS9_10device_ptrIsEEEESE_SE_sNS9_4plusIvEENS9_8equal_toIvEEsEE10hipError_tPvRmT2_T3_T4_T5_mT6_T7_P12ihipStream_tbENKUlT_T0_E_clISt17integral_constantIbLb0EESZ_EEDaSU_SV_EUlSU_E_NS1_11comp_targetILNS1_3genE9ELNS1_11target_archE1100ELNS1_3gpuE3ELNS1_3repE0EEENS1_30default_config_static_selectorELNS0_4arch9wavefront6targetE0EEEvT1_.uses_flat_scratch, 0
	.set _ZN7rocprim17ROCPRIM_400000_NS6detail17trampoline_kernelINS0_14default_configENS1_27scan_by_key_config_selectorIssEEZZNS1_16scan_by_key_implILNS1_25lookback_scan_determinismE0ELb0ES3_N6thrust23THRUST_200600_302600_NS6detail15normal_iteratorINS9_10device_ptrIsEEEESE_SE_sNS9_4plusIvEENS9_8equal_toIvEEsEE10hipError_tPvRmT2_T3_T4_T5_mT6_T7_P12ihipStream_tbENKUlT_T0_E_clISt17integral_constantIbLb0EESZ_EEDaSU_SV_EUlSU_E_NS1_11comp_targetILNS1_3genE9ELNS1_11target_archE1100ELNS1_3gpuE3ELNS1_3repE0EEENS1_30default_config_static_selectorELNS0_4arch9wavefront6targetE0EEEvT1_.has_dyn_sized_stack, 0
	.set _ZN7rocprim17ROCPRIM_400000_NS6detail17trampoline_kernelINS0_14default_configENS1_27scan_by_key_config_selectorIssEEZZNS1_16scan_by_key_implILNS1_25lookback_scan_determinismE0ELb0ES3_N6thrust23THRUST_200600_302600_NS6detail15normal_iteratorINS9_10device_ptrIsEEEESE_SE_sNS9_4plusIvEENS9_8equal_toIvEEsEE10hipError_tPvRmT2_T3_T4_T5_mT6_T7_P12ihipStream_tbENKUlT_T0_E_clISt17integral_constantIbLb0EESZ_EEDaSU_SV_EUlSU_E_NS1_11comp_targetILNS1_3genE9ELNS1_11target_archE1100ELNS1_3gpuE3ELNS1_3repE0EEENS1_30default_config_static_selectorELNS0_4arch9wavefront6targetE0EEEvT1_.has_recursion, 0
	.set _ZN7rocprim17ROCPRIM_400000_NS6detail17trampoline_kernelINS0_14default_configENS1_27scan_by_key_config_selectorIssEEZZNS1_16scan_by_key_implILNS1_25lookback_scan_determinismE0ELb0ES3_N6thrust23THRUST_200600_302600_NS6detail15normal_iteratorINS9_10device_ptrIsEEEESE_SE_sNS9_4plusIvEENS9_8equal_toIvEEsEE10hipError_tPvRmT2_T3_T4_T5_mT6_T7_P12ihipStream_tbENKUlT_T0_E_clISt17integral_constantIbLb0EESZ_EEDaSU_SV_EUlSU_E_NS1_11comp_targetILNS1_3genE9ELNS1_11target_archE1100ELNS1_3gpuE3ELNS1_3repE0EEENS1_30default_config_static_selectorELNS0_4arch9wavefront6targetE0EEEvT1_.has_indirect_call, 0
	.section	.AMDGPU.csdata,"",@progbits
; Kernel info:
; codeLenInByte = 0
; TotalNumSgprs: 0
; NumVgprs: 0
; ScratchSize: 0
; MemoryBound: 0
; FloatMode: 240
; IeeeMode: 1
; LDSByteSize: 0 bytes/workgroup (compile time only)
; SGPRBlocks: 0
; VGPRBlocks: 0
; NumSGPRsForWavesPerEU: 1
; NumVGPRsForWavesPerEU: 1
; NamedBarCnt: 0
; Occupancy: 16
; WaveLimiterHint : 0
; COMPUTE_PGM_RSRC2:SCRATCH_EN: 0
; COMPUTE_PGM_RSRC2:USER_SGPR: 2
; COMPUTE_PGM_RSRC2:TRAP_HANDLER: 0
; COMPUTE_PGM_RSRC2:TGID_X_EN: 1
; COMPUTE_PGM_RSRC2:TGID_Y_EN: 0
; COMPUTE_PGM_RSRC2:TGID_Z_EN: 0
; COMPUTE_PGM_RSRC2:TIDIG_COMP_CNT: 0
	.section	.text._ZN7rocprim17ROCPRIM_400000_NS6detail17trampoline_kernelINS0_14default_configENS1_27scan_by_key_config_selectorIssEEZZNS1_16scan_by_key_implILNS1_25lookback_scan_determinismE0ELb0ES3_N6thrust23THRUST_200600_302600_NS6detail15normal_iteratorINS9_10device_ptrIsEEEESE_SE_sNS9_4plusIvEENS9_8equal_toIvEEsEE10hipError_tPvRmT2_T3_T4_T5_mT6_T7_P12ihipStream_tbENKUlT_T0_E_clISt17integral_constantIbLb0EESZ_EEDaSU_SV_EUlSU_E_NS1_11comp_targetILNS1_3genE8ELNS1_11target_archE1030ELNS1_3gpuE2ELNS1_3repE0EEENS1_30default_config_static_selectorELNS0_4arch9wavefront6targetE0EEEvT1_,"axG",@progbits,_ZN7rocprim17ROCPRIM_400000_NS6detail17trampoline_kernelINS0_14default_configENS1_27scan_by_key_config_selectorIssEEZZNS1_16scan_by_key_implILNS1_25lookback_scan_determinismE0ELb0ES3_N6thrust23THRUST_200600_302600_NS6detail15normal_iteratorINS9_10device_ptrIsEEEESE_SE_sNS9_4plusIvEENS9_8equal_toIvEEsEE10hipError_tPvRmT2_T3_T4_T5_mT6_T7_P12ihipStream_tbENKUlT_T0_E_clISt17integral_constantIbLb0EESZ_EEDaSU_SV_EUlSU_E_NS1_11comp_targetILNS1_3genE8ELNS1_11target_archE1030ELNS1_3gpuE2ELNS1_3repE0EEENS1_30default_config_static_selectorELNS0_4arch9wavefront6targetE0EEEvT1_,comdat
	.protected	_ZN7rocprim17ROCPRIM_400000_NS6detail17trampoline_kernelINS0_14default_configENS1_27scan_by_key_config_selectorIssEEZZNS1_16scan_by_key_implILNS1_25lookback_scan_determinismE0ELb0ES3_N6thrust23THRUST_200600_302600_NS6detail15normal_iteratorINS9_10device_ptrIsEEEESE_SE_sNS9_4plusIvEENS9_8equal_toIvEEsEE10hipError_tPvRmT2_T3_T4_T5_mT6_T7_P12ihipStream_tbENKUlT_T0_E_clISt17integral_constantIbLb0EESZ_EEDaSU_SV_EUlSU_E_NS1_11comp_targetILNS1_3genE8ELNS1_11target_archE1030ELNS1_3gpuE2ELNS1_3repE0EEENS1_30default_config_static_selectorELNS0_4arch9wavefront6targetE0EEEvT1_ ; -- Begin function _ZN7rocprim17ROCPRIM_400000_NS6detail17trampoline_kernelINS0_14default_configENS1_27scan_by_key_config_selectorIssEEZZNS1_16scan_by_key_implILNS1_25lookback_scan_determinismE0ELb0ES3_N6thrust23THRUST_200600_302600_NS6detail15normal_iteratorINS9_10device_ptrIsEEEESE_SE_sNS9_4plusIvEENS9_8equal_toIvEEsEE10hipError_tPvRmT2_T3_T4_T5_mT6_T7_P12ihipStream_tbENKUlT_T0_E_clISt17integral_constantIbLb0EESZ_EEDaSU_SV_EUlSU_E_NS1_11comp_targetILNS1_3genE8ELNS1_11target_archE1030ELNS1_3gpuE2ELNS1_3repE0EEENS1_30default_config_static_selectorELNS0_4arch9wavefront6targetE0EEEvT1_
	.globl	_ZN7rocprim17ROCPRIM_400000_NS6detail17trampoline_kernelINS0_14default_configENS1_27scan_by_key_config_selectorIssEEZZNS1_16scan_by_key_implILNS1_25lookback_scan_determinismE0ELb0ES3_N6thrust23THRUST_200600_302600_NS6detail15normal_iteratorINS9_10device_ptrIsEEEESE_SE_sNS9_4plusIvEENS9_8equal_toIvEEsEE10hipError_tPvRmT2_T3_T4_T5_mT6_T7_P12ihipStream_tbENKUlT_T0_E_clISt17integral_constantIbLb0EESZ_EEDaSU_SV_EUlSU_E_NS1_11comp_targetILNS1_3genE8ELNS1_11target_archE1030ELNS1_3gpuE2ELNS1_3repE0EEENS1_30default_config_static_selectorELNS0_4arch9wavefront6targetE0EEEvT1_
	.p2align	8
	.type	_ZN7rocprim17ROCPRIM_400000_NS6detail17trampoline_kernelINS0_14default_configENS1_27scan_by_key_config_selectorIssEEZZNS1_16scan_by_key_implILNS1_25lookback_scan_determinismE0ELb0ES3_N6thrust23THRUST_200600_302600_NS6detail15normal_iteratorINS9_10device_ptrIsEEEESE_SE_sNS9_4plusIvEENS9_8equal_toIvEEsEE10hipError_tPvRmT2_T3_T4_T5_mT6_T7_P12ihipStream_tbENKUlT_T0_E_clISt17integral_constantIbLb0EESZ_EEDaSU_SV_EUlSU_E_NS1_11comp_targetILNS1_3genE8ELNS1_11target_archE1030ELNS1_3gpuE2ELNS1_3repE0EEENS1_30default_config_static_selectorELNS0_4arch9wavefront6targetE0EEEvT1_,@function
_ZN7rocprim17ROCPRIM_400000_NS6detail17trampoline_kernelINS0_14default_configENS1_27scan_by_key_config_selectorIssEEZZNS1_16scan_by_key_implILNS1_25lookback_scan_determinismE0ELb0ES3_N6thrust23THRUST_200600_302600_NS6detail15normal_iteratorINS9_10device_ptrIsEEEESE_SE_sNS9_4plusIvEENS9_8equal_toIvEEsEE10hipError_tPvRmT2_T3_T4_T5_mT6_T7_P12ihipStream_tbENKUlT_T0_E_clISt17integral_constantIbLb0EESZ_EEDaSU_SV_EUlSU_E_NS1_11comp_targetILNS1_3genE8ELNS1_11target_archE1030ELNS1_3gpuE2ELNS1_3repE0EEENS1_30default_config_static_selectorELNS0_4arch9wavefront6targetE0EEEvT1_: ; @_ZN7rocprim17ROCPRIM_400000_NS6detail17trampoline_kernelINS0_14default_configENS1_27scan_by_key_config_selectorIssEEZZNS1_16scan_by_key_implILNS1_25lookback_scan_determinismE0ELb0ES3_N6thrust23THRUST_200600_302600_NS6detail15normal_iteratorINS9_10device_ptrIsEEEESE_SE_sNS9_4plusIvEENS9_8equal_toIvEEsEE10hipError_tPvRmT2_T3_T4_T5_mT6_T7_P12ihipStream_tbENKUlT_T0_E_clISt17integral_constantIbLb0EESZ_EEDaSU_SV_EUlSU_E_NS1_11comp_targetILNS1_3genE8ELNS1_11target_archE1030ELNS1_3gpuE2ELNS1_3repE0EEENS1_30default_config_static_selectorELNS0_4arch9wavefront6targetE0EEEvT1_
; %bb.0:
	.section	.rodata,"a",@progbits
	.p2align	6, 0x0
	.amdhsa_kernel _ZN7rocprim17ROCPRIM_400000_NS6detail17trampoline_kernelINS0_14default_configENS1_27scan_by_key_config_selectorIssEEZZNS1_16scan_by_key_implILNS1_25lookback_scan_determinismE0ELb0ES3_N6thrust23THRUST_200600_302600_NS6detail15normal_iteratorINS9_10device_ptrIsEEEESE_SE_sNS9_4plusIvEENS9_8equal_toIvEEsEE10hipError_tPvRmT2_T3_T4_T5_mT6_T7_P12ihipStream_tbENKUlT_T0_E_clISt17integral_constantIbLb0EESZ_EEDaSU_SV_EUlSU_E_NS1_11comp_targetILNS1_3genE8ELNS1_11target_archE1030ELNS1_3gpuE2ELNS1_3repE0EEENS1_30default_config_static_selectorELNS0_4arch9wavefront6targetE0EEEvT1_
		.amdhsa_group_segment_fixed_size 0
		.amdhsa_private_segment_fixed_size 0
		.amdhsa_kernarg_size 112
		.amdhsa_user_sgpr_count 2
		.amdhsa_user_sgpr_dispatch_ptr 0
		.amdhsa_user_sgpr_queue_ptr 0
		.amdhsa_user_sgpr_kernarg_segment_ptr 1
		.amdhsa_user_sgpr_dispatch_id 0
		.amdhsa_user_sgpr_kernarg_preload_length 0
		.amdhsa_user_sgpr_kernarg_preload_offset 0
		.amdhsa_user_sgpr_private_segment_size 0
		.amdhsa_wavefront_size32 1
		.amdhsa_uses_dynamic_stack 0
		.amdhsa_enable_private_segment 0
		.amdhsa_system_sgpr_workgroup_id_x 1
		.amdhsa_system_sgpr_workgroup_id_y 0
		.amdhsa_system_sgpr_workgroup_id_z 0
		.amdhsa_system_sgpr_workgroup_info 0
		.amdhsa_system_vgpr_workitem_id 0
		.amdhsa_next_free_vgpr 1
		.amdhsa_next_free_sgpr 1
		.amdhsa_named_barrier_count 0
		.amdhsa_reserve_vcc 0
		.amdhsa_float_round_mode_32 0
		.amdhsa_float_round_mode_16_64 0
		.amdhsa_float_denorm_mode_32 3
		.amdhsa_float_denorm_mode_16_64 3
		.amdhsa_fp16_overflow 0
		.amdhsa_memory_ordered 1
		.amdhsa_forward_progress 1
		.amdhsa_inst_pref_size 0
		.amdhsa_round_robin_scheduling 0
		.amdhsa_exception_fp_ieee_invalid_op 0
		.amdhsa_exception_fp_denorm_src 0
		.amdhsa_exception_fp_ieee_div_zero 0
		.amdhsa_exception_fp_ieee_overflow 0
		.amdhsa_exception_fp_ieee_underflow 0
		.amdhsa_exception_fp_ieee_inexact 0
		.amdhsa_exception_int_div_zero 0
	.end_amdhsa_kernel
	.section	.text._ZN7rocprim17ROCPRIM_400000_NS6detail17trampoline_kernelINS0_14default_configENS1_27scan_by_key_config_selectorIssEEZZNS1_16scan_by_key_implILNS1_25lookback_scan_determinismE0ELb0ES3_N6thrust23THRUST_200600_302600_NS6detail15normal_iteratorINS9_10device_ptrIsEEEESE_SE_sNS9_4plusIvEENS9_8equal_toIvEEsEE10hipError_tPvRmT2_T3_T4_T5_mT6_T7_P12ihipStream_tbENKUlT_T0_E_clISt17integral_constantIbLb0EESZ_EEDaSU_SV_EUlSU_E_NS1_11comp_targetILNS1_3genE8ELNS1_11target_archE1030ELNS1_3gpuE2ELNS1_3repE0EEENS1_30default_config_static_selectorELNS0_4arch9wavefront6targetE0EEEvT1_,"axG",@progbits,_ZN7rocprim17ROCPRIM_400000_NS6detail17trampoline_kernelINS0_14default_configENS1_27scan_by_key_config_selectorIssEEZZNS1_16scan_by_key_implILNS1_25lookback_scan_determinismE0ELb0ES3_N6thrust23THRUST_200600_302600_NS6detail15normal_iteratorINS9_10device_ptrIsEEEESE_SE_sNS9_4plusIvEENS9_8equal_toIvEEsEE10hipError_tPvRmT2_T3_T4_T5_mT6_T7_P12ihipStream_tbENKUlT_T0_E_clISt17integral_constantIbLb0EESZ_EEDaSU_SV_EUlSU_E_NS1_11comp_targetILNS1_3genE8ELNS1_11target_archE1030ELNS1_3gpuE2ELNS1_3repE0EEENS1_30default_config_static_selectorELNS0_4arch9wavefront6targetE0EEEvT1_,comdat
.Lfunc_end247:
	.size	_ZN7rocprim17ROCPRIM_400000_NS6detail17trampoline_kernelINS0_14default_configENS1_27scan_by_key_config_selectorIssEEZZNS1_16scan_by_key_implILNS1_25lookback_scan_determinismE0ELb0ES3_N6thrust23THRUST_200600_302600_NS6detail15normal_iteratorINS9_10device_ptrIsEEEESE_SE_sNS9_4plusIvEENS9_8equal_toIvEEsEE10hipError_tPvRmT2_T3_T4_T5_mT6_T7_P12ihipStream_tbENKUlT_T0_E_clISt17integral_constantIbLb0EESZ_EEDaSU_SV_EUlSU_E_NS1_11comp_targetILNS1_3genE8ELNS1_11target_archE1030ELNS1_3gpuE2ELNS1_3repE0EEENS1_30default_config_static_selectorELNS0_4arch9wavefront6targetE0EEEvT1_, .Lfunc_end247-_ZN7rocprim17ROCPRIM_400000_NS6detail17trampoline_kernelINS0_14default_configENS1_27scan_by_key_config_selectorIssEEZZNS1_16scan_by_key_implILNS1_25lookback_scan_determinismE0ELb0ES3_N6thrust23THRUST_200600_302600_NS6detail15normal_iteratorINS9_10device_ptrIsEEEESE_SE_sNS9_4plusIvEENS9_8equal_toIvEEsEE10hipError_tPvRmT2_T3_T4_T5_mT6_T7_P12ihipStream_tbENKUlT_T0_E_clISt17integral_constantIbLb0EESZ_EEDaSU_SV_EUlSU_E_NS1_11comp_targetILNS1_3genE8ELNS1_11target_archE1030ELNS1_3gpuE2ELNS1_3repE0EEENS1_30default_config_static_selectorELNS0_4arch9wavefront6targetE0EEEvT1_
                                        ; -- End function
	.set _ZN7rocprim17ROCPRIM_400000_NS6detail17trampoline_kernelINS0_14default_configENS1_27scan_by_key_config_selectorIssEEZZNS1_16scan_by_key_implILNS1_25lookback_scan_determinismE0ELb0ES3_N6thrust23THRUST_200600_302600_NS6detail15normal_iteratorINS9_10device_ptrIsEEEESE_SE_sNS9_4plusIvEENS9_8equal_toIvEEsEE10hipError_tPvRmT2_T3_T4_T5_mT6_T7_P12ihipStream_tbENKUlT_T0_E_clISt17integral_constantIbLb0EESZ_EEDaSU_SV_EUlSU_E_NS1_11comp_targetILNS1_3genE8ELNS1_11target_archE1030ELNS1_3gpuE2ELNS1_3repE0EEENS1_30default_config_static_selectorELNS0_4arch9wavefront6targetE0EEEvT1_.num_vgpr, 0
	.set _ZN7rocprim17ROCPRIM_400000_NS6detail17trampoline_kernelINS0_14default_configENS1_27scan_by_key_config_selectorIssEEZZNS1_16scan_by_key_implILNS1_25lookback_scan_determinismE0ELb0ES3_N6thrust23THRUST_200600_302600_NS6detail15normal_iteratorINS9_10device_ptrIsEEEESE_SE_sNS9_4plusIvEENS9_8equal_toIvEEsEE10hipError_tPvRmT2_T3_T4_T5_mT6_T7_P12ihipStream_tbENKUlT_T0_E_clISt17integral_constantIbLb0EESZ_EEDaSU_SV_EUlSU_E_NS1_11comp_targetILNS1_3genE8ELNS1_11target_archE1030ELNS1_3gpuE2ELNS1_3repE0EEENS1_30default_config_static_selectorELNS0_4arch9wavefront6targetE0EEEvT1_.num_agpr, 0
	.set _ZN7rocprim17ROCPRIM_400000_NS6detail17trampoline_kernelINS0_14default_configENS1_27scan_by_key_config_selectorIssEEZZNS1_16scan_by_key_implILNS1_25lookback_scan_determinismE0ELb0ES3_N6thrust23THRUST_200600_302600_NS6detail15normal_iteratorINS9_10device_ptrIsEEEESE_SE_sNS9_4plusIvEENS9_8equal_toIvEEsEE10hipError_tPvRmT2_T3_T4_T5_mT6_T7_P12ihipStream_tbENKUlT_T0_E_clISt17integral_constantIbLb0EESZ_EEDaSU_SV_EUlSU_E_NS1_11comp_targetILNS1_3genE8ELNS1_11target_archE1030ELNS1_3gpuE2ELNS1_3repE0EEENS1_30default_config_static_selectorELNS0_4arch9wavefront6targetE0EEEvT1_.numbered_sgpr, 0
	.set _ZN7rocprim17ROCPRIM_400000_NS6detail17trampoline_kernelINS0_14default_configENS1_27scan_by_key_config_selectorIssEEZZNS1_16scan_by_key_implILNS1_25lookback_scan_determinismE0ELb0ES3_N6thrust23THRUST_200600_302600_NS6detail15normal_iteratorINS9_10device_ptrIsEEEESE_SE_sNS9_4plusIvEENS9_8equal_toIvEEsEE10hipError_tPvRmT2_T3_T4_T5_mT6_T7_P12ihipStream_tbENKUlT_T0_E_clISt17integral_constantIbLb0EESZ_EEDaSU_SV_EUlSU_E_NS1_11comp_targetILNS1_3genE8ELNS1_11target_archE1030ELNS1_3gpuE2ELNS1_3repE0EEENS1_30default_config_static_selectorELNS0_4arch9wavefront6targetE0EEEvT1_.num_named_barrier, 0
	.set _ZN7rocprim17ROCPRIM_400000_NS6detail17trampoline_kernelINS0_14default_configENS1_27scan_by_key_config_selectorIssEEZZNS1_16scan_by_key_implILNS1_25lookback_scan_determinismE0ELb0ES3_N6thrust23THRUST_200600_302600_NS6detail15normal_iteratorINS9_10device_ptrIsEEEESE_SE_sNS9_4plusIvEENS9_8equal_toIvEEsEE10hipError_tPvRmT2_T3_T4_T5_mT6_T7_P12ihipStream_tbENKUlT_T0_E_clISt17integral_constantIbLb0EESZ_EEDaSU_SV_EUlSU_E_NS1_11comp_targetILNS1_3genE8ELNS1_11target_archE1030ELNS1_3gpuE2ELNS1_3repE0EEENS1_30default_config_static_selectorELNS0_4arch9wavefront6targetE0EEEvT1_.private_seg_size, 0
	.set _ZN7rocprim17ROCPRIM_400000_NS6detail17trampoline_kernelINS0_14default_configENS1_27scan_by_key_config_selectorIssEEZZNS1_16scan_by_key_implILNS1_25lookback_scan_determinismE0ELb0ES3_N6thrust23THRUST_200600_302600_NS6detail15normal_iteratorINS9_10device_ptrIsEEEESE_SE_sNS9_4plusIvEENS9_8equal_toIvEEsEE10hipError_tPvRmT2_T3_T4_T5_mT6_T7_P12ihipStream_tbENKUlT_T0_E_clISt17integral_constantIbLb0EESZ_EEDaSU_SV_EUlSU_E_NS1_11comp_targetILNS1_3genE8ELNS1_11target_archE1030ELNS1_3gpuE2ELNS1_3repE0EEENS1_30default_config_static_selectorELNS0_4arch9wavefront6targetE0EEEvT1_.uses_vcc, 0
	.set _ZN7rocprim17ROCPRIM_400000_NS6detail17trampoline_kernelINS0_14default_configENS1_27scan_by_key_config_selectorIssEEZZNS1_16scan_by_key_implILNS1_25lookback_scan_determinismE0ELb0ES3_N6thrust23THRUST_200600_302600_NS6detail15normal_iteratorINS9_10device_ptrIsEEEESE_SE_sNS9_4plusIvEENS9_8equal_toIvEEsEE10hipError_tPvRmT2_T3_T4_T5_mT6_T7_P12ihipStream_tbENKUlT_T0_E_clISt17integral_constantIbLb0EESZ_EEDaSU_SV_EUlSU_E_NS1_11comp_targetILNS1_3genE8ELNS1_11target_archE1030ELNS1_3gpuE2ELNS1_3repE0EEENS1_30default_config_static_selectorELNS0_4arch9wavefront6targetE0EEEvT1_.uses_flat_scratch, 0
	.set _ZN7rocprim17ROCPRIM_400000_NS6detail17trampoline_kernelINS0_14default_configENS1_27scan_by_key_config_selectorIssEEZZNS1_16scan_by_key_implILNS1_25lookback_scan_determinismE0ELb0ES3_N6thrust23THRUST_200600_302600_NS6detail15normal_iteratorINS9_10device_ptrIsEEEESE_SE_sNS9_4plusIvEENS9_8equal_toIvEEsEE10hipError_tPvRmT2_T3_T4_T5_mT6_T7_P12ihipStream_tbENKUlT_T0_E_clISt17integral_constantIbLb0EESZ_EEDaSU_SV_EUlSU_E_NS1_11comp_targetILNS1_3genE8ELNS1_11target_archE1030ELNS1_3gpuE2ELNS1_3repE0EEENS1_30default_config_static_selectorELNS0_4arch9wavefront6targetE0EEEvT1_.has_dyn_sized_stack, 0
	.set _ZN7rocprim17ROCPRIM_400000_NS6detail17trampoline_kernelINS0_14default_configENS1_27scan_by_key_config_selectorIssEEZZNS1_16scan_by_key_implILNS1_25lookback_scan_determinismE0ELb0ES3_N6thrust23THRUST_200600_302600_NS6detail15normal_iteratorINS9_10device_ptrIsEEEESE_SE_sNS9_4plusIvEENS9_8equal_toIvEEsEE10hipError_tPvRmT2_T3_T4_T5_mT6_T7_P12ihipStream_tbENKUlT_T0_E_clISt17integral_constantIbLb0EESZ_EEDaSU_SV_EUlSU_E_NS1_11comp_targetILNS1_3genE8ELNS1_11target_archE1030ELNS1_3gpuE2ELNS1_3repE0EEENS1_30default_config_static_selectorELNS0_4arch9wavefront6targetE0EEEvT1_.has_recursion, 0
	.set _ZN7rocprim17ROCPRIM_400000_NS6detail17trampoline_kernelINS0_14default_configENS1_27scan_by_key_config_selectorIssEEZZNS1_16scan_by_key_implILNS1_25lookback_scan_determinismE0ELb0ES3_N6thrust23THRUST_200600_302600_NS6detail15normal_iteratorINS9_10device_ptrIsEEEESE_SE_sNS9_4plusIvEENS9_8equal_toIvEEsEE10hipError_tPvRmT2_T3_T4_T5_mT6_T7_P12ihipStream_tbENKUlT_T0_E_clISt17integral_constantIbLb0EESZ_EEDaSU_SV_EUlSU_E_NS1_11comp_targetILNS1_3genE8ELNS1_11target_archE1030ELNS1_3gpuE2ELNS1_3repE0EEENS1_30default_config_static_selectorELNS0_4arch9wavefront6targetE0EEEvT1_.has_indirect_call, 0
	.section	.AMDGPU.csdata,"",@progbits
; Kernel info:
; codeLenInByte = 0
; TotalNumSgprs: 0
; NumVgprs: 0
; ScratchSize: 0
; MemoryBound: 0
; FloatMode: 240
; IeeeMode: 1
; LDSByteSize: 0 bytes/workgroup (compile time only)
; SGPRBlocks: 0
; VGPRBlocks: 0
; NumSGPRsForWavesPerEU: 1
; NumVGPRsForWavesPerEU: 1
; NamedBarCnt: 0
; Occupancy: 16
; WaveLimiterHint : 0
; COMPUTE_PGM_RSRC2:SCRATCH_EN: 0
; COMPUTE_PGM_RSRC2:USER_SGPR: 2
; COMPUTE_PGM_RSRC2:TRAP_HANDLER: 0
; COMPUTE_PGM_RSRC2:TGID_X_EN: 1
; COMPUTE_PGM_RSRC2:TGID_Y_EN: 0
; COMPUTE_PGM_RSRC2:TGID_Z_EN: 0
; COMPUTE_PGM_RSRC2:TIDIG_COMP_CNT: 0
	.section	.text._ZN7rocprim17ROCPRIM_400000_NS6detail30init_device_scan_by_key_kernelINS1_19lookback_scan_stateINS0_5tupleIJsbEEELb1ELb1EEEN6thrust23THRUST_200600_302600_NS6detail15normal_iteratorINS8_10device_ptrIsEEEEjNS1_16block_id_wrapperIjLb1EEEEEvT_jjPNSG_10value_typeET0_PNSt15iterator_traitsISJ_E10value_typeEmT1_T2_,"axG",@progbits,_ZN7rocprim17ROCPRIM_400000_NS6detail30init_device_scan_by_key_kernelINS1_19lookback_scan_stateINS0_5tupleIJsbEEELb1ELb1EEEN6thrust23THRUST_200600_302600_NS6detail15normal_iteratorINS8_10device_ptrIsEEEEjNS1_16block_id_wrapperIjLb1EEEEEvT_jjPNSG_10value_typeET0_PNSt15iterator_traitsISJ_E10value_typeEmT1_T2_,comdat
	.protected	_ZN7rocprim17ROCPRIM_400000_NS6detail30init_device_scan_by_key_kernelINS1_19lookback_scan_stateINS0_5tupleIJsbEEELb1ELb1EEEN6thrust23THRUST_200600_302600_NS6detail15normal_iteratorINS8_10device_ptrIsEEEEjNS1_16block_id_wrapperIjLb1EEEEEvT_jjPNSG_10value_typeET0_PNSt15iterator_traitsISJ_E10value_typeEmT1_T2_ ; -- Begin function _ZN7rocprim17ROCPRIM_400000_NS6detail30init_device_scan_by_key_kernelINS1_19lookback_scan_stateINS0_5tupleIJsbEEELb1ELb1EEEN6thrust23THRUST_200600_302600_NS6detail15normal_iteratorINS8_10device_ptrIsEEEEjNS1_16block_id_wrapperIjLb1EEEEEvT_jjPNSG_10value_typeET0_PNSt15iterator_traitsISJ_E10value_typeEmT1_T2_
	.globl	_ZN7rocprim17ROCPRIM_400000_NS6detail30init_device_scan_by_key_kernelINS1_19lookback_scan_stateINS0_5tupleIJsbEEELb1ELb1EEEN6thrust23THRUST_200600_302600_NS6detail15normal_iteratorINS8_10device_ptrIsEEEEjNS1_16block_id_wrapperIjLb1EEEEEvT_jjPNSG_10value_typeET0_PNSt15iterator_traitsISJ_E10value_typeEmT1_T2_
	.p2align	8
	.type	_ZN7rocprim17ROCPRIM_400000_NS6detail30init_device_scan_by_key_kernelINS1_19lookback_scan_stateINS0_5tupleIJsbEEELb1ELb1EEEN6thrust23THRUST_200600_302600_NS6detail15normal_iteratorINS8_10device_ptrIsEEEEjNS1_16block_id_wrapperIjLb1EEEEEvT_jjPNSG_10value_typeET0_PNSt15iterator_traitsISJ_E10value_typeEmT1_T2_,@function
_ZN7rocprim17ROCPRIM_400000_NS6detail30init_device_scan_by_key_kernelINS1_19lookback_scan_stateINS0_5tupleIJsbEEELb1ELb1EEEN6thrust23THRUST_200600_302600_NS6detail15normal_iteratorINS8_10device_ptrIsEEEEjNS1_16block_id_wrapperIjLb1EEEEEvT_jjPNSG_10value_typeET0_PNSt15iterator_traitsISJ_E10value_typeEmT1_T2_: ; @_ZN7rocprim17ROCPRIM_400000_NS6detail30init_device_scan_by_key_kernelINS1_19lookback_scan_stateINS0_5tupleIJsbEEELb1ELb1EEEN6thrust23THRUST_200600_302600_NS6detail15normal_iteratorINS8_10device_ptrIsEEEEjNS1_16block_id_wrapperIjLb1EEEEEvT_jjPNSG_10value_typeET0_PNSt15iterator_traitsISJ_E10value_typeEmT1_T2_
; %bb.0:
	s_clause 0x2
	s_load_b32 s2, s[0:1], 0x4c
	s_load_b32 s12, s[0:1], 0x40
	s_load_b256 s[4:11], s[0:1], 0x0
	s_bfe_u32 s3, ttmp6, 0x4000c
	s_and_b32 s14, ttmp6, 15
	s_add_co_i32 s3, s3, 1
	s_getreg_b32 s15, hwreg(HW_REG_IB_STS2, 6, 4)
	s_mul_i32 s3, ttmp9, s3
	s_delay_alu instid0(SALU_CYCLE_1)
	s_add_co_i32 s14, s14, s3
	s_wait_kmcnt 0x0
	s_and_b32 s13, s2, 0xffff
	s_cmp_eq_u32 s15, 0
	s_cselect_b32 s2, ttmp9, s14
	s_cmp_eq_u64 s[8:9], 0
	v_mad_u32 v0, s2, s13, v0
	s_cbranch_scc1 .LBB248_9
; %bb.1:
	s_cmp_lt_u32 s7, s6
	s_mov_b32 s14, exec_lo
	s_cselect_b32 s2, s7, 0
	s_delay_alu instid0(VALU_DEP_1) | instid1(SALU_CYCLE_1)
	v_cmpx_eq_u32_e64 s2, v0
	s_cbranch_execz .LBB248_8
; %bb.2:
	s_add_co_i32 s2, s7, 32
	s_delay_alu instid0(SALU_CYCLE_1) | instskip(SKIP_3) | instid1(VALU_DEP_1)
	v_dual_mov_b32 v2, 0 :: v_dual_mov_b32 v1, s2
	global_load_b64 v[4:5], v1, s[4:5] scale_offset scope:SCOPE_DEV
	s_wait_loadcnt 0x0
	v_and_b32_e32 v3, 0xff, v5
	v_cmp_ne_u64_e32 vcc_lo, 0, v[2:3]
	s_cbranch_vccnz .LBB248_7
; %bb.3:
	s_mov_b32 s3, 0
	s_mov_b32 s7, 1
	s_lshl_b64 s[2:3], s[2:3], 3
	s_delay_alu instid0(SALU_CYCLE_1)
	s_add_nc_u64 s[2:3], s[4:5], s[2:3]
.LBB248_4:                              ; =>This Loop Header: Depth=1
                                        ;     Child Loop BB248_5 Depth 2
	s_mov_b32 s15, s7
.LBB248_5:                              ;   Parent Loop BB248_4 Depth=1
                                        ; =>  This Inner Loop Header: Depth=2
	s_delay_alu instid0(SALU_CYCLE_1)
	s_add_co_i32 s15, s15, -1
	s_sleep 1
	s_cmp_eq_u32 s15, 0
	s_cbranch_scc0 .LBB248_5
; %bb.6:                                ;   in Loop: Header=BB248_4 Depth=1
	global_load_b64 v[4:5], v2, s[2:3] scope:SCOPE_DEV
	s_cmp_lt_u32 s7, 32
	s_cselect_b32 s15, -1, 0
	s_delay_alu instid0(SALU_CYCLE_1) | instskip(SKIP_3) | instid1(VALU_DEP_1)
	s_cmp_lg_u32 s15, 0
	s_add_co_ci_u32 s7, s7, 0
	s_wait_loadcnt 0x0
	v_and_b32_e32 v3, 0xff, v5
	v_cmp_ne_u64_e32 vcc_lo, 0, v[2:3]
	s_cbranch_vccz .LBB248_4
.LBB248_7:
	v_mov_b32_e32 v1, 0
	s_clause 0x1
	global_store_b16 v1, v4, s[8:9]
	global_store_d16_hi_b8 v1, v4, s[8:9] offset:2
.LBB248_8:
	s_wait_xcnt 0x0
	s_or_b32 exec_lo, exec_lo, s14
.LBB248_9:
	s_delay_alu instid0(SALU_CYCLE_1) | instskip(NEXT) | instid1(VALU_DEP_1)
	s_mov_b32 s2, exec_lo
	v_cmpx_eq_u32_e32 0, v0
	s_cbranch_execz .LBB248_11
; %bb.10:
	s_load_b64 s[8:9], s[0:1], 0x38
	v_mov_b32_e32 v1, 0
	s_wait_kmcnt 0x0
	global_store_b32 v1, v1, s[8:9]
.LBB248_11:
	s_wait_xcnt 0x0
	s_or_b32 exec_lo, exec_lo, s2
	s_delay_alu instid0(SALU_CYCLE_1)
	s_mov_b32 s2, exec_lo
	v_cmpx_gt_u32_e64 s6, v0
	s_cbranch_execz .LBB248_13
; %bb.12:
	v_mov_b64_e32 v[2:3], 0
	v_add_nc_u32_e32 v1, 32, v0
	global_store_b64 v1, v[2:3], s[4:5] scale_offset
.LBB248_13:
	s_wait_xcnt 0x0
	s_or_b32 exec_lo, exec_lo, s2
	v_mov_b32_e32 v1, 0
	s_mov_b32 s2, exec_lo
	v_cmpx_gt_u32_e32 32, v0
	s_cbranch_execz .LBB248_15
; %bb.14:
	v_mov_b64_e32 v[2:3], 0xff00000000
	v_lshl_add_u64 v[4:5], v[0:1], 3, s[4:5]
	global_store_b64 v[4:5], v[2:3], off
.LBB248_15:
	s_wait_xcnt 0x0
	s_or_b32 exec_lo, exec_lo, s2
	s_load_b64 s[2:3], s[0:1], 0x28
	s_mov_b32 s4, exec_lo
	s_wait_kmcnt 0x0
	v_cmpx_gt_u64_e64 s[2:3], v[0:1]
	s_cbranch_execz .LBB248_18
; %bb.16:
	s_clause 0x1
	s_load_b32 s4, s[0:1], 0x30
	s_load_b64 s[6:7], s[0:1], 0x20
	s_mov_b32 s5, 0
	s_wait_xcnt 0x0
	s_mul_i32 s0, s12, s13
	s_mov_b32 s9, s5
	s_mov_b32 s1, s5
	s_wait_kmcnt 0x0
	v_mul_u64_e32 v[2:3], s[4:5], v[0:1]
	s_add_co_i32 s8, s4, -1
	v_lshl_add_u64 v[4:5], v[0:1], 1, s[6:7]
	s_lshl_b64 s[8:9], s[8:9], 1
	s_delay_alu instid0(SALU_CYCLE_1) | instskip(SKIP_1) | instid1(SALU_CYCLE_1)
	s_add_nc_u64 s[8:9], s[10:11], s[8:9]
	s_mul_u64 s[10:11], s[4:5], s[0:1]
	s_lshl_b64 s[6:7], s[10:11], 1
	s_delay_alu instid0(VALU_DEP_2)
	v_lshl_add_u64 v[2:3], v[2:3], 1, s[8:9]
	s_lshl_b64 s[8:9], s[0:1], 1
.LBB248_17:                             ; =>This Inner Loop Header: Depth=1
	global_load_u16 v6, v[2:3], off
	v_add_nc_u64_e32 v[0:1], s[0:1], v[0:1]
	s_wait_xcnt 0x0
	v_add_nc_u64_e32 v[2:3], s[6:7], v[2:3]
	s_delay_alu instid0(VALU_DEP_2)
	v_cmp_le_u64_e32 vcc_lo, s[2:3], v[0:1]
	s_or_b32 s5, vcc_lo, s5
	s_wait_loadcnt 0x0
	global_store_b16 v[4:5], v6, off
	s_wait_xcnt 0x0
	v_add_nc_u64_e32 v[4:5], s[8:9], v[4:5]
	s_and_not1_b32 exec_lo, exec_lo, s5
	s_cbranch_execnz .LBB248_17
.LBB248_18:
	s_endpgm
	.section	.rodata,"a",@progbits
	.p2align	6, 0x0
	.amdhsa_kernel _ZN7rocprim17ROCPRIM_400000_NS6detail30init_device_scan_by_key_kernelINS1_19lookback_scan_stateINS0_5tupleIJsbEEELb1ELb1EEEN6thrust23THRUST_200600_302600_NS6detail15normal_iteratorINS8_10device_ptrIsEEEEjNS1_16block_id_wrapperIjLb1EEEEEvT_jjPNSG_10value_typeET0_PNSt15iterator_traitsISJ_E10value_typeEmT1_T2_
		.amdhsa_group_segment_fixed_size 0
		.amdhsa_private_segment_fixed_size 0
		.amdhsa_kernarg_size 320
		.amdhsa_user_sgpr_count 2
		.amdhsa_user_sgpr_dispatch_ptr 0
		.amdhsa_user_sgpr_queue_ptr 0
		.amdhsa_user_sgpr_kernarg_segment_ptr 1
		.amdhsa_user_sgpr_dispatch_id 0
		.amdhsa_user_sgpr_kernarg_preload_length 0
		.amdhsa_user_sgpr_kernarg_preload_offset 0
		.amdhsa_user_sgpr_private_segment_size 0
		.amdhsa_wavefront_size32 1
		.amdhsa_uses_dynamic_stack 0
		.amdhsa_enable_private_segment 0
		.amdhsa_system_sgpr_workgroup_id_x 1
		.amdhsa_system_sgpr_workgroup_id_y 0
		.amdhsa_system_sgpr_workgroup_id_z 0
		.amdhsa_system_sgpr_workgroup_info 0
		.amdhsa_system_vgpr_workitem_id 0
		.amdhsa_next_free_vgpr 7
		.amdhsa_next_free_sgpr 16
		.amdhsa_named_barrier_count 0
		.amdhsa_reserve_vcc 1
		.amdhsa_float_round_mode_32 0
		.amdhsa_float_round_mode_16_64 0
		.amdhsa_float_denorm_mode_32 3
		.amdhsa_float_denorm_mode_16_64 3
		.amdhsa_fp16_overflow 0
		.amdhsa_memory_ordered 1
		.amdhsa_forward_progress 1
		.amdhsa_inst_pref_size 6
		.amdhsa_round_robin_scheduling 0
		.amdhsa_exception_fp_ieee_invalid_op 0
		.amdhsa_exception_fp_denorm_src 0
		.amdhsa_exception_fp_ieee_div_zero 0
		.amdhsa_exception_fp_ieee_overflow 0
		.amdhsa_exception_fp_ieee_underflow 0
		.amdhsa_exception_fp_ieee_inexact 0
		.amdhsa_exception_int_div_zero 0
	.end_amdhsa_kernel
	.section	.text._ZN7rocprim17ROCPRIM_400000_NS6detail30init_device_scan_by_key_kernelINS1_19lookback_scan_stateINS0_5tupleIJsbEEELb1ELb1EEEN6thrust23THRUST_200600_302600_NS6detail15normal_iteratorINS8_10device_ptrIsEEEEjNS1_16block_id_wrapperIjLb1EEEEEvT_jjPNSG_10value_typeET0_PNSt15iterator_traitsISJ_E10value_typeEmT1_T2_,"axG",@progbits,_ZN7rocprim17ROCPRIM_400000_NS6detail30init_device_scan_by_key_kernelINS1_19lookback_scan_stateINS0_5tupleIJsbEEELb1ELb1EEEN6thrust23THRUST_200600_302600_NS6detail15normal_iteratorINS8_10device_ptrIsEEEEjNS1_16block_id_wrapperIjLb1EEEEEvT_jjPNSG_10value_typeET0_PNSt15iterator_traitsISJ_E10value_typeEmT1_T2_,comdat
.Lfunc_end248:
	.size	_ZN7rocprim17ROCPRIM_400000_NS6detail30init_device_scan_by_key_kernelINS1_19lookback_scan_stateINS0_5tupleIJsbEEELb1ELb1EEEN6thrust23THRUST_200600_302600_NS6detail15normal_iteratorINS8_10device_ptrIsEEEEjNS1_16block_id_wrapperIjLb1EEEEEvT_jjPNSG_10value_typeET0_PNSt15iterator_traitsISJ_E10value_typeEmT1_T2_, .Lfunc_end248-_ZN7rocprim17ROCPRIM_400000_NS6detail30init_device_scan_by_key_kernelINS1_19lookback_scan_stateINS0_5tupleIJsbEEELb1ELb1EEEN6thrust23THRUST_200600_302600_NS6detail15normal_iteratorINS8_10device_ptrIsEEEEjNS1_16block_id_wrapperIjLb1EEEEEvT_jjPNSG_10value_typeET0_PNSt15iterator_traitsISJ_E10value_typeEmT1_T2_
                                        ; -- End function
	.set _ZN7rocprim17ROCPRIM_400000_NS6detail30init_device_scan_by_key_kernelINS1_19lookback_scan_stateINS0_5tupleIJsbEEELb1ELb1EEEN6thrust23THRUST_200600_302600_NS6detail15normal_iteratorINS8_10device_ptrIsEEEEjNS1_16block_id_wrapperIjLb1EEEEEvT_jjPNSG_10value_typeET0_PNSt15iterator_traitsISJ_E10value_typeEmT1_T2_.num_vgpr, 7
	.set _ZN7rocprim17ROCPRIM_400000_NS6detail30init_device_scan_by_key_kernelINS1_19lookback_scan_stateINS0_5tupleIJsbEEELb1ELb1EEEN6thrust23THRUST_200600_302600_NS6detail15normal_iteratorINS8_10device_ptrIsEEEEjNS1_16block_id_wrapperIjLb1EEEEEvT_jjPNSG_10value_typeET0_PNSt15iterator_traitsISJ_E10value_typeEmT1_T2_.num_agpr, 0
	.set _ZN7rocprim17ROCPRIM_400000_NS6detail30init_device_scan_by_key_kernelINS1_19lookback_scan_stateINS0_5tupleIJsbEEELb1ELb1EEEN6thrust23THRUST_200600_302600_NS6detail15normal_iteratorINS8_10device_ptrIsEEEEjNS1_16block_id_wrapperIjLb1EEEEEvT_jjPNSG_10value_typeET0_PNSt15iterator_traitsISJ_E10value_typeEmT1_T2_.numbered_sgpr, 16
	.set _ZN7rocprim17ROCPRIM_400000_NS6detail30init_device_scan_by_key_kernelINS1_19lookback_scan_stateINS0_5tupleIJsbEEELb1ELb1EEEN6thrust23THRUST_200600_302600_NS6detail15normal_iteratorINS8_10device_ptrIsEEEEjNS1_16block_id_wrapperIjLb1EEEEEvT_jjPNSG_10value_typeET0_PNSt15iterator_traitsISJ_E10value_typeEmT1_T2_.num_named_barrier, 0
	.set _ZN7rocprim17ROCPRIM_400000_NS6detail30init_device_scan_by_key_kernelINS1_19lookback_scan_stateINS0_5tupleIJsbEEELb1ELb1EEEN6thrust23THRUST_200600_302600_NS6detail15normal_iteratorINS8_10device_ptrIsEEEEjNS1_16block_id_wrapperIjLb1EEEEEvT_jjPNSG_10value_typeET0_PNSt15iterator_traitsISJ_E10value_typeEmT1_T2_.private_seg_size, 0
	.set _ZN7rocprim17ROCPRIM_400000_NS6detail30init_device_scan_by_key_kernelINS1_19lookback_scan_stateINS0_5tupleIJsbEEELb1ELb1EEEN6thrust23THRUST_200600_302600_NS6detail15normal_iteratorINS8_10device_ptrIsEEEEjNS1_16block_id_wrapperIjLb1EEEEEvT_jjPNSG_10value_typeET0_PNSt15iterator_traitsISJ_E10value_typeEmT1_T2_.uses_vcc, 1
	.set _ZN7rocprim17ROCPRIM_400000_NS6detail30init_device_scan_by_key_kernelINS1_19lookback_scan_stateINS0_5tupleIJsbEEELb1ELb1EEEN6thrust23THRUST_200600_302600_NS6detail15normal_iteratorINS8_10device_ptrIsEEEEjNS1_16block_id_wrapperIjLb1EEEEEvT_jjPNSG_10value_typeET0_PNSt15iterator_traitsISJ_E10value_typeEmT1_T2_.uses_flat_scratch, 0
	.set _ZN7rocprim17ROCPRIM_400000_NS6detail30init_device_scan_by_key_kernelINS1_19lookback_scan_stateINS0_5tupleIJsbEEELb1ELb1EEEN6thrust23THRUST_200600_302600_NS6detail15normal_iteratorINS8_10device_ptrIsEEEEjNS1_16block_id_wrapperIjLb1EEEEEvT_jjPNSG_10value_typeET0_PNSt15iterator_traitsISJ_E10value_typeEmT1_T2_.has_dyn_sized_stack, 0
	.set _ZN7rocprim17ROCPRIM_400000_NS6detail30init_device_scan_by_key_kernelINS1_19lookback_scan_stateINS0_5tupleIJsbEEELb1ELb1EEEN6thrust23THRUST_200600_302600_NS6detail15normal_iteratorINS8_10device_ptrIsEEEEjNS1_16block_id_wrapperIjLb1EEEEEvT_jjPNSG_10value_typeET0_PNSt15iterator_traitsISJ_E10value_typeEmT1_T2_.has_recursion, 0
	.set _ZN7rocprim17ROCPRIM_400000_NS6detail30init_device_scan_by_key_kernelINS1_19lookback_scan_stateINS0_5tupleIJsbEEELb1ELb1EEEN6thrust23THRUST_200600_302600_NS6detail15normal_iteratorINS8_10device_ptrIsEEEEjNS1_16block_id_wrapperIjLb1EEEEEvT_jjPNSG_10value_typeET0_PNSt15iterator_traitsISJ_E10value_typeEmT1_T2_.has_indirect_call, 0
	.section	.AMDGPU.csdata,"",@progbits
; Kernel info:
; codeLenInByte = 660
; TotalNumSgprs: 18
; NumVgprs: 7
; ScratchSize: 0
; MemoryBound: 0
; FloatMode: 240
; IeeeMode: 1
; LDSByteSize: 0 bytes/workgroup (compile time only)
; SGPRBlocks: 0
; VGPRBlocks: 0
; NumSGPRsForWavesPerEU: 18
; NumVGPRsForWavesPerEU: 7
; NamedBarCnt: 0
; Occupancy: 16
; WaveLimiterHint : 0
; COMPUTE_PGM_RSRC2:SCRATCH_EN: 0
; COMPUTE_PGM_RSRC2:USER_SGPR: 2
; COMPUTE_PGM_RSRC2:TRAP_HANDLER: 0
; COMPUTE_PGM_RSRC2:TGID_X_EN: 1
; COMPUTE_PGM_RSRC2:TGID_Y_EN: 0
; COMPUTE_PGM_RSRC2:TGID_Z_EN: 0
; COMPUTE_PGM_RSRC2:TIDIG_COMP_CNT: 0
	.section	.text._ZN7rocprim17ROCPRIM_400000_NS6detail30init_device_scan_by_key_kernelINS1_19lookback_scan_stateINS0_5tupleIJsbEEELb1ELb1EEENS1_16block_id_wrapperIjLb1EEEEEvT_jjPNS9_10value_typeET0_,"axG",@progbits,_ZN7rocprim17ROCPRIM_400000_NS6detail30init_device_scan_by_key_kernelINS1_19lookback_scan_stateINS0_5tupleIJsbEEELb1ELb1EEENS1_16block_id_wrapperIjLb1EEEEEvT_jjPNS9_10value_typeET0_,comdat
	.protected	_ZN7rocprim17ROCPRIM_400000_NS6detail30init_device_scan_by_key_kernelINS1_19lookback_scan_stateINS0_5tupleIJsbEEELb1ELb1EEENS1_16block_id_wrapperIjLb1EEEEEvT_jjPNS9_10value_typeET0_ ; -- Begin function _ZN7rocprim17ROCPRIM_400000_NS6detail30init_device_scan_by_key_kernelINS1_19lookback_scan_stateINS0_5tupleIJsbEEELb1ELb1EEENS1_16block_id_wrapperIjLb1EEEEEvT_jjPNS9_10value_typeET0_
	.globl	_ZN7rocprim17ROCPRIM_400000_NS6detail30init_device_scan_by_key_kernelINS1_19lookback_scan_stateINS0_5tupleIJsbEEELb1ELb1EEENS1_16block_id_wrapperIjLb1EEEEEvT_jjPNS9_10value_typeET0_
	.p2align	8
	.type	_ZN7rocprim17ROCPRIM_400000_NS6detail30init_device_scan_by_key_kernelINS1_19lookback_scan_stateINS0_5tupleIJsbEEELb1ELb1EEENS1_16block_id_wrapperIjLb1EEEEEvT_jjPNS9_10value_typeET0_,@function
_ZN7rocprim17ROCPRIM_400000_NS6detail30init_device_scan_by_key_kernelINS1_19lookback_scan_stateINS0_5tupleIJsbEEELb1ELb1EEENS1_16block_id_wrapperIjLb1EEEEEvT_jjPNS9_10value_typeET0_: ; @_ZN7rocprim17ROCPRIM_400000_NS6detail30init_device_scan_by_key_kernelINS1_19lookback_scan_stateINS0_5tupleIJsbEEELb1ELb1EEENS1_16block_id_wrapperIjLb1EEEEEvT_jjPNS9_10value_typeET0_
; %bb.0:
	s_clause 0x1
	s_load_b32 s2, s[0:1], 0x2c
	s_load_b256 s[4:11], s[0:1], 0x0
	s_wait_xcnt 0x0
	s_bfe_u32 s0, ttmp6, 0x4000c
	s_and_b32 s1, ttmp6, 15
	s_add_co_i32 s0, s0, 1
	s_getreg_b32 s3, hwreg(HW_REG_IB_STS2, 6, 4)
	s_mul_i32 s0, ttmp9, s0
	s_delay_alu instid0(SALU_CYCLE_1)
	s_add_co_i32 s1, s1, s0
	s_wait_kmcnt 0x0
	s_and_b32 s2, s2, 0xffff
	s_cmp_eq_u32 s3, 0
	s_cselect_b32 s0, ttmp9, s1
	s_cmp_eq_u64 s[8:9], 0
	v_mad_u32 v4, s0, s2, v0
	s_cbranch_scc1 .LBB249_9
; %bb.1:
	s_cmp_lt_u32 s7, s6
	s_mov_b32 s2, exec_lo
	s_cselect_b32 s0, s7, 0
	s_delay_alu instid0(VALU_DEP_1) | instid1(SALU_CYCLE_1)
	v_cmpx_eq_u32_e64 s0, v4
	s_cbranch_execz .LBB249_8
; %bb.2:
	s_add_co_i32 s0, s7, 32
	s_delay_alu instid0(SALU_CYCLE_1)
	v_mov_b32_e32 v0, s0
	global_load_b64 v[2:3], v0, s[4:5] scale_offset scope:SCOPE_DEV
	s_wait_xcnt 0x0
	v_mov_b32_e32 v0, 0
	s_wait_loadcnt 0x0
	v_and_b32_e32 v1, 0xff, v3
	s_delay_alu instid0(VALU_DEP_1)
	v_cmp_ne_u64_e32 vcc_lo, 0, v[0:1]
	s_cbranch_vccnz .LBB249_7
; %bb.3:
	s_mov_b32 s1, 0
	s_mov_b32 s3, 1
	s_lshl_b64 s[0:1], s[0:1], 3
	s_delay_alu instid0(SALU_CYCLE_1)
	s_add_nc_u64 s[0:1], s[4:5], s[0:1]
.LBB249_4:                              ; =>This Loop Header: Depth=1
                                        ;     Child Loop BB249_5 Depth 2
	s_mov_b32 s7, s3
.LBB249_5:                              ;   Parent Loop BB249_4 Depth=1
                                        ; =>  This Inner Loop Header: Depth=2
	s_delay_alu instid0(SALU_CYCLE_1)
	s_add_co_i32 s7, s7, -1
	s_sleep 1
	s_cmp_eq_u32 s7, 0
	s_cbranch_scc0 .LBB249_5
; %bb.6:                                ;   in Loop: Header=BB249_4 Depth=1
	global_load_b64 v[2:3], v0, s[0:1] scope:SCOPE_DEV
	s_cmp_lt_u32 s3, 32
	s_cselect_b32 s7, -1, 0
	s_delay_alu instid0(SALU_CYCLE_1) | instskip(SKIP_3) | instid1(VALU_DEP_1)
	s_cmp_lg_u32 s7, 0
	s_add_co_ci_u32 s3, s3, 0
	s_wait_loadcnt 0x0
	v_and_b32_e32 v1, 0xff, v3
	v_cmp_ne_u64_e32 vcc_lo, 0, v[0:1]
	s_cbranch_vccz .LBB249_4
.LBB249_7:
	v_mov_b32_e32 v0, 0
	s_clause 0x1
	global_store_b16 v0, v2, s[8:9]
	global_store_d16_hi_b8 v0, v2, s[8:9] offset:2
.LBB249_8:
	s_wait_xcnt 0x0
	s_or_b32 exec_lo, exec_lo, s2
.LBB249_9:
	s_delay_alu instid0(SALU_CYCLE_1) | instskip(NEXT) | instid1(VALU_DEP_1)
	s_mov_b32 s0, exec_lo
	v_cmpx_eq_u32_e32 0, v4
	s_cbranch_execz .LBB249_11
; %bb.10:
	v_mov_b32_e32 v0, 0
	global_store_b32 v0, v0, s[10:11]
.LBB249_11:
	s_wait_xcnt 0x0
	s_or_b32 exec_lo, exec_lo, s0
	s_delay_alu instid0(SALU_CYCLE_1)
	s_mov_b32 s0, exec_lo
	v_cmpx_gt_u32_e64 s6, v4
	s_cbranch_execz .LBB249_13
; %bb.12:
	v_mov_b64_e32 v[0:1], 0
	v_add_nc_u32_e32 v2, 32, v4
	global_store_b64 v2, v[0:1], s[4:5] scale_offset
.LBB249_13:
	s_wait_xcnt 0x0
	s_or_b32 exec_lo, exec_lo, s0
	s_delay_alu instid0(SALU_CYCLE_1)
	s_mov_b32 s0, exec_lo
	v_cmpx_gt_u32_e32 32, v4
	s_cbranch_execz .LBB249_15
; %bb.14:
	v_mov_b64_e32 v[0:1], 0xff00000000
	global_store_b64 v4, v[0:1], s[4:5] scale_offset
.LBB249_15:
	s_endpgm
	.section	.rodata,"a",@progbits
	.p2align	6, 0x0
	.amdhsa_kernel _ZN7rocprim17ROCPRIM_400000_NS6detail30init_device_scan_by_key_kernelINS1_19lookback_scan_stateINS0_5tupleIJsbEEELb1ELb1EEENS1_16block_id_wrapperIjLb1EEEEEvT_jjPNS9_10value_typeET0_
		.amdhsa_group_segment_fixed_size 0
		.amdhsa_private_segment_fixed_size 0
		.amdhsa_kernarg_size 288
		.amdhsa_user_sgpr_count 2
		.amdhsa_user_sgpr_dispatch_ptr 0
		.amdhsa_user_sgpr_queue_ptr 0
		.amdhsa_user_sgpr_kernarg_segment_ptr 1
		.amdhsa_user_sgpr_dispatch_id 0
		.amdhsa_user_sgpr_kernarg_preload_length 0
		.amdhsa_user_sgpr_kernarg_preload_offset 0
		.amdhsa_user_sgpr_private_segment_size 0
		.amdhsa_wavefront_size32 1
		.amdhsa_uses_dynamic_stack 0
		.amdhsa_enable_private_segment 0
		.amdhsa_system_sgpr_workgroup_id_x 1
		.amdhsa_system_sgpr_workgroup_id_y 0
		.amdhsa_system_sgpr_workgroup_id_z 0
		.amdhsa_system_sgpr_workgroup_info 0
		.amdhsa_system_vgpr_workitem_id 0
		.amdhsa_next_free_vgpr 5
		.amdhsa_next_free_sgpr 12
		.amdhsa_named_barrier_count 0
		.amdhsa_reserve_vcc 1
		.amdhsa_float_round_mode_32 0
		.amdhsa_float_round_mode_16_64 0
		.amdhsa_float_denorm_mode_32 3
		.amdhsa_float_denorm_mode_16_64 3
		.amdhsa_fp16_overflow 0
		.amdhsa_memory_ordered 1
		.amdhsa_forward_progress 1
		.amdhsa_inst_pref_size 4
		.amdhsa_round_robin_scheduling 0
		.amdhsa_exception_fp_ieee_invalid_op 0
		.amdhsa_exception_fp_denorm_src 0
		.amdhsa_exception_fp_ieee_div_zero 0
		.amdhsa_exception_fp_ieee_overflow 0
		.amdhsa_exception_fp_ieee_underflow 0
		.amdhsa_exception_fp_ieee_inexact 0
		.amdhsa_exception_int_div_zero 0
	.end_amdhsa_kernel
	.section	.text._ZN7rocprim17ROCPRIM_400000_NS6detail30init_device_scan_by_key_kernelINS1_19lookback_scan_stateINS0_5tupleIJsbEEELb1ELb1EEENS1_16block_id_wrapperIjLb1EEEEEvT_jjPNS9_10value_typeET0_,"axG",@progbits,_ZN7rocprim17ROCPRIM_400000_NS6detail30init_device_scan_by_key_kernelINS1_19lookback_scan_stateINS0_5tupleIJsbEEELb1ELb1EEENS1_16block_id_wrapperIjLb1EEEEEvT_jjPNS9_10value_typeET0_,comdat
.Lfunc_end249:
	.size	_ZN7rocprim17ROCPRIM_400000_NS6detail30init_device_scan_by_key_kernelINS1_19lookback_scan_stateINS0_5tupleIJsbEEELb1ELb1EEENS1_16block_id_wrapperIjLb1EEEEEvT_jjPNS9_10value_typeET0_, .Lfunc_end249-_ZN7rocprim17ROCPRIM_400000_NS6detail30init_device_scan_by_key_kernelINS1_19lookback_scan_stateINS0_5tupleIJsbEEELb1ELb1EEENS1_16block_id_wrapperIjLb1EEEEEvT_jjPNS9_10value_typeET0_
                                        ; -- End function
	.set _ZN7rocprim17ROCPRIM_400000_NS6detail30init_device_scan_by_key_kernelINS1_19lookback_scan_stateINS0_5tupleIJsbEEELb1ELb1EEENS1_16block_id_wrapperIjLb1EEEEEvT_jjPNS9_10value_typeET0_.num_vgpr, 5
	.set _ZN7rocprim17ROCPRIM_400000_NS6detail30init_device_scan_by_key_kernelINS1_19lookback_scan_stateINS0_5tupleIJsbEEELb1ELb1EEENS1_16block_id_wrapperIjLb1EEEEEvT_jjPNS9_10value_typeET0_.num_agpr, 0
	.set _ZN7rocprim17ROCPRIM_400000_NS6detail30init_device_scan_by_key_kernelINS1_19lookback_scan_stateINS0_5tupleIJsbEEELb1ELb1EEENS1_16block_id_wrapperIjLb1EEEEEvT_jjPNS9_10value_typeET0_.numbered_sgpr, 12
	.set _ZN7rocprim17ROCPRIM_400000_NS6detail30init_device_scan_by_key_kernelINS1_19lookback_scan_stateINS0_5tupleIJsbEEELb1ELb1EEENS1_16block_id_wrapperIjLb1EEEEEvT_jjPNS9_10value_typeET0_.num_named_barrier, 0
	.set _ZN7rocprim17ROCPRIM_400000_NS6detail30init_device_scan_by_key_kernelINS1_19lookback_scan_stateINS0_5tupleIJsbEEELb1ELb1EEENS1_16block_id_wrapperIjLb1EEEEEvT_jjPNS9_10value_typeET0_.private_seg_size, 0
	.set _ZN7rocprim17ROCPRIM_400000_NS6detail30init_device_scan_by_key_kernelINS1_19lookback_scan_stateINS0_5tupleIJsbEEELb1ELb1EEENS1_16block_id_wrapperIjLb1EEEEEvT_jjPNS9_10value_typeET0_.uses_vcc, 1
	.set _ZN7rocprim17ROCPRIM_400000_NS6detail30init_device_scan_by_key_kernelINS1_19lookback_scan_stateINS0_5tupleIJsbEEELb1ELb1EEENS1_16block_id_wrapperIjLb1EEEEEvT_jjPNS9_10value_typeET0_.uses_flat_scratch, 0
	.set _ZN7rocprim17ROCPRIM_400000_NS6detail30init_device_scan_by_key_kernelINS1_19lookback_scan_stateINS0_5tupleIJsbEEELb1ELb1EEENS1_16block_id_wrapperIjLb1EEEEEvT_jjPNS9_10value_typeET0_.has_dyn_sized_stack, 0
	.set _ZN7rocprim17ROCPRIM_400000_NS6detail30init_device_scan_by_key_kernelINS1_19lookback_scan_stateINS0_5tupleIJsbEEELb1ELb1EEENS1_16block_id_wrapperIjLb1EEEEEvT_jjPNS9_10value_typeET0_.has_recursion, 0
	.set _ZN7rocprim17ROCPRIM_400000_NS6detail30init_device_scan_by_key_kernelINS1_19lookback_scan_stateINS0_5tupleIJsbEEELb1ELb1EEENS1_16block_id_wrapperIjLb1EEEEEvT_jjPNS9_10value_typeET0_.has_indirect_call, 0
	.section	.AMDGPU.csdata,"",@progbits
; Kernel info:
; codeLenInByte = 444
; TotalNumSgprs: 14
; NumVgprs: 5
; ScratchSize: 0
; MemoryBound: 0
; FloatMode: 240
; IeeeMode: 1
; LDSByteSize: 0 bytes/workgroup (compile time only)
; SGPRBlocks: 0
; VGPRBlocks: 0
; NumSGPRsForWavesPerEU: 14
; NumVGPRsForWavesPerEU: 5
; NamedBarCnt: 0
; Occupancy: 16
; WaveLimiterHint : 0
; COMPUTE_PGM_RSRC2:SCRATCH_EN: 0
; COMPUTE_PGM_RSRC2:USER_SGPR: 2
; COMPUTE_PGM_RSRC2:TRAP_HANDLER: 0
; COMPUTE_PGM_RSRC2:TGID_X_EN: 1
; COMPUTE_PGM_RSRC2:TGID_Y_EN: 0
; COMPUTE_PGM_RSRC2:TGID_Z_EN: 0
; COMPUTE_PGM_RSRC2:TIDIG_COMP_CNT: 0
	.section	.text._ZN7rocprim17ROCPRIM_400000_NS6detail17trampoline_kernelINS0_14default_configENS1_27scan_by_key_config_selectorIssEEZZNS1_16scan_by_key_implILNS1_25lookback_scan_determinismE0ELb0ES3_N6thrust23THRUST_200600_302600_NS6detail15normal_iteratorINS9_10device_ptrIsEEEESE_SE_sNS9_4plusIvEENS9_8equal_toIvEEsEE10hipError_tPvRmT2_T3_T4_T5_mT6_T7_P12ihipStream_tbENKUlT_T0_E_clISt17integral_constantIbLb1EESZ_EEDaSU_SV_EUlSU_E_NS1_11comp_targetILNS1_3genE0ELNS1_11target_archE4294967295ELNS1_3gpuE0ELNS1_3repE0EEENS1_30default_config_static_selectorELNS0_4arch9wavefront6targetE0EEEvT1_,"axG",@progbits,_ZN7rocprim17ROCPRIM_400000_NS6detail17trampoline_kernelINS0_14default_configENS1_27scan_by_key_config_selectorIssEEZZNS1_16scan_by_key_implILNS1_25lookback_scan_determinismE0ELb0ES3_N6thrust23THRUST_200600_302600_NS6detail15normal_iteratorINS9_10device_ptrIsEEEESE_SE_sNS9_4plusIvEENS9_8equal_toIvEEsEE10hipError_tPvRmT2_T3_T4_T5_mT6_T7_P12ihipStream_tbENKUlT_T0_E_clISt17integral_constantIbLb1EESZ_EEDaSU_SV_EUlSU_E_NS1_11comp_targetILNS1_3genE0ELNS1_11target_archE4294967295ELNS1_3gpuE0ELNS1_3repE0EEENS1_30default_config_static_selectorELNS0_4arch9wavefront6targetE0EEEvT1_,comdat
	.protected	_ZN7rocprim17ROCPRIM_400000_NS6detail17trampoline_kernelINS0_14default_configENS1_27scan_by_key_config_selectorIssEEZZNS1_16scan_by_key_implILNS1_25lookback_scan_determinismE0ELb0ES3_N6thrust23THRUST_200600_302600_NS6detail15normal_iteratorINS9_10device_ptrIsEEEESE_SE_sNS9_4plusIvEENS9_8equal_toIvEEsEE10hipError_tPvRmT2_T3_T4_T5_mT6_T7_P12ihipStream_tbENKUlT_T0_E_clISt17integral_constantIbLb1EESZ_EEDaSU_SV_EUlSU_E_NS1_11comp_targetILNS1_3genE0ELNS1_11target_archE4294967295ELNS1_3gpuE0ELNS1_3repE0EEENS1_30default_config_static_selectorELNS0_4arch9wavefront6targetE0EEEvT1_ ; -- Begin function _ZN7rocprim17ROCPRIM_400000_NS6detail17trampoline_kernelINS0_14default_configENS1_27scan_by_key_config_selectorIssEEZZNS1_16scan_by_key_implILNS1_25lookback_scan_determinismE0ELb0ES3_N6thrust23THRUST_200600_302600_NS6detail15normal_iteratorINS9_10device_ptrIsEEEESE_SE_sNS9_4plusIvEENS9_8equal_toIvEEsEE10hipError_tPvRmT2_T3_T4_T5_mT6_T7_P12ihipStream_tbENKUlT_T0_E_clISt17integral_constantIbLb1EESZ_EEDaSU_SV_EUlSU_E_NS1_11comp_targetILNS1_3genE0ELNS1_11target_archE4294967295ELNS1_3gpuE0ELNS1_3repE0EEENS1_30default_config_static_selectorELNS0_4arch9wavefront6targetE0EEEvT1_
	.globl	_ZN7rocprim17ROCPRIM_400000_NS6detail17trampoline_kernelINS0_14default_configENS1_27scan_by_key_config_selectorIssEEZZNS1_16scan_by_key_implILNS1_25lookback_scan_determinismE0ELb0ES3_N6thrust23THRUST_200600_302600_NS6detail15normal_iteratorINS9_10device_ptrIsEEEESE_SE_sNS9_4plusIvEENS9_8equal_toIvEEsEE10hipError_tPvRmT2_T3_T4_T5_mT6_T7_P12ihipStream_tbENKUlT_T0_E_clISt17integral_constantIbLb1EESZ_EEDaSU_SV_EUlSU_E_NS1_11comp_targetILNS1_3genE0ELNS1_11target_archE4294967295ELNS1_3gpuE0ELNS1_3repE0EEENS1_30default_config_static_selectorELNS0_4arch9wavefront6targetE0EEEvT1_
	.p2align	8
	.type	_ZN7rocprim17ROCPRIM_400000_NS6detail17trampoline_kernelINS0_14default_configENS1_27scan_by_key_config_selectorIssEEZZNS1_16scan_by_key_implILNS1_25lookback_scan_determinismE0ELb0ES3_N6thrust23THRUST_200600_302600_NS6detail15normal_iteratorINS9_10device_ptrIsEEEESE_SE_sNS9_4plusIvEENS9_8equal_toIvEEsEE10hipError_tPvRmT2_T3_T4_T5_mT6_T7_P12ihipStream_tbENKUlT_T0_E_clISt17integral_constantIbLb1EESZ_EEDaSU_SV_EUlSU_E_NS1_11comp_targetILNS1_3genE0ELNS1_11target_archE4294967295ELNS1_3gpuE0ELNS1_3repE0EEENS1_30default_config_static_selectorELNS0_4arch9wavefront6targetE0EEEvT1_,@function
_ZN7rocprim17ROCPRIM_400000_NS6detail17trampoline_kernelINS0_14default_configENS1_27scan_by_key_config_selectorIssEEZZNS1_16scan_by_key_implILNS1_25lookback_scan_determinismE0ELb0ES3_N6thrust23THRUST_200600_302600_NS6detail15normal_iteratorINS9_10device_ptrIsEEEESE_SE_sNS9_4plusIvEENS9_8equal_toIvEEsEE10hipError_tPvRmT2_T3_T4_T5_mT6_T7_P12ihipStream_tbENKUlT_T0_E_clISt17integral_constantIbLb1EESZ_EEDaSU_SV_EUlSU_E_NS1_11comp_targetILNS1_3genE0ELNS1_11target_archE4294967295ELNS1_3gpuE0ELNS1_3repE0EEENS1_30default_config_static_selectorELNS0_4arch9wavefront6targetE0EEEvT1_: ; @_ZN7rocprim17ROCPRIM_400000_NS6detail17trampoline_kernelINS0_14default_configENS1_27scan_by_key_config_selectorIssEEZZNS1_16scan_by_key_implILNS1_25lookback_scan_determinismE0ELb0ES3_N6thrust23THRUST_200600_302600_NS6detail15normal_iteratorINS9_10device_ptrIsEEEESE_SE_sNS9_4plusIvEENS9_8equal_toIvEEsEE10hipError_tPvRmT2_T3_T4_T5_mT6_T7_P12ihipStream_tbENKUlT_T0_E_clISt17integral_constantIbLb1EESZ_EEDaSU_SV_EUlSU_E_NS1_11comp_targetILNS1_3genE0ELNS1_11target_archE4294967295ELNS1_3gpuE0ELNS1_3repE0EEENS1_30default_config_static_selectorELNS0_4arch9wavefront6targetE0EEEvT1_
; %bb.0:
	s_endpgm
	.section	.rodata,"a",@progbits
	.p2align	6, 0x0
	.amdhsa_kernel _ZN7rocprim17ROCPRIM_400000_NS6detail17trampoline_kernelINS0_14default_configENS1_27scan_by_key_config_selectorIssEEZZNS1_16scan_by_key_implILNS1_25lookback_scan_determinismE0ELb0ES3_N6thrust23THRUST_200600_302600_NS6detail15normal_iteratorINS9_10device_ptrIsEEEESE_SE_sNS9_4plusIvEENS9_8equal_toIvEEsEE10hipError_tPvRmT2_T3_T4_T5_mT6_T7_P12ihipStream_tbENKUlT_T0_E_clISt17integral_constantIbLb1EESZ_EEDaSU_SV_EUlSU_E_NS1_11comp_targetILNS1_3genE0ELNS1_11target_archE4294967295ELNS1_3gpuE0ELNS1_3repE0EEENS1_30default_config_static_selectorELNS0_4arch9wavefront6targetE0EEEvT1_
		.amdhsa_group_segment_fixed_size 0
		.amdhsa_private_segment_fixed_size 0
		.amdhsa_kernarg_size 112
		.amdhsa_user_sgpr_count 2
		.amdhsa_user_sgpr_dispatch_ptr 0
		.amdhsa_user_sgpr_queue_ptr 0
		.amdhsa_user_sgpr_kernarg_segment_ptr 1
		.amdhsa_user_sgpr_dispatch_id 0
		.amdhsa_user_sgpr_kernarg_preload_length 0
		.amdhsa_user_sgpr_kernarg_preload_offset 0
		.amdhsa_user_sgpr_private_segment_size 0
		.amdhsa_wavefront_size32 1
		.amdhsa_uses_dynamic_stack 0
		.amdhsa_enable_private_segment 0
		.amdhsa_system_sgpr_workgroup_id_x 1
		.amdhsa_system_sgpr_workgroup_id_y 0
		.amdhsa_system_sgpr_workgroup_id_z 0
		.amdhsa_system_sgpr_workgroup_info 0
		.amdhsa_system_vgpr_workitem_id 0
		.amdhsa_next_free_vgpr 1
		.amdhsa_next_free_sgpr 1
		.amdhsa_named_barrier_count 0
		.amdhsa_reserve_vcc 0
		.amdhsa_float_round_mode_32 0
		.amdhsa_float_round_mode_16_64 0
		.amdhsa_float_denorm_mode_32 3
		.amdhsa_float_denorm_mode_16_64 3
		.amdhsa_fp16_overflow 0
		.amdhsa_memory_ordered 1
		.amdhsa_forward_progress 1
		.amdhsa_inst_pref_size 1
		.amdhsa_round_robin_scheduling 0
		.amdhsa_exception_fp_ieee_invalid_op 0
		.amdhsa_exception_fp_denorm_src 0
		.amdhsa_exception_fp_ieee_div_zero 0
		.amdhsa_exception_fp_ieee_overflow 0
		.amdhsa_exception_fp_ieee_underflow 0
		.amdhsa_exception_fp_ieee_inexact 0
		.amdhsa_exception_int_div_zero 0
	.end_amdhsa_kernel
	.section	.text._ZN7rocprim17ROCPRIM_400000_NS6detail17trampoline_kernelINS0_14default_configENS1_27scan_by_key_config_selectorIssEEZZNS1_16scan_by_key_implILNS1_25lookback_scan_determinismE0ELb0ES3_N6thrust23THRUST_200600_302600_NS6detail15normal_iteratorINS9_10device_ptrIsEEEESE_SE_sNS9_4plusIvEENS9_8equal_toIvEEsEE10hipError_tPvRmT2_T3_T4_T5_mT6_T7_P12ihipStream_tbENKUlT_T0_E_clISt17integral_constantIbLb1EESZ_EEDaSU_SV_EUlSU_E_NS1_11comp_targetILNS1_3genE0ELNS1_11target_archE4294967295ELNS1_3gpuE0ELNS1_3repE0EEENS1_30default_config_static_selectorELNS0_4arch9wavefront6targetE0EEEvT1_,"axG",@progbits,_ZN7rocprim17ROCPRIM_400000_NS6detail17trampoline_kernelINS0_14default_configENS1_27scan_by_key_config_selectorIssEEZZNS1_16scan_by_key_implILNS1_25lookback_scan_determinismE0ELb0ES3_N6thrust23THRUST_200600_302600_NS6detail15normal_iteratorINS9_10device_ptrIsEEEESE_SE_sNS9_4plusIvEENS9_8equal_toIvEEsEE10hipError_tPvRmT2_T3_T4_T5_mT6_T7_P12ihipStream_tbENKUlT_T0_E_clISt17integral_constantIbLb1EESZ_EEDaSU_SV_EUlSU_E_NS1_11comp_targetILNS1_3genE0ELNS1_11target_archE4294967295ELNS1_3gpuE0ELNS1_3repE0EEENS1_30default_config_static_selectorELNS0_4arch9wavefront6targetE0EEEvT1_,comdat
.Lfunc_end250:
	.size	_ZN7rocprim17ROCPRIM_400000_NS6detail17trampoline_kernelINS0_14default_configENS1_27scan_by_key_config_selectorIssEEZZNS1_16scan_by_key_implILNS1_25lookback_scan_determinismE0ELb0ES3_N6thrust23THRUST_200600_302600_NS6detail15normal_iteratorINS9_10device_ptrIsEEEESE_SE_sNS9_4plusIvEENS9_8equal_toIvEEsEE10hipError_tPvRmT2_T3_T4_T5_mT6_T7_P12ihipStream_tbENKUlT_T0_E_clISt17integral_constantIbLb1EESZ_EEDaSU_SV_EUlSU_E_NS1_11comp_targetILNS1_3genE0ELNS1_11target_archE4294967295ELNS1_3gpuE0ELNS1_3repE0EEENS1_30default_config_static_selectorELNS0_4arch9wavefront6targetE0EEEvT1_, .Lfunc_end250-_ZN7rocprim17ROCPRIM_400000_NS6detail17trampoline_kernelINS0_14default_configENS1_27scan_by_key_config_selectorIssEEZZNS1_16scan_by_key_implILNS1_25lookback_scan_determinismE0ELb0ES3_N6thrust23THRUST_200600_302600_NS6detail15normal_iteratorINS9_10device_ptrIsEEEESE_SE_sNS9_4plusIvEENS9_8equal_toIvEEsEE10hipError_tPvRmT2_T3_T4_T5_mT6_T7_P12ihipStream_tbENKUlT_T0_E_clISt17integral_constantIbLb1EESZ_EEDaSU_SV_EUlSU_E_NS1_11comp_targetILNS1_3genE0ELNS1_11target_archE4294967295ELNS1_3gpuE0ELNS1_3repE0EEENS1_30default_config_static_selectorELNS0_4arch9wavefront6targetE0EEEvT1_
                                        ; -- End function
	.set _ZN7rocprim17ROCPRIM_400000_NS6detail17trampoline_kernelINS0_14default_configENS1_27scan_by_key_config_selectorIssEEZZNS1_16scan_by_key_implILNS1_25lookback_scan_determinismE0ELb0ES3_N6thrust23THRUST_200600_302600_NS6detail15normal_iteratorINS9_10device_ptrIsEEEESE_SE_sNS9_4plusIvEENS9_8equal_toIvEEsEE10hipError_tPvRmT2_T3_T4_T5_mT6_T7_P12ihipStream_tbENKUlT_T0_E_clISt17integral_constantIbLb1EESZ_EEDaSU_SV_EUlSU_E_NS1_11comp_targetILNS1_3genE0ELNS1_11target_archE4294967295ELNS1_3gpuE0ELNS1_3repE0EEENS1_30default_config_static_selectorELNS0_4arch9wavefront6targetE0EEEvT1_.num_vgpr, 0
	.set _ZN7rocprim17ROCPRIM_400000_NS6detail17trampoline_kernelINS0_14default_configENS1_27scan_by_key_config_selectorIssEEZZNS1_16scan_by_key_implILNS1_25lookback_scan_determinismE0ELb0ES3_N6thrust23THRUST_200600_302600_NS6detail15normal_iteratorINS9_10device_ptrIsEEEESE_SE_sNS9_4plusIvEENS9_8equal_toIvEEsEE10hipError_tPvRmT2_T3_T4_T5_mT6_T7_P12ihipStream_tbENKUlT_T0_E_clISt17integral_constantIbLb1EESZ_EEDaSU_SV_EUlSU_E_NS1_11comp_targetILNS1_3genE0ELNS1_11target_archE4294967295ELNS1_3gpuE0ELNS1_3repE0EEENS1_30default_config_static_selectorELNS0_4arch9wavefront6targetE0EEEvT1_.num_agpr, 0
	.set _ZN7rocprim17ROCPRIM_400000_NS6detail17trampoline_kernelINS0_14default_configENS1_27scan_by_key_config_selectorIssEEZZNS1_16scan_by_key_implILNS1_25lookback_scan_determinismE0ELb0ES3_N6thrust23THRUST_200600_302600_NS6detail15normal_iteratorINS9_10device_ptrIsEEEESE_SE_sNS9_4plusIvEENS9_8equal_toIvEEsEE10hipError_tPvRmT2_T3_T4_T5_mT6_T7_P12ihipStream_tbENKUlT_T0_E_clISt17integral_constantIbLb1EESZ_EEDaSU_SV_EUlSU_E_NS1_11comp_targetILNS1_3genE0ELNS1_11target_archE4294967295ELNS1_3gpuE0ELNS1_3repE0EEENS1_30default_config_static_selectorELNS0_4arch9wavefront6targetE0EEEvT1_.numbered_sgpr, 0
	.set _ZN7rocprim17ROCPRIM_400000_NS6detail17trampoline_kernelINS0_14default_configENS1_27scan_by_key_config_selectorIssEEZZNS1_16scan_by_key_implILNS1_25lookback_scan_determinismE0ELb0ES3_N6thrust23THRUST_200600_302600_NS6detail15normal_iteratorINS9_10device_ptrIsEEEESE_SE_sNS9_4plusIvEENS9_8equal_toIvEEsEE10hipError_tPvRmT2_T3_T4_T5_mT6_T7_P12ihipStream_tbENKUlT_T0_E_clISt17integral_constantIbLb1EESZ_EEDaSU_SV_EUlSU_E_NS1_11comp_targetILNS1_3genE0ELNS1_11target_archE4294967295ELNS1_3gpuE0ELNS1_3repE0EEENS1_30default_config_static_selectorELNS0_4arch9wavefront6targetE0EEEvT1_.num_named_barrier, 0
	.set _ZN7rocprim17ROCPRIM_400000_NS6detail17trampoline_kernelINS0_14default_configENS1_27scan_by_key_config_selectorIssEEZZNS1_16scan_by_key_implILNS1_25lookback_scan_determinismE0ELb0ES3_N6thrust23THRUST_200600_302600_NS6detail15normal_iteratorINS9_10device_ptrIsEEEESE_SE_sNS9_4plusIvEENS9_8equal_toIvEEsEE10hipError_tPvRmT2_T3_T4_T5_mT6_T7_P12ihipStream_tbENKUlT_T0_E_clISt17integral_constantIbLb1EESZ_EEDaSU_SV_EUlSU_E_NS1_11comp_targetILNS1_3genE0ELNS1_11target_archE4294967295ELNS1_3gpuE0ELNS1_3repE0EEENS1_30default_config_static_selectorELNS0_4arch9wavefront6targetE0EEEvT1_.private_seg_size, 0
	.set _ZN7rocprim17ROCPRIM_400000_NS6detail17trampoline_kernelINS0_14default_configENS1_27scan_by_key_config_selectorIssEEZZNS1_16scan_by_key_implILNS1_25lookback_scan_determinismE0ELb0ES3_N6thrust23THRUST_200600_302600_NS6detail15normal_iteratorINS9_10device_ptrIsEEEESE_SE_sNS9_4plusIvEENS9_8equal_toIvEEsEE10hipError_tPvRmT2_T3_T4_T5_mT6_T7_P12ihipStream_tbENKUlT_T0_E_clISt17integral_constantIbLb1EESZ_EEDaSU_SV_EUlSU_E_NS1_11comp_targetILNS1_3genE0ELNS1_11target_archE4294967295ELNS1_3gpuE0ELNS1_3repE0EEENS1_30default_config_static_selectorELNS0_4arch9wavefront6targetE0EEEvT1_.uses_vcc, 0
	.set _ZN7rocprim17ROCPRIM_400000_NS6detail17trampoline_kernelINS0_14default_configENS1_27scan_by_key_config_selectorIssEEZZNS1_16scan_by_key_implILNS1_25lookback_scan_determinismE0ELb0ES3_N6thrust23THRUST_200600_302600_NS6detail15normal_iteratorINS9_10device_ptrIsEEEESE_SE_sNS9_4plusIvEENS9_8equal_toIvEEsEE10hipError_tPvRmT2_T3_T4_T5_mT6_T7_P12ihipStream_tbENKUlT_T0_E_clISt17integral_constantIbLb1EESZ_EEDaSU_SV_EUlSU_E_NS1_11comp_targetILNS1_3genE0ELNS1_11target_archE4294967295ELNS1_3gpuE0ELNS1_3repE0EEENS1_30default_config_static_selectorELNS0_4arch9wavefront6targetE0EEEvT1_.uses_flat_scratch, 0
	.set _ZN7rocprim17ROCPRIM_400000_NS6detail17trampoline_kernelINS0_14default_configENS1_27scan_by_key_config_selectorIssEEZZNS1_16scan_by_key_implILNS1_25lookback_scan_determinismE0ELb0ES3_N6thrust23THRUST_200600_302600_NS6detail15normal_iteratorINS9_10device_ptrIsEEEESE_SE_sNS9_4plusIvEENS9_8equal_toIvEEsEE10hipError_tPvRmT2_T3_T4_T5_mT6_T7_P12ihipStream_tbENKUlT_T0_E_clISt17integral_constantIbLb1EESZ_EEDaSU_SV_EUlSU_E_NS1_11comp_targetILNS1_3genE0ELNS1_11target_archE4294967295ELNS1_3gpuE0ELNS1_3repE0EEENS1_30default_config_static_selectorELNS0_4arch9wavefront6targetE0EEEvT1_.has_dyn_sized_stack, 0
	.set _ZN7rocprim17ROCPRIM_400000_NS6detail17trampoline_kernelINS0_14default_configENS1_27scan_by_key_config_selectorIssEEZZNS1_16scan_by_key_implILNS1_25lookback_scan_determinismE0ELb0ES3_N6thrust23THRUST_200600_302600_NS6detail15normal_iteratorINS9_10device_ptrIsEEEESE_SE_sNS9_4plusIvEENS9_8equal_toIvEEsEE10hipError_tPvRmT2_T3_T4_T5_mT6_T7_P12ihipStream_tbENKUlT_T0_E_clISt17integral_constantIbLb1EESZ_EEDaSU_SV_EUlSU_E_NS1_11comp_targetILNS1_3genE0ELNS1_11target_archE4294967295ELNS1_3gpuE0ELNS1_3repE0EEENS1_30default_config_static_selectorELNS0_4arch9wavefront6targetE0EEEvT1_.has_recursion, 0
	.set _ZN7rocprim17ROCPRIM_400000_NS6detail17trampoline_kernelINS0_14default_configENS1_27scan_by_key_config_selectorIssEEZZNS1_16scan_by_key_implILNS1_25lookback_scan_determinismE0ELb0ES3_N6thrust23THRUST_200600_302600_NS6detail15normal_iteratorINS9_10device_ptrIsEEEESE_SE_sNS9_4plusIvEENS9_8equal_toIvEEsEE10hipError_tPvRmT2_T3_T4_T5_mT6_T7_P12ihipStream_tbENKUlT_T0_E_clISt17integral_constantIbLb1EESZ_EEDaSU_SV_EUlSU_E_NS1_11comp_targetILNS1_3genE0ELNS1_11target_archE4294967295ELNS1_3gpuE0ELNS1_3repE0EEENS1_30default_config_static_selectorELNS0_4arch9wavefront6targetE0EEEvT1_.has_indirect_call, 0
	.section	.AMDGPU.csdata,"",@progbits
; Kernel info:
; codeLenInByte = 4
; TotalNumSgprs: 0
; NumVgprs: 0
; ScratchSize: 0
; MemoryBound: 0
; FloatMode: 240
; IeeeMode: 1
; LDSByteSize: 0 bytes/workgroup (compile time only)
; SGPRBlocks: 0
; VGPRBlocks: 0
; NumSGPRsForWavesPerEU: 1
; NumVGPRsForWavesPerEU: 1
; NamedBarCnt: 0
; Occupancy: 16
; WaveLimiterHint : 0
; COMPUTE_PGM_RSRC2:SCRATCH_EN: 0
; COMPUTE_PGM_RSRC2:USER_SGPR: 2
; COMPUTE_PGM_RSRC2:TRAP_HANDLER: 0
; COMPUTE_PGM_RSRC2:TGID_X_EN: 1
; COMPUTE_PGM_RSRC2:TGID_Y_EN: 0
; COMPUTE_PGM_RSRC2:TGID_Z_EN: 0
; COMPUTE_PGM_RSRC2:TIDIG_COMP_CNT: 0
	.section	.text._ZN7rocprim17ROCPRIM_400000_NS6detail17trampoline_kernelINS0_14default_configENS1_27scan_by_key_config_selectorIssEEZZNS1_16scan_by_key_implILNS1_25lookback_scan_determinismE0ELb0ES3_N6thrust23THRUST_200600_302600_NS6detail15normal_iteratorINS9_10device_ptrIsEEEESE_SE_sNS9_4plusIvEENS9_8equal_toIvEEsEE10hipError_tPvRmT2_T3_T4_T5_mT6_T7_P12ihipStream_tbENKUlT_T0_E_clISt17integral_constantIbLb1EESZ_EEDaSU_SV_EUlSU_E_NS1_11comp_targetILNS1_3genE10ELNS1_11target_archE1201ELNS1_3gpuE5ELNS1_3repE0EEENS1_30default_config_static_selectorELNS0_4arch9wavefront6targetE0EEEvT1_,"axG",@progbits,_ZN7rocprim17ROCPRIM_400000_NS6detail17trampoline_kernelINS0_14default_configENS1_27scan_by_key_config_selectorIssEEZZNS1_16scan_by_key_implILNS1_25lookback_scan_determinismE0ELb0ES3_N6thrust23THRUST_200600_302600_NS6detail15normal_iteratorINS9_10device_ptrIsEEEESE_SE_sNS9_4plusIvEENS9_8equal_toIvEEsEE10hipError_tPvRmT2_T3_T4_T5_mT6_T7_P12ihipStream_tbENKUlT_T0_E_clISt17integral_constantIbLb1EESZ_EEDaSU_SV_EUlSU_E_NS1_11comp_targetILNS1_3genE10ELNS1_11target_archE1201ELNS1_3gpuE5ELNS1_3repE0EEENS1_30default_config_static_selectorELNS0_4arch9wavefront6targetE0EEEvT1_,comdat
	.protected	_ZN7rocprim17ROCPRIM_400000_NS6detail17trampoline_kernelINS0_14default_configENS1_27scan_by_key_config_selectorIssEEZZNS1_16scan_by_key_implILNS1_25lookback_scan_determinismE0ELb0ES3_N6thrust23THRUST_200600_302600_NS6detail15normal_iteratorINS9_10device_ptrIsEEEESE_SE_sNS9_4plusIvEENS9_8equal_toIvEEsEE10hipError_tPvRmT2_T3_T4_T5_mT6_T7_P12ihipStream_tbENKUlT_T0_E_clISt17integral_constantIbLb1EESZ_EEDaSU_SV_EUlSU_E_NS1_11comp_targetILNS1_3genE10ELNS1_11target_archE1201ELNS1_3gpuE5ELNS1_3repE0EEENS1_30default_config_static_selectorELNS0_4arch9wavefront6targetE0EEEvT1_ ; -- Begin function _ZN7rocprim17ROCPRIM_400000_NS6detail17trampoline_kernelINS0_14default_configENS1_27scan_by_key_config_selectorIssEEZZNS1_16scan_by_key_implILNS1_25lookback_scan_determinismE0ELb0ES3_N6thrust23THRUST_200600_302600_NS6detail15normal_iteratorINS9_10device_ptrIsEEEESE_SE_sNS9_4plusIvEENS9_8equal_toIvEEsEE10hipError_tPvRmT2_T3_T4_T5_mT6_T7_P12ihipStream_tbENKUlT_T0_E_clISt17integral_constantIbLb1EESZ_EEDaSU_SV_EUlSU_E_NS1_11comp_targetILNS1_3genE10ELNS1_11target_archE1201ELNS1_3gpuE5ELNS1_3repE0EEENS1_30default_config_static_selectorELNS0_4arch9wavefront6targetE0EEEvT1_
	.globl	_ZN7rocprim17ROCPRIM_400000_NS6detail17trampoline_kernelINS0_14default_configENS1_27scan_by_key_config_selectorIssEEZZNS1_16scan_by_key_implILNS1_25lookback_scan_determinismE0ELb0ES3_N6thrust23THRUST_200600_302600_NS6detail15normal_iteratorINS9_10device_ptrIsEEEESE_SE_sNS9_4plusIvEENS9_8equal_toIvEEsEE10hipError_tPvRmT2_T3_T4_T5_mT6_T7_P12ihipStream_tbENKUlT_T0_E_clISt17integral_constantIbLb1EESZ_EEDaSU_SV_EUlSU_E_NS1_11comp_targetILNS1_3genE10ELNS1_11target_archE1201ELNS1_3gpuE5ELNS1_3repE0EEENS1_30default_config_static_selectorELNS0_4arch9wavefront6targetE0EEEvT1_
	.p2align	8
	.type	_ZN7rocprim17ROCPRIM_400000_NS6detail17trampoline_kernelINS0_14default_configENS1_27scan_by_key_config_selectorIssEEZZNS1_16scan_by_key_implILNS1_25lookback_scan_determinismE0ELb0ES3_N6thrust23THRUST_200600_302600_NS6detail15normal_iteratorINS9_10device_ptrIsEEEESE_SE_sNS9_4plusIvEENS9_8equal_toIvEEsEE10hipError_tPvRmT2_T3_T4_T5_mT6_T7_P12ihipStream_tbENKUlT_T0_E_clISt17integral_constantIbLb1EESZ_EEDaSU_SV_EUlSU_E_NS1_11comp_targetILNS1_3genE10ELNS1_11target_archE1201ELNS1_3gpuE5ELNS1_3repE0EEENS1_30default_config_static_selectorELNS0_4arch9wavefront6targetE0EEEvT1_,@function
_ZN7rocprim17ROCPRIM_400000_NS6detail17trampoline_kernelINS0_14default_configENS1_27scan_by_key_config_selectorIssEEZZNS1_16scan_by_key_implILNS1_25lookback_scan_determinismE0ELb0ES3_N6thrust23THRUST_200600_302600_NS6detail15normal_iteratorINS9_10device_ptrIsEEEESE_SE_sNS9_4plusIvEENS9_8equal_toIvEEsEE10hipError_tPvRmT2_T3_T4_T5_mT6_T7_P12ihipStream_tbENKUlT_T0_E_clISt17integral_constantIbLb1EESZ_EEDaSU_SV_EUlSU_E_NS1_11comp_targetILNS1_3genE10ELNS1_11target_archE1201ELNS1_3gpuE5ELNS1_3repE0EEENS1_30default_config_static_selectorELNS0_4arch9wavefront6targetE0EEEvT1_: ; @_ZN7rocprim17ROCPRIM_400000_NS6detail17trampoline_kernelINS0_14default_configENS1_27scan_by_key_config_selectorIssEEZZNS1_16scan_by_key_implILNS1_25lookback_scan_determinismE0ELb0ES3_N6thrust23THRUST_200600_302600_NS6detail15normal_iteratorINS9_10device_ptrIsEEEESE_SE_sNS9_4plusIvEENS9_8equal_toIvEEsEE10hipError_tPvRmT2_T3_T4_T5_mT6_T7_P12ihipStream_tbENKUlT_T0_E_clISt17integral_constantIbLb1EESZ_EEDaSU_SV_EUlSU_E_NS1_11comp_targetILNS1_3genE10ELNS1_11target_archE1201ELNS1_3gpuE5ELNS1_3repE0EEENS1_30default_config_static_selectorELNS0_4arch9wavefront6targetE0EEEvT1_
; %bb.0:
	.section	.rodata,"a",@progbits
	.p2align	6, 0x0
	.amdhsa_kernel _ZN7rocprim17ROCPRIM_400000_NS6detail17trampoline_kernelINS0_14default_configENS1_27scan_by_key_config_selectorIssEEZZNS1_16scan_by_key_implILNS1_25lookback_scan_determinismE0ELb0ES3_N6thrust23THRUST_200600_302600_NS6detail15normal_iteratorINS9_10device_ptrIsEEEESE_SE_sNS9_4plusIvEENS9_8equal_toIvEEsEE10hipError_tPvRmT2_T3_T4_T5_mT6_T7_P12ihipStream_tbENKUlT_T0_E_clISt17integral_constantIbLb1EESZ_EEDaSU_SV_EUlSU_E_NS1_11comp_targetILNS1_3genE10ELNS1_11target_archE1201ELNS1_3gpuE5ELNS1_3repE0EEENS1_30default_config_static_selectorELNS0_4arch9wavefront6targetE0EEEvT1_
		.amdhsa_group_segment_fixed_size 0
		.amdhsa_private_segment_fixed_size 0
		.amdhsa_kernarg_size 112
		.amdhsa_user_sgpr_count 2
		.amdhsa_user_sgpr_dispatch_ptr 0
		.amdhsa_user_sgpr_queue_ptr 0
		.amdhsa_user_sgpr_kernarg_segment_ptr 1
		.amdhsa_user_sgpr_dispatch_id 0
		.amdhsa_user_sgpr_kernarg_preload_length 0
		.amdhsa_user_sgpr_kernarg_preload_offset 0
		.amdhsa_user_sgpr_private_segment_size 0
		.amdhsa_wavefront_size32 1
		.amdhsa_uses_dynamic_stack 0
		.amdhsa_enable_private_segment 0
		.amdhsa_system_sgpr_workgroup_id_x 1
		.amdhsa_system_sgpr_workgroup_id_y 0
		.amdhsa_system_sgpr_workgroup_id_z 0
		.amdhsa_system_sgpr_workgroup_info 0
		.amdhsa_system_vgpr_workitem_id 0
		.amdhsa_next_free_vgpr 1
		.amdhsa_next_free_sgpr 1
		.amdhsa_named_barrier_count 0
		.amdhsa_reserve_vcc 0
		.amdhsa_float_round_mode_32 0
		.amdhsa_float_round_mode_16_64 0
		.amdhsa_float_denorm_mode_32 3
		.amdhsa_float_denorm_mode_16_64 3
		.amdhsa_fp16_overflow 0
		.amdhsa_memory_ordered 1
		.amdhsa_forward_progress 1
		.amdhsa_inst_pref_size 0
		.amdhsa_round_robin_scheduling 0
		.amdhsa_exception_fp_ieee_invalid_op 0
		.amdhsa_exception_fp_denorm_src 0
		.amdhsa_exception_fp_ieee_div_zero 0
		.amdhsa_exception_fp_ieee_overflow 0
		.amdhsa_exception_fp_ieee_underflow 0
		.amdhsa_exception_fp_ieee_inexact 0
		.amdhsa_exception_int_div_zero 0
	.end_amdhsa_kernel
	.section	.text._ZN7rocprim17ROCPRIM_400000_NS6detail17trampoline_kernelINS0_14default_configENS1_27scan_by_key_config_selectorIssEEZZNS1_16scan_by_key_implILNS1_25lookback_scan_determinismE0ELb0ES3_N6thrust23THRUST_200600_302600_NS6detail15normal_iteratorINS9_10device_ptrIsEEEESE_SE_sNS9_4plusIvEENS9_8equal_toIvEEsEE10hipError_tPvRmT2_T3_T4_T5_mT6_T7_P12ihipStream_tbENKUlT_T0_E_clISt17integral_constantIbLb1EESZ_EEDaSU_SV_EUlSU_E_NS1_11comp_targetILNS1_3genE10ELNS1_11target_archE1201ELNS1_3gpuE5ELNS1_3repE0EEENS1_30default_config_static_selectorELNS0_4arch9wavefront6targetE0EEEvT1_,"axG",@progbits,_ZN7rocprim17ROCPRIM_400000_NS6detail17trampoline_kernelINS0_14default_configENS1_27scan_by_key_config_selectorIssEEZZNS1_16scan_by_key_implILNS1_25lookback_scan_determinismE0ELb0ES3_N6thrust23THRUST_200600_302600_NS6detail15normal_iteratorINS9_10device_ptrIsEEEESE_SE_sNS9_4plusIvEENS9_8equal_toIvEEsEE10hipError_tPvRmT2_T3_T4_T5_mT6_T7_P12ihipStream_tbENKUlT_T0_E_clISt17integral_constantIbLb1EESZ_EEDaSU_SV_EUlSU_E_NS1_11comp_targetILNS1_3genE10ELNS1_11target_archE1201ELNS1_3gpuE5ELNS1_3repE0EEENS1_30default_config_static_selectorELNS0_4arch9wavefront6targetE0EEEvT1_,comdat
.Lfunc_end251:
	.size	_ZN7rocprim17ROCPRIM_400000_NS6detail17trampoline_kernelINS0_14default_configENS1_27scan_by_key_config_selectorIssEEZZNS1_16scan_by_key_implILNS1_25lookback_scan_determinismE0ELb0ES3_N6thrust23THRUST_200600_302600_NS6detail15normal_iteratorINS9_10device_ptrIsEEEESE_SE_sNS9_4plusIvEENS9_8equal_toIvEEsEE10hipError_tPvRmT2_T3_T4_T5_mT6_T7_P12ihipStream_tbENKUlT_T0_E_clISt17integral_constantIbLb1EESZ_EEDaSU_SV_EUlSU_E_NS1_11comp_targetILNS1_3genE10ELNS1_11target_archE1201ELNS1_3gpuE5ELNS1_3repE0EEENS1_30default_config_static_selectorELNS0_4arch9wavefront6targetE0EEEvT1_, .Lfunc_end251-_ZN7rocprim17ROCPRIM_400000_NS6detail17trampoline_kernelINS0_14default_configENS1_27scan_by_key_config_selectorIssEEZZNS1_16scan_by_key_implILNS1_25lookback_scan_determinismE0ELb0ES3_N6thrust23THRUST_200600_302600_NS6detail15normal_iteratorINS9_10device_ptrIsEEEESE_SE_sNS9_4plusIvEENS9_8equal_toIvEEsEE10hipError_tPvRmT2_T3_T4_T5_mT6_T7_P12ihipStream_tbENKUlT_T0_E_clISt17integral_constantIbLb1EESZ_EEDaSU_SV_EUlSU_E_NS1_11comp_targetILNS1_3genE10ELNS1_11target_archE1201ELNS1_3gpuE5ELNS1_3repE0EEENS1_30default_config_static_selectorELNS0_4arch9wavefront6targetE0EEEvT1_
                                        ; -- End function
	.set _ZN7rocprim17ROCPRIM_400000_NS6detail17trampoline_kernelINS0_14default_configENS1_27scan_by_key_config_selectorIssEEZZNS1_16scan_by_key_implILNS1_25lookback_scan_determinismE0ELb0ES3_N6thrust23THRUST_200600_302600_NS6detail15normal_iteratorINS9_10device_ptrIsEEEESE_SE_sNS9_4plusIvEENS9_8equal_toIvEEsEE10hipError_tPvRmT2_T3_T4_T5_mT6_T7_P12ihipStream_tbENKUlT_T0_E_clISt17integral_constantIbLb1EESZ_EEDaSU_SV_EUlSU_E_NS1_11comp_targetILNS1_3genE10ELNS1_11target_archE1201ELNS1_3gpuE5ELNS1_3repE0EEENS1_30default_config_static_selectorELNS0_4arch9wavefront6targetE0EEEvT1_.num_vgpr, 0
	.set _ZN7rocprim17ROCPRIM_400000_NS6detail17trampoline_kernelINS0_14default_configENS1_27scan_by_key_config_selectorIssEEZZNS1_16scan_by_key_implILNS1_25lookback_scan_determinismE0ELb0ES3_N6thrust23THRUST_200600_302600_NS6detail15normal_iteratorINS9_10device_ptrIsEEEESE_SE_sNS9_4plusIvEENS9_8equal_toIvEEsEE10hipError_tPvRmT2_T3_T4_T5_mT6_T7_P12ihipStream_tbENKUlT_T0_E_clISt17integral_constantIbLb1EESZ_EEDaSU_SV_EUlSU_E_NS1_11comp_targetILNS1_3genE10ELNS1_11target_archE1201ELNS1_3gpuE5ELNS1_3repE0EEENS1_30default_config_static_selectorELNS0_4arch9wavefront6targetE0EEEvT1_.num_agpr, 0
	.set _ZN7rocprim17ROCPRIM_400000_NS6detail17trampoline_kernelINS0_14default_configENS1_27scan_by_key_config_selectorIssEEZZNS1_16scan_by_key_implILNS1_25lookback_scan_determinismE0ELb0ES3_N6thrust23THRUST_200600_302600_NS6detail15normal_iteratorINS9_10device_ptrIsEEEESE_SE_sNS9_4plusIvEENS9_8equal_toIvEEsEE10hipError_tPvRmT2_T3_T4_T5_mT6_T7_P12ihipStream_tbENKUlT_T0_E_clISt17integral_constantIbLb1EESZ_EEDaSU_SV_EUlSU_E_NS1_11comp_targetILNS1_3genE10ELNS1_11target_archE1201ELNS1_3gpuE5ELNS1_3repE0EEENS1_30default_config_static_selectorELNS0_4arch9wavefront6targetE0EEEvT1_.numbered_sgpr, 0
	.set _ZN7rocprim17ROCPRIM_400000_NS6detail17trampoline_kernelINS0_14default_configENS1_27scan_by_key_config_selectorIssEEZZNS1_16scan_by_key_implILNS1_25lookback_scan_determinismE0ELb0ES3_N6thrust23THRUST_200600_302600_NS6detail15normal_iteratorINS9_10device_ptrIsEEEESE_SE_sNS9_4plusIvEENS9_8equal_toIvEEsEE10hipError_tPvRmT2_T3_T4_T5_mT6_T7_P12ihipStream_tbENKUlT_T0_E_clISt17integral_constantIbLb1EESZ_EEDaSU_SV_EUlSU_E_NS1_11comp_targetILNS1_3genE10ELNS1_11target_archE1201ELNS1_3gpuE5ELNS1_3repE0EEENS1_30default_config_static_selectorELNS0_4arch9wavefront6targetE0EEEvT1_.num_named_barrier, 0
	.set _ZN7rocprim17ROCPRIM_400000_NS6detail17trampoline_kernelINS0_14default_configENS1_27scan_by_key_config_selectorIssEEZZNS1_16scan_by_key_implILNS1_25lookback_scan_determinismE0ELb0ES3_N6thrust23THRUST_200600_302600_NS6detail15normal_iteratorINS9_10device_ptrIsEEEESE_SE_sNS9_4plusIvEENS9_8equal_toIvEEsEE10hipError_tPvRmT2_T3_T4_T5_mT6_T7_P12ihipStream_tbENKUlT_T0_E_clISt17integral_constantIbLb1EESZ_EEDaSU_SV_EUlSU_E_NS1_11comp_targetILNS1_3genE10ELNS1_11target_archE1201ELNS1_3gpuE5ELNS1_3repE0EEENS1_30default_config_static_selectorELNS0_4arch9wavefront6targetE0EEEvT1_.private_seg_size, 0
	.set _ZN7rocprim17ROCPRIM_400000_NS6detail17trampoline_kernelINS0_14default_configENS1_27scan_by_key_config_selectorIssEEZZNS1_16scan_by_key_implILNS1_25lookback_scan_determinismE0ELb0ES3_N6thrust23THRUST_200600_302600_NS6detail15normal_iteratorINS9_10device_ptrIsEEEESE_SE_sNS9_4plusIvEENS9_8equal_toIvEEsEE10hipError_tPvRmT2_T3_T4_T5_mT6_T7_P12ihipStream_tbENKUlT_T0_E_clISt17integral_constantIbLb1EESZ_EEDaSU_SV_EUlSU_E_NS1_11comp_targetILNS1_3genE10ELNS1_11target_archE1201ELNS1_3gpuE5ELNS1_3repE0EEENS1_30default_config_static_selectorELNS0_4arch9wavefront6targetE0EEEvT1_.uses_vcc, 0
	.set _ZN7rocprim17ROCPRIM_400000_NS6detail17trampoline_kernelINS0_14default_configENS1_27scan_by_key_config_selectorIssEEZZNS1_16scan_by_key_implILNS1_25lookback_scan_determinismE0ELb0ES3_N6thrust23THRUST_200600_302600_NS6detail15normal_iteratorINS9_10device_ptrIsEEEESE_SE_sNS9_4plusIvEENS9_8equal_toIvEEsEE10hipError_tPvRmT2_T3_T4_T5_mT6_T7_P12ihipStream_tbENKUlT_T0_E_clISt17integral_constantIbLb1EESZ_EEDaSU_SV_EUlSU_E_NS1_11comp_targetILNS1_3genE10ELNS1_11target_archE1201ELNS1_3gpuE5ELNS1_3repE0EEENS1_30default_config_static_selectorELNS0_4arch9wavefront6targetE0EEEvT1_.uses_flat_scratch, 0
	.set _ZN7rocprim17ROCPRIM_400000_NS6detail17trampoline_kernelINS0_14default_configENS1_27scan_by_key_config_selectorIssEEZZNS1_16scan_by_key_implILNS1_25lookback_scan_determinismE0ELb0ES3_N6thrust23THRUST_200600_302600_NS6detail15normal_iteratorINS9_10device_ptrIsEEEESE_SE_sNS9_4plusIvEENS9_8equal_toIvEEsEE10hipError_tPvRmT2_T3_T4_T5_mT6_T7_P12ihipStream_tbENKUlT_T0_E_clISt17integral_constantIbLb1EESZ_EEDaSU_SV_EUlSU_E_NS1_11comp_targetILNS1_3genE10ELNS1_11target_archE1201ELNS1_3gpuE5ELNS1_3repE0EEENS1_30default_config_static_selectorELNS0_4arch9wavefront6targetE0EEEvT1_.has_dyn_sized_stack, 0
	.set _ZN7rocprim17ROCPRIM_400000_NS6detail17trampoline_kernelINS0_14default_configENS1_27scan_by_key_config_selectorIssEEZZNS1_16scan_by_key_implILNS1_25lookback_scan_determinismE0ELb0ES3_N6thrust23THRUST_200600_302600_NS6detail15normal_iteratorINS9_10device_ptrIsEEEESE_SE_sNS9_4plusIvEENS9_8equal_toIvEEsEE10hipError_tPvRmT2_T3_T4_T5_mT6_T7_P12ihipStream_tbENKUlT_T0_E_clISt17integral_constantIbLb1EESZ_EEDaSU_SV_EUlSU_E_NS1_11comp_targetILNS1_3genE10ELNS1_11target_archE1201ELNS1_3gpuE5ELNS1_3repE0EEENS1_30default_config_static_selectorELNS0_4arch9wavefront6targetE0EEEvT1_.has_recursion, 0
	.set _ZN7rocprim17ROCPRIM_400000_NS6detail17trampoline_kernelINS0_14default_configENS1_27scan_by_key_config_selectorIssEEZZNS1_16scan_by_key_implILNS1_25lookback_scan_determinismE0ELb0ES3_N6thrust23THRUST_200600_302600_NS6detail15normal_iteratorINS9_10device_ptrIsEEEESE_SE_sNS9_4plusIvEENS9_8equal_toIvEEsEE10hipError_tPvRmT2_T3_T4_T5_mT6_T7_P12ihipStream_tbENKUlT_T0_E_clISt17integral_constantIbLb1EESZ_EEDaSU_SV_EUlSU_E_NS1_11comp_targetILNS1_3genE10ELNS1_11target_archE1201ELNS1_3gpuE5ELNS1_3repE0EEENS1_30default_config_static_selectorELNS0_4arch9wavefront6targetE0EEEvT1_.has_indirect_call, 0
	.section	.AMDGPU.csdata,"",@progbits
; Kernel info:
; codeLenInByte = 0
; TotalNumSgprs: 0
; NumVgprs: 0
; ScratchSize: 0
; MemoryBound: 0
; FloatMode: 240
; IeeeMode: 1
; LDSByteSize: 0 bytes/workgroup (compile time only)
; SGPRBlocks: 0
; VGPRBlocks: 0
; NumSGPRsForWavesPerEU: 1
; NumVGPRsForWavesPerEU: 1
; NamedBarCnt: 0
; Occupancy: 16
; WaveLimiterHint : 0
; COMPUTE_PGM_RSRC2:SCRATCH_EN: 0
; COMPUTE_PGM_RSRC2:USER_SGPR: 2
; COMPUTE_PGM_RSRC2:TRAP_HANDLER: 0
; COMPUTE_PGM_RSRC2:TGID_X_EN: 1
; COMPUTE_PGM_RSRC2:TGID_Y_EN: 0
; COMPUTE_PGM_RSRC2:TGID_Z_EN: 0
; COMPUTE_PGM_RSRC2:TIDIG_COMP_CNT: 0
	.section	.text._ZN7rocprim17ROCPRIM_400000_NS6detail17trampoline_kernelINS0_14default_configENS1_27scan_by_key_config_selectorIssEEZZNS1_16scan_by_key_implILNS1_25lookback_scan_determinismE0ELb0ES3_N6thrust23THRUST_200600_302600_NS6detail15normal_iteratorINS9_10device_ptrIsEEEESE_SE_sNS9_4plusIvEENS9_8equal_toIvEEsEE10hipError_tPvRmT2_T3_T4_T5_mT6_T7_P12ihipStream_tbENKUlT_T0_E_clISt17integral_constantIbLb1EESZ_EEDaSU_SV_EUlSU_E_NS1_11comp_targetILNS1_3genE5ELNS1_11target_archE942ELNS1_3gpuE9ELNS1_3repE0EEENS1_30default_config_static_selectorELNS0_4arch9wavefront6targetE0EEEvT1_,"axG",@progbits,_ZN7rocprim17ROCPRIM_400000_NS6detail17trampoline_kernelINS0_14default_configENS1_27scan_by_key_config_selectorIssEEZZNS1_16scan_by_key_implILNS1_25lookback_scan_determinismE0ELb0ES3_N6thrust23THRUST_200600_302600_NS6detail15normal_iteratorINS9_10device_ptrIsEEEESE_SE_sNS9_4plusIvEENS9_8equal_toIvEEsEE10hipError_tPvRmT2_T3_T4_T5_mT6_T7_P12ihipStream_tbENKUlT_T0_E_clISt17integral_constantIbLb1EESZ_EEDaSU_SV_EUlSU_E_NS1_11comp_targetILNS1_3genE5ELNS1_11target_archE942ELNS1_3gpuE9ELNS1_3repE0EEENS1_30default_config_static_selectorELNS0_4arch9wavefront6targetE0EEEvT1_,comdat
	.protected	_ZN7rocprim17ROCPRIM_400000_NS6detail17trampoline_kernelINS0_14default_configENS1_27scan_by_key_config_selectorIssEEZZNS1_16scan_by_key_implILNS1_25lookback_scan_determinismE0ELb0ES3_N6thrust23THRUST_200600_302600_NS6detail15normal_iteratorINS9_10device_ptrIsEEEESE_SE_sNS9_4plusIvEENS9_8equal_toIvEEsEE10hipError_tPvRmT2_T3_T4_T5_mT6_T7_P12ihipStream_tbENKUlT_T0_E_clISt17integral_constantIbLb1EESZ_EEDaSU_SV_EUlSU_E_NS1_11comp_targetILNS1_3genE5ELNS1_11target_archE942ELNS1_3gpuE9ELNS1_3repE0EEENS1_30default_config_static_selectorELNS0_4arch9wavefront6targetE0EEEvT1_ ; -- Begin function _ZN7rocprim17ROCPRIM_400000_NS6detail17trampoline_kernelINS0_14default_configENS1_27scan_by_key_config_selectorIssEEZZNS1_16scan_by_key_implILNS1_25lookback_scan_determinismE0ELb0ES3_N6thrust23THRUST_200600_302600_NS6detail15normal_iteratorINS9_10device_ptrIsEEEESE_SE_sNS9_4plusIvEENS9_8equal_toIvEEsEE10hipError_tPvRmT2_T3_T4_T5_mT6_T7_P12ihipStream_tbENKUlT_T0_E_clISt17integral_constantIbLb1EESZ_EEDaSU_SV_EUlSU_E_NS1_11comp_targetILNS1_3genE5ELNS1_11target_archE942ELNS1_3gpuE9ELNS1_3repE0EEENS1_30default_config_static_selectorELNS0_4arch9wavefront6targetE0EEEvT1_
	.globl	_ZN7rocprim17ROCPRIM_400000_NS6detail17trampoline_kernelINS0_14default_configENS1_27scan_by_key_config_selectorIssEEZZNS1_16scan_by_key_implILNS1_25lookback_scan_determinismE0ELb0ES3_N6thrust23THRUST_200600_302600_NS6detail15normal_iteratorINS9_10device_ptrIsEEEESE_SE_sNS9_4plusIvEENS9_8equal_toIvEEsEE10hipError_tPvRmT2_T3_T4_T5_mT6_T7_P12ihipStream_tbENKUlT_T0_E_clISt17integral_constantIbLb1EESZ_EEDaSU_SV_EUlSU_E_NS1_11comp_targetILNS1_3genE5ELNS1_11target_archE942ELNS1_3gpuE9ELNS1_3repE0EEENS1_30default_config_static_selectorELNS0_4arch9wavefront6targetE0EEEvT1_
	.p2align	8
	.type	_ZN7rocprim17ROCPRIM_400000_NS6detail17trampoline_kernelINS0_14default_configENS1_27scan_by_key_config_selectorIssEEZZNS1_16scan_by_key_implILNS1_25lookback_scan_determinismE0ELb0ES3_N6thrust23THRUST_200600_302600_NS6detail15normal_iteratorINS9_10device_ptrIsEEEESE_SE_sNS9_4plusIvEENS9_8equal_toIvEEsEE10hipError_tPvRmT2_T3_T4_T5_mT6_T7_P12ihipStream_tbENKUlT_T0_E_clISt17integral_constantIbLb1EESZ_EEDaSU_SV_EUlSU_E_NS1_11comp_targetILNS1_3genE5ELNS1_11target_archE942ELNS1_3gpuE9ELNS1_3repE0EEENS1_30default_config_static_selectorELNS0_4arch9wavefront6targetE0EEEvT1_,@function
_ZN7rocprim17ROCPRIM_400000_NS6detail17trampoline_kernelINS0_14default_configENS1_27scan_by_key_config_selectorIssEEZZNS1_16scan_by_key_implILNS1_25lookback_scan_determinismE0ELb0ES3_N6thrust23THRUST_200600_302600_NS6detail15normal_iteratorINS9_10device_ptrIsEEEESE_SE_sNS9_4plusIvEENS9_8equal_toIvEEsEE10hipError_tPvRmT2_T3_T4_T5_mT6_T7_P12ihipStream_tbENKUlT_T0_E_clISt17integral_constantIbLb1EESZ_EEDaSU_SV_EUlSU_E_NS1_11comp_targetILNS1_3genE5ELNS1_11target_archE942ELNS1_3gpuE9ELNS1_3repE0EEENS1_30default_config_static_selectorELNS0_4arch9wavefront6targetE0EEEvT1_: ; @_ZN7rocprim17ROCPRIM_400000_NS6detail17trampoline_kernelINS0_14default_configENS1_27scan_by_key_config_selectorIssEEZZNS1_16scan_by_key_implILNS1_25lookback_scan_determinismE0ELb0ES3_N6thrust23THRUST_200600_302600_NS6detail15normal_iteratorINS9_10device_ptrIsEEEESE_SE_sNS9_4plusIvEENS9_8equal_toIvEEsEE10hipError_tPvRmT2_T3_T4_T5_mT6_T7_P12ihipStream_tbENKUlT_T0_E_clISt17integral_constantIbLb1EESZ_EEDaSU_SV_EUlSU_E_NS1_11comp_targetILNS1_3genE5ELNS1_11target_archE942ELNS1_3gpuE9ELNS1_3repE0EEENS1_30default_config_static_selectorELNS0_4arch9wavefront6targetE0EEEvT1_
; %bb.0:
	.section	.rodata,"a",@progbits
	.p2align	6, 0x0
	.amdhsa_kernel _ZN7rocprim17ROCPRIM_400000_NS6detail17trampoline_kernelINS0_14default_configENS1_27scan_by_key_config_selectorIssEEZZNS1_16scan_by_key_implILNS1_25lookback_scan_determinismE0ELb0ES3_N6thrust23THRUST_200600_302600_NS6detail15normal_iteratorINS9_10device_ptrIsEEEESE_SE_sNS9_4plusIvEENS9_8equal_toIvEEsEE10hipError_tPvRmT2_T3_T4_T5_mT6_T7_P12ihipStream_tbENKUlT_T0_E_clISt17integral_constantIbLb1EESZ_EEDaSU_SV_EUlSU_E_NS1_11comp_targetILNS1_3genE5ELNS1_11target_archE942ELNS1_3gpuE9ELNS1_3repE0EEENS1_30default_config_static_selectorELNS0_4arch9wavefront6targetE0EEEvT1_
		.amdhsa_group_segment_fixed_size 0
		.amdhsa_private_segment_fixed_size 0
		.amdhsa_kernarg_size 112
		.amdhsa_user_sgpr_count 2
		.amdhsa_user_sgpr_dispatch_ptr 0
		.amdhsa_user_sgpr_queue_ptr 0
		.amdhsa_user_sgpr_kernarg_segment_ptr 1
		.amdhsa_user_sgpr_dispatch_id 0
		.amdhsa_user_sgpr_kernarg_preload_length 0
		.amdhsa_user_sgpr_kernarg_preload_offset 0
		.amdhsa_user_sgpr_private_segment_size 0
		.amdhsa_wavefront_size32 1
		.amdhsa_uses_dynamic_stack 0
		.amdhsa_enable_private_segment 0
		.amdhsa_system_sgpr_workgroup_id_x 1
		.amdhsa_system_sgpr_workgroup_id_y 0
		.amdhsa_system_sgpr_workgroup_id_z 0
		.amdhsa_system_sgpr_workgroup_info 0
		.amdhsa_system_vgpr_workitem_id 0
		.amdhsa_next_free_vgpr 1
		.amdhsa_next_free_sgpr 1
		.amdhsa_named_barrier_count 0
		.amdhsa_reserve_vcc 0
		.amdhsa_float_round_mode_32 0
		.amdhsa_float_round_mode_16_64 0
		.amdhsa_float_denorm_mode_32 3
		.amdhsa_float_denorm_mode_16_64 3
		.amdhsa_fp16_overflow 0
		.amdhsa_memory_ordered 1
		.amdhsa_forward_progress 1
		.amdhsa_inst_pref_size 0
		.amdhsa_round_robin_scheduling 0
		.amdhsa_exception_fp_ieee_invalid_op 0
		.amdhsa_exception_fp_denorm_src 0
		.amdhsa_exception_fp_ieee_div_zero 0
		.amdhsa_exception_fp_ieee_overflow 0
		.amdhsa_exception_fp_ieee_underflow 0
		.amdhsa_exception_fp_ieee_inexact 0
		.amdhsa_exception_int_div_zero 0
	.end_amdhsa_kernel
	.section	.text._ZN7rocprim17ROCPRIM_400000_NS6detail17trampoline_kernelINS0_14default_configENS1_27scan_by_key_config_selectorIssEEZZNS1_16scan_by_key_implILNS1_25lookback_scan_determinismE0ELb0ES3_N6thrust23THRUST_200600_302600_NS6detail15normal_iteratorINS9_10device_ptrIsEEEESE_SE_sNS9_4plusIvEENS9_8equal_toIvEEsEE10hipError_tPvRmT2_T3_T4_T5_mT6_T7_P12ihipStream_tbENKUlT_T0_E_clISt17integral_constantIbLb1EESZ_EEDaSU_SV_EUlSU_E_NS1_11comp_targetILNS1_3genE5ELNS1_11target_archE942ELNS1_3gpuE9ELNS1_3repE0EEENS1_30default_config_static_selectorELNS0_4arch9wavefront6targetE0EEEvT1_,"axG",@progbits,_ZN7rocprim17ROCPRIM_400000_NS6detail17trampoline_kernelINS0_14default_configENS1_27scan_by_key_config_selectorIssEEZZNS1_16scan_by_key_implILNS1_25lookback_scan_determinismE0ELb0ES3_N6thrust23THRUST_200600_302600_NS6detail15normal_iteratorINS9_10device_ptrIsEEEESE_SE_sNS9_4plusIvEENS9_8equal_toIvEEsEE10hipError_tPvRmT2_T3_T4_T5_mT6_T7_P12ihipStream_tbENKUlT_T0_E_clISt17integral_constantIbLb1EESZ_EEDaSU_SV_EUlSU_E_NS1_11comp_targetILNS1_3genE5ELNS1_11target_archE942ELNS1_3gpuE9ELNS1_3repE0EEENS1_30default_config_static_selectorELNS0_4arch9wavefront6targetE0EEEvT1_,comdat
.Lfunc_end252:
	.size	_ZN7rocprim17ROCPRIM_400000_NS6detail17trampoline_kernelINS0_14default_configENS1_27scan_by_key_config_selectorIssEEZZNS1_16scan_by_key_implILNS1_25lookback_scan_determinismE0ELb0ES3_N6thrust23THRUST_200600_302600_NS6detail15normal_iteratorINS9_10device_ptrIsEEEESE_SE_sNS9_4plusIvEENS9_8equal_toIvEEsEE10hipError_tPvRmT2_T3_T4_T5_mT6_T7_P12ihipStream_tbENKUlT_T0_E_clISt17integral_constantIbLb1EESZ_EEDaSU_SV_EUlSU_E_NS1_11comp_targetILNS1_3genE5ELNS1_11target_archE942ELNS1_3gpuE9ELNS1_3repE0EEENS1_30default_config_static_selectorELNS0_4arch9wavefront6targetE0EEEvT1_, .Lfunc_end252-_ZN7rocprim17ROCPRIM_400000_NS6detail17trampoline_kernelINS0_14default_configENS1_27scan_by_key_config_selectorIssEEZZNS1_16scan_by_key_implILNS1_25lookback_scan_determinismE0ELb0ES3_N6thrust23THRUST_200600_302600_NS6detail15normal_iteratorINS9_10device_ptrIsEEEESE_SE_sNS9_4plusIvEENS9_8equal_toIvEEsEE10hipError_tPvRmT2_T3_T4_T5_mT6_T7_P12ihipStream_tbENKUlT_T0_E_clISt17integral_constantIbLb1EESZ_EEDaSU_SV_EUlSU_E_NS1_11comp_targetILNS1_3genE5ELNS1_11target_archE942ELNS1_3gpuE9ELNS1_3repE0EEENS1_30default_config_static_selectorELNS0_4arch9wavefront6targetE0EEEvT1_
                                        ; -- End function
	.set _ZN7rocprim17ROCPRIM_400000_NS6detail17trampoline_kernelINS0_14default_configENS1_27scan_by_key_config_selectorIssEEZZNS1_16scan_by_key_implILNS1_25lookback_scan_determinismE0ELb0ES3_N6thrust23THRUST_200600_302600_NS6detail15normal_iteratorINS9_10device_ptrIsEEEESE_SE_sNS9_4plusIvEENS9_8equal_toIvEEsEE10hipError_tPvRmT2_T3_T4_T5_mT6_T7_P12ihipStream_tbENKUlT_T0_E_clISt17integral_constantIbLb1EESZ_EEDaSU_SV_EUlSU_E_NS1_11comp_targetILNS1_3genE5ELNS1_11target_archE942ELNS1_3gpuE9ELNS1_3repE0EEENS1_30default_config_static_selectorELNS0_4arch9wavefront6targetE0EEEvT1_.num_vgpr, 0
	.set _ZN7rocprim17ROCPRIM_400000_NS6detail17trampoline_kernelINS0_14default_configENS1_27scan_by_key_config_selectorIssEEZZNS1_16scan_by_key_implILNS1_25lookback_scan_determinismE0ELb0ES3_N6thrust23THRUST_200600_302600_NS6detail15normal_iteratorINS9_10device_ptrIsEEEESE_SE_sNS9_4plusIvEENS9_8equal_toIvEEsEE10hipError_tPvRmT2_T3_T4_T5_mT6_T7_P12ihipStream_tbENKUlT_T0_E_clISt17integral_constantIbLb1EESZ_EEDaSU_SV_EUlSU_E_NS1_11comp_targetILNS1_3genE5ELNS1_11target_archE942ELNS1_3gpuE9ELNS1_3repE0EEENS1_30default_config_static_selectorELNS0_4arch9wavefront6targetE0EEEvT1_.num_agpr, 0
	.set _ZN7rocprim17ROCPRIM_400000_NS6detail17trampoline_kernelINS0_14default_configENS1_27scan_by_key_config_selectorIssEEZZNS1_16scan_by_key_implILNS1_25lookback_scan_determinismE0ELb0ES3_N6thrust23THRUST_200600_302600_NS6detail15normal_iteratorINS9_10device_ptrIsEEEESE_SE_sNS9_4plusIvEENS9_8equal_toIvEEsEE10hipError_tPvRmT2_T3_T4_T5_mT6_T7_P12ihipStream_tbENKUlT_T0_E_clISt17integral_constantIbLb1EESZ_EEDaSU_SV_EUlSU_E_NS1_11comp_targetILNS1_3genE5ELNS1_11target_archE942ELNS1_3gpuE9ELNS1_3repE0EEENS1_30default_config_static_selectorELNS0_4arch9wavefront6targetE0EEEvT1_.numbered_sgpr, 0
	.set _ZN7rocprim17ROCPRIM_400000_NS6detail17trampoline_kernelINS0_14default_configENS1_27scan_by_key_config_selectorIssEEZZNS1_16scan_by_key_implILNS1_25lookback_scan_determinismE0ELb0ES3_N6thrust23THRUST_200600_302600_NS6detail15normal_iteratorINS9_10device_ptrIsEEEESE_SE_sNS9_4plusIvEENS9_8equal_toIvEEsEE10hipError_tPvRmT2_T3_T4_T5_mT6_T7_P12ihipStream_tbENKUlT_T0_E_clISt17integral_constantIbLb1EESZ_EEDaSU_SV_EUlSU_E_NS1_11comp_targetILNS1_3genE5ELNS1_11target_archE942ELNS1_3gpuE9ELNS1_3repE0EEENS1_30default_config_static_selectorELNS0_4arch9wavefront6targetE0EEEvT1_.num_named_barrier, 0
	.set _ZN7rocprim17ROCPRIM_400000_NS6detail17trampoline_kernelINS0_14default_configENS1_27scan_by_key_config_selectorIssEEZZNS1_16scan_by_key_implILNS1_25lookback_scan_determinismE0ELb0ES3_N6thrust23THRUST_200600_302600_NS6detail15normal_iteratorINS9_10device_ptrIsEEEESE_SE_sNS9_4plusIvEENS9_8equal_toIvEEsEE10hipError_tPvRmT2_T3_T4_T5_mT6_T7_P12ihipStream_tbENKUlT_T0_E_clISt17integral_constantIbLb1EESZ_EEDaSU_SV_EUlSU_E_NS1_11comp_targetILNS1_3genE5ELNS1_11target_archE942ELNS1_3gpuE9ELNS1_3repE0EEENS1_30default_config_static_selectorELNS0_4arch9wavefront6targetE0EEEvT1_.private_seg_size, 0
	.set _ZN7rocprim17ROCPRIM_400000_NS6detail17trampoline_kernelINS0_14default_configENS1_27scan_by_key_config_selectorIssEEZZNS1_16scan_by_key_implILNS1_25lookback_scan_determinismE0ELb0ES3_N6thrust23THRUST_200600_302600_NS6detail15normal_iteratorINS9_10device_ptrIsEEEESE_SE_sNS9_4plusIvEENS9_8equal_toIvEEsEE10hipError_tPvRmT2_T3_T4_T5_mT6_T7_P12ihipStream_tbENKUlT_T0_E_clISt17integral_constantIbLb1EESZ_EEDaSU_SV_EUlSU_E_NS1_11comp_targetILNS1_3genE5ELNS1_11target_archE942ELNS1_3gpuE9ELNS1_3repE0EEENS1_30default_config_static_selectorELNS0_4arch9wavefront6targetE0EEEvT1_.uses_vcc, 0
	.set _ZN7rocprim17ROCPRIM_400000_NS6detail17trampoline_kernelINS0_14default_configENS1_27scan_by_key_config_selectorIssEEZZNS1_16scan_by_key_implILNS1_25lookback_scan_determinismE0ELb0ES3_N6thrust23THRUST_200600_302600_NS6detail15normal_iteratorINS9_10device_ptrIsEEEESE_SE_sNS9_4plusIvEENS9_8equal_toIvEEsEE10hipError_tPvRmT2_T3_T4_T5_mT6_T7_P12ihipStream_tbENKUlT_T0_E_clISt17integral_constantIbLb1EESZ_EEDaSU_SV_EUlSU_E_NS1_11comp_targetILNS1_3genE5ELNS1_11target_archE942ELNS1_3gpuE9ELNS1_3repE0EEENS1_30default_config_static_selectorELNS0_4arch9wavefront6targetE0EEEvT1_.uses_flat_scratch, 0
	.set _ZN7rocprim17ROCPRIM_400000_NS6detail17trampoline_kernelINS0_14default_configENS1_27scan_by_key_config_selectorIssEEZZNS1_16scan_by_key_implILNS1_25lookback_scan_determinismE0ELb0ES3_N6thrust23THRUST_200600_302600_NS6detail15normal_iteratorINS9_10device_ptrIsEEEESE_SE_sNS9_4plusIvEENS9_8equal_toIvEEsEE10hipError_tPvRmT2_T3_T4_T5_mT6_T7_P12ihipStream_tbENKUlT_T0_E_clISt17integral_constantIbLb1EESZ_EEDaSU_SV_EUlSU_E_NS1_11comp_targetILNS1_3genE5ELNS1_11target_archE942ELNS1_3gpuE9ELNS1_3repE0EEENS1_30default_config_static_selectorELNS0_4arch9wavefront6targetE0EEEvT1_.has_dyn_sized_stack, 0
	.set _ZN7rocprim17ROCPRIM_400000_NS6detail17trampoline_kernelINS0_14default_configENS1_27scan_by_key_config_selectorIssEEZZNS1_16scan_by_key_implILNS1_25lookback_scan_determinismE0ELb0ES3_N6thrust23THRUST_200600_302600_NS6detail15normal_iteratorINS9_10device_ptrIsEEEESE_SE_sNS9_4plusIvEENS9_8equal_toIvEEsEE10hipError_tPvRmT2_T3_T4_T5_mT6_T7_P12ihipStream_tbENKUlT_T0_E_clISt17integral_constantIbLb1EESZ_EEDaSU_SV_EUlSU_E_NS1_11comp_targetILNS1_3genE5ELNS1_11target_archE942ELNS1_3gpuE9ELNS1_3repE0EEENS1_30default_config_static_selectorELNS0_4arch9wavefront6targetE0EEEvT1_.has_recursion, 0
	.set _ZN7rocprim17ROCPRIM_400000_NS6detail17trampoline_kernelINS0_14default_configENS1_27scan_by_key_config_selectorIssEEZZNS1_16scan_by_key_implILNS1_25lookback_scan_determinismE0ELb0ES3_N6thrust23THRUST_200600_302600_NS6detail15normal_iteratorINS9_10device_ptrIsEEEESE_SE_sNS9_4plusIvEENS9_8equal_toIvEEsEE10hipError_tPvRmT2_T3_T4_T5_mT6_T7_P12ihipStream_tbENKUlT_T0_E_clISt17integral_constantIbLb1EESZ_EEDaSU_SV_EUlSU_E_NS1_11comp_targetILNS1_3genE5ELNS1_11target_archE942ELNS1_3gpuE9ELNS1_3repE0EEENS1_30default_config_static_selectorELNS0_4arch9wavefront6targetE0EEEvT1_.has_indirect_call, 0
	.section	.AMDGPU.csdata,"",@progbits
; Kernel info:
; codeLenInByte = 0
; TotalNumSgprs: 0
; NumVgprs: 0
; ScratchSize: 0
; MemoryBound: 0
; FloatMode: 240
; IeeeMode: 1
; LDSByteSize: 0 bytes/workgroup (compile time only)
; SGPRBlocks: 0
; VGPRBlocks: 0
; NumSGPRsForWavesPerEU: 1
; NumVGPRsForWavesPerEU: 1
; NamedBarCnt: 0
; Occupancy: 16
; WaveLimiterHint : 0
; COMPUTE_PGM_RSRC2:SCRATCH_EN: 0
; COMPUTE_PGM_RSRC2:USER_SGPR: 2
; COMPUTE_PGM_RSRC2:TRAP_HANDLER: 0
; COMPUTE_PGM_RSRC2:TGID_X_EN: 1
; COMPUTE_PGM_RSRC2:TGID_Y_EN: 0
; COMPUTE_PGM_RSRC2:TGID_Z_EN: 0
; COMPUTE_PGM_RSRC2:TIDIG_COMP_CNT: 0
	.section	.text._ZN7rocprim17ROCPRIM_400000_NS6detail17trampoline_kernelINS0_14default_configENS1_27scan_by_key_config_selectorIssEEZZNS1_16scan_by_key_implILNS1_25lookback_scan_determinismE0ELb0ES3_N6thrust23THRUST_200600_302600_NS6detail15normal_iteratorINS9_10device_ptrIsEEEESE_SE_sNS9_4plusIvEENS9_8equal_toIvEEsEE10hipError_tPvRmT2_T3_T4_T5_mT6_T7_P12ihipStream_tbENKUlT_T0_E_clISt17integral_constantIbLb1EESZ_EEDaSU_SV_EUlSU_E_NS1_11comp_targetILNS1_3genE4ELNS1_11target_archE910ELNS1_3gpuE8ELNS1_3repE0EEENS1_30default_config_static_selectorELNS0_4arch9wavefront6targetE0EEEvT1_,"axG",@progbits,_ZN7rocprim17ROCPRIM_400000_NS6detail17trampoline_kernelINS0_14default_configENS1_27scan_by_key_config_selectorIssEEZZNS1_16scan_by_key_implILNS1_25lookback_scan_determinismE0ELb0ES3_N6thrust23THRUST_200600_302600_NS6detail15normal_iteratorINS9_10device_ptrIsEEEESE_SE_sNS9_4plusIvEENS9_8equal_toIvEEsEE10hipError_tPvRmT2_T3_T4_T5_mT6_T7_P12ihipStream_tbENKUlT_T0_E_clISt17integral_constantIbLb1EESZ_EEDaSU_SV_EUlSU_E_NS1_11comp_targetILNS1_3genE4ELNS1_11target_archE910ELNS1_3gpuE8ELNS1_3repE0EEENS1_30default_config_static_selectorELNS0_4arch9wavefront6targetE0EEEvT1_,comdat
	.protected	_ZN7rocprim17ROCPRIM_400000_NS6detail17trampoline_kernelINS0_14default_configENS1_27scan_by_key_config_selectorIssEEZZNS1_16scan_by_key_implILNS1_25lookback_scan_determinismE0ELb0ES3_N6thrust23THRUST_200600_302600_NS6detail15normal_iteratorINS9_10device_ptrIsEEEESE_SE_sNS9_4plusIvEENS9_8equal_toIvEEsEE10hipError_tPvRmT2_T3_T4_T5_mT6_T7_P12ihipStream_tbENKUlT_T0_E_clISt17integral_constantIbLb1EESZ_EEDaSU_SV_EUlSU_E_NS1_11comp_targetILNS1_3genE4ELNS1_11target_archE910ELNS1_3gpuE8ELNS1_3repE0EEENS1_30default_config_static_selectorELNS0_4arch9wavefront6targetE0EEEvT1_ ; -- Begin function _ZN7rocprim17ROCPRIM_400000_NS6detail17trampoline_kernelINS0_14default_configENS1_27scan_by_key_config_selectorIssEEZZNS1_16scan_by_key_implILNS1_25lookback_scan_determinismE0ELb0ES3_N6thrust23THRUST_200600_302600_NS6detail15normal_iteratorINS9_10device_ptrIsEEEESE_SE_sNS9_4plusIvEENS9_8equal_toIvEEsEE10hipError_tPvRmT2_T3_T4_T5_mT6_T7_P12ihipStream_tbENKUlT_T0_E_clISt17integral_constantIbLb1EESZ_EEDaSU_SV_EUlSU_E_NS1_11comp_targetILNS1_3genE4ELNS1_11target_archE910ELNS1_3gpuE8ELNS1_3repE0EEENS1_30default_config_static_selectorELNS0_4arch9wavefront6targetE0EEEvT1_
	.globl	_ZN7rocprim17ROCPRIM_400000_NS6detail17trampoline_kernelINS0_14default_configENS1_27scan_by_key_config_selectorIssEEZZNS1_16scan_by_key_implILNS1_25lookback_scan_determinismE0ELb0ES3_N6thrust23THRUST_200600_302600_NS6detail15normal_iteratorINS9_10device_ptrIsEEEESE_SE_sNS9_4plusIvEENS9_8equal_toIvEEsEE10hipError_tPvRmT2_T3_T4_T5_mT6_T7_P12ihipStream_tbENKUlT_T0_E_clISt17integral_constantIbLb1EESZ_EEDaSU_SV_EUlSU_E_NS1_11comp_targetILNS1_3genE4ELNS1_11target_archE910ELNS1_3gpuE8ELNS1_3repE0EEENS1_30default_config_static_selectorELNS0_4arch9wavefront6targetE0EEEvT1_
	.p2align	8
	.type	_ZN7rocprim17ROCPRIM_400000_NS6detail17trampoline_kernelINS0_14default_configENS1_27scan_by_key_config_selectorIssEEZZNS1_16scan_by_key_implILNS1_25lookback_scan_determinismE0ELb0ES3_N6thrust23THRUST_200600_302600_NS6detail15normal_iteratorINS9_10device_ptrIsEEEESE_SE_sNS9_4plusIvEENS9_8equal_toIvEEsEE10hipError_tPvRmT2_T3_T4_T5_mT6_T7_P12ihipStream_tbENKUlT_T0_E_clISt17integral_constantIbLb1EESZ_EEDaSU_SV_EUlSU_E_NS1_11comp_targetILNS1_3genE4ELNS1_11target_archE910ELNS1_3gpuE8ELNS1_3repE0EEENS1_30default_config_static_selectorELNS0_4arch9wavefront6targetE0EEEvT1_,@function
_ZN7rocprim17ROCPRIM_400000_NS6detail17trampoline_kernelINS0_14default_configENS1_27scan_by_key_config_selectorIssEEZZNS1_16scan_by_key_implILNS1_25lookback_scan_determinismE0ELb0ES3_N6thrust23THRUST_200600_302600_NS6detail15normal_iteratorINS9_10device_ptrIsEEEESE_SE_sNS9_4plusIvEENS9_8equal_toIvEEsEE10hipError_tPvRmT2_T3_T4_T5_mT6_T7_P12ihipStream_tbENKUlT_T0_E_clISt17integral_constantIbLb1EESZ_EEDaSU_SV_EUlSU_E_NS1_11comp_targetILNS1_3genE4ELNS1_11target_archE910ELNS1_3gpuE8ELNS1_3repE0EEENS1_30default_config_static_selectorELNS0_4arch9wavefront6targetE0EEEvT1_: ; @_ZN7rocprim17ROCPRIM_400000_NS6detail17trampoline_kernelINS0_14default_configENS1_27scan_by_key_config_selectorIssEEZZNS1_16scan_by_key_implILNS1_25lookback_scan_determinismE0ELb0ES3_N6thrust23THRUST_200600_302600_NS6detail15normal_iteratorINS9_10device_ptrIsEEEESE_SE_sNS9_4plusIvEENS9_8equal_toIvEEsEE10hipError_tPvRmT2_T3_T4_T5_mT6_T7_P12ihipStream_tbENKUlT_T0_E_clISt17integral_constantIbLb1EESZ_EEDaSU_SV_EUlSU_E_NS1_11comp_targetILNS1_3genE4ELNS1_11target_archE910ELNS1_3gpuE8ELNS1_3repE0EEENS1_30default_config_static_selectorELNS0_4arch9wavefront6targetE0EEEvT1_
; %bb.0:
	.section	.rodata,"a",@progbits
	.p2align	6, 0x0
	.amdhsa_kernel _ZN7rocprim17ROCPRIM_400000_NS6detail17trampoline_kernelINS0_14default_configENS1_27scan_by_key_config_selectorIssEEZZNS1_16scan_by_key_implILNS1_25lookback_scan_determinismE0ELb0ES3_N6thrust23THRUST_200600_302600_NS6detail15normal_iteratorINS9_10device_ptrIsEEEESE_SE_sNS9_4plusIvEENS9_8equal_toIvEEsEE10hipError_tPvRmT2_T3_T4_T5_mT6_T7_P12ihipStream_tbENKUlT_T0_E_clISt17integral_constantIbLb1EESZ_EEDaSU_SV_EUlSU_E_NS1_11comp_targetILNS1_3genE4ELNS1_11target_archE910ELNS1_3gpuE8ELNS1_3repE0EEENS1_30default_config_static_selectorELNS0_4arch9wavefront6targetE0EEEvT1_
		.amdhsa_group_segment_fixed_size 0
		.amdhsa_private_segment_fixed_size 0
		.amdhsa_kernarg_size 112
		.amdhsa_user_sgpr_count 2
		.amdhsa_user_sgpr_dispatch_ptr 0
		.amdhsa_user_sgpr_queue_ptr 0
		.amdhsa_user_sgpr_kernarg_segment_ptr 1
		.amdhsa_user_sgpr_dispatch_id 0
		.amdhsa_user_sgpr_kernarg_preload_length 0
		.amdhsa_user_sgpr_kernarg_preload_offset 0
		.amdhsa_user_sgpr_private_segment_size 0
		.amdhsa_wavefront_size32 1
		.amdhsa_uses_dynamic_stack 0
		.amdhsa_enable_private_segment 0
		.amdhsa_system_sgpr_workgroup_id_x 1
		.amdhsa_system_sgpr_workgroup_id_y 0
		.amdhsa_system_sgpr_workgroup_id_z 0
		.amdhsa_system_sgpr_workgroup_info 0
		.amdhsa_system_vgpr_workitem_id 0
		.amdhsa_next_free_vgpr 1
		.amdhsa_next_free_sgpr 1
		.amdhsa_named_barrier_count 0
		.amdhsa_reserve_vcc 0
		.amdhsa_float_round_mode_32 0
		.amdhsa_float_round_mode_16_64 0
		.amdhsa_float_denorm_mode_32 3
		.amdhsa_float_denorm_mode_16_64 3
		.amdhsa_fp16_overflow 0
		.amdhsa_memory_ordered 1
		.amdhsa_forward_progress 1
		.amdhsa_inst_pref_size 0
		.amdhsa_round_robin_scheduling 0
		.amdhsa_exception_fp_ieee_invalid_op 0
		.amdhsa_exception_fp_denorm_src 0
		.amdhsa_exception_fp_ieee_div_zero 0
		.amdhsa_exception_fp_ieee_overflow 0
		.amdhsa_exception_fp_ieee_underflow 0
		.amdhsa_exception_fp_ieee_inexact 0
		.amdhsa_exception_int_div_zero 0
	.end_amdhsa_kernel
	.section	.text._ZN7rocprim17ROCPRIM_400000_NS6detail17trampoline_kernelINS0_14default_configENS1_27scan_by_key_config_selectorIssEEZZNS1_16scan_by_key_implILNS1_25lookback_scan_determinismE0ELb0ES3_N6thrust23THRUST_200600_302600_NS6detail15normal_iteratorINS9_10device_ptrIsEEEESE_SE_sNS9_4plusIvEENS9_8equal_toIvEEsEE10hipError_tPvRmT2_T3_T4_T5_mT6_T7_P12ihipStream_tbENKUlT_T0_E_clISt17integral_constantIbLb1EESZ_EEDaSU_SV_EUlSU_E_NS1_11comp_targetILNS1_3genE4ELNS1_11target_archE910ELNS1_3gpuE8ELNS1_3repE0EEENS1_30default_config_static_selectorELNS0_4arch9wavefront6targetE0EEEvT1_,"axG",@progbits,_ZN7rocprim17ROCPRIM_400000_NS6detail17trampoline_kernelINS0_14default_configENS1_27scan_by_key_config_selectorIssEEZZNS1_16scan_by_key_implILNS1_25lookback_scan_determinismE0ELb0ES3_N6thrust23THRUST_200600_302600_NS6detail15normal_iteratorINS9_10device_ptrIsEEEESE_SE_sNS9_4plusIvEENS9_8equal_toIvEEsEE10hipError_tPvRmT2_T3_T4_T5_mT6_T7_P12ihipStream_tbENKUlT_T0_E_clISt17integral_constantIbLb1EESZ_EEDaSU_SV_EUlSU_E_NS1_11comp_targetILNS1_3genE4ELNS1_11target_archE910ELNS1_3gpuE8ELNS1_3repE0EEENS1_30default_config_static_selectorELNS0_4arch9wavefront6targetE0EEEvT1_,comdat
.Lfunc_end253:
	.size	_ZN7rocprim17ROCPRIM_400000_NS6detail17trampoline_kernelINS0_14default_configENS1_27scan_by_key_config_selectorIssEEZZNS1_16scan_by_key_implILNS1_25lookback_scan_determinismE0ELb0ES3_N6thrust23THRUST_200600_302600_NS6detail15normal_iteratorINS9_10device_ptrIsEEEESE_SE_sNS9_4plusIvEENS9_8equal_toIvEEsEE10hipError_tPvRmT2_T3_T4_T5_mT6_T7_P12ihipStream_tbENKUlT_T0_E_clISt17integral_constantIbLb1EESZ_EEDaSU_SV_EUlSU_E_NS1_11comp_targetILNS1_3genE4ELNS1_11target_archE910ELNS1_3gpuE8ELNS1_3repE0EEENS1_30default_config_static_selectorELNS0_4arch9wavefront6targetE0EEEvT1_, .Lfunc_end253-_ZN7rocprim17ROCPRIM_400000_NS6detail17trampoline_kernelINS0_14default_configENS1_27scan_by_key_config_selectorIssEEZZNS1_16scan_by_key_implILNS1_25lookback_scan_determinismE0ELb0ES3_N6thrust23THRUST_200600_302600_NS6detail15normal_iteratorINS9_10device_ptrIsEEEESE_SE_sNS9_4plusIvEENS9_8equal_toIvEEsEE10hipError_tPvRmT2_T3_T4_T5_mT6_T7_P12ihipStream_tbENKUlT_T0_E_clISt17integral_constantIbLb1EESZ_EEDaSU_SV_EUlSU_E_NS1_11comp_targetILNS1_3genE4ELNS1_11target_archE910ELNS1_3gpuE8ELNS1_3repE0EEENS1_30default_config_static_selectorELNS0_4arch9wavefront6targetE0EEEvT1_
                                        ; -- End function
	.set _ZN7rocprim17ROCPRIM_400000_NS6detail17trampoline_kernelINS0_14default_configENS1_27scan_by_key_config_selectorIssEEZZNS1_16scan_by_key_implILNS1_25lookback_scan_determinismE0ELb0ES3_N6thrust23THRUST_200600_302600_NS6detail15normal_iteratorINS9_10device_ptrIsEEEESE_SE_sNS9_4plusIvEENS9_8equal_toIvEEsEE10hipError_tPvRmT2_T3_T4_T5_mT6_T7_P12ihipStream_tbENKUlT_T0_E_clISt17integral_constantIbLb1EESZ_EEDaSU_SV_EUlSU_E_NS1_11comp_targetILNS1_3genE4ELNS1_11target_archE910ELNS1_3gpuE8ELNS1_3repE0EEENS1_30default_config_static_selectorELNS0_4arch9wavefront6targetE0EEEvT1_.num_vgpr, 0
	.set _ZN7rocprim17ROCPRIM_400000_NS6detail17trampoline_kernelINS0_14default_configENS1_27scan_by_key_config_selectorIssEEZZNS1_16scan_by_key_implILNS1_25lookback_scan_determinismE0ELb0ES3_N6thrust23THRUST_200600_302600_NS6detail15normal_iteratorINS9_10device_ptrIsEEEESE_SE_sNS9_4plusIvEENS9_8equal_toIvEEsEE10hipError_tPvRmT2_T3_T4_T5_mT6_T7_P12ihipStream_tbENKUlT_T0_E_clISt17integral_constantIbLb1EESZ_EEDaSU_SV_EUlSU_E_NS1_11comp_targetILNS1_3genE4ELNS1_11target_archE910ELNS1_3gpuE8ELNS1_3repE0EEENS1_30default_config_static_selectorELNS0_4arch9wavefront6targetE0EEEvT1_.num_agpr, 0
	.set _ZN7rocprim17ROCPRIM_400000_NS6detail17trampoline_kernelINS0_14default_configENS1_27scan_by_key_config_selectorIssEEZZNS1_16scan_by_key_implILNS1_25lookback_scan_determinismE0ELb0ES3_N6thrust23THRUST_200600_302600_NS6detail15normal_iteratorINS9_10device_ptrIsEEEESE_SE_sNS9_4plusIvEENS9_8equal_toIvEEsEE10hipError_tPvRmT2_T3_T4_T5_mT6_T7_P12ihipStream_tbENKUlT_T0_E_clISt17integral_constantIbLb1EESZ_EEDaSU_SV_EUlSU_E_NS1_11comp_targetILNS1_3genE4ELNS1_11target_archE910ELNS1_3gpuE8ELNS1_3repE0EEENS1_30default_config_static_selectorELNS0_4arch9wavefront6targetE0EEEvT1_.numbered_sgpr, 0
	.set _ZN7rocprim17ROCPRIM_400000_NS6detail17trampoline_kernelINS0_14default_configENS1_27scan_by_key_config_selectorIssEEZZNS1_16scan_by_key_implILNS1_25lookback_scan_determinismE0ELb0ES3_N6thrust23THRUST_200600_302600_NS6detail15normal_iteratorINS9_10device_ptrIsEEEESE_SE_sNS9_4plusIvEENS9_8equal_toIvEEsEE10hipError_tPvRmT2_T3_T4_T5_mT6_T7_P12ihipStream_tbENKUlT_T0_E_clISt17integral_constantIbLb1EESZ_EEDaSU_SV_EUlSU_E_NS1_11comp_targetILNS1_3genE4ELNS1_11target_archE910ELNS1_3gpuE8ELNS1_3repE0EEENS1_30default_config_static_selectorELNS0_4arch9wavefront6targetE0EEEvT1_.num_named_barrier, 0
	.set _ZN7rocprim17ROCPRIM_400000_NS6detail17trampoline_kernelINS0_14default_configENS1_27scan_by_key_config_selectorIssEEZZNS1_16scan_by_key_implILNS1_25lookback_scan_determinismE0ELb0ES3_N6thrust23THRUST_200600_302600_NS6detail15normal_iteratorINS9_10device_ptrIsEEEESE_SE_sNS9_4plusIvEENS9_8equal_toIvEEsEE10hipError_tPvRmT2_T3_T4_T5_mT6_T7_P12ihipStream_tbENKUlT_T0_E_clISt17integral_constantIbLb1EESZ_EEDaSU_SV_EUlSU_E_NS1_11comp_targetILNS1_3genE4ELNS1_11target_archE910ELNS1_3gpuE8ELNS1_3repE0EEENS1_30default_config_static_selectorELNS0_4arch9wavefront6targetE0EEEvT1_.private_seg_size, 0
	.set _ZN7rocprim17ROCPRIM_400000_NS6detail17trampoline_kernelINS0_14default_configENS1_27scan_by_key_config_selectorIssEEZZNS1_16scan_by_key_implILNS1_25lookback_scan_determinismE0ELb0ES3_N6thrust23THRUST_200600_302600_NS6detail15normal_iteratorINS9_10device_ptrIsEEEESE_SE_sNS9_4plusIvEENS9_8equal_toIvEEsEE10hipError_tPvRmT2_T3_T4_T5_mT6_T7_P12ihipStream_tbENKUlT_T0_E_clISt17integral_constantIbLb1EESZ_EEDaSU_SV_EUlSU_E_NS1_11comp_targetILNS1_3genE4ELNS1_11target_archE910ELNS1_3gpuE8ELNS1_3repE0EEENS1_30default_config_static_selectorELNS0_4arch9wavefront6targetE0EEEvT1_.uses_vcc, 0
	.set _ZN7rocprim17ROCPRIM_400000_NS6detail17trampoline_kernelINS0_14default_configENS1_27scan_by_key_config_selectorIssEEZZNS1_16scan_by_key_implILNS1_25lookback_scan_determinismE0ELb0ES3_N6thrust23THRUST_200600_302600_NS6detail15normal_iteratorINS9_10device_ptrIsEEEESE_SE_sNS9_4plusIvEENS9_8equal_toIvEEsEE10hipError_tPvRmT2_T3_T4_T5_mT6_T7_P12ihipStream_tbENKUlT_T0_E_clISt17integral_constantIbLb1EESZ_EEDaSU_SV_EUlSU_E_NS1_11comp_targetILNS1_3genE4ELNS1_11target_archE910ELNS1_3gpuE8ELNS1_3repE0EEENS1_30default_config_static_selectorELNS0_4arch9wavefront6targetE0EEEvT1_.uses_flat_scratch, 0
	.set _ZN7rocprim17ROCPRIM_400000_NS6detail17trampoline_kernelINS0_14default_configENS1_27scan_by_key_config_selectorIssEEZZNS1_16scan_by_key_implILNS1_25lookback_scan_determinismE0ELb0ES3_N6thrust23THRUST_200600_302600_NS6detail15normal_iteratorINS9_10device_ptrIsEEEESE_SE_sNS9_4plusIvEENS9_8equal_toIvEEsEE10hipError_tPvRmT2_T3_T4_T5_mT6_T7_P12ihipStream_tbENKUlT_T0_E_clISt17integral_constantIbLb1EESZ_EEDaSU_SV_EUlSU_E_NS1_11comp_targetILNS1_3genE4ELNS1_11target_archE910ELNS1_3gpuE8ELNS1_3repE0EEENS1_30default_config_static_selectorELNS0_4arch9wavefront6targetE0EEEvT1_.has_dyn_sized_stack, 0
	.set _ZN7rocprim17ROCPRIM_400000_NS6detail17trampoline_kernelINS0_14default_configENS1_27scan_by_key_config_selectorIssEEZZNS1_16scan_by_key_implILNS1_25lookback_scan_determinismE0ELb0ES3_N6thrust23THRUST_200600_302600_NS6detail15normal_iteratorINS9_10device_ptrIsEEEESE_SE_sNS9_4plusIvEENS9_8equal_toIvEEsEE10hipError_tPvRmT2_T3_T4_T5_mT6_T7_P12ihipStream_tbENKUlT_T0_E_clISt17integral_constantIbLb1EESZ_EEDaSU_SV_EUlSU_E_NS1_11comp_targetILNS1_3genE4ELNS1_11target_archE910ELNS1_3gpuE8ELNS1_3repE0EEENS1_30default_config_static_selectorELNS0_4arch9wavefront6targetE0EEEvT1_.has_recursion, 0
	.set _ZN7rocprim17ROCPRIM_400000_NS6detail17trampoline_kernelINS0_14default_configENS1_27scan_by_key_config_selectorIssEEZZNS1_16scan_by_key_implILNS1_25lookback_scan_determinismE0ELb0ES3_N6thrust23THRUST_200600_302600_NS6detail15normal_iteratorINS9_10device_ptrIsEEEESE_SE_sNS9_4plusIvEENS9_8equal_toIvEEsEE10hipError_tPvRmT2_T3_T4_T5_mT6_T7_P12ihipStream_tbENKUlT_T0_E_clISt17integral_constantIbLb1EESZ_EEDaSU_SV_EUlSU_E_NS1_11comp_targetILNS1_3genE4ELNS1_11target_archE910ELNS1_3gpuE8ELNS1_3repE0EEENS1_30default_config_static_selectorELNS0_4arch9wavefront6targetE0EEEvT1_.has_indirect_call, 0
	.section	.AMDGPU.csdata,"",@progbits
; Kernel info:
; codeLenInByte = 0
; TotalNumSgprs: 0
; NumVgprs: 0
; ScratchSize: 0
; MemoryBound: 0
; FloatMode: 240
; IeeeMode: 1
; LDSByteSize: 0 bytes/workgroup (compile time only)
; SGPRBlocks: 0
; VGPRBlocks: 0
; NumSGPRsForWavesPerEU: 1
; NumVGPRsForWavesPerEU: 1
; NamedBarCnt: 0
; Occupancy: 16
; WaveLimiterHint : 0
; COMPUTE_PGM_RSRC2:SCRATCH_EN: 0
; COMPUTE_PGM_RSRC2:USER_SGPR: 2
; COMPUTE_PGM_RSRC2:TRAP_HANDLER: 0
; COMPUTE_PGM_RSRC2:TGID_X_EN: 1
; COMPUTE_PGM_RSRC2:TGID_Y_EN: 0
; COMPUTE_PGM_RSRC2:TGID_Z_EN: 0
; COMPUTE_PGM_RSRC2:TIDIG_COMP_CNT: 0
	.section	.text._ZN7rocprim17ROCPRIM_400000_NS6detail17trampoline_kernelINS0_14default_configENS1_27scan_by_key_config_selectorIssEEZZNS1_16scan_by_key_implILNS1_25lookback_scan_determinismE0ELb0ES3_N6thrust23THRUST_200600_302600_NS6detail15normal_iteratorINS9_10device_ptrIsEEEESE_SE_sNS9_4plusIvEENS9_8equal_toIvEEsEE10hipError_tPvRmT2_T3_T4_T5_mT6_T7_P12ihipStream_tbENKUlT_T0_E_clISt17integral_constantIbLb1EESZ_EEDaSU_SV_EUlSU_E_NS1_11comp_targetILNS1_3genE3ELNS1_11target_archE908ELNS1_3gpuE7ELNS1_3repE0EEENS1_30default_config_static_selectorELNS0_4arch9wavefront6targetE0EEEvT1_,"axG",@progbits,_ZN7rocprim17ROCPRIM_400000_NS6detail17trampoline_kernelINS0_14default_configENS1_27scan_by_key_config_selectorIssEEZZNS1_16scan_by_key_implILNS1_25lookback_scan_determinismE0ELb0ES3_N6thrust23THRUST_200600_302600_NS6detail15normal_iteratorINS9_10device_ptrIsEEEESE_SE_sNS9_4plusIvEENS9_8equal_toIvEEsEE10hipError_tPvRmT2_T3_T4_T5_mT6_T7_P12ihipStream_tbENKUlT_T0_E_clISt17integral_constantIbLb1EESZ_EEDaSU_SV_EUlSU_E_NS1_11comp_targetILNS1_3genE3ELNS1_11target_archE908ELNS1_3gpuE7ELNS1_3repE0EEENS1_30default_config_static_selectorELNS0_4arch9wavefront6targetE0EEEvT1_,comdat
	.protected	_ZN7rocprim17ROCPRIM_400000_NS6detail17trampoline_kernelINS0_14default_configENS1_27scan_by_key_config_selectorIssEEZZNS1_16scan_by_key_implILNS1_25lookback_scan_determinismE0ELb0ES3_N6thrust23THRUST_200600_302600_NS6detail15normal_iteratorINS9_10device_ptrIsEEEESE_SE_sNS9_4plusIvEENS9_8equal_toIvEEsEE10hipError_tPvRmT2_T3_T4_T5_mT6_T7_P12ihipStream_tbENKUlT_T0_E_clISt17integral_constantIbLb1EESZ_EEDaSU_SV_EUlSU_E_NS1_11comp_targetILNS1_3genE3ELNS1_11target_archE908ELNS1_3gpuE7ELNS1_3repE0EEENS1_30default_config_static_selectorELNS0_4arch9wavefront6targetE0EEEvT1_ ; -- Begin function _ZN7rocprim17ROCPRIM_400000_NS6detail17trampoline_kernelINS0_14default_configENS1_27scan_by_key_config_selectorIssEEZZNS1_16scan_by_key_implILNS1_25lookback_scan_determinismE0ELb0ES3_N6thrust23THRUST_200600_302600_NS6detail15normal_iteratorINS9_10device_ptrIsEEEESE_SE_sNS9_4plusIvEENS9_8equal_toIvEEsEE10hipError_tPvRmT2_T3_T4_T5_mT6_T7_P12ihipStream_tbENKUlT_T0_E_clISt17integral_constantIbLb1EESZ_EEDaSU_SV_EUlSU_E_NS1_11comp_targetILNS1_3genE3ELNS1_11target_archE908ELNS1_3gpuE7ELNS1_3repE0EEENS1_30default_config_static_selectorELNS0_4arch9wavefront6targetE0EEEvT1_
	.globl	_ZN7rocprim17ROCPRIM_400000_NS6detail17trampoline_kernelINS0_14default_configENS1_27scan_by_key_config_selectorIssEEZZNS1_16scan_by_key_implILNS1_25lookback_scan_determinismE0ELb0ES3_N6thrust23THRUST_200600_302600_NS6detail15normal_iteratorINS9_10device_ptrIsEEEESE_SE_sNS9_4plusIvEENS9_8equal_toIvEEsEE10hipError_tPvRmT2_T3_T4_T5_mT6_T7_P12ihipStream_tbENKUlT_T0_E_clISt17integral_constantIbLb1EESZ_EEDaSU_SV_EUlSU_E_NS1_11comp_targetILNS1_3genE3ELNS1_11target_archE908ELNS1_3gpuE7ELNS1_3repE0EEENS1_30default_config_static_selectorELNS0_4arch9wavefront6targetE0EEEvT1_
	.p2align	8
	.type	_ZN7rocprim17ROCPRIM_400000_NS6detail17trampoline_kernelINS0_14default_configENS1_27scan_by_key_config_selectorIssEEZZNS1_16scan_by_key_implILNS1_25lookback_scan_determinismE0ELb0ES3_N6thrust23THRUST_200600_302600_NS6detail15normal_iteratorINS9_10device_ptrIsEEEESE_SE_sNS9_4plusIvEENS9_8equal_toIvEEsEE10hipError_tPvRmT2_T3_T4_T5_mT6_T7_P12ihipStream_tbENKUlT_T0_E_clISt17integral_constantIbLb1EESZ_EEDaSU_SV_EUlSU_E_NS1_11comp_targetILNS1_3genE3ELNS1_11target_archE908ELNS1_3gpuE7ELNS1_3repE0EEENS1_30default_config_static_selectorELNS0_4arch9wavefront6targetE0EEEvT1_,@function
_ZN7rocprim17ROCPRIM_400000_NS6detail17trampoline_kernelINS0_14default_configENS1_27scan_by_key_config_selectorIssEEZZNS1_16scan_by_key_implILNS1_25lookback_scan_determinismE0ELb0ES3_N6thrust23THRUST_200600_302600_NS6detail15normal_iteratorINS9_10device_ptrIsEEEESE_SE_sNS9_4plusIvEENS9_8equal_toIvEEsEE10hipError_tPvRmT2_T3_T4_T5_mT6_T7_P12ihipStream_tbENKUlT_T0_E_clISt17integral_constantIbLb1EESZ_EEDaSU_SV_EUlSU_E_NS1_11comp_targetILNS1_3genE3ELNS1_11target_archE908ELNS1_3gpuE7ELNS1_3repE0EEENS1_30default_config_static_selectorELNS0_4arch9wavefront6targetE0EEEvT1_: ; @_ZN7rocprim17ROCPRIM_400000_NS6detail17trampoline_kernelINS0_14default_configENS1_27scan_by_key_config_selectorIssEEZZNS1_16scan_by_key_implILNS1_25lookback_scan_determinismE0ELb0ES3_N6thrust23THRUST_200600_302600_NS6detail15normal_iteratorINS9_10device_ptrIsEEEESE_SE_sNS9_4plusIvEENS9_8equal_toIvEEsEE10hipError_tPvRmT2_T3_T4_T5_mT6_T7_P12ihipStream_tbENKUlT_T0_E_clISt17integral_constantIbLb1EESZ_EEDaSU_SV_EUlSU_E_NS1_11comp_targetILNS1_3genE3ELNS1_11target_archE908ELNS1_3gpuE7ELNS1_3repE0EEENS1_30default_config_static_selectorELNS0_4arch9wavefront6targetE0EEEvT1_
; %bb.0:
	.section	.rodata,"a",@progbits
	.p2align	6, 0x0
	.amdhsa_kernel _ZN7rocprim17ROCPRIM_400000_NS6detail17trampoline_kernelINS0_14default_configENS1_27scan_by_key_config_selectorIssEEZZNS1_16scan_by_key_implILNS1_25lookback_scan_determinismE0ELb0ES3_N6thrust23THRUST_200600_302600_NS6detail15normal_iteratorINS9_10device_ptrIsEEEESE_SE_sNS9_4plusIvEENS9_8equal_toIvEEsEE10hipError_tPvRmT2_T3_T4_T5_mT6_T7_P12ihipStream_tbENKUlT_T0_E_clISt17integral_constantIbLb1EESZ_EEDaSU_SV_EUlSU_E_NS1_11comp_targetILNS1_3genE3ELNS1_11target_archE908ELNS1_3gpuE7ELNS1_3repE0EEENS1_30default_config_static_selectorELNS0_4arch9wavefront6targetE0EEEvT1_
		.amdhsa_group_segment_fixed_size 0
		.amdhsa_private_segment_fixed_size 0
		.amdhsa_kernarg_size 112
		.amdhsa_user_sgpr_count 2
		.amdhsa_user_sgpr_dispatch_ptr 0
		.amdhsa_user_sgpr_queue_ptr 0
		.amdhsa_user_sgpr_kernarg_segment_ptr 1
		.amdhsa_user_sgpr_dispatch_id 0
		.amdhsa_user_sgpr_kernarg_preload_length 0
		.amdhsa_user_sgpr_kernarg_preload_offset 0
		.amdhsa_user_sgpr_private_segment_size 0
		.amdhsa_wavefront_size32 1
		.amdhsa_uses_dynamic_stack 0
		.amdhsa_enable_private_segment 0
		.amdhsa_system_sgpr_workgroup_id_x 1
		.amdhsa_system_sgpr_workgroup_id_y 0
		.amdhsa_system_sgpr_workgroup_id_z 0
		.amdhsa_system_sgpr_workgroup_info 0
		.amdhsa_system_vgpr_workitem_id 0
		.amdhsa_next_free_vgpr 1
		.amdhsa_next_free_sgpr 1
		.amdhsa_named_barrier_count 0
		.amdhsa_reserve_vcc 0
		.amdhsa_float_round_mode_32 0
		.amdhsa_float_round_mode_16_64 0
		.amdhsa_float_denorm_mode_32 3
		.amdhsa_float_denorm_mode_16_64 3
		.amdhsa_fp16_overflow 0
		.amdhsa_memory_ordered 1
		.amdhsa_forward_progress 1
		.amdhsa_inst_pref_size 0
		.amdhsa_round_robin_scheduling 0
		.amdhsa_exception_fp_ieee_invalid_op 0
		.amdhsa_exception_fp_denorm_src 0
		.amdhsa_exception_fp_ieee_div_zero 0
		.amdhsa_exception_fp_ieee_overflow 0
		.amdhsa_exception_fp_ieee_underflow 0
		.amdhsa_exception_fp_ieee_inexact 0
		.amdhsa_exception_int_div_zero 0
	.end_amdhsa_kernel
	.section	.text._ZN7rocprim17ROCPRIM_400000_NS6detail17trampoline_kernelINS0_14default_configENS1_27scan_by_key_config_selectorIssEEZZNS1_16scan_by_key_implILNS1_25lookback_scan_determinismE0ELb0ES3_N6thrust23THRUST_200600_302600_NS6detail15normal_iteratorINS9_10device_ptrIsEEEESE_SE_sNS9_4plusIvEENS9_8equal_toIvEEsEE10hipError_tPvRmT2_T3_T4_T5_mT6_T7_P12ihipStream_tbENKUlT_T0_E_clISt17integral_constantIbLb1EESZ_EEDaSU_SV_EUlSU_E_NS1_11comp_targetILNS1_3genE3ELNS1_11target_archE908ELNS1_3gpuE7ELNS1_3repE0EEENS1_30default_config_static_selectorELNS0_4arch9wavefront6targetE0EEEvT1_,"axG",@progbits,_ZN7rocprim17ROCPRIM_400000_NS6detail17trampoline_kernelINS0_14default_configENS1_27scan_by_key_config_selectorIssEEZZNS1_16scan_by_key_implILNS1_25lookback_scan_determinismE0ELb0ES3_N6thrust23THRUST_200600_302600_NS6detail15normal_iteratorINS9_10device_ptrIsEEEESE_SE_sNS9_4plusIvEENS9_8equal_toIvEEsEE10hipError_tPvRmT2_T3_T4_T5_mT6_T7_P12ihipStream_tbENKUlT_T0_E_clISt17integral_constantIbLb1EESZ_EEDaSU_SV_EUlSU_E_NS1_11comp_targetILNS1_3genE3ELNS1_11target_archE908ELNS1_3gpuE7ELNS1_3repE0EEENS1_30default_config_static_selectorELNS0_4arch9wavefront6targetE0EEEvT1_,comdat
.Lfunc_end254:
	.size	_ZN7rocprim17ROCPRIM_400000_NS6detail17trampoline_kernelINS0_14default_configENS1_27scan_by_key_config_selectorIssEEZZNS1_16scan_by_key_implILNS1_25lookback_scan_determinismE0ELb0ES3_N6thrust23THRUST_200600_302600_NS6detail15normal_iteratorINS9_10device_ptrIsEEEESE_SE_sNS9_4plusIvEENS9_8equal_toIvEEsEE10hipError_tPvRmT2_T3_T4_T5_mT6_T7_P12ihipStream_tbENKUlT_T0_E_clISt17integral_constantIbLb1EESZ_EEDaSU_SV_EUlSU_E_NS1_11comp_targetILNS1_3genE3ELNS1_11target_archE908ELNS1_3gpuE7ELNS1_3repE0EEENS1_30default_config_static_selectorELNS0_4arch9wavefront6targetE0EEEvT1_, .Lfunc_end254-_ZN7rocprim17ROCPRIM_400000_NS6detail17trampoline_kernelINS0_14default_configENS1_27scan_by_key_config_selectorIssEEZZNS1_16scan_by_key_implILNS1_25lookback_scan_determinismE0ELb0ES3_N6thrust23THRUST_200600_302600_NS6detail15normal_iteratorINS9_10device_ptrIsEEEESE_SE_sNS9_4plusIvEENS9_8equal_toIvEEsEE10hipError_tPvRmT2_T3_T4_T5_mT6_T7_P12ihipStream_tbENKUlT_T0_E_clISt17integral_constantIbLb1EESZ_EEDaSU_SV_EUlSU_E_NS1_11comp_targetILNS1_3genE3ELNS1_11target_archE908ELNS1_3gpuE7ELNS1_3repE0EEENS1_30default_config_static_selectorELNS0_4arch9wavefront6targetE0EEEvT1_
                                        ; -- End function
	.set _ZN7rocprim17ROCPRIM_400000_NS6detail17trampoline_kernelINS0_14default_configENS1_27scan_by_key_config_selectorIssEEZZNS1_16scan_by_key_implILNS1_25lookback_scan_determinismE0ELb0ES3_N6thrust23THRUST_200600_302600_NS6detail15normal_iteratorINS9_10device_ptrIsEEEESE_SE_sNS9_4plusIvEENS9_8equal_toIvEEsEE10hipError_tPvRmT2_T3_T4_T5_mT6_T7_P12ihipStream_tbENKUlT_T0_E_clISt17integral_constantIbLb1EESZ_EEDaSU_SV_EUlSU_E_NS1_11comp_targetILNS1_3genE3ELNS1_11target_archE908ELNS1_3gpuE7ELNS1_3repE0EEENS1_30default_config_static_selectorELNS0_4arch9wavefront6targetE0EEEvT1_.num_vgpr, 0
	.set _ZN7rocprim17ROCPRIM_400000_NS6detail17trampoline_kernelINS0_14default_configENS1_27scan_by_key_config_selectorIssEEZZNS1_16scan_by_key_implILNS1_25lookback_scan_determinismE0ELb0ES3_N6thrust23THRUST_200600_302600_NS6detail15normal_iteratorINS9_10device_ptrIsEEEESE_SE_sNS9_4plusIvEENS9_8equal_toIvEEsEE10hipError_tPvRmT2_T3_T4_T5_mT6_T7_P12ihipStream_tbENKUlT_T0_E_clISt17integral_constantIbLb1EESZ_EEDaSU_SV_EUlSU_E_NS1_11comp_targetILNS1_3genE3ELNS1_11target_archE908ELNS1_3gpuE7ELNS1_3repE0EEENS1_30default_config_static_selectorELNS0_4arch9wavefront6targetE0EEEvT1_.num_agpr, 0
	.set _ZN7rocprim17ROCPRIM_400000_NS6detail17trampoline_kernelINS0_14default_configENS1_27scan_by_key_config_selectorIssEEZZNS1_16scan_by_key_implILNS1_25lookback_scan_determinismE0ELb0ES3_N6thrust23THRUST_200600_302600_NS6detail15normal_iteratorINS9_10device_ptrIsEEEESE_SE_sNS9_4plusIvEENS9_8equal_toIvEEsEE10hipError_tPvRmT2_T3_T4_T5_mT6_T7_P12ihipStream_tbENKUlT_T0_E_clISt17integral_constantIbLb1EESZ_EEDaSU_SV_EUlSU_E_NS1_11comp_targetILNS1_3genE3ELNS1_11target_archE908ELNS1_3gpuE7ELNS1_3repE0EEENS1_30default_config_static_selectorELNS0_4arch9wavefront6targetE0EEEvT1_.numbered_sgpr, 0
	.set _ZN7rocprim17ROCPRIM_400000_NS6detail17trampoline_kernelINS0_14default_configENS1_27scan_by_key_config_selectorIssEEZZNS1_16scan_by_key_implILNS1_25lookback_scan_determinismE0ELb0ES3_N6thrust23THRUST_200600_302600_NS6detail15normal_iteratorINS9_10device_ptrIsEEEESE_SE_sNS9_4plusIvEENS9_8equal_toIvEEsEE10hipError_tPvRmT2_T3_T4_T5_mT6_T7_P12ihipStream_tbENKUlT_T0_E_clISt17integral_constantIbLb1EESZ_EEDaSU_SV_EUlSU_E_NS1_11comp_targetILNS1_3genE3ELNS1_11target_archE908ELNS1_3gpuE7ELNS1_3repE0EEENS1_30default_config_static_selectorELNS0_4arch9wavefront6targetE0EEEvT1_.num_named_barrier, 0
	.set _ZN7rocprim17ROCPRIM_400000_NS6detail17trampoline_kernelINS0_14default_configENS1_27scan_by_key_config_selectorIssEEZZNS1_16scan_by_key_implILNS1_25lookback_scan_determinismE0ELb0ES3_N6thrust23THRUST_200600_302600_NS6detail15normal_iteratorINS9_10device_ptrIsEEEESE_SE_sNS9_4plusIvEENS9_8equal_toIvEEsEE10hipError_tPvRmT2_T3_T4_T5_mT6_T7_P12ihipStream_tbENKUlT_T0_E_clISt17integral_constantIbLb1EESZ_EEDaSU_SV_EUlSU_E_NS1_11comp_targetILNS1_3genE3ELNS1_11target_archE908ELNS1_3gpuE7ELNS1_3repE0EEENS1_30default_config_static_selectorELNS0_4arch9wavefront6targetE0EEEvT1_.private_seg_size, 0
	.set _ZN7rocprim17ROCPRIM_400000_NS6detail17trampoline_kernelINS0_14default_configENS1_27scan_by_key_config_selectorIssEEZZNS1_16scan_by_key_implILNS1_25lookback_scan_determinismE0ELb0ES3_N6thrust23THRUST_200600_302600_NS6detail15normal_iteratorINS9_10device_ptrIsEEEESE_SE_sNS9_4plusIvEENS9_8equal_toIvEEsEE10hipError_tPvRmT2_T3_T4_T5_mT6_T7_P12ihipStream_tbENKUlT_T0_E_clISt17integral_constantIbLb1EESZ_EEDaSU_SV_EUlSU_E_NS1_11comp_targetILNS1_3genE3ELNS1_11target_archE908ELNS1_3gpuE7ELNS1_3repE0EEENS1_30default_config_static_selectorELNS0_4arch9wavefront6targetE0EEEvT1_.uses_vcc, 0
	.set _ZN7rocprim17ROCPRIM_400000_NS6detail17trampoline_kernelINS0_14default_configENS1_27scan_by_key_config_selectorIssEEZZNS1_16scan_by_key_implILNS1_25lookback_scan_determinismE0ELb0ES3_N6thrust23THRUST_200600_302600_NS6detail15normal_iteratorINS9_10device_ptrIsEEEESE_SE_sNS9_4plusIvEENS9_8equal_toIvEEsEE10hipError_tPvRmT2_T3_T4_T5_mT6_T7_P12ihipStream_tbENKUlT_T0_E_clISt17integral_constantIbLb1EESZ_EEDaSU_SV_EUlSU_E_NS1_11comp_targetILNS1_3genE3ELNS1_11target_archE908ELNS1_3gpuE7ELNS1_3repE0EEENS1_30default_config_static_selectorELNS0_4arch9wavefront6targetE0EEEvT1_.uses_flat_scratch, 0
	.set _ZN7rocprim17ROCPRIM_400000_NS6detail17trampoline_kernelINS0_14default_configENS1_27scan_by_key_config_selectorIssEEZZNS1_16scan_by_key_implILNS1_25lookback_scan_determinismE0ELb0ES3_N6thrust23THRUST_200600_302600_NS6detail15normal_iteratorINS9_10device_ptrIsEEEESE_SE_sNS9_4plusIvEENS9_8equal_toIvEEsEE10hipError_tPvRmT2_T3_T4_T5_mT6_T7_P12ihipStream_tbENKUlT_T0_E_clISt17integral_constantIbLb1EESZ_EEDaSU_SV_EUlSU_E_NS1_11comp_targetILNS1_3genE3ELNS1_11target_archE908ELNS1_3gpuE7ELNS1_3repE0EEENS1_30default_config_static_selectorELNS0_4arch9wavefront6targetE0EEEvT1_.has_dyn_sized_stack, 0
	.set _ZN7rocprim17ROCPRIM_400000_NS6detail17trampoline_kernelINS0_14default_configENS1_27scan_by_key_config_selectorIssEEZZNS1_16scan_by_key_implILNS1_25lookback_scan_determinismE0ELb0ES3_N6thrust23THRUST_200600_302600_NS6detail15normal_iteratorINS9_10device_ptrIsEEEESE_SE_sNS9_4plusIvEENS9_8equal_toIvEEsEE10hipError_tPvRmT2_T3_T4_T5_mT6_T7_P12ihipStream_tbENKUlT_T0_E_clISt17integral_constantIbLb1EESZ_EEDaSU_SV_EUlSU_E_NS1_11comp_targetILNS1_3genE3ELNS1_11target_archE908ELNS1_3gpuE7ELNS1_3repE0EEENS1_30default_config_static_selectorELNS0_4arch9wavefront6targetE0EEEvT1_.has_recursion, 0
	.set _ZN7rocprim17ROCPRIM_400000_NS6detail17trampoline_kernelINS0_14default_configENS1_27scan_by_key_config_selectorIssEEZZNS1_16scan_by_key_implILNS1_25lookback_scan_determinismE0ELb0ES3_N6thrust23THRUST_200600_302600_NS6detail15normal_iteratorINS9_10device_ptrIsEEEESE_SE_sNS9_4plusIvEENS9_8equal_toIvEEsEE10hipError_tPvRmT2_T3_T4_T5_mT6_T7_P12ihipStream_tbENKUlT_T0_E_clISt17integral_constantIbLb1EESZ_EEDaSU_SV_EUlSU_E_NS1_11comp_targetILNS1_3genE3ELNS1_11target_archE908ELNS1_3gpuE7ELNS1_3repE0EEENS1_30default_config_static_selectorELNS0_4arch9wavefront6targetE0EEEvT1_.has_indirect_call, 0
	.section	.AMDGPU.csdata,"",@progbits
; Kernel info:
; codeLenInByte = 0
; TotalNumSgprs: 0
; NumVgprs: 0
; ScratchSize: 0
; MemoryBound: 0
; FloatMode: 240
; IeeeMode: 1
; LDSByteSize: 0 bytes/workgroup (compile time only)
; SGPRBlocks: 0
; VGPRBlocks: 0
; NumSGPRsForWavesPerEU: 1
; NumVGPRsForWavesPerEU: 1
; NamedBarCnt: 0
; Occupancy: 16
; WaveLimiterHint : 0
; COMPUTE_PGM_RSRC2:SCRATCH_EN: 0
; COMPUTE_PGM_RSRC2:USER_SGPR: 2
; COMPUTE_PGM_RSRC2:TRAP_HANDLER: 0
; COMPUTE_PGM_RSRC2:TGID_X_EN: 1
; COMPUTE_PGM_RSRC2:TGID_Y_EN: 0
; COMPUTE_PGM_RSRC2:TGID_Z_EN: 0
; COMPUTE_PGM_RSRC2:TIDIG_COMP_CNT: 0
	.section	.text._ZN7rocprim17ROCPRIM_400000_NS6detail17trampoline_kernelINS0_14default_configENS1_27scan_by_key_config_selectorIssEEZZNS1_16scan_by_key_implILNS1_25lookback_scan_determinismE0ELb0ES3_N6thrust23THRUST_200600_302600_NS6detail15normal_iteratorINS9_10device_ptrIsEEEESE_SE_sNS9_4plusIvEENS9_8equal_toIvEEsEE10hipError_tPvRmT2_T3_T4_T5_mT6_T7_P12ihipStream_tbENKUlT_T0_E_clISt17integral_constantIbLb1EESZ_EEDaSU_SV_EUlSU_E_NS1_11comp_targetILNS1_3genE2ELNS1_11target_archE906ELNS1_3gpuE6ELNS1_3repE0EEENS1_30default_config_static_selectorELNS0_4arch9wavefront6targetE0EEEvT1_,"axG",@progbits,_ZN7rocprim17ROCPRIM_400000_NS6detail17trampoline_kernelINS0_14default_configENS1_27scan_by_key_config_selectorIssEEZZNS1_16scan_by_key_implILNS1_25lookback_scan_determinismE0ELb0ES3_N6thrust23THRUST_200600_302600_NS6detail15normal_iteratorINS9_10device_ptrIsEEEESE_SE_sNS9_4plusIvEENS9_8equal_toIvEEsEE10hipError_tPvRmT2_T3_T4_T5_mT6_T7_P12ihipStream_tbENKUlT_T0_E_clISt17integral_constantIbLb1EESZ_EEDaSU_SV_EUlSU_E_NS1_11comp_targetILNS1_3genE2ELNS1_11target_archE906ELNS1_3gpuE6ELNS1_3repE0EEENS1_30default_config_static_selectorELNS0_4arch9wavefront6targetE0EEEvT1_,comdat
	.protected	_ZN7rocprim17ROCPRIM_400000_NS6detail17trampoline_kernelINS0_14default_configENS1_27scan_by_key_config_selectorIssEEZZNS1_16scan_by_key_implILNS1_25lookback_scan_determinismE0ELb0ES3_N6thrust23THRUST_200600_302600_NS6detail15normal_iteratorINS9_10device_ptrIsEEEESE_SE_sNS9_4plusIvEENS9_8equal_toIvEEsEE10hipError_tPvRmT2_T3_T4_T5_mT6_T7_P12ihipStream_tbENKUlT_T0_E_clISt17integral_constantIbLb1EESZ_EEDaSU_SV_EUlSU_E_NS1_11comp_targetILNS1_3genE2ELNS1_11target_archE906ELNS1_3gpuE6ELNS1_3repE0EEENS1_30default_config_static_selectorELNS0_4arch9wavefront6targetE0EEEvT1_ ; -- Begin function _ZN7rocprim17ROCPRIM_400000_NS6detail17trampoline_kernelINS0_14default_configENS1_27scan_by_key_config_selectorIssEEZZNS1_16scan_by_key_implILNS1_25lookback_scan_determinismE0ELb0ES3_N6thrust23THRUST_200600_302600_NS6detail15normal_iteratorINS9_10device_ptrIsEEEESE_SE_sNS9_4plusIvEENS9_8equal_toIvEEsEE10hipError_tPvRmT2_T3_T4_T5_mT6_T7_P12ihipStream_tbENKUlT_T0_E_clISt17integral_constantIbLb1EESZ_EEDaSU_SV_EUlSU_E_NS1_11comp_targetILNS1_3genE2ELNS1_11target_archE906ELNS1_3gpuE6ELNS1_3repE0EEENS1_30default_config_static_selectorELNS0_4arch9wavefront6targetE0EEEvT1_
	.globl	_ZN7rocprim17ROCPRIM_400000_NS6detail17trampoline_kernelINS0_14default_configENS1_27scan_by_key_config_selectorIssEEZZNS1_16scan_by_key_implILNS1_25lookback_scan_determinismE0ELb0ES3_N6thrust23THRUST_200600_302600_NS6detail15normal_iteratorINS9_10device_ptrIsEEEESE_SE_sNS9_4plusIvEENS9_8equal_toIvEEsEE10hipError_tPvRmT2_T3_T4_T5_mT6_T7_P12ihipStream_tbENKUlT_T0_E_clISt17integral_constantIbLb1EESZ_EEDaSU_SV_EUlSU_E_NS1_11comp_targetILNS1_3genE2ELNS1_11target_archE906ELNS1_3gpuE6ELNS1_3repE0EEENS1_30default_config_static_selectorELNS0_4arch9wavefront6targetE0EEEvT1_
	.p2align	8
	.type	_ZN7rocprim17ROCPRIM_400000_NS6detail17trampoline_kernelINS0_14default_configENS1_27scan_by_key_config_selectorIssEEZZNS1_16scan_by_key_implILNS1_25lookback_scan_determinismE0ELb0ES3_N6thrust23THRUST_200600_302600_NS6detail15normal_iteratorINS9_10device_ptrIsEEEESE_SE_sNS9_4plusIvEENS9_8equal_toIvEEsEE10hipError_tPvRmT2_T3_T4_T5_mT6_T7_P12ihipStream_tbENKUlT_T0_E_clISt17integral_constantIbLb1EESZ_EEDaSU_SV_EUlSU_E_NS1_11comp_targetILNS1_3genE2ELNS1_11target_archE906ELNS1_3gpuE6ELNS1_3repE0EEENS1_30default_config_static_selectorELNS0_4arch9wavefront6targetE0EEEvT1_,@function
_ZN7rocprim17ROCPRIM_400000_NS6detail17trampoline_kernelINS0_14default_configENS1_27scan_by_key_config_selectorIssEEZZNS1_16scan_by_key_implILNS1_25lookback_scan_determinismE0ELb0ES3_N6thrust23THRUST_200600_302600_NS6detail15normal_iteratorINS9_10device_ptrIsEEEESE_SE_sNS9_4plusIvEENS9_8equal_toIvEEsEE10hipError_tPvRmT2_T3_T4_T5_mT6_T7_P12ihipStream_tbENKUlT_T0_E_clISt17integral_constantIbLb1EESZ_EEDaSU_SV_EUlSU_E_NS1_11comp_targetILNS1_3genE2ELNS1_11target_archE906ELNS1_3gpuE6ELNS1_3repE0EEENS1_30default_config_static_selectorELNS0_4arch9wavefront6targetE0EEEvT1_: ; @_ZN7rocprim17ROCPRIM_400000_NS6detail17trampoline_kernelINS0_14default_configENS1_27scan_by_key_config_selectorIssEEZZNS1_16scan_by_key_implILNS1_25lookback_scan_determinismE0ELb0ES3_N6thrust23THRUST_200600_302600_NS6detail15normal_iteratorINS9_10device_ptrIsEEEESE_SE_sNS9_4plusIvEENS9_8equal_toIvEEsEE10hipError_tPvRmT2_T3_T4_T5_mT6_T7_P12ihipStream_tbENKUlT_T0_E_clISt17integral_constantIbLb1EESZ_EEDaSU_SV_EUlSU_E_NS1_11comp_targetILNS1_3genE2ELNS1_11target_archE906ELNS1_3gpuE6ELNS1_3repE0EEENS1_30default_config_static_selectorELNS0_4arch9wavefront6targetE0EEEvT1_
; %bb.0:
	.section	.rodata,"a",@progbits
	.p2align	6, 0x0
	.amdhsa_kernel _ZN7rocprim17ROCPRIM_400000_NS6detail17trampoline_kernelINS0_14default_configENS1_27scan_by_key_config_selectorIssEEZZNS1_16scan_by_key_implILNS1_25lookback_scan_determinismE0ELb0ES3_N6thrust23THRUST_200600_302600_NS6detail15normal_iteratorINS9_10device_ptrIsEEEESE_SE_sNS9_4plusIvEENS9_8equal_toIvEEsEE10hipError_tPvRmT2_T3_T4_T5_mT6_T7_P12ihipStream_tbENKUlT_T0_E_clISt17integral_constantIbLb1EESZ_EEDaSU_SV_EUlSU_E_NS1_11comp_targetILNS1_3genE2ELNS1_11target_archE906ELNS1_3gpuE6ELNS1_3repE0EEENS1_30default_config_static_selectorELNS0_4arch9wavefront6targetE0EEEvT1_
		.amdhsa_group_segment_fixed_size 0
		.amdhsa_private_segment_fixed_size 0
		.amdhsa_kernarg_size 112
		.amdhsa_user_sgpr_count 2
		.amdhsa_user_sgpr_dispatch_ptr 0
		.amdhsa_user_sgpr_queue_ptr 0
		.amdhsa_user_sgpr_kernarg_segment_ptr 1
		.amdhsa_user_sgpr_dispatch_id 0
		.amdhsa_user_sgpr_kernarg_preload_length 0
		.amdhsa_user_sgpr_kernarg_preload_offset 0
		.amdhsa_user_sgpr_private_segment_size 0
		.amdhsa_wavefront_size32 1
		.amdhsa_uses_dynamic_stack 0
		.amdhsa_enable_private_segment 0
		.amdhsa_system_sgpr_workgroup_id_x 1
		.amdhsa_system_sgpr_workgroup_id_y 0
		.amdhsa_system_sgpr_workgroup_id_z 0
		.amdhsa_system_sgpr_workgroup_info 0
		.amdhsa_system_vgpr_workitem_id 0
		.amdhsa_next_free_vgpr 1
		.amdhsa_next_free_sgpr 1
		.amdhsa_named_barrier_count 0
		.amdhsa_reserve_vcc 0
		.amdhsa_float_round_mode_32 0
		.amdhsa_float_round_mode_16_64 0
		.amdhsa_float_denorm_mode_32 3
		.amdhsa_float_denorm_mode_16_64 3
		.amdhsa_fp16_overflow 0
		.amdhsa_memory_ordered 1
		.amdhsa_forward_progress 1
		.amdhsa_inst_pref_size 0
		.amdhsa_round_robin_scheduling 0
		.amdhsa_exception_fp_ieee_invalid_op 0
		.amdhsa_exception_fp_denorm_src 0
		.amdhsa_exception_fp_ieee_div_zero 0
		.amdhsa_exception_fp_ieee_overflow 0
		.amdhsa_exception_fp_ieee_underflow 0
		.amdhsa_exception_fp_ieee_inexact 0
		.amdhsa_exception_int_div_zero 0
	.end_amdhsa_kernel
	.section	.text._ZN7rocprim17ROCPRIM_400000_NS6detail17trampoline_kernelINS0_14default_configENS1_27scan_by_key_config_selectorIssEEZZNS1_16scan_by_key_implILNS1_25lookback_scan_determinismE0ELb0ES3_N6thrust23THRUST_200600_302600_NS6detail15normal_iteratorINS9_10device_ptrIsEEEESE_SE_sNS9_4plusIvEENS9_8equal_toIvEEsEE10hipError_tPvRmT2_T3_T4_T5_mT6_T7_P12ihipStream_tbENKUlT_T0_E_clISt17integral_constantIbLb1EESZ_EEDaSU_SV_EUlSU_E_NS1_11comp_targetILNS1_3genE2ELNS1_11target_archE906ELNS1_3gpuE6ELNS1_3repE0EEENS1_30default_config_static_selectorELNS0_4arch9wavefront6targetE0EEEvT1_,"axG",@progbits,_ZN7rocprim17ROCPRIM_400000_NS6detail17trampoline_kernelINS0_14default_configENS1_27scan_by_key_config_selectorIssEEZZNS1_16scan_by_key_implILNS1_25lookback_scan_determinismE0ELb0ES3_N6thrust23THRUST_200600_302600_NS6detail15normal_iteratorINS9_10device_ptrIsEEEESE_SE_sNS9_4plusIvEENS9_8equal_toIvEEsEE10hipError_tPvRmT2_T3_T4_T5_mT6_T7_P12ihipStream_tbENKUlT_T0_E_clISt17integral_constantIbLb1EESZ_EEDaSU_SV_EUlSU_E_NS1_11comp_targetILNS1_3genE2ELNS1_11target_archE906ELNS1_3gpuE6ELNS1_3repE0EEENS1_30default_config_static_selectorELNS0_4arch9wavefront6targetE0EEEvT1_,comdat
.Lfunc_end255:
	.size	_ZN7rocprim17ROCPRIM_400000_NS6detail17trampoline_kernelINS0_14default_configENS1_27scan_by_key_config_selectorIssEEZZNS1_16scan_by_key_implILNS1_25lookback_scan_determinismE0ELb0ES3_N6thrust23THRUST_200600_302600_NS6detail15normal_iteratorINS9_10device_ptrIsEEEESE_SE_sNS9_4plusIvEENS9_8equal_toIvEEsEE10hipError_tPvRmT2_T3_T4_T5_mT6_T7_P12ihipStream_tbENKUlT_T0_E_clISt17integral_constantIbLb1EESZ_EEDaSU_SV_EUlSU_E_NS1_11comp_targetILNS1_3genE2ELNS1_11target_archE906ELNS1_3gpuE6ELNS1_3repE0EEENS1_30default_config_static_selectorELNS0_4arch9wavefront6targetE0EEEvT1_, .Lfunc_end255-_ZN7rocprim17ROCPRIM_400000_NS6detail17trampoline_kernelINS0_14default_configENS1_27scan_by_key_config_selectorIssEEZZNS1_16scan_by_key_implILNS1_25lookback_scan_determinismE0ELb0ES3_N6thrust23THRUST_200600_302600_NS6detail15normal_iteratorINS9_10device_ptrIsEEEESE_SE_sNS9_4plusIvEENS9_8equal_toIvEEsEE10hipError_tPvRmT2_T3_T4_T5_mT6_T7_P12ihipStream_tbENKUlT_T0_E_clISt17integral_constantIbLb1EESZ_EEDaSU_SV_EUlSU_E_NS1_11comp_targetILNS1_3genE2ELNS1_11target_archE906ELNS1_3gpuE6ELNS1_3repE0EEENS1_30default_config_static_selectorELNS0_4arch9wavefront6targetE0EEEvT1_
                                        ; -- End function
	.set _ZN7rocprim17ROCPRIM_400000_NS6detail17trampoline_kernelINS0_14default_configENS1_27scan_by_key_config_selectorIssEEZZNS1_16scan_by_key_implILNS1_25lookback_scan_determinismE0ELb0ES3_N6thrust23THRUST_200600_302600_NS6detail15normal_iteratorINS9_10device_ptrIsEEEESE_SE_sNS9_4plusIvEENS9_8equal_toIvEEsEE10hipError_tPvRmT2_T3_T4_T5_mT6_T7_P12ihipStream_tbENKUlT_T0_E_clISt17integral_constantIbLb1EESZ_EEDaSU_SV_EUlSU_E_NS1_11comp_targetILNS1_3genE2ELNS1_11target_archE906ELNS1_3gpuE6ELNS1_3repE0EEENS1_30default_config_static_selectorELNS0_4arch9wavefront6targetE0EEEvT1_.num_vgpr, 0
	.set _ZN7rocprim17ROCPRIM_400000_NS6detail17trampoline_kernelINS0_14default_configENS1_27scan_by_key_config_selectorIssEEZZNS1_16scan_by_key_implILNS1_25lookback_scan_determinismE0ELb0ES3_N6thrust23THRUST_200600_302600_NS6detail15normal_iteratorINS9_10device_ptrIsEEEESE_SE_sNS9_4plusIvEENS9_8equal_toIvEEsEE10hipError_tPvRmT2_T3_T4_T5_mT6_T7_P12ihipStream_tbENKUlT_T0_E_clISt17integral_constantIbLb1EESZ_EEDaSU_SV_EUlSU_E_NS1_11comp_targetILNS1_3genE2ELNS1_11target_archE906ELNS1_3gpuE6ELNS1_3repE0EEENS1_30default_config_static_selectorELNS0_4arch9wavefront6targetE0EEEvT1_.num_agpr, 0
	.set _ZN7rocprim17ROCPRIM_400000_NS6detail17trampoline_kernelINS0_14default_configENS1_27scan_by_key_config_selectorIssEEZZNS1_16scan_by_key_implILNS1_25lookback_scan_determinismE0ELb0ES3_N6thrust23THRUST_200600_302600_NS6detail15normal_iteratorINS9_10device_ptrIsEEEESE_SE_sNS9_4plusIvEENS9_8equal_toIvEEsEE10hipError_tPvRmT2_T3_T4_T5_mT6_T7_P12ihipStream_tbENKUlT_T0_E_clISt17integral_constantIbLb1EESZ_EEDaSU_SV_EUlSU_E_NS1_11comp_targetILNS1_3genE2ELNS1_11target_archE906ELNS1_3gpuE6ELNS1_3repE0EEENS1_30default_config_static_selectorELNS0_4arch9wavefront6targetE0EEEvT1_.numbered_sgpr, 0
	.set _ZN7rocprim17ROCPRIM_400000_NS6detail17trampoline_kernelINS0_14default_configENS1_27scan_by_key_config_selectorIssEEZZNS1_16scan_by_key_implILNS1_25lookback_scan_determinismE0ELb0ES3_N6thrust23THRUST_200600_302600_NS6detail15normal_iteratorINS9_10device_ptrIsEEEESE_SE_sNS9_4plusIvEENS9_8equal_toIvEEsEE10hipError_tPvRmT2_T3_T4_T5_mT6_T7_P12ihipStream_tbENKUlT_T0_E_clISt17integral_constantIbLb1EESZ_EEDaSU_SV_EUlSU_E_NS1_11comp_targetILNS1_3genE2ELNS1_11target_archE906ELNS1_3gpuE6ELNS1_3repE0EEENS1_30default_config_static_selectorELNS0_4arch9wavefront6targetE0EEEvT1_.num_named_barrier, 0
	.set _ZN7rocprim17ROCPRIM_400000_NS6detail17trampoline_kernelINS0_14default_configENS1_27scan_by_key_config_selectorIssEEZZNS1_16scan_by_key_implILNS1_25lookback_scan_determinismE0ELb0ES3_N6thrust23THRUST_200600_302600_NS6detail15normal_iteratorINS9_10device_ptrIsEEEESE_SE_sNS9_4plusIvEENS9_8equal_toIvEEsEE10hipError_tPvRmT2_T3_T4_T5_mT6_T7_P12ihipStream_tbENKUlT_T0_E_clISt17integral_constantIbLb1EESZ_EEDaSU_SV_EUlSU_E_NS1_11comp_targetILNS1_3genE2ELNS1_11target_archE906ELNS1_3gpuE6ELNS1_3repE0EEENS1_30default_config_static_selectorELNS0_4arch9wavefront6targetE0EEEvT1_.private_seg_size, 0
	.set _ZN7rocprim17ROCPRIM_400000_NS6detail17trampoline_kernelINS0_14default_configENS1_27scan_by_key_config_selectorIssEEZZNS1_16scan_by_key_implILNS1_25lookback_scan_determinismE0ELb0ES3_N6thrust23THRUST_200600_302600_NS6detail15normal_iteratorINS9_10device_ptrIsEEEESE_SE_sNS9_4plusIvEENS9_8equal_toIvEEsEE10hipError_tPvRmT2_T3_T4_T5_mT6_T7_P12ihipStream_tbENKUlT_T0_E_clISt17integral_constantIbLb1EESZ_EEDaSU_SV_EUlSU_E_NS1_11comp_targetILNS1_3genE2ELNS1_11target_archE906ELNS1_3gpuE6ELNS1_3repE0EEENS1_30default_config_static_selectorELNS0_4arch9wavefront6targetE0EEEvT1_.uses_vcc, 0
	.set _ZN7rocprim17ROCPRIM_400000_NS6detail17trampoline_kernelINS0_14default_configENS1_27scan_by_key_config_selectorIssEEZZNS1_16scan_by_key_implILNS1_25lookback_scan_determinismE0ELb0ES3_N6thrust23THRUST_200600_302600_NS6detail15normal_iteratorINS9_10device_ptrIsEEEESE_SE_sNS9_4plusIvEENS9_8equal_toIvEEsEE10hipError_tPvRmT2_T3_T4_T5_mT6_T7_P12ihipStream_tbENKUlT_T0_E_clISt17integral_constantIbLb1EESZ_EEDaSU_SV_EUlSU_E_NS1_11comp_targetILNS1_3genE2ELNS1_11target_archE906ELNS1_3gpuE6ELNS1_3repE0EEENS1_30default_config_static_selectorELNS0_4arch9wavefront6targetE0EEEvT1_.uses_flat_scratch, 0
	.set _ZN7rocprim17ROCPRIM_400000_NS6detail17trampoline_kernelINS0_14default_configENS1_27scan_by_key_config_selectorIssEEZZNS1_16scan_by_key_implILNS1_25lookback_scan_determinismE0ELb0ES3_N6thrust23THRUST_200600_302600_NS6detail15normal_iteratorINS9_10device_ptrIsEEEESE_SE_sNS9_4plusIvEENS9_8equal_toIvEEsEE10hipError_tPvRmT2_T3_T4_T5_mT6_T7_P12ihipStream_tbENKUlT_T0_E_clISt17integral_constantIbLb1EESZ_EEDaSU_SV_EUlSU_E_NS1_11comp_targetILNS1_3genE2ELNS1_11target_archE906ELNS1_3gpuE6ELNS1_3repE0EEENS1_30default_config_static_selectorELNS0_4arch9wavefront6targetE0EEEvT1_.has_dyn_sized_stack, 0
	.set _ZN7rocprim17ROCPRIM_400000_NS6detail17trampoline_kernelINS0_14default_configENS1_27scan_by_key_config_selectorIssEEZZNS1_16scan_by_key_implILNS1_25lookback_scan_determinismE0ELb0ES3_N6thrust23THRUST_200600_302600_NS6detail15normal_iteratorINS9_10device_ptrIsEEEESE_SE_sNS9_4plusIvEENS9_8equal_toIvEEsEE10hipError_tPvRmT2_T3_T4_T5_mT6_T7_P12ihipStream_tbENKUlT_T0_E_clISt17integral_constantIbLb1EESZ_EEDaSU_SV_EUlSU_E_NS1_11comp_targetILNS1_3genE2ELNS1_11target_archE906ELNS1_3gpuE6ELNS1_3repE0EEENS1_30default_config_static_selectorELNS0_4arch9wavefront6targetE0EEEvT1_.has_recursion, 0
	.set _ZN7rocprim17ROCPRIM_400000_NS6detail17trampoline_kernelINS0_14default_configENS1_27scan_by_key_config_selectorIssEEZZNS1_16scan_by_key_implILNS1_25lookback_scan_determinismE0ELb0ES3_N6thrust23THRUST_200600_302600_NS6detail15normal_iteratorINS9_10device_ptrIsEEEESE_SE_sNS9_4plusIvEENS9_8equal_toIvEEsEE10hipError_tPvRmT2_T3_T4_T5_mT6_T7_P12ihipStream_tbENKUlT_T0_E_clISt17integral_constantIbLb1EESZ_EEDaSU_SV_EUlSU_E_NS1_11comp_targetILNS1_3genE2ELNS1_11target_archE906ELNS1_3gpuE6ELNS1_3repE0EEENS1_30default_config_static_selectorELNS0_4arch9wavefront6targetE0EEEvT1_.has_indirect_call, 0
	.section	.AMDGPU.csdata,"",@progbits
; Kernel info:
; codeLenInByte = 0
; TotalNumSgprs: 0
; NumVgprs: 0
; ScratchSize: 0
; MemoryBound: 0
; FloatMode: 240
; IeeeMode: 1
; LDSByteSize: 0 bytes/workgroup (compile time only)
; SGPRBlocks: 0
; VGPRBlocks: 0
; NumSGPRsForWavesPerEU: 1
; NumVGPRsForWavesPerEU: 1
; NamedBarCnt: 0
; Occupancy: 16
; WaveLimiterHint : 0
; COMPUTE_PGM_RSRC2:SCRATCH_EN: 0
; COMPUTE_PGM_RSRC2:USER_SGPR: 2
; COMPUTE_PGM_RSRC2:TRAP_HANDLER: 0
; COMPUTE_PGM_RSRC2:TGID_X_EN: 1
; COMPUTE_PGM_RSRC2:TGID_Y_EN: 0
; COMPUTE_PGM_RSRC2:TGID_Z_EN: 0
; COMPUTE_PGM_RSRC2:TIDIG_COMP_CNT: 0
	.section	.text._ZN7rocprim17ROCPRIM_400000_NS6detail17trampoline_kernelINS0_14default_configENS1_27scan_by_key_config_selectorIssEEZZNS1_16scan_by_key_implILNS1_25lookback_scan_determinismE0ELb0ES3_N6thrust23THRUST_200600_302600_NS6detail15normal_iteratorINS9_10device_ptrIsEEEESE_SE_sNS9_4plusIvEENS9_8equal_toIvEEsEE10hipError_tPvRmT2_T3_T4_T5_mT6_T7_P12ihipStream_tbENKUlT_T0_E_clISt17integral_constantIbLb1EESZ_EEDaSU_SV_EUlSU_E_NS1_11comp_targetILNS1_3genE10ELNS1_11target_archE1200ELNS1_3gpuE4ELNS1_3repE0EEENS1_30default_config_static_selectorELNS0_4arch9wavefront6targetE0EEEvT1_,"axG",@progbits,_ZN7rocprim17ROCPRIM_400000_NS6detail17trampoline_kernelINS0_14default_configENS1_27scan_by_key_config_selectorIssEEZZNS1_16scan_by_key_implILNS1_25lookback_scan_determinismE0ELb0ES3_N6thrust23THRUST_200600_302600_NS6detail15normal_iteratorINS9_10device_ptrIsEEEESE_SE_sNS9_4plusIvEENS9_8equal_toIvEEsEE10hipError_tPvRmT2_T3_T4_T5_mT6_T7_P12ihipStream_tbENKUlT_T0_E_clISt17integral_constantIbLb1EESZ_EEDaSU_SV_EUlSU_E_NS1_11comp_targetILNS1_3genE10ELNS1_11target_archE1200ELNS1_3gpuE4ELNS1_3repE0EEENS1_30default_config_static_selectorELNS0_4arch9wavefront6targetE0EEEvT1_,comdat
	.protected	_ZN7rocprim17ROCPRIM_400000_NS6detail17trampoline_kernelINS0_14default_configENS1_27scan_by_key_config_selectorIssEEZZNS1_16scan_by_key_implILNS1_25lookback_scan_determinismE0ELb0ES3_N6thrust23THRUST_200600_302600_NS6detail15normal_iteratorINS9_10device_ptrIsEEEESE_SE_sNS9_4plusIvEENS9_8equal_toIvEEsEE10hipError_tPvRmT2_T3_T4_T5_mT6_T7_P12ihipStream_tbENKUlT_T0_E_clISt17integral_constantIbLb1EESZ_EEDaSU_SV_EUlSU_E_NS1_11comp_targetILNS1_3genE10ELNS1_11target_archE1200ELNS1_3gpuE4ELNS1_3repE0EEENS1_30default_config_static_selectorELNS0_4arch9wavefront6targetE0EEEvT1_ ; -- Begin function _ZN7rocprim17ROCPRIM_400000_NS6detail17trampoline_kernelINS0_14default_configENS1_27scan_by_key_config_selectorIssEEZZNS1_16scan_by_key_implILNS1_25lookback_scan_determinismE0ELb0ES3_N6thrust23THRUST_200600_302600_NS6detail15normal_iteratorINS9_10device_ptrIsEEEESE_SE_sNS9_4plusIvEENS9_8equal_toIvEEsEE10hipError_tPvRmT2_T3_T4_T5_mT6_T7_P12ihipStream_tbENKUlT_T0_E_clISt17integral_constantIbLb1EESZ_EEDaSU_SV_EUlSU_E_NS1_11comp_targetILNS1_3genE10ELNS1_11target_archE1200ELNS1_3gpuE4ELNS1_3repE0EEENS1_30default_config_static_selectorELNS0_4arch9wavefront6targetE0EEEvT1_
	.globl	_ZN7rocprim17ROCPRIM_400000_NS6detail17trampoline_kernelINS0_14default_configENS1_27scan_by_key_config_selectorIssEEZZNS1_16scan_by_key_implILNS1_25lookback_scan_determinismE0ELb0ES3_N6thrust23THRUST_200600_302600_NS6detail15normal_iteratorINS9_10device_ptrIsEEEESE_SE_sNS9_4plusIvEENS9_8equal_toIvEEsEE10hipError_tPvRmT2_T3_T4_T5_mT6_T7_P12ihipStream_tbENKUlT_T0_E_clISt17integral_constantIbLb1EESZ_EEDaSU_SV_EUlSU_E_NS1_11comp_targetILNS1_3genE10ELNS1_11target_archE1200ELNS1_3gpuE4ELNS1_3repE0EEENS1_30default_config_static_selectorELNS0_4arch9wavefront6targetE0EEEvT1_
	.p2align	8
	.type	_ZN7rocprim17ROCPRIM_400000_NS6detail17trampoline_kernelINS0_14default_configENS1_27scan_by_key_config_selectorIssEEZZNS1_16scan_by_key_implILNS1_25lookback_scan_determinismE0ELb0ES3_N6thrust23THRUST_200600_302600_NS6detail15normal_iteratorINS9_10device_ptrIsEEEESE_SE_sNS9_4plusIvEENS9_8equal_toIvEEsEE10hipError_tPvRmT2_T3_T4_T5_mT6_T7_P12ihipStream_tbENKUlT_T0_E_clISt17integral_constantIbLb1EESZ_EEDaSU_SV_EUlSU_E_NS1_11comp_targetILNS1_3genE10ELNS1_11target_archE1200ELNS1_3gpuE4ELNS1_3repE0EEENS1_30default_config_static_selectorELNS0_4arch9wavefront6targetE0EEEvT1_,@function
_ZN7rocprim17ROCPRIM_400000_NS6detail17trampoline_kernelINS0_14default_configENS1_27scan_by_key_config_selectorIssEEZZNS1_16scan_by_key_implILNS1_25lookback_scan_determinismE0ELb0ES3_N6thrust23THRUST_200600_302600_NS6detail15normal_iteratorINS9_10device_ptrIsEEEESE_SE_sNS9_4plusIvEENS9_8equal_toIvEEsEE10hipError_tPvRmT2_T3_T4_T5_mT6_T7_P12ihipStream_tbENKUlT_T0_E_clISt17integral_constantIbLb1EESZ_EEDaSU_SV_EUlSU_E_NS1_11comp_targetILNS1_3genE10ELNS1_11target_archE1200ELNS1_3gpuE4ELNS1_3repE0EEENS1_30default_config_static_selectorELNS0_4arch9wavefront6targetE0EEEvT1_: ; @_ZN7rocprim17ROCPRIM_400000_NS6detail17trampoline_kernelINS0_14default_configENS1_27scan_by_key_config_selectorIssEEZZNS1_16scan_by_key_implILNS1_25lookback_scan_determinismE0ELb0ES3_N6thrust23THRUST_200600_302600_NS6detail15normal_iteratorINS9_10device_ptrIsEEEESE_SE_sNS9_4plusIvEENS9_8equal_toIvEEsEE10hipError_tPvRmT2_T3_T4_T5_mT6_T7_P12ihipStream_tbENKUlT_T0_E_clISt17integral_constantIbLb1EESZ_EEDaSU_SV_EUlSU_E_NS1_11comp_targetILNS1_3genE10ELNS1_11target_archE1200ELNS1_3gpuE4ELNS1_3repE0EEENS1_30default_config_static_selectorELNS0_4arch9wavefront6targetE0EEEvT1_
; %bb.0:
	.section	.rodata,"a",@progbits
	.p2align	6, 0x0
	.amdhsa_kernel _ZN7rocprim17ROCPRIM_400000_NS6detail17trampoline_kernelINS0_14default_configENS1_27scan_by_key_config_selectorIssEEZZNS1_16scan_by_key_implILNS1_25lookback_scan_determinismE0ELb0ES3_N6thrust23THRUST_200600_302600_NS6detail15normal_iteratorINS9_10device_ptrIsEEEESE_SE_sNS9_4plusIvEENS9_8equal_toIvEEsEE10hipError_tPvRmT2_T3_T4_T5_mT6_T7_P12ihipStream_tbENKUlT_T0_E_clISt17integral_constantIbLb1EESZ_EEDaSU_SV_EUlSU_E_NS1_11comp_targetILNS1_3genE10ELNS1_11target_archE1200ELNS1_3gpuE4ELNS1_3repE0EEENS1_30default_config_static_selectorELNS0_4arch9wavefront6targetE0EEEvT1_
		.amdhsa_group_segment_fixed_size 0
		.amdhsa_private_segment_fixed_size 0
		.amdhsa_kernarg_size 112
		.amdhsa_user_sgpr_count 2
		.amdhsa_user_sgpr_dispatch_ptr 0
		.amdhsa_user_sgpr_queue_ptr 0
		.amdhsa_user_sgpr_kernarg_segment_ptr 1
		.amdhsa_user_sgpr_dispatch_id 0
		.amdhsa_user_sgpr_kernarg_preload_length 0
		.amdhsa_user_sgpr_kernarg_preload_offset 0
		.amdhsa_user_sgpr_private_segment_size 0
		.amdhsa_wavefront_size32 1
		.amdhsa_uses_dynamic_stack 0
		.amdhsa_enable_private_segment 0
		.amdhsa_system_sgpr_workgroup_id_x 1
		.amdhsa_system_sgpr_workgroup_id_y 0
		.amdhsa_system_sgpr_workgroup_id_z 0
		.amdhsa_system_sgpr_workgroup_info 0
		.amdhsa_system_vgpr_workitem_id 0
		.amdhsa_next_free_vgpr 1
		.amdhsa_next_free_sgpr 1
		.amdhsa_named_barrier_count 0
		.amdhsa_reserve_vcc 0
		.amdhsa_float_round_mode_32 0
		.amdhsa_float_round_mode_16_64 0
		.amdhsa_float_denorm_mode_32 3
		.amdhsa_float_denorm_mode_16_64 3
		.amdhsa_fp16_overflow 0
		.amdhsa_memory_ordered 1
		.amdhsa_forward_progress 1
		.amdhsa_inst_pref_size 0
		.amdhsa_round_robin_scheduling 0
		.amdhsa_exception_fp_ieee_invalid_op 0
		.amdhsa_exception_fp_denorm_src 0
		.amdhsa_exception_fp_ieee_div_zero 0
		.amdhsa_exception_fp_ieee_overflow 0
		.amdhsa_exception_fp_ieee_underflow 0
		.amdhsa_exception_fp_ieee_inexact 0
		.amdhsa_exception_int_div_zero 0
	.end_amdhsa_kernel
	.section	.text._ZN7rocprim17ROCPRIM_400000_NS6detail17trampoline_kernelINS0_14default_configENS1_27scan_by_key_config_selectorIssEEZZNS1_16scan_by_key_implILNS1_25lookback_scan_determinismE0ELb0ES3_N6thrust23THRUST_200600_302600_NS6detail15normal_iteratorINS9_10device_ptrIsEEEESE_SE_sNS9_4plusIvEENS9_8equal_toIvEEsEE10hipError_tPvRmT2_T3_T4_T5_mT6_T7_P12ihipStream_tbENKUlT_T0_E_clISt17integral_constantIbLb1EESZ_EEDaSU_SV_EUlSU_E_NS1_11comp_targetILNS1_3genE10ELNS1_11target_archE1200ELNS1_3gpuE4ELNS1_3repE0EEENS1_30default_config_static_selectorELNS0_4arch9wavefront6targetE0EEEvT1_,"axG",@progbits,_ZN7rocprim17ROCPRIM_400000_NS6detail17trampoline_kernelINS0_14default_configENS1_27scan_by_key_config_selectorIssEEZZNS1_16scan_by_key_implILNS1_25lookback_scan_determinismE0ELb0ES3_N6thrust23THRUST_200600_302600_NS6detail15normal_iteratorINS9_10device_ptrIsEEEESE_SE_sNS9_4plusIvEENS9_8equal_toIvEEsEE10hipError_tPvRmT2_T3_T4_T5_mT6_T7_P12ihipStream_tbENKUlT_T0_E_clISt17integral_constantIbLb1EESZ_EEDaSU_SV_EUlSU_E_NS1_11comp_targetILNS1_3genE10ELNS1_11target_archE1200ELNS1_3gpuE4ELNS1_3repE0EEENS1_30default_config_static_selectorELNS0_4arch9wavefront6targetE0EEEvT1_,comdat
.Lfunc_end256:
	.size	_ZN7rocprim17ROCPRIM_400000_NS6detail17trampoline_kernelINS0_14default_configENS1_27scan_by_key_config_selectorIssEEZZNS1_16scan_by_key_implILNS1_25lookback_scan_determinismE0ELb0ES3_N6thrust23THRUST_200600_302600_NS6detail15normal_iteratorINS9_10device_ptrIsEEEESE_SE_sNS9_4plusIvEENS9_8equal_toIvEEsEE10hipError_tPvRmT2_T3_T4_T5_mT6_T7_P12ihipStream_tbENKUlT_T0_E_clISt17integral_constantIbLb1EESZ_EEDaSU_SV_EUlSU_E_NS1_11comp_targetILNS1_3genE10ELNS1_11target_archE1200ELNS1_3gpuE4ELNS1_3repE0EEENS1_30default_config_static_selectorELNS0_4arch9wavefront6targetE0EEEvT1_, .Lfunc_end256-_ZN7rocprim17ROCPRIM_400000_NS6detail17trampoline_kernelINS0_14default_configENS1_27scan_by_key_config_selectorIssEEZZNS1_16scan_by_key_implILNS1_25lookback_scan_determinismE0ELb0ES3_N6thrust23THRUST_200600_302600_NS6detail15normal_iteratorINS9_10device_ptrIsEEEESE_SE_sNS9_4plusIvEENS9_8equal_toIvEEsEE10hipError_tPvRmT2_T3_T4_T5_mT6_T7_P12ihipStream_tbENKUlT_T0_E_clISt17integral_constantIbLb1EESZ_EEDaSU_SV_EUlSU_E_NS1_11comp_targetILNS1_3genE10ELNS1_11target_archE1200ELNS1_3gpuE4ELNS1_3repE0EEENS1_30default_config_static_selectorELNS0_4arch9wavefront6targetE0EEEvT1_
                                        ; -- End function
	.set _ZN7rocprim17ROCPRIM_400000_NS6detail17trampoline_kernelINS0_14default_configENS1_27scan_by_key_config_selectorIssEEZZNS1_16scan_by_key_implILNS1_25lookback_scan_determinismE0ELb0ES3_N6thrust23THRUST_200600_302600_NS6detail15normal_iteratorINS9_10device_ptrIsEEEESE_SE_sNS9_4plusIvEENS9_8equal_toIvEEsEE10hipError_tPvRmT2_T3_T4_T5_mT6_T7_P12ihipStream_tbENKUlT_T0_E_clISt17integral_constantIbLb1EESZ_EEDaSU_SV_EUlSU_E_NS1_11comp_targetILNS1_3genE10ELNS1_11target_archE1200ELNS1_3gpuE4ELNS1_3repE0EEENS1_30default_config_static_selectorELNS0_4arch9wavefront6targetE0EEEvT1_.num_vgpr, 0
	.set _ZN7rocprim17ROCPRIM_400000_NS6detail17trampoline_kernelINS0_14default_configENS1_27scan_by_key_config_selectorIssEEZZNS1_16scan_by_key_implILNS1_25lookback_scan_determinismE0ELb0ES3_N6thrust23THRUST_200600_302600_NS6detail15normal_iteratorINS9_10device_ptrIsEEEESE_SE_sNS9_4plusIvEENS9_8equal_toIvEEsEE10hipError_tPvRmT2_T3_T4_T5_mT6_T7_P12ihipStream_tbENKUlT_T0_E_clISt17integral_constantIbLb1EESZ_EEDaSU_SV_EUlSU_E_NS1_11comp_targetILNS1_3genE10ELNS1_11target_archE1200ELNS1_3gpuE4ELNS1_3repE0EEENS1_30default_config_static_selectorELNS0_4arch9wavefront6targetE0EEEvT1_.num_agpr, 0
	.set _ZN7rocprim17ROCPRIM_400000_NS6detail17trampoline_kernelINS0_14default_configENS1_27scan_by_key_config_selectorIssEEZZNS1_16scan_by_key_implILNS1_25lookback_scan_determinismE0ELb0ES3_N6thrust23THRUST_200600_302600_NS6detail15normal_iteratorINS9_10device_ptrIsEEEESE_SE_sNS9_4plusIvEENS9_8equal_toIvEEsEE10hipError_tPvRmT2_T3_T4_T5_mT6_T7_P12ihipStream_tbENKUlT_T0_E_clISt17integral_constantIbLb1EESZ_EEDaSU_SV_EUlSU_E_NS1_11comp_targetILNS1_3genE10ELNS1_11target_archE1200ELNS1_3gpuE4ELNS1_3repE0EEENS1_30default_config_static_selectorELNS0_4arch9wavefront6targetE0EEEvT1_.numbered_sgpr, 0
	.set _ZN7rocprim17ROCPRIM_400000_NS6detail17trampoline_kernelINS0_14default_configENS1_27scan_by_key_config_selectorIssEEZZNS1_16scan_by_key_implILNS1_25lookback_scan_determinismE0ELb0ES3_N6thrust23THRUST_200600_302600_NS6detail15normal_iteratorINS9_10device_ptrIsEEEESE_SE_sNS9_4plusIvEENS9_8equal_toIvEEsEE10hipError_tPvRmT2_T3_T4_T5_mT6_T7_P12ihipStream_tbENKUlT_T0_E_clISt17integral_constantIbLb1EESZ_EEDaSU_SV_EUlSU_E_NS1_11comp_targetILNS1_3genE10ELNS1_11target_archE1200ELNS1_3gpuE4ELNS1_3repE0EEENS1_30default_config_static_selectorELNS0_4arch9wavefront6targetE0EEEvT1_.num_named_barrier, 0
	.set _ZN7rocprim17ROCPRIM_400000_NS6detail17trampoline_kernelINS0_14default_configENS1_27scan_by_key_config_selectorIssEEZZNS1_16scan_by_key_implILNS1_25lookback_scan_determinismE0ELb0ES3_N6thrust23THRUST_200600_302600_NS6detail15normal_iteratorINS9_10device_ptrIsEEEESE_SE_sNS9_4plusIvEENS9_8equal_toIvEEsEE10hipError_tPvRmT2_T3_T4_T5_mT6_T7_P12ihipStream_tbENKUlT_T0_E_clISt17integral_constantIbLb1EESZ_EEDaSU_SV_EUlSU_E_NS1_11comp_targetILNS1_3genE10ELNS1_11target_archE1200ELNS1_3gpuE4ELNS1_3repE0EEENS1_30default_config_static_selectorELNS0_4arch9wavefront6targetE0EEEvT1_.private_seg_size, 0
	.set _ZN7rocprim17ROCPRIM_400000_NS6detail17trampoline_kernelINS0_14default_configENS1_27scan_by_key_config_selectorIssEEZZNS1_16scan_by_key_implILNS1_25lookback_scan_determinismE0ELb0ES3_N6thrust23THRUST_200600_302600_NS6detail15normal_iteratorINS9_10device_ptrIsEEEESE_SE_sNS9_4plusIvEENS9_8equal_toIvEEsEE10hipError_tPvRmT2_T3_T4_T5_mT6_T7_P12ihipStream_tbENKUlT_T0_E_clISt17integral_constantIbLb1EESZ_EEDaSU_SV_EUlSU_E_NS1_11comp_targetILNS1_3genE10ELNS1_11target_archE1200ELNS1_3gpuE4ELNS1_3repE0EEENS1_30default_config_static_selectorELNS0_4arch9wavefront6targetE0EEEvT1_.uses_vcc, 0
	.set _ZN7rocprim17ROCPRIM_400000_NS6detail17trampoline_kernelINS0_14default_configENS1_27scan_by_key_config_selectorIssEEZZNS1_16scan_by_key_implILNS1_25lookback_scan_determinismE0ELb0ES3_N6thrust23THRUST_200600_302600_NS6detail15normal_iteratorINS9_10device_ptrIsEEEESE_SE_sNS9_4plusIvEENS9_8equal_toIvEEsEE10hipError_tPvRmT2_T3_T4_T5_mT6_T7_P12ihipStream_tbENKUlT_T0_E_clISt17integral_constantIbLb1EESZ_EEDaSU_SV_EUlSU_E_NS1_11comp_targetILNS1_3genE10ELNS1_11target_archE1200ELNS1_3gpuE4ELNS1_3repE0EEENS1_30default_config_static_selectorELNS0_4arch9wavefront6targetE0EEEvT1_.uses_flat_scratch, 0
	.set _ZN7rocprim17ROCPRIM_400000_NS6detail17trampoline_kernelINS0_14default_configENS1_27scan_by_key_config_selectorIssEEZZNS1_16scan_by_key_implILNS1_25lookback_scan_determinismE0ELb0ES3_N6thrust23THRUST_200600_302600_NS6detail15normal_iteratorINS9_10device_ptrIsEEEESE_SE_sNS9_4plusIvEENS9_8equal_toIvEEsEE10hipError_tPvRmT2_T3_T4_T5_mT6_T7_P12ihipStream_tbENKUlT_T0_E_clISt17integral_constantIbLb1EESZ_EEDaSU_SV_EUlSU_E_NS1_11comp_targetILNS1_3genE10ELNS1_11target_archE1200ELNS1_3gpuE4ELNS1_3repE0EEENS1_30default_config_static_selectorELNS0_4arch9wavefront6targetE0EEEvT1_.has_dyn_sized_stack, 0
	.set _ZN7rocprim17ROCPRIM_400000_NS6detail17trampoline_kernelINS0_14default_configENS1_27scan_by_key_config_selectorIssEEZZNS1_16scan_by_key_implILNS1_25lookback_scan_determinismE0ELb0ES3_N6thrust23THRUST_200600_302600_NS6detail15normal_iteratorINS9_10device_ptrIsEEEESE_SE_sNS9_4plusIvEENS9_8equal_toIvEEsEE10hipError_tPvRmT2_T3_T4_T5_mT6_T7_P12ihipStream_tbENKUlT_T0_E_clISt17integral_constantIbLb1EESZ_EEDaSU_SV_EUlSU_E_NS1_11comp_targetILNS1_3genE10ELNS1_11target_archE1200ELNS1_3gpuE4ELNS1_3repE0EEENS1_30default_config_static_selectorELNS0_4arch9wavefront6targetE0EEEvT1_.has_recursion, 0
	.set _ZN7rocprim17ROCPRIM_400000_NS6detail17trampoline_kernelINS0_14default_configENS1_27scan_by_key_config_selectorIssEEZZNS1_16scan_by_key_implILNS1_25lookback_scan_determinismE0ELb0ES3_N6thrust23THRUST_200600_302600_NS6detail15normal_iteratorINS9_10device_ptrIsEEEESE_SE_sNS9_4plusIvEENS9_8equal_toIvEEsEE10hipError_tPvRmT2_T3_T4_T5_mT6_T7_P12ihipStream_tbENKUlT_T0_E_clISt17integral_constantIbLb1EESZ_EEDaSU_SV_EUlSU_E_NS1_11comp_targetILNS1_3genE10ELNS1_11target_archE1200ELNS1_3gpuE4ELNS1_3repE0EEENS1_30default_config_static_selectorELNS0_4arch9wavefront6targetE0EEEvT1_.has_indirect_call, 0
	.section	.AMDGPU.csdata,"",@progbits
; Kernel info:
; codeLenInByte = 0
; TotalNumSgprs: 0
; NumVgprs: 0
; ScratchSize: 0
; MemoryBound: 0
; FloatMode: 240
; IeeeMode: 1
; LDSByteSize: 0 bytes/workgroup (compile time only)
; SGPRBlocks: 0
; VGPRBlocks: 0
; NumSGPRsForWavesPerEU: 1
; NumVGPRsForWavesPerEU: 1
; NamedBarCnt: 0
; Occupancy: 16
; WaveLimiterHint : 0
; COMPUTE_PGM_RSRC2:SCRATCH_EN: 0
; COMPUTE_PGM_RSRC2:USER_SGPR: 2
; COMPUTE_PGM_RSRC2:TRAP_HANDLER: 0
; COMPUTE_PGM_RSRC2:TGID_X_EN: 1
; COMPUTE_PGM_RSRC2:TGID_Y_EN: 0
; COMPUTE_PGM_RSRC2:TGID_Z_EN: 0
; COMPUTE_PGM_RSRC2:TIDIG_COMP_CNT: 0
	.section	.text._ZN7rocprim17ROCPRIM_400000_NS6detail17trampoline_kernelINS0_14default_configENS1_27scan_by_key_config_selectorIssEEZZNS1_16scan_by_key_implILNS1_25lookback_scan_determinismE0ELb0ES3_N6thrust23THRUST_200600_302600_NS6detail15normal_iteratorINS9_10device_ptrIsEEEESE_SE_sNS9_4plusIvEENS9_8equal_toIvEEsEE10hipError_tPvRmT2_T3_T4_T5_mT6_T7_P12ihipStream_tbENKUlT_T0_E_clISt17integral_constantIbLb1EESZ_EEDaSU_SV_EUlSU_E_NS1_11comp_targetILNS1_3genE9ELNS1_11target_archE1100ELNS1_3gpuE3ELNS1_3repE0EEENS1_30default_config_static_selectorELNS0_4arch9wavefront6targetE0EEEvT1_,"axG",@progbits,_ZN7rocprim17ROCPRIM_400000_NS6detail17trampoline_kernelINS0_14default_configENS1_27scan_by_key_config_selectorIssEEZZNS1_16scan_by_key_implILNS1_25lookback_scan_determinismE0ELb0ES3_N6thrust23THRUST_200600_302600_NS6detail15normal_iteratorINS9_10device_ptrIsEEEESE_SE_sNS9_4plusIvEENS9_8equal_toIvEEsEE10hipError_tPvRmT2_T3_T4_T5_mT6_T7_P12ihipStream_tbENKUlT_T0_E_clISt17integral_constantIbLb1EESZ_EEDaSU_SV_EUlSU_E_NS1_11comp_targetILNS1_3genE9ELNS1_11target_archE1100ELNS1_3gpuE3ELNS1_3repE0EEENS1_30default_config_static_selectorELNS0_4arch9wavefront6targetE0EEEvT1_,comdat
	.protected	_ZN7rocprim17ROCPRIM_400000_NS6detail17trampoline_kernelINS0_14default_configENS1_27scan_by_key_config_selectorIssEEZZNS1_16scan_by_key_implILNS1_25lookback_scan_determinismE0ELb0ES3_N6thrust23THRUST_200600_302600_NS6detail15normal_iteratorINS9_10device_ptrIsEEEESE_SE_sNS9_4plusIvEENS9_8equal_toIvEEsEE10hipError_tPvRmT2_T3_T4_T5_mT6_T7_P12ihipStream_tbENKUlT_T0_E_clISt17integral_constantIbLb1EESZ_EEDaSU_SV_EUlSU_E_NS1_11comp_targetILNS1_3genE9ELNS1_11target_archE1100ELNS1_3gpuE3ELNS1_3repE0EEENS1_30default_config_static_selectorELNS0_4arch9wavefront6targetE0EEEvT1_ ; -- Begin function _ZN7rocprim17ROCPRIM_400000_NS6detail17trampoline_kernelINS0_14default_configENS1_27scan_by_key_config_selectorIssEEZZNS1_16scan_by_key_implILNS1_25lookback_scan_determinismE0ELb0ES3_N6thrust23THRUST_200600_302600_NS6detail15normal_iteratorINS9_10device_ptrIsEEEESE_SE_sNS9_4plusIvEENS9_8equal_toIvEEsEE10hipError_tPvRmT2_T3_T4_T5_mT6_T7_P12ihipStream_tbENKUlT_T0_E_clISt17integral_constantIbLb1EESZ_EEDaSU_SV_EUlSU_E_NS1_11comp_targetILNS1_3genE9ELNS1_11target_archE1100ELNS1_3gpuE3ELNS1_3repE0EEENS1_30default_config_static_selectorELNS0_4arch9wavefront6targetE0EEEvT1_
	.globl	_ZN7rocprim17ROCPRIM_400000_NS6detail17trampoline_kernelINS0_14default_configENS1_27scan_by_key_config_selectorIssEEZZNS1_16scan_by_key_implILNS1_25lookback_scan_determinismE0ELb0ES3_N6thrust23THRUST_200600_302600_NS6detail15normal_iteratorINS9_10device_ptrIsEEEESE_SE_sNS9_4plusIvEENS9_8equal_toIvEEsEE10hipError_tPvRmT2_T3_T4_T5_mT6_T7_P12ihipStream_tbENKUlT_T0_E_clISt17integral_constantIbLb1EESZ_EEDaSU_SV_EUlSU_E_NS1_11comp_targetILNS1_3genE9ELNS1_11target_archE1100ELNS1_3gpuE3ELNS1_3repE0EEENS1_30default_config_static_selectorELNS0_4arch9wavefront6targetE0EEEvT1_
	.p2align	8
	.type	_ZN7rocprim17ROCPRIM_400000_NS6detail17trampoline_kernelINS0_14default_configENS1_27scan_by_key_config_selectorIssEEZZNS1_16scan_by_key_implILNS1_25lookback_scan_determinismE0ELb0ES3_N6thrust23THRUST_200600_302600_NS6detail15normal_iteratorINS9_10device_ptrIsEEEESE_SE_sNS9_4plusIvEENS9_8equal_toIvEEsEE10hipError_tPvRmT2_T3_T4_T5_mT6_T7_P12ihipStream_tbENKUlT_T0_E_clISt17integral_constantIbLb1EESZ_EEDaSU_SV_EUlSU_E_NS1_11comp_targetILNS1_3genE9ELNS1_11target_archE1100ELNS1_3gpuE3ELNS1_3repE0EEENS1_30default_config_static_selectorELNS0_4arch9wavefront6targetE0EEEvT1_,@function
_ZN7rocprim17ROCPRIM_400000_NS6detail17trampoline_kernelINS0_14default_configENS1_27scan_by_key_config_selectorIssEEZZNS1_16scan_by_key_implILNS1_25lookback_scan_determinismE0ELb0ES3_N6thrust23THRUST_200600_302600_NS6detail15normal_iteratorINS9_10device_ptrIsEEEESE_SE_sNS9_4plusIvEENS9_8equal_toIvEEsEE10hipError_tPvRmT2_T3_T4_T5_mT6_T7_P12ihipStream_tbENKUlT_T0_E_clISt17integral_constantIbLb1EESZ_EEDaSU_SV_EUlSU_E_NS1_11comp_targetILNS1_3genE9ELNS1_11target_archE1100ELNS1_3gpuE3ELNS1_3repE0EEENS1_30default_config_static_selectorELNS0_4arch9wavefront6targetE0EEEvT1_: ; @_ZN7rocprim17ROCPRIM_400000_NS6detail17trampoline_kernelINS0_14default_configENS1_27scan_by_key_config_selectorIssEEZZNS1_16scan_by_key_implILNS1_25lookback_scan_determinismE0ELb0ES3_N6thrust23THRUST_200600_302600_NS6detail15normal_iteratorINS9_10device_ptrIsEEEESE_SE_sNS9_4plusIvEENS9_8equal_toIvEEsEE10hipError_tPvRmT2_T3_T4_T5_mT6_T7_P12ihipStream_tbENKUlT_T0_E_clISt17integral_constantIbLb1EESZ_EEDaSU_SV_EUlSU_E_NS1_11comp_targetILNS1_3genE9ELNS1_11target_archE1100ELNS1_3gpuE3ELNS1_3repE0EEENS1_30default_config_static_selectorELNS0_4arch9wavefront6targetE0EEEvT1_
; %bb.0:
	.section	.rodata,"a",@progbits
	.p2align	6, 0x0
	.amdhsa_kernel _ZN7rocprim17ROCPRIM_400000_NS6detail17trampoline_kernelINS0_14default_configENS1_27scan_by_key_config_selectorIssEEZZNS1_16scan_by_key_implILNS1_25lookback_scan_determinismE0ELb0ES3_N6thrust23THRUST_200600_302600_NS6detail15normal_iteratorINS9_10device_ptrIsEEEESE_SE_sNS9_4plusIvEENS9_8equal_toIvEEsEE10hipError_tPvRmT2_T3_T4_T5_mT6_T7_P12ihipStream_tbENKUlT_T0_E_clISt17integral_constantIbLb1EESZ_EEDaSU_SV_EUlSU_E_NS1_11comp_targetILNS1_3genE9ELNS1_11target_archE1100ELNS1_3gpuE3ELNS1_3repE0EEENS1_30default_config_static_selectorELNS0_4arch9wavefront6targetE0EEEvT1_
		.amdhsa_group_segment_fixed_size 0
		.amdhsa_private_segment_fixed_size 0
		.amdhsa_kernarg_size 112
		.amdhsa_user_sgpr_count 2
		.amdhsa_user_sgpr_dispatch_ptr 0
		.amdhsa_user_sgpr_queue_ptr 0
		.amdhsa_user_sgpr_kernarg_segment_ptr 1
		.amdhsa_user_sgpr_dispatch_id 0
		.amdhsa_user_sgpr_kernarg_preload_length 0
		.amdhsa_user_sgpr_kernarg_preload_offset 0
		.amdhsa_user_sgpr_private_segment_size 0
		.amdhsa_wavefront_size32 1
		.amdhsa_uses_dynamic_stack 0
		.amdhsa_enable_private_segment 0
		.amdhsa_system_sgpr_workgroup_id_x 1
		.amdhsa_system_sgpr_workgroup_id_y 0
		.amdhsa_system_sgpr_workgroup_id_z 0
		.amdhsa_system_sgpr_workgroup_info 0
		.amdhsa_system_vgpr_workitem_id 0
		.amdhsa_next_free_vgpr 1
		.amdhsa_next_free_sgpr 1
		.amdhsa_named_barrier_count 0
		.amdhsa_reserve_vcc 0
		.amdhsa_float_round_mode_32 0
		.amdhsa_float_round_mode_16_64 0
		.amdhsa_float_denorm_mode_32 3
		.amdhsa_float_denorm_mode_16_64 3
		.amdhsa_fp16_overflow 0
		.amdhsa_memory_ordered 1
		.amdhsa_forward_progress 1
		.amdhsa_inst_pref_size 0
		.amdhsa_round_robin_scheduling 0
		.amdhsa_exception_fp_ieee_invalid_op 0
		.amdhsa_exception_fp_denorm_src 0
		.amdhsa_exception_fp_ieee_div_zero 0
		.amdhsa_exception_fp_ieee_overflow 0
		.amdhsa_exception_fp_ieee_underflow 0
		.amdhsa_exception_fp_ieee_inexact 0
		.amdhsa_exception_int_div_zero 0
	.end_amdhsa_kernel
	.section	.text._ZN7rocprim17ROCPRIM_400000_NS6detail17trampoline_kernelINS0_14default_configENS1_27scan_by_key_config_selectorIssEEZZNS1_16scan_by_key_implILNS1_25lookback_scan_determinismE0ELb0ES3_N6thrust23THRUST_200600_302600_NS6detail15normal_iteratorINS9_10device_ptrIsEEEESE_SE_sNS9_4plusIvEENS9_8equal_toIvEEsEE10hipError_tPvRmT2_T3_T4_T5_mT6_T7_P12ihipStream_tbENKUlT_T0_E_clISt17integral_constantIbLb1EESZ_EEDaSU_SV_EUlSU_E_NS1_11comp_targetILNS1_3genE9ELNS1_11target_archE1100ELNS1_3gpuE3ELNS1_3repE0EEENS1_30default_config_static_selectorELNS0_4arch9wavefront6targetE0EEEvT1_,"axG",@progbits,_ZN7rocprim17ROCPRIM_400000_NS6detail17trampoline_kernelINS0_14default_configENS1_27scan_by_key_config_selectorIssEEZZNS1_16scan_by_key_implILNS1_25lookback_scan_determinismE0ELb0ES3_N6thrust23THRUST_200600_302600_NS6detail15normal_iteratorINS9_10device_ptrIsEEEESE_SE_sNS9_4plusIvEENS9_8equal_toIvEEsEE10hipError_tPvRmT2_T3_T4_T5_mT6_T7_P12ihipStream_tbENKUlT_T0_E_clISt17integral_constantIbLb1EESZ_EEDaSU_SV_EUlSU_E_NS1_11comp_targetILNS1_3genE9ELNS1_11target_archE1100ELNS1_3gpuE3ELNS1_3repE0EEENS1_30default_config_static_selectorELNS0_4arch9wavefront6targetE0EEEvT1_,comdat
.Lfunc_end257:
	.size	_ZN7rocprim17ROCPRIM_400000_NS6detail17trampoline_kernelINS0_14default_configENS1_27scan_by_key_config_selectorIssEEZZNS1_16scan_by_key_implILNS1_25lookback_scan_determinismE0ELb0ES3_N6thrust23THRUST_200600_302600_NS6detail15normal_iteratorINS9_10device_ptrIsEEEESE_SE_sNS9_4plusIvEENS9_8equal_toIvEEsEE10hipError_tPvRmT2_T3_T4_T5_mT6_T7_P12ihipStream_tbENKUlT_T0_E_clISt17integral_constantIbLb1EESZ_EEDaSU_SV_EUlSU_E_NS1_11comp_targetILNS1_3genE9ELNS1_11target_archE1100ELNS1_3gpuE3ELNS1_3repE0EEENS1_30default_config_static_selectorELNS0_4arch9wavefront6targetE0EEEvT1_, .Lfunc_end257-_ZN7rocprim17ROCPRIM_400000_NS6detail17trampoline_kernelINS0_14default_configENS1_27scan_by_key_config_selectorIssEEZZNS1_16scan_by_key_implILNS1_25lookback_scan_determinismE0ELb0ES3_N6thrust23THRUST_200600_302600_NS6detail15normal_iteratorINS9_10device_ptrIsEEEESE_SE_sNS9_4plusIvEENS9_8equal_toIvEEsEE10hipError_tPvRmT2_T3_T4_T5_mT6_T7_P12ihipStream_tbENKUlT_T0_E_clISt17integral_constantIbLb1EESZ_EEDaSU_SV_EUlSU_E_NS1_11comp_targetILNS1_3genE9ELNS1_11target_archE1100ELNS1_3gpuE3ELNS1_3repE0EEENS1_30default_config_static_selectorELNS0_4arch9wavefront6targetE0EEEvT1_
                                        ; -- End function
	.set _ZN7rocprim17ROCPRIM_400000_NS6detail17trampoline_kernelINS0_14default_configENS1_27scan_by_key_config_selectorIssEEZZNS1_16scan_by_key_implILNS1_25lookback_scan_determinismE0ELb0ES3_N6thrust23THRUST_200600_302600_NS6detail15normal_iteratorINS9_10device_ptrIsEEEESE_SE_sNS9_4plusIvEENS9_8equal_toIvEEsEE10hipError_tPvRmT2_T3_T4_T5_mT6_T7_P12ihipStream_tbENKUlT_T0_E_clISt17integral_constantIbLb1EESZ_EEDaSU_SV_EUlSU_E_NS1_11comp_targetILNS1_3genE9ELNS1_11target_archE1100ELNS1_3gpuE3ELNS1_3repE0EEENS1_30default_config_static_selectorELNS0_4arch9wavefront6targetE0EEEvT1_.num_vgpr, 0
	.set _ZN7rocprim17ROCPRIM_400000_NS6detail17trampoline_kernelINS0_14default_configENS1_27scan_by_key_config_selectorIssEEZZNS1_16scan_by_key_implILNS1_25lookback_scan_determinismE0ELb0ES3_N6thrust23THRUST_200600_302600_NS6detail15normal_iteratorINS9_10device_ptrIsEEEESE_SE_sNS9_4plusIvEENS9_8equal_toIvEEsEE10hipError_tPvRmT2_T3_T4_T5_mT6_T7_P12ihipStream_tbENKUlT_T0_E_clISt17integral_constantIbLb1EESZ_EEDaSU_SV_EUlSU_E_NS1_11comp_targetILNS1_3genE9ELNS1_11target_archE1100ELNS1_3gpuE3ELNS1_3repE0EEENS1_30default_config_static_selectorELNS0_4arch9wavefront6targetE0EEEvT1_.num_agpr, 0
	.set _ZN7rocprim17ROCPRIM_400000_NS6detail17trampoline_kernelINS0_14default_configENS1_27scan_by_key_config_selectorIssEEZZNS1_16scan_by_key_implILNS1_25lookback_scan_determinismE0ELb0ES3_N6thrust23THRUST_200600_302600_NS6detail15normal_iteratorINS9_10device_ptrIsEEEESE_SE_sNS9_4plusIvEENS9_8equal_toIvEEsEE10hipError_tPvRmT2_T3_T4_T5_mT6_T7_P12ihipStream_tbENKUlT_T0_E_clISt17integral_constantIbLb1EESZ_EEDaSU_SV_EUlSU_E_NS1_11comp_targetILNS1_3genE9ELNS1_11target_archE1100ELNS1_3gpuE3ELNS1_3repE0EEENS1_30default_config_static_selectorELNS0_4arch9wavefront6targetE0EEEvT1_.numbered_sgpr, 0
	.set _ZN7rocprim17ROCPRIM_400000_NS6detail17trampoline_kernelINS0_14default_configENS1_27scan_by_key_config_selectorIssEEZZNS1_16scan_by_key_implILNS1_25lookback_scan_determinismE0ELb0ES3_N6thrust23THRUST_200600_302600_NS6detail15normal_iteratorINS9_10device_ptrIsEEEESE_SE_sNS9_4plusIvEENS9_8equal_toIvEEsEE10hipError_tPvRmT2_T3_T4_T5_mT6_T7_P12ihipStream_tbENKUlT_T0_E_clISt17integral_constantIbLb1EESZ_EEDaSU_SV_EUlSU_E_NS1_11comp_targetILNS1_3genE9ELNS1_11target_archE1100ELNS1_3gpuE3ELNS1_3repE0EEENS1_30default_config_static_selectorELNS0_4arch9wavefront6targetE0EEEvT1_.num_named_barrier, 0
	.set _ZN7rocprim17ROCPRIM_400000_NS6detail17trampoline_kernelINS0_14default_configENS1_27scan_by_key_config_selectorIssEEZZNS1_16scan_by_key_implILNS1_25lookback_scan_determinismE0ELb0ES3_N6thrust23THRUST_200600_302600_NS6detail15normal_iteratorINS9_10device_ptrIsEEEESE_SE_sNS9_4plusIvEENS9_8equal_toIvEEsEE10hipError_tPvRmT2_T3_T4_T5_mT6_T7_P12ihipStream_tbENKUlT_T0_E_clISt17integral_constantIbLb1EESZ_EEDaSU_SV_EUlSU_E_NS1_11comp_targetILNS1_3genE9ELNS1_11target_archE1100ELNS1_3gpuE3ELNS1_3repE0EEENS1_30default_config_static_selectorELNS0_4arch9wavefront6targetE0EEEvT1_.private_seg_size, 0
	.set _ZN7rocprim17ROCPRIM_400000_NS6detail17trampoline_kernelINS0_14default_configENS1_27scan_by_key_config_selectorIssEEZZNS1_16scan_by_key_implILNS1_25lookback_scan_determinismE0ELb0ES3_N6thrust23THRUST_200600_302600_NS6detail15normal_iteratorINS9_10device_ptrIsEEEESE_SE_sNS9_4plusIvEENS9_8equal_toIvEEsEE10hipError_tPvRmT2_T3_T4_T5_mT6_T7_P12ihipStream_tbENKUlT_T0_E_clISt17integral_constantIbLb1EESZ_EEDaSU_SV_EUlSU_E_NS1_11comp_targetILNS1_3genE9ELNS1_11target_archE1100ELNS1_3gpuE3ELNS1_3repE0EEENS1_30default_config_static_selectorELNS0_4arch9wavefront6targetE0EEEvT1_.uses_vcc, 0
	.set _ZN7rocprim17ROCPRIM_400000_NS6detail17trampoline_kernelINS0_14default_configENS1_27scan_by_key_config_selectorIssEEZZNS1_16scan_by_key_implILNS1_25lookback_scan_determinismE0ELb0ES3_N6thrust23THRUST_200600_302600_NS6detail15normal_iteratorINS9_10device_ptrIsEEEESE_SE_sNS9_4plusIvEENS9_8equal_toIvEEsEE10hipError_tPvRmT2_T3_T4_T5_mT6_T7_P12ihipStream_tbENKUlT_T0_E_clISt17integral_constantIbLb1EESZ_EEDaSU_SV_EUlSU_E_NS1_11comp_targetILNS1_3genE9ELNS1_11target_archE1100ELNS1_3gpuE3ELNS1_3repE0EEENS1_30default_config_static_selectorELNS0_4arch9wavefront6targetE0EEEvT1_.uses_flat_scratch, 0
	.set _ZN7rocprim17ROCPRIM_400000_NS6detail17trampoline_kernelINS0_14default_configENS1_27scan_by_key_config_selectorIssEEZZNS1_16scan_by_key_implILNS1_25lookback_scan_determinismE0ELb0ES3_N6thrust23THRUST_200600_302600_NS6detail15normal_iteratorINS9_10device_ptrIsEEEESE_SE_sNS9_4plusIvEENS9_8equal_toIvEEsEE10hipError_tPvRmT2_T3_T4_T5_mT6_T7_P12ihipStream_tbENKUlT_T0_E_clISt17integral_constantIbLb1EESZ_EEDaSU_SV_EUlSU_E_NS1_11comp_targetILNS1_3genE9ELNS1_11target_archE1100ELNS1_3gpuE3ELNS1_3repE0EEENS1_30default_config_static_selectorELNS0_4arch9wavefront6targetE0EEEvT1_.has_dyn_sized_stack, 0
	.set _ZN7rocprim17ROCPRIM_400000_NS6detail17trampoline_kernelINS0_14default_configENS1_27scan_by_key_config_selectorIssEEZZNS1_16scan_by_key_implILNS1_25lookback_scan_determinismE0ELb0ES3_N6thrust23THRUST_200600_302600_NS6detail15normal_iteratorINS9_10device_ptrIsEEEESE_SE_sNS9_4plusIvEENS9_8equal_toIvEEsEE10hipError_tPvRmT2_T3_T4_T5_mT6_T7_P12ihipStream_tbENKUlT_T0_E_clISt17integral_constantIbLb1EESZ_EEDaSU_SV_EUlSU_E_NS1_11comp_targetILNS1_3genE9ELNS1_11target_archE1100ELNS1_3gpuE3ELNS1_3repE0EEENS1_30default_config_static_selectorELNS0_4arch9wavefront6targetE0EEEvT1_.has_recursion, 0
	.set _ZN7rocprim17ROCPRIM_400000_NS6detail17trampoline_kernelINS0_14default_configENS1_27scan_by_key_config_selectorIssEEZZNS1_16scan_by_key_implILNS1_25lookback_scan_determinismE0ELb0ES3_N6thrust23THRUST_200600_302600_NS6detail15normal_iteratorINS9_10device_ptrIsEEEESE_SE_sNS9_4plusIvEENS9_8equal_toIvEEsEE10hipError_tPvRmT2_T3_T4_T5_mT6_T7_P12ihipStream_tbENKUlT_T0_E_clISt17integral_constantIbLb1EESZ_EEDaSU_SV_EUlSU_E_NS1_11comp_targetILNS1_3genE9ELNS1_11target_archE1100ELNS1_3gpuE3ELNS1_3repE0EEENS1_30default_config_static_selectorELNS0_4arch9wavefront6targetE0EEEvT1_.has_indirect_call, 0
	.section	.AMDGPU.csdata,"",@progbits
; Kernel info:
; codeLenInByte = 0
; TotalNumSgprs: 0
; NumVgprs: 0
; ScratchSize: 0
; MemoryBound: 0
; FloatMode: 240
; IeeeMode: 1
; LDSByteSize: 0 bytes/workgroup (compile time only)
; SGPRBlocks: 0
; VGPRBlocks: 0
; NumSGPRsForWavesPerEU: 1
; NumVGPRsForWavesPerEU: 1
; NamedBarCnt: 0
; Occupancy: 16
; WaveLimiterHint : 0
; COMPUTE_PGM_RSRC2:SCRATCH_EN: 0
; COMPUTE_PGM_RSRC2:USER_SGPR: 2
; COMPUTE_PGM_RSRC2:TRAP_HANDLER: 0
; COMPUTE_PGM_RSRC2:TGID_X_EN: 1
; COMPUTE_PGM_RSRC2:TGID_Y_EN: 0
; COMPUTE_PGM_RSRC2:TGID_Z_EN: 0
; COMPUTE_PGM_RSRC2:TIDIG_COMP_CNT: 0
	.section	.text._ZN7rocprim17ROCPRIM_400000_NS6detail17trampoline_kernelINS0_14default_configENS1_27scan_by_key_config_selectorIssEEZZNS1_16scan_by_key_implILNS1_25lookback_scan_determinismE0ELb0ES3_N6thrust23THRUST_200600_302600_NS6detail15normal_iteratorINS9_10device_ptrIsEEEESE_SE_sNS9_4plusIvEENS9_8equal_toIvEEsEE10hipError_tPvRmT2_T3_T4_T5_mT6_T7_P12ihipStream_tbENKUlT_T0_E_clISt17integral_constantIbLb1EESZ_EEDaSU_SV_EUlSU_E_NS1_11comp_targetILNS1_3genE8ELNS1_11target_archE1030ELNS1_3gpuE2ELNS1_3repE0EEENS1_30default_config_static_selectorELNS0_4arch9wavefront6targetE0EEEvT1_,"axG",@progbits,_ZN7rocprim17ROCPRIM_400000_NS6detail17trampoline_kernelINS0_14default_configENS1_27scan_by_key_config_selectorIssEEZZNS1_16scan_by_key_implILNS1_25lookback_scan_determinismE0ELb0ES3_N6thrust23THRUST_200600_302600_NS6detail15normal_iteratorINS9_10device_ptrIsEEEESE_SE_sNS9_4plusIvEENS9_8equal_toIvEEsEE10hipError_tPvRmT2_T3_T4_T5_mT6_T7_P12ihipStream_tbENKUlT_T0_E_clISt17integral_constantIbLb1EESZ_EEDaSU_SV_EUlSU_E_NS1_11comp_targetILNS1_3genE8ELNS1_11target_archE1030ELNS1_3gpuE2ELNS1_3repE0EEENS1_30default_config_static_selectorELNS0_4arch9wavefront6targetE0EEEvT1_,comdat
	.protected	_ZN7rocprim17ROCPRIM_400000_NS6detail17trampoline_kernelINS0_14default_configENS1_27scan_by_key_config_selectorIssEEZZNS1_16scan_by_key_implILNS1_25lookback_scan_determinismE0ELb0ES3_N6thrust23THRUST_200600_302600_NS6detail15normal_iteratorINS9_10device_ptrIsEEEESE_SE_sNS9_4plusIvEENS9_8equal_toIvEEsEE10hipError_tPvRmT2_T3_T4_T5_mT6_T7_P12ihipStream_tbENKUlT_T0_E_clISt17integral_constantIbLb1EESZ_EEDaSU_SV_EUlSU_E_NS1_11comp_targetILNS1_3genE8ELNS1_11target_archE1030ELNS1_3gpuE2ELNS1_3repE0EEENS1_30default_config_static_selectorELNS0_4arch9wavefront6targetE0EEEvT1_ ; -- Begin function _ZN7rocprim17ROCPRIM_400000_NS6detail17trampoline_kernelINS0_14default_configENS1_27scan_by_key_config_selectorIssEEZZNS1_16scan_by_key_implILNS1_25lookback_scan_determinismE0ELb0ES3_N6thrust23THRUST_200600_302600_NS6detail15normal_iteratorINS9_10device_ptrIsEEEESE_SE_sNS9_4plusIvEENS9_8equal_toIvEEsEE10hipError_tPvRmT2_T3_T4_T5_mT6_T7_P12ihipStream_tbENKUlT_T0_E_clISt17integral_constantIbLb1EESZ_EEDaSU_SV_EUlSU_E_NS1_11comp_targetILNS1_3genE8ELNS1_11target_archE1030ELNS1_3gpuE2ELNS1_3repE0EEENS1_30default_config_static_selectorELNS0_4arch9wavefront6targetE0EEEvT1_
	.globl	_ZN7rocprim17ROCPRIM_400000_NS6detail17trampoline_kernelINS0_14default_configENS1_27scan_by_key_config_selectorIssEEZZNS1_16scan_by_key_implILNS1_25lookback_scan_determinismE0ELb0ES3_N6thrust23THRUST_200600_302600_NS6detail15normal_iteratorINS9_10device_ptrIsEEEESE_SE_sNS9_4plusIvEENS9_8equal_toIvEEsEE10hipError_tPvRmT2_T3_T4_T5_mT6_T7_P12ihipStream_tbENKUlT_T0_E_clISt17integral_constantIbLb1EESZ_EEDaSU_SV_EUlSU_E_NS1_11comp_targetILNS1_3genE8ELNS1_11target_archE1030ELNS1_3gpuE2ELNS1_3repE0EEENS1_30default_config_static_selectorELNS0_4arch9wavefront6targetE0EEEvT1_
	.p2align	8
	.type	_ZN7rocprim17ROCPRIM_400000_NS6detail17trampoline_kernelINS0_14default_configENS1_27scan_by_key_config_selectorIssEEZZNS1_16scan_by_key_implILNS1_25lookback_scan_determinismE0ELb0ES3_N6thrust23THRUST_200600_302600_NS6detail15normal_iteratorINS9_10device_ptrIsEEEESE_SE_sNS9_4plusIvEENS9_8equal_toIvEEsEE10hipError_tPvRmT2_T3_T4_T5_mT6_T7_P12ihipStream_tbENKUlT_T0_E_clISt17integral_constantIbLb1EESZ_EEDaSU_SV_EUlSU_E_NS1_11comp_targetILNS1_3genE8ELNS1_11target_archE1030ELNS1_3gpuE2ELNS1_3repE0EEENS1_30default_config_static_selectorELNS0_4arch9wavefront6targetE0EEEvT1_,@function
_ZN7rocprim17ROCPRIM_400000_NS6detail17trampoline_kernelINS0_14default_configENS1_27scan_by_key_config_selectorIssEEZZNS1_16scan_by_key_implILNS1_25lookback_scan_determinismE0ELb0ES3_N6thrust23THRUST_200600_302600_NS6detail15normal_iteratorINS9_10device_ptrIsEEEESE_SE_sNS9_4plusIvEENS9_8equal_toIvEEsEE10hipError_tPvRmT2_T3_T4_T5_mT6_T7_P12ihipStream_tbENKUlT_T0_E_clISt17integral_constantIbLb1EESZ_EEDaSU_SV_EUlSU_E_NS1_11comp_targetILNS1_3genE8ELNS1_11target_archE1030ELNS1_3gpuE2ELNS1_3repE0EEENS1_30default_config_static_selectorELNS0_4arch9wavefront6targetE0EEEvT1_: ; @_ZN7rocprim17ROCPRIM_400000_NS6detail17trampoline_kernelINS0_14default_configENS1_27scan_by_key_config_selectorIssEEZZNS1_16scan_by_key_implILNS1_25lookback_scan_determinismE0ELb0ES3_N6thrust23THRUST_200600_302600_NS6detail15normal_iteratorINS9_10device_ptrIsEEEESE_SE_sNS9_4plusIvEENS9_8equal_toIvEEsEE10hipError_tPvRmT2_T3_T4_T5_mT6_T7_P12ihipStream_tbENKUlT_T0_E_clISt17integral_constantIbLb1EESZ_EEDaSU_SV_EUlSU_E_NS1_11comp_targetILNS1_3genE8ELNS1_11target_archE1030ELNS1_3gpuE2ELNS1_3repE0EEENS1_30default_config_static_selectorELNS0_4arch9wavefront6targetE0EEEvT1_
; %bb.0:
	.section	.rodata,"a",@progbits
	.p2align	6, 0x0
	.amdhsa_kernel _ZN7rocprim17ROCPRIM_400000_NS6detail17trampoline_kernelINS0_14default_configENS1_27scan_by_key_config_selectorIssEEZZNS1_16scan_by_key_implILNS1_25lookback_scan_determinismE0ELb0ES3_N6thrust23THRUST_200600_302600_NS6detail15normal_iteratorINS9_10device_ptrIsEEEESE_SE_sNS9_4plusIvEENS9_8equal_toIvEEsEE10hipError_tPvRmT2_T3_T4_T5_mT6_T7_P12ihipStream_tbENKUlT_T0_E_clISt17integral_constantIbLb1EESZ_EEDaSU_SV_EUlSU_E_NS1_11comp_targetILNS1_3genE8ELNS1_11target_archE1030ELNS1_3gpuE2ELNS1_3repE0EEENS1_30default_config_static_selectorELNS0_4arch9wavefront6targetE0EEEvT1_
		.amdhsa_group_segment_fixed_size 0
		.amdhsa_private_segment_fixed_size 0
		.amdhsa_kernarg_size 112
		.amdhsa_user_sgpr_count 2
		.amdhsa_user_sgpr_dispatch_ptr 0
		.amdhsa_user_sgpr_queue_ptr 0
		.amdhsa_user_sgpr_kernarg_segment_ptr 1
		.amdhsa_user_sgpr_dispatch_id 0
		.amdhsa_user_sgpr_kernarg_preload_length 0
		.amdhsa_user_sgpr_kernarg_preload_offset 0
		.amdhsa_user_sgpr_private_segment_size 0
		.amdhsa_wavefront_size32 1
		.amdhsa_uses_dynamic_stack 0
		.amdhsa_enable_private_segment 0
		.amdhsa_system_sgpr_workgroup_id_x 1
		.amdhsa_system_sgpr_workgroup_id_y 0
		.amdhsa_system_sgpr_workgroup_id_z 0
		.amdhsa_system_sgpr_workgroup_info 0
		.amdhsa_system_vgpr_workitem_id 0
		.amdhsa_next_free_vgpr 1
		.amdhsa_next_free_sgpr 1
		.amdhsa_named_barrier_count 0
		.amdhsa_reserve_vcc 0
		.amdhsa_float_round_mode_32 0
		.amdhsa_float_round_mode_16_64 0
		.amdhsa_float_denorm_mode_32 3
		.amdhsa_float_denorm_mode_16_64 3
		.amdhsa_fp16_overflow 0
		.amdhsa_memory_ordered 1
		.amdhsa_forward_progress 1
		.amdhsa_inst_pref_size 0
		.amdhsa_round_robin_scheduling 0
		.amdhsa_exception_fp_ieee_invalid_op 0
		.amdhsa_exception_fp_denorm_src 0
		.amdhsa_exception_fp_ieee_div_zero 0
		.amdhsa_exception_fp_ieee_overflow 0
		.amdhsa_exception_fp_ieee_underflow 0
		.amdhsa_exception_fp_ieee_inexact 0
		.amdhsa_exception_int_div_zero 0
	.end_amdhsa_kernel
	.section	.text._ZN7rocprim17ROCPRIM_400000_NS6detail17trampoline_kernelINS0_14default_configENS1_27scan_by_key_config_selectorIssEEZZNS1_16scan_by_key_implILNS1_25lookback_scan_determinismE0ELb0ES3_N6thrust23THRUST_200600_302600_NS6detail15normal_iteratorINS9_10device_ptrIsEEEESE_SE_sNS9_4plusIvEENS9_8equal_toIvEEsEE10hipError_tPvRmT2_T3_T4_T5_mT6_T7_P12ihipStream_tbENKUlT_T0_E_clISt17integral_constantIbLb1EESZ_EEDaSU_SV_EUlSU_E_NS1_11comp_targetILNS1_3genE8ELNS1_11target_archE1030ELNS1_3gpuE2ELNS1_3repE0EEENS1_30default_config_static_selectorELNS0_4arch9wavefront6targetE0EEEvT1_,"axG",@progbits,_ZN7rocprim17ROCPRIM_400000_NS6detail17trampoline_kernelINS0_14default_configENS1_27scan_by_key_config_selectorIssEEZZNS1_16scan_by_key_implILNS1_25lookback_scan_determinismE0ELb0ES3_N6thrust23THRUST_200600_302600_NS6detail15normal_iteratorINS9_10device_ptrIsEEEESE_SE_sNS9_4plusIvEENS9_8equal_toIvEEsEE10hipError_tPvRmT2_T3_T4_T5_mT6_T7_P12ihipStream_tbENKUlT_T0_E_clISt17integral_constantIbLb1EESZ_EEDaSU_SV_EUlSU_E_NS1_11comp_targetILNS1_3genE8ELNS1_11target_archE1030ELNS1_3gpuE2ELNS1_3repE0EEENS1_30default_config_static_selectorELNS0_4arch9wavefront6targetE0EEEvT1_,comdat
.Lfunc_end258:
	.size	_ZN7rocprim17ROCPRIM_400000_NS6detail17trampoline_kernelINS0_14default_configENS1_27scan_by_key_config_selectorIssEEZZNS1_16scan_by_key_implILNS1_25lookback_scan_determinismE0ELb0ES3_N6thrust23THRUST_200600_302600_NS6detail15normal_iteratorINS9_10device_ptrIsEEEESE_SE_sNS9_4plusIvEENS9_8equal_toIvEEsEE10hipError_tPvRmT2_T3_T4_T5_mT6_T7_P12ihipStream_tbENKUlT_T0_E_clISt17integral_constantIbLb1EESZ_EEDaSU_SV_EUlSU_E_NS1_11comp_targetILNS1_3genE8ELNS1_11target_archE1030ELNS1_3gpuE2ELNS1_3repE0EEENS1_30default_config_static_selectorELNS0_4arch9wavefront6targetE0EEEvT1_, .Lfunc_end258-_ZN7rocprim17ROCPRIM_400000_NS6detail17trampoline_kernelINS0_14default_configENS1_27scan_by_key_config_selectorIssEEZZNS1_16scan_by_key_implILNS1_25lookback_scan_determinismE0ELb0ES3_N6thrust23THRUST_200600_302600_NS6detail15normal_iteratorINS9_10device_ptrIsEEEESE_SE_sNS9_4plusIvEENS9_8equal_toIvEEsEE10hipError_tPvRmT2_T3_T4_T5_mT6_T7_P12ihipStream_tbENKUlT_T0_E_clISt17integral_constantIbLb1EESZ_EEDaSU_SV_EUlSU_E_NS1_11comp_targetILNS1_3genE8ELNS1_11target_archE1030ELNS1_3gpuE2ELNS1_3repE0EEENS1_30default_config_static_selectorELNS0_4arch9wavefront6targetE0EEEvT1_
                                        ; -- End function
	.set _ZN7rocprim17ROCPRIM_400000_NS6detail17trampoline_kernelINS0_14default_configENS1_27scan_by_key_config_selectorIssEEZZNS1_16scan_by_key_implILNS1_25lookback_scan_determinismE0ELb0ES3_N6thrust23THRUST_200600_302600_NS6detail15normal_iteratorINS9_10device_ptrIsEEEESE_SE_sNS9_4plusIvEENS9_8equal_toIvEEsEE10hipError_tPvRmT2_T3_T4_T5_mT6_T7_P12ihipStream_tbENKUlT_T0_E_clISt17integral_constantIbLb1EESZ_EEDaSU_SV_EUlSU_E_NS1_11comp_targetILNS1_3genE8ELNS1_11target_archE1030ELNS1_3gpuE2ELNS1_3repE0EEENS1_30default_config_static_selectorELNS0_4arch9wavefront6targetE0EEEvT1_.num_vgpr, 0
	.set _ZN7rocprim17ROCPRIM_400000_NS6detail17trampoline_kernelINS0_14default_configENS1_27scan_by_key_config_selectorIssEEZZNS1_16scan_by_key_implILNS1_25lookback_scan_determinismE0ELb0ES3_N6thrust23THRUST_200600_302600_NS6detail15normal_iteratorINS9_10device_ptrIsEEEESE_SE_sNS9_4plusIvEENS9_8equal_toIvEEsEE10hipError_tPvRmT2_T3_T4_T5_mT6_T7_P12ihipStream_tbENKUlT_T0_E_clISt17integral_constantIbLb1EESZ_EEDaSU_SV_EUlSU_E_NS1_11comp_targetILNS1_3genE8ELNS1_11target_archE1030ELNS1_3gpuE2ELNS1_3repE0EEENS1_30default_config_static_selectorELNS0_4arch9wavefront6targetE0EEEvT1_.num_agpr, 0
	.set _ZN7rocprim17ROCPRIM_400000_NS6detail17trampoline_kernelINS0_14default_configENS1_27scan_by_key_config_selectorIssEEZZNS1_16scan_by_key_implILNS1_25lookback_scan_determinismE0ELb0ES3_N6thrust23THRUST_200600_302600_NS6detail15normal_iteratorINS9_10device_ptrIsEEEESE_SE_sNS9_4plusIvEENS9_8equal_toIvEEsEE10hipError_tPvRmT2_T3_T4_T5_mT6_T7_P12ihipStream_tbENKUlT_T0_E_clISt17integral_constantIbLb1EESZ_EEDaSU_SV_EUlSU_E_NS1_11comp_targetILNS1_3genE8ELNS1_11target_archE1030ELNS1_3gpuE2ELNS1_3repE0EEENS1_30default_config_static_selectorELNS0_4arch9wavefront6targetE0EEEvT1_.numbered_sgpr, 0
	.set _ZN7rocprim17ROCPRIM_400000_NS6detail17trampoline_kernelINS0_14default_configENS1_27scan_by_key_config_selectorIssEEZZNS1_16scan_by_key_implILNS1_25lookback_scan_determinismE0ELb0ES3_N6thrust23THRUST_200600_302600_NS6detail15normal_iteratorINS9_10device_ptrIsEEEESE_SE_sNS9_4plusIvEENS9_8equal_toIvEEsEE10hipError_tPvRmT2_T3_T4_T5_mT6_T7_P12ihipStream_tbENKUlT_T0_E_clISt17integral_constantIbLb1EESZ_EEDaSU_SV_EUlSU_E_NS1_11comp_targetILNS1_3genE8ELNS1_11target_archE1030ELNS1_3gpuE2ELNS1_3repE0EEENS1_30default_config_static_selectorELNS0_4arch9wavefront6targetE0EEEvT1_.num_named_barrier, 0
	.set _ZN7rocprim17ROCPRIM_400000_NS6detail17trampoline_kernelINS0_14default_configENS1_27scan_by_key_config_selectorIssEEZZNS1_16scan_by_key_implILNS1_25lookback_scan_determinismE0ELb0ES3_N6thrust23THRUST_200600_302600_NS6detail15normal_iteratorINS9_10device_ptrIsEEEESE_SE_sNS9_4plusIvEENS9_8equal_toIvEEsEE10hipError_tPvRmT2_T3_T4_T5_mT6_T7_P12ihipStream_tbENKUlT_T0_E_clISt17integral_constantIbLb1EESZ_EEDaSU_SV_EUlSU_E_NS1_11comp_targetILNS1_3genE8ELNS1_11target_archE1030ELNS1_3gpuE2ELNS1_3repE0EEENS1_30default_config_static_selectorELNS0_4arch9wavefront6targetE0EEEvT1_.private_seg_size, 0
	.set _ZN7rocprim17ROCPRIM_400000_NS6detail17trampoline_kernelINS0_14default_configENS1_27scan_by_key_config_selectorIssEEZZNS1_16scan_by_key_implILNS1_25lookback_scan_determinismE0ELb0ES3_N6thrust23THRUST_200600_302600_NS6detail15normal_iteratorINS9_10device_ptrIsEEEESE_SE_sNS9_4plusIvEENS9_8equal_toIvEEsEE10hipError_tPvRmT2_T3_T4_T5_mT6_T7_P12ihipStream_tbENKUlT_T0_E_clISt17integral_constantIbLb1EESZ_EEDaSU_SV_EUlSU_E_NS1_11comp_targetILNS1_3genE8ELNS1_11target_archE1030ELNS1_3gpuE2ELNS1_3repE0EEENS1_30default_config_static_selectorELNS0_4arch9wavefront6targetE0EEEvT1_.uses_vcc, 0
	.set _ZN7rocprim17ROCPRIM_400000_NS6detail17trampoline_kernelINS0_14default_configENS1_27scan_by_key_config_selectorIssEEZZNS1_16scan_by_key_implILNS1_25lookback_scan_determinismE0ELb0ES3_N6thrust23THRUST_200600_302600_NS6detail15normal_iteratorINS9_10device_ptrIsEEEESE_SE_sNS9_4plusIvEENS9_8equal_toIvEEsEE10hipError_tPvRmT2_T3_T4_T5_mT6_T7_P12ihipStream_tbENKUlT_T0_E_clISt17integral_constantIbLb1EESZ_EEDaSU_SV_EUlSU_E_NS1_11comp_targetILNS1_3genE8ELNS1_11target_archE1030ELNS1_3gpuE2ELNS1_3repE0EEENS1_30default_config_static_selectorELNS0_4arch9wavefront6targetE0EEEvT1_.uses_flat_scratch, 0
	.set _ZN7rocprim17ROCPRIM_400000_NS6detail17trampoline_kernelINS0_14default_configENS1_27scan_by_key_config_selectorIssEEZZNS1_16scan_by_key_implILNS1_25lookback_scan_determinismE0ELb0ES3_N6thrust23THRUST_200600_302600_NS6detail15normal_iteratorINS9_10device_ptrIsEEEESE_SE_sNS9_4plusIvEENS9_8equal_toIvEEsEE10hipError_tPvRmT2_T3_T4_T5_mT6_T7_P12ihipStream_tbENKUlT_T0_E_clISt17integral_constantIbLb1EESZ_EEDaSU_SV_EUlSU_E_NS1_11comp_targetILNS1_3genE8ELNS1_11target_archE1030ELNS1_3gpuE2ELNS1_3repE0EEENS1_30default_config_static_selectorELNS0_4arch9wavefront6targetE0EEEvT1_.has_dyn_sized_stack, 0
	.set _ZN7rocprim17ROCPRIM_400000_NS6detail17trampoline_kernelINS0_14default_configENS1_27scan_by_key_config_selectorIssEEZZNS1_16scan_by_key_implILNS1_25lookback_scan_determinismE0ELb0ES3_N6thrust23THRUST_200600_302600_NS6detail15normal_iteratorINS9_10device_ptrIsEEEESE_SE_sNS9_4plusIvEENS9_8equal_toIvEEsEE10hipError_tPvRmT2_T3_T4_T5_mT6_T7_P12ihipStream_tbENKUlT_T0_E_clISt17integral_constantIbLb1EESZ_EEDaSU_SV_EUlSU_E_NS1_11comp_targetILNS1_3genE8ELNS1_11target_archE1030ELNS1_3gpuE2ELNS1_3repE0EEENS1_30default_config_static_selectorELNS0_4arch9wavefront6targetE0EEEvT1_.has_recursion, 0
	.set _ZN7rocprim17ROCPRIM_400000_NS6detail17trampoline_kernelINS0_14default_configENS1_27scan_by_key_config_selectorIssEEZZNS1_16scan_by_key_implILNS1_25lookback_scan_determinismE0ELb0ES3_N6thrust23THRUST_200600_302600_NS6detail15normal_iteratorINS9_10device_ptrIsEEEESE_SE_sNS9_4plusIvEENS9_8equal_toIvEEsEE10hipError_tPvRmT2_T3_T4_T5_mT6_T7_P12ihipStream_tbENKUlT_T0_E_clISt17integral_constantIbLb1EESZ_EEDaSU_SV_EUlSU_E_NS1_11comp_targetILNS1_3genE8ELNS1_11target_archE1030ELNS1_3gpuE2ELNS1_3repE0EEENS1_30default_config_static_selectorELNS0_4arch9wavefront6targetE0EEEvT1_.has_indirect_call, 0
	.section	.AMDGPU.csdata,"",@progbits
; Kernel info:
; codeLenInByte = 0
; TotalNumSgprs: 0
; NumVgprs: 0
; ScratchSize: 0
; MemoryBound: 0
; FloatMode: 240
; IeeeMode: 1
; LDSByteSize: 0 bytes/workgroup (compile time only)
; SGPRBlocks: 0
; VGPRBlocks: 0
; NumSGPRsForWavesPerEU: 1
; NumVGPRsForWavesPerEU: 1
; NamedBarCnt: 0
; Occupancy: 16
; WaveLimiterHint : 0
; COMPUTE_PGM_RSRC2:SCRATCH_EN: 0
; COMPUTE_PGM_RSRC2:USER_SGPR: 2
; COMPUTE_PGM_RSRC2:TRAP_HANDLER: 0
; COMPUTE_PGM_RSRC2:TGID_X_EN: 1
; COMPUTE_PGM_RSRC2:TGID_Y_EN: 0
; COMPUTE_PGM_RSRC2:TGID_Z_EN: 0
; COMPUTE_PGM_RSRC2:TIDIG_COMP_CNT: 0
	.section	.text._ZN7rocprim17ROCPRIM_400000_NS6detail30init_device_scan_by_key_kernelINS1_19lookback_scan_stateINS0_5tupleIJsbEEELb1ELb1EEEN6thrust23THRUST_200600_302600_NS6detail15normal_iteratorINS8_10device_ptrIsEEEEjNS1_16block_id_wrapperIjLb0EEEEEvT_jjPNSG_10value_typeET0_PNSt15iterator_traitsISJ_E10value_typeEmT1_T2_,"axG",@progbits,_ZN7rocprim17ROCPRIM_400000_NS6detail30init_device_scan_by_key_kernelINS1_19lookback_scan_stateINS0_5tupleIJsbEEELb1ELb1EEEN6thrust23THRUST_200600_302600_NS6detail15normal_iteratorINS8_10device_ptrIsEEEEjNS1_16block_id_wrapperIjLb0EEEEEvT_jjPNSG_10value_typeET0_PNSt15iterator_traitsISJ_E10value_typeEmT1_T2_,comdat
	.protected	_ZN7rocprim17ROCPRIM_400000_NS6detail30init_device_scan_by_key_kernelINS1_19lookback_scan_stateINS0_5tupleIJsbEEELb1ELb1EEEN6thrust23THRUST_200600_302600_NS6detail15normal_iteratorINS8_10device_ptrIsEEEEjNS1_16block_id_wrapperIjLb0EEEEEvT_jjPNSG_10value_typeET0_PNSt15iterator_traitsISJ_E10value_typeEmT1_T2_ ; -- Begin function _ZN7rocprim17ROCPRIM_400000_NS6detail30init_device_scan_by_key_kernelINS1_19lookback_scan_stateINS0_5tupleIJsbEEELb1ELb1EEEN6thrust23THRUST_200600_302600_NS6detail15normal_iteratorINS8_10device_ptrIsEEEEjNS1_16block_id_wrapperIjLb0EEEEEvT_jjPNSG_10value_typeET0_PNSt15iterator_traitsISJ_E10value_typeEmT1_T2_
	.globl	_ZN7rocprim17ROCPRIM_400000_NS6detail30init_device_scan_by_key_kernelINS1_19lookback_scan_stateINS0_5tupleIJsbEEELb1ELb1EEEN6thrust23THRUST_200600_302600_NS6detail15normal_iteratorINS8_10device_ptrIsEEEEjNS1_16block_id_wrapperIjLb0EEEEEvT_jjPNSG_10value_typeET0_PNSt15iterator_traitsISJ_E10value_typeEmT1_T2_
	.p2align	8
	.type	_ZN7rocprim17ROCPRIM_400000_NS6detail30init_device_scan_by_key_kernelINS1_19lookback_scan_stateINS0_5tupleIJsbEEELb1ELb1EEEN6thrust23THRUST_200600_302600_NS6detail15normal_iteratorINS8_10device_ptrIsEEEEjNS1_16block_id_wrapperIjLb0EEEEEvT_jjPNSG_10value_typeET0_PNSt15iterator_traitsISJ_E10value_typeEmT1_T2_,@function
_ZN7rocprim17ROCPRIM_400000_NS6detail30init_device_scan_by_key_kernelINS1_19lookback_scan_stateINS0_5tupleIJsbEEELb1ELb1EEEN6thrust23THRUST_200600_302600_NS6detail15normal_iteratorINS8_10device_ptrIsEEEEjNS1_16block_id_wrapperIjLb0EEEEEvT_jjPNSG_10value_typeET0_PNSt15iterator_traitsISJ_E10value_typeEmT1_T2_: ; @_ZN7rocprim17ROCPRIM_400000_NS6detail30init_device_scan_by_key_kernelINS1_19lookback_scan_stateINS0_5tupleIJsbEEELb1ELb1EEEN6thrust23THRUST_200600_302600_NS6detail15normal_iteratorINS8_10device_ptrIsEEEEjNS1_16block_id_wrapperIjLb0EEEEEvT_jjPNSG_10value_typeET0_PNSt15iterator_traitsISJ_E10value_typeEmT1_T2_
; %bb.0:
	s_clause 0x2
	s_load_b32 s2, s[0:1], 0x44
	s_load_b32 s12, s[0:1], 0x38
	s_load_b256 s[4:11], s[0:1], 0x0
	s_bfe_u32 s3, ttmp6, 0x4000c
	s_and_b32 s14, ttmp6, 15
	s_add_co_i32 s3, s3, 1
	s_getreg_b32 s15, hwreg(HW_REG_IB_STS2, 6, 4)
	s_mul_i32 s3, ttmp9, s3
	s_delay_alu instid0(SALU_CYCLE_1)
	s_add_co_i32 s14, s14, s3
	s_wait_kmcnt 0x0
	s_and_b32 s13, s2, 0xffff
	s_cmp_eq_u32 s15, 0
	s_cselect_b32 s2, ttmp9, s14
	s_cmp_eq_u64 s[8:9], 0
	v_mad_u32 v0, s2, s13, v0
	s_cbranch_scc1 .LBB259_9
; %bb.1:
	s_cmp_lt_u32 s7, s6
	s_mov_b32 s14, exec_lo
	s_cselect_b32 s2, s7, 0
	s_delay_alu instid0(VALU_DEP_1) | instid1(SALU_CYCLE_1)
	v_cmpx_eq_u32_e64 s2, v0
	s_cbranch_execz .LBB259_8
; %bb.2:
	s_add_co_i32 s2, s7, 32
	s_delay_alu instid0(SALU_CYCLE_1) | instskip(SKIP_3) | instid1(VALU_DEP_1)
	v_dual_mov_b32 v2, 0 :: v_dual_mov_b32 v1, s2
	global_load_b64 v[4:5], v1, s[4:5] scale_offset scope:SCOPE_DEV
	s_wait_loadcnt 0x0
	v_and_b32_e32 v3, 0xff, v5
	v_cmp_ne_u64_e32 vcc_lo, 0, v[2:3]
	s_cbranch_vccnz .LBB259_7
; %bb.3:
	s_mov_b32 s3, 0
	s_mov_b32 s7, 1
	s_lshl_b64 s[2:3], s[2:3], 3
	s_delay_alu instid0(SALU_CYCLE_1)
	s_add_nc_u64 s[2:3], s[4:5], s[2:3]
.LBB259_4:                              ; =>This Loop Header: Depth=1
                                        ;     Child Loop BB259_5 Depth 2
	s_mov_b32 s15, s7
.LBB259_5:                              ;   Parent Loop BB259_4 Depth=1
                                        ; =>  This Inner Loop Header: Depth=2
	s_delay_alu instid0(SALU_CYCLE_1)
	s_add_co_i32 s15, s15, -1
	s_sleep 1
	s_cmp_eq_u32 s15, 0
	s_cbranch_scc0 .LBB259_5
; %bb.6:                                ;   in Loop: Header=BB259_4 Depth=1
	global_load_b64 v[4:5], v2, s[2:3] scope:SCOPE_DEV
	s_cmp_lt_u32 s7, 32
	s_cselect_b32 s15, -1, 0
	s_delay_alu instid0(SALU_CYCLE_1) | instskip(SKIP_3) | instid1(VALU_DEP_1)
	s_cmp_lg_u32 s15, 0
	s_add_co_ci_u32 s7, s7, 0
	s_wait_loadcnt 0x0
	v_and_b32_e32 v3, 0xff, v5
	v_cmp_ne_u64_e32 vcc_lo, 0, v[2:3]
	s_cbranch_vccz .LBB259_4
.LBB259_7:
	v_mov_b32_e32 v1, 0
	s_clause 0x1
	global_store_b16 v1, v4, s[8:9]
	global_store_d16_hi_b8 v1, v4, s[8:9] offset:2
.LBB259_8:
	s_wait_xcnt 0x0
	s_or_b32 exec_lo, exec_lo, s14
.LBB259_9:
	s_delay_alu instid0(SALU_CYCLE_1) | instskip(NEXT) | instid1(VALU_DEP_1)
	s_mov_b32 s2, exec_lo
	v_cmpx_gt_u32_e64 s6, v0
	s_cbranch_execz .LBB259_11
; %bb.10:
	v_mov_b64_e32 v[2:3], 0
	v_add_nc_u32_e32 v1, 32, v0
	global_store_b64 v1, v[2:3], s[4:5] scale_offset
.LBB259_11:
	s_wait_xcnt 0x0
	s_or_b32 exec_lo, exec_lo, s2
	v_mov_b32_e32 v1, 0
	s_mov_b32 s2, exec_lo
	v_cmpx_gt_u32_e32 32, v0
	s_cbranch_execz .LBB259_13
; %bb.12:
	v_mov_b64_e32 v[2:3], 0xff00000000
	v_lshl_add_u64 v[4:5], v[0:1], 3, s[4:5]
	global_store_b64 v[4:5], v[2:3], off
.LBB259_13:
	s_wait_xcnt 0x0
	s_or_b32 exec_lo, exec_lo, s2
	s_load_b64 s[2:3], s[0:1], 0x28
	s_mov_b32 s4, exec_lo
	s_wait_kmcnt 0x0
	v_cmpx_gt_u64_e64 s[2:3], v[0:1]
	s_cbranch_execz .LBB259_16
; %bb.14:
	s_clause 0x1
	s_load_b32 s4, s[0:1], 0x30
	s_load_b64 s[6:7], s[0:1], 0x20
	s_mov_b32 s5, 0
	s_wait_xcnt 0x0
	s_mul_i32 s0, s12, s13
	s_mov_b32 s9, s5
	s_mov_b32 s1, s5
	s_wait_kmcnt 0x0
	v_mul_u64_e32 v[2:3], s[4:5], v[0:1]
	s_add_co_i32 s8, s4, -1
	v_lshl_add_u64 v[4:5], v[0:1], 1, s[6:7]
	s_lshl_b64 s[8:9], s[8:9], 1
	s_delay_alu instid0(SALU_CYCLE_1) | instskip(SKIP_1) | instid1(SALU_CYCLE_1)
	s_add_nc_u64 s[8:9], s[10:11], s[8:9]
	s_mul_u64 s[10:11], s[4:5], s[0:1]
	s_lshl_b64 s[6:7], s[10:11], 1
	s_delay_alu instid0(VALU_DEP_2)
	v_lshl_add_u64 v[2:3], v[2:3], 1, s[8:9]
	s_lshl_b64 s[8:9], s[0:1], 1
.LBB259_15:                             ; =>This Inner Loop Header: Depth=1
	global_load_u16 v6, v[2:3], off
	v_add_nc_u64_e32 v[0:1], s[0:1], v[0:1]
	s_wait_xcnt 0x0
	v_add_nc_u64_e32 v[2:3], s[6:7], v[2:3]
	s_delay_alu instid0(VALU_DEP_2)
	v_cmp_le_u64_e32 vcc_lo, s[2:3], v[0:1]
	s_or_b32 s5, vcc_lo, s5
	s_wait_loadcnt 0x0
	global_store_b16 v[4:5], v6, off
	s_wait_xcnt 0x0
	v_add_nc_u64_e32 v[4:5], s[8:9], v[4:5]
	s_and_not1_b32 exec_lo, exec_lo, s5
	s_cbranch_execnz .LBB259_15
.LBB259_16:
	s_endpgm
	.section	.rodata,"a",@progbits
	.p2align	6, 0x0
	.amdhsa_kernel _ZN7rocprim17ROCPRIM_400000_NS6detail30init_device_scan_by_key_kernelINS1_19lookback_scan_stateINS0_5tupleIJsbEEELb1ELb1EEEN6thrust23THRUST_200600_302600_NS6detail15normal_iteratorINS8_10device_ptrIsEEEEjNS1_16block_id_wrapperIjLb0EEEEEvT_jjPNSG_10value_typeET0_PNSt15iterator_traitsISJ_E10value_typeEmT1_T2_
		.amdhsa_group_segment_fixed_size 0
		.amdhsa_private_segment_fixed_size 0
		.amdhsa_kernarg_size 312
		.amdhsa_user_sgpr_count 2
		.amdhsa_user_sgpr_dispatch_ptr 0
		.amdhsa_user_sgpr_queue_ptr 0
		.amdhsa_user_sgpr_kernarg_segment_ptr 1
		.amdhsa_user_sgpr_dispatch_id 0
		.amdhsa_user_sgpr_kernarg_preload_length 0
		.amdhsa_user_sgpr_kernarg_preload_offset 0
		.amdhsa_user_sgpr_private_segment_size 0
		.amdhsa_wavefront_size32 1
		.amdhsa_uses_dynamic_stack 0
		.amdhsa_enable_private_segment 0
		.amdhsa_system_sgpr_workgroup_id_x 1
		.amdhsa_system_sgpr_workgroup_id_y 0
		.amdhsa_system_sgpr_workgroup_id_z 0
		.amdhsa_system_sgpr_workgroup_info 0
		.amdhsa_system_vgpr_workitem_id 0
		.amdhsa_next_free_vgpr 7
		.amdhsa_next_free_sgpr 16
		.amdhsa_named_barrier_count 0
		.amdhsa_reserve_vcc 1
		.amdhsa_float_round_mode_32 0
		.amdhsa_float_round_mode_16_64 0
		.amdhsa_float_denorm_mode_32 3
		.amdhsa_float_denorm_mode_16_64 3
		.amdhsa_fp16_overflow 0
		.amdhsa_memory_ordered 1
		.amdhsa_forward_progress 1
		.amdhsa_inst_pref_size 5
		.amdhsa_round_robin_scheduling 0
		.amdhsa_exception_fp_ieee_invalid_op 0
		.amdhsa_exception_fp_denorm_src 0
		.amdhsa_exception_fp_ieee_div_zero 0
		.amdhsa_exception_fp_ieee_overflow 0
		.amdhsa_exception_fp_ieee_underflow 0
		.amdhsa_exception_fp_ieee_inexact 0
		.amdhsa_exception_int_div_zero 0
	.end_amdhsa_kernel
	.section	.text._ZN7rocprim17ROCPRIM_400000_NS6detail30init_device_scan_by_key_kernelINS1_19lookback_scan_stateINS0_5tupleIJsbEEELb1ELb1EEEN6thrust23THRUST_200600_302600_NS6detail15normal_iteratorINS8_10device_ptrIsEEEEjNS1_16block_id_wrapperIjLb0EEEEEvT_jjPNSG_10value_typeET0_PNSt15iterator_traitsISJ_E10value_typeEmT1_T2_,"axG",@progbits,_ZN7rocprim17ROCPRIM_400000_NS6detail30init_device_scan_by_key_kernelINS1_19lookback_scan_stateINS0_5tupleIJsbEEELb1ELb1EEEN6thrust23THRUST_200600_302600_NS6detail15normal_iteratorINS8_10device_ptrIsEEEEjNS1_16block_id_wrapperIjLb0EEEEEvT_jjPNSG_10value_typeET0_PNSt15iterator_traitsISJ_E10value_typeEmT1_T2_,comdat
.Lfunc_end259:
	.size	_ZN7rocprim17ROCPRIM_400000_NS6detail30init_device_scan_by_key_kernelINS1_19lookback_scan_stateINS0_5tupleIJsbEEELb1ELb1EEEN6thrust23THRUST_200600_302600_NS6detail15normal_iteratorINS8_10device_ptrIsEEEEjNS1_16block_id_wrapperIjLb0EEEEEvT_jjPNSG_10value_typeET0_PNSt15iterator_traitsISJ_E10value_typeEmT1_T2_, .Lfunc_end259-_ZN7rocprim17ROCPRIM_400000_NS6detail30init_device_scan_by_key_kernelINS1_19lookback_scan_stateINS0_5tupleIJsbEEELb1ELb1EEEN6thrust23THRUST_200600_302600_NS6detail15normal_iteratorINS8_10device_ptrIsEEEEjNS1_16block_id_wrapperIjLb0EEEEEvT_jjPNSG_10value_typeET0_PNSt15iterator_traitsISJ_E10value_typeEmT1_T2_
                                        ; -- End function
	.set _ZN7rocprim17ROCPRIM_400000_NS6detail30init_device_scan_by_key_kernelINS1_19lookback_scan_stateINS0_5tupleIJsbEEELb1ELb1EEEN6thrust23THRUST_200600_302600_NS6detail15normal_iteratorINS8_10device_ptrIsEEEEjNS1_16block_id_wrapperIjLb0EEEEEvT_jjPNSG_10value_typeET0_PNSt15iterator_traitsISJ_E10value_typeEmT1_T2_.num_vgpr, 7
	.set _ZN7rocprim17ROCPRIM_400000_NS6detail30init_device_scan_by_key_kernelINS1_19lookback_scan_stateINS0_5tupleIJsbEEELb1ELb1EEEN6thrust23THRUST_200600_302600_NS6detail15normal_iteratorINS8_10device_ptrIsEEEEjNS1_16block_id_wrapperIjLb0EEEEEvT_jjPNSG_10value_typeET0_PNSt15iterator_traitsISJ_E10value_typeEmT1_T2_.num_agpr, 0
	.set _ZN7rocprim17ROCPRIM_400000_NS6detail30init_device_scan_by_key_kernelINS1_19lookback_scan_stateINS0_5tupleIJsbEEELb1ELb1EEEN6thrust23THRUST_200600_302600_NS6detail15normal_iteratorINS8_10device_ptrIsEEEEjNS1_16block_id_wrapperIjLb0EEEEEvT_jjPNSG_10value_typeET0_PNSt15iterator_traitsISJ_E10value_typeEmT1_T2_.numbered_sgpr, 16
	.set _ZN7rocprim17ROCPRIM_400000_NS6detail30init_device_scan_by_key_kernelINS1_19lookback_scan_stateINS0_5tupleIJsbEEELb1ELb1EEEN6thrust23THRUST_200600_302600_NS6detail15normal_iteratorINS8_10device_ptrIsEEEEjNS1_16block_id_wrapperIjLb0EEEEEvT_jjPNSG_10value_typeET0_PNSt15iterator_traitsISJ_E10value_typeEmT1_T2_.num_named_barrier, 0
	.set _ZN7rocprim17ROCPRIM_400000_NS6detail30init_device_scan_by_key_kernelINS1_19lookback_scan_stateINS0_5tupleIJsbEEELb1ELb1EEEN6thrust23THRUST_200600_302600_NS6detail15normal_iteratorINS8_10device_ptrIsEEEEjNS1_16block_id_wrapperIjLb0EEEEEvT_jjPNSG_10value_typeET0_PNSt15iterator_traitsISJ_E10value_typeEmT1_T2_.private_seg_size, 0
	.set _ZN7rocprim17ROCPRIM_400000_NS6detail30init_device_scan_by_key_kernelINS1_19lookback_scan_stateINS0_5tupleIJsbEEELb1ELb1EEEN6thrust23THRUST_200600_302600_NS6detail15normal_iteratorINS8_10device_ptrIsEEEEjNS1_16block_id_wrapperIjLb0EEEEEvT_jjPNSG_10value_typeET0_PNSt15iterator_traitsISJ_E10value_typeEmT1_T2_.uses_vcc, 1
	.set _ZN7rocprim17ROCPRIM_400000_NS6detail30init_device_scan_by_key_kernelINS1_19lookback_scan_stateINS0_5tupleIJsbEEELb1ELb1EEEN6thrust23THRUST_200600_302600_NS6detail15normal_iteratorINS8_10device_ptrIsEEEEjNS1_16block_id_wrapperIjLb0EEEEEvT_jjPNSG_10value_typeET0_PNSt15iterator_traitsISJ_E10value_typeEmT1_T2_.uses_flat_scratch, 0
	.set _ZN7rocprim17ROCPRIM_400000_NS6detail30init_device_scan_by_key_kernelINS1_19lookback_scan_stateINS0_5tupleIJsbEEELb1ELb1EEEN6thrust23THRUST_200600_302600_NS6detail15normal_iteratorINS8_10device_ptrIsEEEEjNS1_16block_id_wrapperIjLb0EEEEEvT_jjPNSG_10value_typeET0_PNSt15iterator_traitsISJ_E10value_typeEmT1_T2_.has_dyn_sized_stack, 0
	.set _ZN7rocprim17ROCPRIM_400000_NS6detail30init_device_scan_by_key_kernelINS1_19lookback_scan_stateINS0_5tupleIJsbEEELb1ELb1EEEN6thrust23THRUST_200600_302600_NS6detail15normal_iteratorINS8_10device_ptrIsEEEEjNS1_16block_id_wrapperIjLb0EEEEEvT_jjPNSG_10value_typeET0_PNSt15iterator_traitsISJ_E10value_typeEmT1_T2_.has_recursion, 0
	.set _ZN7rocprim17ROCPRIM_400000_NS6detail30init_device_scan_by_key_kernelINS1_19lookback_scan_stateINS0_5tupleIJsbEEELb1ELb1EEEN6thrust23THRUST_200600_302600_NS6detail15normal_iteratorINS8_10device_ptrIsEEEEjNS1_16block_id_wrapperIjLb0EEEEEvT_jjPNSG_10value_typeET0_PNSt15iterator_traitsISJ_E10value_typeEmT1_T2_.has_indirect_call, 0
	.section	.AMDGPU.csdata,"",@progbits
; Kernel info:
; codeLenInByte = 608
; TotalNumSgprs: 18
; NumVgprs: 7
; ScratchSize: 0
; MemoryBound: 0
; FloatMode: 240
; IeeeMode: 1
; LDSByteSize: 0 bytes/workgroup (compile time only)
; SGPRBlocks: 0
; VGPRBlocks: 0
; NumSGPRsForWavesPerEU: 18
; NumVGPRsForWavesPerEU: 7
; NamedBarCnt: 0
; Occupancy: 16
; WaveLimiterHint : 0
; COMPUTE_PGM_RSRC2:SCRATCH_EN: 0
; COMPUTE_PGM_RSRC2:USER_SGPR: 2
; COMPUTE_PGM_RSRC2:TRAP_HANDLER: 0
; COMPUTE_PGM_RSRC2:TGID_X_EN: 1
; COMPUTE_PGM_RSRC2:TGID_Y_EN: 0
; COMPUTE_PGM_RSRC2:TGID_Z_EN: 0
; COMPUTE_PGM_RSRC2:TIDIG_COMP_CNT: 0
	.section	.text._ZN7rocprim17ROCPRIM_400000_NS6detail30init_device_scan_by_key_kernelINS1_19lookback_scan_stateINS0_5tupleIJsbEEELb1ELb1EEENS1_16block_id_wrapperIjLb0EEEEEvT_jjPNS9_10value_typeET0_,"axG",@progbits,_ZN7rocprim17ROCPRIM_400000_NS6detail30init_device_scan_by_key_kernelINS1_19lookback_scan_stateINS0_5tupleIJsbEEELb1ELb1EEENS1_16block_id_wrapperIjLb0EEEEEvT_jjPNS9_10value_typeET0_,comdat
	.protected	_ZN7rocprim17ROCPRIM_400000_NS6detail30init_device_scan_by_key_kernelINS1_19lookback_scan_stateINS0_5tupleIJsbEEELb1ELb1EEENS1_16block_id_wrapperIjLb0EEEEEvT_jjPNS9_10value_typeET0_ ; -- Begin function _ZN7rocprim17ROCPRIM_400000_NS6detail30init_device_scan_by_key_kernelINS1_19lookback_scan_stateINS0_5tupleIJsbEEELb1ELb1EEENS1_16block_id_wrapperIjLb0EEEEEvT_jjPNS9_10value_typeET0_
	.globl	_ZN7rocprim17ROCPRIM_400000_NS6detail30init_device_scan_by_key_kernelINS1_19lookback_scan_stateINS0_5tupleIJsbEEELb1ELb1EEENS1_16block_id_wrapperIjLb0EEEEEvT_jjPNS9_10value_typeET0_
	.p2align	8
	.type	_ZN7rocprim17ROCPRIM_400000_NS6detail30init_device_scan_by_key_kernelINS1_19lookback_scan_stateINS0_5tupleIJsbEEELb1ELb1EEENS1_16block_id_wrapperIjLb0EEEEEvT_jjPNS9_10value_typeET0_,@function
_ZN7rocprim17ROCPRIM_400000_NS6detail30init_device_scan_by_key_kernelINS1_19lookback_scan_stateINS0_5tupleIJsbEEELb1ELb1EEENS1_16block_id_wrapperIjLb0EEEEEvT_jjPNS9_10value_typeET0_: ; @_ZN7rocprim17ROCPRIM_400000_NS6detail30init_device_scan_by_key_kernelINS1_19lookback_scan_stateINS0_5tupleIJsbEEELb1ELb1EEENS1_16block_id_wrapperIjLb0EEEEEvT_jjPNS9_10value_typeET0_
; %bb.0:
	s_clause 0x2
	s_load_b32 s8, s[0:1], 0x2c
	s_load_b128 s[4:7], s[0:1], 0x0
	s_load_b64 s[2:3], s[0:1], 0x10
	s_wait_xcnt 0x0
	s_bfe_u32 s0, ttmp6, 0x4000c
	s_and_b32 s1, ttmp6, 15
	s_add_co_i32 s0, s0, 1
	s_getreg_b32 s9, hwreg(HW_REG_IB_STS2, 6, 4)
	s_mul_i32 s0, ttmp9, s0
	s_delay_alu instid0(SALU_CYCLE_1)
	s_add_co_i32 s1, s1, s0
	s_wait_kmcnt 0x0
	s_and_b32 s8, s8, 0xffff
	s_cmp_eq_u32 s9, 0
	s_cselect_b32 s0, ttmp9, s1
	s_cmp_eq_u64 s[2:3], 0
	v_mad_u32 v4, s0, s8, v0
	s_cbranch_scc1 .LBB260_9
; %bb.1:
	s_cmp_lt_u32 s7, s6
	s_mov_b32 s8, exec_lo
	s_cselect_b32 s0, s7, 0
	s_delay_alu instid0(VALU_DEP_1) | instid1(SALU_CYCLE_1)
	v_cmpx_eq_u32_e64 s0, v4
	s_cbranch_execz .LBB260_8
; %bb.2:
	s_add_co_i32 s0, s7, 32
	s_delay_alu instid0(SALU_CYCLE_1)
	v_mov_b32_e32 v0, s0
	global_load_b64 v[2:3], v0, s[4:5] scale_offset scope:SCOPE_DEV
	s_wait_xcnt 0x0
	v_mov_b32_e32 v0, 0
	s_wait_loadcnt 0x0
	v_and_b32_e32 v1, 0xff, v3
	s_delay_alu instid0(VALU_DEP_1)
	v_cmp_ne_u64_e32 vcc_lo, 0, v[0:1]
	s_cbranch_vccnz .LBB260_7
; %bb.3:
	s_mov_b32 s1, 0
	s_mov_b32 s7, 1
	s_lshl_b64 s[0:1], s[0:1], 3
	s_delay_alu instid0(SALU_CYCLE_1)
	s_add_nc_u64 s[0:1], s[4:5], s[0:1]
.LBB260_4:                              ; =>This Loop Header: Depth=1
                                        ;     Child Loop BB260_5 Depth 2
	s_mov_b32 s9, s7
.LBB260_5:                              ;   Parent Loop BB260_4 Depth=1
                                        ; =>  This Inner Loop Header: Depth=2
	s_delay_alu instid0(SALU_CYCLE_1)
	s_add_co_i32 s9, s9, -1
	s_sleep 1
	s_cmp_eq_u32 s9, 0
	s_cbranch_scc0 .LBB260_5
; %bb.6:                                ;   in Loop: Header=BB260_4 Depth=1
	global_load_b64 v[2:3], v0, s[0:1] scope:SCOPE_DEV
	s_cmp_lt_u32 s7, 32
	s_cselect_b32 s9, -1, 0
	s_delay_alu instid0(SALU_CYCLE_1) | instskip(SKIP_3) | instid1(VALU_DEP_1)
	s_cmp_lg_u32 s9, 0
	s_add_co_ci_u32 s7, s7, 0
	s_wait_loadcnt 0x0
	v_and_b32_e32 v1, 0xff, v3
	v_cmp_ne_u64_e32 vcc_lo, 0, v[0:1]
	s_cbranch_vccz .LBB260_4
.LBB260_7:
	v_mov_b32_e32 v0, 0
	s_clause 0x1
	global_store_b16 v0, v2, s[2:3]
	global_store_d16_hi_b8 v0, v2, s[2:3] offset:2
.LBB260_8:
	s_wait_xcnt 0x0
	s_or_b32 exec_lo, exec_lo, s8
.LBB260_9:
	s_delay_alu instid0(SALU_CYCLE_1) | instskip(NEXT) | instid1(VALU_DEP_1)
	s_mov_b32 s0, exec_lo
	v_cmpx_gt_u32_e64 s6, v4
	s_cbranch_execz .LBB260_11
; %bb.10:
	v_mov_b64_e32 v[0:1], 0
	v_add_nc_u32_e32 v2, 32, v4
	global_store_b64 v2, v[0:1], s[4:5] scale_offset
.LBB260_11:
	s_wait_xcnt 0x0
	s_or_b32 exec_lo, exec_lo, s0
	s_delay_alu instid0(SALU_CYCLE_1)
	s_mov_b32 s0, exec_lo
	v_cmpx_gt_u32_e32 32, v4
	s_cbranch_execz .LBB260_13
; %bb.12:
	v_mov_b64_e32 v[0:1], 0xff00000000
	global_store_b64 v4, v[0:1], s[4:5] scale_offset
.LBB260_13:
	s_endpgm
	.section	.rodata,"a",@progbits
	.p2align	6, 0x0
	.amdhsa_kernel _ZN7rocprim17ROCPRIM_400000_NS6detail30init_device_scan_by_key_kernelINS1_19lookback_scan_stateINS0_5tupleIJsbEEELb1ELb1EEENS1_16block_id_wrapperIjLb0EEEEEvT_jjPNS9_10value_typeET0_
		.amdhsa_group_segment_fixed_size 0
		.amdhsa_private_segment_fixed_size 0
		.amdhsa_kernarg_size 288
		.amdhsa_user_sgpr_count 2
		.amdhsa_user_sgpr_dispatch_ptr 0
		.amdhsa_user_sgpr_queue_ptr 0
		.amdhsa_user_sgpr_kernarg_segment_ptr 1
		.amdhsa_user_sgpr_dispatch_id 0
		.amdhsa_user_sgpr_kernarg_preload_length 0
		.amdhsa_user_sgpr_kernarg_preload_offset 0
		.amdhsa_user_sgpr_private_segment_size 0
		.amdhsa_wavefront_size32 1
		.amdhsa_uses_dynamic_stack 0
		.amdhsa_enable_private_segment 0
		.amdhsa_system_sgpr_workgroup_id_x 1
		.amdhsa_system_sgpr_workgroup_id_y 0
		.amdhsa_system_sgpr_workgroup_id_z 0
		.amdhsa_system_sgpr_workgroup_info 0
		.amdhsa_system_vgpr_workitem_id 0
		.amdhsa_next_free_vgpr 5
		.amdhsa_next_free_sgpr 10
		.amdhsa_named_barrier_count 0
		.amdhsa_reserve_vcc 1
		.amdhsa_float_round_mode_32 0
		.amdhsa_float_round_mode_16_64 0
		.amdhsa_float_denorm_mode_32 3
		.amdhsa_float_denorm_mode_16_64 3
		.amdhsa_fp16_overflow 0
		.amdhsa_memory_ordered 1
		.amdhsa_forward_progress 1
		.amdhsa_inst_pref_size 4
		.amdhsa_round_robin_scheduling 0
		.amdhsa_exception_fp_ieee_invalid_op 0
		.amdhsa_exception_fp_denorm_src 0
		.amdhsa_exception_fp_ieee_div_zero 0
		.amdhsa_exception_fp_ieee_overflow 0
		.amdhsa_exception_fp_ieee_underflow 0
		.amdhsa_exception_fp_ieee_inexact 0
		.amdhsa_exception_int_div_zero 0
	.end_amdhsa_kernel
	.section	.text._ZN7rocprim17ROCPRIM_400000_NS6detail30init_device_scan_by_key_kernelINS1_19lookback_scan_stateINS0_5tupleIJsbEEELb1ELb1EEENS1_16block_id_wrapperIjLb0EEEEEvT_jjPNS9_10value_typeET0_,"axG",@progbits,_ZN7rocprim17ROCPRIM_400000_NS6detail30init_device_scan_by_key_kernelINS1_19lookback_scan_stateINS0_5tupleIJsbEEELb1ELb1EEENS1_16block_id_wrapperIjLb0EEEEEvT_jjPNS9_10value_typeET0_,comdat
.Lfunc_end260:
	.size	_ZN7rocprim17ROCPRIM_400000_NS6detail30init_device_scan_by_key_kernelINS1_19lookback_scan_stateINS0_5tupleIJsbEEELb1ELb1EEENS1_16block_id_wrapperIjLb0EEEEEvT_jjPNS9_10value_typeET0_, .Lfunc_end260-_ZN7rocprim17ROCPRIM_400000_NS6detail30init_device_scan_by_key_kernelINS1_19lookback_scan_stateINS0_5tupleIJsbEEELb1ELb1EEENS1_16block_id_wrapperIjLb0EEEEEvT_jjPNS9_10value_typeET0_
                                        ; -- End function
	.set _ZN7rocprim17ROCPRIM_400000_NS6detail30init_device_scan_by_key_kernelINS1_19lookback_scan_stateINS0_5tupleIJsbEEELb1ELb1EEENS1_16block_id_wrapperIjLb0EEEEEvT_jjPNS9_10value_typeET0_.num_vgpr, 5
	.set _ZN7rocprim17ROCPRIM_400000_NS6detail30init_device_scan_by_key_kernelINS1_19lookback_scan_stateINS0_5tupleIJsbEEELb1ELb1EEENS1_16block_id_wrapperIjLb0EEEEEvT_jjPNS9_10value_typeET0_.num_agpr, 0
	.set _ZN7rocprim17ROCPRIM_400000_NS6detail30init_device_scan_by_key_kernelINS1_19lookback_scan_stateINS0_5tupleIJsbEEELb1ELb1EEENS1_16block_id_wrapperIjLb0EEEEEvT_jjPNS9_10value_typeET0_.numbered_sgpr, 10
	.set _ZN7rocprim17ROCPRIM_400000_NS6detail30init_device_scan_by_key_kernelINS1_19lookback_scan_stateINS0_5tupleIJsbEEELb1ELb1EEENS1_16block_id_wrapperIjLb0EEEEEvT_jjPNS9_10value_typeET0_.num_named_barrier, 0
	.set _ZN7rocprim17ROCPRIM_400000_NS6detail30init_device_scan_by_key_kernelINS1_19lookback_scan_stateINS0_5tupleIJsbEEELb1ELb1EEENS1_16block_id_wrapperIjLb0EEEEEvT_jjPNS9_10value_typeET0_.private_seg_size, 0
	.set _ZN7rocprim17ROCPRIM_400000_NS6detail30init_device_scan_by_key_kernelINS1_19lookback_scan_stateINS0_5tupleIJsbEEELb1ELb1EEENS1_16block_id_wrapperIjLb0EEEEEvT_jjPNS9_10value_typeET0_.uses_vcc, 1
	.set _ZN7rocprim17ROCPRIM_400000_NS6detail30init_device_scan_by_key_kernelINS1_19lookback_scan_stateINS0_5tupleIJsbEEELb1ELb1EEENS1_16block_id_wrapperIjLb0EEEEEvT_jjPNS9_10value_typeET0_.uses_flat_scratch, 0
	.set _ZN7rocprim17ROCPRIM_400000_NS6detail30init_device_scan_by_key_kernelINS1_19lookback_scan_stateINS0_5tupleIJsbEEELb1ELb1EEENS1_16block_id_wrapperIjLb0EEEEEvT_jjPNS9_10value_typeET0_.has_dyn_sized_stack, 0
	.set _ZN7rocprim17ROCPRIM_400000_NS6detail30init_device_scan_by_key_kernelINS1_19lookback_scan_stateINS0_5tupleIJsbEEELb1ELb1EEENS1_16block_id_wrapperIjLb0EEEEEvT_jjPNS9_10value_typeET0_.has_recursion, 0
	.set _ZN7rocprim17ROCPRIM_400000_NS6detail30init_device_scan_by_key_kernelINS1_19lookback_scan_stateINS0_5tupleIJsbEEELb1ELb1EEENS1_16block_id_wrapperIjLb0EEEEEvT_jjPNS9_10value_typeET0_.has_indirect_call, 0
	.section	.AMDGPU.csdata,"",@progbits
; Kernel info:
; codeLenInByte = 412
; TotalNumSgprs: 12
; NumVgprs: 5
; ScratchSize: 0
; MemoryBound: 0
; FloatMode: 240
; IeeeMode: 1
; LDSByteSize: 0 bytes/workgroup (compile time only)
; SGPRBlocks: 0
; VGPRBlocks: 0
; NumSGPRsForWavesPerEU: 12
; NumVGPRsForWavesPerEU: 5
; NamedBarCnt: 0
; Occupancy: 16
; WaveLimiterHint : 0
; COMPUTE_PGM_RSRC2:SCRATCH_EN: 0
; COMPUTE_PGM_RSRC2:USER_SGPR: 2
; COMPUTE_PGM_RSRC2:TRAP_HANDLER: 0
; COMPUTE_PGM_RSRC2:TGID_X_EN: 1
; COMPUTE_PGM_RSRC2:TGID_Y_EN: 0
; COMPUTE_PGM_RSRC2:TGID_Z_EN: 0
; COMPUTE_PGM_RSRC2:TIDIG_COMP_CNT: 0
	.section	.text._ZN7rocprim17ROCPRIM_400000_NS6detail17trampoline_kernelINS0_14default_configENS1_27scan_by_key_config_selectorIssEEZZNS1_16scan_by_key_implILNS1_25lookback_scan_determinismE0ELb0ES3_N6thrust23THRUST_200600_302600_NS6detail15normal_iteratorINS9_10device_ptrIsEEEESE_SE_sNS9_4plusIvEENS9_8equal_toIvEEsEE10hipError_tPvRmT2_T3_T4_T5_mT6_T7_P12ihipStream_tbENKUlT_T0_E_clISt17integral_constantIbLb1EESY_IbLb0EEEEDaSU_SV_EUlSU_E_NS1_11comp_targetILNS1_3genE0ELNS1_11target_archE4294967295ELNS1_3gpuE0ELNS1_3repE0EEENS1_30default_config_static_selectorELNS0_4arch9wavefront6targetE0EEEvT1_,"axG",@progbits,_ZN7rocprim17ROCPRIM_400000_NS6detail17trampoline_kernelINS0_14default_configENS1_27scan_by_key_config_selectorIssEEZZNS1_16scan_by_key_implILNS1_25lookback_scan_determinismE0ELb0ES3_N6thrust23THRUST_200600_302600_NS6detail15normal_iteratorINS9_10device_ptrIsEEEESE_SE_sNS9_4plusIvEENS9_8equal_toIvEEsEE10hipError_tPvRmT2_T3_T4_T5_mT6_T7_P12ihipStream_tbENKUlT_T0_E_clISt17integral_constantIbLb1EESY_IbLb0EEEEDaSU_SV_EUlSU_E_NS1_11comp_targetILNS1_3genE0ELNS1_11target_archE4294967295ELNS1_3gpuE0ELNS1_3repE0EEENS1_30default_config_static_selectorELNS0_4arch9wavefront6targetE0EEEvT1_,comdat
	.protected	_ZN7rocprim17ROCPRIM_400000_NS6detail17trampoline_kernelINS0_14default_configENS1_27scan_by_key_config_selectorIssEEZZNS1_16scan_by_key_implILNS1_25lookback_scan_determinismE0ELb0ES3_N6thrust23THRUST_200600_302600_NS6detail15normal_iteratorINS9_10device_ptrIsEEEESE_SE_sNS9_4plusIvEENS9_8equal_toIvEEsEE10hipError_tPvRmT2_T3_T4_T5_mT6_T7_P12ihipStream_tbENKUlT_T0_E_clISt17integral_constantIbLb1EESY_IbLb0EEEEDaSU_SV_EUlSU_E_NS1_11comp_targetILNS1_3genE0ELNS1_11target_archE4294967295ELNS1_3gpuE0ELNS1_3repE0EEENS1_30default_config_static_selectorELNS0_4arch9wavefront6targetE0EEEvT1_ ; -- Begin function _ZN7rocprim17ROCPRIM_400000_NS6detail17trampoline_kernelINS0_14default_configENS1_27scan_by_key_config_selectorIssEEZZNS1_16scan_by_key_implILNS1_25lookback_scan_determinismE0ELb0ES3_N6thrust23THRUST_200600_302600_NS6detail15normal_iteratorINS9_10device_ptrIsEEEESE_SE_sNS9_4plusIvEENS9_8equal_toIvEEsEE10hipError_tPvRmT2_T3_T4_T5_mT6_T7_P12ihipStream_tbENKUlT_T0_E_clISt17integral_constantIbLb1EESY_IbLb0EEEEDaSU_SV_EUlSU_E_NS1_11comp_targetILNS1_3genE0ELNS1_11target_archE4294967295ELNS1_3gpuE0ELNS1_3repE0EEENS1_30default_config_static_selectorELNS0_4arch9wavefront6targetE0EEEvT1_
	.globl	_ZN7rocprim17ROCPRIM_400000_NS6detail17trampoline_kernelINS0_14default_configENS1_27scan_by_key_config_selectorIssEEZZNS1_16scan_by_key_implILNS1_25lookback_scan_determinismE0ELb0ES3_N6thrust23THRUST_200600_302600_NS6detail15normal_iteratorINS9_10device_ptrIsEEEESE_SE_sNS9_4plusIvEENS9_8equal_toIvEEsEE10hipError_tPvRmT2_T3_T4_T5_mT6_T7_P12ihipStream_tbENKUlT_T0_E_clISt17integral_constantIbLb1EESY_IbLb0EEEEDaSU_SV_EUlSU_E_NS1_11comp_targetILNS1_3genE0ELNS1_11target_archE4294967295ELNS1_3gpuE0ELNS1_3repE0EEENS1_30default_config_static_selectorELNS0_4arch9wavefront6targetE0EEEvT1_
	.p2align	8
	.type	_ZN7rocprim17ROCPRIM_400000_NS6detail17trampoline_kernelINS0_14default_configENS1_27scan_by_key_config_selectorIssEEZZNS1_16scan_by_key_implILNS1_25lookback_scan_determinismE0ELb0ES3_N6thrust23THRUST_200600_302600_NS6detail15normal_iteratorINS9_10device_ptrIsEEEESE_SE_sNS9_4plusIvEENS9_8equal_toIvEEsEE10hipError_tPvRmT2_T3_T4_T5_mT6_T7_P12ihipStream_tbENKUlT_T0_E_clISt17integral_constantIbLb1EESY_IbLb0EEEEDaSU_SV_EUlSU_E_NS1_11comp_targetILNS1_3genE0ELNS1_11target_archE4294967295ELNS1_3gpuE0ELNS1_3repE0EEENS1_30default_config_static_selectorELNS0_4arch9wavefront6targetE0EEEvT1_,@function
_ZN7rocprim17ROCPRIM_400000_NS6detail17trampoline_kernelINS0_14default_configENS1_27scan_by_key_config_selectorIssEEZZNS1_16scan_by_key_implILNS1_25lookback_scan_determinismE0ELb0ES3_N6thrust23THRUST_200600_302600_NS6detail15normal_iteratorINS9_10device_ptrIsEEEESE_SE_sNS9_4plusIvEENS9_8equal_toIvEEsEE10hipError_tPvRmT2_T3_T4_T5_mT6_T7_P12ihipStream_tbENKUlT_T0_E_clISt17integral_constantIbLb1EESY_IbLb0EEEEDaSU_SV_EUlSU_E_NS1_11comp_targetILNS1_3genE0ELNS1_11target_archE4294967295ELNS1_3gpuE0ELNS1_3repE0EEENS1_30default_config_static_selectorELNS0_4arch9wavefront6targetE0EEEvT1_: ; @_ZN7rocprim17ROCPRIM_400000_NS6detail17trampoline_kernelINS0_14default_configENS1_27scan_by_key_config_selectorIssEEZZNS1_16scan_by_key_implILNS1_25lookback_scan_determinismE0ELb0ES3_N6thrust23THRUST_200600_302600_NS6detail15normal_iteratorINS9_10device_ptrIsEEEESE_SE_sNS9_4plusIvEENS9_8equal_toIvEEsEE10hipError_tPvRmT2_T3_T4_T5_mT6_T7_P12ihipStream_tbENKUlT_T0_E_clISt17integral_constantIbLb1EESY_IbLb0EEEEDaSU_SV_EUlSU_E_NS1_11comp_targetILNS1_3genE0ELNS1_11target_archE4294967295ELNS1_3gpuE0ELNS1_3repE0EEENS1_30default_config_static_selectorELNS0_4arch9wavefront6targetE0EEEvT1_
; %bb.0:
	s_endpgm
	.section	.rodata,"a",@progbits
	.p2align	6, 0x0
	.amdhsa_kernel _ZN7rocprim17ROCPRIM_400000_NS6detail17trampoline_kernelINS0_14default_configENS1_27scan_by_key_config_selectorIssEEZZNS1_16scan_by_key_implILNS1_25lookback_scan_determinismE0ELb0ES3_N6thrust23THRUST_200600_302600_NS6detail15normal_iteratorINS9_10device_ptrIsEEEESE_SE_sNS9_4plusIvEENS9_8equal_toIvEEsEE10hipError_tPvRmT2_T3_T4_T5_mT6_T7_P12ihipStream_tbENKUlT_T0_E_clISt17integral_constantIbLb1EESY_IbLb0EEEEDaSU_SV_EUlSU_E_NS1_11comp_targetILNS1_3genE0ELNS1_11target_archE4294967295ELNS1_3gpuE0ELNS1_3repE0EEENS1_30default_config_static_selectorELNS0_4arch9wavefront6targetE0EEEvT1_
		.amdhsa_group_segment_fixed_size 0
		.amdhsa_private_segment_fixed_size 0
		.amdhsa_kernarg_size 112
		.amdhsa_user_sgpr_count 2
		.amdhsa_user_sgpr_dispatch_ptr 0
		.amdhsa_user_sgpr_queue_ptr 0
		.amdhsa_user_sgpr_kernarg_segment_ptr 1
		.amdhsa_user_sgpr_dispatch_id 0
		.amdhsa_user_sgpr_kernarg_preload_length 0
		.amdhsa_user_sgpr_kernarg_preload_offset 0
		.amdhsa_user_sgpr_private_segment_size 0
		.amdhsa_wavefront_size32 1
		.amdhsa_uses_dynamic_stack 0
		.amdhsa_enable_private_segment 0
		.amdhsa_system_sgpr_workgroup_id_x 1
		.amdhsa_system_sgpr_workgroup_id_y 0
		.amdhsa_system_sgpr_workgroup_id_z 0
		.amdhsa_system_sgpr_workgroup_info 0
		.amdhsa_system_vgpr_workitem_id 0
		.amdhsa_next_free_vgpr 1
		.amdhsa_next_free_sgpr 1
		.amdhsa_named_barrier_count 0
		.amdhsa_reserve_vcc 0
		.amdhsa_float_round_mode_32 0
		.amdhsa_float_round_mode_16_64 0
		.amdhsa_float_denorm_mode_32 3
		.amdhsa_float_denorm_mode_16_64 3
		.amdhsa_fp16_overflow 0
		.amdhsa_memory_ordered 1
		.amdhsa_forward_progress 1
		.amdhsa_inst_pref_size 1
		.amdhsa_round_robin_scheduling 0
		.amdhsa_exception_fp_ieee_invalid_op 0
		.amdhsa_exception_fp_denorm_src 0
		.amdhsa_exception_fp_ieee_div_zero 0
		.amdhsa_exception_fp_ieee_overflow 0
		.amdhsa_exception_fp_ieee_underflow 0
		.amdhsa_exception_fp_ieee_inexact 0
		.amdhsa_exception_int_div_zero 0
	.end_amdhsa_kernel
	.section	.text._ZN7rocprim17ROCPRIM_400000_NS6detail17trampoline_kernelINS0_14default_configENS1_27scan_by_key_config_selectorIssEEZZNS1_16scan_by_key_implILNS1_25lookback_scan_determinismE0ELb0ES3_N6thrust23THRUST_200600_302600_NS6detail15normal_iteratorINS9_10device_ptrIsEEEESE_SE_sNS9_4plusIvEENS9_8equal_toIvEEsEE10hipError_tPvRmT2_T3_T4_T5_mT6_T7_P12ihipStream_tbENKUlT_T0_E_clISt17integral_constantIbLb1EESY_IbLb0EEEEDaSU_SV_EUlSU_E_NS1_11comp_targetILNS1_3genE0ELNS1_11target_archE4294967295ELNS1_3gpuE0ELNS1_3repE0EEENS1_30default_config_static_selectorELNS0_4arch9wavefront6targetE0EEEvT1_,"axG",@progbits,_ZN7rocprim17ROCPRIM_400000_NS6detail17trampoline_kernelINS0_14default_configENS1_27scan_by_key_config_selectorIssEEZZNS1_16scan_by_key_implILNS1_25lookback_scan_determinismE0ELb0ES3_N6thrust23THRUST_200600_302600_NS6detail15normal_iteratorINS9_10device_ptrIsEEEESE_SE_sNS9_4plusIvEENS9_8equal_toIvEEsEE10hipError_tPvRmT2_T3_T4_T5_mT6_T7_P12ihipStream_tbENKUlT_T0_E_clISt17integral_constantIbLb1EESY_IbLb0EEEEDaSU_SV_EUlSU_E_NS1_11comp_targetILNS1_3genE0ELNS1_11target_archE4294967295ELNS1_3gpuE0ELNS1_3repE0EEENS1_30default_config_static_selectorELNS0_4arch9wavefront6targetE0EEEvT1_,comdat
.Lfunc_end261:
	.size	_ZN7rocprim17ROCPRIM_400000_NS6detail17trampoline_kernelINS0_14default_configENS1_27scan_by_key_config_selectorIssEEZZNS1_16scan_by_key_implILNS1_25lookback_scan_determinismE0ELb0ES3_N6thrust23THRUST_200600_302600_NS6detail15normal_iteratorINS9_10device_ptrIsEEEESE_SE_sNS9_4plusIvEENS9_8equal_toIvEEsEE10hipError_tPvRmT2_T3_T4_T5_mT6_T7_P12ihipStream_tbENKUlT_T0_E_clISt17integral_constantIbLb1EESY_IbLb0EEEEDaSU_SV_EUlSU_E_NS1_11comp_targetILNS1_3genE0ELNS1_11target_archE4294967295ELNS1_3gpuE0ELNS1_3repE0EEENS1_30default_config_static_selectorELNS0_4arch9wavefront6targetE0EEEvT1_, .Lfunc_end261-_ZN7rocprim17ROCPRIM_400000_NS6detail17trampoline_kernelINS0_14default_configENS1_27scan_by_key_config_selectorIssEEZZNS1_16scan_by_key_implILNS1_25lookback_scan_determinismE0ELb0ES3_N6thrust23THRUST_200600_302600_NS6detail15normal_iteratorINS9_10device_ptrIsEEEESE_SE_sNS9_4plusIvEENS9_8equal_toIvEEsEE10hipError_tPvRmT2_T3_T4_T5_mT6_T7_P12ihipStream_tbENKUlT_T0_E_clISt17integral_constantIbLb1EESY_IbLb0EEEEDaSU_SV_EUlSU_E_NS1_11comp_targetILNS1_3genE0ELNS1_11target_archE4294967295ELNS1_3gpuE0ELNS1_3repE0EEENS1_30default_config_static_selectorELNS0_4arch9wavefront6targetE0EEEvT1_
                                        ; -- End function
	.set _ZN7rocprim17ROCPRIM_400000_NS6detail17trampoline_kernelINS0_14default_configENS1_27scan_by_key_config_selectorIssEEZZNS1_16scan_by_key_implILNS1_25lookback_scan_determinismE0ELb0ES3_N6thrust23THRUST_200600_302600_NS6detail15normal_iteratorINS9_10device_ptrIsEEEESE_SE_sNS9_4plusIvEENS9_8equal_toIvEEsEE10hipError_tPvRmT2_T3_T4_T5_mT6_T7_P12ihipStream_tbENKUlT_T0_E_clISt17integral_constantIbLb1EESY_IbLb0EEEEDaSU_SV_EUlSU_E_NS1_11comp_targetILNS1_3genE0ELNS1_11target_archE4294967295ELNS1_3gpuE0ELNS1_3repE0EEENS1_30default_config_static_selectorELNS0_4arch9wavefront6targetE0EEEvT1_.num_vgpr, 0
	.set _ZN7rocprim17ROCPRIM_400000_NS6detail17trampoline_kernelINS0_14default_configENS1_27scan_by_key_config_selectorIssEEZZNS1_16scan_by_key_implILNS1_25lookback_scan_determinismE0ELb0ES3_N6thrust23THRUST_200600_302600_NS6detail15normal_iteratorINS9_10device_ptrIsEEEESE_SE_sNS9_4plusIvEENS9_8equal_toIvEEsEE10hipError_tPvRmT2_T3_T4_T5_mT6_T7_P12ihipStream_tbENKUlT_T0_E_clISt17integral_constantIbLb1EESY_IbLb0EEEEDaSU_SV_EUlSU_E_NS1_11comp_targetILNS1_3genE0ELNS1_11target_archE4294967295ELNS1_3gpuE0ELNS1_3repE0EEENS1_30default_config_static_selectorELNS0_4arch9wavefront6targetE0EEEvT1_.num_agpr, 0
	.set _ZN7rocprim17ROCPRIM_400000_NS6detail17trampoline_kernelINS0_14default_configENS1_27scan_by_key_config_selectorIssEEZZNS1_16scan_by_key_implILNS1_25lookback_scan_determinismE0ELb0ES3_N6thrust23THRUST_200600_302600_NS6detail15normal_iteratorINS9_10device_ptrIsEEEESE_SE_sNS9_4plusIvEENS9_8equal_toIvEEsEE10hipError_tPvRmT2_T3_T4_T5_mT6_T7_P12ihipStream_tbENKUlT_T0_E_clISt17integral_constantIbLb1EESY_IbLb0EEEEDaSU_SV_EUlSU_E_NS1_11comp_targetILNS1_3genE0ELNS1_11target_archE4294967295ELNS1_3gpuE0ELNS1_3repE0EEENS1_30default_config_static_selectorELNS0_4arch9wavefront6targetE0EEEvT1_.numbered_sgpr, 0
	.set _ZN7rocprim17ROCPRIM_400000_NS6detail17trampoline_kernelINS0_14default_configENS1_27scan_by_key_config_selectorIssEEZZNS1_16scan_by_key_implILNS1_25lookback_scan_determinismE0ELb0ES3_N6thrust23THRUST_200600_302600_NS6detail15normal_iteratorINS9_10device_ptrIsEEEESE_SE_sNS9_4plusIvEENS9_8equal_toIvEEsEE10hipError_tPvRmT2_T3_T4_T5_mT6_T7_P12ihipStream_tbENKUlT_T0_E_clISt17integral_constantIbLb1EESY_IbLb0EEEEDaSU_SV_EUlSU_E_NS1_11comp_targetILNS1_3genE0ELNS1_11target_archE4294967295ELNS1_3gpuE0ELNS1_3repE0EEENS1_30default_config_static_selectorELNS0_4arch9wavefront6targetE0EEEvT1_.num_named_barrier, 0
	.set _ZN7rocprim17ROCPRIM_400000_NS6detail17trampoline_kernelINS0_14default_configENS1_27scan_by_key_config_selectorIssEEZZNS1_16scan_by_key_implILNS1_25lookback_scan_determinismE0ELb0ES3_N6thrust23THRUST_200600_302600_NS6detail15normal_iteratorINS9_10device_ptrIsEEEESE_SE_sNS9_4plusIvEENS9_8equal_toIvEEsEE10hipError_tPvRmT2_T3_T4_T5_mT6_T7_P12ihipStream_tbENKUlT_T0_E_clISt17integral_constantIbLb1EESY_IbLb0EEEEDaSU_SV_EUlSU_E_NS1_11comp_targetILNS1_3genE0ELNS1_11target_archE4294967295ELNS1_3gpuE0ELNS1_3repE0EEENS1_30default_config_static_selectorELNS0_4arch9wavefront6targetE0EEEvT1_.private_seg_size, 0
	.set _ZN7rocprim17ROCPRIM_400000_NS6detail17trampoline_kernelINS0_14default_configENS1_27scan_by_key_config_selectorIssEEZZNS1_16scan_by_key_implILNS1_25lookback_scan_determinismE0ELb0ES3_N6thrust23THRUST_200600_302600_NS6detail15normal_iteratorINS9_10device_ptrIsEEEESE_SE_sNS9_4plusIvEENS9_8equal_toIvEEsEE10hipError_tPvRmT2_T3_T4_T5_mT6_T7_P12ihipStream_tbENKUlT_T0_E_clISt17integral_constantIbLb1EESY_IbLb0EEEEDaSU_SV_EUlSU_E_NS1_11comp_targetILNS1_3genE0ELNS1_11target_archE4294967295ELNS1_3gpuE0ELNS1_3repE0EEENS1_30default_config_static_selectorELNS0_4arch9wavefront6targetE0EEEvT1_.uses_vcc, 0
	.set _ZN7rocprim17ROCPRIM_400000_NS6detail17trampoline_kernelINS0_14default_configENS1_27scan_by_key_config_selectorIssEEZZNS1_16scan_by_key_implILNS1_25lookback_scan_determinismE0ELb0ES3_N6thrust23THRUST_200600_302600_NS6detail15normal_iteratorINS9_10device_ptrIsEEEESE_SE_sNS9_4plusIvEENS9_8equal_toIvEEsEE10hipError_tPvRmT2_T3_T4_T5_mT6_T7_P12ihipStream_tbENKUlT_T0_E_clISt17integral_constantIbLb1EESY_IbLb0EEEEDaSU_SV_EUlSU_E_NS1_11comp_targetILNS1_3genE0ELNS1_11target_archE4294967295ELNS1_3gpuE0ELNS1_3repE0EEENS1_30default_config_static_selectorELNS0_4arch9wavefront6targetE0EEEvT1_.uses_flat_scratch, 0
	.set _ZN7rocprim17ROCPRIM_400000_NS6detail17trampoline_kernelINS0_14default_configENS1_27scan_by_key_config_selectorIssEEZZNS1_16scan_by_key_implILNS1_25lookback_scan_determinismE0ELb0ES3_N6thrust23THRUST_200600_302600_NS6detail15normal_iteratorINS9_10device_ptrIsEEEESE_SE_sNS9_4plusIvEENS9_8equal_toIvEEsEE10hipError_tPvRmT2_T3_T4_T5_mT6_T7_P12ihipStream_tbENKUlT_T0_E_clISt17integral_constantIbLb1EESY_IbLb0EEEEDaSU_SV_EUlSU_E_NS1_11comp_targetILNS1_3genE0ELNS1_11target_archE4294967295ELNS1_3gpuE0ELNS1_3repE0EEENS1_30default_config_static_selectorELNS0_4arch9wavefront6targetE0EEEvT1_.has_dyn_sized_stack, 0
	.set _ZN7rocprim17ROCPRIM_400000_NS6detail17trampoline_kernelINS0_14default_configENS1_27scan_by_key_config_selectorIssEEZZNS1_16scan_by_key_implILNS1_25lookback_scan_determinismE0ELb0ES3_N6thrust23THRUST_200600_302600_NS6detail15normal_iteratorINS9_10device_ptrIsEEEESE_SE_sNS9_4plusIvEENS9_8equal_toIvEEsEE10hipError_tPvRmT2_T3_T4_T5_mT6_T7_P12ihipStream_tbENKUlT_T0_E_clISt17integral_constantIbLb1EESY_IbLb0EEEEDaSU_SV_EUlSU_E_NS1_11comp_targetILNS1_3genE0ELNS1_11target_archE4294967295ELNS1_3gpuE0ELNS1_3repE0EEENS1_30default_config_static_selectorELNS0_4arch9wavefront6targetE0EEEvT1_.has_recursion, 0
	.set _ZN7rocprim17ROCPRIM_400000_NS6detail17trampoline_kernelINS0_14default_configENS1_27scan_by_key_config_selectorIssEEZZNS1_16scan_by_key_implILNS1_25lookback_scan_determinismE0ELb0ES3_N6thrust23THRUST_200600_302600_NS6detail15normal_iteratorINS9_10device_ptrIsEEEESE_SE_sNS9_4plusIvEENS9_8equal_toIvEEsEE10hipError_tPvRmT2_T3_T4_T5_mT6_T7_P12ihipStream_tbENKUlT_T0_E_clISt17integral_constantIbLb1EESY_IbLb0EEEEDaSU_SV_EUlSU_E_NS1_11comp_targetILNS1_3genE0ELNS1_11target_archE4294967295ELNS1_3gpuE0ELNS1_3repE0EEENS1_30default_config_static_selectorELNS0_4arch9wavefront6targetE0EEEvT1_.has_indirect_call, 0
	.section	.AMDGPU.csdata,"",@progbits
; Kernel info:
; codeLenInByte = 4
; TotalNumSgprs: 0
; NumVgprs: 0
; ScratchSize: 0
; MemoryBound: 0
; FloatMode: 240
; IeeeMode: 1
; LDSByteSize: 0 bytes/workgroup (compile time only)
; SGPRBlocks: 0
; VGPRBlocks: 0
; NumSGPRsForWavesPerEU: 1
; NumVGPRsForWavesPerEU: 1
; NamedBarCnt: 0
; Occupancy: 16
; WaveLimiterHint : 0
; COMPUTE_PGM_RSRC2:SCRATCH_EN: 0
; COMPUTE_PGM_RSRC2:USER_SGPR: 2
; COMPUTE_PGM_RSRC2:TRAP_HANDLER: 0
; COMPUTE_PGM_RSRC2:TGID_X_EN: 1
; COMPUTE_PGM_RSRC2:TGID_Y_EN: 0
; COMPUTE_PGM_RSRC2:TGID_Z_EN: 0
; COMPUTE_PGM_RSRC2:TIDIG_COMP_CNT: 0
	.section	.text._ZN7rocprim17ROCPRIM_400000_NS6detail17trampoline_kernelINS0_14default_configENS1_27scan_by_key_config_selectorIssEEZZNS1_16scan_by_key_implILNS1_25lookback_scan_determinismE0ELb0ES3_N6thrust23THRUST_200600_302600_NS6detail15normal_iteratorINS9_10device_ptrIsEEEESE_SE_sNS9_4plusIvEENS9_8equal_toIvEEsEE10hipError_tPvRmT2_T3_T4_T5_mT6_T7_P12ihipStream_tbENKUlT_T0_E_clISt17integral_constantIbLb1EESY_IbLb0EEEEDaSU_SV_EUlSU_E_NS1_11comp_targetILNS1_3genE10ELNS1_11target_archE1201ELNS1_3gpuE5ELNS1_3repE0EEENS1_30default_config_static_selectorELNS0_4arch9wavefront6targetE0EEEvT1_,"axG",@progbits,_ZN7rocprim17ROCPRIM_400000_NS6detail17trampoline_kernelINS0_14default_configENS1_27scan_by_key_config_selectorIssEEZZNS1_16scan_by_key_implILNS1_25lookback_scan_determinismE0ELb0ES3_N6thrust23THRUST_200600_302600_NS6detail15normal_iteratorINS9_10device_ptrIsEEEESE_SE_sNS9_4plusIvEENS9_8equal_toIvEEsEE10hipError_tPvRmT2_T3_T4_T5_mT6_T7_P12ihipStream_tbENKUlT_T0_E_clISt17integral_constantIbLb1EESY_IbLb0EEEEDaSU_SV_EUlSU_E_NS1_11comp_targetILNS1_3genE10ELNS1_11target_archE1201ELNS1_3gpuE5ELNS1_3repE0EEENS1_30default_config_static_selectorELNS0_4arch9wavefront6targetE0EEEvT1_,comdat
	.protected	_ZN7rocprim17ROCPRIM_400000_NS6detail17trampoline_kernelINS0_14default_configENS1_27scan_by_key_config_selectorIssEEZZNS1_16scan_by_key_implILNS1_25lookback_scan_determinismE0ELb0ES3_N6thrust23THRUST_200600_302600_NS6detail15normal_iteratorINS9_10device_ptrIsEEEESE_SE_sNS9_4plusIvEENS9_8equal_toIvEEsEE10hipError_tPvRmT2_T3_T4_T5_mT6_T7_P12ihipStream_tbENKUlT_T0_E_clISt17integral_constantIbLb1EESY_IbLb0EEEEDaSU_SV_EUlSU_E_NS1_11comp_targetILNS1_3genE10ELNS1_11target_archE1201ELNS1_3gpuE5ELNS1_3repE0EEENS1_30default_config_static_selectorELNS0_4arch9wavefront6targetE0EEEvT1_ ; -- Begin function _ZN7rocprim17ROCPRIM_400000_NS6detail17trampoline_kernelINS0_14default_configENS1_27scan_by_key_config_selectorIssEEZZNS1_16scan_by_key_implILNS1_25lookback_scan_determinismE0ELb0ES3_N6thrust23THRUST_200600_302600_NS6detail15normal_iteratorINS9_10device_ptrIsEEEESE_SE_sNS9_4plusIvEENS9_8equal_toIvEEsEE10hipError_tPvRmT2_T3_T4_T5_mT6_T7_P12ihipStream_tbENKUlT_T0_E_clISt17integral_constantIbLb1EESY_IbLb0EEEEDaSU_SV_EUlSU_E_NS1_11comp_targetILNS1_3genE10ELNS1_11target_archE1201ELNS1_3gpuE5ELNS1_3repE0EEENS1_30default_config_static_selectorELNS0_4arch9wavefront6targetE0EEEvT1_
	.globl	_ZN7rocprim17ROCPRIM_400000_NS6detail17trampoline_kernelINS0_14default_configENS1_27scan_by_key_config_selectorIssEEZZNS1_16scan_by_key_implILNS1_25lookback_scan_determinismE0ELb0ES3_N6thrust23THRUST_200600_302600_NS6detail15normal_iteratorINS9_10device_ptrIsEEEESE_SE_sNS9_4plusIvEENS9_8equal_toIvEEsEE10hipError_tPvRmT2_T3_T4_T5_mT6_T7_P12ihipStream_tbENKUlT_T0_E_clISt17integral_constantIbLb1EESY_IbLb0EEEEDaSU_SV_EUlSU_E_NS1_11comp_targetILNS1_3genE10ELNS1_11target_archE1201ELNS1_3gpuE5ELNS1_3repE0EEENS1_30default_config_static_selectorELNS0_4arch9wavefront6targetE0EEEvT1_
	.p2align	8
	.type	_ZN7rocprim17ROCPRIM_400000_NS6detail17trampoline_kernelINS0_14default_configENS1_27scan_by_key_config_selectorIssEEZZNS1_16scan_by_key_implILNS1_25lookback_scan_determinismE0ELb0ES3_N6thrust23THRUST_200600_302600_NS6detail15normal_iteratorINS9_10device_ptrIsEEEESE_SE_sNS9_4plusIvEENS9_8equal_toIvEEsEE10hipError_tPvRmT2_T3_T4_T5_mT6_T7_P12ihipStream_tbENKUlT_T0_E_clISt17integral_constantIbLb1EESY_IbLb0EEEEDaSU_SV_EUlSU_E_NS1_11comp_targetILNS1_3genE10ELNS1_11target_archE1201ELNS1_3gpuE5ELNS1_3repE0EEENS1_30default_config_static_selectorELNS0_4arch9wavefront6targetE0EEEvT1_,@function
_ZN7rocprim17ROCPRIM_400000_NS6detail17trampoline_kernelINS0_14default_configENS1_27scan_by_key_config_selectorIssEEZZNS1_16scan_by_key_implILNS1_25lookback_scan_determinismE0ELb0ES3_N6thrust23THRUST_200600_302600_NS6detail15normal_iteratorINS9_10device_ptrIsEEEESE_SE_sNS9_4plusIvEENS9_8equal_toIvEEsEE10hipError_tPvRmT2_T3_T4_T5_mT6_T7_P12ihipStream_tbENKUlT_T0_E_clISt17integral_constantIbLb1EESY_IbLb0EEEEDaSU_SV_EUlSU_E_NS1_11comp_targetILNS1_3genE10ELNS1_11target_archE1201ELNS1_3gpuE5ELNS1_3repE0EEENS1_30default_config_static_selectorELNS0_4arch9wavefront6targetE0EEEvT1_: ; @_ZN7rocprim17ROCPRIM_400000_NS6detail17trampoline_kernelINS0_14default_configENS1_27scan_by_key_config_selectorIssEEZZNS1_16scan_by_key_implILNS1_25lookback_scan_determinismE0ELb0ES3_N6thrust23THRUST_200600_302600_NS6detail15normal_iteratorINS9_10device_ptrIsEEEESE_SE_sNS9_4plusIvEENS9_8equal_toIvEEsEE10hipError_tPvRmT2_T3_T4_T5_mT6_T7_P12ihipStream_tbENKUlT_T0_E_clISt17integral_constantIbLb1EESY_IbLb0EEEEDaSU_SV_EUlSU_E_NS1_11comp_targetILNS1_3genE10ELNS1_11target_archE1201ELNS1_3gpuE5ELNS1_3repE0EEENS1_30default_config_static_selectorELNS0_4arch9wavefront6targetE0EEEvT1_
; %bb.0:
	.section	.rodata,"a",@progbits
	.p2align	6, 0x0
	.amdhsa_kernel _ZN7rocprim17ROCPRIM_400000_NS6detail17trampoline_kernelINS0_14default_configENS1_27scan_by_key_config_selectorIssEEZZNS1_16scan_by_key_implILNS1_25lookback_scan_determinismE0ELb0ES3_N6thrust23THRUST_200600_302600_NS6detail15normal_iteratorINS9_10device_ptrIsEEEESE_SE_sNS9_4plusIvEENS9_8equal_toIvEEsEE10hipError_tPvRmT2_T3_T4_T5_mT6_T7_P12ihipStream_tbENKUlT_T0_E_clISt17integral_constantIbLb1EESY_IbLb0EEEEDaSU_SV_EUlSU_E_NS1_11comp_targetILNS1_3genE10ELNS1_11target_archE1201ELNS1_3gpuE5ELNS1_3repE0EEENS1_30default_config_static_selectorELNS0_4arch9wavefront6targetE0EEEvT1_
		.amdhsa_group_segment_fixed_size 0
		.amdhsa_private_segment_fixed_size 0
		.amdhsa_kernarg_size 112
		.amdhsa_user_sgpr_count 2
		.amdhsa_user_sgpr_dispatch_ptr 0
		.amdhsa_user_sgpr_queue_ptr 0
		.amdhsa_user_sgpr_kernarg_segment_ptr 1
		.amdhsa_user_sgpr_dispatch_id 0
		.amdhsa_user_sgpr_kernarg_preload_length 0
		.amdhsa_user_sgpr_kernarg_preload_offset 0
		.amdhsa_user_sgpr_private_segment_size 0
		.amdhsa_wavefront_size32 1
		.amdhsa_uses_dynamic_stack 0
		.amdhsa_enable_private_segment 0
		.amdhsa_system_sgpr_workgroup_id_x 1
		.amdhsa_system_sgpr_workgroup_id_y 0
		.amdhsa_system_sgpr_workgroup_id_z 0
		.amdhsa_system_sgpr_workgroup_info 0
		.amdhsa_system_vgpr_workitem_id 0
		.amdhsa_next_free_vgpr 1
		.amdhsa_next_free_sgpr 1
		.amdhsa_named_barrier_count 0
		.amdhsa_reserve_vcc 0
		.amdhsa_float_round_mode_32 0
		.amdhsa_float_round_mode_16_64 0
		.amdhsa_float_denorm_mode_32 3
		.amdhsa_float_denorm_mode_16_64 3
		.amdhsa_fp16_overflow 0
		.amdhsa_memory_ordered 1
		.amdhsa_forward_progress 1
		.amdhsa_inst_pref_size 0
		.amdhsa_round_robin_scheduling 0
		.amdhsa_exception_fp_ieee_invalid_op 0
		.amdhsa_exception_fp_denorm_src 0
		.amdhsa_exception_fp_ieee_div_zero 0
		.amdhsa_exception_fp_ieee_overflow 0
		.amdhsa_exception_fp_ieee_underflow 0
		.amdhsa_exception_fp_ieee_inexact 0
		.amdhsa_exception_int_div_zero 0
	.end_amdhsa_kernel
	.section	.text._ZN7rocprim17ROCPRIM_400000_NS6detail17trampoline_kernelINS0_14default_configENS1_27scan_by_key_config_selectorIssEEZZNS1_16scan_by_key_implILNS1_25lookback_scan_determinismE0ELb0ES3_N6thrust23THRUST_200600_302600_NS6detail15normal_iteratorINS9_10device_ptrIsEEEESE_SE_sNS9_4plusIvEENS9_8equal_toIvEEsEE10hipError_tPvRmT2_T3_T4_T5_mT6_T7_P12ihipStream_tbENKUlT_T0_E_clISt17integral_constantIbLb1EESY_IbLb0EEEEDaSU_SV_EUlSU_E_NS1_11comp_targetILNS1_3genE10ELNS1_11target_archE1201ELNS1_3gpuE5ELNS1_3repE0EEENS1_30default_config_static_selectorELNS0_4arch9wavefront6targetE0EEEvT1_,"axG",@progbits,_ZN7rocprim17ROCPRIM_400000_NS6detail17trampoline_kernelINS0_14default_configENS1_27scan_by_key_config_selectorIssEEZZNS1_16scan_by_key_implILNS1_25lookback_scan_determinismE0ELb0ES3_N6thrust23THRUST_200600_302600_NS6detail15normal_iteratorINS9_10device_ptrIsEEEESE_SE_sNS9_4plusIvEENS9_8equal_toIvEEsEE10hipError_tPvRmT2_T3_T4_T5_mT6_T7_P12ihipStream_tbENKUlT_T0_E_clISt17integral_constantIbLb1EESY_IbLb0EEEEDaSU_SV_EUlSU_E_NS1_11comp_targetILNS1_3genE10ELNS1_11target_archE1201ELNS1_3gpuE5ELNS1_3repE0EEENS1_30default_config_static_selectorELNS0_4arch9wavefront6targetE0EEEvT1_,comdat
.Lfunc_end262:
	.size	_ZN7rocprim17ROCPRIM_400000_NS6detail17trampoline_kernelINS0_14default_configENS1_27scan_by_key_config_selectorIssEEZZNS1_16scan_by_key_implILNS1_25lookback_scan_determinismE0ELb0ES3_N6thrust23THRUST_200600_302600_NS6detail15normal_iteratorINS9_10device_ptrIsEEEESE_SE_sNS9_4plusIvEENS9_8equal_toIvEEsEE10hipError_tPvRmT2_T3_T4_T5_mT6_T7_P12ihipStream_tbENKUlT_T0_E_clISt17integral_constantIbLb1EESY_IbLb0EEEEDaSU_SV_EUlSU_E_NS1_11comp_targetILNS1_3genE10ELNS1_11target_archE1201ELNS1_3gpuE5ELNS1_3repE0EEENS1_30default_config_static_selectorELNS0_4arch9wavefront6targetE0EEEvT1_, .Lfunc_end262-_ZN7rocprim17ROCPRIM_400000_NS6detail17trampoline_kernelINS0_14default_configENS1_27scan_by_key_config_selectorIssEEZZNS1_16scan_by_key_implILNS1_25lookback_scan_determinismE0ELb0ES3_N6thrust23THRUST_200600_302600_NS6detail15normal_iteratorINS9_10device_ptrIsEEEESE_SE_sNS9_4plusIvEENS9_8equal_toIvEEsEE10hipError_tPvRmT2_T3_T4_T5_mT6_T7_P12ihipStream_tbENKUlT_T0_E_clISt17integral_constantIbLb1EESY_IbLb0EEEEDaSU_SV_EUlSU_E_NS1_11comp_targetILNS1_3genE10ELNS1_11target_archE1201ELNS1_3gpuE5ELNS1_3repE0EEENS1_30default_config_static_selectorELNS0_4arch9wavefront6targetE0EEEvT1_
                                        ; -- End function
	.set _ZN7rocprim17ROCPRIM_400000_NS6detail17trampoline_kernelINS0_14default_configENS1_27scan_by_key_config_selectorIssEEZZNS1_16scan_by_key_implILNS1_25lookback_scan_determinismE0ELb0ES3_N6thrust23THRUST_200600_302600_NS6detail15normal_iteratorINS9_10device_ptrIsEEEESE_SE_sNS9_4plusIvEENS9_8equal_toIvEEsEE10hipError_tPvRmT2_T3_T4_T5_mT6_T7_P12ihipStream_tbENKUlT_T0_E_clISt17integral_constantIbLb1EESY_IbLb0EEEEDaSU_SV_EUlSU_E_NS1_11comp_targetILNS1_3genE10ELNS1_11target_archE1201ELNS1_3gpuE5ELNS1_3repE0EEENS1_30default_config_static_selectorELNS0_4arch9wavefront6targetE0EEEvT1_.num_vgpr, 0
	.set _ZN7rocprim17ROCPRIM_400000_NS6detail17trampoline_kernelINS0_14default_configENS1_27scan_by_key_config_selectorIssEEZZNS1_16scan_by_key_implILNS1_25lookback_scan_determinismE0ELb0ES3_N6thrust23THRUST_200600_302600_NS6detail15normal_iteratorINS9_10device_ptrIsEEEESE_SE_sNS9_4plusIvEENS9_8equal_toIvEEsEE10hipError_tPvRmT2_T3_T4_T5_mT6_T7_P12ihipStream_tbENKUlT_T0_E_clISt17integral_constantIbLb1EESY_IbLb0EEEEDaSU_SV_EUlSU_E_NS1_11comp_targetILNS1_3genE10ELNS1_11target_archE1201ELNS1_3gpuE5ELNS1_3repE0EEENS1_30default_config_static_selectorELNS0_4arch9wavefront6targetE0EEEvT1_.num_agpr, 0
	.set _ZN7rocprim17ROCPRIM_400000_NS6detail17trampoline_kernelINS0_14default_configENS1_27scan_by_key_config_selectorIssEEZZNS1_16scan_by_key_implILNS1_25lookback_scan_determinismE0ELb0ES3_N6thrust23THRUST_200600_302600_NS6detail15normal_iteratorINS9_10device_ptrIsEEEESE_SE_sNS9_4plusIvEENS9_8equal_toIvEEsEE10hipError_tPvRmT2_T3_T4_T5_mT6_T7_P12ihipStream_tbENKUlT_T0_E_clISt17integral_constantIbLb1EESY_IbLb0EEEEDaSU_SV_EUlSU_E_NS1_11comp_targetILNS1_3genE10ELNS1_11target_archE1201ELNS1_3gpuE5ELNS1_3repE0EEENS1_30default_config_static_selectorELNS0_4arch9wavefront6targetE0EEEvT1_.numbered_sgpr, 0
	.set _ZN7rocprim17ROCPRIM_400000_NS6detail17trampoline_kernelINS0_14default_configENS1_27scan_by_key_config_selectorIssEEZZNS1_16scan_by_key_implILNS1_25lookback_scan_determinismE0ELb0ES3_N6thrust23THRUST_200600_302600_NS6detail15normal_iteratorINS9_10device_ptrIsEEEESE_SE_sNS9_4plusIvEENS9_8equal_toIvEEsEE10hipError_tPvRmT2_T3_T4_T5_mT6_T7_P12ihipStream_tbENKUlT_T0_E_clISt17integral_constantIbLb1EESY_IbLb0EEEEDaSU_SV_EUlSU_E_NS1_11comp_targetILNS1_3genE10ELNS1_11target_archE1201ELNS1_3gpuE5ELNS1_3repE0EEENS1_30default_config_static_selectorELNS0_4arch9wavefront6targetE0EEEvT1_.num_named_barrier, 0
	.set _ZN7rocprim17ROCPRIM_400000_NS6detail17trampoline_kernelINS0_14default_configENS1_27scan_by_key_config_selectorIssEEZZNS1_16scan_by_key_implILNS1_25lookback_scan_determinismE0ELb0ES3_N6thrust23THRUST_200600_302600_NS6detail15normal_iteratorINS9_10device_ptrIsEEEESE_SE_sNS9_4plusIvEENS9_8equal_toIvEEsEE10hipError_tPvRmT2_T3_T4_T5_mT6_T7_P12ihipStream_tbENKUlT_T0_E_clISt17integral_constantIbLb1EESY_IbLb0EEEEDaSU_SV_EUlSU_E_NS1_11comp_targetILNS1_3genE10ELNS1_11target_archE1201ELNS1_3gpuE5ELNS1_3repE0EEENS1_30default_config_static_selectorELNS0_4arch9wavefront6targetE0EEEvT1_.private_seg_size, 0
	.set _ZN7rocprim17ROCPRIM_400000_NS6detail17trampoline_kernelINS0_14default_configENS1_27scan_by_key_config_selectorIssEEZZNS1_16scan_by_key_implILNS1_25lookback_scan_determinismE0ELb0ES3_N6thrust23THRUST_200600_302600_NS6detail15normal_iteratorINS9_10device_ptrIsEEEESE_SE_sNS9_4plusIvEENS9_8equal_toIvEEsEE10hipError_tPvRmT2_T3_T4_T5_mT6_T7_P12ihipStream_tbENKUlT_T0_E_clISt17integral_constantIbLb1EESY_IbLb0EEEEDaSU_SV_EUlSU_E_NS1_11comp_targetILNS1_3genE10ELNS1_11target_archE1201ELNS1_3gpuE5ELNS1_3repE0EEENS1_30default_config_static_selectorELNS0_4arch9wavefront6targetE0EEEvT1_.uses_vcc, 0
	.set _ZN7rocprim17ROCPRIM_400000_NS6detail17trampoline_kernelINS0_14default_configENS1_27scan_by_key_config_selectorIssEEZZNS1_16scan_by_key_implILNS1_25lookback_scan_determinismE0ELb0ES3_N6thrust23THRUST_200600_302600_NS6detail15normal_iteratorINS9_10device_ptrIsEEEESE_SE_sNS9_4plusIvEENS9_8equal_toIvEEsEE10hipError_tPvRmT2_T3_T4_T5_mT6_T7_P12ihipStream_tbENKUlT_T0_E_clISt17integral_constantIbLb1EESY_IbLb0EEEEDaSU_SV_EUlSU_E_NS1_11comp_targetILNS1_3genE10ELNS1_11target_archE1201ELNS1_3gpuE5ELNS1_3repE0EEENS1_30default_config_static_selectorELNS0_4arch9wavefront6targetE0EEEvT1_.uses_flat_scratch, 0
	.set _ZN7rocprim17ROCPRIM_400000_NS6detail17trampoline_kernelINS0_14default_configENS1_27scan_by_key_config_selectorIssEEZZNS1_16scan_by_key_implILNS1_25lookback_scan_determinismE0ELb0ES3_N6thrust23THRUST_200600_302600_NS6detail15normal_iteratorINS9_10device_ptrIsEEEESE_SE_sNS9_4plusIvEENS9_8equal_toIvEEsEE10hipError_tPvRmT2_T3_T4_T5_mT6_T7_P12ihipStream_tbENKUlT_T0_E_clISt17integral_constantIbLb1EESY_IbLb0EEEEDaSU_SV_EUlSU_E_NS1_11comp_targetILNS1_3genE10ELNS1_11target_archE1201ELNS1_3gpuE5ELNS1_3repE0EEENS1_30default_config_static_selectorELNS0_4arch9wavefront6targetE0EEEvT1_.has_dyn_sized_stack, 0
	.set _ZN7rocprim17ROCPRIM_400000_NS6detail17trampoline_kernelINS0_14default_configENS1_27scan_by_key_config_selectorIssEEZZNS1_16scan_by_key_implILNS1_25lookback_scan_determinismE0ELb0ES3_N6thrust23THRUST_200600_302600_NS6detail15normal_iteratorINS9_10device_ptrIsEEEESE_SE_sNS9_4plusIvEENS9_8equal_toIvEEsEE10hipError_tPvRmT2_T3_T4_T5_mT6_T7_P12ihipStream_tbENKUlT_T0_E_clISt17integral_constantIbLb1EESY_IbLb0EEEEDaSU_SV_EUlSU_E_NS1_11comp_targetILNS1_3genE10ELNS1_11target_archE1201ELNS1_3gpuE5ELNS1_3repE0EEENS1_30default_config_static_selectorELNS0_4arch9wavefront6targetE0EEEvT1_.has_recursion, 0
	.set _ZN7rocprim17ROCPRIM_400000_NS6detail17trampoline_kernelINS0_14default_configENS1_27scan_by_key_config_selectorIssEEZZNS1_16scan_by_key_implILNS1_25lookback_scan_determinismE0ELb0ES3_N6thrust23THRUST_200600_302600_NS6detail15normal_iteratorINS9_10device_ptrIsEEEESE_SE_sNS9_4plusIvEENS9_8equal_toIvEEsEE10hipError_tPvRmT2_T3_T4_T5_mT6_T7_P12ihipStream_tbENKUlT_T0_E_clISt17integral_constantIbLb1EESY_IbLb0EEEEDaSU_SV_EUlSU_E_NS1_11comp_targetILNS1_3genE10ELNS1_11target_archE1201ELNS1_3gpuE5ELNS1_3repE0EEENS1_30default_config_static_selectorELNS0_4arch9wavefront6targetE0EEEvT1_.has_indirect_call, 0
	.section	.AMDGPU.csdata,"",@progbits
; Kernel info:
; codeLenInByte = 0
; TotalNumSgprs: 0
; NumVgprs: 0
; ScratchSize: 0
; MemoryBound: 0
; FloatMode: 240
; IeeeMode: 1
; LDSByteSize: 0 bytes/workgroup (compile time only)
; SGPRBlocks: 0
; VGPRBlocks: 0
; NumSGPRsForWavesPerEU: 1
; NumVGPRsForWavesPerEU: 1
; NamedBarCnt: 0
; Occupancy: 16
; WaveLimiterHint : 0
; COMPUTE_PGM_RSRC2:SCRATCH_EN: 0
; COMPUTE_PGM_RSRC2:USER_SGPR: 2
; COMPUTE_PGM_RSRC2:TRAP_HANDLER: 0
; COMPUTE_PGM_RSRC2:TGID_X_EN: 1
; COMPUTE_PGM_RSRC2:TGID_Y_EN: 0
; COMPUTE_PGM_RSRC2:TGID_Z_EN: 0
; COMPUTE_PGM_RSRC2:TIDIG_COMP_CNT: 0
	.section	.text._ZN7rocprim17ROCPRIM_400000_NS6detail17trampoline_kernelINS0_14default_configENS1_27scan_by_key_config_selectorIssEEZZNS1_16scan_by_key_implILNS1_25lookback_scan_determinismE0ELb0ES3_N6thrust23THRUST_200600_302600_NS6detail15normal_iteratorINS9_10device_ptrIsEEEESE_SE_sNS9_4plusIvEENS9_8equal_toIvEEsEE10hipError_tPvRmT2_T3_T4_T5_mT6_T7_P12ihipStream_tbENKUlT_T0_E_clISt17integral_constantIbLb1EESY_IbLb0EEEEDaSU_SV_EUlSU_E_NS1_11comp_targetILNS1_3genE5ELNS1_11target_archE942ELNS1_3gpuE9ELNS1_3repE0EEENS1_30default_config_static_selectorELNS0_4arch9wavefront6targetE0EEEvT1_,"axG",@progbits,_ZN7rocprim17ROCPRIM_400000_NS6detail17trampoline_kernelINS0_14default_configENS1_27scan_by_key_config_selectorIssEEZZNS1_16scan_by_key_implILNS1_25lookback_scan_determinismE0ELb0ES3_N6thrust23THRUST_200600_302600_NS6detail15normal_iteratorINS9_10device_ptrIsEEEESE_SE_sNS9_4plusIvEENS9_8equal_toIvEEsEE10hipError_tPvRmT2_T3_T4_T5_mT6_T7_P12ihipStream_tbENKUlT_T0_E_clISt17integral_constantIbLb1EESY_IbLb0EEEEDaSU_SV_EUlSU_E_NS1_11comp_targetILNS1_3genE5ELNS1_11target_archE942ELNS1_3gpuE9ELNS1_3repE0EEENS1_30default_config_static_selectorELNS0_4arch9wavefront6targetE0EEEvT1_,comdat
	.protected	_ZN7rocprim17ROCPRIM_400000_NS6detail17trampoline_kernelINS0_14default_configENS1_27scan_by_key_config_selectorIssEEZZNS1_16scan_by_key_implILNS1_25lookback_scan_determinismE0ELb0ES3_N6thrust23THRUST_200600_302600_NS6detail15normal_iteratorINS9_10device_ptrIsEEEESE_SE_sNS9_4plusIvEENS9_8equal_toIvEEsEE10hipError_tPvRmT2_T3_T4_T5_mT6_T7_P12ihipStream_tbENKUlT_T0_E_clISt17integral_constantIbLb1EESY_IbLb0EEEEDaSU_SV_EUlSU_E_NS1_11comp_targetILNS1_3genE5ELNS1_11target_archE942ELNS1_3gpuE9ELNS1_3repE0EEENS1_30default_config_static_selectorELNS0_4arch9wavefront6targetE0EEEvT1_ ; -- Begin function _ZN7rocprim17ROCPRIM_400000_NS6detail17trampoline_kernelINS0_14default_configENS1_27scan_by_key_config_selectorIssEEZZNS1_16scan_by_key_implILNS1_25lookback_scan_determinismE0ELb0ES3_N6thrust23THRUST_200600_302600_NS6detail15normal_iteratorINS9_10device_ptrIsEEEESE_SE_sNS9_4plusIvEENS9_8equal_toIvEEsEE10hipError_tPvRmT2_T3_T4_T5_mT6_T7_P12ihipStream_tbENKUlT_T0_E_clISt17integral_constantIbLb1EESY_IbLb0EEEEDaSU_SV_EUlSU_E_NS1_11comp_targetILNS1_3genE5ELNS1_11target_archE942ELNS1_3gpuE9ELNS1_3repE0EEENS1_30default_config_static_selectorELNS0_4arch9wavefront6targetE0EEEvT1_
	.globl	_ZN7rocprim17ROCPRIM_400000_NS6detail17trampoline_kernelINS0_14default_configENS1_27scan_by_key_config_selectorIssEEZZNS1_16scan_by_key_implILNS1_25lookback_scan_determinismE0ELb0ES3_N6thrust23THRUST_200600_302600_NS6detail15normal_iteratorINS9_10device_ptrIsEEEESE_SE_sNS9_4plusIvEENS9_8equal_toIvEEsEE10hipError_tPvRmT2_T3_T4_T5_mT6_T7_P12ihipStream_tbENKUlT_T0_E_clISt17integral_constantIbLb1EESY_IbLb0EEEEDaSU_SV_EUlSU_E_NS1_11comp_targetILNS1_3genE5ELNS1_11target_archE942ELNS1_3gpuE9ELNS1_3repE0EEENS1_30default_config_static_selectorELNS0_4arch9wavefront6targetE0EEEvT1_
	.p2align	8
	.type	_ZN7rocprim17ROCPRIM_400000_NS6detail17trampoline_kernelINS0_14default_configENS1_27scan_by_key_config_selectorIssEEZZNS1_16scan_by_key_implILNS1_25lookback_scan_determinismE0ELb0ES3_N6thrust23THRUST_200600_302600_NS6detail15normal_iteratorINS9_10device_ptrIsEEEESE_SE_sNS9_4plusIvEENS9_8equal_toIvEEsEE10hipError_tPvRmT2_T3_T4_T5_mT6_T7_P12ihipStream_tbENKUlT_T0_E_clISt17integral_constantIbLb1EESY_IbLb0EEEEDaSU_SV_EUlSU_E_NS1_11comp_targetILNS1_3genE5ELNS1_11target_archE942ELNS1_3gpuE9ELNS1_3repE0EEENS1_30default_config_static_selectorELNS0_4arch9wavefront6targetE0EEEvT1_,@function
_ZN7rocprim17ROCPRIM_400000_NS6detail17trampoline_kernelINS0_14default_configENS1_27scan_by_key_config_selectorIssEEZZNS1_16scan_by_key_implILNS1_25lookback_scan_determinismE0ELb0ES3_N6thrust23THRUST_200600_302600_NS6detail15normal_iteratorINS9_10device_ptrIsEEEESE_SE_sNS9_4plusIvEENS9_8equal_toIvEEsEE10hipError_tPvRmT2_T3_T4_T5_mT6_T7_P12ihipStream_tbENKUlT_T0_E_clISt17integral_constantIbLb1EESY_IbLb0EEEEDaSU_SV_EUlSU_E_NS1_11comp_targetILNS1_3genE5ELNS1_11target_archE942ELNS1_3gpuE9ELNS1_3repE0EEENS1_30default_config_static_selectorELNS0_4arch9wavefront6targetE0EEEvT1_: ; @_ZN7rocprim17ROCPRIM_400000_NS6detail17trampoline_kernelINS0_14default_configENS1_27scan_by_key_config_selectorIssEEZZNS1_16scan_by_key_implILNS1_25lookback_scan_determinismE0ELb0ES3_N6thrust23THRUST_200600_302600_NS6detail15normal_iteratorINS9_10device_ptrIsEEEESE_SE_sNS9_4plusIvEENS9_8equal_toIvEEsEE10hipError_tPvRmT2_T3_T4_T5_mT6_T7_P12ihipStream_tbENKUlT_T0_E_clISt17integral_constantIbLb1EESY_IbLb0EEEEDaSU_SV_EUlSU_E_NS1_11comp_targetILNS1_3genE5ELNS1_11target_archE942ELNS1_3gpuE9ELNS1_3repE0EEENS1_30default_config_static_selectorELNS0_4arch9wavefront6targetE0EEEvT1_
; %bb.0:
	.section	.rodata,"a",@progbits
	.p2align	6, 0x0
	.amdhsa_kernel _ZN7rocprim17ROCPRIM_400000_NS6detail17trampoline_kernelINS0_14default_configENS1_27scan_by_key_config_selectorIssEEZZNS1_16scan_by_key_implILNS1_25lookback_scan_determinismE0ELb0ES3_N6thrust23THRUST_200600_302600_NS6detail15normal_iteratorINS9_10device_ptrIsEEEESE_SE_sNS9_4plusIvEENS9_8equal_toIvEEsEE10hipError_tPvRmT2_T3_T4_T5_mT6_T7_P12ihipStream_tbENKUlT_T0_E_clISt17integral_constantIbLb1EESY_IbLb0EEEEDaSU_SV_EUlSU_E_NS1_11comp_targetILNS1_3genE5ELNS1_11target_archE942ELNS1_3gpuE9ELNS1_3repE0EEENS1_30default_config_static_selectorELNS0_4arch9wavefront6targetE0EEEvT1_
		.amdhsa_group_segment_fixed_size 0
		.amdhsa_private_segment_fixed_size 0
		.amdhsa_kernarg_size 112
		.amdhsa_user_sgpr_count 2
		.amdhsa_user_sgpr_dispatch_ptr 0
		.amdhsa_user_sgpr_queue_ptr 0
		.amdhsa_user_sgpr_kernarg_segment_ptr 1
		.amdhsa_user_sgpr_dispatch_id 0
		.amdhsa_user_sgpr_kernarg_preload_length 0
		.amdhsa_user_sgpr_kernarg_preload_offset 0
		.amdhsa_user_sgpr_private_segment_size 0
		.amdhsa_wavefront_size32 1
		.amdhsa_uses_dynamic_stack 0
		.amdhsa_enable_private_segment 0
		.amdhsa_system_sgpr_workgroup_id_x 1
		.amdhsa_system_sgpr_workgroup_id_y 0
		.amdhsa_system_sgpr_workgroup_id_z 0
		.amdhsa_system_sgpr_workgroup_info 0
		.amdhsa_system_vgpr_workitem_id 0
		.amdhsa_next_free_vgpr 1
		.amdhsa_next_free_sgpr 1
		.amdhsa_named_barrier_count 0
		.amdhsa_reserve_vcc 0
		.amdhsa_float_round_mode_32 0
		.amdhsa_float_round_mode_16_64 0
		.amdhsa_float_denorm_mode_32 3
		.amdhsa_float_denorm_mode_16_64 3
		.amdhsa_fp16_overflow 0
		.amdhsa_memory_ordered 1
		.amdhsa_forward_progress 1
		.amdhsa_inst_pref_size 0
		.amdhsa_round_robin_scheduling 0
		.amdhsa_exception_fp_ieee_invalid_op 0
		.amdhsa_exception_fp_denorm_src 0
		.amdhsa_exception_fp_ieee_div_zero 0
		.amdhsa_exception_fp_ieee_overflow 0
		.amdhsa_exception_fp_ieee_underflow 0
		.amdhsa_exception_fp_ieee_inexact 0
		.amdhsa_exception_int_div_zero 0
	.end_amdhsa_kernel
	.section	.text._ZN7rocprim17ROCPRIM_400000_NS6detail17trampoline_kernelINS0_14default_configENS1_27scan_by_key_config_selectorIssEEZZNS1_16scan_by_key_implILNS1_25lookback_scan_determinismE0ELb0ES3_N6thrust23THRUST_200600_302600_NS6detail15normal_iteratorINS9_10device_ptrIsEEEESE_SE_sNS9_4plusIvEENS9_8equal_toIvEEsEE10hipError_tPvRmT2_T3_T4_T5_mT6_T7_P12ihipStream_tbENKUlT_T0_E_clISt17integral_constantIbLb1EESY_IbLb0EEEEDaSU_SV_EUlSU_E_NS1_11comp_targetILNS1_3genE5ELNS1_11target_archE942ELNS1_3gpuE9ELNS1_3repE0EEENS1_30default_config_static_selectorELNS0_4arch9wavefront6targetE0EEEvT1_,"axG",@progbits,_ZN7rocprim17ROCPRIM_400000_NS6detail17trampoline_kernelINS0_14default_configENS1_27scan_by_key_config_selectorIssEEZZNS1_16scan_by_key_implILNS1_25lookback_scan_determinismE0ELb0ES3_N6thrust23THRUST_200600_302600_NS6detail15normal_iteratorINS9_10device_ptrIsEEEESE_SE_sNS9_4plusIvEENS9_8equal_toIvEEsEE10hipError_tPvRmT2_T3_T4_T5_mT6_T7_P12ihipStream_tbENKUlT_T0_E_clISt17integral_constantIbLb1EESY_IbLb0EEEEDaSU_SV_EUlSU_E_NS1_11comp_targetILNS1_3genE5ELNS1_11target_archE942ELNS1_3gpuE9ELNS1_3repE0EEENS1_30default_config_static_selectorELNS0_4arch9wavefront6targetE0EEEvT1_,comdat
.Lfunc_end263:
	.size	_ZN7rocprim17ROCPRIM_400000_NS6detail17trampoline_kernelINS0_14default_configENS1_27scan_by_key_config_selectorIssEEZZNS1_16scan_by_key_implILNS1_25lookback_scan_determinismE0ELb0ES3_N6thrust23THRUST_200600_302600_NS6detail15normal_iteratorINS9_10device_ptrIsEEEESE_SE_sNS9_4plusIvEENS9_8equal_toIvEEsEE10hipError_tPvRmT2_T3_T4_T5_mT6_T7_P12ihipStream_tbENKUlT_T0_E_clISt17integral_constantIbLb1EESY_IbLb0EEEEDaSU_SV_EUlSU_E_NS1_11comp_targetILNS1_3genE5ELNS1_11target_archE942ELNS1_3gpuE9ELNS1_3repE0EEENS1_30default_config_static_selectorELNS0_4arch9wavefront6targetE0EEEvT1_, .Lfunc_end263-_ZN7rocprim17ROCPRIM_400000_NS6detail17trampoline_kernelINS0_14default_configENS1_27scan_by_key_config_selectorIssEEZZNS1_16scan_by_key_implILNS1_25lookback_scan_determinismE0ELb0ES3_N6thrust23THRUST_200600_302600_NS6detail15normal_iteratorINS9_10device_ptrIsEEEESE_SE_sNS9_4plusIvEENS9_8equal_toIvEEsEE10hipError_tPvRmT2_T3_T4_T5_mT6_T7_P12ihipStream_tbENKUlT_T0_E_clISt17integral_constantIbLb1EESY_IbLb0EEEEDaSU_SV_EUlSU_E_NS1_11comp_targetILNS1_3genE5ELNS1_11target_archE942ELNS1_3gpuE9ELNS1_3repE0EEENS1_30default_config_static_selectorELNS0_4arch9wavefront6targetE0EEEvT1_
                                        ; -- End function
	.set _ZN7rocprim17ROCPRIM_400000_NS6detail17trampoline_kernelINS0_14default_configENS1_27scan_by_key_config_selectorIssEEZZNS1_16scan_by_key_implILNS1_25lookback_scan_determinismE0ELb0ES3_N6thrust23THRUST_200600_302600_NS6detail15normal_iteratorINS9_10device_ptrIsEEEESE_SE_sNS9_4plusIvEENS9_8equal_toIvEEsEE10hipError_tPvRmT2_T3_T4_T5_mT6_T7_P12ihipStream_tbENKUlT_T0_E_clISt17integral_constantIbLb1EESY_IbLb0EEEEDaSU_SV_EUlSU_E_NS1_11comp_targetILNS1_3genE5ELNS1_11target_archE942ELNS1_3gpuE9ELNS1_3repE0EEENS1_30default_config_static_selectorELNS0_4arch9wavefront6targetE0EEEvT1_.num_vgpr, 0
	.set _ZN7rocprim17ROCPRIM_400000_NS6detail17trampoline_kernelINS0_14default_configENS1_27scan_by_key_config_selectorIssEEZZNS1_16scan_by_key_implILNS1_25lookback_scan_determinismE0ELb0ES3_N6thrust23THRUST_200600_302600_NS6detail15normal_iteratorINS9_10device_ptrIsEEEESE_SE_sNS9_4plusIvEENS9_8equal_toIvEEsEE10hipError_tPvRmT2_T3_T4_T5_mT6_T7_P12ihipStream_tbENKUlT_T0_E_clISt17integral_constantIbLb1EESY_IbLb0EEEEDaSU_SV_EUlSU_E_NS1_11comp_targetILNS1_3genE5ELNS1_11target_archE942ELNS1_3gpuE9ELNS1_3repE0EEENS1_30default_config_static_selectorELNS0_4arch9wavefront6targetE0EEEvT1_.num_agpr, 0
	.set _ZN7rocprim17ROCPRIM_400000_NS6detail17trampoline_kernelINS0_14default_configENS1_27scan_by_key_config_selectorIssEEZZNS1_16scan_by_key_implILNS1_25lookback_scan_determinismE0ELb0ES3_N6thrust23THRUST_200600_302600_NS6detail15normal_iteratorINS9_10device_ptrIsEEEESE_SE_sNS9_4plusIvEENS9_8equal_toIvEEsEE10hipError_tPvRmT2_T3_T4_T5_mT6_T7_P12ihipStream_tbENKUlT_T0_E_clISt17integral_constantIbLb1EESY_IbLb0EEEEDaSU_SV_EUlSU_E_NS1_11comp_targetILNS1_3genE5ELNS1_11target_archE942ELNS1_3gpuE9ELNS1_3repE0EEENS1_30default_config_static_selectorELNS0_4arch9wavefront6targetE0EEEvT1_.numbered_sgpr, 0
	.set _ZN7rocprim17ROCPRIM_400000_NS6detail17trampoline_kernelINS0_14default_configENS1_27scan_by_key_config_selectorIssEEZZNS1_16scan_by_key_implILNS1_25lookback_scan_determinismE0ELb0ES3_N6thrust23THRUST_200600_302600_NS6detail15normal_iteratorINS9_10device_ptrIsEEEESE_SE_sNS9_4plusIvEENS9_8equal_toIvEEsEE10hipError_tPvRmT2_T3_T4_T5_mT6_T7_P12ihipStream_tbENKUlT_T0_E_clISt17integral_constantIbLb1EESY_IbLb0EEEEDaSU_SV_EUlSU_E_NS1_11comp_targetILNS1_3genE5ELNS1_11target_archE942ELNS1_3gpuE9ELNS1_3repE0EEENS1_30default_config_static_selectorELNS0_4arch9wavefront6targetE0EEEvT1_.num_named_barrier, 0
	.set _ZN7rocprim17ROCPRIM_400000_NS6detail17trampoline_kernelINS0_14default_configENS1_27scan_by_key_config_selectorIssEEZZNS1_16scan_by_key_implILNS1_25lookback_scan_determinismE0ELb0ES3_N6thrust23THRUST_200600_302600_NS6detail15normal_iteratorINS9_10device_ptrIsEEEESE_SE_sNS9_4plusIvEENS9_8equal_toIvEEsEE10hipError_tPvRmT2_T3_T4_T5_mT6_T7_P12ihipStream_tbENKUlT_T0_E_clISt17integral_constantIbLb1EESY_IbLb0EEEEDaSU_SV_EUlSU_E_NS1_11comp_targetILNS1_3genE5ELNS1_11target_archE942ELNS1_3gpuE9ELNS1_3repE0EEENS1_30default_config_static_selectorELNS0_4arch9wavefront6targetE0EEEvT1_.private_seg_size, 0
	.set _ZN7rocprim17ROCPRIM_400000_NS6detail17trampoline_kernelINS0_14default_configENS1_27scan_by_key_config_selectorIssEEZZNS1_16scan_by_key_implILNS1_25lookback_scan_determinismE0ELb0ES3_N6thrust23THRUST_200600_302600_NS6detail15normal_iteratorINS9_10device_ptrIsEEEESE_SE_sNS9_4plusIvEENS9_8equal_toIvEEsEE10hipError_tPvRmT2_T3_T4_T5_mT6_T7_P12ihipStream_tbENKUlT_T0_E_clISt17integral_constantIbLb1EESY_IbLb0EEEEDaSU_SV_EUlSU_E_NS1_11comp_targetILNS1_3genE5ELNS1_11target_archE942ELNS1_3gpuE9ELNS1_3repE0EEENS1_30default_config_static_selectorELNS0_4arch9wavefront6targetE0EEEvT1_.uses_vcc, 0
	.set _ZN7rocprim17ROCPRIM_400000_NS6detail17trampoline_kernelINS0_14default_configENS1_27scan_by_key_config_selectorIssEEZZNS1_16scan_by_key_implILNS1_25lookback_scan_determinismE0ELb0ES3_N6thrust23THRUST_200600_302600_NS6detail15normal_iteratorINS9_10device_ptrIsEEEESE_SE_sNS9_4plusIvEENS9_8equal_toIvEEsEE10hipError_tPvRmT2_T3_T4_T5_mT6_T7_P12ihipStream_tbENKUlT_T0_E_clISt17integral_constantIbLb1EESY_IbLb0EEEEDaSU_SV_EUlSU_E_NS1_11comp_targetILNS1_3genE5ELNS1_11target_archE942ELNS1_3gpuE9ELNS1_3repE0EEENS1_30default_config_static_selectorELNS0_4arch9wavefront6targetE0EEEvT1_.uses_flat_scratch, 0
	.set _ZN7rocprim17ROCPRIM_400000_NS6detail17trampoline_kernelINS0_14default_configENS1_27scan_by_key_config_selectorIssEEZZNS1_16scan_by_key_implILNS1_25lookback_scan_determinismE0ELb0ES3_N6thrust23THRUST_200600_302600_NS6detail15normal_iteratorINS9_10device_ptrIsEEEESE_SE_sNS9_4plusIvEENS9_8equal_toIvEEsEE10hipError_tPvRmT2_T3_T4_T5_mT6_T7_P12ihipStream_tbENKUlT_T0_E_clISt17integral_constantIbLb1EESY_IbLb0EEEEDaSU_SV_EUlSU_E_NS1_11comp_targetILNS1_3genE5ELNS1_11target_archE942ELNS1_3gpuE9ELNS1_3repE0EEENS1_30default_config_static_selectorELNS0_4arch9wavefront6targetE0EEEvT1_.has_dyn_sized_stack, 0
	.set _ZN7rocprim17ROCPRIM_400000_NS6detail17trampoline_kernelINS0_14default_configENS1_27scan_by_key_config_selectorIssEEZZNS1_16scan_by_key_implILNS1_25lookback_scan_determinismE0ELb0ES3_N6thrust23THRUST_200600_302600_NS6detail15normal_iteratorINS9_10device_ptrIsEEEESE_SE_sNS9_4plusIvEENS9_8equal_toIvEEsEE10hipError_tPvRmT2_T3_T4_T5_mT6_T7_P12ihipStream_tbENKUlT_T0_E_clISt17integral_constantIbLb1EESY_IbLb0EEEEDaSU_SV_EUlSU_E_NS1_11comp_targetILNS1_3genE5ELNS1_11target_archE942ELNS1_3gpuE9ELNS1_3repE0EEENS1_30default_config_static_selectorELNS0_4arch9wavefront6targetE0EEEvT1_.has_recursion, 0
	.set _ZN7rocprim17ROCPRIM_400000_NS6detail17trampoline_kernelINS0_14default_configENS1_27scan_by_key_config_selectorIssEEZZNS1_16scan_by_key_implILNS1_25lookback_scan_determinismE0ELb0ES3_N6thrust23THRUST_200600_302600_NS6detail15normal_iteratorINS9_10device_ptrIsEEEESE_SE_sNS9_4plusIvEENS9_8equal_toIvEEsEE10hipError_tPvRmT2_T3_T4_T5_mT6_T7_P12ihipStream_tbENKUlT_T0_E_clISt17integral_constantIbLb1EESY_IbLb0EEEEDaSU_SV_EUlSU_E_NS1_11comp_targetILNS1_3genE5ELNS1_11target_archE942ELNS1_3gpuE9ELNS1_3repE0EEENS1_30default_config_static_selectorELNS0_4arch9wavefront6targetE0EEEvT1_.has_indirect_call, 0
	.section	.AMDGPU.csdata,"",@progbits
; Kernel info:
; codeLenInByte = 0
; TotalNumSgprs: 0
; NumVgprs: 0
; ScratchSize: 0
; MemoryBound: 0
; FloatMode: 240
; IeeeMode: 1
; LDSByteSize: 0 bytes/workgroup (compile time only)
; SGPRBlocks: 0
; VGPRBlocks: 0
; NumSGPRsForWavesPerEU: 1
; NumVGPRsForWavesPerEU: 1
; NamedBarCnt: 0
; Occupancy: 16
; WaveLimiterHint : 0
; COMPUTE_PGM_RSRC2:SCRATCH_EN: 0
; COMPUTE_PGM_RSRC2:USER_SGPR: 2
; COMPUTE_PGM_RSRC2:TRAP_HANDLER: 0
; COMPUTE_PGM_RSRC2:TGID_X_EN: 1
; COMPUTE_PGM_RSRC2:TGID_Y_EN: 0
; COMPUTE_PGM_RSRC2:TGID_Z_EN: 0
; COMPUTE_PGM_RSRC2:TIDIG_COMP_CNT: 0
	.section	.text._ZN7rocprim17ROCPRIM_400000_NS6detail17trampoline_kernelINS0_14default_configENS1_27scan_by_key_config_selectorIssEEZZNS1_16scan_by_key_implILNS1_25lookback_scan_determinismE0ELb0ES3_N6thrust23THRUST_200600_302600_NS6detail15normal_iteratorINS9_10device_ptrIsEEEESE_SE_sNS9_4plusIvEENS9_8equal_toIvEEsEE10hipError_tPvRmT2_T3_T4_T5_mT6_T7_P12ihipStream_tbENKUlT_T0_E_clISt17integral_constantIbLb1EESY_IbLb0EEEEDaSU_SV_EUlSU_E_NS1_11comp_targetILNS1_3genE4ELNS1_11target_archE910ELNS1_3gpuE8ELNS1_3repE0EEENS1_30default_config_static_selectorELNS0_4arch9wavefront6targetE0EEEvT1_,"axG",@progbits,_ZN7rocprim17ROCPRIM_400000_NS6detail17trampoline_kernelINS0_14default_configENS1_27scan_by_key_config_selectorIssEEZZNS1_16scan_by_key_implILNS1_25lookback_scan_determinismE0ELb0ES3_N6thrust23THRUST_200600_302600_NS6detail15normal_iteratorINS9_10device_ptrIsEEEESE_SE_sNS9_4plusIvEENS9_8equal_toIvEEsEE10hipError_tPvRmT2_T3_T4_T5_mT6_T7_P12ihipStream_tbENKUlT_T0_E_clISt17integral_constantIbLb1EESY_IbLb0EEEEDaSU_SV_EUlSU_E_NS1_11comp_targetILNS1_3genE4ELNS1_11target_archE910ELNS1_3gpuE8ELNS1_3repE0EEENS1_30default_config_static_selectorELNS0_4arch9wavefront6targetE0EEEvT1_,comdat
	.protected	_ZN7rocprim17ROCPRIM_400000_NS6detail17trampoline_kernelINS0_14default_configENS1_27scan_by_key_config_selectorIssEEZZNS1_16scan_by_key_implILNS1_25lookback_scan_determinismE0ELb0ES3_N6thrust23THRUST_200600_302600_NS6detail15normal_iteratorINS9_10device_ptrIsEEEESE_SE_sNS9_4plusIvEENS9_8equal_toIvEEsEE10hipError_tPvRmT2_T3_T4_T5_mT6_T7_P12ihipStream_tbENKUlT_T0_E_clISt17integral_constantIbLb1EESY_IbLb0EEEEDaSU_SV_EUlSU_E_NS1_11comp_targetILNS1_3genE4ELNS1_11target_archE910ELNS1_3gpuE8ELNS1_3repE0EEENS1_30default_config_static_selectorELNS0_4arch9wavefront6targetE0EEEvT1_ ; -- Begin function _ZN7rocprim17ROCPRIM_400000_NS6detail17trampoline_kernelINS0_14default_configENS1_27scan_by_key_config_selectorIssEEZZNS1_16scan_by_key_implILNS1_25lookback_scan_determinismE0ELb0ES3_N6thrust23THRUST_200600_302600_NS6detail15normal_iteratorINS9_10device_ptrIsEEEESE_SE_sNS9_4plusIvEENS9_8equal_toIvEEsEE10hipError_tPvRmT2_T3_T4_T5_mT6_T7_P12ihipStream_tbENKUlT_T0_E_clISt17integral_constantIbLb1EESY_IbLb0EEEEDaSU_SV_EUlSU_E_NS1_11comp_targetILNS1_3genE4ELNS1_11target_archE910ELNS1_3gpuE8ELNS1_3repE0EEENS1_30default_config_static_selectorELNS0_4arch9wavefront6targetE0EEEvT1_
	.globl	_ZN7rocprim17ROCPRIM_400000_NS6detail17trampoline_kernelINS0_14default_configENS1_27scan_by_key_config_selectorIssEEZZNS1_16scan_by_key_implILNS1_25lookback_scan_determinismE0ELb0ES3_N6thrust23THRUST_200600_302600_NS6detail15normal_iteratorINS9_10device_ptrIsEEEESE_SE_sNS9_4plusIvEENS9_8equal_toIvEEsEE10hipError_tPvRmT2_T3_T4_T5_mT6_T7_P12ihipStream_tbENKUlT_T0_E_clISt17integral_constantIbLb1EESY_IbLb0EEEEDaSU_SV_EUlSU_E_NS1_11comp_targetILNS1_3genE4ELNS1_11target_archE910ELNS1_3gpuE8ELNS1_3repE0EEENS1_30default_config_static_selectorELNS0_4arch9wavefront6targetE0EEEvT1_
	.p2align	8
	.type	_ZN7rocprim17ROCPRIM_400000_NS6detail17trampoline_kernelINS0_14default_configENS1_27scan_by_key_config_selectorIssEEZZNS1_16scan_by_key_implILNS1_25lookback_scan_determinismE0ELb0ES3_N6thrust23THRUST_200600_302600_NS6detail15normal_iteratorINS9_10device_ptrIsEEEESE_SE_sNS9_4plusIvEENS9_8equal_toIvEEsEE10hipError_tPvRmT2_T3_T4_T5_mT6_T7_P12ihipStream_tbENKUlT_T0_E_clISt17integral_constantIbLb1EESY_IbLb0EEEEDaSU_SV_EUlSU_E_NS1_11comp_targetILNS1_3genE4ELNS1_11target_archE910ELNS1_3gpuE8ELNS1_3repE0EEENS1_30default_config_static_selectorELNS0_4arch9wavefront6targetE0EEEvT1_,@function
_ZN7rocprim17ROCPRIM_400000_NS6detail17trampoline_kernelINS0_14default_configENS1_27scan_by_key_config_selectorIssEEZZNS1_16scan_by_key_implILNS1_25lookback_scan_determinismE0ELb0ES3_N6thrust23THRUST_200600_302600_NS6detail15normal_iteratorINS9_10device_ptrIsEEEESE_SE_sNS9_4plusIvEENS9_8equal_toIvEEsEE10hipError_tPvRmT2_T3_T4_T5_mT6_T7_P12ihipStream_tbENKUlT_T0_E_clISt17integral_constantIbLb1EESY_IbLb0EEEEDaSU_SV_EUlSU_E_NS1_11comp_targetILNS1_3genE4ELNS1_11target_archE910ELNS1_3gpuE8ELNS1_3repE0EEENS1_30default_config_static_selectorELNS0_4arch9wavefront6targetE0EEEvT1_: ; @_ZN7rocprim17ROCPRIM_400000_NS6detail17trampoline_kernelINS0_14default_configENS1_27scan_by_key_config_selectorIssEEZZNS1_16scan_by_key_implILNS1_25lookback_scan_determinismE0ELb0ES3_N6thrust23THRUST_200600_302600_NS6detail15normal_iteratorINS9_10device_ptrIsEEEESE_SE_sNS9_4plusIvEENS9_8equal_toIvEEsEE10hipError_tPvRmT2_T3_T4_T5_mT6_T7_P12ihipStream_tbENKUlT_T0_E_clISt17integral_constantIbLb1EESY_IbLb0EEEEDaSU_SV_EUlSU_E_NS1_11comp_targetILNS1_3genE4ELNS1_11target_archE910ELNS1_3gpuE8ELNS1_3repE0EEENS1_30default_config_static_selectorELNS0_4arch9wavefront6targetE0EEEvT1_
; %bb.0:
	.section	.rodata,"a",@progbits
	.p2align	6, 0x0
	.amdhsa_kernel _ZN7rocprim17ROCPRIM_400000_NS6detail17trampoline_kernelINS0_14default_configENS1_27scan_by_key_config_selectorIssEEZZNS1_16scan_by_key_implILNS1_25lookback_scan_determinismE0ELb0ES3_N6thrust23THRUST_200600_302600_NS6detail15normal_iteratorINS9_10device_ptrIsEEEESE_SE_sNS9_4plusIvEENS9_8equal_toIvEEsEE10hipError_tPvRmT2_T3_T4_T5_mT6_T7_P12ihipStream_tbENKUlT_T0_E_clISt17integral_constantIbLb1EESY_IbLb0EEEEDaSU_SV_EUlSU_E_NS1_11comp_targetILNS1_3genE4ELNS1_11target_archE910ELNS1_3gpuE8ELNS1_3repE0EEENS1_30default_config_static_selectorELNS0_4arch9wavefront6targetE0EEEvT1_
		.amdhsa_group_segment_fixed_size 0
		.amdhsa_private_segment_fixed_size 0
		.amdhsa_kernarg_size 112
		.amdhsa_user_sgpr_count 2
		.amdhsa_user_sgpr_dispatch_ptr 0
		.amdhsa_user_sgpr_queue_ptr 0
		.amdhsa_user_sgpr_kernarg_segment_ptr 1
		.amdhsa_user_sgpr_dispatch_id 0
		.amdhsa_user_sgpr_kernarg_preload_length 0
		.amdhsa_user_sgpr_kernarg_preload_offset 0
		.amdhsa_user_sgpr_private_segment_size 0
		.amdhsa_wavefront_size32 1
		.amdhsa_uses_dynamic_stack 0
		.amdhsa_enable_private_segment 0
		.amdhsa_system_sgpr_workgroup_id_x 1
		.amdhsa_system_sgpr_workgroup_id_y 0
		.amdhsa_system_sgpr_workgroup_id_z 0
		.amdhsa_system_sgpr_workgroup_info 0
		.amdhsa_system_vgpr_workitem_id 0
		.amdhsa_next_free_vgpr 1
		.amdhsa_next_free_sgpr 1
		.amdhsa_named_barrier_count 0
		.amdhsa_reserve_vcc 0
		.amdhsa_float_round_mode_32 0
		.amdhsa_float_round_mode_16_64 0
		.amdhsa_float_denorm_mode_32 3
		.amdhsa_float_denorm_mode_16_64 3
		.amdhsa_fp16_overflow 0
		.amdhsa_memory_ordered 1
		.amdhsa_forward_progress 1
		.amdhsa_inst_pref_size 0
		.amdhsa_round_robin_scheduling 0
		.amdhsa_exception_fp_ieee_invalid_op 0
		.amdhsa_exception_fp_denorm_src 0
		.amdhsa_exception_fp_ieee_div_zero 0
		.amdhsa_exception_fp_ieee_overflow 0
		.amdhsa_exception_fp_ieee_underflow 0
		.amdhsa_exception_fp_ieee_inexact 0
		.amdhsa_exception_int_div_zero 0
	.end_amdhsa_kernel
	.section	.text._ZN7rocprim17ROCPRIM_400000_NS6detail17trampoline_kernelINS0_14default_configENS1_27scan_by_key_config_selectorIssEEZZNS1_16scan_by_key_implILNS1_25lookback_scan_determinismE0ELb0ES3_N6thrust23THRUST_200600_302600_NS6detail15normal_iteratorINS9_10device_ptrIsEEEESE_SE_sNS9_4plusIvEENS9_8equal_toIvEEsEE10hipError_tPvRmT2_T3_T4_T5_mT6_T7_P12ihipStream_tbENKUlT_T0_E_clISt17integral_constantIbLb1EESY_IbLb0EEEEDaSU_SV_EUlSU_E_NS1_11comp_targetILNS1_3genE4ELNS1_11target_archE910ELNS1_3gpuE8ELNS1_3repE0EEENS1_30default_config_static_selectorELNS0_4arch9wavefront6targetE0EEEvT1_,"axG",@progbits,_ZN7rocprim17ROCPRIM_400000_NS6detail17trampoline_kernelINS0_14default_configENS1_27scan_by_key_config_selectorIssEEZZNS1_16scan_by_key_implILNS1_25lookback_scan_determinismE0ELb0ES3_N6thrust23THRUST_200600_302600_NS6detail15normal_iteratorINS9_10device_ptrIsEEEESE_SE_sNS9_4plusIvEENS9_8equal_toIvEEsEE10hipError_tPvRmT2_T3_T4_T5_mT6_T7_P12ihipStream_tbENKUlT_T0_E_clISt17integral_constantIbLb1EESY_IbLb0EEEEDaSU_SV_EUlSU_E_NS1_11comp_targetILNS1_3genE4ELNS1_11target_archE910ELNS1_3gpuE8ELNS1_3repE0EEENS1_30default_config_static_selectorELNS0_4arch9wavefront6targetE0EEEvT1_,comdat
.Lfunc_end264:
	.size	_ZN7rocprim17ROCPRIM_400000_NS6detail17trampoline_kernelINS0_14default_configENS1_27scan_by_key_config_selectorIssEEZZNS1_16scan_by_key_implILNS1_25lookback_scan_determinismE0ELb0ES3_N6thrust23THRUST_200600_302600_NS6detail15normal_iteratorINS9_10device_ptrIsEEEESE_SE_sNS9_4plusIvEENS9_8equal_toIvEEsEE10hipError_tPvRmT2_T3_T4_T5_mT6_T7_P12ihipStream_tbENKUlT_T0_E_clISt17integral_constantIbLb1EESY_IbLb0EEEEDaSU_SV_EUlSU_E_NS1_11comp_targetILNS1_3genE4ELNS1_11target_archE910ELNS1_3gpuE8ELNS1_3repE0EEENS1_30default_config_static_selectorELNS0_4arch9wavefront6targetE0EEEvT1_, .Lfunc_end264-_ZN7rocprim17ROCPRIM_400000_NS6detail17trampoline_kernelINS0_14default_configENS1_27scan_by_key_config_selectorIssEEZZNS1_16scan_by_key_implILNS1_25lookback_scan_determinismE0ELb0ES3_N6thrust23THRUST_200600_302600_NS6detail15normal_iteratorINS9_10device_ptrIsEEEESE_SE_sNS9_4plusIvEENS9_8equal_toIvEEsEE10hipError_tPvRmT2_T3_T4_T5_mT6_T7_P12ihipStream_tbENKUlT_T0_E_clISt17integral_constantIbLb1EESY_IbLb0EEEEDaSU_SV_EUlSU_E_NS1_11comp_targetILNS1_3genE4ELNS1_11target_archE910ELNS1_3gpuE8ELNS1_3repE0EEENS1_30default_config_static_selectorELNS0_4arch9wavefront6targetE0EEEvT1_
                                        ; -- End function
	.set _ZN7rocprim17ROCPRIM_400000_NS6detail17trampoline_kernelINS0_14default_configENS1_27scan_by_key_config_selectorIssEEZZNS1_16scan_by_key_implILNS1_25lookback_scan_determinismE0ELb0ES3_N6thrust23THRUST_200600_302600_NS6detail15normal_iteratorINS9_10device_ptrIsEEEESE_SE_sNS9_4plusIvEENS9_8equal_toIvEEsEE10hipError_tPvRmT2_T3_T4_T5_mT6_T7_P12ihipStream_tbENKUlT_T0_E_clISt17integral_constantIbLb1EESY_IbLb0EEEEDaSU_SV_EUlSU_E_NS1_11comp_targetILNS1_3genE4ELNS1_11target_archE910ELNS1_3gpuE8ELNS1_3repE0EEENS1_30default_config_static_selectorELNS0_4arch9wavefront6targetE0EEEvT1_.num_vgpr, 0
	.set _ZN7rocprim17ROCPRIM_400000_NS6detail17trampoline_kernelINS0_14default_configENS1_27scan_by_key_config_selectorIssEEZZNS1_16scan_by_key_implILNS1_25lookback_scan_determinismE0ELb0ES3_N6thrust23THRUST_200600_302600_NS6detail15normal_iteratorINS9_10device_ptrIsEEEESE_SE_sNS9_4plusIvEENS9_8equal_toIvEEsEE10hipError_tPvRmT2_T3_T4_T5_mT6_T7_P12ihipStream_tbENKUlT_T0_E_clISt17integral_constantIbLb1EESY_IbLb0EEEEDaSU_SV_EUlSU_E_NS1_11comp_targetILNS1_3genE4ELNS1_11target_archE910ELNS1_3gpuE8ELNS1_3repE0EEENS1_30default_config_static_selectorELNS0_4arch9wavefront6targetE0EEEvT1_.num_agpr, 0
	.set _ZN7rocprim17ROCPRIM_400000_NS6detail17trampoline_kernelINS0_14default_configENS1_27scan_by_key_config_selectorIssEEZZNS1_16scan_by_key_implILNS1_25lookback_scan_determinismE0ELb0ES3_N6thrust23THRUST_200600_302600_NS6detail15normal_iteratorINS9_10device_ptrIsEEEESE_SE_sNS9_4plusIvEENS9_8equal_toIvEEsEE10hipError_tPvRmT2_T3_T4_T5_mT6_T7_P12ihipStream_tbENKUlT_T0_E_clISt17integral_constantIbLb1EESY_IbLb0EEEEDaSU_SV_EUlSU_E_NS1_11comp_targetILNS1_3genE4ELNS1_11target_archE910ELNS1_3gpuE8ELNS1_3repE0EEENS1_30default_config_static_selectorELNS0_4arch9wavefront6targetE0EEEvT1_.numbered_sgpr, 0
	.set _ZN7rocprim17ROCPRIM_400000_NS6detail17trampoline_kernelINS0_14default_configENS1_27scan_by_key_config_selectorIssEEZZNS1_16scan_by_key_implILNS1_25lookback_scan_determinismE0ELb0ES3_N6thrust23THRUST_200600_302600_NS6detail15normal_iteratorINS9_10device_ptrIsEEEESE_SE_sNS9_4plusIvEENS9_8equal_toIvEEsEE10hipError_tPvRmT2_T3_T4_T5_mT6_T7_P12ihipStream_tbENKUlT_T0_E_clISt17integral_constantIbLb1EESY_IbLb0EEEEDaSU_SV_EUlSU_E_NS1_11comp_targetILNS1_3genE4ELNS1_11target_archE910ELNS1_3gpuE8ELNS1_3repE0EEENS1_30default_config_static_selectorELNS0_4arch9wavefront6targetE0EEEvT1_.num_named_barrier, 0
	.set _ZN7rocprim17ROCPRIM_400000_NS6detail17trampoline_kernelINS0_14default_configENS1_27scan_by_key_config_selectorIssEEZZNS1_16scan_by_key_implILNS1_25lookback_scan_determinismE0ELb0ES3_N6thrust23THRUST_200600_302600_NS6detail15normal_iteratorINS9_10device_ptrIsEEEESE_SE_sNS9_4plusIvEENS9_8equal_toIvEEsEE10hipError_tPvRmT2_T3_T4_T5_mT6_T7_P12ihipStream_tbENKUlT_T0_E_clISt17integral_constantIbLb1EESY_IbLb0EEEEDaSU_SV_EUlSU_E_NS1_11comp_targetILNS1_3genE4ELNS1_11target_archE910ELNS1_3gpuE8ELNS1_3repE0EEENS1_30default_config_static_selectorELNS0_4arch9wavefront6targetE0EEEvT1_.private_seg_size, 0
	.set _ZN7rocprim17ROCPRIM_400000_NS6detail17trampoline_kernelINS0_14default_configENS1_27scan_by_key_config_selectorIssEEZZNS1_16scan_by_key_implILNS1_25lookback_scan_determinismE0ELb0ES3_N6thrust23THRUST_200600_302600_NS6detail15normal_iteratorINS9_10device_ptrIsEEEESE_SE_sNS9_4plusIvEENS9_8equal_toIvEEsEE10hipError_tPvRmT2_T3_T4_T5_mT6_T7_P12ihipStream_tbENKUlT_T0_E_clISt17integral_constantIbLb1EESY_IbLb0EEEEDaSU_SV_EUlSU_E_NS1_11comp_targetILNS1_3genE4ELNS1_11target_archE910ELNS1_3gpuE8ELNS1_3repE0EEENS1_30default_config_static_selectorELNS0_4arch9wavefront6targetE0EEEvT1_.uses_vcc, 0
	.set _ZN7rocprim17ROCPRIM_400000_NS6detail17trampoline_kernelINS0_14default_configENS1_27scan_by_key_config_selectorIssEEZZNS1_16scan_by_key_implILNS1_25lookback_scan_determinismE0ELb0ES3_N6thrust23THRUST_200600_302600_NS6detail15normal_iteratorINS9_10device_ptrIsEEEESE_SE_sNS9_4plusIvEENS9_8equal_toIvEEsEE10hipError_tPvRmT2_T3_T4_T5_mT6_T7_P12ihipStream_tbENKUlT_T0_E_clISt17integral_constantIbLb1EESY_IbLb0EEEEDaSU_SV_EUlSU_E_NS1_11comp_targetILNS1_3genE4ELNS1_11target_archE910ELNS1_3gpuE8ELNS1_3repE0EEENS1_30default_config_static_selectorELNS0_4arch9wavefront6targetE0EEEvT1_.uses_flat_scratch, 0
	.set _ZN7rocprim17ROCPRIM_400000_NS6detail17trampoline_kernelINS0_14default_configENS1_27scan_by_key_config_selectorIssEEZZNS1_16scan_by_key_implILNS1_25lookback_scan_determinismE0ELb0ES3_N6thrust23THRUST_200600_302600_NS6detail15normal_iteratorINS9_10device_ptrIsEEEESE_SE_sNS9_4plusIvEENS9_8equal_toIvEEsEE10hipError_tPvRmT2_T3_T4_T5_mT6_T7_P12ihipStream_tbENKUlT_T0_E_clISt17integral_constantIbLb1EESY_IbLb0EEEEDaSU_SV_EUlSU_E_NS1_11comp_targetILNS1_3genE4ELNS1_11target_archE910ELNS1_3gpuE8ELNS1_3repE0EEENS1_30default_config_static_selectorELNS0_4arch9wavefront6targetE0EEEvT1_.has_dyn_sized_stack, 0
	.set _ZN7rocprim17ROCPRIM_400000_NS6detail17trampoline_kernelINS0_14default_configENS1_27scan_by_key_config_selectorIssEEZZNS1_16scan_by_key_implILNS1_25lookback_scan_determinismE0ELb0ES3_N6thrust23THRUST_200600_302600_NS6detail15normal_iteratorINS9_10device_ptrIsEEEESE_SE_sNS9_4plusIvEENS9_8equal_toIvEEsEE10hipError_tPvRmT2_T3_T4_T5_mT6_T7_P12ihipStream_tbENKUlT_T0_E_clISt17integral_constantIbLb1EESY_IbLb0EEEEDaSU_SV_EUlSU_E_NS1_11comp_targetILNS1_3genE4ELNS1_11target_archE910ELNS1_3gpuE8ELNS1_3repE0EEENS1_30default_config_static_selectorELNS0_4arch9wavefront6targetE0EEEvT1_.has_recursion, 0
	.set _ZN7rocprim17ROCPRIM_400000_NS6detail17trampoline_kernelINS0_14default_configENS1_27scan_by_key_config_selectorIssEEZZNS1_16scan_by_key_implILNS1_25lookback_scan_determinismE0ELb0ES3_N6thrust23THRUST_200600_302600_NS6detail15normal_iteratorINS9_10device_ptrIsEEEESE_SE_sNS9_4plusIvEENS9_8equal_toIvEEsEE10hipError_tPvRmT2_T3_T4_T5_mT6_T7_P12ihipStream_tbENKUlT_T0_E_clISt17integral_constantIbLb1EESY_IbLb0EEEEDaSU_SV_EUlSU_E_NS1_11comp_targetILNS1_3genE4ELNS1_11target_archE910ELNS1_3gpuE8ELNS1_3repE0EEENS1_30default_config_static_selectorELNS0_4arch9wavefront6targetE0EEEvT1_.has_indirect_call, 0
	.section	.AMDGPU.csdata,"",@progbits
; Kernel info:
; codeLenInByte = 0
; TotalNumSgprs: 0
; NumVgprs: 0
; ScratchSize: 0
; MemoryBound: 0
; FloatMode: 240
; IeeeMode: 1
; LDSByteSize: 0 bytes/workgroup (compile time only)
; SGPRBlocks: 0
; VGPRBlocks: 0
; NumSGPRsForWavesPerEU: 1
; NumVGPRsForWavesPerEU: 1
; NamedBarCnt: 0
; Occupancy: 16
; WaveLimiterHint : 0
; COMPUTE_PGM_RSRC2:SCRATCH_EN: 0
; COMPUTE_PGM_RSRC2:USER_SGPR: 2
; COMPUTE_PGM_RSRC2:TRAP_HANDLER: 0
; COMPUTE_PGM_RSRC2:TGID_X_EN: 1
; COMPUTE_PGM_RSRC2:TGID_Y_EN: 0
; COMPUTE_PGM_RSRC2:TGID_Z_EN: 0
; COMPUTE_PGM_RSRC2:TIDIG_COMP_CNT: 0
	.section	.text._ZN7rocprim17ROCPRIM_400000_NS6detail17trampoline_kernelINS0_14default_configENS1_27scan_by_key_config_selectorIssEEZZNS1_16scan_by_key_implILNS1_25lookback_scan_determinismE0ELb0ES3_N6thrust23THRUST_200600_302600_NS6detail15normal_iteratorINS9_10device_ptrIsEEEESE_SE_sNS9_4plusIvEENS9_8equal_toIvEEsEE10hipError_tPvRmT2_T3_T4_T5_mT6_T7_P12ihipStream_tbENKUlT_T0_E_clISt17integral_constantIbLb1EESY_IbLb0EEEEDaSU_SV_EUlSU_E_NS1_11comp_targetILNS1_3genE3ELNS1_11target_archE908ELNS1_3gpuE7ELNS1_3repE0EEENS1_30default_config_static_selectorELNS0_4arch9wavefront6targetE0EEEvT1_,"axG",@progbits,_ZN7rocprim17ROCPRIM_400000_NS6detail17trampoline_kernelINS0_14default_configENS1_27scan_by_key_config_selectorIssEEZZNS1_16scan_by_key_implILNS1_25lookback_scan_determinismE0ELb0ES3_N6thrust23THRUST_200600_302600_NS6detail15normal_iteratorINS9_10device_ptrIsEEEESE_SE_sNS9_4plusIvEENS9_8equal_toIvEEsEE10hipError_tPvRmT2_T3_T4_T5_mT6_T7_P12ihipStream_tbENKUlT_T0_E_clISt17integral_constantIbLb1EESY_IbLb0EEEEDaSU_SV_EUlSU_E_NS1_11comp_targetILNS1_3genE3ELNS1_11target_archE908ELNS1_3gpuE7ELNS1_3repE0EEENS1_30default_config_static_selectorELNS0_4arch9wavefront6targetE0EEEvT1_,comdat
	.protected	_ZN7rocprim17ROCPRIM_400000_NS6detail17trampoline_kernelINS0_14default_configENS1_27scan_by_key_config_selectorIssEEZZNS1_16scan_by_key_implILNS1_25lookback_scan_determinismE0ELb0ES3_N6thrust23THRUST_200600_302600_NS6detail15normal_iteratorINS9_10device_ptrIsEEEESE_SE_sNS9_4plusIvEENS9_8equal_toIvEEsEE10hipError_tPvRmT2_T3_T4_T5_mT6_T7_P12ihipStream_tbENKUlT_T0_E_clISt17integral_constantIbLb1EESY_IbLb0EEEEDaSU_SV_EUlSU_E_NS1_11comp_targetILNS1_3genE3ELNS1_11target_archE908ELNS1_3gpuE7ELNS1_3repE0EEENS1_30default_config_static_selectorELNS0_4arch9wavefront6targetE0EEEvT1_ ; -- Begin function _ZN7rocprim17ROCPRIM_400000_NS6detail17trampoline_kernelINS0_14default_configENS1_27scan_by_key_config_selectorIssEEZZNS1_16scan_by_key_implILNS1_25lookback_scan_determinismE0ELb0ES3_N6thrust23THRUST_200600_302600_NS6detail15normal_iteratorINS9_10device_ptrIsEEEESE_SE_sNS9_4plusIvEENS9_8equal_toIvEEsEE10hipError_tPvRmT2_T3_T4_T5_mT6_T7_P12ihipStream_tbENKUlT_T0_E_clISt17integral_constantIbLb1EESY_IbLb0EEEEDaSU_SV_EUlSU_E_NS1_11comp_targetILNS1_3genE3ELNS1_11target_archE908ELNS1_3gpuE7ELNS1_3repE0EEENS1_30default_config_static_selectorELNS0_4arch9wavefront6targetE0EEEvT1_
	.globl	_ZN7rocprim17ROCPRIM_400000_NS6detail17trampoline_kernelINS0_14default_configENS1_27scan_by_key_config_selectorIssEEZZNS1_16scan_by_key_implILNS1_25lookback_scan_determinismE0ELb0ES3_N6thrust23THRUST_200600_302600_NS6detail15normal_iteratorINS9_10device_ptrIsEEEESE_SE_sNS9_4plusIvEENS9_8equal_toIvEEsEE10hipError_tPvRmT2_T3_T4_T5_mT6_T7_P12ihipStream_tbENKUlT_T0_E_clISt17integral_constantIbLb1EESY_IbLb0EEEEDaSU_SV_EUlSU_E_NS1_11comp_targetILNS1_3genE3ELNS1_11target_archE908ELNS1_3gpuE7ELNS1_3repE0EEENS1_30default_config_static_selectorELNS0_4arch9wavefront6targetE0EEEvT1_
	.p2align	8
	.type	_ZN7rocprim17ROCPRIM_400000_NS6detail17trampoline_kernelINS0_14default_configENS1_27scan_by_key_config_selectorIssEEZZNS1_16scan_by_key_implILNS1_25lookback_scan_determinismE0ELb0ES3_N6thrust23THRUST_200600_302600_NS6detail15normal_iteratorINS9_10device_ptrIsEEEESE_SE_sNS9_4plusIvEENS9_8equal_toIvEEsEE10hipError_tPvRmT2_T3_T4_T5_mT6_T7_P12ihipStream_tbENKUlT_T0_E_clISt17integral_constantIbLb1EESY_IbLb0EEEEDaSU_SV_EUlSU_E_NS1_11comp_targetILNS1_3genE3ELNS1_11target_archE908ELNS1_3gpuE7ELNS1_3repE0EEENS1_30default_config_static_selectorELNS0_4arch9wavefront6targetE0EEEvT1_,@function
_ZN7rocprim17ROCPRIM_400000_NS6detail17trampoline_kernelINS0_14default_configENS1_27scan_by_key_config_selectorIssEEZZNS1_16scan_by_key_implILNS1_25lookback_scan_determinismE0ELb0ES3_N6thrust23THRUST_200600_302600_NS6detail15normal_iteratorINS9_10device_ptrIsEEEESE_SE_sNS9_4plusIvEENS9_8equal_toIvEEsEE10hipError_tPvRmT2_T3_T4_T5_mT6_T7_P12ihipStream_tbENKUlT_T0_E_clISt17integral_constantIbLb1EESY_IbLb0EEEEDaSU_SV_EUlSU_E_NS1_11comp_targetILNS1_3genE3ELNS1_11target_archE908ELNS1_3gpuE7ELNS1_3repE0EEENS1_30default_config_static_selectorELNS0_4arch9wavefront6targetE0EEEvT1_: ; @_ZN7rocprim17ROCPRIM_400000_NS6detail17trampoline_kernelINS0_14default_configENS1_27scan_by_key_config_selectorIssEEZZNS1_16scan_by_key_implILNS1_25lookback_scan_determinismE0ELb0ES3_N6thrust23THRUST_200600_302600_NS6detail15normal_iteratorINS9_10device_ptrIsEEEESE_SE_sNS9_4plusIvEENS9_8equal_toIvEEsEE10hipError_tPvRmT2_T3_T4_T5_mT6_T7_P12ihipStream_tbENKUlT_T0_E_clISt17integral_constantIbLb1EESY_IbLb0EEEEDaSU_SV_EUlSU_E_NS1_11comp_targetILNS1_3genE3ELNS1_11target_archE908ELNS1_3gpuE7ELNS1_3repE0EEENS1_30default_config_static_selectorELNS0_4arch9wavefront6targetE0EEEvT1_
; %bb.0:
	.section	.rodata,"a",@progbits
	.p2align	6, 0x0
	.amdhsa_kernel _ZN7rocprim17ROCPRIM_400000_NS6detail17trampoline_kernelINS0_14default_configENS1_27scan_by_key_config_selectorIssEEZZNS1_16scan_by_key_implILNS1_25lookback_scan_determinismE0ELb0ES3_N6thrust23THRUST_200600_302600_NS6detail15normal_iteratorINS9_10device_ptrIsEEEESE_SE_sNS9_4plusIvEENS9_8equal_toIvEEsEE10hipError_tPvRmT2_T3_T4_T5_mT6_T7_P12ihipStream_tbENKUlT_T0_E_clISt17integral_constantIbLb1EESY_IbLb0EEEEDaSU_SV_EUlSU_E_NS1_11comp_targetILNS1_3genE3ELNS1_11target_archE908ELNS1_3gpuE7ELNS1_3repE0EEENS1_30default_config_static_selectorELNS0_4arch9wavefront6targetE0EEEvT1_
		.amdhsa_group_segment_fixed_size 0
		.amdhsa_private_segment_fixed_size 0
		.amdhsa_kernarg_size 112
		.amdhsa_user_sgpr_count 2
		.amdhsa_user_sgpr_dispatch_ptr 0
		.amdhsa_user_sgpr_queue_ptr 0
		.amdhsa_user_sgpr_kernarg_segment_ptr 1
		.amdhsa_user_sgpr_dispatch_id 0
		.amdhsa_user_sgpr_kernarg_preload_length 0
		.amdhsa_user_sgpr_kernarg_preload_offset 0
		.amdhsa_user_sgpr_private_segment_size 0
		.amdhsa_wavefront_size32 1
		.amdhsa_uses_dynamic_stack 0
		.amdhsa_enable_private_segment 0
		.amdhsa_system_sgpr_workgroup_id_x 1
		.amdhsa_system_sgpr_workgroup_id_y 0
		.amdhsa_system_sgpr_workgroup_id_z 0
		.amdhsa_system_sgpr_workgroup_info 0
		.amdhsa_system_vgpr_workitem_id 0
		.amdhsa_next_free_vgpr 1
		.amdhsa_next_free_sgpr 1
		.amdhsa_named_barrier_count 0
		.amdhsa_reserve_vcc 0
		.amdhsa_float_round_mode_32 0
		.amdhsa_float_round_mode_16_64 0
		.amdhsa_float_denorm_mode_32 3
		.amdhsa_float_denorm_mode_16_64 3
		.amdhsa_fp16_overflow 0
		.amdhsa_memory_ordered 1
		.amdhsa_forward_progress 1
		.amdhsa_inst_pref_size 0
		.amdhsa_round_robin_scheduling 0
		.amdhsa_exception_fp_ieee_invalid_op 0
		.amdhsa_exception_fp_denorm_src 0
		.amdhsa_exception_fp_ieee_div_zero 0
		.amdhsa_exception_fp_ieee_overflow 0
		.amdhsa_exception_fp_ieee_underflow 0
		.amdhsa_exception_fp_ieee_inexact 0
		.amdhsa_exception_int_div_zero 0
	.end_amdhsa_kernel
	.section	.text._ZN7rocprim17ROCPRIM_400000_NS6detail17trampoline_kernelINS0_14default_configENS1_27scan_by_key_config_selectorIssEEZZNS1_16scan_by_key_implILNS1_25lookback_scan_determinismE0ELb0ES3_N6thrust23THRUST_200600_302600_NS6detail15normal_iteratorINS9_10device_ptrIsEEEESE_SE_sNS9_4plusIvEENS9_8equal_toIvEEsEE10hipError_tPvRmT2_T3_T4_T5_mT6_T7_P12ihipStream_tbENKUlT_T0_E_clISt17integral_constantIbLb1EESY_IbLb0EEEEDaSU_SV_EUlSU_E_NS1_11comp_targetILNS1_3genE3ELNS1_11target_archE908ELNS1_3gpuE7ELNS1_3repE0EEENS1_30default_config_static_selectorELNS0_4arch9wavefront6targetE0EEEvT1_,"axG",@progbits,_ZN7rocprim17ROCPRIM_400000_NS6detail17trampoline_kernelINS0_14default_configENS1_27scan_by_key_config_selectorIssEEZZNS1_16scan_by_key_implILNS1_25lookback_scan_determinismE0ELb0ES3_N6thrust23THRUST_200600_302600_NS6detail15normal_iteratorINS9_10device_ptrIsEEEESE_SE_sNS9_4plusIvEENS9_8equal_toIvEEsEE10hipError_tPvRmT2_T3_T4_T5_mT6_T7_P12ihipStream_tbENKUlT_T0_E_clISt17integral_constantIbLb1EESY_IbLb0EEEEDaSU_SV_EUlSU_E_NS1_11comp_targetILNS1_3genE3ELNS1_11target_archE908ELNS1_3gpuE7ELNS1_3repE0EEENS1_30default_config_static_selectorELNS0_4arch9wavefront6targetE0EEEvT1_,comdat
.Lfunc_end265:
	.size	_ZN7rocprim17ROCPRIM_400000_NS6detail17trampoline_kernelINS0_14default_configENS1_27scan_by_key_config_selectorIssEEZZNS1_16scan_by_key_implILNS1_25lookback_scan_determinismE0ELb0ES3_N6thrust23THRUST_200600_302600_NS6detail15normal_iteratorINS9_10device_ptrIsEEEESE_SE_sNS9_4plusIvEENS9_8equal_toIvEEsEE10hipError_tPvRmT2_T3_T4_T5_mT6_T7_P12ihipStream_tbENKUlT_T0_E_clISt17integral_constantIbLb1EESY_IbLb0EEEEDaSU_SV_EUlSU_E_NS1_11comp_targetILNS1_3genE3ELNS1_11target_archE908ELNS1_3gpuE7ELNS1_3repE0EEENS1_30default_config_static_selectorELNS0_4arch9wavefront6targetE0EEEvT1_, .Lfunc_end265-_ZN7rocprim17ROCPRIM_400000_NS6detail17trampoline_kernelINS0_14default_configENS1_27scan_by_key_config_selectorIssEEZZNS1_16scan_by_key_implILNS1_25lookback_scan_determinismE0ELb0ES3_N6thrust23THRUST_200600_302600_NS6detail15normal_iteratorINS9_10device_ptrIsEEEESE_SE_sNS9_4plusIvEENS9_8equal_toIvEEsEE10hipError_tPvRmT2_T3_T4_T5_mT6_T7_P12ihipStream_tbENKUlT_T0_E_clISt17integral_constantIbLb1EESY_IbLb0EEEEDaSU_SV_EUlSU_E_NS1_11comp_targetILNS1_3genE3ELNS1_11target_archE908ELNS1_3gpuE7ELNS1_3repE0EEENS1_30default_config_static_selectorELNS0_4arch9wavefront6targetE0EEEvT1_
                                        ; -- End function
	.set _ZN7rocprim17ROCPRIM_400000_NS6detail17trampoline_kernelINS0_14default_configENS1_27scan_by_key_config_selectorIssEEZZNS1_16scan_by_key_implILNS1_25lookback_scan_determinismE0ELb0ES3_N6thrust23THRUST_200600_302600_NS6detail15normal_iteratorINS9_10device_ptrIsEEEESE_SE_sNS9_4plusIvEENS9_8equal_toIvEEsEE10hipError_tPvRmT2_T3_T4_T5_mT6_T7_P12ihipStream_tbENKUlT_T0_E_clISt17integral_constantIbLb1EESY_IbLb0EEEEDaSU_SV_EUlSU_E_NS1_11comp_targetILNS1_3genE3ELNS1_11target_archE908ELNS1_3gpuE7ELNS1_3repE0EEENS1_30default_config_static_selectorELNS0_4arch9wavefront6targetE0EEEvT1_.num_vgpr, 0
	.set _ZN7rocprim17ROCPRIM_400000_NS6detail17trampoline_kernelINS0_14default_configENS1_27scan_by_key_config_selectorIssEEZZNS1_16scan_by_key_implILNS1_25lookback_scan_determinismE0ELb0ES3_N6thrust23THRUST_200600_302600_NS6detail15normal_iteratorINS9_10device_ptrIsEEEESE_SE_sNS9_4plusIvEENS9_8equal_toIvEEsEE10hipError_tPvRmT2_T3_T4_T5_mT6_T7_P12ihipStream_tbENKUlT_T0_E_clISt17integral_constantIbLb1EESY_IbLb0EEEEDaSU_SV_EUlSU_E_NS1_11comp_targetILNS1_3genE3ELNS1_11target_archE908ELNS1_3gpuE7ELNS1_3repE0EEENS1_30default_config_static_selectorELNS0_4arch9wavefront6targetE0EEEvT1_.num_agpr, 0
	.set _ZN7rocprim17ROCPRIM_400000_NS6detail17trampoline_kernelINS0_14default_configENS1_27scan_by_key_config_selectorIssEEZZNS1_16scan_by_key_implILNS1_25lookback_scan_determinismE0ELb0ES3_N6thrust23THRUST_200600_302600_NS6detail15normal_iteratorINS9_10device_ptrIsEEEESE_SE_sNS9_4plusIvEENS9_8equal_toIvEEsEE10hipError_tPvRmT2_T3_T4_T5_mT6_T7_P12ihipStream_tbENKUlT_T0_E_clISt17integral_constantIbLb1EESY_IbLb0EEEEDaSU_SV_EUlSU_E_NS1_11comp_targetILNS1_3genE3ELNS1_11target_archE908ELNS1_3gpuE7ELNS1_3repE0EEENS1_30default_config_static_selectorELNS0_4arch9wavefront6targetE0EEEvT1_.numbered_sgpr, 0
	.set _ZN7rocprim17ROCPRIM_400000_NS6detail17trampoline_kernelINS0_14default_configENS1_27scan_by_key_config_selectorIssEEZZNS1_16scan_by_key_implILNS1_25lookback_scan_determinismE0ELb0ES3_N6thrust23THRUST_200600_302600_NS6detail15normal_iteratorINS9_10device_ptrIsEEEESE_SE_sNS9_4plusIvEENS9_8equal_toIvEEsEE10hipError_tPvRmT2_T3_T4_T5_mT6_T7_P12ihipStream_tbENKUlT_T0_E_clISt17integral_constantIbLb1EESY_IbLb0EEEEDaSU_SV_EUlSU_E_NS1_11comp_targetILNS1_3genE3ELNS1_11target_archE908ELNS1_3gpuE7ELNS1_3repE0EEENS1_30default_config_static_selectorELNS0_4arch9wavefront6targetE0EEEvT1_.num_named_barrier, 0
	.set _ZN7rocprim17ROCPRIM_400000_NS6detail17trampoline_kernelINS0_14default_configENS1_27scan_by_key_config_selectorIssEEZZNS1_16scan_by_key_implILNS1_25lookback_scan_determinismE0ELb0ES3_N6thrust23THRUST_200600_302600_NS6detail15normal_iteratorINS9_10device_ptrIsEEEESE_SE_sNS9_4plusIvEENS9_8equal_toIvEEsEE10hipError_tPvRmT2_T3_T4_T5_mT6_T7_P12ihipStream_tbENKUlT_T0_E_clISt17integral_constantIbLb1EESY_IbLb0EEEEDaSU_SV_EUlSU_E_NS1_11comp_targetILNS1_3genE3ELNS1_11target_archE908ELNS1_3gpuE7ELNS1_3repE0EEENS1_30default_config_static_selectorELNS0_4arch9wavefront6targetE0EEEvT1_.private_seg_size, 0
	.set _ZN7rocprim17ROCPRIM_400000_NS6detail17trampoline_kernelINS0_14default_configENS1_27scan_by_key_config_selectorIssEEZZNS1_16scan_by_key_implILNS1_25lookback_scan_determinismE0ELb0ES3_N6thrust23THRUST_200600_302600_NS6detail15normal_iteratorINS9_10device_ptrIsEEEESE_SE_sNS9_4plusIvEENS9_8equal_toIvEEsEE10hipError_tPvRmT2_T3_T4_T5_mT6_T7_P12ihipStream_tbENKUlT_T0_E_clISt17integral_constantIbLb1EESY_IbLb0EEEEDaSU_SV_EUlSU_E_NS1_11comp_targetILNS1_3genE3ELNS1_11target_archE908ELNS1_3gpuE7ELNS1_3repE0EEENS1_30default_config_static_selectorELNS0_4arch9wavefront6targetE0EEEvT1_.uses_vcc, 0
	.set _ZN7rocprim17ROCPRIM_400000_NS6detail17trampoline_kernelINS0_14default_configENS1_27scan_by_key_config_selectorIssEEZZNS1_16scan_by_key_implILNS1_25lookback_scan_determinismE0ELb0ES3_N6thrust23THRUST_200600_302600_NS6detail15normal_iteratorINS9_10device_ptrIsEEEESE_SE_sNS9_4plusIvEENS9_8equal_toIvEEsEE10hipError_tPvRmT2_T3_T4_T5_mT6_T7_P12ihipStream_tbENKUlT_T0_E_clISt17integral_constantIbLb1EESY_IbLb0EEEEDaSU_SV_EUlSU_E_NS1_11comp_targetILNS1_3genE3ELNS1_11target_archE908ELNS1_3gpuE7ELNS1_3repE0EEENS1_30default_config_static_selectorELNS0_4arch9wavefront6targetE0EEEvT1_.uses_flat_scratch, 0
	.set _ZN7rocprim17ROCPRIM_400000_NS6detail17trampoline_kernelINS0_14default_configENS1_27scan_by_key_config_selectorIssEEZZNS1_16scan_by_key_implILNS1_25lookback_scan_determinismE0ELb0ES3_N6thrust23THRUST_200600_302600_NS6detail15normal_iteratorINS9_10device_ptrIsEEEESE_SE_sNS9_4plusIvEENS9_8equal_toIvEEsEE10hipError_tPvRmT2_T3_T4_T5_mT6_T7_P12ihipStream_tbENKUlT_T0_E_clISt17integral_constantIbLb1EESY_IbLb0EEEEDaSU_SV_EUlSU_E_NS1_11comp_targetILNS1_3genE3ELNS1_11target_archE908ELNS1_3gpuE7ELNS1_3repE0EEENS1_30default_config_static_selectorELNS0_4arch9wavefront6targetE0EEEvT1_.has_dyn_sized_stack, 0
	.set _ZN7rocprim17ROCPRIM_400000_NS6detail17trampoline_kernelINS0_14default_configENS1_27scan_by_key_config_selectorIssEEZZNS1_16scan_by_key_implILNS1_25lookback_scan_determinismE0ELb0ES3_N6thrust23THRUST_200600_302600_NS6detail15normal_iteratorINS9_10device_ptrIsEEEESE_SE_sNS9_4plusIvEENS9_8equal_toIvEEsEE10hipError_tPvRmT2_T3_T4_T5_mT6_T7_P12ihipStream_tbENKUlT_T0_E_clISt17integral_constantIbLb1EESY_IbLb0EEEEDaSU_SV_EUlSU_E_NS1_11comp_targetILNS1_3genE3ELNS1_11target_archE908ELNS1_3gpuE7ELNS1_3repE0EEENS1_30default_config_static_selectorELNS0_4arch9wavefront6targetE0EEEvT1_.has_recursion, 0
	.set _ZN7rocprim17ROCPRIM_400000_NS6detail17trampoline_kernelINS0_14default_configENS1_27scan_by_key_config_selectorIssEEZZNS1_16scan_by_key_implILNS1_25lookback_scan_determinismE0ELb0ES3_N6thrust23THRUST_200600_302600_NS6detail15normal_iteratorINS9_10device_ptrIsEEEESE_SE_sNS9_4plusIvEENS9_8equal_toIvEEsEE10hipError_tPvRmT2_T3_T4_T5_mT6_T7_P12ihipStream_tbENKUlT_T0_E_clISt17integral_constantIbLb1EESY_IbLb0EEEEDaSU_SV_EUlSU_E_NS1_11comp_targetILNS1_3genE3ELNS1_11target_archE908ELNS1_3gpuE7ELNS1_3repE0EEENS1_30default_config_static_selectorELNS0_4arch9wavefront6targetE0EEEvT1_.has_indirect_call, 0
	.section	.AMDGPU.csdata,"",@progbits
; Kernel info:
; codeLenInByte = 0
; TotalNumSgprs: 0
; NumVgprs: 0
; ScratchSize: 0
; MemoryBound: 0
; FloatMode: 240
; IeeeMode: 1
; LDSByteSize: 0 bytes/workgroup (compile time only)
; SGPRBlocks: 0
; VGPRBlocks: 0
; NumSGPRsForWavesPerEU: 1
; NumVGPRsForWavesPerEU: 1
; NamedBarCnt: 0
; Occupancy: 16
; WaveLimiterHint : 0
; COMPUTE_PGM_RSRC2:SCRATCH_EN: 0
; COMPUTE_PGM_RSRC2:USER_SGPR: 2
; COMPUTE_PGM_RSRC2:TRAP_HANDLER: 0
; COMPUTE_PGM_RSRC2:TGID_X_EN: 1
; COMPUTE_PGM_RSRC2:TGID_Y_EN: 0
; COMPUTE_PGM_RSRC2:TGID_Z_EN: 0
; COMPUTE_PGM_RSRC2:TIDIG_COMP_CNT: 0
	.section	.text._ZN7rocprim17ROCPRIM_400000_NS6detail17trampoline_kernelINS0_14default_configENS1_27scan_by_key_config_selectorIssEEZZNS1_16scan_by_key_implILNS1_25lookback_scan_determinismE0ELb0ES3_N6thrust23THRUST_200600_302600_NS6detail15normal_iteratorINS9_10device_ptrIsEEEESE_SE_sNS9_4plusIvEENS9_8equal_toIvEEsEE10hipError_tPvRmT2_T3_T4_T5_mT6_T7_P12ihipStream_tbENKUlT_T0_E_clISt17integral_constantIbLb1EESY_IbLb0EEEEDaSU_SV_EUlSU_E_NS1_11comp_targetILNS1_3genE2ELNS1_11target_archE906ELNS1_3gpuE6ELNS1_3repE0EEENS1_30default_config_static_selectorELNS0_4arch9wavefront6targetE0EEEvT1_,"axG",@progbits,_ZN7rocprim17ROCPRIM_400000_NS6detail17trampoline_kernelINS0_14default_configENS1_27scan_by_key_config_selectorIssEEZZNS1_16scan_by_key_implILNS1_25lookback_scan_determinismE0ELb0ES3_N6thrust23THRUST_200600_302600_NS6detail15normal_iteratorINS9_10device_ptrIsEEEESE_SE_sNS9_4plusIvEENS9_8equal_toIvEEsEE10hipError_tPvRmT2_T3_T4_T5_mT6_T7_P12ihipStream_tbENKUlT_T0_E_clISt17integral_constantIbLb1EESY_IbLb0EEEEDaSU_SV_EUlSU_E_NS1_11comp_targetILNS1_3genE2ELNS1_11target_archE906ELNS1_3gpuE6ELNS1_3repE0EEENS1_30default_config_static_selectorELNS0_4arch9wavefront6targetE0EEEvT1_,comdat
	.protected	_ZN7rocprim17ROCPRIM_400000_NS6detail17trampoline_kernelINS0_14default_configENS1_27scan_by_key_config_selectorIssEEZZNS1_16scan_by_key_implILNS1_25lookback_scan_determinismE0ELb0ES3_N6thrust23THRUST_200600_302600_NS6detail15normal_iteratorINS9_10device_ptrIsEEEESE_SE_sNS9_4plusIvEENS9_8equal_toIvEEsEE10hipError_tPvRmT2_T3_T4_T5_mT6_T7_P12ihipStream_tbENKUlT_T0_E_clISt17integral_constantIbLb1EESY_IbLb0EEEEDaSU_SV_EUlSU_E_NS1_11comp_targetILNS1_3genE2ELNS1_11target_archE906ELNS1_3gpuE6ELNS1_3repE0EEENS1_30default_config_static_selectorELNS0_4arch9wavefront6targetE0EEEvT1_ ; -- Begin function _ZN7rocprim17ROCPRIM_400000_NS6detail17trampoline_kernelINS0_14default_configENS1_27scan_by_key_config_selectorIssEEZZNS1_16scan_by_key_implILNS1_25lookback_scan_determinismE0ELb0ES3_N6thrust23THRUST_200600_302600_NS6detail15normal_iteratorINS9_10device_ptrIsEEEESE_SE_sNS9_4plusIvEENS9_8equal_toIvEEsEE10hipError_tPvRmT2_T3_T4_T5_mT6_T7_P12ihipStream_tbENKUlT_T0_E_clISt17integral_constantIbLb1EESY_IbLb0EEEEDaSU_SV_EUlSU_E_NS1_11comp_targetILNS1_3genE2ELNS1_11target_archE906ELNS1_3gpuE6ELNS1_3repE0EEENS1_30default_config_static_selectorELNS0_4arch9wavefront6targetE0EEEvT1_
	.globl	_ZN7rocprim17ROCPRIM_400000_NS6detail17trampoline_kernelINS0_14default_configENS1_27scan_by_key_config_selectorIssEEZZNS1_16scan_by_key_implILNS1_25lookback_scan_determinismE0ELb0ES3_N6thrust23THRUST_200600_302600_NS6detail15normal_iteratorINS9_10device_ptrIsEEEESE_SE_sNS9_4plusIvEENS9_8equal_toIvEEsEE10hipError_tPvRmT2_T3_T4_T5_mT6_T7_P12ihipStream_tbENKUlT_T0_E_clISt17integral_constantIbLb1EESY_IbLb0EEEEDaSU_SV_EUlSU_E_NS1_11comp_targetILNS1_3genE2ELNS1_11target_archE906ELNS1_3gpuE6ELNS1_3repE0EEENS1_30default_config_static_selectorELNS0_4arch9wavefront6targetE0EEEvT1_
	.p2align	8
	.type	_ZN7rocprim17ROCPRIM_400000_NS6detail17trampoline_kernelINS0_14default_configENS1_27scan_by_key_config_selectorIssEEZZNS1_16scan_by_key_implILNS1_25lookback_scan_determinismE0ELb0ES3_N6thrust23THRUST_200600_302600_NS6detail15normal_iteratorINS9_10device_ptrIsEEEESE_SE_sNS9_4plusIvEENS9_8equal_toIvEEsEE10hipError_tPvRmT2_T3_T4_T5_mT6_T7_P12ihipStream_tbENKUlT_T0_E_clISt17integral_constantIbLb1EESY_IbLb0EEEEDaSU_SV_EUlSU_E_NS1_11comp_targetILNS1_3genE2ELNS1_11target_archE906ELNS1_3gpuE6ELNS1_3repE0EEENS1_30default_config_static_selectorELNS0_4arch9wavefront6targetE0EEEvT1_,@function
_ZN7rocprim17ROCPRIM_400000_NS6detail17trampoline_kernelINS0_14default_configENS1_27scan_by_key_config_selectorIssEEZZNS1_16scan_by_key_implILNS1_25lookback_scan_determinismE0ELb0ES3_N6thrust23THRUST_200600_302600_NS6detail15normal_iteratorINS9_10device_ptrIsEEEESE_SE_sNS9_4plusIvEENS9_8equal_toIvEEsEE10hipError_tPvRmT2_T3_T4_T5_mT6_T7_P12ihipStream_tbENKUlT_T0_E_clISt17integral_constantIbLb1EESY_IbLb0EEEEDaSU_SV_EUlSU_E_NS1_11comp_targetILNS1_3genE2ELNS1_11target_archE906ELNS1_3gpuE6ELNS1_3repE0EEENS1_30default_config_static_selectorELNS0_4arch9wavefront6targetE0EEEvT1_: ; @_ZN7rocprim17ROCPRIM_400000_NS6detail17trampoline_kernelINS0_14default_configENS1_27scan_by_key_config_selectorIssEEZZNS1_16scan_by_key_implILNS1_25lookback_scan_determinismE0ELb0ES3_N6thrust23THRUST_200600_302600_NS6detail15normal_iteratorINS9_10device_ptrIsEEEESE_SE_sNS9_4plusIvEENS9_8equal_toIvEEsEE10hipError_tPvRmT2_T3_T4_T5_mT6_T7_P12ihipStream_tbENKUlT_T0_E_clISt17integral_constantIbLb1EESY_IbLb0EEEEDaSU_SV_EUlSU_E_NS1_11comp_targetILNS1_3genE2ELNS1_11target_archE906ELNS1_3gpuE6ELNS1_3repE0EEENS1_30default_config_static_selectorELNS0_4arch9wavefront6targetE0EEEvT1_
; %bb.0:
	.section	.rodata,"a",@progbits
	.p2align	6, 0x0
	.amdhsa_kernel _ZN7rocprim17ROCPRIM_400000_NS6detail17trampoline_kernelINS0_14default_configENS1_27scan_by_key_config_selectorIssEEZZNS1_16scan_by_key_implILNS1_25lookback_scan_determinismE0ELb0ES3_N6thrust23THRUST_200600_302600_NS6detail15normal_iteratorINS9_10device_ptrIsEEEESE_SE_sNS9_4plusIvEENS9_8equal_toIvEEsEE10hipError_tPvRmT2_T3_T4_T5_mT6_T7_P12ihipStream_tbENKUlT_T0_E_clISt17integral_constantIbLb1EESY_IbLb0EEEEDaSU_SV_EUlSU_E_NS1_11comp_targetILNS1_3genE2ELNS1_11target_archE906ELNS1_3gpuE6ELNS1_3repE0EEENS1_30default_config_static_selectorELNS0_4arch9wavefront6targetE0EEEvT1_
		.amdhsa_group_segment_fixed_size 0
		.amdhsa_private_segment_fixed_size 0
		.amdhsa_kernarg_size 112
		.amdhsa_user_sgpr_count 2
		.amdhsa_user_sgpr_dispatch_ptr 0
		.amdhsa_user_sgpr_queue_ptr 0
		.amdhsa_user_sgpr_kernarg_segment_ptr 1
		.amdhsa_user_sgpr_dispatch_id 0
		.amdhsa_user_sgpr_kernarg_preload_length 0
		.amdhsa_user_sgpr_kernarg_preload_offset 0
		.amdhsa_user_sgpr_private_segment_size 0
		.amdhsa_wavefront_size32 1
		.amdhsa_uses_dynamic_stack 0
		.amdhsa_enable_private_segment 0
		.amdhsa_system_sgpr_workgroup_id_x 1
		.amdhsa_system_sgpr_workgroup_id_y 0
		.amdhsa_system_sgpr_workgroup_id_z 0
		.amdhsa_system_sgpr_workgroup_info 0
		.amdhsa_system_vgpr_workitem_id 0
		.amdhsa_next_free_vgpr 1
		.amdhsa_next_free_sgpr 1
		.amdhsa_named_barrier_count 0
		.amdhsa_reserve_vcc 0
		.amdhsa_float_round_mode_32 0
		.amdhsa_float_round_mode_16_64 0
		.amdhsa_float_denorm_mode_32 3
		.amdhsa_float_denorm_mode_16_64 3
		.amdhsa_fp16_overflow 0
		.amdhsa_memory_ordered 1
		.amdhsa_forward_progress 1
		.amdhsa_inst_pref_size 0
		.amdhsa_round_robin_scheduling 0
		.amdhsa_exception_fp_ieee_invalid_op 0
		.amdhsa_exception_fp_denorm_src 0
		.amdhsa_exception_fp_ieee_div_zero 0
		.amdhsa_exception_fp_ieee_overflow 0
		.amdhsa_exception_fp_ieee_underflow 0
		.amdhsa_exception_fp_ieee_inexact 0
		.amdhsa_exception_int_div_zero 0
	.end_amdhsa_kernel
	.section	.text._ZN7rocprim17ROCPRIM_400000_NS6detail17trampoline_kernelINS0_14default_configENS1_27scan_by_key_config_selectorIssEEZZNS1_16scan_by_key_implILNS1_25lookback_scan_determinismE0ELb0ES3_N6thrust23THRUST_200600_302600_NS6detail15normal_iteratorINS9_10device_ptrIsEEEESE_SE_sNS9_4plusIvEENS9_8equal_toIvEEsEE10hipError_tPvRmT2_T3_T4_T5_mT6_T7_P12ihipStream_tbENKUlT_T0_E_clISt17integral_constantIbLb1EESY_IbLb0EEEEDaSU_SV_EUlSU_E_NS1_11comp_targetILNS1_3genE2ELNS1_11target_archE906ELNS1_3gpuE6ELNS1_3repE0EEENS1_30default_config_static_selectorELNS0_4arch9wavefront6targetE0EEEvT1_,"axG",@progbits,_ZN7rocprim17ROCPRIM_400000_NS6detail17trampoline_kernelINS0_14default_configENS1_27scan_by_key_config_selectorIssEEZZNS1_16scan_by_key_implILNS1_25lookback_scan_determinismE0ELb0ES3_N6thrust23THRUST_200600_302600_NS6detail15normal_iteratorINS9_10device_ptrIsEEEESE_SE_sNS9_4plusIvEENS9_8equal_toIvEEsEE10hipError_tPvRmT2_T3_T4_T5_mT6_T7_P12ihipStream_tbENKUlT_T0_E_clISt17integral_constantIbLb1EESY_IbLb0EEEEDaSU_SV_EUlSU_E_NS1_11comp_targetILNS1_3genE2ELNS1_11target_archE906ELNS1_3gpuE6ELNS1_3repE0EEENS1_30default_config_static_selectorELNS0_4arch9wavefront6targetE0EEEvT1_,comdat
.Lfunc_end266:
	.size	_ZN7rocprim17ROCPRIM_400000_NS6detail17trampoline_kernelINS0_14default_configENS1_27scan_by_key_config_selectorIssEEZZNS1_16scan_by_key_implILNS1_25lookback_scan_determinismE0ELb0ES3_N6thrust23THRUST_200600_302600_NS6detail15normal_iteratorINS9_10device_ptrIsEEEESE_SE_sNS9_4plusIvEENS9_8equal_toIvEEsEE10hipError_tPvRmT2_T3_T4_T5_mT6_T7_P12ihipStream_tbENKUlT_T0_E_clISt17integral_constantIbLb1EESY_IbLb0EEEEDaSU_SV_EUlSU_E_NS1_11comp_targetILNS1_3genE2ELNS1_11target_archE906ELNS1_3gpuE6ELNS1_3repE0EEENS1_30default_config_static_selectorELNS0_4arch9wavefront6targetE0EEEvT1_, .Lfunc_end266-_ZN7rocprim17ROCPRIM_400000_NS6detail17trampoline_kernelINS0_14default_configENS1_27scan_by_key_config_selectorIssEEZZNS1_16scan_by_key_implILNS1_25lookback_scan_determinismE0ELb0ES3_N6thrust23THRUST_200600_302600_NS6detail15normal_iteratorINS9_10device_ptrIsEEEESE_SE_sNS9_4plusIvEENS9_8equal_toIvEEsEE10hipError_tPvRmT2_T3_T4_T5_mT6_T7_P12ihipStream_tbENKUlT_T0_E_clISt17integral_constantIbLb1EESY_IbLb0EEEEDaSU_SV_EUlSU_E_NS1_11comp_targetILNS1_3genE2ELNS1_11target_archE906ELNS1_3gpuE6ELNS1_3repE0EEENS1_30default_config_static_selectorELNS0_4arch9wavefront6targetE0EEEvT1_
                                        ; -- End function
	.set _ZN7rocprim17ROCPRIM_400000_NS6detail17trampoline_kernelINS0_14default_configENS1_27scan_by_key_config_selectorIssEEZZNS1_16scan_by_key_implILNS1_25lookback_scan_determinismE0ELb0ES3_N6thrust23THRUST_200600_302600_NS6detail15normal_iteratorINS9_10device_ptrIsEEEESE_SE_sNS9_4plusIvEENS9_8equal_toIvEEsEE10hipError_tPvRmT2_T3_T4_T5_mT6_T7_P12ihipStream_tbENKUlT_T0_E_clISt17integral_constantIbLb1EESY_IbLb0EEEEDaSU_SV_EUlSU_E_NS1_11comp_targetILNS1_3genE2ELNS1_11target_archE906ELNS1_3gpuE6ELNS1_3repE0EEENS1_30default_config_static_selectorELNS0_4arch9wavefront6targetE0EEEvT1_.num_vgpr, 0
	.set _ZN7rocprim17ROCPRIM_400000_NS6detail17trampoline_kernelINS0_14default_configENS1_27scan_by_key_config_selectorIssEEZZNS1_16scan_by_key_implILNS1_25lookback_scan_determinismE0ELb0ES3_N6thrust23THRUST_200600_302600_NS6detail15normal_iteratorINS9_10device_ptrIsEEEESE_SE_sNS9_4plusIvEENS9_8equal_toIvEEsEE10hipError_tPvRmT2_T3_T4_T5_mT6_T7_P12ihipStream_tbENKUlT_T0_E_clISt17integral_constantIbLb1EESY_IbLb0EEEEDaSU_SV_EUlSU_E_NS1_11comp_targetILNS1_3genE2ELNS1_11target_archE906ELNS1_3gpuE6ELNS1_3repE0EEENS1_30default_config_static_selectorELNS0_4arch9wavefront6targetE0EEEvT1_.num_agpr, 0
	.set _ZN7rocprim17ROCPRIM_400000_NS6detail17trampoline_kernelINS0_14default_configENS1_27scan_by_key_config_selectorIssEEZZNS1_16scan_by_key_implILNS1_25lookback_scan_determinismE0ELb0ES3_N6thrust23THRUST_200600_302600_NS6detail15normal_iteratorINS9_10device_ptrIsEEEESE_SE_sNS9_4plusIvEENS9_8equal_toIvEEsEE10hipError_tPvRmT2_T3_T4_T5_mT6_T7_P12ihipStream_tbENKUlT_T0_E_clISt17integral_constantIbLb1EESY_IbLb0EEEEDaSU_SV_EUlSU_E_NS1_11comp_targetILNS1_3genE2ELNS1_11target_archE906ELNS1_3gpuE6ELNS1_3repE0EEENS1_30default_config_static_selectorELNS0_4arch9wavefront6targetE0EEEvT1_.numbered_sgpr, 0
	.set _ZN7rocprim17ROCPRIM_400000_NS6detail17trampoline_kernelINS0_14default_configENS1_27scan_by_key_config_selectorIssEEZZNS1_16scan_by_key_implILNS1_25lookback_scan_determinismE0ELb0ES3_N6thrust23THRUST_200600_302600_NS6detail15normal_iteratorINS9_10device_ptrIsEEEESE_SE_sNS9_4plusIvEENS9_8equal_toIvEEsEE10hipError_tPvRmT2_T3_T4_T5_mT6_T7_P12ihipStream_tbENKUlT_T0_E_clISt17integral_constantIbLb1EESY_IbLb0EEEEDaSU_SV_EUlSU_E_NS1_11comp_targetILNS1_3genE2ELNS1_11target_archE906ELNS1_3gpuE6ELNS1_3repE0EEENS1_30default_config_static_selectorELNS0_4arch9wavefront6targetE0EEEvT1_.num_named_barrier, 0
	.set _ZN7rocprim17ROCPRIM_400000_NS6detail17trampoline_kernelINS0_14default_configENS1_27scan_by_key_config_selectorIssEEZZNS1_16scan_by_key_implILNS1_25lookback_scan_determinismE0ELb0ES3_N6thrust23THRUST_200600_302600_NS6detail15normal_iteratorINS9_10device_ptrIsEEEESE_SE_sNS9_4plusIvEENS9_8equal_toIvEEsEE10hipError_tPvRmT2_T3_T4_T5_mT6_T7_P12ihipStream_tbENKUlT_T0_E_clISt17integral_constantIbLb1EESY_IbLb0EEEEDaSU_SV_EUlSU_E_NS1_11comp_targetILNS1_3genE2ELNS1_11target_archE906ELNS1_3gpuE6ELNS1_3repE0EEENS1_30default_config_static_selectorELNS0_4arch9wavefront6targetE0EEEvT1_.private_seg_size, 0
	.set _ZN7rocprim17ROCPRIM_400000_NS6detail17trampoline_kernelINS0_14default_configENS1_27scan_by_key_config_selectorIssEEZZNS1_16scan_by_key_implILNS1_25lookback_scan_determinismE0ELb0ES3_N6thrust23THRUST_200600_302600_NS6detail15normal_iteratorINS9_10device_ptrIsEEEESE_SE_sNS9_4plusIvEENS9_8equal_toIvEEsEE10hipError_tPvRmT2_T3_T4_T5_mT6_T7_P12ihipStream_tbENKUlT_T0_E_clISt17integral_constantIbLb1EESY_IbLb0EEEEDaSU_SV_EUlSU_E_NS1_11comp_targetILNS1_3genE2ELNS1_11target_archE906ELNS1_3gpuE6ELNS1_3repE0EEENS1_30default_config_static_selectorELNS0_4arch9wavefront6targetE0EEEvT1_.uses_vcc, 0
	.set _ZN7rocprim17ROCPRIM_400000_NS6detail17trampoline_kernelINS0_14default_configENS1_27scan_by_key_config_selectorIssEEZZNS1_16scan_by_key_implILNS1_25lookback_scan_determinismE0ELb0ES3_N6thrust23THRUST_200600_302600_NS6detail15normal_iteratorINS9_10device_ptrIsEEEESE_SE_sNS9_4plusIvEENS9_8equal_toIvEEsEE10hipError_tPvRmT2_T3_T4_T5_mT6_T7_P12ihipStream_tbENKUlT_T0_E_clISt17integral_constantIbLb1EESY_IbLb0EEEEDaSU_SV_EUlSU_E_NS1_11comp_targetILNS1_3genE2ELNS1_11target_archE906ELNS1_3gpuE6ELNS1_3repE0EEENS1_30default_config_static_selectorELNS0_4arch9wavefront6targetE0EEEvT1_.uses_flat_scratch, 0
	.set _ZN7rocprim17ROCPRIM_400000_NS6detail17trampoline_kernelINS0_14default_configENS1_27scan_by_key_config_selectorIssEEZZNS1_16scan_by_key_implILNS1_25lookback_scan_determinismE0ELb0ES3_N6thrust23THRUST_200600_302600_NS6detail15normal_iteratorINS9_10device_ptrIsEEEESE_SE_sNS9_4plusIvEENS9_8equal_toIvEEsEE10hipError_tPvRmT2_T3_T4_T5_mT6_T7_P12ihipStream_tbENKUlT_T0_E_clISt17integral_constantIbLb1EESY_IbLb0EEEEDaSU_SV_EUlSU_E_NS1_11comp_targetILNS1_3genE2ELNS1_11target_archE906ELNS1_3gpuE6ELNS1_3repE0EEENS1_30default_config_static_selectorELNS0_4arch9wavefront6targetE0EEEvT1_.has_dyn_sized_stack, 0
	.set _ZN7rocprim17ROCPRIM_400000_NS6detail17trampoline_kernelINS0_14default_configENS1_27scan_by_key_config_selectorIssEEZZNS1_16scan_by_key_implILNS1_25lookback_scan_determinismE0ELb0ES3_N6thrust23THRUST_200600_302600_NS6detail15normal_iteratorINS9_10device_ptrIsEEEESE_SE_sNS9_4plusIvEENS9_8equal_toIvEEsEE10hipError_tPvRmT2_T3_T4_T5_mT6_T7_P12ihipStream_tbENKUlT_T0_E_clISt17integral_constantIbLb1EESY_IbLb0EEEEDaSU_SV_EUlSU_E_NS1_11comp_targetILNS1_3genE2ELNS1_11target_archE906ELNS1_3gpuE6ELNS1_3repE0EEENS1_30default_config_static_selectorELNS0_4arch9wavefront6targetE0EEEvT1_.has_recursion, 0
	.set _ZN7rocprim17ROCPRIM_400000_NS6detail17trampoline_kernelINS0_14default_configENS1_27scan_by_key_config_selectorIssEEZZNS1_16scan_by_key_implILNS1_25lookback_scan_determinismE0ELb0ES3_N6thrust23THRUST_200600_302600_NS6detail15normal_iteratorINS9_10device_ptrIsEEEESE_SE_sNS9_4plusIvEENS9_8equal_toIvEEsEE10hipError_tPvRmT2_T3_T4_T5_mT6_T7_P12ihipStream_tbENKUlT_T0_E_clISt17integral_constantIbLb1EESY_IbLb0EEEEDaSU_SV_EUlSU_E_NS1_11comp_targetILNS1_3genE2ELNS1_11target_archE906ELNS1_3gpuE6ELNS1_3repE0EEENS1_30default_config_static_selectorELNS0_4arch9wavefront6targetE0EEEvT1_.has_indirect_call, 0
	.section	.AMDGPU.csdata,"",@progbits
; Kernel info:
; codeLenInByte = 0
; TotalNumSgprs: 0
; NumVgprs: 0
; ScratchSize: 0
; MemoryBound: 0
; FloatMode: 240
; IeeeMode: 1
; LDSByteSize: 0 bytes/workgroup (compile time only)
; SGPRBlocks: 0
; VGPRBlocks: 0
; NumSGPRsForWavesPerEU: 1
; NumVGPRsForWavesPerEU: 1
; NamedBarCnt: 0
; Occupancy: 16
; WaveLimiterHint : 0
; COMPUTE_PGM_RSRC2:SCRATCH_EN: 0
; COMPUTE_PGM_RSRC2:USER_SGPR: 2
; COMPUTE_PGM_RSRC2:TRAP_HANDLER: 0
; COMPUTE_PGM_RSRC2:TGID_X_EN: 1
; COMPUTE_PGM_RSRC2:TGID_Y_EN: 0
; COMPUTE_PGM_RSRC2:TGID_Z_EN: 0
; COMPUTE_PGM_RSRC2:TIDIG_COMP_CNT: 0
	.section	.text._ZN7rocprim17ROCPRIM_400000_NS6detail17trampoline_kernelINS0_14default_configENS1_27scan_by_key_config_selectorIssEEZZNS1_16scan_by_key_implILNS1_25lookback_scan_determinismE0ELb0ES3_N6thrust23THRUST_200600_302600_NS6detail15normal_iteratorINS9_10device_ptrIsEEEESE_SE_sNS9_4plusIvEENS9_8equal_toIvEEsEE10hipError_tPvRmT2_T3_T4_T5_mT6_T7_P12ihipStream_tbENKUlT_T0_E_clISt17integral_constantIbLb1EESY_IbLb0EEEEDaSU_SV_EUlSU_E_NS1_11comp_targetILNS1_3genE10ELNS1_11target_archE1200ELNS1_3gpuE4ELNS1_3repE0EEENS1_30default_config_static_selectorELNS0_4arch9wavefront6targetE0EEEvT1_,"axG",@progbits,_ZN7rocprim17ROCPRIM_400000_NS6detail17trampoline_kernelINS0_14default_configENS1_27scan_by_key_config_selectorIssEEZZNS1_16scan_by_key_implILNS1_25lookback_scan_determinismE0ELb0ES3_N6thrust23THRUST_200600_302600_NS6detail15normal_iteratorINS9_10device_ptrIsEEEESE_SE_sNS9_4plusIvEENS9_8equal_toIvEEsEE10hipError_tPvRmT2_T3_T4_T5_mT6_T7_P12ihipStream_tbENKUlT_T0_E_clISt17integral_constantIbLb1EESY_IbLb0EEEEDaSU_SV_EUlSU_E_NS1_11comp_targetILNS1_3genE10ELNS1_11target_archE1200ELNS1_3gpuE4ELNS1_3repE0EEENS1_30default_config_static_selectorELNS0_4arch9wavefront6targetE0EEEvT1_,comdat
	.protected	_ZN7rocprim17ROCPRIM_400000_NS6detail17trampoline_kernelINS0_14default_configENS1_27scan_by_key_config_selectorIssEEZZNS1_16scan_by_key_implILNS1_25lookback_scan_determinismE0ELb0ES3_N6thrust23THRUST_200600_302600_NS6detail15normal_iteratorINS9_10device_ptrIsEEEESE_SE_sNS9_4plusIvEENS9_8equal_toIvEEsEE10hipError_tPvRmT2_T3_T4_T5_mT6_T7_P12ihipStream_tbENKUlT_T0_E_clISt17integral_constantIbLb1EESY_IbLb0EEEEDaSU_SV_EUlSU_E_NS1_11comp_targetILNS1_3genE10ELNS1_11target_archE1200ELNS1_3gpuE4ELNS1_3repE0EEENS1_30default_config_static_selectorELNS0_4arch9wavefront6targetE0EEEvT1_ ; -- Begin function _ZN7rocprim17ROCPRIM_400000_NS6detail17trampoline_kernelINS0_14default_configENS1_27scan_by_key_config_selectorIssEEZZNS1_16scan_by_key_implILNS1_25lookback_scan_determinismE0ELb0ES3_N6thrust23THRUST_200600_302600_NS6detail15normal_iteratorINS9_10device_ptrIsEEEESE_SE_sNS9_4plusIvEENS9_8equal_toIvEEsEE10hipError_tPvRmT2_T3_T4_T5_mT6_T7_P12ihipStream_tbENKUlT_T0_E_clISt17integral_constantIbLb1EESY_IbLb0EEEEDaSU_SV_EUlSU_E_NS1_11comp_targetILNS1_3genE10ELNS1_11target_archE1200ELNS1_3gpuE4ELNS1_3repE0EEENS1_30default_config_static_selectorELNS0_4arch9wavefront6targetE0EEEvT1_
	.globl	_ZN7rocprim17ROCPRIM_400000_NS6detail17trampoline_kernelINS0_14default_configENS1_27scan_by_key_config_selectorIssEEZZNS1_16scan_by_key_implILNS1_25lookback_scan_determinismE0ELb0ES3_N6thrust23THRUST_200600_302600_NS6detail15normal_iteratorINS9_10device_ptrIsEEEESE_SE_sNS9_4plusIvEENS9_8equal_toIvEEsEE10hipError_tPvRmT2_T3_T4_T5_mT6_T7_P12ihipStream_tbENKUlT_T0_E_clISt17integral_constantIbLb1EESY_IbLb0EEEEDaSU_SV_EUlSU_E_NS1_11comp_targetILNS1_3genE10ELNS1_11target_archE1200ELNS1_3gpuE4ELNS1_3repE0EEENS1_30default_config_static_selectorELNS0_4arch9wavefront6targetE0EEEvT1_
	.p2align	8
	.type	_ZN7rocprim17ROCPRIM_400000_NS6detail17trampoline_kernelINS0_14default_configENS1_27scan_by_key_config_selectorIssEEZZNS1_16scan_by_key_implILNS1_25lookback_scan_determinismE0ELb0ES3_N6thrust23THRUST_200600_302600_NS6detail15normal_iteratorINS9_10device_ptrIsEEEESE_SE_sNS9_4plusIvEENS9_8equal_toIvEEsEE10hipError_tPvRmT2_T3_T4_T5_mT6_T7_P12ihipStream_tbENKUlT_T0_E_clISt17integral_constantIbLb1EESY_IbLb0EEEEDaSU_SV_EUlSU_E_NS1_11comp_targetILNS1_3genE10ELNS1_11target_archE1200ELNS1_3gpuE4ELNS1_3repE0EEENS1_30default_config_static_selectorELNS0_4arch9wavefront6targetE0EEEvT1_,@function
_ZN7rocprim17ROCPRIM_400000_NS6detail17trampoline_kernelINS0_14default_configENS1_27scan_by_key_config_selectorIssEEZZNS1_16scan_by_key_implILNS1_25lookback_scan_determinismE0ELb0ES3_N6thrust23THRUST_200600_302600_NS6detail15normal_iteratorINS9_10device_ptrIsEEEESE_SE_sNS9_4plusIvEENS9_8equal_toIvEEsEE10hipError_tPvRmT2_T3_T4_T5_mT6_T7_P12ihipStream_tbENKUlT_T0_E_clISt17integral_constantIbLb1EESY_IbLb0EEEEDaSU_SV_EUlSU_E_NS1_11comp_targetILNS1_3genE10ELNS1_11target_archE1200ELNS1_3gpuE4ELNS1_3repE0EEENS1_30default_config_static_selectorELNS0_4arch9wavefront6targetE0EEEvT1_: ; @_ZN7rocprim17ROCPRIM_400000_NS6detail17trampoline_kernelINS0_14default_configENS1_27scan_by_key_config_selectorIssEEZZNS1_16scan_by_key_implILNS1_25lookback_scan_determinismE0ELb0ES3_N6thrust23THRUST_200600_302600_NS6detail15normal_iteratorINS9_10device_ptrIsEEEESE_SE_sNS9_4plusIvEENS9_8equal_toIvEEsEE10hipError_tPvRmT2_T3_T4_T5_mT6_T7_P12ihipStream_tbENKUlT_T0_E_clISt17integral_constantIbLb1EESY_IbLb0EEEEDaSU_SV_EUlSU_E_NS1_11comp_targetILNS1_3genE10ELNS1_11target_archE1200ELNS1_3gpuE4ELNS1_3repE0EEENS1_30default_config_static_selectorELNS0_4arch9wavefront6targetE0EEEvT1_
; %bb.0:
	.section	.rodata,"a",@progbits
	.p2align	6, 0x0
	.amdhsa_kernel _ZN7rocprim17ROCPRIM_400000_NS6detail17trampoline_kernelINS0_14default_configENS1_27scan_by_key_config_selectorIssEEZZNS1_16scan_by_key_implILNS1_25lookback_scan_determinismE0ELb0ES3_N6thrust23THRUST_200600_302600_NS6detail15normal_iteratorINS9_10device_ptrIsEEEESE_SE_sNS9_4plusIvEENS9_8equal_toIvEEsEE10hipError_tPvRmT2_T3_T4_T5_mT6_T7_P12ihipStream_tbENKUlT_T0_E_clISt17integral_constantIbLb1EESY_IbLb0EEEEDaSU_SV_EUlSU_E_NS1_11comp_targetILNS1_3genE10ELNS1_11target_archE1200ELNS1_3gpuE4ELNS1_3repE0EEENS1_30default_config_static_selectorELNS0_4arch9wavefront6targetE0EEEvT1_
		.amdhsa_group_segment_fixed_size 0
		.amdhsa_private_segment_fixed_size 0
		.amdhsa_kernarg_size 112
		.amdhsa_user_sgpr_count 2
		.amdhsa_user_sgpr_dispatch_ptr 0
		.amdhsa_user_sgpr_queue_ptr 0
		.amdhsa_user_sgpr_kernarg_segment_ptr 1
		.amdhsa_user_sgpr_dispatch_id 0
		.amdhsa_user_sgpr_kernarg_preload_length 0
		.amdhsa_user_sgpr_kernarg_preload_offset 0
		.amdhsa_user_sgpr_private_segment_size 0
		.amdhsa_wavefront_size32 1
		.amdhsa_uses_dynamic_stack 0
		.amdhsa_enable_private_segment 0
		.amdhsa_system_sgpr_workgroup_id_x 1
		.amdhsa_system_sgpr_workgroup_id_y 0
		.amdhsa_system_sgpr_workgroup_id_z 0
		.amdhsa_system_sgpr_workgroup_info 0
		.amdhsa_system_vgpr_workitem_id 0
		.amdhsa_next_free_vgpr 1
		.amdhsa_next_free_sgpr 1
		.amdhsa_named_barrier_count 0
		.amdhsa_reserve_vcc 0
		.amdhsa_float_round_mode_32 0
		.amdhsa_float_round_mode_16_64 0
		.amdhsa_float_denorm_mode_32 3
		.amdhsa_float_denorm_mode_16_64 3
		.amdhsa_fp16_overflow 0
		.amdhsa_memory_ordered 1
		.amdhsa_forward_progress 1
		.amdhsa_inst_pref_size 0
		.amdhsa_round_robin_scheduling 0
		.amdhsa_exception_fp_ieee_invalid_op 0
		.amdhsa_exception_fp_denorm_src 0
		.amdhsa_exception_fp_ieee_div_zero 0
		.amdhsa_exception_fp_ieee_overflow 0
		.amdhsa_exception_fp_ieee_underflow 0
		.amdhsa_exception_fp_ieee_inexact 0
		.amdhsa_exception_int_div_zero 0
	.end_amdhsa_kernel
	.section	.text._ZN7rocprim17ROCPRIM_400000_NS6detail17trampoline_kernelINS0_14default_configENS1_27scan_by_key_config_selectorIssEEZZNS1_16scan_by_key_implILNS1_25lookback_scan_determinismE0ELb0ES3_N6thrust23THRUST_200600_302600_NS6detail15normal_iteratorINS9_10device_ptrIsEEEESE_SE_sNS9_4plusIvEENS9_8equal_toIvEEsEE10hipError_tPvRmT2_T3_T4_T5_mT6_T7_P12ihipStream_tbENKUlT_T0_E_clISt17integral_constantIbLb1EESY_IbLb0EEEEDaSU_SV_EUlSU_E_NS1_11comp_targetILNS1_3genE10ELNS1_11target_archE1200ELNS1_3gpuE4ELNS1_3repE0EEENS1_30default_config_static_selectorELNS0_4arch9wavefront6targetE0EEEvT1_,"axG",@progbits,_ZN7rocprim17ROCPRIM_400000_NS6detail17trampoline_kernelINS0_14default_configENS1_27scan_by_key_config_selectorIssEEZZNS1_16scan_by_key_implILNS1_25lookback_scan_determinismE0ELb0ES3_N6thrust23THRUST_200600_302600_NS6detail15normal_iteratorINS9_10device_ptrIsEEEESE_SE_sNS9_4plusIvEENS9_8equal_toIvEEsEE10hipError_tPvRmT2_T3_T4_T5_mT6_T7_P12ihipStream_tbENKUlT_T0_E_clISt17integral_constantIbLb1EESY_IbLb0EEEEDaSU_SV_EUlSU_E_NS1_11comp_targetILNS1_3genE10ELNS1_11target_archE1200ELNS1_3gpuE4ELNS1_3repE0EEENS1_30default_config_static_selectorELNS0_4arch9wavefront6targetE0EEEvT1_,comdat
.Lfunc_end267:
	.size	_ZN7rocprim17ROCPRIM_400000_NS6detail17trampoline_kernelINS0_14default_configENS1_27scan_by_key_config_selectorIssEEZZNS1_16scan_by_key_implILNS1_25lookback_scan_determinismE0ELb0ES3_N6thrust23THRUST_200600_302600_NS6detail15normal_iteratorINS9_10device_ptrIsEEEESE_SE_sNS9_4plusIvEENS9_8equal_toIvEEsEE10hipError_tPvRmT2_T3_T4_T5_mT6_T7_P12ihipStream_tbENKUlT_T0_E_clISt17integral_constantIbLb1EESY_IbLb0EEEEDaSU_SV_EUlSU_E_NS1_11comp_targetILNS1_3genE10ELNS1_11target_archE1200ELNS1_3gpuE4ELNS1_3repE0EEENS1_30default_config_static_selectorELNS0_4arch9wavefront6targetE0EEEvT1_, .Lfunc_end267-_ZN7rocprim17ROCPRIM_400000_NS6detail17trampoline_kernelINS0_14default_configENS1_27scan_by_key_config_selectorIssEEZZNS1_16scan_by_key_implILNS1_25lookback_scan_determinismE0ELb0ES3_N6thrust23THRUST_200600_302600_NS6detail15normal_iteratorINS9_10device_ptrIsEEEESE_SE_sNS9_4plusIvEENS9_8equal_toIvEEsEE10hipError_tPvRmT2_T3_T4_T5_mT6_T7_P12ihipStream_tbENKUlT_T0_E_clISt17integral_constantIbLb1EESY_IbLb0EEEEDaSU_SV_EUlSU_E_NS1_11comp_targetILNS1_3genE10ELNS1_11target_archE1200ELNS1_3gpuE4ELNS1_3repE0EEENS1_30default_config_static_selectorELNS0_4arch9wavefront6targetE0EEEvT1_
                                        ; -- End function
	.set _ZN7rocprim17ROCPRIM_400000_NS6detail17trampoline_kernelINS0_14default_configENS1_27scan_by_key_config_selectorIssEEZZNS1_16scan_by_key_implILNS1_25lookback_scan_determinismE0ELb0ES3_N6thrust23THRUST_200600_302600_NS6detail15normal_iteratorINS9_10device_ptrIsEEEESE_SE_sNS9_4plusIvEENS9_8equal_toIvEEsEE10hipError_tPvRmT2_T3_T4_T5_mT6_T7_P12ihipStream_tbENKUlT_T0_E_clISt17integral_constantIbLb1EESY_IbLb0EEEEDaSU_SV_EUlSU_E_NS1_11comp_targetILNS1_3genE10ELNS1_11target_archE1200ELNS1_3gpuE4ELNS1_3repE0EEENS1_30default_config_static_selectorELNS0_4arch9wavefront6targetE0EEEvT1_.num_vgpr, 0
	.set _ZN7rocprim17ROCPRIM_400000_NS6detail17trampoline_kernelINS0_14default_configENS1_27scan_by_key_config_selectorIssEEZZNS1_16scan_by_key_implILNS1_25lookback_scan_determinismE0ELb0ES3_N6thrust23THRUST_200600_302600_NS6detail15normal_iteratorINS9_10device_ptrIsEEEESE_SE_sNS9_4plusIvEENS9_8equal_toIvEEsEE10hipError_tPvRmT2_T3_T4_T5_mT6_T7_P12ihipStream_tbENKUlT_T0_E_clISt17integral_constantIbLb1EESY_IbLb0EEEEDaSU_SV_EUlSU_E_NS1_11comp_targetILNS1_3genE10ELNS1_11target_archE1200ELNS1_3gpuE4ELNS1_3repE0EEENS1_30default_config_static_selectorELNS0_4arch9wavefront6targetE0EEEvT1_.num_agpr, 0
	.set _ZN7rocprim17ROCPRIM_400000_NS6detail17trampoline_kernelINS0_14default_configENS1_27scan_by_key_config_selectorIssEEZZNS1_16scan_by_key_implILNS1_25lookback_scan_determinismE0ELb0ES3_N6thrust23THRUST_200600_302600_NS6detail15normal_iteratorINS9_10device_ptrIsEEEESE_SE_sNS9_4plusIvEENS9_8equal_toIvEEsEE10hipError_tPvRmT2_T3_T4_T5_mT6_T7_P12ihipStream_tbENKUlT_T0_E_clISt17integral_constantIbLb1EESY_IbLb0EEEEDaSU_SV_EUlSU_E_NS1_11comp_targetILNS1_3genE10ELNS1_11target_archE1200ELNS1_3gpuE4ELNS1_3repE0EEENS1_30default_config_static_selectorELNS0_4arch9wavefront6targetE0EEEvT1_.numbered_sgpr, 0
	.set _ZN7rocprim17ROCPRIM_400000_NS6detail17trampoline_kernelINS0_14default_configENS1_27scan_by_key_config_selectorIssEEZZNS1_16scan_by_key_implILNS1_25lookback_scan_determinismE0ELb0ES3_N6thrust23THRUST_200600_302600_NS6detail15normal_iteratorINS9_10device_ptrIsEEEESE_SE_sNS9_4plusIvEENS9_8equal_toIvEEsEE10hipError_tPvRmT2_T3_T4_T5_mT6_T7_P12ihipStream_tbENKUlT_T0_E_clISt17integral_constantIbLb1EESY_IbLb0EEEEDaSU_SV_EUlSU_E_NS1_11comp_targetILNS1_3genE10ELNS1_11target_archE1200ELNS1_3gpuE4ELNS1_3repE0EEENS1_30default_config_static_selectorELNS0_4arch9wavefront6targetE0EEEvT1_.num_named_barrier, 0
	.set _ZN7rocprim17ROCPRIM_400000_NS6detail17trampoline_kernelINS0_14default_configENS1_27scan_by_key_config_selectorIssEEZZNS1_16scan_by_key_implILNS1_25lookback_scan_determinismE0ELb0ES3_N6thrust23THRUST_200600_302600_NS6detail15normal_iteratorINS9_10device_ptrIsEEEESE_SE_sNS9_4plusIvEENS9_8equal_toIvEEsEE10hipError_tPvRmT2_T3_T4_T5_mT6_T7_P12ihipStream_tbENKUlT_T0_E_clISt17integral_constantIbLb1EESY_IbLb0EEEEDaSU_SV_EUlSU_E_NS1_11comp_targetILNS1_3genE10ELNS1_11target_archE1200ELNS1_3gpuE4ELNS1_3repE0EEENS1_30default_config_static_selectorELNS0_4arch9wavefront6targetE0EEEvT1_.private_seg_size, 0
	.set _ZN7rocprim17ROCPRIM_400000_NS6detail17trampoline_kernelINS0_14default_configENS1_27scan_by_key_config_selectorIssEEZZNS1_16scan_by_key_implILNS1_25lookback_scan_determinismE0ELb0ES3_N6thrust23THRUST_200600_302600_NS6detail15normal_iteratorINS9_10device_ptrIsEEEESE_SE_sNS9_4plusIvEENS9_8equal_toIvEEsEE10hipError_tPvRmT2_T3_T4_T5_mT6_T7_P12ihipStream_tbENKUlT_T0_E_clISt17integral_constantIbLb1EESY_IbLb0EEEEDaSU_SV_EUlSU_E_NS1_11comp_targetILNS1_3genE10ELNS1_11target_archE1200ELNS1_3gpuE4ELNS1_3repE0EEENS1_30default_config_static_selectorELNS0_4arch9wavefront6targetE0EEEvT1_.uses_vcc, 0
	.set _ZN7rocprim17ROCPRIM_400000_NS6detail17trampoline_kernelINS0_14default_configENS1_27scan_by_key_config_selectorIssEEZZNS1_16scan_by_key_implILNS1_25lookback_scan_determinismE0ELb0ES3_N6thrust23THRUST_200600_302600_NS6detail15normal_iteratorINS9_10device_ptrIsEEEESE_SE_sNS9_4plusIvEENS9_8equal_toIvEEsEE10hipError_tPvRmT2_T3_T4_T5_mT6_T7_P12ihipStream_tbENKUlT_T0_E_clISt17integral_constantIbLb1EESY_IbLb0EEEEDaSU_SV_EUlSU_E_NS1_11comp_targetILNS1_3genE10ELNS1_11target_archE1200ELNS1_3gpuE4ELNS1_3repE0EEENS1_30default_config_static_selectorELNS0_4arch9wavefront6targetE0EEEvT1_.uses_flat_scratch, 0
	.set _ZN7rocprim17ROCPRIM_400000_NS6detail17trampoline_kernelINS0_14default_configENS1_27scan_by_key_config_selectorIssEEZZNS1_16scan_by_key_implILNS1_25lookback_scan_determinismE0ELb0ES3_N6thrust23THRUST_200600_302600_NS6detail15normal_iteratorINS9_10device_ptrIsEEEESE_SE_sNS9_4plusIvEENS9_8equal_toIvEEsEE10hipError_tPvRmT2_T3_T4_T5_mT6_T7_P12ihipStream_tbENKUlT_T0_E_clISt17integral_constantIbLb1EESY_IbLb0EEEEDaSU_SV_EUlSU_E_NS1_11comp_targetILNS1_3genE10ELNS1_11target_archE1200ELNS1_3gpuE4ELNS1_3repE0EEENS1_30default_config_static_selectorELNS0_4arch9wavefront6targetE0EEEvT1_.has_dyn_sized_stack, 0
	.set _ZN7rocprim17ROCPRIM_400000_NS6detail17trampoline_kernelINS0_14default_configENS1_27scan_by_key_config_selectorIssEEZZNS1_16scan_by_key_implILNS1_25lookback_scan_determinismE0ELb0ES3_N6thrust23THRUST_200600_302600_NS6detail15normal_iteratorINS9_10device_ptrIsEEEESE_SE_sNS9_4plusIvEENS9_8equal_toIvEEsEE10hipError_tPvRmT2_T3_T4_T5_mT6_T7_P12ihipStream_tbENKUlT_T0_E_clISt17integral_constantIbLb1EESY_IbLb0EEEEDaSU_SV_EUlSU_E_NS1_11comp_targetILNS1_3genE10ELNS1_11target_archE1200ELNS1_3gpuE4ELNS1_3repE0EEENS1_30default_config_static_selectorELNS0_4arch9wavefront6targetE0EEEvT1_.has_recursion, 0
	.set _ZN7rocprim17ROCPRIM_400000_NS6detail17trampoline_kernelINS0_14default_configENS1_27scan_by_key_config_selectorIssEEZZNS1_16scan_by_key_implILNS1_25lookback_scan_determinismE0ELb0ES3_N6thrust23THRUST_200600_302600_NS6detail15normal_iteratorINS9_10device_ptrIsEEEESE_SE_sNS9_4plusIvEENS9_8equal_toIvEEsEE10hipError_tPvRmT2_T3_T4_T5_mT6_T7_P12ihipStream_tbENKUlT_T0_E_clISt17integral_constantIbLb1EESY_IbLb0EEEEDaSU_SV_EUlSU_E_NS1_11comp_targetILNS1_3genE10ELNS1_11target_archE1200ELNS1_3gpuE4ELNS1_3repE0EEENS1_30default_config_static_selectorELNS0_4arch9wavefront6targetE0EEEvT1_.has_indirect_call, 0
	.section	.AMDGPU.csdata,"",@progbits
; Kernel info:
; codeLenInByte = 0
; TotalNumSgprs: 0
; NumVgprs: 0
; ScratchSize: 0
; MemoryBound: 0
; FloatMode: 240
; IeeeMode: 1
; LDSByteSize: 0 bytes/workgroup (compile time only)
; SGPRBlocks: 0
; VGPRBlocks: 0
; NumSGPRsForWavesPerEU: 1
; NumVGPRsForWavesPerEU: 1
; NamedBarCnt: 0
; Occupancy: 16
; WaveLimiterHint : 0
; COMPUTE_PGM_RSRC2:SCRATCH_EN: 0
; COMPUTE_PGM_RSRC2:USER_SGPR: 2
; COMPUTE_PGM_RSRC2:TRAP_HANDLER: 0
; COMPUTE_PGM_RSRC2:TGID_X_EN: 1
; COMPUTE_PGM_RSRC2:TGID_Y_EN: 0
; COMPUTE_PGM_RSRC2:TGID_Z_EN: 0
; COMPUTE_PGM_RSRC2:TIDIG_COMP_CNT: 0
	.section	.text._ZN7rocprim17ROCPRIM_400000_NS6detail17trampoline_kernelINS0_14default_configENS1_27scan_by_key_config_selectorIssEEZZNS1_16scan_by_key_implILNS1_25lookback_scan_determinismE0ELb0ES3_N6thrust23THRUST_200600_302600_NS6detail15normal_iteratorINS9_10device_ptrIsEEEESE_SE_sNS9_4plusIvEENS9_8equal_toIvEEsEE10hipError_tPvRmT2_T3_T4_T5_mT6_T7_P12ihipStream_tbENKUlT_T0_E_clISt17integral_constantIbLb1EESY_IbLb0EEEEDaSU_SV_EUlSU_E_NS1_11comp_targetILNS1_3genE9ELNS1_11target_archE1100ELNS1_3gpuE3ELNS1_3repE0EEENS1_30default_config_static_selectorELNS0_4arch9wavefront6targetE0EEEvT1_,"axG",@progbits,_ZN7rocprim17ROCPRIM_400000_NS6detail17trampoline_kernelINS0_14default_configENS1_27scan_by_key_config_selectorIssEEZZNS1_16scan_by_key_implILNS1_25lookback_scan_determinismE0ELb0ES3_N6thrust23THRUST_200600_302600_NS6detail15normal_iteratorINS9_10device_ptrIsEEEESE_SE_sNS9_4plusIvEENS9_8equal_toIvEEsEE10hipError_tPvRmT2_T3_T4_T5_mT6_T7_P12ihipStream_tbENKUlT_T0_E_clISt17integral_constantIbLb1EESY_IbLb0EEEEDaSU_SV_EUlSU_E_NS1_11comp_targetILNS1_3genE9ELNS1_11target_archE1100ELNS1_3gpuE3ELNS1_3repE0EEENS1_30default_config_static_selectorELNS0_4arch9wavefront6targetE0EEEvT1_,comdat
	.protected	_ZN7rocprim17ROCPRIM_400000_NS6detail17trampoline_kernelINS0_14default_configENS1_27scan_by_key_config_selectorIssEEZZNS1_16scan_by_key_implILNS1_25lookback_scan_determinismE0ELb0ES3_N6thrust23THRUST_200600_302600_NS6detail15normal_iteratorINS9_10device_ptrIsEEEESE_SE_sNS9_4plusIvEENS9_8equal_toIvEEsEE10hipError_tPvRmT2_T3_T4_T5_mT6_T7_P12ihipStream_tbENKUlT_T0_E_clISt17integral_constantIbLb1EESY_IbLb0EEEEDaSU_SV_EUlSU_E_NS1_11comp_targetILNS1_3genE9ELNS1_11target_archE1100ELNS1_3gpuE3ELNS1_3repE0EEENS1_30default_config_static_selectorELNS0_4arch9wavefront6targetE0EEEvT1_ ; -- Begin function _ZN7rocprim17ROCPRIM_400000_NS6detail17trampoline_kernelINS0_14default_configENS1_27scan_by_key_config_selectorIssEEZZNS1_16scan_by_key_implILNS1_25lookback_scan_determinismE0ELb0ES3_N6thrust23THRUST_200600_302600_NS6detail15normal_iteratorINS9_10device_ptrIsEEEESE_SE_sNS9_4plusIvEENS9_8equal_toIvEEsEE10hipError_tPvRmT2_T3_T4_T5_mT6_T7_P12ihipStream_tbENKUlT_T0_E_clISt17integral_constantIbLb1EESY_IbLb0EEEEDaSU_SV_EUlSU_E_NS1_11comp_targetILNS1_3genE9ELNS1_11target_archE1100ELNS1_3gpuE3ELNS1_3repE0EEENS1_30default_config_static_selectorELNS0_4arch9wavefront6targetE0EEEvT1_
	.globl	_ZN7rocprim17ROCPRIM_400000_NS6detail17trampoline_kernelINS0_14default_configENS1_27scan_by_key_config_selectorIssEEZZNS1_16scan_by_key_implILNS1_25lookback_scan_determinismE0ELb0ES3_N6thrust23THRUST_200600_302600_NS6detail15normal_iteratorINS9_10device_ptrIsEEEESE_SE_sNS9_4plusIvEENS9_8equal_toIvEEsEE10hipError_tPvRmT2_T3_T4_T5_mT6_T7_P12ihipStream_tbENKUlT_T0_E_clISt17integral_constantIbLb1EESY_IbLb0EEEEDaSU_SV_EUlSU_E_NS1_11comp_targetILNS1_3genE9ELNS1_11target_archE1100ELNS1_3gpuE3ELNS1_3repE0EEENS1_30default_config_static_selectorELNS0_4arch9wavefront6targetE0EEEvT1_
	.p2align	8
	.type	_ZN7rocprim17ROCPRIM_400000_NS6detail17trampoline_kernelINS0_14default_configENS1_27scan_by_key_config_selectorIssEEZZNS1_16scan_by_key_implILNS1_25lookback_scan_determinismE0ELb0ES3_N6thrust23THRUST_200600_302600_NS6detail15normal_iteratorINS9_10device_ptrIsEEEESE_SE_sNS9_4plusIvEENS9_8equal_toIvEEsEE10hipError_tPvRmT2_T3_T4_T5_mT6_T7_P12ihipStream_tbENKUlT_T0_E_clISt17integral_constantIbLb1EESY_IbLb0EEEEDaSU_SV_EUlSU_E_NS1_11comp_targetILNS1_3genE9ELNS1_11target_archE1100ELNS1_3gpuE3ELNS1_3repE0EEENS1_30default_config_static_selectorELNS0_4arch9wavefront6targetE0EEEvT1_,@function
_ZN7rocprim17ROCPRIM_400000_NS6detail17trampoline_kernelINS0_14default_configENS1_27scan_by_key_config_selectorIssEEZZNS1_16scan_by_key_implILNS1_25lookback_scan_determinismE0ELb0ES3_N6thrust23THRUST_200600_302600_NS6detail15normal_iteratorINS9_10device_ptrIsEEEESE_SE_sNS9_4plusIvEENS9_8equal_toIvEEsEE10hipError_tPvRmT2_T3_T4_T5_mT6_T7_P12ihipStream_tbENKUlT_T0_E_clISt17integral_constantIbLb1EESY_IbLb0EEEEDaSU_SV_EUlSU_E_NS1_11comp_targetILNS1_3genE9ELNS1_11target_archE1100ELNS1_3gpuE3ELNS1_3repE0EEENS1_30default_config_static_selectorELNS0_4arch9wavefront6targetE0EEEvT1_: ; @_ZN7rocprim17ROCPRIM_400000_NS6detail17trampoline_kernelINS0_14default_configENS1_27scan_by_key_config_selectorIssEEZZNS1_16scan_by_key_implILNS1_25lookback_scan_determinismE0ELb0ES3_N6thrust23THRUST_200600_302600_NS6detail15normal_iteratorINS9_10device_ptrIsEEEESE_SE_sNS9_4plusIvEENS9_8equal_toIvEEsEE10hipError_tPvRmT2_T3_T4_T5_mT6_T7_P12ihipStream_tbENKUlT_T0_E_clISt17integral_constantIbLb1EESY_IbLb0EEEEDaSU_SV_EUlSU_E_NS1_11comp_targetILNS1_3genE9ELNS1_11target_archE1100ELNS1_3gpuE3ELNS1_3repE0EEENS1_30default_config_static_selectorELNS0_4arch9wavefront6targetE0EEEvT1_
; %bb.0:
	.section	.rodata,"a",@progbits
	.p2align	6, 0x0
	.amdhsa_kernel _ZN7rocprim17ROCPRIM_400000_NS6detail17trampoline_kernelINS0_14default_configENS1_27scan_by_key_config_selectorIssEEZZNS1_16scan_by_key_implILNS1_25lookback_scan_determinismE0ELb0ES3_N6thrust23THRUST_200600_302600_NS6detail15normal_iteratorINS9_10device_ptrIsEEEESE_SE_sNS9_4plusIvEENS9_8equal_toIvEEsEE10hipError_tPvRmT2_T3_T4_T5_mT6_T7_P12ihipStream_tbENKUlT_T0_E_clISt17integral_constantIbLb1EESY_IbLb0EEEEDaSU_SV_EUlSU_E_NS1_11comp_targetILNS1_3genE9ELNS1_11target_archE1100ELNS1_3gpuE3ELNS1_3repE0EEENS1_30default_config_static_selectorELNS0_4arch9wavefront6targetE0EEEvT1_
		.amdhsa_group_segment_fixed_size 0
		.amdhsa_private_segment_fixed_size 0
		.amdhsa_kernarg_size 112
		.amdhsa_user_sgpr_count 2
		.amdhsa_user_sgpr_dispatch_ptr 0
		.amdhsa_user_sgpr_queue_ptr 0
		.amdhsa_user_sgpr_kernarg_segment_ptr 1
		.amdhsa_user_sgpr_dispatch_id 0
		.amdhsa_user_sgpr_kernarg_preload_length 0
		.amdhsa_user_sgpr_kernarg_preload_offset 0
		.amdhsa_user_sgpr_private_segment_size 0
		.amdhsa_wavefront_size32 1
		.amdhsa_uses_dynamic_stack 0
		.amdhsa_enable_private_segment 0
		.amdhsa_system_sgpr_workgroup_id_x 1
		.amdhsa_system_sgpr_workgroup_id_y 0
		.amdhsa_system_sgpr_workgroup_id_z 0
		.amdhsa_system_sgpr_workgroup_info 0
		.amdhsa_system_vgpr_workitem_id 0
		.amdhsa_next_free_vgpr 1
		.amdhsa_next_free_sgpr 1
		.amdhsa_named_barrier_count 0
		.amdhsa_reserve_vcc 0
		.amdhsa_float_round_mode_32 0
		.amdhsa_float_round_mode_16_64 0
		.amdhsa_float_denorm_mode_32 3
		.amdhsa_float_denorm_mode_16_64 3
		.amdhsa_fp16_overflow 0
		.amdhsa_memory_ordered 1
		.amdhsa_forward_progress 1
		.amdhsa_inst_pref_size 0
		.amdhsa_round_robin_scheduling 0
		.amdhsa_exception_fp_ieee_invalid_op 0
		.amdhsa_exception_fp_denorm_src 0
		.amdhsa_exception_fp_ieee_div_zero 0
		.amdhsa_exception_fp_ieee_overflow 0
		.amdhsa_exception_fp_ieee_underflow 0
		.amdhsa_exception_fp_ieee_inexact 0
		.amdhsa_exception_int_div_zero 0
	.end_amdhsa_kernel
	.section	.text._ZN7rocprim17ROCPRIM_400000_NS6detail17trampoline_kernelINS0_14default_configENS1_27scan_by_key_config_selectorIssEEZZNS1_16scan_by_key_implILNS1_25lookback_scan_determinismE0ELb0ES3_N6thrust23THRUST_200600_302600_NS6detail15normal_iteratorINS9_10device_ptrIsEEEESE_SE_sNS9_4plusIvEENS9_8equal_toIvEEsEE10hipError_tPvRmT2_T3_T4_T5_mT6_T7_P12ihipStream_tbENKUlT_T0_E_clISt17integral_constantIbLb1EESY_IbLb0EEEEDaSU_SV_EUlSU_E_NS1_11comp_targetILNS1_3genE9ELNS1_11target_archE1100ELNS1_3gpuE3ELNS1_3repE0EEENS1_30default_config_static_selectorELNS0_4arch9wavefront6targetE0EEEvT1_,"axG",@progbits,_ZN7rocprim17ROCPRIM_400000_NS6detail17trampoline_kernelINS0_14default_configENS1_27scan_by_key_config_selectorIssEEZZNS1_16scan_by_key_implILNS1_25lookback_scan_determinismE0ELb0ES3_N6thrust23THRUST_200600_302600_NS6detail15normal_iteratorINS9_10device_ptrIsEEEESE_SE_sNS9_4plusIvEENS9_8equal_toIvEEsEE10hipError_tPvRmT2_T3_T4_T5_mT6_T7_P12ihipStream_tbENKUlT_T0_E_clISt17integral_constantIbLb1EESY_IbLb0EEEEDaSU_SV_EUlSU_E_NS1_11comp_targetILNS1_3genE9ELNS1_11target_archE1100ELNS1_3gpuE3ELNS1_3repE0EEENS1_30default_config_static_selectorELNS0_4arch9wavefront6targetE0EEEvT1_,comdat
.Lfunc_end268:
	.size	_ZN7rocprim17ROCPRIM_400000_NS6detail17trampoline_kernelINS0_14default_configENS1_27scan_by_key_config_selectorIssEEZZNS1_16scan_by_key_implILNS1_25lookback_scan_determinismE0ELb0ES3_N6thrust23THRUST_200600_302600_NS6detail15normal_iteratorINS9_10device_ptrIsEEEESE_SE_sNS9_4plusIvEENS9_8equal_toIvEEsEE10hipError_tPvRmT2_T3_T4_T5_mT6_T7_P12ihipStream_tbENKUlT_T0_E_clISt17integral_constantIbLb1EESY_IbLb0EEEEDaSU_SV_EUlSU_E_NS1_11comp_targetILNS1_3genE9ELNS1_11target_archE1100ELNS1_3gpuE3ELNS1_3repE0EEENS1_30default_config_static_selectorELNS0_4arch9wavefront6targetE0EEEvT1_, .Lfunc_end268-_ZN7rocprim17ROCPRIM_400000_NS6detail17trampoline_kernelINS0_14default_configENS1_27scan_by_key_config_selectorIssEEZZNS1_16scan_by_key_implILNS1_25lookback_scan_determinismE0ELb0ES3_N6thrust23THRUST_200600_302600_NS6detail15normal_iteratorINS9_10device_ptrIsEEEESE_SE_sNS9_4plusIvEENS9_8equal_toIvEEsEE10hipError_tPvRmT2_T3_T4_T5_mT6_T7_P12ihipStream_tbENKUlT_T0_E_clISt17integral_constantIbLb1EESY_IbLb0EEEEDaSU_SV_EUlSU_E_NS1_11comp_targetILNS1_3genE9ELNS1_11target_archE1100ELNS1_3gpuE3ELNS1_3repE0EEENS1_30default_config_static_selectorELNS0_4arch9wavefront6targetE0EEEvT1_
                                        ; -- End function
	.set _ZN7rocprim17ROCPRIM_400000_NS6detail17trampoline_kernelINS0_14default_configENS1_27scan_by_key_config_selectorIssEEZZNS1_16scan_by_key_implILNS1_25lookback_scan_determinismE0ELb0ES3_N6thrust23THRUST_200600_302600_NS6detail15normal_iteratorINS9_10device_ptrIsEEEESE_SE_sNS9_4plusIvEENS9_8equal_toIvEEsEE10hipError_tPvRmT2_T3_T4_T5_mT6_T7_P12ihipStream_tbENKUlT_T0_E_clISt17integral_constantIbLb1EESY_IbLb0EEEEDaSU_SV_EUlSU_E_NS1_11comp_targetILNS1_3genE9ELNS1_11target_archE1100ELNS1_3gpuE3ELNS1_3repE0EEENS1_30default_config_static_selectorELNS0_4arch9wavefront6targetE0EEEvT1_.num_vgpr, 0
	.set _ZN7rocprim17ROCPRIM_400000_NS6detail17trampoline_kernelINS0_14default_configENS1_27scan_by_key_config_selectorIssEEZZNS1_16scan_by_key_implILNS1_25lookback_scan_determinismE0ELb0ES3_N6thrust23THRUST_200600_302600_NS6detail15normal_iteratorINS9_10device_ptrIsEEEESE_SE_sNS9_4plusIvEENS9_8equal_toIvEEsEE10hipError_tPvRmT2_T3_T4_T5_mT6_T7_P12ihipStream_tbENKUlT_T0_E_clISt17integral_constantIbLb1EESY_IbLb0EEEEDaSU_SV_EUlSU_E_NS1_11comp_targetILNS1_3genE9ELNS1_11target_archE1100ELNS1_3gpuE3ELNS1_3repE0EEENS1_30default_config_static_selectorELNS0_4arch9wavefront6targetE0EEEvT1_.num_agpr, 0
	.set _ZN7rocprim17ROCPRIM_400000_NS6detail17trampoline_kernelINS0_14default_configENS1_27scan_by_key_config_selectorIssEEZZNS1_16scan_by_key_implILNS1_25lookback_scan_determinismE0ELb0ES3_N6thrust23THRUST_200600_302600_NS6detail15normal_iteratorINS9_10device_ptrIsEEEESE_SE_sNS9_4plusIvEENS9_8equal_toIvEEsEE10hipError_tPvRmT2_T3_T4_T5_mT6_T7_P12ihipStream_tbENKUlT_T0_E_clISt17integral_constantIbLb1EESY_IbLb0EEEEDaSU_SV_EUlSU_E_NS1_11comp_targetILNS1_3genE9ELNS1_11target_archE1100ELNS1_3gpuE3ELNS1_3repE0EEENS1_30default_config_static_selectorELNS0_4arch9wavefront6targetE0EEEvT1_.numbered_sgpr, 0
	.set _ZN7rocprim17ROCPRIM_400000_NS6detail17trampoline_kernelINS0_14default_configENS1_27scan_by_key_config_selectorIssEEZZNS1_16scan_by_key_implILNS1_25lookback_scan_determinismE0ELb0ES3_N6thrust23THRUST_200600_302600_NS6detail15normal_iteratorINS9_10device_ptrIsEEEESE_SE_sNS9_4plusIvEENS9_8equal_toIvEEsEE10hipError_tPvRmT2_T3_T4_T5_mT6_T7_P12ihipStream_tbENKUlT_T0_E_clISt17integral_constantIbLb1EESY_IbLb0EEEEDaSU_SV_EUlSU_E_NS1_11comp_targetILNS1_3genE9ELNS1_11target_archE1100ELNS1_3gpuE3ELNS1_3repE0EEENS1_30default_config_static_selectorELNS0_4arch9wavefront6targetE0EEEvT1_.num_named_barrier, 0
	.set _ZN7rocprim17ROCPRIM_400000_NS6detail17trampoline_kernelINS0_14default_configENS1_27scan_by_key_config_selectorIssEEZZNS1_16scan_by_key_implILNS1_25lookback_scan_determinismE0ELb0ES3_N6thrust23THRUST_200600_302600_NS6detail15normal_iteratorINS9_10device_ptrIsEEEESE_SE_sNS9_4plusIvEENS9_8equal_toIvEEsEE10hipError_tPvRmT2_T3_T4_T5_mT6_T7_P12ihipStream_tbENKUlT_T0_E_clISt17integral_constantIbLb1EESY_IbLb0EEEEDaSU_SV_EUlSU_E_NS1_11comp_targetILNS1_3genE9ELNS1_11target_archE1100ELNS1_3gpuE3ELNS1_3repE0EEENS1_30default_config_static_selectorELNS0_4arch9wavefront6targetE0EEEvT1_.private_seg_size, 0
	.set _ZN7rocprim17ROCPRIM_400000_NS6detail17trampoline_kernelINS0_14default_configENS1_27scan_by_key_config_selectorIssEEZZNS1_16scan_by_key_implILNS1_25lookback_scan_determinismE0ELb0ES3_N6thrust23THRUST_200600_302600_NS6detail15normal_iteratorINS9_10device_ptrIsEEEESE_SE_sNS9_4plusIvEENS9_8equal_toIvEEsEE10hipError_tPvRmT2_T3_T4_T5_mT6_T7_P12ihipStream_tbENKUlT_T0_E_clISt17integral_constantIbLb1EESY_IbLb0EEEEDaSU_SV_EUlSU_E_NS1_11comp_targetILNS1_3genE9ELNS1_11target_archE1100ELNS1_3gpuE3ELNS1_3repE0EEENS1_30default_config_static_selectorELNS0_4arch9wavefront6targetE0EEEvT1_.uses_vcc, 0
	.set _ZN7rocprim17ROCPRIM_400000_NS6detail17trampoline_kernelINS0_14default_configENS1_27scan_by_key_config_selectorIssEEZZNS1_16scan_by_key_implILNS1_25lookback_scan_determinismE0ELb0ES3_N6thrust23THRUST_200600_302600_NS6detail15normal_iteratorINS9_10device_ptrIsEEEESE_SE_sNS9_4plusIvEENS9_8equal_toIvEEsEE10hipError_tPvRmT2_T3_T4_T5_mT6_T7_P12ihipStream_tbENKUlT_T0_E_clISt17integral_constantIbLb1EESY_IbLb0EEEEDaSU_SV_EUlSU_E_NS1_11comp_targetILNS1_3genE9ELNS1_11target_archE1100ELNS1_3gpuE3ELNS1_3repE0EEENS1_30default_config_static_selectorELNS0_4arch9wavefront6targetE0EEEvT1_.uses_flat_scratch, 0
	.set _ZN7rocprim17ROCPRIM_400000_NS6detail17trampoline_kernelINS0_14default_configENS1_27scan_by_key_config_selectorIssEEZZNS1_16scan_by_key_implILNS1_25lookback_scan_determinismE0ELb0ES3_N6thrust23THRUST_200600_302600_NS6detail15normal_iteratorINS9_10device_ptrIsEEEESE_SE_sNS9_4plusIvEENS9_8equal_toIvEEsEE10hipError_tPvRmT2_T3_T4_T5_mT6_T7_P12ihipStream_tbENKUlT_T0_E_clISt17integral_constantIbLb1EESY_IbLb0EEEEDaSU_SV_EUlSU_E_NS1_11comp_targetILNS1_3genE9ELNS1_11target_archE1100ELNS1_3gpuE3ELNS1_3repE0EEENS1_30default_config_static_selectorELNS0_4arch9wavefront6targetE0EEEvT1_.has_dyn_sized_stack, 0
	.set _ZN7rocprim17ROCPRIM_400000_NS6detail17trampoline_kernelINS0_14default_configENS1_27scan_by_key_config_selectorIssEEZZNS1_16scan_by_key_implILNS1_25lookback_scan_determinismE0ELb0ES3_N6thrust23THRUST_200600_302600_NS6detail15normal_iteratorINS9_10device_ptrIsEEEESE_SE_sNS9_4plusIvEENS9_8equal_toIvEEsEE10hipError_tPvRmT2_T3_T4_T5_mT6_T7_P12ihipStream_tbENKUlT_T0_E_clISt17integral_constantIbLb1EESY_IbLb0EEEEDaSU_SV_EUlSU_E_NS1_11comp_targetILNS1_3genE9ELNS1_11target_archE1100ELNS1_3gpuE3ELNS1_3repE0EEENS1_30default_config_static_selectorELNS0_4arch9wavefront6targetE0EEEvT1_.has_recursion, 0
	.set _ZN7rocprim17ROCPRIM_400000_NS6detail17trampoline_kernelINS0_14default_configENS1_27scan_by_key_config_selectorIssEEZZNS1_16scan_by_key_implILNS1_25lookback_scan_determinismE0ELb0ES3_N6thrust23THRUST_200600_302600_NS6detail15normal_iteratorINS9_10device_ptrIsEEEESE_SE_sNS9_4plusIvEENS9_8equal_toIvEEsEE10hipError_tPvRmT2_T3_T4_T5_mT6_T7_P12ihipStream_tbENKUlT_T0_E_clISt17integral_constantIbLb1EESY_IbLb0EEEEDaSU_SV_EUlSU_E_NS1_11comp_targetILNS1_3genE9ELNS1_11target_archE1100ELNS1_3gpuE3ELNS1_3repE0EEENS1_30default_config_static_selectorELNS0_4arch9wavefront6targetE0EEEvT1_.has_indirect_call, 0
	.section	.AMDGPU.csdata,"",@progbits
; Kernel info:
; codeLenInByte = 0
; TotalNumSgprs: 0
; NumVgprs: 0
; ScratchSize: 0
; MemoryBound: 0
; FloatMode: 240
; IeeeMode: 1
; LDSByteSize: 0 bytes/workgroup (compile time only)
; SGPRBlocks: 0
; VGPRBlocks: 0
; NumSGPRsForWavesPerEU: 1
; NumVGPRsForWavesPerEU: 1
; NamedBarCnt: 0
; Occupancy: 16
; WaveLimiterHint : 0
; COMPUTE_PGM_RSRC2:SCRATCH_EN: 0
; COMPUTE_PGM_RSRC2:USER_SGPR: 2
; COMPUTE_PGM_RSRC2:TRAP_HANDLER: 0
; COMPUTE_PGM_RSRC2:TGID_X_EN: 1
; COMPUTE_PGM_RSRC2:TGID_Y_EN: 0
; COMPUTE_PGM_RSRC2:TGID_Z_EN: 0
; COMPUTE_PGM_RSRC2:TIDIG_COMP_CNT: 0
	.section	.text._ZN7rocprim17ROCPRIM_400000_NS6detail17trampoline_kernelINS0_14default_configENS1_27scan_by_key_config_selectorIssEEZZNS1_16scan_by_key_implILNS1_25lookback_scan_determinismE0ELb0ES3_N6thrust23THRUST_200600_302600_NS6detail15normal_iteratorINS9_10device_ptrIsEEEESE_SE_sNS9_4plusIvEENS9_8equal_toIvEEsEE10hipError_tPvRmT2_T3_T4_T5_mT6_T7_P12ihipStream_tbENKUlT_T0_E_clISt17integral_constantIbLb1EESY_IbLb0EEEEDaSU_SV_EUlSU_E_NS1_11comp_targetILNS1_3genE8ELNS1_11target_archE1030ELNS1_3gpuE2ELNS1_3repE0EEENS1_30default_config_static_selectorELNS0_4arch9wavefront6targetE0EEEvT1_,"axG",@progbits,_ZN7rocprim17ROCPRIM_400000_NS6detail17trampoline_kernelINS0_14default_configENS1_27scan_by_key_config_selectorIssEEZZNS1_16scan_by_key_implILNS1_25lookback_scan_determinismE0ELb0ES3_N6thrust23THRUST_200600_302600_NS6detail15normal_iteratorINS9_10device_ptrIsEEEESE_SE_sNS9_4plusIvEENS9_8equal_toIvEEsEE10hipError_tPvRmT2_T3_T4_T5_mT6_T7_P12ihipStream_tbENKUlT_T0_E_clISt17integral_constantIbLb1EESY_IbLb0EEEEDaSU_SV_EUlSU_E_NS1_11comp_targetILNS1_3genE8ELNS1_11target_archE1030ELNS1_3gpuE2ELNS1_3repE0EEENS1_30default_config_static_selectorELNS0_4arch9wavefront6targetE0EEEvT1_,comdat
	.protected	_ZN7rocprim17ROCPRIM_400000_NS6detail17trampoline_kernelINS0_14default_configENS1_27scan_by_key_config_selectorIssEEZZNS1_16scan_by_key_implILNS1_25lookback_scan_determinismE0ELb0ES3_N6thrust23THRUST_200600_302600_NS6detail15normal_iteratorINS9_10device_ptrIsEEEESE_SE_sNS9_4plusIvEENS9_8equal_toIvEEsEE10hipError_tPvRmT2_T3_T4_T5_mT6_T7_P12ihipStream_tbENKUlT_T0_E_clISt17integral_constantIbLb1EESY_IbLb0EEEEDaSU_SV_EUlSU_E_NS1_11comp_targetILNS1_3genE8ELNS1_11target_archE1030ELNS1_3gpuE2ELNS1_3repE0EEENS1_30default_config_static_selectorELNS0_4arch9wavefront6targetE0EEEvT1_ ; -- Begin function _ZN7rocprim17ROCPRIM_400000_NS6detail17trampoline_kernelINS0_14default_configENS1_27scan_by_key_config_selectorIssEEZZNS1_16scan_by_key_implILNS1_25lookback_scan_determinismE0ELb0ES3_N6thrust23THRUST_200600_302600_NS6detail15normal_iteratorINS9_10device_ptrIsEEEESE_SE_sNS9_4plusIvEENS9_8equal_toIvEEsEE10hipError_tPvRmT2_T3_T4_T5_mT6_T7_P12ihipStream_tbENKUlT_T0_E_clISt17integral_constantIbLb1EESY_IbLb0EEEEDaSU_SV_EUlSU_E_NS1_11comp_targetILNS1_3genE8ELNS1_11target_archE1030ELNS1_3gpuE2ELNS1_3repE0EEENS1_30default_config_static_selectorELNS0_4arch9wavefront6targetE0EEEvT1_
	.globl	_ZN7rocprim17ROCPRIM_400000_NS6detail17trampoline_kernelINS0_14default_configENS1_27scan_by_key_config_selectorIssEEZZNS1_16scan_by_key_implILNS1_25lookback_scan_determinismE0ELb0ES3_N6thrust23THRUST_200600_302600_NS6detail15normal_iteratorINS9_10device_ptrIsEEEESE_SE_sNS9_4plusIvEENS9_8equal_toIvEEsEE10hipError_tPvRmT2_T3_T4_T5_mT6_T7_P12ihipStream_tbENKUlT_T0_E_clISt17integral_constantIbLb1EESY_IbLb0EEEEDaSU_SV_EUlSU_E_NS1_11comp_targetILNS1_3genE8ELNS1_11target_archE1030ELNS1_3gpuE2ELNS1_3repE0EEENS1_30default_config_static_selectorELNS0_4arch9wavefront6targetE0EEEvT1_
	.p2align	8
	.type	_ZN7rocprim17ROCPRIM_400000_NS6detail17trampoline_kernelINS0_14default_configENS1_27scan_by_key_config_selectorIssEEZZNS1_16scan_by_key_implILNS1_25lookback_scan_determinismE0ELb0ES3_N6thrust23THRUST_200600_302600_NS6detail15normal_iteratorINS9_10device_ptrIsEEEESE_SE_sNS9_4plusIvEENS9_8equal_toIvEEsEE10hipError_tPvRmT2_T3_T4_T5_mT6_T7_P12ihipStream_tbENKUlT_T0_E_clISt17integral_constantIbLb1EESY_IbLb0EEEEDaSU_SV_EUlSU_E_NS1_11comp_targetILNS1_3genE8ELNS1_11target_archE1030ELNS1_3gpuE2ELNS1_3repE0EEENS1_30default_config_static_selectorELNS0_4arch9wavefront6targetE0EEEvT1_,@function
_ZN7rocprim17ROCPRIM_400000_NS6detail17trampoline_kernelINS0_14default_configENS1_27scan_by_key_config_selectorIssEEZZNS1_16scan_by_key_implILNS1_25lookback_scan_determinismE0ELb0ES3_N6thrust23THRUST_200600_302600_NS6detail15normal_iteratorINS9_10device_ptrIsEEEESE_SE_sNS9_4plusIvEENS9_8equal_toIvEEsEE10hipError_tPvRmT2_T3_T4_T5_mT6_T7_P12ihipStream_tbENKUlT_T0_E_clISt17integral_constantIbLb1EESY_IbLb0EEEEDaSU_SV_EUlSU_E_NS1_11comp_targetILNS1_3genE8ELNS1_11target_archE1030ELNS1_3gpuE2ELNS1_3repE0EEENS1_30default_config_static_selectorELNS0_4arch9wavefront6targetE0EEEvT1_: ; @_ZN7rocprim17ROCPRIM_400000_NS6detail17trampoline_kernelINS0_14default_configENS1_27scan_by_key_config_selectorIssEEZZNS1_16scan_by_key_implILNS1_25lookback_scan_determinismE0ELb0ES3_N6thrust23THRUST_200600_302600_NS6detail15normal_iteratorINS9_10device_ptrIsEEEESE_SE_sNS9_4plusIvEENS9_8equal_toIvEEsEE10hipError_tPvRmT2_T3_T4_T5_mT6_T7_P12ihipStream_tbENKUlT_T0_E_clISt17integral_constantIbLb1EESY_IbLb0EEEEDaSU_SV_EUlSU_E_NS1_11comp_targetILNS1_3genE8ELNS1_11target_archE1030ELNS1_3gpuE2ELNS1_3repE0EEENS1_30default_config_static_selectorELNS0_4arch9wavefront6targetE0EEEvT1_
; %bb.0:
	.section	.rodata,"a",@progbits
	.p2align	6, 0x0
	.amdhsa_kernel _ZN7rocprim17ROCPRIM_400000_NS6detail17trampoline_kernelINS0_14default_configENS1_27scan_by_key_config_selectorIssEEZZNS1_16scan_by_key_implILNS1_25lookback_scan_determinismE0ELb0ES3_N6thrust23THRUST_200600_302600_NS6detail15normal_iteratorINS9_10device_ptrIsEEEESE_SE_sNS9_4plusIvEENS9_8equal_toIvEEsEE10hipError_tPvRmT2_T3_T4_T5_mT6_T7_P12ihipStream_tbENKUlT_T0_E_clISt17integral_constantIbLb1EESY_IbLb0EEEEDaSU_SV_EUlSU_E_NS1_11comp_targetILNS1_3genE8ELNS1_11target_archE1030ELNS1_3gpuE2ELNS1_3repE0EEENS1_30default_config_static_selectorELNS0_4arch9wavefront6targetE0EEEvT1_
		.amdhsa_group_segment_fixed_size 0
		.amdhsa_private_segment_fixed_size 0
		.amdhsa_kernarg_size 112
		.amdhsa_user_sgpr_count 2
		.amdhsa_user_sgpr_dispatch_ptr 0
		.amdhsa_user_sgpr_queue_ptr 0
		.amdhsa_user_sgpr_kernarg_segment_ptr 1
		.amdhsa_user_sgpr_dispatch_id 0
		.amdhsa_user_sgpr_kernarg_preload_length 0
		.amdhsa_user_sgpr_kernarg_preload_offset 0
		.amdhsa_user_sgpr_private_segment_size 0
		.amdhsa_wavefront_size32 1
		.amdhsa_uses_dynamic_stack 0
		.amdhsa_enable_private_segment 0
		.amdhsa_system_sgpr_workgroup_id_x 1
		.amdhsa_system_sgpr_workgroup_id_y 0
		.amdhsa_system_sgpr_workgroup_id_z 0
		.amdhsa_system_sgpr_workgroup_info 0
		.amdhsa_system_vgpr_workitem_id 0
		.amdhsa_next_free_vgpr 1
		.amdhsa_next_free_sgpr 1
		.amdhsa_named_barrier_count 0
		.amdhsa_reserve_vcc 0
		.amdhsa_float_round_mode_32 0
		.amdhsa_float_round_mode_16_64 0
		.amdhsa_float_denorm_mode_32 3
		.amdhsa_float_denorm_mode_16_64 3
		.amdhsa_fp16_overflow 0
		.amdhsa_memory_ordered 1
		.amdhsa_forward_progress 1
		.amdhsa_inst_pref_size 0
		.amdhsa_round_robin_scheduling 0
		.amdhsa_exception_fp_ieee_invalid_op 0
		.amdhsa_exception_fp_denorm_src 0
		.amdhsa_exception_fp_ieee_div_zero 0
		.amdhsa_exception_fp_ieee_overflow 0
		.amdhsa_exception_fp_ieee_underflow 0
		.amdhsa_exception_fp_ieee_inexact 0
		.amdhsa_exception_int_div_zero 0
	.end_amdhsa_kernel
	.section	.text._ZN7rocprim17ROCPRIM_400000_NS6detail17trampoline_kernelINS0_14default_configENS1_27scan_by_key_config_selectorIssEEZZNS1_16scan_by_key_implILNS1_25lookback_scan_determinismE0ELb0ES3_N6thrust23THRUST_200600_302600_NS6detail15normal_iteratorINS9_10device_ptrIsEEEESE_SE_sNS9_4plusIvEENS9_8equal_toIvEEsEE10hipError_tPvRmT2_T3_T4_T5_mT6_T7_P12ihipStream_tbENKUlT_T0_E_clISt17integral_constantIbLb1EESY_IbLb0EEEEDaSU_SV_EUlSU_E_NS1_11comp_targetILNS1_3genE8ELNS1_11target_archE1030ELNS1_3gpuE2ELNS1_3repE0EEENS1_30default_config_static_selectorELNS0_4arch9wavefront6targetE0EEEvT1_,"axG",@progbits,_ZN7rocprim17ROCPRIM_400000_NS6detail17trampoline_kernelINS0_14default_configENS1_27scan_by_key_config_selectorIssEEZZNS1_16scan_by_key_implILNS1_25lookback_scan_determinismE0ELb0ES3_N6thrust23THRUST_200600_302600_NS6detail15normal_iteratorINS9_10device_ptrIsEEEESE_SE_sNS9_4plusIvEENS9_8equal_toIvEEsEE10hipError_tPvRmT2_T3_T4_T5_mT6_T7_P12ihipStream_tbENKUlT_T0_E_clISt17integral_constantIbLb1EESY_IbLb0EEEEDaSU_SV_EUlSU_E_NS1_11comp_targetILNS1_3genE8ELNS1_11target_archE1030ELNS1_3gpuE2ELNS1_3repE0EEENS1_30default_config_static_selectorELNS0_4arch9wavefront6targetE0EEEvT1_,comdat
.Lfunc_end269:
	.size	_ZN7rocprim17ROCPRIM_400000_NS6detail17trampoline_kernelINS0_14default_configENS1_27scan_by_key_config_selectorIssEEZZNS1_16scan_by_key_implILNS1_25lookback_scan_determinismE0ELb0ES3_N6thrust23THRUST_200600_302600_NS6detail15normal_iteratorINS9_10device_ptrIsEEEESE_SE_sNS9_4plusIvEENS9_8equal_toIvEEsEE10hipError_tPvRmT2_T3_T4_T5_mT6_T7_P12ihipStream_tbENKUlT_T0_E_clISt17integral_constantIbLb1EESY_IbLb0EEEEDaSU_SV_EUlSU_E_NS1_11comp_targetILNS1_3genE8ELNS1_11target_archE1030ELNS1_3gpuE2ELNS1_3repE0EEENS1_30default_config_static_selectorELNS0_4arch9wavefront6targetE0EEEvT1_, .Lfunc_end269-_ZN7rocprim17ROCPRIM_400000_NS6detail17trampoline_kernelINS0_14default_configENS1_27scan_by_key_config_selectorIssEEZZNS1_16scan_by_key_implILNS1_25lookback_scan_determinismE0ELb0ES3_N6thrust23THRUST_200600_302600_NS6detail15normal_iteratorINS9_10device_ptrIsEEEESE_SE_sNS9_4plusIvEENS9_8equal_toIvEEsEE10hipError_tPvRmT2_T3_T4_T5_mT6_T7_P12ihipStream_tbENKUlT_T0_E_clISt17integral_constantIbLb1EESY_IbLb0EEEEDaSU_SV_EUlSU_E_NS1_11comp_targetILNS1_3genE8ELNS1_11target_archE1030ELNS1_3gpuE2ELNS1_3repE0EEENS1_30default_config_static_selectorELNS0_4arch9wavefront6targetE0EEEvT1_
                                        ; -- End function
	.set _ZN7rocprim17ROCPRIM_400000_NS6detail17trampoline_kernelINS0_14default_configENS1_27scan_by_key_config_selectorIssEEZZNS1_16scan_by_key_implILNS1_25lookback_scan_determinismE0ELb0ES3_N6thrust23THRUST_200600_302600_NS6detail15normal_iteratorINS9_10device_ptrIsEEEESE_SE_sNS9_4plusIvEENS9_8equal_toIvEEsEE10hipError_tPvRmT2_T3_T4_T5_mT6_T7_P12ihipStream_tbENKUlT_T0_E_clISt17integral_constantIbLb1EESY_IbLb0EEEEDaSU_SV_EUlSU_E_NS1_11comp_targetILNS1_3genE8ELNS1_11target_archE1030ELNS1_3gpuE2ELNS1_3repE0EEENS1_30default_config_static_selectorELNS0_4arch9wavefront6targetE0EEEvT1_.num_vgpr, 0
	.set _ZN7rocprim17ROCPRIM_400000_NS6detail17trampoline_kernelINS0_14default_configENS1_27scan_by_key_config_selectorIssEEZZNS1_16scan_by_key_implILNS1_25lookback_scan_determinismE0ELb0ES3_N6thrust23THRUST_200600_302600_NS6detail15normal_iteratorINS9_10device_ptrIsEEEESE_SE_sNS9_4plusIvEENS9_8equal_toIvEEsEE10hipError_tPvRmT2_T3_T4_T5_mT6_T7_P12ihipStream_tbENKUlT_T0_E_clISt17integral_constantIbLb1EESY_IbLb0EEEEDaSU_SV_EUlSU_E_NS1_11comp_targetILNS1_3genE8ELNS1_11target_archE1030ELNS1_3gpuE2ELNS1_3repE0EEENS1_30default_config_static_selectorELNS0_4arch9wavefront6targetE0EEEvT1_.num_agpr, 0
	.set _ZN7rocprim17ROCPRIM_400000_NS6detail17trampoline_kernelINS0_14default_configENS1_27scan_by_key_config_selectorIssEEZZNS1_16scan_by_key_implILNS1_25lookback_scan_determinismE0ELb0ES3_N6thrust23THRUST_200600_302600_NS6detail15normal_iteratorINS9_10device_ptrIsEEEESE_SE_sNS9_4plusIvEENS9_8equal_toIvEEsEE10hipError_tPvRmT2_T3_T4_T5_mT6_T7_P12ihipStream_tbENKUlT_T0_E_clISt17integral_constantIbLb1EESY_IbLb0EEEEDaSU_SV_EUlSU_E_NS1_11comp_targetILNS1_3genE8ELNS1_11target_archE1030ELNS1_3gpuE2ELNS1_3repE0EEENS1_30default_config_static_selectorELNS0_4arch9wavefront6targetE0EEEvT1_.numbered_sgpr, 0
	.set _ZN7rocprim17ROCPRIM_400000_NS6detail17trampoline_kernelINS0_14default_configENS1_27scan_by_key_config_selectorIssEEZZNS1_16scan_by_key_implILNS1_25lookback_scan_determinismE0ELb0ES3_N6thrust23THRUST_200600_302600_NS6detail15normal_iteratorINS9_10device_ptrIsEEEESE_SE_sNS9_4plusIvEENS9_8equal_toIvEEsEE10hipError_tPvRmT2_T3_T4_T5_mT6_T7_P12ihipStream_tbENKUlT_T0_E_clISt17integral_constantIbLb1EESY_IbLb0EEEEDaSU_SV_EUlSU_E_NS1_11comp_targetILNS1_3genE8ELNS1_11target_archE1030ELNS1_3gpuE2ELNS1_3repE0EEENS1_30default_config_static_selectorELNS0_4arch9wavefront6targetE0EEEvT1_.num_named_barrier, 0
	.set _ZN7rocprim17ROCPRIM_400000_NS6detail17trampoline_kernelINS0_14default_configENS1_27scan_by_key_config_selectorIssEEZZNS1_16scan_by_key_implILNS1_25lookback_scan_determinismE0ELb0ES3_N6thrust23THRUST_200600_302600_NS6detail15normal_iteratorINS9_10device_ptrIsEEEESE_SE_sNS9_4plusIvEENS9_8equal_toIvEEsEE10hipError_tPvRmT2_T3_T4_T5_mT6_T7_P12ihipStream_tbENKUlT_T0_E_clISt17integral_constantIbLb1EESY_IbLb0EEEEDaSU_SV_EUlSU_E_NS1_11comp_targetILNS1_3genE8ELNS1_11target_archE1030ELNS1_3gpuE2ELNS1_3repE0EEENS1_30default_config_static_selectorELNS0_4arch9wavefront6targetE0EEEvT1_.private_seg_size, 0
	.set _ZN7rocprim17ROCPRIM_400000_NS6detail17trampoline_kernelINS0_14default_configENS1_27scan_by_key_config_selectorIssEEZZNS1_16scan_by_key_implILNS1_25lookback_scan_determinismE0ELb0ES3_N6thrust23THRUST_200600_302600_NS6detail15normal_iteratorINS9_10device_ptrIsEEEESE_SE_sNS9_4plusIvEENS9_8equal_toIvEEsEE10hipError_tPvRmT2_T3_T4_T5_mT6_T7_P12ihipStream_tbENKUlT_T0_E_clISt17integral_constantIbLb1EESY_IbLb0EEEEDaSU_SV_EUlSU_E_NS1_11comp_targetILNS1_3genE8ELNS1_11target_archE1030ELNS1_3gpuE2ELNS1_3repE0EEENS1_30default_config_static_selectorELNS0_4arch9wavefront6targetE0EEEvT1_.uses_vcc, 0
	.set _ZN7rocprim17ROCPRIM_400000_NS6detail17trampoline_kernelINS0_14default_configENS1_27scan_by_key_config_selectorIssEEZZNS1_16scan_by_key_implILNS1_25lookback_scan_determinismE0ELb0ES3_N6thrust23THRUST_200600_302600_NS6detail15normal_iteratorINS9_10device_ptrIsEEEESE_SE_sNS9_4plusIvEENS9_8equal_toIvEEsEE10hipError_tPvRmT2_T3_T4_T5_mT6_T7_P12ihipStream_tbENKUlT_T0_E_clISt17integral_constantIbLb1EESY_IbLb0EEEEDaSU_SV_EUlSU_E_NS1_11comp_targetILNS1_3genE8ELNS1_11target_archE1030ELNS1_3gpuE2ELNS1_3repE0EEENS1_30default_config_static_selectorELNS0_4arch9wavefront6targetE0EEEvT1_.uses_flat_scratch, 0
	.set _ZN7rocprim17ROCPRIM_400000_NS6detail17trampoline_kernelINS0_14default_configENS1_27scan_by_key_config_selectorIssEEZZNS1_16scan_by_key_implILNS1_25lookback_scan_determinismE0ELb0ES3_N6thrust23THRUST_200600_302600_NS6detail15normal_iteratorINS9_10device_ptrIsEEEESE_SE_sNS9_4plusIvEENS9_8equal_toIvEEsEE10hipError_tPvRmT2_T3_T4_T5_mT6_T7_P12ihipStream_tbENKUlT_T0_E_clISt17integral_constantIbLb1EESY_IbLb0EEEEDaSU_SV_EUlSU_E_NS1_11comp_targetILNS1_3genE8ELNS1_11target_archE1030ELNS1_3gpuE2ELNS1_3repE0EEENS1_30default_config_static_selectorELNS0_4arch9wavefront6targetE0EEEvT1_.has_dyn_sized_stack, 0
	.set _ZN7rocprim17ROCPRIM_400000_NS6detail17trampoline_kernelINS0_14default_configENS1_27scan_by_key_config_selectorIssEEZZNS1_16scan_by_key_implILNS1_25lookback_scan_determinismE0ELb0ES3_N6thrust23THRUST_200600_302600_NS6detail15normal_iteratorINS9_10device_ptrIsEEEESE_SE_sNS9_4plusIvEENS9_8equal_toIvEEsEE10hipError_tPvRmT2_T3_T4_T5_mT6_T7_P12ihipStream_tbENKUlT_T0_E_clISt17integral_constantIbLb1EESY_IbLb0EEEEDaSU_SV_EUlSU_E_NS1_11comp_targetILNS1_3genE8ELNS1_11target_archE1030ELNS1_3gpuE2ELNS1_3repE0EEENS1_30default_config_static_selectorELNS0_4arch9wavefront6targetE0EEEvT1_.has_recursion, 0
	.set _ZN7rocprim17ROCPRIM_400000_NS6detail17trampoline_kernelINS0_14default_configENS1_27scan_by_key_config_selectorIssEEZZNS1_16scan_by_key_implILNS1_25lookback_scan_determinismE0ELb0ES3_N6thrust23THRUST_200600_302600_NS6detail15normal_iteratorINS9_10device_ptrIsEEEESE_SE_sNS9_4plusIvEENS9_8equal_toIvEEsEE10hipError_tPvRmT2_T3_T4_T5_mT6_T7_P12ihipStream_tbENKUlT_T0_E_clISt17integral_constantIbLb1EESY_IbLb0EEEEDaSU_SV_EUlSU_E_NS1_11comp_targetILNS1_3genE8ELNS1_11target_archE1030ELNS1_3gpuE2ELNS1_3repE0EEENS1_30default_config_static_selectorELNS0_4arch9wavefront6targetE0EEEvT1_.has_indirect_call, 0
	.section	.AMDGPU.csdata,"",@progbits
; Kernel info:
; codeLenInByte = 0
; TotalNumSgprs: 0
; NumVgprs: 0
; ScratchSize: 0
; MemoryBound: 0
; FloatMode: 240
; IeeeMode: 1
; LDSByteSize: 0 bytes/workgroup (compile time only)
; SGPRBlocks: 0
; VGPRBlocks: 0
; NumSGPRsForWavesPerEU: 1
; NumVGPRsForWavesPerEU: 1
; NamedBarCnt: 0
; Occupancy: 16
; WaveLimiterHint : 0
; COMPUTE_PGM_RSRC2:SCRATCH_EN: 0
; COMPUTE_PGM_RSRC2:USER_SGPR: 2
; COMPUTE_PGM_RSRC2:TRAP_HANDLER: 0
; COMPUTE_PGM_RSRC2:TGID_X_EN: 1
; COMPUTE_PGM_RSRC2:TGID_Y_EN: 0
; COMPUTE_PGM_RSRC2:TGID_Z_EN: 0
; COMPUTE_PGM_RSRC2:TIDIG_COMP_CNT: 0
	.section	.text._ZN7rocprim17ROCPRIM_400000_NS6detail30init_device_scan_by_key_kernelINS1_19lookback_scan_stateINS0_5tupleIJsbEEELb0ELb1EEEN6thrust23THRUST_200600_302600_NS6detail15normal_iteratorINS8_10device_ptrIsEEEEjNS1_16block_id_wrapperIjLb1EEEEEvT_jjPNSG_10value_typeET0_PNSt15iterator_traitsISJ_E10value_typeEmT1_T2_,"axG",@progbits,_ZN7rocprim17ROCPRIM_400000_NS6detail30init_device_scan_by_key_kernelINS1_19lookback_scan_stateINS0_5tupleIJsbEEELb0ELb1EEEN6thrust23THRUST_200600_302600_NS6detail15normal_iteratorINS8_10device_ptrIsEEEEjNS1_16block_id_wrapperIjLb1EEEEEvT_jjPNSG_10value_typeET0_PNSt15iterator_traitsISJ_E10value_typeEmT1_T2_,comdat
	.protected	_ZN7rocprim17ROCPRIM_400000_NS6detail30init_device_scan_by_key_kernelINS1_19lookback_scan_stateINS0_5tupleIJsbEEELb0ELb1EEEN6thrust23THRUST_200600_302600_NS6detail15normal_iteratorINS8_10device_ptrIsEEEEjNS1_16block_id_wrapperIjLb1EEEEEvT_jjPNSG_10value_typeET0_PNSt15iterator_traitsISJ_E10value_typeEmT1_T2_ ; -- Begin function _ZN7rocprim17ROCPRIM_400000_NS6detail30init_device_scan_by_key_kernelINS1_19lookback_scan_stateINS0_5tupleIJsbEEELb0ELb1EEEN6thrust23THRUST_200600_302600_NS6detail15normal_iteratorINS8_10device_ptrIsEEEEjNS1_16block_id_wrapperIjLb1EEEEEvT_jjPNSG_10value_typeET0_PNSt15iterator_traitsISJ_E10value_typeEmT1_T2_
	.globl	_ZN7rocprim17ROCPRIM_400000_NS6detail30init_device_scan_by_key_kernelINS1_19lookback_scan_stateINS0_5tupleIJsbEEELb0ELb1EEEN6thrust23THRUST_200600_302600_NS6detail15normal_iteratorINS8_10device_ptrIsEEEEjNS1_16block_id_wrapperIjLb1EEEEEvT_jjPNSG_10value_typeET0_PNSt15iterator_traitsISJ_E10value_typeEmT1_T2_
	.p2align	8
	.type	_ZN7rocprim17ROCPRIM_400000_NS6detail30init_device_scan_by_key_kernelINS1_19lookback_scan_stateINS0_5tupleIJsbEEELb0ELb1EEEN6thrust23THRUST_200600_302600_NS6detail15normal_iteratorINS8_10device_ptrIsEEEEjNS1_16block_id_wrapperIjLb1EEEEEvT_jjPNSG_10value_typeET0_PNSt15iterator_traitsISJ_E10value_typeEmT1_T2_,@function
_ZN7rocprim17ROCPRIM_400000_NS6detail30init_device_scan_by_key_kernelINS1_19lookback_scan_stateINS0_5tupleIJsbEEELb0ELb1EEEN6thrust23THRUST_200600_302600_NS6detail15normal_iteratorINS8_10device_ptrIsEEEEjNS1_16block_id_wrapperIjLb1EEEEEvT_jjPNSG_10value_typeET0_PNSt15iterator_traitsISJ_E10value_typeEmT1_T2_: ; @_ZN7rocprim17ROCPRIM_400000_NS6detail30init_device_scan_by_key_kernelINS1_19lookback_scan_stateINS0_5tupleIJsbEEELb0ELb1EEEN6thrust23THRUST_200600_302600_NS6detail15normal_iteratorINS8_10device_ptrIsEEEEjNS1_16block_id_wrapperIjLb1EEEEEvT_jjPNSG_10value_typeET0_PNSt15iterator_traitsISJ_E10value_typeEmT1_T2_
; %bb.0:
	s_clause 0x2
	s_load_b32 s2, s[0:1], 0x4c
	s_load_b32 s12, s[0:1], 0x40
	s_load_b256 s[4:11], s[0:1], 0x0
	s_bfe_u32 s3, ttmp6, 0x4000c
	s_and_b32 s14, ttmp6, 15
	s_add_co_i32 s3, s3, 1
	s_getreg_b32 s15, hwreg(HW_REG_IB_STS2, 6, 4)
	s_mul_i32 s3, ttmp9, s3
	s_delay_alu instid0(SALU_CYCLE_1)
	s_add_co_i32 s14, s14, s3
	s_wait_kmcnt 0x0
	s_and_b32 s13, s2, 0xffff
	s_cmp_eq_u32 s15, 0
	s_cselect_b32 s2, ttmp9, s14
	s_cmp_eq_u64 s[8:9], 0
	v_mad_u32 v0, s2, s13, v0
	s_cbranch_scc1 .LBB270_7
; %bb.1:
	s_cmp_lt_u32 s7, s6
	s_mov_b32 s14, exec_lo
	s_cselect_b32 s2, s7, 0
	s_delay_alu instid0(VALU_DEP_1) | instid1(SALU_CYCLE_1)
	v_cmpx_eq_u32_e64 s2, v0
	s_cbranch_execz .LBB270_6
; %bb.2:
	s_add_co_i32 s2, s7, 32
	s_delay_alu instid0(SALU_CYCLE_1) | instskip(SKIP_3) | instid1(VALU_DEP_1)
	v_dual_mov_b32 v4, 0 :: v_dual_mov_b32 v1, s2
	global_load_b64 v[2:3], v1, s[4:5] scale_offset scope:SCOPE_DEV
	s_wait_loadcnt 0x0
	v_and_b32_e32 v5, 0xff, v3
	v_cmp_ne_u64_e32 vcc_lo, 0, v[4:5]
	s_cbranch_vccnz .LBB270_5
; %bb.3:
	s_mov_b32 s3, 0
	s_delay_alu instid0(SALU_CYCLE_1) | instskip(NEXT) | instid1(SALU_CYCLE_1)
	s_lshl_b64 s[2:3], s[2:3], 3
	s_add_nc_u64 s[2:3], s[4:5], s[2:3]
.LBB270_4:                              ; =>This Inner Loop Header: Depth=1
	global_load_b64 v[2:3], v4, s[2:3] scope:SCOPE_DEV
	s_wait_loadcnt 0x0
	v_and_b32_e32 v5, 0xff, v3
	s_delay_alu instid0(VALU_DEP_1)
	v_cmp_eq_u64_e32 vcc_lo, 0, v[4:5]
	s_cbranch_vccnz .LBB270_4
.LBB270_5:
	v_mov_b32_e32 v1, 0
	s_clause 0x1
	global_store_b16 v1, v2, s[8:9]
	global_store_d16_hi_b8 v1, v2, s[8:9] offset:2
.LBB270_6:
	s_wait_xcnt 0x0
	s_or_b32 exec_lo, exec_lo, s14
.LBB270_7:
	s_delay_alu instid0(SALU_CYCLE_1) | instskip(NEXT) | instid1(VALU_DEP_1)
	s_mov_b32 s2, exec_lo
	v_cmpx_eq_u32_e32 0, v0
	s_cbranch_execz .LBB270_9
; %bb.8:
	s_load_b64 s[8:9], s[0:1], 0x38
	v_mov_b32_e32 v1, 0
	s_wait_kmcnt 0x0
	global_store_b32 v1, v1, s[8:9]
.LBB270_9:
	s_wait_xcnt 0x0
	s_or_b32 exec_lo, exec_lo, s2
	s_delay_alu instid0(SALU_CYCLE_1)
	s_mov_b32 s2, exec_lo
	v_cmpx_gt_u32_e64 s6, v0
	s_cbranch_execz .LBB270_11
; %bb.10:
	v_mov_b64_e32 v[2:3], 0
	v_add_nc_u32_e32 v1, 32, v0
	global_store_b64 v1, v[2:3], s[4:5] scale_offset
.LBB270_11:
	s_wait_xcnt 0x0
	s_or_b32 exec_lo, exec_lo, s2
	v_mov_b32_e32 v1, 0
	s_mov_b32 s2, exec_lo
	v_cmpx_gt_u32_e32 32, v0
	s_cbranch_execz .LBB270_13
; %bb.12:
	v_mov_b64_e32 v[2:3], 0xff00000000
	v_lshl_add_u64 v[4:5], v[0:1], 3, s[4:5]
	global_store_b64 v[4:5], v[2:3], off
.LBB270_13:
	s_wait_xcnt 0x0
	s_or_b32 exec_lo, exec_lo, s2
	s_load_b64 s[2:3], s[0:1], 0x28
	s_mov_b32 s4, exec_lo
	s_wait_kmcnt 0x0
	v_cmpx_gt_u64_e64 s[2:3], v[0:1]
	s_cbranch_execz .LBB270_16
; %bb.14:
	s_clause 0x1
	s_load_b32 s4, s[0:1], 0x30
	s_load_b64 s[6:7], s[0:1], 0x20
	s_mov_b32 s5, 0
	s_wait_xcnt 0x0
	s_mul_i32 s0, s12, s13
	s_mov_b32 s9, s5
	s_mov_b32 s1, s5
	s_wait_kmcnt 0x0
	v_mul_u64_e32 v[2:3], s[4:5], v[0:1]
	s_add_co_i32 s8, s4, -1
	v_lshl_add_u64 v[4:5], v[0:1], 1, s[6:7]
	s_lshl_b64 s[8:9], s[8:9], 1
	s_delay_alu instid0(SALU_CYCLE_1) | instskip(SKIP_1) | instid1(SALU_CYCLE_1)
	s_add_nc_u64 s[8:9], s[10:11], s[8:9]
	s_mul_u64 s[10:11], s[4:5], s[0:1]
	s_lshl_b64 s[6:7], s[10:11], 1
	s_delay_alu instid0(VALU_DEP_2)
	v_lshl_add_u64 v[2:3], v[2:3], 1, s[8:9]
	s_lshl_b64 s[8:9], s[0:1], 1
.LBB270_15:                             ; =>This Inner Loop Header: Depth=1
	global_load_u16 v6, v[2:3], off
	v_add_nc_u64_e32 v[0:1], s[0:1], v[0:1]
	s_wait_xcnt 0x0
	v_add_nc_u64_e32 v[2:3], s[6:7], v[2:3]
	s_delay_alu instid0(VALU_DEP_2)
	v_cmp_le_u64_e32 vcc_lo, s[2:3], v[0:1]
	s_or_b32 s5, vcc_lo, s5
	s_wait_loadcnt 0x0
	global_store_b16 v[4:5], v6, off
	s_wait_xcnt 0x0
	v_add_nc_u64_e32 v[4:5], s[8:9], v[4:5]
	s_and_not1_b32 exec_lo, exec_lo, s5
	s_cbranch_execnz .LBB270_15
.LBB270_16:
	s_endpgm
	.section	.rodata,"a",@progbits
	.p2align	6, 0x0
	.amdhsa_kernel _ZN7rocprim17ROCPRIM_400000_NS6detail30init_device_scan_by_key_kernelINS1_19lookback_scan_stateINS0_5tupleIJsbEEELb0ELb1EEEN6thrust23THRUST_200600_302600_NS6detail15normal_iteratorINS8_10device_ptrIsEEEEjNS1_16block_id_wrapperIjLb1EEEEEvT_jjPNSG_10value_typeET0_PNSt15iterator_traitsISJ_E10value_typeEmT1_T2_
		.amdhsa_group_segment_fixed_size 0
		.amdhsa_private_segment_fixed_size 0
		.amdhsa_kernarg_size 320
		.amdhsa_user_sgpr_count 2
		.amdhsa_user_sgpr_dispatch_ptr 0
		.amdhsa_user_sgpr_queue_ptr 0
		.amdhsa_user_sgpr_kernarg_segment_ptr 1
		.amdhsa_user_sgpr_dispatch_id 0
		.amdhsa_user_sgpr_kernarg_preload_length 0
		.amdhsa_user_sgpr_kernarg_preload_offset 0
		.amdhsa_user_sgpr_private_segment_size 0
		.amdhsa_wavefront_size32 1
		.amdhsa_uses_dynamic_stack 0
		.amdhsa_enable_private_segment 0
		.amdhsa_system_sgpr_workgroup_id_x 1
		.amdhsa_system_sgpr_workgroup_id_y 0
		.amdhsa_system_sgpr_workgroup_id_z 0
		.amdhsa_system_sgpr_workgroup_info 0
		.amdhsa_system_vgpr_workitem_id 0
		.amdhsa_next_free_vgpr 7
		.amdhsa_next_free_sgpr 16
		.amdhsa_named_barrier_count 0
		.amdhsa_reserve_vcc 1
		.amdhsa_float_round_mode_32 0
		.amdhsa_float_round_mode_16_64 0
		.amdhsa_float_denorm_mode_32 3
		.amdhsa_float_denorm_mode_16_64 3
		.amdhsa_fp16_overflow 0
		.amdhsa_memory_ordered 1
		.amdhsa_forward_progress 1
		.amdhsa_inst_pref_size 5
		.amdhsa_round_robin_scheduling 0
		.amdhsa_exception_fp_ieee_invalid_op 0
		.amdhsa_exception_fp_denorm_src 0
		.amdhsa_exception_fp_ieee_div_zero 0
		.amdhsa_exception_fp_ieee_overflow 0
		.amdhsa_exception_fp_ieee_underflow 0
		.amdhsa_exception_fp_ieee_inexact 0
		.amdhsa_exception_int_div_zero 0
	.end_amdhsa_kernel
	.section	.text._ZN7rocprim17ROCPRIM_400000_NS6detail30init_device_scan_by_key_kernelINS1_19lookback_scan_stateINS0_5tupleIJsbEEELb0ELb1EEEN6thrust23THRUST_200600_302600_NS6detail15normal_iteratorINS8_10device_ptrIsEEEEjNS1_16block_id_wrapperIjLb1EEEEEvT_jjPNSG_10value_typeET0_PNSt15iterator_traitsISJ_E10value_typeEmT1_T2_,"axG",@progbits,_ZN7rocprim17ROCPRIM_400000_NS6detail30init_device_scan_by_key_kernelINS1_19lookback_scan_stateINS0_5tupleIJsbEEELb0ELb1EEEN6thrust23THRUST_200600_302600_NS6detail15normal_iteratorINS8_10device_ptrIsEEEEjNS1_16block_id_wrapperIjLb1EEEEEvT_jjPNSG_10value_typeET0_PNSt15iterator_traitsISJ_E10value_typeEmT1_T2_,comdat
.Lfunc_end270:
	.size	_ZN7rocprim17ROCPRIM_400000_NS6detail30init_device_scan_by_key_kernelINS1_19lookback_scan_stateINS0_5tupleIJsbEEELb0ELb1EEEN6thrust23THRUST_200600_302600_NS6detail15normal_iteratorINS8_10device_ptrIsEEEEjNS1_16block_id_wrapperIjLb1EEEEEvT_jjPNSG_10value_typeET0_PNSt15iterator_traitsISJ_E10value_typeEmT1_T2_, .Lfunc_end270-_ZN7rocprim17ROCPRIM_400000_NS6detail30init_device_scan_by_key_kernelINS1_19lookback_scan_stateINS0_5tupleIJsbEEELb0ELb1EEEN6thrust23THRUST_200600_302600_NS6detail15normal_iteratorINS8_10device_ptrIsEEEEjNS1_16block_id_wrapperIjLb1EEEEEvT_jjPNSG_10value_typeET0_PNSt15iterator_traitsISJ_E10value_typeEmT1_T2_
                                        ; -- End function
	.set _ZN7rocprim17ROCPRIM_400000_NS6detail30init_device_scan_by_key_kernelINS1_19lookback_scan_stateINS0_5tupleIJsbEEELb0ELb1EEEN6thrust23THRUST_200600_302600_NS6detail15normal_iteratorINS8_10device_ptrIsEEEEjNS1_16block_id_wrapperIjLb1EEEEEvT_jjPNSG_10value_typeET0_PNSt15iterator_traitsISJ_E10value_typeEmT1_T2_.num_vgpr, 7
	.set _ZN7rocprim17ROCPRIM_400000_NS6detail30init_device_scan_by_key_kernelINS1_19lookback_scan_stateINS0_5tupleIJsbEEELb0ELb1EEEN6thrust23THRUST_200600_302600_NS6detail15normal_iteratorINS8_10device_ptrIsEEEEjNS1_16block_id_wrapperIjLb1EEEEEvT_jjPNSG_10value_typeET0_PNSt15iterator_traitsISJ_E10value_typeEmT1_T2_.num_agpr, 0
	.set _ZN7rocprim17ROCPRIM_400000_NS6detail30init_device_scan_by_key_kernelINS1_19lookback_scan_stateINS0_5tupleIJsbEEELb0ELb1EEEN6thrust23THRUST_200600_302600_NS6detail15normal_iteratorINS8_10device_ptrIsEEEEjNS1_16block_id_wrapperIjLb1EEEEEvT_jjPNSG_10value_typeET0_PNSt15iterator_traitsISJ_E10value_typeEmT1_T2_.numbered_sgpr, 16
	.set _ZN7rocprim17ROCPRIM_400000_NS6detail30init_device_scan_by_key_kernelINS1_19lookback_scan_stateINS0_5tupleIJsbEEELb0ELb1EEEN6thrust23THRUST_200600_302600_NS6detail15normal_iteratorINS8_10device_ptrIsEEEEjNS1_16block_id_wrapperIjLb1EEEEEvT_jjPNSG_10value_typeET0_PNSt15iterator_traitsISJ_E10value_typeEmT1_T2_.num_named_barrier, 0
	.set _ZN7rocprim17ROCPRIM_400000_NS6detail30init_device_scan_by_key_kernelINS1_19lookback_scan_stateINS0_5tupleIJsbEEELb0ELb1EEEN6thrust23THRUST_200600_302600_NS6detail15normal_iteratorINS8_10device_ptrIsEEEEjNS1_16block_id_wrapperIjLb1EEEEEvT_jjPNSG_10value_typeET0_PNSt15iterator_traitsISJ_E10value_typeEmT1_T2_.private_seg_size, 0
	.set _ZN7rocprim17ROCPRIM_400000_NS6detail30init_device_scan_by_key_kernelINS1_19lookback_scan_stateINS0_5tupleIJsbEEELb0ELb1EEEN6thrust23THRUST_200600_302600_NS6detail15normal_iteratorINS8_10device_ptrIsEEEEjNS1_16block_id_wrapperIjLb1EEEEEvT_jjPNSG_10value_typeET0_PNSt15iterator_traitsISJ_E10value_typeEmT1_T2_.uses_vcc, 1
	.set _ZN7rocprim17ROCPRIM_400000_NS6detail30init_device_scan_by_key_kernelINS1_19lookback_scan_stateINS0_5tupleIJsbEEELb0ELb1EEEN6thrust23THRUST_200600_302600_NS6detail15normal_iteratorINS8_10device_ptrIsEEEEjNS1_16block_id_wrapperIjLb1EEEEEvT_jjPNSG_10value_typeET0_PNSt15iterator_traitsISJ_E10value_typeEmT1_T2_.uses_flat_scratch, 0
	.set _ZN7rocprim17ROCPRIM_400000_NS6detail30init_device_scan_by_key_kernelINS1_19lookback_scan_stateINS0_5tupleIJsbEEELb0ELb1EEEN6thrust23THRUST_200600_302600_NS6detail15normal_iteratorINS8_10device_ptrIsEEEEjNS1_16block_id_wrapperIjLb1EEEEEvT_jjPNSG_10value_typeET0_PNSt15iterator_traitsISJ_E10value_typeEmT1_T2_.has_dyn_sized_stack, 0
	.set _ZN7rocprim17ROCPRIM_400000_NS6detail30init_device_scan_by_key_kernelINS1_19lookback_scan_stateINS0_5tupleIJsbEEELb0ELb1EEEN6thrust23THRUST_200600_302600_NS6detail15normal_iteratorINS8_10device_ptrIsEEEEjNS1_16block_id_wrapperIjLb1EEEEEvT_jjPNSG_10value_typeET0_PNSt15iterator_traitsISJ_E10value_typeEmT1_T2_.has_recursion, 0
	.set _ZN7rocprim17ROCPRIM_400000_NS6detail30init_device_scan_by_key_kernelINS1_19lookback_scan_stateINS0_5tupleIJsbEEELb0ELb1EEEN6thrust23THRUST_200600_302600_NS6detail15normal_iteratorINS8_10device_ptrIsEEEEjNS1_16block_id_wrapperIjLb1EEEEEvT_jjPNSG_10value_typeET0_PNSt15iterator_traitsISJ_E10value_typeEmT1_T2_.has_indirect_call, 0
	.section	.AMDGPU.csdata,"",@progbits
; Kernel info:
; codeLenInByte = 616
; TotalNumSgprs: 18
; NumVgprs: 7
; ScratchSize: 0
; MemoryBound: 0
; FloatMode: 240
; IeeeMode: 1
; LDSByteSize: 0 bytes/workgroup (compile time only)
; SGPRBlocks: 0
; VGPRBlocks: 0
; NumSGPRsForWavesPerEU: 18
; NumVGPRsForWavesPerEU: 7
; NamedBarCnt: 0
; Occupancy: 16
; WaveLimiterHint : 0
; COMPUTE_PGM_RSRC2:SCRATCH_EN: 0
; COMPUTE_PGM_RSRC2:USER_SGPR: 2
; COMPUTE_PGM_RSRC2:TRAP_HANDLER: 0
; COMPUTE_PGM_RSRC2:TGID_X_EN: 1
; COMPUTE_PGM_RSRC2:TGID_Y_EN: 0
; COMPUTE_PGM_RSRC2:TGID_Z_EN: 0
; COMPUTE_PGM_RSRC2:TIDIG_COMP_CNT: 0
	.section	.text._ZN7rocprim17ROCPRIM_400000_NS6detail30init_device_scan_by_key_kernelINS1_19lookback_scan_stateINS0_5tupleIJsbEEELb0ELb1EEENS1_16block_id_wrapperIjLb1EEEEEvT_jjPNS9_10value_typeET0_,"axG",@progbits,_ZN7rocprim17ROCPRIM_400000_NS6detail30init_device_scan_by_key_kernelINS1_19lookback_scan_stateINS0_5tupleIJsbEEELb0ELb1EEENS1_16block_id_wrapperIjLb1EEEEEvT_jjPNS9_10value_typeET0_,comdat
	.protected	_ZN7rocprim17ROCPRIM_400000_NS6detail30init_device_scan_by_key_kernelINS1_19lookback_scan_stateINS0_5tupleIJsbEEELb0ELb1EEENS1_16block_id_wrapperIjLb1EEEEEvT_jjPNS9_10value_typeET0_ ; -- Begin function _ZN7rocprim17ROCPRIM_400000_NS6detail30init_device_scan_by_key_kernelINS1_19lookback_scan_stateINS0_5tupleIJsbEEELb0ELb1EEENS1_16block_id_wrapperIjLb1EEEEEvT_jjPNS9_10value_typeET0_
	.globl	_ZN7rocprim17ROCPRIM_400000_NS6detail30init_device_scan_by_key_kernelINS1_19lookback_scan_stateINS0_5tupleIJsbEEELb0ELb1EEENS1_16block_id_wrapperIjLb1EEEEEvT_jjPNS9_10value_typeET0_
	.p2align	8
	.type	_ZN7rocprim17ROCPRIM_400000_NS6detail30init_device_scan_by_key_kernelINS1_19lookback_scan_stateINS0_5tupleIJsbEEELb0ELb1EEENS1_16block_id_wrapperIjLb1EEEEEvT_jjPNS9_10value_typeET0_,@function
_ZN7rocprim17ROCPRIM_400000_NS6detail30init_device_scan_by_key_kernelINS1_19lookback_scan_stateINS0_5tupleIJsbEEELb0ELb1EEENS1_16block_id_wrapperIjLb1EEEEEvT_jjPNS9_10value_typeET0_: ; @_ZN7rocprim17ROCPRIM_400000_NS6detail30init_device_scan_by_key_kernelINS1_19lookback_scan_stateINS0_5tupleIJsbEEELb0ELb1EEENS1_16block_id_wrapperIjLb1EEEEEvT_jjPNS9_10value_typeET0_
; %bb.0:
	s_clause 0x1
	s_load_b32 s2, s[0:1], 0x2c
	s_load_b256 s[4:11], s[0:1], 0x0
	s_wait_xcnt 0x0
	s_bfe_u32 s0, ttmp6, 0x4000c
	s_and_b32 s1, ttmp6, 15
	s_add_co_i32 s0, s0, 1
	s_getreg_b32 s3, hwreg(HW_REG_IB_STS2, 6, 4)
	s_mul_i32 s0, ttmp9, s0
	s_delay_alu instid0(SALU_CYCLE_1)
	s_add_co_i32 s1, s1, s0
	s_wait_kmcnt 0x0
	s_and_b32 s2, s2, 0xffff
	s_cmp_eq_u32 s3, 0
	s_cselect_b32 s0, ttmp9, s1
	s_cmp_eq_u64 s[8:9], 0
	v_mad_u32 v4, s0, s2, v0
	s_cbranch_scc1 .LBB271_7
; %bb.1:
	s_cmp_lt_u32 s7, s6
	s_mov_b32 s2, exec_lo
	s_cselect_b32 s0, s7, 0
	s_delay_alu instid0(VALU_DEP_1) | instid1(SALU_CYCLE_1)
	v_cmpx_eq_u32_e64 s0, v4
	s_cbranch_execz .LBB271_6
; %bb.2:
	s_add_co_i32 s0, s7, 32
	s_delay_alu instid0(SALU_CYCLE_1) | instskip(SKIP_3) | instid1(VALU_DEP_1)
	v_dual_mov_b32 v2, 0 :: v_dual_mov_b32 v0, s0
	global_load_b64 v[0:1], v0, s[4:5] scale_offset scope:SCOPE_DEV
	s_wait_loadcnt 0x0
	v_and_b32_e32 v3, 0xff, v1
	v_cmp_ne_u64_e32 vcc_lo, 0, v[2:3]
	s_cbranch_vccnz .LBB271_5
; %bb.3:
	s_mov_b32 s1, 0
	s_delay_alu instid0(SALU_CYCLE_1) | instskip(NEXT) | instid1(SALU_CYCLE_1)
	s_lshl_b64 s[0:1], s[0:1], 3
	s_add_nc_u64 s[0:1], s[4:5], s[0:1]
.LBB271_4:                              ; =>This Inner Loop Header: Depth=1
	global_load_b64 v[0:1], v2, s[0:1] scope:SCOPE_DEV
	s_wait_loadcnt 0x0
	v_and_b32_e32 v3, 0xff, v1
	s_delay_alu instid0(VALU_DEP_1)
	v_cmp_eq_u64_e32 vcc_lo, 0, v[2:3]
	s_cbranch_vccnz .LBB271_4
.LBB271_5:
	v_mov_b32_e32 v1, 0
	s_clause 0x1
	global_store_b16 v1, v0, s[8:9]
	global_store_d16_hi_b8 v1, v0, s[8:9] offset:2
.LBB271_6:
	s_wait_xcnt 0x0
	s_or_b32 exec_lo, exec_lo, s2
.LBB271_7:
	s_delay_alu instid0(SALU_CYCLE_1) | instskip(NEXT) | instid1(VALU_DEP_1)
	s_mov_b32 s0, exec_lo
	v_cmpx_eq_u32_e32 0, v4
	s_cbranch_execz .LBB271_9
; %bb.8:
	v_mov_b32_e32 v0, 0
	global_store_b32 v0, v0, s[10:11]
.LBB271_9:
	s_wait_xcnt 0x0
	s_or_b32 exec_lo, exec_lo, s0
	s_delay_alu instid0(SALU_CYCLE_1)
	s_mov_b32 s0, exec_lo
	v_cmpx_gt_u32_e64 s6, v4
	s_cbranch_execz .LBB271_11
; %bb.10:
	v_mov_b64_e32 v[0:1], 0
	v_add_nc_u32_e32 v2, 32, v4
	global_store_b64 v2, v[0:1], s[4:5] scale_offset
.LBB271_11:
	s_wait_xcnt 0x0
	s_or_b32 exec_lo, exec_lo, s0
	s_delay_alu instid0(SALU_CYCLE_1)
	s_mov_b32 s0, exec_lo
	v_cmpx_gt_u32_e32 32, v4
	s_cbranch_execz .LBB271_13
; %bb.12:
	v_mov_b64_e32 v[0:1], 0xff00000000
	global_store_b64 v4, v[0:1], s[4:5] scale_offset
.LBB271_13:
	s_endpgm
	.section	.rodata,"a",@progbits
	.p2align	6, 0x0
	.amdhsa_kernel _ZN7rocprim17ROCPRIM_400000_NS6detail30init_device_scan_by_key_kernelINS1_19lookback_scan_stateINS0_5tupleIJsbEEELb0ELb1EEENS1_16block_id_wrapperIjLb1EEEEEvT_jjPNS9_10value_typeET0_
		.amdhsa_group_segment_fixed_size 0
		.amdhsa_private_segment_fixed_size 0
		.amdhsa_kernarg_size 288
		.amdhsa_user_sgpr_count 2
		.amdhsa_user_sgpr_dispatch_ptr 0
		.amdhsa_user_sgpr_queue_ptr 0
		.amdhsa_user_sgpr_kernarg_segment_ptr 1
		.amdhsa_user_sgpr_dispatch_id 0
		.amdhsa_user_sgpr_kernarg_preload_length 0
		.amdhsa_user_sgpr_kernarg_preload_offset 0
		.amdhsa_user_sgpr_private_segment_size 0
		.amdhsa_wavefront_size32 1
		.amdhsa_uses_dynamic_stack 0
		.amdhsa_enable_private_segment 0
		.amdhsa_system_sgpr_workgroup_id_x 1
		.amdhsa_system_sgpr_workgroup_id_y 0
		.amdhsa_system_sgpr_workgroup_id_z 0
		.amdhsa_system_sgpr_workgroup_info 0
		.amdhsa_system_vgpr_workitem_id 0
		.amdhsa_next_free_vgpr 5
		.amdhsa_next_free_sgpr 12
		.amdhsa_named_barrier_count 0
		.amdhsa_reserve_vcc 1
		.amdhsa_float_round_mode_32 0
		.amdhsa_float_round_mode_16_64 0
		.amdhsa_float_denorm_mode_32 3
		.amdhsa_float_denorm_mode_16_64 3
		.amdhsa_fp16_overflow 0
		.amdhsa_memory_ordered 1
		.amdhsa_forward_progress 1
		.amdhsa_inst_pref_size 4
		.amdhsa_round_robin_scheduling 0
		.amdhsa_exception_fp_ieee_invalid_op 0
		.amdhsa_exception_fp_denorm_src 0
		.amdhsa_exception_fp_ieee_div_zero 0
		.amdhsa_exception_fp_ieee_overflow 0
		.amdhsa_exception_fp_ieee_underflow 0
		.amdhsa_exception_fp_ieee_inexact 0
		.amdhsa_exception_int_div_zero 0
	.end_amdhsa_kernel
	.section	.text._ZN7rocprim17ROCPRIM_400000_NS6detail30init_device_scan_by_key_kernelINS1_19lookback_scan_stateINS0_5tupleIJsbEEELb0ELb1EEENS1_16block_id_wrapperIjLb1EEEEEvT_jjPNS9_10value_typeET0_,"axG",@progbits,_ZN7rocprim17ROCPRIM_400000_NS6detail30init_device_scan_by_key_kernelINS1_19lookback_scan_stateINS0_5tupleIJsbEEELb0ELb1EEENS1_16block_id_wrapperIjLb1EEEEEvT_jjPNS9_10value_typeET0_,comdat
.Lfunc_end271:
	.size	_ZN7rocprim17ROCPRIM_400000_NS6detail30init_device_scan_by_key_kernelINS1_19lookback_scan_stateINS0_5tupleIJsbEEELb0ELb1EEENS1_16block_id_wrapperIjLb1EEEEEvT_jjPNS9_10value_typeET0_, .Lfunc_end271-_ZN7rocprim17ROCPRIM_400000_NS6detail30init_device_scan_by_key_kernelINS1_19lookback_scan_stateINS0_5tupleIJsbEEELb0ELb1EEENS1_16block_id_wrapperIjLb1EEEEEvT_jjPNS9_10value_typeET0_
                                        ; -- End function
	.set _ZN7rocprim17ROCPRIM_400000_NS6detail30init_device_scan_by_key_kernelINS1_19lookback_scan_stateINS0_5tupleIJsbEEELb0ELb1EEENS1_16block_id_wrapperIjLb1EEEEEvT_jjPNS9_10value_typeET0_.num_vgpr, 5
	.set _ZN7rocprim17ROCPRIM_400000_NS6detail30init_device_scan_by_key_kernelINS1_19lookback_scan_stateINS0_5tupleIJsbEEELb0ELb1EEENS1_16block_id_wrapperIjLb1EEEEEvT_jjPNS9_10value_typeET0_.num_agpr, 0
	.set _ZN7rocprim17ROCPRIM_400000_NS6detail30init_device_scan_by_key_kernelINS1_19lookback_scan_stateINS0_5tupleIJsbEEELb0ELb1EEENS1_16block_id_wrapperIjLb1EEEEEvT_jjPNS9_10value_typeET0_.numbered_sgpr, 12
	.set _ZN7rocprim17ROCPRIM_400000_NS6detail30init_device_scan_by_key_kernelINS1_19lookback_scan_stateINS0_5tupleIJsbEEELb0ELb1EEENS1_16block_id_wrapperIjLb1EEEEEvT_jjPNS9_10value_typeET0_.num_named_barrier, 0
	.set _ZN7rocprim17ROCPRIM_400000_NS6detail30init_device_scan_by_key_kernelINS1_19lookback_scan_stateINS0_5tupleIJsbEEELb0ELb1EEENS1_16block_id_wrapperIjLb1EEEEEvT_jjPNS9_10value_typeET0_.private_seg_size, 0
	.set _ZN7rocprim17ROCPRIM_400000_NS6detail30init_device_scan_by_key_kernelINS1_19lookback_scan_stateINS0_5tupleIJsbEEELb0ELb1EEENS1_16block_id_wrapperIjLb1EEEEEvT_jjPNS9_10value_typeET0_.uses_vcc, 1
	.set _ZN7rocprim17ROCPRIM_400000_NS6detail30init_device_scan_by_key_kernelINS1_19lookback_scan_stateINS0_5tupleIJsbEEELb0ELb1EEENS1_16block_id_wrapperIjLb1EEEEEvT_jjPNS9_10value_typeET0_.uses_flat_scratch, 0
	.set _ZN7rocprim17ROCPRIM_400000_NS6detail30init_device_scan_by_key_kernelINS1_19lookback_scan_stateINS0_5tupleIJsbEEELb0ELb1EEENS1_16block_id_wrapperIjLb1EEEEEvT_jjPNS9_10value_typeET0_.has_dyn_sized_stack, 0
	.set _ZN7rocprim17ROCPRIM_400000_NS6detail30init_device_scan_by_key_kernelINS1_19lookback_scan_stateINS0_5tupleIJsbEEELb0ELb1EEENS1_16block_id_wrapperIjLb1EEEEEvT_jjPNS9_10value_typeET0_.has_recursion, 0
	.set _ZN7rocprim17ROCPRIM_400000_NS6detail30init_device_scan_by_key_kernelINS1_19lookback_scan_stateINS0_5tupleIJsbEEELb0ELb1EEENS1_16block_id_wrapperIjLb1EEEEEvT_jjPNS9_10value_typeET0_.has_indirect_call, 0
	.section	.AMDGPU.csdata,"",@progbits
; Kernel info:
; codeLenInByte = 396
; TotalNumSgprs: 14
; NumVgprs: 5
; ScratchSize: 0
; MemoryBound: 0
; FloatMode: 240
; IeeeMode: 1
; LDSByteSize: 0 bytes/workgroup (compile time only)
; SGPRBlocks: 0
; VGPRBlocks: 0
; NumSGPRsForWavesPerEU: 14
; NumVGPRsForWavesPerEU: 5
; NamedBarCnt: 0
; Occupancy: 16
; WaveLimiterHint : 0
; COMPUTE_PGM_RSRC2:SCRATCH_EN: 0
; COMPUTE_PGM_RSRC2:USER_SGPR: 2
; COMPUTE_PGM_RSRC2:TRAP_HANDLER: 0
; COMPUTE_PGM_RSRC2:TGID_X_EN: 1
; COMPUTE_PGM_RSRC2:TGID_Y_EN: 0
; COMPUTE_PGM_RSRC2:TGID_Z_EN: 0
; COMPUTE_PGM_RSRC2:TIDIG_COMP_CNT: 0
	.section	.text._ZN7rocprim17ROCPRIM_400000_NS6detail17trampoline_kernelINS0_14default_configENS1_27scan_by_key_config_selectorIssEEZZNS1_16scan_by_key_implILNS1_25lookback_scan_determinismE0ELb0ES3_N6thrust23THRUST_200600_302600_NS6detail15normal_iteratorINS9_10device_ptrIsEEEESE_SE_sNS9_4plusIvEENS9_8equal_toIvEEsEE10hipError_tPvRmT2_T3_T4_T5_mT6_T7_P12ihipStream_tbENKUlT_T0_E_clISt17integral_constantIbLb0EESY_IbLb1EEEEDaSU_SV_EUlSU_E_NS1_11comp_targetILNS1_3genE0ELNS1_11target_archE4294967295ELNS1_3gpuE0ELNS1_3repE0EEENS1_30default_config_static_selectorELNS0_4arch9wavefront6targetE0EEEvT1_,"axG",@progbits,_ZN7rocprim17ROCPRIM_400000_NS6detail17trampoline_kernelINS0_14default_configENS1_27scan_by_key_config_selectorIssEEZZNS1_16scan_by_key_implILNS1_25lookback_scan_determinismE0ELb0ES3_N6thrust23THRUST_200600_302600_NS6detail15normal_iteratorINS9_10device_ptrIsEEEESE_SE_sNS9_4plusIvEENS9_8equal_toIvEEsEE10hipError_tPvRmT2_T3_T4_T5_mT6_T7_P12ihipStream_tbENKUlT_T0_E_clISt17integral_constantIbLb0EESY_IbLb1EEEEDaSU_SV_EUlSU_E_NS1_11comp_targetILNS1_3genE0ELNS1_11target_archE4294967295ELNS1_3gpuE0ELNS1_3repE0EEENS1_30default_config_static_selectorELNS0_4arch9wavefront6targetE0EEEvT1_,comdat
	.protected	_ZN7rocprim17ROCPRIM_400000_NS6detail17trampoline_kernelINS0_14default_configENS1_27scan_by_key_config_selectorIssEEZZNS1_16scan_by_key_implILNS1_25lookback_scan_determinismE0ELb0ES3_N6thrust23THRUST_200600_302600_NS6detail15normal_iteratorINS9_10device_ptrIsEEEESE_SE_sNS9_4plusIvEENS9_8equal_toIvEEsEE10hipError_tPvRmT2_T3_T4_T5_mT6_T7_P12ihipStream_tbENKUlT_T0_E_clISt17integral_constantIbLb0EESY_IbLb1EEEEDaSU_SV_EUlSU_E_NS1_11comp_targetILNS1_3genE0ELNS1_11target_archE4294967295ELNS1_3gpuE0ELNS1_3repE0EEENS1_30default_config_static_selectorELNS0_4arch9wavefront6targetE0EEEvT1_ ; -- Begin function _ZN7rocprim17ROCPRIM_400000_NS6detail17trampoline_kernelINS0_14default_configENS1_27scan_by_key_config_selectorIssEEZZNS1_16scan_by_key_implILNS1_25lookback_scan_determinismE0ELb0ES3_N6thrust23THRUST_200600_302600_NS6detail15normal_iteratorINS9_10device_ptrIsEEEESE_SE_sNS9_4plusIvEENS9_8equal_toIvEEsEE10hipError_tPvRmT2_T3_T4_T5_mT6_T7_P12ihipStream_tbENKUlT_T0_E_clISt17integral_constantIbLb0EESY_IbLb1EEEEDaSU_SV_EUlSU_E_NS1_11comp_targetILNS1_3genE0ELNS1_11target_archE4294967295ELNS1_3gpuE0ELNS1_3repE0EEENS1_30default_config_static_selectorELNS0_4arch9wavefront6targetE0EEEvT1_
	.globl	_ZN7rocprim17ROCPRIM_400000_NS6detail17trampoline_kernelINS0_14default_configENS1_27scan_by_key_config_selectorIssEEZZNS1_16scan_by_key_implILNS1_25lookback_scan_determinismE0ELb0ES3_N6thrust23THRUST_200600_302600_NS6detail15normal_iteratorINS9_10device_ptrIsEEEESE_SE_sNS9_4plusIvEENS9_8equal_toIvEEsEE10hipError_tPvRmT2_T3_T4_T5_mT6_T7_P12ihipStream_tbENKUlT_T0_E_clISt17integral_constantIbLb0EESY_IbLb1EEEEDaSU_SV_EUlSU_E_NS1_11comp_targetILNS1_3genE0ELNS1_11target_archE4294967295ELNS1_3gpuE0ELNS1_3repE0EEENS1_30default_config_static_selectorELNS0_4arch9wavefront6targetE0EEEvT1_
	.p2align	8
	.type	_ZN7rocprim17ROCPRIM_400000_NS6detail17trampoline_kernelINS0_14default_configENS1_27scan_by_key_config_selectorIssEEZZNS1_16scan_by_key_implILNS1_25lookback_scan_determinismE0ELb0ES3_N6thrust23THRUST_200600_302600_NS6detail15normal_iteratorINS9_10device_ptrIsEEEESE_SE_sNS9_4plusIvEENS9_8equal_toIvEEsEE10hipError_tPvRmT2_T3_T4_T5_mT6_T7_P12ihipStream_tbENKUlT_T0_E_clISt17integral_constantIbLb0EESY_IbLb1EEEEDaSU_SV_EUlSU_E_NS1_11comp_targetILNS1_3genE0ELNS1_11target_archE4294967295ELNS1_3gpuE0ELNS1_3repE0EEENS1_30default_config_static_selectorELNS0_4arch9wavefront6targetE0EEEvT1_,@function
_ZN7rocprim17ROCPRIM_400000_NS6detail17trampoline_kernelINS0_14default_configENS1_27scan_by_key_config_selectorIssEEZZNS1_16scan_by_key_implILNS1_25lookback_scan_determinismE0ELb0ES3_N6thrust23THRUST_200600_302600_NS6detail15normal_iteratorINS9_10device_ptrIsEEEESE_SE_sNS9_4plusIvEENS9_8equal_toIvEEsEE10hipError_tPvRmT2_T3_T4_T5_mT6_T7_P12ihipStream_tbENKUlT_T0_E_clISt17integral_constantIbLb0EESY_IbLb1EEEEDaSU_SV_EUlSU_E_NS1_11comp_targetILNS1_3genE0ELNS1_11target_archE4294967295ELNS1_3gpuE0ELNS1_3repE0EEENS1_30default_config_static_selectorELNS0_4arch9wavefront6targetE0EEEvT1_: ; @_ZN7rocprim17ROCPRIM_400000_NS6detail17trampoline_kernelINS0_14default_configENS1_27scan_by_key_config_selectorIssEEZZNS1_16scan_by_key_implILNS1_25lookback_scan_determinismE0ELb0ES3_N6thrust23THRUST_200600_302600_NS6detail15normal_iteratorINS9_10device_ptrIsEEEESE_SE_sNS9_4plusIvEENS9_8equal_toIvEEsEE10hipError_tPvRmT2_T3_T4_T5_mT6_T7_P12ihipStream_tbENKUlT_T0_E_clISt17integral_constantIbLb0EESY_IbLb1EEEEDaSU_SV_EUlSU_E_NS1_11comp_targetILNS1_3genE0ELNS1_11target_archE4294967295ELNS1_3gpuE0ELNS1_3repE0EEENS1_30default_config_static_selectorELNS0_4arch9wavefront6targetE0EEEvT1_
; %bb.0:
	s_clause 0x1
	s_load_b128 s[36:39], s[0:1], 0x28
	s_load_b64 s[40:41], s[0:1], 0x38
	v_cmp_ne_u32_e64 s3, 0, v0
	v_cmp_eq_u32_e64 s2, 0, v0
	s_and_saveexec_b32 s4, s2
	s_cbranch_execz .LBB272_4
; %bb.1:
	s_mov_b32 s6, exec_lo
	s_mov_b32 s5, exec_lo
	v_mbcnt_lo_u32_b32 v1, s6, 0
                                        ; implicit-def: $vgpr2
	s_delay_alu instid0(VALU_DEP_1)
	v_cmpx_eq_u32_e32 0, v1
	s_cbranch_execz .LBB272_3
; %bb.2:
	s_load_b64 s[8:9], s[0:1], 0x68
	s_bcnt1_i32_b32 s6, s6
	s_delay_alu instid0(SALU_CYCLE_1)
	v_dual_mov_b32 v2, 0 :: v_dual_mov_b32 v3, s6
	s_wait_xcnt 0x0
	s_wait_kmcnt 0x0
	global_atomic_add_u32 v2, v2, v3, s[8:9] th:TH_ATOMIC_RETURN scope:SCOPE_DEV
.LBB272_3:
	s_wait_xcnt 0x0
	s_or_b32 exec_lo, exec_lo, s5
	s_wait_loadcnt 0x0
	v_readfirstlane_b32 s5, v2
	s_delay_alu instid0(VALU_DEP_1)
	v_dual_mov_b32 v2, 0 :: v_dual_add_nc_u32 v1, s5, v1
	ds_store_b32 v2, v1
.LBB272_4:
	s_or_b32 exec_lo, exec_lo, s4
	v_mov_b32_e32 v2, 0
	s_clause 0x2
	s_load_b256 s[16:23], s[0:1], 0x0
	s_load_b32 s4, s[0:1], 0x40
	s_load_b256 s[24:31], s[0:1], 0x48
	s_wait_dscnt 0x0
	s_barrier_signal -1
	s_barrier_wait -1
	ds_load_b32 v1, v2
	s_mov_b32 s5, 0
	s_wait_dscnt 0x0
	s_mov_b32 s11, s5
	s_barrier_signal -1
	s_barrier_wait -1
	s_barrier_signal -1
	s_barrier_wait -1
	s_wait_kmcnt 0x0
	s_lshl_b64 s[34:35], s[18:19], 1
	s_mul_u64 s[8:9], s[40:41], s[4:5]
	s_cmp_lg_u64 s[28:29], 0
	s_add_nc_u64 s[0:1], s[16:17], s[34:35]
	s_add_nc_u64 s[6:7], s[20:21], s[34:35]
	s_cselect_b32 s48, -1, 0
	v_readfirstlane_b32 s4, v1
	s_add_nc_u64 s[44:45], s[8:9], s[4:5]
	s_add_nc_u64 s[8:9], s[24:25], -1
	s_mul_i32 s10, s4, 0x1400
	v_cmp_ge_u64_e64 s33, s[44:45], s[8:9]
	s_lshl_b64 s[24:25], s[10:11], 1
	s_mul_i32 s39, s8, 0xffffec00
	s_add_nc_u64 s[42:43], s[0:1], s[24:25]
	s_add_nc_u64 s[28:29], s[6:7], s[24:25]
	s_and_b32 vcc_lo, exec_lo, s33
	s_cbranch_vccz .LBB272_48
; %bb.5:
	flat_load_u16 v3, v2, s[42:43]
	s_add_co_i32 s49, s39, s38
	s_delay_alu instid0(SALU_CYCLE_1)
	v_cmp_gt_u32_e64 s0, s49, v0
	s_wait_loadcnt_dscnt 0x0
	v_mov_b32_e32 v4, v3
	s_and_saveexec_b32 s1, s0
	s_cbranch_execz .LBB272_7
; %bb.6:
	flat_load_u16 v4, v0, s[42:43] scale_offset
.LBB272_7:
	s_wait_xcnt 0x0
	s_or_b32 exec_lo, exec_lo, s1
	v_or_b32_e32 v2, 0x100, v0
	v_mov_b32_e32 v5, v3
	s_delay_alu instid0(VALU_DEP_2)
	v_cmp_gt_u32_e64 s1, s49, v2
	s_and_saveexec_b32 s4, s1
	s_cbranch_execz .LBB272_9
; %bb.8:
	flat_load_u16 v5, v0, s[42:43] offset:512 scale_offset
.LBB272_9:
	s_wait_xcnt 0x0
	s_or_b32 exec_lo, exec_lo, s4
	v_or_b32_e32 v2, 0x200, v0
	v_mov_b32_e32 v6, v3
	s_delay_alu instid0(VALU_DEP_2)
	v_cmp_gt_u32_e64 s4, s49, v2
	s_and_saveexec_b32 s5, s4
	s_cbranch_execz .LBB272_11
; %bb.10:
	flat_load_u16 v6, v0, s[42:43] offset:1024 scale_offset
.LBB272_11:
	;; [unrolled: 11-line block ×18, first 2 shown]
	s_wait_xcnt 0x0
	s_or_b32 exec_lo, exec_lo, s21
	v_or_b32_e32 v2, 0x1300, v0
	s_mov_b32 s46, exec_lo
	s_delay_alu instid0(VALU_DEP_1) | instskip(SKIP_2) | instid1(SALU_CYCLE_1)
	v_cmp_gt_u32_e64 s21, s49, v2
	v_cmpx_le_u32_e64 s49, v2
	s_xor_b32 s46, exec_lo, s46
	s_and_not1_saveexec_b32 s46, s46
	s_cbranch_execz .LBB272_45
; %bb.44:
	flat_load_u16 v3, v0, s[42:43] offset:9728 scale_offset
.LBB272_45:
	s_wait_xcnt 0x0
	s_or_b32 exec_lo, exec_lo, s46
	v_lshlrev_b32_e32 v2, 1, v0
	s_cmp_eq_u64 s[44:45], 0
	s_mov_b64 s[46:47], s[42:43]
	s_wait_loadcnt_dscnt 0x0
	ds_store_b16 v2, v4
	ds_store_b16 v2, v5 offset:512
	ds_store_b16 v2, v6 offset:1024
	;; [unrolled: 1-line block ×19, first 2 shown]
	v_mad_u32_u24 v48, v0, 38, v2
	s_wait_dscnt 0x0
	s_barrier_signal -1
	s_barrier_wait -1
	ds_load_2addr_b64 v[10:13], v48 offset1:1
	ds_load_2addr_b64 v[6:9], v48 offset0:2 offset1:3
	ds_load_b64 v[14:15], v48 offset:32
	s_cbranch_scc1 .LBB272_51
; %bb.46:
	s_and_not1_b32 vcc_lo, exec_lo, s48
	s_cbranch_vccnz .LBB272_49
; %bb.47:
	s_lshl_b64 s[46:47], s[44:45], 1
	s_mov_b32 s50, 0
	s_add_nc_u64 s[46:47], s[30:31], s[46:47]
	s_delay_alu instid0(SALU_CYCLE_1)
	s_add_nc_u64 s[46:47], s[46:47], -2
	s_branch .LBB272_50
.LBB272_48:
                                        ; implicit-def: $sgpr4
                                        ; implicit-def: $vgpr42
                                        ; implicit-def: $vgpr31
                                        ; implicit-def: $vgpr2
                                        ; implicit-def: $vgpr44
                                        ; implicit-def: $vgpr54
                                        ; implicit-def: $vgpr50
                                        ; implicit-def: $vgpr52
                                        ; implicit-def: $vgpr49
                                        ; implicit-def: $vgpr47
                                        ; implicit-def: $vgpr46
                                        ; implicit-def: $vgpr45
                                        ; implicit-def: $vgpr43
                                        ; implicit-def: $vgpr41
                                        ; implicit-def: $vgpr40
                                        ; implicit-def: $vgpr39
                                        ; implicit-def: $vgpr38
                                        ; implicit-def: $vgpr37
                                        ; implicit-def: $vgpr35
                                        ; implicit-def: $vgpr36
                                        ; implicit-def: $vgpr34
                                        ; implicit-def: $vgpr33
                                        ; implicit-def: $vgpr32
                                        ; implicit-def: $vgpr30
                                        ; implicit-def: $vgpr29
                                        ; implicit-def: $vgpr28
                                        ; implicit-def: $vgpr27
                                        ; implicit-def: $vgpr26
                                        ; implicit-def: $vgpr25
                                        ; implicit-def: $vgpr24
                                        ; implicit-def: $vgpr23
                                        ; implicit-def: $vgpr22
                                        ; implicit-def: $vgpr21
                                        ; implicit-def: $vgpr20
                                        ; implicit-def: $vgpr19
                                        ; implicit-def: $vgpr18
                                        ; implicit-def: $vgpr17
                                        ; implicit-def: $vgpr16
	v_lshlrev_b32_e32 v10, 1, v0
	s_cbranch_execnz .LBB272_113
	s_branch .LBB272_140
.LBB272_49:
	s_add_nc_u64 s[46:47], s[42:43], -2
	s_mov_b32 s50, -1
.LBB272_50:
	s_delay_alu instid0(SALU_CYCLE_1)
	s_and_not1_b32 vcc_lo, exec_lo, s50
.LBB272_51:
	s_wait_dscnt 0x0
	v_dual_mov_b32 v3, 0 :: v_dual_lshrrev_b32 v51, 16, v15
	v_mad_i32_i24 v4, 0xffffffda, v0, v48
	flat_load_u16 v3, v3, s[46:47]
	ds_store_b16 v4, v51 offset:10240
	s_wait_loadcnt_dscnt 0x0
	s_barrier_signal -1
	s_barrier_wait -1
	s_and_saveexec_b32 s46, s3
; %bb.52:
	v_mul_i32_i24_e32 v3, 0xffffffda, v0
	s_delay_alu instid0(VALU_DEP_1)
	v_add_nc_u32_e32 v3, v48, v3
	ds_load_u16 v3, v3 offset:10238
; %bb.53:
	s_or_b32 exec_lo, exec_lo, s46
	s_wait_dscnt 0x0
	s_barrier_signal -1
	s_barrier_wait -1
                                        ; implicit-def: $vgpr4
	s_and_saveexec_b32 s46, s0
	s_cbranch_execnz .LBB272_116
; %bb.54:
	s_or_b32 exec_lo, exec_lo, s46
                                        ; implicit-def: $vgpr5
	s_and_saveexec_b32 s0, s1
	s_cbranch_execnz .LBB272_117
.LBB272_55:
	s_or_b32 exec_lo, exec_lo, s0
                                        ; implicit-def: $vgpr16
	s_and_saveexec_b32 s0, s4
	s_cbranch_execnz .LBB272_118
.LBB272_56:
	s_or_b32 exec_lo, exec_lo, s0
                                        ; implicit-def: $vgpr17
	s_and_saveexec_b32 s0, s5
	s_cbranch_execnz .LBB272_119
.LBB272_57:
	s_or_b32 exec_lo, exec_lo, s0
                                        ; implicit-def: $vgpr18
	s_and_saveexec_b32 s0, s6
	s_cbranch_execnz .LBB272_120
.LBB272_58:
	s_or_b32 exec_lo, exec_lo, s0
                                        ; implicit-def: $vgpr19
	s_and_saveexec_b32 s0, s7
	s_cbranch_execnz .LBB272_121
.LBB272_59:
	s_or_b32 exec_lo, exec_lo, s0
                                        ; implicit-def: $vgpr20
	s_and_saveexec_b32 s0, s8
	s_cbranch_execnz .LBB272_122
.LBB272_60:
	s_or_b32 exec_lo, exec_lo, s0
                                        ; implicit-def: $vgpr21
	s_and_saveexec_b32 s0, s9
	s_cbranch_execnz .LBB272_123
.LBB272_61:
	s_or_b32 exec_lo, exec_lo, s0
                                        ; implicit-def: $vgpr22
	s_and_saveexec_b32 s0, s10
	s_cbranch_execnz .LBB272_124
.LBB272_62:
	s_or_b32 exec_lo, exec_lo, s0
                                        ; implicit-def: $vgpr23
	s_and_saveexec_b32 s0, s11
	s_cbranch_execnz .LBB272_125
.LBB272_63:
	s_or_b32 exec_lo, exec_lo, s0
                                        ; implicit-def: $vgpr24
	s_and_saveexec_b32 s0, s12
	s_cbranch_execnz .LBB272_126
.LBB272_64:
	s_or_b32 exec_lo, exec_lo, s0
                                        ; implicit-def: $vgpr25
	s_and_saveexec_b32 s0, s13
	s_cbranch_execnz .LBB272_127
.LBB272_65:
	s_or_b32 exec_lo, exec_lo, s0
                                        ; implicit-def: $vgpr26
	s_and_saveexec_b32 s0, s14
	s_cbranch_execnz .LBB272_128
.LBB272_66:
	s_or_b32 exec_lo, exec_lo, s0
                                        ; implicit-def: $vgpr27
	s_and_saveexec_b32 s0, s15
	s_cbranch_execnz .LBB272_129
.LBB272_67:
	s_or_b32 exec_lo, exec_lo, s0
                                        ; implicit-def: $vgpr28
	s_and_saveexec_b32 s0, s16
	s_cbranch_execnz .LBB272_130
.LBB272_68:
	s_or_b32 exec_lo, exec_lo, s0
                                        ; implicit-def: $vgpr29
	s_and_saveexec_b32 s0, s17
	s_cbranch_execnz .LBB272_131
.LBB272_69:
	s_or_b32 exec_lo, exec_lo, s0
                                        ; implicit-def: $vgpr30
	s_and_saveexec_b32 s0, s18
	s_cbranch_execnz .LBB272_132
.LBB272_70:
	s_or_b32 exec_lo, exec_lo, s0
                                        ; implicit-def: $vgpr31
	s_and_saveexec_b32 s0, s19
	s_cbranch_execnz .LBB272_133
.LBB272_71:
	s_or_b32 exec_lo, exec_lo, s0
                                        ; implicit-def: $vgpr32
	s_and_saveexec_b32 s0, s20
	s_cbranch_execnz .LBB272_134
.LBB272_72:
	s_or_b32 exec_lo, exec_lo, s0
                                        ; implicit-def: $vgpr33
	s_and_saveexec_b32 s0, s21
	s_cbranch_execz .LBB272_74
.LBB272_73:
	flat_load_u16 v33, v0, s[28:29] offset:9728 scale_offset
.LBB272_74:
	s_wait_xcnt 0x0
	s_or_b32 exec_lo, exec_lo, s0
	v_mul_u32_u24_e32 v53, 20, v0
	s_wait_loadcnt_dscnt 0x0
	ds_store_b16 v2, v4
	ds_store_b16 v2, v5 offset:512
	ds_store_b16 v2, v16 offset:1024
	;; [unrolled: 1-line block ×19, first 2 shown]
	v_dual_mov_b32 v31, 0 :: v_dual_mov_b32 v2, 0
	v_dual_mov_b32 v44, 0 :: v_dual_mov_b32 v54, 0
	v_cmp_gt_u32_e32 vcc_lo, s49, v53
	v_dual_mov_b32 v50, 0 :: v_dual_mov_b32 v52, 0
	v_dual_mov_b32 v49, 0 :: v_dual_mov_b32 v47, 0
	;; [unrolled: 1-line block ×16, first 2 shown]
	s_mov_b32 s0, 0
	s_mov_b32 s5, 0
	s_wait_dscnt 0x0
	s_barrier_signal -1
	s_barrier_wait -1
                                        ; implicit-def: $sgpr4
                                        ; implicit-def: $vgpr42
	s_and_saveexec_b32 s1, vcc_lo
	s_cbranch_execz .LBB272_112
; %bb.75:
	ds_load_u16 v31, v48
	v_dual_mov_b32 v2, 0 :: v_dual_bitop2_b32 v4, 1, v53 bitop3:0x54
	v_cmp_eq_u16_e32 vcc_lo, v3, v10
	v_dual_mov_b32 v44, 0 :: v_dual_mov_b32 v54, 0
	v_dual_mov_b32 v50, 0 :: v_dual_mov_b32 v52, 0
	v_cndmask_b32_e64 v34, 0x10000, 0, vcc_lo
	v_cmp_gt_u32_e32 vcc_lo, s49, v4
	v_dual_mov_b32 v49, 0 :: v_dual_mov_b32 v47, 0
	v_dual_mov_b32 v46, 0 :: v_dual_mov_b32 v45, 0
	;; [unrolled: 1-line block ×14, first 2 shown]
	v_mov_b32_e32 v16, 0
	s_mov_b32 s6, 0
                                        ; implicit-def: $sgpr4
                                        ; implicit-def: $vgpr42
	s_and_saveexec_b32 s5, vcc_lo
	s_cbranch_execz .LBB272_111
; %bb.76:
	ds_load_b128 v[2:5], v48 offset:2
	v_dual_lshrrev_b32 v55, 16, v10 :: v_dual_bitop2_b32 v16, 2, v53 bitop3:0x54
	v_dual_mov_b32 v44, 0 :: v_dual_mov_b32 v54, 0
	v_dual_mov_b32 v50, 0 :: v_dual_mov_b32 v52, 0
	s_delay_alu instid0(VALU_DEP_3)
	v_cmp_eq_u16_e32 vcc_lo, v10, v55
	v_dual_mov_b32 v49, 0 :: v_dual_mov_b32 v47, 0
	v_dual_mov_b32 v46, 0 :: v_dual_mov_b32 v45, 0
	v_cndmask_b32_e64 v33, 0x10000, 0, vcc_lo
	v_cmp_gt_u32_e32 vcc_lo, s49, v16
	v_dual_mov_b32 v43, 0 :: v_dual_mov_b32 v41, 0
	v_dual_mov_b32 v40, 0 :: v_dual_mov_b32 v39, 0
	;; [unrolled: 1-line block ×12, first 2 shown]
	s_mov_b32 s7, 0
                                        ; implicit-def: $sgpr4
                                        ; implicit-def: $vgpr42
	s_and_saveexec_b32 s6, vcc_lo
	s_cbranch_execz .LBB272_110
; %bb.77:
	s_wait_dscnt 0x0
	v_dual_lshrrev_b32 v32, 16, v2 :: v_dual_bitop2_b32 v10, 3, v53 bitop3:0x54
	v_cmp_eq_u16_e32 vcc_lo, v55, v11
	v_dual_mov_b32 v54, 0 :: v_dual_mov_b32 v50, 0
	v_dual_mov_b32 v52, 0 :: v_dual_mov_b32 v49, 0
	v_cndmask_b32_e64 v44, 0x10000, 0, vcc_lo
	v_cmp_gt_u32_e32 vcc_lo, s49, v10
	v_dual_mov_b32 v47, 0 :: v_dual_mov_b32 v46, 0
	v_dual_mov_b32 v45, 0 :: v_dual_mov_b32 v43, 0
	;; [unrolled: 1-line block ×13, first 2 shown]
	s_mov_b32 s8, 0
                                        ; implicit-def: $sgpr4
                                        ; implicit-def: $vgpr42
	s_and_saveexec_b32 s7, vcc_lo
	s_cbranch_execz .LBB272_109
; %bb.78:
	v_dual_lshrrev_b32 v10, 16, v11 :: v_dual_add_nc_u32 v16, 4, v53
	v_dual_mov_b32 v50, 0 :: v_dual_mov_b32 v52, 0
	v_dual_mov_b32 v49, 0 :: v_dual_mov_b32 v47, 0
	s_delay_alu instid0(VALU_DEP_3)
	v_cmp_eq_u16_e32 vcc_lo, v11, v10
	v_dual_mov_b32 v46, 0 :: v_dual_mov_b32 v45, 0
	v_dual_mov_b32 v43, 0 :: v_dual_mov_b32 v41, 0
	v_cndmask_b32_e64 v30, 0x10000, 0, vcc_lo
	v_cmp_gt_u32_e32 vcc_lo, s49, v16
	v_dual_mov_b32 v40, 0 :: v_dual_mov_b32 v39, 0
	v_dual_mov_b32 v38, 0 :: v_dual_mov_b32 v37, 0
	;; [unrolled: 1-line block ×10, first 2 shown]
	s_mov_b32 s9, 0
                                        ; implicit-def: $sgpr4
                                        ; implicit-def: $vgpr42
	s_and_saveexec_b32 s8, vcc_lo
	s_cbranch_execz .LBB272_108
; %bb.79:
	v_dual_add_nc_u32 v11, 5, v53 :: v_dual_lshrrev_b32 v29, 16, v3
	v_cmp_eq_u16_e32 vcc_lo, v10, v12
	v_dual_mov_b32 v52, 0 :: v_dual_mov_b32 v49, 0
	v_dual_mov_b32 v47, 0 :: v_dual_mov_b32 v46, 0
	v_cndmask_b32_e64 v50, 0x10000, 0, vcc_lo
	v_cmp_gt_u32_e32 vcc_lo, s49, v11
	v_dual_mov_b32 v45, 0 :: v_dual_mov_b32 v43, 0
	v_dual_mov_b32 v41, 0 :: v_dual_mov_b32 v40, 0
	;; [unrolled: 1-line block ×11, first 2 shown]
	s_mov_b32 s10, 0
                                        ; implicit-def: $sgpr4
                                        ; implicit-def: $vgpr42
	s_and_saveexec_b32 s9, vcc_lo
	s_cbranch_execz .LBB272_107
; %bb.80:
	v_dual_lshrrev_b32 v10, 16, v12 :: v_dual_add_nc_u32 v11, 6, v53
	v_dual_mov_b32 v49, 0 :: v_dual_mov_b32 v47, 0
	v_dual_mov_b32 v46, 0 :: v_dual_mov_b32 v45, 0
	s_delay_alu instid0(VALU_DEP_3)
	v_cmp_eq_u16_e32 vcc_lo, v12, v10
	v_dual_mov_b32 v43, 0 :: v_dual_mov_b32 v41, 0
	v_dual_mov_b32 v40, 0 :: v_dual_mov_b32 v39, 0
	v_cndmask_b32_e64 v28, 0x10000, 0, vcc_lo
	v_cmp_gt_u32_e32 vcc_lo, s49, v11
	v_dual_mov_b32 v38, 0 :: v_dual_mov_b32 v37, 0
	v_dual_mov_b32 v35, 0 :: v_dual_mov_b32 v36, 0
	;; [unrolled: 1-line block ×8, first 2 shown]
	s_mov_b32 s11, 0
                                        ; implicit-def: $sgpr4
                                        ; implicit-def: $vgpr42
	s_and_saveexec_b32 s10, vcc_lo
	s_cbranch_execz .LBB272_106
; %bb.81:
	v_dual_add_nc_u32 v11, 7, v53 :: v_dual_lshrrev_b32 v27, 16, v4
	v_cmp_eq_u16_e32 vcc_lo, v10, v13
	v_dual_mov_b32 v47, 0 :: v_dual_mov_b32 v46, 0
	v_dual_mov_b32 v45, 0 :: v_dual_mov_b32 v43, 0
	v_cndmask_b32_e64 v49, 0x10000, 0, vcc_lo
	v_cmp_gt_u32_e32 vcc_lo, s49, v11
	v_dual_mov_b32 v41, 0 :: v_dual_mov_b32 v40, 0
	v_dual_mov_b32 v39, 0 :: v_dual_mov_b32 v38, 0
	v_dual_mov_b32 v37, 0 :: v_dual_mov_b32 v35, 0
	v_dual_mov_b32 v36, 0 :: v_dual_mov_b32 v26, 0
	v_dual_mov_b32 v25, 0 :: v_dual_mov_b32 v24, 0
	v_dual_mov_b32 v23, 0 :: v_dual_mov_b32 v22, 0
	v_dual_mov_b32 v21, 0 :: v_dual_mov_b32 v20, 0
	v_dual_mov_b32 v19, 0 :: v_dual_mov_b32 v18, 0
	v_dual_mov_b32 v17, 0 :: v_dual_mov_b32 v16, 0
	s_mov_b32 s12, 0
                                        ; implicit-def: $sgpr4
                                        ; implicit-def: $vgpr42
	s_and_saveexec_b32 s11, vcc_lo
	s_cbranch_execz .LBB272_105
; %bb.82:
	v_dual_lshrrev_b32 v10, 16, v13 :: v_dual_mov_b32 v46, 0
	v_dual_add_nc_u32 v11, 8, v53 :: v_dual_mov_b32 v45, 0
	v_dual_mov_b32 v43, 0 :: v_dual_mov_b32 v41, 0
	s_delay_alu instid0(VALU_DEP_3)
	v_cmp_eq_u16_e32 vcc_lo, v13, v10
	v_dual_mov_b32 v40, 0 :: v_dual_mov_b32 v39, 0
	v_dual_mov_b32 v38, 0 :: v_dual_mov_b32 v37, 0
	v_cndmask_b32_e64 v26, 0x10000, 0, vcc_lo
	v_cmp_gt_u32_e32 vcc_lo, s49, v11
	v_dual_mov_b32 v35, 0 :: v_dual_mov_b32 v36, 0
	v_dual_mov_b32 v25, 0 :: v_dual_mov_b32 v24, 0
	;; [unrolled: 1-line block ×6, first 2 shown]
	s_mov_b32 s13, 0
                                        ; implicit-def: $sgpr4
                                        ; implicit-def: $vgpr42
	s_and_saveexec_b32 s12, vcc_lo
	s_cbranch_execz .LBB272_104
; %bb.83:
	v_dual_add_nc_u32 v11, 9, v53 :: v_dual_mov_b32 v45, 0
	v_cmp_eq_u16_e32 vcc_lo, v10, v6
	v_dual_lshrrev_b32 v25, 16, v5 :: v_dual_mov_b32 v43, 0
	v_dual_mov_b32 v41, 0 :: v_dual_mov_b32 v40, 0
	v_cndmask_b32_e64 v46, 0x10000, 0, vcc_lo
	v_cmp_gt_u32_e32 vcc_lo, s49, v11
	v_dual_mov_b32 v39, 0 :: v_dual_mov_b32 v38, 0
	v_dual_mov_b32 v37, 0 :: v_dual_mov_b32 v35, 0
	;; [unrolled: 1-line block ×7, first 2 shown]
	s_mov_b32 s14, 0
                                        ; implicit-def: $sgpr4
                                        ; implicit-def: $vgpr42
	s_and_saveexec_b32 s13, vcc_lo
	s_cbranch_execz .LBB272_103
; %bb.84:
	ds_load_b128 v[10:13], v48 offset:18
	v_dual_lshrrev_b32 v24, 16, v6 :: v_dual_add_nc_u32 v16, 10, v53
	v_dual_mov_b32 v43, 0 :: v_dual_mov_b32 v41, 0
	v_dual_mov_b32 v40, 0 :: v_dual_mov_b32 v39, 0
	s_delay_alu instid0(VALU_DEP_3)
	v_cmp_eq_u16_e32 vcc_lo, v6, v24
	v_dual_mov_b32 v38, 0 :: v_dual_mov_b32 v37, 0
	v_dual_mov_b32 v35, 0 :: v_dual_mov_b32 v36, 0
	v_cndmask_b32_e64 v6, 0x10000, 0, vcc_lo
	v_cmp_gt_u32_e32 vcc_lo, s49, v16
	v_dual_mov_b32 v23, 0 :: v_dual_mov_b32 v22, 0
	v_dual_mov_b32 v21, 0 :: v_dual_mov_b32 v20, 0
	;; [unrolled: 1-line block ×4, first 2 shown]
	s_mov_b32 s15, 0
                                        ; implicit-def: $sgpr4
                                        ; implicit-def: $vgpr42
	s_and_saveexec_b32 s14, vcc_lo
	s_cbranch_execz .LBB272_102
; %bb.85:
	s_wait_dscnt 0x0
	v_dual_add_nc_u32 v16, 11, v53 :: v_dual_lshrrev_b32 v23, 16, v10
	v_cmp_eq_u16_e32 vcc_lo, v24, v7
	v_dual_mov_b32 v41, 0 :: v_dual_mov_b32 v40, 0
	v_dual_mov_b32 v39, 0 :: v_dual_mov_b32 v38, 0
	v_cndmask_b32_e64 v24, 0x10000, 0, vcc_lo
	v_cmp_gt_u32_e32 vcc_lo, s49, v16
	v_dual_mov_b32 v37, 0 :: v_dual_mov_b32 v35, 0
	v_dual_mov_b32 v36, 0 :: v_dual_mov_b32 v22, 0
	;; [unrolled: 1-line block ×5, first 2 shown]
	s_mov_b32 s16, 0
                                        ; implicit-def: $sgpr4
                                        ; implicit-def: $vgpr42
	s_and_saveexec_b32 s15, vcc_lo
	s_cbranch_execz .LBB272_101
; %bb.86:
	v_dual_lshrrev_b32 v22, 16, v7 :: v_dual_add_nc_u32 v16, 12, v53
	v_dual_mov_b32 v40, 0 :: v_dual_mov_b32 v39, 0
	v_dual_mov_b32 v38, 0 :: v_dual_mov_b32 v37, 0
	s_delay_alu instid0(VALU_DEP_3)
	v_cmp_eq_u16_e32 vcc_lo, v7, v22
	v_dual_mov_b32 v35, 0 :: v_dual_mov_b32 v36, 0
	v_dual_mov_b32 v21, 0 :: v_dual_mov_b32 v20, 0
	v_cndmask_b32_e64 v7, 0x10000, 0, vcc_lo
	v_cmp_gt_u32_e32 vcc_lo, s49, v16
	v_dual_mov_b32 v19, 0 :: v_dual_mov_b32 v18, 0
	v_dual_mov_b32 v17, 0 :: v_dual_mov_b32 v16, 0
	s_mov_b32 s17, 0
                                        ; implicit-def: $sgpr4
                                        ; implicit-def: $vgpr42
	s_and_saveexec_b32 s16, vcc_lo
	s_cbranch_execz .LBB272_100
; %bb.87:
	v_dual_add_nc_u32 v16, 13, v53 :: v_dual_lshrrev_b32 v21, 16, v11
	v_cmp_eq_u16_e32 vcc_lo, v22, v8
	v_dual_mov_b32 v39, 0 :: v_dual_mov_b32 v38, 0
	v_dual_mov_b32 v37, 0 :: v_dual_mov_b32 v35, 0
	v_cndmask_b32_e64 v22, 0x10000, 0, vcc_lo
	v_cmp_gt_u32_e32 vcc_lo, s49, v16
	v_dual_mov_b32 v36, 0 :: v_dual_mov_b32 v20, 0
	v_dual_mov_b32 v19, 0 :: v_dual_mov_b32 v18, 0
	;; [unrolled: 1-line block ×3, first 2 shown]
	s_mov_b32 s18, 0
                                        ; implicit-def: $sgpr4
                                        ; implicit-def: $vgpr42
	s_and_saveexec_b32 s17, vcc_lo
	s_cbranch_execz .LBB272_99
; %bb.88:
	v_dual_lshrrev_b32 v20, 16, v8 :: v_dual_add_nc_u32 v16, 14, v53
	v_dual_mov_b32 v38, 0 :: v_dual_mov_b32 v37, 0
	v_dual_mov_b32 v35, 0 :: v_dual_mov_b32 v36, 0
	s_delay_alu instid0(VALU_DEP_3)
	v_cmp_eq_u16_e32 vcc_lo, v8, v20
	v_dual_mov_b32 v19, 0 :: v_dual_mov_b32 v18, 0
	v_mov_b32_e32 v17, 0
	s_mov_b32 s19, 0
	v_cndmask_b32_e64 v8, 0x10000, 0, vcc_lo
	v_cmp_gt_u32_e32 vcc_lo, s49, v16
	v_mov_b32_e32 v16, 0
                                        ; implicit-def: $sgpr4
                                        ; implicit-def: $vgpr42
	s_and_saveexec_b32 s18, vcc_lo
	s_cbranch_execz .LBB272_98
; %bb.89:
	v_dual_add_nc_u32 v16, 15, v53 :: v_dual_lshrrev_b32 v19, 16, v12
	v_cmp_eq_u16_e32 vcc_lo, v20, v9
	v_dual_mov_b32 v37, 0 :: v_dual_mov_b32 v35, 0
	v_dual_mov_b32 v36, 0 :: v_dual_mov_b32 v18, 0
	v_cndmask_b32_e64 v20, 0x10000, 0, vcc_lo
	v_cmp_gt_u32_e32 vcc_lo, s49, v16
	v_dual_mov_b32 v17, 0 :: v_dual_mov_b32 v16, 0
	s_mov_b32 s20, 0
                                        ; implicit-def: $sgpr4
                                        ; implicit-def: $vgpr42
	s_and_saveexec_b32 s19, vcc_lo
	s_cbranch_execz .LBB272_97
; %bb.90:
	v_dual_mov_b32 v35, 0 :: v_dual_lshrrev_b32 v18, 16, v9
	v_dual_add_nc_u32 v16, 16, v53 :: v_dual_mov_b32 v36, 0
	v_mov_b32_e32 v17, 0
	s_delay_alu instid0(VALU_DEP_3)
	v_cmp_eq_u16_e32 vcc_lo, v9, v18
	s_mov_b32 s21, 0
                                        ; implicit-def: $sgpr4
                                        ; implicit-def: $vgpr42
	v_cndmask_b32_e64 v9, 0x10000, 0, vcc_lo
	v_cmp_gt_u32_e32 vcc_lo, s49, v16
	v_mov_b32_e32 v16, 0
	s_and_saveexec_b32 s20, vcc_lo
	s_cbranch_execz .LBB272_96
; %bb.91:
	v_dual_add_nc_u32 v16, 17, v53 :: v_dual_mov_b32 v36, 0
	v_cmp_eq_u16_e32 vcc_lo, v18, v14
	v_lshrrev_b32_e32 v17, 16, v13
	s_mov_b32 s46, 0
                                        ; implicit-def: $sgpr4
                                        ; implicit-def: $vgpr42
	v_cndmask_b32_e64 v18, 0x10000, 0, vcc_lo
	v_cmp_gt_u32_e32 vcc_lo, s49, v16
	v_mov_b32_e32 v16, 0
	s_and_saveexec_b32 s21, vcc_lo
	s_cbranch_execz .LBB272_95
; %bb.92:
	ds_load_u16 v35, v48 offset:34
	v_dual_lshrrev_b32 v36, 16, v14 :: v_dual_add_nc_u32 v37, 18, v53
	v_mov_b32_e32 v16, 0
	s_mov_b32 s47, 0
	s_mov_b32 s46, exec_lo
	s_delay_alu instid0(VALU_DEP_2)
	v_cmp_eq_u16_e32 vcc_lo, v14, v36
                                        ; implicit-def: $sgpr4
                                        ; implicit-def: $vgpr42
	v_cndmask_b32_e64 v14, 0x10000, 0, vcc_lo
	v_cmpx_gt_u32_e64 s49, v37
	s_xor_b32 s46, exec_lo, s46
	s_cbranch_execz .LBB272_94
; %bb.93:
	ds_load_b32 v16, v48 offset:36
	v_cmp_eq_u16_e32 vcc_lo, v36, v15
	v_add_nc_u32_e32 v37, 19, v53
	v_cmp_ne_u16_e64 s4, v15, v51
	v_cndmask_b32_e64 v36, 0x10000, 0, vcc_lo
	s_wait_dscnt 0x0
	v_lshrrev_b32_e32 v42, 16, v16
	v_cmp_gt_u32_e32 vcc_lo, s49, v37
	s_delay_alu instid0(VALU_DEP_3)
	v_and_or_b32 v16, 0xffff, v16, v36
	s_and_b32 s47, vcc_lo, exec_lo
.LBB272_94:
	s_or_b32 exec_lo, exec_lo, s46
	s_wait_dscnt 0x0
	v_or_b32_e32 v36, v14, v35
	s_and_b32 s46, s47, exec_lo
.LBB272_95:
	s_or_b32 exec_lo, exec_lo, s21
	s_delay_alu instid0(VALU_DEP_1)
	v_dual_mov_b32 v17, v36 :: v_dual_bitop2_b32 v35, v18, v17 bitop3:0x54
	s_and_b32 s21, s46, exec_lo
.LBB272_96:
	s_or_b32 exec_lo, exec_lo, s20
	v_and_or_b32 v37, 0xffff, v13, v9
	s_delay_alu instid0(VALU_DEP_2)
	v_mov_b32_e32 v18, v35
	s_and_b32 s20, s21, exec_lo
.LBB272_97:
	s_or_b32 exec_lo, exec_lo, s19
	s_delay_alu instid0(VALU_DEP_2)
	v_dual_mov_b32 v19, v37 :: v_dual_bitop2_b32 v38, v20, v19 bitop3:0x54
	s_and_b32 s19, s20, exec_lo
.LBB272_98:
	s_or_b32 exec_lo, exec_lo, s18
	v_and_or_b32 v39, 0xffff, v12, v8
	s_delay_alu instid0(VALU_DEP_2)
	v_mov_b32_e32 v20, v38
	s_and_b32 s18, s19, exec_lo
.LBB272_99:
	s_or_b32 exec_lo, exec_lo, s17
	s_delay_alu instid0(VALU_DEP_2)
	v_dual_mov_b32 v21, v39 :: v_dual_bitop2_b32 v40, v22, v21 bitop3:0x54
	s_and_b32 s17, s18, exec_lo
.LBB272_100:
	s_or_b32 exec_lo, exec_lo, s16
	v_and_or_b32 v41, 0xffff, v11, v7
	s_delay_alu instid0(VALU_DEP_2)
	v_mov_b32_e32 v22, v40
	s_and_b32 s16, s17, exec_lo
.LBB272_101:
	s_or_b32 exec_lo, exec_lo, s15
	s_delay_alu instid0(VALU_DEP_2)
	v_dual_mov_b32 v23, v41 :: v_dual_bitop2_b32 v43, v24, v23 bitop3:0x54
	s_and_b32 s15, s16, exec_lo
.LBB272_102:
	s_or_b32 exec_lo, exec_lo, s14
	s_wait_dscnt 0x0
	v_and_or_b32 v45, 0xffff, v10, v6
	v_mov_b32_e32 v24, v43
	s_and_b32 s14, s15, exec_lo
.LBB272_103:
	s_or_b32 exec_lo, exec_lo, s13
	s_delay_alu instid0(VALU_DEP_2)
	v_dual_mov_b32 v25, v45 :: v_dual_bitop2_b32 v46, v46, v25 bitop3:0x54
	s_and_b32 s13, s14, exec_lo
.LBB272_104:
	s_or_b32 exec_lo, exec_lo, s12
	v_and_or_b32 v47, 0xffff, v5, v26
	s_delay_alu instid0(VALU_DEP_2)
	v_mov_b32_e32 v26, v46
	s_and_b32 s12, s13, exec_lo
.LBB272_105:
	s_or_b32 exec_lo, exec_lo, s11
	s_delay_alu instid0(VALU_DEP_2)
	v_dual_mov_b32 v27, v47 :: v_dual_bitop2_b32 v49, v49, v27 bitop3:0x54
	s_and_b32 s11, s12, exec_lo
.LBB272_106:
	s_or_b32 exec_lo, exec_lo, s10
	v_and_or_b32 v52, 0xffff, v4, v28
	s_delay_alu instid0(VALU_DEP_2)
	v_mov_b32_e32 v28, v49
	s_and_b32 s10, s11, exec_lo
.LBB272_107:
	s_or_b32 exec_lo, exec_lo, s9
	s_delay_alu instid0(VALU_DEP_2)
	v_dual_mov_b32 v29, v52 :: v_dual_bitop2_b32 v50, v50, v29 bitop3:0x54
	s_and_b32 s9, s10, exec_lo
.LBB272_108:
	s_or_b32 exec_lo, exec_lo, s8
	v_and_or_b32 v54, 0xffff, v3, v30
	s_delay_alu instid0(VALU_DEP_2)
	v_mov_b32_e32 v30, v50
	s_and_b32 s8, s9, exec_lo
.LBB272_109:
	s_or_b32 exec_lo, exec_lo, s7
	s_delay_alu instid0(VALU_DEP_2)
	v_dual_mov_b32 v32, v54 :: v_dual_bitop2_b32 v44, v44, v32 bitop3:0x54
	s_and_b32 s7, s8, exec_lo
.LBB272_110:
	s_or_b32 exec_lo, exec_lo, s6
	s_wait_dscnt 0x0
	v_and_or_b32 v2, 0xffff, v2, v33
	v_mov_b32_e32 v33, v44
	s_and_b32 s6, s7, exec_lo
.LBB272_111:
	s_or_b32 exec_lo, exec_lo, s5
	s_wait_dscnt 0x0
	v_or_b32_e32 v31, v34, v31
	v_mov_b32_e32 v34, v2
	s_and_b32 s5, s6, exec_lo
.LBB272_112:
	s_or_b32 exec_lo, exec_lo, s1
	v_lshlrev_b32_e32 v10, 1, v0
	s_and_b32 vcc_lo, exec_lo, s0
	s_cbranch_vccz .LBB272_140
.LBB272_113:
	s_clause 0x13
	flat_load_u16 v2, v0, s[42:43] scale_offset
	flat_load_u16 v3, v0, s[42:43] offset:512 scale_offset
	flat_load_u16 v4, v0, s[42:43] offset:1024 scale_offset
	;; [unrolled: 1-line block ×19, first 2 shown]
	v_mad_u32_u24 v11, v0, 38, v10
	s_cmp_eq_u64 s[44:45], 0
	s_wait_loadcnt_dscnt 0x1313
	ds_store_b16 v10, v2
	s_wait_loadcnt_dscnt 0x1213
	ds_store_b16 v10, v3 offset:512
	s_wait_loadcnt_dscnt 0x1113
	ds_store_b16 v10, v4 offset:1024
	;; [unrolled: 2-line block ×19, first 2 shown]
	s_wait_dscnt 0x0
	s_barrier_signal -1
	s_barrier_wait -1
	ds_load_2addr_b64 v[6:9], v11 offset1:1
	ds_load_2addr_b64 v[2:5], v11 offset0:2 offset1:3
	ds_load_b64 v[12:13], v11 offset:32
	v_mov_b32_e32 v14, 0
	s_cbranch_scc1 .LBB272_137
; %bb.114:
	s_and_not1_b32 vcc_lo, exec_lo, s48
	s_cbranch_vccnz .LBB272_135
; %bb.115:
	s_lshl_b64 s[0:1], s[44:45], 1
	s_delay_alu instid0(SALU_CYCLE_1) | instskip(NEXT) | instid1(SALU_CYCLE_1)
	s_add_nc_u64 s[0:1], s[30:31], s[0:1]
	s_add_nc_u64 s[42:43], s[0:1], -2
	s_mov_b32 s0, 0
	s_branch .LBB272_136
.LBB272_116:
	flat_load_u16 v4, v0, s[28:29] scale_offset
	s_wait_xcnt 0x0
	s_or_b32 exec_lo, exec_lo, s46
                                        ; implicit-def: $vgpr5
	s_and_saveexec_b32 s0, s1
	s_cbranch_execz .LBB272_55
.LBB272_117:
	flat_load_u16 v5, v0, s[28:29] offset:512 scale_offset
	s_wait_xcnt 0x0
	s_or_b32 exec_lo, exec_lo, s0
                                        ; implicit-def: $vgpr16
	s_and_saveexec_b32 s0, s4
	s_cbranch_execz .LBB272_56
.LBB272_118:
	flat_load_u16 v16, v0, s[28:29] offset:1024 scale_offset
	s_wait_xcnt 0x0
	s_or_b32 exec_lo, exec_lo, s0
                                        ; implicit-def: $vgpr17
	s_and_saveexec_b32 s0, s5
	s_cbranch_execz .LBB272_57
.LBB272_119:
	flat_load_u16 v17, v0, s[28:29] offset:1536 scale_offset
	s_wait_xcnt 0x0
	s_or_b32 exec_lo, exec_lo, s0
                                        ; implicit-def: $vgpr18
	s_and_saveexec_b32 s0, s6
	s_cbranch_execz .LBB272_58
.LBB272_120:
	flat_load_u16 v18, v0, s[28:29] offset:2048 scale_offset
	s_wait_xcnt 0x0
	s_or_b32 exec_lo, exec_lo, s0
                                        ; implicit-def: $vgpr19
	s_and_saveexec_b32 s0, s7
	s_cbranch_execz .LBB272_59
.LBB272_121:
	flat_load_u16 v19, v0, s[28:29] offset:2560 scale_offset
	s_wait_xcnt 0x0
	s_or_b32 exec_lo, exec_lo, s0
                                        ; implicit-def: $vgpr20
	s_and_saveexec_b32 s0, s8
	s_cbranch_execz .LBB272_60
.LBB272_122:
	flat_load_u16 v20, v0, s[28:29] offset:3072 scale_offset
	s_wait_xcnt 0x0
	s_or_b32 exec_lo, exec_lo, s0
                                        ; implicit-def: $vgpr21
	s_and_saveexec_b32 s0, s9
	s_cbranch_execz .LBB272_61
.LBB272_123:
	flat_load_u16 v21, v0, s[28:29] offset:3584 scale_offset
	s_wait_xcnt 0x0
	s_or_b32 exec_lo, exec_lo, s0
                                        ; implicit-def: $vgpr22
	s_and_saveexec_b32 s0, s10
	s_cbranch_execz .LBB272_62
.LBB272_124:
	flat_load_u16 v22, v0, s[28:29] offset:4096 scale_offset
	s_wait_xcnt 0x0
	s_or_b32 exec_lo, exec_lo, s0
                                        ; implicit-def: $vgpr23
	s_and_saveexec_b32 s0, s11
	s_cbranch_execz .LBB272_63
.LBB272_125:
	flat_load_u16 v23, v0, s[28:29] offset:4608 scale_offset
	s_wait_xcnt 0x0
	s_or_b32 exec_lo, exec_lo, s0
                                        ; implicit-def: $vgpr24
	s_and_saveexec_b32 s0, s12
	s_cbranch_execz .LBB272_64
.LBB272_126:
	flat_load_u16 v24, v0, s[28:29] offset:5120 scale_offset
	s_wait_xcnt 0x0
	s_or_b32 exec_lo, exec_lo, s0
                                        ; implicit-def: $vgpr25
	s_and_saveexec_b32 s0, s13
	s_cbranch_execz .LBB272_65
.LBB272_127:
	flat_load_u16 v25, v0, s[28:29] offset:5632 scale_offset
	s_wait_xcnt 0x0
	s_or_b32 exec_lo, exec_lo, s0
                                        ; implicit-def: $vgpr26
	s_and_saveexec_b32 s0, s14
	s_cbranch_execz .LBB272_66
.LBB272_128:
	flat_load_u16 v26, v0, s[28:29] offset:6144 scale_offset
	s_wait_xcnt 0x0
	s_or_b32 exec_lo, exec_lo, s0
                                        ; implicit-def: $vgpr27
	s_and_saveexec_b32 s0, s15
	s_cbranch_execz .LBB272_67
.LBB272_129:
	flat_load_u16 v27, v0, s[28:29] offset:6656 scale_offset
	s_wait_xcnt 0x0
	s_or_b32 exec_lo, exec_lo, s0
                                        ; implicit-def: $vgpr28
	s_and_saveexec_b32 s0, s16
	s_cbranch_execz .LBB272_68
.LBB272_130:
	flat_load_u16 v28, v0, s[28:29] offset:7168 scale_offset
	s_wait_xcnt 0x0
	s_or_b32 exec_lo, exec_lo, s0
                                        ; implicit-def: $vgpr29
	s_and_saveexec_b32 s0, s17
	s_cbranch_execz .LBB272_69
.LBB272_131:
	flat_load_u16 v29, v0, s[28:29] offset:7680 scale_offset
	s_wait_xcnt 0x0
	s_or_b32 exec_lo, exec_lo, s0
                                        ; implicit-def: $vgpr30
	s_and_saveexec_b32 s0, s18
	s_cbranch_execz .LBB272_70
.LBB272_132:
	flat_load_u16 v30, v0, s[28:29] offset:8192 scale_offset
	s_wait_xcnt 0x0
	s_or_b32 exec_lo, exec_lo, s0
                                        ; implicit-def: $vgpr31
	s_and_saveexec_b32 s0, s19
	s_cbranch_execz .LBB272_71
.LBB272_133:
	flat_load_u16 v31, v0, s[28:29] offset:8704 scale_offset
	s_wait_xcnt 0x0
	s_or_b32 exec_lo, exec_lo, s0
                                        ; implicit-def: $vgpr32
	s_and_saveexec_b32 s0, s20
	s_cbranch_execz .LBB272_72
.LBB272_134:
	flat_load_u16 v32, v0, s[28:29] offset:9216 scale_offset
	s_wait_xcnt 0x0
	s_or_b32 exec_lo, exec_lo, s0
                                        ; implicit-def: $vgpr33
	s_and_saveexec_b32 s0, s21
	s_cbranch_execnz .LBB272_73
	s_branch .LBB272_74
.LBB272_135:
	s_add_nc_u64 s[42:43], s[42:43], -2
	s_mov_b32 s0, -1
.LBB272_136:
	s_delay_alu instid0(SALU_CYCLE_1)
	s_and_not1_b32 vcc_lo, exec_lo, s0
.LBB272_137:
	flat_load_u16 v15, v14, s[42:43]
	s_wait_dscnt 0x1
	s_wait_xcnt 0x0
	v_lshrrev_b32_e32 v14, 16, v13
	v_mad_i32_i24 v16, 0xffffffda, v0, v11
	ds_store_b16 v16, v14 offset:10240
	s_wait_loadcnt_dscnt 0x0
	s_barrier_signal -1
	s_barrier_wait -1
	s_and_saveexec_b32 s0, s3
; %bb.138:
	v_mul_i32_i24_e32 v15, 0xffffffda, v0
	s_delay_alu instid0(VALU_DEP_1)
	v_add_nc_u32_e32 v15, v11, v15
	ds_load_u16 v15, v15 offset:10238
; %bb.139:
	s_or_b32 exec_lo, exec_lo, s0
	s_wait_dscnt 0x0
	s_barrier_signal -1
	s_barrier_wait -1
	s_clause 0x13
	flat_load_u16 v16, v0, s[28:29] scale_offset
	flat_load_u16 v17, v0, s[28:29] offset:512 scale_offset
	flat_load_u16 v18, v0, s[28:29] offset:1024 scale_offset
	;; [unrolled: 1-line block ×19, first 2 shown]
	v_dual_lshrrev_b32 v36, 16, v6 :: v_dual_lshrrev_b32 v37, 16, v7
	v_cmp_eq_u16_e32 vcc_lo, v15, v6
	v_dual_lshrrev_b32 v38, 16, v8 :: v_dual_lshrrev_b32 v39, 16, v9
	v_dual_lshrrev_b32 v40, 16, v2 :: v_dual_lshrrev_b32 v41, 16, v3
	v_cndmask_b32_e64 v45, 0x10000, 0, vcc_lo
	v_cmp_eq_u16_e32 vcc_lo, v6, v36
	v_dual_lshrrev_b32 v42, 16, v4 :: v_dual_lshrrev_b32 v43, 16, v5
	v_cmp_ne_u16_e64 s4, v13, v14
	s_mov_b32 s5, -1
	v_cndmask_b32_e64 v47, 0x10000, 0, vcc_lo
	v_cmp_eq_u16_e32 vcc_lo, v36, v7
	s_wait_loadcnt_dscnt 0x1313
	ds_store_b16 v10, v16
	s_wait_loadcnt_dscnt 0x1213
	ds_store_b16 v10, v17 offset:512
	s_wait_loadcnt_dscnt 0x1113
	ds_store_b16 v10, v18 offset:1024
	;; [unrolled: 2-line block ×19, first 2 shown]
	v_cndmask_b32_e64 v36, 0x10000, 0, vcc_lo
	v_cmp_eq_u16_e32 vcc_lo, v7, v37
	s_wait_dscnt 0x0
	s_barrier_signal -1
	s_barrier_wait -1
	v_cndmask_b32_e64 v48, 0x10000, 0, vcc_lo
	v_cmp_eq_u16_e32 vcc_lo, v37, v8
	ds_load_2addr_b64 v[14:17], v11 offset0:2 offset1:3
	v_cndmask_b32_e64 v37, 0x10000, 0, vcc_lo
	v_cmp_eq_u16_e32 vcc_lo, v8, v38
	v_cndmask_b32_e64 v51, 0x10000, 0, vcc_lo
	v_cmp_eq_u16_e32 vcc_lo, v38, v9
	v_cndmask_b32_e64 v38, 0x10000, 0, vcc_lo
	v_cmp_eq_u16_e32 vcc_lo, v9, v39
	ds_load_2addr_b64 v[6:9], v11 offset1:1
	s_wait_dscnt 0x1
	v_dual_lshrrev_b32 v44, 16, v12 :: v_dual_lshrrev_b32 v26, 16, v14
	v_dual_lshrrev_b32 v27, 16, v15 :: v_dual_lshrrev_b32 v28, 16, v16
	v_cndmask_b32_e64 v53, 0x10000, 0, vcc_lo
	v_cmp_eq_u16_e32 vcc_lo, v39, v2
	v_cndmask_b32_e64 v39, 0x10000, 0, vcc_lo
	v_cmp_eq_u16_e32 vcc_lo, v2, v40
	s_delay_alu instid0(VALU_DEP_2)
	v_and_or_b32 v46, 0xffff, v14, v39
	v_cndmask_b32_e64 v55, 0x10000, 0, vcc_lo
	v_cmp_eq_u16_e32 vcc_lo, v40, v3
	s_wait_dscnt 0x0
	v_dual_lshrrev_b32 v22, 16, v6 :: v_dual_lshrrev_b32 v23, 16, v7
	v_lshrrev_b32_e32 v24, 16, v8
	v_cndmask_b32_e64 v18, 0x10000, 0, vcc_lo
	v_cmp_eq_u16_e32 vcc_lo, v3, v41
	ds_load_b64 v[2:3], v11 offset:32
	v_lshrrev_b32_e32 v25, 16, v9
	v_lshrrev_b32_e32 v29, 16, v17
	v_and_or_b32 v31, 0xffff, v6, v45
	v_cndmask_b32_e64 v19, 0x10000, 0, vcc_lo
	v_cmp_eq_u16_e32 vcc_lo, v41, v4
	v_and_or_b32 v50, 0xffff, v8, v37
	v_and_or_b32 v49, 0xffff, v9, v38
	v_or_b32_e32 v54, v48, v23
	v_or_b32_e32 v45, v55, v26
	v_cndmask_b32_e64 v20, 0x10000, 0, vcc_lo
	v_cmp_eq_u16_e32 vcc_lo, v4, v42
	v_mov_b32_e32 v26, v46
	s_delay_alu instid0(VALU_DEP_3)
	v_and_or_b32 v40, 0xffff, v16, v20
	v_cndmask_b32_e64 v4, 0x10000, 0, vcc_lo
	v_cmp_eq_u16_e32 vcc_lo, v42, v5
	s_wait_dscnt 0x0
	v_dual_lshrrev_b32 v30, 16, v2 :: v_dual_bitop2_b32 v41, v19, v27 bitop3:0x54
	v_lshrrev_b32_e32 v42, 16, v3
	v_cndmask_b32_e64 v11, 0x10000, 0, vcc_lo
	v_cmp_eq_u16_e32 vcc_lo, v5, v43
	s_delay_alu instid0(VALU_DEP_2) | instskip(SKIP_4) | instid1(VALU_DEP_4)
	v_and_or_b32 v38, 0xffff, v17, v11
	v_cndmask_b32_e64 v5, 0x10000, 0, vcc_lo
	v_cmp_eq_u16_e32 vcc_lo, v43, v12
	v_and_or_b32 v43, 0xffff, v15, v18
	v_dual_mov_b32 v28, v49 :: v_dual_bitop2_b32 v39, v4, v28 bitop3:0x54
	v_dual_mov_b32 v20, v38 :: v_dual_bitop2_b32 v37, v5, v29 bitop3:0x54
	v_cndmask_b32_e64 v21, 0x10000, 0, vcc_lo
	v_cmp_eq_u16_e32 vcc_lo, v12, v44
	s_delay_alu instid0(VALU_DEP_3) | instskip(NEXT) | instid1(VALU_DEP_3)
	v_mov_b32_e32 v19, v37
	v_and_or_b32 v35, 0xffff, v2, v21
	v_cndmask_b32_e64 v12, 0x10000, 0, vcc_lo
	v_cmp_eq_u16_e32 vcc_lo, v44, v13
	v_and_or_b32 v44, 0xffff, v7, v36
	v_or_b32_e32 v2, v47, v22
	v_or_b32_e32 v52, v51, v24
	;; [unrolled: 1-line block ×3, first 2 shown]
	v_cndmask_b32_e64 v13, 0x10000, 0, vcc_lo
	v_dual_mov_b32 v18, v35 :: v_dual_bitop2_b32 v36, v12, v30 bitop3:0x54
	v_dual_mov_b32 v33, v44 :: v_dual_mov_b32 v30, v50
	s_delay_alu instid0(VALU_DEP_3)
	v_and_or_b32 v16, 0xffff, v3, v13
	v_dual_mov_b32 v24, v43 :: v_dual_mov_b32 v22, v40
	v_dual_mov_b32 v34, v2 :: v_dual_mov_b32 v32, v54
	v_dual_mov_b32 v29, v52 :: v_dual_mov_b32 v27, v47
	v_dual_mov_b32 v25, v45 :: v_dual_mov_b32 v23, v41
	v_dual_mov_b32 v21, v39 :: v_dual_mov_b32 v17, v36
.LBB272_140:
	v_mov_b32_e32 v11, 0
	s_and_saveexec_b32 s0, s5
	s_cbranch_execz .LBB272_142
; %bb.141:
	v_and_b32_e32 v3, 0xffff, v42
	v_cndmask_b32_e64 v4, 0, 0x10000, s4
	v_dual_mov_b32 v17, v36 :: v_dual_mov_b32 v18, v35
	v_dual_mov_b32 v19, v37 :: v_dual_mov_b32 v20, v38
	s_delay_alu instid0(VALU_DEP_3)
	v_dual_mov_b32 v21, v39 :: v_dual_bitop2_b32 v11, v4, v3 bitop3:0x54
	v_dual_mov_b32 v22, v40 :: v_dual_mov_b32 v23, v41
	v_dual_mov_b32 v24, v43 :: v_dual_mov_b32 v25, v45
	v_dual_mov_b32 v26, v46 :: v_dual_mov_b32 v27, v47
	v_dual_mov_b32 v28, v49 :: v_dual_mov_b32 v29, v52
	v_dual_mov_b32 v30, v50 :: v_dual_mov_b32 v32, v54
	v_dual_mov_b32 v33, v44 :: v_dual_mov_b32 v34, v2
.LBB272_142:
	s_or_b32 exec_lo, exec_lo, s0
	v_dual_lshrrev_b32 v45, 3, v0 :: v_dual_bitop2_b32 v2, v27, v26 bitop3:0x54
	v_or_b32_e32 v3, v19, v18
	v_cmp_ne_u32_e32 vcc_lo, 0, v1
	v_or_b32_e32 v43, v17, v16
	v_cmp_gt_u32_e64 s20, 0x10000, v34
	v_cmp_gt_u32_e64 s19, 0x10000, v33
	v_cmp_gt_u32_e64 s18, 0x10000, v32
	v_cmp_gt_u32_e64 s17, 0x10000, v30
	v_cmp_gt_u32_e64 s16, 0x10000, v29
	v_cmp_gt_u32_e64 s15, 0x10000, v28
	v_cmp_gt_u32_e64 s14, 0x10000, v27
	v_cmp_gt_u32_e64 s12, 0x10000, v26
	v_or3_b32 v44, v2, v28, v29
	v_cmp_gt_u32_e64 s13, 0x10000, v25
	v_cmp_gt_u32_e64 s11, 0x10000, v24
	;; [unrolled: 1-line block ×8, first 2 shown]
	v_or3_b32 v46, v3, v20, v21
	v_cmp_gt_u32_e64 s5, 0x10000, v17
	v_cmp_gt_u32_e64 s1, 0x10000, v16
	v_cmp_gt_u32_e64 s0, 0x10000, v11
	v_cmp_gt_u32_e64 s21, 32, v0
	s_barrier_signal -1
	s_barrier_wait -1
	s_cbranch_vccz .LBB272_192
; %bb.143:
	v_dual_cndmask_b32 v2, 0, v31, s20 :: v_dual_bitop2_b32 v5, 28, v45 bitop3:0x40
	v_or3_b32 v3, v46, v22, v23
	v_or3_b32 v4, v44, v30, v32
	v_lshrrev_b32_e32 v12, 16, v31
	s_delay_alu instid0(VALU_DEP_4) | instskip(NEXT) | instid1(VALU_DEP_4)
	v_add_nc_u16 v2, v2, v34
	v_or3_b32 v3, v3, v24, v25
	s_delay_alu instid0(VALU_DEP_4) | instskip(NEXT) | instid1(VALU_DEP_3)
	v_or3_b32 v4, v4, v33, v34
	v_cndmask_b32_e64 v2, 0, v2, s19
	s_delay_alu instid0(VALU_DEP_3) | instskip(NEXT) | instid1(VALU_DEP_2)
	v_or3_b32 v3, v11, v43, v3
	v_add_nc_u16 v2, v2, v33
	s_delay_alu instid0(VALU_DEP_2) | instskip(SKIP_1) | instid1(VALU_DEP_2)
	v_bitop3_b32 v3, v3, 0xff0000, v4 bitop3:0xc8
	v_lshl_add_u32 v4, v0, 2, v5
	v_cmp_eq_u32_e32 vcc_lo, 0, v3
	s_delay_alu instid0(VALU_DEP_4) | instskip(NEXT) | instid1(VALU_DEP_1)
	v_dual_cndmask_b32 v2, 0, v2, s18 :: v_dual_cndmask_b32 v14, 1, v12, vcc_lo
	v_add_nc_u16 v2, v2, v32
	s_delay_alu instid0(VALU_DEP_1) | instskip(NEXT) | instid1(VALU_DEP_1)
	v_cndmask_b32_e64 v2, 0, v2, s17
	v_add_nc_u16 v2, v2, v30
	s_delay_alu instid0(VALU_DEP_1) | instskip(NEXT) | instid1(VALU_DEP_1)
	v_cndmask_b32_e64 v2, 0, v2, s16
	;; [unrolled: 3-line block ×16, first 2 shown]
	v_add_nc_u16 v13, v2, v11
	ds_store_b16 v4, v13
	ds_store_b8 v4, v14 offset:2
	s_wait_dscnt 0x0
	s_barrier_signal -1
	s_barrier_wait -1
	s_and_saveexec_b32 s28, s21
	s_cbranch_execz .LBB272_155
; %bb.144:
	v_and_b32_e32 v2, 0xfc, v0
	v_lshlrev_b32_e32 v3, 5, v0
	s_mov_b32 s29, exec_lo
	s_delay_alu instid0(VALU_DEP_1)
	v_add_nc_u32_e32 v2, v2, v3
	ds_load_u8 v4, v2 offset:6
	ds_load_b32 v3, v2
	ds_load_u16 v5, v2 offset:4
	ds_load_u8 v6, v2 offset:10
	ds_load_u16 v7, v2 offset:8
	ds_load_u16 v8, v2 offset:12
	ds_load_u8 v9, v2 offset:14
	ds_load_u16 v15, v2 offset:16
	s_wait_dscnt 0x7
	v_cmp_eq_u16_e32 vcc_lo, 0, v4
	s_wait_dscnt 0x4
	v_dual_cndmask_b32 v35, 0, v3, vcc_lo :: v_dual_bitop2_b32 v4, v6, v4 bitop3:0x54
	v_cmp_eq_u16_e32 vcc_lo, 0, v6
	s_delay_alu instid0(VALU_DEP_2) | instskip(SKIP_4) | instid1(VALU_DEP_2)
	v_add_nc_u16 v5, v35, v5
	ds_load_u8 v35, v2 offset:18
	v_cndmask_b32_e32 v5, 0, v5, vcc_lo
	s_wait_dscnt 0x2
	v_cmp_eq_u16_e32 vcc_lo, 0, v9
	v_add_nc_u16 v5, v5, v7
	ds_load_u8 v7, v2 offset:22
	v_cndmask_b32_e32 v5, 0, v5, vcc_lo
	s_delay_alu instid0(VALU_DEP_1)
	v_add_nc_u16 v5, v5, v8
	ds_load_u16 v8, v2 offset:20
	ds_load_u16 v36, v2 offset:24
	ds_load_u8 v37, v2 offset:26
	ds_load_u16 v38, v2 offset:28
	ds_load_u8 v39, v2 offset:30
	s_wait_dscnt 0x6
	v_cmp_eq_u16_e32 vcc_lo, 0, v35
	v_bitop3_b16 v6, v4, v35, v9 bitop3:0xfe
	v_and_b32_e32 v4, 0x10000, v3
	v_cndmask_b32_e32 v5, 0, v5, vcc_lo
	s_wait_dscnt 0x5
	v_cmp_eq_u16_e32 vcc_lo, 0, v7
	s_wait_dscnt 0x2
	v_bitop3_b16 v6, v6, v37, v7 bitop3:0xfe
	s_wait_dscnt 0x0
	v_and_b32_e32 v7, 1, v39
	v_add_nc_u16 v5, v5, v15
	s_delay_alu instid0(VALU_DEP_1) | instskip(SKIP_1) | instid1(VALU_DEP_2)
	v_cndmask_b32_e32 v5, 0, v5, vcc_lo
	v_cmp_eq_u16_e32 vcc_lo, 0, v37
	v_add_nc_u16 v5, v5, v8
	s_delay_alu instid0(VALU_DEP_1) | instskip(SKIP_1) | instid1(VALU_DEP_2)
	v_cndmask_b32_e32 v5, 0, v5, vcc_lo
	v_cmp_eq_u16_e32 vcc_lo, 0, v39
	;; [unrolled: 4-line block ×3, first 2 shown]
	v_add_nc_u16 v6, v5, v38
	v_cndmask_b32_e32 v8, 0x10000, v4, vcc_lo
	v_cmp_eq_u32_e32 vcc_lo, 1, v7
	v_and_b32_e32 v5, 0xff000000, v3
	v_mbcnt_lo_u32_b32 v7, -1, 0
	v_and_b32_e32 v9, 0xffff, v6
	v_cndmask_b32_e64 v8, v8, 0x10000, vcc_lo
	s_delay_alu instid0(VALU_DEP_1) | instskip(NEXT) | instid1(VALU_DEP_3)
	v_or_b32_e32 v15, v8, v5
	v_or3_b32 v35, v5, v9, v8
	v_and_b32_e32 v8, 15, v7
	s_delay_alu instid0(VALU_DEP_3) | instskip(NEXT) | instid1(VALU_DEP_3)
	v_lshrrev_b32_e32 v9, 16, v15
	v_mov_b32_dpp v36, v35 row_shr:1 row_mask:0xf bank_mask:0xf
	s_delay_alu instid0(VALU_DEP_3)
	v_cmpx_ne_u32_e32 0, v8
	s_cbranch_execz .LBB272_146
; %bb.145:
	s_delay_alu instid0(VALU_DEP_2) | instskip(SKIP_1) | instid1(VALU_DEP_2)
	v_dual_lshrrev_b32 v9, 16, v15 :: v_dual_lshrrev_b32 v35, 16, v36
	v_and_b32_e32 v15, 0x10000, v15
	v_and_b32_e32 v9, 0xff, v9
	s_delay_alu instid0(VALU_DEP_1) | instskip(NEXT) | instid1(VALU_DEP_4)
	v_cmp_eq_u16_e32 vcc_lo, 0, v9
	v_dual_cndmask_b32 v36, 0, v36, vcc_lo :: v_dual_bitop2_b32 v35, 1, v35 bitop3:0x40
	s_delay_alu instid0(VALU_DEP_4) | instskip(NEXT) | instid1(VALU_DEP_2)
	v_cmp_ne_u32_e32 vcc_lo, 0, v15
	v_add_nc_u16 v6, v36, v6
	s_delay_alu instid0(VALU_DEP_3) | instskip(NEXT) | instid1(VALU_DEP_2)
	v_cndmask_b32_e64 v9, v35, 1, vcc_lo
	v_and_b32_e32 v35, 0xffff, v6
	s_delay_alu instid0(VALU_DEP_2) | instskip(NEXT) | instid1(VALU_DEP_1)
	v_lshlrev_b32_e32 v15, 16, v9
	v_or3_b32 v35, v15, v35, v5
.LBB272_146:
	s_or_b32 exec_lo, exec_lo, s29
	s_delay_alu instid0(VALU_DEP_1)
	v_lshrrev_b32_e32 v15, 16, v35
	v_mov_b32_dpp v36, v35 row_shr:2 row_mask:0xf bank_mask:0xf
	s_mov_b32 s29, exec_lo
	v_cmpx_lt_u32_e32 1, v8
	s_cbranch_execz .LBB272_148
; %bb.147:
	v_and_b32_e32 v15, 0xff, v15
	v_and_b32_e32 v35, 0x10000, v35
	s_delay_alu instid0(VALU_DEP_2) | instskip(SKIP_1) | instid1(VALU_DEP_1)
	v_cmp_eq_u16_e32 vcc_lo, 0, v15
	v_dual_lshrrev_b32 v9, 16, v36 :: v_dual_cndmask_b32 v15, 0, v36, vcc_lo
	v_and_b32_e32 v9, 1, v9
	s_delay_alu instid0(VALU_DEP_4) | instskip(NEXT) | instid1(VALU_DEP_3)
	v_cmp_ne_u32_e32 vcc_lo, 0, v35
	v_add_nc_u16 v6, v15, v6
	s_delay_alu instid0(VALU_DEP_3) | instskip(NEXT) | instid1(VALU_DEP_2)
	v_cndmask_b32_e64 v9, v9, 1, vcc_lo
	v_and_b32_e32 v35, 0xffff, v6
	s_delay_alu instid0(VALU_DEP_2) | instskip(NEXT) | instid1(VALU_DEP_1)
	v_lshlrev_b32_e32 v15, 16, v9
	v_or3_b32 v35, v15, v35, v5
	v_mov_b32_e32 v15, v9
.LBB272_148:
	s_or_b32 exec_lo, exec_lo, s29
	s_delay_alu instid0(VALU_DEP_2)
	v_mov_b32_dpp v36, v35 row_shr:4 row_mask:0xf bank_mask:0xf
	s_mov_b32 s29, exec_lo
	v_cmpx_lt_u32_e32 3, v8
	s_cbranch_execz .LBB272_150
; %bb.149:
	v_and_b32_e32 v35, 0xff, v15
	v_dual_lshrrev_b32 v9, 16, v36 :: v_dual_bitop2_b32 v15, 1, v15 bitop3:0x40
	s_delay_alu instid0(VALU_DEP_2) | instskip(NEXT) | instid1(VALU_DEP_2)
	v_cmp_eq_u16_e32 vcc_lo, 0, v35
	v_dual_cndmask_b32 v35, 0, v36, vcc_lo :: v_dual_bitop2_b32 v9, 1, v9 bitop3:0x40
	s_delay_alu instid0(VALU_DEP_3) | instskip(NEXT) | instid1(VALU_DEP_2)
	v_cmp_eq_u32_e32 vcc_lo, 1, v15
	v_add_nc_u16 v6, v35, v6
	s_delay_alu instid0(VALU_DEP_3) | instskip(NEXT) | instid1(VALU_DEP_2)
	v_cndmask_b32_e64 v9, v9, 1, vcc_lo
	v_and_b32_e32 v35, 0xffff, v6
	s_delay_alu instid0(VALU_DEP_2) | instskip(NEXT) | instid1(VALU_DEP_1)
	v_lshlrev_b32_e32 v15, 16, v9
	v_or3_b32 v35, v15, v35, v5
	v_mov_b32_e32 v15, v9
.LBB272_150:
	s_or_b32 exec_lo, exec_lo, s29
	s_delay_alu instid0(VALU_DEP_2)
	v_mov_b32_dpp v36, v35 row_shr:8 row_mask:0xf bank_mask:0xf
	s_mov_b32 s29, exec_lo
	v_cmpx_lt_u32_e32 7, v8
	s_cbranch_execz .LBB272_152
; %bb.151:
	v_and_b32_e32 v9, 0xff, v15
	v_dual_lshrrev_b32 v8, 16, v36 :: v_dual_bitop2_b32 v15, 1, v15 bitop3:0x40
	s_delay_alu instid0(VALU_DEP_2) | instskip(NEXT) | instid1(VALU_DEP_2)
	v_cmp_eq_u16_e32 vcc_lo, 0, v9
	v_and_b32_e32 v8, 1, v8
	v_cndmask_b32_e32 v35, 0, v36, vcc_lo
	s_delay_alu instid0(VALU_DEP_4) | instskip(NEXT) | instid1(VALU_DEP_3)
	v_cmp_eq_u32_e32 vcc_lo, 1, v15
	v_cndmask_b32_e64 v9, v8, 1, vcc_lo
	s_delay_alu instid0(VALU_DEP_1) | instskip(NEXT) | instid1(VALU_DEP_4)
	v_lshlrev_b32_e32 v8, 16, v9
	v_add_nc_u16 v6, v35, v6
	s_delay_alu instid0(VALU_DEP_1) | instskip(NEXT) | instid1(VALU_DEP_1)
	v_and_b32_e32 v15, 0xffff, v6
	v_or3_b32 v35, v8, v15, v5
	v_mov_b32_e32 v15, v9
.LBB272_152:
	s_or_b32 exec_lo, exec_lo, s29
	ds_swizzle_b32 v8, v35 offset:swizzle(BROADCAST,32,15)
	v_and_b32_e32 v35, 16, v7
	s_mov_b32 s29, exec_lo
	s_delay_alu instid0(VALU_DEP_1)
	v_cmpx_ne_u32_e32 0, v35
	s_cbranch_execz .LBB272_154
; %bb.153:
	v_and_b32_e32 v9, 0xff, v15
	s_delay_alu instid0(VALU_DEP_1) | instskip(SKIP_2) | instid1(VALU_DEP_1)
	v_cmp_eq_u16_e32 vcc_lo, 0, v9
	s_wait_dscnt 0x0
	v_dual_lshrrev_b32 v35, 16, v8 :: v_dual_bitop2_b32 v9, 1, v15 bitop3:0x40
	v_dual_cndmask_b32 v8, 0, v8, vcc_lo :: v_dual_bitop2_b32 v15, 1, v35 bitop3:0x40
	s_delay_alu instid0(VALU_DEP_2) | instskip(NEXT) | instid1(VALU_DEP_2)
	v_cmp_eq_u32_e32 vcc_lo, 1, v9
	v_add_nc_u16 v6, v8, v6
	s_delay_alu instid0(VALU_DEP_3)
	v_cndmask_b32_e64 v9, v15, 1, vcc_lo
.LBB272_154:
	s_or_b32 exec_lo, exec_lo, s29
	s_wait_dscnt 0x0
	s_delay_alu instid0(VALU_DEP_1) | instskip(SKIP_2) | instid1(VALU_DEP_3)
	v_and_b32_e32 v8, 0xff, v9
	v_add_nc_u32_e32 v9, -1, v7
	v_and_b32_e32 v6, 0xffff, v6
	; wave barrier
	v_lshlrev_b32_e32 v8, 16, v8
	s_delay_alu instid0(VALU_DEP_3) | instskip(NEXT) | instid1(VALU_DEP_2)
	v_cmp_gt_i32_e32 vcc_lo, 0, v9
	v_or3_b32 v5, v8, v6, v5
	v_cndmask_b32_e32 v7, v9, v7, vcc_lo
	s_delay_alu instid0(VALU_DEP_1) | instskip(SKIP_2) | instid1(VALU_DEP_1)
	v_lshlrev_b32_e32 v6, 2, v7
	ds_bpermute_b32 v5, v6, v5
	v_and_b32_e32 v6, 0xff0000, v3
	v_cmp_eq_u32_e32 vcc_lo, 0, v6
	s_wait_dscnt 0x0
	v_dual_lshrrev_b32 v7, 16, v5 :: v_dual_cndmask_b32 v5, 0, v5, vcc_lo
	v_cmp_eq_u32_e32 vcc_lo, 0, v4
	s_delay_alu instid0(VALU_DEP_2) | instskip(NEXT) | instid1(VALU_DEP_1)
	v_add_nc_u16 v3, v5, v3
	v_dual_cndmask_b32 v3, v3, v13, s2 :: v_dual_bitop2_b32 v6, 1, v7 bitop3:0x40
	s_delay_alu instid0(VALU_DEP_1) | instskip(NEXT) | instid1(VALU_DEP_1)
	v_cndmask_b32_e32 v4, 1, v6, vcc_lo
	v_cndmask_b32_e64 v4, v4, v14, s2
	ds_store_b16 v2, v3
	ds_store_b8 v2, v4 offset:2
	; wave barrier
	ds_load_u8 v5, v2 offset:6
	ds_load_u16 v6, v2 offset:4
	ds_load_u8 v7, v2 offset:10
	ds_load_u16 v8, v2 offset:8
	ds_load_u16 v9, v2 offset:12
	ds_load_u8 v15, v2 offset:14
	ds_load_u16 v35, v2 offset:16
	ds_load_u8 v36, v2 offset:18
	s_wait_dscnt 0x7
	v_cmp_eq_u16_e32 vcc_lo, 0, v5
	v_cndmask_b32_e32 v3, 0, v3, vcc_lo
	s_wait_dscnt 0x5
	v_cmp_eq_u16_e32 vcc_lo, 0, v7
	s_delay_alu instid0(VALU_DEP_2) | instskip(NEXT) | instid1(VALU_DEP_1)
	v_add_nc_u16 v3, v3, v6
	v_cndmask_b32_e32 v6, 0, v3, vcc_lo
	s_wait_dscnt 0x2
	v_cmp_eq_u16_e32 vcc_lo, 0, v15
	s_delay_alu instid0(VALU_DEP_2)
	v_add_nc_u16 v6, v6, v8
	v_and_b32_e32 v5, 1, v5
	ds_load_u8 v8, v2 offset:22
	ds_load_u16 v38, v2 offset:20
	ds_load_u8 v39, v2 offset:26
	ds_load_u8 v40, v2 offset:30
	v_cndmask_b32_e32 v37, 0, v6, vcc_lo
	v_cmp_eq_u32_e32 vcc_lo, 1, v5
	v_and_b32_e32 v5, 1, v15
	s_delay_alu instid0(VALU_DEP_3)
	v_add_nc_u16 v9, v37, v9
	v_cndmask_b32_e64 v4, v4, 1, vcc_lo
	s_wait_dscnt 0x4
	v_cmp_eq_u16_e32 vcc_lo, 0, v36
	v_and_b32_e32 v7, 1, v7
	ds_load_u16 v37, v2 offset:24
	ds_load_u16 v41, v2 offset:28
	v_cndmask_b32_e32 v15, 0, v9, vcc_lo
	v_cmp_eq_u32_e32 vcc_lo, 1, v7
	s_delay_alu instid0(VALU_DEP_2)
	v_add_nc_u16 v15, v15, v35
	v_cndmask_b32_e64 v7, v4, 1, vcc_lo
	v_cmp_eq_u32_e32 vcc_lo, 1, v5
	v_and_b32_e32 v35, 1, v36
	s_wait_dscnt 0x2
	v_and_b32_e32 v42, 1, v40
	v_cndmask_b32_e64 v5, v7, 1, vcc_lo
	v_cmp_eq_u16_e32 vcc_lo, 0, v8
	v_dual_cndmask_b32 v36, 0, v15, vcc_lo :: v_dual_bitop2_b32 v8, 1, v8 bitop3:0x40
	v_cmp_eq_u32_e32 vcc_lo, 1, v35
	s_delay_alu instid0(VALU_DEP_2) | instskip(SKIP_1) | instid1(VALU_DEP_4)
	v_add_nc_u16 v36, v36, v38
	v_cndmask_b32_e64 v35, v5, 1, vcc_lo
	v_cmp_eq_u32_e32 vcc_lo, 1, v8
	v_and_b32_e32 v38, 1, v39
	ds_store_b16 v2, v3 offset:4
	ds_store_b8 v2, v4 offset:6
	ds_store_b16 v2, v6 offset:8
	ds_store_b8 v2, v7 offset:10
	;; [unrolled: 2-line block ×4, first 2 shown]
	v_cndmask_b32_e64 v8, v35, 1, vcc_lo
	v_cmp_eq_u16_e32 vcc_lo, 0, v39
	v_cndmask_b32_e32 v39, 0, v36, vcc_lo
	v_cmp_eq_u32_e32 vcc_lo, 1, v38
	s_wait_dscnt 0x9
	s_delay_alu instid0(VALU_DEP_2) | instskip(SKIP_2) | instid1(VALU_DEP_2)
	v_add_nc_u16 v37, v39, v37
	v_cndmask_b32_e64 v38, v8, 1, vcc_lo
	v_cmp_eq_u32_e32 vcc_lo, 1, v42
	v_cndmask_b32_e64 v39, v38, 1, vcc_lo
	v_cmp_eq_u16_e32 vcc_lo, 0, v40
	v_cndmask_b32_e32 v40, 0, v37, vcc_lo
	s_wait_dscnt 0x8
	s_delay_alu instid0(VALU_DEP_1)
	v_add_nc_u16 v3, v40, v41
	ds_store_b16 v2, v36 offset:20
	ds_store_b8 v2, v8 offset:22
	ds_store_b16 v2, v37 offset:24
	ds_store_b8 v2, v38 offset:26
	;; [unrolled: 2-line block ×3, first 2 shown]
.LBB272_155:
	s_or_b32 exec_lo, exec_lo, s28
	s_wait_dscnt 0x0
	s_barrier_signal -1
	s_barrier_wait -1
	s_and_saveexec_b32 s28, s3
	s_cbranch_execz .LBB272_157
; %bb.156:
	v_add_nc_u32_e32 v2, -1, v0
	s_delay_alu instid0(VALU_DEP_1) | instskip(NEXT) | instid1(VALU_DEP_1)
	v_lshrrev_b32_e32 v3, 3, v2
	v_and_b32_e32 v3, 0x1ffffffc, v3
	s_delay_alu instid0(VALU_DEP_1)
	v_lshl_add_u32 v2, v2, 2, v3
	ds_load_u16 v13, v2
	ds_load_u8 v14, v2 offset:2
.LBB272_157:
	s_or_b32 exec_lo, exec_lo, s28
	s_and_saveexec_b32 s28, s21
	s_cbranch_execz .LBB272_269
; %bb.158:
	v_dual_mov_b32 v9, 0 :: v_dual_add_nc_u32 v15, 32, v1
	v_mbcnt_lo_u32_b32 v35, -1, 0
	ds_load_b32 v2, v9 offset:1048
	v_cmp_eq_u32_e64 s21, 0, v35
	s_and_saveexec_b32 s29, s21
	s_cbranch_execz .LBB272_160
; %bb.159:
	v_mov_b32_e32 v3, 1
	s_wait_dscnt 0x0
	global_store_b64 v15, v[2:3], s[36:37] scale_offset scope:SCOPE_DEV
.LBB272_160:
	s_wait_xcnt 0x0
	s_or_b32 exec_lo, exec_lo, s29
	v_xad_u32 v4, v35, -1, v1
	s_mov_b32 s29, exec_lo
	s_delay_alu instid0(VALU_DEP_1) | instskip(SKIP_4) | instid1(VALU_DEP_1)
	v_add_nc_u32_e32 v8, 32, v4
	global_load_b64 v[6:7], v8, s[36:37] scale_offset scope:SCOPE_DEV
	s_wait_loadcnt 0x0
	v_and_b32_e32 v1, 0xff, v7
	s_wait_xcnt 0x0
	v_cmpx_eq_u16_e32 0, v1
	s_cbranch_execz .LBB272_164
; %bb.161:
	v_lshl_add_u64 v[8:9], v[8:9], 3, s[36:37]
	s_mov_b32 s30, 0
.LBB272_162:                            ; =>This Inner Loop Header: Depth=1
	global_load_b64 v[6:7], v[8:9], off scope:SCOPE_DEV
	s_wait_loadcnt 0x0
	v_and_b32_e32 v1, 0xff, v7
	s_delay_alu instid0(VALU_DEP_1)
	v_cmp_ne_u16_e32 vcc_lo, 0, v1
	s_or_b32 s30, vcc_lo, s30
	s_wait_xcnt 0x0
	s_and_not1_b32 exec_lo, exec_lo, s30
	s_cbranch_execnz .LBB272_162
; %bb.163:
	s_or_b32 exec_lo, exec_lo, s30
.LBB272_164:
	s_delay_alu instid0(SALU_CYCLE_1)
	s_or_b32 exec_lo, exec_lo, s29
	v_cmp_ne_u32_e32 vcc_lo, 31, v35
	v_and_b32_e32 v47, 0xffffff, v6
	v_and_b32_e32 v3, 0xff, v7
	v_bfe_u32 v9, v6, 16, 8
	s_mov_b32 s29, exec_lo
	v_add_co_ci_u32_e64 v1, null, 0, v35, vcc_lo
	s_delay_alu instid0(VALU_DEP_3) | instskip(SKIP_1) | instid1(VALU_DEP_3)
	v_cmp_eq_u16_e32 vcc_lo, 2, v3
	v_lshlrev_b32_e64 v3, v35, -1
	v_dual_lshrrev_b32 v8, 16, v6 :: v_dual_lshlrev_b32 v1, 2, v1
	s_delay_alu instid0(VALU_DEP_2) | instskip(SKIP_2) | instid1(VALU_DEP_1)
	v_and_or_b32 v5, vcc_lo, v3, 0x80000000
	ds_bpermute_b32 v36, v1, v47
	v_ctz_i32_b32_e32 v5, v5
	v_cmpx_lt_u32_e64 v35, v5
	s_cbranch_execz .LBB272_166
; %bb.165:
	v_and_b32_e32 v8, 0xff0000, v6
	s_delay_alu instid0(VALU_DEP_1) | instskip(SKIP_3) | instid1(VALU_DEP_1)
	v_and_b32_e32 v37, 0x10000, v8
	v_cmp_eq_u32_e32 vcc_lo, 0, v8
	s_wait_dscnt 0x0
	v_dual_cndmask_b32 v36, 0, v36 :: v_dual_lshrrev_b32 v9, 16, v36
	v_and_b32_e32 v9, 1, v9
	v_cmp_ne_u32_e32 vcc_lo, 0, v37
	s_delay_alu instid0(VALU_DEP_3) | instskip(NEXT) | instid1(VALU_DEP_3)
	v_add_nc_u16 v6, v36, v6
	v_cndmask_b32_e64 v8, v9, 1, vcc_lo
	s_delay_alu instid0(VALU_DEP_2) | instskip(NEXT) | instid1(VALU_DEP_2)
	v_and_b32_e32 v36, 0xffff, v6
	v_lshlrev_b32_e32 v9, 16, v8
	s_delay_alu instid0(VALU_DEP_1)
	v_dual_mov_b32 v9, v8 :: v_dual_bitop2_b32 v47, v9, v36 bitop3:0x54
.LBB272_166:
	s_or_b32 exec_lo, exec_lo, s29
	v_cmp_gt_u32_e32 vcc_lo, 30, v35
	v_add_nc_u32_e32 v37, 2, v35
	s_mov_b32 s29, exec_lo
	s_wait_dscnt 0x0
	v_cndmask_b32_e64 v36, 0, 2, vcc_lo
	s_delay_alu instid0(VALU_DEP_1)
	v_add_lshl_u32 v36, v36, v35, 2
	ds_bpermute_b32 v38, v36, v47
	v_cmpx_le_u32_e64 v37, v5
	s_cbranch_execz .LBB272_168
; %bb.167:
	v_cmp_eq_u16_e32 vcc_lo, 0, v9
	s_wait_dscnt 0x0
	v_dual_lshrrev_b32 v8, 16, v38 :: v_dual_bitop2_b32 v9, 1, v9 bitop3:0x40
	s_delay_alu instid0(VALU_DEP_1) | instskip(NEXT) | instid1(VALU_DEP_2)
	v_dual_cndmask_b32 v38, 0, v38, vcc_lo :: v_dual_bitop2_b32 v8, 1, v8 bitop3:0x40
	v_cmp_eq_u32_e32 vcc_lo, 1, v9
	s_delay_alu instid0(VALU_DEP_2) | instskip(NEXT) | instid1(VALU_DEP_3)
	v_add_nc_u16 v6, v38, v6
	v_cndmask_b32_e64 v8, v8, 1, vcc_lo
	s_delay_alu instid0(VALU_DEP_2) | instskip(NEXT) | instid1(VALU_DEP_2)
	v_and_b32_e32 v9, 0xffff, v6
	v_lshlrev_b32_e32 v38, 16, v8
	s_delay_alu instid0(VALU_DEP_1)
	v_dual_mov_b32 v9, v8 :: v_dual_bitop2_b32 v47, v38, v9 bitop3:0x54
.LBB272_168:
	s_or_b32 exec_lo, exec_lo, s29
	v_cmp_gt_u32_e32 vcc_lo, 28, v35
	v_add_nc_u32_e32 v39, 4, v35
	s_mov_b32 s29, exec_lo
	s_wait_dscnt 0x0
	v_cndmask_b32_e64 v38, 0, 4, vcc_lo
	s_delay_alu instid0(VALU_DEP_1)
	v_add_lshl_u32 v38, v38, v35, 2
	ds_bpermute_b32 v40, v38, v47
	v_cmpx_le_u32_e64 v39, v5
	s_cbranch_execz .LBB272_170
; %bb.169:
	v_cmp_eq_u16_e32 vcc_lo, 0, v9
	s_wait_dscnt 0x0
	v_dual_lshrrev_b32 v8, 16, v40 :: v_dual_bitop2_b32 v9, 1, v9 bitop3:0x40
	v_cndmask_b32_e32 v40, 0, v40, vcc_lo
	s_delay_alu instid0(VALU_DEP_2) | instskip(NEXT) | instid1(VALU_DEP_3)
	v_and_b32_e32 v8, 1, v8
	v_cmp_eq_u32_e32 vcc_lo, 1, v9
	s_delay_alu instid0(VALU_DEP_3) | instskip(NEXT) | instid1(VALU_DEP_3)
	v_add_nc_u16 v6, v40, v6
	v_cndmask_b32_e64 v8, v8, 1, vcc_lo
	s_delay_alu instid0(VALU_DEP_2) | instskip(NEXT) | instid1(VALU_DEP_2)
	v_and_b32_e32 v9, 0xffff, v6
	v_lshlrev_b32_e32 v40, 16, v8
	s_delay_alu instid0(VALU_DEP_1)
	v_or_b32_e32 v47, v40, v9
	v_mov_b32_e32 v9, v8
.LBB272_170:
	s_or_b32 exec_lo, exec_lo, s29
	v_cmp_gt_u32_e32 vcc_lo, 24, v35
	v_add_nc_u32_e32 v41, 8, v35
	s_mov_b32 s29, exec_lo
	s_wait_dscnt 0x0
	v_cndmask_b32_e64 v40, 0, 8, vcc_lo
	s_delay_alu instid0(VALU_DEP_1)
	v_add_lshl_u32 v40, v40, v35, 2
	ds_bpermute_b32 v42, v40, v47
	v_cmpx_le_u32_e64 v41, v5
	s_cbranch_execz .LBB272_172
; %bb.171:
	v_cmp_eq_u16_e32 vcc_lo, 0, v9
	s_wait_dscnt 0x0
	v_dual_lshrrev_b32 v8, 16, v42 :: v_dual_bitop2_b32 v9, 1, v9 bitop3:0x40
	s_delay_alu instid0(VALU_DEP_1) | instskip(NEXT) | instid1(VALU_DEP_2)
	v_dual_cndmask_b32 v42, 0, v42, vcc_lo :: v_dual_bitop2_b32 v8, 1, v8 bitop3:0x40
	v_cmp_eq_u32_e32 vcc_lo, 1, v9
	s_delay_alu instid0(VALU_DEP_2) | instskip(NEXT) | instid1(VALU_DEP_3)
	v_add_nc_u16 v6, v42, v6
	v_cndmask_b32_e64 v8, v8, 1, vcc_lo
	s_delay_alu instid0(VALU_DEP_2) | instskip(NEXT) | instid1(VALU_DEP_2)
	v_and_b32_e32 v9, 0xffff, v6
	v_lshlrev_b32_e32 v42, 16, v8
	s_delay_alu instid0(VALU_DEP_1)
	v_dual_mov_b32 v9, v8 :: v_dual_bitop2_b32 v47, v42, v9 bitop3:0x54
.LBB272_172:
	s_or_b32 exec_lo, exec_lo, s29
	s_wait_dscnt 0x0
	v_lshl_or_b32 v42, v35, 2, 64
	s_mov_b32 s29, exec_lo
	ds_bpermute_b32 v48, v42, v47
	v_add_nc_u32_e32 v47, 16, v35
	s_delay_alu instid0(VALU_DEP_1)
	v_cmpx_le_u32_e64 v47, v5
	s_cbranch_execz .LBB272_174
; %bb.173:
	v_cmp_eq_u16_e32 vcc_lo, 0, v9
	s_wait_dscnt 0x0
	v_dual_lshrrev_b32 v5, 16, v48 :: v_dual_bitop2_b32 v9, 1, v9 bitop3:0x40
	s_delay_alu instid0(VALU_DEP_1) | instskip(NEXT) | instid1(VALU_DEP_2)
	v_dual_cndmask_b32 v8, 0, v48, vcc_lo :: v_dual_bitop2_b32 v5, 1, v5 bitop3:0x40
	v_cmp_eq_u32_e32 vcc_lo, 1, v9
	s_delay_alu instid0(VALU_DEP_2) | instskip(NEXT) | instid1(VALU_DEP_3)
	v_add_nc_u16 v6, v8, v6
	v_cndmask_b32_e64 v8, v5, 1, vcc_lo
.LBB272_174:
	s_or_b32 exec_lo, exec_lo, s29
	v_mov_b32_e32 v5, 0
	s_branch .LBB272_177
.LBB272_175:                            ;   in Loop: Header=BB272_177 Depth=1
	s_or_b32 exec_lo, exec_lo, s29
	v_and_b32_e32 v8, 0xff, v48
	s_delay_alu instid0(VALU_DEP_2) | instskip(SKIP_2) | instid1(VALU_DEP_3)
	v_and_b32_e32 v9, 1, v9
	v_subrev_nc_u32_e32 v4, 32, v4
	s_mov_b32 s29, 0
	v_cmp_eq_u16_e32 vcc_lo, 0, v8
	v_dual_cndmask_b32 v6, 0, v6, vcc_lo :: v_dual_bitop2_b32 v8, 1, v48 bitop3:0x40
	s_delay_alu instid0(VALU_DEP_1) | instskip(NEXT) | instid1(VALU_DEP_2)
	v_cmp_eq_u32_e32 vcc_lo, 1, v8
	v_add_nc_u16 v6, v6, v49
	v_cndmask_b32_e64 v8, v9, 1, vcc_lo
.LBB272_176:                            ;   in Loop: Header=BB272_177 Depth=1
	s_and_b32 vcc_lo, exec_lo, s29
	s_cbranch_vccnz .LBB272_265
.LBB272_177:                            ; =>This Loop Header: Depth=1
                                        ;     Child Loop BB272_180 Depth 2
	v_and_b32_e32 v7, 0xff, v7
	s_wait_dscnt 0x0
	v_dual_mov_b32 v48, v8 :: v_dual_mov_b32 v49, v6
	s_mov_b32 s29, -1
                                        ; implicit-def: $vgpr8
	s_delay_alu instid0(VALU_DEP_2)
	v_cmp_ne_u16_e32 vcc_lo, 2, v7
                                        ; implicit-def: $vgpr6
	s_cmp_lg_u32 vcc_lo, exec_lo
	s_cbranch_scc1 .LBB272_176
; %bb.178:                              ;   in Loop: Header=BB272_177 Depth=1
	global_load_b64 v[6:7], v4, s[36:37] scale_offset scope:SCOPE_DEV
	s_mov_b32 s29, exec_lo
	s_wait_loadcnt 0x0
	v_and_b32_e32 v8, 0xff, v7
	s_wait_xcnt 0x0
	s_delay_alu instid0(VALU_DEP_1)
	v_cmpx_eq_u16_e32 0, v8
	s_cbranch_execz .LBB272_182
; %bb.179:                              ;   in Loop: Header=BB272_177 Depth=1
	v_lshl_add_u64 v[8:9], v[4:5], 3, s[36:37]
	s_mov_b32 s30, 0
.LBB272_180:                            ;   Parent Loop BB272_177 Depth=1
                                        ; =>  This Inner Loop Header: Depth=2
	global_load_b64 v[6:7], v[8:9], off scope:SCOPE_DEV
	s_wait_loadcnt 0x0
	v_and_b32_e32 v50, 0xff, v7
	s_delay_alu instid0(VALU_DEP_1)
	v_cmp_ne_u16_e32 vcc_lo, 0, v50
	s_or_b32 s30, vcc_lo, s30
	s_wait_xcnt 0x0
	s_and_not1_b32 exec_lo, exec_lo, s30
	s_cbranch_execnz .LBB272_180
; %bb.181:                              ;   in Loop: Header=BB272_177 Depth=1
	s_or_b32 exec_lo, exec_lo, s30
.LBB272_182:                            ;   in Loop: Header=BB272_177 Depth=1
	s_delay_alu instid0(SALU_CYCLE_1)
	s_or_b32 exec_lo, exec_lo, s29
	v_and_b32_e32 v51, 0xffffff, v6
	v_and_b32_e32 v8, 0xff, v7
	v_lshrrev_b32_e32 v9, 16, v6
	v_bfe_u32 v50, v6, 16, 8
	s_mov_b32 s29, exec_lo
	ds_bpermute_b32 v52, v1, v51
	v_cmp_eq_u16_e32 vcc_lo, 2, v8
	v_and_or_b32 v8, vcc_lo, v3, 0x80000000
	s_delay_alu instid0(VALU_DEP_1) | instskip(NEXT) | instid1(VALU_DEP_1)
	v_ctz_i32_b32_e32 v8, v8
	v_cmpx_lt_u32_e64 v35, v8
	s_cbranch_execz .LBB272_184
; %bb.183:                              ;   in Loop: Header=BB272_177 Depth=1
	v_and_b32_e32 v9, 0xff0000, v6
	s_delay_alu instid0(VALU_DEP_1) | instskip(SKIP_3) | instid1(VALU_DEP_1)
	v_and_b32_e32 v51, 0x10000, v9
	v_cmp_eq_u32_e32 vcc_lo, 0, v9
	s_wait_dscnt 0x0
	v_dual_lshrrev_b32 v50, 16, v52 :: v_dual_cndmask_b32 v52, 0, v52, vcc_lo
	v_and_b32_e32 v50, 1, v50
	v_cmp_ne_u32_e32 vcc_lo, 0, v51
	s_delay_alu instid0(VALU_DEP_3) | instskip(NEXT) | instid1(VALU_DEP_3)
	v_add_nc_u16 v6, v52, v6
	v_cndmask_b32_e64 v9, v50, 1, vcc_lo
	s_delay_alu instid0(VALU_DEP_2) | instskip(NEXT) | instid1(VALU_DEP_2)
	v_and_b32_e32 v51, 0xffff, v6
	v_lshlrev_b32_e32 v50, 16, v9
	s_delay_alu instid0(VALU_DEP_1)
	v_dual_mov_b32 v50, v9 :: v_dual_bitop2_b32 v51, v50, v51 bitop3:0x54
.LBB272_184:                            ;   in Loop: Header=BB272_177 Depth=1
	s_or_b32 exec_lo, exec_lo, s29
	s_wait_dscnt 0x0
	ds_bpermute_b32 v52, v36, v51
	s_mov_b32 s29, exec_lo
	v_cmpx_le_u32_e64 v37, v8
	s_cbranch_execz .LBB272_186
; %bb.185:                              ;   in Loop: Header=BB272_177 Depth=1
	v_cmp_eq_u16_e32 vcc_lo, 0, v50
	s_wait_dscnt 0x0
	v_dual_lshrrev_b32 v9, 16, v52 :: v_dual_bitop2_b32 v50, 1, v50 bitop3:0x40
	s_delay_alu instid0(VALU_DEP_1) | instskip(NEXT) | instid1(VALU_DEP_2)
	v_dual_cndmask_b32 v51, 0, v52, vcc_lo :: v_dual_bitop2_b32 v9, 1, v9 bitop3:0x40
	v_cmp_eq_u32_e32 vcc_lo, 1, v50
	s_delay_alu instid0(VALU_DEP_2) | instskip(NEXT) | instid1(VALU_DEP_3)
	v_add_nc_u16 v6, v51, v6
	v_cndmask_b32_e64 v9, v9, 1, vcc_lo
	s_delay_alu instid0(VALU_DEP_2) | instskip(NEXT) | instid1(VALU_DEP_2)
	v_and_b32_e32 v50, 0xffff, v6
	v_lshlrev_b32_e32 v51, 16, v9
	s_delay_alu instid0(VALU_DEP_1)
	v_dual_mov_b32 v50, v9 :: v_dual_bitop2_b32 v51, v51, v50 bitop3:0x54
.LBB272_186:                            ;   in Loop: Header=BB272_177 Depth=1
	s_or_b32 exec_lo, exec_lo, s29
	s_wait_dscnt 0x0
	ds_bpermute_b32 v52, v38, v51
	s_mov_b32 s29, exec_lo
	v_cmpx_le_u32_e64 v39, v8
	s_cbranch_execz .LBB272_188
; %bb.187:                              ;   in Loop: Header=BB272_177 Depth=1
	v_cmp_eq_u16_e32 vcc_lo, 0, v50
	s_wait_dscnt 0x0
	v_dual_lshrrev_b32 v9, 16, v52 :: v_dual_bitop2_b32 v50, 1, v50 bitop3:0x40
	s_delay_alu instid0(VALU_DEP_1) | instskip(NEXT) | instid1(VALU_DEP_2)
	v_dual_cndmask_b32 v51, 0, v52, vcc_lo :: v_dual_bitop2_b32 v9, 1, v9 bitop3:0x40
	v_cmp_eq_u32_e32 vcc_lo, 1, v50
	s_delay_alu instid0(VALU_DEP_2) | instskip(NEXT) | instid1(VALU_DEP_3)
	v_add_nc_u16 v6, v51, v6
	v_cndmask_b32_e64 v9, v9, 1, vcc_lo
	s_delay_alu instid0(VALU_DEP_2) | instskip(NEXT) | instid1(VALU_DEP_2)
	v_and_b32_e32 v50, 0xffff, v6
	v_lshlrev_b32_e32 v51, 16, v9
	s_delay_alu instid0(VALU_DEP_1)
	v_dual_mov_b32 v50, v9 :: v_dual_bitop2_b32 v51, v51, v50 bitop3:0x54
.LBB272_188:                            ;   in Loop: Header=BB272_177 Depth=1
	s_or_b32 exec_lo, exec_lo, s29
	s_wait_dscnt 0x0
	ds_bpermute_b32 v52, v40, v51
	s_mov_b32 s29, exec_lo
	v_cmpx_le_u32_e64 v41, v8
	s_cbranch_execz .LBB272_190
; %bb.189:                              ;   in Loop: Header=BB272_177 Depth=1
	v_cmp_eq_u16_e32 vcc_lo, 0, v50
	s_wait_dscnt 0x0
	v_dual_lshrrev_b32 v9, 16, v52 :: v_dual_bitop2_b32 v50, 1, v50 bitop3:0x40
	s_delay_alu instid0(VALU_DEP_1) | instskip(NEXT) | instid1(VALU_DEP_2)
	v_dual_cndmask_b32 v51, 0, v52, vcc_lo :: v_dual_bitop2_b32 v9, 1, v9 bitop3:0x40
	v_cmp_eq_u32_e32 vcc_lo, 1, v50
	s_delay_alu instid0(VALU_DEP_2) | instskip(NEXT) | instid1(VALU_DEP_3)
	v_add_nc_u16 v6, v51, v6
	v_cndmask_b32_e64 v9, v9, 1, vcc_lo
	s_delay_alu instid0(VALU_DEP_2) | instskip(NEXT) | instid1(VALU_DEP_2)
	v_and_b32_e32 v50, 0xffff, v6
	v_lshlrev_b32_e32 v51, 16, v9
	s_delay_alu instid0(VALU_DEP_1)
	v_dual_mov_b32 v50, v9 :: v_dual_bitop2_b32 v51, v51, v50 bitop3:0x54
.LBB272_190:                            ;   in Loop: Header=BB272_177 Depth=1
	s_or_b32 exec_lo, exec_lo, s29
	ds_bpermute_b32 v51, v42, v51
	s_mov_b32 s29, exec_lo
	v_cmpx_le_u32_e64 v47, v8
	s_cbranch_execz .LBB272_175
; %bb.191:                              ;   in Loop: Header=BB272_177 Depth=1
	v_cmp_eq_u16_e32 vcc_lo, 0, v50
	s_wait_dscnt 0x0
	v_dual_lshrrev_b32 v50, 16, v51 :: v_dual_bitop2_b32 v9, 1, v50 bitop3:0x40
	v_cndmask_b32_e32 v8, 0, v51, vcc_lo
	s_delay_alu instid0(VALU_DEP_2) | instskip(NEXT) | instid1(VALU_DEP_2)
	v_cmp_eq_u32_e32 vcc_lo, 1, v9
	v_add_nc_u16 v6, v8, v6
	s_delay_alu instid0(VALU_DEP_4)
	v_cndmask_b32_e64 v9, v50, 1, vcc_lo
	s_branch .LBB272_175
.LBB272_192:
                                        ; implicit-def: $vgpr47
                                        ; implicit-def: $vgpr1
                                        ; implicit-def: $vgpr4
                                        ; implicit-def: $vgpr5
                                        ; implicit-def: $vgpr6
                                        ; implicit-def: $vgpr7
                                        ; implicit-def: $vgpr8
                                        ; implicit-def: $vgpr12
                                        ; implicit-def: $vgpr9
                                        ; implicit-def: $vgpr13
                                        ; implicit-def: $vgpr14
                                        ; implicit-def: $vgpr15
                                        ; implicit-def: $vgpr35
                                        ; implicit-def: $vgpr36
                                        ; implicit-def: $vgpr37
                                        ; implicit-def: $vgpr39
                                        ; implicit-def: $vgpr38
                                        ; implicit-def: $vgpr40
                                        ; implicit-def: $vgpr41
                                        ; implicit-def: $vgpr42
	s_cbranch_execnz .LBB272_270
.LBB272_193:
	s_add_nc_u64 s[0:1], s[22:23], s[34:35]
	s_and_b32 vcc_lo, exec_lo, s33
	s_add_nc_u64 s[0:1], s[0:1], s[24:25]
	s_cbranch_vccz .LBB272_289
.LBB272_194:
	v_mul_u32_u24_e32 v2, 20, v0
	s_add_co_i32 s39, s39, s38
	s_mov_b32 s2, exec_lo
	s_delay_alu instid0(VALU_DEP_1)
	v_cmpx_gt_u32_e64 s39, v2
	s_cbranch_execz .LBB272_226
; %bb.195:
	v_or_b32_e32 v3, 1, v2
	s_mov_b32 s3, exec_lo
	s_delay_alu instid0(VALU_DEP_1)
	v_cmpx_gt_u32_e64 s39, v3
	s_cbranch_execz .LBB272_225
; %bb.196:
	v_or_b32_e32 v3, 2, v2
	;; [unrolled: 6-line block ×3, first 2 shown]
	s_mov_b32 s5, exec_lo
	s_delay_alu instid0(VALU_DEP_1)
	v_cmpx_gt_u32_e64 s39, v3
	s_cbranch_execz .LBB272_223
; %bb.198:
	v_add_nc_u32_e32 v3, 4, v2
	s_mov_b32 s6, exec_lo
	s_delay_alu instid0(VALU_DEP_1)
	v_cmpx_gt_u32_e64 s39, v3
	s_cbranch_execz .LBB272_222
; %bb.199:
	v_add_nc_u32_e32 v3, 5, v2
	;; [unrolled: 6-line block ×12, first 2 shown]
	s_mov_b32 s17, exec_lo
	s_delay_alu instid0(VALU_DEP_1)
	v_cmpx_gt_u32_e64 s39, v3
; %bb.210:
	v_add_nc_u32_e32 v3, 16, v2
	s_mov_b32 s18, exec_lo
	s_delay_alu instid0(VALU_DEP_1)
	v_cmpx_gt_u32_e64 s39, v3
	s_or_b32 exec_lo, exec_lo, s18
; %bb.211:
	s_delay_alu instid0(SALU_CYCLE_1)
	s_or_b32 exec_lo, exec_lo, s17
.LBB272_212:
	s_delay_alu instid0(SALU_CYCLE_1)
	s_or_b32 exec_lo, exec_lo, s16
.LBB272_213:
	s_delay_alu instid0(SALU_CYCLE_1)
	s_or_b32 exec_lo, exec_lo, s15
.LBB272_214:
	s_delay_alu instid0(SALU_CYCLE_1)
	s_or_b32 exec_lo, exec_lo, s14
.LBB272_215:
	s_delay_alu instid0(SALU_CYCLE_1)
	s_or_b32 exec_lo, exec_lo, s13
.LBB272_216:
	s_delay_alu instid0(SALU_CYCLE_1)
	s_or_b32 exec_lo, exec_lo, s12
.LBB272_217:
	s_delay_alu instid0(SALU_CYCLE_1)
	s_or_b32 exec_lo, exec_lo, s11
.LBB272_218:
	s_delay_alu instid0(SALU_CYCLE_1)
	s_or_b32 exec_lo, exec_lo, s10
.LBB272_219:
	s_delay_alu instid0(SALU_CYCLE_1)
	s_or_b32 exec_lo, exec_lo, s9
.LBB272_220:
	s_delay_alu instid0(SALU_CYCLE_1)
	s_or_b32 exec_lo, exec_lo, s8
.LBB272_221:
	s_delay_alu instid0(SALU_CYCLE_1)
	s_or_b32 exec_lo, exec_lo, s7
.LBB272_222:
	s_delay_alu instid0(SALU_CYCLE_1)
	s_or_b32 exec_lo, exec_lo, s6
.LBB272_223:
	s_delay_alu instid0(SALU_CYCLE_1)
	s_or_b32 exec_lo, exec_lo, s5
.LBB272_224:
	s_delay_alu instid0(SALU_CYCLE_1)
	s_or_b32 exec_lo, exec_lo, s4
.LBB272_225:
	s_delay_alu instid0(SALU_CYCLE_1)
	s_or_b32 exec_lo, exec_lo, s3
.LBB272_226:
	s_delay_alu instid0(SALU_CYCLE_1)
	s_or_b32 exec_lo, exec_lo, s2
	v_dual_mov_b32 v11, 0 :: v_dual_lshlrev_b32 v32, 1, v2
	v_perm_b32 v3, v12, v8, 0x5040100
	v_perm_b32 v2, v7, v6, 0x5040100
	;; [unrolled: 1-line block ×10, first 2 shown]
	s_wait_storecnt 0x0
	s_barrier_signal -1
	s_barrier_wait -1
	ds_store_2addr_b64 v32, v[16:17], v[2:3] offset1:1
	ds_store_2addr_b64 v32, v[20:21], v[18:19] offset0:2 offset1:3
	ds_store_b64 v32, v[22:23] offset:32
	v_mad_i32_i24 v2, 0xffffffda, v0, v32
	s_wait_dscnt 0x0
	s_barrier_signal -1
	s_barrier_wait -1
	ds_load_u16 v43, v2 offset:512
	ds_load_u16 v34, v2 offset:1024
	;; [unrolled: 1-line block ×19, first 2 shown]
	v_add_nc_u64_e32 v[2:3], s[0:1], v[10:11]
	s_mov_b32 s2, exec_lo
	v_cmpx_gt_u32_e64 s39, v0
	s_cbranch_execz .LBB272_228
; %bb.227:
	v_mul_i32_i24_e32 v10, 0xffffffda, v0
	s_delay_alu instid0(VALU_DEP_1)
	v_add_nc_u32_e32 v10, v32, v10
	ds_load_u16 v10, v10
	s_wait_dscnt 0x0
	flat_store_b16 v[2:3], v10
.LBB272_228:
	s_wait_xcnt 0x0
	s_or_b32 exec_lo, exec_lo, s2
	v_or_b32_e32 v10, 0x100, v0
	s_mov_b32 s2, exec_lo
	s_delay_alu instid0(VALU_DEP_1)
	v_cmpx_gt_u32_e64 s39, v10
	s_cbranch_execz .LBB272_230
; %bb.229:
	s_wait_dscnt 0x12
	flat_store_b16 v[2:3], v43 offset:512
.LBB272_230:
	s_wait_xcnt 0x0
	s_or_b32 exec_lo, exec_lo, s2
	v_or_b32_e32 v10, 0x200, v0
	s_mov_b32 s2, exec_lo
	s_delay_alu instid0(VALU_DEP_1)
	v_cmpx_gt_u32_e64 s39, v10
	s_cbranch_execz .LBB272_232
; %bb.231:
	s_wait_dscnt 0x11
	flat_store_b16 v[2:3], v34 offset:1024
.LBB272_232:
	;; [unrolled: 11-line block ×18, first 2 shown]
	s_wait_xcnt 0x0
	s_or_b32 exec_lo, exec_lo, s2
	v_or_b32_e32 v2, 0x1300, v0
	s_delay_alu instid0(VALU_DEP_1)
	v_cmp_gt_u32_e64 s2, s39, v2
	s_branch .LBB272_291
.LBB272_265:
	s_and_saveexec_b32 s29, s21
	s_cbranch_execz .LBB272_267
; %bb.266:
	v_and_b32_e32 v1, 0xff0000, v2
	v_and_b32_e32 v4, 0x10000, v2
	s_delay_alu instid0(VALU_DEP_2) | instskip(SKIP_1) | instid1(VALU_DEP_3)
	v_cmp_eq_u32_e32 vcc_lo, 0, v1
	v_dual_cndmask_b32 v1, 0, v49, vcc_lo :: v_dual_bitop2_b32 v3, 1, v48 bitop3:0x40
	v_cmp_eq_u32_e32 vcc_lo, 0, v4
	s_delay_alu instid0(VALU_DEP_2) | instskip(NEXT) | instid1(VALU_DEP_1)
	v_add_nc_u16 v1, v1, v2
	v_and_b32_e32 v1, 0xffff, v1
	s_delay_alu instid0(VALU_DEP_4) | instskip(NEXT) | instid1(VALU_DEP_1)
	v_lshlrev_b32_e32 v3, 16, v3
	v_dual_cndmask_b32 v2, 0x10000, v3 :: v_dual_mov_b32 v3, 2
	s_delay_alu instid0(VALU_DEP_1)
	v_or_b32_e32 v2, v2, v1
	global_store_b64 v15, v[2:3], s[36:37] scale_offset scope:SCOPE_DEV
.LBB272_267:
	s_wait_xcnt 0x0
	s_or_b32 exec_lo, exec_lo, s29
	s_delay_alu instid0(SALU_CYCLE_1)
	s_and_b32 exec_lo, exec_lo, s2
	s_cbranch_execz .LBB272_269
; %bb.268:
	v_mov_b32_e32 v1, 0
	ds_store_b16 v1, v49
	ds_store_b8 v1, v48 offset:2
.LBB272_269:
	s_or_b32 exec_lo, exec_lo, s28
	v_and_b32_e32 v2, 0x10000, v31
	s_wait_storecnt_dscnt 0x0
	s_barrier_signal -1
	s_barrier_wait -1
	s_delay_alu instid0(VALU_DEP_1)
	v_cmp_ne_u32_e32 vcc_lo, 0, v2
	v_cndmask_b32_e64 v2, v14, 1, vcc_lo
	v_cmp_gt_u32_e32 vcc_lo, 0x10000, v31
	v_dual_mov_b32 v1, 0 :: v_dual_cndmask_b32 v3, 0, v13, vcc_lo
	ds_load_b32 v1, v1
	v_cndmask_b32_e64 v2, v2, v12, s2
	v_cndmask_b32_e64 v3, v3, 0, s2
	s_delay_alu instid0(VALU_DEP_2) | instskip(NEXT) | instid1(VALU_DEP_2)
	v_and_b32_e32 v2, 0xff, v2
	v_add_nc_u16 v3, v3, v31
	s_delay_alu instid0(VALU_DEP_2) | instskip(SKIP_2) | instid1(VALU_DEP_1)
	v_cmp_eq_u16_e32 vcc_lo, 0, v2
	s_wait_dscnt 0x0
	v_cndmask_b32_e32 v1, 0, v1, vcc_lo
	v_add_nc_u16 v2, v3, v1
	s_delay_alu instid0(VALU_DEP_1) | instskip(SKIP_1) | instid1(VALU_DEP_2)
	v_cndmask_b32_e64 v1, 0, v2, s20
	v_and_b32_e32 v47, 0xffff, v2
	v_add_nc_u16 v1, v1, v34
	s_delay_alu instid0(VALU_DEP_1) | instskip(NEXT) | instid1(VALU_DEP_1)
	v_cndmask_b32_e64 v3, 0, v1, s19
	v_add_nc_u16 v4, v3, v33
	s_delay_alu instid0(VALU_DEP_1) | instskip(NEXT) | instid1(VALU_DEP_1)
	v_cndmask_b32_e64 v3, 0, v4, s18
	v_add_nc_u16 v5, v3, v32
	s_delay_alu instid0(VALU_DEP_1) | instskip(NEXT) | instid1(VALU_DEP_1)
	v_cndmask_b32_e64 v3, 0, v5, s17
	v_add_nc_u16 v6, v3, v30
	s_delay_alu instid0(VALU_DEP_1) | instskip(NEXT) | instid1(VALU_DEP_1)
	v_cndmask_b32_e64 v3, 0, v6, s16
	v_add_nc_u16 v7, v3, v29
	s_delay_alu instid0(VALU_DEP_1) | instskip(NEXT) | instid1(VALU_DEP_1)
	v_cndmask_b32_e64 v3, 0, v7, s15
	v_add_nc_u16 v8, v3, v28
	s_delay_alu instid0(VALU_DEP_1) | instskip(NEXT) | instid1(VALU_DEP_1)
	v_cndmask_b32_e64 v3, 0, v8, s14
	v_add_nc_u16 v12, v3, v27
	s_delay_alu instid0(VALU_DEP_1) | instskip(NEXT) | instid1(VALU_DEP_1)
	v_cndmask_b32_e64 v3, 0, v12, s12
	v_add_nc_u16 v9, v3, v26
	s_delay_alu instid0(VALU_DEP_1) | instskip(NEXT) | instid1(VALU_DEP_1)
	v_cndmask_b32_e64 v3, 0, v9, s13
	v_add_nc_u16 v13, v3, v25
	s_delay_alu instid0(VALU_DEP_1) | instskip(NEXT) | instid1(VALU_DEP_1)
	v_cndmask_b32_e64 v3, 0, v13, s11
	v_add_nc_u16 v14, v3, v24
	s_delay_alu instid0(VALU_DEP_1) | instskip(NEXT) | instid1(VALU_DEP_1)
	v_cndmask_b32_e64 v3, 0, v14, s10
	v_add_nc_u16 v15, v3, v23
	s_delay_alu instid0(VALU_DEP_1) | instskip(NEXT) | instid1(VALU_DEP_1)
	v_cndmask_b32_e64 v3, 0, v15, s9
	v_add_nc_u16 v35, v3, v22
	s_delay_alu instid0(VALU_DEP_1) | instskip(NEXT) | instid1(VALU_DEP_1)
	v_cndmask_b32_e64 v3, 0, v35, s8
	v_add_nc_u16 v36, v3, v21
	s_delay_alu instid0(VALU_DEP_1) | instskip(NEXT) | instid1(VALU_DEP_1)
	v_cndmask_b32_e64 v3, 0, v36, s7
	v_add_nc_u16 v37, v3, v20
	s_delay_alu instid0(VALU_DEP_1) | instskip(NEXT) | instid1(VALU_DEP_1)
	v_cndmask_b32_e64 v3, 0, v37, s6
	v_add_nc_u16 v39, v3, v19
	s_delay_alu instid0(VALU_DEP_1) | instskip(NEXT) | instid1(VALU_DEP_1)
	v_cndmask_b32_e64 v3, 0, v39, s4
	v_add_nc_u16 v38, v3, v18
	s_delay_alu instid0(VALU_DEP_1) | instskip(NEXT) | instid1(VALU_DEP_1)
	v_cndmask_b32_e64 v3, 0, v38, s5
	v_add_nc_u16 v40, v3, v17
	s_delay_alu instid0(VALU_DEP_1) | instskip(NEXT) | instid1(VALU_DEP_1)
	v_cndmask_b32_e64 v3, 0, v40, s1
	v_add_nc_u16 v41, v3, v16
	s_delay_alu instid0(VALU_DEP_1) | instskip(NEXT) | instid1(VALU_DEP_1)
	v_cndmask_b32_e64 v3, 0, v41, s0
	v_add_nc_u16 v42, v3, v11
	s_branch .LBB272_193
.LBB272_270:
	s_cmp_lg_u64 s[40:41], 0
	s_cselect_b32 s0, -1, 0
	s_cmp_lg_u64 s[26:27], 0
	s_cselect_b32 s1, -1, 0
	s_delay_alu instid0(SALU_CYCLE_1) | instskip(NEXT) | instid1(SALU_CYCLE_1)
	s_and_b32 s0, s0, s1
	s_and_b32 s1, s2, s0
	s_delay_alu instid0(SALU_CYCLE_1)
	s_and_saveexec_b32 s0, s1
	s_cbranch_execz .LBB272_272
; %bb.271:
	v_mov_b32_e32 v1, 0
	v_cmp_gt_u32_e32 vcc_lo, 0x10000, v31
	s_clause 0x1
	global_load_u16 v2, v1, s[26:27]
	global_load_u8 v3, v1, s[26:27] offset:2
	s_wait_loadcnt 0x0
	v_dual_cndmask_b32 v1, 0, v2, vcc_lo :: v_dual_bitop2_b32 v2, 1, v3 bitop3:0x40
	v_and_b32_e32 v3, 0x10000, v31
	s_delay_alu instid0(VALU_DEP_2) | instskip(NEXT) | instid1(VALU_DEP_3)
	v_lshlrev_b32_e32 v2, 16, v2
	v_add_nc_u16 v1, v1, v31
	s_delay_alu instid0(VALU_DEP_3) | instskip(NEXT) | instid1(VALU_DEP_2)
	v_cmp_eq_u32_e32 vcc_lo, 0, v3
	v_and_b32_e32 v1, 0xffff, v1
	s_delay_alu instid0(VALU_DEP_4) | instskip(NEXT) | instid1(VALU_DEP_1)
	v_cndmask_b32_e32 v2, 0x10000, v2, vcc_lo
	v_or_b32_e32 v31, v2, v1
.LBB272_272:
	s_or_b32 exec_lo, exec_lo, s0
	v_cmp_gt_u32_e32 vcc_lo, 0x10000, v34
	v_cmp_gt_u32_e64 s1, 0x10000, v32
	v_cmp_gt_u32_e64 s0, 0x10000, v33
	;; [unrolled: 1-line block ×4, first 2 shown]
	v_cndmask_b32_e32 v1, 0, v31, vcc_lo
	v_cmp_gt_u32_e64 s5, 0x10000, v29
	v_cmp_gt_u32_e64 s6, 0x10000, v28
	;; [unrolled: 1-line block ×4, first 2 shown]
	v_add_nc_u16 v1, v1, v34
	v_cmp_gt_u32_e64 s8, 0x10000, v26
	v_cmp_gt_u32_e64 s9, 0x10000, v25
	;; [unrolled: 1-line block ×4, first 2 shown]
	v_cndmask_b32_e64 v2, 0, v1, s0
	v_cmp_gt_u32_e64 s12, 0x10000, v22
	v_cmp_gt_u32_e64 s13, 0x10000, v21
	;; [unrolled: 1-line block ×4, first 2 shown]
	v_add_nc_u16 v4, v2, v33
	v_cmp_gt_u32_e64 s16, 0x10000, v18
	v_cmp_gt_u32_e64 s17, 0x10000, v17
	v_or3_b32 v3, v44, v30, v32
	s_mov_b32 s21, exec_lo
	v_dual_cndmask_b32 v2, 0, v4, s1 :: v_dual_bitop2_b32 v42, 28, v45 bitop3:0x40
	s_delay_alu instid0(VALU_DEP_2) | instskip(NEXT) | instid1(VALU_DEP_2)
	v_or3_b32 v3, v3, v33, v34
	v_add_nc_u16 v5, v2, v32
	s_delay_alu instid0(VALU_DEP_3) | instskip(NEXT) | instid1(VALU_DEP_2)
	v_lshl_add_u32 v44, v0, 2, v42
	v_cndmask_b32_e64 v2, 0, v5, s4
	s_delay_alu instid0(VALU_DEP_1) | instskip(NEXT) | instid1(VALU_DEP_1)
	v_add_nc_u16 v6, v2, v30
	v_cndmask_b32_e64 v2, 0, v6, s5
	s_delay_alu instid0(VALU_DEP_1) | instskip(NEXT) | instid1(VALU_DEP_1)
	v_add_nc_u16 v7, v2, v29
	;; [unrolled: 3-line block ×13, first 2 shown]
	v_cndmask_b32_e64 v2, 0, v38, s17
	s_delay_alu instid0(VALU_DEP_1) | instskip(SKIP_1) | instid1(VALU_DEP_2)
	v_add_nc_u16 v40, v2, v17
	v_or3_b32 v2, v46, v22, v23
	v_cndmask_b32_e64 v41, 0, v40, s18
	s_delay_alu instid0(VALU_DEP_2) | instskip(NEXT) | instid1(VALU_DEP_2)
	v_or3_b32 v2, v2, v24, v25
	v_add_nc_u16 v41, v41, v16
	s_delay_alu instid0(VALU_DEP_2) | instskip(NEXT) | instid1(VALU_DEP_2)
	v_or3_b32 v2, v11, v43, v2
	v_cndmask_b32_e64 v43, 0, v41, s19
	s_delay_alu instid0(VALU_DEP_2) | instskip(SKIP_1) | instid1(VALU_DEP_3)
	v_bitop3_b32 v2, v2, 0xff0000, v3 bitop3:0xc8
	v_lshrrev_b32_e32 v3, 16, v31
	v_add_nc_u16 v42, v43, v11
	s_delay_alu instid0(VALU_DEP_3) | instskip(NEXT) | instid1(VALU_DEP_1)
	v_cmp_eq_u32_e64 s20, 0, v2
	v_cndmask_b32_e64 v3, 1, v3, s20
	ds_store_b16 v44, v42
	ds_store_b8 v44, v3 offset:2
	s_wait_dscnt 0x0
	s_barrier_signal -1
	s_barrier_wait -1
	v_cmpx_gt_u32_e32 32, v0
	s_cbranch_execz .LBB272_284
; %bb.273:
	v_and_b32_e32 v2, 0xfc, v0
	v_lshlrev_b32_e32 v43, 5, v0
	s_mov_b32 s26, exec_lo
	s_delay_alu instid0(VALU_DEP_1)
	v_add_nc_u32_e32 v2, v2, v43
	ds_load_u8 v44, v2 offset:6
	ds_load_b32 v43, v2
	ds_load_u16 v45, v2 offset:4
	ds_load_u8 v46, v2 offset:10
	ds_load_u16 v47, v2 offset:8
	ds_load_u16 v48, v2 offset:12
	ds_load_u8 v49, v2 offset:14
	ds_load_u16 v50, v2 offset:16
	s_wait_dscnt 0x7
	v_cmp_eq_u16_e64 s20, 0, v44
	s_wait_dscnt 0x4
	s_delay_alu instid0(VALU_DEP_1) | instskip(SKIP_1) | instid1(VALU_DEP_2)
	v_dual_cndmask_b32 v51, 0, v43, s20 :: v_dual_bitop2_b32 v44, v46, v44 bitop3:0x54
	v_cmp_eq_u16_e64 s20, 0, v46
	v_add_nc_u16 v45, v51, v45
	ds_load_u8 v51, v2 offset:18
	v_cndmask_b32_e64 v45, 0, v45, s20
	s_wait_dscnt 0x2
	v_cmp_eq_u16_e64 s20, 0, v49
	s_delay_alu instid0(VALU_DEP_2) | instskip(SKIP_2) | instid1(VALU_DEP_1)
	v_add_nc_u16 v45, v45, v47
	ds_load_u8 v47, v2 offset:22
	v_cndmask_b32_e64 v45, 0, v45, s20
	v_add_nc_u16 v45, v45, v48
	ds_load_u16 v48, v2 offset:20
	ds_load_u16 v52, v2 offset:24
	ds_load_u8 v53, v2 offset:26
	ds_load_u16 v54, v2 offset:28
	ds_load_u8 v55, v2 offset:30
	s_wait_dscnt 0x6
	v_cmp_eq_u16_e64 s20, 0, v51
	v_bitop3_b16 v46, v44, v51, v49 bitop3:0xfe
	v_and_b32_e32 v44, 0x10000, v43
	s_delay_alu instid0(VALU_DEP_3)
	v_cndmask_b32_e64 v45, 0, v45, s20
	s_wait_dscnt 0x5
	v_cmp_eq_u16_e64 s20, 0, v47
	s_wait_dscnt 0x2
	v_bitop3_b16 v46, v46, v53, v47 bitop3:0xfe
	s_wait_dscnt 0x0
	v_and_b32_e32 v47, 1, v55
	v_add_nc_u16 v45, v45, v50
	s_delay_alu instid0(VALU_DEP_1) | instskip(SKIP_1) | instid1(VALU_DEP_2)
	v_cndmask_b32_e64 v45, 0, v45, s20
	v_cmp_eq_u16_e64 s20, 0, v53
	v_add_nc_u16 v45, v45, v48
	s_delay_alu instid0(VALU_DEP_1) | instskip(SKIP_1) | instid1(VALU_DEP_2)
	v_cndmask_b32_e64 v45, 0, v45, s20
	v_cmp_eq_u16_e64 s20, 0, v55
	;; [unrolled: 4-line block ×3, first 2 shown]
	v_add_nc_u16 v46, v45, v54
	s_delay_alu instid0(VALU_DEP_2) | instskip(SKIP_4) | instid1(VALU_DEP_4)
	v_cndmask_b32_e64 v48, 0x10000, v44, s20
	v_cmp_eq_u32_e64 s20, 1, v47
	v_and_b32_e32 v45, 0xff000000, v43
	v_mbcnt_lo_u32_b32 v47, -1, 0
	v_and_b32_e32 v49, 0xffff, v46
	v_cndmask_b32_e64 v48, v48, 0x10000, s20
	s_delay_alu instid0(VALU_DEP_1) | instskip(NEXT) | instid1(VALU_DEP_3)
	v_or_b32_e32 v50, v48, v45
	v_or3_b32 v51, v45, v49, v48
	s_delay_alu instid0(VALU_DEP_2) | instskip(NEXT) | instid1(VALU_DEP_2)
	v_dual_lshrrev_b32 v49, 16, v50 :: v_dual_bitop2_b32 v48, 15, v47 bitop3:0x40
	v_mov_b32_dpp v52, v51 row_shr:1 row_mask:0xf bank_mask:0xf
	s_delay_alu instid0(VALU_DEP_2)
	v_cmpx_ne_u32_e32 0, v48
	s_cbranch_execz .LBB272_275
; %bb.274:
	s_delay_alu instid0(VALU_DEP_2) | instskip(SKIP_1) | instid1(VALU_DEP_2)
	v_dual_lshrrev_b32 v49, 16, v50 :: v_dual_lshrrev_b32 v51, 16, v52
	v_and_b32_e32 v50, 0x10000, v50
	v_and_b32_e32 v49, 0xff, v49
	s_delay_alu instid0(VALU_DEP_1) | instskip(NEXT) | instid1(VALU_DEP_1)
	v_cmp_eq_u16_e64 s20, 0, v49
	v_dual_cndmask_b32 v52, 0, v52, s20 :: v_dual_bitop2_b32 v51, 1, v51 bitop3:0x40
	s_delay_alu instid0(VALU_DEP_4) | instskip(NEXT) | instid1(VALU_DEP_2)
	v_cmp_ne_u32_e64 s20, 0, v50
	v_add_nc_u16 v46, v52, v46
	s_delay_alu instid0(VALU_DEP_2) | instskip(NEXT) | instid1(VALU_DEP_2)
	v_cndmask_b32_e64 v49, v51, 1, s20
	v_and_b32_e32 v51, 0xffff, v46
	s_delay_alu instid0(VALU_DEP_2) | instskip(NEXT) | instid1(VALU_DEP_1)
	v_lshlrev_b32_e32 v50, 16, v49
	v_or3_b32 v51, v50, v51, v45
.LBB272_275:
	s_or_b32 exec_lo, exec_lo, s26
	s_delay_alu instid0(VALU_DEP_1)
	v_lshrrev_b32_e32 v50, 16, v51
	v_mov_b32_dpp v52, v51 row_shr:2 row_mask:0xf bank_mask:0xf
	s_mov_b32 s26, exec_lo
	v_cmpx_lt_u32_e32 1, v48
	s_cbranch_execz .LBB272_277
; %bb.276:
	v_and_b32_e32 v50, 0xff, v50
	v_and_b32_e32 v51, 0x10000, v51
	s_delay_alu instid0(VALU_DEP_2) | instskip(NEXT) | instid1(VALU_DEP_1)
	v_cmp_eq_u16_e64 s20, 0, v50
	v_dual_lshrrev_b32 v49, 16, v52 :: v_dual_cndmask_b32 v50, 0, v52, s20
	s_delay_alu instid0(VALU_DEP_1) | instskip(NEXT) | instid1(VALU_DEP_4)
	v_and_b32_e32 v49, 1, v49
	v_cmp_ne_u32_e64 s20, 0, v51
	s_delay_alu instid0(VALU_DEP_3) | instskip(NEXT) | instid1(VALU_DEP_2)
	v_add_nc_u16 v46, v50, v46
	v_cndmask_b32_e64 v49, v49, 1, s20
	s_delay_alu instid0(VALU_DEP_2) | instskip(NEXT) | instid1(VALU_DEP_2)
	v_and_b32_e32 v51, 0xffff, v46
	v_lshlrev_b32_e32 v50, 16, v49
	s_delay_alu instid0(VALU_DEP_1)
	v_or3_b32 v51, v50, v51, v45
	v_mov_b32_e32 v50, v49
.LBB272_277:
	s_or_b32 exec_lo, exec_lo, s26
	s_delay_alu instid0(VALU_DEP_2)
	v_mov_b32_dpp v52, v51 row_shr:4 row_mask:0xf bank_mask:0xf
	s_mov_b32 s26, exec_lo
	v_cmpx_lt_u32_e32 3, v48
	s_cbranch_execz .LBB272_279
; %bb.278:
	v_and_b32_e32 v51, 0xff, v50
	v_dual_lshrrev_b32 v49, 16, v52 :: v_dual_bitop2_b32 v50, 1, v50 bitop3:0x40
	s_delay_alu instid0(VALU_DEP_2) | instskip(NEXT) | instid1(VALU_DEP_1)
	v_cmp_eq_u16_e64 s20, 0, v51
	v_dual_cndmask_b32 v51, 0, v52, s20 :: v_dual_bitop2_b32 v49, 1, v49 bitop3:0x40
	s_delay_alu instid0(VALU_DEP_3) | instskip(NEXT) | instid1(VALU_DEP_2)
	v_cmp_eq_u32_e64 s20, 1, v50
	v_add_nc_u16 v46, v51, v46
	s_delay_alu instid0(VALU_DEP_2) | instskip(NEXT) | instid1(VALU_DEP_2)
	v_cndmask_b32_e64 v49, v49, 1, s20
	v_and_b32_e32 v51, 0xffff, v46
	s_delay_alu instid0(VALU_DEP_2) | instskip(NEXT) | instid1(VALU_DEP_1)
	v_lshlrev_b32_e32 v50, 16, v49
	v_or3_b32 v51, v50, v51, v45
	v_mov_b32_e32 v50, v49
.LBB272_279:
	s_or_b32 exec_lo, exec_lo, s26
	s_delay_alu instid0(VALU_DEP_2)
	v_mov_b32_dpp v52, v51 row_shr:8 row_mask:0xf bank_mask:0xf
	s_mov_b32 s26, exec_lo
	v_cmpx_lt_u32_e32 7, v48
	s_cbranch_execz .LBB272_281
; %bb.280:
	v_and_b32_e32 v49, 0xff, v50
	v_dual_lshrrev_b32 v48, 16, v52 :: v_dual_bitop2_b32 v50, 1, v50 bitop3:0x40
	s_delay_alu instid0(VALU_DEP_2) | instskip(NEXT) | instid1(VALU_DEP_2)
	v_cmp_eq_u16_e64 s20, 0, v49
	v_and_b32_e32 v48, 1, v48
	s_delay_alu instid0(VALU_DEP_2) | instskip(NEXT) | instid1(VALU_DEP_4)
	v_cndmask_b32_e64 v51, 0, v52, s20
	v_cmp_eq_u32_e64 s20, 1, v50
	s_delay_alu instid0(VALU_DEP_1) | instskip(NEXT) | instid1(VALU_DEP_1)
	v_cndmask_b32_e64 v49, v48, 1, s20
	v_lshlrev_b32_e32 v48, 16, v49
	s_delay_alu instid0(VALU_DEP_4) | instskip(NEXT) | instid1(VALU_DEP_1)
	v_add_nc_u16 v46, v51, v46
	v_and_b32_e32 v50, 0xffff, v46
	s_delay_alu instid0(VALU_DEP_1)
	v_or3_b32 v51, v48, v50, v45
	v_mov_b32_e32 v50, v49
.LBB272_281:
	s_or_b32 exec_lo, exec_lo, s26
	ds_swizzle_b32 v48, v51 offset:swizzle(BROADCAST,32,15)
	v_and_b32_e32 v51, 16, v47
	s_mov_b32 s26, exec_lo
	s_delay_alu instid0(VALU_DEP_1)
	v_cmpx_ne_u32_e32 0, v51
	s_cbranch_execz .LBB272_283
; %bb.282:
	v_and_b32_e32 v49, 0xff, v50
	s_delay_alu instid0(VALU_DEP_1) | instskip(SKIP_2) | instid1(VALU_DEP_1)
	v_cmp_eq_u16_e64 s20, 0, v49
	s_wait_dscnt 0x0
	v_dual_lshrrev_b32 v51, 16, v48 :: v_dual_bitop2_b32 v49, 1, v50 bitop3:0x40
	v_dual_cndmask_b32 v48, 0, v48, s20 :: v_dual_bitop2_b32 v50, 1, v51 bitop3:0x40
	s_delay_alu instid0(VALU_DEP_2) | instskip(NEXT) | instid1(VALU_DEP_2)
	v_cmp_eq_u32_e64 s20, 1, v49
	v_add_nc_u16 v46, v48, v46
	s_delay_alu instid0(VALU_DEP_2)
	v_cndmask_b32_e64 v49, v50, 1, s20
.LBB272_283:
	s_or_b32 exec_lo, exec_lo, s26
	s_wait_dscnt 0x0
	s_delay_alu instid0(VALU_DEP_1) | instskip(SKIP_2) | instid1(VALU_DEP_3)
	v_and_b32_e32 v48, 0xff, v49
	v_add_nc_u32_e32 v49, -1, v47
	v_and_b32_e32 v46, 0xffff, v46
	; wave barrier
	v_lshlrev_b32_e32 v48, 16, v48
	s_delay_alu instid0(VALU_DEP_3) | instskip(NEXT) | instid1(VALU_DEP_2)
	v_cmp_gt_i32_e64 s20, 0, v49
	v_or3_b32 v45, v48, v46, v45
	s_delay_alu instid0(VALU_DEP_2) | instskip(NEXT) | instid1(VALU_DEP_1)
	v_cndmask_b32_e64 v47, v49, v47, s20
	v_lshlrev_b32_e32 v46, 2, v47
	ds_bpermute_b32 v45, v46, v45
	v_and_b32_e32 v46, 0xff0000, v43
	s_delay_alu instid0(VALU_DEP_1) | instskip(SKIP_1) | instid1(VALU_DEP_1)
	v_cmp_eq_u32_e64 s20, 0, v46
	s_wait_dscnt 0x0
	v_dual_lshrrev_b32 v47, 16, v45 :: v_dual_cndmask_b32 v45, 0, v45, s20
	v_cmp_eq_u32_e64 s20, 0, v44
	s_delay_alu instid0(VALU_DEP_2) | instskip(NEXT) | instid1(VALU_DEP_1)
	v_add_nc_u16 v43, v45, v43
	v_dual_cndmask_b32 v43, v43, v42, s2 :: v_dual_bitop2_b32 v46, 1, v47 bitop3:0x40
	s_delay_alu instid0(VALU_DEP_1) | instskip(NEXT) | instid1(VALU_DEP_1)
	v_cndmask_b32_e64 v44, 1, v46, s20
	v_cndmask_b32_e64 v3, v44, v3, s2
	ds_store_b16 v2, v43
	ds_store_b8 v2, v3 offset:2
	; wave barrier
	ds_load_u8 v44, v2 offset:6
	ds_load_u16 v45, v2 offset:4
	ds_load_u8 v46, v2 offset:10
	ds_load_u16 v47, v2 offset:8
	ds_load_u16 v48, v2 offset:12
	ds_load_u8 v49, v2 offset:14
	ds_load_u16 v50, v2 offset:16
	ds_load_u8 v51, v2 offset:18
	s_wait_dscnt 0x7
	v_cmp_eq_u16_e64 s20, 0, v44
	s_delay_alu instid0(VALU_DEP_1) | instskip(SKIP_3) | instid1(VALU_DEP_3)
	v_dual_cndmask_b32 v43, 0, v43, s20 :: v_dual_bitop2_b32 v44, 1, v44 bitop3:0x40
	s_wait_dscnt 0x5
	v_cmp_eq_u16_e64 s20, 0, v46
	v_and_b32_e32 v46, 1, v46
	v_add_nc_u16 v43, v43, v45
	s_delay_alu instid0(VALU_DEP_1) | instskip(SKIP_2) | instid1(VALU_DEP_2)
	v_cndmask_b32_e64 v45, 0, v43, s20
	s_wait_dscnt 0x2
	v_cmp_eq_u16_e64 s20, 0, v49
	v_add_nc_u16 v45, v45, v47
	ds_load_u8 v47, v2 offset:22
	ds_load_u16 v53, v2 offset:20
	ds_load_u8 v54, v2 offset:26
	ds_load_u8 v55, v2 offset:30
	v_cndmask_b32_e64 v52, 0, v45, s20
	v_cmp_eq_u32_e64 s20, 1, v44
	v_and_b32_e32 v44, 1, v49
	s_delay_alu instid0(VALU_DEP_3) | instskip(NEXT) | instid1(VALU_DEP_3)
	v_add_nc_u16 v48, v52, v48
	v_cndmask_b32_e64 v3, v3, 1, s20
	s_wait_dscnt 0x4
	v_cmp_eq_u16_e64 s20, 0, v51
	ds_load_u16 v52, v2 offset:24
	ds_load_u16 v56, v2 offset:28
	v_cndmask_b32_e64 v49, 0, v48, s20
	v_cmp_eq_u32_e64 s20, 1, v46
	s_delay_alu instid0(VALU_DEP_2) | instskip(NEXT) | instid1(VALU_DEP_2)
	v_add_nc_u16 v49, v49, v50
	v_cndmask_b32_e64 v46, v3, 1, s20
	v_cmp_eq_u32_e64 s20, 1, v44
	v_and_b32_e32 v50, 1, v51
	s_wait_dscnt 0x2
	v_and_b32_e32 v57, 1, v55
	s_delay_alu instid0(VALU_DEP_3) | instskip(SKIP_1) | instid1(VALU_DEP_1)
	v_cndmask_b32_e64 v44, v46, 1, s20
	v_cmp_eq_u16_e64 s20, 0, v47
	v_dual_cndmask_b32 v51, 0, v49, s20 :: v_dual_bitop2_b32 v47, 1, v47 bitop3:0x40
	v_cmp_eq_u32_e64 s20, 1, v50
	s_delay_alu instid0(VALU_DEP_2) | instskip(NEXT) | instid1(VALU_DEP_2)
	v_add_nc_u16 v51, v51, v53
	v_cndmask_b32_e64 v50, v44, 1, s20
	s_delay_alu instid0(VALU_DEP_4)
	v_cmp_eq_u32_e64 s20, 1, v47
	v_and_b32_e32 v53, 1, v54
	ds_store_b16 v2, v43 offset:4
	ds_store_b8 v2, v3 offset:6
	ds_store_b16 v2, v45 offset:8
	ds_store_b8 v2, v46 offset:10
	;; [unrolled: 2-line block ×4, first 2 shown]
	v_cndmask_b32_e64 v47, v50, 1, s20
	v_cmp_eq_u16_e64 s20, 0, v54
	s_delay_alu instid0(VALU_DEP_1) | instskip(SKIP_2) | instid1(VALU_DEP_2)
	v_cndmask_b32_e64 v54, 0, v51, s20
	v_cmp_eq_u32_e64 s20, 1, v53
	s_wait_dscnt 0x9
	v_add_nc_u16 v52, v54, v52
	s_delay_alu instid0(VALU_DEP_2) | instskip(SKIP_1) | instid1(VALU_DEP_1)
	v_cndmask_b32_e64 v53, v47, 1, s20
	v_cmp_eq_u32_e64 s20, 1, v57
	v_cndmask_b32_e64 v54, v53, 1, s20
	v_cmp_eq_u16_e64 s20, 0, v55
	s_delay_alu instid0(VALU_DEP_1) | instskip(SKIP_1) | instid1(VALU_DEP_1)
	v_cndmask_b32_e64 v55, 0, v52, s20
	s_wait_dscnt 0x8
	v_add_nc_u16 v3, v55, v56
	ds_store_b16 v2, v51 offset:20
	ds_store_b8 v2, v47 offset:22
	ds_store_b16 v2, v52 offset:24
	ds_store_b8 v2, v53 offset:26
	;; [unrolled: 2-line block ×3, first 2 shown]
.LBB272_284:
	s_or_b32 exec_lo, exec_lo, s21
	s_wait_dscnt 0x0
	s_barrier_signal -1
	s_barrier_wait -1
	s_and_saveexec_b32 s20, s3
	s_cbranch_execz .LBB272_286
; %bb.285:
	v_add_nc_u32_e32 v1, -1, v0
	v_cmp_gt_u32_e64 s3, 0x10000, v31
	s_delay_alu instid0(VALU_DEP_2) | instskip(NEXT) | instid1(VALU_DEP_1)
	v_lshrrev_b32_e32 v2, 3, v1
	v_and_b32_e32 v2, 0x1ffffffc, v2
	s_delay_alu instid0(VALU_DEP_1) | instskip(SKIP_4) | instid1(VALU_DEP_1)
	v_lshl_add_u32 v1, v1, 2, v2
	ds_load_u16 v1, v1
	;;#ASMSTART
	;;#ASMEND
	s_wait_dscnt 0x0
	v_cndmask_b32_e64 v1, 0, v1, s3
	v_add_nc_u32_e32 v31, v1, v31
	s_delay_alu instid0(VALU_DEP_1) | instskip(NEXT) | instid1(VALU_DEP_1)
	v_cndmask_b32_e32 v1, 0, v31, vcc_lo
	v_add_nc_u16 v1, v1, v34
	s_delay_alu instid0(VALU_DEP_1) | instskip(NEXT) | instid1(VALU_DEP_1)
	v_cndmask_b32_e64 v2, 0, v1, s0
	v_add_nc_u16 v4, v2, v33
	s_delay_alu instid0(VALU_DEP_1) | instskip(NEXT) | instid1(VALU_DEP_1)
	v_cndmask_b32_e64 v2, 0, v4, s1
	;; [unrolled: 3-line block ×18, first 2 shown]
	v_add_nc_u16 v42, v2, v11
.LBB272_286:
	s_or_b32 exec_lo, exec_lo, s20
	s_and_saveexec_b32 s0, s2
	s_cbranch_execz .LBB272_288
; %bb.287:
	v_mov_b32_e32 v11, 0
	ds_load_u8 v2, v11 offset:1050
	ds_load_u16 v3, v11 offset:1048
	s_wait_dscnt 0x1
	v_lshlrev_b32_e32 v2, 16, v2
	s_wait_dscnt 0x0
	v_and_b32_e32 v3, 0xffff, v3
	s_delay_alu instid0(VALU_DEP_1)
	v_dual_mov_b32 v3, 2 :: v_dual_bitop2_b32 v2, v2, v3 bitop3:0x54
	global_store_b64 v11, v[2:3], s[36:37] offset:256 scope:SCOPE_DEV
.LBB272_288:
	s_wait_xcnt 0x0
	s_or_b32 exec_lo, exec_lo, s0
	v_mov_b32_e32 v47, v31
	s_add_nc_u64 s[0:1], s[22:23], s[34:35]
	s_and_b32 vcc_lo, exec_lo, s33
	s_add_nc_u64 s[0:1], s[0:1], s[24:25]
	s_cbranch_vccnz .LBB272_194
.LBB272_289:
	s_mov_b32 s2, 0
                                        ; implicit-def: $vgpr16
	s_cbranch_execz .LBB272_291
; %bb.290:
	v_perm_b32 v5, v5, v4, 0x5040100
	v_perm_b32 v4, v1, v47, 0x5040100
	v_mul_i32_i24_e32 v1, 0xffffffda, v0
	s_wait_dscnt 0x0
	v_mul_u32_u24_e32 v16, 40, v0
	v_perm_b32 v3, v12, v8, 0x5040100
	v_perm_b32 v2, v7, v6, 0x5040100
	;; [unrolled: 1-line block ×3, first 2 shown]
	v_mad_u32_u24 v1, v0, 40, v1
	v_perm_b32 v6, v36, v35, 0x5040100
	v_perm_b32 v11, v15, v14, 0x5040100
	;; [unrolled: 1-line block ×5, first 2 shown]
	s_wait_storecnt 0x0
	s_barrier_signal -1
	s_barrier_wait -1
	ds_store_2addr_b64 v16, v[4:5], v[2:3] offset1:1
	ds_store_2addr_b64 v16, v[10:11], v[6:7] offset0:2 offset1:3
	ds_store_b64 v16, v[8:9] offset:32
	s_wait_dscnt 0x0
	s_barrier_signal -1
	s_barrier_wait -1
	ds_load_u16 v2, v1
	ds_load_u16 v3, v1 offset:512
	ds_load_u16 v4, v1 offset:1024
	;; [unrolled: 1-line block ×19, first 2 shown]
	s_or_b32 s2, s2, exec_lo
	s_wait_dscnt 0x13
	flat_store_b16 v0, v2, s[0:1] scale_offset
	s_wait_dscnt 0x13
	flat_store_b16 v0, v3, s[0:1] offset:512 scale_offset
	s_wait_dscnt 0x13
	flat_store_b16 v0, v4, s[0:1] offset:1024 scale_offset
	;; [unrolled: 2-line block ×18, first 2 shown]
.LBB272_291:
	s_wait_xcnt 0x0
	s_delay_alu instid0(VALU_DEP_1)
	s_and_saveexec_b32 s3, s2
	s_cbranch_execnz .LBB272_293
; %bb.292:
	s_endpgm
.LBB272_293:
	s_wait_dscnt 0x0
	flat_store_b16 v0, v16, s[0:1] offset:9728 scale_offset
	s_endpgm
	.section	.rodata,"a",@progbits
	.p2align	6, 0x0
	.amdhsa_kernel _ZN7rocprim17ROCPRIM_400000_NS6detail17trampoline_kernelINS0_14default_configENS1_27scan_by_key_config_selectorIssEEZZNS1_16scan_by_key_implILNS1_25lookback_scan_determinismE0ELb0ES3_N6thrust23THRUST_200600_302600_NS6detail15normal_iteratorINS9_10device_ptrIsEEEESE_SE_sNS9_4plusIvEENS9_8equal_toIvEEsEE10hipError_tPvRmT2_T3_T4_T5_mT6_T7_P12ihipStream_tbENKUlT_T0_E_clISt17integral_constantIbLb0EESY_IbLb1EEEEDaSU_SV_EUlSU_E_NS1_11comp_targetILNS1_3genE0ELNS1_11target_archE4294967295ELNS1_3gpuE0ELNS1_3repE0EEENS1_30default_config_static_selectorELNS0_4arch9wavefront6targetE0EEEvT1_
		.amdhsa_group_segment_fixed_size 11264
		.amdhsa_private_segment_fixed_size 0
		.amdhsa_kernarg_size 112
		.amdhsa_user_sgpr_count 2
		.amdhsa_user_sgpr_dispatch_ptr 0
		.amdhsa_user_sgpr_queue_ptr 0
		.amdhsa_user_sgpr_kernarg_segment_ptr 1
		.amdhsa_user_sgpr_dispatch_id 0
		.amdhsa_user_sgpr_kernarg_preload_length 0
		.amdhsa_user_sgpr_kernarg_preload_offset 0
		.amdhsa_user_sgpr_private_segment_size 0
		.amdhsa_wavefront_size32 1
		.amdhsa_uses_dynamic_stack 0
		.amdhsa_enable_private_segment 0
		.amdhsa_system_sgpr_workgroup_id_x 1
		.amdhsa_system_sgpr_workgroup_id_y 0
		.amdhsa_system_sgpr_workgroup_id_z 0
		.amdhsa_system_sgpr_workgroup_info 0
		.amdhsa_system_vgpr_workitem_id 0
		.amdhsa_next_free_vgpr 58
		.amdhsa_next_free_sgpr 51
		.amdhsa_named_barrier_count 0
		.amdhsa_reserve_vcc 1
		.amdhsa_float_round_mode_32 0
		.amdhsa_float_round_mode_16_64 0
		.amdhsa_float_denorm_mode_32 3
		.amdhsa_float_denorm_mode_16_64 3
		.amdhsa_fp16_overflow 0
		.amdhsa_memory_ordered 1
		.amdhsa_forward_progress 1
		.amdhsa_inst_pref_size 148
		.amdhsa_round_robin_scheduling 0
		.amdhsa_exception_fp_ieee_invalid_op 0
		.amdhsa_exception_fp_denorm_src 0
		.amdhsa_exception_fp_ieee_div_zero 0
		.amdhsa_exception_fp_ieee_overflow 0
		.amdhsa_exception_fp_ieee_underflow 0
		.amdhsa_exception_fp_ieee_inexact 0
		.amdhsa_exception_int_div_zero 0
	.end_amdhsa_kernel
	.section	.text._ZN7rocprim17ROCPRIM_400000_NS6detail17trampoline_kernelINS0_14default_configENS1_27scan_by_key_config_selectorIssEEZZNS1_16scan_by_key_implILNS1_25lookback_scan_determinismE0ELb0ES3_N6thrust23THRUST_200600_302600_NS6detail15normal_iteratorINS9_10device_ptrIsEEEESE_SE_sNS9_4plusIvEENS9_8equal_toIvEEsEE10hipError_tPvRmT2_T3_T4_T5_mT6_T7_P12ihipStream_tbENKUlT_T0_E_clISt17integral_constantIbLb0EESY_IbLb1EEEEDaSU_SV_EUlSU_E_NS1_11comp_targetILNS1_3genE0ELNS1_11target_archE4294967295ELNS1_3gpuE0ELNS1_3repE0EEENS1_30default_config_static_selectorELNS0_4arch9wavefront6targetE0EEEvT1_,"axG",@progbits,_ZN7rocprim17ROCPRIM_400000_NS6detail17trampoline_kernelINS0_14default_configENS1_27scan_by_key_config_selectorIssEEZZNS1_16scan_by_key_implILNS1_25lookback_scan_determinismE0ELb0ES3_N6thrust23THRUST_200600_302600_NS6detail15normal_iteratorINS9_10device_ptrIsEEEESE_SE_sNS9_4plusIvEENS9_8equal_toIvEEsEE10hipError_tPvRmT2_T3_T4_T5_mT6_T7_P12ihipStream_tbENKUlT_T0_E_clISt17integral_constantIbLb0EESY_IbLb1EEEEDaSU_SV_EUlSU_E_NS1_11comp_targetILNS1_3genE0ELNS1_11target_archE4294967295ELNS1_3gpuE0ELNS1_3repE0EEENS1_30default_config_static_selectorELNS0_4arch9wavefront6targetE0EEEvT1_,comdat
.Lfunc_end272:
	.size	_ZN7rocprim17ROCPRIM_400000_NS6detail17trampoline_kernelINS0_14default_configENS1_27scan_by_key_config_selectorIssEEZZNS1_16scan_by_key_implILNS1_25lookback_scan_determinismE0ELb0ES3_N6thrust23THRUST_200600_302600_NS6detail15normal_iteratorINS9_10device_ptrIsEEEESE_SE_sNS9_4plusIvEENS9_8equal_toIvEEsEE10hipError_tPvRmT2_T3_T4_T5_mT6_T7_P12ihipStream_tbENKUlT_T0_E_clISt17integral_constantIbLb0EESY_IbLb1EEEEDaSU_SV_EUlSU_E_NS1_11comp_targetILNS1_3genE0ELNS1_11target_archE4294967295ELNS1_3gpuE0ELNS1_3repE0EEENS1_30default_config_static_selectorELNS0_4arch9wavefront6targetE0EEEvT1_, .Lfunc_end272-_ZN7rocprim17ROCPRIM_400000_NS6detail17trampoline_kernelINS0_14default_configENS1_27scan_by_key_config_selectorIssEEZZNS1_16scan_by_key_implILNS1_25lookback_scan_determinismE0ELb0ES3_N6thrust23THRUST_200600_302600_NS6detail15normal_iteratorINS9_10device_ptrIsEEEESE_SE_sNS9_4plusIvEENS9_8equal_toIvEEsEE10hipError_tPvRmT2_T3_T4_T5_mT6_T7_P12ihipStream_tbENKUlT_T0_E_clISt17integral_constantIbLb0EESY_IbLb1EEEEDaSU_SV_EUlSU_E_NS1_11comp_targetILNS1_3genE0ELNS1_11target_archE4294967295ELNS1_3gpuE0ELNS1_3repE0EEENS1_30default_config_static_selectorELNS0_4arch9wavefront6targetE0EEEvT1_
                                        ; -- End function
	.set _ZN7rocprim17ROCPRIM_400000_NS6detail17trampoline_kernelINS0_14default_configENS1_27scan_by_key_config_selectorIssEEZZNS1_16scan_by_key_implILNS1_25lookback_scan_determinismE0ELb0ES3_N6thrust23THRUST_200600_302600_NS6detail15normal_iteratorINS9_10device_ptrIsEEEESE_SE_sNS9_4plusIvEENS9_8equal_toIvEEsEE10hipError_tPvRmT2_T3_T4_T5_mT6_T7_P12ihipStream_tbENKUlT_T0_E_clISt17integral_constantIbLb0EESY_IbLb1EEEEDaSU_SV_EUlSU_E_NS1_11comp_targetILNS1_3genE0ELNS1_11target_archE4294967295ELNS1_3gpuE0ELNS1_3repE0EEENS1_30default_config_static_selectorELNS0_4arch9wavefront6targetE0EEEvT1_.num_vgpr, 58
	.set _ZN7rocprim17ROCPRIM_400000_NS6detail17trampoline_kernelINS0_14default_configENS1_27scan_by_key_config_selectorIssEEZZNS1_16scan_by_key_implILNS1_25lookback_scan_determinismE0ELb0ES3_N6thrust23THRUST_200600_302600_NS6detail15normal_iteratorINS9_10device_ptrIsEEEESE_SE_sNS9_4plusIvEENS9_8equal_toIvEEsEE10hipError_tPvRmT2_T3_T4_T5_mT6_T7_P12ihipStream_tbENKUlT_T0_E_clISt17integral_constantIbLb0EESY_IbLb1EEEEDaSU_SV_EUlSU_E_NS1_11comp_targetILNS1_3genE0ELNS1_11target_archE4294967295ELNS1_3gpuE0ELNS1_3repE0EEENS1_30default_config_static_selectorELNS0_4arch9wavefront6targetE0EEEvT1_.num_agpr, 0
	.set _ZN7rocprim17ROCPRIM_400000_NS6detail17trampoline_kernelINS0_14default_configENS1_27scan_by_key_config_selectorIssEEZZNS1_16scan_by_key_implILNS1_25lookback_scan_determinismE0ELb0ES3_N6thrust23THRUST_200600_302600_NS6detail15normal_iteratorINS9_10device_ptrIsEEEESE_SE_sNS9_4plusIvEENS9_8equal_toIvEEsEE10hipError_tPvRmT2_T3_T4_T5_mT6_T7_P12ihipStream_tbENKUlT_T0_E_clISt17integral_constantIbLb0EESY_IbLb1EEEEDaSU_SV_EUlSU_E_NS1_11comp_targetILNS1_3genE0ELNS1_11target_archE4294967295ELNS1_3gpuE0ELNS1_3repE0EEENS1_30default_config_static_selectorELNS0_4arch9wavefront6targetE0EEEvT1_.numbered_sgpr, 51
	.set _ZN7rocprim17ROCPRIM_400000_NS6detail17trampoline_kernelINS0_14default_configENS1_27scan_by_key_config_selectorIssEEZZNS1_16scan_by_key_implILNS1_25lookback_scan_determinismE0ELb0ES3_N6thrust23THRUST_200600_302600_NS6detail15normal_iteratorINS9_10device_ptrIsEEEESE_SE_sNS9_4plusIvEENS9_8equal_toIvEEsEE10hipError_tPvRmT2_T3_T4_T5_mT6_T7_P12ihipStream_tbENKUlT_T0_E_clISt17integral_constantIbLb0EESY_IbLb1EEEEDaSU_SV_EUlSU_E_NS1_11comp_targetILNS1_3genE0ELNS1_11target_archE4294967295ELNS1_3gpuE0ELNS1_3repE0EEENS1_30default_config_static_selectorELNS0_4arch9wavefront6targetE0EEEvT1_.num_named_barrier, 0
	.set _ZN7rocprim17ROCPRIM_400000_NS6detail17trampoline_kernelINS0_14default_configENS1_27scan_by_key_config_selectorIssEEZZNS1_16scan_by_key_implILNS1_25lookback_scan_determinismE0ELb0ES3_N6thrust23THRUST_200600_302600_NS6detail15normal_iteratorINS9_10device_ptrIsEEEESE_SE_sNS9_4plusIvEENS9_8equal_toIvEEsEE10hipError_tPvRmT2_T3_T4_T5_mT6_T7_P12ihipStream_tbENKUlT_T0_E_clISt17integral_constantIbLb0EESY_IbLb1EEEEDaSU_SV_EUlSU_E_NS1_11comp_targetILNS1_3genE0ELNS1_11target_archE4294967295ELNS1_3gpuE0ELNS1_3repE0EEENS1_30default_config_static_selectorELNS0_4arch9wavefront6targetE0EEEvT1_.private_seg_size, 0
	.set _ZN7rocprim17ROCPRIM_400000_NS6detail17trampoline_kernelINS0_14default_configENS1_27scan_by_key_config_selectorIssEEZZNS1_16scan_by_key_implILNS1_25lookback_scan_determinismE0ELb0ES3_N6thrust23THRUST_200600_302600_NS6detail15normal_iteratorINS9_10device_ptrIsEEEESE_SE_sNS9_4plusIvEENS9_8equal_toIvEEsEE10hipError_tPvRmT2_T3_T4_T5_mT6_T7_P12ihipStream_tbENKUlT_T0_E_clISt17integral_constantIbLb0EESY_IbLb1EEEEDaSU_SV_EUlSU_E_NS1_11comp_targetILNS1_3genE0ELNS1_11target_archE4294967295ELNS1_3gpuE0ELNS1_3repE0EEENS1_30default_config_static_selectorELNS0_4arch9wavefront6targetE0EEEvT1_.uses_vcc, 1
	.set _ZN7rocprim17ROCPRIM_400000_NS6detail17trampoline_kernelINS0_14default_configENS1_27scan_by_key_config_selectorIssEEZZNS1_16scan_by_key_implILNS1_25lookback_scan_determinismE0ELb0ES3_N6thrust23THRUST_200600_302600_NS6detail15normal_iteratorINS9_10device_ptrIsEEEESE_SE_sNS9_4plusIvEENS9_8equal_toIvEEsEE10hipError_tPvRmT2_T3_T4_T5_mT6_T7_P12ihipStream_tbENKUlT_T0_E_clISt17integral_constantIbLb0EESY_IbLb1EEEEDaSU_SV_EUlSU_E_NS1_11comp_targetILNS1_3genE0ELNS1_11target_archE4294967295ELNS1_3gpuE0ELNS1_3repE0EEENS1_30default_config_static_selectorELNS0_4arch9wavefront6targetE0EEEvT1_.uses_flat_scratch, 1
	.set _ZN7rocprim17ROCPRIM_400000_NS6detail17trampoline_kernelINS0_14default_configENS1_27scan_by_key_config_selectorIssEEZZNS1_16scan_by_key_implILNS1_25lookback_scan_determinismE0ELb0ES3_N6thrust23THRUST_200600_302600_NS6detail15normal_iteratorINS9_10device_ptrIsEEEESE_SE_sNS9_4plusIvEENS9_8equal_toIvEEsEE10hipError_tPvRmT2_T3_T4_T5_mT6_T7_P12ihipStream_tbENKUlT_T0_E_clISt17integral_constantIbLb0EESY_IbLb1EEEEDaSU_SV_EUlSU_E_NS1_11comp_targetILNS1_3genE0ELNS1_11target_archE4294967295ELNS1_3gpuE0ELNS1_3repE0EEENS1_30default_config_static_selectorELNS0_4arch9wavefront6targetE0EEEvT1_.has_dyn_sized_stack, 0
	.set _ZN7rocprim17ROCPRIM_400000_NS6detail17trampoline_kernelINS0_14default_configENS1_27scan_by_key_config_selectorIssEEZZNS1_16scan_by_key_implILNS1_25lookback_scan_determinismE0ELb0ES3_N6thrust23THRUST_200600_302600_NS6detail15normal_iteratorINS9_10device_ptrIsEEEESE_SE_sNS9_4plusIvEENS9_8equal_toIvEEsEE10hipError_tPvRmT2_T3_T4_T5_mT6_T7_P12ihipStream_tbENKUlT_T0_E_clISt17integral_constantIbLb0EESY_IbLb1EEEEDaSU_SV_EUlSU_E_NS1_11comp_targetILNS1_3genE0ELNS1_11target_archE4294967295ELNS1_3gpuE0ELNS1_3repE0EEENS1_30default_config_static_selectorELNS0_4arch9wavefront6targetE0EEEvT1_.has_recursion, 0
	.set _ZN7rocprim17ROCPRIM_400000_NS6detail17trampoline_kernelINS0_14default_configENS1_27scan_by_key_config_selectorIssEEZZNS1_16scan_by_key_implILNS1_25lookback_scan_determinismE0ELb0ES3_N6thrust23THRUST_200600_302600_NS6detail15normal_iteratorINS9_10device_ptrIsEEEESE_SE_sNS9_4plusIvEENS9_8equal_toIvEEsEE10hipError_tPvRmT2_T3_T4_T5_mT6_T7_P12ihipStream_tbENKUlT_T0_E_clISt17integral_constantIbLb0EESY_IbLb1EEEEDaSU_SV_EUlSU_E_NS1_11comp_targetILNS1_3genE0ELNS1_11target_archE4294967295ELNS1_3gpuE0ELNS1_3repE0EEENS1_30default_config_static_selectorELNS0_4arch9wavefront6targetE0EEEvT1_.has_indirect_call, 0
	.section	.AMDGPU.csdata,"",@progbits
; Kernel info:
; codeLenInByte = 18836
; TotalNumSgprs: 53
; NumVgprs: 58
; ScratchSize: 0
; MemoryBound: 0
; FloatMode: 240
; IeeeMode: 1
; LDSByteSize: 11264 bytes/workgroup (compile time only)
; SGPRBlocks: 0
; VGPRBlocks: 3
; NumSGPRsForWavesPerEU: 53
; NumVGPRsForWavesPerEU: 58
; NamedBarCnt: 0
; Occupancy: 16
; WaveLimiterHint : 1
; COMPUTE_PGM_RSRC2:SCRATCH_EN: 0
; COMPUTE_PGM_RSRC2:USER_SGPR: 2
; COMPUTE_PGM_RSRC2:TRAP_HANDLER: 0
; COMPUTE_PGM_RSRC2:TGID_X_EN: 1
; COMPUTE_PGM_RSRC2:TGID_Y_EN: 0
; COMPUTE_PGM_RSRC2:TGID_Z_EN: 0
; COMPUTE_PGM_RSRC2:TIDIG_COMP_CNT: 0
	.section	.text._ZN7rocprim17ROCPRIM_400000_NS6detail17trampoline_kernelINS0_14default_configENS1_27scan_by_key_config_selectorIssEEZZNS1_16scan_by_key_implILNS1_25lookback_scan_determinismE0ELb0ES3_N6thrust23THRUST_200600_302600_NS6detail15normal_iteratorINS9_10device_ptrIsEEEESE_SE_sNS9_4plusIvEENS9_8equal_toIvEEsEE10hipError_tPvRmT2_T3_T4_T5_mT6_T7_P12ihipStream_tbENKUlT_T0_E_clISt17integral_constantIbLb0EESY_IbLb1EEEEDaSU_SV_EUlSU_E_NS1_11comp_targetILNS1_3genE10ELNS1_11target_archE1201ELNS1_3gpuE5ELNS1_3repE0EEENS1_30default_config_static_selectorELNS0_4arch9wavefront6targetE0EEEvT1_,"axG",@progbits,_ZN7rocprim17ROCPRIM_400000_NS6detail17trampoline_kernelINS0_14default_configENS1_27scan_by_key_config_selectorIssEEZZNS1_16scan_by_key_implILNS1_25lookback_scan_determinismE0ELb0ES3_N6thrust23THRUST_200600_302600_NS6detail15normal_iteratorINS9_10device_ptrIsEEEESE_SE_sNS9_4plusIvEENS9_8equal_toIvEEsEE10hipError_tPvRmT2_T3_T4_T5_mT6_T7_P12ihipStream_tbENKUlT_T0_E_clISt17integral_constantIbLb0EESY_IbLb1EEEEDaSU_SV_EUlSU_E_NS1_11comp_targetILNS1_3genE10ELNS1_11target_archE1201ELNS1_3gpuE5ELNS1_3repE0EEENS1_30default_config_static_selectorELNS0_4arch9wavefront6targetE0EEEvT1_,comdat
	.protected	_ZN7rocprim17ROCPRIM_400000_NS6detail17trampoline_kernelINS0_14default_configENS1_27scan_by_key_config_selectorIssEEZZNS1_16scan_by_key_implILNS1_25lookback_scan_determinismE0ELb0ES3_N6thrust23THRUST_200600_302600_NS6detail15normal_iteratorINS9_10device_ptrIsEEEESE_SE_sNS9_4plusIvEENS9_8equal_toIvEEsEE10hipError_tPvRmT2_T3_T4_T5_mT6_T7_P12ihipStream_tbENKUlT_T0_E_clISt17integral_constantIbLb0EESY_IbLb1EEEEDaSU_SV_EUlSU_E_NS1_11comp_targetILNS1_3genE10ELNS1_11target_archE1201ELNS1_3gpuE5ELNS1_3repE0EEENS1_30default_config_static_selectorELNS0_4arch9wavefront6targetE0EEEvT1_ ; -- Begin function _ZN7rocprim17ROCPRIM_400000_NS6detail17trampoline_kernelINS0_14default_configENS1_27scan_by_key_config_selectorIssEEZZNS1_16scan_by_key_implILNS1_25lookback_scan_determinismE0ELb0ES3_N6thrust23THRUST_200600_302600_NS6detail15normal_iteratorINS9_10device_ptrIsEEEESE_SE_sNS9_4plusIvEENS9_8equal_toIvEEsEE10hipError_tPvRmT2_T3_T4_T5_mT6_T7_P12ihipStream_tbENKUlT_T0_E_clISt17integral_constantIbLb0EESY_IbLb1EEEEDaSU_SV_EUlSU_E_NS1_11comp_targetILNS1_3genE10ELNS1_11target_archE1201ELNS1_3gpuE5ELNS1_3repE0EEENS1_30default_config_static_selectorELNS0_4arch9wavefront6targetE0EEEvT1_
	.globl	_ZN7rocprim17ROCPRIM_400000_NS6detail17trampoline_kernelINS0_14default_configENS1_27scan_by_key_config_selectorIssEEZZNS1_16scan_by_key_implILNS1_25lookback_scan_determinismE0ELb0ES3_N6thrust23THRUST_200600_302600_NS6detail15normal_iteratorINS9_10device_ptrIsEEEESE_SE_sNS9_4plusIvEENS9_8equal_toIvEEsEE10hipError_tPvRmT2_T3_T4_T5_mT6_T7_P12ihipStream_tbENKUlT_T0_E_clISt17integral_constantIbLb0EESY_IbLb1EEEEDaSU_SV_EUlSU_E_NS1_11comp_targetILNS1_3genE10ELNS1_11target_archE1201ELNS1_3gpuE5ELNS1_3repE0EEENS1_30default_config_static_selectorELNS0_4arch9wavefront6targetE0EEEvT1_
	.p2align	8
	.type	_ZN7rocprim17ROCPRIM_400000_NS6detail17trampoline_kernelINS0_14default_configENS1_27scan_by_key_config_selectorIssEEZZNS1_16scan_by_key_implILNS1_25lookback_scan_determinismE0ELb0ES3_N6thrust23THRUST_200600_302600_NS6detail15normal_iteratorINS9_10device_ptrIsEEEESE_SE_sNS9_4plusIvEENS9_8equal_toIvEEsEE10hipError_tPvRmT2_T3_T4_T5_mT6_T7_P12ihipStream_tbENKUlT_T0_E_clISt17integral_constantIbLb0EESY_IbLb1EEEEDaSU_SV_EUlSU_E_NS1_11comp_targetILNS1_3genE10ELNS1_11target_archE1201ELNS1_3gpuE5ELNS1_3repE0EEENS1_30default_config_static_selectorELNS0_4arch9wavefront6targetE0EEEvT1_,@function
_ZN7rocprim17ROCPRIM_400000_NS6detail17trampoline_kernelINS0_14default_configENS1_27scan_by_key_config_selectorIssEEZZNS1_16scan_by_key_implILNS1_25lookback_scan_determinismE0ELb0ES3_N6thrust23THRUST_200600_302600_NS6detail15normal_iteratorINS9_10device_ptrIsEEEESE_SE_sNS9_4plusIvEENS9_8equal_toIvEEsEE10hipError_tPvRmT2_T3_T4_T5_mT6_T7_P12ihipStream_tbENKUlT_T0_E_clISt17integral_constantIbLb0EESY_IbLb1EEEEDaSU_SV_EUlSU_E_NS1_11comp_targetILNS1_3genE10ELNS1_11target_archE1201ELNS1_3gpuE5ELNS1_3repE0EEENS1_30default_config_static_selectorELNS0_4arch9wavefront6targetE0EEEvT1_: ; @_ZN7rocprim17ROCPRIM_400000_NS6detail17trampoline_kernelINS0_14default_configENS1_27scan_by_key_config_selectorIssEEZZNS1_16scan_by_key_implILNS1_25lookback_scan_determinismE0ELb0ES3_N6thrust23THRUST_200600_302600_NS6detail15normal_iteratorINS9_10device_ptrIsEEEESE_SE_sNS9_4plusIvEENS9_8equal_toIvEEsEE10hipError_tPvRmT2_T3_T4_T5_mT6_T7_P12ihipStream_tbENKUlT_T0_E_clISt17integral_constantIbLb0EESY_IbLb1EEEEDaSU_SV_EUlSU_E_NS1_11comp_targetILNS1_3genE10ELNS1_11target_archE1201ELNS1_3gpuE5ELNS1_3repE0EEENS1_30default_config_static_selectorELNS0_4arch9wavefront6targetE0EEEvT1_
; %bb.0:
	.section	.rodata,"a",@progbits
	.p2align	6, 0x0
	.amdhsa_kernel _ZN7rocprim17ROCPRIM_400000_NS6detail17trampoline_kernelINS0_14default_configENS1_27scan_by_key_config_selectorIssEEZZNS1_16scan_by_key_implILNS1_25lookback_scan_determinismE0ELb0ES3_N6thrust23THRUST_200600_302600_NS6detail15normal_iteratorINS9_10device_ptrIsEEEESE_SE_sNS9_4plusIvEENS9_8equal_toIvEEsEE10hipError_tPvRmT2_T3_T4_T5_mT6_T7_P12ihipStream_tbENKUlT_T0_E_clISt17integral_constantIbLb0EESY_IbLb1EEEEDaSU_SV_EUlSU_E_NS1_11comp_targetILNS1_3genE10ELNS1_11target_archE1201ELNS1_3gpuE5ELNS1_3repE0EEENS1_30default_config_static_selectorELNS0_4arch9wavefront6targetE0EEEvT1_
		.amdhsa_group_segment_fixed_size 0
		.amdhsa_private_segment_fixed_size 0
		.amdhsa_kernarg_size 112
		.amdhsa_user_sgpr_count 2
		.amdhsa_user_sgpr_dispatch_ptr 0
		.amdhsa_user_sgpr_queue_ptr 0
		.amdhsa_user_sgpr_kernarg_segment_ptr 1
		.amdhsa_user_sgpr_dispatch_id 0
		.amdhsa_user_sgpr_kernarg_preload_length 0
		.amdhsa_user_sgpr_kernarg_preload_offset 0
		.amdhsa_user_sgpr_private_segment_size 0
		.amdhsa_wavefront_size32 1
		.amdhsa_uses_dynamic_stack 0
		.amdhsa_enable_private_segment 0
		.amdhsa_system_sgpr_workgroup_id_x 1
		.amdhsa_system_sgpr_workgroup_id_y 0
		.amdhsa_system_sgpr_workgroup_id_z 0
		.amdhsa_system_sgpr_workgroup_info 0
		.amdhsa_system_vgpr_workitem_id 0
		.amdhsa_next_free_vgpr 1
		.amdhsa_next_free_sgpr 1
		.amdhsa_named_barrier_count 0
		.amdhsa_reserve_vcc 0
		.amdhsa_float_round_mode_32 0
		.amdhsa_float_round_mode_16_64 0
		.amdhsa_float_denorm_mode_32 3
		.amdhsa_float_denorm_mode_16_64 3
		.amdhsa_fp16_overflow 0
		.amdhsa_memory_ordered 1
		.amdhsa_forward_progress 1
		.amdhsa_inst_pref_size 0
		.amdhsa_round_robin_scheduling 0
		.amdhsa_exception_fp_ieee_invalid_op 0
		.amdhsa_exception_fp_denorm_src 0
		.amdhsa_exception_fp_ieee_div_zero 0
		.amdhsa_exception_fp_ieee_overflow 0
		.amdhsa_exception_fp_ieee_underflow 0
		.amdhsa_exception_fp_ieee_inexact 0
		.amdhsa_exception_int_div_zero 0
	.end_amdhsa_kernel
	.section	.text._ZN7rocprim17ROCPRIM_400000_NS6detail17trampoline_kernelINS0_14default_configENS1_27scan_by_key_config_selectorIssEEZZNS1_16scan_by_key_implILNS1_25lookback_scan_determinismE0ELb0ES3_N6thrust23THRUST_200600_302600_NS6detail15normal_iteratorINS9_10device_ptrIsEEEESE_SE_sNS9_4plusIvEENS9_8equal_toIvEEsEE10hipError_tPvRmT2_T3_T4_T5_mT6_T7_P12ihipStream_tbENKUlT_T0_E_clISt17integral_constantIbLb0EESY_IbLb1EEEEDaSU_SV_EUlSU_E_NS1_11comp_targetILNS1_3genE10ELNS1_11target_archE1201ELNS1_3gpuE5ELNS1_3repE0EEENS1_30default_config_static_selectorELNS0_4arch9wavefront6targetE0EEEvT1_,"axG",@progbits,_ZN7rocprim17ROCPRIM_400000_NS6detail17trampoline_kernelINS0_14default_configENS1_27scan_by_key_config_selectorIssEEZZNS1_16scan_by_key_implILNS1_25lookback_scan_determinismE0ELb0ES3_N6thrust23THRUST_200600_302600_NS6detail15normal_iteratorINS9_10device_ptrIsEEEESE_SE_sNS9_4plusIvEENS9_8equal_toIvEEsEE10hipError_tPvRmT2_T3_T4_T5_mT6_T7_P12ihipStream_tbENKUlT_T0_E_clISt17integral_constantIbLb0EESY_IbLb1EEEEDaSU_SV_EUlSU_E_NS1_11comp_targetILNS1_3genE10ELNS1_11target_archE1201ELNS1_3gpuE5ELNS1_3repE0EEENS1_30default_config_static_selectorELNS0_4arch9wavefront6targetE0EEEvT1_,comdat
.Lfunc_end273:
	.size	_ZN7rocprim17ROCPRIM_400000_NS6detail17trampoline_kernelINS0_14default_configENS1_27scan_by_key_config_selectorIssEEZZNS1_16scan_by_key_implILNS1_25lookback_scan_determinismE0ELb0ES3_N6thrust23THRUST_200600_302600_NS6detail15normal_iteratorINS9_10device_ptrIsEEEESE_SE_sNS9_4plusIvEENS9_8equal_toIvEEsEE10hipError_tPvRmT2_T3_T4_T5_mT6_T7_P12ihipStream_tbENKUlT_T0_E_clISt17integral_constantIbLb0EESY_IbLb1EEEEDaSU_SV_EUlSU_E_NS1_11comp_targetILNS1_3genE10ELNS1_11target_archE1201ELNS1_3gpuE5ELNS1_3repE0EEENS1_30default_config_static_selectorELNS0_4arch9wavefront6targetE0EEEvT1_, .Lfunc_end273-_ZN7rocprim17ROCPRIM_400000_NS6detail17trampoline_kernelINS0_14default_configENS1_27scan_by_key_config_selectorIssEEZZNS1_16scan_by_key_implILNS1_25lookback_scan_determinismE0ELb0ES3_N6thrust23THRUST_200600_302600_NS6detail15normal_iteratorINS9_10device_ptrIsEEEESE_SE_sNS9_4plusIvEENS9_8equal_toIvEEsEE10hipError_tPvRmT2_T3_T4_T5_mT6_T7_P12ihipStream_tbENKUlT_T0_E_clISt17integral_constantIbLb0EESY_IbLb1EEEEDaSU_SV_EUlSU_E_NS1_11comp_targetILNS1_3genE10ELNS1_11target_archE1201ELNS1_3gpuE5ELNS1_3repE0EEENS1_30default_config_static_selectorELNS0_4arch9wavefront6targetE0EEEvT1_
                                        ; -- End function
	.set _ZN7rocprim17ROCPRIM_400000_NS6detail17trampoline_kernelINS0_14default_configENS1_27scan_by_key_config_selectorIssEEZZNS1_16scan_by_key_implILNS1_25lookback_scan_determinismE0ELb0ES3_N6thrust23THRUST_200600_302600_NS6detail15normal_iteratorINS9_10device_ptrIsEEEESE_SE_sNS9_4plusIvEENS9_8equal_toIvEEsEE10hipError_tPvRmT2_T3_T4_T5_mT6_T7_P12ihipStream_tbENKUlT_T0_E_clISt17integral_constantIbLb0EESY_IbLb1EEEEDaSU_SV_EUlSU_E_NS1_11comp_targetILNS1_3genE10ELNS1_11target_archE1201ELNS1_3gpuE5ELNS1_3repE0EEENS1_30default_config_static_selectorELNS0_4arch9wavefront6targetE0EEEvT1_.num_vgpr, 0
	.set _ZN7rocprim17ROCPRIM_400000_NS6detail17trampoline_kernelINS0_14default_configENS1_27scan_by_key_config_selectorIssEEZZNS1_16scan_by_key_implILNS1_25lookback_scan_determinismE0ELb0ES3_N6thrust23THRUST_200600_302600_NS6detail15normal_iteratorINS9_10device_ptrIsEEEESE_SE_sNS9_4plusIvEENS9_8equal_toIvEEsEE10hipError_tPvRmT2_T3_T4_T5_mT6_T7_P12ihipStream_tbENKUlT_T0_E_clISt17integral_constantIbLb0EESY_IbLb1EEEEDaSU_SV_EUlSU_E_NS1_11comp_targetILNS1_3genE10ELNS1_11target_archE1201ELNS1_3gpuE5ELNS1_3repE0EEENS1_30default_config_static_selectorELNS0_4arch9wavefront6targetE0EEEvT1_.num_agpr, 0
	.set _ZN7rocprim17ROCPRIM_400000_NS6detail17trampoline_kernelINS0_14default_configENS1_27scan_by_key_config_selectorIssEEZZNS1_16scan_by_key_implILNS1_25lookback_scan_determinismE0ELb0ES3_N6thrust23THRUST_200600_302600_NS6detail15normal_iteratorINS9_10device_ptrIsEEEESE_SE_sNS9_4plusIvEENS9_8equal_toIvEEsEE10hipError_tPvRmT2_T3_T4_T5_mT6_T7_P12ihipStream_tbENKUlT_T0_E_clISt17integral_constantIbLb0EESY_IbLb1EEEEDaSU_SV_EUlSU_E_NS1_11comp_targetILNS1_3genE10ELNS1_11target_archE1201ELNS1_3gpuE5ELNS1_3repE0EEENS1_30default_config_static_selectorELNS0_4arch9wavefront6targetE0EEEvT1_.numbered_sgpr, 0
	.set _ZN7rocprim17ROCPRIM_400000_NS6detail17trampoline_kernelINS0_14default_configENS1_27scan_by_key_config_selectorIssEEZZNS1_16scan_by_key_implILNS1_25lookback_scan_determinismE0ELb0ES3_N6thrust23THRUST_200600_302600_NS6detail15normal_iteratorINS9_10device_ptrIsEEEESE_SE_sNS9_4plusIvEENS9_8equal_toIvEEsEE10hipError_tPvRmT2_T3_T4_T5_mT6_T7_P12ihipStream_tbENKUlT_T0_E_clISt17integral_constantIbLb0EESY_IbLb1EEEEDaSU_SV_EUlSU_E_NS1_11comp_targetILNS1_3genE10ELNS1_11target_archE1201ELNS1_3gpuE5ELNS1_3repE0EEENS1_30default_config_static_selectorELNS0_4arch9wavefront6targetE0EEEvT1_.num_named_barrier, 0
	.set _ZN7rocprim17ROCPRIM_400000_NS6detail17trampoline_kernelINS0_14default_configENS1_27scan_by_key_config_selectorIssEEZZNS1_16scan_by_key_implILNS1_25lookback_scan_determinismE0ELb0ES3_N6thrust23THRUST_200600_302600_NS6detail15normal_iteratorINS9_10device_ptrIsEEEESE_SE_sNS9_4plusIvEENS9_8equal_toIvEEsEE10hipError_tPvRmT2_T3_T4_T5_mT6_T7_P12ihipStream_tbENKUlT_T0_E_clISt17integral_constantIbLb0EESY_IbLb1EEEEDaSU_SV_EUlSU_E_NS1_11comp_targetILNS1_3genE10ELNS1_11target_archE1201ELNS1_3gpuE5ELNS1_3repE0EEENS1_30default_config_static_selectorELNS0_4arch9wavefront6targetE0EEEvT1_.private_seg_size, 0
	.set _ZN7rocprim17ROCPRIM_400000_NS6detail17trampoline_kernelINS0_14default_configENS1_27scan_by_key_config_selectorIssEEZZNS1_16scan_by_key_implILNS1_25lookback_scan_determinismE0ELb0ES3_N6thrust23THRUST_200600_302600_NS6detail15normal_iteratorINS9_10device_ptrIsEEEESE_SE_sNS9_4plusIvEENS9_8equal_toIvEEsEE10hipError_tPvRmT2_T3_T4_T5_mT6_T7_P12ihipStream_tbENKUlT_T0_E_clISt17integral_constantIbLb0EESY_IbLb1EEEEDaSU_SV_EUlSU_E_NS1_11comp_targetILNS1_3genE10ELNS1_11target_archE1201ELNS1_3gpuE5ELNS1_3repE0EEENS1_30default_config_static_selectorELNS0_4arch9wavefront6targetE0EEEvT1_.uses_vcc, 0
	.set _ZN7rocprim17ROCPRIM_400000_NS6detail17trampoline_kernelINS0_14default_configENS1_27scan_by_key_config_selectorIssEEZZNS1_16scan_by_key_implILNS1_25lookback_scan_determinismE0ELb0ES3_N6thrust23THRUST_200600_302600_NS6detail15normal_iteratorINS9_10device_ptrIsEEEESE_SE_sNS9_4plusIvEENS9_8equal_toIvEEsEE10hipError_tPvRmT2_T3_T4_T5_mT6_T7_P12ihipStream_tbENKUlT_T0_E_clISt17integral_constantIbLb0EESY_IbLb1EEEEDaSU_SV_EUlSU_E_NS1_11comp_targetILNS1_3genE10ELNS1_11target_archE1201ELNS1_3gpuE5ELNS1_3repE0EEENS1_30default_config_static_selectorELNS0_4arch9wavefront6targetE0EEEvT1_.uses_flat_scratch, 0
	.set _ZN7rocprim17ROCPRIM_400000_NS6detail17trampoline_kernelINS0_14default_configENS1_27scan_by_key_config_selectorIssEEZZNS1_16scan_by_key_implILNS1_25lookback_scan_determinismE0ELb0ES3_N6thrust23THRUST_200600_302600_NS6detail15normal_iteratorINS9_10device_ptrIsEEEESE_SE_sNS9_4plusIvEENS9_8equal_toIvEEsEE10hipError_tPvRmT2_T3_T4_T5_mT6_T7_P12ihipStream_tbENKUlT_T0_E_clISt17integral_constantIbLb0EESY_IbLb1EEEEDaSU_SV_EUlSU_E_NS1_11comp_targetILNS1_3genE10ELNS1_11target_archE1201ELNS1_3gpuE5ELNS1_3repE0EEENS1_30default_config_static_selectorELNS0_4arch9wavefront6targetE0EEEvT1_.has_dyn_sized_stack, 0
	.set _ZN7rocprim17ROCPRIM_400000_NS6detail17trampoline_kernelINS0_14default_configENS1_27scan_by_key_config_selectorIssEEZZNS1_16scan_by_key_implILNS1_25lookback_scan_determinismE0ELb0ES3_N6thrust23THRUST_200600_302600_NS6detail15normal_iteratorINS9_10device_ptrIsEEEESE_SE_sNS9_4plusIvEENS9_8equal_toIvEEsEE10hipError_tPvRmT2_T3_T4_T5_mT6_T7_P12ihipStream_tbENKUlT_T0_E_clISt17integral_constantIbLb0EESY_IbLb1EEEEDaSU_SV_EUlSU_E_NS1_11comp_targetILNS1_3genE10ELNS1_11target_archE1201ELNS1_3gpuE5ELNS1_3repE0EEENS1_30default_config_static_selectorELNS0_4arch9wavefront6targetE0EEEvT1_.has_recursion, 0
	.set _ZN7rocprim17ROCPRIM_400000_NS6detail17trampoline_kernelINS0_14default_configENS1_27scan_by_key_config_selectorIssEEZZNS1_16scan_by_key_implILNS1_25lookback_scan_determinismE0ELb0ES3_N6thrust23THRUST_200600_302600_NS6detail15normal_iteratorINS9_10device_ptrIsEEEESE_SE_sNS9_4plusIvEENS9_8equal_toIvEEsEE10hipError_tPvRmT2_T3_T4_T5_mT6_T7_P12ihipStream_tbENKUlT_T0_E_clISt17integral_constantIbLb0EESY_IbLb1EEEEDaSU_SV_EUlSU_E_NS1_11comp_targetILNS1_3genE10ELNS1_11target_archE1201ELNS1_3gpuE5ELNS1_3repE0EEENS1_30default_config_static_selectorELNS0_4arch9wavefront6targetE0EEEvT1_.has_indirect_call, 0
	.section	.AMDGPU.csdata,"",@progbits
; Kernel info:
; codeLenInByte = 0
; TotalNumSgprs: 0
; NumVgprs: 0
; ScratchSize: 0
; MemoryBound: 0
; FloatMode: 240
; IeeeMode: 1
; LDSByteSize: 0 bytes/workgroup (compile time only)
; SGPRBlocks: 0
; VGPRBlocks: 0
; NumSGPRsForWavesPerEU: 1
; NumVGPRsForWavesPerEU: 1
; NamedBarCnt: 0
; Occupancy: 16
; WaveLimiterHint : 0
; COMPUTE_PGM_RSRC2:SCRATCH_EN: 0
; COMPUTE_PGM_RSRC2:USER_SGPR: 2
; COMPUTE_PGM_RSRC2:TRAP_HANDLER: 0
; COMPUTE_PGM_RSRC2:TGID_X_EN: 1
; COMPUTE_PGM_RSRC2:TGID_Y_EN: 0
; COMPUTE_PGM_RSRC2:TGID_Z_EN: 0
; COMPUTE_PGM_RSRC2:TIDIG_COMP_CNT: 0
	.section	.text._ZN7rocprim17ROCPRIM_400000_NS6detail17trampoline_kernelINS0_14default_configENS1_27scan_by_key_config_selectorIssEEZZNS1_16scan_by_key_implILNS1_25lookback_scan_determinismE0ELb0ES3_N6thrust23THRUST_200600_302600_NS6detail15normal_iteratorINS9_10device_ptrIsEEEESE_SE_sNS9_4plusIvEENS9_8equal_toIvEEsEE10hipError_tPvRmT2_T3_T4_T5_mT6_T7_P12ihipStream_tbENKUlT_T0_E_clISt17integral_constantIbLb0EESY_IbLb1EEEEDaSU_SV_EUlSU_E_NS1_11comp_targetILNS1_3genE5ELNS1_11target_archE942ELNS1_3gpuE9ELNS1_3repE0EEENS1_30default_config_static_selectorELNS0_4arch9wavefront6targetE0EEEvT1_,"axG",@progbits,_ZN7rocprim17ROCPRIM_400000_NS6detail17trampoline_kernelINS0_14default_configENS1_27scan_by_key_config_selectorIssEEZZNS1_16scan_by_key_implILNS1_25lookback_scan_determinismE0ELb0ES3_N6thrust23THRUST_200600_302600_NS6detail15normal_iteratorINS9_10device_ptrIsEEEESE_SE_sNS9_4plusIvEENS9_8equal_toIvEEsEE10hipError_tPvRmT2_T3_T4_T5_mT6_T7_P12ihipStream_tbENKUlT_T0_E_clISt17integral_constantIbLb0EESY_IbLb1EEEEDaSU_SV_EUlSU_E_NS1_11comp_targetILNS1_3genE5ELNS1_11target_archE942ELNS1_3gpuE9ELNS1_3repE0EEENS1_30default_config_static_selectorELNS0_4arch9wavefront6targetE0EEEvT1_,comdat
	.protected	_ZN7rocprim17ROCPRIM_400000_NS6detail17trampoline_kernelINS0_14default_configENS1_27scan_by_key_config_selectorIssEEZZNS1_16scan_by_key_implILNS1_25lookback_scan_determinismE0ELb0ES3_N6thrust23THRUST_200600_302600_NS6detail15normal_iteratorINS9_10device_ptrIsEEEESE_SE_sNS9_4plusIvEENS9_8equal_toIvEEsEE10hipError_tPvRmT2_T3_T4_T5_mT6_T7_P12ihipStream_tbENKUlT_T0_E_clISt17integral_constantIbLb0EESY_IbLb1EEEEDaSU_SV_EUlSU_E_NS1_11comp_targetILNS1_3genE5ELNS1_11target_archE942ELNS1_3gpuE9ELNS1_3repE0EEENS1_30default_config_static_selectorELNS0_4arch9wavefront6targetE0EEEvT1_ ; -- Begin function _ZN7rocprim17ROCPRIM_400000_NS6detail17trampoline_kernelINS0_14default_configENS1_27scan_by_key_config_selectorIssEEZZNS1_16scan_by_key_implILNS1_25lookback_scan_determinismE0ELb0ES3_N6thrust23THRUST_200600_302600_NS6detail15normal_iteratorINS9_10device_ptrIsEEEESE_SE_sNS9_4plusIvEENS9_8equal_toIvEEsEE10hipError_tPvRmT2_T3_T4_T5_mT6_T7_P12ihipStream_tbENKUlT_T0_E_clISt17integral_constantIbLb0EESY_IbLb1EEEEDaSU_SV_EUlSU_E_NS1_11comp_targetILNS1_3genE5ELNS1_11target_archE942ELNS1_3gpuE9ELNS1_3repE0EEENS1_30default_config_static_selectorELNS0_4arch9wavefront6targetE0EEEvT1_
	.globl	_ZN7rocprim17ROCPRIM_400000_NS6detail17trampoline_kernelINS0_14default_configENS1_27scan_by_key_config_selectorIssEEZZNS1_16scan_by_key_implILNS1_25lookback_scan_determinismE0ELb0ES3_N6thrust23THRUST_200600_302600_NS6detail15normal_iteratorINS9_10device_ptrIsEEEESE_SE_sNS9_4plusIvEENS9_8equal_toIvEEsEE10hipError_tPvRmT2_T3_T4_T5_mT6_T7_P12ihipStream_tbENKUlT_T0_E_clISt17integral_constantIbLb0EESY_IbLb1EEEEDaSU_SV_EUlSU_E_NS1_11comp_targetILNS1_3genE5ELNS1_11target_archE942ELNS1_3gpuE9ELNS1_3repE0EEENS1_30default_config_static_selectorELNS0_4arch9wavefront6targetE0EEEvT1_
	.p2align	8
	.type	_ZN7rocprim17ROCPRIM_400000_NS6detail17trampoline_kernelINS0_14default_configENS1_27scan_by_key_config_selectorIssEEZZNS1_16scan_by_key_implILNS1_25lookback_scan_determinismE0ELb0ES3_N6thrust23THRUST_200600_302600_NS6detail15normal_iteratorINS9_10device_ptrIsEEEESE_SE_sNS9_4plusIvEENS9_8equal_toIvEEsEE10hipError_tPvRmT2_T3_T4_T5_mT6_T7_P12ihipStream_tbENKUlT_T0_E_clISt17integral_constantIbLb0EESY_IbLb1EEEEDaSU_SV_EUlSU_E_NS1_11comp_targetILNS1_3genE5ELNS1_11target_archE942ELNS1_3gpuE9ELNS1_3repE0EEENS1_30default_config_static_selectorELNS0_4arch9wavefront6targetE0EEEvT1_,@function
_ZN7rocprim17ROCPRIM_400000_NS6detail17trampoline_kernelINS0_14default_configENS1_27scan_by_key_config_selectorIssEEZZNS1_16scan_by_key_implILNS1_25lookback_scan_determinismE0ELb0ES3_N6thrust23THRUST_200600_302600_NS6detail15normal_iteratorINS9_10device_ptrIsEEEESE_SE_sNS9_4plusIvEENS9_8equal_toIvEEsEE10hipError_tPvRmT2_T3_T4_T5_mT6_T7_P12ihipStream_tbENKUlT_T0_E_clISt17integral_constantIbLb0EESY_IbLb1EEEEDaSU_SV_EUlSU_E_NS1_11comp_targetILNS1_3genE5ELNS1_11target_archE942ELNS1_3gpuE9ELNS1_3repE0EEENS1_30default_config_static_selectorELNS0_4arch9wavefront6targetE0EEEvT1_: ; @_ZN7rocprim17ROCPRIM_400000_NS6detail17trampoline_kernelINS0_14default_configENS1_27scan_by_key_config_selectorIssEEZZNS1_16scan_by_key_implILNS1_25lookback_scan_determinismE0ELb0ES3_N6thrust23THRUST_200600_302600_NS6detail15normal_iteratorINS9_10device_ptrIsEEEESE_SE_sNS9_4plusIvEENS9_8equal_toIvEEsEE10hipError_tPvRmT2_T3_T4_T5_mT6_T7_P12ihipStream_tbENKUlT_T0_E_clISt17integral_constantIbLb0EESY_IbLb1EEEEDaSU_SV_EUlSU_E_NS1_11comp_targetILNS1_3genE5ELNS1_11target_archE942ELNS1_3gpuE9ELNS1_3repE0EEENS1_30default_config_static_selectorELNS0_4arch9wavefront6targetE0EEEvT1_
; %bb.0:
	.section	.rodata,"a",@progbits
	.p2align	6, 0x0
	.amdhsa_kernel _ZN7rocprim17ROCPRIM_400000_NS6detail17trampoline_kernelINS0_14default_configENS1_27scan_by_key_config_selectorIssEEZZNS1_16scan_by_key_implILNS1_25lookback_scan_determinismE0ELb0ES3_N6thrust23THRUST_200600_302600_NS6detail15normal_iteratorINS9_10device_ptrIsEEEESE_SE_sNS9_4plusIvEENS9_8equal_toIvEEsEE10hipError_tPvRmT2_T3_T4_T5_mT6_T7_P12ihipStream_tbENKUlT_T0_E_clISt17integral_constantIbLb0EESY_IbLb1EEEEDaSU_SV_EUlSU_E_NS1_11comp_targetILNS1_3genE5ELNS1_11target_archE942ELNS1_3gpuE9ELNS1_3repE0EEENS1_30default_config_static_selectorELNS0_4arch9wavefront6targetE0EEEvT1_
		.amdhsa_group_segment_fixed_size 0
		.amdhsa_private_segment_fixed_size 0
		.amdhsa_kernarg_size 112
		.amdhsa_user_sgpr_count 2
		.amdhsa_user_sgpr_dispatch_ptr 0
		.amdhsa_user_sgpr_queue_ptr 0
		.amdhsa_user_sgpr_kernarg_segment_ptr 1
		.amdhsa_user_sgpr_dispatch_id 0
		.amdhsa_user_sgpr_kernarg_preload_length 0
		.amdhsa_user_sgpr_kernarg_preload_offset 0
		.amdhsa_user_sgpr_private_segment_size 0
		.amdhsa_wavefront_size32 1
		.amdhsa_uses_dynamic_stack 0
		.amdhsa_enable_private_segment 0
		.amdhsa_system_sgpr_workgroup_id_x 1
		.amdhsa_system_sgpr_workgroup_id_y 0
		.amdhsa_system_sgpr_workgroup_id_z 0
		.amdhsa_system_sgpr_workgroup_info 0
		.amdhsa_system_vgpr_workitem_id 0
		.amdhsa_next_free_vgpr 1
		.amdhsa_next_free_sgpr 1
		.amdhsa_named_barrier_count 0
		.amdhsa_reserve_vcc 0
		.amdhsa_float_round_mode_32 0
		.amdhsa_float_round_mode_16_64 0
		.amdhsa_float_denorm_mode_32 3
		.amdhsa_float_denorm_mode_16_64 3
		.amdhsa_fp16_overflow 0
		.amdhsa_memory_ordered 1
		.amdhsa_forward_progress 1
		.amdhsa_inst_pref_size 0
		.amdhsa_round_robin_scheduling 0
		.amdhsa_exception_fp_ieee_invalid_op 0
		.amdhsa_exception_fp_denorm_src 0
		.amdhsa_exception_fp_ieee_div_zero 0
		.amdhsa_exception_fp_ieee_overflow 0
		.amdhsa_exception_fp_ieee_underflow 0
		.amdhsa_exception_fp_ieee_inexact 0
		.amdhsa_exception_int_div_zero 0
	.end_amdhsa_kernel
	.section	.text._ZN7rocprim17ROCPRIM_400000_NS6detail17trampoline_kernelINS0_14default_configENS1_27scan_by_key_config_selectorIssEEZZNS1_16scan_by_key_implILNS1_25lookback_scan_determinismE0ELb0ES3_N6thrust23THRUST_200600_302600_NS6detail15normal_iteratorINS9_10device_ptrIsEEEESE_SE_sNS9_4plusIvEENS9_8equal_toIvEEsEE10hipError_tPvRmT2_T3_T4_T5_mT6_T7_P12ihipStream_tbENKUlT_T0_E_clISt17integral_constantIbLb0EESY_IbLb1EEEEDaSU_SV_EUlSU_E_NS1_11comp_targetILNS1_3genE5ELNS1_11target_archE942ELNS1_3gpuE9ELNS1_3repE0EEENS1_30default_config_static_selectorELNS0_4arch9wavefront6targetE0EEEvT1_,"axG",@progbits,_ZN7rocprim17ROCPRIM_400000_NS6detail17trampoline_kernelINS0_14default_configENS1_27scan_by_key_config_selectorIssEEZZNS1_16scan_by_key_implILNS1_25lookback_scan_determinismE0ELb0ES3_N6thrust23THRUST_200600_302600_NS6detail15normal_iteratorINS9_10device_ptrIsEEEESE_SE_sNS9_4plusIvEENS9_8equal_toIvEEsEE10hipError_tPvRmT2_T3_T4_T5_mT6_T7_P12ihipStream_tbENKUlT_T0_E_clISt17integral_constantIbLb0EESY_IbLb1EEEEDaSU_SV_EUlSU_E_NS1_11comp_targetILNS1_3genE5ELNS1_11target_archE942ELNS1_3gpuE9ELNS1_3repE0EEENS1_30default_config_static_selectorELNS0_4arch9wavefront6targetE0EEEvT1_,comdat
.Lfunc_end274:
	.size	_ZN7rocprim17ROCPRIM_400000_NS6detail17trampoline_kernelINS0_14default_configENS1_27scan_by_key_config_selectorIssEEZZNS1_16scan_by_key_implILNS1_25lookback_scan_determinismE0ELb0ES3_N6thrust23THRUST_200600_302600_NS6detail15normal_iteratorINS9_10device_ptrIsEEEESE_SE_sNS9_4plusIvEENS9_8equal_toIvEEsEE10hipError_tPvRmT2_T3_T4_T5_mT6_T7_P12ihipStream_tbENKUlT_T0_E_clISt17integral_constantIbLb0EESY_IbLb1EEEEDaSU_SV_EUlSU_E_NS1_11comp_targetILNS1_3genE5ELNS1_11target_archE942ELNS1_3gpuE9ELNS1_3repE0EEENS1_30default_config_static_selectorELNS0_4arch9wavefront6targetE0EEEvT1_, .Lfunc_end274-_ZN7rocprim17ROCPRIM_400000_NS6detail17trampoline_kernelINS0_14default_configENS1_27scan_by_key_config_selectorIssEEZZNS1_16scan_by_key_implILNS1_25lookback_scan_determinismE0ELb0ES3_N6thrust23THRUST_200600_302600_NS6detail15normal_iteratorINS9_10device_ptrIsEEEESE_SE_sNS9_4plusIvEENS9_8equal_toIvEEsEE10hipError_tPvRmT2_T3_T4_T5_mT6_T7_P12ihipStream_tbENKUlT_T0_E_clISt17integral_constantIbLb0EESY_IbLb1EEEEDaSU_SV_EUlSU_E_NS1_11comp_targetILNS1_3genE5ELNS1_11target_archE942ELNS1_3gpuE9ELNS1_3repE0EEENS1_30default_config_static_selectorELNS0_4arch9wavefront6targetE0EEEvT1_
                                        ; -- End function
	.set _ZN7rocprim17ROCPRIM_400000_NS6detail17trampoline_kernelINS0_14default_configENS1_27scan_by_key_config_selectorIssEEZZNS1_16scan_by_key_implILNS1_25lookback_scan_determinismE0ELb0ES3_N6thrust23THRUST_200600_302600_NS6detail15normal_iteratorINS9_10device_ptrIsEEEESE_SE_sNS9_4plusIvEENS9_8equal_toIvEEsEE10hipError_tPvRmT2_T3_T4_T5_mT6_T7_P12ihipStream_tbENKUlT_T0_E_clISt17integral_constantIbLb0EESY_IbLb1EEEEDaSU_SV_EUlSU_E_NS1_11comp_targetILNS1_3genE5ELNS1_11target_archE942ELNS1_3gpuE9ELNS1_3repE0EEENS1_30default_config_static_selectorELNS0_4arch9wavefront6targetE0EEEvT1_.num_vgpr, 0
	.set _ZN7rocprim17ROCPRIM_400000_NS6detail17trampoline_kernelINS0_14default_configENS1_27scan_by_key_config_selectorIssEEZZNS1_16scan_by_key_implILNS1_25lookback_scan_determinismE0ELb0ES3_N6thrust23THRUST_200600_302600_NS6detail15normal_iteratorINS9_10device_ptrIsEEEESE_SE_sNS9_4plusIvEENS9_8equal_toIvEEsEE10hipError_tPvRmT2_T3_T4_T5_mT6_T7_P12ihipStream_tbENKUlT_T0_E_clISt17integral_constantIbLb0EESY_IbLb1EEEEDaSU_SV_EUlSU_E_NS1_11comp_targetILNS1_3genE5ELNS1_11target_archE942ELNS1_3gpuE9ELNS1_3repE0EEENS1_30default_config_static_selectorELNS0_4arch9wavefront6targetE0EEEvT1_.num_agpr, 0
	.set _ZN7rocprim17ROCPRIM_400000_NS6detail17trampoline_kernelINS0_14default_configENS1_27scan_by_key_config_selectorIssEEZZNS1_16scan_by_key_implILNS1_25lookback_scan_determinismE0ELb0ES3_N6thrust23THRUST_200600_302600_NS6detail15normal_iteratorINS9_10device_ptrIsEEEESE_SE_sNS9_4plusIvEENS9_8equal_toIvEEsEE10hipError_tPvRmT2_T3_T4_T5_mT6_T7_P12ihipStream_tbENKUlT_T0_E_clISt17integral_constantIbLb0EESY_IbLb1EEEEDaSU_SV_EUlSU_E_NS1_11comp_targetILNS1_3genE5ELNS1_11target_archE942ELNS1_3gpuE9ELNS1_3repE0EEENS1_30default_config_static_selectorELNS0_4arch9wavefront6targetE0EEEvT1_.numbered_sgpr, 0
	.set _ZN7rocprim17ROCPRIM_400000_NS6detail17trampoline_kernelINS0_14default_configENS1_27scan_by_key_config_selectorIssEEZZNS1_16scan_by_key_implILNS1_25lookback_scan_determinismE0ELb0ES3_N6thrust23THRUST_200600_302600_NS6detail15normal_iteratorINS9_10device_ptrIsEEEESE_SE_sNS9_4plusIvEENS9_8equal_toIvEEsEE10hipError_tPvRmT2_T3_T4_T5_mT6_T7_P12ihipStream_tbENKUlT_T0_E_clISt17integral_constantIbLb0EESY_IbLb1EEEEDaSU_SV_EUlSU_E_NS1_11comp_targetILNS1_3genE5ELNS1_11target_archE942ELNS1_3gpuE9ELNS1_3repE0EEENS1_30default_config_static_selectorELNS0_4arch9wavefront6targetE0EEEvT1_.num_named_barrier, 0
	.set _ZN7rocprim17ROCPRIM_400000_NS6detail17trampoline_kernelINS0_14default_configENS1_27scan_by_key_config_selectorIssEEZZNS1_16scan_by_key_implILNS1_25lookback_scan_determinismE0ELb0ES3_N6thrust23THRUST_200600_302600_NS6detail15normal_iteratorINS9_10device_ptrIsEEEESE_SE_sNS9_4plusIvEENS9_8equal_toIvEEsEE10hipError_tPvRmT2_T3_T4_T5_mT6_T7_P12ihipStream_tbENKUlT_T0_E_clISt17integral_constantIbLb0EESY_IbLb1EEEEDaSU_SV_EUlSU_E_NS1_11comp_targetILNS1_3genE5ELNS1_11target_archE942ELNS1_3gpuE9ELNS1_3repE0EEENS1_30default_config_static_selectorELNS0_4arch9wavefront6targetE0EEEvT1_.private_seg_size, 0
	.set _ZN7rocprim17ROCPRIM_400000_NS6detail17trampoline_kernelINS0_14default_configENS1_27scan_by_key_config_selectorIssEEZZNS1_16scan_by_key_implILNS1_25lookback_scan_determinismE0ELb0ES3_N6thrust23THRUST_200600_302600_NS6detail15normal_iteratorINS9_10device_ptrIsEEEESE_SE_sNS9_4plusIvEENS9_8equal_toIvEEsEE10hipError_tPvRmT2_T3_T4_T5_mT6_T7_P12ihipStream_tbENKUlT_T0_E_clISt17integral_constantIbLb0EESY_IbLb1EEEEDaSU_SV_EUlSU_E_NS1_11comp_targetILNS1_3genE5ELNS1_11target_archE942ELNS1_3gpuE9ELNS1_3repE0EEENS1_30default_config_static_selectorELNS0_4arch9wavefront6targetE0EEEvT1_.uses_vcc, 0
	.set _ZN7rocprim17ROCPRIM_400000_NS6detail17trampoline_kernelINS0_14default_configENS1_27scan_by_key_config_selectorIssEEZZNS1_16scan_by_key_implILNS1_25lookback_scan_determinismE0ELb0ES3_N6thrust23THRUST_200600_302600_NS6detail15normal_iteratorINS9_10device_ptrIsEEEESE_SE_sNS9_4plusIvEENS9_8equal_toIvEEsEE10hipError_tPvRmT2_T3_T4_T5_mT6_T7_P12ihipStream_tbENKUlT_T0_E_clISt17integral_constantIbLb0EESY_IbLb1EEEEDaSU_SV_EUlSU_E_NS1_11comp_targetILNS1_3genE5ELNS1_11target_archE942ELNS1_3gpuE9ELNS1_3repE0EEENS1_30default_config_static_selectorELNS0_4arch9wavefront6targetE0EEEvT1_.uses_flat_scratch, 0
	.set _ZN7rocprim17ROCPRIM_400000_NS6detail17trampoline_kernelINS0_14default_configENS1_27scan_by_key_config_selectorIssEEZZNS1_16scan_by_key_implILNS1_25lookback_scan_determinismE0ELb0ES3_N6thrust23THRUST_200600_302600_NS6detail15normal_iteratorINS9_10device_ptrIsEEEESE_SE_sNS9_4plusIvEENS9_8equal_toIvEEsEE10hipError_tPvRmT2_T3_T4_T5_mT6_T7_P12ihipStream_tbENKUlT_T0_E_clISt17integral_constantIbLb0EESY_IbLb1EEEEDaSU_SV_EUlSU_E_NS1_11comp_targetILNS1_3genE5ELNS1_11target_archE942ELNS1_3gpuE9ELNS1_3repE0EEENS1_30default_config_static_selectorELNS0_4arch9wavefront6targetE0EEEvT1_.has_dyn_sized_stack, 0
	.set _ZN7rocprim17ROCPRIM_400000_NS6detail17trampoline_kernelINS0_14default_configENS1_27scan_by_key_config_selectorIssEEZZNS1_16scan_by_key_implILNS1_25lookback_scan_determinismE0ELb0ES3_N6thrust23THRUST_200600_302600_NS6detail15normal_iteratorINS9_10device_ptrIsEEEESE_SE_sNS9_4plusIvEENS9_8equal_toIvEEsEE10hipError_tPvRmT2_T3_T4_T5_mT6_T7_P12ihipStream_tbENKUlT_T0_E_clISt17integral_constantIbLb0EESY_IbLb1EEEEDaSU_SV_EUlSU_E_NS1_11comp_targetILNS1_3genE5ELNS1_11target_archE942ELNS1_3gpuE9ELNS1_3repE0EEENS1_30default_config_static_selectorELNS0_4arch9wavefront6targetE0EEEvT1_.has_recursion, 0
	.set _ZN7rocprim17ROCPRIM_400000_NS6detail17trampoline_kernelINS0_14default_configENS1_27scan_by_key_config_selectorIssEEZZNS1_16scan_by_key_implILNS1_25lookback_scan_determinismE0ELb0ES3_N6thrust23THRUST_200600_302600_NS6detail15normal_iteratorINS9_10device_ptrIsEEEESE_SE_sNS9_4plusIvEENS9_8equal_toIvEEsEE10hipError_tPvRmT2_T3_T4_T5_mT6_T7_P12ihipStream_tbENKUlT_T0_E_clISt17integral_constantIbLb0EESY_IbLb1EEEEDaSU_SV_EUlSU_E_NS1_11comp_targetILNS1_3genE5ELNS1_11target_archE942ELNS1_3gpuE9ELNS1_3repE0EEENS1_30default_config_static_selectorELNS0_4arch9wavefront6targetE0EEEvT1_.has_indirect_call, 0
	.section	.AMDGPU.csdata,"",@progbits
; Kernel info:
; codeLenInByte = 0
; TotalNumSgprs: 0
; NumVgprs: 0
; ScratchSize: 0
; MemoryBound: 0
; FloatMode: 240
; IeeeMode: 1
; LDSByteSize: 0 bytes/workgroup (compile time only)
; SGPRBlocks: 0
; VGPRBlocks: 0
; NumSGPRsForWavesPerEU: 1
; NumVGPRsForWavesPerEU: 1
; NamedBarCnt: 0
; Occupancy: 16
; WaveLimiterHint : 0
; COMPUTE_PGM_RSRC2:SCRATCH_EN: 0
; COMPUTE_PGM_RSRC2:USER_SGPR: 2
; COMPUTE_PGM_RSRC2:TRAP_HANDLER: 0
; COMPUTE_PGM_RSRC2:TGID_X_EN: 1
; COMPUTE_PGM_RSRC2:TGID_Y_EN: 0
; COMPUTE_PGM_RSRC2:TGID_Z_EN: 0
; COMPUTE_PGM_RSRC2:TIDIG_COMP_CNT: 0
	.section	.text._ZN7rocprim17ROCPRIM_400000_NS6detail17trampoline_kernelINS0_14default_configENS1_27scan_by_key_config_selectorIssEEZZNS1_16scan_by_key_implILNS1_25lookback_scan_determinismE0ELb0ES3_N6thrust23THRUST_200600_302600_NS6detail15normal_iteratorINS9_10device_ptrIsEEEESE_SE_sNS9_4plusIvEENS9_8equal_toIvEEsEE10hipError_tPvRmT2_T3_T4_T5_mT6_T7_P12ihipStream_tbENKUlT_T0_E_clISt17integral_constantIbLb0EESY_IbLb1EEEEDaSU_SV_EUlSU_E_NS1_11comp_targetILNS1_3genE4ELNS1_11target_archE910ELNS1_3gpuE8ELNS1_3repE0EEENS1_30default_config_static_selectorELNS0_4arch9wavefront6targetE0EEEvT1_,"axG",@progbits,_ZN7rocprim17ROCPRIM_400000_NS6detail17trampoline_kernelINS0_14default_configENS1_27scan_by_key_config_selectorIssEEZZNS1_16scan_by_key_implILNS1_25lookback_scan_determinismE0ELb0ES3_N6thrust23THRUST_200600_302600_NS6detail15normal_iteratorINS9_10device_ptrIsEEEESE_SE_sNS9_4plusIvEENS9_8equal_toIvEEsEE10hipError_tPvRmT2_T3_T4_T5_mT6_T7_P12ihipStream_tbENKUlT_T0_E_clISt17integral_constantIbLb0EESY_IbLb1EEEEDaSU_SV_EUlSU_E_NS1_11comp_targetILNS1_3genE4ELNS1_11target_archE910ELNS1_3gpuE8ELNS1_3repE0EEENS1_30default_config_static_selectorELNS0_4arch9wavefront6targetE0EEEvT1_,comdat
	.protected	_ZN7rocprim17ROCPRIM_400000_NS6detail17trampoline_kernelINS0_14default_configENS1_27scan_by_key_config_selectorIssEEZZNS1_16scan_by_key_implILNS1_25lookback_scan_determinismE0ELb0ES3_N6thrust23THRUST_200600_302600_NS6detail15normal_iteratorINS9_10device_ptrIsEEEESE_SE_sNS9_4plusIvEENS9_8equal_toIvEEsEE10hipError_tPvRmT2_T3_T4_T5_mT6_T7_P12ihipStream_tbENKUlT_T0_E_clISt17integral_constantIbLb0EESY_IbLb1EEEEDaSU_SV_EUlSU_E_NS1_11comp_targetILNS1_3genE4ELNS1_11target_archE910ELNS1_3gpuE8ELNS1_3repE0EEENS1_30default_config_static_selectorELNS0_4arch9wavefront6targetE0EEEvT1_ ; -- Begin function _ZN7rocprim17ROCPRIM_400000_NS6detail17trampoline_kernelINS0_14default_configENS1_27scan_by_key_config_selectorIssEEZZNS1_16scan_by_key_implILNS1_25lookback_scan_determinismE0ELb0ES3_N6thrust23THRUST_200600_302600_NS6detail15normal_iteratorINS9_10device_ptrIsEEEESE_SE_sNS9_4plusIvEENS9_8equal_toIvEEsEE10hipError_tPvRmT2_T3_T4_T5_mT6_T7_P12ihipStream_tbENKUlT_T0_E_clISt17integral_constantIbLb0EESY_IbLb1EEEEDaSU_SV_EUlSU_E_NS1_11comp_targetILNS1_3genE4ELNS1_11target_archE910ELNS1_3gpuE8ELNS1_3repE0EEENS1_30default_config_static_selectorELNS0_4arch9wavefront6targetE0EEEvT1_
	.globl	_ZN7rocprim17ROCPRIM_400000_NS6detail17trampoline_kernelINS0_14default_configENS1_27scan_by_key_config_selectorIssEEZZNS1_16scan_by_key_implILNS1_25lookback_scan_determinismE0ELb0ES3_N6thrust23THRUST_200600_302600_NS6detail15normal_iteratorINS9_10device_ptrIsEEEESE_SE_sNS9_4plusIvEENS9_8equal_toIvEEsEE10hipError_tPvRmT2_T3_T4_T5_mT6_T7_P12ihipStream_tbENKUlT_T0_E_clISt17integral_constantIbLb0EESY_IbLb1EEEEDaSU_SV_EUlSU_E_NS1_11comp_targetILNS1_3genE4ELNS1_11target_archE910ELNS1_3gpuE8ELNS1_3repE0EEENS1_30default_config_static_selectorELNS0_4arch9wavefront6targetE0EEEvT1_
	.p2align	8
	.type	_ZN7rocprim17ROCPRIM_400000_NS6detail17trampoline_kernelINS0_14default_configENS1_27scan_by_key_config_selectorIssEEZZNS1_16scan_by_key_implILNS1_25lookback_scan_determinismE0ELb0ES3_N6thrust23THRUST_200600_302600_NS6detail15normal_iteratorINS9_10device_ptrIsEEEESE_SE_sNS9_4plusIvEENS9_8equal_toIvEEsEE10hipError_tPvRmT2_T3_T4_T5_mT6_T7_P12ihipStream_tbENKUlT_T0_E_clISt17integral_constantIbLb0EESY_IbLb1EEEEDaSU_SV_EUlSU_E_NS1_11comp_targetILNS1_3genE4ELNS1_11target_archE910ELNS1_3gpuE8ELNS1_3repE0EEENS1_30default_config_static_selectorELNS0_4arch9wavefront6targetE0EEEvT1_,@function
_ZN7rocprim17ROCPRIM_400000_NS6detail17trampoline_kernelINS0_14default_configENS1_27scan_by_key_config_selectorIssEEZZNS1_16scan_by_key_implILNS1_25lookback_scan_determinismE0ELb0ES3_N6thrust23THRUST_200600_302600_NS6detail15normal_iteratorINS9_10device_ptrIsEEEESE_SE_sNS9_4plusIvEENS9_8equal_toIvEEsEE10hipError_tPvRmT2_T3_T4_T5_mT6_T7_P12ihipStream_tbENKUlT_T0_E_clISt17integral_constantIbLb0EESY_IbLb1EEEEDaSU_SV_EUlSU_E_NS1_11comp_targetILNS1_3genE4ELNS1_11target_archE910ELNS1_3gpuE8ELNS1_3repE0EEENS1_30default_config_static_selectorELNS0_4arch9wavefront6targetE0EEEvT1_: ; @_ZN7rocprim17ROCPRIM_400000_NS6detail17trampoline_kernelINS0_14default_configENS1_27scan_by_key_config_selectorIssEEZZNS1_16scan_by_key_implILNS1_25lookback_scan_determinismE0ELb0ES3_N6thrust23THRUST_200600_302600_NS6detail15normal_iteratorINS9_10device_ptrIsEEEESE_SE_sNS9_4plusIvEENS9_8equal_toIvEEsEE10hipError_tPvRmT2_T3_T4_T5_mT6_T7_P12ihipStream_tbENKUlT_T0_E_clISt17integral_constantIbLb0EESY_IbLb1EEEEDaSU_SV_EUlSU_E_NS1_11comp_targetILNS1_3genE4ELNS1_11target_archE910ELNS1_3gpuE8ELNS1_3repE0EEENS1_30default_config_static_selectorELNS0_4arch9wavefront6targetE0EEEvT1_
; %bb.0:
	.section	.rodata,"a",@progbits
	.p2align	6, 0x0
	.amdhsa_kernel _ZN7rocprim17ROCPRIM_400000_NS6detail17trampoline_kernelINS0_14default_configENS1_27scan_by_key_config_selectorIssEEZZNS1_16scan_by_key_implILNS1_25lookback_scan_determinismE0ELb0ES3_N6thrust23THRUST_200600_302600_NS6detail15normal_iteratorINS9_10device_ptrIsEEEESE_SE_sNS9_4plusIvEENS9_8equal_toIvEEsEE10hipError_tPvRmT2_T3_T4_T5_mT6_T7_P12ihipStream_tbENKUlT_T0_E_clISt17integral_constantIbLb0EESY_IbLb1EEEEDaSU_SV_EUlSU_E_NS1_11comp_targetILNS1_3genE4ELNS1_11target_archE910ELNS1_3gpuE8ELNS1_3repE0EEENS1_30default_config_static_selectorELNS0_4arch9wavefront6targetE0EEEvT1_
		.amdhsa_group_segment_fixed_size 0
		.amdhsa_private_segment_fixed_size 0
		.amdhsa_kernarg_size 112
		.amdhsa_user_sgpr_count 2
		.amdhsa_user_sgpr_dispatch_ptr 0
		.amdhsa_user_sgpr_queue_ptr 0
		.amdhsa_user_sgpr_kernarg_segment_ptr 1
		.amdhsa_user_sgpr_dispatch_id 0
		.amdhsa_user_sgpr_kernarg_preload_length 0
		.amdhsa_user_sgpr_kernarg_preload_offset 0
		.amdhsa_user_sgpr_private_segment_size 0
		.amdhsa_wavefront_size32 1
		.amdhsa_uses_dynamic_stack 0
		.amdhsa_enable_private_segment 0
		.amdhsa_system_sgpr_workgroup_id_x 1
		.amdhsa_system_sgpr_workgroup_id_y 0
		.amdhsa_system_sgpr_workgroup_id_z 0
		.amdhsa_system_sgpr_workgroup_info 0
		.amdhsa_system_vgpr_workitem_id 0
		.amdhsa_next_free_vgpr 1
		.amdhsa_next_free_sgpr 1
		.amdhsa_named_barrier_count 0
		.amdhsa_reserve_vcc 0
		.amdhsa_float_round_mode_32 0
		.amdhsa_float_round_mode_16_64 0
		.amdhsa_float_denorm_mode_32 3
		.amdhsa_float_denorm_mode_16_64 3
		.amdhsa_fp16_overflow 0
		.amdhsa_memory_ordered 1
		.amdhsa_forward_progress 1
		.amdhsa_inst_pref_size 0
		.amdhsa_round_robin_scheduling 0
		.amdhsa_exception_fp_ieee_invalid_op 0
		.amdhsa_exception_fp_denorm_src 0
		.amdhsa_exception_fp_ieee_div_zero 0
		.amdhsa_exception_fp_ieee_overflow 0
		.amdhsa_exception_fp_ieee_underflow 0
		.amdhsa_exception_fp_ieee_inexact 0
		.amdhsa_exception_int_div_zero 0
	.end_amdhsa_kernel
	.section	.text._ZN7rocprim17ROCPRIM_400000_NS6detail17trampoline_kernelINS0_14default_configENS1_27scan_by_key_config_selectorIssEEZZNS1_16scan_by_key_implILNS1_25lookback_scan_determinismE0ELb0ES3_N6thrust23THRUST_200600_302600_NS6detail15normal_iteratorINS9_10device_ptrIsEEEESE_SE_sNS9_4plusIvEENS9_8equal_toIvEEsEE10hipError_tPvRmT2_T3_T4_T5_mT6_T7_P12ihipStream_tbENKUlT_T0_E_clISt17integral_constantIbLb0EESY_IbLb1EEEEDaSU_SV_EUlSU_E_NS1_11comp_targetILNS1_3genE4ELNS1_11target_archE910ELNS1_3gpuE8ELNS1_3repE0EEENS1_30default_config_static_selectorELNS0_4arch9wavefront6targetE0EEEvT1_,"axG",@progbits,_ZN7rocprim17ROCPRIM_400000_NS6detail17trampoline_kernelINS0_14default_configENS1_27scan_by_key_config_selectorIssEEZZNS1_16scan_by_key_implILNS1_25lookback_scan_determinismE0ELb0ES3_N6thrust23THRUST_200600_302600_NS6detail15normal_iteratorINS9_10device_ptrIsEEEESE_SE_sNS9_4plusIvEENS9_8equal_toIvEEsEE10hipError_tPvRmT2_T3_T4_T5_mT6_T7_P12ihipStream_tbENKUlT_T0_E_clISt17integral_constantIbLb0EESY_IbLb1EEEEDaSU_SV_EUlSU_E_NS1_11comp_targetILNS1_3genE4ELNS1_11target_archE910ELNS1_3gpuE8ELNS1_3repE0EEENS1_30default_config_static_selectorELNS0_4arch9wavefront6targetE0EEEvT1_,comdat
.Lfunc_end275:
	.size	_ZN7rocprim17ROCPRIM_400000_NS6detail17trampoline_kernelINS0_14default_configENS1_27scan_by_key_config_selectorIssEEZZNS1_16scan_by_key_implILNS1_25lookback_scan_determinismE0ELb0ES3_N6thrust23THRUST_200600_302600_NS6detail15normal_iteratorINS9_10device_ptrIsEEEESE_SE_sNS9_4plusIvEENS9_8equal_toIvEEsEE10hipError_tPvRmT2_T3_T4_T5_mT6_T7_P12ihipStream_tbENKUlT_T0_E_clISt17integral_constantIbLb0EESY_IbLb1EEEEDaSU_SV_EUlSU_E_NS1_11comp_targetILNS1_3genE4ELNS1_11target_archE910ELNS1_3gpuE8ELNS1_3repE0EEENS1_30default_config_static_selectorELNS0_4arch9wavefront6targetE0EEEvT1_, .Lfunc_end275-_ZN7rocprim17ROCPRIM_400000_NS6detail17trampoline_kernelINS0_14default_configENS1_27scan_by_key_config_selectorIssEEZZNS1_16scan_by_key_implILNS1_25lookback_scan_determinismE0ELb0ES3_N6thrust23THRUST_200600_302600_NS6detail15normal_iteratorINS9_10device_ptrIsEEEESE_SE_sNS9_4plusIvEENS9_8equal_toIvEEsEE10hipError_tPvRmT2_T3_T4_T5_mT6_T7_P12ihipStream_tbENKUlT_T0_E_clISt17integral_constantIbLb0EESY_IbLb1EEEEDaSU_SV_EUlSU_E_NS1_11comp_targetILNS1_3genE4ELNS1_11target_archE910ELNS1_3gpuE8ELNS1_3repE0EEENS1_30default_config_static_selectorELNS0_4arch9wavefront6targetE0EEEvT1_
                                        ; -- End function
	.set _ZN7rocprim17ROCPRIM_400000_NS6detail17trampoline_kernelINS0_14default_configENS1_27scan_by_key_config_selectorIssEEZZNS1_16scan_by_key_implILNS1_25lookback_scan_determinismE0ELb0ES3_N6thrust23THRUST_200600_302600_NS6detail15normal_iteratorINS9_10device_ptrIsEEEESE_SE_sNS9_4plusIvEENS9_8equal_toIvEEsEE10hipError_tPvRmT2_T3_T4_T5_mT6_T7_P12ihipStream_tbENKUlT_T0_E_clISt17integral_constantIbLb0EESY_IbLb1EEEEDaSU_SV_EUlSU_E_NS1_11comp_targetILNS1_3genE4ELNS1_11target_archE910ELNS1_3gpuE8ELNS1_3repE0EEENS1_30default_config_static_selectorELNS0_4arch9wavefront6targetE0EEEvT1_.num_vgpr, 0
	.set _ZN7rocprim17ROCPRIM_400000_NS6detail17trampoline_kernelINS0_14default_configENS1_27scan_by_key_config_selectorIssEEZZNS1_16scan_by_key_implILNS1_25lookback_scan_determinismE0ELb0ES3_N6thrust23THRUST_200600_302600_NS6detail15normal_iteratorINS9_10device_ptrIsEEEESE_SE_sNS9_4plusIvEENS9_8equal_toIvEEsEE10hipError_tPvRmT2_T3_T4_T5_mT6_T7_P12ihipStream_tbENKUlT_T0_E_clISt17integral_constantIbLb0EESY_IbLb1EEEEDaSU_SV_EUlSU_E_NS1_11comp_targetILNS1_3genE4ELNS1_11target_archE910ELNS1_3gpuE8ELNS1_3repE0EEENS1_30default_config_static_selectorELNS0_4arch9wavefront6targetE0EEEvT1_.num_agpr, 0
	.set _ZN7rocprim17ROCPRIM_400000_NS6detail17trampoline_kernelINS0_14default_configENS1_27scan_by_key_config_selectorIssEEZZNS1_16scan_by_key_implILNS1_25lookback_scan_determinismE0ELb0ES3_N6thrust23THRUST_200600_302600_NS6detail15normal_iteratorINS9_10device_ptrIsEEEESE_SE_sNS9_4plusIvEENS9_8equal_toIvEEsEE10hipError_tPvRmT2_T3_T4_T5_mT6_T7_P12ihipStream_tbENKUlT_T0_E_clISt17integral_constantIbLb0EESY_IbLb1EEEEDaSU_SV_EUlSU_E_NS1_11comp_targetILNS1_3genE4ELNS1_11target_archE910ELNS1_3gpuE8ELNS1_3repE0EEENS1_30default_config_static_selectorELNS0_4arch9wavefront6targetE0EEEvT1_.numbered_sgpr, 0
	.set _ZN7rocprim17ROCPRIM_400000_NS6detail17trampoline_kernelINS0_14default_configENS1_27scan_by_key_config_selectorIssEEZZNS1_16scan_by_key_implILNS1_25lookback_scan_determinismE0ELb0ES3_N6thrust23THRUST_200600_302600_NS6detail15normal_iteratorINS9_10device_ptrIsEEEESE_SE_sNS9_4plusIvEENS9_8equal_toIvEEsEE10hipError_tPvRmT2_T3_T4_T5_mT6_T7_P12ihipStream_tbENKUlT_T0_E_clISt17integral_constantIbLb0EESY_IbLb1EEEEDaSU_SV_EUlSU_E_NS1_11comp_targetILNS1_3genE4ELNS1_11target_archE910ELNS1_3gpuE8ELNS1_3repE0EEENS1_30default_config_static_selectorELNS0_4arch9wavefront6targetE0EEEvT1_.num_named_barrier, 0
	.set _ZN7rocprim17ROCPRIM_400000_NS6detail17trampoline_kernelINS0_14default_configENS1_27scan_by_key_config_selectorIssEEZZNS1_16scan_by_key_implILNS1_25lookback_scan_determinismE0ELb0ES3_N6thrust23THRUST_200600_302600_NS6detail15normal_iteratorINS9_10device_ptrIsEEEESE_SE_sNS9_4plusIvEENS9_8equal_toIvEEsEE10hipError_tPvRmT2_T3_T4_T5_mT6_T7_P12ihipStream_tbENKUlT_T0_E_clISt17integral_constantIbLb0EESY_IbLb1EEEEDaSU_SV_EUlSU_E_NS1_11comp_targetILNS1_3genE4ELNS1_11target_archE910ELNS1_3gpuE8ELNS1_3repE0EEENS1_30default_config_static_selectorELNS0_4arch9wavefront6targetE0EEEvT1_.private_seg_size, 0
	.set _ZN7rocprim17ROCPRIM_400000_NS6detail17trampoline_kernelINS0_14default_configENS1_27scan_by_key_config_selectorIssEEZZNS1_16scan_by_key_implILNS1_25lookback_scan_determinismE0ELb0ES3_N6thrust23THRUST_200600_302600_NS6detail15normal_iteratorINS9_10device_ptrIsEEEESE_SE_sNS9_4plusIvEENS9_8equal_toIvEEsEE10hipError_tPvRmT2_T3_T4_T5_mT6_T7_P12ihipStream_tbENKUlT_T0_E_clISt17integral_constantIbLb0EESY_IbLb1EEEEDaSU_SV_EUlSU_E_NS1_11comp_targetILNS1_3genE4ELNS1_11target_archE910ELNS1_3gpuE8ELNS1_3repE0EEENS1_30default_config_static_selectorELNS0_4arch9wavefront6targetE0EEEvT1_.uses_vcc, 0
	.set _ZN7rocprim17ROCPRIM_400000_NS6detail17trampoline_kernelINS0_14default_configENS1_27scan_by_key_config_selectorIssEEZZNS1_16scan_by_key_implILNS1_25lookback_scan_determinismE0ELb0ES3_N6thrust23THRUST_200600_302600_NS6detail15normal_iteratorINS9_10device_ptrIsEEEESE_SE_sNS9_4plusIvEENS9_8equal_toIvEEsEE10hipError_tPvRmT2_T3_T4_T5_mT6_T7_P12ihipStream_tbENKUlT_T0_E_clISt17integral_constantIbLb0EESY_IbLb1EEEEDaSU_SV_EUlSU_E_NS1_11comp_targetILNS1_3genE4ELNS1_11target_archE910ELNS1_3gpuE8ELNS1_3repE0EEENS1_30default_config_static_selectorELNS0_4arch9wavefront6targetE0EEEvT1_.uses_flat_scratch, 0
	.set _ZN7rocprim17ROCPRIM_400000_NS6detail17trampoline_kernelINS0_14default_configENS1_27scan_by_key_config_selectorIssEEZZNS1_16scan_by_key_implILNS1_25lookback_scan_determinismE0ELb0ES3_N6thrust23THRUST_200600_302600_NS6detail15normal_iteratorINS9_10device_ptrIsEEEESE_SE_sNS9_4plusIvEENS9_8equal_toIvEEsEE10hipError_tPvRmT2_T3_T4_T5_mT6_T7_P12ihipStream_tbENKUlT_T0_E_clISt17integral_constantIbLb0EESY_IbLb1EEEEDaSU_SV_EUlSU_E_NS1_11comp_targetILNS1_3genE4ELNS1_11target_archE910ELNS1_3gpuE8ELNS1_3repE0EEENS1_30default_config_static_selectorELNS0_4arch9wavefront6targetE0EEEvT1_.has_dyn_sized_stack, 0
	.set _ZN7rocprim17ROCPRIM_400000_NS6detail17trampoline_kernelINS0_14default_configENS1_27scan_by_key_config_selectorIssEEZZNS1_16scan_by_key_implILNS1_25lookback_scan_determinismE0ELb0ES3_N6thrust23THRUST_200600_302600_NS6detail15normal_iteratorINS9_10device_ptrIsEEEESE_SE_sNS9_4plusIvEENS9_8equal_toIvEEsEE10hipError_tPvRmT2_T3_T4_T5_mT6_T7_P12ihipStream_tbENKUlT_T0_E_clISt17integral_constantIbLb0EESY_IbLb1EEEEDaSU_SV_EUlSU_E_NS1_11comp_targetILNS1_3genE4ELNS1_11target_archE910ELNS1_3gpuE8ELNS1_3repE0EEENS1_30default_config_static_selectorELNS0_4arch9wavefront6targetE0EEEvT1_.has_recursion, 0
	.set _ZN7rocprim17ROCPRIM_400000_NS6detail17trampoline_kernelINS0_14default_configENS1_27scan_by_key_config_selectorIssEEZZNS1_16scan_by_key_implILNS1_25lookback_scan_determinismE0ELb0ES3_N6thrust23THRUST_200600_302600_NS6detail15normal_iteratorINS9_10device_ptrIsEEEESE_SE_sNS9_4plusIvEENS9_8equal_toIvEEsEE10hipError_tPvRmT2_T3_T4_T5_mT6_T7_P12ihipStream_tbENKUlT_T0_E_clISt17integral_constantIbLb0EESY_IbLb1EEEEDaSU_SV_EUlSU_E_NS1_11comp_targetILNS1_3genE4ELNS1_11target_archE910ELNS1_3gpuE8ELNS1_3repE0EEENS1_30default_config_static_selectorELNS0_4arch9wavefront6targetE0EEEvT1_.has_indirect_call, 0
	.section	.AMDGPU.csdata,"",@progbits
; Kernel info:
; codeLenInByte = 0
; TotalNumSgprs: 0
; NumVgprs: 0
; ScratchSize: 0
; MemoryBound: 0
; FloatMode: 240
; IeeeMode: 1
; LDSByteSize: 0 bytes/workgroup (compile time only)
; SGPRBlocks: 0
; VGPRBlocks: 0
; NumSGPRsForWavesPerEU: 1
; NumVGPRsForWavesPerEU: 1
; NamedBarCnt: 0
; Occupancy: 16
; WaveLimiterHint : 0
; COMPUTE_PGM_RSRC2:SCRATCH_EN: 0
; COMPUTE_PGM_RSRC2:USER_SGPR: 2
; COMPUTE_PGM_RSRC2:TRAP_HANDLER: 0
; COMPUTE_PGM_RSRC2:TGID_X_EN: 1
; COMPUTE_PGM_RSRC2:TGID_Y_EN: 0
; COMPUTE_PGM_RSRC2:TGID_Z_EN: 0
; COMPUTE_PGM_RSRC2:TIDIG_COMP_CNT: 0
	.section	.text._ZN7rocprim17ROCPRIM_400000_NS6detail17trampoline_kernelINS0_14default_configENS1_27scan_by_key_config_selectorIssEEZZNS1_16scan_by_key_implILNS1_25lookback_scan_determinismE0ELb0ES3_N6thrust23THRUST_200600_302600_NS6detail15normal_iteratorINS9_10device_ptrIsEEEESE_SE_sNS9_4plusIvEENS9_8equal_toIvEEsEE10hipError_tPvRmT2_T3_T4_T5_mT6_T7_P12ihipStream_tbENKUlT_T0_E_clISt17integral_constantIbLb0EESY_IbLb1EEEEDaSU_SV_EUlSU_E_NS1_11comp_targetILNS1_3genE3ELNS1_11target_archE908ELNS1_3gpuE7ELNS1_3repE0EEENS1_30default_config_static_selectorELNS0_4arch9wavefront6targetE0EEEvT1_,"axG",@progbits,_ZN7rocprim17ROCPRIM_400000_NS6detail17trampoline_kernelINS0_14default_configENS1_27scan_by_key_config_selectorIssEEZZNS1_16scan_by_key_implILNS1_25lookback_scan_determinismE0ELb0ES3_N6thrust23THRUST_200600_302600_NS6detail15normal_iteratorINS9_10device_ptrIsEEEESE_SE_sNS9_4plusIvEENS9_8equal_toIvEEsEE10hipError_tPvRmT2_T3_T4_T5_mT6_T7_P12ihipStream_tbENKUlT_T0_E_clISt17integral_constantIbLb0EESY_IbLb1EEEEDaSU_SV_EUlSU_E_NS1_11comp_targetILNS1_3genE3ELNS1_11target_archE908ELNS1_3gpuE7ELNS1_3repE0EEENS1_30default_config_static_selectorELNS0_4arch9wavefront6targetE0EEEvT1_,comdat
	.protected	_ZN7rocprim17ROCPRIM_400000_NS6detail17trampoline_kernelINS0_14default_configENS1_27scan_by_key_config_selectorIssEEZZNS1_16scan_by_key_implILNS1_25lookback_scan_determinismE0ELb0ES3_N6thrust23THRUST_200600_302600_NS6detail15normal_iteratorINS9_10device_ptrIsEEEESE_SE_sNS9_4plusIvEENS9_8equal_toIvEEsEE10hipError_tPvRmT2_T3_T4_T5_mT6_T7_P12ihipStream_tbENKUlT_T0_E_clISt17integral_constantIbLb0EESY_IbLb1EEEEDaSU_SV_EUlSU_E_NS1_11comp_targetILNS1_3genE3ELNS1_11target_archE908ELNS1_3gpuE7ELNS1_3repE0EEENS1_30default_config_static_selectorELNS0_4arch9wavefront6targetE0EEEvT1_ ; -- Begin function _ZN7rocprim17ROCPRIM_400000_NS6detail17trampoline_kernelINS0_14default_configENS1_27scan_by_key_config_selectorIssEEZZNS1_16scan_by_key_implILNS1_25lookback_scan_determinismE0ELb0ES3_N6thrust23THRUST_200600_302600_NS6detail15normal_iteratorINS9_10device_ptrIsEEEESE_SE_sNS9_4plusIvEENS9_8equal_toIvEEsEE10hipError_tPvRmT2_T3_T4_T5_mT6_T7_P12ihipStream_tbENKUlT_T0_E_clISt17integral_constantIbLb0EESY_IbLb1EEEEDaSU_SV_EUlSU_E_NS1_11comp_targetILNS1_3genE3ELNS1_11target_archE908ELNS1_3gpuE7ELNS1_3repE0EEENS1_30default_config_static_selectorELNS0_4arch9wavefront6targetE0EEEvT1_
	.globl	_ZN7rocprim17ROCPRIM_400000_NS6detail17trampoline_kernelINS0_14default_configENS1_27scan_by_key_config_selectorIssEEZZNS1_16scan_by_key_implILNS1_25lookback_scan_determinismE0ELb0ES3_N6thrust23THRUST_200600_302600_NS6detail15normal_iteratorINS9_10device_ptrIsEEEESE_SE_sNS9_4plusIvEENS9_8equal_toIvEEsEE10hipError_tPvRmT2_T3_T4_T5_mT6_T7_P12ihipStream_tbENKUlT_T0_E_clISt17integral_constantIbLb0EESY_IbLb1EEEEDaSU_SV_EUlSU_E_NS1_11comp_targetILNS1_3genE3ELNS1_11target_archE908ELNS1_3gpuE7ELNS1_3repE0EEENS1_30default_config_static_selectorELNS0_4arch9wavefront6targetE0EEEvT1_
	.p2align	8
	.type	_ZN7rocprim17ROCPRIM_400000_NS6detail17trampoline_kernelINS0_14default_configENS1_27scan_by_key_config_selectorIssEEZZNS1_16scan_by_key_implILNS1_25lookback_scan_determinismE0ELb0ES3_N6thrust23THRUST_200600_302600_NS6detail15normal_iteratorINS9_10device_ptrIsEEEESE_SE_sNS9_4plusIvEENS9_8equal_toIvEEsEE10hipError_tPvRmT2_T3_T4_T5_mT6_T7_P12ihipStream_tbENKUlT_T0_E_clISt17integral_constantIbLb0EESY_IbLb1EEEEDaSU_SV_EUlSU_E_NS1_11comp_targetILNS1_3genE3ELNS1_11target_archE908ELNS1_3gpuE7ELNS1_3repE0EEENS1_30default_config_static_selectorELNS0_4arch9wavefront6targetE0EEEvT1_,@function
_ZN7rocprim17ROCPRIM_400000_NS6detail17trampoline_kernelINS0_14default_configENS1_27scan_by_key_config_selectorIssEEZZNS1_16scan_by_key_implILNS1_25lookback_scan_determinismE0ELb0ES3_N6thrust23THRUST_200600_302600_NS6detail15normal_iteratorINS9_10device_ptrIsEEEESE_SE_sNS9_4plusIvEENS9_8equal_toIvEEsEE10hipError_tPvRmT2_T3_T4_T5_mT6_T7_P12ihipStream_tbENKUlT_T0_E_clISt17integral_constantIbLb0EESY_IbLb1EEEEDaSU_SV_EUlSU_E_NS1_11comp_targetILNS1_3genE3ELNS1_11target_archE908ELNS1_3gpuE7ELNS1_3repE0EEENS1_30default_config_static_selectorELNS0_4arch9wavefront6targetE0EEEvT1_: ; @_ZN7rocprim17ROCPRIM_400000_NS6detail17trampoline_kernelINS0_14default_configENS1_27scan_by_key_config_selectorIssEEZZNS1_16scan_by_key_implILNS1_25lookback_scan_determinismE0ELb0ES3_N6thrust23THRUST_200600_302600_NS6detail15normal_iteratorINS9_10device_ptrIsEEEESE_SE_sNS9_4plusIvEENS9_8equal_toIvEEsEE10hipError_tPvRmT2_T3_T4_T5_mT6_T7_P12ihipStream_tbENKUlT_T0_E_clISt17integral_constantIbLb0EESY_IbLb1EEEEDaSU_SV_EUlSU_E_NS1_11comp_targetILNS1_3genE3ELNS1_11target_archE908ELNS1_3gpuE7ELNS1_3repE0EEENS1_30default_config_static_selectorELNS0_4arch9wavefront6targetE0EEEvT1_
; %bb.0:
	.section	.rodata,"a",@progbits
	.p2align	6, 0x0
	.amdhsa_kernel _ZN7rocprim17ROCPRIM_400000_NS6detail17trampoline_kernelINS0_14default_configENS1_27scan_by_key_config_selectorIssEEZZNS1_16scan_by_key_implILNS1_25lookback_scan_determinismE0ELb0ES3_N6thrust23THRUST_200600_302600_NS6detail15normal_iteratorINS9_10device_ptrIsEEEESE_SE_sNS9_4plusIvEENS9_8equal_toIvEEsEE10hipError_tPvRmT2_T3_T4_T5_mT6_T7_P12ihipStream_tbENKUlT_T0_E_clISt17integral_constantIbLb0EESY_IbLb1EEEEDaSU_SV_EUlSU_E_NS1_11comp_targetILNS1_3genE3ELNS1_11target_archE908ELNS1_3gpuE7ELNS1_3repE0EEENS1_30default_config_static_selectorELNS0_4arch9wavefront6targetE0EEEvT1_
		.amdhsa_group_segment_fixed_size 0
		.amdhsa_private_segment_fixed_size 0
		.amdhsa_kernarg_size 112
		.amdhsa_user_sgpr_count 2
		.amdhsa_user_sgpr_dispatch_ptr 0
		.amdhsa_user_sgpr_queue_ptr 0
		.amdhsa_user_sgpr_kernarg_segment_ptr 1
		.amdhsa_user_sgpr_dispatch_id 0
		.amdhsa_user_sgpr_kernarg_preload_length 0
		.amdhsa_user_sgpr_kernarg_preload_offset 0
		.amdhsa_user_sgpr_private_segment_size 0
		.amdhsa_wavefront_size32 1
		.amdhsa_uses_dynamic_stack 0
		.amdhsa_enable_private_segment 0
		.amdhsa_system_sgpr_workgroup_id_x 1
		.amdhsa_system_sgpr_workgroup_id_y 0
		.amdhsa_system_sgpr_workgroup_id_z 0
		.amdhsa_system_sgpr_workgroup_info 0
		.amdhsa_system_vgpr_workitem_id 0
		.amdhsa_next_free_vgpr 1
		.amdhsa_next_free_sgpr 1
		.amdhsa_named_barrier_count 0
		.amdhsa_reserve_vcc 0
		.amdhsa_float_round_mode_32 0
		.amdhsa_float_round_mode_16_64 0
		.amdhsa_float_denorm_mode_32 3
		.amdhsa_float_denorm_mode_16_64 3
		.amdhsa_fp16_overflow 0
		.amdhsa_memory_ordered 1
		.amdhsa_forward_progress 1
		.amdhsa_inst_pref_size 0
		.amdhsa_round_robin_scheduling 0
		.amdhsa_exception_fp_ieee_invalid_op 0
		.amdhsa_exception_fp_denorm_src 0
		.amdhsa_exception_fp_ieee_div_zero 0
		.amdhsa_exception_fp_ieee_overflow 0
		.amdhsa_exception_fp_ieee_underflow 0
		.amdhsa_exception_fp_ieee_inexact 0
		.amdhsa_exception_int_div_zero 0
	.end_amdhsa_kernel
	.section	.text._ZN7rocprim17ROCPRIM_400000_NS6detail17trampoline_kernelINS0_14default_configENS1_27scan_by_key_config_selectorIssEEZZNS1_16scan_by_key_implILNS1_25lookback_scan_determinismE0ELb0ES3_N6thrust23THRUST_200600_302600_NS6detail15normal_iteratorINS9_10device_ptrIsEEEESE_SE_sNS9_4plusIvEENS9_8equal_toIvEEsEE10hipError_tPvRmT2_T3_T4_T5_mT6_T7_P12ihipStream_tbENKUlT_T0_E_clISt17integral_constantIbLb0EESY_IbLb1EEEEDaSU_SV_EUlSU_E_NS1_11comp_targetILNS1_3genE3ELNS1_11target_archE908ELNS1_3gpuE7ELNS1_3repE0EEENS1_30default_config_static_selectorELNS0_4arch9wavefront6targetE0EEEvT1_,"axG",@progbits,_ZN7rocprim17ROCPRIM_400000_NS6detail17trampoline_kernelINS0_14default_configENS1_27scan_by_key_config_selectorIssEEZZNS1_16scan_by_key_implILNS1_25lookback_scan_determinismE0ELb0ES3_N6thrust23THRUST_200600_302600_NS6detail15normal_iteratorINS9_10device_ptrIsEEEESE_SE_sNS9_4plusIvEENS9_8equal_toIvEEsEE10hipError_tPvRmT2_T3_T4_T5_mT6_T7_P12ihipStream_tbENKUlT_T0_E_clISt17integral_constantIbLb0EESY_IbLb1EEEEDaSU_SV_EUlSU_E_NS1_11comp_targetILNS1_3genE3ELNS1_11target_archE908ELNS1_3gpuE7ELNS1_3repE0EEENS1_30default_config_static_selectorELNS0_4arch9wavefront6targetE0EEEvT1_,comdat
.Lfunc_end276:
	.size	_ZN7rocprim17ROCPRIM_400000_NS6detail17trampoline_kernelINS0_14default_configENS1_27scan_by_key_config_selectorIssEEZZNS1_16scan_by_key_implILNS1_25lookback_scan_determinismE0ELb0ES3_N6thrust23THRUST_200600_302600_NS6detail15normal_iteratorINS9_10device_ptrIsEEEESE_SE_sNS9_4plusIvEENS9_8equal_toIvEEsEE10hipError_tPvRmT2_T3_T4_T5_mT6_T7_P12ihipStream_tbENKUlT_T0_E_clISt17integral_constantIbLb0EESY_IbLb1EEEEDaSU_SV_EUlSU_E_NS1_11comp_targetILNS1_3genE3ELNS1_11target_archE908ELNS1_3gpuE7ELNS1_3repE0EEENS1_30default_config_static_selectorELNS0_4arch9wavefront6targetE0EEEvT1_, .Lfunc_end276-_ZN7rocprim17ROCPRIM_400000_NS6detail17trampoline_kernelINS0_14default_configENS1_27scan_by_key_config_selectorIssEEZZNS1_16scan_by_key_implILNS1_25lookback_scan_determinismE0ELb0ES3_N6thrust23THRUST_200600_302600_NS6detail15normal_iteratorINS9_10device_ptrIsEEEESE_SE_sNS9_4plusIvEENS9_8equal_toIvEEsEE10hipError_tPvRmT2_T3_T4_T5_mT6_T7_P12ihipStream_tbENKUlT_T0_E_clISt17integral_constantIbLb0EESY_IbLb1EEEEDaSU_SV_EUlSU_E_NS1_11comp_targetILNS1_3genE3ELNS1_11target_archE908ELNS1_3gpuE7ELNS1_3repE0EEENS1_30default_config_static_selectorELNS0_4arch9wavefront6targetE0EEEvT1_
                                        ; -- End function
	.set _ZN7rocprim17ROCPRIM_400000_NS6detail17trampoline_kernelINS0_14default_configENS1_27scan_by_key_config_selectorIssEEZZNS1_16scan_by_key_implILNS1_25lookback_scan_determinismE0ELb0ES3_N6thrust23THRUST_200600_302600_NS6detail15normal_iteratorINS9_10device_ptrIsEEEESE_SE_sNS9_4plusIvEENS9_8equal_toIvEEsEE10hipError_tPvRmT2_T3_T4_T5_mT6_T7_P12ihipStream_tbENKUlT_T0_E_clISt17integral_constantIbLb0EESY_IbLb1EEEEDaSU_SV_EUlSU_E_NS1_11comp_targetILNS1_3genE3ELNS1_11target_archE908ELNS1_3gpuE7ELNS1_3repE0EEENS1_30default_config_static_selectorELNS0_4arch9wavefront6targetE0EEEvT1_.num_vgpr, 0
	.set _ZN7rocprim17ROCPRIM_400000_NS6detail17trampoline_kernelINS0_14default_configENS1_27scan_by_key_config_selectorIssEEZZNS1_16scan_by_key_implILNS1_25lookback_scan_determinismE0ELb0ES3_N6thrust23THRUST_200600_302600_NS6detail15normal_iteratorINS9_10device_ptrIsEEEESE_SE_sNS9_4plusIvEENS9_8equal_toIvEEsEE10hipError_tPvRmT2_T3_T4_T5_mT6_T7_P12ihipStream_tbENKUlT_T0_E_clISt17integral_constantIbLb0EESY_IbLb1EEEEDaSU_SV_EUlSU_E_NS1_11comp_targetILNS1_3genE3ELNS1_11target_archE908ELNS1_3gpuE7ELNS1_3repE0EEENS1_30default_config_static_selectorELNS0_4arch9wavefront6targetE0EEEvT1_.num_agpr, 0
	.set _ZN7rocprim17ROCPRIM_400000_NS6detail17trampoline_kernelINS0_14default_configENS1_27scan_by_key_config_selectorIssEEZZNS1_16scan_by_key_implILNS1_25lookback_scan_determinismE0ELb0ES3_N6thrust23THRUST_200600_302600_NS6detail15normal_iteratorINS9_10device_ptrIsEEEESE_SE_sNS9_4plusIvEENS9_8equal_toIvEEsEE10hipError_tPvRmT2_T3_T4_T5_mT6_T7_P12ihipStream_tbENKUlT_T0_E_clISt17integral_constantIbLb0EESY_IbLb1EEEEDaSU_SV_EUlSU_E_NS1_11comp_targetILNS1_3genE3ELNS1_11target_archE908ELNS1_3gpuE7ELNS1_3repE0EEENS1_30default_config_static_selectorELNS0_4arch9wavefront6targetE0EEEvT1_.numbered_sgpr, 0
	.set _ZN7rocprim17ROCPRIM_400000_NS6detail17trampoline_kernelINS0_14default_configENS1_27scan_by_key_config_selectorIssEEZZNS1_16scan_by_key_implILNS1_25lookback_scan_determinismE0ELb0ES3_N6thrust23THRUST_200600_302600_NS6detail15normal_iteratorINS9_10device_ptrIsEEEESE_SE_sNS9_4plusIvEENS9_8equal_toIvEEsEE10hipError_tPvRmT2_T3_T4_T5_mT6_T7_P12ihipStream_tbENKUlT_T0_E_clISt17integral_constantIbLb0EESY_IbLb1EEEEDaSU_SV_EUlSU_E_NS1_11comp_targetILNS1_3genE3ELNS1_11target_archE908ELNS1_3gpuE7ELNS1_3repE0EEENS1_30default_config_static_selectorELNS0_4arch9wavefront6targetE0EEEvT1_.num_named_barrier, 0
	.set _ZN7rocprim17ROCPRIM_400000_NS6detail17trampoline_kernelINS0_14default_configENS1_27scan_by_key_config_selectorIssEEZZNS1_16scan_by_key_implILNS1_25lookback_scan_determinismE0ELb0ES3_N6thrust23THRUST_200600_302600_NS6detail15normal_iteratorINS9_10device_ptrIsEEEESE_SE_sNS9_4plusIvEENS9_8equal_toIvEEsEE10hipError_tPvRmT2_T3_T4_T5_mT6_T7_P12ihipStream_tbENKUlT_T0_E_clISt17integral_constantIbLb0EESY_IbLb1EEEEDaSU_SV_EUlSU_E_NS1_11comp_targetILNS1_3genE3ELNS1_11target_archE908ELNS1_3gpuE7ELNS1_3repE0EEENS1_30default_config_static_selectorELNS0_4arch9wavefront6targetE0EEEvT1_.private_seg_size, 0
	.set _ZN7rocprim17ROCPRIM_400000_NS6detail17trampoline_kernelINS0_14default_configENS1_27scan_by_key_config_selectorIssEEZZNS1_16scan_by_key_implILNS1_25lookback_scan_determinismE0ELb0ES3_N6thrust23THRUST_200600_302600_NS6detail15normal_iteratorINS9_10device_ptrIsEEEESE_SE_sNS9_4plusIvEENS9_8equal_toIvEEsEE10hipError_tPvRmT2_T3_T4_T5_mT6_T7_P12ihipStream_tbENKUlT_T0_E_clISt17integral_constantIbLb0EESY_IbLb1EEEEDaSU_SV_EUlSU_E_NS1_11comp_targetILNS1_3genE3ELNS1_11target_archE908ELNS1_3gpuE7ELNS1_3repE0EEENS1_30default_config_static_selectorELNS0_4arch9wavefront6targetE0EEEvT1_.uses_vcc, 0
	.set _ZN7rocprim17ROCPRIM_400000_NS6detail17trampoline_kernelINS0_14default_configENS1_27scan_by_key_config_selectorIssEEZZNS1_16scan_by_key_implILNS1_25lookback_scan_determinismE0ELb0ES3_N6thrust23THRUST_200600_302600_NS6detail15normal_iteratorINS9_10device_ptrIsEEEESE_SE_sNS9_4plusIvEENS9_8equal_toIvEEsEE10hipError_tPvRmT2_T3_T4_T5_mT6_T7_P12ihipStream_tbENKUlT_T0_E_clISt17integral_constantIbLb0EESY_IbLb1EEEEDaSU_SV_EUlSU_E_NS1_11comp_targetILNS1_3genE3ELNS1_11target_archE908ELNS1_3gpuE7ELNS1_3repE0EEENS1_30default_config_static_selectorELNS0_4arch9wavefront6targetE0EEEvT1_.uses_flat_scratch, 0
	.set _ZN7rocprim17ROCPRIM_400000_NS6detail17trampoline_kernelINS0_14default_configENS1_27scan_by_key_config_selectorIssEEZZNS1_16scan_by_key_implILNS1_25lookback_scan_determinismE0ELb0ES3_N6thrust23THRUST_200600_302600_NS6detail15normal_iteratorINS9_10device_ptrIsEEEESE_SE_sNS9_4plusIvEENS9_8equal_toIvEEsEE10hipError_tPvRmT2_T3_T4_T5_mT6_T7_P12ihipStream_tbENKUlT_T0_E_clISt17integral_constantIbLb0EESY_IbLb1EEEEDaSU_SV_EUlSU_E_NS1_11comp_targetILNS1_3genE3ELNS1_11target_archE908ELNS1_3gpuE7ELNS1_3repE0EEENS1_30default_config_static_selectorELNS0_4arch9wavefront6targetE0EEEvT1_.has_dyn_sized_stack, 0
	.set _ZN7rocprim17ROCPRIM_400000_NS6detail17trampoline_kernelINS0_14default_configENS1_27scan_by_key_config_selectorIssEEZZNS1_16scan_by_key_implILNS1_25lookback_scan_determinismE0ELb0ES3_N6thrust23THRUST_200600_302600_NS6detail15normal_iteratorINS9_10device_ptrIsEEEESE_SE_sNS9_4plusIvEENS9_8equal_toIvEEsEE10hipError_tPvRmT2_T3_T4_T5_mT6_T7_P12ihipStream_tbENKUlT_T0_E_clISt17integral_constantIbLb0EESY_IbLb1EEEEDaSU_SV_EUlSU_E_NS1_11comp_targetILNS1_3genE3ELNS1_11target_archE908ELNS1_3gpuE7ELNS1_3repE0EEENS1_30default_config_static_selectorELNS0_4arch9wavefront6targetE0EEEvT1_.has_recursion, 0
	.set _ZN7rocprim17ROCPRIM_400000_NS6detail17trampoline_kernelINS0_14default_configENS1_27scan_by_key_config_selectorIssEEZZNS1_16scan_by_key_implILNS1_25lookback_scan_determinismE0ELb0ES3_N6thrust23THRUST_200600_302600_NS6detail15normal_iteratorINS9_10device_ptrIsEEEESE_SE_sNS9_4plusIvEENS9_8equal_toIvEEsEE10hipError_tPvRmT2_T3_T4_T5_mT6_T7_P12ihipStream_tbENKUlT_T0_E_clISt17integral_constantIbLb0EESY_IbLb1EEEEDaSU_SV_EUlSU_E_NS1_11comp_targetILNS1_3genE3ELNS1_11target_archE908ELNS1_3gpuE7ELNS1_3repE0EEENS1_30default_config_static_selectorELNS0_4arch9wavefront6targetE0EEEvT1_.has_indirect_call, 0
	.section	.AMDGPU.csdata,"",@progbits
; Kernel info:
; codeLenInByte = 0
; TotalNumSgprs: 0
; NumVgprs: 0
; ScratchSize: 0
; MemoryBound: 0
; FloatMode: 240
; IeeeMode: 1
; LDSByteSize: 0 bytes/workgroup (compile time only)
; SGPRBlocks: 0
; VGPRBlocks: 0
; NumSGPRsForWavesPerEU: 1
; NumVGPRsForWavesPerEU: 1
; NamedBarCnt: 0
; Occupancy: 16
; WaveLimiterHint : 0
; COMPUTE_PGM_RSRC2:SCRATCH_EN: 0
; COMPUTE_PGM_RSRC2:USER_SGPR: 2
; COMPUTE_PGM_RSRC2:TRAP_HANDLER: 0
; COMPUTE_PGM_RSRC2:TGID_X_EN: 1
; COMPUTE_PGM_RSRC2:TGID_Y_EN: 0
; COMPUTE_PGM_RSRC2:TGID_Z_EN: 0
; COMPUTE_PGM_RSRC2:TIDIG_COMP_CNT: 0
	.section	.text._ZN7rocprim17ROCPRIM_400000_NS6detail17trampoline_kernelINS0_14default_configENS1_27scan_by_key_config_selectorIssEEZZNS1_16scan_by_key_implILNS1_25lookback_scan_determinismE0ELb0ES3_N6thrust23THRUST_200600_302600_NS6detail15normal_iteratorINS9_10device_ptrIsEEEESE_SE_sNS9_4plusIvEENS9_8equal_toIvEEsEE10hipError_tPvRmT2_T3_T4_T5_mT6_T7_P12ihipStream_tbENKUlT_T0_E_clISt17integral_constantIbLb0EESY_IbLb1EEEEDaSU_SV_EUlSU_E_NS1_11comp_targetILNS1_3genE2ELNS1_11target_archE906ELNS1_3gpuE6ELNS1_3repE0EEENS1_30default_config_static_selectorELNS0_4arch9wavefront6targetE0EEEvT1_,"axG",@progbits,_ZN7rocprim17ROCPRIM_400000_NS6detail17trampoline_kernelINS0_14default_configENS1_27scan_by_key_config_selectorIssEEZZNS1_16scan_by_key_implILNS1_25lookback_scan_determinismE0ELb0ES3_N6thrust23THRUST_200600_302600_NS6detail15normal_iteratorINS9_10device_ptrIsEEEESE_SE_sNS9_4plusIvEENS9_8equal_toIvEEsEE10hipError_tPvRmT2_T3_T4_T5_mT6_T7_P12ihipStream_tbENKUlT_T0_E_clISt17integral_constantIbLb0EESY_IbLb1EEEEDaSU_SV_EUlSU_E_NS1_11comp_targetILNS1_3genE2ELNS1_11target_archE906ELNS1_3gpuE6ELNS1_3repE0EEENS1_30default_config_static_selectorELNS0_4arch9wavefront6targetE0EEEvT1_,comdat
	.protected	_ZN7rocprim17ROCPRIM_400000_NS6detail17trampoline_kernelINS0_14default_configENS1_27scan_by_key_config_selectorIssEEZZNS1_16scan_by_key_implILNS1_25lookback_scan_determinismE0ELb0ES3_N6thrust23THRUST_200600_302600_NS6detail15normal_iteratorINS9_10device_ptrIsEEEESE_SE_sNS9_4plusIvEENS9_8equal_toIvEEsEE10hipError_tPvRmT2_T3_T4_T5_mT6_T7_P12ihipStream_tbENKUlT_T0_E_clISt17integral_constantIbLb0EESY_IbLb1EEEEDaSU_SV_EUlSU_E_NS1_11comp_targetILNS1_3genE2ELNS1_11target_archE906ELNS1_3gpuE6ELNS1_3repE0EEENS1_30default_config_static_selectorELNS0_4arch9wavefront6targetE0EEEvT1_ ; -- Begin function _ZN7rocprim17ROCPRIM_400000_NS6detail17trampoline_kernelINS0_14default_configENS1_27scan_by_key_config_selectorIssEEZZNS1_16scan_by_key_implILNS1_25lookback_scan_determinismE0ELb0ES3_N6thrust23THRUST_200600_302600_NS6detail15normal_iteratorINS9_10device_ptrIsEEEESE_SE_sNS9_4plusIvEENS9_8equal_toIvEEsEE10hipError_tPvRmT2_T3_T4_T5_mT6_T7_P12ihipStream_tbENKUlT_T0_E_clISt17integral_constantIbLb0EESY_IbLb1EEEEDaSU_SV_EUlSU_E_NS1_11comp_targetILNS1_3genE2ELNS1_11target_archE906ELNS1_3gpuE6ELNS1_3repE0EEENS1_30default_config_static_selectorELNS0_4arch9wavefront6targetE0EEEvT1_
	.globl	_ZN7rocprim17ROCPRIM_400000_NS6detail17trampoline_kernelINS0_14default_configENS1_27scan_by_key_config_selectorIssEEZZNS1_16scan_by_key_implILNS1_25lookback_scan_determinismE0ELb0ES3_N6thrust23THRUST_200600_302600_NS6detail15normal_iteratorINS9_10device_ptrIsEEEESE_SE_sNS9_4plusIvEENS9_8equal_toIvEEsEE10hipError_tPvRmT2_T3_T4_T5_mT6_T7_P12ihipStream_tbENKUlT_T0_E_clISt17integral_constantIbLb0EESY_IbLb1EEEEDaSU_SV_EUlSU_E_NS1_11comp_targetILNS1_3genE2ELNS1_11target_archE906ELNS1_3gpuE6ELNS1_3repE0EEENS1_30default_config_static_selectorELNS0_4arch9wavefront6targetE0EEEvT1_
	.p2align	8
	.type	_ZN7rocprim17ROCPRIM_400000_NS6detail17trampoline_kernelINS0_14default_configENS1_27scan_by_key_config_selectorIssEEZZNS1_16scan_by_key_implILNS1_25lookback_scan_determinismE0ELb0ES3_N6thrust23THRUST_200600_302600_NS6detail15normal_iteratorINS9_10device_ptrIsEEEESE_SE_sNS9_4plusIvEENS9_8equal_toIvEEsEE10hipError_tPvRmT2_T3_T4_T5_mT6_T7_P12ihipStream_tbENKUlT_T0_E_clISt17integral_constantIbLb0EESY_IbLb1EEEEDaSU_SV_EUlSU_E_NS1_11comp_targetILNS1_3genE2ELNS1_11target_archE906ELNS1_3gpuE6ELNS1_3repE0EEENS1_30default_config_static_selectorELNS0_4arch9wavefront6targetE0EEEvT1_,@function
_ZN7rocprim17ROCPRIM_400000_NS6detail17trampoline_kernelINS0_14default_configENS1_27scan_by_key_config_selectorIssEEZZNS1_16scan_by_key_implILNS1_25lookback_scan_determinismE0ELb0ES3_N6thrust23THRUST_200600_302600_NS6detail15normal_iteratorINS9_10device_ptrIsEEEESE_SE_sNS9_4plusIvEENS9_8equal_toIvEEsEE10hipError_tPvRmT2_T3_T4_T5_mT6_T7_P12ihipStream_tbENKUlT_T0_E_clISt17integral_constantIbLb0EESY_IbLb1EEEEDaSU_SV_EUlSU_E_NS1_11comp_targetILNS1_3genE2ELNS1_11target_archE906ELNS1_3gpuE6ELNS1_3repE0EEENS1_30default_config_static_selectorELNS0_4arch9wavefront6targetE0EEEvT1_: ; @_ZN7rocprim17ROCPRIM_400000_NS6detail17trampoline_kernelINS0_14default_configENS1_27scan_by_key_config_selectorIssEEZZNS1_16scan_by_key_implILNS1_25lookback_scan_determinismE0ELb0ES3_N6thrust23THRUST_200600_302600_NS6detail15normal_iteratorINS9_10device_ptrIsEEEESE_SE_sNS9_4plusIvEENS9_8equal_toIvEEsEE10hipError_tPvRmT2_T3_T4_T5_mT6_T7_P12ihipStream_tbENKUlT_T0_E_clISt17integral_constantIbLb0EESY_IbLb1EEEEDaSU_SV_EUlSU_E_NS1_11comp_targetILNS1_3genE2ELNS1_11target_archE906ELNS1_3gpuE6ELNS1_3repE0EEENS1_30default_config_static_selectorELNS0_4arch9wavefront6targetE0EEEvT1_
; %bb.0:
	.section	.rodata,"a",@progbits
	.p2align	6, 0x0
	.amdhsa_kernel _ZN7rocprim17ROCPRIM_400000_NS6detail17trampoline_kernelINS0_14default_configENS1_27scan_by_key_config_selectorIssEEZZNS1_16scan_by_key_implILNS1_25lookback_scan_determinismE0ELb0ES3_N6thrust23THRUST_200600_302600_NS6detail15normal_iteratorINS9_10device_ptrIsEEEESE_SE_sNS9_4plusIvEENS9_8equal_toIvEEsEE10hipError_tPvRmT2_T3_T4_T5_mT6_T7_P12ihipStream_tbENKUlT_T0_E_clISt17integral_constantIbLb0EESY_IbLb1EEEEDaSU_SV_EUlSU_E_NS1_11comp_targetILNS1_3genE2ELNS1_11target_archE906ELNS1_3gpuE6ELNS1_3repE0EEENS1_30default_config_static_selectorELNS0_4arch9wavefront6targetE0EEEvT1_
		.amdhsa_group_segment_fixed_size 0
		.amdhsa_private_segment_fixed_size 0
		.amdhsa_kernarg_size 112
		.amdhsa_user_sgpr_count 2
		.amdhsa_user_sgpr_dispatch_ptr 0
		.amdhsa_user_sgpr_queue_ptr 0
		.amdhsa_user_sgpr_kernarg_segment_ptr 1
		.amdhsa_user_sgpr_dispatch_id 0
		.amdhsa_user_sgpr_kernarg_preload_length 0
		.amdhsa_user_sgpr_kernarg_preload_offset 0
		.amdhsa_user_sgpr_private_segment_size 0
		.amdhsa_wavefront_size32 1
		.amdhsa_uses_dynamic_stack 0
		.amdhsa_enable_private_segment 0
		.amdhsa_system_sgpr_workgroup_id_x 1
		.amdhsa_system_sgpr_workgroup_id_y 0
		.amdhsa_system_sgpr_workgroup_id_z 0
		.amdhsa_system_sgpr_workgroup_info 0
		.amdhsa_system_vgpr_workitem_id 0
		.amdhsa_next_free_vgpr 1
		.amdhsa_next_free_sgpr 1
		.amdhsa_named_barrier_count 0
		.amdhsa_reserve_vcc 0
		.amdhsa_float_round_mode_32 0
		.amdhsa_float_round_mode_16_64 0
		.amdhsa_float_denorm_mode_32 3
		.amdhsa_float_denorm_mode_16_64 3
		.amdhsa_fp16_overflow 0
		.amdhsa_memory_ordered 1
		.amdhsa_forward_progress 1
		.amdhsa_inst_pref_size 0
		.amdhsa_round_robin_scheduling 0
		.amdhsa_exception_fp_ieee_invalid_op 0
		.amdhsa_exception_fp_denorm_src 0
		.amdhsa_exception_fp_ieee_div_zero 0
		.amdhsa_exception_fp_ieee_overflow 0
		.amdhsa_exception_fp_ieee_underflow 0
		.amdhsa_exception_fp_ieee_inexact 0
		.amdhsa_exception_int_div_zero 0
	.end_amdhsa_kernel
	.section	.text._ZN7rocprim17ROCPRIM_400000_NS6detail17trampoline_kernelINS0_14default_configENS1_27scan_by_key_config_selectorIssEEZZNS1_16scan_by_key_implILNS1_25lookback_scan_determinismE0ELb0ES3_N6thrust23THRUST_200600_302600_NS6detail15normal_iteratorINS9_10device_ptrIsEEEESE_SE_sNS9_4plusIvEENS9_8equal_toIvEEsEE10hipError_tPvRmT2_T3_T4_T5_mT6_T7_P12ihipStream_tbENKUlT_T0_E_clISt17integral_constantIbLb0EESY_IbLb1EEEEDaSU_SV_EUlSU_E_NS1_11comp_targetILNS1_3genE2ELNS1_11target_archE906ELNS1_3gpuE6ELNS1_3repE0EEENS1_30default_config_static_selectorELNS0_4arch9wavefront6targetE0EEEvT1_,"axG",@progbits,_ZN7rocprim17ROCPRIM_400000_NS6detail17trampoline_kernelINS0_14default_configENS1_27scan_by_key_config_selectorIssEEZZNS1_16scan_by_key_implILNS1_25lookback_scan_determinismE0ELb0ES3_N6thrust23THRUST_200600_302600_NS6detail15normal_iteratorINS9_10device_ptrIsEEEESE_SE_sNS9_4plusIvEENS9_8equal_toIvEEsEE10hipError_tPvRmT2_T3_T4_T5_mT6_T7_P12ihipStream_tbENKUlT_T0_E_clISt17integral_constantIbLb0EESY_IbLb1EEEEDaSU_SV_EUlSU_E_NS1_11comp_targetILNS1_3genE2ELNS1_11target_archE906ELNS1_3gpuE6ELNS1_3repE0EEENS1_30default_config_static_selectorELNS0_4arch9wavefront6targetE0EEEvT1_,comdat
.Lfunc_end277:
	.size	_ZN7rocprim17ROCPRIM_400000_NS6detail17trampoline_kernelINS0_14default_configENS1_27scan_by_key_config_selectorIssEEZZNS1_16scan_by_key_implILNS1_25lookback_scan_determinismE0ELb0ES3_N6thrust23THRUST_200600_302600_NS6detail15normal_iteratorINS9_10device_ptrIsEEEESE_SE_sNS9_4plusIvEENS9_8equal_toIvEEsEE10hipError_tPvRmT2_T3_T4_T5_mT6_T7_P12ihipStream_tbENKUlT_T0_E_clISt17integral_constantIbLb0EESY_IbLb1EEEEDaSU_SV_EUlSU_E_NS1_11comp_targetILNS1_3genE2ELNS1_11target_archE906ELNS1_3gpuE6ELNS1_3repE0EEENS1_30default_config_static_selectorELNS0_4arch9wavefront6targetE0EEEvT1_, .Lfunc_end277-_ZN7rocprim17ROCPRIM_400000_NS6detail17trampoline_kernelINS0_14default_configENS1_27scan_by_key_config_selectorIssEEZZNS1_16scan_by_key_implILNS1_25lookback_scan_determinismE0ELb0ES3_N6thrust23THRUST_200600_302600_NS6detail15normal_iteratorINS9_10device_ptrIsEEEESE_SE_sNS9_4plusIvEENS9_8equal_toIvEEsEE10hipError_tPvRmT2_T3_T4_T5_mT6_T7_P12ihipStream_tbENKUlT_T0_E_clISt17integral_constantIbLb0EESY_IbLb1EEEEDaSU_SV_EUlSU_E_NS1_11comp_targetILNS1_3genE2ELNS1_11target_archE906ELNS1_3gpuE6ELNS1_3repE0EEENS1_30default_config_static_selectorELNS0_4arch9wavefront6targetE0EEEvT1_
                                        ; -- End function
	.set _ZN7rocprim17ROCPRIM_400000_NS6detail17trampoline_kernelINS0_14default_configENS1_27scan_by_key_config_selectorIssEEZZNS1_16scan_by_key_implILNS1_25lookback_scan_determinismE0ELb0ES3_N6thrust23THRUST_200600_302600_NS6detail15normal_iteratorINS9_10device_ptrIsEEEESE_SE_sNS9_4plusIvEENS9_8equal_toIvEEsEE10hipError_tPvRmT2_T3_T4_T5_mT6_T7_P12ihipStream_tbENKUlT_T0_E_clISt17integral_constantIbLb0EESY_IbLb1EEEEDaSU_SV_EUlSU_E_NS1_11comp_targetILNS1_3genE2ELNS1_11target_archE906ELNS1_3gpuE6ELNS1_3repE0EEENS1_30default_config_static_selectorELNS0_4arch9wavefront6targetE0EEEvT1_.num_vgpr, 0
	.set _ZN7rocprim17ROCPRIM_400000_NS6detail17trampoline_kernelINS0_14default_configENS1_27scan_by_key_config_selectorIssEEZZNS1_16scan_by_key_implILNS1_25lookback_scan_determinismE0ELb0ES3_N6thrust23THRUST_200600_302600_NS6detail15normal_iteratorINS9_10device_ptrIsEEEESE_SE_sNS9_4plusIvEENS9_8equal_toIvEEsEE10hipError_tPvRmT2_T3_T4_T5_mT6_T7_P12ihipStream_tbENKUlT_T0_E_clISt17integral_constantIbLb0EESY_IbLb1EEEEDaSU_SV_EUlSU_E_NS1_11comp_targetILNS1_3genE2ELNS1_11target_archE906ELNS1_3gpuE6ELNS1_3repE0EEENS1_30default_config_static_selectorELNS0_4arch9wavefront6targetE0EEEvT1_.num_agpr, 0
	.set _ZN7rocprim17ROCPRIM_400000_NS6detail17trampoline_kernelINS0_14default_configENS1_27scan_by_key_config_selectorIssEEZZNS1_16scan_by_key_implILNS1_25lookback_scan_determinismE0ELb0ES3_N6thrust23THRUST_200600_302600_NS6detail15normal_iteratorINS9_10device_ptrIsEEEESE_SE_sNS9_4plusIvEENS9_8equal_toIvEEsEE10hipError_tPvRmT2_T3_T4_T5_mT6_T7_P12ihipStream_tbENKUlT_T0_E_clISt17integral_constantIbLb0EESY_IbLb1EEEEDaSU_SV_EUlSU_E_NS1_11comp_targetILNS1_3genE2ELNS1_11target_archE906ELNS1_3gpuE6ELNS1_3repE0EEENS1_30default_config_static_selectorELNS0_4arch9wavefront6targetE0EEEvT1_.numbered_sgpr, 0
	.set _ZN7rocprim17ROCPRIM_400000_NS6detail17trampoline_kernelINS0_14default_configENS1_27scan_by_key_config_selectorIssEEZZNS1_16scan_by_key_implILNS1_25lookback_scan_determinismE0ELb0ES3_N6thrust23THRUST_200600_302600_NS6detail15normal_iteratorINS9_10device_ptrIsEEEESE_SE_sNS9_4plusIvEENS9_8equal_toIvEEsEE10hipError_tPvRmT2_T3_T4_T5_mT6_T7_P12ihipStream_tbENKUlT_T0_E_clISt17integral_constantIbLb0EESY_IbLb1EEEEDaSU_SV_EUlSU_E_NS1_11comp_targetILNS1_3genE2ELNS1_11target_archE906ELNS1_3gpuE6ELNS1_3repE0EEENS1_30default_config_static_selectorELNS0_4arch9wavefront6targetE0EEEvT1_.num_named_barrier, 0
	.set _ZN7rocprim17ROCPRIM_400000_NS6detail17trampoline_kernelINS0_14default_configENS1_27scan_by_key_config_selectorIssEEZZNS1_16scan_by_key_implILNS1_25lookback_scan_determinismE0ELb0ES3_N6thrust23THRUST_200600_302600_NS6detail15normal_iteratorINS9_10device_ptrIsEEEESE_SE_sNS9_4plusIvEENS9_8equal_toIvEEsEE10hipError_tPvRmT2_T3_T4_T5_mT6_T7_P12ihipStream_tbENKUlT_T0_E_clISt17integral_constantIbLb0EESY_IbLb1EEEEDaSU_SV_EUlSU_E_NS1_11comp_targetILNS1_3genE2ELNS1_11target_archE906ELNS1_3gpuE6ELNS1_3repE0EEENS1_30default_config_static_selectorELNS0_4arch9wavefront6targetE0EEEvT1_.private_seg_size, 0
	.set _ZN7rocprim17ROCPRIM_400000_NS6detail17trampoline_kernelINS0_14default_configENS1_27scan_by_key_config_selectorIssEEZZNS1_16scan_by_key_implILNS1_25lookback_scan_determinismE0ELb0ES3_N6thrust23THRUST_200600_302600_NS6detail15normal_iteratorINS9_10device_ptrIsEEEESE_SE_sNS9_4plusIvEENS9_8equal_toIvEEsEE10hipError_tPvRmT2_T3_T4_T5_mT6_T7_P12ihipStream_tbENKUlT_T0_E_clISt17integral_constantIbLb0EESY_IbLb1EEEEDaSU_SV_EUlSU_E_NS1_11comp_targetILNS1_3genE2ELNS1_11target_archE906ELNS1_3gpuE6ELNS1_3repE0EEENS1_30default_config_static_selectorELNS0_4arch9wavefront6targetE0EEEvT1_.uses_vcc, 0
	.set _ZN7rocprim17ROCPRIM_400000_NS6detail17trampoline_kernelINS0_14default_configENS1_27scan_by_key_config_selectorIssEEZZNS1_16scan_by_key_implILNS1_25lookback_scan_determinismE0ELb0ES3_N6thrust23THRUST_200600_302600_NS6detail15normal_iteratorINS9_10device_ptrIsEEEESE_SE_sNS9_4plusIvEENS9_8equal_toIvEEsEE10hipError_tPvRmT2_T3_T4_T5_mT6_T7_P12ihipStream_tbENKUlT_T0_E_clISt17integral_constantIbLb0EESY_IbLb1EEEEDaSU_SV_EUlSU_E_NS1_11comp_targetILNS1_3genE2ELNS1_11target_archE906ELNS1_3gpuE6ELNS1_3repE0EEENS1_30default_config_static_selectorELNS0_4arch9wavefront6targetE0EEEvT1_.uses_flat_scratch, 0
	.set _ZN7rocprim17ROCPRIM_400000_NS6detail17trampoline_kernelINS0_14default_configENS1_27scan_by_key_config_selectorIssEEZZNS1_16scan_by_key_implILNS1_25lookback_scan_determinismE0ELb0ES3_N6thrust23THRUST_200600_302600_NS6detail15normal_iteratorINS9_10device_ptrIsEEEESE_SE_sNS9_4plusIvEENS9_8equal_toIvEEsEE10hipError_tPvRmT2_T3_T4_T5_mT6_T7_P12ihipStream_tbENKUlT_T0_E_clISt17integral_constantIbLb0EESY_IbLb1EEEEDaSU_SV_EUlSU_E_NS1_11comp_targetILNS1_3genE2ELNS1_11target_archE906ELNS1_3gpuE6ELNS1_3repE0EEENS1_30default_config_static_selectorELNS0_4arch9wavefront6targetE0EEEvT1_.has_dyn_sized_stack, 0
	.set _ZN7rocprim17ROCPRIM_400000_NS6detail17trampoline_kernelINS0_14default_configENS1_27scan_by_key_config_selectorIssEEZZNS1_16scan_by_key_implILNS1_25lookback_scan_determinismE0ELb0ES3_N6thrust23THRUST_200600_302600_NS6detail15normal_iteratorINS9_10device_ptrIsEEEESE_SE_sNS9_4plusIvEENS9_8equal_toIvEEsEE10hipError_tPvRmT2_T3_T4_T5_mT6_T7_P12ihipStream_tbENKUlT_T0_E_clISt17integral_constantIbLb0EESY_IbLb1EEEEDaSU_SV_EUlSU_E_NS1_11comp_targetILNS1_3genE2ELNS1_11target_archE906ELNS1_3gpuE6ELNS1_3repE0EEENS1_30default_config_static_selectorELNS0_4arch9wavefront6targetE0EEEvT1_.has_recursion, 0
	.set _ZN7rocprim17ROCPRIM_400000_NS6detail17trampoline_kernelINS0_14default_configENS1_27scan_by_key_config_selectorIssEEZZNS1_16scan_by_key_implILNS1_25lookback_scan_determinismE0ELb0ES3_N6thrust23THRUST_200600_302600_NS6detail15normal_iteratorINS9_10device_ptrIsEEEESE_SE_sNS9_4plusIvEENS9_8equal_toIvEEsEE10hipError_tPvRmT2_T3_T4_T5_mT6_T7_P12ihipStream_tbENKUlT_T0_E_clISt17integral_constantIbLb0EESY_IbLb1EEEEDaSU_SV_EUlSU_E_NS1_11comp_targetILNS1_3genE2ELNS1_11target_archE906ELNS1_3gpuE6ELNS1_3repE0EEENS1_30default_config_static_selectorELNS0_4arch9wavefront6targetE0EEEvT1_.has_indirect_call, 0
	.section	.AMDGPU.csdata,"",@progbits
; Kernel info:
; codeLenInByte = 0
; TotalNumSgprs: 0
; NumVgprs: 0
; ScratchSize: 0
; MemoryBound: 0
; FloatMode: 240
; IeeeMode: 1
; LDSByteSize: 0 bytes/workgroup (compile time only)
; SGPRBlocks: 0
; VGPRBlocks: 0
; NumSGPRsForWavesPerEU: 1
; NumVGPRsForWavesPerEU: 1
; NamedBarCnt: 0
; Occupancy: 16
; WaveLimiterHint : 0
; COMPUTE_PGM_RSRC2:SCRATCH_EN: 0
; COMPUTE_PGM_RSRC2:USER_SGPR: 2
; COMPUTE_PGM_RSRC2:TRAP_HANDLER: 0
; COMPUTE_PGM_RSRC2:TGID_X_EN: 1
; COMPUTE_PGM_RSRC2:TGID_Y_EN: 0
; COMPUTE_PGM_RSRC2:TGID_Z_EN: 0
; COMPUTE_PGM_RSRC2:TIDIG_COMP_CNT: 0
	.section	.text._ZN7rocprim17ROCPRIM_400000_NS6detail17trampoline_kernelINS0_14default_configENS1_27scan_by_key_config_selectorIssEEZZNS1_16scan_by_key_implILNS1_25lookback_scan_determinismE0ELb0ES3_N6thrust23THRUST_200600_302600_NS6detail15normal_iteratorINS9_10device_ptrIsEEEESE_SE_sNS9_4plusIvEENS9_8equal_toIvEEsEE10hipError_tPvRmT2_T3_T4_T5_mT6_T7_P12ihipStream_tbENKUlT_T0_E_clISt17integral_constantIbLb0EESY_IbLb1EEEEDaSU_SV_EUlSU_E_NS1_11comp_targetILNS1_3genE10ELNS1_11target_archE1200ELNS1_3gpuE4ELNS1_3repE0EEENS1_30default_config_static_selectorELNS0_4arch9wavefront6targetE0EEEvT1_,"axG",@progbits,_ZN7rocprim17ROCPRIM_400000_NS6detail17trampoline_kernelINS0_14default_configENS1_27scan_by_key_config_selectorIssEEZZNS1_16scan_by_key_implILNS1_25lookback_scan_determinismE0ELb0ES3_N6thrust23THRUST_200600_302600_NS6detail15normal_iteratorINS9_10device_ptrIsEEEESE_SE_sNS9_4plusIvEENS9_8equal_toIvEEsEE10hipError_tPvRmT2_T3_T4_T5_mT6_T7_P12ihipStream_tbENKUlT_T0_E_clISt17integral_constantIbLb0EESY_IbLb1EEEEDaSU_SV_EUlSU_E_NS1_11comp_targetILNS1_3genE10ELNS1_11target_archE1200ELNS1_3gpuE4ELNS1_3repE0EEENS1_30default_config_static_selectorELNS0_4arch9wavefront6targetE0EEEvT1_,comdat
	.protected	_ZN7rocprim17ROCPRIM_400000_NS6detail17trampoline_kernelINS0_14default_configENS1_27scan_by_key_config_selectorIssEEZZNS1_16scan_by_key_implILNS1_25lookback_scan_determinismE0ELb0ES3_N6thrust23THRUST_200600_302600_NS6detail15normal_iteratorINS9_10device_ptrIsEEEESE_SE_sNS9_4plusIvEENS9_8equal_toIvEEsEE10hipError_tPvRmT2_T3_T4_T5_mT6_T7_P12ihipStream_tbENKUlT_T0_E_clISt17integral_constantIbLb0EESY_IbLb1EEEEDaSU_SV_EUlSU_E_NS1_11comp_targetILNS1_3genE10ELNS1_11target_archE1200ELNS1_3gpuE4ELNS1_3repE0EEENS1_30default_config_static_selectorELNS0_4arch9wavefront6targetE0EEEvT1_ ; -- Begin function _ZN7rocprim17ROCPRIM_400000_NS6detail17trampoline_kernelINS0_14default_configENS1_27scan_by_key_config_selectorIssEEZZNS1_16scan_by_key_implILNS1_25lookback_scan_determinismE0ELb0ES3_N6thrust23THRUST_200600_302600_NS6detail15normal_iteratorINS9_10device_ptrIsEEEESE_SE_sNS9_4plusIvEENS9_8equal_toIvEEsEE10hipError_tPvRmT2_T3_T4_T5_mT6_T7_P12ihipStream_tbENKUlT_T0_E_clISt17integral_constantIbLb0EESY_IbLb1EEEEDaSU_SV_EUlSU_E_NS1_11comp_targetILNS1_3genE10ELNS1_11target_archE1200ELNS1_3gpuE4ELNS1_3repE0EEENS1_30default_config_static_selectorELNS0_4arch9wavefront6targetE0EEEvT1_
	.globl	_ZN7rocprim17ROCPRIM_400000_NS6detail17trampoline_kernelINS0_14default_configENS1_27scan_by_key_config_selectorIssEEZZNS1_16scan_by_key_implILNS1_25lookback_scan_determinismE0ELb0ES3_N6thrust23THRUST_200600_302600_NS6detail15normal_iteratorINS9_10device_ptrIsEEEESE_SE_sNS9_4plusIvEENS9_8equal_toIvEEsEE10hipError_tPvRmT2_T3_T4_T5_mT6_T7_P12ihipStream_tbENKUlT_T0_E_clISt17integral_constantIbLb0EESY_IbLb1EEEEDaSU_SV_EUlSU_E_NS1_11comp_targetILNS1_3genE10ELNS1_11target_archE1200ELNS1_3gpuE4ELNS1_3repE0EEENS1_30default_config_static_selectorELNS0_4arch9wavefront6targetE0EEEvT1_
	.p2align	8
	.type	_ZN7rocprim17ROCPRIM_400000_NS6detail17trampoline_kernelINS0_14default_configENS1_27scan_by_key_config_selectorIssEEZZNS1_16scan_by_key_implILNS1_25lookback_scan_determinismE0ELb0ES3_N6thrust23THRUST_200600_302600_NS6detail15normal_iteratorINS9_10device_ptrIsEEEESE_SE_sNS9_4plusIvEENS9_8equal_toIvEEsEE10hipError_tPvRmT2_T3_T4_T5_mT6_T7_P12ihipStream_tbENKUlT_T0_E_clISt17integral_constantIbLb0EESY_IbLb1EEEEDaSU_SV_EUlSU_E_NS1_11comp_targetILNS1_3genE10ELNS1_11target_archE1200ELNS1_3gpuE4ELNS1_3repE0EEENS1_30default_config_static_selectorELNS0_4arch9wavefront6targetE0EEEvT1_,@function
_ZN7rocprim17ROCPRIM_400000_NS6detail17trampoline_kernelINS0_14default_configENS1_27scan_by_key_config_selectorIssEEZZNS1_16scan_by_key_implILNS1_25lookback_scan_determinismE0ELb0ES3_N6thrust23THRUST_200600_302600_NS6detail15normal_iteratorINS9_10device_ptrIsEEEESE_SE_sNS9_4plusIvEENS9_8equal_toIvEEsEE10hipError_tPvRmT2_T3_T4_T5_mT6_T7_P12ihipStream_tbENKUlT_T0_E_clISt17integral_constantIbLb0EESY_IbLb1EEEEDaSU_SV_EUlSU_E_NS1_11comp_targetILNS1_3genE10ELNS1_11target_archE1200ELNS1_3gpuE4ELNS1_3repE0EEENS1_30default_config_static_selectorELNS0_4arch9wavefront6targetE0EEEvT1_: ; @_ZN7rocprim17ROCPRIM_400000_NS6detail17trampoline_kernelINS0_14default_configENS1_27scan_by_key_config_selectorIssEEZZNS1_16scan_by_key_implILNS1_25lookback_scan_determinismE0ELb0ES3_N6thrust23THRUST_200600_302600_NS6detail15normal_iteratorINS9_10device_ptrIsEEEESE_SE_sNS9_4plusIvEENS9_8equal_toIvEEsEE10hipError_tPvRmT2_T3_T4_T5_mT6_T7_P12ihipStream_tbENKUlT_T0_E_clISt17integral_constantIbLb0EESY_IbLb1EEEEDaSU_SV_EUlSU_E_NS1_11comp_targetILNS1_3genE10ELNS1_11target_archE1200ELNS1_3gpuE4ELNS1_3repE0EEENS1_30default_config_static_selectorELNS0_4arch9wavefront6targetE0EEEvT1_
; %bb.0:
	.section	.rodata,"a",@progbits
	.p2align	6, 0x0
	.amdhsa_kernel _ZN7rocprim17ROCPRIM_400000_NS6detail17trampoline_kernelINS0_14default_configENS1_27scan_by_key_config_selectorIssEEZZNS1_16scan_by_key_implILNS1_25lookback_scan_determinismE0ELb0ES3_N6thrust23THRUST_200600_302600_NS6detail15normal_iteratorINS9_10device_ptrIsEEEESE_SE_sNS9_4plusIvEENS9_8equal_toIvEEsEE10hipError_tPvRmT2_T3_T4_T5_mT6_T7_P12ihipStream_tbENKUlT_T0_E_clISt17integral_constantIbLb0EESY_IbLb1EEEEDaSU_SV_EUlSU_E_NS1_11comp_targetILNS1_3genE10ELNS1_11target_archE1200ELNS1_3gpuE4ELNS1_3repE0EEENS1_30default_config_static_selectorELNS0_4arch9wavefront6targetE0EEEvT1_
		.amdhsa_group_segment_fixed_size 0
		.amdhsa_private_segment_fixed_size 0
		.amdhsa_kernarg_size 112
		.amdhsa_user_sgpr_count 2
		.amdhsa_user_sgpr_dispatch_ptr 0
		.amdhsa_user_sgpr_queue_ptr 0
		.amdhsa_user_sgpr_kernarg_segment_ptr 1
		.amdhsa_user_sgpr_dispatch_id 0
		.amdhsa_user_sgpr_kernarg_preload_length 0
		.amdhsa_user_sgpr_kernarg_preload_offset 0
		.amdhsa_user_sgpr_private_segment_size 0
		.amdhsa_wavefront_size32 1
		.amdhsa_uses_dynamic_stack 0
		.amdhsa_enable_private_segment 0
		.amdhsa_system_sgpr_workgroup_id_x 1
		.amdhsa_system_sgpr_workgroup_id_y 0
		.amdhsa_system_sgpr_workgroup_id_z 0
		.amdhsa_system_sgpr_workgroup_info 0
		.amdhsa_system_vgpr_workitem_id 0
		.amdhsa_next_free_vgpr 1
		.amdhsa_next_free_sgpr 1
		.amdhsa_named_barrier_count 0
		.amdhsa_reserve_vcc 0
		.amdhsa_float_round_mode_32 0
		.amdhsa_float_round_mode_16_64 0
		.amdhsa_float_denorm_mode_32 3
		.amdhsa_float_denorm_mode_16_64 3
		.amdhsa_fp16_overflow 0
		.amdhsa_memory_ordered 1
		.amdhsa_forward_progress 1
		.amdhsa_inst_pref_size 0
		.amdhsa_round_robin_scheduling 0
		.amdhsa_exception_fp_ieee_invalid_op 0
		.amdhsa_exception_fp_denorm_src 0
		.amdhsa_exception_fp_ieee_div_zero 0
		.amdhsa_exception_fp_ieee_overflow 0
		.amdhsa_exception_fp_ieee_underflow 0
		.amdhsa_exception_fp_ieee_inexact 0
		.amdhsa_exception_int_div_zero 0
	.end_amdhsa_kernel
	.section	.text._ZN7rocprim17ROCPRIM_400000_NS6detail17trampoline_kernelINS0_14default_configENS1_27scan_by_key_config_selectorIssEEZZNS1_16scan_by_key_implILNS1_25lookback_scan_determinismE0ELb0ES3_N6thrust23THRUST_200600_302600_NS6detail15normal_iteratorINS9_10device_ptrIsEEEESE_SE_sNS9_4plusIvEENS9_8equal_toIvEEsEE10hipError_tPvRmT2_T3_T4_T5_mT6_T7_P12ihipStream_tbENKUlT_T0_E_clISt17integral_constantIbLb0EESY_IbLb1EEEEDaSU_SV_EUlSU_E_NS1_11comp_targetILNS1_3genE10ELNS1_11target_archE1200ELNS1_3gpuE4ELNS1_3repE0EEENS1_30default_config_static_selectorELNS0_4arch9wavefront6targetE0EEEvT1_,"axG",@progbits,_ZN7rocprim17ROCPRIM_400000_NS6detail17trampoline_kernelINS0_14default_configENS1_27scan_by_key_config_selectorIssEEZZNS1_16scan_by_key_implILNS1_25lookback_scan_determinismE0ELb0ES3_N6thrust23THRUST_200600_302600_NS6detail15normal_iteratorINS9_10device_ptrIsEEEESE_SE_sNS9_4plusIvEENS9_8equal_toIvEEsEE10hipError_tPvRmT2_T3_T4_T5_mT6_T7_P12ihipStream_tbENKUlT_T0_E_clISt17integral_constantIbLb0EESY_IbLb1EEEEDaSU_SV_EUlSU_E_NS1_11comp_targetILNS1_3genE10ELNS1_11target_archE1200ELNS1_3gpuE4ELNS1_3repE0EEENS1_30default_config_static_selectorELNS0_4arch9wavefront6targetE0EEEvT1_,comdat
.Lfunc_end278:
	.size	_ZN7rocprim17ROCPRIM_400000_NS6detail17trampoline_kernelINS0_14default_configENS1_27scan_by_key_config_selectorIssEEZZNS1_16scan_by_key_implILNS1_25lookback_scan_determinismE0ELb0ES3_N6thrust23THRUST_200600_302600_NS6detail15normal_iteratorINS9_10device_ptrIsEEEESE_SE_sNS9_4plusIvEENS9_8equal_toIvEEsEE10hipError_tPvRmT2_T3_T4_T5_mT6_T7_P12ihipStream_tbENKUlT_T0_E_clISt17integral_constantIbLb0EESY_IbLb1EEEEDaSU_SV_EUlSU_E_NS1_11comp_targetILNS1_3genE10ELNS1_11target_archE1200ELNS1_3gpuE4ELNS1_3repE0EEENS1_30default_config_static_selectorELNS0_4arch9wavefront6targetE0EEEvT1_, .Lfunc_end278-_ZN7rocprim17ROCPRIM_400000_NS6detail17trampoline_kernelINS0_14default_configENS1_27scan_by_key_config_selectorIssEEZZNS1_16scan_by_key_implILNS1_25lookback_scan_determinismE0ELb0ES3_N6thrust23THRUST_200600_302600_NS6detail15normal_iteratorINS9_10device_ptrIsEEEESE_SE_sNS9_4plusIvEENS9_8equal_toIvEEsEE10hipError_tPvRmT2_T3_T4_T5_mT6_T7_P12ihipStream_tbENKUlT_T0_E_clISt17integral_constantIbLb0EESY_IbLb1EEEEDaSU_SV_EUlSU_E_NS1_11comp_targetILNS1_3genE10ELNS1_11target_archE1200ELNS1_3gpuE4ELNS1_3repE0EEENS1_30default_config_static_selectorELNS0_4arch9wavefront6targetE0EEEvT1_
                                        ; -- End function
	.set _ZN7rocprim17ROCPRIM_400000_NS6detail17trampoline_kernelINS0_14default_configENS1_27scan_by_key_config_selectorIssEEZZNS1_16scan_by_key_implILNS1_25lookback_scan_determinismE0ELb0ES3_N6thrust23THRUST_200600_302600_NS6detail15normal_iteratorINS9_10device_ptrIsEEEESE_SE_sNS9_4plusIvEENS9_8equal_toIvEEsEE10hipError_tPvRmT2_T3_T4_T5_mT6_T7_P12ihipStream_tbENKUlT_T0_E_clISt17integral_constantIbLb0EESY_IbLb1EEEEDaSU_SV_EUlSU_E_NS1_11comp_targetILNS1_3genE10ELNS1_11target_archE1200ELNS1_3gpuE4ELNS1_3repE0EEENS1_30default_config_static_selectorELNS0_4arch9wavefront6targetE0EEEvT1_.num_vgpr, 0
	.set _ZN7rocprim17ROCPRIM_400000_NS6detail17trampoline_kernelINS0_14default_configENS1_27scan_by_key_config_selectorIssEEZZNS1_16scan_by_key_implILNS1_25lookback_scan_determinismE0ELb0ES3_N6thrust23THRUST_200600_302600_NS6detail15normal_iteratorINS9_10device_ptrIsEEEESE_SE_sNS9_4plusIvEENS9_8equal_toIvEEsEE10hipError_tPvRmT2_T3_T4_T5_mT6_T7_P12ihipStream_tbENKUlT_T0_E_clISt17integral_constantIbLb0EESY_IbLb1EEEEDaSU_SV_EUlSU_E_NS1_11comp_targetILNS1_3genE10ELNS1_11target_archE1200ELNS1_3gpuE4ELNS1_3repE0EEENS1_30default_config_static_selectorELNS0_4arch9wavefront6targetE0EEEvT1_.num_agpr, 0
	.set _ZN7rocprim17ROCPRIM_400000_NS6detail17trampoline_kernelINS0_14default_configENS1_27scan_by_key_config_selectorIssEEZZNS1_16scan_by_key_implILNS1_25lookback_scan_determinismE0ELb0ES3_N6thrust23THRUST_200600_302600_NS6detail15normal_iteratorINS9_10device_ptrIsEEEESE_SE_sNS9_4plusIvEENS9_8equal_toIvEEsEE10hipError_tPvRmT2_T3_T4_T5_mT6_T7_P12ihipStream_tbENKUlT_T0_E_clISt17integral_constantIbLb0EESY_IbLb1EEEEDaSU_SV_EUlSU_E_NS1_11comp_targetILNS1_3genE10ELNS1_11target_archE1200ELNS1_3gpuE4ELNS1_3repE0EEENS1_30default_config_static_selectorELNS0_4arch9wavefront6targetE0EEEvT1_.numbered_sgpr, 0
	.set _ZN7rocprim17ROCPRIM_400000_NS6detail17trampoline_kernelINS0_14default_configENS1_27scan_by_key_config_selectorIssEEZZNS1_16scan_by_key_implILNS1_25lookback_scan_determinismE0ELb0ES3_N6thrust23THRUST_200600_302600_NS6detail15normal_iteratorINS9_10device_ptrIsEEEESE_SE_sNS9_4plusIvEENS9_8equal_toIvEEsEE10hipError_tPvRmT2_T3_T4_T5_mT6_T7_P12ihipStream_tbENKUlT_T0_E_clISt17integral_constantIbLb0EESY_IbLb1EEEEDaSU_SV_EUlSU_E_NS1_11comp_targetILNS1_3genE10ELNS1_11target_archE1200ELNS1_3gpuE4ELNS1_3repE0EEENS1_30default_config_static_selectorELNS0_4arch9wavefront6targetE0EEEvT1_.num_named_barrier, 0
	.set _ZN7rocprim17ROCPRIM_400000_NS6detail17trampoline_kernelINS0_14default_configENS1_27scan_by_key_config_selectorIssEEZZNS1_16scan_by_key_implILNS1_25lookback_scan_determinismE0ELb0ES3_N6thrust23THRUST_200600_302600_NS6detail15normal_iteratorINS9_10device_ptrIsEEEESE_SE_sNS9_4plusIvEENS9_8equal_toIvEEsEE10hipError_tPvRmT2_T3_T4_T5_mT6_T7_P12ihipStream_tbENKUlT_T0_E_clISt17integral_constantIbLb0EESY_IbLb1EEEEDaSU_SV_EUlSU_E_NS1_11comp_targetILNS1_3genE10ELNS1_11target_archE1200ELNS1_3gpuE4ELNS1_3repE0EEENS1_30default_config_static_selectorELNS0_4arch9wavefront6targetE0EEEvT1_.private_seg_size, 0
	.set _ZN7rocprim17ROCPRIM_400000_NS6detail17trampoline_kernelINS0_14default_configENS1_27scan_by_key_config_selectorIssEEZZNS1_16scan_by_key_implILNS1_25lookback_scan_determinismE0ELb0ES3_N6thrust23THRUST_200600_302600_NS6detail15normal_iteratorINS9_10device_ptrIsEEEESE_SE_sNS9_4plusIvEENS9_8equal_toIvEEsEE10hipError_tPvRmT2_T3_T4_T5_mT6_T7_P12ihipStream_tbENKUlT_T0_E_clISt17integral_constantIbLb0EESY_IbLb1EEEEDaSU_SV_EUlSU_E_NS1_11comp_targetILNS1_3genE10ELNS1_11target_archE1200ELNS1_3gpuE4ELNS1_3repE0EEENS1_30default_config_static_selectorELNS0_4arch9wavefront6targetE0EEEvT1_.uses_vcc, 0
	.set _ZN7rocprim17ROCPRIM_400000_NS6detail17trampoline_kernelINS0_14default_configENS1_27scan_by_key_config_selectorIssEEZZNS1_16scan_by_key_implILNS1_25lookback_scan_determinismE0ELb0ES3_N6thrust23THRUST_200600_302600_NS6detail15normal_iteratorINS9_10device_ptrIsEEEESE_SE_sNS9_4plusIvEENS9_8equal_toIvEEsEE10hipError_tPvRmT2_T3_T4_T5_mT6_T7_P12ihipStream_tbENKUlT_T0_E_clISt17integral_constantIbLb0EESY_IbLb1EEEEDaSU_SV_EUlSU_E_NS1_11comp_targetILNS1_3genE10ELNS1_11target_archE1200ELNS1_3gpuE4ELNS1_3repE0EEENS1_30default_config_static_selectorELNS0_4arch9wavefront6targetE0EEEvT1_.uses_flat_scratch, 0
	.set _ZN7rocprim17ROCPRIM_400000_NS6detail17trampoline_kernelINS0_14default_configENS1_27scan_by_key_config_selectorIssEEZZNS1_16scan_by_key_implILNS1_25lookback_scan_determinismE0ELb0ES3_N6thrust23THRUST_200600_302600_NS6detail15normal_iteratorINS9_10device_ptrIsEEEESE_SE_sNS9_4plusIvEENS9_8equal_toIvEEsEE10hipError_tPvRmT2_T3_T4_T5_mT6_T7_P12ihipStream_tbENKUlT_T0_E_clISt17integral_constantIbLb0EESY_IbLb1EEEEDaSU_SV_EUlSU_E_NS1_11comp_targetILNS1_3genE10ELNS1_11target_archE1200ELNS1_3gpuE4ELNS1_3repE0EEENS1_30default_config_static_selectorELNS0_4arch9wavefront6targetE0EEEvT1_.has_dyn_sized_stack, 0
	.set _ZN7rocprim17ROCPRIM_400000_NS6detail17trampoline_kernelINS0_14default_configENS1_27scan_by_key_config_selectorIssEEZZNS1_16scan_by_key_implILNS1_25lookback_scan_determinismE0ELb0ES3_N6thrust23THRUST_200600_302600_NS6detail15normal_iteratorINS9_10device_ptrIsEEEESE_SE_sNS9_4plusIvEENS9_8equal_toIvEEsEE10hipError_tPvRmT2_T3_T4_T5_mT6_T7_P12ihipStream_tbENKUlT_T0_E_clISt17integral_constantIbLb0EESY_IbLb1EEEEDaSU_SV_EUlSU_E_NS1_11comp_targetILNS1_3genE10ELNS1_11target_archE1200ELNS1_3gpuE4ELNS1_3repE0EEENS1_30default_config_static_selectorELNS0_4arch9wavefront6targetE0EEEvT1_.has_recursion, 0
	.set _ZN7rocprim17ROCPRIM_400000_NS6detail17trampoline_kernelINS0_14default_configENS1_27scan_by_key_config_selectorIssEEZZNS1_16scan_by_key_implILNS1_25lookback_scan_determinismE0ELb0ES3_N6thrust23THRUST_200600_302600_NS6detail15normal_iteratorINS9_10device_ptrIsEEEESE_SE_sNS9_4plusIvEENS9_8equal_toIvEEsEE10hipError_tPvRmT2_T3_T4_T5_mT6_T7_P12ihipStream_tbENKUlT_T0_E_clISt17integral_constantIbLb0EESY_IbLb1EEEEDaSU_SV_EUlSU_E_NS1_11comp_targetILNS1_3genE10ELNS1_11target_archE1200ELNS1_3gpuE4ELNS1_3repE0EEENS1_30default_config_static_selectorELNS0_4arch9wavefront6targetE0EEEvT1_.has_indirect_call, 0
	.section	.AMDGPU.csdata,"",@progbits
; Kernel info:
; codeLenInByte = 0
; TotalNumSgprs: 0
; NumVgprs: 0
; ScratchSize: 0
; MemoryBound: 0
; FloatMode: 240
; IeeeMode: 1
; LDSByteSize: 0 bytes/workgroup (compile time only)
; SGPRBlocks: 0
; VGPRBlocks: 0
; NumSGPRsForWavesPerEU: 1
; NumVGPRsForWavesPerEU: 1
; NamedBarCnt: 0
; Occupancy: 16
; WaveLimiterHint : 0
; COMPUTE_PGM_RSRC2:SCRATCH_EN: 0
; COMPUTE_PGM_RSRC2:USER_SGPR: 2
; COMPUTE_PGM_RSRC2:TRAP_HANDLER: 0
; COMPUTE_PGM_RSRC2:TGID_X_EN: 1
; COMPUTE_PGM_RSRC2:TGID_Y_EN: 0
; COMPUTE_PGM_RSRC2:TGID_Z_EN: 0
; COMPUTE_PGM_RSRC2:TIDIG_COMP_CNT: 0
	.section	.text._ZN7rocprim17ROCPRIM_400000_NS6detail17trampoline_kernelINS0_14default_configENS1_27scan_by_key_config_selectorIssEEZZNS1_16scan_by_key_implILNS1_25lookback_scan_determinismE0ELb0ES3_N6thrust23THRUST_200600_302600_NS6detail15normal_iteratorINS9_10device_ptrIsEEEESE_SE_sNS9_4plusIvEENS9_8equal_toIvEEsEE10hipError_tPvRmT2_T3_T4_T5_mT6_T7_P12ihipStream_tbENKUlT_T0_E_clISt17integral_constantIbLb0EESY_IbLb1EEEEDaSU_SV_EUlSU_E_NS1_11comp_targetILNS1_3genE9ELNS1_11target_archE1100ELNS1_3gpuE3ELNS1_3repE0EEENS1_30default_config_static_selectorELNS0_4arch9wavefront6targetE0EEEvT1_,"axG",@progbits,_ZN7rocprim17ROCPRIM_400000_NS6detail17trampoline_kernelINS0_14default_configENS1_27scan_by_key_config_selectorIssEEZZNS1_16scan_by_key_implILNS1_25lookback_scan_determinismE0ELb0ES3_N6thrust23THRUST_200600_302600_NS6detail15normal_iteratorINS9_10device_ptrIsEEEESE_SE_sNS9_4plusIvEENS9_8equal_toIvEEsEE10hipError_tPvRmT2_T3_T4_T5_mT6_T7_P12ihipStream_tbENKUlT_T0_E_clISt17integral_constantIbLb0EESY_IbLb1EEEEDaSU_SV_EUlSU_E_NS1_11comp_targetILNS1_3genE9ELNS1_11target_archE1100ELNS1_3gpuE3ELNS1_3repE0EEENS1_30default_config_static_selectorELNS0_4arch9wavefront6targetE0EEEvT1_,comdat
	.protected	_ZN7rocprim17ROCPRIM_400000_NS6detail17trampoline_kernelINS0_14default_configENS1_27scan_by_key_config_selectorIssEEZZNS1_16scan_by_key_implILNS1_25lookback_scan_determinismE0ELb0ES3_N6thrust23THRUST_200600_302600_NS6detail15normal_iteratorINS9_10device_ptrIsEEEESE_SE_sNS9_4plusIvEENS9_8equal_toIvEEsEE10hipError_tPvRmT2_T3_T4_T5_mT6_T7_P12ihipStream_tbENKUlT_T0_E_clISt17integral_constantIbLb0EESY_IbLb1EEEEDaSU_SV_EUlSU_E_NS1_11comp_targetILNS1_3genE9ELNS1_11target_archE1100ELNS1_3gpuE3ELNS1_3repE0EEENS1_30default_config_static_selectorELNS0_4arch9wavefront6targetE0EEEvT1_ ; -- Begin function _ZN7rocprim17ROCPRIM_400000_NS6detail17trampoline_kernelINS0_14default_configENS1_27scan_by_key_config_selectorIssEEZZNS1_16scan_by_key_implILNS1_25lookback_scan_determinismE0ELb0ES3_N6thrust23THRUST_200600_302600_NS6detail15normal_iteratorINS9_10device_ptrIsEEEESE_SE_sNS9_4plusIvEENS9_8equal_toIvEEsEE10hipError_tPvRmT2_T3_T4_T5_mT6_T7_P12ihipStream_tbENKUlT_T0_E_clISt17integral_constantIbLb0EESY_IbLb1EEEEDaSU_SV_EUlSU_E_NS1_11comp_targetILNS1_3genE9ELNS1_11target_archE1100ELNS1_3gpuE3ELNS1_3repE0EEENS1_30default_config_static_selectorELNS0_4arch9wavefront6targetE0EEEvT1_
	.globl	_ZN7rocprim17ROCPRIM_400000_NS6detail17trampoline_kernelINS0_14default_configENS1_27scan_by_key_config_selectorIssEEZZNS1_16scan_by_key_implILNS1_25lookback_scan_determinismE0ELb0ES3_N6thrust23THRUST_200600_302600_NS6detail15normal_iteratorINS9_10device_ptrIsEEEESE_SE_sNS9_4plusIvEENS9_8equal_toIvEEsEE10hipError_tPvRmT2_T3_T4_T5_mT6_T7_P12ihipStream_tbENKUlT_T0_E_clISt17integral_constantIbLb0EESY_IbLb1EEEEDaSU_SV_EUlSU_E_NS1_11comp_targetILNS1_3genE9ELNS1_11target_archE1100ELNS1_3gpuE3ELNS1_3repE0EEENS1_30default_config_static_selectorELNS0_4arch9wavefront6targetE0EEEvT1_
	.p2align	8
	.type	_ZN7rocprim17ROCPRIM_400000_NS6detail17trampoline_kernelINS0_14default_configENS1_27scan_by_key_config_selectorIssEEZZNS1_16scan_by_key_implILNS1_25lookback_scan_determinismE0ELb0ES3_N6thrust23THRUST_200600_302600_NS6detail15normal_iteratorINS9_10device_ptrIsEEEESE_SE_sNS9_4plusIvEENS9_8equal_toIvEEsEE10hipError_tPvRmT2_T3_T4_T5_mT6_T7_P12ihipStream_tbENKUlT_T0_E_clISt17integral_constantIbLb0EESY_IbLb1EEEEDaSU_SV_EUlSU_E_NS1_11comp_targetILNS1_3genE9ELNS1_11target_archE1100ELNS1_3gpuE3ELNS1_3repE0EEENS1_30default_config_static_selectorELNS0_4arch9wavefront6targetE0EEEvT1_,@function
_ZN7rocprim17ROCPRIM_400000_NS6detail17trampoline_kernelINS0_14default_configENS1_27scan_by_key_config_selectorIssEEZZNS1_16scan_by_key_implILNS1_25lookback_scan_determinismE0ELb0ES3_N6thrust23THRUST_200600_302600_NS6detail15normal_iteratorINS9_10device_ptrIsEEEESE_SE_sNS9_4plusIvEENS9_8equal_toIvEEsEE10hipError_tPvRmT2_T3_T4_T5_mT6_T7_P12ihipStream_tbENKUlT_T0_E_clISt17integral_constantIbLb0EESY_IbLb1EEEEDaSU_SV_EUlSU_E_NS1_11comp_targetILNS1_3genE9ELNS1_11target_archE1100ELNS1_3gpuE3ELNS1_3repE0EEENS1_30default_config_static_selectorELNS0_4arch9wavefront6targetE0EEEvT1_: ; @_ZN7rocprim17ROCPRIM_400000_NS6detail17trampoline_kernelINS0_14default_configENS1_27scan_by_key_config_selectorIssEEZZNS1_16scan_by_key_implILNS1_25lookback_scan_determinismE0ELb0ES3_N6thrust23THRUST_200600_302600_NS6detail15normal_iteratorINS9_10device_ptrIsEEEESE_SE_sNS9_4plusIvEENS9_8equal_toIvEEsEE10hipError_tPvRmT2_T3_T4_T5_mT6_T7_P12ihipStream_tbENKUlT_T0_E_clISt17integral_constantIbLb0EESY_IbLb1EEEEDaSU_SV_EUlSU_E_NS1_11comp_targetILNS1_3genE9ELNS1_11target_archE1100ELNS1_3gpuE3ELNS1_3repE0EEENS1_30default_config_static_selectorELNS0_4arch9wavefront6targetE0EEEvT1_
; %bb.0:
	.section	.rodata,"a",@progbits
	.p2align	6, 0x0
	.amdhsa_kernel _ZN7rocprim17ROCPRIM_400000_NS6detail17trampoline_kernelINS0_14default_configENS1_27scan_by_key_config_selectorIssEEZZNS1_16scan_by_key_implILNS1_25lookback_scan_determinismE0ELb0ES3_N6thrust23THRUST_200600_302600_NS6detail15normal_iteratorINS9_10device_ptrIsEEEESE_SE_sNS9_4plusIvEENS9_8equal_toIvEEsEE10hipError_tPvRmT2_T3_T4_T5_mT6_T7_P12ihipStream_tbENKUlT_T0_E_clISt17integral_constantIbLb0EESY_IbLb1EEEEDaSU_SV_EUlSU_E_NS1_11comp_targetILNS1_3genE9ELNS1_11target_archE1100ELNS1_3gpuE3ELNS1_3repE0EEENS1_30default_config_static_selectorELNS0_4arch9wavefront6targetE0EEEvT1_
		.amdhsa_group_segment_fixed_size 0
		.amdhsa_private_segment_fixed_size 0
		.amdhsa_kernarg_size 112
		.amdhsa_user_sgpr_count 2
		.amdhsa_user_sgpr_dispatch_ptr 0
		.amdhsa_user_sgpr_queue_ptr 0
		.amdhsa_user_sgpr_kernarg_segment_ptr 1
		.amdhsa_user_sgpr_dispatch_id 0
		.amdhsa_user_sgpr_kernarg_preload_length 0
		.amdhsa_user_sgpr_kernarg_preload_offset 0
		.amdhsa_user_sgpr_private_segment_size 0
		.amdhsa_wavefront_size32 1
		.amdhsa_uses_dynamic_stack 0
		.amdhsa_enable_private_segment 0
		.amdhsa_system_sgpr_workgroup_id_x 1
		.amdhsa_system_sgpr_workgroup_id_y 0
		.amdhsa_system_sgpr_workgroup_id_z 0
		.amdhsa_system_sgpr_workgroup_info 0
		.amdhsa_system_vgpr_workitem_id 0
		.amdhsa_next_free_vgpr 1
		.amdhsa_next_free_sgpr 1
		.amdhsa_named_barrier_count 0
		.amdhsa_reserve_vcc 0
		.amdhsa_float_round_mode_32 0
		.amdhsa_float_round_mode_16_64 0
		.amdhsa_float_denorm_mode_32 3
		.amdhsa_float_denorm_mode_16_64 3
		.amdhsa_fp16_overflow 0
		.amdhsa_memory_ordered 1
		.amdhsa_forward_progress 1
		.amdhsa_inst_pref_size 0
		.amdhsa_round_robin_scheduling 0
		.amdhsa_exception_fp_ieee_invalid_op 0
		.amdhsa_exception_fp_denorm_src 0
		.amdhsa_exception_fp_ieee_div_zero 0
		.amdhsa_exception_fp_ieee_overflow 0
		.amdhsa_exception_fp_ieee_underflow 0
		.amdhsa_exception_fp_ieee_inexact 0
		.amdhsa_exception_int_div_zero 0
	.end_amdhsa_kernel
	.section	.text._ZN7rocprim17ROCPRIM_400000_NS6detail17trampoline_kernelINS0_14default_configENS1_27scan_by_key_config_selectorIssEEZZNS1_16scan_by_key_implILNS1_25lookback_scan_determinismE0ELb0ES3_N6thrust23THRUST_200600_302600_NS6detail15normal_iteratorINS9_10device_ptrIsEEEESE_SE_sNS9_4plusIvEENS9_8equal_toIvEEsEE10hipError_tPvRmT2_T3_T4_T5_mT6_T7_P12ihipStream_tbENKUlT_T0_E_clISt17integral_constantIbLb0EESY_IbLb1EEEEDaSU_SV_EUlSU_E_NS1_11comp_targetILNS1_3genE9ELNS1_11target_archE1100ELNS1_3gpuE3ELNS1_3repE0EEENS1_30default_config_static_selectorELNS0_4arch9wavefront6targetE0EEEvT1_,"axG",@progbits,_ZN7rocprim17ROCPRIM_400000_NS6detail17trampoline_kernelINS0_14default_configENS1_27scan_by_key_config_selectorIssEEZZNS1_16scan_by_key_implILNS1_25lookback_scan_determinismE0ELb0ES3_N6thrust23THRUST_200600_302600_NS6detail15normal_iteratorINS9_10device_ptrIsEEEESE_SE_sNS9_4plusIvEENS9_8equal_toIvEEsEE10hipError_tPvRmT2_T3_T4_T5_mT6_T7_P12ihipStream_tbENKUlT_T0_E_clISt17integral_constantIbLb0EESY_IbLb1EEEEDaSU_SV_EUlSU_E_NS1_11comp_targetILNS1_3genE9ELNS1_11target_archE1100ELNS1_3gpuE3ELNS1_3repE0EEENS1_30default_config_static_selectorELNS0_4arch9wavefront6targetE0EEEvT1_,comdat
.Lfunc_end279:
	.size	_ZN7rocprim17ROCPRIM_400000_NS6detail17trampoline_kernelINS0_14default_configENS1_27scan_by_key_config_selectorIssEEZZNS1_16scan_by_key_implILNS1_25lookback_scan_determinismE0ELb0ES3_N6thrust23THRUST_200600_302600_NS6detail15normal_iteratorINS9_10device_ptrIsEEEESE_SE_sNS9_4plusIvEENS9_8equal_toIvEEsEE10hipError_tPvRmT2_T3_T4_T5_mT6_T7_P12ihipStream_tbENKUlT_T0_E_clISt17integral_constantIbLb0EESY_IbLb1EEEEDaSU_SV_EUlSU_E_NS1_11comp_targetILNS1_3genE9ELNS1_11target_archE1100ELNS1_3gpuE3ELNS1_3repE0EEENS1_30default_config_static_selectorELNS0_4arch9wavefront6targetE0EEEvT1_, .Lfunc_end279-_ZN7rocprim17ROCPRIM_400000_NS6detail17trampoline_kernelINS0_14default_configENS1_27scan_by_key_config_selectorIssEEZZNS1_16scan_by_key_implILNS1_25lookback_scan_determinismE0ELb0ES3_N6thrust23THRUST_200600_302600_NS6detail15normal_iteratorINS9_10device_ptrIsEEEESE_SE_sNS9_4plusIvEENS9_8equal_toIvEEsEE10hipError_tPvRmT2_T3_T4_T5_mT6_T7_P12ihipStream_tbENKUlT_T0_E_clISt17integral_constantIbLb0EESY_IbLb1EEEEDaSU_SV_EUlSU_E_NS1_11comp_targetILNS1_3genE9ELNS1_11target_archE1100ELNS1_3gpuE3ELNS1_3repE0EEENS1_30default_config_static_selectorELNS0_4arch9wavefront6targetE0EEEvT1_
                                        ; -- End function
	.set _ZN7rocprim17ROCPRIM_400000_NS6detail17trampoline_kernelINS0_14default_configENS1_27scan_by_key_config_selectorIssEEZZNS1_16scan_by_key_implILNS1_25lookback_scan_determinismE0ELb0ES3_N6thrust23THRUST_200600_302600_NS6detail15normal_iteratorINS9_10device_ptrIsEEEESE_SE_sNS9_4plusIvEENS9_8equal_toIvEEsEE10hipError_tPvRmT2_T3_T4_T5_mT6_T7_P12ihipStream_tbENKUlT_T0_E_clISt17integral_constantIbLb0EESY_IbLb1EEEEDaSU_SV_EUlSU_E_NS1_11comp_targetILNS1_3genE9ELNS1_11target_archE1100ELNS1_3gpuE3ELNS1_3repE0EEENS1_30default_config_static_selectorELNS0_4arch9wavefront6targetE0EEEvT1_.num_vgpr, 0
	.set _ZN7rocprim17ROCPRIM_400000_NS6detail17trampoline_kernelINS0_14default_configENS1_27scan_by_key_config_selectorIssEEZZNS1_16scan_by_key_implILNS1_25lookback_scan_determinismE0ELb0ES3_N6thrust23THRUST_200600_302600_NS6detail15normal_iteratorINS9_10device_ptrIsEEEESE_SE_sNS9_4plusIvEENS9_8equal_toIvEEsEE10hipError_tPvRmT2_T3_T4_T5_mT6_T7_P12ihipStream_tbENKUlT_T0_E_clISt17integral_constantIbLb0EESY_IbLb1EEEEDaSU_SV_EUlSU_E_NS1_11comp_targetILNS1_3genE9ELNS1_11target_archE1100ELNS1_3gpuE3ELNS1_3repE0EEENS1_30default_config_static_selectorELNS0_4arch9wavefront6targetE0EEEvT1_.num_agpr, 0
	.set _ZN7rocprim17ROCPRIM_400000_NS6detail17trampoline_kernelINS0_14default_configENS1_27scan_by_key_config_selectorIssEEZZNS1_16scan_by_key_implILNS1_25lookback_scan_determinismE0ELb0ES3_N6thrust23THRUST_200600_302600_NS6detail15normal_iteratorINS9_10device_ptrIsEEEESE_SE_sNS9_4plusIvEENS9_8equal_toIvEEsEE10hipError_tPvRmT2_T3_T4_T5_mT6_T7_P12ihipStream_tbENKUlT_T0_E_clISt17integral_constantIbLb0EESY_IbLb1EEEEDaSU_SV_EUlSU_E_NS1_11comp_targetILNS1_3genE9ELNS1_11target_archE1100ELNS1_3gpuE3ELNS1_3repE0EEENS1_30default_config_static_selectorELNS0_4arch9wavefront6targetE0EEEvT1_.numbered_sgpr, 0
	.set _ZN7rocprim17ROCPRIM_400000_NS6detail17trampoline_kernelINS0_14default_configENS1_27scan_by_key_config_selectorIssEEZZNS1_16scan_by_key_implILNS1_25lookback_scan_determinismE0ELb0ES3_N6thrust23THRUST_200600_302600_NS6detail15normal_iteratorINS9_10device_ptrIsEEEESE_SE_sNS9_4plusIvEENS9_8equal_toIvEEsEE10hipError_tPvRmT2_T3_T4_T5_mT6_T7_P12ihipStream_tbENKUlT_T0_E_clISt17integral_constantIbLb0EESY_IbLb1EEEEDaSU_SV_EUlSU_E_NS1_11comp_targetILNS1_3genE9ELNS1_11target_archE1100ELNS1_3gpuE3ELNS1_3repE0EEENS1_30default_config_static_selectorELNS0_4arch9wavefront6targetE0EEEvT1_.num_named_barrier, 0
	.set _ZN7rocprim17ROCPRIM_400000_NS6detail17trampoline_kernelINS0_14default_configENS1_27scan_by_key_config_selectorIssEEZZNS1_16scan_by_key_implILNS1_25lookback_scan_determinismE0ELb0ES3_N6thrust23THRUST_200600_302600_NS6detail15normal_iteratorINS9_10device_ptrIsEEEESE_SE_sNS9_4plusIvEENS9_8equal_toIvEEsEE10hipError_tPvRmT2_T3_T4_T5_mT6_T7_P12ihipStream_tbENKUlT_T0_E_clISt17integral_constantIbLb0EESY_IbLb1EEEEDaSU_SV_EUlSU_E_NS1_11comp_targetILNS1_3genE9ELNS1_11target_archE1100ELNS1_3gpuE3ELNS1_3repE0EEENS1_30default_config_static_selectorELNS0_4arch9wavefront6targetE0EEEvT1_.private_seg_size, 0
	.set _ZN7rocprim17ROCPRIM_400000_NS6detail17trampoline_kernelINS0_14default_configENS1_27scan_by_key_config_selectorIssEEZZNS1_16scan_by_key_implILNS1_25lookback_scan_determinismE0ELb0ES3_N6thrust23THRUST_200600_302600_NS6detail15normal_iteratorINS9_10device_ptrIsEEEESE_SE_sNS9_4plusIvEENS9_8equal_toIvEEsEE10hipError_tPvRmT2_T3_T4_T5_mT6_T7_P12ihipStream_tbENKUlT_T0_E_clISt17integral_constantIbLb0EESY_IbLb1EEEEDaSU_SV_EUlSU_E_NS1_11comp_targetILNS1_3genE9ELNS1_11target_archE1100ELNS1_3gpuE3ELNS1_3repE0EEENS1_30default_config_static_selectorELNS0_4arch9wavefront6targetE0EEEvT1_.uses_vcc, 0
	.set _ZN7rocprim17ROCPRIM_400000_NS6detail17trampoline_kernelINS0_14default_configENS1_27scan_by_key_config_selectorIssEEZZNS1_16scan_by_key_implILNS1_25lookback_scan_determinismE0ELb0ES3_N6thrust23THRUST_200600_302600_NS6detail15normal_iteratorINS9_10device_ptrIsEEEESE_SE_sNS9_4plusIvEENS9_8equal_toIvEEsEE10hipError_tPvRmT2_T3_T4_T5_mT6_T7_P12ihipStream_tbENKUlT_T0_E_clISt17integral_constantIbLb0EESY_IbLb1EEEEDaSU_SV_EUlSU_E_NS1_11comp_targetILNS1_3genE9ELNS1_11target_archE1100ELNS1_3gpuE3ELNS1_3repE0EEENS1_30default_config_static_selectorELNS0_4arch9wavefront6targetE0EEEvT1_.uses_flat_scratch, 0
	.set _ZN7rocprim17ROCPRIM_400000_NS6detail17trampoline_kernelINS0_14default_configENS1_27scan_by_key_config_selectorIssEEZZNS1_16scan_by_key_implILNS1_25lookback_scan_determinismE0ELb0ES3_N6thrust23THRUST_200600_302600_NS6detail15normal_iteratorINS9_10device_ptrIsEEEESE_SE_sNS9_4plusIvEENS9_8equal_toIvEEsEE10hipError_tPvRmT2_T3_T4_T5_mT6_T7_P12ihipStream_tbENKUlT_T0_E_clISt17integral_constantIbLb0EESY_IbLb1EEEEDaSU_SV_EUlSU_E_NS1_11comp_targetILNS1_3genE9ELNS1_11target_archE1100ELNS1_3gpuE3ELNS1_3repE0EEENS1_30default_config_static_selectorELNS0_4arch9wavefront6targetE0EEEvT1_.has_dyn_sized_stack, 0
	.set _ZN7rocprim17ROCPRIM_400000_NS6detail17trampoline_kernelINS0_14default_configENS1_27scan_by_key_config_selectorIssEEZZNS1_16scan_by_key_implILNS1_25lookback_scan_determinismE0ELb0ES3_N6thrust23THRUST_200600_302600_NS6detail15normal_iteratorINS9_10device_ptrIsEEEESE_SE_sNS9_4plusIvEENS9_8equal_toIvEEsEE10hipError_tPvRmT2_T3_T4_T5_mT6_T7_P12ihipStream_tbENKUlT_T0_E_clISt17integral_constantIbLb0EESY_IbLb1EEEEDaSU_SV_EUlSU_E_NS1_11comp_targetILNS1_3genE9ELNS1_11target_archE1100ELNS1_3gpuE3ELNS1_3repE0EEENS1_30default_config_static_selectorELNS0_4arch9wavefront6targetE0EEEvT1_.has_recursion, 0
	.set _ZN7rocprim17ROCPRIM_400000_NS6detail17trampoline_kernelINS0_14default_configENS1_27scan_by_key_config_selectorIssEEZZNS1_16scan_by_key_implILNS1_25lookback_scan_determinismE0ELb0ES3_N6thrust23THRUST_200600_302600_NS6detail15normal_iteratorINS9_10device_ptrIsEEEESE_SE_sNS9_4plusIvEENS9_8equal_toIvEEsEE10hipError_tPvRmT2_T3_T4_T5_mT6_T7_P12ihipStream_tbENKUlT_T0_E_clISt17integral_constantIbLb0EESY_IbLb1EEEEDaSU_SV_EUlSU_E_NS1_11comp_targetILNS1_3genE9ELNS1_11target_archE1100ELNS1_3gpuE3ELNS1_3repE0EEENS1_30default_config_static_selectorELNS0_4arch9wavefront6targetE0EEEvT1_.has_indirect_call, 0
	.section	.AMDGPU.csdata,"",@progbits
; Kernel info:
; codeLenInByte = 0
; TotalNumSgprs: 0
; NumVgprs: 0
; ScratchSize: 0
; MemoryBound: 0
; FloatMode: 240
; IeeeMode: 1
; LDSByteSize: 0 bytes/workgroup (compile time only)
; SGPRBlocks: 0
; VGPRBlocks: 0
; NumSGPRsForWavesPerEU: 1
; NumVGPRsForWavesPerEU: 1
; NamedBarCnt: 0
; Occupancy: 16
; WaveLimiterHint : 0
; COMPUTE_PGM_RSRC2:SCRATCH_EN: 0
; COMPUTE_PGM_RSRC2:USER_SGPR: 2
; COMPUTE_PGM_RSRC2:TRAP_HANDLER: 0
; COMPUTE_PGM_RSRC2:TGID_X_EN: 1
; COMPUTE_PGM_RSRC2:TGID_Y_EN: 0
; COMPUTE_PGM_RSRC2:TGID_Z_EN: 0
; COMPUTE_PGM_RSRC2:TIDIG_COMP_CNT: 0
	.section	.text._ZN7rocprim17ROCPRIM_400000_NS6detail17trampoline_kernelINS0_14default_configENS1_27scan_by_key_config_selectorIssEEZZNS1_16scan_by_key_implILNS1_25lookback_scan_determinismE0ELb0ES3_N6thrust23THRUST_200600_302600_NS6detail15normal_iteratorINS9_10device_ptrIsEEEESE_SE_sNS9_4plusIvEENS9_8equal_toIvEEsEE10hipError_tPvRmT2_T3_T4_T5_mT6_T7_P12ihipStream_tbENKUlT_T0_E_clISt17integral_constantIbLb0EESY_IbLb1EEEEDaSU_SV_EUlSU_E_NS1_11comp_targetILNS1_3genE8ELNS1_11target_archE1030ELNS1_3gpuE2ELNS1_3repE0EEENS1_30default_config_static_selectorELNS0_4arch9wavefront6targetE0EEEvT1_,"axG",@progbits,_ZN7rocprim17ROCPRIM_400000_NS6detail17trampoline_kernelINS0_14default_configENS1_27scan_by_key_config_selectorIssEEZZNS1_16scan_by_key_implILNS1_25lookback_scan_determinismE0ELb0ES3_N6thrust23THRUST_200600_302600_NS6detail15normal_iteratorINS9_10device_ptrIsEEEESE_SE_sNS9_4plusIvEENS9_8equal_toIvEEsEE10hipError_tPvRmT2_T3_T4_T5_mT6_T7_P12ihipStream_tbENKUlT_T0_E_clISt17integral_constantIbLb0EESY_IbLb1EEEEDaSU_SV_EUlSU_E_NS1_11comp_targetILNS1_3genE8ELNS1_11target_archE1030ELNS1_3gpuE2ELNS1_3repE0EEENS1_30default_config_static_selectorELNS0_4arch9wavefront6targetE0EEEvT1_,comdat
	.protected	_ZN7rocprim17ROCPRIM_400000_NS6detail17trampoline_kernelINS0_14default_configENS1_27scan_by_key_config_selectorIssEEZZNS1_16scan_by_key_implILNS1_25lookback_scan_determinismE0ELb0ES3_N6thrust23THRUST_200600_302600_NS6detail15normal_iteratorINS9_10device_ptrIsEEEESE_SE_sNS9_4plusIvEENS9_8equal_toIvEEsEE10hipError_tPvRmT2_T3_T4_T5_mT6_T7_P12ihipStream_tbENKUlT_T0_E_clISt17integral_constantIbLb0EESY_IbLb1EEEEDaSU_SV_EUlSU_E_NS1_11comp_targetILNS1_3genE8ELNS1_11target_archE1030ELNS1_3gpuE2ELNS1_3repE0EEENS1_30default_config_static_selectorELNS0_4arch9wavefront6targetE0EEEvT1_ ; -- Begin function _ZN7rocprim17ROCPRIM_400000_NS6detail17trampoline_kernelINS0_14default_configENS1_27scan_by_key_config_selectorIssEEZZNS1_16scan_by_key_implILNS1_25lookback_scan_determinismE0ELb0ES3_N6thrust23THRUST_200600_302600_NS6detail15normal_iteratorINS9_10device_ptrIsEEEESE_SE_sNS9_4plusIvEENS9_8equal_toIvEEsEE10hipError_tPvRmT2_T3_T4_T5_mT6_T7_P12ihipStream_tbENKUlT_T0_E_clISt17integral_constantIbLb0EESY_IbLb1EEEEDaSU_SV_EUlSU_E_NS1_11comp_targetILNS1_3genE8ELNS1_11target_archE1030ELNS1_3gpuE2ELNS1_3repE0EEENS1_30default_config_static_selectorELNS0_4arch9wavefront6targetE0EEEvT1_
	.globl	_ZN7rocprim17ROCPRIM_400000_NS6detail17trampoline_kernelINS0_14default_configENS1_27scan_by_key_config_selectorIssEEZZNS1_16scan_by_key_implILNS1_25lookback_scan_determinismE0ELb0ES3_N6thrust23THRUST_200600_302600_NS6detail15normal_iteratorINS9_10device_ptrIsEEEESE_SE_sNS9_4plusIvEENS9_8equal_toIvEEsEE10hipError_tPvRmT2_T3_T4_T5_mT6_T7_P12ihipStream_tbENKUlT_T0_E_clISt17integral_constantIbLb0EESY_IbLb1EEEEDaSU_SV_EUlSU_E_NS1_11comp_targetILNS1_3genE8ELNS1_11target_archE1030ELNS1_3gpuE2ELNS1_3repE0EEENS1_30default_config_static_selectorELNS0_4arch9wavefront6targetE0EEEvT1_
	.p2align	8
	.type	_ZN7rocprim17ROCPRIM_400000_NS6detail17trampoline_kernelINS0_14default_configENS1_27scan_by_key_config_selectorIssEEZZNS1_16scan_by_key_implILNS1_25lookback_scan_determinismE0ELb0ES3_N6thrust23THRUST_200600_302600_NS6detail15normal_iteratorINS9_10device_ptrIsEEEESE_SE_sNS9_4plusIvEENS9_8equal_toIvEEsEE10hipError_tPvRmT2_T3_T4_T5_mT6_T7_P12ihipStream_tbENKUlT_T0_E_clISt17integral_constantIbLb0EESY_IbLb1EEEEDaSU_SV_EUlSU_E_NS1_11comp_targetILNS1_3genE8ELNS1_11target_archE1030ELNS1_3gpuE2ELNS1_3repE0EEENS1_30default_config_static_selectorELNS0_4arch9wavefront6targetE0EEEvT1_,@function
_ZN7rocprim17ROCPRIM_400000_NS6detail17trampoline_kernelINS0_14default_configENS1_27scan_by_key_config_selectorIssEEZZNS1_16scan_by_key_implILNS1_25lookback_scan_determinismE0ELb0ES3_N6thrust23THRUST_200600_302600_NS6detail15normal_iteratorINS9_10device_ptrIsEEEESE_SE_sNS9_4plusIvEENS9_8equal_toIvEEsEE10hipError_tPvRmT2_T3_T4_T5_mT6_T7_P12ihipStream_tbENKUlT_T0_E_clISt17integral_constantIbLb0EESY_IbLb1EEEEDaSU_SV_EUlSU_E_NS1_11comp_targetILNS1_3genE8ELNS1_11target_archE1030ELNS1_3gpuE2ELNS1_3repE0EEENS1_30default_config_static_selectorELNS0_4arch9wavefront6targetE0EEEvT1_: ; @_ZN7rocprim17ROCPRIM_400000_NS6detail17trampoline_kernelINS0_14default_configENS1_27scan_by_key_config_selectorIssEEZZNS1_16scan_by_key_implILNS1_25lookback_scan_determinismE0ELb0ES3_N6thrust23THRUST_200600_302600_NS6detail15normal_iteratorINS9_10device_ptrIsEEEESE_SE_sNS9_4plusIvEENS9_8equal_toIvEEsEE10hipError_tPvRmT2_T3_T4_T5_mT6_T7_P12ihipStream_tbENKUlT_T0_E_clISt17integral_constantIbLb0EESY_IbLb1EEEEDaSU_SV_EUlSU_E_NS1_11comp_targetILNS1_3genE8ELNS1_11target_archE1030ELNS1_3gpuE2ELNS1_3repE0EEENS1_30default_config_static_selectorELNS0_4arch9wavefront6targetE0EEEvT1_
; %bb.0:
	.section	.rodata,"a",@progbits
	.p2align	6, 0x0
	.amdhsa_kernel _ZN7rocprim17ROCPRIM_400000_NS6detail17trampoline_kernelINS0_14default_configENS1_27scan_by_key_config_selectorIssEEZZNS1_16scan_by_key_implILNS1_25lookback_scan_determinismE0ELb0ES3_N6thrust23THRUST_200600_302600_NS6detail15normal_iteratorINS9_10device_ptrIsEEEESE_SE_sNS9_4plusIvEENS9_8equal_toIvEEsEE10hipError_tPvRmT2_T3_T4_T5_mT6_T7_P12ihipStream_tbENKUlT_T0_E_clISt17integral_constantIbLb0EESY_IbLb1EEEEDaSU_SV_EUlSU_E_NS1_11comp_targetILNS1_3genE8ELNS1_11target_archE1030ELNS1_3gpuE2ELNS1_3repE0EEENS1_30default_config_static_selectorELNS0_4arch9wavefront6targetE0EEEvT1_
		.amdhsa_group_segment_fixed_size 0
		.amdhsa_private_segment_fixed_size 0
		.amdhsa_kernarg_size 112
		.amdhsa_user_sgpr_count 2
		.amdhsa_user_sgpr_dispatch_ptr 0
		.amdhsa_user_sgpr_queue_ptr 0
		.amdhsa_user_sgpr_kernarg_segment_ptr 1
		.amdhsa_user_sgpr_dispatch_id 0
		.amdhsa_user_sgpr_kernarg_preload_length 0
		.amdhsa_user_sgpr_kernarg_preload_offset 0
		.amdhsa_user_sgpr_private_segment_size 0
		.amdhsa_wavefront_size32 1
		.amdhsa_uses_dynamic_stack 0
		.amdhsa_enable_private_segment 0
		.amdhsa_system_sgpr_workgroup_id_x 1
		.amdhsa_system_sgpr_workgroup_id_y 0
		.amdhsa_system_sgpr_workgroup_id_z 0
		.amdhsa_system_sgpr_workgroup_info 0
		.amdhsa_system_vgpr_workitem_id 0
		.amdhsa_next_free_vgpr 1
		.amdhsa_next_free_sgpr 1
		.amdhsa_named_barrier_count 0
		.amdhsa_reserve_vcc 0
		.amdhsa_float_round_mode_32 0
		.amdhsa_float_round_mode_16_64 0
		.amdhsa_float_denorm_mode_32 3
		.amdhsa_float_denorm_mode_16_64 3
		.amdhsa_fp16_overflow 0
		.amdhsa_memory_ordered 1
		.amdhsa_forward_progress 1
		.amdhsa_inst_pref_size 0
		.amdhsa_round_robin_scheduling 0
		.amdhsa_exception_fp_ieee_invalid_op 0
		.amdhsa_exception_fp_denorm_src 0
		.amdhsa_exception_fp_ieee_div_zero 0
		.amdhsa_exception_fp_ieee_overflow 0
		.amdhsa_exception_fp_ieee_underflow 0
		.amdhsa_exception_fp_ieee_inexact 0
		.amdhsa_exception_int_div_zero 0
	.end_amdhsa_kernel
	.section	.text._ZN7rocprim17ROCPRIM_400000_NS6detail17trampoline_kernelINS0_14default_configENS1_27scan_by_key_config_selectorIssEEZZNS1_16scan_by_key_implILNS1_25lookback_scan_determinismE0ELb0ES3_N6thrust23THRUST_200600_302600_NS6detail15normal_iteratorINS9_10device_ptrIsEEEESE_SE_sNS9_4plusIvEENS9_8equal_toIvEEsEE10hipError_tPvRmT2_T3_T4_T5_mT6_T7_P12ihipStream_tbENKUlT_T0_E_clISt17integral_constantIbLb0EESY_IbLb1EEEEDaSU_SV_EUlSU_E_NS1_11comp_targetILNS1_3genE8ELNS1_11target_archE1030ELNS1_3gpuE2ELNS1_3repE0EEENS1_30default_config_static_selectorELNS0_4arch9wavefront6targetE0EEEvT1_,"axG",@progbits,_ZN7rocprim17ROCPRIM_400000_NS6detail17trampoline_kernelINS0_14default_configENS1_27scan_by_key_config_selectorIssEEZZNS1_16scan_by_key_implILNS1_25lookback_scan_determinismE0ELb0ES3_N6thrust23THRUST_200600_302600_NS6detail15normal_iteratorINS9_10device_ptrIsEEEESE_SE_sNS9_4plusIvEENS9_8equal_toIvEEsEE10hipError_tPvRmT2_T3_T4_T5_mT6_T7_P12ihipStream_tbENKUlT_T0_E_clISt17integral_constantIbLb0EESY_IbLb1EEEEDaSU_SV_EUlSU_E_NS1_11comp_targetILNS1_3genE8ELNS1_11target_archE1030ELNS1_3gpuE2ELNS1_3repE0EEENS1_30default_config_static_selectorELNS0_4arch9wavefront6targetE0EEEvT1_,comdat
.Lfunc_end280:
	.size	_ZN7rocprim17ROCPRIM_400000_NS6detail17trampoline_kernelINS0_14default_configENS1_27scan_by_key_config_selectorIssEEZZNS1_16scan_by_key_implILNS1_25lookback_scan_determinismE0ELb0ES3_N6thrust23THRUST_200600_302600_NS6detail15normal_iteratorINS9_10device_ptrIsEEEESE_SE_sNS9_4plusIvEENS9_8equal_toIvEEsEE10hipError_tPvRmT2_T3_T4_T5_mT6_T7_P12ihipStream_tbENKUlT_T0_E_clISt17integral_constantIbLb0EESY_IbLb1EEEEDaSU_SV_EUlSU_E_NS1_11comp_targetILNS1_3genE8ELNS1_11target_archE1030ELNS1_3gpuE2ELNS1_3repE0EEENS1_30default_config_static_selectorELNS0_4arch9wavefront6targetE0EEEvT1_, .Lfunc_end280-_ZN7rocprim17ROCPRIM_400000_NS6detail17trampoline_kernelINS0_14default_configENS1_27scan_by_key_config_selectorIssEEZZNS1_16scan_by_key_implILNS1_25lookback_scan_determinismE0ELb0ES3_N6thrust23THRUST_200600_302600_NS6detail15normal_iteratorINS9_10device_ptrIsEEEESE_SE_sNS9_4plusIvEENS9_8equal_toIvEEsEE10hipError_tPvRmT2_T3_T4_T5_mT6_T7_P12ihipStream_tbENKUlT_T0_E_clISt17integral_constantIbLb0EESY_IbLb1EEEEDaSU_SV_EUlSU_E_NS1_11comp_targetILNS1_3genE8ELNS1_11target_archE1030ELNS1_3gpuE2ELNS1_3repE0EEENS1_30default_config_static_selectorELNS0_4arch9wavefront6targetE0EEEvT1_
                                        ; -- End function
	.set _ZN7rocprim17ROCPRIM_400000_NS6detail17trampoline_kernelINS0_14default_configENS1_27scan_by_key_config_selectorIssEEZZNS1_16scan_by_key_implILNS1_25lookback_scan_determinismE0ELb0ES3_N6thrust23THRUST_200600_302600_NS6detail15normal_iteratorINS9_10device_ptrIsEEEESE_SE_sNS9_4plusIvEENS9_8equal_toIvEEsEE10hipError_tPvRmT2_T3_T4_T5_mT6_T7_P12ihipStream_tbENKUlT_T0_E_clISt17integral_constantIbLb0EESY_IbLb1EEEEDaSU_SV_EUlSU_E_NS1_11comp_targetILNS1_3genE8ELNS1_11target_archE1030ELNS1_3gpuE2ELNS1_3repE0EEENS1_30default_config_static_selectorELNS0_4arch9wavefront6targetE0EEEvT1_.num_vgpr, 0
	.set _ZN7rocprim17ROCPRIM_400000_NS6detail17trampoline_kernelINS0_14default_configENS1_27scan_by_key_config_selectorIssEEZZNS1_16scan_by_key_implILNS1_25lookback_scan_determinismE0ELb0ES3_N6thrust23THRUST_200600_302600_NS6detail15normal_iteratorINS9_10device_ptrIsEEEESE_SE_sNS9_4plusIvEENS9_8equal_toIvEEsEE10hipError_tPvRmT2_T3_T4_T5_mT6_T7_P12ihipStream_tbENKUlT_T0_E_clISt17integral_constantIbLb0EESY_IbLb1EEEEDaSU_SV_EUlSU_E_NS1_11comp_targetILNS1_3genE8ELNS1_11target_archE1030ELNS1_3gpuE2ELNS1_3repE0EEENS1_30default_config_static_selectorELNS0_4arch9wavefront6targetE0EEEvT1_.num_agpr, 0
	.set _ZN7rocprim17ROCPRIM_400000_NS6detail17trampoline_kernelINS0_14default_configENS1_27scan_by_key_config_selectorIssEEZZNS1_16scan_by_key_implILNS1_25lookback_scan_determinismE0ELb0ES3_N6thrust23THRUST_200600_302600_NS6detail15normal_iteratorINS9_10device_ptrIsEEEESE_SE_sNS9_4plusIvEENS9_8equal_toIvEEsEE10hipError_tPvRmT2_T3_T4_T5_mT6_T7_P12ihipStream_tbENKUlT_T0_E_clISt17integral_constantIbLb0EESY_IbLb1EEEEDaSU_SV_EUlSU_E_NS1_11comp_targetILNS1_3genE8ELNS1_11target_archE1030ELNS1_3gpuE2ELNS1_3repE0EEENS1_30default_config_static_selectorELNS0_4arch9wavefront6targetE0EEEvT1_.numbered_sgpr, 0
	.set _ZN7rocprim17ROCPRIM_400000_NS6detail17trampoline_kernelINS0_14default_configENS1_27scan_by_key_config_selectorIssEEZZNS1_16scan_by_key_implILNS1_25lookback_scan_determinismE0ELb0ES3_N6thrust23THRUST_200600_302600_NS6detail15normal_iteratorINS9_10device_ptrIsEEEESE_SE_sNS9_4plusIvEENS9_8equal_toIvEEsEE10hipError_tPvRmT2_T3_T4_T5_mT6_T7_P12ihipStream_tbENKUlT_T0_E_clISt17integral_constantIbLb0EESY_IbLb1EEEEDaSU_SV_EUlSU_E_NS1_11comp_targetILNS1_3genE8ELNS1_11target_archE1030ELNS1_3gpuE2ELNS1_3repE0EEENS1_30default_config_static_selectorELNS0_4arch9wavefront6targetE0EEEvT1_.num_named_barrier, 0
	.set _ZN7rocprim17ROCPRIM_400000_NS6detail17trampoline_kernelINS0_14default_configENS1_27scan_by_key_config_selectorIssEEZZNS1_16scan_by_key_implILNS1_25lookback_scan_determinismE0ELb0ES3_N6thrust23THRUST_200600_302600_NS6detail15normal_iteratorINS9_10device_ptrIsEEEESE_SE_sNS9_4plusIvEENS9_8equal_toIvEEsEE10hipError_tPvRmT2_T3_T4_T5_mT6_T7_P12ihipStream_tbENKUlT_T0_E_clISt17integral_constantIbLb0EESY_IbLb1EEEEDaSU_SV_EUlSU_E_NS1_11comp_targetILNS1_3genE8ELNS1_11target_archE1030ELNS1_3gpuE2ELNS1_3repE0EEENS1_30default_config_static_selectorELNS0_4arch9wavefront6targetE0EEEvT1_.private_seg_size, 0
	.set _ZN7rocprim17ROCPRIM_400000_NS6detail17trampoline_kernelINS0_14default_configENS1_27scan_by_key_config_selectorIssEEZZNS1_16scan_by_key_implILNS1_25lookback_scan_determinismE0ELb0ES3_N6thrust23THRUST_200600_302600_NS6detail15normal_iteratorINS9_10device_ptrIsEEEESE_SE_sNS9_4plusIvEENS9_8equal_toIvEEsEE10hipError_tPvRmT2_T3_T4_T5_mT6_T7_P12ihipStream_tbENKUlT_T0_E_clISt17integral_constantIbLb0EESY_IbLb1EEEEDaSU_SV_EUlSU_E_NS1_11comp_targetILNS1_3genE8ELNS1_11target_archE1030ELNS1_3gpuE2ELNS1_3repE0EEENS1_30default_config_static_selectorELNS0_4arch9wavefront6targetE0EEEvT1_.uses_vcc, 0
	.set _ZN7rocprim17ROCPRIM_400000_NS6detail17trampoline_kernelINS0_14default_configENS1_27scan_by_key_config_selectorIssEEZZNS1_16scan_by_key_implILNS1_25lookback_scan_determinismE0ELb0ES3_N6thrust23THRUST_200600_302600_NS6detail15normal_iteratorINS9_10device_ptrIsEEEESE_SE_sNS9_4plusIvEENS9_8equal_toIvEEsEE10hipError_tPvRmT2_T3_T4_T5_mT6_T7_P12ihipStream_tbENKUlT_T0_E_clISt17integral_constantIbLb0EESY_IbLb1EEEEDaSU_SV_EUlSU_E_NS1_11comp_targetILNS1_3genE8ELNS1_11target_archE1030ELNS1_3gpuE2ELNS1_3repE0EEENS1_30default_config_static_selectorELNS0_4arch9wavefront6targetE0EEEvT1_.uses_flat_scratch, 0
	.set _ZN7rocprim17ROCPRIM_400000_NS6detail17trampoline_kernelINS0_14default_configENS1_27scan_by_key_config_selectorIssEEZZNS1_16scan_by_key_implILNS1_25lookback_scan_determinismE0ELb0ES3_N6thrust23THRUST_200600_302600_NS6detail15normal_iteratorINS9_10device_ptrIsEEEESE_SE_sNS9_4plusIvEENS9_8equal_toIvEEsEE10hipError_tPvRmT2_T3_T4_T5_mT6_T7_P12ihipStream_tbENKUlT_T0_E_clISt17integral_constantIbLb0EESY_IbLb1EEEEDaSU_SV_EUlSU_E_NS1_11comp_targetILNS1_3genE8ELNS1_11target_archE1030ELNS1_3gpuE2ELNS1_3repE0EEENS1_30default_config_static_selectorELNS0_4arch9wavefront6targetE0EEEvT1_.has_dyn_sized_stack, 0
	.set _ZN7rocprim17ROCPRIM_400000_NS6detail17trampoline_kernelINS0_14default_configENS1_27scan_by_key_config_selectorIssEEZZNS1_16scan_by_key_implILNS1_25lookback_scan_determinismE0ELb0ES3_N6thrust23THRUST_200600_302600_NS6detail15normal_iteratorINS9_10device_ptrIsEEEESE_SE_sNS9_4plusIvEENS9_8equal_toIvEEsEE10hipError_tPvRmT2_T3_T4_T5_mT6_T7_P12ihipStream_tbENKUlT_T0_E_clISt17integral_constantIbLb0EESY_IbLb1EEEEDaSU_SV_EUlSU_E_NS1_11comp_targetILNS1_3genE8ELNS1_11target_archE1030ELNS1_3gpuE2ELNS1_3repE0EEENS1_30default_config_static_selectorELNS0_4arch9wavefront6targetE0EEEvT1_.has_recursion, 0
	.set _ZN7rocprim17ROCPRIM_400000_NS6detail17trampoline_kernelINS0_14default_configENS1_27scan_by_key_config_selectorIssEEZZNS1_16scan_by_key_implILNS1_25lookback_scan_determinismE0ELb0ES3_N6thrust23THRUST_200600_302600_NS6detail15normal_iteratorINS9_10device_ptrIsEEEESE_SE_sNS9_4plusIvEENS9_8equal_toIvEEsEE10hipError_tPvRmT2_T3_T4_T5_mT6_T7_P12ihipStream_tbENKUlT_T0_E_clISt17integral_constantIbLb0EESY_IbLb1EEEEDaSU_SV_EUlSU_E_NS1_11comp_targetILNS1_3genE8ELNS1_11target_archE1030ELNS1_3gpuE2ELNS1_3repE0EEENS1_30default_config_static_selectorELNS0_4arch9wavefront6targetE0EEEvT1_.has_indirect_call, 0
	.section	.AMDGPU.csdata,"",@progbits
; Kernel info:
; codeLenInByte = 0
; TotalNumSgprs: 0
; NumVgprs: 0
; ScratchSize: 0
; MemoryBound: 0
; FloatMode: 240
; IeeeMode: 1
; LDSByteSize: 0 bytes/workgroup (compile time only)
; SGPRBlocks: 0
; VGPRBlocks: 0
; NumSGPRsForWavesPerEU: 1
; NumVGPRsForWavesPerEU: 1
; NamedBarCnt: 0
; Occupancy: 16
; WaveLimiterHint : 0
; COMPUTE_PGM_RSRC2:SCRATCH_EN: 0
; COMPUTE_PGM_RSRC2:USER_SGPR: 2
; COMPUTE_PGM_RSRC2:TRAP_HANDLER: 0
; COMPUTE_PGM_RSRC2:TGID_X_EN: 1
; COMPUTE_PGM_RSRC2:TGID_Y_EN: 0
; COMPUTE_PGM_RSRC2:TGID_Z_EN: 0
; COMPUTE_PGM_RSRC2:TIDIG_COMP_CNT: 0
	.section	.text._ZN7rocprim17ROCPRIM_400000_NS6detail17trampoline_kernelINS0_14default_configENS1_27scan_by_key_config_selectorIssEEZZNS1_16scan_by_key_implILNS1_25lookback_scan_determinismE0ELb0ES3_N6thrust23THRUST_200600_302600_NS6detail15normal_iteratorINS9_10device_ptrIsEEEESE_SE_sNS9_10multipliesIsEENS9_8equal_toIsEEsEE10hipError_tPvRmT2_T3_T4_T5_mT6_T7_P12ihipStream_tbENKUlT_T0_E_clISt17integral_constantIbLb0EESZ_EEDaSU_SV_EUlSU_E_NS1_11comp_targetILNS1_3genE0ELNS1_11target_archE4294967295ELNS1_3gpuE0ELNS1_3repE0EEENS1_30default_config_static_selectorELNS0_4arch9wavefront6targetE0EEEvT1_,"axG",@progbits,_ZN7rocprim17ROCPRIM_400000_NS6detail17trampoline_kernelINS0_14default_configENS1_27scan_by_key_config_selectorIssEEZZNS1_16scan_by_key_implILNS1_25lookback_scan_determinismE0ELb0ES3_N6thrust23THRUST_200600_302600_NS6detail15normal_iteratorINS9_10device_ptrIsEEEESE_SE_sNS9_10multipliesIsEENS9_8equal_toIsEEsEE10hipError_tPvRmT2_T3_T4_T5_mT6_T7_P12ihipStream_tbENKUlT_T0_E_clISt17integral_constantIbLb0EESZ_EEDaSU_SV_EUlSU_E_NS1_11comp_targetILNS1_3genE0ELNS1_11target_archE4294967295ELNS1_3gpuE0ELNS1_3repE0EEENS1_30default_config_static_selectorELNS0_4arch9wavefront6targetE0EEEvT1_,comdat
	.protected	_ZN7rocprim17ROCPRIM_400000_NS6detail17trampoline_kernelINS0_14default_configENS1_27scan_by_key_config_selectorIssEEZZNS1_16scan_by_key_implILNS1_25lookback_scan_determinismE0ELb0ES3_N6thrust23THRUST_200600_302600_NS6detail15normal_iteratorINS9_10device_ptrIsEEEESE_SE_sNS9_10multipliesIsEENS9_8equal_toIsEEsEE10hipError_tPvRmT2_T3_T4_T5_mT6_T7_P12ihipStream_tbENKUlT_T0_E_clISt17integral_constantIbLb0EESZ_EEDaSU_SV_EUlSU_E_NS1_11comp_targetILNS1_3genE0ELNS1_11target_archE4294967295ELNS1_3gpuE0ELNS1_3repE0EEENS1_30default_config_static_selectorELNS0_4arch9wavefront6targetE0EEEvT1_ ; -- Begin function _ZN7rocprim17ROCPRIM_400000_NS6detail17trampoline_kernelINS0_14default_configENS1_27scan_by_key_config_selectorIssEEZZNS1_16scan_by_key_implILNS1_25lookback_scan_determinismE0ELb0ES3_N6thrust23THRUST_200600_302600_NS6detail15normal_iteratorINS9_10device_ptrIsEEEESE_SE_sNS9_10multipliesIsEENS9_8equal_toIsEEsEE10hipError_tPvRmT2_T3_T4_T5_mT6_T7_P12ihipStream_tbENKUlT_T0_E_clISt17integral_constantIbLb0EESZ_EEDaSU_SV_EUlSU_E_NS1_11comp_targetILNS1_3genE0ELNS1_11target_archE4294967295ELNS1_3gpuE0ELNS1_3repE0EEENS1_30default_config_static_selectorELNS0_4arch9wavefront6targetE0EEEvT1_
	.globl	_ZN7rocprim17ROCPRIM_400000_NS6detail17trampoline_kernelINS0_14default_configENS1_27scan_by_key_config_selectorIssEEZZNS1_16scan_by_key_implILNS1_25lookback_scan_determinismE0ELb0ES3_N6thrust23THRUST_200600_302600_NS6detail15normal_iteratorINS9_10device_ptrIsEEEESE_SE_sNS9_10multipliesIsEENS9_8equal_toIsEEsEE10hipError_tPvRmT2_T3_T4_T5_mT6_T7_P12ihipStream_tbENKUlT_T0_E_clISt17integral_constantIbLb0EESZ_EEDaSU_SV_EUlSU_E_NS1_11comp_targetILNS1_3genE0ELNS1_11target_archE4294967295ELNS1_3gpuE0ELNS1_3repE0EEENS1_30default_config_static_selectorELNS0_4arch9wavefront6targetE0EEEvT1_
	.p2align	8
	.type	_ZN7rocprim17ROCPRIM_400000_NS6detail17trampoline_kernelINS0_14default_configENS1_27scan_by_key_config_selectorIssEEZZNS1_16scan_by_key_implILNS1_25lookback_scan_determinismE0ELb0ES3_N6thrust23THRUST_200600_302600_NS6detail15normal_iteratorINS9_10device_ptrIsEEEESE_SE_sNS9_10multipliesIsEENS9_8equal_toIsEEsEE10hipError_tPvRmT2_T3_T4_T5_mT6_T7_P12ihipStream_tbENKUlT_T0_E_clISt17integral_constantIbLb0EESZ_EEDaSU_SV_EUlSU_E_NS1_11comp_targetILNS1_3genE0ELNS1_11target_archE4294967295ELNS1_3gpuE0ELNS1_3repE0EEENS1_30default_config_static_selectorELNS0_4arch9wavefront6targetE0EEEvT1_,@function
_ZN7rocprim17ROCPRIM_400000_NS6detail17trampoline_kernelINS0_14default_configENS1_27scan_by_key_config_selectorIssEEZZNS1_16scan_by_key_implILNS1_25lookback_scan_determinismE0ELb0ES3_N6thrust23THRUST_200600_302600_NS6detail15normal_iteratorINS9_10device_ptrIsEEEESE_SE_sNS9_10multipliesIsEENS9_8equal_toIsEEsEE10hipError_tPvRmT2_T3_T4_T5_mT6_T7_P12ihipStream_tbENKUlT_T0_E_clISt17integral_constantIbLb0EESZ_EEDaSU_SV_EUlSU_E_NS1_11comp_targetILNS1_3genE0ELNS1_11target_archE4294967295ELNS1_3gpuE0ELNS1_3repE0EEENS1_30default_config_static_selectorELNS0_4arch9wavefront6targetE0EEEvT1_: ; @_ZN7rocprim17ROCPRIM_400000_NS6detail17trampoline_kernelINS0_14default_configENS1_27scan_by_key_config_selectorIssEEZZNS1_16scan_by_key_implILNS1_25lookback_scan_determinismE0ELb0ES3_N6thrust23THRUST_200600_302600_NS6detail15normal_iteratorINS9_10device_ptrIsEEEESE_SE_sNS9_10multipliesIsEENS9_8equal_toIsEEsEE10hipError_tPvRmT2_T3_T4_T5_mT6_T7_P12ihipStream_tbENKUlT_T0_E_clISt17integral_constantIbLb0EESZ_EEDaSU_SV_EUlSU_E_NS1_11comp_targetILNS1_3genE0ELNS1_11target_archE4294967295ELNS1_3gpuE0ELNS1_3repE0EEENS1_30default_config_static_selectorELNS0_4arch9wavefront6targetE0EEEvT1_
; %bb.0:
	s_clause 0x3
	s_load_b256 s[16:23], s[0:1], 0x0
	s_load_b256 s[24:31], s[0:1], 0x48
	s_load_b96 s[40:42], s[0:1], 0x38
	s_load_b128 s[36:39], s[0:1], 0x28
	s_getreg_b32 s4, hwreg(HW_REG_IB_STS2, 6, 4)
	s_wait_xcnt 0x0
	s_mov_b32 s1, 0
	s_barrier_signal -1
	s_barrier_wait -1
	s_wait_kmcnt 0x0
	s_lshl_b64 s[34:35], s[18:19], 1
	s_cmp_lg_u64 s[28:29], 0
	s_mov_b32 s0, s42
	s_cselect_b32 s39, -1, 0
	s_bfe_u32 s2, ttmp6, 0x4000c
	s_and_b32 s5, ttmp6, 15
	s_add_co_i32 s2, s2, 1
	s_mov_b32 s29, s1
	s_mul_i32 s6, ttmp9, s2
	s_add_nc_u64 s[2:3], s[16:17], s[34:35]
	s_add_co_i32 s6, s5, s6
	s_cmp_eq_u32 s4, 0
	s_mul_u64 s[4:5], s[40:41], s[0:1]
	s_cselect_b32 s28, ttmp9, s6
	s_add_nc_u64 s[6:7], s[20:21], s[34:35]
	s_add_nc_u64 s[44:45], s[4:5], s[28:29]
	s_add_nc_u64 s[4:5], s[24:25], -1
	s_mul_i32 s0, s28, 0x1400
	v_cmp_ge_u64_e64 s29, s[44:45], s[4:5]
	s_lshl_b64 s[24:25], s[0:1], 1
	s_mul_i32 s33, s4, 0xffffec00
	s_add_nc_u64 s[42:43], s[2:3], s[24:25]
	s_add_nc_u64 s[20:21], s[6:7], s[24:25]
	s_and_b32 vcc_lo, exec_lo, s29
	s_cbranch_vccz .LBB281_44
; %bb.1:
	v_mov_b32_e32 v1, 0
	s_add_co_i32 s48, s33, s38
	s_delay_alu instid0(SALU_CYCLE_1)
	v_cmp_gt_u32_e64 s0, s48, v0
	flat_load_u16 v2, v1, s[42:43]
	s_wait_loadcnt_dscnt 0x0
	v_mov_b32_e32 v3, v2
	s_and_saveexec_b32 s1, s0
	s_cbranch_execz .LBB281_3
; %bb.2:
	flat_load_u16 v3, v0, s[42:43] scale_offset
.LBB281_3:
	s_wait_xcnt 0x0
	s_or_b32 exec_lo, exec_lo, s1
	v_or_b32_e32 v1, 0x100, v0
	v_mov_b32_e32 v4, v2
	s_delay_alu instid0(VALU_DEP_2)
	v_cmp_gt_u32_e64 s1, s48, v1
	s_and_saveexec_b32 s2, s1
	s_cbranch_execz .LBB281_5
; %bb.4:
	flat_load_u16 v4, v0, s[42:43] offset:512 scale_offset
.LBB281_5:
	s_wait_xcnt 0x0
	s_or_b32 exec_lo, exec_lo, s2
	v_or_b32_e32 v1, 0x200, v0
	v_mov_b32_e32 v5, v2
	s_delay_alu instid0(VALU_DEP_2)
	v_cmp_gt_u32_e64 s2, s48, v1
	s_and_saveexec_b32 s3, s2
	s_cbranch_execz .LBB281_7
; %bb.6:
	flat_load_u16 v5, v0, s[42:43] offset:1024 scale_offset
.LBB281_7:
	;; [unrolled: 11-line block ×18, first 2 shown]
	s_wait_xcnt 0x0
	s_or_b32 exec_lo, exec_lo, s19
	v_or_b32_e32 v1, 0x1300, v0
	s_mov_b32 s46, exec_lo
	s_delay_alu instid0(VALU_DEP_1) | instskip(SKIP_2) | instid1(SALU_CYCLE_1)
	v_cmp_gt_u32_e64 s19, s48, v1
	v_cmpx_le_u32_e64 s48, v1
	s_xor_b32 s46, exec_lo, s46
	s_and_not1_saveexec_b32 s46, s46
	s_cbranch_execz .LBB281_41
; %bb.40:
	flat_load_u16 v2, v0, s[42:43] offset:9728 scale_offset
.LBB281_41:
	s_wait_xcnt 0x0
	s_or_b32 exec_lo, exec_lo, s46
	v_lshlrev_b32_e32 v1, 1, v0
	s_cmp_eq_u64 s[44:45], 0
	s_mov_b64 s[46:47], s[42:43]
	s_wait_loadcnt_dscnt 0x0
	ds_store_b16 v1, v3
	ds_store_b16 v1, v4 offset:512
	ds_store_b16 v1, v5 offset:1024
	;; [unrolled: 1-line block ×19, first 2 shown]
	v_mad_u32_u24 v47, v0, 38, v1
	s_wait_dscnt 0x0
	s_barrier_signal -1
	s_barrier_wait -1
	ds_load_2addr_b64 v[10:13], v47 offset1:1
	ds_load_2addr_b64 v[6:9], v47 offset0:2 offset1:3
	ds_load_b64 v[14:15], v47 offset:32
	s_cbranch_scc1 .LBB281_47
; %bb.42:
	s_and_not1_b32 vcc_lo, exec_lo, s39
	s_cbranch_vccnz .LBB281_45
; %bb.43:
	s_lshl_b64 s[46:47], s[44:45], 1
	s_mov_b32 s49, 0
	s_add_nc_u64 s[46:47], s[30:31], s[46:47]
	s_delay_alu instid0(SALU_CYCLE_1)
	s_add_nc_u64 s[46:47], s[46:47], -2
	s_branch .LBB281_46
.LBB281_44:
                                        ; implicit-def: $sgpr3
                                        ; implicit-def: $vgpr41
                                        ; implicit-def: $vgpr30
                                        ; implicit-def: $vgpr2
                                        ; implicit-def: $vgpr43
                                        ; implicit-def: $vgpr53
                                        ; implicit-def: $vgpr50
                                        ; implicit-def: $vgpr51
                                        ; implicit-def: $vgpr48
                                        ; implicit-def: $vgpr46
                                        ; implicit-def: $vgpr45
                                        ; implicit-def: $vgpr44
                                        ; implicit-def: $vgpr42
                                        ; implicit-def: $vgpr40
                                        ; implicit-def: $vgpr39
                                        ; implicit-def: $vgpr38
                                        ; implicit-def: $vgpr37
                                        ; implicit-def: $vgpr36
                                        ; implicit-def: $vgpr34
                                        ; implicit-def: $vgpr35
                                        ; implicit-def: $vgpr33
                                        ; implicit-def: $vgpr32
                                        ; implicit-def: $vgpr31
                                        ; implicit-def: $vgpr29
                                        ; implicit-def: $vgpr28
                                        ; implicit-def: $vgpr27
                                        ; implicit-def: $vgpr26
                                        ; implicit-def: $vgpr25
                                        ; implicit-def: $vgpr24
                                        ; implicit-def: $vgpr23
                                        ; implicit-def: $vgpr22
                                        ; implicit-def: $vgpr21
                                        ; implicit-def: $vgpr20
                                        ; implicit-def: $vgpr19
                                        ; implicit-def: $vgpr18
                                        ; implicit-def: $vgpr17
                                        ; implicit-def: $vgpr16
                                        ; implicit-def: $vgpr1
	v_lshlrev_b32_e32 v10, 1, v0
	s_cbranch_execnz .LBB281_109
	s_branch .LBB281_136
.LBB281_45:
	s_add_nc_u64 s[46:47], s[42:43], -2
	s_mov_b32 s49, -1
.LBB281_46:
	s_delay_alu instid0(SALU_CYCLE_1)
	s_and_not1_b32 vcc_lo, exec_lo, s49
.LBB281_47:
	s_wait_dscnt 0x0
	v_dual_mov_b32 v2, 0 :: v_dual_lshrrev_b32 v49, 16, v15
	flat_load_u16 v3, v2, s[46:47]
	s_wait_xcnt 0x0
	v_mad_i32_i24 v2, 0xffffffda, v0, v47
	s_mov_b32 s46, exec_lo
	ds_store_b16 v2, v49 offset:10240
	s_wait_loadcnt_dscnt 0x0
	s_barrier_signal -1
	s_barrier_wait -1
	v_cmpx_ne_u32_e32 0, v0
; %bb.48:
	v_mul_i32_i24_e32 v2, 0xffffffda, v0
	s_delay_alu instid0(VALU_DEP_1)
	v_add_nc_u32_e32 v2, v47, v2
	ds_load_u16 v3, v2 offset:10238
; %bb.49:
	s_or_b32 exec_lo, exec_lo, s46
	s_wait_dscnt 0x0
	s_barrier_signal -1
	s_barrier_wait -1
                                        ; implicit-def: $vgpr2
	s_and_saveexec_b32 s46, s0
	s_cbranch_execnz .LBB281_112
; %bb.50:
	s_or_b32 exec_lo, exec_lo, s46
                                        ; implicit-def: $vgpr4
	s_and_saveexec_b32 s0, s1
	s_cbranch_execnz .LBB281_113
.LBB281_51:
	s_or_b32 exec_lo, exec_lo, s0
                                        ; implicit-def: $vgpr5
	s_and_saveexec_b32 s0, s2
	s_cbranch_execnz .LBB281_114
.LBB281_52:
	s_or_b32 exec_lo, exec_lo, s0
                                        ; implicit-def: $vgpr16
	s_and_saveexec_b32 s0, s3
	s_cbranch_execnz .LBB281_115
.LBB281_53:
	s_or_b32 exec_lo, exec_lo, s0
                                        ; implicit-def: $vgpr17
	s_and_saveexec_b32 s0, s4
	s_cbranch_execnz .LBB281_116
.LBB281_54:
	s_or_b32 exec_lo, exec_lo, s0
                                        ; implicit-def: $vgpr18
	s_and_saveexec_b32 s0, s5
	s_cbranch_execnz .LBB281_117
.LBB281_55:
	s_or_b32 exec_lo, exec_lo, s0
                                        ; implicit-def: $vgpr19
	s_and_saveexec_b32 s0, s6
	s_cbranch_execnz .LBB281_118
.LBB281_56:
	s_or_b32 exec_lo, exec_lo, s0
                                        ; implicit-def: $vgpr20
	s_and_saveexec_b32 s0, s7
	s_cbranch_execnz .LBB281_119
.LBB281_57:
	s_or_b32 exec_lo, exec_lo, s0
                                        ; implicit-def: $vgpr21
	s_and_saveexec_b32 s0, s8
	s_cbranch_execnz .LBB281_120
.LBB281_58:
	s_or_b32 exec_lo, exec_lo, s0
                                        ; implicit-def: $vgpr22
	s_and_saveexec_b32 s0, s9
	s_cbranch_execnz .LBB281_121
.LBB281_59:
	s_or_b32 exec_lo, exec_lo, s0
                                        ; implicit-def: $vgpr23
	s_and_saveexec_b32 s0, s10
	s_cbranch_execnz .LBB281_122
.LBB281_60:
	s_or_b32 exec_lo, exec_lo, s0
                                        ; implicit-def: $vgpr24
	s_and_saveexec_b32 s0, s11
	s_cbranch_execnz .LBB281_123
.LBB281_61:
	s_or_b32 exec_lo, exec_lo, s0
                                        ; implicit-def: $vgpr25
	s_and_saveexec_b32 s0, s12
	s_cbranch_execnz .LBB281_124
.LBB281_62:
	s_or_b32 exec_lo, exec_lo, s0
                                        ; implicit-def: $vgpr26
	s_and_saveexec_b32 s0, s13
	s_cbranch_execnz .LBB281_125
.LBB281_63:
	s_or_b32 exec_lo, exec_lo, s0
                                        ; implicit-def: $vgpr27
	s_and_saveexec_b32 s0, s14
	s_cbranch_execnz .LBB281_126
.LBB281_64:
	s_or_b32 exec_lo, exec_lo, s0
                                        ; implicit-def: $vgpr28
	s_and_saveexec_b32 s0, s15
	s_cbranch_execnz .LBB281_127
.LBB281_65:
	s_or_b32 exec_lo, exec_lo, s0
                                        ; implicit-def: $vgpr29
	s_and_saveexec_b32 s0, s16
	s_cbranch_execnz .LBB281_128
.LBB281_66:
	s_or_b32 exec_lo, exec_lo, s0
                                        ; implicit-def: $vgpr30
	s_and_saveexec_b32 s0, s17
	s_cbranch_execnz .LBB281_129
.LBB281_67:
	s_or_b32 exec_lo, exec_lo, s0
                                        ; implicit-def: $vgpr31
	s_and_saveexec_b32 s0, s18
	s_cbranch_execnz .LBB281_130
.LBB281_68:
	s_or_b32 exec_lo, exec_lo, s0
                                        ; implicit-def: $vgpr32
	s_and_saveexec_b32 s0, s19
	s_cbranch_execz .LBB281_70
.LBB281_69:
	flat_load_u16 v32, v0, s[20:21] offset:9728 scale_offset
.LBB281_70:
	s_wait_xcnt 0x0
	s_or_b32 exec_lo, exec_lo, s0
	v_mul_u32_u24_e32 v52, 20, v0
	s_wait_loadcnt_dscnt 0x0
	ds_store_b16 v1, v2
	ds_store_b16 v1, v4 offset:512
	ds_store_b16 v1, v5 offset:1024
	;; [unrolled: 1-line block ×19, first 2 shown]
	v_dual_mov_b32 v30, 0 :: v_dual_mov_b32 v2, 0
	v_dual_mov_b32 v43, 0 :: v_dual_mov_b32 v53, 0
	v_cmp_gt_u32_e32 vcc_lo, s48, v52
	v_dual_mov_b32 v50, 0 :: v_dual_mov_b32 v51, 0
	v_dual_mov_b32 v48, 0 :: v_dual_mov_b32 v46, 0
	;; [unrolled: 1-line block ×16, first 2 shown]
	s_mov_b32 s0, 0
	s_mov_b32 s1, 0
	s_wait_dscnt 0x0
	s_barrier_signal -1
	s_barrier_wait -1
                                        ; implicit-def: $sgpr3
                                        ; implicit-def: $vgpr41
	s_and_saveexec_b32 s2, vcc_lo
	s_cbranch_execz .LBB281_108
; %bb.71:
	ds_load_u16 v30, v47
	v_dual_mov_b32 v2, 0 :: v_dual_bitop2_b32 v1, 1, v52 bitop3:0x54
	v_cmp_eq_u16_e32 vcc_lo, v3, v10
	v_dual_mov_b32 v43, 0 :: v_dual_mov_b32 v53, 0
	v_dual_mov_b32 v50, 0 :: v_dual_mov_b32 v51, 0
	v_cndmask_b32_e64 v33, 0x10000, 0, vcc_lo
	v_cmp_gt_u32_e32 vcc_lo, s48, v1
	v_dual_mov_b32 v48, 0 :: v_dual_mov_b32 v46, 0
	v_dual_mov_b32 v45, 0 :: v_dual_mov_b32 v44, 0
	;; [unrolled: 1-line block ×14, first 2 shown]
	v_mov_b32_e32 v1, 0
	s_mov_b32 s4, 0
                                        ; implicit-def: $sgpr3
                                        ; implicit-def: $vgpr41
	s_and_saveexec_b32 s1, vcc_lo
	s_cbranch_execz .LBB281_107
; %bb.72:
	ds_load_b128 v[2:5], v47 offset:2
	v_dual_lshrrev_b32 v54, 16, v10 :: v_dual_bitop2_b32 v1, 2, v52 bitop3:0x54
	v_dual_mov_b32 v43, 0 :: v_dual_mov_b32 v53, 0
	v_dual_mov_b32 v50, 0 :: v_dual_mov_b32 v51, 0
	s_delay_alu instid0(VALU_DEP_3)
	v_cmp_eq_u16_e32 vcc_lo, v10, v54
	v_dual_mov_b32 v48, 0 :: v_dual_mov_b32 v46, 0
	v_dual_mov_b32 v45, 0 :: v_dual_mov_b32 v44, 0
	v_cndmask_b32_e64 v32, 0x10000, 0, vcc_lo
	v_cmp_gt_u32_e32 vcc_lo, s48, v1
	v_dual_mov_b32 v42, 0 :: v_dual_mov_b32 v40, 0
	v_dual_mov_b32 v39, 0 :: v_dual_mov_b32 v38, 0
	;; [unrolled: 1-line block ×12, first 2 shown]
	s_mov_b32 s5, 0
                                        ; implicit-def: $sgpr3
                                        ; implicit-def: $vgpr41
	s_and_saveexec_b32 s4, vcc_lo
	s_cbranch_execz .LBB281_106
; %bb.73:
	s_wait_dscnt 0x0
	v_dual_lshrrev_b32 v31, 16, v2 :: v_dual_bitop2_b32 v1, 3, v52 bitop3:0x54
	v_cmp_eq_u16_e32 vcc_lo, v54, v11
	v_dual_mov_b32 v53, 0 :: v_dual_mov_b32 v50, 0
	v_dual_mov_b32 v51, 0 :: v_dual_mov_b32 v48, 0
	v_cndmask_b32_e64 v43, 0x10000, 0, vcc_lo
	v_cmp_gt_u32_e32 vcc_lo, s48, v1
	v_dual_mov_b32 v46, 0 :: v_dual_mov_b32 v45, 0
	v_dual_mov_b32 v44, 0 :: v_dual_mov_b32 v42, 0
	;; [unrolled: 1-line block ×13, first 2 shown]
	s_mov_b32 s6, 0
                                        ; implicit-def: $sgpr3
                                        ; implicit-def: $vgpr41
	s_and_saveexec_b32 s5, vcc_lo
	s_cbranch_execz .LBB281_105
; %bb.74:
	v_dual_lshrrev_b32 v10, 16, v11 :: v_dual_add_nc_u32 v1, 4, v52
	v_dual_mov_b32 v50, 0 :: v_dual_mov_b32 v51, 0
	v_dual_mov_b32 v48, 0 :: v_dual_mov_b32 v46, 0
	s_delay_alu instid0(VALU_DEP_3)
	v_cmp_eq_u16_e32 vcc_lo, v11, v10
	v_dual_mov_b32 v45, 0 :: v_dual_mov_b32 v44, 0
	v_dual_mov_b32 v42, 0 :: v_dual_mov_b32 v40, 0
	v_cndmask_b32_e64 v29, 0x10000, 0, vcc_lo
	v_cmp_gt_u32_e32 vcc_lo, s48, v1
	v_dual_mov_b32 v39, 0 :: v_dual_mov_b32 v38, 0
	v_dual_mov_b32 v37, 0 :: v_dual_mov_b32 v36, 0
	v_dual_mov_b32 v34, 0 :: v_dual_mov_b32 v35, 0
	v_dual_mov_b32 v28, 0 :: v_dual_mov_b32 v27, 0
	v_dual_mov_b32 v26, 0 :: v_dual_mov_b32 v25, 0
	v_dual_mov_b32 v24, 0 :: v_dual_mov_b32 v23, 0
	v_dual_mov_b32 v22, 0 :: v_dual_mov_b32 v21, 0
	v_dual_mov_b32 v20, 0 :: v_dual_mov_b32 v19, 0
	v_dual_mov_b32 v18, 0 :: v_dual_mov_b32 v17, 0
	v_dual_mov_b32 v16, 0 :: v_dual_mov_b32 v1, 0
	s_mov_b32 s7, 0
                                        ; implicit-def: $sgpr3
                                        ; implicit-def: $vgpr41
	s_and_saveexec_b32 s6, vcc_lo
	s_cbranch_execz .LBB281_104
; %bb.75:
	v_dual_add_nc_u32 v1, 5, v52 :: v_dual_lshrrev_b32 v28, 16, v3
	v_cmp_eq_u16_e32 vcc_lo, v10, v12
	v_dual_mov_b32 v51, 0 :: v_dual_mov_b32 v48, 0
	v_dual_mov_b32 v46, 0 :: v_dual_mov_b32 v45, 0
	v_cndmask_b32_e64 v50, 0x10000, 0, vcc_lo
	v_cmp_gt_u32_e32 vcc_lo, s48, v1
	v_dual_mov_b32 v44, 0 :: v_dual_mov_b32 v42, 0
	v_dual_mov_b32 v40, 0 :: v_dual_mov_b32 v39, 0
	;; [unrolled: 1-line block ×11, first 2 shown]
	s_mov_b32 s8, 0
                                        ; implicit-def: $sgpr3
                                        ; implicit-def: $vgpr41
	s_and_saveexec_b32 s7, vcc_lo
	s_cbranch_execz .LBB281_103
; %bb.76:
	v_dual_lshrrev_b32 v10, 16, v12 :: v_dual_mov_b32 v48, 0
	v_dual_mov_b32 v46, 0 :: v_dual_add_nc_u32 v1, 6, v52
	v_dual_mov_b32 v45, 0 :: v_dual_mov_b32 v44, 0
	s_delay_alu instid0(VALU_DEP_3)
	v_cmp_eq_u16_e32 vcc_lo, v12, v10
	v_dual_mov_b32 v42, 0 :: v_dual_mov_b32 v40, 0
	v_dual_mov_b32 v39, 0 :: v_dual_mov_b32 v38, 0
	v_cndmask_b32_e64 v27, 0x10000, 0, vcc_lo
	v_cmp_gt_u32_e32 vcc_lo, s48, v1
	v_dual_mov_b32 v37, 0 :: v_dual_mov_b32 v36, 0
	v_dual_mov_b32 v34, 0 :: v_dual_mov_b32 v35, 0
	;; [unrolled: 1-line block ×8, first 2 shown]
	s_mov_b32 s9, 0
                                        ; implicit-def: $sgpr3
                                        ; implicit-def: $vgpr41
	s_and_saveexec_b32 s8, vcc_lo
	s_cbranch_execz .LBB281_102
; %bb.77:
	v_dual_mov_b32 v46, 0 :: v_dual_add_nc_u32 v1, 7, v52
	v_cmp_eq_u16_e32 vcc_lo, v10, v13
	v_dual_mov_b32 v45, 0 :: v_dual_lshrrev_b32 v26, 16, v4
	v_dual_mov_b32 v44, 0 :: v_dual_mov_b32 v42, 0
	v_cndmask_b32_e64 v48, 0x10000, 0, vcc_lo
	v_cmp_gt_u32_e32 vcc_lo, s48, v1
	v_dual_mov_b32 v40, 0 :: v_dual_mov_b32 v39, 0
	v_dual_mov_b32 v38, 0 :: v_dual_mov_b32 v37, 0
	;; [unrolled: 1-line block ×9, first 2 shown]
	s_mov_b32 s10, 0
                                        ; implicit-def: $sgpr3
                                        ; implicit-def: $vgpr41
	s_and_saveexec_b32 s9, vcc_lo
	s_cbranch_execz .LBB281_101
; %bb.78:
	v_dual_lshrrev_b32 v10, 16, v13 :: v_dual_add_nc_u32 v1, 8, v52
	v_dual_mov_b32 v45, 0 :: v_dual_mov_b32 v44, 0
	v_dual_mov_b32 v42, 0 :: v_dual_mov_b32 v40, 0
	s_delay_alu instid0(VALU_DEP_3)
	v_cmp_eq_u16_e32 vcc_lo, v13, v10
	v_dual_mov_b32 v39, 0 :: v_dual_mov_b32 v38, 0
	v_dual_mov_b32 v37, 0 :: v_dual_mov_b32 v36, 0
	v_cndmask_b32_e64 v25, 0x10000, 0, vcc_lo
	v_cmp_gt_u32_e32 vcc_lo, s48, v1
	v_dual_mov_b32 v34, 0 :: v_dual_mov_b32 v35, 0
	v_dual_mov_b32 v24, 0 :: v_dual_mov_b32 v23, 0
	;; [unrolled: 1-line block ×6, first 2 shown]
	s_mov_b32 s11, 0
                                        ; implicit-def: $sgpr3
                                        ; implicit-def: $vgpr41
	s_and_saveexec_b32 s10, vcc_lo
	s_cbranch_execz .LBB281_100
; %bb.79:
	v_dual_add_nc_u32 v1, 9, v52 :: v_dual_lshrrev_b32 v24, 16, v5
	v_cmp_eq_u16_e32 vcc_lo, v10, v6
	v_dual_mov_b32 v44, 0 :: v_dual_mov_b32 v42, 0
	v_dual_mov_b32 v40, 0 :: v_dual_mov_b32 v39, 0
	v_cndmask_b32_e64 v45, 0x10000, 0, vcc_lo
	v_cmp_gt_u32_e32 vcc_lo, s48, v1
	v_dual_mov_b32 v38, 0 :: v_dual_mov_b32 v37, 0
	v_dual_mov_b32 v36, 0 :: v_dual_mov_b32 v34, 0
	;; [unrolled: 1-line block ×7, first 2 shown]
	s_mov_b32 s12, 0
                                        ; implicit-def: $sgpr3
                                        ; implicit-def: $vgpr41
	s_and_saveexec_b32 s11, vcc_lo
	s_cbranch_execz .LBB281_99
; %bb.80:
	ds_load_b128 v[10:13], v47 offset:18
	v_dual_lshrrev_b32 v23, 16, v6 :: v_dual_add_nc_u32 v1, 10, v52
	v_dual_mov_b32 v42, 0 :: v_dual_mov_b32 v40, 0
	v_dual_mov_b32 v39, 0 :: v_dual_mov_b32 v38, 0
	s_delay_alu instid0(VALU_DEP_3)
	v_cmp_eq_u16_e32 vcc_lo, v6, v23
	v_dual_mov_b32 v37, 0 :: v_dual_mov_b32 v36, 0
	v_dual_mov_b32 v34, 0 :: v_dual_mov_b32 v35, 0
	v_cndmask_b32_e64 v6, 0x10000, 0, vcc_lo
	v_cmp_gt_u32_e32 vcc_lo, s48, v1
	v_dual_mov_b32 v22, 0 :: v_dual_mov_b32 v21, 0
	v_dual_mov_b32 v20, 0 :: v_dual_mov_b32 v19, 0
	v_dual_mov_b32 v18, 0 :: v_dual_mov_b32 v17, 0
	v_dual_mov_b32 v16, 0 :: v_dual_mov_b32 v1, 0
	s_mov_b32 s13, 0
                                        ; implicit-def: $sgpr3
                                        ; implicit-def: $vgpr41
	s_and_saveexec_b32 s12, vcc_lo
	s_cbranch_execz .LBB281_98
; %bb.81:
	s_wait_dscnt 0x0
	v_dual_add_nc_u32 v1, 11, v52 :: v_dual_lshrrev_b32 v22, 16, v10
	v_cmp_eq_u16_e32 vcc_lo, v23, v7
	v_dual_mov_b32 v40, 0 :: v_dual_mov_b32 v39, 0
	v_dual_mov_b32 v38, 0 :: v_dual_mov_b32 v37, 0
	v_cndmask_b32_e64 v23, 0x10000, 0, vcc_lo
	v_cmp_gt_u32_e32 vcc_lo, s48, v1
	v_dual_mov_b32 v36, 0 :: v_dual_mov_b32 v34, 0
	v_dual_mov_b32 v35, 0 :: v_dual_mov_b32 v21, 0
	;; [unrolled: 1-line block ×5, first 2 shown]
	s_mov_b32 s14, 0
                                        ; implicit-def: $sgpr3
                                        ; implicit-def: $vgpr41
	s_and_saveexec_b32 s13, vcc_lo
	s_cbranch_execz .LBB281_97
; %bb.82:
	v_dual_lshrrev_b32 v21, 16, v7 :: v_dual_add_nc_u32 v1, 12, v52
	v_dual_mov_b32 v39, 0 :: v_dual_mov_b32 v38, 0
	v_dual_mov_b32 v37, 0 :: v_dual_mov_b32 v36, 0
	s_delay_alu instid0(VALU_DEP_3)
	v_cmp_eq_u16_e32 vcc_lo, v7, v21
	v_dual_mov_b32 v34, 0 :: v_dual_mov_b32 v35, 0
	v_dual_mov_b32 v20, 0 :: v_dual_mov_b32 v19, 0
	v_cndmask_b32_e64 v7, 0x10000, 0, vcc_lo
	v_cmp_gt_u32_e32 vcc_lo, s48, v1
	v_dual_mov_b32 v18, 0 :: v_dual_mov_b32 v17, 0
	v_dual_mov_b32 v16, 0 :: v_dual_mov_b32 v1, 0
	s_mov_b32 s15, 0
                                        ; implicit-def: $sgpr3
                                        ; implicit-def: $vgpr41
	s_and_saveexec_b32 s14, vcc_lo
	s_cbranch_execz .LBB281_96
; %bb.83:
	v_dual_add_nc_u32 v1, 13, v52 :: v_dual_lshrrev_b32 v20, 16, v11
	v_cmp_eq_u16_e32 vcc_lo, v21, v8
	v_dual_mov_b32 v38, 0 :: v_dual_mov_b32 v37, 0
	v_dual_mov_b32 v36, 0 :: v_dual_mov_b32 v34, 0
	v_cndmask_b32_e64 v21, 0x10000, 0, vcc_lo
	v_cmp_gt_u32_e32 vcc_lo, s48, v1
	v_dual_mov_b32 v35, 0 :: v_dual_mov_b32 v19, 0
	v_dual_mov_b32 v18, 0 :: v_dual_mov_b32 v17, 0
	;; [unrolled: 1-line block ×3, first 2 shown]
	s_mov_b32 s16, 0
                                        ; implicit-def: $sgpr3
                                        ; implicit-def: $vgpr41
	s_and_saveexec_b32 s15, vcc_lo
	s_cbranch_execz .LBB281_95
; %bb.84:
	v_dual_lshrrev_b32 v19, 16, v8 :: v_dual_mov_b32 v37, 0
	v_dual_mov_b32 v36, 0 :: v_dual_add_nc_u32 v1, 14, v52
	v_dual_mov_b32 v34, 0 :: v_dual_mov_b32 v35, 0
	s_delay_alu instid0(VALU_DEP_3)
	v_cmp_eq_u16_e32 vcc_lo, v8, v19
	v_dual_mov_b32 v18, 0 :: v_dual_mov_b32 v17, 0
	v_mov_b32_e32 v16, 0
	s_mov_b32 s17, 0
	v_cndmask_b32_e64 v8, 0x10000, 0, vcc_lo
	v_cmp_gt_u32_e32 vcc_lo, s48, v1
	v_mov_b32_e32 v1, 0
                                        ; implicit-def: $sgpr3
                                        ; implicit-def: $vgpr41
	s_and_saveexec_b32 s16, vcc_lo
	s_cbranch_execz .LBB281_94
; %bb.85:
	v_dual_mov_b32 v36, 0 :: v_dual_add_nc_u32 v1, 15, v52
	v_cmp_eq_u16_e32 vcc_lo, v19, v9
	v_dual_lshrrev_b32 v18, 16, v12 :: v_dual_mov_b32 v34, 0
	v_dual_mov_b32 v35, 0 :: v_dual_mov_b32 v17, 0
	v_cndmask_b32_e64 v19, 0x10000, 0, vcc_lo
	v_cmp_gt_u32_e32 vcc_lo, s48, v1
	v_dual_mov_b32 v16, 0 :: v_dual_mov_b32 v1, 0
	s_mov_b32 s18, 0
                                        ; implicit-def: $sgpr3
                                        ; implicit-def: $vgpr41
	s_and_saveexec_b32 s17, vcc_lo
	s_cbranch_execz .LBB281_93
; %bb.86:
	v_dual_lshrrev_b32 v17, 16, v9 :: v_dual_add_nc_u32 v1, 16, v52
	v_dual_mov_b32 v34, 0 :: v_dual_mov_b32 v35, 0
	v_mov_b32_e32 v16, 0
	s_delay_alu instid0(VALU_DEP_3)
	v_cmp_eq_u16_e32 vcc_lo, v9, v17
	s_mov_b32 s19, 0
                                        ; implicit-def: $sgpr3
                                        ; implicit-def: $vgpr41
	v_cndmask_b32_e64 v9, 0x10000, 0, vcc_lo
	v_cmp_gt_u32_e32 vcc_lo, s48, v1
	v_mov_b32_e32 v1, 0
	s_and_saveexec_b32 s18, vcc_lo
	s_cbranch_execz .LBB281_92
; %bb.87:
	v_dual_add_nc_u32 v1, 17, v52 :: v_dual_lshrrev_b32 v16, 16, v13
	v_cmp_eq_u16_e32 vcc_lo, v17, v14
	v_mov_b32_e32 v35, 0
	s_mov_b32 s46, 0
                                        ; implicit-def: $sgpr3
                                        ; implicit-def: $vgpr41
	v_cndmask_b32_e64 v17, 0x10000, 0, vcc_lo
	v_cmp_gt_u32_e32 vcc_lo, s48, v1
	v_mov_b32_e32 v1, 0
	s_and_saveexec_b32 s19, vcc_lo
	s_cbranch_execz .LBB281_91
; %bb.88:
	ds_load_u16 v34, v47 offset:34
	v_dual_lshrrev_b32 v35, 16, v14 :: v_dual_add_nc_u32 v36, 18, v52
	v_mov_b32_e32 v1, 0
	s_mov_b32 s47, 0
	s_mov_b32 s46, exec_lo
	s_delay_alu instid0(VALU_DEP_2)
	v_cmp_eq_u16_e32 vcc_lo, v14, v35
                                        ; implicit-def: $sgpr3
                                        ; implicit-def: $vgpr41
	v_cndmask_b32_e64 v14, 0x10000, 0, vcc_lo
	v_cmpx_gt_u32_e64 s48, v36
	s_xor_b32 s46, exec_lo, s46
	s_cbranch_execz .LBB281_90
; %bb.89:
	ds_load_b32 v1, v47 offset:36
	v_cmp_eq_u16_e32 vcc_lo, v35, v15
	v_add_nc_u32_e32 v36, 19, v52
	v_cmp_ne_u16_e64 s3, v15, v49
	v_cndmask_b32_e64 v35, 0x10000, 0, vcc_lo
	s_wait_dscnt 0x0
	v_lshrrev_b32_e32 v41, 16, v1
	v_cmp_gt_u32_e32 vcc_lo, s48, v36
	s_delay_alu instid0(VALU_DEP_3)
	v_and_or_b32 v1, 0xffff, v1, v35
	s_and_b32 s47, vcc_lo, exec_lo
.LBB281_90:
	s_or_b32 exec_lo, exec_lo, s46
	s_wait_dscnt 0x0
	v_or_b32_e32 v35, v14, v34
	s_and_b32 s46, s47, exec_lo
.LBB281_91:
	s_or_b32 exec_lo, exec_lo, s19
	s_delay_alu instid0(VALU_DEP_1)
	v_dual_mov_b32 v16, v35 :: v_dual_bitop2_b32 v34, v17, v16 bitop3:0x54
	s_and_b32 s19, s46, exec_lo
.LBB281_92:
	s_or_b32 exec_lo, exec_lo, s18
	v_and_or_b32 v36, 0xffff, v13, v9
	s_delay_alu instid0(VALU_DEP_2)
	v_mov_b32_e32 v17, v34
	s_and_b32 s18, s19, exec_lo
.LBB281_93:
	s_or_b32 exec_lo, exec_lo, s17
	s_delay_alu instid0(VALU_DEP_2)
	v_dual_mov_b32 v18, v36 :: v_dual_bitop2_b32 v37, v19, v18 bitop3:0x54
	s_and_b32 s17, s18, exec_lo
.LBB281_94:
	s_or_b32 exec_lo, exec_lo, s16
	v_and_or_b32 v38, 0xffff, v12, v8
	s_delay_alu instid0(VALU_DEP_2)
	v_mov_b32_e32 v19, v37
	s_and_b32 s16, s17, exec_lo
.LBB281_95:
	s_or_b32 exec_lo, exec_lo, s15
	s_delay_alu instid0(VALU_DEP_2)
	v_dual_mov_b32 v20, v38 :: v_dual_bitop2_b32 v39, v21, v20 bitop3:0x54
	s_and_b32 s15, s16, exec_lo
.LBB281_96:
	s_or_b32 exec_lo, exec_lo, s14
	v_and_or_b32 v40, 0xffff, v11, v7
	s_delay_alu instid0(VALU_DEP_2)
	v_mov_b32_e32 v21, v39
	s_and_b32 s14, s15, exec_lo
.LBB281_97:
	s_or_b32 exec_lo, exec_lo, s13
	s_delay_alu instid0(VALU_DEP_2)
	v_dual_mov_b32 v22, v40 :: v_dual_bitop2_b32 v42, v23, v22 bitop3:0x54
	s_and_b32 s13, s14, exec_lo
.LBB281_98:
	s_or_b32 exec_lo, exec_lo, s12
	s_wait_dscnt 0x0
	v_and_or_b32 v44, 0xffff, v10, v6
	v_mov_b32_e32 v23, v42
	s_and_b32 s12, s13, exec_lo
.LBB281_99:
	s_or_b32 exec_lo, exec_lo, s11
	s_delay_alu instid0(VALU_DEP_2)
	v_dual_mov_b32 v24, v44 :: v_dual_bitop2_b32 v45, v45, v24 bitop3:0x54
	s_and_b32 s11, s12, exec_lo
.LBB281_100:
	s_or_b32 exec_lo, exec_lo, s10
	v_and_or_b32 v46, 0xffff, v5, v25
	s_delay_alu instid0(VALU_DEP_2)
	v_mov_b32_e32 v25, v45
	s_and_b32 s10, s11, exec_lo
.LBB281_101:
	s_or_b32 exec_lo, exec_lo, s9
	s_delay_alu instid0(VALU_DEP_2)
	v_dual_mov_b32 v26, v46 :: v_dual_bitop2_b32 v48, v48, v26 bitop3:0x54
	s_and_b32 s9, s10, exec_lo
.LBB281_102:
	s_or_b32 exec_lo, exec_lo, s8
	v_and_or_b32 v51, 0xffff, v4, v27
	s_delay_alu instid0(VALU_DEP_2)
	v_mov_b32_e32 v27, v48
	s_and_b32 s8, s9, exec_lo
.LBB281_103:
	s_or_b32 exec_lo, exec_lo, s7
	s_delay_alu instid0(VALU_DEP_2)
	v_dual_mov_b32 v28, v51 :: v_dual_bitop2_b32 v50, v50, v28 bitop3:0x54
	s_and_b32 s7, s8, exec_lo
.LBB281_104:
	s_or_b32 exec_lo, exec_lo, s6
	v_and_or_b32 v53, 0xffff, v3, v29
	s_delay_alu instid0(VALU_DEP_2)
	v_mov_b32_e32 v29, v50
	s_and_b32 s6, s7, exec_lo
.LBB281_105:
	s_or_b32 exec_lo, exec_lo, s5
	s_delay_alu instid0(VALU_DEP_2)
	v_dual_mov_b32 v31, v53 :: v_dual_bitop2_b32 v43, v43, v31 bitop3:0x54
	s_and_b32 s5, s6, exec_lo
.LBB281_106:
	s_or_b32 exec_lo, exec_lo, s4
	s_wait_dscnt 0x0
	v_and_or_b32 v2, 0xffff, v2, v32
	v_mov_b32_e32 v32, v43
	s_and_b32 s4, s5, exec_lo
.LBB281_107:
	s_or_b32 exec_lo, exec_lo, s1
	s_wait_dscnt 0x0
	v_dual_mov_b32 v33, v2 :: v_dual_bitop2_b32 v30, v33, v30 bitop3:0x54
	s_and_b32 s1, s4, exec_lo
.LBB281_108:
	s_or_b32 exec_lo, exec_lo, s2
	v_lshlrev_b32_e32 v10, 1, v0
	s_and_b32 vcc_lo, exec_lo, s0
	s_cbranch_vccz .LBB281_136
.LBB281_109:
	s_clause 0x13
	flat_load_u16 v2, v0, s[42:43] scale_offset
	flat_load_u16 v3, v0, s[42:43] offset:512 scale_offset
	flat_load_u16 v4, v0, s[42:43] offset:1024 scale_offset
	;; [unrolled: 1-line block ×19, first 2 shown]
	v_mad_u32_u24 v1, v0, 38, v10
	s_cmp_eq_u64 s[44:45], 0
	s_wait_loadcnt_dscnt 0x1313
	ds_store_b16 v10, v2
	s_wait_loadcnt_dscnt 0x1213
	ds_store_b16 v10, v3 offset:512
	s_wait_loadcnt_dscnt 0x1113
	ds_store_b16 v10, v4 offset:1024
	;; [unrolled: 2-line block ×19, first 2 shown]
	s_wait_dscnt 0x0
	s_barrier_signal -1
	s_barrier_wait -1
	ds_load_2addr_b64 v[6:9], v1 offset1:1
	ds_load_2addr_b64 v[2:5], v1 offset0:2 offset1:3
	ds_load_b64 v[12:13], v1 offset:32
	v_mov_b32_e32 v11, 0
	s_cbranch_scc1 .LBB281_133
; %bb.110:
	s_and_not1_b32 vcc_lo, exec_lo, s39
	s_cbranch_vccnz .LBB281_131
; %bb.111:
	s_lshl_b64 s[0:1], s[44:45], 1
	s_delay_alu instid0(SALU_CYCLE_1) | instskip(NEXT) | instid1(SALU_CYCLE_1)
	s_add_nc_u64 s[0:1], s[30:31], s[0:1]
	s_add_nc_u64 s[42:43], s[0:1], -2
	s_mov_b32 s0, 0
	s_branch .LBB281_132
.LBB281_112:
	flat_load_u16 v2, v0, s[20:21] scale_offset
	s_wait_xcnt 0x0
	s_or_b32 exec_lo, exec_lo, s46
                                        ; implicit-def: $vgpr4
	s_and_saveexec_b32 s0, s1
	s_cbranch_execz .LBB281_51
.LBB281_113:
	flat_load_u16 v4, v0, s[20:21] offset:512 scale_offset
	s_wait_xcnt 0x0
	s_or_b32 exec_lo, exec_lo, s0
                                        ; implicit-def: $vgpr5
	s_and_saveexec_b32 s0, s2
	s_cbranch_execz .LBB281_52
.LBB281_114:
	flat_load_u16 v5, v0, s[20:21] offset:1024 scale_offset
	s_wait_xcnt 0x0
	s_or_b32 exec_lo, exec_lo, s0
                                        ; implicit-def: $vgpr16
	s_and_saveexec_b32 s0, s3
	s_cbranch_execz .LBB281_53
.LBB281_115:
	flat_load_u16 v16, v0, s[20:21] offset:1536 scale_offset
	s_wait_xcnt 0x0
	s_or_b32 exec_lo, exec_lo, s0
                                        ; implicit-def: $vgpr17
	s_and_saveexec_b32 s0, s4
	s_cbranch_execz .LBB281_54
.LBB281_116:
	flat_load_u16 v17, v0, s[20:21] offset:2048 scale_offset
	s_wait_xcnt 0x0
	s_or_b32 exec_lo, exec_lo, s0
                                        ; implicit-def: $vgpr18
	s_and_saveexec_b32 s0, s5
	s_cbranch_execz .LBB281_55
.LBB281_117:
	flat_load_u16 v18, v0, s[20:21] offset:2560 scale_offset
	s_wait_xcnt 0x0
	s_or_b32 exec_lo, exec_lo, s0
                                        ; implicit-def: $vgpr19
	s_and_saveexec_b32 s0, s6
	s_cbranch_execz .LBB281_56
.LBB281_118:
	flat_load_u16 v19, v0, s[20:21] offset:3072 scale_offset
	s_wait_xcnt 0x0
	s_or_b32 exec_lo, exec_lo, s0
                                        ; implicit-def: $vgpr20
	s_and_saveexec_b32 s0, s7
	s_cbranch_execz .LBB281_57
.LBB281_119:
	flat_load_u16 v20, v0, s[20:21] offset:3584 scale_offset
	s_wait_xcnt 0x0
	s_or_b32 exec_lo, exec_lo, s0
                                        ; implicit-def: $vgpr21
	s_and_saveexec_b32 s0, s8
	s_cbranch_execz .LBB281_58
.LBB281_120:
	flat_load_u16 v21, v0, s[20:21] offset:4096 scale_offset
	s_wait_xcnt 0x0
	s_or_b32 exec_lo, exec_lo, s0
                                        ; implicit-def: $vgpr22
	s_and_saveexec_b32 s0, s9
	s_cbranch_execz .LBB281_59
.LBB281_121:
	flat_load_u16 v22, v0, s[20:21] offset:4608 scale_offset
	s_wait_xcnt 0x0
	s_or_b32 exec_lo, exec_lo, s0
                                        ; implicit-def: $vgpr23
	s_and_saveexec_b32 s0, s10
	s_cbranch_execz .LBB281_60
.LBB281_122:
	flat_load_u16 v23, v0, s[20:21] offset:5120 scale_offset
	s_wait_xcnt 0x0
	s_or_b32 exec_lo, exec_lo, s0
                                        ; implicit-def: $vgpr24
	s_and_saveexec_b32 s0, s11
	s_cbranch_execz .LBB281_61
.LBB281_123:
	flat_load_u16 v24, v0, s[20:21] offset:5632 scale_offset
	s_wait_xcnt 0x0
	s_or_b32 exec_lo, exec_lo, s0
                                        ; implicit-def: $vgpr25
	s_and_saveexec_b32 s0, s12
	s_cbranch_execz .LBB281_62
.LBB281_124:
	flat_load_u16 v25, v0, s[20:21] offset:6144 scale_offset
	s_wait_xcnt 0x0
	s_or_b32 exec_lo, exec_lo, s0
                                        ; implicit-def: $vgpr26
	s_and_saveexec_b32 s0, s13
	s_cbranch_execz .LBB281_63
.LBB281_125:
	flat_load_u16 v26, v0, s[20:21] offset:6656 scale_offset
	s_wait_xcnt 0x0
	s_or_b32 exec_lo, exec_lo, s0
                                        ; implicit-def: $vgpr27
	s_and_saveexec_b32 s0, s14
	s_cbranch_execz .LBB281_64
.LBB281_126:
	flat_load_u16 v27, v0, s[20:21] offset:7168 scale_offset
	s_wait_xcnt 0x0
	s_or_b32 exec_lo, exec_lo, s0
                                        ; implicit-def: $vgpr28
	s_and_saveexec_b32 s0, s15
	s_cbranch_execz .LBB281_65
.LBB281_127:
	flat_load_u16 v28, v0, s[20:21] offset:7680 scale_offset
	s_wait_xcnt 0x0
	s_or_b32 exec_lo, exec_lo, s0
                                        ; implicit-def: $vgpr29
	s_and_saveexec_b32 s0, s16
	s_cbranch_execz .LBB281_66
.LBB281_128:
	flat_load_u16 v29, v0, s[20:21] offset:8192 scale_offset
	s_wait_xcnt 0x0
	s_or_b32 exec_lo, exec_lo, s0
                                        ; implicit-def: $vgpr30
	s_and_saveexec_b32 s0, s17
	s_cbranch_execz .LBB281_67
.LBB281_129:
	flat_load_u16 v30, v0, s[20:21] offset:8704 scale_offset
	s_wait_xcnt 0x0
	s_or_b32 exec_lo, exec_lo, s0
                                        ; implicit-def: $vgpr31
	s_and_saveexec_b32 s0, s18
	s_cbranch_execz .LBB281_68
.LBB281_130:
	flat_load_u16 v31, v0, s[20:21] offset:9216 scale_offset
	s_wait_xcnt 0x0
	s_or_b32 exec_lo, exec_lo, s0
                                        ; implicit-def: $vgpr32
	s_and_saveexec_b32 s0, s19
	s_cbranch_execnz .LBB281_69
	s_branch .LBB281_70
.LBB281_131:
	s_add_nc_u64 s[42:43], s[42:43], -2
	s_mov_b32 s0, -1
.LBB281_132:
	s_delay_alu instid0(SALU_CYCLE_1)
	s_and_not1_b32 vcc_lo, exec_lo, s0
.LBB281_133:
	flat_load_u16 v14, v11, s[42:43]
	s_wait_dscnt 0x1
	s_wait_xcnt 0x0
	v_lshrrev_b32_e32 v11, 16, v13
	v_mad_i32_i24 v15, 0xffffffda, v0, v1
	s_mov_b32 s0, exec_lo
	ds_store_b16 v15, v11 offset:10240
	s_wait_loadcnt_dscnt 0x0
	s_barrier_signal -1
	s_barrier_wait -1
	v_cmpx_ne_u32_e32 0, v0
; %bb.134:
	v_mul_i32_i24_e32 v14, 0xffffffda, v0
	s_delay_alu instid0(VALU_DEP_1)
	v_add_nc_u32_e32 v14, v1, v14
	ds_load_u16 v14, v14 offset:10238
; %bb.135:
	s_or_b32 exec_lo, exec_lo, s0
	s_wait_dscnt 0x0
	s_barrier_signal -1
	s_barrier_wait -1
	s_clause 0x13
	flat_load_u16 v15, v0, s[20:21] scale_offset
	flat_load_u16 v16, v0, s[20:21] offset:512 scale_offset
	flat_load_u16 v17, v0, s[20:21] offset:1024 scale_offset
	;; [unrolled: 1-line block ×19, first 2 shown]
	v_dual_lshrrev_b32 v35, 16, v6 :: v_dual_lshrrev_b32 v36, 16, v7
	v_cmp_eq_u16_e32 vcc_lo, v14, v6
	v_cmp_ne_u16_e64 s3, v13, v11
	v_dual_lshrrev_b32 v37, 16, v8 :: v_dual_lshrrev_b32 v38, 16, v9
	v_dual_lshrrev_b32 v39, 16, v2 :: v_dual_lshrrev_b32 v40, 16, v3
	v_cndmask_b32_e64 v11, 0x10000, 0, vcc_lo
	v_cmp_eq_u16_e32 vcc_lo, v6, v35
	v_dual_lshrrev_b32 v41, 16, v4 :: v_dual_lshrrev_b32 v42, 16, v5
	s_mov_b32 s1, -1
	s_wait_loadcnt_dscnt 0x1313
	ds_store_b16 v10, v15
	s_wait_loadcnt_dscnt 0x1213
	ds_store_b16 v10, v16 offset:512
	s_wait_loadcnt_dscnt 0x1113
	ds_store_b16 v10, v17 offset:1024
	;; [unrolled: 2-line block ×19, first 2 shown]
	v_cndmask_b32_e64 v44, 0x10000, 0, vcc_lo
	v_cmp_eq_u16_e32 vcc_lo, v35, v7
	s_wait_dscnt 0x0
	s_barrier_signal -1
	s_barrier_wait -1
	v_cndmask_b32_e64 v35, 0x10000, 0, vcc_lo
	v_cmp_eq_u16_e32 vcc_lo, v7, v36
	ds_load_2addr_b64 v[14:17], v1 offset0:2 offset1:3
	v_cndmask_b32_e64 v46, 0x10000, 0, vcc_lo
	v_cmp_eq_u16_e32 vcc_lo, v36, v8
	v_cndmask_b32_e64 v36, 0x10000, 0, vcc_lo
	v_cmp_eq_u16_e32 vcc_lo, v8, v37
	;; [unrolled: 2-line block ×3, first 2 shown]
	s_wait_dscnt 0x0
	v_dual_lshrrev_b32 v26, 16, v14 :: v_dual_lshrrev_b32 v27, 16, v15
	v_lshrrev_b32_e32 v28, 16, v16
	v_cndmask_b32_e64 v37, 0x10000, 0, vcc_lo
	v_cmp_eq_u16_e32 vcc_lo, v9, v38
	ds_load_2addr_b64 v[6:9], v1 offset1:1
	v_lshrrev_b32_e32 v43, 16, v12
	v_cndmask_b32_e64 v49, 0x10000, 0, vcc_lo
	v_cmp_eq_u16_e32 vcc_lo, v38, v2
	v_cndmask_b32_e64 v38, 0x10000, 0, vcc_lo
	v_cmp_eq_u16_e32 vcc_lo, v2, v39
	s_delay_alu instid0(VALU_DEP_2)
	v_and_or_b32 v45, 0xffff, v14, v38
	v_cndmask_b32_e64 v52, 0x10000, 0, vcc_lo
	v_cmp_eq_u16_e32 vcc_lo, v39, v3
	s_wait_dscnt 0x0
	v_dual_lshrrev_b32 v22, 16, v6 :: v_dual_lshrrev_b32 v23, 16, v7
	v_lshrrev_b32_e32 v24, 16, v8
	v_cndmask_b32_e64 v18, 0x10000, 0, vcc_lo
	v_cmp_eq_u16_e32 vcc_lo, v3, v40
	ds_load_b64 v[2:3], v1 offset:32
	v_lshrrev_b32_e32 v25, 16, v9
	v_lshrrev_b32_e32 v29, 16, v17
	v_and_or_b32 v50, 0xffff, v8, v36
	v_cndmask_b32_e64 v19, 0x10000, 0, vcc_lo
	v_cmp_eq_u16_e32 vcc_lo, v40, v4
	v_and_or_b32 v48, 0xffff, v9, v37
	v_or_b32_e32 v51, v47, v24
	v_and_or_b32 v30, 0xffff, v6, v11
	v_cndmask_b32_e64 v20, 0x10000, 0, vcc_lo
	v_cmp_eq_u16_e32 vcc_lo, v4, v41
	s_delay_alu instid0(VALU_DEP_2)
	v_and_or_b32 v39, 0xffff, v16, v20
	v_cndmask_b32_e64 v4, 0x10000, 0, vcc_lo
	v_cmp_eq_u16_e32 vcc_lo, v41, v5
	s_wait_dscnt 0x0
	v_dual_lshrrev_b32 v31, 16, v2 :: v_dual_lshrrev_b32 v41, 16, v3
	v_cndmask_b32_e64 v1, 0x10000, 0, vcc_lo
	v_cmp_eq_u16_e32 vcc_lo, v5, v42
	v_or_b32_e32 v38, v4, v28
	s_delay_alu instid0(VALU_DEP_3)
	v_and_or_b32 v37, 0xffff, v17, v1
	v_cndmask_b32_e64 v5, 0x10000, 0, vcc_lo
	v_cmp_eq_u16_e32 vcc_lo, v42, v12
	v_and_or_b32 v42, 0xffff, v15, v18
	v_dual_mov_b32 v27, v48 :: v_dual_bitop2_b32 v40, v19, v27 bitop3:0x54
	v_mov_b32_e32 v19, v37
	v_cndmask_b32_e64 v21, 0x10000, 0, vcc_lo
	v_cmp_eq_u16_e32 vcc_lo, v12, v43
	s_delay_alu instid0(VALU_DEP_2)
	v_and_or_b32 v34, 0xffff, v2, v21
	v_cndmask_b32_e64 v12, 0x10000, 0, vcc_lo
	v_cmp_eq_u16_e32 vcc_lo, v43, v13
	v_and_or_b32 v43, 0xffff, v7, v35
	v_or_b32_e32 v2, v44, v22
	v_or_b32_e32 v53, v46, v23
	;; [unrolled: 1-line block ×3, first 2 shown]
	v_cndmask_b32_e64 v13, 0x10000, 0, vcc_lo
	v_dual_mov_b32 v25, v45 :: v_dual_bitop2_b32 v44, v52, v26 bitop3:0x54
	v_dual_mov_b32 v17, v34 :: v_dual_bitop2_b32 v36, v5, v29 bitop3:0x54
	v_or_b32_e32 v35, v12, v31
	s_delay_alu instid0(VALU_DEP_4)
	v_and_or_b32 v1, 0xffff, v3, v13
	v_dual_mov_b32 v32, v43 :: v_dual_mov_b32 v29, v50
	v_dual_mov_b32 v23, v42 :: v_dual_mov_b32 v21, v39
	;; [unrolled: 1-line block ×6, first 2 shown]
	v_mov_b32_e32 v16, v35
.LBB281_136:
	v_mov_b32_e32 v11, 0
	s_and_saveexec_b32 s0, s1
	s_cbranch_execz .LBB281_138
; %bb.137:
	v_and_b32_e32 v3, 0xffff, v41
	v_cndmask_b32_e64 v4, 0, 0x10000, s3
	v_dual_mov_b32 v16, v35 :: v_dual_mov_b32 v17, v34
	v_dual_mov_b32 v18, v36 :: v_dual_mov_b32 v19, v37
	s_delay_alu instid0(VALU_DEP_3)
	v_dual_mov_b32 v20, v38 :: v_dual_bitop2_b32 v11, v4, v3 bitop3:0x54
	v_dual_mov_b32 v21, v39 :: v_dual_mov_b32 v22, v40
	v_dual_mov_b32 v23, v42 :: v_dual_mov_b32 v24, v44
	;; [unrolled: 1-line block ×6, first 2 shown]
.LBB281_138:
	s_or_b32 exec_lo, exec_lo, s0
	v_dual_lshrrev_b32 v45, 3, v0 :: v_dual_bitop2_b32 v2, v26, v25 bitop3:0x54
	v_or_b32_e32 v3, v18, v17
	v_or_b32_e32 v43, v16, v1
	v_cmp_gt_u32_e64 s18, 0x10000, v33
	v_cmp_gt_u32_e64 s17, 0x10000, v32
	;; [unrolled: 1-line block ×8, first 2 shown]
	v_or3_b32 v44, v2, v27, v28
	v_cmp_gt_u32_e64 s11, 0x10000, v24
	v_cmp_gt_u32_e64 s9, 0x10000, v23
	;; [unrolled: 1-line block ×8, first 2 shown]
	v_or3_b32 v46, v3, v19, v20
	v_cmp_gt_u32_e64 s3, 0x10000, v16
	v_cmp_gt_u32_e64 s1, 0x10000, v1
	;; [unrolled: 1-line block ×3, first 2 shown]
	s_cmp_lg_u32 s28, 0
	v_cmp_gt_u32_e32 vcc_lo, 32, v0
	s_barrier_signal -1
	s_barrier_wait -1
	s_cbranch_scc0 .LBB281_188
; %bb.139:
	v_or3_b32 v3, v46, v21, v22
	v_or3_b32 v4, v44, v29, v31
	v_dual_cndmask_b32 v2, 1, v30, s18 :: v_dual_bitop2_b32 v5, 28, v45 bitop3:0x40
	v_lshrrev_b32_e32 v12, 16, v30
	s_delay_alu instid0(VALU_DEP_4) | instskip(NEXT) | instid1(VALU_DEP_4)
	v_or3_b32 v3, v3, v23, v24
	v_or3_b32 v4, v4, v32, v33
	s_delay_alu instid0(VALU_DEP_4) | instskip(NEXT) | instid1(VALU_DEP_3)
	v_mul_lo_u16 v2, v2, v33
	v_or3_b32 v3, v11, v43, v3
	s_delay_alu instid0(VALU_DEP_1) | instskip(SKIP_1) | instid1(VALU_DEP_2)
	v_bitop3_b32 v3, v3, 0xff0000, v4 bitop3:0xc8
	v_lshl_add_u32 v4, v0, 2, v5
	v_cmp_eq_u32_e64 s19, 0, v3
	s_delay_alu instid0(VALU_DEP_1) | instskip(NEXT) | instid1(VALU_DEP_1)
	v_dual_cndmask_b32 v2, 1, v2, s17 :: v_dual_cndmask_b32 v14, 1, v12, s19
	v_mul_lo_u16 v2, v2, v32
	s_delay_alu instid0(VALU_DEP_1) | instskip(NEXT) | instid1(VALU_DEP_1)
	v_cndmask_b32_e64 v2, 1, v2, s16
	v_mul_lo_u16 v2, v2, v31
	s_delay_alu instid0(VALU_DEP_1) | instskip(NEXT) | instid1(VALU_DEP_1)
	v_cndmask_b32_e64 v2, 1, v2, s15
	;; [unrolled: 3-line block ×17, first 2 shown]
	v_mul_lo_u16 v13, v2, v11
	ds_store_b16 v4, v13
	ds_store_b8 v4, v14 offset:2
	s_wait_dscnt 0x0
	s_barrier_signal -1
	s_barrier_wait -1
	s_and_saveexec_b32 s20, vcc_lo
	s_cbranch_execz .LBB281_151
; %bb.140:
	v_and_b32_e32 v2, 0xfc, v0
	v_lshlrev_b32_e32 v3, 5, v0
	s_mov_b32 s21, exec_lo
	s_delay_alu instid0(VALU_DEP_1)
	v_add_nc_u32_e32 v2, v2, v3
	ds_load_u8 v4, v2 offset:6
	ds_load_b32 v3, v2
	ds_load_u16 v5, v2 offset:4
	ds_load_u8 v6, v2 offset:10
	ds_load_u16 v7, v2 offset:8
	ds_load_u16 v8, v2 offset:12
	ds_load_u8 v9, v2 offset:14
	ds_load_u16 v15, v2 offset:16
	s_wait_dscnt 0x7
	v_cmp_eq_u16_e64 s19, 0, v4
	s_wait_dscnt 0x4
	s_delay_alu instid0(VALU_DEP_1) | instskip(SKIP_1) | instid1(VALU_DEP_2)
	v_dual_cndmask_b32 v34, 1, v3, s19 :: v_dual_bitop2_b32 v4, v6, v4 bitop3:0x54
	v_cmp_eq_u16_e64 s19, 0, v6
	v_mul_lo_u16 v5, v34, v5
	ds_load_u8 v34, v2 offset:18
	v_cndmask_b32_e64 v5, 1, v5, s19
	s_wait_dscnt 0x2
	v_cmp_eq_u16_e64 s19, 0, v9
	s_delay_alu instid0(VALU_DEP_2) | instskip(SKIP_2) | instid1(VALU_DEP_1)
	v_mul_lo_u16 v5, v5, v7
	ds_load_u8 v7, v2 offset:22
	v_cndmask_b32_e64 v5, 1, v5, s19
	v_mul_lo_u16 v5, v5, v8
	ds_load_u16 v8, v2 offset:20
	ds_load_u16 v35, v2 offset:24
	ds_load_u8 v36, v2 offset:26
	ds_load_u16 v37, v2 offset:28
	ds_load_u8 v38, v2 offset:30
	s_wait_dscnt 0x6
	v_cmp_eq_u16_e64 s19, 0, v34
	v_bitop3_b16 v6, v4, v34, v9 bitop3:0xfe
	v_and_b32_e32 v4, 0x10000, v3
	s_delay_alu instid0(VALU_DEP_3)
	v_cndmask_b32_e64 v5, 1, v5, s19
	s_wait_dscnt 0x5
	v_cmp_eq_u16_e64 s19, 0, v7
	s_wait_dscnt 0x2
	v_bitop3_b16 v6, v6, v36, v7 bitop3:0xfe
	s_wait_dscnt 0x0
	v_and_b32_e32 v7, 1, v38
	v_mul_lo_u16 v5, v5, v15
	s_delay_alu instid0(VALU_DEP_1) | instskip(SKIP_1) | instid1(VALU_DEP_2)
	v_cndmask_b32_e64 v5, 1, v5, s19
	v_cmp_eq_u16_e64 s19, 0, v36
	v_mul_lo_u16 v5, v5, v8
	s_delay_alu instid0(VALU_DEP_1) | instskip(SKIP_1) | instid1(VALU_DEP_2)
	v_cndmask_b32_e64 v5, 1, v5, s19
	v_cmp_eq_u16_e64 s19, 0, v38
	;; [unrolled: 4-line block ×3, first 2 shown]
	v_mul_lo_u16 v6, v5, v37
	s_delay_alu instid0(VALU_DEP_2) | instskip(SKIP_4) | instid1(VALU_DEP_4)
	v_cndmask_b32_e64 v8, 0x10000, v4, s19
	v_cmp_eq_u32_e64 s19, 1, v7
	v_and_b32_e32 v5, 0xff000000, v3
	v_mbcnt_lo_u32_b32 v7, -1, 0
	v_and_b32_e32 v9, 0xffff, v6
	v_cndmask_b32_e64 v8, v8, 0x10000, s19
	s_delay_alu instid0(VALU_DEP_1) | instskip(NEXT) | instid1(VALU_DEP_3)
	v_or_b32_e32 v15, v8, v5
	v_or3_b32 v34, v5, v9, v8
	v_and_b32_e32 v8, 15, v7
	s_delay_alu instid0(VALU_DEP_3) | instskip(NEXT) | instid1(VALU_DEP_3)
	v_lshrrev_b32_e32 v9, 16, v15
	v_mov_b32_dpp v35, v34 row_shr:1 row_mask:0xf bank_mask:0xf
	s_delay_alu instid0(VALU_DEP_3)
	v_cmpx_ne_u32_e32 0, v8
	s_cbranch_execz .LBB281_142
; %bb.141:
	s_delay_alu instid0(VALU_DEP_2) | instskip(SKIP_2) | instid1(VALU_DEP_3)
	v_lshrrev_b32_e32 v34, 16, v35
	v_lshrrev_b32_e32 v9, 16, v15
	v_and_b32_e32 v15, 0x10000, v15
	v_and_b32_e32 v34, 1, v34
	s_delay_alu instid0(VALU_DEP_3) | instskip(NEXT) | instid1(VALU_DEP_1)
	v_and_b32_e32 v9, 0xff, v9
	v_cmp_eq_u16_e64 s19, 0, v9
	s_delay_alu instid0(VALU_DEP_1) | instskip(SKIP_1) | instid1(VALU_DEP_2)
	v_cndmask_b32_e64 v35, 1, v35, s19
	v_cmp_ne_u32_e64 s19, 0, v15
	v_mul_lo_u16 v6, v35, v6
	s_delay_alu instid0(VALU_DEP_2) | instskip(NEXT) | instid1(VALU_DEP_2)
	v_cndmask_b32_e64 v9, v34, 1, s19
	v_and_b32_e32 v34, 0xffff, v6
	s_delay_alu instid0(VALU_DEP_2) | instskip(NEXT) | instid1(VALU_DEP_1)
	v_lshlrev_b32_e32 v15, 16, v9
	v_or3_b32 v34, v15, v34, v5
.LBB281_142:
	s_or_b32 exec_lo, exec_lo, s21
	s_delay_alu instid0(VALU_DEP_1)
	v_lshrrev_b32_e32 v15, 16, v34
	v_mov_b32_dpp v35, v34 row_shr:2 row_mask:0xf bank_mask:0xf
	s_mov_b32 s21, exec_lo
	v_cmpx_lt_u32_e32 1, v8
	s_cbranch_execz .LBB281_144
; %bb.143:
	v_and_b32_e32 v15, 0xff, v15
	v_and_b32_e32 v34, 0x10000, v34
	s_delay_alu instid0(VALU_DEP_2) | instskip(NEXT) | instid1(VALU_DEP_1)
	v_cmp_eq_u16_e64 s19, 0, v15
	v_dual_lshrrev_b32 v9, 16, v35 :: v_dual_cndmask_b32 v15, 1, v35, s19
	s_delay_alu instid0(VALU_DEP_1) | instskip(NEXT) | instid1(VALU_DEP_4)
	v_and_b32_e32 v9, 1, v9
	v_cmp_ne_u32_e64 s19, 0, v34
	s_delay_alu instid0(VALU_DEP_3) | instskip(NEXT) | instid1(VALU_DEP_2)
	v_mul_lo_u16 v6, v15, v6
	v_cndmask_b32_e64 v9, v9, 1, s19
	s_delay_alu instid0(VALU_DEP_2) | instskip(NEXT) | instid1(VALU_DEP_2)
	v_and_b32_e32 v34, 0xffff, v6
	v_lshlrev_b32_e32 v15, 16, v9
	s_delay_alu instid0(VALU_DEP_1)
	v_or3_b32 v34, v15, v34, v5
	v_mov_b32_e32 v15, v9
.LBB281_144:
	s_or_b32 exec_lo, exec_lo, s21
	s_delay_alu instid0(VALU_DEP_2)
	v_mov_b32_dpp v35, v34 row_shr:4 row_mask:0xf bank_mask:0xf
	s_mov_b32 s21, exec_lo
	v_cmpx_lt_u32_e32 3, v8
	s_cbranch_execz .LBB281_146
; %bb.145:
	v_and_b32_e32 v34, 0xff, v15
	v_and_b32_e32 v15, 1, v15
	s_delay_alu instid0(VALU_DEP_2) | instskip(NEXT) | instid1(VALU_DEP_1)
	v_cmp_eq_u16_e64 s19, 0, v34
	v_dual_lshrrev_b32 v9, 16, v35 :: v_dual_cndmask_b32 v34, 1, v35, s19
	s_delay_alu instid0(VALU_DEP_1) | instskip(NEXT) | instid1(VALU_DEP_4)
	v_and_b32_e32 v9, 1, v9
	v_cmp_eq_u32_e64 s19, 1, v15
	s_delay_alu instid0(VALU_DEP_3) | instskip(NEXT) | instid1(VALU_DEP_2)
	v_mul_lo_u16 v6, v34, v6
	v_cndmask_b32_e64 v9, v9, 1, s19
	s_delay_alu instid0(VALU_DEP_2) | instskip(NEXT) | instid1(VALU_DEP_2)
	v_and_b32_e32 v34, 0xffff, v6
	v_lshlrev_b32_e32 v15, 16, v9
	s_delay_alu instid0(VALU_DEP_1)
	v_or3_b32 v34, v15, v34, v5
	v_mov_b32_e32 v15, v9
.LBB281_146:
	s_or_b32 exec_lo, exec_lo, s21
	s_delay_alu instid0(VALU_DEP_2)
	v_mov_b32_dpp v35, v34 row_shr:8 row_mask:0xf bank_mask:0xf
	s_mov_b32 s21, exec_lo
	v_cmpx_lt_u32_e32 7, v8
	s_cbranch_execz .LBB281_148
; %bb.147:
	v_and_b32_e32 v9, 0xff, v15
	v_and_b32_e32 v15, 1, v15
	s_delay_alu instid0(VALU_DEP_2) | instskip(NEXT) | instid1(VALU_DEP_1)
	v_cmp_eq_u16_e64 s19, 0, v9
	v_dual_lshrrev_b32 v8, 16, v35 :: v_dual_cndmask_b32 v34, 1, v35, s19
	s_delay_alu instid0(VALU_DEP_1) | instskip(NEXT) | instid1(VALU_DEP_4)
	v_and_b32_e32 v8, 1, v8
	v_cmp_eq_u32_e64 s19, 1, v15
	s_delay_alu instid0(VALU_DEP_3) | instskip(NEXT) | instid1(VALU_DEP_2)
	v_mul_lo_u16 v6, v34, v6
	v_cndmask_b32_e64 v9, v8, 1, s19
	s_delay_alu instid0(VALU_DEP_2) | instskip(NEXT) | instid1(VALU_DEP_2)
	v_and_b32_e32 v15, 0xffff, v6
	v_lshlrev_b32_e32 v8, 16, v9
	s_delay_alu instid0(VALU_DEP_1)
	v_or3_b32 v34, v8, v15, v5
	v_mov_b32_e32 v15, v9
.LBB281_148:
	s_or_b32 exec_lo, exec_lo, s21
	ds_swizzle_b32 v8, v34 offset:swizzle(BROADCAST,32,15)
	v_and_b32_e32 v34, 16, v7
	s_mov_b32 s21, exec_lo
	s_delay_alu instid0(VALU_DEP_1)
	v_cmpx_ne_u32_e32 0, v34
	s_cbranch_execz .LBB281_150
; %bb.149:
	v_and_b32_e32 v9, 0xff, v15
	s_delay_alu instid0(VALU_DEP_1) | instskip(SKIP_2) | instid1(VALU_DEP_1)
	v_cmp_eq_u16_e64 s19, 0, v9
	s_wait_dscnt 0x0
	v_dual_lshrrev_b32 v34, 16, v8 :: v_dual_bitop2_b32 v9, 1, v15 bitop3:0x40
	v_dual_cndmask_b32 v8, 1, v8, s19 :: v_dual_bitop2_b32 v15, 1, v34 bitop3:0x40
	s_delay_alu instid0(VALU_DEP_2) | instskip(NEXT) | instid1(VALU_DEP_2)
	v_cmp_eq_u32_e64 s19, 1, v9
	v_mul_lo_u16 v6, v8, v6
	s_delay_alu instid0(VALU_DEP_2)
	v_cndmask_b32_e64 v9, v15, 1, s19
.LBB281_150:
	s_or_b32 exec_lo, exec_lo, s21
	s_wait_dscnt 0x0
	s_delay_alu instid0(VALU_DEP_1) | instskip(SKIP_2) | instid1(VALU_DEP_3)
	v_and_b32_e32 v8, 0xff, v9
	v_add_nc_u32_e32 v9, -1, v7
	v_and_b32_e32 v6, 0xffff, v6
	; wave barrier
	v_lshlrev_b32_e32 v8, 16, v8
	s_delay_alu instid0(VALU_DEP_3) | instskip(NEXT) | instid1(VALU_DEP_2)
	v_cmp_gt_i32_e64 s19, 0, v9
	v_or3_b32 v5, v8, v6, v5
	s_delay_alu instid0(VALU_DEP_2) | instskip(NEXT) | instid1(VALU_DEP_1)
	v_cndmask_b32_e64 v7, v9, v7, s19
	v_lshlrev_b32_e32 v6, 2, v7
	ds_bpermute_b32 v5, v6, v5
	v_and_b32_e32 v6, 0xff0000, v3
	s_delay_alu instid0(VALU_DEP_1) | instskip(SKIP_1) | instid1(VALU_DEP_1)
	v_cmp_eq_u32_e64 s19, 0, v6
	s_wait_dscnt 0x0
	v_dual_lshrrev_b32 v7, 16, v5 :: v_dual_cndmask_b32 v5, 1, v5, s19
	v_cmp_eq_u32_e64 s19, 0, v4
	s_delay_alu instid0(VALU_DEP_2) | instskip(NEXT) | instid1(VALU_DEP_3)
	v_mul_lo_u16 v3, v5, v3
	v_and_b32_e32 v6, 1, v7
	s_delay_alu instid0(VALU_DEP_1) | instskip(SKIP_1) | instid1(VALU_DEP_1)
	v_cndmask_b32_e64 v4, 1, v6, s19
	v_cmp_eq_u32_e64 s19, 0, v0
	v_dual_cndmask_b32 v3, v3, v13, s19 :: v_dual_cndmask_b32 v4, v4, v14, s19
	ds_store_b16 v2, v3
	ds_store_b8 v2, v4 offset:2
	; wave barrier
	ds_load_u8 v5, v2 offset:6
	ds_load_u16 v6, v2 offset:4
	ds_load_u8 v7, v2 offset:10
	ds_load_u16 v8, v2 offset:8
	ds_load_u16 v9, v2 offset:12
	ds_load_u8 v15, v2 offset:14
	ds_load_u16 v34, v2 offset:16
	ds_load_u8 v35, v2 offset:18
	s_wait_dscnt 0x7
	v_cmp_eq_u16_e64 s19, 0, v5
	s_delay_alu instid0(VALU_DEP_1) | instskip(SKIP_2) | instid1(VALU_DEP_2)
	v_cndmask_b32_e64 v3, 1, v3, s19
	s_wait_dscnt 0x5
	v_cmp_eq_u16_e64 s19, 0, v7
	v_mul_lo_u16 v3, v3, v6
	s_delay_alu instid0(VALU_DEP_1) | instskip(SKIP_2) | instid1(VALU_DEP_2)
	v_cndmask_b32_e64 v6, 1, v3, s19
	s_wait_dscnt 0x2
	v_cmp_eq_u16_e64 s19, 0, v15
	v_mul_lo_u16 v6, v6, v8
	v_and_b32_e32 v5, 1, v5
	ds_load_u8 v8, v2 offset:22
	ds_load_u16 v37, v2 offset:20
	ds_load_u8 v38, v2 offset:26
	ds_load_u8 v39, v2 offset:30
	v_cndmask_b32_e64 v36, 1, v6, s19
	v_cmp_eq_u32_e64 s19, 1, v5
	v_and_b32_e32 v5, 1, v15
	s_delay_alu instid0(VALU_DEP_3) | instskip(NEXT) | instid1(VALU_DEP_3)
	v_mul_lo_u16 v9, v36, v9
	v_cndmask_b32_e64 v4, v4, 1, s19
	s_wait_dscnt 0x4
	v_cmp_eq_u16_e64 s19, 0, v35
	v_and_b32_e32 v7, 1, v7
	ds_load_u16 v36, v2 offset:24
	ds_load_u16 v40, v2 offset:28
	v_cndmask_b32_e64 v15, 1, v9, s19
	v_cmp_eq_u32_e64 s19, 1, v7
	s_delay_alu instid0(VALU_DEP_2) | instskip(NEXT) | instid1(VALU_DEP_2)
	v_mul_lo_u16 v15, v15, v34
	v_cndmask_b32_e64 v7, v4, 1, s19
	v_cmp_eq_u32_e64 s19, 1, v5
	v_and_b32_e32 v34, 1, v35
	s_wait_dscnt 0x2
	v_and_b32_e32 v41, 1, v39
	s_delay_alu instid0(VALU_DEP_3) | instskip(SKIP_1) | instid1(VALU_DEP_1)
	v_cndmask_b32_e64 v5, v7, 1, s19
	v_cmp_eq_u16_e64 s19, 0, v8
	v_dual_cndmask_b32 v35, 1, v15, s19 :: v_dual_bitop2_b32 v8, 1, v8 bitop3:0x40
	v_cmp_eq_u32_e64 s19, 1, v34
	s_delay_alu instid0(VALU_DEP_2) | instskip(NEXT) | instid1(VALU_DEP_2)
	v_mul_lo_u16 v35, v35, v37
	v_cndmask_b32_e64 v34, v5, 1, s19
	s_delay_alu instid0(VALU_DEP_4)
	v_cmp_eq_u32_e64 s19, 1, v8
	v_and_b32_e32 v37, 1, v38
	ds_store_b16 v2, v3 offset:4
	ds_store_b8 v2, v4 offset:6
	ds_store_b16 v2, v6 offset:8
	ds_store_b8 v2, v7 offset:10
	;; [unrolled: 2-line block ×4, first 2 shown]
	v_cndmask_b32_e64 v8, v34, 1, s19
	v_cmp_eq_u16_e64 s19, 0, v38
	s_delay_alu instid0(VALU_DEP_1) | instskip(SKIP_2) | instid1(VALU_DEP_2)
	v_cndmask_b32_e64 v38, 1, v35, s19
	v_cmp_eq_u32_e64 s19, 1, v37
	s_wait_dscnt 0x9
	v_mul_lo_u16 v36, v38, v36
	s_delay_alu instid0(VALU_DEP_2) | instskip(SKIP_1) | instid1(VALU_DEP_1)
	v_cndmask_b32_e64 v37, v8, 1, s19
	v_cmp_eq_u32_e64 s19, 1, v41
	v_cndmask_b32_e64 v38, v37, 1, s19
	v_cmp_eq_u16_e64 s19, 0, v39
	s_delay_alu instid0(VALU_DEP_1) | instskip(SKIP_1) | instid1(VALU_DEP_1)
	v_cndmask_b32_e64 v39, 1, v36, s19
	s_wait_dscnt 0x8
	v_mul_lo_u16 v3, v39, v40
	ds_store_b16 v2, v35 offset:20
	ds_store_b8 v2, v8 offset:22
	ds_store_b16 v2, v36 offset:24
	ds_store_b8 v2, v37 offset:26
	;; [unrolled: 2-line block ×3, first 2 shown]
.LBB281_151:
	s_or_b32 exec_lo, exec_lo, s20
	v_cmp_eq_u32_e64 s20, 0, v0
	v_cmp_ne_u32_e64 s19, 0, v0
	s_wait_dscnt 0x0
	s_barrier_signal -1
	s_barrier_wait -1
	s_and_saveexec_b32 s21, s19
	s_cbranch_execz .LBB281_153
; %bb.152:
	v_add_nc_u32_e32 v2, -1, v0
	s_delay_alu instid0(VALU_DEP_1) | instskip(NEXT) | instid1(VALU_DEP_1)
	v_lshrrev_b32_e32 v3, 3, v2
	v_and_b32_e32 v3, 0x1ffffffc, v3
	s_delay_alu instid0(VALU_DEP_1)
	v_lshl_add_u32 v2, v2, 2, v3
	ds_load_u16 v13, v2
	ds_load_u8 v14, v2 offset:2
.LBB281_153:
	s_or_b32 exec_lo, exec_lo, s21
	s_and_saveexec_b32 s30, vcc_lo
	s_cbranch_execz .LBB281_265
; %bb.154:
	v_mov_b32_e32 v9, 0
	v_mbcnt_lo_u32_b32 v15, -1, 0
	ds_load_b32 v2, v9 offset:1048
	v_cmp_eq_u32_e64 s21, 0, v15
	s_and_saveexec_b32 s31, s21
	s_cbranch_execz .LBB281_156
; %bb.155:
	s_add_co_i32 s39, s28, 32
	s_delay_alu instid0(SALU_CYCLE_1)
	v_dual_mov_b32 v3, 1 :: v_dual_mov_b32 v4, s39
	s_wait_dscnt 0x0
	global_store_b64 v4, v[2:3], s[36:37] scale_offset scope:SCOPE_DEV
.LBB281_156:
	s_wait_xcnt 0x0
	s_or_b32 exec_lo, exec_lo, s31
	v_xad_u32 v4, v15, -1, s28
	s_mov_b32 s31, exec_lo
	s_delay_alu instid0(VALU_DEP_1) | instskip(SKIP_4) | instid1(VALU_DEP_1)
	v_add_nc_u32_e32 v8, 32, v4
	global_load_b64 v[6:7], v8, s[36:37] scale_offset scope:SCOPE_DEV
	s_wait_loadcnt 0x0
	v_and_b32_e32 v3, 0xff, v7
	s_wait_xcnt 0x0
	v_cmpx_eq_u16_e32 0, v3
	s_cbranch_execz .LBB281_160
; %bb.157:
	v_lshl_add_u64 v[8:9], v[8:9], 3, s[36:37]
	s_mov_b32 s39, 0
.LBB281_158:                            ; =>This Inner Loop Header: Depth=1
	global_load_b64 v[6:7], v[8:9], off scope:SCOPE_DEV
	s_wait_loadcnt 0x0
	v_and_b32_e32 v3, 0xff, v7
	s_delay_alu instid0(VALU_DEP_1)
	v_cmp_ne_u16_e32 vcc_lo, 0, v3
	s_or_b32 s39, vcc_lo, s39
	s_wait_xcnt 0x0
	s_and_not1_b32 exec_lo, exec_lo, s39
	s_cbranch_execnz .LBB281_158
; %bb.159:
	s_or_b32 exec_lo, exec_lo, s39
.LBB281_160:
	s_delay_alu instid0(SALU_CYCLE_1)
	s_or_b32 exec_lo, exec_lo, s31
	v_cmp_ne_u32_e32 vcc_lo, 31, v15
	v_and_b32_e32 v42, 0xffffff, v6
	v_and_b32_e32 v5, 0xff, v7
	v_lshlrev_b32_e64 v34, v15, -1
	v_bfe_u32 v9, v6, 16, 8
	v_add_co_ci_u32_e64 v3, null, 0, v15, vcc_lo
	s_delay_alu instid0(VALU_DEP_4) | instskip(SKIP_1) | instid1(VALU_DEP_2)
	v_cmp_eq_u16_e32 vcc_lo, 2, v5
	s_mov_b32 s31, exec_lo
	v_dual_lshrrev_b32 v8, 16, v6 :: v_dual_lshlrev_b32 v3, 2, v3
	v_and_or_b32 v5, vcc_lo, v34, 0x80000000
	ds_bpermute_b32 v35, v3, v42
	v_ctz_i32_b32_e32 v5, v5
	s_delay_alu instid0(VALU_DEP_1)
	v_cmpx_lt_u32_e64 v15, v5
	s_cbranch_execz .LBB281_162
; %bb.161:
	v_and_b32_e32 v8, 0xff0000, v6
	s_delay_alu instid0(VALU_DEP_1) | instskip(SKIP_3) | instid1(VALU_DEP_1)
	v_and_b32_e32 v36, 0x10000, v8
	v_cmp_eq_u32_e32 vcc_lo, 0, v8
	s_wait_dscnt 0x0
	v_dual_lshrrev_b32 v9, 16, v35 :: v_dual_cndmask_b32 v35, 1, v35, vcc_lo
	v_and_b32_e32 v9, 1, v9
	v_cmp_ne_u32_e32 vcc_lo, 0, v36
	s_delay_alu instid0(VALU_DEP_3) | instskip(NEXT) | instid1(VALU_DEP_3)
	v_mul_lo_u16 v6, v35, v6
	v_cndmask_b32_e64 v8, v9, 1, vcc_lo
	s_delay_alu instid0(VALU_DEP_2) | instskip(NEXT) | instid1(VALU_DEP_2)
	v_and_b32_e32 v35, 0xffff, v6
	v_lshlrev_b32_e32 v9, 16, v8
	s_delay_alu instid0(VALU_DEP_1)
	v_dual_mov_b32 v9, v8 :: v_dual_bitop2_b32 v42, v9, v35 bitop3:0x54
.LBB281_162:
	s_or_b32 exec_lo, exec_lo, s31
	v_cmp_gt_u32_e32 vcc_lo, 30, v15
	v_add_nc_u32_e32 v36, 2, v15
	s_mov_b32 s31, exec_lo
	s_wait_dscnt 0x0
	v_cndmask_b32_e64 v35, 0, 2, vcc_lo
	s_delay_alu instid0(VALU_DEP_1)
	v_add_lshl_u32 v35, v35, v15, 2
	ds_bpermute_b32 v37, v35, v42
	v_cmpx_le_u32_e64 v36, v5
	s_cbranch_execz .LBB281_164
; %bb.163:
	v_cmp_eq_u16_e32 vcc_lo, 0, v9
	s_wait_dscnt 0x0
	v_lshrrev_b32_e32 v8, 16, v37
	v_and_b32_e32 v9, 1, v9
	s_delay_alu instid0(VALU_DEP_2) | instskip(NEXT) | instid1(VALU_DEP_2)
	v_dual_cndmask_b32 v37, 1, v37, vcc_lo :: v_dual_bitop2_b32 v8, 1, v8 bitop3:0x40
	v_cmp_eq_u32_e32 vcc_lo, 1, v9
	s_delay_alu instid0(VALU_DEP_2) | instskip(NEXT) | instid1(VALU_DEP_3)
	v_mul_lo_u16 v6, v37, v6
	v_cndmask_b32_e64 v8, v8, 1, vcc_lo
	s_delay_alu instid0(VALU_DEP_2) | instskip(NEXT) | instid1(VALU_DEP_2)
	v_and_b32_e32 v9, 0xffff, v6
	v_lshlrev_b32_e32 v37, 16, v8
	s_delay_alu instid0(VALU_DEP_1)
	v_dual_mov_b32 v9, v8 :: v_dual_bitop2_b32 v42, v37, v9 bitop3:0x54
.LBB281_164:
	s_or_b32 exec_lo, exec_lo, s31
	v_cmp_gt_u32_e32 vcc_lo, 28, v15
	v_add_nc_u32_e32 v38, 4, v15
	s_mov_b32 s31, exec_lo
	s_wait_dscnt 0x0
	v_cndmask_b32_e64 v37, 0, 4, vcc_lo
	s_delay_alu instid0(VALU_DEP_1)
	v_add_lshl_u32 v37, v37, v15, 2
	ds_bpermute_b32 v39, v37, v42
	v_cmpx_le_u32_e64 v38, v5
	s_cbranch_execz .LBB281_166
; %bb.165:
	v_cmp_eq_u16_e32 vcc_lo, 0, v9
	s_wait_dscnt 0x0
	v_dual_lshrrev_b32 v8, 16, v39 :: v_dual_bitop2_b32 v9, 1, v9 bitop3:0x40
	s_delay_alu instid0(VALU_DEP_1) | instskip(NEXT) | instid1(VALU_DEP_2)
	v_dual_cndmask_b32 v39, 1, v39, vcc_lo :: v_dual_bitop2_b32 v8, 1, v8 bitop3:0x40
	v_cmp_eq_u32_e32 vcc_lo, 1, v9
	s_delay_alu instid0(VALU_DEP_2) | instskip(NEXT) | instid1(VALU_DEP_3)
	v_mul_lo_u16 v6, v39, v6
	v_cndmask_b32_e64 v8, v8, 1, vcc_lo
	s_delay_alu instid0(VALU_DEP_2) | instskip(NEXT) | instid1(VALU_DEP_2)
	v_and_b32_e32 v9, 0xffff, v6
	v_lshlrev_b32_e32 v39, 16, v8
	s_delay_alu instid0(VALU_DEP_1)
	v_dual_mov_b32 v9, v8 :: v_dual_bitop2_b32 v42, v39, v9 bitop3:0x54
.LBB281_166:
	s_or_b32 exec_lo, exec_lo, s31
	v_cmp_gt_u32_e32 vcc_lo, 24, v15
	v_add_nc_u32_e32 v40, 8, v15
	s_mov_b32 s31, exec_lo
	s_wait_dscnt 0x0
	v_cndmask_b32_e64 v39, 0, 8, vcc_lo
	s_delay_alu instid0(VALU_DEP_1)
	v_add_lshl_u32 v39, v39, v15, 2
	ds_bpermute_b32 v41, v39, v42
	v_cmpx_le_u32_e64 v40, v5
	s_cbranch_execz .LBB281_168
; %bb.167:
	v_cmp_eq_u16_e32 vcc_lo, 0, v9
	s_wait_dscnt 0x0
	v_lshrrev_b32_e32 v8, 16, v41
	v_and_b32_e32 v9, 1, v9
	s_delay_alu instid0(VALU_DEP_2) | instskip(NEXT) | instid1(VALU_DEP_2)
	v_dual_cndmask_b32 v41, 1, v41, vcc_lo :: v_dual_bitop2_b32 v8, 1, v8 bitop3:0x40
	v_cmp_eq_u32_e32 vcc_lo, 1, v9
	s_delay_alu instid0(VALU_DEP_2) | instskip(NEXT) | instid1(VALU_DEP_3)
	v_mul_lo_u16 v6, v41, v6
	v_cndmask_b32_e64 v8, v8, 1, vcc_lo
	s_delay_alu instid0(VALU_DEP_2) | instskip(NEXT) | instid1(VALU_DEP_2)
	v_and_b32_e32 v9, 0xffff, v6
	v_lshlrev_b32_e32 v41, 16, v8
	s_delay_alu instid0(VALU_DEP_1)
	v_dual_mov_b32 v9, v8 :: v_dual_bitop2_b32 v42, v41, v9 bitop3:0x54
.LBB281_168:
	s_or_b32 exec_lo, exec_lo, s31
	s_wait_dscnt 0x0
	v_lshl_or_b32 v41, v15, 2, 64
	v_add_nc_u32_e32 v47, 16, v15
	s_mov_b32 s31, exec_lo
	ds_bpermute_b32 v42, v41, v42
	v_cmpx_le_u32_e64 v47, v5
	s_cbranch_execz .LBB281_170
; %bb.169:
	v_cmp_eq_u16_e32 vcc_lo, 0, v9
	s_wait_dscnt 0x0
	v_dual_lshrrev_b32 v5, 16, v42 :: v_dual_bitop2_b32 v9, 1, v9 bitop3:0x40
	s_delay_alu instid0(VALU_DEP_1) | instskip(NEXT) | instid1(VALU_DEP_2)
	v_dual_cndmask_b32 v8, 1, v42, vcc_lo :: v_dual_bitop2_b32 v5, 1, v5 bitop3:0x40
	v_cmp_eq_u32_e32 vcc_lo, 1, v9
	s_delay_alu instid0(VALU_DEP_2) | instskip(NEXT) | instid1(VALU_DEP_3)
	v_mul_lo_u16 v6, v8, v6
	v_cndmask_b32_e64 v8, v5, 1, vcc_lo
.LBB281_170:
	s_or_b32 exec_lo, exec_lo, s31
	v_mov_b32_e32 v5, 0
	s_branch .LBB281_173
.LBB281_171:                            ;   in Loop: Header=BB281_173 Depth=1
	s_or_b32 exec_lo, exec_lo, s31
	v_and_b32_e32 v8, 0xff, v42
	v_subrev_nc_u32_e32 v4, 32, v4
	s_mov_b32 s31, 0
	v_and_b32_e32 v9, 1, v9
	s_delay_alu instid0(VALU_DEP_3) | instskip(SKIP_2) | instid1(VALU_DEP_2)
	v_cmp_eq_u16_e32 vcc_lo, 0, v8
	v_and_b32_e32 v8, 1, v42
	v_cndmask_b32_e32 v6, 1, v6, vcc_lo
	v_cmp_eq_u32_e32 vcc_lo, 1, v8
	s_delay_alu instid0(VALU_DEP_2)
	v_mul_lo_u16 v6, v6, v48
	v_cndmask_b32_e64 v8, v9, 1, vcc_lo
.LBB281_172:                            ;   in Loop: Header=BB281_173 Depth=1
	s_and_b32 vcc_lo, exec_lo, s31
	s_cbranch_vccnz .LBB281_261
.LBB281_173:                            ; =>This Loop Header: Depth=1
                                        ;     Child Loop BB281_176 Depth 2
	v_and_b32_e32 v7, 0xff, v7
	s_wait_dscnt 0x0
	v_dual_mov_b32 v42, v8 :: v_dual_mov_b32 v48, v6
	s_mov_b32 s31, -1
                                        ; implicit-def: $vgpr8
	s_delay_alu instid0(VALU_DEP_2)
	v_cmp_ne_u16_e32 vcc_lo, 2, v7
                                        ; implicit-def: $vgpr6
	s_cmp_lg_u32 vcc_lo, exec_lo
	s_cbranch_scc1 .LBB281_172
; %bb.174:                              ;   in Loop: Header=BB281_173 Depth=1
	global_load_b64 v[6:7], v4, s[36:37] scale_offset scope:SCOPE_DEV
	s_mov_b32 s31, exec_lo
	s_wait_loadcnt 0x0
	v_and_b32_e32 v8, 0xff, v7
	s_wait_xcnt 0x0
	s_delay_alu instid0(VALU_DEP_1)
	v_cmpx_eq_u16_e32 0, v8
	s_cbranch_execz .LBB281_178
; %bb.175:                              ;   in Loop: Header=BB281_173 Depth=1
	v_lshl_add_u64 v[8:9], v[4:5], 3, s[36:37]
	s_mov_b32 s39, 0
.LBB281_176:                            ;   Parent Loop BB281_173 Depth=1
                                        ; =>  This Inner Loop Header: Depth=2
	global_load_b64 v[6:7], v[8:9], off scope:SCOPE_DEV
	s_wait_loadcnt 0x0
	v_and_b32_e32 v49, 0xff, v7
	s_delay_alu instid0(VALU_DEP_1)
	v_cmp_ne_u16_e32 vcc_lo, 0, v49
	s_or_b32 s39, vcc_lo, s39
	s_wait_xcnt 0x0
	s_and_not1_b32 exec_lo, exec_lo, s39
	s_cbranch_execnz .LBB281_176
; %bb.177:                              ;   in Loop: Header=BB281_173 Depth=1
	s_or_b32 exec_lo, exec_lo, s39
.LBB281_178:                            ;   in Loop: Header=BB281_173 Depth=1
	s_delay_alu instid0(SALU_CYCLE_1)
	s_or_b32 exec_lo, exec_lo, s31
	v_and_b32_e32 v50, 0xffffff, v6
	v_and_b32_e32 v8, 0xff, v7
	v_lshrrev_b32_e32 v9, 16, v6
	v_bfe_u32 v49, v6, 16, 8
	s_mov_b32 s31, exec_lo
	ds_bpermute_b32 v51, v3, v50
	v_cmp_eq_u16_e32 vcc_lo, 2, v8
	v_and_or_b32 v8, vcc_lo, v34, 0x80000000
	s_delay_alu instid0(VALU_DEP_1) | instskip(NEXT) | instid1(VALU_DEP_1)
	v_ctz_i32_b32_e32 v8, v8
	v_cmpx_lt_u32_e64 v15, v8
	s_cbranch_execz .LBB281_180
; %bb.179:                              ;   in Loop: Header=BB281_173 Depth=1
	v_and_b32_e32 v9, 0xff0000, v6
	s_delay_alu instid0(VALU_DEP_1) | instskip(SKIP_3) | instid1(VALU_DEP_1)
	v_and_b32_e32 v50, 0x10000, v9
	v_cmp_eq_u32_e32 vcc_lo, 0, v9
	s_wait_dscnt 0x0
	v_dual_lshrrev_b32 v49, 16, v51 :: v_dual_cndmask_b32 v51, 1, v51, vcc_lo
	v_and_b32_e32 v49, 1, v49
	v_cmp_ne_u32_e32 vcc_lo, 0, v50
	s_delay_alu instid0(VALU_DEP_3) | instskip(NEXT) | instid1(VALU_DEP_3)
	v_mul_lo_u16 v6, v51, v6
	v_cndmask_b32_e64 v9, v49, 1, vcc_lo
	s_delay_alu instid0(VALU_DEP_2) | instskip(NEXT) | instid1(VALU_DEP_2)
	v_and_b32_e32 v50, 0xffff, v6
	v_lshlrev_b32_e32 v49, 16, v9
	s_delay_alu instid0(VALU_DEP_1)
	v_or_b32_e32 v50, v49, v50
	v_mov_b32_e32 v49, v9
.LBB281_180:                            ;   in Loop: Header=BB281_173 Depth=1
	s_or_b32 exec_lo, exec_lo, s31
	s_wait_dscnt 0x0
	ds_bpermute_b32 v51, v35, v50
	s_mov_b32 s31, exec_lo
	v_cmpx_le_u32_e64 v36, v8
	s_cbranch_execz .LBB281_182
; %bb.181:                              ;   in Loop: Header=BB281_173 Depth=1
	v_cmp_eq_u16_e32 vcc_lo, 0, v49
	s_wait_dscnt 0x0
	v_dual_lshrrev_b32 v9, 16, v51 :: v_dual_bitop2_b32 v49, 1, v49 bitop3:0x40
	s_delay_alu instid0(VALU_DEP_1) | instskip(NEXT) | instid1(VALU_DEP_2)
	v_dual_cndmask_b32 v50, 1, v51, vcc_lo :: v_dual_bitop2_b32 v9, 1, v9 bitop3:0x40
	v_cmp_eq_u32_e32 vcc_lo, 1, v49
	s_delay_alu instid0(VALU_DEP_2) | instskip(NEXT) | instid1(VALU_DEP_3)
	v_mul_lo_u16 v6, v50, v6
	v_cndmask_b32_e64 v9, v9, 1, vcc_lo
	s_delay_alu instid0(VALU_DEP_2) | instskip(NEXT) | instid1(VALU_DEP_2)
	v_and_b32_e32 v49, 0xffff, v6
	v_lshlrev_b32_e32 v50, 16, v9
	s_delay_alu instid0(VALU_DEP_1)
	v_dual_mov_b32 v49, v9 :: v_dual_bitop2_b32 v50, v50, v49 bitop3:0x54
.LBB281_182:                            ;   in Loop: Header=BB281_173 Depth=1
	s_or_b32 exec_lo, exec_lo, s31
	s_wait_dscnt 0x0
	ds_bpermute_b32 v51, v37, v50
	s_mov_b32 s31, exec_lo
	v_cmpx_le_u32_e64 v38, v8
	s_cbranch_execz .LBB281_184
; %bb.183:                              ;   in Loop: Header=BB281_173 Depth=1
	v_cmp_eq_u16_e32 vcc_lo, 0, v49
	s_wait_dscnt 0x0
	v_dual_lshrrev_b32 v9, 16, v51 :: v_dual_bitop2_b32 v49, 1, v49 bitop3:0x40
	s_delay_alu instid0(VALU_DEP_1) | instskip(NEXT) | instid1(VALU_DEP_2)
	v_dual_cndmask_b32 v50, 1, v51, vcc_lo :: v_dual_bitop2_b32 v9, 1, v9 bitop3:0x40
	v_cmp_eq_u32_e32 vcc_lo, 1, v49
	s_delay_alu instid0(VALU_DEP_2) | instskip(NEXT) | instid1(VALU_DEP_3)
	v_mul_lo_u16 v6, v50, v6
	v_cndmask_b32_e64 v9, v9, 1, vcc_lo
	s_delay_alu instid0(VALU_DEP_2) | instskip(NEXT) | instid1(VALU_DEP_2)
	v_and_b32_e32 v49, 0xffff, v6
	v_lshlrev_b32_e32 v50, 16, v9
	s_delay_alu instid0(VALU_DEP_1)
	v_dual_mov_b32 v49, v9 :: v_dual_bitop2_b32 v50, v50, v49 bitop3:0x54
.LBB281_184:                            ;   in Loop: Header=BB281_173 Depth=1
	;; [unrolled: 22-line block ×3, first 2 shown]
	s_or_b32 exec_lo, exec_lo, s31
	ds_bpermute_b32 v50, v41, v50
	s_mov_b32 s31, exec_lo
	v_cmpx_le_u32_e64 v47, v8
	s_cbranch_execz .LBB281_171
; %bb.187:                              ;   in Loop: Header=BB281_173 Depth=1
	v_cmp_eq_u16_e32 vcc_lo, 0, v49
	s_wait_dscnt 0x0
	v_dual_lshrrev_b32 v49, 16, v50 :: v_dual_bitop2_b32 v9, 1, v49 bitop3:0x40
	v_cndmask_b32_e32 v8, 1, v50, vcc_lo
	s_delay_alu instid0(VALU_DEP_2) | instskip(NEXT) | instid1(VALU_DEP_2)
	v_cmp_eq_u32_e32 vcc_lo, 1, v9
	v_mul_lo_u16 v6, v8, v6
	s_delay_alu instid0(VALU_DEP_4)
	v_cndmask_b32_e64 v9, v49, 1, vcc_lo
	s_branch .LBB281_171
.LBB281_188:
                                        ; implicit-def: $vgpr47
                                        ; implicit-def: $vgpr4
                                        ; implicit-def: $vgpr5
                                        ; implicit-def: $vgpr6
                                        ; implicit-def: $vgpr7
                                        ; implicit-def: $vgpr8
                                        ; implicit-def: $vgpr9
                                        ; implicit-def: $vgpr13
                                        ; implicit-def: $vgpr12
                                        ; implicit-def: $vgpr14
                                        ; implicit-def: $vgpr15
                                        ; implicit-def: $vgpr34
                                        ; implicit-def: $vgpr35
                                        ; implicit-def: $vgpr36
                                        ; implicit-def: $vgpr37
                                        ; implicit-def: $vgpr39
                                        ; implicit-def: $vgpr38
                                        ; implicit-def: $vgpr40
                                        ; implicit-def: $vgpr41
                                        ; implicit-def: $vgpr42
	s_cbranch_execnz .LBB281_268
.LBB281_189:
	s_add_nc_u64 s[0:1], s[22:23], s[34:35]
	s_and_b32 vcc_lo, exec_lo, s29
	s_add_nc_u64 s[0:1], s[0:1], s[24:25]
	s_cbranch_vccz .LBB281_287
.LBB281_190:
	v_mul_u32_u24_e32 v1, 20, v0
	s_add_co_i32 s33, s33, s38
	s_mov_b32 s2, exec_lo
	s_delay_alu instid0(VALU_DEP_1)
	v_cmpx_gt_u32_e64 s33, v1
	s_cbranch_execz .LBB281_222
; %bb.191:
	v_or_b32_e32 v2, 1, v1
	s_mov_b32 s3, exec_lo
	s_delay_alu instid0(VALU_DEP_1)
	v_cmpx_gt_u32_e64 s33, v2
	s_cbranch_execz .LBB281_221
; %bb.192:
	v_or_b32_e32 v2, 2, v1
	;; [unrolled: 6-line block ×3, first 2 shown]
	s_mov_b32 s5, exec_lo
	s_delay_alu instid0(VALU_DEP_1)
	v_cmpx_gt_u32_e64 s33, v2
	s_cbranch_execz .LBB281_219
; %bb.194:
	v_add_nc_u32_e32 v2, 4, v1
	s_mov_b32 s6, exec_lo
	s_delay_alu instid0(VALU_DEP_1)
	v_cmpx_gt_u32_e64 s33, v2
	s_cbranch_execz .LBB281_218
; %bb.195:
	v_add_nc_u32_e32 v2, 5, v1
	;; [unrolled: 6-line block ×12, first 2 shown]
	s_mov_b32 s17, exec_lo
	s_delay_alu instid0(VALU_DEP_1)
	v_cmpx_gt_u32_e64 s33, v2
; %bb.206:
	v_add_nc_u32_e32 v2, 16, v1
	s_mov_b32 s18, exec_lo
	s_delay_alu instid0(VALU_DEP_1)
	v_cmpx_gt_u32_e64 s33, v2
	s_or_b32 exec_lo, exec_lo, s18
; %bb.207:
	s_delay_alu instid0(SALU_CYCLE_1)
	s_or_b32 exec_lo, exec_lo, s17
.LBB281_208:
	s_delay_alu instid0(SALU_CYCLE_1)
	s_or_b32 exec_lo, exec_lo, s16
.LBB281_209:
	s_delay_alu instid0(SALU_CYCLE_1)
	s_or_b32 exec_lo, exec_lo, s15
.LBB281_210:
	s_delay_alu instid0(SALU_CYCLE_1)
	s_or_b32 exec_lo, exec_lo, s14
.LBB281_211:
	s_delay_alu instid0(SALU_CYCLE_1)
	s_or_b32 exec_lo, exec_lo, s13
.LBB281_212:
	s_delay_alu instid0(SALU_CYCLE_1)
	s_or_b32 exec_lo, exec_lo, s12
.LBB281_213:
	s_delay_alu instid0(SALU_CYCLE_1)
	s_or_b32 exec_lo, exec_lo, s11
.LBB281_214:
	s_delay_alu instid0(SALU_CYCLE_1)
	s_or_b32 exec_lo, exec_lo, s10
.LBB281_215:
	s_delay_alu instid0(SALU_CYCLE_1)
	s_or_b32 exec_lo, exec_lo, s9
.LBB281_216:
	s_delay_alu instid0(SALU_CYCLE_1)
	s_or_b32 exec_lo, exec_lo, s8
.LBB281_217:
	s_delay_alu instid0(SALU_CYCLE_1)
	s_or_b32 exec_lo, exec_lo, s7
.LBB281_218:
	s_delay_alu instid0(SALU_CYCLE_1)
	s_or_b32 exec_lo, exec_lo, s6
.LBB281_219:
	s_delay_alu instid0(SALU_CYCLE_1)
	s_or_b32 exec_lo, exec_lo, s5
.LBB281_220:
	s_delay_alu instid0(SALU_CYCLE_1)
	s_or_b32 exec_lo, exec_lo, s4
.LBB281_221:
	s_delay_alu instid0(SALU_CYCLE_1)
	s_or_b32 exec_lo, exec_lo, s3
.LBB281_222:
	s_delay_alu instid0(SALU_CYCLE_1)
	s_or_b32 exec_lo, exec_lo, s2
	v_dual_lshlrev_b32 v31, 1, v1 :: v_dual_mov_b32 v11, 0
	v_perm_b32 v3, v13, v9, 0x5040100
	v_perm_b32 v2, v8, v7, 0x5040100
	;; [unrolled: 1-line block ×4, first 2 shown]
	v_mad_i32_i24 v1, 0xffffffda, v0, v31
	v_perm_b32 v19, v39, v37, 0x5040100
	v_perm_b32 v18, v36, v35, 0x5040100
	;; [unrolled: 1-line block ×6, first 2 shown]
	s_wait_storecnt 0x0
	s_barrier_signal -1
	s_barrier_wait -1
	ds_store_2addr_b64 v31, v[16:17], v[2:3] offset1:1
	ds_store_2addr_b64 v31, v[20:21], v[18:19] offset0:2 offset1:3
	ds_store_b64 v31, v[22:23] offset:32
	s_wait_dscnt 0x0
	s_barrier_signal -1
	s_barrier_wait -1
	ds_load_u16 v43, v1 offset:512
	ds_load_u16 v33, v1 offset:1024
	;; [unrolled: 1-line block ×19, first 2 shown]
	v_add_nc_u64_e32 v[2:3], s[0:1], v[10:11]
	s_mov_b32 s2, exec_lo
	v_cmpx_gt_u32_e64 s33, v0
	s_cbranch_execz .LBB281_224
; %bb.223:
	v_mul_i32_i24_e32 v10, 0xffffffda, v0
	s_delay_alu instid0(VALU_DEP_1)
	v_add_nc_u32_e32 v10, v31, v10
	ds_load_u16 v10, v10
	s_wait_dscnt 0x0
	flat_store_b16 v[2:3], v10
.LBB281_224:
	s_wait_xcnt 0x0
	s_or_b32 exec_lo, exec_lo, s2
	v_or_b32_e32 v10, 0x100, v0
	s_mov_b32 s2, exec_lo
	s_delay_alu instid0(VALU_DEP_1)
	v_cmpx_gt_u32_e64 s33, v10
	s_cbranch_execz .LBB281_226
; %bb.225:
	s_wait_dscnt 0x12
	flat_store_b16 v[2:3], v43 offset:512
.LBB281_226:
	s_wait_xcnt 0x0
	s_or_b32 exec_lo, exec_lo, s2
	v_or_b32_e32 v10, 0x200, v0
	s_mov_b32 s2, exec_lo
	s_delay_alu instid0(VALU_DEP_1)
	v_cmpx_gt_u32_e64 s33, v10
	s_cbranch_execz .LBB281_228
; %bb.227:
	s_wait_dscnt 0x11
	flat_store_b16 v[2:3], v33 offset:1024
.LBB281_228:
	;; [unrolled: 11-line block ×18, first 2 shown]
	s_wait_xcnt 0x0
	s_or_b32 exec_lo, exec_lo, s2
	v_or_b32_e32 v2, 0x1300, v0
	s_delay_alu instid0(VALU_DEP_1)
	v_cmp_gt_u32_e64 s2, s33, v2
	s_branch .LBB281_289
.LBB281_261:
	s_and_saveexec_b32 s31, s21
	s_cbranch_execz .LBB281_263
; %bb.262:
	v_and_b32_e32 v3, 0xff0000, v2
	v_and_b32_e32 v5, 0x10000, v2
	s_add_co_i32 s21, s28, 32
	s_delay_alu instid0(VALU_DEP_2) | instskip(SKIP_1) | instid1(VALU_DEP_1)
	v_cmp_eq_u32_e32 vcc_lo, 0, v3
	v_dual_cndmask_b32 v3, 1, v48, vcc_lo :: v_dual_bitop2_b32 v4, 1, v42 bitop3:0x40
	v_lshlrev_b32_e32 v4, 16, v4
	v_cmp_eq_u32_e32 vcc_lo, 0, v5
	s_delay_alu instid0(VALU_DEP_3) | instskip(NEXT) | instid1(VALU_DEP_3)
	v_mul_lo_u16 v2, v3, v2
	v_dual_mov_b32 v3, 2 :: v_dual_cndmask_b32 v4, 0x10000, v4
	s_delay_alu instid0(VALU_DEP_2) | instskip(NEXT) | instid1(VALU_DEP_1)
	v_and_b32_e32 v2, 0xffff, v2
	v_dual_mov_b32 v4, s21 :: v_dual_bitop2_b32 v2, v4, v2 bitop3:0x54
	global_store_b64 v4, v[2:3], s[36:37] scale_offset scope:SCOPE_DEV
.LBB281_263:
	s_wait_xcnt 0x0
	s_or_b32 exec_lo, exec_lo, s31
	s_delay_alu instid0(SALU_CYCLE_1)
	s_and_b32 exec_lo, exec_lo, s20
	s_cbranch_execz .LBB281_265
; %bb.264:
	v_mov_b32_e32 v2, 0
	ds_store_b16 v2, v48
	ds_store_b8 v2, v42 offset:2
.LBB281_265:
	s_or_b32 exec_lo, exec_lo, s30
	v_dual_mov_b32 v2, 0 :: v_dual_mov_b32 v3, v30
	s_wait_storecnt_dscnt 0x0
	s_barrier_signal -1
	s_barrier_wait -1
	ds_load_b32 v2, v2
	s_and_saveexec_b32 s20, s19
; %bb.266:
	v_and_b32_e32 v3, 0x10000, v30
	v_cmp_gt_u32_e32 vcc_lo, 0x10000, v30
	v_cndmask_b32_e32 v4, 1, v13, vcc_lo
	s_delay_alu instid0(VALU_DEP_3) | instskip(NEXT) | instid1(VALU_DEP_2)
	v_cmp_ne_u32_e32 vcc_lo, 0, v3
	v_mul_lo_u16 v3, v4, v30
	v_cndmask_b32_e64 v12, v14, 1, vcc_lo
; %bb.267:
	s_or_b32 exec_lo, exec_lo, s20
	s_delay_alu instid0(VALU_DEP_1) | instskip(NEXT) | instid1(VALU_DEP_1)
	v_and_b32_e32 v4, 0xff, v12
	v_cmp_eq_u16_e32 vcc_lo, 0, v4
	s_wait_dscnt 0x0
	v_cndmask_b32_e32 v2, 1, v2, vcc_lo
	s_delay_alu instid0(VALU_DEP_1) | instskip(NEXT) | instid1(VALU_DEP_1)
	v_mul_lo_u16 v2, v2, v3
	v_cndmask_b32_e64 v3, 1, v2, s18
	v_and_b32_e32 v47, 0xffff, v2
	s_delay_alu instid0(VALU_DEP_2) | instskip(NEXT) | instid1(VALU_DEP_1)
	v_mul_lo_u16 v4, v3, v33
	v_cndmask_b32_e64 v3, 1, v4, s17
	s_delay_alu instid0(VALU_DEP_1) | instskip(NEXT) | instid1(VALU_DEP_1)
	v_mul_lo_u16 v5, v3, v32
	v_cndmask_b32_e64 v3, 1, v5, s16
	s_delay_alu instid0(VALU_DEP_1) | instskip(NEXT) | instid1(VALU_DEP_1)
	;; [unrolled: 3-line block ×17, first 2 shown]
	v_mul_lo_u16 v41, v3, v1
	v_cndmask_b32_e64 v3, 1, v41, s0
	s_delay_alu instid0(VALU_DEP_1)
	v_mul_lo_u16 v42, v3, v11
	s_branch .LBB281_189
.LBB281_268:
	s_cmp_lg_u64 s[40:41], 0
	v_cmp_eq_u32_e32 vcc_lo, 0, v0
	s_cselect_b32 s1, -1, 0
	s_cmp_lg_u64 s[26:27], 0
	v_cmp_ne_u32_e64 s0, 0, v0
	s_cselect_b32 s2, -1, 0
	s_delay_alu instid0(SALU_CYCLE_1) | instskip(NEXT) | instid1(SALU_CYCLE_1)
	s_and_b32 s1, s1, s2
	s_and_b32 s1, vcc_lo, s1
	s_delay_alu instid0(SALU_CYCLE_1)
	s_and_saveexec_b32 s2, s1
	s_cbranch_execz .LBB281_270
; %bb.269:
	v_mov_b32_e32 v2, 0
	v_cmp_gt_u32_e64 s1, 0x10000, v30
	s_clause 0x1
	global_load_u16 v3, v2, s[26:27]
	global_load_u8 v4, v2, s[26:27] offset:2
	s_wait_loadcnt 0x0
	v_dual_cndmask_b32 v2, 1, v3, s1 :: v_dual_bitop2_b32 v3, 1, v4 bitop3:0x40
	v_and_b32_e32 v4, 0x10000, v30
	s_delay_alu instid0(VALU_DEP_2) | instskip(NEXT) | instid1(VALU_DEP_3)
	v_lshlrev_b32_e32 v3, 16, v3
	v_mul_lo_u16 v2, v2, v30
	s_delay_alu instid0(VALU_DEP_3) | instskip(NEXT) | instid1(VALU_DEP_2)
	v_cmp_eq_u32_e64 s1, 0, v4
	v_and_b32_e32 v2, 0xffff, v2
	s_delay_alu instid0(VALU_DEP_2) | instskip(NEXT) | instid1(VALU_DEP_1)
	v_cndmask_b32_e64 v3, 0x10000, v3, s1
	v_or_b32_e32 v30, v3, v2
.LBB281_270:
	s_or_b32 exec_lo, exec_lo, s2
	v_cmp_gt_u32_e64 s1, 0x10000, v33
	v_cmp_gt_u32_e64 s18, 0x10000, v1
	;; [unrolled: 1-line block ×5, first 2 shown]
	v_cndmask_b32_e64 v2, 1, v30, s1
	v_cmp_gt_u32_e64 s19, 0x10000, v11
	v_cmp_gt_u32_e64 s5, 0x10000, v28
	;; [unrolled: 1-line block ×4, first 2 shown]
	v_mul_lo_u16 v4, v2, v33
	v_cmp_gt_u32_e64 s8, 0x10000, v25
	v_cmp_gt_u32_e64 s9, 0x10000, v24
	;; [unrolled: 1-line block ×4, first 2 shown]
	v_dual_cndmask_b32 v2, 1, v4, s2 :: v_dual_bitop2_b32 v42, 28, v45 bitop3:0x40
	v_cmp_gt_u32_e64 s12, 0x10000, v21
	v_cmp_gt_u32_e64 s13, 0x10000, v20
	;; [unrolled: 1-line block ×3, first 2 shown]
	s_delay_alu instid0(VALU_DEP_4)
	v_mul_lo_u16 v5, v2, v32
	v_cmp_gt_u32_e64 s15, 0x10000, v18
	v_cmp_gt_u32_e64 s16, 0x10000, v17
	;; [unrolled: 1-line block ×3, first 2 shown]
	v_or3_b32 v3, v44, v29, v31
	v_cndmask_b32_e64 v2, 1, v5, s3
	v_lshl_add_u32 v44, v0, 2, v42
	s_mov_b32 s21, exec_lo
	s_delay_alu instid0(VALU_DEP_3) | instskip(NEXT) | instid1(VALU_DEP_3)
	v_or3_b32 v3, v3, v32, v33
	v_mul_lo_u16 v6, v2, v31
	s_delay_alu instid0(VALU_DEP_1) | instskip(NEXT) | instid1(VALU_DEP_1)
	v_cndmask_b32_e64 v2, 1, v6, s4
	v_mul_lo_u16 v7, v2, v29
	s_delay_alu instid0(VALU_DEP_1) | instskip(NEXT) | instid1(VALU_DEP_1)
	v_cndmask_b32_e64 v2, 1, v7, s5
	;; [unrolled: 3-line block ×14, first 2 shown]
	v_mul_lo_u16 v40, v2, v16
	v_or3_b32 v2, v46, v21, v22
	s_delay_alu instid0(VALU_DEP_2) | instskip(NEXT) | instid1(VALU_DEP_2)
	v_cndmask_b32_e64 v41, 1, v40, s18
	v_or3_b32 v2, v2, v23, v24
	s_delay_alu instid0(VALU_DEP_2) | instskip(NEXT) | instid1(VALU_DEP_2)
	v_mul_lo_u16 v41, v41, v1
	v_or3_b32 v2, v11, v43, v2
	s_delay_alu instid0(VALU_DEP_2) | instskip(NEXT) | instid1(VALU_DEP_2)
	v_cndmask_b32_e64 v43, 1, v41, s19
	v_bitop3_b32 v2, v2, 0xff0000, v3 bitop3:0xc8
	v_lshrrev_b32_e32 v3, 16, v30
	s_delay_alu instid0(VALU_DEP_3) | instskip(NEXT) | instid1(VALU_DEP_3)
	v_mul_lo_u16 v42, v43, v11
	v_cmp_eq_u32_e64 s20, 0, v2
	s_delay_alu instid0(VALU_DEP_1)
	v_cndmask_b32_e64 v3, 1, v3, s20
	ds_store_b16 v44, v42
	ds_store_b8 v44, v3 offset:2
	s_wait_dscnt 0x0
	s_barrier_signal -1
	s_barrier_wait -1
	v_cmpx_gt_u32_e32 32, v0
	s_cbranch_execz .LBB281_282
; %bb.271:
	v_and_b32_e32 v2, 0xfc, v0
	v_lshlrev_b32_e32 v43, 5, v0
	s_mov_b32 s26, exec_lo
	s_delay_alu instid0(VALU_DEP_1)
	v_add_nc_u32_e32 v2, v2, v43
	ds_load_u8 v44, v2 offset:6
	ds_load_b32 v43, v2
	ds_load_u16 v45, v2 offset:4
	ds_load_u8 v46, v2 offset:10
	ds_load_u16 v47, v2 offset:8
	ds_load_u16 v48, v2 offset:12
	ds_load_u8 v49, v2 offset:14
	ds_load_u16 v50, v2 offset:16
	s_wait_dscnt 0x7
	v_cmp_eq_u16_e64 s20, 0, v44
	s_wait_dscnt 0x4
	s_delay_alu instid0(VALU_DEP_1) | instskip(SKIP_1) | instid1(VALU_DEP_2)
	v_dual_cndmask_b32 v51, 1, v43, s20 :: v_dual_bitop2_b32 v44, v46, v44 bitop3:0x54
	v_cmp_eq_u16_e64 s20, 0, v46
	v_mul_lo_u16 v45, v51, v45
	ds_load_u8 v51, v2 offset:18
	v_cndmask_b32_e64 v45, 1, v45, s20
	s_wait_dscnt 0x2
	v_cmp_eq_u16_e64 s20, 0, v49
	s_delay_alu instid0(VALU_DEP_2) | instskip(SKIP_2) | instid1(VALU_DEP_1)
	v_mul_lo_u16 v45, v45, v47
	ds_load_u8 v47, v2 offset:22
	v_cndmask_b32_e64 v45, 1, v45, s20
	v_mul_lo_u16 v45, v45, v48
	ds_load_u16 v48, v2 offset:20
	ds_load_u16 v52, v2 offset:24
	ds_load_u8 v53, v2 offset:26
	ds_load_u16 v54, v2 offset:28
	ds_load_u8 v55, v2 offset:30
	s_wait_dscnt 0x6
	v_cmp_eq_u16_e64 s20, 0, v51
	v_bitop3_b16 v46, v44, v51, v49 bitop3:0xfe
	v_and_b32_e32 v44, 0x10000, v43
	s_delay_alu instid0(VALU_DEP_3)
	v_cndmask_b32_e64 v45, 1, v45, s20
	s_wait_dscnt 0x5
	v_cmp_eq_u16_e64 s20, 0, v47
	s_wait_dscnt 0x2
	v_bitop3_b16 v46, v46, v53, v47 bitop3:0xfe
	s_wait_dscnt 0x0
	v_and_b32_e32 v47, 1, v55
	v_mul_lo_u16 v45, v45, v50
	s_delay_alu instid0(VALU_DEP_1) | instskip(SKIP_1) | instid1(VALU_DEP_2)
	v_cndmask_b32_e64 v45, 1, v45, s20
	v_cmp_eq_u16_e64 s20, 0, v53
	v_mul_lo_u16 v45, v45, v48
	s_delay_alu instid0(VALU_DEP_1) | instskip(SKIP_1) | instid1(VALU_DEP_2)
	v_cndmask_b32_e64 v45, 1, v45, s20
	v_cmp_eq_u16_e64 s20, 0, v55
	;; [unrolled: 4-line block ×3, first 2 shown]
	v_mul_lo_u16 v46, v45, v54
	s_delay_alu instid0(VALU_DEP_2) | instskip(SKIP_4) | instid1(VALU_DEP_4)
	v_cndmask_b32_e64 v48, 0x10000, v44, s20
	v_cmp_eq_u32_e64 s20, 1, v47
	v_and_b32_e32 v45, 0xff000000, v43
	v_mbcnt_lo_u32_b32 v47, -1, 0
	v_and_b32_e32 v49, 0xffff, v46
	v_cndmask_b32_e64 v48, v48, 0x10000, s20
	s_delay_alu instid0(VALU_DEP_1) | instskip(NEXT) | instid1(VALU_DEP_3)
	v_or_b32_e32 v50, v48, v45
	v_or3_b32 v51, v45, v49, v48
	s_delay_alu instid0(VALU_DEP_2) | instskip(NEXT) | instid1(VALU_DEP_2)
	v_dual_lshrrev_b32 v49, 16, v50 :: v_dual_bitop2_b32 v48, 15, v47 bitop3:0x40
	v_mov_b32_dpp v52, v51 row_shr:1 row_mask:0xf bank_mask:0xf
	s_delay_alu instid0(VALU_DEP_2)
	v_cmpx_ne_u32_e32 0, v48
	s_cbranch_execz .LBB281_273
; %bb.272:
	s_delay_alu instid0(VALU_DEP_2) | instskip(SKIP_1) | instid1(VALU_DEP_2)
	v_dual_lshrrev_b32 v49, 16, v50 :: v_dual_lshrrev_b32 v51, 16, v52
	v_and_b32_e32 v50, 0x10000, v50
	v_and_b32_e32 v49, 0xff, v49
	s_delay_alu instid0(VALU_DEP_1) | instskip(NEXT) | instid1(VALU_DEP_1)
	v_cmp_eq_u16_e64 s20, 0, v49
	v_dual_cndmask_b32 v52, 1, v52, s20 :: v_dual_bitop2_b32 v51, 1, v51 bitop3:0x40
	s_delay_alu instid0(VALU_DEP_4) | instskip(NEXT) | instid1(VALU_DEP_2)
	v_cmp_ne_u32_e64 s20, 0, v50
	v_mul_lo_u16 v46, v52, v46
	s_delay_alu instid0(VALU_DEP_2) | instskip(NEXT) | instid1(VALU_DEP_2)
	v_cndmask_b32_e64 v49, v51, 1, s20
	v_and_b32_e32 v51, 0xffff, v46
	s_delay_alu instid0(VALU_DEP_2) | instskip(NEXT) | instid1(VALU_DEP_1)
	v_lshlrev_b32_e32 v50, 16, v49
	v_or3_b32 v51, v50, v51, v45
.LBB281_273:
	s_or_b32 exec_lo, exec_lo, s26
	s_delay_alu instid0(VALU_DEP_1)
	v_lshrrev_b32_e32 v50, 16, v51
	v_mov_b32_dpp v52, v51 row_shr:2 row_mask:0xf bank_mask:0xf
	s_mov_b32 s26, exec_lo
	v_cmpx_lt_u32_e32 1, v48
	s_cbranch_execz .LBB281_275
; %bb.274:
	v_and_b32_e32 v50, 0xff, v50
	v_and_b32_e32 v51, 0x10000, v51
	s_delay_alu instid0(VALU_DEP_2) | instskip(NEXT) | instid1(VALU_DEP_1)
	v_cmp_eq_u16_e64 s20, 0, v50
	v_dual_lshrrev_b32 v49, 16, v52 :: v_dual_cndmask_b32 v50, 1, v52, s20
	s_delay_alu instid0(VALU_DEP_1) | instskip(NEXT) | instid1(VALU_DEP_4)
	v_and_b32_e32 v49, 1, v49
	v_cmp_ne_u32_e64 s20, 0, v51
	s_delay_alu instid0(VALU_DEP_3) | instskip(NEXT) | instid1(VALU_DEP_2)
	v_mul_lo_u16 v46, v50, v46
	v_cndmask_b32_e64 v49, v49, 1, s20
	s_delay_alu instid0(VALU_DEP_2) | instskip(NEXT) | instid1(VALU_DEP_2)
	v_and_b32_e32 v51, 0xffff, v46
	v_lshlrev_b32_e32 v50, 16, v49
	s_delay_alu instid0(VALU_DEP_1)
	v_or3_b32 v51, v50, v51, v45
	v_mov_b32_e32 v50, v49
.LBB281_275:
	s_or_b32 exec_lo, exec_lo, s26
	s_delay_alu instid0(VALU_DEP_2)
	v_mov_b32_dpp v52, v51 row_shr:4 row_mask:0xf bank_mask:0xf
	s_mov_b32 s26, exec_lo
	v_cmpx_lt_u32_e32 3, v48
	s_cbranch_execz .LBB281_277
; %bb.276:
	v_and_b32_e32 v51, 0xff, v50
	v_dual_lshrrev_b32 v49, 16, v52 :: v_dual_bitop2_b32 v50, 1, v50 bitop3:0x40
	s_delay_alu instid0(VALU_DEP_2) | instskip(NEXT) | instid1(VALU_DEP_1)
	v_cmp_eq_u16_e64 s20, 0, v51
	v_dual_cndmask_b32 v51, 1, v52, s20 :: v_dual_bitop2_b32 v49, 1, v49 bitop3:0x40
	s_delay_alu instid0(VALU_DEP_3) | instskip(NEXT) | instid1(VALU_DEP_2)
	v_cmp_eq_u32_e64 s20, 1, v50
	v_mul_lo_u16 v46, v51, v46
	s_delay_alu instid0(VALU_DEP_2) | instskip(NEXT) | instid1(VALU_DEP_2)
	v_cndmask_b32_e64 v49, v49, 1, s20
	v_and_b32_e32 v51, 0xffff, v46
	s_delay_alu instid0(VALU_DEP_2) | instskip(NEXT) | instid1(VALU_DEP_1)
	v_lshlrev_b32_e32 v50, 16, v49
	v_or3_b32 v51, v50, v51, v45
	v_mov_b32_e32 v50, v49
.LBB281_277:
	s_or_b32 exec_lo, exec_lo, s26
	s_delay_alu instid0(VALU_DEP_2)
	v_mov_b32_dpp v52, v51 row_shr:8 row_mask:0xf bank_mask:0xf
	s_mov_b32 s26, exec_lo
	v_cmpx_lt_u32_e32 7, v48
	s_cbranch_execz .LBB281_279
; %bb.278:
	v_and_b32_e32 v49, 0xff, v50
	v_dual_lshrrev_b32 v48, 16, v52 :: v_dual_bitop2_b32 v50, 1, v50 bitop3:0x40
	s_delay_alu instid0(VALU_DEP_2) | instskip(NEXT) | instid1(VALU_DEP_2)
	v_cmp_eq_u16_e64 s20, 0, v49
	v_and_b32_e32 v48, 1, v48
	s_delay_alu instid0(VALU_DEP_2) | instskip(NEXT) | instid1(VALU_DEP_4)
	v_cndmask_b32_e64 v51, 1, v52, s20
	v_cmp_eq_u32_e64 s20, 1, v50
	s_delay_alu instid0(VALU_DEP_1) | instskip(NEXT) | instid1(VALU_DEP_1)
	v_cndmask_b32_e64 v49, v48, 1, s20
	v_lshlrev_b32_e32 v48, 16, v49
	s_delay_alu instid0(VALU_DEP_4) | instskip(NEXT) | instid1(VALU_DEP_1)
	v_mul_lo_u16 v46, v51, v46
	v_and_b32_e32 v50, 0xffff, v46
	s_delay_alu instid0(VALU_DEP_1)
	v_or3_b32 v51, v48, v50, v45
	v_mov_b32_e32 v50, v49
.LBB281_279:
	s_or_b32 exec_lo, exec_lo, s26
	ds_swizzle_b32 v48, v51 offset:swizzle(BROADCAST,32,15)
	v_and_b32_e32 v51, 16, v47
	s_mov_b32 s26, exec_lo
	s_delay_alu instid0(VALU_DEP_1)
	v_cmpx_ne_u32_e32 0, v51
	s_cbranch_execz .LBB281_281
; %bb.280:
	v_and_b32_e32 v49, 0xff, v50
	s_delay_alu instid0(VALU_DEP_1) | instskip(SKIP_2) | instid1(VALU_DEP_1)
	v_cmp_eq_u16_e64 s20, 0, v49
	s_wait_dscnt 0x0
	v_dual_lshrrev_b32 v51, 16, v48 :: v_dual_bitop2_b32 v49, 1, v50 bitop3:0x40
	v_dual_cndmask_b32 v48, 1, v48, s20 :: v_dual_bitop2_b32 v50, 1, v51 bitop3:0x40
	s_delay_alu instid0(VALU_DEP_2) | instskip(NEXT) | instid1(VALU_DEP_2)
	v_cmp_eq_u32_e64 s20, 1, v49
	v_mul_lo_u16 v46, v48, v46
	s_delay_alu instid0(VALU_DEP_2)
	v_cndmask_b32_e64 v49, v50, 1, s20
.LBB281_281:
	s_or_b32 exec_lo, exec_lo, s26
	s_wait_dscnt 0x0
	s_delay_alu instid0(VALU_DEP_1) | instskip(SKIP_2) | instid1(VALU_DEP_3)
	v_and_b32_e32 v48, 0xff, v49
	v_add_nc_u32_e32 v49, -1, v47
	v_and_b32_e32 v46, 0xffff, v46
	; wave barrier
	v_lshlrev_b32_e32 v48, 16, v48
	s_delay_alu instid0(VALU_DEP_3) | instskip(NEXT) | instid1(VALU_DEP_2)
	v_cmp_gt_i32_e64 s20, 0, v49
	v_or3_b32 v45, v48, v46, v45
	s_delay_alu instid0(VALU_DEP_2) | instskip(NEXT) | instid1(VALU_DEP_1)
	v_cndmask_b32_e64 v47, v49, v47, s20
	v_lshlrev_b32_e32 v46, 2, v47
	ds_bpermute_b32 v45, v46, v45
	v_and_b32_e32 v46, 0xff0000, v43
	s_delay_alu instid0(VALU_DEP_1) | instskip(SKIP_1) | instid1(VALU_DEP_1)
	v_cmp_eq_u32_e64 s20, 0, v46
	s_wait_dscnt 0x0
	v_dual_lshrrev_b32 v47, 16, v45 :: v_dual_cndmask_b32 v45, 1, v45, s20
	v_cmp_eq_u32_e64 s20, 0, v44
	s_delay_alu instid0(VALU_DEP_2) | instskip(NEXT) | instid1(VALU_DEP_1)
	v_mul_lo_u16 v43, v45, v43
	v_dual_cndmask_b32 v43, v43, v42, vcc_lo :: v_dual_bitop2_b32 v46, 1, v47 bitop3:0x40
	s_delay_alu instid0(VALU_DEP_1) | instskip(NEXT) | instid1(VALU_DEP_1)
	v_cndmask_b32_e64 v44, 1, v46, s20
	v_cndmask_b32_e32 v3, v44, v3, vcc_lo
	ds_store_b16 v2, v43
	ds_store_b8 v2, v3 offset:2
	; wave barrier
	ds_load_u8 v44, v2 offset:6
	ds_load_u16 v45, v2 offset:4
	ds_load_u8 v46, v2 offset:10
	ds_load_u16 v47, v2 offset:8
	ds_load_u16 v48, v2 offset:12
	ds_load_u8 v49, v2 offset:14
	ds_load_u16 v50, v2 offset:16
	ds_load_u8 v51, v2 offset:18
	s_wait_dscnt 0x7
	v_cmp_eq_u16_e64 s20, 0, v44
	s_delay_alu instid0(VALU_DEP_1) | instskip(SKIP_3) | instid1(VALU_DEP_3)
	v_dual_cndmask_b32 v43, 1, v43, s20 :: v_dual_bitop2_b32 v44, 1, v44 bitop3:0x40
	s_wait_dscnt 0x5
	v_cmp_eq_u16_e64 s20, 0, v46
	v_and_b32_e32 v46, 1, v46
	v_mul_lo_u16 v43, v43, v45
	s_delay_alu instid0(VALU_DEP_1) | instskip(SKIP_2) | instid1(VALU_DEP_2)
	v_cndmask_b32_e64 v45, 1, v43, s20
	s_wait_dscnt 0x2
	v_cmp_eq_u16_e64 s20, 0, v49
	v_mul_lo_u16 v45, v45, v47
	ds_load_u8 v47, v2 offset:22
	ds_load_u16 v53, v2 offset:20
	ds_load_u8 v54, v2 offset:26
	ds_load_u8 v55, v2 offset:30
	v_cndmask_b32_e64 v52, 1, v45, s20
	v_cmp_eq_u32_e64 s20, 1, v44
	v_and_b32_e32 v44, 1, v49
	s_delay_alu instid0(VALU_DEP_3) | instskip(NEXT) | instid1(VALU_DEP_3)
	v_mul_lo_u16 v48, v52, v48
	v_cndmask_b32_e64 v3, v3, 1, s20
	s_wait_dscnt 0x4
	v_cmp_eq_u16_e64 s20, 0, v51
	ds_load_u16 v52, v2 offset:24
	ds_load_u16 v56, v2 offset:28
	v_cndmask_b32_e64 v49, 1, v48, s20
	v_cmp_eq_u32_e64 s20, 1, v46
	s_delay_alu instid0(VALU_DEP_2) | instskip(NEXT) | instid1(VALU_DEP_2)
	v_mul_lo_u16 v49, v49, v50
	v_cndmask_b32_e64 v46, v3, 1, s20
	v_cmp_eq_u32_e64 s20, 1, v44
	v_and_b32_e32 v50, 1, v51
	s_wait_dscnt 0x2
	v_and_b32_e32 v57, 1, v55
	s_delay_alu instid0(VALU_DEP_3) | instskip(SKIP_1) | instid1(VALU_DEP_1)
	v_cndmask_b32_e64 v44, v46, 1, s20
	v_cmp_eq_u16_e64 s20, 0, v47
	v_dual_cndmask_b32 v51, 1, v49, s20 :: v_dual_bitop2_b32 v47, 1, v47 bitop3:0x40
	v_cmp_eq_u32_e64 s20, 1, v50
	s_delay_alu instid0(VALU_DEP_2) | instskip(NEXT) | instid1(VALU_DEP_2)
	v_mul_lo_u16 v51, v51, v53
	v_cndmask_b32_e64 v50, v44, 1, s20
	s_delay_alu instid0(VALU_DEP_4)
	v_cmp_eq_u32_e64 s20, 1, v47
	v_and_b32_e32 v53, 1, v54
	ds_store_b16 v2, v43 offset:4
	ds_store_b8 v2, v3 offset:6
	ds_store_b16 v2, v45 offset:8
	ds_store_b8 v2, v46 offset:10
	;; [unrolled: 2-line block ×4, first 2 shown]
	v_cndmask_b32_e64 v47, v50, 1, s20
	v_cmp_eq_u16_e64 s20, 0, v54
	s_delay_alu instid0(VALU_DEP_1) | instskip(SKIP_2) | instid1(VALU_DEP_2)
	v_cndmask_b32_e64 v54, 1, v51, s20
	v_cmp_eq_u32_e64 s20, 1, v53
	s_wait_dscnt 0x9
	v_mul_lo_u16 v52, v54, v52
	s_delay_alu instid0(VALU_DEP_2) | instskip(SKIP_1) | instid1(VALU_DEP_1)
	v_cndmask_b32_e64 v53, v47, 1, s20
	v_cmp_eq_u32_e64 s20, 1, v57
	v_cndmask_b32_e64 v54, v53, 1, s20
	v_cmp_eq_u16_e64 s20, 0, v55
	s_delay_alu instid0(VALU_DEP_1) | instskip(SKIP_1) | instid1(VALU_DEP_1)
	v_cndmask_b32_e64 v55, 1, v52, s20
	s_wait_dscnt 0x8
	v_mul_lo_u16 v3, v55, v56
	ds_store_b16 v2, v51 offset:20
	ds_store_b8 v2, v47 offset:22
	ds_store_b16 v2, v52 offset:24
	ds_store_b8 v2, v53 offset:26
	ds_store_b16 v2, v3 offset:28
	ds_store_b8 v2, v54 offset:30
.LBB281_282:
	s_or_b32 exec_lo, exec_lo, s21
	s_wait_dscnt 0x0
	s_barrier_signal -1
	s_barrier_wait -1
	s_and_saveexec_b32 s20, s0
	s_cbranch_execz .LBB281_284
; %bb.283:
	v_add_nc_u32_e32 v2, -1, v0
	v_cmp_gt_u32_e64 s0, 0x10000, v30
	s_delay_alu instid0(VALU_DEP_2) | instskip(NEXT) | instid1(VALU_DEP_1)
	v_lshrrev_b32_e32 v3, 3, v2
	v_and_b32_e32 v3, 0x1ffffffc, v3
	s_delay_alu instid0(VALU_DEP_1) | instskip(SKIP_4) | instid1(VALU_DEP_1)
	v_lshl_add_u32 v2, v2, 2, v3
	ds_load_u16 v2, v2
	;;#ASMSTART
	;;#ASMEND
	s_wait_dscnt 0x0
	v_cndmask_b32_e64 v2, 1, v2, s0
	v_mul_lo_u32 v30, v2, v30
	s_delay_alu instid0(VALU_DEP_1) | instskip(NEXT) | instid1(VALU_DEP_1)
	v_cndmask_b32_e64 v2, 1, v30, s1
	v_mul_lo_u16 v4, v2, v33
	s_delay_alu instid0(VALU_DEP_1) | instskip(NEXT) | instid1(VALU_DEP_1)
	v_cndmask_b32_e64 v2, 1, v4, s2
	v_mul_lo_u16 v5, v2, v32
	;; [unrolled: 3-line block ×19, first 2 shown]
.LBB281_284:
	s_or_b32 exec_lo, exec_lo, s20
	s_and_saveexec_b32 s0, vcc_lo
	s_cbranch_execz .LBB281_286
; %bb.285:
	v_mov_b32_e32 v1, 0
	ds_load_u8 v2, v1 offset:1050
	ds_load_u16 v3, v1 offset:1048
	s_wait_dscnt 0x1
	v_lshlrev_b32_e32 v2, 16, v2
	s_wait_dscnt 0x0
	v_and_b32_e32 v3, 0xffff, v3
	s_delay_alu instid0(VALU_DEP_1)
	v_dual_mov_b32 v3, 2 :: v_dual_bitop2_b32 v2, v2, v3 bitop3:0x54
	global_store_b64 v1, v[2:3], s[36:37] offset:256 scope:SCOPE_DEV
.LBB281_286:
	s_wait_xcnt 0x0
	s_or_b32 exec_lo, exec_lo, s0
	v_mov_b32_e32 v47, v30
	s_add_nc_u64 s[0:1], s[22:23], s[34:35]
	s_and_b32 vcc_lo, exec_lo, s29
	s_add_nc_u64 s[0:1], s[0:1], s[24:25]
	s_cbranch_vccnz .LBB281_190
.LBB281_287:
	s_mov_b32 s2, 0
                                        ; implicit-def: $vgpr1
	s_cbranch_execz .LBB281_289
; %bb.288:
	s_wait_dscnt 0x0
	v_mul_u32_u24_e32 v1, 40, v0
	v_perm_b32 v3, v13, v9, 0x5040100
	v_perm_b32 v2, v8, v7, 0x5040100
	;; [unrolled: 1-line block ×5, first 2 shown]
	v_mul_i32_i24_e32 v12, 0xffffffda, v0
	v_perm_b32 v7, v39, v37, 0x5040100
	v_perm_b32 v6, v36, v35, 0x5040100
	;; [unrolled: 1-line block ×5, first 2 shown]
	s_wait_storecnt 0x0
	s_barrier_signal -1
	s_barrier_wait -1
	ds_store_2addr_b64 v1, v[4:5], v[2:3] offset1:1
	ds_store_2addr_b64 v1, v[8:9], v[6:7] offset0:2 offset1:3
	ds_store_b64 v1, v[10:11] offset:32
	v_mad_u32_u24 v1, v0, 40, v12
	s_wait_dscnt 0x0
	s_barrier_signal -1
	s_barrier_wait -1
	ds_load_u16 v2, v1
	ds_load_u16 v3, v1 offset:512
	ds_load_u16 v4, v1 offset:1024
	;; [unrolled: 1-line block ×19, first 2 shown]
	s_or_b32 s2, s2, exec_lo
	s_wait_dscnt 0x13
	flat_store_b16 v0, v2, s[0:1] scale_offset
	s_wait_dscnt 0x13
	flat_store_b16 v0, v3, s[0:1] offset:512 scale_offset
	s_wait_dscnt 0x13
	flat_store_b16 v0, v4, s[0:1] offset:1024 scale_offset
	;; [unrolled: 2-line block ×18, first 2 shown]
.LBB281_289:
	s_wait_xcnt 0x0
	s_delay_alu instid0(VALU_DEP_1)
	s_and_saveexec_b32 s3, s2
	s_cbranch_execnz .LBB281_291
; %bb.290:
	s_endpgm
.LBB281_291:
	s_wait_dscnt 0x0
	flat_store_b16 v0, v1, s[0:1] offset:9728 scale_offset
	s_endpgm
	.section	.rodata,"a",@progbits
	.p2align	6, 0x0
	.amdhsa_kernel _ZN7rocprim17ROCPRIM_400000_NS6detail17trampoline_kernelINS0_14default_configENS1_27scan_by_key_config_selectorIssEEZZNS1_16scan_by_key_implILNS1_25lookback_scan_determinismE0ELb0ES3_N6thrust23THRUST_200600_302600_NS6detail15normal_iteratorINS9_10device_ptrIsEEEESE_SE_sNS9_10multipliesIsEENS9_8equal_toIsEEsEE10hipError_tPvRmT2_T3_T4_T5_mT6_T7_P12ihipStream_tbENKUlT_T0_E_clISt17integral_constantIbLb0EESZ_EEDaSU_SV_EUlSU_E_NS1_11comp_targetILNS1_3genE0ELNS1_11target_archE4294967295ELNS1_3gpuE0ELNS1_3repE0EEENS1_30default_config_static_selectorELNS0_4arch9wavefront6targetE0EEEvT1_
		.amdhsa_group_segment_fixed_size 11264
		.amdhsa_private_segment_fixed_size 0
		.amdhsa_kernarg_size 112
		.amdhsa_user_sgpr_count 2
		.amdhsa_user_sgpr_dispatch_ptr 0
		.amdhsa_user_sgpr_queue_ptr 0
		.amdhsa_user_sgpr_kernarg_segment_ptr 1
		.amdhsa_user_sgpr_dispatch_id 0
		.amdhsa_user_sgpr_kernarg_preload_length 0
		.amdhsa_user_sgpr_kernarg_preload_offset 0
		.amdhsa_user_sgpr_private_segment_size 0
		.amdhsa_wavefront_size32 1
		.amdhsa_uses_dynamic_stack 0
		.amdhsa_enable_private_segment 0
		.amdhsa_system_sgpr_workgroup_id_x 1
		.amdhsa_system_sgpr_workgroup_id_y 0
		.amdhsa_system_sgpr_workgroup_id_z 0
		.amdhsa_system_sgpr_workgroup_info 0
		.amdhsa_system_vgpr_workitem_id 0
		.amdhsa_next_free_vgpr 58
		.amdhsa_next_free_sgpr 50
		.amdhsa_named_barrier_count 0
		.amdhsa_reserve_vcc 1
		.amdhsa_float_round_mode_32 0
		.amdhsa_float_round_mode_16_64 0
		.amdhsa_float_denorm_mode_32 3
		.amdhsa_float_denorm_mode_16_64 3
		.amdhsa_fp16_overflow 0
		.amdhsa_memory_ordered 1
		.amdhsa_forward_progress 1
		.amdhsa_inst_pref_size 149
		.amdhsa_round_robin_scheduling 0
		.amdhsa_exception_fp_ieee_invalid_op 0
		.amdhsa_exception_fp_denorm_src 0
		.amdhsa_exception_fp_ieee_div_zero 0
		.amdhsa_exception_fp_ieee_overflow 0
		.amdhsa_exception_fp_ieee_underflow 0
		.amdhsa_exception_fp_ieee_inexact 0
		.amdhsa_exception_int_div_zero 0
	.end_amdhsa_kernel
	.section	.text._ZN7rocprim17ROCPRIM_400000_NS6detail17trampoline_kernelINS0_14default_configENS1_27scan_by_key_config_selectorIssEEZZNS1_16scan_by_key_implILNS1_25lookback_scan_determinismE0ELb0ES3_N6thrust23THRUST_200600_302600_NS6detail15normal_iteratorINS9_10device_ptrIsEEEESE_SE_sNS9_10multipliesIsEENS9_8equal_toIsEEsEE10hipError_tPvRmT2_T3_T4_T5_mT6_T7_P12ihipStream_tbENKUlT_T0_E_clISt17integral_constantIbLb0EESZ_EEDaSU_SV_EUlSU_E_NS1_11comp_targetILNS1_3genE0ELNS1_11target_archE4294967295ELNS1_3gpuE0ELNS1_3repE0EEENS1_30default_config_static_selectorELNS0_4arch9wavefront6targetE0EEEvT1_,"axG",@progbits,_ZN7rocprim17ROCPRIM_400000_NS6detail17trampoline_kernelINS0_14default_configENS1_27scan_by_key_config_selectorIssEEZZNS1_16scan_by_key_implILNS1_25lookback_scan_determinismE0ELb0ES3_N6thrust23THRUST_200600_302600_NS6detail15normal_iteratorINS9_10device_ptrIsEEEESE_SE_sNS9_10multipliesIsEENS9_8equal_toIsEEsEE10hipError_tPvRmT2_T3_T4_T5_mT6_T7_P12ihipStream_tbENKUlT_T0_E_clISt17integral_constantIbLb0EESZ_EEDaSU_SV_EUlSU_E_NS1_11comp_targetILNS1_3genE0ELNS1_11target_archE4294967295ELNS1_3gpuE0ELNS1_3repE0EEENS1_30default_config_static_selectorELNS0_4arch9wavefront6targetE0EEEvT1_,comdat
.Lfunc_end281:
	.size	_ZN7rocprim17ROCPRIM_400000_NS6detail17trampoline_kernelINS0_14default_configENS1_27scan_by_key_config_selectorIssEEZZNS1_16scan_by_key_implILNS1_25lookback_scan_determinismE0ELb0ES3_N6thrust23THRUST_200600_302600_NS6detail15normal_iteratorINS9_10device_ptrIsEEEESE_SE_sNS9_10multipliesIsEENS9_8equal_toIsEEsEE10hipError_tPvRmT2_T3_T4_T5_mT6_T7_P12ihipStream_tbENKUlT_T0_E_clISt17integral_constantIbLb0EESZ_EEDaSU_SV_EUlSU_E_NS1_11comp_targetILNS1_3genE0ELNS1_11target_archE4294967295ELNS1_3gpuE0ELNS1_3repE0EEENS1_30default_config_static_selectorELNS0_4arch9wavefront6targetE0EEEvT1_, .Lfunc_end281-_ZN7rocprim17ROCPRIM_400000_NS6detail17trampoline_kernelINS0_14default_configENS1_27scan_by_key_config_selectorIssEEZZNS1_16scan_by_key_implILNS1_25lookback_scan_determinismE0ELb0ES3_N6thrust23THRUST_200600_302600_NS6detail15normal_iteratorINS9_10device_ptrIsEEEESE_SE_sNS9_10multipliesIsEENS9_8equal_toIsEEsEE10hipError_tPvRmT2_T3_T4_T5_mT6_T7_P12ihipStream_tbENKUlT_T0_E_clISt17integral_constantIbLb0EESZ_EEDaSU_SV_EUlSU_E_NS1_11comp_targetILNS1_3genE0ELNS1_11target_archE4294967295ELNS1_3gpuE0ELNS1_3repE0EEENS1_30default_config_static_selectorELNS0_4arch9wavefront6targetE0EEEvT1_
                                        ; -- End function
	.set _ZN7rocprim17ROCPRIM_400000_NS6detail17trampoline_kernelINS0_14default_configENS1_27scan_by_key_config_selectorIssEEZZNS1_16scan_by_key_implILNS1_25lookback_scan_determinismE0ELb0ES3_N6thrust23THRUST_200600_302600_NS6detail15normal_iteratorINS9_10device_ptrIsEEEESE_SE_sNS9_10multipliesIsEENS9_8equal_toIsEEsEE10hipError_tPvRmT2_T3_T4_T5_mT6_T7_P12ihipStream_tbENKUlT_T0_E_clISt17integral_constantIbLb0EESZ_EEDaSU_SV_EUlSU_E_NS1_11comp_targetILNS1_3genE0ELNS1_11target_archE4294967295ELNS1_3gpuE0ELNS1_3repE0EEENS1_30default_config_static_selectorELNS0_4arch9wavefront6targetE0EEEvT1_.num_vgpr, 58
	.set _ZN7rocprim17ROCPRIM_400000_NS6detail17trampoline_kernelINS0_14default_configENS1_27scan_by_key_config_selectorIssEEZZNS1_16scan_by_key_implILNS1_25lookback_scan_determinismE0ELb0ES3_N6thrust23THRUST_200600_302600_NS6detail15normal_iteratorINS9_10device_ptrIsEEEESE_SE_sNS9_10multipliesIsEENS9_8equal_toIsEEsEE10hipError_tPvRmT2_T3_T4_T5_mT6_T7_P12ihipStream_tbENKUlT_T0_E_clISt17integral_constantIbLb0EESZ_EEDaSU_SV_EUlSU_E_NS1_11comp_targetILNS1_3genE0ELNS1_11target_archE4294967295ELNS1_3gpuE0ELNS1_3repE0EEENS1_30default_config_static_selectorELNS0_4arch9wavefront6targetE0EEEvT1_.num_agpr, 0
	.set _ZN7rocprim17ROCPRIM_400000_NS6detail17trampoline_kernelINS0_14default_configENS1_27scan_by_key_config_selectorIssEEZZNS1_16scan_by_key_implILNS1_25lookback_scan_determinismE0ELb0ES3_N6thrust23THRUST_200600_302600_NS6detail15normal_iteratorINS9_10device_ptrIsEEEESE_SE_sNS9_10multipliesIsEENS9_8equal_toIsEEsEE10hipError_tPvRmT2_T3_T4_T5_mT6_T7_P12ihipStream_tbENKUlT_T0_E_clISt17integral_constantIbLb0EESZ_EEDaSU_SV_EUlSU_E_NS1_11comp_targetILNS1_3genE0ELNS1_11target_archE4294967295ELNS1_3gpuE0ELNS1_3repE0EEENS1_30default_config_static_selectorELNS0_4arch9wavefront6targetE0EEEvT1_.numbered_sgpr, 50
	.set _ZN7rocprim17ROCPRIM_400000_NS6detail17trampoline_kernelINS0_14default_configENS1_27scan_by_key_config_selectorIssEEZZNS1_16scan_by_key_implILNS1_25lookback_scan_determinismE0ELb0ES3_N6thrust23THRUST_200600_302600_NS6detail15normal_iteratorINS9_10device_ptrIsEEEESE_SE_sNS9_10multipliesIsEENS9_8equal_toIsEEsEE10hipError_tPvRmT2_T3_T4_T5_mT6_T7_P12ihipStream_tbENKUlT_T0_E_clISt17integral_constantIbLb0EESZ_EEDaSU_SV_EUlSU_E_NS1_11comp_targetILNS1_3genE0ELNS1_11target_archE4294967295ELNS1_3gpuE0ELNS1_3repE0EEENS1_30default_config_static_selectorELNS0_4arch9wavefront6targetE0EEEvT1_.num_named_barrier, 0
	.set _ZN7rocprim17ROCPRIM_400000_NS6detail17trampoline_kernelINS0_14default_configENS1_27scan_by_key_config_selectorIssEEZZNS1_16scan_by_key_implILNS1_25lookback_scan_determinismE0ELb0ES3_N6thrust23THRUST_200600_302600_NS6detail15normal_iteratorINS9_10device_ptrIsEEEESE_SE_sNS9_10multipliesIsEENS9_8equal_toIsEEsEE10hipError_tPvRmT2_T3_T4_T5_mT6_T7_P12ihipStream_tbENKUlT_T0_E_clISt17integral_constantIbLb0EESZ_EEDaSU_SV_EUlSU_E_NS1_11comp_targetILNS1_3genE0ELNS1_11target_archE4294967295ELNS1_3gpuE0ELNS1_3repE0EEENS1_30default_config_static_selectorELNS0_4arch9wavefront6targetE0EEEvT1_.private_seg_size, 0
	.set _ZN7rocprim17ROCPRIM_400000_NS6detail17trampoline_kernelINS0_14default_configENS1_27scan_by_key_config_selectorIssEEZZNS1_16scan_by_key_implILNS1_25lookback_scan_determinismE0ELb0ES3_N6thrust23THRUST_200600_302600_NS6detail15normal_iteratorINS9_10device_ptrIsEEEESE_SE_sNS9_10multipliesIsEENS9_8equal_toIsEEsEE10hipError_tPvRmT2_T3_T4_T5_mT6_T7_P12ihipStream_tbENKUlT_T0_E_clISt17integral_constantIbLb0EESZ_EEDaSU_SV_EUlSU_E_NS1_11comp_targetILNS1_3genE0ELNS1_11target_archE4294967295ELNS1_3gpuE0ELNS1_3repE0EEENS1_30default_config_static_selectorELNS0_4arch9wavefront6targetE0EEEvT1_.uses_vcc, 1
	.set _ZN7rocprim17ROCPRIM_400000_NS6detail17trampoline_kernelINS0_14default_configENS1_27scan_by_key_config_selectorIssEEZZNS1_16scan_by_key_implILNS1_25lookback_scan_determinismE0ELb0ES3_N6thrust23THRUST_200600_302600_NS6detail15normal_iteratorINS9_10device_ptrIsEEEESE_SE_sNS9_10multipliesIsEENS9_8equal_toIsEEsEE10hipError_tPvRmT2_T3_T4_T5_mT6_T7_P12ihipStream_tbENKUlT_T0_E_clISt17integral_constantIbLb0EESZ_EEDaSU_SV_EUlSU_E_NS1_11comp_targetILNS1_3genE0ELNS1_11target_archE4294967295ELNS1_3gpuE0ELNS1_3repE0EEENS1_30default_config_static_selectorELNS0_4arch9wavefront6targetE0EEEvT1_.uses_flat_scratch, 1
	.set _ZN7rocprim17ROCPRIM_400000_NS6detail17trampoline_kernelINS0_14default_configENS1_27scan_by_key_config_selectorIssEEZZNS1_16scan_by_key_implILNS1_25lookback_scan_determinismE0ELb0ES3_N6thrust23THRUST_200600_302600_NS6detail15normal_iteratorINS9_10device_ptrIsEEEESE_SE_sNS9_10multipliesIsEENS9_8equal_toIsEEsEE10hipError_tPvRmT2_T3_T4_T5_mT6_T7_P12ihipStream_tbENKUlT_T0_E_clISt17integral_constantIbLb0EESZ_EEDaSU_SV_EUlSU_E_NS1_11comp_targetILNS1_3genE0ELNS1_11target_archE4294967295ELNS1_3gpuE0ELNS1_3repE0EEENS1_30default_config_static_selectorELNS0_4arch9wavefront6targetE0EEEvT1_.has_dyn_sized_stack, 0
	.set _ZN7rocprim17ROCPRIM_400000_NS6detail17trampoline_kernelINS0_14default_configENS1_27scan_by_key_config_selectorIssEEZZNS1_16scan_by_key_implILNS1_25lookback_scan_determinismE0ELb0ES3_N6thrust23THRUST_200600_302600_NS6detail15normal_iteratorINS9_10device_ptrIsEEEESE_SE_sNS9_10multipliesIsEENS9_8equal_toIsEEsEE10hipError_tPvRmT2_T3_T4_T5_mT6_T7_P12ihipStream_tbENKUlT_T0_E_clISt17integral_constantIbLb0EESZ_EEDaSU_SV_EUlSU_E_NS1_11comp_targetILNS1_3genE0ELNS1_11target_archE4294967295ELNS1_3gpuE0ELNS1_3repE0EEENS1_30default_config_static_selectorELNS0_4arch9wavefront6targetE0EEEvT1_.has_recursion, 0
	.set _ZN7rocprim17ROCPRIM_400000_NS6detail17trampoline_kernelINS0_14default_configENS1_27scan_by_key_config_selectorIssEEZZNS1_16scan_by_key_implILNS1_25lookback_scan_determinismE0ELb0ES3_N6thrust23THRUST_200600_302600_NS6detail15normal_iteratorINS9_10device_ptrIsEEEESE_SE_sNS9_10multipliesIsEENS9_8equal_toIsEEsEE10hipError_tPvRmT2_T3_T4_T5_mT6_T7_P12ihipStream_tbENKUlT_T0_E_clISt17integral_constantIbLb0EESZ_EEDaSU_SV_EUlSU_E_NS1_11comp_targetILNS1_3genE0ELNS1_11target_archE4294967295ELNS1_3gpuE0ELNS1_3repE0EEENS1_30default_config_static_selectorELNS0_4arch9wavefront6targetE0EEEvT1_.has_indirect_call, 0
	.section	.AMDGPU.csdata,"",@progbits
; Kernel info:
; codeLenInByte = 18968
; TotalNumSgprs: 52
; NumVgprs: 58
; ScratchSize: 0
; MemoryBound: 0
; FloatMode: 240
; IeeeMode: 1
; LDSByteSize: 11264 bytes/workgroup (compile time only)
; SGPRBlocks: 0
; VGPRBlocks: 3
; NumSGPRsForWavesPerEU: 52
; NumVGPRsForWavesPerEU: 58
; NamedBarCnt: 0
; Occupancy: 16
; WaveLimiterHint : 1
; COMPUTE_PGM_RSRC2:SCRATCH_EN: 0
; COMPUTE_PGM_RSRC2:USER_SGPR: 2
; COMPUTE_PGM_RSRC2:TRAP_HANDLER: 0
; COMPUTE_PGM_RSRC2:TGID_X_EN: 1
; COMPUTE_PGM_RSRC2:TGID_Y_EN: 0
; COMPUTE_PGM_RSRC2:TGID_Z_EN: 0
; COMPUTE_PGM_RSRC2:TIDIG_COMP_CNT: 0
	.section	.text._ZN7rocprim17ROCPRIM_400000_NS6detail17trampoline_kernelINS0_14default_configENS1_27scan_by_key_config_selectorIssEEZZNS1_16scan_by_key_implILNS1_25lookback_scan_determinismE0ELb0ES3_N6thrust23THRUST_200600_302600_NS6detail15normal_iteratorINS9_10device_ptrIsEEEESE_SE_sNS9_10multipliesIsEENS9_8equal_toIsEEsEE10hipError_tPvRmT2_T3_T4_T5_mT6_T7_P12ihipStream_tbENKUlT_T0_E_clISt17integral_constantIbLb0EESZ_EEDaSU_SV_EUlSU_E_NS1_11comp_targetILNS1_3genE10ELNS1_11target_archE1201ELNS1_3gpuE5ELNS1_3repE0EEENS1_30default_config_static_selectorELNS0_4arch9wavefront6targetE0EEEvT1_,"axG",@progbits,_ZN7rocprim17ROCPRIM_400000_NS6detail17trampoline_kernelINS0_14default_configENS1_27scan_by_key_config_selectorIssEEZZNS1_16scan_by_key_implILNS1_25lookback_scan_determinismE0ELb0ES3_N6thrust23THRUST_200600_302600_NS6detail15normal_iteratorINS9_10device_ptrIsEEEESE_SE_sNS9_10multipliesIsEENS9_8equal_toIsEEsEE10hipError_tPvRmT2_T3_T4_T5_mT6_T7_P12ihipStream_tbENKUlT_T0_E_clISt17integral_constantIbLb0EESZ_EEDaSU_SV_EUlSU_E_NS1_11comp_targetILNS1_3genE10ELNS1_11target_archE1201ELNS1_3gpuE5ELNS1_3repE0EEENS1_30default_config_static_selectorELNS0_4arch9wavefront6targetE0EEEvT1_,comdat
	.protected	_ZN7rocprim17ROCPRIM_400000_NS6detail17trampoline_kernelINS0_14default_configENS1_27scan_by_key_config_selectorIssEEZZNS1_16scan_by_key_implILNS1_25lookback_scan_determinismE0ELb0ES3_N6thrust23THRUST_200600_302600_NS6detail15normal_iteratorINS9_10device_ptrIsEEEESE_SE_sNS9_10multipliesIsEENS9_8equal_toIsEEsEE10hipError_tPvRmT2_T3_T4_T5_mT6_T7_P12ihipStream_tbENKUlT_T0_E_clISt17integral_constantIbLb0EESZ_EEDaSU_SV_EUlSU_E_NS1_11comp_targetILNS1_3genE10ELNS1_11target_archE1201ELNS1_3gpuE5ELNS1_3repE0EEENS1_30default_config_static_selectorELNS0_4arch9wavefront6targetE0EEEvT1_ ; -- Begin function _ZN7rocprim17ROCPRIM_400000_NS6detail17trampoline_kernelINS0_14default_configENS1_27scan_by_key_config_selectorIssEEZZNS1_16scan_by_key_implILNS1_25lookback_scan_determinismE0ELb0ES3_N6thrust23THRUST_200600_302600_NS6detail15normal_iteratorINS9_10device_ptrIsEEEESE_SE_sNS9_10multipliesIsEENS9_8equal_toIsEEsEE10hipError_tPvRmT2_T3_T4_T5_mT6_T7_P12ihipStream_tbENKUlT_T0_E_clISt17integral_constantIbLb0EESZ_EEDaSU_SV_EUlSU_E_NS1_11comp_targetILNS1_3genE10ELNS1_11target_archE1201ELNS1_3gpuE5ELNS1_3repE0EEENS1_30default_config_static_selectorELNS0_4arch9wavefront6targetE0EEEvT1_
	.globl	_ZN7rocprim17ROCPRIM_400000_NS6detail17trampoline_kernelINS0_14default_configENS1_27scan_by_key_config_selectorIssEEZZNS1_16scan_by_key_implILNS1_25lookback_scan_determinismE0ELb0ES3_N6thrust23THRUST_200600_302600_NS6detail15normal_iteratorINS9_10device_ptrIsEEEESE_SE_sNS9_10multipliesIsEENS9_8equal_toIsEEsEE10hipError_tPvRmT2_T3_T4_T5_mT6_T7_P12ihipStream_tbENKUlT_T0_E_clISt17integral_constantIbLb0EESZ_EEDaSU_SV_EUlSU_E_NS1_11comp_targetILNS1_3genE10ELNS1_11target_archE1201ELNS1_3gpuE5ELNS1_3repE0EEENS1_30default_config_static_selectorELNS0_4arch9wavefront6targetE0EEEvT1_
	.p2align	8
	.type	_ZN7rocprim17ROCPRIM_400000_NS6detail17trampoline_kernelINS0_14default_configENS1_27scan_by_key_config_selectorIssEEZZNS1_16scan_by_key_implILNS1_25lookback_scan_determinismE0ELb0ES3_N6thrust23THRUST_200600_302600_NS6detail15normal_iteratorINS9_10device_ptrIsEEEESE_SE_sNS9_10multipliesIsEENS9_8equal_toIsEEsEE10hipError_tPvRmT2_T3_T4_T5_mT6_T7_P12ihipStream_tbENKUlT_T0_E_clISt17integral_constantIbLb0EESZ_EEDaSU_SV_EUlSU_E_NS1_11comp_targetILNS1_3genE10ELNS1_11target_archE1201ELNS1_3gpuE5ELNS1_3repE0EEENS1_30default_config_static_selectorELNS0_4arch9wavefront6targetE0EEEvT1_,@function
_ZN7rocprim17ROCPRIM_400000_NS6detail17trampoline_kernelINS0_14default_configENS1_27scan_by_key_config_selectorIssEEZZNS1_16scan_by_key_implILNS1_25lookback_scan_determinismE0ELb0ES3_N6thrust23THRUST_200600_302600_NS6detail15normal_iteratorINS9_10device_ptrIsEEEESE_SE_sNS9_10multipliesIsEENS9_8equal_toIsEEsEE10hipError_tPvRmT2_T3_T4_T5_mT6_T7_P12ihipStream_tbENKUlT_T0_E_clISt17integral_constantIbLb0EESZ_EEDaSU_SV_EUlSU_E_NS1_11comp_targetILNS1_3genE10ELNS1_11target_archE1201ELNS1_3gpuE5ELNS1_3repE0EEENS1_30default_config_static_selectorELNS0_4arch9wavefront6targetE0EEEvT1_: ; @_ZN7rocprim17ROCPRIM_400000_NS6detail17trampoline_kernelINS0_14default_configENS1_27scan_by_key_config_selectorIssEEZZNS1_16scan_by_key_implILNS1_25lookback_scan_determinismE0ELb0ES3_N6thrust23THRUST_200600_302600_NS6detail15normal_iteratorINS9_10device_ptrIsEEEESE_SE_sNS9_10multipliesIsEENS9_8equal_toIsEEsEE10hipError_tPvRmT2_T3_T4_T5_mT6_T7_P12ihipStream_tbENKUlT_T0_E_clISt17integral_constantIbLb0EESZ_EEDaSU_SV_EUlSU_E_NS1_11comp_targetILNS1_3genE10ELNS1_11target_archE1201ELNS1_3gpuE5ELNS1_3repE0EEENS1_30default_config_static_selectorELNS0_4arch9wavefront6targetE0EEEvT1_
; %bb.0:
	.section	.rodata,"a",@progbits
	.p2align	6, 0x0
	.amdhsa_kernel _ZN7rocprim17ROCPRIM_400000_NS6detail17trampoline_kernelINS0_14default_configENS1_27scan_by_key_config_selectorIssEEZZNS1_16scan_by_key_implILNS1_25lookback_scan_determinismE0ELb0ES3_N6thrust23THRUST_200600_302600_NS6detail15normal_iteratorINS9_10device_ptrIsEEEESE_SE_sNS9_10multipliesIsEENS9_8equal_toIsEEsEE10hipError_tPvRmT2_T3_T4_T5_mT6_T7_P12ihipStream_tbENKUlT_T0_E_clISt17integral_constantIbLb0EESZ_EEDaSU_SV_EUlSU_E_NS1_11comp_targetILNS1_3genE10ELNS1_11target_archE1201ELNS1_3gpuE5ELNS1_3repE0EEENS1_30default_config_static_selectorELNS0_4arch9wavefront6targetE0EEEvT1_
		.amdhsa_group_segment_fixed_size 0
		.amdhsa_private_segment_fixed_size 0
		.amdhsa_kernarg_size 112
		.amdhsa_user_sgpr_count 2
		.amdhsa_user_sgpr_dispatch_ptr 0
		.amdhsa_user_sgpr_queue_ptr 0
		.amdhsa_user_sgpr_kernarg_segment_ptr 1
		.amdhsa_user_sgpr_dispatch_id 0
		.amdhsa_user_sgpr_kernarg_preload_length 0
		.amdhsa_user_sgpr_kernarg_preload_offset 0
		.amdhsa_user_sgpr_private_segment_size 0
		.amdhsa_wavefront_size32 1
		.amdhsa_uses_dynamic_stack 0
		.amdhsa_enable_private_segment 0
		.amdhsa_system_sgpr_workgroup_id_x 1
		.amdhsa_system_sgpr_workgroup_id_y 0
		.amdhsa_system_sgpr_workgroup_id_z 0
		.amdhsa_system_sgpr_workgroup_info 0
		.amdhsa_system_vgpr_workitem_id 0
		.amdhsa_next_free_vgpr 1
		.amdhsa_next_free_sgpr 1
		.amdhsa_named_barrier_count 0
		.amdhsa_reserve_vcc 0
		.amdhsa_float_round_mode_32 0
		.amdhsa_float_round_mode_16_64 0
		.amdhsa_float_denorm_mode_32 3
		.amdhsa_float_denorm_mode_16_64 3
		.amdhsa_fp16_overflow 0
		.amdhsa_memory_ordered 1
		.amdhsa_forward_progress 1
		.amdhsa_inst_pref_size 0
		.amdhsa_round_robin_scheduling 0
		.amdhsa_exception_fp_ieee_invalid_op 0
		.amdhsa_exception_fp_denorm_src 0
		.amdhsa_exception_fp_ieee_div_zero 0
		.amdhsa_exception_fp_ieee_overflow 0
		.amdhsa_exception_fp_ieee_underflow 0
		.amdhsa_exception_fp_ieee_inexact 0
		.amdhsa_exception_int_div_zero 0
	.end_amdhsa_kernel
	.section	.text._ZN7rocprim17ROCPRIM_400000_NS6detail17trampoline_kernelINS0_14default_configENS1_27scan_by_key_config_selectorIssEEZZNS1_16scan_by_key_implILNS1_25lookback_scan_determinismE0ELb0ES3_N6thrust23THRUST_200600_302600_NS6detail15normal_iteratorINS9_10device_ptrIsEEEESE_SE_sNS9_10multipliesIsEENS9_8equal_toIsEEsEE10hipError_tPvRmT2_T3_T4_T5_mT6_T7_P12ihipStream_tbENKUlT_T0_E_clISt17integral_constantIbLb0EESZ_EEDaSU_SV_EUlSU_E_NS1_11comp_targetILNS1_3genE10ELNS1_11target_archE1201ELNS1_3gpuE5ELNS1_3repE0EEENS1_30default_config_static_selectorELNS0_4arch9wavefront6targetE0EEEvT1_,"axG",@progbits,_ZN7rocprim17ROCPRIM_400000_NS6detail17trampoline_kernelINS0_14default_configENS1_27scan_by_key_config_selectorIssEEZZNS1_16scan_by_key_implILNS1_25lookback_scan_determinismE0ELb0ES3_N6thrust23THRUST_200600_302600_NS6detail15normal_iteratorINS9_10device_ptrIsEEEESE_SE_sNS9_10multipliesIsEENS9_8equal_toIsEEsEE10hipError_tPvRmT2_T3_T4_T5_mT6_T7_P12ihipStream_tbENKUlT_T0_E_clISt17integral_constantIbLb0EESZ_EEDaSU_SV_EUlSU_E_NS1_11comp_targetILNS1_3genE10ELNS1_11target_archE1201ELNS1_3gpuE5ELNS1_3repE0EEENS1_30default_config_static_selectorELNS0_4arch9wavefront6targetE0EEEvT1_,comdat
.Lfunc_end282:
	.size	_ZN7rocprim17ROCPRIM_400000_NS6detail17trampoline_kernelINS0_14default_configENS1_27scan_by_key_config_selectorIssEEZZNS1_16scan_by_key_implILNS1_25lookback_scan_determinismE0ELb0ES3_N6thrust23THRUST_200600_302600_NS6detail15normal_iteratorINS9_10device_ptrIsEEEESE_SE_sNS9_10multipliesIsEENS9_8equal_toIsEEsEE10hipError_tPvRmT2_T3_T4_T5_mT6_T7_P12ihipStream_tbENKUlT_T0_E_clISt17integral_constantIbLb0EESZ_EEDaSU_SV_EUlSU_E_NS1_11comp_targetILNS1_3genE10ELNS1_11target_archE1201ELNS1_3gpuE5ELNS1_3repE0EEENS1_30default_config_static_selectorELNS0_4arch9wavefront6targetE0EEEvT1_, .Lfunc_end282-_ZN7rocprim17ROCPRIM_400000_NS6detail17trampoline_kernelINS0_14default_configENS1_27scan_by_key_config_selectorIssEEZZNS1_16scan_by_key_implILNS1_25lookback_scan_determinismE0ELb0ES3_N6thrust23THRUST_200600_302600_NS6detail15normal_iteratorINS9_10device_ptrIsEEEESE_SE_sNS9_10multipliesIsEENS9_8equal_toIsEEsEE10hipError_tPvRmT2_T3_T4_T5_mT6_T7_P12ihipStream_tbENKUlT_T0_E_clISt17integral_constantIbLb0EESZ_EEDaSU_SV_EUlSU_E_NS1_11comp_targetILNS1_3genE10ELNS1_11target_archE1201ELNS1_3gpuE5ELNS1_3repE0EEENS1_30default_config_static_selectorELNS0_4arch9wavefront6targetE0EEEvT1_
                                        ; -- End function
	.set _ZN7rocprim17ROCPRIM_400000_NS6detail17trampoline_kernelINS0_14default_configENS1_27scan_by_key_config_selectorIssEEZZNS1_16scan_by_key_implILNS1_25lookback_scan_determinismE0ELb0ES3_N6thrust23THRUST_200600_302600_NS6detail15normal_iteratorINS9_10device_ptrIsEEEESE_SE_sNS9_10multipliesIsEENS9_8equal_toIsEEsEE10hipError_tPvRmT2_T3_T4_T5_mT6_T7_P12ihipStream_tbENKUlT_T0_E_clISt17integral_constantIbLb0EESZ_EEDaSU_SV_EUlSU_E_NS1_11comp_targetILNS1_3genE10ELNS1_11target_archE1201ELNS1_3gpuE5ELNS1_3repE0EEENS1_30default_config_static_selectorELNS0_4arch9wavefront6targetE0EEEvT1_.num_vgpr, 0
	.set _ZN7rocprim17ROCPRIM_400000_NS6detail17trampoline_kernelINS0_14default_configENS1_27scan_by_key_config_selectorIssEEZZNS1_16scan_by_key_implILNS1_25lookback_scan_determinismE0ELb0ES3_N6thrust23THRUST_200600_302600_NS6detail15normal_iteratorINS9_10device_ptrIsEEEESE_SE_sNS9_10multipliesIsEENS9_8equal_toIsEEsEE10hipError_tPvRmT2_T3_T4_T5_mT6_T7_P12ihipStream_tbENKUlT_T0_E_clISt17integral_constantIbLb0EESZ_EEDaSU_SV_EUlSU_E_NS1_11comp_targetILNS1_3genE10ELNS1_11target_archE1201ELNS1_3gpuE5ELNS1_3repE0EEENS1_30default_config_static_selectorELNS0_4arch9wavefront6targetE0EEEvT1_.num_agpr, 0
	.set _ZN7rocprim17ROCPRIM_400000_NS6detail17trampoline_kernelINS0_14default_configENS1_27scan_by_key_config_selectorIssEEZZNS1_16scan_by_key_implILNS1_25lookback_scan_determinismE0ELb0ES3_N6thrust23THRUST_200600_302600_NS6detail15normal_iteratorINS9_10device_ptrIsEEEESE_SE_sNS9_10multipliesIsEENS9_8equal_toIsEEsEE10hipError_tPvRmT2_T3_T4_T5_mT6_T7_P12ihipStream_tbENKUlT_T0_E_clISt17integral_constantIbLb0EESZ_EEDaSU_SV_EUlSU_E_NS1_11comp_targetILNS1_3genE10ELNS1_11target_archE1201ELNS1_3gpuE5ELNS1_3repE0EEENS1_30default_config_static_selectorELNS0_4arch9wavefront6targetE0EEEvT1_.numbered_sgpr, 0
	.set _ZN7rocprim17ROCPRIM_400000_NS6detail17trampoline_kernelINS0_14default_configENS1_27scan_by_key_config_selectorIssEEZZNS1_16scan_by_key_implILNS1_25lookback_scan_determinismE0ELb0ES3_N6thrust23THRUST_200600_302600_NS6detail15normal_iteratorINS9_10device_ptrIsEEEESE_SE_sNS9_10multipliesIsEENS9_8equal_toIsEEsEE10hipError_tPvRmT2_T3_T4_T5_mT6_T7_P12ihipStream_tbENKUlT_T0_E_clISt17integral_constantIbLb0EESZ_EEDaSU_SV_EUlSU_E_NS1_11comp_targetILNS1_3genE10ELNS1_11target_archE1201ELNS1_3gpuE5ELNS1_3repE0EEENS1_30default_config_static_selectorELNS0_4arch9wavefront6targetE0EEEvT1_.num_named_barrier, 0
	.set _ZN7rocprim17ROCPRIM_400000_NS6detail17trampoline_kernelINS0_14default_configENS1_27scan_by_key_config_selectorIssEEZZNS1_16scan_by_key_implILNS1_25lookback_scan_determinismE0ELb0ES3_N6thrust23THRUST_200600_302600_NS6detail15normal_iteratorINS9_10device_ptrIsEEEESE_SE_sNS9_10multipliesIsEENS9_8equal_toIsEEsEE10hipError_tPvRmT2_T3_T4_T5_mT6_T7_P12ihipStream_tbENKUlT_T0_E_clISt17integral_constantIbLb0EESZ_EEDaSU_SV_EUlSU_E_NS1_11comp_targetILNS1_3genE10ELNS1_11target_archE1201ELNS1_3gpuE5ELNS1_3repE0EEENS1_30default_config_static_selectorELNS0_4arch9wavefront6targetE0EEEvT1_.private_seg_size, 0
	.set _ZN7rocprim17ROCPRIM_400000_NS6detail17trampoline_kernelINS0_14default_configENS1_27scan_by_key_config_selectorIssEEZZNS1_16scan_by_key_implILNS1_25lookback_scan_determinismE0ELb0ES3_N6thrust23THRUST_200600_302600_NS6detail15normal_iteratorINS9_10device_ptrIsEEEESE_SE_sNS9_10multipliesIsEENS9_8equal_toIsEEsEE10hipError_tPvRmT2_T3_T4_T5_mT6_T7_P12ihipStream_tbENKUlT_T0_E_clISt17integral_constantIbLb0EESZ_EEDaSU_SV_EUlSU_E_NS1_11comp_targetILNS1_3genE10ELNS1_11target_archE1201ELNS1_3gpuE5ELNS1_3repE0EEENS1_30default_config_static_selectorELNS0_4arch9wavefront6targetE0EEEvT1_.uses_vcc, 0
	.set _ZN7rocprim17ROCPRIM_400000_NS6detail17trampoline_kernelINS0_14default_configENS1_27scan_by_key_config_selectorIssEEZZNS1_16scan_by_key_implILNS1_25lookback_scan_determinismE0ELb0ES3_N6thrust23THRUST_200600_302600_NS6detail15normal_iteratorINS9_10device_ptrIsEEEESE_SE_sNS9_10multipliesIsEENS9_8equal_toIsEEsEE10hipError_tPvRmT2_T3_T4_T5_mT6_T7_P12ihipStream_tbENKUlT_T0_E_clISt17integral_constantIbLb0EESZ_EEDaSU_SV_EUlSU_E_NS1_11comp_targetILNS1_3genE10ELNS1_11target_archE1201ELNS1_3gpuE5ELNS1_3repE0EEENS1_30default_config_static_selectorELNS0_4arch9wavefront6targetE0EEEvT1_.uses_flat_scratch, 0
	.set _ZN7rocprim17ROCPRIM_400000_NS6detail17trampoline_kernelINS0_14default_configENS1_27scan_by_key_config_selectorIssEEZZNS1_16scan_by_key_implILNS1_25lookback_scan_determinismE0ELb0ES3_N6thrust23THRUST_200600_302600_NS6detail15normal_iteratorINS9_10device_ptrIsEEEESE_SE_sNS9_10multipliesIsEENS9_8equal_toIsEEsEE10hipError_tPvRmT2_T3_T4_T5_mT6_T7_P12ihipStream_tbENKUlT_T0_E_clISt17integral_constantIbLb0EESZ_EEDaSU_SV_EUlSU_E_NS1_11comp_targetILNS1_3genE10ELNS1_11target_archE1201ELNS1_3gpuE5ELNS1_3repE0EEENS1_30default_config_static_selectorELNS0_4arch9wavefront6targetE0EEEvT1_.has_dyn_sized_stack, 0
	.set _ZN7rocprim17ROCPRIM_400000_NS6detail17trampoline_kernelINS0_14default_configENS1_27scan_by_key_config_selectorIssEEZZNS1_16scan_by_key_implILNS1_25lookback_scan_determinismE0ELb0ES3_N6thrust23THRUST_200600_302600_NS6detail15normal_iteratorINS9_10device_ptrIsEEEESE_SE_sNS9_10multipliesIsEENS9_8equal_toIsEEsEE10hipError_tPvRmT2_T3_T4_T5_mT6_T7_P12ihipStream_tbENKUlT_T0_E_clISt17integral_constantIbLb0EESZ_EEDaSU_SV_EUlSU_E_NS1_11comp_targetILNS1_3genE10ELNS1_11target_archE1201ELNS1_3gpuE5ELNS1_3repE0EEENS1_30default_config_static_selectorELNS0_4arch9wavefront6targetE0EEEvT1_.has_recursion, 0
	.set _ZN7rocprim17ROCPRIM_400000_NS6detail17trampoline_kernelINS0_14default_configENS1_27scan_by_key_config_selectorIssEEZZNS1_16scan_by_key_implILNS1_25lookback_scan_determinismE0ELb0ES3_N6thrust23THRUST_200600_302600_NS6detail15normal_iteratorINS9_10device_ptrIsEEEESE_SE_sNS9_10multipliesIsEENS9_8equal_toIsEEsEE10hipError_tPvRmT2_T3_T4_T5_mT6_T7_P12ihipStream_tbENKUlT_T0_E_clISt17integral_constantIbLb0EESZ_EEDaSU_SV_EUlSU_E_NS1_11comp_targetILNS1_3genE10ELNS1_11target_archE1201ELNS1_3gpuE5ELNS1_3repE0EEENS1_30default_config_static_selectorELNS0_4arch9wavefront6targetE0EEEvT1_.has_indirect_call, 0
	.section	.AMDGPU.csdata,"",@progbits
; Kernel info:
; codeLenInByte = 0
; TotalNumSgprs: 0
; NumVgprs: 0
; ScratchSize: 0
; MemoryBound: 0
; FloatMode: 240
; IeeeMode: 1
; LDSByteSize: 0 bytes/workgroup (compile time only)
; SGPRBlocks: 0
; VGPRBlocks: 0
; NumSGPRsForWavesPerEU: 1
; NumVGPRsForWavesPerEU: 1
; NamedBarCnt: 0
; Occupancy: 16
; WaveLimiterHint : 0
; COMPUTE_PGM_RSRC2:SCRATCH_EN: 0
; COMPUTE_PGM_RSRC2:USER_SGPR: 2
; COMPUTE_PGM_RSRC2:TRAP_HANDLER: 0
; COMPUTE_PGM_RSRC2:TGID_X_EN: 1
; COMPUTE_PGM_RSRC2:TGID_Y_EN: 0
; COMPUTE_PGM_RSRC2:TGID_Z_EN: 0
; COMPUTE_PGM_RSRC2:TIDIG_COMP_CNT: 0
	.section	.text._ZN7rocprim17ROCPRIM_400000_NS6detail17trampoline_kernelINS0_14default_configENS1_27scan_by_key_config_selectorIssEEZZNS1_16scan_by_key_implILNS1_25lookback_scan_determinismE0ELb0ES3_N6thrust23THRUST_200600_302600_NS6detail15normal_iteratorINS9_10device_ptrIsEEEESE_SE_sNS9_10multipliesIsEENS9_8equal_toIsEEsEE10hipError_tPvRmT2_T3_T4_T5_mT6_T7_P12ihipStream_tbENKUlT_T0_E_clISt17integral_constantIbLb0EESZ_EEDaSU_SV_EUlSU_E_NS1_11comp_targetILNS1_3genE5ELNS1_11target_archE942ELNS1_3gpuE9ELNS1_3repE0EEENS1_30default_config_static_selectorELNS0_4arch9wavefront6targetE0EEEvT1_,"axG",@progbits,_ZN7rocprim17ROCPRIM_400000_NS6detail17trampoline_kernelINS0_14default_configENS1_27scan_by_key_config_selectorIssEEZZNS1_16scan_by_key_implILNS1_25lookback_scan_determinismE0ELb0ES3_N6thrust23THRUST_200600_302600_NS6detail15normal_iteratorINS9_10device_ptrIsEEEESE_SE_sNS9_10multipliesIsEENS9_8equal_toIsEEsEE10hipError_tPvRmT2_T3_T4_T5_mT6_T7_P12ihipStream_tbENKUlT_T0_E_clISt17integral_constantIbLb0EESZ_EEDaSU_SV_EUlSU_E_NS1_11comp_targetILNS1_3genE5ELNS1_11target_archE942ELNS1_3gpuE9ELNS1_3repE0EEENS1_30default_config_static_selectorELNS0_4arch9wavefront6targetE0EEEvT1_,comdat
	.protected	_ZN7rocprim17ROCPRIM_400000_NS6detail17trampoline_kernelINS0_14default_configENS1_27scan_by_key_config_selectorIssEEZZNS1_16scan_by_key_implILNS1_25lookback_scan_determinismE0ELb0ES3_N6thrust23THRUST_200600_302600_NS6detail15normal_iteratorINS9_10device_ptrIsEEEESE_SE_sNS9_10multipliesIsEENS9_8equal_toIsEEsEE10hipError_tPvRmT2_T3_T4_T5_mT6_T7_P12ihipStream_tbENKUlT_T0_E_clISt17integral_constantIbLb0EESZ_EEDaSU_SV_EUlSU_E_NS1_11comp_targetILNS1_3genE5ELNS1_11target_archE942ELNS1_3gpuE9ELNS1_3repE0EEENS1_30default_config_static_selectorELNS0_4arch9wavefront6targetE0EEEvT1_ ; -- Begin function _ZN7rocprim17ROCPRIM_400000_NS6detail17trampoline_kernelINS0_14default_configENS1_27scan_by_key_config_selectorIssEEZZNS1_16scan_by_key_implILNS1_25lookback_scan_determinismE0ELb0ES3_N6thrust23THRUST_200600_302600_NS6detail15normal_iteratorINS9_10device_ptrIsEEEESE_SE_sNS9_10multipliesIsEENS9_8equal_toIsEEsEE10hipError_tPvRmT2_T3_T4_T5_mT6_T7_P12ihipStream_tbENKUlT_T0_E_clISt17integral_constantIbLb0EESZ_EEDaSU_SV_EUlSU_E_NS1_11comp_targetILNS1_3genE5ELNS1_11target_archE942ELNS1_3gpuE9ELNS1_3repE0EEENS1_30default_config_static_selectorELNS0_4arch9wavefront6targetE0EEEvT1_
	.globl	_ZN7rocprim17ROCPRIM_400000_NS6detail17trampoline_kernelINS0_14default_configENS1_27scan_by_key_config_selectorIssEEZZNS1_16scan_by_key_implILNS1_25lookback_scan_determinismE0ELb0ES3_N6thrust23THRUST_200600_302600_NS6detail15normal_iteratorINS9_10device_ptrIsEEEESE_SE_sNS9_10multipliesIsEENS9_8equal_toIsEEsEE10hipError_tPvRmT2_T3_T4_T5_mT6_T7_P12ihipStream_tbENKUlT_T0_E_clISt17integral_constantIbLb0EESZ_EEDaSU_SV_EUlSU_E_NS1_11comp_targetILNS1_3genE5ELNS1_11target_archE942ELNS1_3gpuE9ELNS1_3repE0EEENS1_30default_config_static_selectorELNS0_4arch9wavefront6targetE0EEEvT1_
	.p2align	8
	.type	_ZN7rocprim17ROCPRIM_400000_NS6detail17trampoline_kernelINS0_14default_configENS1_27scan_by_key_config_selectorIssEEZZNS1_16scan_by_key_implILNS1_25lookback_scan_determinismE0ELb0ES3_N6thrust23THRUST_200600_302600_NS6detail15normal_iteratorINS9_10device_ptrIsEEEESE_SE_sNS9_10multipliesIsEENS9_8equal_toIsEEsEE10hipError_tPvRmT2_T3_T4_T5_mT6_T7_P12ihipStream_tbENKUlT_T0_E_clISt17integral_constantIbLb0EESZ_EEDaSU_SV_EUlSU_E_NS1_11comp_targetILNS1_3genE5ELNS1_11target_archE942ELNS1_3gpuE9ELNS1_3repE0EEENS1_30default_config_static_selectorELNS0_4arch9wavefront6targetE0EEEvT1_,@function
_ZN7rocprim17ROCPRIM_400000_NS6detail17trampoline_kernelINS0_14default_configENS1_27scan_by_key_config_selectorIssEEZZNS1_16scan_by_key_implILNS1_25lookback_scan_determinismE0ELb0ES3_N6thrust23THRUST_200600_302600_NS6detail15normal_iteratorINS9_10device_ptrIsEEEESE_SE_sNS9_10multipliesIsEENS9_8equal_toIsEEsEE10hipError_tPvRmT2_T3_T4_T5_mT6_T7_P12ihipStream_tbENKUlT_T0_E_clISt17integral_constantIbLb0EESZ_EEDaSU_SV_EUlSU_E_NS1_11comp_targetILNS1_3genE5ELNS1_11target_archE942ELNS1_3gpuE9ELNS1_3repE0EEENS1_30default_config_static_selectorELNS0_4arch9wavefront6targetE0EEEvT1_: ; @_ZN7rocprim17ROCPRIM_400000_NS6detail17trampoline_kernelINS0_14default_configENS1_27scan_by_key_config_selectorIssEEZZNS1_16scan_by_key_implILNS1_25lookback_scan_determinismE0ELb0ES3_N6thrust23THRUST_200600_302600_NS6detail15normal_iteratorINS9_10device_ptrIsEEEESE_SE_sNS9_10multipliesIsEENS9_8equal_toIsEEsEE10hipError_tPvRmT2_T3_T4_T5_mT6_T7_P12ihipStream_tbENKUlT_T0_E_clISt17integral_constantIbLb0EESZ_EEDaSU_SV_EUlSU_E_NS1_11comp_targetILNS1_3genE5ELNS1_11target_archE942ELNS1_3gpuE9ELNS1_3repE0EEENS1_30default_config_static_selectorELNS0_4arch9wavefront6targetE0EEEvT1_
; %bb.0:
	.section	.rodata,"a",@progbits
	.p2align	6, 0x0
	.amdhsa_kernel _ZN7rocprim17ROCPRIM_400000_NS6detail17trampoline_kernelINS0_14default_configENS1_27scan_by_key_config_selectorIssEEZZNS1_16scan_by_key_implILNS1_25lookback_scan_determinismE0ELb0ES3_N6thrust23THRUST_200600_302600_NS6detail15normal_iteratorINS9_10device_ptrIsEEEESE_SE_sNS9_10multipliesIsEENS9_8equal_toIsEEsEE10hipError_tPvRmT2_T3_T4_T5_mT6_T7_P12ihipStream_tbENKUlT_T0_E_clISt17integral_constantIbLb0EESZ_EEDaSU_SV_EUlSU_E_NS1_11comp_targetILNS1_3genE5ELNS1_11target_archE942ELNS1_3gpuE9ELNS1_3repE0EEENS1_30default_config_static_selectorELNS0_4arch9wavefront6targetE0EEEvT1_
		.amdhsa_group_segment_fixed_size 0
		.amdhsa_private_segment_fixed_size 0
		.amdhsa_kernarg_size 112
		.amdhsa_user_sgpr_count 2
		.amdhsa_user_sgpr_dispatch_ptr 0
		.amdhsa_user_sgpr_queue_ptr 0
		.amdhsa_user_sgpr_kernarg_segment_ptr 1
		.amdhsa_user_sgpr_dispatch_id 0
		.amdhsa_user_sgpr_kernarg_preload_length 0
		.amdhsa_user_sgpr_kernarg_preload_offset 0
		.amdhsa_user_sgpr_private_segment_size 0
		.amdhsa_wavefront_size32 1
		.amdhsa_uses_dynamic_stack 0
		.amdhsa_enable_private_segment 0
		.amdhsa_system_sgpr_workgroup_id_x 1
		.amdhsa_system_sgpr_workgroup_id_y 0
		.amdhsa_system_sgpr_workgroup_id_z 0
		.amdhsa_system_sgpr_workgroup_info 0
		.amdhsa_system_vgpr_workitem_id 0
		.amdhsa_next_free_vgpr 1
		.amdhsa_next_free_sgpr 1
		.amdhsa_named_barrier_count 0
		.amdhsa_reserve_vcc 0
		.amdhsa_float_round_mode_32 0
		.amdhsa_float_round_mode_16_64 0
		.amdhsa_float_denorm_mode_32 3
		.amdhsa_float_denorm_mode_16_64 3
		.amdhsa_fp16_overflow 0
		.amdhsa_memory_ordered 1
		.amdhsa_forward_progress 1
		.amdhsa_inst_pref_size 0
		.amdhsa_round_robin_scheduling 0
		.amdhsa_exception_fp_ieee_invalid_op 0
		.amdhsa_exception_fp_denorm_src 0
		.amdhsa_exception_fp_ieee_div_zero 0
		.amdhsa_exception_fp_ieee_overflow 0
		.amdhsa_exception_fp_ieee_underflow 0
		.amdhsa_exception_fp_ieee_inexact 0
		.amdhsa_exception_int_div_zero 0
	.end_amdhsa_kernel
	.section	.text._ZN7rocprim17ROCPRIM_400000_NS6detail17trampoline_kernelINS0_14default_configENS1_27scan_by_key_config_selectorIssEEZZNS1_16scan_by_key_implILNS1_25lookback_scan_determinismE0ELb0ES3_N6thrust23THRUST_200600_302600_NS6detail15normal_iteratorINS9_10device_ptrIsEEEESE_SE_sNS9_10multipliesIsEENS9_8equal_toIsEEsEE10hipError_tPvRmT2_T3_T4_T5_mT6_T7_P12ihipStream_tbENKUlT_T0_E_clISt17integral_constantIbLb0EESZ_EEDaSU_SV_EUlSU_E_NS1_11comp_targetILNS1_3genE5ELNS1_11target_archE942ELNS1_3gpuE9ELNS1_3repE0EEENS1_30default_config_static_selectorELNS0_4arch9wavefront6targetE0EEEvT1_,"axG",@progbits,_ZN7rocprim17ROCPRIM_400000_NS6detail17trampoline_kernelINS0_14default_configENS1_27scan_by_key_config_selectorIssEEZZNS1_16scan_by_key_implILNS1_25lookback_scan_determinismE0ELb0ES3_N6thrust23THRUST_200600_302600_NS6detail15normal_iteratorINS9_10device_ptrIsEEEESE_SE_sNS9_10multipliesIsEENS9_8equal_toIsEEsEE10hipError_tPvRmT2_T3_T4_T5_mT6_T7_P12ihipStream_tbENKUlT_T0_E_clISt17integral_constantIbLb0EESZ_EEDaSU_SV_EUlSU_E_NS1_11comp_targetILNS1_3genE5ELNS1_11target_archE942ELNS1_3gpuE9ELNS1_3repE0EEENS1_30default_config_static_selectorELNS0_4arch9wavefront6targetE0EEEvT1_,comdat
.Lfunc_end283:
	.size	_ZN7rocprim17ROCPRIM_400000_NS6detail17trampoline_kernelINS0_14default_configENS1_27scan_by_key_config_selectorIssEEZZNS1_16scan_by_key_implILNS1_25lookback_scan_determinismE0ELb0ES3_N6thrust23THRUST_200600_302600_NS6detail15normal_iteratorINS9_10device_ptrIsEEEESE_SE_sNS9_10multipliesIsEENS9_8equal_toIsEEsEE10hipError_tPvRmT2_T3_T4_T5_mT6_T7_P12ihipStream_tbENKUlT_T0_E_clISt17integral_constantIbLb0EESZ_EEDaSU_SV_EUlSU_E_NS1_11comp_targetILNS1_3genE5ELNS1_11target_archE942ELNS1_3gpuE9ELNS1_3repE0EEENS1_30default_config_static_selectorELNS0_4arch9wavefront6targetE0EEEvT1_, .Lfunc_end283-_ZN7rocprim17ROCPRIM_400000_NS6detail17trampoline_kernelINS0_14default_configENS1_27scan_by_key_config_selectorIssEEZZNS1_16scan_by_key_implILNS1_25lookback_scan_determinismE0ELb0ES3_N6thrust23THRUST_200600_302600_NS6detail15normal_iteratorINS9_10device_ptrIsEEEESE_SE_sNS9_10multipliesIsEENS9_8equal_toIsEEsEE10hipError_tPvRmT2_T3_T4_T5_mT6_T7_P12ihipStream_tbENKUlT_T0_E_clISt17integral_constantIbLb0EESZ_EEDaSU_SV_EUlSU_E_NS1_11comp_targetILNS1_3genE5ELNS1_11target_archE942ELNS1_3gpuE9ELNS1_3repE0EEENS1_30default_config_static_selectorELNS0_4arch9wavefront6targetE0EEEvT1_
                                        ; -- End function
	.set _ZN7rocprim17ROCPRIM_400000_NS6detail17trampoline_kernelINS0_14default_configENS1_27scan_by_key_config_selectorIssEEZZNS1_16scan_by_key_implILNS1_25lookback_scan_determinismE0ELb0ES3_N6thrust23THRUST_200600_302600_NS6detail15normal_iteratorINS9_10device_ptrIsEEEESE_SE_sNS9_10multipliesIsEENS9_8equal_toIsEEsEE10hipError_tPvRmT2_T3_T4_T5_mT6_T7_P12ihipStream_tbENKUlT_T0_E_clISt17integral_constantIbLb0EESZ_EEDaSU_SV_EUlSU_E_NS1_11comp_targetILNS1_3genE5ELNS1_11target_archE942ELNS1_3gpuE9ELNS1_3repE0EEENS1_30default_config_static_selectorELNS0_4arch9wavefront6targetE0EEEvT1_.num_vgpr, 0
	.set _ZN7rocprim17ROCPRIM_400000_NS6detail17trampoline_kernelINS0_14default_configENS1_27scan_by_key_config_selectorIssEEZZNS1_16scan_by_key_implILNS1_25lookback_scan_determinismE0ELb0ES3_N6thrust23THRUST_200600_302600_NS6detail15normal_iteratorINS9_10device_ptrIsEEEESE_SE_sNS9_10multipliesIsEENS9_8equal_toIsEEsEE10hipError_tPvRmT2_T3_T4_T5_mT6_T7_P12ihipStream_tbENKUlT_T0_E_clISt17integral_constantIbLb0EESZ_EEDaSU_SV_EUlSU_E_NS1_11comp_targetILNS1_3genE5ELNS1_11target_archE942ELNS1_3gpuE9ELNS1_3repE0EEENS1_30default_config_static_selectorELNS0_4arch9wavefront6targetE0EEEvT1_.num_agpr, 0
	.set _ZN7rocprim17ROCPRIM_400000_NS6detail17trampoline_kernelINS0_14default_configENS1_27scan_by_key_config_selectorIssEEZZNS1_16scan_by_key_implILNS1_25lookback_scan_determinismE0ELb0ES3_N6thrust23THRUST_200600_302600_NS6detail15normal_iteratorINS9_10device_ptrIsEEEESE_SE_sNS9_10multipliesIsEENS9_8equal_toIsEEsEE10hipError_tPvRmT2_T3_T4_T5_mT6_T7_P12ihipStream_tbENKUlT_T0_E_clISt17integral_constantIbLb0EESZ_EEDaSU_SV_EUlSU_E_NS1_11comp_targetILNS1_3genE5ELNS1_11target_archE942ELNS1_3gpuE9ELNS1_3repE0EEENS1_30default_config_static_selectorELNS0_4arch9wavefront6targetE0EEEvT1_.numbered_sgpr, 0
	.set _ZN7rocprim17ROCPRIM_400000_NS6detail17trampoline_kernelINS0_14default_configENS1_27scan_by_key_config_selectorIssEEZZNS1_16scan_by_key_implILNS1_25lookback_scan_determinismE0ELb0ES3_N6thrust23THRUST_200600_302600_NS6detail15normal_iteratorINS9_10device_ptrIsEEEESE_SE_sNS9_10multipliesIsEENS9_8equal_toIsEEsEE10hipError_tPvRmT2_T3_T4_T5_mT6_T7_P12ihipStream_tbENKUlT_T0_E_clISt17integral_constantIbLb0EESZ_EEDaSU_SV_EUlSU_E_NS1_11comp_targetILNS1_3genE5ELNS1_11target_archE942ELNS1_3gpuE9ELNS1_3repE0EEENS1_30default_config_static_selectorELNS0_4arch9wavefront6targetE0EEEvT1_.num_named_barrier, 0
	.set _ZN7rocprim17ROCPRIM_400000_NS6detail17trampoline_kernelINS0_14default_configENS1_27scan_by_key_config_selectorIssEEZZNS1_16scan_by_key_implILNS1_25lookback_scan_determinismE0ELb0ES3_N6thrust23THRUST_200600_302600_NS6detail15normal_iteratorINS9_10device_ptrIsEEEESE_SE_sNS9_10multipliesIsEENS9_8equal_toIsEEsEE10hipError_tPvRmT2_T3_T4_T5_mT6_T7_P12ihipStream_tbENKUlT_T0_E_clISt17integral_constantIbLb0EESZ_EEDaSU_SV_EUlSU_E_NS1_11comp_targetILNS1_3genE5ELNS1_11target_archE942ELNS1_3gpuE9ELNS1_3repE0EEENS1_30default_config_static_selectorELNS0_4arch9wavefront6targetE0EEEvT1_.private_seg_size, 0
	.set _ZN7rocprim17ROCPRIM_400000_NS6detail17trampoline_kernelINS0_14default_configENS1_27scan_by_key_config_selectorIssEEZZNS1_16scan_by_key_implILNS1_25lookback_scan_determinismE0ELb0ES3_N6thrust23THRUST_200600_302600_NS6detail15normal_iteratorINS9_10device_ptrIsEEEESE_SE_sNS9_10multipliesIsEENS9_8equal_toIsEEsEE10hipError_tPvRmT2_T3_T4_T5_mT6_T7_P12ihipStream_tbENKUlT_T0_E_clISt17integral_constantIbLb0EESZ_EEDaSU_SV_EUlSU_E_NS1_11comp_targetILNS1_3genE5ELNS1_11target_archE942ELNS1_3gpuE9ELNS1_3repE0EEENS1_30default_config_static_selectorELNS0_4arch9wavefront6targetE0EEEvT1_.uses_vcc, 0
	.set _ZN7rocprim17ROCPRIM_400000_NS6detail17trampoline_kernelINS0_14default_configENS1_27scan_by_key_config_selectorIssEEZZNS1_16scan_by_key_implILNS1_25lookback_scan_determinismE0ELb0ES3_N6thrust23THRUST_200600_302600_NS6detail15normal_iteratorINS9_10device_ptrIsEEEESE_SE_sNS9_10multipliesIsEENS9_8equal_toIsEEsEE10hipError_tPvRmT2_T3_T4_T5_mT6_T7_P12ihipStream_tbENKUlT_T0_E_clISt17integral_constantIbLb0EESZ_EEDaSU_SV_EUlSU_E_NS1_11comp_targetILNS1_3genE5ELNS1_11target_archE942ELNS1_3gpuE9ELNS1_3repE0EEENS1_30default_config_static_selectorELNS0_4arch9wavefront6targetE0EEEvT1_.uses_flat_scratch, 0
	.set _ZN7rocprim17ROCPRIM_400000_NS6detail17trampoline_kernelINS0_14default_configENS1_27scan_by_key_config_selectorIssEEZZNS1_16scan_by_key_implILNS1_25lookback_scan_determinismE0ELb0ES3_N6thrust23THRUST_200600_302600_NS6detail15normal_iteratorINS9_10device_ptrIsEEEESE_SE_sNS9_10multipliesIsEENS9_8equal_toIsEEsEE10hipError_tPvRmT2_T3_T4_T5_mT6_T7_P12ihipStream_tbENKUlT_T0_E_clISt17integral_constantIbLb0EESZ_EEDaSU_SV_EUlSU_E_NS1_11comp_targetILNS1_3genE5ELNS1_11target_archE942ELNS1_3gpuE9ELNS1_3repE0EEENS1_30default_config_static_selectorELNS0_4arch9wavefront6targetE0EEEvT1_.has_dyn_sized_stack, 0
	.set _ZN7rocprim17ROCPRIM_400000_NS6detail17trampoline_kernelINS0_14default_configENS1_27scan_by_key_config_selectorIssEEZZNS1_16scan_by_key_implILNS1_25lookback_scan_determinismE0ELb0ES3_N6thrust23THRUST_200600_302600_NS6detail15normal_iteratorINS9_10device_ptrIsEEEESE_SE_sNS9_10multipliesIsEENS9_8equal_toIsEEsEE10hipError_tPvRmT2_T3_T4_T5_mT6_T7_P12ihipStream_tbENKUlT_T0_E_clISt17integral_constantIbLb0EESZ_EEDaSU_SV_EUlSU_E_NS1_11comp_targetILNS1_3genE5ELNS1_11target_archE942ELNS1_3gpuE9ELNS1_3repE0EEENS1_30default_config_static_selectorELNS0_4arch9wavefront6targetE0EEEvT1_.has_recursion, 0
	.set _ZN7rocprim17ROCPRIM_400000_NS6detail17trampoline_kernelINS0_14default_configENS1_27scan_by_key_config_selectorIssEEZZNS1_16scan_by_key_implILNS1_25lookback_scan_determinismE0ELb0ES3_N6thrust23THRUST_200600_302600_NS6detail15normal_iteratorINS9_10device_ptrIsEEEESE_SE_sNS9_10multipliesIsEENS9_8equal_toIsEEsEE10hipError_tPvRmT2_T3_T4_T5_mT6_T7_P12ihipStream_tbENKUlT_T0_E_clISt17integral_constantIbLb0EESZ_EEDaSU_SV_EUlSU_E_NS1_11comp_targetILNS1_3genE5ELNS1_11target_archE942ELNS1_3gpuE9ELNS1_3repE0EEENS1_30default_config_static_selectorELNS0_4arch9wavefront6targetE0EEEvT1_.has_indirect_call, 0
	.section	.AMDGPU.csdata,"",@progbits
; Kernel info:
; codeLenInByte = 0
; TotalNumSgprs: 0
; NumVgprs: 0
; ScratchSize: 0
; MemoryBound: 0
; FloatMode: 240
; IeeeMode: 1
; LDSByteSize: 0 bytes/workgroup (compile time only)
; SGPRBlocks: 0
; VGPRBlocks: 0
; NumSGPRsForWavesPerEU: 1
; NumVGPRsForWavesPerEU: 1
; NamedBarCnt: 0
; Occupancy: 16
; WaveLimiterHint : 0
; COMPUTE_PGM_RSRC2:SCRATCH_EN: 0
; COMPUTE_PGM_RSRC2:USER_SGPR: 2
; COMPUTE_PGM_RSRC2:TRAP_HANDLER: 0
; COMPUTE_PGM_RSRC2:TGID_X_EN: 1
; COMPUTE_PGM_RSRC2:TGID_Y_EN: 0
; COMPUTE_PGM_RSRC2:TGID_Z_EN: 0
; COMPUTE_PGM_RSRC2:TIDIG_COMP_CNT: 0
	.section	.text._ZN7rocprim17ROCPRIM_400000_NS6detail17trampoline_kernelINS0_14default_configENS1_27scan_by_key_config_selectorIssEEZZNS1_16scan_by_key_implILNS1_25lookback_scan_determinismE0ELb0ES3_N6thrust23THRUST_200600_302600_NS6detail15normal_iteratorINS9_10device_ptrIsEEEESE_SE_sNS9_10multipliesIsEENS9_8equal_toIsEEsEE10hipError_tPvRmT2_T3_T4_T5_mT6_T7_P12ihipStream_tbENKUlT_T0_E_clISt17integral_constantIbLb0EESZ_EEDaSU_SV_EUlSU_E_NS1_11comp_targetILNS1_3genE4ELNS1_11target_archE910ELNS1_3gpuE8ELNS1_3repE0EEENS1_30default_config_static_selectorELNS0_4arch9wavefront6targetE0EEEvT1_,"axG",@progbits,_ZN7rocprim17ROCPRIM_400000_NS6detail17trampoline_kernelINS0_14default_configENS1_27scan_by_key_config_selectorIssEEZZNS1_16scan_by_key_implILNS1_25lookback_scan_determinismE0ELb0ES3_N6thrust23THRUST_200600_302600_NS6detail15normal_iteratorINS9_10device_ptrIsEEEESE_SE_sNS9_10multipliesIsEENS9_8equal_toIsEEsEE10hipError_tPvRmT2_T3_T4_T5_mT6_T7_P12ihipStream_tbENKUlT_T0_E_clISt17integral_constantIbLb0EESZ_EEDaSU_SV_EUlSU_E_NS1_11comp_targetILNS1_3genE4ELNS1_11target_archE910ELNS1_3gpuE8ELNS1_3repE0EEENS1_30default_config_static_selectorELNS0_4arch9wavefront6targetE0EEEvT1_,comdat
	.protected	_ZN7rocprim17ROCPRIM_400000_NS6detail17trampoline_kernelINS0_14default_configENS1_27scan_by_key_config_selectorIssEEZZNS1_16scan_by_key_implILNS1_25lookback_scan_determinismE0ELb0ES3_N6thrust23THRUST_200600_302600_NS6detail15normal_iteratorINS9_10device_ptrIsEEEESE_SE_sNS9_10multipliesIsEENS9_8equal_toIsEEsEE10hipError_tPvRmT2_T3_T4_T5_mT6_T7_P12ihipStream_tbENKUlT_T0_E_clISt17integral_constantIbLb0EESZ_EEDaSU_SV_EUlSU_E_NS1_11comp_targetILNS1_3genE4ELNS1_11target_archE910ELNS1_3gpuE8ELNS1_3repE0EEENS1_30default_config_static_selectorELNS0_4arch9wavefront6targetE0EEEvT1_ ; -- Begin function _ZN7rocprim17ROCPRIM_400000_NS6detail17trampoline_kernelINS0_14default_configENS1_27scan_by_key_config_selectorIssEEZZNS1_16scan_by_key_implILNS1_25lookback_scan_determinismE0ELb0ES3_N6thrust23THRUST_200600_302600_NS6detail15normal_iteratorINS9_10device_ptrIsEEEESE_SE_sNS9_10multipliesIsEENS9_8equal_toIsEEsEE10hipError_tPvRmT2_T3_T4_T5_mT6_T7_P12ihipStream_tbENKUlT_T0_E_clISt17integral_constantIbLb0EESZ_EEDaSU_SV_EUlSU_E_NS1_11comp_targetILNS1_3genE4ELNS1_11target_archE910ELNS1_3gpuE8ELNS1_3repE0EEENS1_30default_config_static_selectorELNS0_4arch9wavefront6targetE0EEEvT1_
	.globl	_ZN7rocprim17ROCPRIM_400000_NS6detail17trampoline_kernelINS0_14default_configENS1_27scan_by_key_config_selectorIssEEZZNS1_16scan_by_key_implILNS1_25lookback_scan_determinismE0ELb0ES3_N6thrust23THRUST_200600_302600_NS6detail15normal_iteratorINS9_10device_ptrIsEEEESE_SE_sNS9_10multipliesIsEENS9_8equal_toIsEEsEE10hipError_tPvRmT2_T3_T4_T5_mT6_T7_P12ihipStream_tbENKUlT_T0_E_clISt17integral_constantIbLb0EESZ_EEDaSU_SV_EUlSU_E_NS1_11comp_targetILNS1_3genE4ELNS1_11target_archE910ELNS1_3gpuE8ELNS1_3repE0EEENS1_30default_config_static_selectorELNS0_4arch9wavefront6targetE0EEEvT1_
	.p2align	8
	.type	_ZN7rocprim17ROCPRIM_400000_NS6detail17trampoline_kernelINS0_14default_configENS1_27scan_by_key_config_selectorIssEEZZNS1_16scan_by_key_implILNS1_25lookback_scan_determinismE0ELb0ES3_N6thrust23THRUST_200600_302600_NS6detail15normal_iteratorINS9_10device_ptrIsEEEESE_SE_sNS9_10multipliesIsEENS9_8equal_toIsEEsEE10hipError_tPvRmT2_T3_T4_T5_mT6_T7_P12ihipStream_tbENKUlT_T0_E_clISt17integral_constantIbLb0EESZ_EEDaSU_SV_EUlSU_E_NS1_11comp_targetILNS1_3genE4ELNS1_11target_archE910ELNS1_3gpuE8ELNS1_3repE0EEENS1_30default_config_static_selectorELNS0_4arch9wavefront6targetE0EEEvT1_,@function
_ZN7rocprim17ROCPRIM_400000_NS6detail17trampoline_kernelINS0_14default_configENS1_27scan_by_key_config_selectorIssEEZZNS1_16scan_by_key_implILNS1_25lookback_scan_determinismE0ELb0ES3_N6thrust23THRUST_200600_302600_NS6detail15normal_iteratorINS9_10device_ptrIsEEEESE_SE_sNS9_10multipliesIsEENS9_8equal_toIsEEsEE10hipError_tPvRmT2_T3_T4_T5_mT6_T7_P12ihipStream_tbENKUlT_T0_E_clISt17integral_constantIbLb0EESZ_EEDaSU_SV_EUlSU_E_NS1_11comp_targetILNS1_3genE4ELNS1_11target_archE910ELNS1_3gpuE8ELNS1_3repE0EEENS1_30default_config_static_selectorELNS0_4arch9wavefront6targetE0EEEvT1_: ; @_ZN7rocprim17ROCPRIM_400000_NS6detail17trampoline_kernelINS0_14default_configENS1_27scan_by_key_config_selectorIssEEZZNS1_16scan_by_key_implILNS1_25lookback_scan_determinismE0ELb0ES3_N6thrust23THRUST_200600_302600_NS6detail15normal_iteratorINS9_10device_ptrIsEEEESE_SE_sNS9_10multipliesIsEENS9_8equal_toIsEEsEE10hipError_tPvRmT2_T3_T4_T5_mT6_T7_P12ihipStream_tbENKUlT_T0_E_clISt17integral_constantIbLb0EESZ_EEDaSU_SV_EUlSU_E_NS1_11comp_targetILNS1_3genE4ELNS1_11target_archE910ELNS1_3gpuE8ELNS1_3repE0EEENS1_30default_config_static_selectorELNS0_4arch9wavefront6targetE0EEEvT1_
; %bb.0:
	.section	.rodata,"a",@progbits
	.p2align	6, 0x0
	.amdhsa_kernel _ZN7rocprim17ROCPRIM_400000_NS6detail17trampoline_kernelINS0_14default_configENS1_27scan_by_key_config_selectorIssEEZZNS1_16scan_by_key_implILNS1_25lookback_scan_determinismE0ELb0ES3_N6thrust23THRUST_200600_302600_NS6detail15normal_iteratorINS9_10device_ptrIsEEEESE_SE_sNS9_10multipliesIsEENS9_8equal_toIsEEsEE10hipError_tPvRmT2_T3_T4_T5_mT6_T7_P12ihipStream_tbENKUlT_T0_E_clISt17integral_constantIbLb0EESZ_EEDaSU_SV_EUlSU_E_NS1_11comp_targetILNS1_3genE4ELNS1_11target_archE910ELNS1_3gpuE8ELNS1_3repE0EEENS1_30default_config_static_selectorELNS0_4arch9wavefront6targetE0EEEvT1_
		.amdhsa_group_segment_fixed_size 0
		.amdhsa_private_segment_fixed_size 0
		.amdhsa_kernarg_size 112
		.amdhsa_user_sgpr_count 2
		.amdhsa_user_sgpr_dispatch_ptr 0
		.amdhsa_user_sgpr_queue_ptr 0
		.amdhsa_user_sgpr_kernarg_segment_ptr 1
		.amdhsa_user_sgpr_dispatch_id 0
		.amdhsa_user_sgpr_kernarg_preload_length 0
		.amdhsa_user_sgpr_kernarg_preload_offset 0
		.amdhsa_user_sgpr_private_segment_size 0
		.amdhsa_wavefront_size32 1
		.amdhsa_uses_dynamic_stack 0
		.amdhsa_enable_private_segment 0
		.amdhsa_system_sgpr_workgroup_id_x 1
		.amdhsa_system_sgpr_workgroup_id_y 0
		.amdhsa_system_sgpr_workgroup_id_z 0
		.amdhsa_system_sgpr_workgroup_info 0
		.amdhsa_system_vgpr_workitem_id 0
		.amdhsa_next_free_vgpr 1
		.amdhsa_next_free_sgpr 1
		.amdhsa_named_barrier_count 0
		.amdhsa_reserve_vcc 0
		.amdhsa_float_round_mode_32 0
		.amdhsa_float_round_mode_16_64 0
		.amdhsa_float_denorm_mode_32 3
		.amdhsa_float_denorm_mode_16_64 3
		.amdhsa_fp16_overflow 0
		.amdhsa_memory_ordered 1
		.amdhsa_forward_progress 1
		.amdhsa_inst_pref_size 0
		.amdhsa_round_robin_scheduling 0
		.amdhsa_exception_fp_ieee_invalid_op 0
		.amdhsa_exception_fp_denorm_src 0
		.amdhsa_exception_fp_ieee_div_zero 0
		.amdhsa_exception_fp_ieee_overflow 0
		.amdhsa_exception_fp_ieee_underflow 0
		.amdhsa_exception_fp_ieee_inexact 0
		.amdhsa_exception_int_div_zero 0
	.end_amdhsa_kernel
	.section	.text._ZN7rocprim17ROCPRIM_400000_NS6detail17trampoline_kernelINS0_14default_configENS1_27scan_by_key_config_selectorIssEEZZNS1_16scan_by_key_implILNS1_25lookback_scan_determinismE0ELb0ES3_N6thrust23THRUST_200600_302600_NS6detail15normal_iteratorINS9_10device_ptrIsEEEESE_SE_sNS9_10multipliesIsEENS9_8equal_toIsEEsEE10hipError_tPvRmT2_T3_T4_T5_mT6_T7_P12ihipStream_tbENKUlT_T0_E_clISt17integral_constantIbLb0EESZ_EEDaSU_SV_EUlSU_E_NS1_11comp_targetILNS1_3genE4ELNS1_11target_archE910ELNS1_3gpuE8ELNS1_3repE0EEENS1_30default_config_static_selectorELNS0_4arch9wavefront6targetE0EEEvT1_,"axG",@progbits,_ZN7rocprim17ROCPRIM_400000_NS6detail17trampoline_kernelINS0_14default_configENS1_27scan_by_key_config_selectorIssEEZZNS1_16scan_by_key_implILNS1_25lookback_scan_determinismE0ELb0ES3_N6thrust23THRUST_200600_302600_NS6detail15normal_iteratorINS9_10device_ptrIsEEEESE_SE_sNS9_10multipliesIsEENS9_8equal_toIsEEsEE10hipError_tPvRmT2_T3_T4_T5_mT6_T7_P12ihipStream_tbENKUlT_T0_E_clISt17integral_constantIbLb0EESZ_EEDaSU_SV_EUlSU_E_NS1_11comp_targetILNS1_3genE4ELNS1_11target_archE910ELNS1_3gpuE8ELNS1_3repE0EEENS1_30default_config_static_selectorELNS0_4arch9wavefront6targetE0EEEvT1_,comdat
.Lfunc_end284:
	.size	_ZN7rocprim17ROCPRIM_400000_NS6detail17trampoline_kernelINS0_14default_configENS1_27scan_by_key_config_selectorIssEEZZNS1_16scan_by_key_implILNS1_25lookback_scan_determinismE0ELb0ES3_N6thrust23THRUST_200600_302600_NS6detail15normal_iteratorINS9_10device_ptrIsEEEESE_SE_sNS9_10multipliesIsEENS9_8equal_toIsEEsEE10hipError_tPvRmT2_T3_T4_T5_mT6_T7_P12ihipStream_tbENKUlT_T0_E_clISt17integral_constantIbLb0EESZ_EEDaSU_SV_EUlSU_E_NS1_11comp_targetILNS1_3genE4ELNS1_11target_archE910ELNS1_3gpuE8ELNS1_3repE0EEENS1_30default_config_static_selectorELNS0_4arch9wavefront6targetE0EEEvT1_, .Lfunc_end284-_ZN7rocprim17ROCPRIM_400000_NS6detail17trampoline_kernelINS0_14default_configENS1_27scan_by_key_config_selectorIssEEZZNS1_16scan_by_key_implILNS1_25lookback_scan_determinismE0ELb0ES3_N6thrust23THRUST_200600_302600_NS6detail15normal_iteratorINS9_10device_ptrIsEEEESE_SE_sNS9_10multipliesIsEENS9_8equal_toIsEEsEE10hipError_tPvRmT2_T3_T4_T5_mT6_T7_P12ihipStream_tbENKUlT_T0_E_clISt17integral_constantIbLb0EESZ_EEDaSU_SV_EUlSU_E_NS1_11comp_targetILNS1_3genE4ELNS1_11target_archE910ELNS1_3gpuE8ELNS1_3repE0EEENS1_30default_config_static_selectorELNS0_4arch9wavefront6targetE0EEEvT1_
                                        ; -- End function
	.set _ZN7rocprim17ROCPRIM_400000_NS6detail17trampoline_kernelINS0_14default_configENS1_27scan_by_key_config_selectorIssEEZZNS1_16scan_by_key_implILNS1_25lookback_scan_determinismE0ELb0ES3_N6thrust23THRUST_200600_302600_NS6detail15normal_iteratorINS9_10device_ptrIsEEEESE_SE_sNS9_10multipliesIsEENS9_8equal_toIsEEsEE10hipError_tPvRmT2_T3_T4_T5_mT6_T7_P12ihipStream_tbENKUlT_T0_E_clISt17integral_constantIbLb0EESZ_EEDaSU_SV_EUlSU_E_NS1_11comp_targetILNS1_3genE4ELNS1_11target_archE910ELNS1_3gpuE8ELNS1_3repE0EEENS1_30default_config_static_selectorELNS0_4arch9wavefront6targetE0EEEvT1_.num_vgpr, 0
	.set _ZN7rocprim17ROCPRIM_400000_NS6detail17trampoline_kernelINS0_14default_configENS1_27scan_by_key_config_selectorIssEEZZNS1_16scan_by_key_implILNS1_25lookback_scan_determinismE0ELb0ES3_N6thrust23THRUST_200600_302600_NS6detail15normal_iteratorINS9_10device_ptrIsEEEESE_SE_sNS9_10multipliesIsEENS9_8equal_toIsEEsEE10hipError_tPvRmT2_T3_T4_T5_mT6_T7_P12ihipStream_tbENKUlT_T0_E_clISt17integral_constantIbLb0EESZ_EEDaSU_SV_EUlSU_E_NS1_11comp_targetILNS1_3genE4ELNS1_11target_archE910ELNS1_3gpuE8ELNS1_3repE0EEENS1_30default_config_static_selectorELNS0_4arch9wavefront6targetE0EEEvT1_.num_agpr, 0
	.set _ZN7rocprim17ROCPRIM_400000_NS6detail17trampoline_kernelINS0_14default_configENS1_27scan_by_key_config_selectorIssEEZZNS1_16scan_by_key_implILNS1_25lookback_scan_determinismE0ELb0ES3_N6thrust23THRUST_200600_302600_NS6detail15normal_iteratorINS9_10device_ptrIsEEEESE_SE_sNS9_10multipliesIsEENS9_8equal_toIsEEsEE10hipError_tPvRmT2_T3_T4_T5_mT6_T7_P12ihipStream_tbENKUlT_T0_E_clISt17integral_constantIbLb0EESZ_EEDaSU_SV_EUlSU_E_NS1_11comp_targetILNS1_3genE4ELNS1_11target_archE910ELNS1_3gpuE8ELNS1_3repE0EEENS1_30default_config_static_selectorELNS0_4arch9wavefront6targetE0EEEvT1_.numbered_sgpr, 0
	.set _ZN7rocprim17ROCPRIM_400000_NS6detail17trampoline_kernelINS0_14default_configENS1_27scan_by_key_config_selectorIssEEZZNS1_16scan_by_key_implILNS1_25lookback_scan_determinismE0ELb0ES3_N6thrust23THRUST_200600_302600_NS6detail15normal_iteratorINS9_10device_ptrIsEEEESE_SE_sNS9_10multipliesIsEENS9_8equal_toIsEEsEE10hipError_tPvRmT2_T3_T4_T5_mT6_T7_P12ihipStream_tbENKUlT_T0_E_clISt17integral_constantIbLb0EESZ_EEDaSU_SV_EUlSU_E_NS1_11comp_targetILNS1_3genE4ELNS1_11target_archE910ELNS1_3gpuE8ELNS1_3repE0EEENS1_30default_config_static_selectorELNS0_4arch9wavefront6targetE0EEEvT1_.num_named_barrier, 0
	.set _ZN7rocprim17ROCPRIM_400000_NS6detail17trampoline_kernelINS0_14default_configENS1_27scan_by_key_config_selectorIssEEZZNS1_16scan_by_key_implILNS1_25lookback_scan_determinismE0ELb0ES3_N6thrust23THRUST_200600_302600_NS6detail15normal_iteratorINS9_10device_ptrIsEEEESE_SE_sNS9_10multipliesIsEENS9_8equal_toIsEEsEE10hipError_tPvRmT2_T3_T4_T5_mT6_T7_P12ihipStream_tbENKUlT_T0_E_clISt17integral_constantIbLb0EESZ_EEDaSU_SV_EUlSU_E_NS1_11comp_targetILNS1_3genE4ELNS1_11target_archE910ELNS1_3gpuE8ELNS1_3repE0EEENS1_30default_config_static_selectorELNS0_4arch9wavefront6targetE0EEEvT1_.private_seg_size, 0
	.set _ZN7rocprim17ROCPRIM_400000_NS6detail17trampoline_kernelINS0_14default_configENS1_27scan_by_key_config_selectorIssEEZZNS1_16scan_by_key_implILNS1_25lookback_scan_determinismE0ELb0ES3_N6thrust23THRUST_200600_302600_NS6detail15normal_iteratorINS9_10device_ptrIsEEEESE_SE_sNS9_10multipliesIsEENS9_8equal_toIsEEsEE10hipError_tPvRmT2_T3_T4_T5_mT6_T7_P12ihipStream_tbENKUlT_T0_E_clISt17integral_constantIbLb0EESZ_EEDaSU_SV_EUlSU_E_NS1_11comp_targetILNS1_3genE4ELNS1_11target_archE910ELNS1_3gpuE8ELNS1_3repE0EEENS1_30default_config_static_selectorELNS0_4arch9wavefront6targetE0EEEvT1_.uses_vcc, 0
	.set _ZN7rocprim17ROCPRIM_400000_NS6detail17trampoline_kernelINS0_14default_configENS1_27scan_by_key_config_selectorIssEEZZNS1_16scan_by_key_implILNS1_25lookback_scan_determinismE0ELb0ES3_N6thrust23THRUST_200600_302600_NS6detail15normal_iteratorINS9_10device_ptrIsEEEESE_SE_sNS9_10multipliesIsEENS9_8equal_toIsEEsEE10hipError_tPvRmT2_T3_T4_T5_mT6_T7_P12ihipStream_tbENKUlT_T0_E_clISt17integral_constantIbLb0EESZ_EEDaSU_SV_EUlSU_E_NS1_11comp_targetILNS1_3genE4ELNS1_11target_archE910ELNS1_3gpuE8ELNS1_3repE0EEENS1_30default_config_static_selectorELNS0_4arch9wavefront6targetE0EEEvT1_.uses_flat_scratch, 0
	.set _ZN7rocprim17ROCPRIM_400000_NS6detail17trampoline_kernelINS0_14default_configENS1_27scan_by_key_config_selectorIssEEZZNS1_16scan_by_key_implILNS1_25lookback_scan_determinismE0ELb0ES3_N6thrust23THRUST_200600_302600_NS6detail15normal_iteratorINS9_10device_ptrIsEEEESE_SE_sNS9_10multipliesIsEENS9_8equal_toIsEEsEE10hipError_tPvRmT2_T3_T4_T5_mT6_T7_P12ihipStream_tbENKUlT_T0_E_clISt17integral_constantIbLb0EESZ_EEDaSU_SV_EUlSU_E_NS1_11comp_targetILNS1_3genE4ELNS1_11target_archE910ELNS1_3gpuE8ELNS1_3repE0EEENS1_30default_config_static_selectorELNS0_4arch9wavefront6targetE0EEEvT1_.has_dyn_sized_stack, 0
	.set _ZN7rocprim17ROCPRIM_400000_NS6detail17trampoline_kernelINS0_14default_configENS1_27scan_by_key_config_selectorIssEEZZNS1_16scan_by_key_implILNS1_25lookback_scan_determinismE0ELb0ES3_N6thrust23THRUST_200600_302600_NS6detail15normal_iteratorINS9_10device_ptrIsEEEESE_SE_sNS9_10multipliesIsEENS9_8equal_toIsEEsEE10hipError_tPvRmT2_T3_T4_T5_mT6_T7_P12ihipStream_tbENKUlT_T0_E_clISt17integral_constantIbLb0EESZ_EEDaSU_SV_EUlSU_E_NS1_11comp_targetILNS1_3genE4ELNS1_11target_archE910ELNS1_3gpuE8ELNS1_3repE0EEENS1_30default_config_static_selectorELNS0_4arch9wavefront6targetE0EEEvT1_.has_recursion, 0
	.set _ZN7rocprim17ROCPRIM_400000_NS6detail17trampoline_kernelINS0_14default_configENS1_27scan_by_key_config_selectorIssEEZZNS1_16scan_by_key_implILNS1_25lookback_scan_determinismE0ELb0ES3_N6thrust23THRUST_200600_302600_NS6detail15normal_iteratorINS9_10device_ptrIsEEEESE_SE_sNS9_10multipliesIsEENS9_8equal_toIsEEsEE10hipError_tPvRmT2_T3_T4_T5_mT6_T7_P12ihipStream_tbENKUlT_T0_E_clISt17integral_constantIbLb0EESZ_EEDaSU_SV_EUlSU_E_NS1_11comp_targetILNS1_3genE4ELNS1_11target_archE910ELNS1_3gpuE8ELNS1_3repE0EEENS1_30default_config_static_selectorELNS0_4arch9wavefront6targetE0EEEvT1_.has_indirect_call, 0
	.section	.AMDGPU.csdata,"",@progbits
; Kernel info:
; codeLenInByte = 0
; TotalNumSgprs: 0
; NumVgprs: 0
; ScratchSize: 0
; MemoryBound: 0
; FloatMode: 240
; IeeeMode: 1
; LDSByteSize: 0 bytes/workgroup (compile time only)
; SGPRBlocks: 0
; VGPRBlocks: 0
; NumSGPRsForWavesPerEU: 1
; NumVGPRsForWavesPerEU: 1
; NamedBarCnt: 0
; Occupancy: 16
; WaveLimiterHint : 0
; COMPUTE_PGM_RSRC2:SCRATCH_EN: 0
; COMPUTE_PGM_RSRC2:USER_SGPR: 2
; COMPUTE_PGM_RSRC2:TRAP_HANDLER: 0
; COMPUTE_PGM_RSRC2:TGID_X_EN: 1
; COMPUTE_PGM_RSRC2:TGID_Y_EN: 0
; COMPUTE_PGM_RSRC2:TGID_Z_EN: 0
; COMPUTE_PGM_RSRC2:TIDIG_COMP_CNT: 0
	.section	.text._ZN7rocprim17ROCPRIM_400000_NS6detail17trampoline_kernelINS0_14default_configENS1_27scan_by_key_config_selectorIssEEZZNS1_16scan_by_key_implILNS1_25lookback_scan_determinismE0ELb0ES3_N6thrust23THRUST_200600_302600_NS6detail15normal_iteratorINS9_10device_ptrIsEEEESE_SE_sNS9_10multipliesIsEENS9_8equal_toIsEEsEE10hipError_tPvRmT2_T3_T4_T5_mT6_T7_P12ihipStream_tbENKUlT_T0_E_clISt17integral_constantIbLb0EESZ_EEDaSU_SV_EUlSU_E_NS1_11comp_targetILNS1_3genE3ELNS1_11target_archE908ELNS1_3gpuE7ELNS1_3repE0EEENS1_30default_config_static_selectorELNS0_4arch9wavefront6targetE0EEEvT1_,"axG",@progbits,_ZN7rocprim17ROCPRIM_400000_NS6detail17trampoline_kernelINS0_14default_configENS1_27scan_by_key_config_selectorIssEEZZNS1_16scan_by_key_implILNS1_25lookback_scan_determinismE0ELb0ES3_N6thrust23THRUST_200600_302600_NS6detail15normal_iteratorINS9_10device_ptrIsEEEESE_SE_sNS9_10multipliesIsEENS9_8equal_toIsEEsEE10hipError_tPvRmT2_T3_T4_T5_mT6_T7_P12ihipStream_tbENKUlT_T0_E_clISt17integral_constantIbLb0EESZ_EEDaSU_SV_EUlSU_E_NS1_11comp_targetILNS1_3genE3ELNS1_11target_archE908ELNS1_3gpuE7ELNS1_3repE0EEENS1_30default_config_static_selectorELNS0_4arch9wavefront6targetE0EEEvT1_,comdat
	.protected	_ZN7rocprim17ROCPRIM_400000_NS6detail17trampoline_kernelINS0_14default_configENS1_27scan_by_key_config_selectorIssEEZZNS1_16scan_by_key_implILNS1_25lookback_scan_determinismE0ELb0ES3_N6thrust23THRUST_200600_302600_NS6detail15normal_iteratorINS9_10device_ptrIsEEEESE_SE_sNS9_10multipliesIsEENS9_8equal_toIsEEsEE10hipError_tPvRmT2_T3_T4_T5_mT6_T7_P12ihipStream_tbENKUlT_T0_E_clISt17integral_constantIbLb0EESZ_EEDaSU_SV_EUlSU_E_NS1_11comp_targetILNS1_3genE3ELNS1_11target_archE908ELNS1_3gpuE7ELNS1_3repE0EEENS1_30default_config_static_selectorELNS0_4arch9wavefront6targetE0EEEvT1_ ; -- Begin function _ZN7rocprim17ROCPRIM_400000_NS6detail17trampoline_kernelINS0_14default_configENS1_27scan_by_key_config_selectorIssEEZZNS1_16scan_by_key_implILNS1_25lookback_scan_determinismE0ELb0ES3_N6thrust23THRUST_200600_302600_NS6detail15normal_iteratorINS9_10device_ptrIsEEEESE_SE_sNS9_10multipliesIsEENS9_8equal_toIsEEsEE10hipError_tPvRmT2_T3_T4_T5_mT6_T7_P12ihipStream_tbENKUlT_T0_E_clISt17integral_constantIbLb0EESZ_EEDaSU_SV_EUlSU_E_NS1_11comp_targetILNS1_3genE3ELNS1_11target_archE908ELNS1_3gpuE7ELNS1_3repE0EEENS1_30default_config_static_selectorELNS0_4arch9wavefront6targetE0EEEvT1_
	.globl	_ZN7rocprim17ROCPRIM_400000_NS6detail17trampoline_kernelINS0_14default_configENS1_27scan_by_key_config_selectorIssEEZZNS1_16scan_by_key_implILNS1_25lookback_scan_determinismE0ELb0ES3_N6thrust23THRUST_200600_302600_NS6detail15normal_iteratorINS9_10device_ptrIsEEEESE_SE_sNS9_10multipliesIsEENS9_8equal_toIsEEsEE10hipError_tPvRmT2_T3_T4_T5_mT6_T7_P12ihipStream_tbENKUlT_T0_E_clISt17integral_constantIbLb0EESZ_EEDaSU_SV_EUlSU_E_NS1_11comp_targetILNS1_3genE3ELNS1_11target_archE908ELNS1_3gpuE7ELNS1_3repE0EEENS1_30default_config_static_selectorELNS0_4arch9wavefront6targetE0EEEvT1_
	.p2align	8
	.type	_ZN7rocprim17ROCPRIM_400000_NS6detail17trampoline_kernelINS0_14default_configENS1_27scan_by_key_config_selectorIssEEZZNS1_16scan_by_key_implILNS1_25lookback_scan_determinismE0ELb0ES3_N6thrust23THRUST_200600_302600_NS6detail15normal_iteratorINS9_10device_ptrIsEEEESE_SE_sNS9_10multipliesIsEENS9_8equal_toIsEEsEE10hipError_tPvRmT2_T3_T4_T5_mT6_T7_P12ihipStream_tbENKUlT_T0_E_clISt17integral_constantIbLb0EESZ_EEDaSU_SV_EUlSU_E_NS1_11comp_targetILNS1_3genE3ELNS1_11target_archE908ELNS1_3gpuE7ELNS1_3repE0EEENS1_30default_config_static_selectorELNS0_4arch9wavefront6targetE0EEEvT1_,@function
_ZN7rocprim17ROCPRIM_400000_NS6detail17trampoline_kernelINS0_14default_configENS1_27scan_by_key_config_selectorIssEEZZNS1_16scan_by_key_implILNS1_25lookback_scan_determinismE0ELb0ES3_N6thrust23THRUST_200600_302600_NS6detail15normal_iteratorINS9_10device_ptrIsEEEESE_SE_sNS9_10multipliesIsEENS9_8equal_toIsEEsEE10hipError_tPvRmT2_T3_T4_T5_mT6_T7_P12ihipStream_tbENKUlT_T0_E_clISt17integral_constantIbLb0EESZ_EEDaSU_SV_EUlSU_E_NS1_11comp_targetILNS1_3genE3ELNS1_11target_archE908ELNS1_3gpuE7ELNS1_3repE0EEENS1_30default_config_static_selectorELNS0_4arch9wavefront6targetE0EEEvT1_: ; @_ZN7rocprim17ROCPRIM_400000_NS6detail17trampoline_kernelINS0_14default_configENS1_27scan_by_key_config_selectorIssEEZZNS1_16scan_by_key_implILNS1_25lookback_scan_determinismE0ELb0ES3_N6thrust23THRUST_200600_302600_NS6detail15normal_iteratorINS9_10device_ptrIsEEEESE_SE_sNS9_10multipliesIsEENS9_8equal_toIsEEsEE10hipError_tPvRmT2_T3_T4_T5_mT6_T7_P12ihipStream_tbENKUlT_T0_E_clISt17integral_constantIbLb0EESZ_EEDaSU_SV_EUlSU_E_NS1_11comp_targetILNS1_3genE3ELNS1_11target_archE908ELNS1_3gpuE7ELNS1_3repE0EEENS1_30default_config_static_selectorELNS0_4arch9wavefront6targetE0EEEvT1_
; %bb.0:
	.section	.rodata,"a",@progbits
	.p2align	6, 0x0
	.amdhsa_kernel _ZN7rocprim17ROCPRIM_400000_NS6detail17trampoline_kernelINS0_14default_configENS1_27scan_by_key_config_selectorIssEEZZNS1_16scan_by_key_implILNS1_25lookback_scan_determinismE0ELb0ES3_N6thrust23THRUST_200600_302600_NS6detail15normal_iteratorINS9_10device_ptrIsEEEESE_SE_sNS9_10multipliesIsEENS9_8equal_toIsEEsEE10hipError_tPvRmT2_T3_T4_T5_mT6_T7_P12ihipStream_tbENKUlT_T0_E_clISt17integral_constantIbLb0EESZ_EEDaSU_SV_EUlSU_E_NS1_11comp_targetILNS1_3genE3ELNS1_11target_archE908ELNS1_3gpuE7ELNS1_3repE0EEENS1_30default_config_static_selectorELNS0_4arch9wavefront6targetE0EEEvT1_
		.amdhsa_group_segment_fixed_size 0
		.amdhsa_private_segment_fixed_size 0
		.amdhsa_kernarg_size 112
		.amdhsa_user_sgpr_count 2
		.amdhsa_user_sgpr_dispatch_ptr 0
		.amdhsa_user_sgpr_queue_ptr 0
		.amdhsa_user_sgpr_kernarg_segment_ptr 1
		.amdhsa_user_sgpr_dispatch_id 0
		.amdhsa_user_sgpr_kernarg_preload_length 0
		.amdhsa_user_sgpr_kernarg_preload_offset 0
		.amdhsa_user_sgpr_private_segment_size 0
		.amdhsa_wavefront_size32 1
		.amdhsa_uses_dynamic_stack 0
		.amdhsa_enable_private_segment 0
		.amdhsa_system_sgpr_workgroup_id_x 1
		.amdhsa_system_sgpr_workgroup_id_y 0
		.amdhsa_system_sgpr_workgroup_id_z 0
		.amdhsa_system_sgpr_workgroup_info 0
		.amdhsa_system_vgpr_workitem_id 0
		.amdhsa_next_free_vgpr 1
		.amdhsa_next_free_sgpr 1
		.amdhsa_named_barrier_count 0
		.amdhsa_reserve_vcc 0
		.amdhsa_float_round_mode_32 0
		.amdhsa_float_round_mode_16_64 0
		.amdhsa_float_denorm_mode_32 3
		.amdhsa_float_denorm_mode_16_64 3
		.amdhsa_fp16_overflow 0
		.amdhsa_memory_ordered 1
		.amdhsa_forward_progress 1
		.amdhsa_inst_pref_size 0
		.amdhsa_round_robin_scheduling 0
		.amdhsa_exception_fp_ieee_invalid_op 0
		.amdhsa_exception_fp_denorm_src 0
		.amdhsa_exception_fp_ieee_div_zero 0
		.amdhsa_exception_fp_ieee_overflow 0
		.amdhsa_exception_fp_ieee_underflow 0
		.amdhsa_exception_fp_ieee_inexact 0
		.amdhsa_exception_int_div_zero 0
	.end_amdhsa_kernel
	.section	.text._ZN7rocprim17ROCPRIM_400000_NS6detail17trampoline_kernelINS0_14default_configENS1_27scan_by_key_config_selectorIssEEZZNS1_16scan_by_key_implILNS1_25lookback_scan_determinismE0ELb0ES3_N6thrust23THRUST_200600_302600_NS6detail15normal_iteratorINS9_10device_ptrIsEEEESE_SE_sNS9_10multipliesIsEENS9_8equal_toIsEEsEE10hipError_tPvRmT2_T3_T4_T5_mT6_T7_P12ihipStream_tbENKUlT_T0_E_clISt17integral_constantIbLb0EESZ_EEDaSU_SV_EUlSU_E_NS1_11comp_targetILNS1_3genE3ELNS1_11target_archE908ELNS1_3gpuE7ELNS1_3repE0EEENS1_30default_config_static_selectorELNS0_4arch9wavefront6targetE0EEEvT1_,"axG",@progbits,_ZN7rocprim17ROCPRIM_400000_NS6detail17trampoline_kernelINS0_14default_configENS1_27scan_by_key_config_selectorIssEEZZNS1_16scan_by_key_implILNS1_25lookback_scan_determinismE0ELb0ES3_N6thrust23THRUST_200600_302600_NS6detail15normal_iteratorINS9_10device_ptrIsEEEESE_SE_sNS9_10multipliesIsEENS9_8equal_toIsEEsEE10hipError_tPvRmT2_T3_T4_T5_mT6_T7_P12ihipStream_tbENKUlT_T0_E_clISt17integral_constantIbLb0EESZ_EEDaSU_SV_EUlSU_E_NS1_11comp_targetILNS1_3genE3ELNS1_11target_archE908ELNS1_3gpuE7ELNS1_3repE0EEENS1_30default_config_static_selectorELNS0_4arch9wavefront6targetE0EEEvT1_,comdat
.Lfunc_end285:
	.size	_ZN7rocprim17ROCPRIM_400000_NS6detail17trampoline_kernelINS0_14default_configENS1_27scan_by_key_config_selectorIssEEZZNS1_16scan_by_key_implILNS1_25lookback_scan_determinismE0ELb0ES3_N6thrust23THRUST_200600_302600_NS6detail15normal_iteratorINS9_10device_ptrIsEEEESE_SE_sNS9_10multipliesIsEENS9_8equal_toIsEEsEE10hipError_tPvRmT2_T3_T4_T5_mT6_T7_P12ihipStream_tbENKUlT_T0_E_clISt17integral_constantIbLb0EESZ_EEDaSU_SV_EUlSU_E_NS1_11comp_targetILNS1_3genE3ELNS1_11target_archE908ELNS1_3gpuE7ELNS1_3repE0EEENS1_30default_config_static_selectorELNS0_4arch9wavefront6targetE0EEEvT1_, .Lfunc_end285-_ZN7rocprim17ROCPRIM_400000_NS6detail17trampoline_kernelINS0_14default_configENS1_27scan_by_key_config_selectorIssEEZZNS1_16scan_by_key_implILNS1_25lookback_scan_determinismE0ELb0ES3_N6thrust23THRUST_200600_302600_NS6detail15normal_iteratorINS9_10device_ptrIsEEEESE_SE_sNS9_10multipliesIsEENS9_8equal_toIsEEsEE10hipError_tPvRmT2_T3_T4_T5_mT6_T7_P12ihipStream_tbENKUlT_T0_E_clISt17integral_constantIbLb0EESZ_EEDaSU_SV_EUlSU_E_NS1_11comp_targetILNS1_3genE3ELNS1_11target_archE908ELNS1_3gpuE7ELNS1_3repE0EEENS1_30default_config_static_selectorELNS0_4arch9wavefront6targetE0EEEvT1_
                                        ; -- End function
	.set _ZN7rocprim17ROCPRIM_400000_NS6detail17trampoline_kernelINS0_14default_configENS1_27scan_by_key_config_selectorIssEEZZNS1_16scan_by_key_implILNS1_25lookback_scan_determinismE0ELb0ES3_N6thrust23THRUST_200600_302600_NS6detail15normal_iteratorINS9_10device_ptrIsEEEESE_SE_sNS9_10multipliesIsEENS9_8equal_toIsEEsEE10hipError_tPvRmT2_T3_T4_T5_mT6_T7_P12ihipStream_tbENKUlT_T0_E_clISt17integral_constantIbLb0EESZ_EEDaSU_SV_EUlSU_E_NS1_11comp_targetILNS1_3genE3ELNS1_11target_archE908ELNS1_3gpuE7ELNS1_3repE0EEENS1_30default_config_static_selectorELNS0_4arch9wavefront6targetE0EEEvT1_.num_vgpr, 0
	.set _ZN7rocprim17ROCPRIM_400000_NS6detail17trampoline_kernelINS0_14default_configENS1_27scan_by_key_config_selectorIssEEZZNS1_16scan_by_key_implILNS1_25lookback_scan_determinismE0ELb0ES3_N6thrust23THRUST_200600_302600_NS6detail15normal_iteratorINS9_10device_ptrIsEEEESE_SE_sNS9_10multipliesIsEENS9_8equal_toIsEEsEE10hipError_tPvRmT2_T3_T4_T5_mT6_T7_P12ihipStream_tbENKUlT_T0_E_clISt17integral_constantIbLb0EESZ_EEDaSU_SV_EUlSU_E_NS1_11comp_targetILNS1_3genE3ELNS1_11target_archE908ELNS1_3gpuE7ELNS1_3repE0EEENS1_30default_config_static_selectorELNS0_4arch9wavefront6targetE0EEEvT1_.num_agpr, 0
	.set _ZN7rocprim17ROCPRIM_400000_NS6detail17trampoline_kernelINS0_14default_configENS1_27scan_by_key_config_selectorIssEEZZNS1_16scan_by_key_implILNS1_25lookback_scan_determinismE0ELb0ES3_N6thrust23THRUST_200600_302600_NS6detail15normal_iteratorINS9_10device_ptrIsEEEESE_SE_sNS9_10multipliesIsEENS9_8equal_toIsEEsEE10hipError_tPvRmT2_T3_T4_T5_mT6_T7_P12ihipStream_tbENKUlT_T0_E_clISt17integral_constantIbLb0EESZ_EEDaSU_SV_EUlSU_E_NS1_11comp_targetILNS1_3genE3ELNS1_11target_archE908ELNS1_3gpuE7ELNS1_3repE0EEENS1_30default_config_static_selectorELNS0_4arch9wavefront6targetE0EEEvT1_.numbered_sgpr, 0
	.set _ZN7rocprim17ROCPRIM_400000_NS6detail17trampoline_kernelINS0_14default_configENS1_27scan_by_key_config_selectorIssEEZZNS1_16scan_by_key_implILNS1_25lookback_scan_determinismE0ELb0ES3_N6thrust23THRUST_200600_302600_NS6detail15normal_iteratorINS9_10device_ptrIsEEEESE_SE_sNS9_10multipliesIsEENS9_8equal_toIsEEsEE10hipError_tPvRmT2_T3_T4_T5_mT6_T7_P12ihipStream_tbENKUlT_T0_E_clISt17integral_constantIbLb0EESZ_EEDaSU_SV_EUlSU_E_NS1_11comp_targetILNS1_3genE3ELNS1_11target_archE908ELNS1_3gpuE7ELNS1_3repE0EEENS1_30default_config_static_selectorELNS0_4arch9wavefront6targetE0EEEvT1_.num_named_barrier, 0
	.set _ZN7rocprim17ROCPRIM_400000_NS6detail17trampoline_kernelINS0_14default_configENS1_27scan_by_key_config_selectorIssEEZZNS1_16scan_by_key_implILNS1_25lookback_scan_determinismE0ELb0ES3_N6thrust23THRUST_200600_302600_NS6detail15normal_iteratorINS9_10device_ptrIsEEEESE_SE_sNS9_10multipliesIsEENS9_8equal_toIsEEsEE10hipError_tPvRmT2_T3_T4_T5_mT6_T7_P12ihipStream_tbENKUlT_T0_E_clISt17integral_constantIbLb0EESZ_EEDaSU_SV_EUlSU_E_NS1_11comp_targetILNS1_3genE3ELNS1_11target_archE908ELNS1_3gpuE7ELNS1_3repE0EEENS1_30default_config_static_selectorELNS0_4arch9wavefront6targetE0EEEvT1_.private_seg_size, 0
	.set _ZN7rocprim17ROCPRIM_400000_NS6detail17trampoline_kernelINS0_14default_configENS1_27scan_by_key_config_selectorIssEEZZNS1_16scan_by_key_implILNS1_25lookback_scan_determinismE0ELb0ES3_N6thrust23THRUST_200600_302600_NS6detail15normal_iteratorINS9_10device_ptrIsEEEESE_SE_sNS9_10multipliesIsEENS9_8equal_toIsEEsEE10hipError_tPvRmT2_T3_T4_T5_mT6_T7_P12ihipStream_tbENKUlT_T0_E_clISt17integral_constantIbLb0EESZ_EEDaSU_SV_EUlSU_E_NS1_11comp_targetILNS1_3genE3ELNS1_11target_archE908ELNS1_3gpuE7ELNS1_3repE0EEENS1_30default_config_static_selectorELNS0_4arch9wavefront6targetE0EEEvT1_.uses_vcc, 0
	.set _ZN7rocprim17ROCPRIM_400000_NS6detail17trampoline_kernelINS0_14default_configENS1_27scan_by_key_config_selectorIssEEZZNS1_16scan_by_key_implILNS1_25lookback_scan_determinismE0ELb0ES3_N6thrust23THRUST_200600_302600_NS6detail15normal_iteratorINS9_10device_ptrIsEEEESE_SE_sNS9_10multipliesIsEENS9_8equal_toIsEEsEE10hipError_tPvRmT2_T3_T4_T5_mT6_T7_P12ihipStream_tbENKUlT_T0_E_clISt17integral_constantIbLb0EESZ_EEDaSU_SV_EUlSU_E_NS1_11comp_targetILNS1_3genE3ELNS1_11target_archE908ELNS1_3gpuE7ELNS1_3repE0EEENS1_30default_config_static_selectorELNS0_4arch9wavefront6targetE0EEEvT1_.uses_flat_scratch, 0
	.set _ZN7rocprim17ROCPRIM_400000_NS6detail17trampoline_kernelINS0_14default_configENS1_27scan_by_key_config_selectorIssEEZZNS1_16scan_by_key_implILNS1_25lookback_scan_determinismE0ELb0ES3_N6thrust23THRUST_200600_302600_NS6detail15normal_iteratorINS9_10device_ptrIsEEEESE_SE_sNS9_10multipliesIsEENS9_8equal_toIsEEsEE10hipError_tPvRmT2_T3_T4_T5_mT6_T7_P12ihipStream_tbENKUlT_T0_E_clISt17integral_constantIbLb0EESZ_EEDaSU_SV_EUlSU_E_NS1_11comp_targetILNS1_3genE3ELNS1_11target_archE908ELNS1_3gpuE7ELNS1_3repE0EEENS1_30default_config_static_selectorELNS0_4arch9wavefront6targetE0EEEvT1_.has_dyn_sized_stack, 0
	.set _ZN7rocprim17ROCPRIM_400000_NS6detail17trampoline_kernelINS0_14default_configENS1_27scan_by_key_config_selectorIssEEZZNS1_16scan_by_key_implILNS1_25lookback_scan_determinismE0ELb0ES3_N6thrust23THRUST_200600_302600_NS6detail15normal_iteratorINS9_10device_ptrIsEEEESE_SE_sNS9_10multipliesIsEENS9_8equal_toIsEEsEE10hipError_tPvRmT2_T3_T4_T5_mT6_T7_P12ihipStream_tbENKUlT_T0_E_clISt17integral_constantIbLb0EESZ_EEDaSU_SV_EUlSU_E_NS1_11comp_targetILNS1_3genE3ELNS1_11target_archE908ELNS1_3gpuE7ELNS1_3repE0EEENS1_30default_config_static_selectorELNS0_4arch9wavefront6targetE0EEEvT1_.has_recursion, 0
	.set _ZN7rocprim17ROCPRIM_400000_NS6detail17trampoline_kernelINS0_14default_configENS1_27scan_by_key_config_selectorIssEEZZNS1_16scan_by_key_implILNS1_25lookback_scan_determinismE0ELb0ES3_N6thrust23THRUST_200600_302600_NS6detail15normal_iteratorINS9_10device_ptrIsEEEESE_SE_sNS9_10multipliesIsEENS9_8equal_toIsEEsEE10hipError_tPvRmT2_T3_T4_T5_mT6_T7_P12ihipStream_tbENKUlT_T0_E_clISt17integral_constantIbLb0EESZ_EEDaSU_SV_EUlSU_E_NS1_11comp_targetILNS1_3genE3ELNS1_11target_archE908ELNS1_3gpuE7ELNS1_3repE0EEENS1_30default_config_static_selectorELNS0_4arch9wavefront6targetE0EEEvT1_.has_indirect_call, 0
	.section	.AMDGPU.csdata,"",@progbits
; Kernel info:
; codeLenInByte = 0
; TotalNumSgprs: 0
; NumVgprs: 0
; ScratchSize: 0
; MemoryBound: 0
; FloatMode: 240
; IeeeMode: 1
; LDSByteSize: 0 bytes/workgroup (compile time only)
; SGPRBlocks: 0
; VGPRBlocks: 0
; NumSGPRsForWavesPerEU: 1
; NumVGPRsForWavesPerEU: 1
; NamedBarCnt: 0
; Occupancy: 16
; WaveLimiterHint : 0
; COMPUTE_PGM_RSRC2:SCRATCH_EN: 0
; COMPUTE_PGM_RSRC2:USER_SGPR: 2
; COMPUTE_PGM_RSRC2:TRAP_HANDLER: 0
; COMPUTE_PGM_RSRC2:TGID_X_EN: 1
; COMPUTE_PGM_RSRC2:TGID_Y_EN: 0
; COMPUTE_PGM_RSRC2:TGID_Z_EN: 0
; COMPUTE_PGM_RSRC2:TIDIG_COMP_CNT: 0
	.section	.text._ZN7rocprim17ROCPRIM_400000_NS6detail17trampoline_kernelINS0_14default_configENS1_27scan_by_key_config_selectorIssEEZZNS1_16scan_by_key_implILNS1_25lookback_scan_determinismE0ELb0ES3_N6thrust23THRUST_200600_302600_NS6detail15normal_iteratorINS9_10device_ptrIsEEEESE_SE_sNS9_10multipliesIsEENS9_8equal_toIsEEsEE10hipError_tPvRmT2_T3_T4_T5_mT6_T7_P12ihipStream_tbENKUlT_T0_E_clISt17integral_constantIbLb0EESZ_EEDaSU_SV_EUlSU_E_NS1_11comp_targetILNS1_3genE2ELNS1_11target_archE906ELNS1_3gpuE6ELNS1_3repE0EEENS1_30default_config_static_selectorELNS0_4arch9wavefront6targetE0EEEvT1_,"axG",@progbits,_ZN7rocprim17ROCPRIM_400000_NS6detail17trampoline_kernelINS0_14default_configENS1_27scan_by_key_config_selectorIssEEZZNS1_16scan_by_key_implILNS1_25lookback_scan_determinismE0ELb0ES3_N6thrust23THRUST_200600_302600_NS6detail15normal_iteratorINS9_10device_ptrIsEEEESE_SE_sNS9_10multipliesIsEENS9_8equal_toIsEEsEE10hipError_tPvRmT2_T3_T4_T5_mT6_T7_P12ihipStream_tbENKUlT_T0_E_clISt17integral_constantIbLb0EESZ_EEDaSU_SV_EUlSU_E_NS1_11comp_targetILNS1_3genE2ELNS1_11target_archE906ELNS1_3gpuE6ELNS1_3repE0EEENS1_30default_config_static_selectorELNS0_4arch9wavefront6targetE0EEEvT1_,comdat
	.protected	_ZN7rocprim17ROCPRIM_400000_NS6detail17trampoline_kernelINS0_14default_configENS1_27scan_by_key_config_selectorIssEEZZNS1_16scan_by_key_implILNS1_25lookback_scan_determinismE0ELb0ES3_N6thrust23THRUST_200600_302600_NS6detail15normal_iteratorINS9_10device_ptrIsEEEESE_SE_sNS9_10multipliesIsEENS9_8equal_toIsEEsEE10hipError_tPvRmT2_T3_T4_T5_mT6_T7_P12ihipStream_tbENKUlT_T0_E_clISt17integral_constantIbLb0EESZ_EEDaSU_SV_EUlSU_E_NS1_11comp_targetILNS1_3genE2ELNS1_11target_archE906ELNS1_3gpuE6ELNS1_3repE0EEENS1_30default_config_static_selectorELNS0_4arch9wavefront6targetE0EEEvT1_ ; -- Begin function _ZN7rocprim17ROCPRIM_400000_NS6detail17trampoline_kernelINS0_14default_configENS1_27scan_by_key_config_selectorIssEEZZNS1_16scan_by_key_implILNS1_25lookback_scan_determinismE0ELb0ES3_N6thrust23THRUST_200600_302600_NS6detail15normal_iteratorINS9_10device_ptrIsEEEESE_SE_sNS9_10multipliesIsEENS9_8equal_toIsEEsEE10hipError_tPvRmT2_T3_T4_T5_mT6_T7_P12ihipStream_tbENKUlT_T0_E_clISt17integral_constantIbLb0EESZ_EEDaSU_SV_EUlSU_E_NS1_11comp_targetILNS1_3genE2ELNS1_11target_archE906ELNS1_3gpuE6ELNS1_3repE0EEENS1_30default_config_static_selectorELNS0_4arch9wavefront6targetE0EEEvT1_
	.globl	_ZN7rocprim17ROCPRIM_400000_NS6detail17trampoline_kernelINS0_14default_configENS1_27scan_by_key_config_selectorIssEEZZNS1_16scan_by_key_implILNS1_25lookback_scan_determinismE0ELb0ES3_N6thrust23THRUST_200600_302600_NS6detail15normal_iteratorINS9_10device_ptrIsEEEESE_SE_sNS9_10multipliesIsEENS9_8equal_toIsEEsEE10hipError_tPvRmT2_T3_T4_T5_mT6_T7_P12ihipStream_tbENKUlT_T0_E_clISt17integral_constantIbLb0EESZ_EEDaSU_SV_EUlSU_E_NS1_11comp_targetILNS1_3genE2ELNS1_11target_archE906ELNS1_3gpuE6ELNS1_3repE0EEENS1_30default_config_static_selectorELNS0_4arch9wavefront6targetE0EEEvT1_
	.p2align	8
	.type	_ZN7rocprim17ROCPRIM_400000_NS6detail17trampoline_kernelINS0_14default_configENS1_27scan_by_key_config_selectorIssEEZZNS1_16scan_by_key_implILNS1_25lookback_scan_determinismE0ELb0ES3_N6thrust23THRUST_200600_302600_NS6detail15normal_iteratorINS9_10device_ptrIsEEEESE_SE_sNS9_10multipliesIsEENS9_8equal_toIsEEsEE10hipError_tPvRmT2_T3_T4_T5_mT6_T7_P12ihipStream_tbENKUlT_T0_E_clISt17integral_constantIbLb0EESZ_EEDaSU_SV_EUlSU_E_NS1_11comp_targetILNS1_3genE2ELNS1_11target_archE906ELNS1_3gpuE6ELNS1_3repE0EEENS1_30default_config_static_selectorELNS0_4arch9wavefront6targetE0EEEvT1_,@function
_ZN7rocprim17ROCPRIM_400000_NS6detail17trampoline_kernelINS0_14default_configENS1_27scan_by_key_config_selectorIssEEZZNS1_16scan_by_key_implILNS1_25lookback_scan_determinismE0ELb0ES3_N6thrust23THRUST_200600_302600_NS6detail15normal_iteratorINS9_10device_ptrIsEEEESE_SE_sNS9_10multipliesIsEENS9_8equal_toIsEEsEE10hipError_tPvRmT2_T3_T4_T5_mT6_T7_P12ihipStream_tbENKUlT_T0_E_clISt17integral_constantIbLb0EESZ_EEDaSU_SV_EUlSU_E_NS1_11comp_targetILNS1_3genE2ELNS1_11target_archE906ELNS1_3gpuE6ELNS1_3repE0EEENS1_30default_config_static_selectorELNS0_4arch9wavefront6targetE0EEEvT1_: ; @_ZN7rocprim17ROCPRIM_400000_NS6detail17trampoline_kernelINS0_14default_configENS1_27scan_by_key_config_selectorIssEEZZNS1_16scan_by_key_implILNS1_25lookback_scan_determinismE0ELb0ES3_N6thrust23THRUST_200600_302600_NS6detail15normal_iteratorINS9_10device_ptrIsEEEESE_SE_sNS9_10multipliesIsEENS9_8equal_toIsEEsEE10hipError_tPvRmT2_T3_T4_T5_mT6_T7_P12ihipStream_tbENKUlT_T0_E_clISt17integral_constantIbLb0EESZ_EEDaSU_SV_EUlSU_E_NS1_11comp_targetILNS1_3genE2ELNS1_11target_archE906ELNS1_3gpuE6ELNS1_3repE0EEENS1_30default_config_static_selectorELNS0_4arch9wavefront6targetE0EEEvT1_
; %bb.0:
	.section	.rodata,"a",@progbits
	.p2align	6, 0x0
	.amdhsa_kernel _ZN7rocprim17ROCPRIM_400000_NS6detail17trampoline_kernelINS0_14default_configENS1_27scan_by_key_config_selectorIssEEZZNS1_16scan_by_key_implILNS1_25lookback_scan_determinismE0ELb0ES3_N6thrust23THRUST_200600_302600_NS6detail15normal_iteratorINS9_10device_ptrIsEEEESE_SE_sNS9_10multipliesIsEENS9_8equal_toIsEEsEE10hipError_tPvRmT2_T3_T4_T5_mT6_T7_P12ihipStream_tbENKUlT_T0_E_clISt17integral_constantIbLb0EESZ_EEDaSU_SV_EUlSU_E_NS1_11comp_targetILNS1_3genE2ELNS1_11target_archE906ELNS1_3gpuE6ELNS1_3repE0EEENS1_30default_config_static_selectorELNS0_4arch9wavefront6targetE0EEEvT1_
		.amdhsa_group_segment_fixed_size 0
		.amdhsa_private_segment_fixed_size 0
		.amdhsa_kernarg_size 112
		.amdhsa_user_sgpr_count 2
		.amdhsa_user_sgpr_dispatch_ptr 0
		.amdhsa_user_sgpr_queue_ptr 0
		.amdhsa_user_sgpr_kernarg_segment_ptr 1
		.amdhsa_user_sgpr_dispatch_id 0
		.amdhsa_user_sgpr_kernarg_preload_length 0
		.amdhsa_user_sgpr_kernarg_preload_offset 0
		.amdhsa_user_sgpr_private_segment_size 0
		.amdhsa_wavefront_size32 1
		.amdhsa_uses_dynamic_stack 0
		.amdhsa_enable_private_segment 0
		.amdhsa_system_sgpr_workgroup_id_x 1
		.amdhsa_system_sgpr_workgroup_id_y 0
		.amdhsa_system_sgpr_workgroup_id_z 0
		.amdhsa_system_sgpr_workgroup_info 0
		.amdhsa_system_vgpr_workitem_id 0
		.amdhsa_next_free_vgpr 1
		.amdhsa_next_free_sgpr 1
		.amdhsa_named_barrier_count 0
		.amdhsa_reserve_vcc 0
		.amdhsa_float_round_mode_32 0
		.amdhsa_float_round_mode_16_64 0
		.amdhsa_float_denorm_mode_32 3
		.amdhsa_float_denorm_mode_16_64 3
		.amdhsa_fp16_overflow 0
		.amdhsa_memory_ordered 1
		.amdhsa_forward_progress 1
		.amdhsa_inst_pref_size 0
		.amdhsa_round_robin_scheduling 0
		.amdhsa_exception_fp_ieee_invalid_op 0
		.amdhsa_exception_fp_denorm_src 0
		.amdhsa_exception_fp_ieee_div_zero 0
		.amdhsa_exception_fp_ieee_overflow 0
		.amdhsa_exception_fp_ieee_underflow 0
		.amdhsa_exception_fp_ieee_inexact 0
		.amdhsa_exception_int_div_zero 0
	.end_amdhsa_kernel
	.section	.text._ZN7rocprim17ROCPRIM_400000_NS6detail17trampoline_kernelINS0_14default_configENS1_27scan_by_key_config_selectorIssEEZZNS1_16scan_by_key_implILNS1_25lookback_scan_determinismE0ELb0ES3_N6thrust23THRUST_200600_302600_NS6detail15normal_iteratorINS9_10device_ptrIsEEEESE_SE_sNS9_10multipliesIsEENS9_8equal_toIsEEsEE10hipError_tPvRmT2_T3_T4_T5_mT6_T7_P12ihipStream_tbENKUlT_T0_E_clISt17integral_constantIbLb0EESZ_EEDaSU_SV_EUlSU_E_NS1_11comp_targetILNS1_3genE2ELNS1_11target_archE906ELNS1_3gpuE6ELNS1_3repE0EEENS1_30default_config_static_selectorELNS0_4arch9wavefront6targetE0EEEvT1_,"axG",@progbits,_ZN7rocprim17ROCPRIM_400000_NS6detail17trampoline_kernelINS0_14default_configENS1_27scan_by_key_config_selectorIssEEZZNS1_16scan_by_key_implILNS1_25lookback_scan_determinismE0ELb0ES3_N6thrust23THRUST_200600_302600_NS6detail15normal_iteratorINS9_10device_ptrIsEEEESE_SE_sNS9_10multipliesIsEENS9_8equal_toIsEEsEE10hipError_tPvRmT2_T3_T4_T5_mT6_T7_P12ihipStream_tbENKUlT_T0_E_clISt17integral_constantIbLb0EESZ_EEDaSU_SV_EUlSU_E_NS1_11comp_targetILNS1_3genE2ELNS1_11target_archE906ELNS1_3gpuE6ELNS1_3repE0EEENS1_30default_config_static_selectorELNS0_4arch9wavefront6targetE0EEEvT1_,comdat
.Lfunc_end286:
	.size	_ZN7rocprim17ROCPRIM_400000_NS6detail17trampoline_kernelINS0_14default_configENS1_27scan_by_key_config_selectorIssEEZZNS1_16scan_by_key_implILNS1_25lookback_scan_determinismE0ELb0ES3_N6thrust23THRUST_200600_302600_NS6detail15normal_iteratorINS9_10device_ptrIsEEEESE_SE_sNS9_10multipliesIsEENS9_8equal_toIsEEsEE10hipError_tPvRmT2_T3_T4_T5_mT6_T7_P12ihipStream_tbENKUlT_T0_E_clISt17integral_constantIbLb0EESZ_EEDaSU_SV_EUlSU_E_NS1_11comp_targetILNS1_3genE2ELNS1_11target_archE906ELNS1_3gpuE6ELNS1_3repE0EEENS1_30default_config_static_selectorELNS0_4arch9wavefront6targetE0EEEvT1_, .Lfunc_end286-_ZN7rocprim17ROCPRIM_400000_NS6detail17trampoline_kernelINS0_14default_configENS1_27scan_by_key_config_selectorIssEEZZNS1_16scan_by_key_implILNS1_25lookback_scan_determinismE0ELb0ES3_N6thrust23THRUST_200600_302600_NS6detail15normal_iteratorINS9_10device_ptrIsEEEESE_SE_sNS9_10multipliesIsEENS9_8equal_toIsEEsEE10hipError_tPvRmT2_T3_T4_T5_mT6_T7_P12ihipStream_tbENKUlT_T0_E_clISt17integral_constantIbLb0EESZ_EEDaSU_SV_EUlSU_E_NS1_11comp_targetILNS1_3genE2ELNS1_11target_archE906ELNS1_3gpuE6ELNS1_3repE0EEENS1_30default_config_static_selectorELNS0_4arch9wavefront6targetE0EEEvT1_
                                        ; -- End function
	.set _ZN7rocprim17ROCPRIM_400000_NS6detail17trampoline_kernelINS0_14default_configENS1_27scan_by_key_config_selectorIssEEZZNS1_16scan_by_key_implILNS1_25lookback_scan_determinismE0ELb0ES3_N6thrust23THRUST_200600_302600_NS6detail15normal_iteratorINS9_10device_ptrIsEEEESE_SE_sNS9_10multipliesIsEENS9_8equal_toIsEEsEE10hipError_tPvRmT2_T3_T4_T5_mT6_T7_P12ihipStream_tbENKUlT_T0_E_clISt17integral_constantIbLb0EESZ_EEDaSU_SV_EUlSU_E_NS1_11comp_targetILNS1_3genE2ELNS1_11target_archE906ELNS1_3gpuE6ELNS1_3repE0EEENS1_30default_config_static_selectorELNS0_4arch9wavefront6targetE0EEEvT1_.num_vgpr, 0
	.set _ZN7rocprim17ROCPRIM_400000_NS6detail17trampoline_kernelINS0_14default_configENS1_27scan_by_key_config_selectorIssEEZZNS1_16scan_by_key_implILNS1_25lookback_scan_determinismE0ELb0ES3_N6thrust23THRUST_200600_302600_NS6detail15normal_iteratorINS9_10device_ptrIsEEEESE_SE_sNS9_10multipliesIsEENS9_8equal_toIsEEsEE10hipError_tPvRmT2_T3_T4_T5_mT6_T7_P12ihipStream_tbENKUlT_T0_E_clISt17integral_constantIbLb0EESZ_EEDaSU_SV_EUlSU_E_NS1_11comp_targetILNS1_3genE2ELNS1_11target_archE906ELNS1_3gpuE6ELNS1_3repE0EEENS1_30default_config_static_selectorELNS0_4arch9wavefront6targetE0EEEvT1_.num_agpr, 0
	.set _ZN7rocprim17ROCPRIM_400000_NS6detail17trampoline_kernelINS0_14default_configENS1_27scan_by_key_config_selectorIssEEZZNS1_16scan_by_key_implILNS1_25lookback_scan_determinismE0ELb0ES3_N6thrust23THRUST_200600_302600_NS6detail15normal_iteratorINS9_10device_ptrIsEEEESE_SE_sNS9_10multipliesIsEENS9_8equal_toIsEEsEE10hipError_tPvRmT2_T3_T4_T5_mT6_T7_P12ihipStream_tbENKUlT_T0_E_clISt17integral_constantIbLb0EESZ_EEDaSU_SV_EUlSU_E_NS1_11comp_targetILNS1_3genE2ELNS1_11target_archE906ELNS1_3gpuE6ELNS1_3repE0EEENS1_30default_config_static_selectorELNS0_4arch9wavefront6targetE0EEEvT1_.numbered_sgpr, 0
	.set _ZN7rocprim17ROCPRIM_400000_NS6detail17trampoline_kernelINS0_14default_configENS1_27scan_by_key_config_selectorIssEEZZNS1_16scan_by_key_implILNS1_25lookback_scan_determinismE0ELb0ES3_N6thrust23THRUST_200600_302600_NS6detail15normal_iteratorINS9_10device_ptrIsEEEESE_SE_sNS9_10multipliesIsEENS9_8equal_toIsEEsEE10hipError_tPvRmT2_T3_T4_T5_mT6_T7_P12ihipStream_tbENKUlT_T0_E_clISt17integral_constantIbLb0EESZ_EEDaSU_SV_EUlSU_E_NS1_11comp_targetILNS1_3genE2ELNS1_11target_archE906ELNS1_3gpuE6ELNS1_3repE0EEENS1_30default_config_static_selectorELNS0_4arch9wavefront6targetE0EEEvT1_.num_named_barrier, 0
	.set _ZN7rocprim17ROCPRIM_400000_NS6detail17trampoline_kernelINS0_14default_configENS1_27scan_by_key_config_selectorIssEEZZNS1_16scan_by_key_implILNS1_25lookback_scan_determinismE0ELb0ES3_N6thrust23THRUST_200600_302600_NS6detail15normal_iteratorINS9_10device_ptrIsEEEESE_SE_sNS9_10multipliesIsEENS9_8equal_toIsEEsEE10hipError_tPvRmT2_T3_T4_T5_mT6_T7_P12ihipStream_tbENKUlT_T0_E_clISt17integral_constantIbLb0EESZ_EEDaSU_SV_EUlSU_E_NS1_11comp_targetILNS1_3genE2ELNS1_11target_archE906ELNS1_3gpuE6ELNS1_3repE0EEENS1_30default_config_static_selectorELNS0_4arch9wavefront6targetE0EEEvT1_.private_seg_size, 0
	.set _ZN7rocprim17ROCPRIM_400000_NS6detail17trampoline_kernelINS0_14default_configENS1_27scan_by_key_config_selectorIssEEZZNS1_16scan_by_key_implILNS1_25lookback_scan_determinismE0ELb0ES3_N6thrust23THRUST_200600_302600_NS6detail15normal_iteratorINS9_10device_ptrIsEEEESE_SE_sNS9_10multipliesIsEENS9_8equal_toIsEEsEE10hipError_tPvRmT2_T3_T4_T5_mT6_T7_P12ihipStream_tbENKUlT_T0_E_clISt17integral_constantIbLb0EESZ_EEDaSU_SV_EUlSU_E_NS1_11comp_targetILNS1_3genE2ELNS1_11target_archE906ELNS1_3gpuE6ELNS1_3repE0EEENS1_30default_config_static_selectorELNS0_4arch9wavefront6targetE0EEEvT1_.uses_vcc, 0
	.set _ZN7rocprim17ROCPRIM_400000_NS6detail17trampoline_kernelINS0_14default_configENS1_27scan_by_key_config_selectorIssEEZZNS1_16scan_by_key_implILNS1_25lookback_scan_determinismE0ELb0ES3_N6thrust23THRUST_200600_302600_NS6detail15normal_iteratorINS9_10device_ptrIsEEEESE_SE_sNS9_10multipliesIsEENS9_8equal_toIsEEsEE10hipError_tPvRmT2_T3_T4_T5_mT6_T7_P12ihipStream_tbENKUlT_T0_E_clISt17integral_constantIbLb0EESZ_EEDaSU_SV_EUlSU_E_NS1_11comp_targetILNS1_3genE2ELNS1_11target_archE906ELNS1_3gpuE6ELNS1_3repE0EEENS1_30default_config_static_selectorELNS0_4arch9wavefront6targetE0EEEvT1_.uses_flat_scratch, 0
	.set _ZN7rocprim17ROCPRIM_400000_NS6detail17trampoline_kernelINS0_14default_configENS1_27scan_by_key_config_selectorIssEEZZNS1_16scan_by_key_implILNS1_25lookback_scan_determinismE0ELb0ES3_N6thrust23THRUST_200600_302600_NS6detail15normal_iteratorINS9_10device_ptrIsEEEESE_SE_sNS9_10multipliesIsEENS9_8equal_toIsEEsEE10hipError_tPvRmT2_T3_T4_T5_mT6_T7_P12ihipStream_tbENKUlT_T0_E_clISt17integral_constantIbLb0EESZ_EEDaSU_SV_EUlSU_E_NS1_11comp_targetILNS1_3genE2ELNS1_11target_archE906ELNS1_3gpuE6ELNS1_3repE0EEENS1_30default_config_static_selectorELNS0_4arch9wavefront6targetE0EEEvT1_.has_dyn_sized_stack, 0
	.set _ZN7rocprim17ROCPRIM_400000_NS6detail17trampoline_kernelINS0_14default_configENS1_27scan_by_key_config_selectorIssEEZZNS1_16scan_by_key_implILNS1_25lookback_scan_determinismE0ELb0ES3_N6thrust23THRUST_200600_302600_NS6detail15normal_iteratorINS9_10device_ptrIsEEEESE_SE_sNS9_10multipliesIsEENS9_8equal_toIsEEsEE10hipError_tPvRmT2_T3_T4_T5_mT6_T7_P12ihipStream_tbENKUlT_T0_E_clISt17integral_constantIbLb0EESZ_EEDaSU_SV_EUlSU_E_NS1_11comp_targetILNS1_3genE2ELNS1_11target_archE906ELNS1_3gpuE6ELNS1_3repE0EEENS1_30default_config_static_selectorELNS0_4arch9wavefront6targetE0EEEvT1_.has_recursion, 0
	.set _ZN7rocprim17ROCPRIM_400000_NS6detail17trampoline_kernelINS0_14default_configENS1_27scan_by_key_config_selectorIssEEZZNS1_16scan_by_key_implILNS1_25lookback_scan_determinismE0ELb0ES3_N6thrust23THRUST_200600_302600_NS6detail15normal_iteratorINS9_10device_ptrIsEEEESE_SE_sNS9_10multipliesIsEENS9_8equal_toIsEEsEE10hipError_tPvRmT2_T3_T4_T5_mT6_T7_P12ihipStream_tbENKUlT_T0_E_clISt17integral_constantIbLb0EESZ_EEDaSU_SV_EUlSU_E_NS1_11comp_targetILNS1_3genE2ELNS1_11target_archE906ELNS1_3gpuE6ELNS1_3repE0EEENS1_30default_config_static_selectorELNS0_4arch9wavefront6targetE0EEEvT1_.has_indirect_call, 0
	.section	.AMDGPU.csdata,"",@progbits
; Kernel info:
; codeLenInByte = 0
; TotalNumSgprs: 0
; NumVgprs: 0
; ScratchSize: 0
; MemoryBound: 0
; FloatMode: 240
; IeeeMode: 1
; LDSByteSize: 0 bytes/workgroup (compile time only)
; SGPRBlocks: 0
; VGPRBlocks: 0
; NumSGPRsForWavesPerEU: 1
; NumVGPRsForWavesPerEU: 1
; NamedBarCnt: 0
; Occupancy: 16
; WaveLimiterHint : 0
; COMPUTE_PGM_RSRC2:SCRATCH_EN: 0
; COMPUTE_PGM_RSRC2:USER_SGPR: 2
; COMPUTE_PGM_RSRC2:TRAP_HANDLER: 0
; COMPUTE_PGM_RSRC2:TGID_X_EN: 1
; COMPUTE_PGM_RSRC2:TGID_Y_EN: 0
; COMPUTE_PGM_RSRC2:TGID_Z_EN: 0
; COMPUTE_PGM_RSRC2:TIDIG_COMP_CNT: 0
	.section	.text._ZN7rocprim17ROCPRIM_400000_NS6detail17trampoline_kernelINS0_14default_configENS1_27scan_by_key_config_selectorIssEEZZNS1_16scan_by_key_implILNS1_25lookback_scan_determinismE0ELb0ES3_N6thrust23THRUST_200600_302600_NS6detail15normal_iteratorINS9_10device_ptrIsEEEESE_SE_sNS9_10multipliesIsEENS9_8equal_toIsEEsEE10hipError_tPvRmT2_T3_T4_T5_mT6_T7_P12ihipStream_tbENKUlT_T0_E_clISt17integral_constantIbLb0EESZ_EEDaSU_SV_EUlSU_E_NS1_11comp_targetILNS1_3genE10ELNS1_11target_archE1200ELNS1_3gpuE4ELNS1_3repE0EEENS1_30default_config_static_selectorELNS0_4arch9wavefront6targetE0EEEvT1_,"axG",@progbits,_ZN7rocprim17ROCPRIM_400000_NS6detail17trampoline_kernelINS0_14default_configENS1_27scan_by_key_config_selectorIssEEZZNS1_16scan_by_key_implILNS1_25lookback_scan_determinismE0ELb0ES3_N6thrust23THRUST_200600_302600_NS6detail15normal_iteratorINS9_10device_ptrIsEEEESE_SE_sNS9_10multipliesIsEENS9_8equal_toIsEEsEE10hipError_tPvRmT2_T3_T4_T5_mT6_T7_P12ihipStream_tbENKUlT_T0_E_clISt17integral_constantIbLb0EESZ_EEDaSU_SV_EUlSU_E_NS1_11comp_targetILNS1_3genE10ELNS1_11target_archE1200ELNS1_3gpuE4ELNS1_3repE0EEENS1_30default_config_static_selectorELNS0_4arch9wavefront6targetE0EEEvT1_,comdat
	.protected	_ZN7rocprim17ROCPRIM_400000_NS6detail17trampoline_kernelINS0_14default_configENS1_27scan_by_key_config_selectorIssEEZZNS1_16scan_by_key_implILNS1_25lookback_scan_determinismE0ELb0ES3_N6thrust23THRUST_200600_302600_NS6detail15normal_iteratorINS9_10device_ptrIsEEEESE_SE_sNS9_10multipliesIsEENS9_8equal_toIsEEsEE10hipError_tPvRmT2_T3_T4_T5_mT6_T7_P12ihipStream_tbENKUlT_T0_E_clISt17integral_constantIbLb0EESZ_EEDaSU_SV_EUlSU_E_NS1_11comp_targetILNS1_3genE10ELNS1_11target_archE1200ELNS1_3gpuE4ELNS1_3repE0EEENS1_30default_config_static_selectorELNS0_4arch9wavefront6targetE0EEEvT1_ ; -- Begin function _ZN7rocprim17ROCPRIM_400000_NS6detail17trampoline_kernelINS0_14default_configENS1_27scan_by_key_config_selectorIssEEZZNS1_16scan_by_key_implILNS1_25lookback_scan_determinismE0ELb0ES3_N6thrust23THRUST_200600_302600_NS6detail15normal_iteratorINS9_10device_ptrIsEEEESE_SE_sNS9_10multipliesIsEENS9_8equal_toIsEEsEE10hipError_tPvRmT2_T3_T4_T5_mT6_T7_P12ihipStream_tbENKUlT_T0_E_clISt17integral_constantIbLb0EESZ_EEDaSU_SV_EUlSU_E_NS1_11comp_targetILNS1_3genE10ELNS1_11target_archE1200ELNS1_3gpuE4ELNS1_3repE0EEENS1_30default_config_static_selectorELNS0_4arch9wavefront6targetE0EEEvT1_
	.globl	_ZN7rocprim17ROCPRIM_400000_NS6detail17trampoline_kernelINS0_14default_configENS1_27scan_by_key_config_selectorIssEEZZNS1_16scan_by_key_implILNS1_25lookback_scan_determinismE0ELb0ES3_N6thrust23THRUST_200600_302600_NS6detail15normal_iteratorINS9_10device_ptrIsEEEESE_SE_sNS9_10multipliesIsEENS9_8equal_toIsEEsEE10hipError_tPvRmT2_T3_T4_T5_mT6_T7_P12ihipStream_tbENKUlT_T0_E_clISt17integral_constantIbLb0EESZ_EEDaSU_SV_EUlSU_E_NS1_11comp_targetILNS1_3genE10ELNS1_11target_archE1200ELNS1_3gpuE4ELNS1_3repE0EEENS1_30default_config_static_selectorELNS0_4arch9wavefront6targetE0EEEvT1_
	.p2align	8
	.type	_ZN7rocprim17ROCPRIM_400000_NS6detail17trampoline_kernelINS0_14default_configENS1_27scan_by_key_config_selectorIssEEZZNS1_16scan_by_key_implILNS1_25lookback_scan_determinismE0ELb0ES3_N6thrust23THRUST_200600_302600_NS6detail15normal_iteratorINS9_10device_ptrIsEEEESE_SE_sNS9_10multipliesIsEENS9_8equal_toIsEEsEE10hipError_tPvRmT2_T3_T4_T5_mT6_T7_P12ihipStream_tbENKUlT_T0_E_clISt17integral_constantIbLb0EESZ_EEDaSU_SV_EUlSU_E_NS1_11comp_targetILNS1_3genE10ELNS1_11target_archE1200ELNS1_3gpuE4ELNS1_3repE0EEENS1_30default_config_static_selectorELNS0_4arch9wavefront6targetE0EEEvT1_,@function
_ZN7rocprim17ROCPRIM_400000_NS6detail17trampoline_kernelINS0_14default_configENS1_27scan_by_key_config_selectorIssEEZZNS1_16scan_by_key_implILNS1_25lookback_scan_determinismE0ELb0ES3_N6thrust23THRUST_200600_302600_NS6detail15normal_iteratorINS9_10device_ptrIsEEEESE_SE_sNS9_10multipliesIsEENS9_8equal_toIsEEsEE10hipError_tPvRmT2_T3_T4_T5_mT6_T7_P12ihipStream_tbENKUlT_T0_E_clISt17integral_constantIbLb0EESZ_EEDaSU_SV_EUlSU_E_NS1_11comp_targetILNS1_3genE10ELNS1_11target_archE1200ELNS1_3gpuE4ELNS1_3repE0EEENS1_30default_config_static_selectorELNS0_4arch9wavefront6targetE0EEEvT1_: ; @_ZN7rocprim17ROCPRIM_400000_NS6detail17trampoline_kernelINS0_14default_configENS1_27scan_by_key_config_selectorIssEEZZNS1_16scan_by_key_implILNS1_25lookback_scan_determinismE0ELb0ES3_N6thrust23THRUST_200600_302600_NS6detail15normal_iteratorINS9_10device_ptrIsEEEESE_SE_sNS9_10multipliesIsEENS9_8equal_toIsEEsEE10hipError_tPvRmT2_T3_T4_T5_mT6_T7_P12ihipStream_tbENKUlT_T0_E_clISt17integral_constantIbLb0EESZ_EEDaSU_SV_EUlSU_E_NS1_11comp_targetILNS1_3genE10ELNS1_11target_archE1200ELNS1_3gpuE4ELNS1_3repE0EEENS1_30default_config_static_selectorELNS0_4arch9wavefront6targetE0EEEvT1_
; %bb.0:
	.section	.rodata,"a",@progbits
	.p2align	6, 0x0
	.amdhsa_kernel _ZN7rocprim17ROCPRIM_400000_NS6detail17trampoline_kernelINS0_14default_configENS1_27scan_by_key_config_selectorIssEEZZNS1_16scan_by_key_implILNS1_25lookback_scan_determinismE0ELb0ES3_N6thrust23THRUST_200600_302600_NS6detail15normal_iteratorINS9_10device_ptrIsEEEESE_SE_sNS9_10multipliesIsEENS9_8equal_toIsEEsEE10hipError_tPvRmT2_T3_T4_T5_mT6_T7_P12ihipStream_tbENKUlT_T0_E_clISt17integral_constantIbLb0EESZ_EEDaSU_SV_EUlSU_E_NS1_11comp_targetILNS1_3genE10ELNS1_11target_archE1200ELNS1_3gpuE4ELNS1_3repE0EEENS1_30default_config_static_selectorELNS0_4arch9wavefront6targetE0EEEvT1_
		.amdhsa_group_segment_fixed_size 0
		.amdhsa_private_segment_fixed_size 0
		.amdhsa_kernarg_size 112
		.amdhsa_user_sgpr_count 2
		.amdhsa_user_sgpr_dispatch_ptr 0
		.amdhsa_user_sgpr_queue_ptr 0
		.amdhsa_user_sgpr_kernarg_segment_ptr 1
		.amdhsa_user_sgpr_dispatch_id 0
		.amdhsa_user_sgpr_kernarg_preload_length 0
		.amdhsa_user_sgpr_kernarg_preload_offset 0
		.amdhsa_user_sgpr_private_segment_size 0
		.amdhsa_wavefront_size32 1
		.amdhsa_uses_dynamic_stack 0
		.amdhsa_enable_private_segment 0
		.amdhsa_system_sgpr_workgroup_id_x 1
		.amdhsa_system_sgpr_workgroup_id_y 0
		.amdhsa_system_sgpr_workgroup_id_z 0
		.amdhsa_system_sgpr_workgroup_info 0
		.amdhsa_system_vgpr_workitem_id 0
		.amdhsa_next_free_vgpr 1
		.amdhsa_next_free_sgpr 1
		.amdhsa_named_barrier_count 0
		.amdhsa_reserve_vcc 0
		.amdhsa_float_round_mode_32 0
		.amdhsa_float_round_mode_16_64 0
		.amdhsa_float_denorm_mode_32 3
		.amdhsa_float_denorm_mode_16_64 3
		.amdhsa_fp16_overflow 0
		.amdhsa_memory_ordered 1
		.amdhsa_forward_progress 1
		.amdhsa_inst_pref_size 0
		.amdhsa_round_robin_scheduling 0
		.amdhsa_exception_fp_ieee_invalid_op 0
		.amdhsa_exception_fp_denorm_src 0
		.amdhsa_exception_fp_ieee_div_zero 0
		.amdhsa_exception_fp_ieee_overflow 0
		.amdhsa_exception_fp_ieee_underflow 0
		.amdhsa_exception_fp_ieee_inexact 0
		.amdhsa_exception_int_div_zero 0
	.end_amdhsa_kernel
	.section	.text._ZN7rocprim17ROCPRIM_400000_NS6detail17trampoline_kernelINS0_14default_configENS1_27scan_by_key_config_selectorIssEEZZNS1_16scan_by_key_implILNS1_25lookback_scan_determinismE0ELb0ES3_N6thrust23THRUST_200600_302600_NS6detail15normal_iteratorINS9_10device_ptrIsEEEESE_SE_sNS9_10multipliesIsEENS9_8equal_toIsEEsEE10hipError_tPvRmT2_T3_T4_T5_mT6_T7_P12ihipStream_tbENKUlT_T0_E_clISt17integral_constantIbLb0EESZ_EEDaSU_SV_EUlSU_E_NS1_11comp_targetILNS1_3genE10ELNS1_11target_archE1200ELNS1_3gpuE4ELNS1_3repE0EEENS1_30default_config_static_selectorELNS0_4arch9wavefront6targetE0EEEvT1_,"axG",@progbits,_ZN7rocprim17ROCPRIM_400000_NS6detail17trampoline_kernelINS0_14default_configENS1_27scan_by_key_config_selectorIssEEZZNS1_16scan_by_key_implILNS1_25lookback_scan_determinismE0ELb0ES3_N6thrust23THRUST_200600_302600_NS6detail15normal_iteratorINS9_10device_ptrIsEEEESE_SE_sNS9_10multipliesIsEENS9_8equal_toIsEEsEE10hipError_tPvRmT2_T3_T4_T5_mT6_T7_P12ihipStream_tbENKUlT_T0_E_clISt17integral_constantIbLb0EESZ_EEDaSU_SV_EUlSU_E_NS1_11comp_targetILNS1_3genE10ELNS1_11target_archE1200ELNS1_3gpuE4ELNS1_3repE0EEENS1_30default_config_static_selectorELNS0_4arch9wavefront6targetE0EEEvT1_,comdat
.Lfunc_end287:
	.size	_ZN7rocprim17ROCPRIM_400000_NS6detail17trampoline_kernelINS0_14default_configENS1_27scan_by_key_config_selectorIssEEZZNS1_16scan_by_key_implILNS1_25lookback_scan_determinismE0ELb0ES3_N6thrust23THRUST_200600_302600_NS6detail15normal_iteratorINS9_10device_ptrIsEEEESE_SE_sNS9_10multipliesIsEENS9_8equal_toIsEEsEE10hipError_tPvRmT2_T3_T4_T5_mT6_T7_P12ihipStream_tbENKUlT_T0_E_clISt17integral_constantIbLb0EESZ_EEDaSU_SV_EUlSU_E_NS1_11comp_targetILNS1_3genE10ELNS1_11target_archE1200ELNS1_3gpuE4ELNS1_3repE0EEENS1_30default_config_static_selectorELNS0_4arch9wavefront6targetE0EEEvT1_, .Lfunc_end287-_ZN7rocprim17ROCPRIM_400000_NS6detail17trampoline_kernelINS0_14default_configENS1_27scan_by_key_config_selectorIssEEZZNS1_16scan_by_key_implILNS1_25lookback_scan_determinismE0ELb0ES3_N6thrust23THRUST_200600_302600_NS6detail15normal_iteratorINS9_10device_ptrIsEEEESE_SE_sNS9_10multipliesIsEENS9_8equal_toIsEEsEE10hipError_tPvRmT2_T3_T4_T5_mT6_T7_P12ihipStream_tbENKUlT_T0_E_clISt17integral_constantIbLb0EESZ_EEDaSU_SV_EUlSU_E_NS1_11comp_targetILNS1_3genE10ELNS1_11target_archE1200ELNS1_3gpuE4ELNS1_3repE0EEENS1_30default_config_static_selectorELNS0_4arch9wavefront6targetE0EEEvT1_
                                        ; -- End function
	.set _ZN7rocprim17ROCPRIM_400000_NS6detail17trampoline_kernelINS0_14default_configENS1_27scan_by_key_config_selectorIssEEZZNS1_16scan_by_key_implILNS1_25lookback_scan_determinismE0ELb0ES3_N6thrust23THRUST_200600_302600_NS6detail15normal_iteratorINS9_10device_ptrIsEEEESE_SE_sNS9_10multipliesIsEENS9_8equal_toIsEEsEE10hipError_tPvRmT2_T3_T4_T5_mT6_T7_P12ihipStream_tbENKUlT_T0_E_clISt17integral_constantIbLb0EESZ_EEDaSU_SV_EUlSU_E_NS1_11comp_targetILNS1_3genE10ELNS1_11target_archE1200ELNS1_3gpuE4ELNS1_3repE0EEENS1_30default_config_static_selectorELNS0_4arch9wavefront6targetE0EEEvT1_.num_vgpr, 0
	.set _ZN7rocprim17ROCPRIM_400000_NS6detail17trampoline_kernelINS0_14default_configENS1_27scan_by_key_config_selectorIssEEZZNS1_16scan_by_key_implILNS1_25lookback_scan_determinismE0ELb0ES3_N6thrust23THRUST_200600_302600_NS6detail15normal_iteratorINS9_10device_ptrIsEEEESE_SE_sNS9_10multipliesIsEENS9_8equal_toIsEEsEE10hipError_tPvRmT2_T3_T4_T5_mT6_T7_P12ihipStream_tbENKUlT_T0_E_clISt17integral_constantIbLb0EESZ_EEDaSU_SV_EUlSU_E_NS1_11comp_targetILNS1_3genE10ELNS1_11target_archE1200ELNS1_3gpuE4ELNS1_3repE0EEENS1_30default_config_static_selectorELNS0_4arch9wavefront6targetE0EEEvT1_.num_agpr, 0
	.set _ZN7rocprim17ROCPRIM_400000_NS6detail17trampoline_kernelINS0_14default_configENS1_27scan_by_key_config_selectorIssEEZZNS1_16scan_by_key_implILNS1_25lookback_scan_determinismE0ELb0ES3_N6thrust23THRUST_200600_302600_NS6detail15normal_iteratorINS9_10device_ptrIsEEEESE_SE_sNS9_10multipliesIsEENS9_8equal_toIsEEsEE10hipError_tPvRmT2_T3_T4_T5_mT6_T7_P12ihipStream_tbENKUlT_T0_E_clISt17integral_constantIbLb0EESZ_EEDaSU_SV_EUlSU_E_NS1_11comp_targetILNS1_3genE10ELNS1_11target_archE1200ELNS1_3gpuE4ELNS1_3repE0EEENS1_30default_config_static_selectorELNS0_4arch9wavefront6targetE0EEEvT1_.numbered_sgpr, 0
	.set _ZN7rocprim17ROCPRIM_400000_NS6detail17trampoline_kernelINS0_14default_configENS1_27scan_by_key_config_selectorIssEEZZNS1_16scan_by_key_implILNS1_25lookback_scan_determinismE0ELb0ES3_N6thrust23THRUST_200600_302600_NS6detail15normal_iteratorINS9_10device_ptrIsEEEESE_SE_sNS9_10multipliesIsEENS9_8equal_toIsEEsEE10hipError_tPvRmT2_T3_T4_T5_mT6_T7_P12ihipStream_tbENKUlT_T0_E_clISt17integral_constantIbLb0EESZ_EEDaSU_SV_EUlSU_E_NS1_11comp_targetILNS1_3genE10ELNS1_11target_archE1200ELNS1_3gpuE4ELNS1_3repE0EEENS1_30default_config_static_selectorELNS0_4arch9wavefront6targetE0EEEvT1_.num_named_barrier, 0
	.set _ZN7rocprim17ROCPRIM_400000_NS6detail17trampoline_kernelINS0_14default_configENS1_27scan_by_key_config_selectorIssEEZZNS1_16scan_by_key_implILNS1_25lookback_scan_determinismE0ELb0ES3_N6thrust23THRUST_200600_302600_NS6detail15normal_iteratorINS9_10device_ptrIsEEEESE_SE_sNS9_10multipliesIsEENS9_8equal_toIsEEsEE10hipError_tPvRmT2_T3_T4_T5_mT6_T7_P12ihipStream_tbENKUlT_T0_E_clISt17integral_constantIbLb0EESZ_EEDaSU_SV_EUlSU_E_NS1_11comp_targetILNS1_3genE10ELNS1_11target_archE1200ELNS1_3gpuE4ELNS1_3repE0EEENS1_30default_config_static_selectorELNS0_4arch9wavefront6targetE0EEEvT1_.private_seg_size, 0
	.set _ZN7rocprim17ROCPRIM_400000_NS6detail17trampoline_kernelINS0_14default_configENS1_27scan_by_key_config_selectorIssEEZZNS1_16scan_by_key_implILNS1_25lookback_scan_determinismE0ELb0ES3_N6thrust23THRUST_200600_302600_NS6detail15normal_iteratorINS9_10device_ptrIsEEEESE_SE_sNS9_10multipliesIsEENS9_8equal_toIsEEsEE10hipError_tPvRmT2_T3_T4_T5_mT6_T7_P12ihipStream_tbENKUlT_T0_E_clISt17integral_constantIbLb0EESZ_EEDaSU_SV_EUlSU_E_NS1_11comp_targetILNS1_3genE10ELNS1_11target_archE1200ELNS1_3gpuE4ELNS1_3repE0EEENS1_30default_config_static_selectorELNS0_4arch9wavefront6targetE0EEEvT1_.uses_vcc, 0
	.set _ZN7rocprim17ROCPRIM_400000_NS6detail17trampoline_kernelINS0_14default_configENS1_27scan_by_key_config_selectorIssEEZZNS1_16scan_by_key_implILNS1_25lookback_scan_determinismE0ELb0ES3_N6thrust23THRUST_200600_302600_NS6detail15normal_iteratorINS9_10device_ptrIsEEEESE_SE_sNS9_10multipliesIsEENS9_8equal_toIsEEsEE10hipError_tPvRmT2_T3_T4_T5_mT6_T7_P12ihipStream_tbENKUlT_T0_E_clISt17integral_constantIbLb0EESZ_EEDaSU_SV_EUlSU_E_NS1_11comp_targetILNS1_3genE10ELNS1_11target_archE1200ELNS1_3gpuE4ELNS1_3repE0EEENS1_30default_config_static_selectorELNS0_4arch9wavefront6targetE0EEEvT1_.uses_flat_scratch, 0
	.set _ZN7rocprim17ROCPRIM_400000_NS6detail17trampoline_kernelINS0_14default_configENS1_27scan_by_key_config_selectorIssEEZZNS1_16scan_by_key_implILNS1_25lookback_scan_determinismE0ELb0ES3_N6thrust23THRUST_200600_302600_NS6detail15normal_iteratorINS9_10device_ptrIsEEEESE_SE_sNS9_10multipliesIsEENS9_8equal_toIsEEsEE10hipError_tPvRmT2_T3_T4_T5_mT6_T7_P12ihipStream_tbENKUlT_T0_E_clISt17integral_constantIbLb0EESZ_EEDaSU_SV_EUlSU_E_NS1_11comp_targetILNS1_3genE10ELNS1_11target_archE1200ELNS1_3gpuE4ELNS1_3repE0EEENS1_30default_config_static_selectorELNS0_4arch9wavefront6targetE0EEEvT1_.has_dyn_sized_stack, 0
	.set _ZN7rocprim17ROCPRIM_400000_NS6detail17trampoline_kernelINS0_14default_configENS1_27scan_by_key_config_selectorIssEEZZNS1_16scan_by_key_implILNS1_25lookback_scan_determinismE0ELb0ES3_N6thrust23THRUST_200600_302600_NS6detail15normal_iteratorINS9_10device_ptrIsEEEESE_SE_sNS9_10multipliesIsEENS9_8equal_toIsEEsEE10hipError_tPvRmT2_T3_T4_T5_mT6_T7_P12ihipStream_tbENKUlT_T0_E_clISt17integral_constantIbLb0EESZ_EEDaSU_SV_EUlSU_E_NS1_11comp_targetILNS1_3genE10ELNS1_11target_archE1200ELNS1_3gpuE4ELNS1_3repE0EEENS1_30default_config_static_selectorELNS0_4arch9wavefront6targetE0EEEvT1_.has_recursion, 0
	.set _ZN7rocprim17ROCPRIM_400000_NS6detail17trampoline_kernelINS0_14default_configENS1_27scan_by_key_config_selectorIssEEZZNS1_16scan_by_key_implILNS1_25lookback_scan_determinismE0ELb0ES3_N6thrust23THRUST_200600_302600_NS6detail15normal_iteratorINS9_10device_ptrIsEEEESE_SE_sNS9_10multipliesIsEENS9_8equal_toIsEEsEE10hipError_tPvRmT2_T3_T4_T5_mT6_T7_P12ihipStream_tbENKUlT_T0_E_clISt17integral_constantIbLb0EESZ_EEDaSU_SV_EUlSU_E_NS1_11comp_targetILNS1_3genE10ELNS1_11target_archE1200ELNS1_3gpuE4ELNS1_3repE0EEENS1_30default_config_static_selectorELNS0_4arch9wavefront6targetE0EEEvT1_.has_indirect_call, 0
	.section	.AMDGPU.csdata,"",@progbits
; Kernel info:
; codeLenInByte = 0
; TotalNumSgprs: 0
; NumVgprs: 0
; ScratchSize: 0
; MemoryBound: 0
; FloatMode: 240
; IeeeMode: 1
; LDSByteSize: 0 bytes/workgroup (compile time only)
; SGPRBlocks: 0
; VGPRBlocks: 0
; NumSGPRsForWavesPerEU: 1
; NumVGPRsForWavesPerEU: 1
; NamedBarCnt: 0
; Occupancy: 16
; WaveLimiterHint : 0
; COMPUTE_PGM_RSRC2:SCRATCH_EN: 0
; COMPUTE_PGM_RSRC2:USER_SGPR: 2
; COMPUTE_PGM_RSRC2:TRAP_HANDLER: 0
; COMPUTE_PGM_RSRC2:TGID_X_EN: 1
; COMPUTE_PGM_RSRC2:TGID_Y_EN: 0
; COMPUTE_PGM_RSRC2:TGID_Z_EN: 0
; COMPUTE_PGM_RSRC2:TIDIG_COMP_CNT: 0
	.section	.text._ZN7rocprim17ROCPRIM_400000_NS6detail17trampoline_kernelINS0_14default_configENS1_27scan_by_key_config_selectorIssEEZZNS1_16scan_by_key_implILNS1_25lookback_scan_determinismE0ELb0ES3_N6thrust23THRUST_200600_302600_NS6detail15normal_iteratorINS9_10device_ptrIsEEEESE_SE_sNS9_10multipliesIsEENS9_8equal_toIsEEsEE10hipError_tPvRmT2_T3_T4_T5_mT6_T7_P12ihipStream_tbENKUlT_T0_E_clISt17integral_constantIbLb0EESZ_EEDaSU_SV_EUlSU_E_NS1_11comp_targetILNS1_3genE9ELNS1_11target_archE1100ELNS1_3gpuE3ELNS1_3repE0EEENS1_30default_config_static_selectorELNS0_4arch9wavefront6targetE0EEEvT1_,"axG",@progbits,_ZN7rocprim17ROCPRIM_400000_NS6detail17trampoline_kernelINS0_14default_configENS1_27scan_by_key_config_selectorIssEEZZNS1_16scan_by_key_implILNS1_25lookback_scan_determinismE0ELb0ES3_N6thrust23THRUST_200600_302600_NS6detail15normal_iteratorINS9_10device_ptrIsEEEESE_SE_sNS9_10multipliesIsEENS9_8equal_toIsEEsEE10hipError_tPvRmT2_T3_T4_T5_mT6_T7_P12ihipStream_tbENKUlT_T0_E_clISt17integral_constantIbLb0EESZ_EEDaSU_SV_EUlSU_E_NS1_11comp_targetILNS1_3genE9ELNS1_11target_archE1100ELNS1_3gpuE3ELNS1_3repE0EEENS1_30default_config_static_selectorELNS0_4arch9wavefront6targetE0EEEvT1_,comdat
	.protected	_ZN7rocprim17ROCPRIM_400000_NS6detail17trampoline_kernelINS0_14default_configENS1_27scan_by_key_config_selectorIssEEZZNS1_16scan_by_key_implILNS1_25lookback_scan_determinismE0ELb0ES3_N6thrust23THRUST_200600_302600_NS6detail15normal_iteratorINS9_10device_ptrIsEEEESE_SE_sNS9_10multipliesIsEENS9_8equal_toIsEEsEE10hipError_tPvRmT2_T3_T4_T5_mT6_T7_P12ihipStream_tbENKUlT_T0_E_clISt17integral_constantIbLb0EESZ_EEDaSU_SV_EUlSU_E_NS1_11comp_targetILNS1_3genE9ELNS1_11target_archE1100ELNS1_3gpuE3ELNS1_3repE0EEENS1_30default_config_static_selectorELNS0_4arch9wavefront6targetE0EEEvT1_ ; -- Begin function _ZN7rocprim17ROCPRIM_400000_NS6detail17trampoline_kernelINS0_14default_configENS1_27scan_by_key_config_selectorIssEEZZNS1_16scan_by_key_implILNS1_25lookback_scan_determinismE0ELb0ES3_N6thrust23THRUST_200600_302600_NS6detail15normal_iteratorINS9_10device_ptrIsEEEESE_SE_sNS9_10multipliesIsEENS9_8equal_toIsEEsEE10hipError_tPvRmT2_T3_T4_T5_mT6_T7_P12ihipStream_tbENKUlT_T0_E_clISt17integral_constantIbLb0EESZ_EEDaSU_SV_EUlSU_E_NS1_11comp_targetILNS1_3genE9ELNS1_11target_archE1100ELNS1_3gpuE3ELNS1_3repE0EEENS1_30default_config_static_selectorELNS0_4arch9wavefront6targetE0EEEvT1_
	.globl	_ZN7rocprim17ROCPRIM_400000_NS6detail17trampoline_kernelINS0_14default_configENS1_27scan_by_key_config_selectorIssEEZZNS1_16scan_by_key_implILNS1_25lookback_scan_determinismE0ELb0ES3_N6thrust23THRUST_200600_302600_NS6detail15normal_iteratorINS9_10device_ptrIsEEEESE_SE_sNS9_10multipliesIsEENS9_8equal_toIsEEsEE10hipError_tPvRmT2_T3_T4_T5_mT6_T7_P12ihipStream_tbENKUlT_T0_E_clISt17integral_constantIbLb0EESZ_EEDaSU_SV_EUlSU_E_NS1_11comp_targetILNS1_3genE9ELNS1_11target_archE1100ELNS1_3gpuE3ELNS1_3repE0EEENS1_30default_config_static_selectorELNS0_4arch9wavefront6targetE0EEEvT1_
	.p2align	8
	.type	_ZN7rocprim17ROCPRIM_400000_NS6detail17trampoline_kernelINS0_14default_configENS1_27scan_by_key_config_selectorIssEEZZNS1_16scan_by_key_implILNS1_25lookback_scan_determinismE0ELb0ES3_N6thrust23THRUST_200600_302600_NS6detail15normal_iteratorINS9_10device_ptrIsEEEESE_SE_sNS9_10multipliesIsEENS9_8equal_toIsEEsEE10hipError_tPvRmT2_T3_T4_T5_mT6_T7_P12ihipStream_tbENKUlT_T0_E_clISt17integral_constantIbLb0EESZ_EEDaSU_SV_EUlSU_E_NS1_11comp_targetILNS1_3genE9ELNS1_11target_archE1100ELNS1_3gpuE3ELNS1_3repE0EEENS1_30default_config_static_selectorELNS0_4arch9wavefront6targetE0EEEvT1_,@function
_ZN7rocprim17ROCPRIM_400000_NS6detail17trampoline_kernelINS0_14default_configENS1_27scan_by_key_config_selectorIssEEZZNS1_16scan_by_key_implILNS1_25lookback_scan_determinismE0ELb0ES3_N6thrust23THRUST_200600_302600_NS6detail15normal_iteratorINS9_10device_ptrIsEEEESE_SE_sNS9_10multipliesIsEENS9_8equal_toIsEEsEE10hipError_tPvRmT2_T3_T4_T5_mT6_T7_P12ihipStream_tbENKUlT_T0_E_clISt17integral_constantIbLb0EESZ_EEDaSU_SV_EUlSU_E_NS1_11comp_targetILNS1_3genE9ELNS1_11target_archE1100ELNS1_3gpuE3ELNS1_3repE0EEENS1_30default_config_static_selectorELNS0_4arch9wavefront6targetE0EEEvT1_: ; @_ZN7rocprim17ROCPRIM_400000_NS6detail17trampoline_kernelINS0_14default_configENS1_27scan_by_key_config_selectorIssEEZZNS1_16scan_by_key_implILNS1_25lookback_scan_determinismE0ELb0ES3_N6thrust23THRUST_200600_302600_NS6detail15normal_iteratorINS9_10device_ptrIsEEEESE_SE_sNS9_10multipliesIsEENS9_8equal_toIsEEsEE10hipError_tPvRmT2_T3_T4_T5_mT6_T7_P12ihipStream_tbENKUlT_T0_E_clISt17integral_constantIbLb0EESZ_EEDaSU_SV_EUlSU_E_NS1_11comp_targetILNS1_3genE9ELNS1_11target_archE1100ELNS1_3gpuE3ELNS1_3repE0EEENS1_30default_config_static_selectorELNS0_4arch9wavefront6targetE0EEEvT1_
; %bb.0:
	.section	.rodata,"a",@progbits
	.p2align	6, 0x0
	.amdhsa_kernel _ZN7rocprim17ROCPRIM_400000_NS6detail17trampoline_kernelINS0_14default_configENS1_27scan_by_key_config_selectorIssEEZZNS1_16scan_by_key_implILNS1_25lookback_scan_determinismE0ELb0ES3_N6thrust23THRUST_200600_302600_NS6detail15normal_iteratorINS9_10device_ptrIsEEEESE_SE_sNS9_10multipliesIsEENS9_8equal_toIsEEsEE10hipError_tPvRmT2_T3_T4_T5_mT6_T7_P12ihipStream_tbENKUlT_T0_E_clISt17integral_constantIbLb0EESZ_EEDaSU_SV_EUlSU_E_NS1_11comp_targetILNS1_3genE9ELNS1_11target_archE1100ELNS1_3gpuE3ELNS1_3repE0EEENS1_30default_config_static_selectorELNS0_4arch9wavefront6targetE0EEEvT1_
		.amdhsa_group_segment_fixed_size 0
		.amdhsa_private_segment_fixed_size 0
		.amdhsa_kernarg_size 112
		.amdhsa_user_sgpr_count 2
		.amdhsa_user_sgpr_dispatch_ptr 0
		.amdhsa_user_sgpr_queue_ptr 0
		.amdhsa_user_sgpr_kernarg_segment_ptr 1
		.amdhsa_user_sgpr_dispatch_id 0
		.amdhsa_user_sgpr_kernarg_preload_length 0
		.amdhsa_user_sgpr_kernarg_preload_offset 0
		.amdhsa_user_sgpr_private_segment_size 0
		.amdhsa_wavefront_size32 1
		.amdhsa_uses_dynamic_stack 0
		.amdhsa_enable_private_segment 0
		.amdhsa_system_sgpr_workgroup_id_x 1
		.amdhsa_system_sgpr_workgroup_id_y 0
		.amdhsa_system_sgpr_workgroup_id_z 0
		.amdhsa_system_sgpr_workgroup_info 0
		.amdhsa_system_vgpr_workitem_id 0
		.amdhsa_next_free_vgpr 1
		.amdhsa_next_free_sgpr 1
		.amdhsa_named_barrier_count 0
		.amdhsa_reserve_vcc 0
		.amdhsa_float_round_mode_32 0
		.amdhsa_float_round_mode_16_64 0
		.amdhsa_float_denorm_mode_32 3
		.amdhsa_float_denorm_mode_16_64 3
		.amdhsa_fp16_overflow 0
		.amdhsa_memory_ordered 1
		.amdhsa_forward_progress 1
		.amdhsa_inst_pref_size 0
		.amdhsa_round_robin_scheduling 0
		.amdhsa_exception_fp_ieee_invalid_op 0
		.amdhsa_exception_fp_denorm_src 0
		.amdhsa_exception_fp_ieee_div_zero 0
		.amdhsa_exception_fp_ieee_overflow 0
		.amdhsa_exception_fp_ieee_underflow 0
		.amdhsa_exception_fp_ieee_inexact 0
		.amdhsa_exception_int_div_zero 0
	.end_amdhsa_kernel
	.section	.text._ZN7rocprim17ROCPRIM_400000_NS6detail17trampoline_kernelINS0_14default_configENS1_27scan_by_key_config_selectorIssEEZZNS1_16scan_by_key_implILNS1_25lookback_scan_determinismE0ELb0ES3_N6thrust23THRUST_200600_302600_NS6detail15normal_iteratorINS9_10device_ptrIsEEEESE_SE_sNS9_10multipliesIsEENS9_8equal_toIsEEsEE10hipError_tPvRmT2_T3_T4_T5_mT6_T7_P12ihipStream_tbENKUlT_T0_E_clISt17integral_constantIbLb0EESZ_EEDaSU_SV_EUlSU_E_NS1_11comp_targetILNS1_3genE9ELNS1_11target_archE1100ELNS1_3gpuE3ELNS1_3repE0EEENS1_30default_config_static_selectorELNS0_4arch9wavefront6targetE0EEEvT1_,"axG",@progbits,_ZN7rocprim17ROCPRIM_400000_NS6detail17trampoline_kernelINS0_14default_configENS1_27scan_by_key_config_selectorIssEEZZNS1_16scan_by_key_implILNS1_25lookback_scan_determinismE0ELb0ES3_N6thrust23THRUST_200600_302600_NS6detail15normal_iteratorINS9_10device_ptrIsEEEESE_SE_sNS9_10multipliesIsEENS9_8equal_toIsEEsEE10hipError_tPvRmT2_T3_T4_T5_mT6_T7_P12ihipStream_tbENKUlT_T0_E_clISt17integral_constantIbLb0EESZ_EEDaSU_SV_EUlSU_E_NS1_11comp_targetILNS1_3genE9ELNS1_11target_archE1100ELNS1_3gpuE3ELNS1_3repE0EEENS1_30default_config_static_selectorELNS0_4arch9wavefront6targetE0EEEvT1_,comdat
.Lfunc_end288:
	.size	_ZN7rocprim17ROCPRIM_400000_NS6detail17trampoline_kernelINS0_14default_configENS1_27scan_by_key_config_selectorIssEEZZNS1_16scan_by_key_implILNS1_25lookback_scan_determinismE0ELb0ES3_N6thrust23THRUST_200600_302600_NS6detail15normal_iteratorINS9_10device_ptrIsEEEESE_SE_sNS9_10multipliesIsEENS9_8equal_toIsEEsEE10hipError_tPvRmT2_T3_T4_T5_mT6_T7_P12ihipStream_tbENKUlT_T0_E_clISt17integral_constantIbLb0EESZ_EEDaSU_SV_EUlSU_E_NS1_11comp_targetILNS1_3genE9ELNS1_11target_archE1100ELNS1_3gpuE3ELNS1_3repE0EEENS1_30default_config_static_selectorELNS0_4arch9wavefront6targetE0EEEvT1_, .Lfunc_end288-_ZN7rocprim17ROCPRIM_400000_NS6detail17trampoline_kernelINS0_14default_configENS1_27scan_by_key_config_selectorIssEEZZNS1_16scan_by_key_implILNS1_25lookback_scan_determinismE0ELb0ES3_N6thrust23THRUST_200600_302600_NS6detail15normal_iteratorINS9_10device_ptrIsEEEESE_SE_sNS9_10multipliesIsEENS9_8equal_toIsEEsEE10hipError_tPvRmT2_T3_T4_T5_mT6_T7_P12ihipStream_tbENKUlT_T0_E_clISt17integral_constantIbLb0EESZ_EEDaSU_SV_EUlSU_E_NS1_11comp_targetILNS1_3genE9ELNS1_11target_archE1100ELNS1_3gpuE3ELNS1_3repE0EEENS1_30default_config_static_selectorELNS0_4arch9wavefront6targetE0EEEvT1_
                                        ; -- End function
	.set _ZN7rocprim17ROCPRIM_400000_NS6detail17trampoline_kernelINS0_14default_configENS1_27scan_by_key_config_selectorIssEEZZNS1_16scan_by_key_implILNS1_25lookback_scan_determinismE0ELb0ES3_N6thrust23THRUST_200600_302600_NS6detail15normal_iteratorINS9_10device_ptrIsEEEESE_SE_sNS9_10multipliesIsEENS9_8equal_toIsEEsEE10hipError_tPvRmT2_T3_T4_T5_mT6_T7_P12ihipStream_tbENKUlT_T0_E_clISt17integral_constantIbLb0EESZ_EEDaSU_SV_EUlSU_E_NS1_11comp_targetILNS1_3genE9ELNS1_11target_archE1100ELNS1_3gpuE3ELNS1_3repE0EEENS1_30default_config_static_selectorELNS0_4arch9wavefront6targetE0EEEvT1_.num_vgpr, 0
	.set _ZN7rocprim17ROCPRIM_400000_NS6detail17trampoline_kernelINS0_14default_configENS1_27scan_by_key_config_selectorIssEEZZNS1_16scan_by_key_implILNS1_25lookback_scan_determinismE0ELb0ES3_N6thrust23THRUST_200600_302600_NS6detail15normal_iteratorINS9_10device_ptrIsEEEESE_SE_sNS9_10multipliesIsEENS9_8equal_toIsEEsEE10hipError_tPvRmT2_T3_T4_T5_mT6_T7_P12ihipStream_tbENKUlT_T0_E_clISt17integral_constantIbLb0EESZ_EEDaSU_SV_EUlSU_E_NS1_11comp_targetILNS1_3genE9ELNS1_11target_archE1100ELNS1_3gpuE3ELNS1_3repE0EEENS1_30default_config_static_selectorELNS0_4arch9wavefront6targetE0EEEvT1_.num_agpr, 0
	.set _ZN7rocprim17ROCPRIM_400000_NS6detail17trampoline_kernelINS0_14default_configENS1_27scan_by_key_config_selectorIssEEZZNS1_16scan_by_key_implILNS1_25lookback_scan_determinismE0ELb0ES3_N6thrust23THRUST_200600_302600_NS6detail15normal_iteratorINS9_10device_ptrIsEEEESE_SE_sNS9_10multipliesIsEENS9_8equal_toIsEEsEE10hipError_tPvRmT2_T3_T4_T5_mT6_T7_P12ihipStream_tbENKUlT_T0_E_clISt17integral_constantIbLb0EESZ_EEDaSU_SV_EUlSU_E_NS1_11comp_targetILNS1_3genE9ELNS1_11target_archE1100ELNS1_3gpuE3ELNS1_3repE0EEENS1_30default_config_static_selectorELNS0_4arch9wavefront6targetE0EEEvT1_.numbered_sgpr, 0
	.set _ZN7rocprim17ROCPRIM_400000_NS6detail17trampoline_kernelINS0_14default_configENS1_27scan_by_key_config_selectorIssEEZZNS1_16scan_by_key_implILNS1_25lookback_scan_determinismE0ELb0ES3_N6thrust23THRUST_200600_302600_NS6detail15normal_iteratorINS9_10device_ptrIsEEEESE_SE_sNS9_10multipliesIsEENS9_8equal_toIsEEsEE10hipError_tPvRmT2_T3_T4_T5_mT6_T7_P12ihipStream_tbENKUlT_T0_E_clISt17integral_constantIbLb0EESZ_EEDaSU_SV_EUlSU_E_NS1_11comp_targetILNS1_3genE9ELNS1_11target_archE1100ELNS1_3gpuE3ELNS1_3repE0EEENS1_30default_config_static_selectorELNS0_4arch9wavefront6targetE0EEEvT1_.num_named_barrier, 0
	.set _ZN7rocprim17ROCPRIM_400000_NS6detail17trampoline_kernelINS0_14default_configENS1_27scan_by_key_config_selectorIssEEZZNS1_16scan_by_key_implILNS1_25lookback_scan_determinismE0ELb0ES3_N6thrust23THRUST_200600_302600_NS6detail15normal_iteratorINS9_10device_ptrIsEEEESE_SE_sNS9_10multipliesIsEENS9_8equal_toIsEEsEE10hipError_tPvRmT2_T3_T4_T5_mT6_T7_P12ihipStream_tbENKUlT_T0_E_clISt17integral_constantIbLb0EESZ_EEDaSU_SV_EUlSU_E_NS1_11comp_targetILNS1_3genE9ELNS1_11target_archE1100ELNS1_3gpuE3ELNS1_3repE0EEENS1_30default_config_static_selectorELNS0_4arch9wavefront6targetE0EEEvT1_.private_seg_size, 0
	.set _ZN7rocprim17ROCPRIM_400000_NS6detail17trampoline_kernelINS0_14default_configENS1_27scan_by_key_config_selectorIssEEZZNS1_16scan_by_key_implILNS1_25lookback_scan_determinismE0ELb0ES3_N6thrust23THRUST_200600_302600_NS6detail15normal_iteratorINS9_10device_ptrIsEEEESE_SE_sNS9_10multipliesIsEENS9_8equal_toIsEEsEE10hipError_tPvRmT2_T3_T4_T5_mT6_T7_P12ihipStream_tbENKUlT_T0_E_clISt17integral_constantIbLb0EESZ_EEDaSU_SV_EUlSU_E_NS1_11comp_targetILNS1_3genE9ELNS1_11target_archE1100ELNS1_3gpuE3ELNS1_3repE0EEENS1_30default_config_static_selectorELNS0_4arch9wavefront6targetE0EEEvT1_.uses_vcc, 0
	.set _ZN7rocprim17ROCPRIM_400000_NS6detail17trampoline_kernelINS0_14default_configENS1_27scan_by_key_config_selectorIssEEZZNS1_16scan_by_key_implILNS1_25lookback_scan_determinismE0ELb0ES3_N6thrust23THRUST_200600_302600_NS6detail15normal_iteratorINS9_10device_ptrIsEEEESE_SE_sNS9_10multipliesIsEENS9_8equal_toIsEEsEE10hipError_tPvRmT2_T3_T4_T5_mT6_T7_P12ihipStream_tbENKUlT_T0_E_clISt17integral_constantIbLb0EESZ_EEDaSU_SV_EUlSU_E_NS1_11comp_targetILNS1_3genE9ELNS1_11target_archE1100ELNS1_3gpuE3ELNS1_3repE0EEENS1_30default_config_static_selectorELNS0_4arch9wavefront6targetE0EEEvT1_.uses_flat_scratch, 0
	.set _ZN7rocprim17ROCPRIM_400000_NS6detail17trampoline_kernelINS0_14default_configENS1_27scan_by_key_config_selectorIssEEZZNS1_16scan_by_key_implILNS1_25lookback_scan_determinismE0ELb0ES3_N6thrust23THRUST_200600_302600_NS6detail15normal_iteratorINS9_10device_ptrIsEEEESE_SE_sNS9_10multipliesIsEENS9_8equal_toIsEEsEE10hipError_tPvRmT2_T3_T4_T5_mT6_T7_P12ihipStream_tbENKUlT_T0_E_clISt17integral_constantIbLb0EESZ_EEDaSU_SV_EUlSU_E_NS1_11comp_targetILNS1_3genE9ELNS1_11target_archE1100ELNS1_3gpuE3ELNS1_3repE0EEENS1_30default_config_static_selectorELNS0_4arch9wavefront6targetE0EEEvT1_.has_dyn_sized_stack, 0
	.set _ZN7rocprim17ROCPRIM_400000_NS6detail17trampoline_kernelINS0_14default_configENS1_27scan_by_key_config_selectorIssEEZZNS1_16scan_by_key_implILNS1_25lookback_scan_determinismE0ELb0ES3_N6thrust23THRUST_200600_302600_NS6detail15normal_iteratorINS9_10device_ptrIsEEEESE_SE_sNS9_10multipliesIsEENS9_8equal_toIsEEsEE10hipError_tPvRmT2_T3_T4_T5_mT6_T7_P12ihipStream_tbENKUlT_T0_E_clISt17integral_constantIbLb0EESZ_EEDaSU_SV_EUlSU_E_NS1_11comp_targetILNS1_3genE9ELNS1_11target_archE1100ELNS1_3gpuE3ELNS1_3repE0EEENS1_30default_config_static_selectorELNS0_4arch9wavefront6targetE0EEEvT1_.has_recursion, 0
	.set _ZN7rocprim17ROCPRIM_400000_NS6detail17trampoline_kernelINS0_14default_configENS1_27scan_by_key_config_selectorIssEEZZNS1_16scan_by_key_implILNS1_25lookback_scan_determinismE0ELb0ES3_N6thrust23THRUST_200600_302600_NS6detail15normal_iteratorINS9_10device_ptrIsEEEESE_SE_sNS9_10multipliesIsEENS9_8equal_toIsEEsEE10hipError_tPvRmT2_T3_T4_T5_mT6_T7_P12ihipStream_tbENKUlT_T0_E_clISt17integral_constantIbLb0EESZ_EEDaSU_SV_EUlSU_E_NS1_11comp_targetILNS1_3genE9ELNS1_11target_archE1100ELNS1_3gpuE3ELNS1_3repE0EEENS1_30default_config_static_selectorELNS0_4arch9wavefront6targetE0EEEvT1_.has_indirect_call, 0
	.section	.AMDGPU.csdata,"",@progbits
; Kernel info:
; codeLenInByte = 0
; TotalNumSgprs: 0
; NumVgprs: 0
; ScratchSize: 0
; MemoryBound: 0
; FloatMode: 240
; IeeeMode: 1
; LDSByteSize: 0 bytes/workgroup (compile time only)
; SGPRBlocks: 0
; VGPRBlocks: 0
; NumSGPRsForWavesPerEU: 1
; NumVGPRsForWavesPerEU: 1
; NamedBarCnt: 0
; Occupancy: 16
; WaveLimiterHint : 0
; COMPUTE_PGM_RSRC2:SCRATCH_EN: 0
; COMPUTE_PGM_RSRC2:USER_SGPR: 2
; COMPUTE_PGM_RSRC2:TRAP_HANDLER: 0
; COMPUTE_PGM_RSRC2:TGID_X_EN: 1
; COMPUTE_PGM_RSRC2:TGID_Y_EN: 0
; COMPUTE_PGM_RSRC2:TGID_Z_EN: 0
; COMPUTE_PGM_RSRC2:TIDIG_COMP_CNT: 0
	.section	.text._ZN7rocprim17ROCPRIM_400000_NS6detail17trampoline_kernelINS0_14default_configENS1_27scan_by_key_config_selectorIssEEZZNS1_16scan_by_key_implILNS1_25lookback_scan_determinismE0ELb0ES3_N6thrust23THRUST_200600_302600_NS6detail15normal_iteratorINS9_10device_ptrIsEEEESE_SE_sNS9_10multipliesIsEENS9_8equal_toIsEEsEE10hipError_tPvRmT2_T3_T4_T5_mT6_T7_P12ihipStream_tbENKUlT_T0_E_clISt17integral_constantIbLb0EESZ_EEDaSU_SV_EUlSU_E_NS1_11comp_targetILNS1_3genE8ELNS1_11target_archE1030ELNS1_3gpuE2ELNS1_3repE0EEENS1_30default_config_static_selectorELNS0_4arch9wavefront6targetE0EEEvT1_,"axG",@progbits,_ZN7rocprim17ROCPRIM_400000_NS6detail17trampoline_kernelINS0_14default_configENS1_27scan_by_key_config_selectorIssEEZZNS1_16scan_by_key_implILNS1_25lookback_scan_determinismE0ELb0ES3_N6thrust23THRUST_200600_302600_NS6detail15normal_iteratorINS9_10device_ptrIsEEEESE_SE_sNS9_10multipliesIsEENS9_8equal_toIsEEsEE10hipError_tPvRmT2_T3_T4_T5_mT6_T7_P12ihipStream_tbENKUlT_T0_E_clISt17integral_constantIbLb0EESZ_EEDaSU_SV_EUlSU_E_NS1_11comp_targetILNS1_3genE8ELNS1_11target_archE1030ELNS1_3gpuE2ELNS1_3repE0EEENS1_30default_config_static_selectorELNS0_4arch9wavefront6targetE0EEEvT1_,comdat
	.protected	_ZN7rocprim17ROCPRIM_400000_NS6detail17trampoline_kernelINS0_14default_configENS1_27scan_by_key_config_selectorIssEEZZNS1_16scan_by_key_implILNS1_25lookback_scan_determinismE0ELb0ES3_N6thrust23THRUST_200600_302600_NS6detail15normal_iteratorINS9_10device_ptrIsEEEESE_SE_sNS9_10multipliesIsEENS9_8equal_toIsEEsEE10hipError_tPvRmT2_T3_T4_T5_mT6_T7_P12ihipStream_tbENKUlT_T0_E_clISt17integral_constantIbLb0EESZ_EEDaSU_SV_EUlSU_E_NS1_11comp_targetILNS1_3genE8ELNS1_11target_archE1030ELNS1_3gpuE2ELNS1_3repE0EEENS1_30default_config_static_selectorELNS0_4arch9wavefront6targetE0EEEvT1_ ; -- Begin function _ZN7rocprim17ROCPRIM_400000_NS6detail17trampoline_kernelINS0_14default_configENS1_27scan_by_key_config_selectorIssEEZZNS1_16scan_by_key_implILNS1_25lookback_scan_determinismE0ELb0ES3_N6thrust23THRUST_200600_302600_NS6detail15normal_iteratorINS9_10device_ptrIsEEEESE_SE_sNS9_10multipliesIsEENS9_8equal_toIsEEsEE10hipError_tPvRmT2_T3_T4_T5_mT6_T7_P12ihipStream_tbENKUlT_T0_E_clISt17integral_constantIbLb0EESZ_EEDaSU_SV_EUlSU_E_NS1_11comp_targetILNS1_3genE8ELNS1_11target_archE1030ELNS1_3gpuE2ELNS1_3repE0EEENS1_30default_config_static_selectorELNS0_4arch9wavefront6targetE0EEEvT1_
	.globl	_ZN7rocprim17ROCPRIM_400000_NS6detail17trampoline_kernelINS0_14default_configENS1_27scan_by_key_config_selectorIssEEZZNS1_16scan_by_key_implILNS1_25lookback_scan_determinismE0ELb0ES3_N6thrust23THRUST_200600_302600_NS6detail15normal_iteratorINS9_10device_ptrIsEEEESE_SE_sNS9_10multipliesIsEENS9_8equal_toIsEEsEE10hipError_tPvRmT2_T3_T4_T5_mT6_T7_P12ihipStream_tbENKUlT_T0_E_clISt17integral_constantIbLb0EESZ_EEDaSU_SV_EUlSU_E_NS1_11comp_targetILNS1_3genE8ELNS1_11target_archE1030ELNS1_3gpuE2ELNS1_3repE0EEENS1_30default_config_static_selectorELNS0_4arch9wavefront6targetE0EEEvT1_
	.p2align	8
	.type	_ZN7rocprim17ROCPRIM_400000_NS6detail17trampoline_kernelINS0_14default_configENS1_27scan_by_key_config_selectorIssEEZZNS1_16scan_by_key_implILNS1_25lookback_scan_determinismE0ELb0ES3_N6thrust23THRUST_200600_302600_NS6detail15normal_iteratorINS9_10device_ptrIsEEEESE_SE_sNS9_10multipliesIsEENS9_8equal_toIsEEsEE10hipError_tPvRmT2_T3_T4_T5_mT6_T7_P12ihipStream_tbENKUlT_T0_E_clISt17integral_constantIbLb0EESZ_EEDaSU_SV_EUlSU_E_NS1_11comp_targetILNS1_3genE8ELNS1_11target_archE1030ELNS1_3gpuE2ELNS1_3repE0EEENS1_30default_config_static_selectorELNS0_4arch9wavefront6targetE0EEEvT1_,@function
_ZN7rocprim17ROCPRIM_400000_NS6detail17trampoline_kernelINS0_14default_configENS1_27scan_by_key_config_selectorIssEEZZNS1_16scan_by_key_implILNS1_25lookback_scan_determinismE0ELb0ES3_N6thrust23THRUST_200600_302600_NS6detail15normal_iteratorINS9_10device_ptrIsEEEESE_SE_sNS9_10multipliesIsEENS9_8equal_toIsEEsEE10hipError_tPvRmT2_T3_T4_T5_mT6_T7_P12ihipStream_tbENKUlT_T0_E_clISt17integral_constantIbLb0EESZ_EEDaSU_SV_EUlSU_E_NS1_11comp_targetILNS1_3genE8ELNS1_11target_archE1030ELNS1_3gpuE2ELNS1_3repE0EEENS1_30default_config_static_selectorELNS0_4arch9wavefront6targetE0EEEvT1_: ; @_ZN7rocprim17ROCPRIM_400000_NS6detail17trampoline_kernelINS0_14default_configENS1_27scan_by_key_config_selectorIssEEZZNS1_16scan_by_key_implILNS1_25lookback_scan_determinismE0ELb0ES3_N6thrust23THRUST_200600_302600_NS6detail15normal_iteratorINS9_10device_ptrIsEEEESE_SE_sNS9_10multipliesIsEENS9_8equal_toIsEEsEE10hipError_tPvRmT2_T3_T4_T5_mT6_T7_P12ihipStream_tbENKUlT_T0_E_clISt17integral_constantIbLb0EESZ_EEDaSU_SV_EUlSU_E_NS1_11comp_targetILNS1_3genE8ELNS1_11target_archE1030ELNS1_3gpuE2ELNS1_3repE0EEENS1_30default_config_static_selectorELNS0_4arch9wavefront6targetE0EEEvT1_
; %bb.0:
	.section	.rodata,"a",@progbits
	.p2align	6, 0x0
	.amdhsa_kernel _ZN7rocprim17ROCPRIM_400000_NS6detail17trampoline_kernelINS0_14default_configENS1_27scan_by_key_config_selectorIssEEZZNS1_16scan_by_key_implILNS1_25lookback_scan_determinismE0ELb0ES3_N6thrust23THRUST_200600_302600_NS6detail15normal_iteratorINS9_10device_ptrIsEEEESE_SE_sNS9_10multipliesIsEENS9_8equal_toIsEEsEE10hipError_tPvRmT2_T3_T4_T5_mT6_T7_P12ihipStream_tbENKUlT_T0_E_clISt17integral_constantIbLb0EESZ_EEDaSU_SV_EUlSU_E_NS1_11comp_targetILNS1_3genE8ELNS1_11target_archE1030ELNS1_3gpuE2ELNS1_3repE0EEENS1_30default_config_static_selectorELNS0_4arch9wavefront6targetE0EEEvT1_
		.amdhsa_group_segment_fixed_size 0
		.amdhsa_private_segment_fixed_size 0
		.amdhsa_kernarg_size 112
		.amdhsa_user_sgpr_count 2
		.amdhsa_user_sgpr_dispatch_ptr 0
		.amdhsa_user_sgpr_queue_ptr 0
		.amdhsa_user_sgpr_kernarg_segment_ptr 1
		.amdhsa_user_sgpr_dispatch_id 0
		.amdhsa_user_sgpr_kernarg_preload_length 0
		.amdhsa_user_sgpr_kernarg_preload_offset 0
		.amdhsa_user_sgpr_private_segment_size 0
		.amdhsa_wavefront_size32 1
		.amdhsa_uses_dynamic_stack 0
		.amdhsa_enable_private_segment 0
		.amdhsa_system_sgpr_workgroup_id_x 1
		.amdhsa_system_sgpr_workgroup_id_y 0
		.amdhsa_system_sgpr_workgroup_id_z 0
		.amdhsa_system_sgpr_workgroup_info 0
		.amdhsa_system_vgpr_workitem_id 0
		.amdhsa_next_free_vgpr 1
		.amdhsa_next_free_sgpr 1
		.amdhsa_named_barrier_count 0
		.amdhsa_reserve_vcc 0
		.amdhsa_float_round_mode_32 0
		.amdhsa_float_round_mode_16_64 0
		.amdhsa_float_denorm_mode_32 3
		.amdhsa_float_denorm_mode_16_64 3
		.amdhsa_fp16_overflow 0
		.amdhsa_memory_ordered 1
		.amdhsa_forward_progress 1
		.amdhsa_inst_pref_size 0
		.amdhsa_round_robin_scheduling 0
		.amdhsa_exception_fp_ieee_invalid_op 0
		.amdhsa_exception_fp_denorm_src 0
		.amdhsa_exception_fp_ieee_div_zero 0
		.amdhsa_exception_fp_ieee_overflow 0
		.amdhsa_exception_fp_ieee_underflow 0
		.amdhsa_exception_fp_ieee_inexact 0
		.amdhsa_exception_int_div_zero 0
	.end_amdhsa_kernel
	.section	.text._ZN7rocprim17ROCPRIM_400000_NS6detail17trampoline_kernelINS0_14default_configENS1_27scan_by_key_config_selectorIssEEZZNS1_16scan_by_key_implILNS1_25lookback_scan_determinismE0ELb0ES3_N6thrust23THRUST_200600_302600_NS6detail15normal_iteratorINS9_10device_ptrIsEEEESE_SE_sNS9_10multipliesIsEENS9_8equal_toIsEEsEE10hipError_tPvRmT2_T3_T4_T5_mT6_T7_P12ihipStream_tbENKUlT_T0_E_clISt17integral_constantIbLb0EESZ_EEDaSU_SV_EUlSU_E_NS1_11comp_targetILNS1_3genE8ELNS1_11target_archE1030ELNS1_3gpuE2ELNS1_3repE0EEENS1_30default_config_static_selectorELNS0_4arch9wavefront6targetE0EEEvT1_,"axG",@progbits,_ZN7rocprim17ROCPRIM_400000_NS6detail17trampoline_kernelINS0_14default_configENS1_27scan_by_key_config_selectorIssEEZZNS1_16scan_by_key_implILNS1_25lookback_scan_determinismE0ELb0ES3_N6thrust23THRUST_200600_302600_NS6detail15normal_iteratorINS9_10device_ptrIsEEEESE_SE_sNS9_10multipliesIsEENS9_8equal_toIsEEsEE10hipError_tPvRmT2_T3_T4_T5_mT6_T7_P12ihipStream_tbENKUlT_T0_E_clISt17integral_constantIbLb0EESZ_EEDaSU_SV_EUlSU_E_NS1_11comp_targetILNS1_3genE8ELNS1_11target_archE1030ELNS1_3gpuE2ELNS1_3repE0EEENS1_30default_config_static_selectorELNS0_4arch9wavefront6targetE0EEEvT1_,comdat
.Lfunc_end289:
	.size	_ZN7rocprim17ROCPRIM_400000_NS6detail17trampoline_kernelINS0_14default_configENS1_27scan_by_key_config_selectorIssEEZZNS1_16scan_by_key_implILNS1_25lookback_scan_determinismE0ELb0ES3_N6thrust23THRUST_200600_302600_NS6detail15normal_iteratorINS9_10device_ptrIsEEEESE_SE_sNS9_10multipliesIsEENS9_8equal_toIsEEsEE10hipError_tPvRmT2_T3_T4_T5_mT6_T7_P12ihipStream_tbENKUlT_T0_E_clISt17integral_constantIbLb0EESZ_EEDaSU_SV_EUlSU_E_NS1_11comp_targetILNS1_3genE8ELNS1_11target_archE1030ELNS1_3gpuE2ELNS1_3repE0EEENS1_30default_config_static_selectorELNS0_4arch9wavefront6targetE0EEEvT1_, .Lfunc_end289-_ZN7rocprim17ROCPRIM_400000_NS6detail17trampoline_kernelINS0_14default_configENS1_27scan_by_key_config_selectorIssEEZZNS1_16scan_by_key_implILNS1_25lookback_scan_determinismE0ELb0ES3_N6thrust23THRUST_200600_302600_NS6detail15normal_iteratorINS9_10device_ptrIsEEEESE_SE_sNS9_10multipliesIsEENS9_8equal_toIsEEsEE10hipError_tPvRmT2_T3_T4_T5_mT6_T7_P12ihipStream_tbENKUlT_T0_E_clISt17integral_constantIbLb0EESZ_EEDaSU_SV_EUlSU_E_NS1_11comp_targetILNS1_3genE8ELNS1_11target_archE1030ELNS1_3gpuE2ELNS1_3repE0EEENS1_30default_config_static_selectorELNS0_4arch9wavefront6targetE0EEEvT1_
                                        ; -- End function
	.set _ZN7rocprim17ROCPRIM_400000_NS6detail17trampoline_kernelINS0_14default_configENS1_27scan_by_key_config_selectorIssEEZZNS1_16scan_by_key_implILNS1_25lookback_scan_determinismE0ELb0ES3_N6thrust23THRUST_200600_302600_NS6detail15normal_iteratorINS9_10device_ptrIsEEEESE_SE_sNS9_10multipliesIsEENS9_8equal_toIsEEsEE10hipError_tPvRmT2_T3_T4_T5_mT6_T7_P12ihipStream_tbENKUlT_T0_E_clISt17integral_constantIbLb0EESZ_EEDaSU_SV_EUlSU_E_NS1_11comp_targetILNS1_3genE8ELNS1_11target_archE1030ELNS1_3gpuE2ELNS1_3repE0EEENS1_30default_config_static_selectorELNS0_4arch9wavefront6targetE0EEEvT1_.num_vgpr, 0
	.set _ZN7rocprim17ROCPRIM_400000_NS6detail17trampoline_kernelINS0_14default_configENS1_27scan_by_key_config_selectorIssEEZZNS1_16scan_by_key_implILNS1_25lookback_scan_determinismE0ELb0ES3_N6thrust23THRUST_200600_302600_NS6detail15normal_iteratorINS9_10device_ptrIsEEEESE_SE_sNS9_10multipliesIsEENS9_8equal_toIsEEsEE10hipError_tPvRmT2_T3_T4_T5_mT6_T7_P12ihipStream_tbENKUlT_T0_E_clISt17integral_constantIbLb0EESZ_EEDaSU_SV_EUlSU_E_NS1_11comp_targetILNS1_3genE8ELNS1_11target_archE1030ELNS1_3gpuE2ELNS1_3repE0EEENS1_30default_config_static_selectorELNS0_4arch9wavefront6targetE0EEEvT1_.num_agpr, 0
	.set _ZN7rocprim17ROCPRIM_400000_NS6detail17trampoline_kernelINS0_14default_configENS1_27scan_by_key_config_selectorIssEEZZNS1_16scan_by_key_implILNS1_25lookback_scan_determinismE0ELb0ES3_N6thrust23THRUST_200600_302600_NS6detail15normal_iteratorINS9_10device_ptrIsEEEESE_SE_sNS9_10multipliesIsEENS9_8equal_toIsEEsEE10hipError_tPvRmT2_T3_T4_T5_mT6_T7_P12ihipStream_tbENKUlT_T0_E_clISt17integral_constantIbLb0EESZ_EEDaSU_SV_EUlSU_E_NS1_11comp_targetILNS1_3genE8ELNS1_11target_archE1030ELNS1_3gpuE2ELNS1_3repE0EEENS1_30default_config_static_selectorELNS0_4arch9wavefront6targetE0EEEvT1_.numbered_sgpr, 0
	.set _ZN7rocprim17ROCPRIM_400000_NS6detail17trampoline_kernelINS0_14default_configENS1_27scan_by_key_config_selectorIssEEZZNS1_16scan_by_key_implILNS1_25lookback_scan_determinismE0ELb0ES3_N6thrust23THRUST_200600_302600_NS6detail15normal_iteratorINS9_10device_ptrIsEEEESE_SE_sNS9_10multipliesIsEENS9_8equal_toIsEEsEE10hipError_tPvRmT2_T3_T4_T5_mT6_T7_P12ihipStream_tbENKUlT_T0_E_clISt17integral_constantIbLb0EESZ_EEDaSU_SV_EUlSU_E_NS1_11comp_targetILNS1_3genE8ELNS1_11target_archE1030ELNS1_3gpuE2ELNS1_3repE0EEENS1_30default_config_static_selectorELNS0_4arch9wavefront6targetE0EEEvT1_.num_named_barrier, 0
	.set _ZN7rocprim17ROCPRIM_400000_NS6detail17trampoline_kernelINS0_14default_configENS1_27scan_by_key_config_selectorIssEEZZNS1_16scan_by_key_implILNS1_25lookback_scan_determinismE0ELb0ES3_N6thrust23THRUST_200600_302600_NS6detail15normal_iteratorINS9_10device_ptrIsEEEESE_SE_sNS9_10multipliesIsEENS9_8equal_toIsEEsEE10hipError_tPvRmT2_T3_T4_T5_mT6_T7_P12ihipStream_tbENKUlT_T0_E_clISt17integral_constantIbLb0EESZ_EEDaSU_SV_EUlSU_E_NS1_11comp_targetILNS1_3genE8ELNS1_11target_archE1030ELNS1_3gpuE2ELNS1_3repE0EEENS1_30default_config_static_selectorELNS0_4arch9wavefront6targetE0EEEvT1_.private_seg_size, 0
	.set _ZN7rocprim17ROCPRIM_400000_NS6detail17trampoline_kernelINS0_14default_configENS1_27scan_by_key_config_selectorIssEEZZNS1_16scan_by_key_implILNS1_25lookback_scan_determinismE0ELb0ES3_N6thrust23THRUST_200600_302600_NS6detail15normal_iteratorINS9_10device_ptrIsEEEESE_SE_sNS9_10multipliesIsEENS9_8equal_toIsEEsEE10hipError_tPvRmT2_T3_T4_T5_mT6_T7_P12ihipStream_tbENKUlT_T0_E_clISt17integral_constantIbLb0EESZ_EEDaSU_SV_EUlSU_E_NS1_11comp_targetILNS1_3genE8ELNS1_11target_archE1030ELNS1_3gpuE2ELNS1_3repE0EEENS1_30default_config_static_selectorELNS0_4arch9wavefront6targetE0EEEvT1_.uses_vcc, 0
	.set _ZN7rocprim17ROCPRIM_400000_NS6detail17trampoline_kernelINS0_14default_configENS1_27scan_by_key_config_selectorIssEEZZNS1_16scan_by_key_implILNS1_25lookback_scan_determinismE0ELb0ES3_N6thrust23THRUST_200600_302600_NS6detail15normal_iteratorINS9_10device_ptrIsEEEESE_SE_sNS9_10multipliesIsEENS9_8equal_toIsEEsEE10hipError_tPvRmT2_T3_T4_T5_mT6_T7_P12ihipStream_tbENKUlT_T0_E_clISt17integral_constantIbLb0EESZ_EEDaSU_SV_EUlSU_E_NS1_11comp_targetILNS1_3genE8ELNS1_11target_archE1030ELNS1_3gpuE2ELNS1_3repE0EEENS1_30default_config_static_selectorELNS0_4arch9wavefront6targetE0EEEvT1_.uses_flat_scratch, 0
	.set _ZN7rocprim17ROCPRIM_400000_NS6detail17trampoline_kernelINS0_14default_configENS1_27scan_by_key_config_selectorIssEEZZNS1_16scan_by_key_implILNS1_25lookback_scan_determinismE0ELb0ES3_N6thrust23THRUST_200600_302600_NS6detail15normal_iteratorINS9_10device_ptrIsEEEESE_SE_sNS9_10multipliesIsEENS9_8equal_toIsEEsEE10hipError_tPvRmT2_T3_T4_T5_mT6_T7_P12ihipStream_tbENKUlT_T0_E_clISt17integral_constantIbLb0EESZ_EEDaSU_SV_EUlSU_E_NS1_11comp_targetILNS1_3genE8ELNS1_11target_archE1030ELNS1_3gpuE2ELNS1_3repE0EEENS1_30default_config_static_selectorELNS0_4arch9wavefront6targetE0EEEvT1_.has_dyn_sized_stack, 0
	.set _ZN7rocprim17ROCPRIM_400000_NS6detail17trampoline_kernelINS0_14default_configENS1_27scan_by_key_config_selectorIssEEZZNS1_16scan_by_key_implILNS1_25lookback_scan_determinismE0ELb0ES3_N6thrust23THRUST_200600_302600_NS6detail15normal_iteratorINS9_10device_ptrIsEEEESE_SE_sNS9_10multipliesIsEENS9_8equal_toIsEEsEE10hipError_tPvRmT2_T3_T4_T5_mT6_T7_P12ihipStream_tbENKUlT_T0_E_clISt17integral_constantIbLb0EESZ_EEDaSU_SV_EUlSU_E_NS1_11comp_targetILNS1_3genE8ELNS1_11target_archE1030ELNS1_3gpuE2ELNS1_3repE0EEENS1_30default_config_static_selectorELNS0_4arch9wavefront6targetE0EEEvT1_.has_recursion, 0
	.set _ZN7rocprim17ROCPRIM_400000_NS6detail17trampoline_kernelINS0_14default_configENS1_27scan_by_key_config_selectorIssEEZZNS1_16scan_by_key_implILNS1_25lookback_scan_determinismE0ELb0ES3_N6thrust23THRUST_200600_302600_NS6detail15normal_iteratorINS9_10device_ptrIsEEEESE_SE_sNS9_10multipliesIsEENS9_8equal_toIsEEsEE10hipError_tPvRmT2_T3_T4_T5_mT6_T7_P12ihipStream_tbENKUlT_T0_E_clISt17integral_constantIbLb0EESZ_EEDaSU_SV_EUlSU_E_NS1_11comp_targetILNS1_3genE8ELNS1_11target_archE1030ELNS1_3gpuE2ELNS1_3repE0EEENS1_30default_config_static_selectorELNS0_4arch9wavefront6targetE0EEEvT1_.has_indirect_call, 0
	.section	.AMDGPU.csdata,"",@progbits
; Kernel info:
; codeLenInByte = 0
; TotalNumSgprs: 0
; NumVgprs: 0
; ScratchSize: 0
; MemoryBound: 0
; FloatMode: 240
; IeeeMode: 1
; LDSByteSize: 0 bytes/workgroup (compile time only)
; SGPRBlocks: 0
; VGPRBlocks: 0
; NumSGPRsForWavesPerEU: 1
; NumVGPRsForWavesPerEU: 1
; NamedBarCnt: 0
; Occupancy: 16
; WaveLimiterHint : 0
; COMPUTE_PGM_RSRC2:SCRATCH_EN: 0
; COMPUTE_PGM_RSRC2:USER_SGPR: 2
; COMPUTE_PGM_RSRC2:TRAP_HANDLER: 0
; COMPUTE_PGM_RSRC2:TGID_X_EN: 1
; COMPUTE_PGM_RSRC2:TGID_Y_EN: 0
; COMPUTE_PGM_RSRC2:TGID_Z_EN: 0
; COMPUTE_PGM_RSRC2:TIDIG_COMP_CNT: 0
	.section	.text._ZN7rocprim17ROCPRIM_400000_NS6detail17trampoline_kernelINS0_14default_configENS1_27scan_by_key_config_selectorIssEEZZNS1_16scan_by_key_implILNS1_25lookback_scan_determinismE0ELb0ES3_N6thrust23THRUST_200600_302600_NS6detail15normal_iteratorINS9_10device_ptrIsEEEESE_SE_sNS9_10multipliesIsEENS9_8equal_toIsEEsEE10hipError_tPvRmT2_T3_T4_T5_mT6_T7_P12ihipStream_tbENKUlT_T0_E_clISt17integral_constantIbLb1EESZ_EEDaSU_SV_EUlSU_E_NS1_11comp_targetILNS1_3genE0ELNS1_11target_archE4294967295ELNS1_3gpuE0ELNS1_3repE0EEENS1_30default_config_static_selectorELNS0_4arch9wavefront6targetE0EEEvT1_,"axG",@progbits,_ZN7rocprim17ROCPRIM_400000_NS6detail17trampoline_kernelINS0_14default_configENS1_27scan_by_key_config_selectorIssEEZZNS1_16scan_by_key_implILNS1_25lookback_scan_determinismE0ELb0ES3_N6thrust23THRUST_200600_302600_NS6detail15normal_iteratorINS9_10device_ptrIsEEEESE_SE_sNS9_10multipliesIsEENS9_8equal_toIsEEsEE10hipError_tPvRmT2_T3_T4_T5_mT6_T7_P12ihipStream_tbENKUlT_T0_E_clISt17integral_constantIbLb1EESZ_EEDaSU_SV_EUlSU_E_NS1_11comp_targetILNS1_3genE0ELNS1_11target_archE4294967295ELNS1_3gpuE0ELNS1_3repE0EEENS1_30default_config_static_selectorELNS0_4arch9wavefront6targetE0EEEvT1_,comdat
	.protected	_ZN7rocprim17ROCPRIM_400000_NS6detail17trampoline_kernelINS0_14default_configENS1_27scan_by_key_config_selectorIssEEZZNS1_16scan_by_key_implILNS1_25lookback_scan_determinismE0ELb0ES3_N6thrust23THRUST_200600_302600_NS6detail15normal_iteratorINS9_10device_ptrIsEEEESE_SE_sNS9_10multipliesIsEENS9_8equal_toIsEEsEE10hipError_tPvRmT2_T3_T4_T5_mT6_T7_P12ihipStream_tbENKUlT_T0_E_clISt17integral_constantIbLb1EESZ_EEDaSU_SV_EUlSU_E_NS1_11comp_targetILNS1_3genE0ELNS1_11target_archE4294967295ELNS1_3gpuE0ELNS1_3repE0EEENS1_30default_config_static_selectorELNS0_4arch9wavefront6targetE0EEEvT1_ ; -- Begin function _ZN7rocprim17ROCPRIM_400000_NS6detail17trampoline_kernelINS0_14default_configENS1_27scan_by_key_config_selectorIssEEZZNS1_16scan_by_key_implILNS1_25lookback_scan_determinismE0ELb0ES3_N6thrust23THRUST_200600_302600_NS6detail15normal_iteratorINS9_10device_ptrIsEEEESE_SE_sNS9_10multipliesIsEENS9_8equal_toIsEEsEE10hipError_tPvRmT2_T3_T4_T5_mT6_T7_P12ihipStream_tbENKUlT_T0_E_clISt17integral_constantIbLb1EESZ_EEDaSU_SV_EUlSU_E_NS1_11comp_targetILNS1_3genE0ELNS1_11target_archE4294967295ELNS1_3gpuE0ELNS1_3repE0EEENS1_30default_config_static_selectorELNS0_4arch9wavefront6targetE0EEEvT1_
	.globl	_ZN7rocprim17ROCPRIM_400000_NS6detail17trampoline_kernelINS0_14default_configENS1_27scan_by_key_config_selectorIssEEZZNS1_16scan_by_key_implILNS1_25lookback_scan_determinismE0ELb0ES3_N6thrust23THRUST_200600_302600_NS6detail15normal_iteratorINS9_10device_ptrIsEEEESE_SE_sNS9_10multipliesIsEENS9_8equal_toIsEEsEE10hipError_tPvRmT2_T3_T4_T5_mT6_T7_P12ihipStream_tbENKUlT_T0_E_clISt17integral_constantIbLb1EESZ_EEDaSU_SV_EUlSU_E_NS1_11comp_targetILNS1_3genE0ELNS1_11target_archE4294967295ELNS1_3gpuE0ELNS1_3repE0EEENS1_30default_config_static_selectorELNS0_4arch9wavefront6targetE0EEEvT1_
	.p2align	8
	.type	_ZN7rocprim17ROCPRIM_400000_NS6detail17trampoline_kernelINS0_14default_configENS1_27scan_by_key_config_selectorIssEEZZNS1_16scan_by_key_implILNS1_25lookback_scan_determinismE0ELb0ES3_N6thrust23THRUST_200600_302600_NS6detail15normal_iteratorINS9_10device_ptrIsEEEESE_SE_sNS9_10multipliesIsEENS9_8equal_toIsEEsEE10hipError_tPvRmT2_T3_T4_T5_mT6_T7_P12ihipStream_tbENKUlT_T0_E_clISt17integral_constantIbLb1EESZ_EEDaSU_SV_EUlSU_E_NS1_11comp_targetILNS1_3genE0ELNS1_11target_archE4294967295ELNS1_3gpuE0ELNS1_3repE0EEENS1_30default_config_static_selectorELNS0_4arch9wavefront6targetE0EEEvT1_,@function
_ZN7rocprim17ROCPRIM_400000_NS6detail17trampoline_kernelINS0_14default_configENS1_27scan_by_key_config_selectorIssEEZZNS1_16scan_by_key_implILNS1_25lookback_scan_determinismE0ELb0ES3_N6thrust23THRUST_200600_302600_NS6detail15normal_iteratorINS9_10device_ptrIsEEEESE_SE_sNS9_10multipliesIsEENS9_8equal_toIsEEsEE10hipError_tPvRmT2_T3_T4_T5_mT6_T7_P12ihipStream_tbENKUlT_T0_E_clISt17integral_constantIbLb1EESZ_EEDaSU_SV_EUlSU_E_NS1_11comp_targetILNS1_3genE0ELNS1_11target_archE4294967295ELNS1_3gpuE0ELNS1_3repE0EEENS1_30default_config_static_selectorELNS0_4arch9wavefront6targetE0EEEvT1_: ; @_ZN7rocprim17ROCPRIM_400000_NS6detail17trampoline_kernelINS0_14default_configENS1_27scan_by_key_config_selectorIssEEZZNS1_16scan_by_key_implILNS1_25lookback_scan_determinismE0ELb0ES3_N6thrust23THRUST_200600_302600_NS6detail15normal_iteratorINS9_10device_ptrIsEEEESE_SE_sNS9_10multipliesIsEENS9_8equal_toIsEEsEE10hipError_tPvRmT2_T3_T4_T5_mT6_T7_P12ihipStream_tbENKUlT_T0_E_clISt17integral_constantIbLb1EESZ_EEDaSU_SV_EUlSU_E_NS1_11comp_targetILNS1_3genE0ELNS1_11target_archE4294967295ELNS1_3gpuE0ELNS1_3repE0EEENS1_30default_config_static_selectorELNS0_4arch9wavefront6targetE0EEEvT1_
; %bb.0:
	s_endpgm
	.section	.rodata,"a",@progbits
	.p2align	6, 0x0
	.amdhsa_kernel _ZN7rocprim17ROCPRIM_400000_NS6detail17trampoline_kernelINS0_14default_configENS1_27scan_by_key_config_selectorIssEEZZNS1_16scan_by_key_implILNS1_25lookback_scan_determinismE0ELb0ES3_N6thrust23THRUST_200600_302600_NS6detail15normal_iteratorINS9_10device_ptrIsEEEESE_SE_sNS9_10multipliesIsEENS9_8equal_toIsEEsEE10hipError_tPvRmT2_T3_T4_T5_mT6_T7_P12ihipStream_tbENKUlT_T0_E_clISt17integral_constantIbLb1EESZ_EEDaSU_SV_EUlSU_E_NS1_11comp_targetILNS1_3genE0ELNS1_11target_archE4294967295ELNS1_3gpuE0ELNS1_3repE0EEENS1_30default_config_static_selectorELNS0_4arch9wavefront6targetE0EEEvT1_
		.amdhsa_group_segment_fixed_size 0
		.amdhsa_private_segment_fixed_size 0
		.amdhsa_kernarg_size 112
		.amdhsa_user_sgpr_count 2
		.amdhsa_user_sgpr_dispatch_ptr 0
		.amdhsa_user_sgpr_queue_ptr 0
		.amdhsa_user_sgpr_kernarg_segment_ptr 1
		.amdhsa_user_sgpr_dispatch_id 0
		.amdhsa_user_sgpr_kernarg_preload_length 0
		.amdhsa_user_sgpr_kernarg_preload_offset 0
		.amdhsa_user_sgpr_private_segment_size 0
		.amdhsa_wavefront_size32 1
		.amdhsa_uses_dynamic_stack 0
		.amdhsa_enable_private_segment 0
		.amdhsa_system_sgpr_workgroup_id_x 1
		.amdhsa_system_sgpr_workgroup_id_y 0
		.amdhsa_system_sgpr_workgroup_id_z 0
		.amdhsa_system_sgpr_workgroup_info 0
		.amdhsa_system_vgpr_workitem_id 0
		.amdhsa_next_free_vgpr 1
		.amdhsa_next_free_sgpr 1
		.amdhsa_named_barrier_count 0
		.amdhsa_reserve_vcc 0
		.amdhsa_float_round_mode_32 0
		.amdhsa_float_round_mode_16_64 0
		.amdhsa_float_denorm_mode_32 3
		.amdhsa_float_denorm_mode_16_64 3
		.amdhsa_fp16_overflow 0
		.amdhsa_memory_ordered 1
		.amdhsa_forward_progress 1
		.amdhsa_inst_pref_size 1
		.amdhsa_round_robin_scheduling 0
		.amdhsa_exception_fp_ieee_invalid_op 0
		.amdhsa_exception_fp_denorm_src 0
		.amdhsa_exception_fp_ieee_div_zero 0
		.amdhsa_exception_fp_ieee_overflow 0
		.amdhsa_exception_fp_ieee_underflow 0
		.amdhsa_exception_fp_ieee_inexact 0
		.amdhsa_exception_int_div_zero 0
	.end_amdhsa_kernel
	.section	.text._ZN7rocprim17ROCPRIM_400000_NS6detail17trampoline_kernelINS0_14default_configENS1_27scan_by_key_config_selectorIssEEZZNS1_16scan_by_key_implILNS1_25lookback_scan_determinismE0ELb0ES3_N6thrust23THRUST_200600_302600_NS6detail15normal_iteratorINS9_10device_ptrIsEEEESE_SE_sNS9_10multipliesIsEENS9_8equal_toIsEEsEE10hipError_tPvRmT2_T3_T4_T5_mT6_T7_P12ihipStream_tbENKUlT_T0_E_clISt17integral_constantIbLb1EESZ_EEDaSU_SV_EUlSU_E_NS1_11comp_targetILNS1_3genE0ELNS1_11target_archE4294967295ELNS1_3gpuE0ELNS1_3repE0EEENS1_30default_config_static_selectorELNS0_4arch9wavefront6targetE0EEEvT1_,"axG",@progbits,_ZN7rocprim17ROCPRIM_400000_NS6detail17trampoline_kernelINS0_14default_configENS1_27scan_by_key_config_selectorIssEEZZNS1_16scan_by_key_implILNS1_25lookback_scan_determinismE0ELb0ES3_N6thrust23THRUST_200600_302600_NS6detail15normal_iteratorINS9_10device_ptrIsEEEESE_SE_sNS9_10multipliesIsEENS9_8equal_toIsEEsEE10hipError_tPvRmT2_T3_T4_T5_mT6_T7_P12ihipStream_tbENKUlT_T0_E_clISt17integral_constantIbLb1EESZ_EEDaSU_SV_EUlSU_E_NS1_11comp_targetILNS1_3genE0ELNS1_11target_archE4294967295ELNS1_3gpuE0ELNS1_3repE0EEENS1_30default_config_static_selectorELNS0_4arch9wavefront6targetE0EEEvT1_,comdat
.Lfunc_end290:
	.size	_ZN7rocprim17ROCPRIM_400000_NS6detail17trampoline_kernelINS0_14default_configENS1_27scan_by_key_config_selectorIssEEZZNS1_16scan_by_key_implILNS1_25lookback_scan_determinismE0ELb0ES3_N6thrust23THRUST_200600_302600_NS6detail15normal_iteratorINS9_10device_ptrIsEEEESE_SE_sNS9_10multipliesIsEENS9_8equal_toIsEEsEE10hipError_tPvRmT2_T3_T4_T5_mT6_T7_P12ihipStream_tbENKUlT_T0_E_clISt17integral_constantIbLb1EESZ_EEDaSU_SV_EUlSU_E_NS1_11comp_targetILNS1_3genE0ELNS1_11target_archE4294967295ELNS1_3gpuE0ELNS1_3repE0EEENS1_30default_config_static_selectorELNS0_4arch9wavefront6targetE0EEEvT1_, .Lfunc_end290-_ZN7rocprim17ROCPRIM_400000_NS6detail17trampoline_kernelINS0_14default_configENS1_27scan_by_key_config_selectorIssEEZZNS1_16scan_by_key_implILNS1_25lookback_scan_determinismE0ELb0ES3_N6thrust23THRUST_200600_302600_NS6detail15normal_iteratorINS9_10device_ptrIsEEEESE_SE_sNS9_10multipliesIsEENS9_8equal_toIsEEsEE10hipError_tPvRmT2_T3_T4_T5_mT6_T7_P12ihipStream_tbENKUlT_T0_E_clISt17integral_constantIbLb1EESZ_EEDaSU_SV_EUlSU_E_NS1_11comp_targetILNS1_3genE0ELNS1_11target_archE4294967295ELNS1_3gpuE0ELNS1_3repE0EEENS1_30default_config_static_selectorELNS0_4arch9wavefront6targetE0EEEvT1_
                                        ; -- End function
	.set _ZN7rocprim17ROCPRIM_400000_NS6detail17trampoline_kernelINS0_14default_configENS1_27scan_by_key_config_selectorIssEEZZNS1_16scan_by_key_implILNS1_25lookback_scan_determinismE0ELb0ES3_N6thrust23THRUST_200600_302600_NS6detail15normal_iteratorINS9_10device_ptrIsEEEESE_SE_sNS9_10multipliesIsEENS9_8equal_toIsEEsEE10hipError_tPvRmT2_T3_T4_T5_mT6_T7_P12ihipStream_tbENKUlT_T0_E_clISt17integral_constantIbLb1EESZ_EEDaSU_SV_EUlSU_E_NS1_11comp_targetILNS1_3genE0ELNS1_11target_archE4294967295ELNS1_3gpuE0ELNS1_3repE0EEENS1_30default_config_static_selectorELNS0_4arch9wavefront6targetE0EEEvT1_.num_vgpr, 0
	.set _ZN7rocprim17ROCPRIM_400000_NS6detail17trampoline_kernelINS0_14default_configENS1_27scan_by_key_config_selectorIssEEZZNS1_16scan_by_key_implILNS1_25lookback_scan_determinismE0ELb0ES3_N6thrust23THRUST_200600_302600_NS6detail15normal_iteratorINS9_10device_ptrIsEEEESE_SE_sNS9_10multipliesIsEENS9_8equal_toIsEEsEE10hipError_tPvRmT2_T3_T4_T5_mT6_T7_P12ihipStream_tbENKUlT_T0_E_clISt17integral_constantIbLb1EESZ_EEDaSU_SV_EUlSU_E_NS1_11comp_targetILNS1_3genE0ELNS1_11target_archE4294967295ELNS1_3gpuE0ELNS1_3repE0EEENS1_30default_config_static_selectorELNS0_4arch9wavefront6targetE0EEEvT1_.num_agpr, 0
	.set _ZN7rocprim17ROCPRIM_400000_NS6detail17trampoline_kernelINS0_14default_configENS1_27scan_by_key_config_selectorIssEEZZNS1_16scan_by_key_implILNS1_25lookback_scan_determinismE0ELb0ES3_N6thrust23THRUST_200600_302600_NS6detail15normal_iteratorINS9_10device_ptrIsEEEESE_SE_sNS9_10multipliesIsEENS9_8equal_toIsEEsEE10hipError_tPvRmT2_T3_T4_T5_mT6_T7_P12ihipStream_tbENKUlT_T0_E_clISt17integral_constantIbLb1EESZ_EEDaSU_SV_EUlSU_E_NS1_11comp_targetILNS1_3genE0ELNS1_11target_archE4294967295ELNS1_3gpuE0ELNS1_3repE0EEENS1_30default_config_static_selectorELNS0_4arch9wavefront6targetE0EEEvT1_.numbered_sgpr, 0
	.set _ZN7rocprim17ROCPRIM_400000_NS6detail17trampoline_kernelINS0_14default_configENS1_27scan_by_key_config_selectorIssEEZZNS1_16scan_by_key_implILNS1_25lookback_scan_determinismE0ELb0ES3_N6thrust23THRUST_200600_302600_NS6detail15normal_iteratorINS9_10device_ptrIsEEEESE_SE_sNS9_10multipliesIsEENS9_8equal_toIsEEsEE10hipError_tPvRmT2_T3_T4_T5_mT6_T7_P12ihipStream_tbENKUlT_T0_E_clISt17integral_constantIbLb1EESZ_EEDaSU_SV_EUlSU_E_NS1_11comp_targetILNS1_3genE0ELNS1_11target_archE4294967295ELNS1_3gpuE0ELNS1_3repE0EEENS1_30default_config_static_selectorELNS0_4arch9wavefront6targetE0EEEvT1_.num_named_barrier, 0
	.set _ZN7rocprim17ROCPRIM_400000_NS6detail17trampoline_kernelINS0_14default_configENS1_27scan_by_key_config_selectorIssEEZZNS1_16scan_by_key_implILNS1_25lookback_scan_determinismE0ELb0ES3_N6thrust23THRUST_200600_302600_NS6detail15normal_iteratorINS9_10device_ptrIsEEEESE_SE_sNS9_10multipliesIsEENS9_8equal_toIsEEsEE10hipError_tPvRmT2_T3_T4_T5_mT6_T7_P12ihipStream_tbENKUlT_T0_E_clISt17integral_constantIbLb1EESZ_EEDaSU_SV_EUlSU_E_NS1_11comp_targetILNS1_3genE0ELNS1_11target_archE4294967295ELNS1_3gpuE0ELNS1_3repE0EEENS1_30default_config_static_selectorELNS0_4arch9wavefront6targetE0EEEvT1_.private_seg_size, 0
	.set _ZN7rocprim17ROCPRIM_400000_NS6detail17trampoline_kernelINS0_14default_configENS1_27scan_by_key_config_selectorIssEEZZNS1_16scan_by_key_implILNS1_25lookback_scan_determinismE0ELb0ES3_N6thrust23THRUST_200600_302600_NS6detail15normal_iteratorINS9_10device_ptrIsEEEESE_SE_sNS9_10multipliesIsEENS9_8equal_toIsEEsEE10hipError_tPvRmT2_T3_T4_T5_mT6_T7_P12ihipStream_tbENKUlT_T0_E_clISt17integral_constantIbLb1EESZ_EEDaSU_SV_EUlSU_E_NS1_11comp_targetILNS1_3genE0ELNS1_11target_archE4294967295ELNS1_3gpuE0ELNS1_3repE0EEENS1_30default_config_static_selectorELNS0_4arch9wavefront6targetE0EEEvT1_.uses_vcc, 0
	.set _ZN7rocprim17ROCPRIM_400000_NS6detail17trampoline_kernelINS0_14default_configENS1_27scan_by_key_config_selectorIssEEZZNS1_16scan_by_key_implILNS1_25lookback_scan_determinismE0ELb0ES3_N6thrust23THRUST_200600_302600_NS6detail15normal_iteratorINS9_10device_ptrIsEEEESE_SE_sNS9_10multipliesIsEENS9_8equal_toIsEEsEE10hipError_tPvRmT2_T3_T4_T5_mT6_T7_P12ihipStream_tbENKUlT_T0_E_clISt17integral_constantIbLb1EESZ_EEDaSU_SV_EUlSU_E_NS1_11comp_targetILNS1_3genE0ELNS1_11target_archE4294967295ELNS1_3gpuE0ELNS1_3repE0EEENS1_30default_config_static_selectorELNS0_4arch9wavefront6targetE0EEEvT1_.uses_flat_scratch, 0
	.set _ZN7rocprim17ROCPRIM_400000_NS6detail17trampoline_kernelINS0_14default_configENS1_27scan_by_key_config_selectorIssEEZZNS1_16scan_by_key_implILNS1_25lookback_scan_determinismE0ELb0ES3_N6thrust23THRUST_200600_302600_NS6detail15normal_iteratorINS9_10device_ptrIsEEEESE_SE_sNS9_10multipliesIsEENS9_8equal_toIsEEsEE10hipError_tPvRmT2_T3_T4_T5_mT6_T7_P12ihipStream_tbENKUlT_T0_E_clISt17integral_constantIbLb1EESZ_EEDaSU_SV_EUlSU_E_NS1_11comp_targetILNS1_3genE0ELNS1_11target_archE4294967295ELNS1_3gpuE0ELNS1_3repE0EEENS1_30default_config_static_selectorELNS0_4arch9wavefront6targetE0EEEvT1_.has_dyn_sized_stack, 0
	.set _ZN7rocprim17ROCPRIM_400000_NS6detail17trampoline_kernelINS0_14default_configENS1_27scan_by_key_config_selectorIssEEZZNS1_16scan_by_key_implILNS1_25lookback_scan_determinismE0ELb0ES3_N6thrust23THRUST_200600_302600_NS6detail15normal_iteratorINS9_10device_ptrIsEEEESE_SE_sNS9_10multipliesIsEENS9_8equal_toIsEEsEE10hipError_tPvRmT2_T3_T4_T5_mT6_T7_P12ihipStream_tbENKUlT_T0_E_clISt17integral_constantIbLb1EESZ_EEDaSU_SV_EUlSU_E_NS1_11comp_targetILNS1_3genE0ELNS1_11target_archE4294967295ELNS1_3gpuE0ELNS1_3repE0EEENS1_30default_config_static_selectorELNS0_4arch9wavefront6targetE0EEEvT1_.has_recursion, 0
	.set _ZN7rocprim17ROCPRIM_400000_NS6detail17trampoline_kernelINS0_14default_configENS1_27scan_by_key_config_selectorIssEEZZNS1_16scan_by_key_implILNS1_25lookback_scan_determinismE0ELb0ES3_N6thrust23THRUST_200600_302600_NS6detail15normal_iteratorINS9_10device_ptrIsEEEESE_SE_sNS9_10multipliesIsEENS9_8equal_toIsEEsEE10hipError_tPvRmT2_T3_T4_T5_mT6_T7_P12ihipStream_tbENKUlT_T0_E_clISt17integral_constantIbLb1EESZ_EEDaSU_SV_EUlSU_E_NS1_11comp_targetILNS1_3genE0ELNS1_11target_archE4294967295ELNS1_3gpuE0ELNS1_3repE0EEENS1_30default_config_static_selectorELNS0_4arch9wavefront6targetE0EEEvT1_.has_indirect_call, 0
	.section	.AMDGPU.csdata,"",@progbits
; Kernel info:
; codeLenInByte = 4
; TotalNumSgprs: 0
; NumVgprs: 0
; ScratchSize: 0
; MemoryBound: 0
; FloatMode: 240
; IeeeMode: 1
; LDSByteSize: 0 bytes/workgroup (compile time only)
; SGPRBlocks: 0
; VGPRBlocks: 0
; NumSGPRsForWavesPerEU: 1
; NumVGPRsForWavesPerEU: 1
; NamedBarCnt: 0
; Occupancy: 16
; WaveLimiterHint : 0
; COMPUTE_PGM_RSRC2:SCRATCH_EN: 0
; COMPUTE_PGM_RSRC2:USER_SGPR: 2
; COMPUTE_PGM_RSRC2:TRAP_HANDLER: 0
; COMPUTE_PGM_RSRC2:TGID_X_EN: 1
; COMPUTE_PGM_RSRC2:TGID_Y_EN: 0
; COMPUTE_PGM_RSRC2:TGID_Z_EN: 0
; COMPUTE_PGM_RSRC2:TIDIG_COMP_CNT: 0
	.section	.text._ZN7rocprim17ROCPRIM_400000_NS6detail17trampoline_kernelINS0_14default_configENS1_27scan_by_key_config_selectorIssEEZZNS1_16scan_by_key_implILNS1_25lookback_scan_determinismE0ELb0ES3_N6thrust23THRUST_200600_302600_NS6detail15normal_iteratorINS9_10device_ptrIsEEEESE_SE_sNS9_10multipliesIsEENS9_8equal_toIsEEsEE10hipError_tPvRmT2_T3_T4_T5_mT6_T7_P12ihipStream_tbENKUlT_T0_E_clISt17integral_constantIbLb1EESZ_EEDaSU_SV_EUlSU_E_NS1_11comp_targetILNS1_3genE10ELNS1_11target_archE1201ELNS1_3gpuE5ELNS1_3repE0EEENS1_30default_config_static_selectorELNS0_4arch9wavefront6targetE0EEEvT1_,"axG",@progbits,_ZN7rocprim17ROCPRIM_400000_NS6detail17trampoline_kernelINS0_14default_configENS1_27scan_by_key_config_selectorIssEEZZNS1_16scan_by_key_implILNS1_25lookback_scan_determinismE0ELb0ES3_N6thrust23THRUST_200600_302600_NS6detail15normal_iteratorINS9_10device_ptrIsEEEESE_SE_sNS9_10multipliesIsEENS9_8equal_toIsEEsEE10hipError_tPvRmT2_T3_T4_T5_mT6_T7_P12ihipStream_tbENKUlT_T0_E_clISt17integral_constantIbLb1EESZ_EEDaSU_SV_EUlSU_E_NS1_11comp_targetILNS1_3genE10ELNS1_11target_archE1201ELNS1_3gpuE5ELNS1_3repE0EEENS1_30default_config_static_selectorELNS0_4arch9wavefront6targetE0EEEvT1_,comdat
	.protected	_ZN7rocprim17ROCPRIM_400000_NS6detail17trampoline_kernelINS0_14default_configENS1_27scan_by_key_config_selectorIssEEZZNS1_16scan_by_key_implILNS1_25lookback_scan_determinismE0ELb0ES3_N6thrust23THRUST_200600_302600_NS6detail15normal_iteratorINS9_10device_ptrIsEEEESE_SE_sNS9_10multipliesIsEENS9_8equal_toIsEEsEE10hipError_tPvRmT2_T3_T4_T5_mT6_T7_P12ihipStream_tbENKUlT_T0_E_clISt17integral_constantIbLb1EESZ_EEDaSU_SV_EUlSU_E_NS1_11comp_targetILNS1_3genE10ELNS1_11target_archE1201ELNS1_3gpuE5ELNS1_3repE0EEENS1_30default_config_static_selectorELNS0_4arch9wavefront6targetE0EEEvT1_ ; -- Begin function _ZN7rocprim17ROCPRIM_400000_NS6detail17trampoline_kernelINS0_14default_configENS1_27scan_by_key_config_selectorIssEEZZNS1_16scan_by_key_implILNS1_25lookback_scan_determinismE0ELb0ES3_N6thrust23THRUST_200600_302600_NS6detail15normal_iteratorINS9_10device_ptrIsEEEESE_SE_sNS9_10multipliesIsEENS9_8equal_toIsEEsEE10hipError_tPvRmT2_T3_T4_T5_mT6_T7_P12ihipStream_tbENKUlT_T0_E_clISt17integral_constantIbLb1EESZ_EEDaSU_SV_EUlSU_E_NS1_11comp_targetILNS1_3genE10ELNS1_11target_archE1201ELNS1_3gpuE5ELNS1_3repE0EEENS1_30default_config_static_selectorELNS0_4arch9wavefront6targetE0EEEvT1_
	.globl	_ZN7rocprim17ROCPRIM_400000_NS6detail17trampoline_kernelINS0_14default_configENS1_27scan_by_key_config_selectorIssEEZZNS1_16scan_by_key_implILNS1_25lookback_scan_determinismE0ELb0ES3_N6thrust23THRUST_200600_302600_NS6detail15normal_iteratorINS9_10device_ptrIsEEEESE_SE_sNS9_10multipliesIsEENS9_8equal_toIsEEsEE10hipError_tPvRmT2_T3_T4_T5_mT6_T7_P12ihipStream_tbENKUlT_T0_E_clISt17integral_constantIbLb1EESZ_EEDaSU_SV_EUlSU_E_NS1_11comp_targetILNS1_3genE10ELNS1_11target_archE1201ELNS1_3gpuE5ELNS1_3repE0EEENS1_30default_config_static_selectorELNS0_4arch9wavefront6targetE0EEEvT1_
	.p2align	8
	.type	_ZN7rocprim17ROCPRIM_400000_NS6detail17trampoline_kernelINS0_14default_configENS1_27scan_by_key_config_selectorIssEEZZNS1_16scan_by_key_implILNS1_25lookback_scan_determinismE0ELb0ES3_N6thrust23THRUST_200600_302600_NS6detail15normal_iteratorINS9_10device_ptrIsEEEESE_SE_sNS9_10multipliesIsEENS9_8equal_toIsEEsEE10hipError_tPvRmT2_T3_T4_T5_mT6_T7_P12ihipStream_tbENKUlT_T0_E_clISt17integral_constantIbLb1EESZ_EEDaSU_SV_EUlSU_E_NS1_11comp_targetILNS1_3genE10ELNS1_11target_archE1201ELNS1_3gpuE5ELNS1_3repE0EEENS1_30default_config_static_selectorELNS0_4arch9wavefront6targetE0EEEvT1_,@function
_ZN7rocprim17ROCPRIM_400000_NS6detail17trampoline_kernelINS0_14default_configENS1_27scan_by_key_config_selectorIssEEZZNS1_16scan_by_key_implILNS1_25lookback_scan_determinismE0ELb0ES3_N6thrust23THRUST_200600_302600_NS6detail15normal_iteratorINS9_10device_ptrIsEEEESE_SE_sNS9_10multipliesIsEENS9_8equal_toIsEEsEE10hipError_tPvRmT2_T3_T4_T5_mT6_T7_P12ihipStream_tbENKUlT_T0_E_clISt17integral_constantIbLb1EESZ_EEDaSU_SV_EUlSU_E_NS1_11comp_targetILNS1_3genE10ELNS1_11target_archE1201ELNS1_3gpuE5ELNS1_3repE0EEENS1_30default_config_static_selectorELNS0_4arch9wavefront6targetE0EEEvT1_: ; @_ZN7rocprim17ROCPRIM_400000_NS6detail17trampoline_kernelINS0_14default_configENS1_27scan_by_key_config_selectorIssEEZZNS1_16scan_by_key_implILNS1_25lookback_scan_determinismE0ELb0ES3_N6thrust23THRUST_200600_302600_NS6detail15normal_iteratorINS9_10device_ptrIsEEEESE_SE_sNS9_10multipliesIsEENS9_8equal_toIsEEsEE10hipError_tPvRmT2_T3_T4_T5_mT6_T7_P12ihipStream_tbENKUlT_T0_E_clISt17integral_constantIbLb1EESZ_EEDaSU_SV_EUlSU_E_NS1_11comp_targetILNS1_3genE10ELNS1_11target_archE1201ELNS1_3gpuE5ELNS1_3repE0EEENS1_30default_config_static_selectorELNS0_4arch9wavefront6targetE0EEEvT1_
; %bb.0:
	.section	.rodata,"a",@progbits
	.p2align	6, 0x0
	.amdhsa_kernel _ZN7rocprim17ROCPRIM_400000_NS6detail17trampoline_kernelINS0_14default_configENS1_27scan_by_key_config_selectorIssEEZZNS1_16scan_by_key_implILNS1_25lookback_scan_determinismE0ELb0ES3_N6thrust23THRUST_200600_302600_NS6detail15normal_iteratorINS9_10device_ptrIsEEEESE_SE_sNS9_10multipliesIsEENS9_8equal_toIsEEsEE10hipError_tPvRmT2_T3_T4_T5_mT6_T7_P12ihipStream_tbENKUlT_T0_E_clISt17integral_constantIbLb1EESZ_EEDaSU_SV_EUlSU_E_NS1_11comp_targetILNS1_3genE10ELNS1_11target_archE1201ELNS1_3gpuE5ELNS1_3repE0EEENS1_30default_config_static_selectorELNS0_4arch9wavefront6targetE0EEEvT1_
		.amdhsa_group_segment_fixed_size 0
		.amdhsa_private_segment_fixed_size 0
		.amdhsa_kernarg_size 112
		.amdhsa_user_sgpr_count 2
		.amdhsa_user_sgpr_dispatch_ptr 0
		.amdhsa_user_sgpr_queue_ptr 0
		.amdhsa_user_sgpr_kernarg_segment_ptr 1
		.amdhsa_user_sgpr_dispatch_id 0
		.amdhsa_user_sgpr_kernarg_preload_length 0
		.amdhsa_user_sgpr_kernarg_preload_offset 0
		.amdhsa_user_sgpr_private_segment_size 0
		.amdhsa_wavefront_size32 1
		.amdhsa_uses_dynamic_stack 0
		.amdhsa_enable_private_segment 0
		.amdhsa_system_sgpr_workgroup_id_x 1
		.amdhsa_system_sgpr_workgroup_id_y 0
		.amdhsa_system_sgpr_workgroup_id_z 0
		.amdhsa_system_sgpr_workgroup_info 0
		.amdhsa_system_vgpr_workitem_id 0
		.amdhsa_next_free_vgpr 1
		.amdhsa_next_free_sgpr 1
		.amdhsa_named_barrier_count 0
		.amdhsa_reserve_vcc 0
		.amdhsa_float_round_mode_32 0
		.amdhsa_float_round_mode_16_64 0
		.amdhsa_float_denorm_mode_32 3
		.amdhsa_float_denorm_mode_16_64 3
		.amdhsa_fp16_overflow 0
		.amdhsa_memory_ordered 1
		.amdhsa_forward_progress 1
		.amdhsa_inst_pref_size 0
		.amdhsa_round_robin_scheduling 0
		.amdhsa_exception_fp_ieee_invalid_op 0
		.amdhsa_exception_fp_denorm_src 0
		.amdhsa_exception_fp_ieee_div_zero 0
		.amdhsa_exception_fp_ieee_overflow 0
		.amdhsa_exception_fp_ieee_underflow 0
		.amdhsa_exception_fp_ieee_inexact 0
		.amdhsa_exception_int_div_zero 0
	.end_amdhsa_kernel
	.section	.text._ZN7rocprim17ROCPRIM_400000_NS6detail17trampoline_kernelINS0_14default_configENS1_27scan_by_key_config_selectorIssEEZZNS1_16scan_by_key_implILNS1_25lookback_scan_determinismE0ELb0ES3_N6thrust23THRUST_200600_302600_NS6detail15normal_iteratorINS9_10device_ptrIsEEEESE_SE_sNS9_10multipliesIsEENS9_8equal_toIsEEsEE10hipError_tPvRmT2_T3_T4_T5_mT6_T7_P12ihipStream_tbENKUlT_T0_E_clISt17integral_constantIbLb1EESZ_EEDaSU_SV_EUlSU_E_NS1_11comp_targetILNS1_3genE10ELNS1_11target_archE1201ELNS1_3gpuE5ELNS1_3repE0EEENS1_30default_config_static_selectorELNS0_4arch9wavefront6targetE0EEEvT1_,"axG",@progbits,_ZN7rocprim17ROCPRIM_400000_NS6detail17trampoline_kernelINS0_14default_configENS1_27scan_by_key_config_selectorIssEEZZNS1_16scan_by_key_implILNS1_25lookback_scan_determinismE0ELb0ES3_N6thrust23THRUST_200600_302600_NS6detail15normal_iteratorINS9_10device_ptrIsEEEESE_SE_sNS9_10multipliesIsEENS9_8equal_toIsEEsEE10hipError_tPvRmT2_T3_T4_T5_mT6_T7_P12ihipStream_tbENKUlT_T0_E_clISt17integral_constantIbLb1EESZ_EEDaSU_SV_EUlSU_E_NS1_11comp_targetILNS1_3genE10ELNS1_11target_archE1201ELNS1_3gpuE5ELNS1_3repE0EEENS1_30default_config_static_selectorELNS0_4arch9wavefront6targetE0EEEvT1_,comdat
.Lfunc_end291:
	.size	_ZN7rocprim17ROCPRIM_400000_NS6detail17trampoline_kernelINS0_14default_configENS1_27scan_by_key_config_selectorIssEEZZNS1_16scan_by_key_implILNS1_25lookback_scan_determinismE0ELb0ES3_N6thrust23THRUST_200600_302600_NS6detail15normal_iteratorINS9_10device_ptrIsEEEESE_SE_sNS9_10multipliesIsEENS9_8equal_toIsEEsEE10hipError_tPvRmT2_T3_T4_T5_mT6_T7_P12ihipStream_tbENKUlT_T0_E_clISt17integral_constantIbLb1EESZ_EEDaSU_SV_EUlSU_E_NS1_11comp_targetILNS1_3genE10ELNS1_11target_archE1201ELNS1_3gpuE5ELNS1_3repE0EEENS1_30default_config_static_selectorELNS0_4arch9wavefront6targetE0EEEvT1_, .Lfunc_end291-_ZN7rocprim17ROCPRIM_400000_NS6detail17trampoline_kernelINS0_14default_configENS1_27scan_by_key_config_selectorIssEEZZNS1_16scan_by_key_implILNS1_25lookback_scan_determinismE0ELb0ES3_N6thrust23THRUST_200600_302600_NS6detail15normal_iteratorINS9_10device_ptrIsEEEESE_SE_sNS9_10multipliesIsEENS9_8equal_toIsEEsEE10hipError_tPvRmT2_T3_T4_T5_mT6_T7_P12ihipStream_tbENKUlT_T0_E_clISt17integral_constantIbLb1EESZ_EEDaSU_SV_EUlSU_E_NS1_11comp_targetILNS1_3genE10ELNS1_11target_archE1201ELNS1_3gpuE5ELNS1_3repE0EEENS1_30default_config_static_selectorELNS0_4arch9wavefront6targetE0EEEvT1_
                                        ; -- End function
	.set _ZN7rocprim17ROCPRIM_400000_NS6detail17trampoline_kernelINS0_14default_configENS1_27scan_by_key_config_selectorIssEEZZNS1_16scan_by_key_implILNS1_25lookback_scan_determinismE0ELb0ES3_N6thrust23THRUST_200600_302600_NS6detail15normal_iteratorINS9_10device_ptrIsEEEESE_SE_sNS9_10multipliesIsEENS9_8equal_toIsEEsEE10hipError_tPvRmT2_T3_T4_T5_mT6_T7_P12ihipStream_tbENKUlT_T0_E_clISt17integral_constantIbLb1EESZ_EEDaSU_SV_EUlSU_E_NS1_11comp_targetILNS1_3genE10ELNS1_11target_archE1201ELNS1_3gpuE5ELNS1_3repE0EEENS1_30default_config_static_selectorELNS0_4arch9wavefront6targetE0EEEvT1_.num_vgpr, 0
	.set _ZN7rocprim17ROCPRIM_400000_NS6detail17trampoline_kernelINS0_14default_configENS1_27scan_by_key_config_selectorIssEEZZNS1_16scan_by_key_implILNS1_25lookback_scan_determinismE0ELb0ES3_N6thrust23THRUST_200600_302600_NS6detail15normal_iteratorINS9_10device_ptrIsEEEESE_SE_sNS9_10multipliesIsEENS9_8equal_toIsEEsEE10hipError_tPvRmT2_T3_T4_T5_mT6_T7_P12ihipStream_tbENKUlT_T0_E_clISt17integral_constantIbLb1EESZ_EEDaSU_SV_EUlSU_E_NS1_11comp_targetILNS1_3genE10ELNS1_11target_archE1201ELNS1_3gpuE5ELNS1_3repE0EEENS1_30default_config_static_selectorELNS0_4arch9wavefront6targetE0EEEvT1_.num_agpr, 0
	.set _ZN7rocprim17ROCPRIM_400000_NS6detail17trampoline_kernelINS0_14default_configENS1_27scan_by_key_config_selectorIssEEZZNS1_16scan_by_key_implILNS1_25lookback_scan_determinismE0ELb0ES3_N6thrust23THRUST_200600_302600_NS6detail15normal_iteratorINS9_10device_ptrIsEEEESE_SE_sNS9_10multipliesIsEENS9_8equal_toIsEEsEE10hipError_tPvRmT2_T3_T4_T5_mT6_T7_P12ihipStream_tbENKUlT_T0_E_clISt17integral_constantIbLb1EESZ_EEDaSU_SV_EUlSU_E_NS1_11comp_targetILNS1_3genE10ELNS1_11target_archE1201ELNS1_3gpuE5ELNS1_3repE0EEENS1_30default_config_static_selectorELNS0_4arch9wavefront6targetE0EEEvT1_.numbered_sgpr, 0
	.set _ZN7rocprim17ROCPRIM_400000_NS6detail17trampoline_kernelINS0_14default_configENS1_27scan_by_key_config_selectorIssEEZZNS1_16scan_by_key_implILNS1_25lookback_scan_determinismE0ELb0ES3_N6thrust23THRUST_200600_302600_NS6detail15normal_iteratorINS9_10device_ptrIsEEEESE_SE_sNS9_10multipliesIsEENS9_8equal_toIsEEsEE10hipError_tPvRmT2_T3_T4_T5_mT6_T7_P12ihipStream_tbENKUlT_T0_E_clISt17integral_constantIbLb1EESZ_EEDaSU_SV_EUlSU_E_NS1_11comp_targetILNS1_3genE10ELNS1_11target_archE1201ELNS1_3gpuE5ELNS1_3repE0EEENS1_30default_config_static_selectorELNS0_4arch9wavefront6targetE0EEEvT1_.num_named_barrier, 0
	.set _ZN7rocprim17ROCPRIM_400000_NS6detail17trampoline_kernelINS0_14default_configENS1_27scan_by_key_config_selectorIssEEZZNS1_16scan_by_key_implILNS1_25lookback_scan_determinismE0ELb0ES3_N6thrust23THRUST_200600_302600_NS6detail15normal_iteratorINS9_10device_ptrIsEEEESE_SE_sNS9_10multipliesIsEENS9_8equal_toIsEEsEE10hipError_tPvRmT2_T3_T4_T5_mT6_T7_P12ihipStream_tbENKUlT_T0_E_clISt17integral_constantIbLb1EESZ_EEDaSU_SV_EUlSU_E_NS1_11comp_targetILNS1_3genE10ELNS1_11target_archE1201ELNS1_3gpuE5ELNS1_3repE0EEENS1_30default_config_static_selectorELNS0_4arch9wavefront6targetE0EEEvT1_.private_seg_size, 0
	.set _ZN7rocprim17ROCPRIM_400000_NS6detail17trampoline_kernelINS0_14default_configENS1_27scan_by_key_config_selectorIssEEZZNS1_16scan_by_key_implILNS1_25lookback_scan_determinismE0ELb0ES3_N6thrust23THRUST_200600_302600_NS6detail15normal_iteratorINS9_10device_ptrIsEEEESE_SE_sNS9_10multipliesIsEENS9_8equal_toIsEEsEE10hipError_tPvRmT2_T3_T4_T5_mT6_T7_P12ihipStream_tbENKUlT_T0_E_clISt17integral_constantIbLb1EESZ_EEDaSU_SV_EUlSU_E_NS1_11comp_targetILNS1_3genE10ELNS1_11target_archE1201ELNS1_3gpuE5ELNS1_3repE0EEENS1_30default_config_static_selectorELNS0_4arch9wavefront6targetE0EEEvT1_.uses_vcc, 0
	.set _ZN7rocprim17ROCPRIM_400000_NS6detail17trampoline_kernelINS0_14default_configENS1_27scan_by_key_config_selectorIssEEZZNS1_16scan_by_key_implILNS1_25lookback_scan_determinismE0ELb0ES3_N6thrust23THRUST_200600_302600_NS6detail15normal_iteratorINS9_10device_ptrIsEEEESE_SE_sNS9_10multipliesIsEENS9_8equal_toIsEEsEE10hipError_tPvRmT2_T3_T4_T5_mT6_T7_P12ihipStream_tbENKUlT_T0_E_clISt17integral_constantIbLb1EESZ_EEDaSU_SV_EUlSU_E_NS1_11comp_targetILNS1_3genE10ELNS1_11target_archE1201ELNS1_3gpuE5ELNS1_3repE0EEENS1_30default_config_static_selectorELNS0_4arch9wavefront6targetE0EEEvT1_.uses_flat_scratch, 0
	.set _ZN7rocprim17ROCPRIM_400000_NS6detail17trampoline_kernelINS0_14default_configENS1_27scan_by_key_config_selectorIssEEZZNS1_16scan_by_key_implILNS1_25lookback_scan_determinismE0ELb0ES3_N6thrust23THRUST_200600_302600_NS6detail15normal_iteratorINS9_10device_ptrIsEEEESE_SE_sNS9_10multipliesIsEENS9_8equal_toIsEEsEE10hipError_tPvRmT2_T3_T4_T5_mT6_T7_P12ihipStream_tbENKUlT_T0_E_clISt17integral_constantIbLb1EESZ_EEDaSU_SV_EUlSU_E_NS1_11comp_targetILNS1_3genE10ELNS1_11target_archE1201ELNS1_3gpuE5ELNS1_3repE0EEENS1_30default_config_static_selectorELNS0_4arch9wavefront6targetE0EEEvT1_.has_dyn_sized_stack, 0
	.set _ZN7rocprim17ROCPRIM_400000_NS6detail17trampoline_kernelINS0_14default_configENS1_27scan_by_key_config_selectorIssEEZZNS1_16scan_by_key_implILNS1_25lookback_scan_determinismE0ELb0ES3_N6thrust23THRUST_200600_302600_NS6detail15normal_iteratorINS9_10device_ptrIsEEEESE_SE_sNS9_10multipliesIsEENS9_8equal_toIsEEsEE10hipError_tPvRmT2_T3_T4_T5_mT6_T7_P12ihipStream_tbENKUlT_T0_E_clISt17integral_constantIbLb1EESZ_EEDaSU_SV_EUlSU_E_NS1_11comp_targetILNS1_3genE10ELNS1_11target_archE1201ELNS1_3gpuE5ELNS1_3repE0EEENS1_30default_config_static_selectorELNS0_4arch9wavefront6targetE0EEEvT1_.has_recursion, 0
	.set _ZN7rocprim17ROCPRIM_400000_NS6detail17trampoline_kernelINS0_14default_configENS1_27scan_by_key_config_selectorIssEEZZNS1_16scan_by_key_implILNS1_25lookback_scan_determinismE0ELb0ES3_N6thrust23THRUST_200600_302600_NS6detail15normal_iteratorINS9_10device_ptrIsEEEESE_SE_sNS9_10multipliesIsEENS9_8equal_toIsEEsEE10hipError_tPvRmT2_T3_T4_T5_mT6_T7_P12ihipStream_tbENKUlT_T0_E_clISt17integral_constantIbLb1EESZ_EEDaSU_SV_EUlSU_E_NS1_11comp_targetILNS1_3genE10ELNS1_11target_archE1201ELNS1_3gpuE5ELNS1_3repE0EEENS1_30default_config_static_selectorELNS0_4arch9wavefront6targetE0EEEvT1_.has_indirect_call, 0
	.section	.AMDGPU.csdata,"",@progbits
; Kernel info:
; codeLenInByte = 0
; TotalNumSgprs: 0
; NumVgprs: 0
; ScratchSize: 0
; MemoryBound: 0
; FloatMode: 240
; IeeeMode: 1
; LDSByteSize: 0 bytes/workgroup (compile time only)
; SGPRBlocks: 0
; VGPRBlocks: 0
; NumSGPRsForWavesPerEU: 1
; NumVGPRsForWavesPerEU: 1
; NamedBarCnt: 0
; Occupancy: 16
; WaveLimiterHint : 0
; COMPUTE_PGM_RSRC2:SCRATCH_EN: 0
; COMPUTE_PGM_RSRC2:USER_SGPR: 2
; COMPUTE_PGM_RSRC2:TRAP_HANDLER: 0
; COMPUTE_PGM_RSRC2:TGID_X_EN: 1
; COMPUTE_PGM_RSRC2:TGID_Y_EN: 0
; COMPUTE_PGM_RSRC2:TGID_Z_EN: 0
; COMPUTE_PGM_RSRC2:TIDIG_COMP_CNT: 0
	.section	.text._ZN7rocprim17ROCPRIM_400000_NS6detail17trampoline_kernelINS0_14default_configENS1_27scan_by_key_config_selectorIssEEZZNS1_16scan_by_key_implILNS1_25lookback_scan_determinismE0ELb0ES3_N6thrust23THRUST_200600_302600_NS6detail15normal_iteratorINS9_10device_ptrIsEEEESE_SE_sNS9_10multipliesIsEENS9_8equal_toIsEEsEE10hipError_tPvRmT2_T3_T4_T5_mT6_T7_P12ihipStream_tbENKUlT_T0_E_clISt17integral_constantIbLb1EESZ_EEDaSU_SV_EUlSU_E_NS1_11comp_targetILNS1_3genE5ELNS1_11target_archE942ELNS1_3gpuE9ELNS1_3repE0EEENS1_30default_config_static_selectorELNS0_4arch9wavefront6targetE0EEEvT1_,"axG",@progbits,_ZN7rocprim17ROCPRIM_400000_NS6detail17trampoline_kernelINS0_14default_configENS1_27scan_by_key_config_selectorIssEEZZNS1_16scan_by_key_implILNS1_25lookback_scan_determinismE0ELb0ES3_N6thrust23THRUST_200600_302600_NS6detail15normal_iteratorINS9_10device_ptrIsEEEESE_SE_sNS9_10multipliesIsEENS9_8equal_toIsEEsEE10hipError_tPvRmT2_T3_T4_T5_mT6_T7_P12ihipStream_tbENKUlT_T0_E_clISt17integral_constantIbLb1EESZ_EEDaSU_SV_EUlSU_E_NS1_11comp_targetILNS1_3genE5ELNS1_11target_archE942ELNS1_3gpuE9ELNS1_3repE0EEENS1_30default_config_static_selectorELNS0_4arch9wavefront6targetE0EEEvT1_,comdat
	.protected	_ZN7rocprim17ROCPRIM_400000_NS6detail17trampoline_kernelINS0_14default_configENS1_27scan_by_key_config_selectorIssEEZZNS1_16scan_by_key_implILNS1_25lookback_scan_determinismE0ELb0ES3_N6thrust23THRUST_200600_302600_NS6detail15normal_iteratorINS9_10device_ptrIsEEEESE_SE_sNS9_10multipliesIsEENS9_8equal_toIsEEsEE10hipError_tPvRmT2_T3_T4_T5_mT6_T7_P12ihipStream_tbENKUlT_T0_E_clISt17integral_constantIbLb1EESZ_EEDaSU_SV_EUlSU_E_NS1_11comp_targetILNS1_3genE5ELNS1_11target_archE942ELNS1_3gpuE9ELNS1_3repE0EEENS1_30default_config_static_selectorELNS0_4arch9wavefront6targetE0EEEvT1_ ; -- Begin function _ZN7rocprim17ROCPRIM_400000_NS6detail17trampoline_kernelINS0_14default_configENS1_27scan_by_key_config_selectorIssEEZZNS1_16scan_by_key_implILNS1_25lookback_scan_determinismE0ELb0ES3_N6thrust23THRUST_200600_302600_NS6detail15normal_iteratorINS9_10device_ptrIsEEEESE_SE_sNS9_10multipliesIsEENS9_8equal_toIsEEsEE10hipError_tPvRmT2_T3_T4_T5_mT6_T7_P12ihipStream_tbENKUlT_T0_E_clISt17integral_constantIbLb1EESZ_EEDaSU_SV_EUlSU_E_NS1_11comp_targetILNS1_3genE5ELNS1_11target_archE942ELNS1_3gpuE9ELNS1_3repE0EEENS1_30default_config_static_selectorELNS0_4arch9wavefront6targetE0EEEvT1_
	.globl	_ZN7rocprim17ROCPRIM_400000_NS6detail17trampoline_kernelINS0_14default_configENS1_27scan_by_key_config_selectorIssEEZZNS1_16scan_by_key_implILNS1_25lookback_scan_determinismE0ELb0ES3_N6thrust23THRUST_200600_302600_NS6detail15normal_iteratorINS9_10device_ptrIsEEEESE_SE_sNS9_10multipliesIsEENS9_8equal_toIsEEsEE10hipError_tPvRmT2_T3_T4_T5_mT6_T7_P12ihipStream_tbENKUlT_T0_E_clISt17integral_constantIbLb1EESZ_EEDaSU_SV_EUlSU_E_NS1_11comp_targetILNS1_3genE5ELNS1_11target_archE942ELNS1_3gpuE9ELNS1_3repE0EEENS1_30default_config_static_selectorELNS0_4arch9wavefront6targetE0EEEvT1_
	.p2align	8
	.type	_ZN7rocprim17ROCPRIM_400000_NS6detail17trampoline_kernelINS0_14default_configENS1_27scan_by_key_config_selectorIssEEZZNS1_16scan_by_key_implILNS1_25lookback_scan_determinismE0ELb0ES3_N6thrust23THRUST_200600_302600_NS6detail15normal_iteratorINS9_10device_ptrIsEEEESE_SE_sNS9_10multipliesIsEENS9_8equal_toIsEEsEE10hipError_tPvRmT2_T3_T4_T5_mT6_T7_P12ihipStream_tbENKUlT_T0_E_clISt17integral_constantIbLb1EESZ_EEDaSU_SV_EUlSU_E_NS1_11comp_targetILNS1_3genE5ELNS1_11target_archE942ELNS1_3gpuE9ELNS1_3repE0EEENS1_30default_config_static_selectorELNS0_4arch9wavefront6targetE0EEEvT1_,@function
_ZN7rocprim17ROCPRIM_400000_NS6detail17trampoline_kernelINS0_14default_configENS1_27scan_by_key_config_selectorIssEEZZNS1_16scan_by_key_implILNS1_25lookback_scan_determinismE0ELb0ES3_N6thrust23THRUST_200600_302600_NS6detail15normal_iteratorINS9_10device_ptrIsEEEESE_SE_sNS9_10multipliesIsEENS9_8equal_toIsEEsEE10hipError_tPvRmT2_T3_T4_T5_mT6_T7_P12ihipStream_tbENKUlT_T0_E_clISt17integral_constantIbLb1EESZ_EEDaSU_SV_EUlSU_E_NS1_11comp_targetILNS1_3genE5ELNS1_11target_archE942ELNS1_3gpuE9ELNS1_3repE0EEENS1_30default_config_static_selectorELNS0_4arch9wavefront6targetE0EEEvT1_: ; @_ZN7rocprim17ROCPRIM_400000_NS6detail17trampoline_kernelINS0_14default_configENS1_27scan_by_key_config_selectorIssEEZZNS1_16scan_by_key_implILNS1_25lookback_scan_determinismE0ELb0ES3_N6thrust23THRUST_200600_302600_NS6detail15normal_iteratorINS9_10device_ptrIsEEEESE_SE_sNS9_10multipliesIsEENS9_8equal_toIsEEsEE10hipError_tPvRmT2_T3_T4_T5_mT6_T7_P12ihipStream_tbENKUlT_T0_E_clISt17integral_constantIbLb1EESZ_EEDaSU_SV_EUlSU_E_NS1_11comp_targetILNS1_3genE5ELNS1_11target_archE942ELNS1_3gpuE9ELNS1_3repE0EEENS1_30default_config_static_selectorELNS0_4arch9wavefront6targetE0EEEvT1_
; %bb.0:
	.section	.rodata,"a",@progbits
	.p2align	6, 0x0
	.amdhsa_kernel _ZN7rocprim17ROCPRIM_400000_NS6detail17trampoline_kernelINS0_14default_configENS1_27scan_by_key_config_selectorIssEEZZNS1_16scan_by_key_implILNS1_25lookback_scan_determinismE0ELb0ES3_N6thrust23THRUST_200600_302600_NS6detail15normal_iteratorINS9_10device_ptrIsEEEESE_SE_sNS9_10multipliesIsEENS9_8equal_toIsEEsEE10hipError_tPvRmT2_T3_T4_T5_mT6_T7_P12ihipStream_tbENKUlT_T0_E_clISt17integral_constantIbLb1EESZ_EEDaSU_SV_EUlSU_E_NS1_11comp_targetILNS1_3genE5ELNS1_11target_archE942ELNS1_3gpuE9ELNS1_3repE0EEENS1_30default_config_static_selectorELNS0_4arch9wavefront6targetE0EEEvT1_
		.amdhsa_group_segment_fixed_size 0
		.amdhsa_private_segment_fixed_size 0
		.amdhsa_kernarg_size 112
		.amdhsa_user_sgpr_count 2
		.amdhsa_user_sgpr_dispatch_ptr 0
		.amdhsa_user_sgpr_queue_ptr 0
		.amdhsa_user_sgpr_kernarg_segment_ptr 1
		.amdhsa_user_sgpr_dispatch_id 0
		.amdhsa_user_sgpr_kernarg_preload_length 0
		.amdhsa_user_sgpr_kernarg_preload_offset 0
		.amdhsa_user_sgpr_private_segment_size 0
		.amdhsa_wavefront_size32 1
		.amdhsa_uses_dynamic_stack 0
		.amdhsa_enable_private_segment 0
		.amdhsa_system_sgpr_workgroup_id_x 1
		.amdhsa_system_sgpr_workgroup_id_y 0
		.amdhsa_system_sgpr_workgroup_id_z 0
		.amdhsa_system_sgpr_workgroup_info 0
		.amdhsa_system_vgpr_workitem_id 0
		.amdhsa_next_free_vgpr 1
		.amdhsa_next_free_sgpr 1
		.amdhsa_named_barrier_count 0
		.amdhsa_reserve_vcc 0
		.amdhsa_float_round_mode_32 0
		.amdhsa_float_round_mode_16_64 0
		.amdhsa_float_denorm_mode_32 3
		.amdhsa_float_denorm_mode_16_64 3
		.amdhsa_fp16_overflow 0
		.amdhsa_memory_ordered 1
		.amdhsa_forward_progress 1
		.amdhsa_inst_pref_size 0
		.amdhsa_round_robin_scheduling 0
		.amdhsa_exception_fp_ieee_invalid_op 0
		.amdhsa_exception_fp_denorm_src 0
		.amdhsa_exception_fp_ieee_div_zero 0
		.amdhsa_exception_fp_ieee_overflow 0
		.amdhsa_exception_fp_ieee_underflow 0
		.amdhsa_exception_fp_ieee_inexact 0
		.amdhsa_exception_int_div_zero 0
	.end_amdhsa_kernel
	.section	.text._ZN7rocprim17ROCPRIM_400000_NS6detail17trampoline_kernelINS0_14default_configENS1_27scan_by_key_config_selectorIssEEZZNS1_16scan_by_key_implILNS1_25lookback_scan_determinismE0ELb0ES3_N6thrust23THRUST_200600_302600_NS6detail15normal_iteratorINS9_10device_ptrIsEEEESE_SE_sNS9_10multipliesIsEENS9_8equal_toIsEEsEE10hipError_tPvRmT2_T3_T4_T5_mT6_T7_P12ihipStream_tbENKUlT_T0_E_clISt17integral_constantIbLb1EESZ_EEDaSU_SV_EUlSU_E_NS1_11comp_targetILNS1_3genE5ELNS1_11target_archE942ELNS1_3gpuE9ELNS1_3repE0EEENS1_30default_config_static_selectorELNS0_4arch9wavefront6targetE0EEEvT1_,"axG",@progbits,_ZN7rocprim17ROCPRIM_400000_NS6detail17trampoline_kernelINS0_14default_configENS1_27scan_by_key_config_selectorIssEEZZNS1_16scan_by_key_implILNS1_25lookback_scan_determinismE0ELb0ES3_N6thrust23THRUST_200600_302600_NS6detail15normal_iteratorINS9_10device_ptrIsEEEESE_SE_sNS9_10multipliesIsEENS9_8equal_toIsEEsEE10hipError_tPvRmT2_T3_T4_T5_mT6_T7_P12ihipStream_tbENKUlT_T0_E_clISt17integral_constantIbLb1EESZ_EEDaSU_SV_EUlSU_E_NS1_11comp_targetILNS1_3genE5ELNS1_11target_archE942ELNS1_3gpuE9ELNS1_3repE0EEENS1_30default_config_static_selectorELNS0_4arch9wavefront6targetE0EEEvT1_,comdat
.Lfunc_end292:
	.size	_ZN7rocprim17ROCPRIM_400000_NS6detail17trampoline_kernelINS0_14default_configENS1_27scan_by_key_config_selectorIssEEZZNS1_16scan_by_key_implILNS1_25lookback_scan_determinismE0ELb0ES3_N6thrust23THRUST_200600_302600_NS6detail15normal_iteratorINS9_10device_ptrIsEEEESE_SE_sNS9_10multipliesIsEENS9_8equal_toIsEEsEE10hipError_tPvRmT2_T3_T4_T5_mT6_T7_P12ihipStream_tbENKUlT_T0_E_clISt17integral_constantIbLb1EESZ_EEDaSU_SV_EUlSU_E_NS1_11comp_targetILNS1_3genE5ELNS1_11target_archE942ELNS1_3gpuE9ELNS1_3repE0EEENS1_30default_config_static_selectorELNS0_4arch9wavefront6targetE0EEEvT1_, .Lfunc_end292-_ZN7rocprim17ROCPRIM_400000_NS6detail17trampoline_kernelINS0_14default_configENS1_27scan_by_key_config_selectorIssEEZZNS1_16scan_by_key_implILNS1_25lookback_scan_determinismE0ELb0ES3_N6thrust23THRUST_200600_302600_NS6detail15normal_iteratorINS9_10device_ptrIsEEEESE_SE_sNS9_10multipliesIsEENS9_8equal_toIsEEsEE10hipError_tPvRmT2_T3_T4_T5_mT6_T7_P12ihipStream_tbENKUlT_T0_E_clISt17integral_constantIbLb1EESZ_EEDaSU_SV_EUlSU_E_NS1_11comp_targetILNS1_3genE5ELNS1_11target_archE942ELNS1_3gpuE9ELNS1_3repE0EEENS1_30default_config_static_selectorELNS0_4arch9wavefront6targetE0EEEvT1_
                                        ; -- End function
	.set _ZN7rocprim17ROCPRIM_400000_NS6detail17trampoline_kernelINS0_14default_configENS1_27scan_by_key_config_selectorIssEEZZNS1_16scan_by_key_implILNS1_25lookback_scan_determinismE0ELb0ES3_N6thrust23THRUST_200600_302600_NS6detail15normal_iteratorINS9_10device_ptrIsEEEESE_SE_sNS9_10multipliesIsEENS9_8equal_toIsEEsEE10hipError_tPvRmT2_T3_T4_T5_mT6_T7_P12ihipStream_tbENKUlT_T0_E_clISt17integral_constantIbLb1EESZ_EEDaSU_SV_EUlSU_E_NS1_11comp_targetILNS1_3genE5ELNS1_11target_archE942ELNS1_3gpuE9ELNS1_3repE0EEENS1_30default_config_static_selectorELNS0_4arch9wavefront6targetE0EEEvT1_.num_vgpr, 0
	.set _ZN7rocprim17ROCPRIM_400000_NS6detail17trampoline_kernelINS0_14default_configENS1_27scan_by_key_config_selectorIssEEZZNS1_16scan_by_key_implILNS1_25lookback_scan_determinismE0ELb0ES3_N6thrust23THRUST_200600_302600_NS6detail15normal_iteratorINS9_10device_ptrIsEEEESE_SE_sNS9_10multipliesIsEENS9_8equal_toIsEEsEE10hipError_tPvRmT2_T3_T4_T5_mT6_T7_P12ihipStream_tbENKUlT_T0_E_clISt17integral_constantIbLb1EESZ_EEDaSU_SV_EUlSU_E_NS1_11comp_targetILNS1_3genE5ELNS1_11target_archE942ELNS1_3gpuE9ELNS1_3repE0EEENS1_30default_config_static_selectorELNS0_4arch9wavefront6targetE0EEEvT1_.num_agpr, 0
	.set _ZN7rocprim17ROCPRIM_400000_NS6detail17trampoline_kernelINS0_14default_configENS1_27scan_by_key_config_selectorIssEEZZNS1_16scan_by_key_implILNS1_25lookback_scan_determinismE0ELb0ES3_N6thrust23THRUST_200600_302600_NS6detail15normal_iteratorINS9_10device_ptrIsEEEESE_SE_sNS9_10multipliesIsEENS9_8equal_toIsEEsEE10hipError_tPvRmT2_T3_T4_T5_mT6_T7_P12ihipStream_tbENKUlT_T0_E_clISt17integral_constantIbLb1EESZ_EEDaSU_SV_EUlSU_E_NS1_11comp_targetILNS1_3genE5ELNS1_11target_archE942ELNS1_3gpuE9ELNS1_3repE0EEENS1_30default_config_static_selectorELNS0_4arch9wavefront6targetE0EEEvT1_.numbered_sgpr, 0
	.set _ZN7rocprim17ROCPRIM_400000_NS6detail17trampoline_kernelINS0_14default_configENS1_27scan_by_key_config_selectorIssEEZZNS1_16scan_by_key_implILNS1_25lookback_scan_determinismE0ELb0ES3_N6thrust23THRUST_200600_302600_NS6detail15normal_iteratorINS9_10device_ptrIsEEEESE_SE_sNS9_10multipliesIsEENS9_8equal_toIsEEsEE10hipError_tPvRmT2_T3_T4_T5_mT6_T7_P12ihipStream_tbENKUlT_T0_E_clISt17integral_constantIbLb1EESZ_EEDaSU_SV_EUlSU_E_NS1_11comp_targetILNS1_3genE5ELNS1_11target_archE942ELNS1_3gpuE9ELNS1_3repE0EEENS1_30default_config_static_selectorELNS0_4arch9wavefront6targetE0EEEvT1_.num_named_barrier, 0
	.set _ZN7rocprim17ROCPRIM_400000_NS6detail17trampoline_kernelINS0_14default_configENS1_27scan_by_key_config_selectorIssEEZZNS1_16scan_by_key_implILNS1_25lookback_scan_determinismE0ELb0ES3_N6thrust23THRUST_200600_302600_NS6detail15normal_iteratorINS9_10device_ptrIsEEEESE_SE_sNS9_10multipliesIsEENS9_8equal_toIsEEsEE10hipError_tPvRmT2_T3_T4_T5_mT6_T7_P12ihipStream_tbENKUlT_T0_E_clISt17integral_constantIbLb1EESZ_EEDaSU_SV_EUlSU_E_NS1_11comp_targetILNS1_3genE5ELNS1_11target_archE942ELNS1_3gpuE9ELNS1_3repE0EEENS1_30default_config_static_selectorELNS0_4arch9wavefront6targetE0EEEvT1_.private_seg_size, 0
	.set _ZN7rocprim17ROCPRIM_400000_NS6detail17trampoline_kernelINS0_14default_configENS1_27scan_by_key_config_selectorIssEEZZNS1_16scan_by_key_implILNS1_25lookback_scan_determinismE0ELb0ES3_N6thrust23THRUST_200600_302600_NS6detail15normal_iteratorINS9_10device_ptrIsEEEESE_SE_sNS9_10multipliesIsEENS9_8equal_toIsEEsEE10hipError_tPvRmT2_T3_T4_T5_mT6_T7_P12ihipStream_tbENKUlT_T0_E_clISt17integral_constantIbLb1EESZ_EEDaSU_SV_EUlSU_E_NS1_11comp_targetILNS1_3genE5ELNS1_11target_archE942ELNS1_3gpuE9ELNS1_3repE0EEENS1_30default_config_static_selectorELNS0_4arch9wavefront6targetE0EEEvT1_.uses_vcc, 0
	.set _ZN7rocprim17ROCPRIM_400000_NS6detail17trampoline_kernelINS0_14default_configENS1_27scan_by_key_config_selectorIssEEZZNS1_16scan_by_key_implILNS1_25lookback_scan_determinismE0ELb0ES3_N6thrust23THRUST_200600_302600_NS6detail15normal_iteratorINS9_10device_ptrIsEEEESE_SE_sNS9_10multipliesIsEENS9_8equal_toIsEEsEE10hipError_tPvRmT2_T3_T4_T5_mT6_T7_P12ihipStream_tbENKUlT_T0_E_clISt17integral_constantIbLb1EESZ_EEDaSU_SV_EUlSU_E_NS1_11comp_targetILNS1_3genE5ELNS1_11target_archE942ELNS1_3gpuE9ELNS1_3repE0EEENS1_30default_config_static_selectorELNS0_4arch9wavefront6targetE0EEEvT1_.uses_flat_scratch, 0
	.set _ZN7rocprim17ROCPRIM_400000_NS6detail17trampoline_kernelINS0_14default_configENS1_27scan_by_key_config_selectorIssEEZZNS1_16scan_by_key_implILNS1_25lookback_scan_determinismE0ELb0ES3_N6thrust23THRUST_200600_302600_NS6detail15normal_iteratorINS9_10device_ptrIsEEEESE_SE_sNS9_10multipliesIsEENS9_8equal_toIsEEsEE10hipError_tPvRmT2_T3_T4_T5_mT6_T7_P12ihipStream_tbENKUlT_T0_E_clISt17integral_constantIbLb1EESZ_EEDaSU_SV_EUlSU_E_NS1_11comp_targetILNS1_3genE5ELNS1_11target_archE942ELNS1_3gpuE9ELNS1_3repE0EEENS1_30default_config_static_selectorELNS0_4arch9wavefront6targetE0EEEvT1_.has_dyn_sized_stack, 0
	.set _ZN7rocprim17ROCPRIM_400000_NS6detail17trampoline_kernelINS0_14default_configENS1_27scan_by_key_config_selectorIssEEZZNS1_16scan_by_key_implILNS1_25lookback_scan_determinismE0ELb0ES3_N6thrust23THRUST_200600_302600_NS6detail15normal_iteratorINS9_10device_ptrIsEEEESE_SE_sNS9_10multipliesIsEENS9_8equal_toIsEEsEE10hipError_tPvRmT2_T3_T4_T5_mT6_T7_P12ihipStream_tbENKUlT_T0_E_clISt17integral_constantIbLb1EESZ_EEDaSU_SV_EUlSU_E_NS1_11comp_targetILNS1_3genE5ELNS1_11target_archE942ELNS1_3gpuE9ELNS1_3repE0EEENS1_30default_config_static_selectorELNS0_4arch9wavefront6targetE0EEEvT1_.has_recursion, 0
	.set _ZN7rocprim17ROCPRIM_400000_NS6detail17trampoline_kernelINS0_14default_configENS1_27scan_by_key_config_selectorIssEEZZNS1_16scan_by_key_implILNS1_25lookback_scan_determinismE0ELb0ES3_N6thrust23THRUST_200600_302600_NS6detail15normal_iteratorINS9_10device_ptrIsEEEESE_SE_sNS9_10multipliesIsEENS9_8equal_toIsEEsEE10hipError_tPvRmT2_T3_T4_T5_mT6_T7_P12ihipStream_tbENKUlT_T0_E_clISt17integral_constantIbLb1EESZ_EEDaSU_SV_EUlSU_E_NS1_11comp_targetILNS1_3genE5ELNS1_11target_archE942ELNS1_3gpuE9ELNS1_3repE0EEENS1_30default_config_static_selectorELNS0_4arch9wavefront6targetE0EEEvT1_.has_indirect_call, 0
	.section	.AMDGPU.csdata,"",@progbits
; Kernel info:
; codeLenInByte = 0
; TotalNumSgprs: 0
; NumVgprs: 0
; ScratchSize: 0
; MemoryBound: 0
; FloatMode: 240
; IeeeMode: 1
; LDSByteSize: 0 bytes/workgroup (compile time only)
; SGPRBlocks: 0
; VGPRBlocks: 0
; NumSGPRsForWavesPerEU: 1
; NumVGPRsForWavesPerEU: 1
; NamedBarCnt: 0
; Occupancy: 16
; WaveLimiterHint : 0
; COMPUTE_PGM_RSRC2:SCRATCH_EN: 0
; COMPUTE_PGM_RSRC2:USER_SGPR: 2
; COMPUTE_PGM_RSRC2:TRAP_HANDLER: 0
; COMPUTE_PGM_RSRC2:TGID_X_EN: 1
; COMPUTE_PGM_RSRC2:TGID_Y_EN: 0
; COMPUTE_PGM_RSRC2:TGID_Z_EN: 0
; COMPUTE_PGM_RSRC2:TIDIG_COMP_CNT: 0
	.section	.text._ZN7rocprim17ROCPRIM_400000_NS6detail17trampoline_kernelINS0_14default_configENS1_27scan_by_key_config_selectorIssEEZZNS1_16scan_by_key_implILNS1_25lookback_scan_determinismE0ELb0ES3_N6thrust23THRUST_200600_302600_NS6detail15normal_iteratorINS9_10device_ptrIsEEEESE_SE_sNS9_10multipliesIsEENS9_8equal_toIsEEsEE10hipError_tPvRmT2_T3_T4_T5_mT6_T7_P12ihipStream_tbENKUlT_T0_E_clISt17integral_constantIbLb1EESZ_EEDaSU_SV_EUlSU_E_NS1_11comp_targetILNS1_3genE4ELNS1_11target_archE910ELNS1_3gpuE8ELNS1_3repE0EEENS1_30default_config_static_selectorELNS0_4arch9wavefront6targetE0EEEvT1_,"axG",@progbits,_ZN7rocprim17ROCPRIM_400000_NS6detail17trampoline_kernelINS0_14default_configENS1_27scan_by_key_config_selectorIssEEZZNS1_16scan_by_key_implILNS1_25lookback_scan_determinismE0ELb0ES3_N6thrust23THRUST_200600_302600_NS6detail15normal_iteratorINS9_10device_ptrIsEEEESE_SE_sNS9_10multipliesIsEENS9_8equal_toIsEEsEE10hipError_tPvRmT2_T3_T4_T5_mT6_T7_P12ihipStream_tbENKUlT_T0_E_clISt17integral_constantIbLb1EESZ_EEDaSU_SV_EUlSU_E_NS1_11comp_targetILNS1_3genE4ELNS1_11target_archE910ELNS1_3gpuE8ELNS1_3repE0EEENS1_30default_config_static_selectorELNS0_4arch9wavefront6targetE0EEEvT1_,comdat
	.protected	_ZN7rocprim17ROCPRIM_400000_NS6detail17trampoline_kernelINS0_14default_configENS1_27scan_by_key_config_selectorIssEEZZNS1_16scan_by_key_implILNS1_25lookback_scan_determinismE0ELb0ES3_N6thrust23THRUST_200600_302600_NS6detail15normal_iteratorINS9_10device_ptrIsEEEESE_SE_sNS9_10multipliesIsEENS9_8equal_toIsEEsEE10hipError_tPvRmT2_T3_T4_T5_mT6_T7_P12ihipStream_tbENKUlT_T0_E_clISt17integral_constantIbLb1EESZ_EEDaSU_SV_EUlSU_E_NS1_11comp_targetILNS1_3genE4ELNS1_11target_archE910ELNS1_3gpuE8ELNS1_3repE0EEENS1_30default_config_static_selectorELNS0_4arch9wavefront6targetE0EEEvT1_ ; -- Begin function _ZN7rocprim17ROCPRIM_400000_NS6detail17trampoline_kernelINS0_14default_configENS1_27scan_by_key_config_selectorIssEEZZNS1_16scan_by_key_implILNS1_25lookback_scan_determinismE0ELb0ES3_N6thrust23THRUST_200600_302600_NS6detail15normal_iteratorINS9_10device_ptrIsEEEESE_SE_sNS9_10multipliesIsEENS9_8equal_toIsEEsEE10hipError_tPvRmT2_T3_T4_T5_mT6_T7_P12ihipStream_tbENKUlT_T0_E_clISt17integral_constantIbLb1EESZ_EEDaSU_SV_EUlSU_E_NS1_11comp_targetILNS1_3genE4ELNS1_11target_archE910ELNS1_3gpuE8ELNS1_3repE0EEENS1_30default_config_static_selectorELNS0_4arch9wavefront6targetE0EEEvT1_
	.globl	_ZN7rocprim17ROCPRIM_400000_NS6detail17trampoline_kernelINS0_14default_configENS1_27scan_by_key_config_selectorIssEEZZNS1_16scan_by_key_implILNS1_25lookback_scan_determinismE0ELb0ES3_N6thrust23THRUST_200600_302600_NS6detail15normal_iteratorINS9_10device_ptrIsEEEESE_SE_sNS9_10multipliesIsEENS9_8equal_toIsEEsEE10hipError_tPvRmT2_T3_T4_T5_mT6_T7_P12ihipStream_tbENKUlT_T0_E_clISt17integral_constantIbLb1EESZ_EEDaSU_SV_EUlSU_E_NS1_11comp_targetILNS1_3genE4ELNS1_11target_archE910ELNS1_3gpuE8ELNS1_3repE0EEENS1_30default_config_static_selectorELNS0_4arch9wavefront6targetE0EEEvT1_
	.p2align	8
	.type	_ZN7rocprim17ROCPRIM_400000_NS6detail17trampoline_kernelINS0_14default_configENS1_27scan_by_key_config_selectorIssEEZZNS1_16scan_by_key_implILNS1_25lookback_scan_determinismE0ELb0ES3_N6thrust23THRUST_200600_302600_NS6detail15normal_iteratorINS9_10device_ptrIsEEEESE_SE_sNS9_10multipliesIsEENS9_8equal_toIsEEsEE10hipError_tPvRmT2_T3_T4_T5_mT6_T7_P12ihipStream_tbENKUlT_T0_E_clISt17integral_constantIbLb1EESZ_EEDaSU_SV_EUlSU_E_NS1_11comp_targetILNS1_3genE4ELNS1_11target_archE910ELNS1_3gpuE8ELNS1_3repE0EEENS1_30default_config_static_selectorELNS0_4arch9wavefront6targetE0EEEvT1_,@function
_ZN7rocprim17ROCPRIM_400000_NS6detail17trampoline_kernelINS0_14default_configENS1_27scan_by_key_config_selectorIssEEZZNS1_16scan_by_key_implILNS1_25lookback_scan_determinismE0ELb0ES3_N6thrust23THRUST_200600_302600_NS6detail15normal_iteratorINS9_10device_ptrIsEEEESE_SE_sNS9_10multipliesIsEENS9_8equal_toIsEEsEE10hipError_tPvRmT2_T3_T4_T5_mT6_T7_P12ihipStream_tbENKUlT_T0_E_clISt17integral_constantIbLb1EESZ_EEDaSU_SV_EUlSU_E_NS1_11comp_targetILNS1_3genE4ELNS1_11target_archE910ELNS1_3gpuE8ELNS1_3repE0EEENS1_30default_config_static_selectorELNS0_4arch9wavefront6targetE0EEEvT1_: ; @_ZN7rocprim17ROCPRIM_400000_NS6detail17trampoline_kernelINS0_14default_configENS1_27scan_by_key_config_selectorIssEEZZNS1_16scan_by_key_implILNS1_25lookback_scan_determinismE0ELb0ES3_N6thrust23THRUST_200600_302600_NS6detail15normal_iteratorINS9_10device_ptrIsEEEESE_SE_sNS9_10multipliesIsEENS9_8equal_toIsEEsEE10hipError_tPvRmT2_T3_T4_T5_mT6_T7_P12ihipStream_tbENKUlT_T0_E_clISt17integral_constantIbLb1EESZ_EEDaSU_SV_EUlSU_E_NS1_11comp_targetILNS1_3genE4ELNS1_11target_archE910ELNS1_3gpuE8ELNS1_3repE0EEENS1_30default_config_static_selectorELNS0_4arch9wavefront6targetE0EEEvT1_
; %bb.0:
	.section	.rodata,"a",@progbits
	.p2align	6, 0x0
	.amdhsa_kernel _ZN7rocprim17ROCPRIM_400000_NS6detail17trampoline_kernelINS0_14default_configENS1_27scan_by_key_config_selectorIssEEZZNS1_16scan_by_key_implILNS1_25lookback_scan_determinismE0ELb0ES3_N6thrust23THRUST_200600_302600_NS6detail15normal_iteratorINS9_10device_ptrIsEEEESE_SE_sNS9_10multipliesIsEENS9_8equal_toIsEEsEE10hipError_tPvRmT2_T3_T4_T5_mT6_T7_P12ihipStream_tbENKUlT_T0_E_clISt17integral_constantIbLb1EESZ_EEDaSU_SV_EUlSU_E_NS1_11comp_targetILNS1_3genE4ELNS1_11target_archE910ELNS1_3gpuE8ELNS1_3repE0EEENS1_30default_config_static_selectorELNS0_4arch9wavefront6targetE0EEEvT1_
		.amdhsa_group_segment_fixed_size 0
		.amdhsa_private_segment_fixed_size 0
		.amdhsa_kernarg_size 112
		.amdhsa_user_sgpr_count 2
		.amdhsa_user_sgpr_dispatch_ptr 0
		.amdhsa_user_sgpr_queue_ptr 0
		.amdhsa_user_sgpr_kernarg_segment_ptr 1
		.amdhsa_user_sgpr_dispatch_id 0
		.amdhsa_user_sgpr_kernarg_preload_length 0
		.amdhsa_user_sgpr_kernarg_preload_offset 0
		.amdhsa_user_sgpr_private_segment_size 0
		.amdhsa_wavefront_size32 1
		.amdhsa_uses_dynamic_stack 0
		.amdhsa_enable_private_segment 0
		.amdhsa_system_sgpr_workgroup_id_x 1
		.amdhsa_system_sgpr_workgroup_id_y 0
		.amdhsa_system_sgpr_workgroup_id_z 0
		.amdhsa_system_sgpr_workgroup_info 0
		.amdhsa_system_vgpr_workitem_id 0
		.amdhsa_next_free_vgpr 1
		.amdhsa_next_free_sgpr 1
		.amdhsa_named_barrier_count 0
		.amdhsa_reserve_vcc 0
		.amdhsa_float_round_mode_32 0
		.amdhsa_float_round_mode_16_64 0
		.amdhsa_float_denorm_mode_32 3
		.amdhsa_float_denorm_mode_16_64 3
		.amdhsa_fp16_overflow 0
		.amdhsa_memory_ordered 1
		.amdhsa_forward_progress 1
		.amdhsa_inst_pref_size 0
		.amdhsa_round_robin_scheduling 0
		.amdhsa_exception_fp_ieee_invalid_op 0
		.amdhsa_exception_fp_denorm_src 0
		.amdhsa_exception_fp_ieee_div_zero 0
		.amdhsa_exception_fp_ieee_overflow 0
		.amdhsa_exception_fp_ieee_underflow 0
		.amdhsa_exception_fp_ieee_inexact 0
		.amdhsa_exception_int_div_zero 0
	.end_amdhsa_kernel
	.section	.text._ZN7rocprim17ROCPRIM_400000_NS6detail17trampoline_kernelINS0_14default_configENS1_27scan_by_key_config_selectorIssEEZZNS1_16scan_by_key_implILNS1_25lookback_scan_determinismE0ELb0ES3_N6thrust23THRUST_200600_302600_NS6detail15normal_iteratorINS9_10device_ptrIsEEEESE_SE_sNS9_10multipliesIsEENS9_8equal_toIsEEsEE10hipError_tPvRmT2_T3_T4_T5_mT6_T7_P12ihipStream_tbENKUlT_T0_E_clISt17integral_constantIbLb1EESZ_EEDaSU_SV_EUlSU_E_NS1_11comp_targetILNS1_3genE4ELNS1_11target_archE910ELNS1_3gpuE8ELNS1_3repE0EEENS1_30default_config_static_selectorELNS0_4arch9wavefront6targetE0EEEvT1_,"axG",@progbits,_ZN7rocprim17ROCPRIM_400000_NS6detail17trampoline_kernelINS0_14default_configENS1_27scan_by_key_config_selectorIssEEZZNS1_16scan_by_key_implILNS1_25lookback_scan_determinismE0ELb0ES3_N6thrust23THRUST_200600_302600_NS6detail15normal_iteratorINS9_10device_ptrIsEEEESE_SE_sNS9_10multipliesIsEENS9_8equal_toIsEEsEE10hipError_tPvRmT2_T3_T4_T5_mT6_T7_P12ihipStream_tbENKUlT_T0_E_clISt17integral_constantIbLb1EESZ_EEDaSU_SV_EUlSU_E_NS1_11comp_targetILNS1_3genE4ELNS1_11target_archE910ELNS1_3gpuE8ELNS1_3repE0EEENS1_30default_config_static_selectorELNS0_4arch9wavefront6targetE0EEEvT1_,comdat
.Lfunc_end293:
	.size	_ZN7rocprim17ROCPRIM_400000_NS6detail17trampoline_kernelINS0_14default_configENS1_27scan_by_key_config_selectorIssEEZZNS1_16scan_by_key_implILNS1_25lookback_scan_determinismE0ELb0ES3_N6thrust23THRUST_200600_302600_NS6detail15normal_iteratorINS9_10device_ptrIsEEEESE_SE_sNS9_10multipliesIsEENS9_8equal_toIsEEsEE10hipError_tPvRmT2_T3_T4_T5_mT6_T7_P12ihipStream_tbENKUlT_T0_E_clISt17integral_constantIbLb1EESZ_EEDaSU_SV_EUlSU_E_NS1_11comp_targetILNS1_3genE4ELNS1_11target_archE910ELNS1_3gpuE8ELNS1_3repE0EEENS1_30default_config_static_selectorELNS0_4arch9wavefront6targetE0EEEvT1_, .Lfunc_end293-_ZN7rocprim17ROCPRIM_400000_NS6detail17trampoline_kernelINS0_14default_configENS1_27scan_by_key_config_selectorIssEEZZNS1_16scan_by_key_implILNS1_25lookback_scan_determinismE0ELb0ES3_N6thrust23THRUST_200600_302600_NS6detail15normal_iteratorINS9_10device_ptrIsEEEESE_SE_sNS9_10multipliesIsEENS9_8equal_toIsEEsEE10hipError_tPvRmT2_T3_T4_T5_mT6_T7_P12ihipStream_tbENKUlT_T0_E_clISt17integral_constantIbLb1EESZ_EEDaSU_SV_EUlSU_E_NS1_11comp_targetILNS1_3genE4ELNS1_11target_archE910ELNS1_3gpuE8ELNS1_3repE0EEENS1_30default_config_static_selectorELNS0_4arch9wavefront6targetE0EEEvT1_
                                        ; -- End function
	.set _ZN7rocprim17ROCPRIM_400000_NS6detail17trampoline_kernelINS0_14default_configENS1_27scan_by_key_config_selectorIssEEZZNS1_16scan_by_key_implILNS1_25lookback_scan_determinismE0ELb0ES3_N6thrust23THRUST_200600_302600_NS6detail15normal_iteratorINS9_10device_ptrIsEEEESE_SE_sNS9_10multipliesIsEENS9_8equal_toIsEEsEE10hipError_tPvRmT2_T3_T4_T5_mT6_T7_P12ihipStream_tbENKUlT_T0_E_clISt17integral_constantIbLb1EESZ_EEDaSU_SV_EUlSU_E_NS1_11comp_targetILNS1_3genE4ELNS1_11target_archE910ELNS1_3gpuE8ELNS1_3repE0EEENS1_30default_config_static_selectorELNS0_4arch9wavefront6targetE0EEEvT1_.num_vgpr, 0
	.set _ZN7rocprim17ROCPRIM_400000_NS6detail17trampoline_kernelINS0_14default_configENS1_27scan_by_key_config_selectorIssEEZZNS1_16scan_by_key_implILNS1_25lookback_scan_determinismE0ELb0ES3_N6thrust23THRUST_200600_302600_NS6detail15normal_iteratorINS9_10device_ptrIsEEEESE_SE_sNS9_10multipliesIsEENS9_8equal_toIsEEsEE10hipError_tPvRmT2_T3_T4_T5_mT6_T7_P12ihipStream_tbENKUlT_T0_E_clISt17integral_constantIbLb1EESZ_EEDaSU_SV_EUlSU_E_NS1_11comp_targetILNS1_3genE4ELNS1_11target_archE910ELNS1_3gpuE8ELNS1_3repE0EEENS1_30default_config_static_selectorELNS0_4arch9wavefront6targetE0EEEvT1_.num_agpr, 0
	.set _ZN7rocprim17ROCPRIM_400000_NS6detail17trampoline_kernelINS0_14default_configENS1_27scan_by_key_config_selectorIssEEZZNS1_16scan_by_key_implILNS1_25lookback_scan_determinismE0ELb0ES3_N6thrust23THRUST_200600_302600_NS6detail15normal_iteratorINS9_10device_ptrIsEEEESE_SE_sNS9_10multipliesIsEENS9_8equal_toIsEEsEE10hipError_tPvRmT2_T3_T4_T5_mT6_T7_P12ihipStream_tbENKUlT_T0_E_clISt17integral_constantIbLb1EESZ_EEDaSU_SV_EUlSU_E_NS1_11comp_targetILNS1_3genE4ELNS1_11target_archE910ELNS1_3gpuE8ELNS1_3repE0EEENS1_30default_config_static_selectorELNS0_4arch9wavefront6targetE0EEEvT1_.numbered_sgpr, 0
	.set _ZN7rocprim17ROCPRIM_400000_NS6detail17trampoline_kernelINS0_14default_configENS1_27scan_by_key_config_selectorIssEEZZNS1_16scan_by_key_implILNS1_25lookback_scan_determinismE0ELb0ES3_N6thrust23THRUST_200600_302600_NS6detail15normal_iteratorINS9_10device_ptrIsEEEESE_SE_sNS9_10multipliesIsEENS9_8equal_toIsEEsEE10hipError_tPvRmT2_T3_T4_T5_mT6_T7_P12ihipStream_tbENKUlT_T0_E_clISt17integral_constantIbLb1EESZ_EEDaSU_SV_EUlSU_E_NS1_11comp_targetILNS1_3genE4ELNS1_11target_archE910ELNS1_3gpuE8ELNS1_3repE0EEENS1_30default_config_static_selectorELNS0_4arch9wavefront6targetE0EEEvT1_.num_named_barrier, 0
	.set _ZN7rocprim17ROCPRIM_400000_NS6detail17trampoline_kernelINS0_14default_configENS1_27scan_by_key_config_selectorIssEEZZNS1_16scan_by_key_implILNS1_25lookback_scan_determinismE0ELb0ES3_N6thrust23THRUST_200600_302600_NS6detail15normal_iteratorINS9_10device_ptrIsEEEESE_SE_sNS9_10multipliesIsEENS9_8equal_toIsEEsEE10hipError_tPvRmT2_T3_T4_T5_mT6_T7_P12ihipStream_tbENKUlT_T0_E_clISt17integral_constantIbLb1EESZ_EEDaSU_SV_EUlSU_E_NS1_11comp_targetILNS1_3genE4ELNS1_11target_archE910ELNS1_3gpuE8ELNS1_3repE0EEENS1_30default_config_static_selectorELNS0_4arch9wavefront6targetE0EEEvT1_.private_seg_size, 0
	.set _ZN7rocprim17ROCPRIM_400000_NS6detail17trampoline_kernelINS0_14default_configENS1_27scan_by_key_config_selectorIssEEZZNS1_16scan_by_key_implILNS1_25lookback_scan_determinismE0ELb0ES3_N6thrust23THRUST_200600_302600_NS6detail15normal_iteratorINS9_10device_ptrIsEEEESE_SE_sNS9_10multipliesIsEENS9_8equal_toIsEEsEE10hipError_tPvRmT2_T3_T4_T5_mT6_T7_P12ihipStream_tbENKUlT_T0_E_clISt17integral_constantIbLb1EESZ_EEDaSU_SV_EUlSU_E_NS1_11comp_targetILNS1_3genE4ELNS1_11target_archE910ELNS1_3gpuE8ELNS1_3repE0EEENS1_30default_config_static_selectorELNS0_4arch9wavefront6targetE0EEEvT1_.uses_vcc, 0
	.set _ZN7rocprim17ROCPRIM_400000_NS6detail17trampoline_kernelINS0_14default_configENS1_27scan_by_key_config_selectorIssEEZZNS1_16scan_by_key_implILNS1_25lookback_scan_determinismE0ELb0ES3_N6thrust23THRUST_200600_302600_NS6detail15normal_iteratorINS9_10device_ptrIsEEEESE_SE_sNS9_10multipliesIsEENS9_8equal_toIsEEsEE10hipError_tPvRmT2_T3_T4_T5_mT6_T7_P12ihipStream_tbENKUlT_T0_E_clISt17integral_constantIbLb1EESZ_EEDaSU_SV_EUlSU_E_NS1_11comp_targetILNS1_3genE4ELNS1_11target_archE910ELNS1_3gpuE8ELNS1_3repE0EEENS1_30default_config_static_selectorELNS0_4arch9wavefront6targetE0EEEvT1_.uses_flat_scratch, 0
	.set _ZN7rocprim17ROCPRIM_400000_NS6detail17trampoline_kernelINS0_14default_configENS1_27scan_by_key_config_selectorIssEEZZNS1_16scan_by_key_implILNS1_25lookback_scan_determinismE0ELb0ES3_N6thrust23THRUST_200600_302600_NS6detail15normal_iteratorINS9_10device_ptrIsEEEESE_SE_sNS9_10multipliesIsEENS9_8equal_toIsEEsEE10hipError_tPvRmT2_T3_T4_T5_mT6_T7_P12ihipStream_tbENKUlT_T0_E_clISt17integral_constantIbLb1EESZ_EEDaSU_SV_EUlSU_E_NS1_11comp_targetILNS1_3genE4ELNS1_11target_archE910ELNS1_3gpuE8ELNS1_3repE0EEENS1_30default_config_static_selectorELNS0_4arch9wavefront6targetE0EEEvT1_.has_dyn_sized_stack, 0
	.set _ZN7rocprim17ROCPRIM_400000_NS6detail17trampoline_kernelINS0_14default_configENS1_27scan_by_key_config_selectorIssEEZZNS1_16scan_by_key_implILNS1_25lookback_scan_determinismE0ELb0ES3_N6thrust23THRUST_200600_302600_NS6detail15normal_iteratorINS9_10device_ptrIsEEEESE_SE_sNS9_10multipliesIsEENS9_8equal_toIsEEsEE10hipError_tPvRmT2_T3_T4_T5_mT6_T7_P12ihipStream_tbENKUlT_T0_E_clISt17integral_constantIbLb1EESZ_EEDaSU_SV_EUlSU_E_NS1_11comp_targetILNS1_3genE4ELNS1_11target_archE910ELNS1_3gpuE8ELNS1_3repE0EEENS1_30default_config_static_selectorELNS0_4arch9wavefront6targetE0EEEvT1_.has_recursion, 0
	.set _ZN7rocprim17ROCPRIM_400000_NS6detail17trampoline_kernelINS0_14default_configENS1_27scan_by_key_config_selectorIssEEZZNS1_16scan_by_key_implILNS1_25lookback_scan_determinismE0ELb0ES3_N6thrust23THRUST_200600_302600_NS6detail15normal_iteratorINS9_10device_ptrIsEEEESE_SE_sNS9_10multipliesIsEENS9_8equal_toIsEEsEE10hipError_tPvRmT2_T3_T4_T5_mT6_T7_P12ihipStream_tbENKUlT_T0_E_clISt17integral_constantIbLb1EESZ_EEDaSU_SV_EUlSU_E_NS1_11comp_targetILNS1_3genE4ELNS1_11target_archE910ELNS1_3gpuE8ELNS1_3repE0EEENS1_30default_config_static_selectorELNS0_4arch9wavefront6targetE0EEEvT1_.has_indirect_call, 0
	.section	.AMDGPU.csdata,"",@progbits
; Kernel info:
; codeLenInByte = 0
; TotalNumSgprs: 0
; NumVgprs: 0
; ScratchSize: 0
; MemoryBound: 0
; FloatMode: 240
; IeeeMode: 1
; LDSByteSize: 0 bytes/workgroup (compile time only)
; SGPRBlocks: 0
; VGPRBlocks: 0
; NumSGPRsForWavesPerEU: 1
; NumVGPRsForWavesPerEU: 1
; NamedBarCnt: 0
; Occupancy: 16
; WaveLimiterHint : 0
; COMPUTE_PGM_RSRC2:SCRATCH_EN: 0
; COMPUTE_PGM_RSRC2:USER_SGPR: 2
; COMPUTE_PGM_RSRC2:TRAP_HANDLER: 0
; COMPUTE_PGM_RSRC2:TGID_X_EN: 1
; COMPUTE_PGM_RSRC2:TGID_Y_EN: 0
; COMPUTE_PGM_RSRC2:TGID_Z_EN: 0
; COMPUTE_PGM_RSRC2:TIDIG_COMP_CNT: 0
	.section	.text._ZN7rocprim17ROCPRIM_400000_NS6detail17trampoline_kernelINS0_14default_configENS1_27scan_by_key_config_selectorIssEEZZNS1_16scan_by_key_implILNS1_25lookback_scan_determinismE0ELb0ES3_N6thrust23THRUST_200600_302600_NS6detail15normal_iteratorINS9_10device_ptrIsEEEESE_SE_sNS9_10multipliesIsEENS9_8equal_toIsEEsEE10hipError_tPvRmT2_T3_T4_T5_mT6_T7_P12ihipStream_tbENKUlT_T0_E_clISt17integral_constantIbLb1EESZ_EEDaSU_SV_EUlSU_E_NS1_11comp_targetILNS1_3genE3ELNS1_11target_archE908ELNS1_3gpuE7ELNS1_3repE0EEENS1_30default_config_static_selectorELNS0_4arch9wavefront6targetE0EEEvT1_,"axG",@progbits,_ZN7rocprim17ROCPRIM_400000_NS6detail17trampoline_kernelINS0_14default_configENS1_27scan_by_key_config_selectorIssEEZZNS1_16scan_by_key_implILNS1_25lookback_scan_determinismE0ELb0ES3_N6thrust23THRUST_200600_302600_NS6detail15normal_iteratorINS9_10device_ptrIsEEEESE_SE_sNS9_10multipliesIsEENS9_8equal_toIsEEsEE10hipError_tPvRmT2_T3_T4_T5_mT6_T7_P12ihipStream_tbENKUlT_T0_E_clISt17integral_constantIbLb1EESZ_EEDaSU_SV_EUlSU_E_NS1_11comp_targetILNS1_3genE3ELNS1_11target_archE908ELNS1_3gpuE7ELNS1_3repE0EEENS1_30default_config_static_selectorELNS0_4arch9wavefront6targetE0EEEvT1_,comdat
	.protected	_ZN7rocprim17ROCPRIM_400000_NS6detail17trampoline_kernelINS0_14default_configENS1_27scan_by_key_config_selectorIssEEZZNS1_16scan_by_key_implILNS1_25lookback_scan_determinismE0ELb0ES3_N6thrust23THRUST_200600_302600_NS6detail15normal_iteratorINS9_10device_ptrIsEEEESE_SE_sNS9_10multipliesIsEENS9_8equal_toIsEEsEE10hipError_tPvRmT2_T3_T4_T5_mT6_T7_P12ihipStream_tbENKUlT_T0_E_clISt17integral_constantIbLb1EESZ_EEDaSU_SV_EUlSU_E_NS1_11comp_targetILNS1_3genE3ELNS1_11target_archE908ELNS1_3gpuE7ELNS1_3repE0EEENS1_30default_config_static_selectorELNS0_4arch9wavefront6targetE0EEEvT1_ ; -- Begin function _ZN7rocprim17ROCPRIM_400000_NS6detail17trampoline_kernelINS0_14default_configENS1_27scan_by_key_config_selectorIssEEZZNS1_16scan_by_key_implILNS1_25lookback_scan_determinismE0ELb0ES3_N6thrust23THRUST_200600_302600_NS6detail15normal_iteratorINS9_10device_ptrIsEEEESE_SE_sNS9_10multipliesIsEENS9_8equal_toIsEEsEE10hipError_tPvRmT2_T3_T4_T5_mT6_T7_P12ihipStream_tbENKUlT_T0_E_clISt17integral_constantIbLb1EESZ_EEDaSU_SV_EUlSU_E_NS1_11comp_targetILNS1_3genE3ELNS1_11target_archE908ELNS1_3gpuE7ELNS1_3repE0EEENS1_30default_config_static_selectorELNS0_4arch9wavefront6targetE0EEEvT1_
	.globl	_ZN7rocprim17ROCPRIM_400000_NS6detail17trampoline_kernelINS0_14default_configENS1_27scan_by_key_config_selectorIssEEZZNS1_16scan_by_key_implILNS1_25lookback_scan_determinismE0ELb0ES3_N6thrust23THRUST_200600_302600_NS6detail15normal_iteratorINS9_10device_ptrIsEEEESE_SE_sNS9_10multipliesIsEENS9_8equal_toIsEEsEE10hipError_tPvRmT2_T3_T4_T5_mT6_T7_P12ihipStream_tbENKUlT_T0_E_clISt17integral_constantIbLb1EESZ_EEDaSU_SV_EUlSU_E_NS1_11comp_targetILNS1_3genE3ELNS1_11target_archE908ELNS1_3gpuE7ELNS1_3repE0EEENS1_30default_config_static_selectorELNS0_4arch9wavefront6targetE0EEEvT1_
	.p2align	8
	.type	_ZN7rocprim17ROCPRIM_400000_NS6detail17trampoline_kernelINS0_14default_configENS1_27scan_by_key_config_selectorIssEEZZNS1_16scan_by_key_implILNS1_25lookback_scan_determinismE0ELb0ES3_N6thrust23THRUST_200600_302600_NS6detail15normal_iteratorINS9_10device_ptrIsEEEESE_SE_sNS9_10multipliesIsEENS9_8equal_toIsEEsEE10hipError_tPvRmT2_T3_T4_T5_mT6_T7_P12ihipStream_tbENKUlT_T0_E_clISt17integral_constantIbLb1EESZ_EEDaSU_SV_EUlSU_E_NS1_11comp_targetILNS1_3genE3ELNS1_11target_archE908ELNS1_3gpuE7ELNS1_3repE0EEENS1_30default_config_static_selectorELNS0_4arch9wavefront6targetE0EEEvT1_,@function
_ZN7rocprim17ROCPRIM_400000_NS6detail17trampoline_kernelINS0_14default_configENS1_27scan_by_key_config_selectorIssEEZZNS1_16scan_by_key_implILNS1_25lookback_scan_determinismE0ELb0ES3_N6thrust23THRUST_200600_302600_NS6detail15normal_iteratorINS9_10device_ptrIsEEEESE_SE_sNS9_10multipliesIsEENS9_8equal_toIsEEsEE10hipError_tPvRmT2_T3_T4_T5_mT6_T7_P12ihipStream_tbENKUlT_T0_E_clISt17integral_constantIbLb1EESZ_EEDaSU_SV_EUlSU_E_NS1_11comp_targetILNS1_3genE3ELNS1_11target_archE908ELNS1_3gpuE7ELNS1_3repE0EEENS1_30default_config_static_selectorELNS0_4arch9wavefront6targetE0EEEvT1_: ; @_ZN7rocprim17ROCPRIM_400000_NS6detail17trampoline_kernelINS0_14default_configENS1_27scan_by_key_config_selectorIssEEZZNS1_16scan_by_key_implILNS1_25lookback_scan_determinismE0ELb0ES3_N6thrust23THRUST_200600_302600_NS6detail15normal_iteratorINS9_10device_ptrIsEEEESE_SE_sNS9_10multipliesIsEENS9_8equal_toIsEEsEE10hipError_tPvRmT2_T3_T4_T5_mT6_T7_P12ihipStream_tbENKUlT_T0_E_clISt17integral_constantIbLb1EESZ_EEDaSU_SV_EUlSU_E_NS1_11comp_targetILNS1_3genE3ELNS1_11target_archE908ELNS1_3gpuE7ELNS1_3repE0EEENS1_30default_config_static_selectorELNS0_4arch9wavefront6targetE0EEEvT1_
; %bb.0:
	.section	.rodata,"a",@progbits
	.p2align	6, 0x0
	.amdhsa_kernel _ZN7rocprim17ROCPRIM_400000_NS6detail17trampoline_kernelINS0_14default_configENS1_27scan_by_key_config_selectorIssEEZZNS1_16scan_by_key_implILNS1_25lookback_scan_determinismE0ELb0ES3_N6thrust23THRUST_200600_302600_NS6detail15normal_iteratorINS9_10device_ptrIsEEEESE_SE_sNS9_10multipliesIsEENS9_8equal_toIsEEsEE10hipError_tPvRmT2_T3_T4_T5_mT6_T7_P12ihipStream_tbENKUlT_T0_E_clISt17integral_constantIbLb1EESZ_EEDaSU_SV_EUlSU_E_NS1_11comp_targetILNS1_3genE3ELNS1_11target_archE908ELNS1_3gpuE7ELNS1_3repE0EEENS1_30default_config_static_selectorELNS0_4arch9wavefront6targetE0EEEvT1_
		.amdhsa_group_segment_fixed_size 0
		.amdhsa_private_segment_fixed_size 0
		.amdhsa_kernarg_size 112
		.amdhsa_user_sgpr_count 2
		.amdhsa_user_sgpr_dispatch_ptr 0
		.amdhsa_user_sgpr_queue_ptr 0
		.amdhsa_user_sgpr_kernarg_segment_ptr 1
		.amdhsa_user_sgpr_dispatch_id 0
		.amdhsa_user_sgpr_kernarg_preload_length 0
		.amdhsa_user_sgpr_kernarg_preload_offset 0
		.amdhsa_user_sgpr_private_segment_size 0
		.amdhsa_wavefront_size32 1
		.amdhsa_uses_dynamic_stack 0
		.amdhsa_enable_private_segment 0
		.amdhsa_system_sgpr_workgroup_id_x 1
		.amdhsa_system_sgpr_workgroup_id_y 0
		.amdhsa_system_sgpr_workgroup_id_z 0
		.amdhsa_system_sgpr_workgroup_info 0
		.amdhsa_system_vgpr_workitem_id 0
		.amdhsa_next_free_vgpr 1
		.amdhsa_next_free_sgpr 1
		.amdhsa_named_barrier_count 0
		.amdhsa_reserve_vcc 0
		.amdhsa_float_round_mode_32 0
		.amdhsa_float_round_mode_16_64 0
		.amdhsa_float_denorm_mode_32 3
		.amdhsa_float_denorm_mode_16_64 3
		.amdhsa_fp16_overflow 0
		.amdhsa_memory_ordered 1
		.amdhsa_forward_progress 1
		.amdhsa_inst_pref_size 0
		.amdhsa_round_robin_scheduling 0
		.amdhsa_exception_fp_ieee_invalid_op 0
		.amdhsa_exception_fp_denorm_src 0
		.amdhsa_exception_fp_ieee_div_zero 0
		.amdhsa_exception_fp_ieee_overflow 0
		.amdhsa_exception_fp_ieee_underflow 0
		.amdhsa_exception_fp_ieee_inexact 0
		.amdhsa_exception_int_div_zero 0
	.end_amdhsa_kernel
	.section	.text._ZN7rocprim17ROCPRIM_400000_NS6detail17trampoline_kernelINS0_14default_configENS1_27scan_by_key_config_selectorIssEEZZNS1_16scan_by_key_implILNS1_25lookback_scan_determinismE0ELb0ES3_N6thrust23THRUST_200600_302600_NS6detail15normal_iteratorINS9_10device_ptrIsEEEESE_SE_sNS9_10multipliesIsEENS9_8equal_toIsEEsEE10hipError_tPvRmT2_T3_T4_T5_mT6_T7_P12ihipStream_tbENKUlT_T0_E_clISt17integral_constantIbLb1EESZ_EEDaSU_SV_EUlSU_E_NS1_11comp_targetILNS1_3genE3ELNS1_11target_archE908ELNS1_3gpuE7ELNS1_3repE0EEENS1_30default_config_static_selectorELNS0_4arch9wavefront6targetE0EEEvT1_,"axG",@progbits,_ZN7rocprim17ROCPRIM_400000_NS6detail17trampoline_kernelINS0_14default_configENS1_27scan_by_key_config_selectorIssEEZZNS1_16scan_by_key_implILNS1_25lookback_scan_determinismE0ELb0ES3_N6thrust23THRUST_200600_302600_NS6detail15normal_iteratorINS9_10device_ptrIsEEEESE_SE_sNS9_10multipliesIsEENS9_8equal_toIsEEsEE10hipError_tPvRmT2_T3_T4_T5_mT6_T7_P12ihipStream_tbENKUlT_T0_E_clISt17integral_constantIbLb1EESZ_EEDaSU_SV_EUlSU_E_NS1_11comp_targetILNS1_3genE3ELNS1_11target_archE908ELNS1_3gpuE7ELNS1_3repE0EEENS1_30default_config_static_selectorELNS0_4arch9wavefront6targetE0EEEvT1_,comdat
.Lfunc_end294:
	.size	_ZN7rocprim17ROCPRIM_400000_NS6detail17trampoline_kernelINS0_14default_configENS1_27scan_by_key_config_selectorIssEEZZNS1_16scan_by_key_implILNS1_25lookback_scan_determinismE0ELb0ES3_N6thrust23THRUST_200600_302600_NS6detail15normal_iteratorINS9_10device_ptrIsEEEESE_SE_sNS9_10multipliesIsEENS9_8equal_toIsEEsEE10hipError_tPvRmT2_T3_T4_T5_mT6_T7_P12ihipStream_tbENKUlT_T0_E_clISt17integral_constantIbLb1EESZ_EEDaSU_SV_EUlSU_E_NS1_11comp_targetILNS1_3genE3ELNS1_11target_archE908ELNS1_3gpuE7ELNS1_3repE0EEENS1_30default_config_static_selectorELNS0_4arch9wavefront6targetE0EEEvT1_, .Lfunc_end294-_ZN7rocprim17ROCPRIM_400000_NS6detail17trampoline_kernelINS0_14default_configENS1_27scan_by_key_config_selectorIssEEZZNS1_16scan_by_key_implILNS1_25lookback_scan_determinismE0ELb0ES3_N6thrust23THRUST_200600_302600_NS6detail15normal_iteratorINS9_10device_ptrIsEEEESE_SE_sNS9_10multipliesIsEENS9_8equal_toIsEEsEE10hipError_tPvRmT2_T3_T4_T5_mT6_T7_P12ihipStream_tbENKUlT_T0_E_clISt17integral_constantIbLb1EESZ_EEDaSU_SV_EUlSU_E_NS1_11comp_targetILNS1_3genE3ELNS1_11target_archE908ELNS1_3gpuE7ELNS1_3repE0EEENS1_30default_config_static_selectorELNS0_4arch9wavefront6targetE0EEEvT1_
                                        ; -- End function
	.set _ZN7rocprim17ROCPRIM_400000_NS6detail17trampoline_kernelINS0_14default_configENS1_27scan_by_key_config_selectorIssEEZZNS1_16scan_by_key_implILNS1_25lookback_scan_determinismE0ELb0ES3_N6thrust23THRUST_200600_302600_NS6detail15normal_iteratorINS9_10device_ptrIsEEEESE_SE_sNS9_10multipliesIsEENS9_8equal_toIsEEsEE10hipError_tPvRmT2_T3_T4_T5_mT6_T7_P12ihipStream_tbENKUlT_T0_E_clISt17integral_constantIbLb1EESZ_EEDaSU_SV_EUlSU_E_NS1_11comp_targetILNS1_3genE3ELNS1_11target_archE908ELNS1_3gpuE7ELNS1_3repE0EEENS1_30default_config_static_selectorELNS0_4arch9wavefront6targetE0EEEvT1_.num_vgpr, 0
	.set _ZN7rocprim17ROCPRIM_400000_NS6detail17trampoline_kernelINS0_14default_configENS1_27scan_by_key_config_selectorIssEEZZNS1_16scan_by_key_implILNS1_25lookback_scan_determinismE0ELb0ES3_N6thrust23THRUST_200600_302600_NS6detail15normal_iteratorINS9_10device_ptrIsEEEESE_SE_sNS9_10multipliesIsEENS9_8equal_toIsEEsEE10hipError_tPvRmT2_T3_T4_T5_mT6_T7_P12ihipStream_tbENKUlT_T0_E_clISt17integral_constantIbLb1EESZ_EEDaSU_SV_EUlSU_E_NS1_11comp_targetILNS1_3genE3ELNS1_11target_archE908ELNS1_3gpuE7ELNS1_3repE0EEENS1_30default_config_static_selectorELNS0_4arch9wavefront6targetE0EEEvT1_.num_agpr, 0
	.set _ZN7rocprim17ROCPRIM_400000_NS6detail17trampoline_kernelINS0_14default_configENS1_27scan_by_key_config_selectorIssEEZZNS1_16scan_by_key_implILNS1_25lookback_scan_determinismE0ELb0ES3_N6thrust23THRUST_200600_302600_NS6detail15normal_iteratorINS9_10device_ptrIsEEEESE_SE_sNS9_10multipliesIsEENS9_8equal_toIsEEsEE10hipError_tPvRmT2_T3_T4_T5_mT6_T7_P12ihipStream_tbENKUlT_T0_E_clISt17integral_constantIbLb1EESZ_EEDaSU_SV_EUlSU_E_NS1_11comp_targetILNS1_3genE3ELNS1_11target_archE908ELNS1_3gpuE7ELNS1_3repE0EEENS1_30default_config_static_selectorELNS0_4arch9wavefront6targetE0EEEvT1_.numbered_sgpr, 0
	.set _ZN7rocprim17ROCPRIM_400000_NS6detail17trampoline_kernelINS0_14default_configENS1_27scan_by_key_config_selectorIssEEZZNS1_16scan_by_key_implILNS1_25lookback_scan_determinismE0ELb0ES3_N6thrust23THRUST_200600_302600_NS6detail15normal_iteratorINS9_10device_ptrIsEEEESE_SE_sNS9_10multipliesIsEENS9_8equal_toIsEEsEE10hipError_tPvRmT2_T3_T4_T5_mT6_T7_P12ihipStream_tbENKUlT_T0_E_clISt17integral_constantIbLb1EESZ_EEDaSU_SV_EUlSU_E_NS1_11comp_targetILNS1_3genE3ELNS1_11target_archE908ELNS1_3gpuE7ELNS1_3repE0EEENS1_30default_config_static_selectorELNS0_4arch9wavefront6targetE0EEEvT1_.num_named_barrier, 0
	.set _ZN7rocprim17ROCPRIM_400000_NS6detail17trampoline_kernelINS0_14default_configENS1_27scan_by_key_config_selectorIssEEZZNS1_16scan_by_key_implILNS1_25lookback_scan_determinismE0ELb0ES3_N6thrust23THRUST_200600_302600_NS6detail15normal_iteratorINS9_10device_ptrIsEEEESE_SE_sNS9_10multipliesIsEENS9_8equal_toIsEEsEE10hipError_tPvRmT2_T3_T4_T5_mT6_T7_P12ihipStream_tbENKUlT_T0_E_clISt17integral_constantIbLb1EESZ_EEDaSU_SV_EUlSU_E_NS1_11comp_targetILNS1_3genE3ELNS1_11target_archE908ELNS1_3gpuE7ELNS1_3repE0EEENS1_30default_config_static_selectorELNS0_4arch9wavefront6targetE0EEEvT1_.private_seg_size, 0
	.set _ZN7rocprim17ROCPRIM_400000_NS6detail17trampoline_kernelINS0_14default_configENS1_27scan_by_key_config_selectorIssEEZZNS1_16scan_by_key_implILNS1_25lookback_scan_determinismE0ELb0ES3_N6thrust23THRUST_200600_302600_NS6detail15normal_iteratorINS9_10device_ptrIsEEEESE_SE_sNS9_10multipliesIsEENS9_8equal_toIsEEsEE10hipError_tPvRmT2_T3_T4_T5_mT6_T7_P12ihipStream_tbENKUlT_T0_E_clISt17integral_constantIbLb1EESZ_EEDaSU_SV_EUlSU_E_NS1_11comp_targetILNS1_3genE3ELNS1_11target_archE908ELNS1_3gpuE7ELNS1_3repE0EEENS1_30default_config_static_selectorELNS0_4arch9wavefront6targetE0EEEvT1_.uses_vcc, 0
	.set _ZN7rocprim17ROCPRIM_400000_NS6detail17trampoline_kernelINS0_14default_configENS1_27scan_by_key_config_selectorIssEEZZNS1_16scan_by_key_implILNS1_25lookback_scan_determinismE0ELb0ES3_N6thrust23THRUST_200600_302600_NS6detail15normal_iteratorINS9_10device_ptrIsEEEESE_SE_sNS9_10multipliesIsEENS9_8equal_toIsEEsEE10hipError_tPvRmT2_T3_T4_T5_mT6_T7_P12ihipStream_tbENKUlT_T0_E_clISt17integral_constantIbLb1EESZ_EEDaSU_SV_EUlSU_E_NS1_11comp_targetILNS1_3genE3ELNS1_11target_archE908ELNS1_3gpuE7ELNS1_3repE0EEENS1_30default_config_static_selectorELNS0_4arch9wavefront6targetE0EEEvT1_.uses_flat_scratch, 0
	.set _ZN7rocprim17ROCPRIM_400000_NS6detail17trampoline_kernelINS0_14default_configENS1_27scan_by_key_config_selectorIssEEZZNS1_16scan_by_key_implILNS1_25lookback_scan_determinismE0ELb0ES3_N6thrust23THRUST_200600_302600_NS6detail15normal_iteratorINS9_10device_ptrIsEEEESE_SE_sNS9_10multipliesIsEENS9_8equal_toIsEEsEE10hipError_tPvRmT2_T3_T4_T5_mT6_T7_P12ihipStream_tbENKUlT_T0_E_clISt17integral_constantIbLb1EESZ_EEDaSU_SV_EUlSU_E_NS1_11comp_targetILNS1_3genE3ELNS1_11target_archE908ELNS1_3gpuE7ELNS1_3repE0EEENS1_30default_config_static_selectorELNS0_4arch9wavefront6targetE0EEEvT1_.has_dyn_sized_stack, 0
	.set _ZN7rocprim17ROCPRIM_400000_NS6detail17trampoline_kernelINS0_14default_configENS1_27scan_by_key_config_selectorIssEEZZNS1_16scan_by_key_implILNS1_25lookback_scan_determinismE0ELb0ES3_N6thrust23THRUST_200600_302600_NS6detail15normal_iteratorINS9_10device_ptrIsEEEESE_SE_sNS9_10multipliesIsEENS9_8equal_toIsEEsEE10hipError_tPvRmT2_T3_T4_T5_mT6_T7_P12ihipStream_tbENKUlT_T0_E_clISt17integral_constantIbLb1EESZ_EEDaSU_SV_EUlSU_E_NS1_11comp_targetILNS1_3genE3ELNS1_11target_archE908ELNS1_3gpuE7ELNS1_3repE0EEENS1_30default_config_static_selectorELNS0_4arch9wavefront6targetE0EEEvT1_.has_recursion, 0
	.set _ZN7rocprim17ROCPRIM_400000_NS6detail17trampoline_kernelINS0_14default_configENS1_27scan_by_key_config_selectorIssEEZZNS1_16scan_by_key_implILNS1_25lookback_scan_determinismE0ELb0ES3_N6thrust23THRUST_200600_302600_NS6detail15normal_iteratorINS9_10device_ptrIsEEEESE_SE_sNS9_10multipliesIsEENS9_8equal_toIsEEsEE10hipError_tPvRmT2_T3_T4_T5_mT6_T7_P12ihipStream_tbENKUlT_T0_E_clISt17integral_constantIbLb1EESZ_EEDaSU_SV_EUlSU_E_NS1_11comp_targetILNS1_3genE3ELNS1_11target_archE908ELNS1_3gpuE7ELNS1_3repE0EEENS1_30default_config_static_selectorELNS0_4arch9wavefront6targetE0EEEvT1_.has_indirect_call, 0
	.section	.AMDGPU.csdata,"",@progbits
; Kernel info:
; codeLenInByte = 0
; TotalNumSgprs: 0
; NumVgprs: 0
; ScratchSize: 0
; MemoryBound: 0
; FloatMode: 240
; IeeeMode: 1
; LDSByteSize: 0 bytes/workgroup (compile time only)
; SGPRBlocks: 0
; VGPRBlocks: 0
; NumSGPRsForWavesPerEU: 1
; NumVGPRsForWavesPerEU: 1
; NamedBarCnt: 0
; Occupancy: 16
; WaveLimiterHint : 0
; COMPUTE_PGM_RSRC2:SCRATCH_EN: 0
; COMPUTE_PGM_RSRC2:USER_SGPR: 2
; COMPUTE_PGM_RSRC2:TRAP_HANDLER: 0
; COMPUTE_PGM_RSRC2:TGID_X_EN: 1
; COMPUTE_PGM_RSRC2:TGID_Y_EN: 0
; COMPUTE_PGM_RSRC2:TGID_Z_EN: 0
; COMPUTE_PGM_RSRC2:TIDIG_COMP_CNT: 0
	.section	.text._ZN7rocprim17ROCPRIM_400000_NS6detail17trampoline_kernelINS0_14default_configENS1_27scan_by_key_config_selectorIssEEZZNS1_16scan_by_key_implILNS1_25lookback_scan_determinismE0ELb0ES3_N6thrust23THRUST_200600_302600_NS6detail15normal_iteratorINS9_10device_ptrIsEEEESE_SE_sNS9_10multipliesIsEENS9_8equal_toIsEEsEE10hipError_tPvRmT2_T3_T4_T5_mT6_T7_P12ihipStream_tbENKUlT_T0_E_clISt17integral_constantIbLb1EESZ_EEDaSU_SV_EUlSU_E_NS1_11comp_targetILNS1_3genE2ELNS1_11target_archE906ELNS1_3gpuE6ELNS1_3repE0EEENS1_30default_config_static_selectorELNS0_4arch9wavefront6targetE0EEEvT1_,"axG",@progbits,_ZN7rocprim17ROCPRIM_400000_NS6detail17trampoline_kernelINS0_14default_configENS1_27scan_by_key_config_selectorIssEEZZNS1_16scan_by_key_implILNS1_25lookback_scan_determinismE0ELb0ES3_N6thrust23THRUST_200600_302600_NS6detail15normal_iteratorINS9_10device_ptrIsEEEESE_SE_sNS9_10multipliesIsEENS9_8equal_toIsEEsEE10hipError_tPvRmT2_T3_T4_T5_mT6_T7_P12ihipStream_tbENKUlT_T0_E_clISt17integral_constantIbLb1EESZ_EEDaSU_SV_EUlSU_E_NS1_11comp_targetILNS1_3genE2ELNS1_11target_archE906ELNS1_3gpuE6ELNS1_3repE0EEENS1_30default_config_static_selectorELNS0_4arch9wavefront6targetE0EEEvT1_,comdat
	.protected	_ZN7rocprim17ROCPRIM_400000_NS6detail17trampoline_kernelINS0_14default_configENS1_27scan_by_key_config_selectorIssEEZZNS1_16scan_by_key_implILNS1_25lookback_scan_determinismE0ELb0ES3_N6thrust23THRUST_200600_302600_NS6detail15normal_iteratorINS9_10device_ptrIsEEEESE_SE_sNS9_10multipliesIsEENS9_8equal_toIsEEsEE10hipError_tPvRmT2_T3_T4_T5_mT6_T7_P12ihipStream_tbENKUlT_T0_E_clISt17integral_constantIbLb1EESZ_EEDaSU_SV_EUlSU_E_NS1_11comp_targetILNS1_3genE2ELNS1_11target_archE906ELNS1_3gpuE6ELNS1_3repE0EEENS1_30default_config_static_selectorELNS0_4arch9wavefront6targetE0EEEvT1_ ; -- Begin function _ZN7rocprim17ROCPRIM_400000_NS6detail17trampoline_kernelINS0_14default_configENS1_27scan_by_key_config_selectorIssEEZZNS1_16scan_by_key_implILNS1_25lookback_scan_determinismE0ELb0ES3_N6thrust23THRUST_200600_302600_NS6detail15normal_iteratorINS9_10device_ptrIsEEEESE_SE_sNS9_10multipliesIsEENS9_8equal_toIsEEsEE10hipError_tPvRmT2_T3_T4_T5_mT6_T7_P12ihipStream_tbENKUlT_T0_E_clISt17integral_constantIbLb1EESZ_EEDaSU_SV_EUlSU_E_NS1_11comp_targetILNS1_3genE2ELNS1_11target_archE906ELNS1_3gpuE6ELNS1_3repE0EEENS1_30default_config_static_selectorELNS0_4arch9wavefront6targetE0EEEvT1_
	.globl	_ZN7rocprim17ROCPRIM_400000_NS6detail17trampoline_kernelINS0_14default_configENS1_27scan_by_key_config_selectorIssEEZZNS1_16scan_by_key_implILNS1_25lookback_scan_determinismE0ELb0ES3_N6thrust23THRUST_200600_302600_NS6detail15normal_iteratorINS9_10device_ptrIsEEEESE_SE_sNS9_10multipliesIsEENS9_8equal_toIsEEsEE10hipError_tPvRmT2_T3_T4_T5_mT6_T7_P12ihipStream_tbENKUlT_T0_E_clISt17integral_constantIbLb1EESZ_EEDaSU_SV_EUlSU_E_NS1_11comp_targetILNS1_3genE2ELNS1_11target_archE906ELNS1_3gpuE6ELNS1_3repE0EEENS1_30default_config_static_selectorELNS0_4arch9wavefront6targetE0EEEvT1_
	.p2align	8
	.type	_ZN7rocprim17ROCPRIM_400000_NS6detail17trampoline_kernelINS0_14default_configENS1_27scan_by_key_config_selectorIssEEZZNS1_16scan_by_key_implILNS1_25lookback_scan_determinismE0ELb0ES3_N6thrust23THRUST_200600_302600_NS6detail15normal_iteratorINS9_10device_ptrIsEEEESE_SE_sNS9_10multipliesIsEENS9_8equal_toIsEEsEE10hipError_tPvRmT2_T3_T4_T5_mT6_T7_P12ihipStream_tbENKUlT_T0_E_clISt17integral_constantIbLb1EESZ_EEDaSU_SV_EUlSU_E_NS1_11comp_targetILNS1_3genE2ELNS1_11target_archE906ELNS1_3gpuE6ELNS1_3repE0EEENS1_30default_config_static_selectorELNS0_4arch9wavefront6targetE0EEEvT1_,@function
_ZN7rocprim17ROCPRIM_400000_NS6detail17trampoline_kernelINS0_14default_configENS1_27scan_by_key_config_selectorIssEEZZNS1_16scan_by_key_implILNS1_25lookback_scan_determinismE0ELb0ES3_N6thrust23THRUST_200600_302600_NS6detail15normal_iteratorINS9_10device_ptrIsEEEESE_SE_sNS9_10multipliesIsEENS9_8equal_toIsEEsEE10hipError_tPvRmT2_T3_T4_T5_mT6_T7_P12ihipStream_tbENKUlT_T0_E_clISt17integral_constantIbLb1EESZ_EEDaSU_SV_EUlSU_E_NS1_11comp_targetILNS1_3genE2ELNS1_11target_archE906ELNS1_3gpuE6ELNS1_3repE0EEENS1_30default_config_static_selectorELNS0_4arch9wavefront6targetE0EEEvT1_: ; @_ZN7rocprim17ROCPRIM_400000_NS6detail17trampoline_kernelINS0_14default_configENS1_27scan_by_key_config_selectorIssEEZZNS1_16scan_by_key_implILNS1_25lookback_scan_determinismE0ELb0ES3_N6thrust23THRUST_200600_302600_NS6detail15normal_iteratorINS9_10device_ptrIsEEEESE_SE_sNS9_10multipliesIsEENS9_8equal_toIsEEsEE10hipError_tPvRmT2_T3_T4_T5_mT6_T7_P12ihipStream_tbENKUlT_T0_E_clISt17integral_constantIbLb1EESZ_EEDaSU_SV_EUlSU_E_NS1_11comp_targetILNS1_3genE2ELNS1_11target_archE906ELNS1_3gpuE6ELNS1_3repE0EEENS1_30default_config_static_selectorELNS0_4arch9wavefront6targetE0EEEvT1_
; %bb.0:
	.section	.rodata,"a",@progbits
	.p2align	6, 0x0
	.amdhsa_kernel _ZN7rocprim17ROCPRIM_400000_NS6detail17trampoline_kernelINS0_14default_configENS1_27scan_by_key_config_selectorIssEEZZNS1_16scan_by_key_implILNS1_25lookback_scan_determinismE0ELb0ES3_N6thrust23THRUST_200600_302600_NS6detail15normal_iteratorINS9_10device_ptrIsEEEESE_SE_sNS9_10multipliesIsEENS9_8equal_toIsEEsEE10hipError_tPvRmT2_T3_T4_T5_mT6_T7_P12ihipStream_tbENKUlT_T0_E_clISt17integral_constantIbLb1EESZ_EEDaSU_SV_EUlSU_E_NS1_11comp_targetILNS1_3genE2ELNS1_11target_archE906ELNS1_3gpuE6ELNS1_3repE0EEENS1_30default_config_static_selectorELNS0_4arch9wavefront6targetE0EEEvT1_
		.amdhsa_group_segment_fixed_size 0
		.amdhsa_private_segment_fixed_size 0
		.amdhsa_kernarg_size 112
		.amdhsa_user_sgpr_count 2
		.amdhsa_user_sgpr_dispatch_ptr 0
		.amdhsa_user_sgpr_queue_ptr 0
		.amdhsa_user_sgpr_kernarg_segment_ptr 1
		.amdhsa_user_sgpr_dispatch_id 0
		.amdhsa_user_sgpr_kernarg_preload_length 0
		.amdhsa_user_sgpr_kernarg_preload_offset 0
		.amdhsa_user_sgpr_private_segment_size 0
		.amdhsa_wavefront_size32 1
		.amdhsa_uses_dynamic_stack 0
		.amdhsa_enable_private_segment 0
		.amdhsa_system_sgpr_workgroup_id_x 1
		.amdhsa_system_sgpr_workgroup_id_y 0
		.amdhsa_system_sgpr_workgroup_id_z 0
		.amdhsa_system_sgpr_workgroup_info 0
		.amdhsa_system_vgpr_workitem_id 0
		.amdhsa_next_free_vgpr 1
		.amdhsa_next_free_sgpr 1
		.amdhsa_named_barrier_count 0
		.amdhsa_reserve_vcc 0
		.amdhsa_float_round_mode_32 0
		.amdhsa_float_round_mode_16_64 0
		.amdhsa_float_denorm_mode_32 3
		.amdhsa_float_denorm_mode_16_64 3
		.amdhsa_fp16_overflow 0
		.amdhsa_memory_ordered 1
		.amdhsa_forward_progress 1
		.amdhsa_inst_pref_size 0
		.amdhsa_round_robin_scheduling 0
		.amdhsa_exception_fp_ieee_invalid_op 0
		.amdhsa_exception_fp_denorm_src 0
		.amdhsa_exception_fp_ieee_div_zero 0
		.amdhsa_exception_fp_ieee_overflow 0
		.amdhsa_exception_fp_ieee_underflow 0
		.amdhsa_exception_fp_ieee_inexact 0
		.amdhsa_exception_int_div_zero 0
	.end_amdhsa_kernel
	.section	.text._ZN7rocprim17ROCPRIM_400000_NS6detail17trampoline_kernelINS0_14default_configENS1_27scan_by_key_config_selectorIssEEZZNS1_16scan_by_key_implILNS1_25lookback_scan_determinismE0ELb0ES3_N6thrust23THRUST_200600_302600_NS6detail15normal_iteratorINS9_10device_ptrIsEEEESE_SE_sNS9_10multipliesIsEENS9_8equal_toIsEEsEE10hipError_tPvRmT2_T3_T4_T5_mT6_T7_P12ihipStream_tbENKUlT_T0_E_clISt17integral_constantIbLb1EESZ_EEDaSU_SV_EUlSU_E_NS1_11comp_targetILNS1_3genE2ELNS1_11target_archE906ELNS1_3gpuE6ELNS1_3repE0EEENS1_30default_config_static_selectorELNS0_4arch9wavefront6targetE0EEEvT1_,"axG",@progbits,_ZN7rocprim17ROCPRIM_400000_NS6detail17trampoline_kernelINS0_14default_configENS1_27scan_by_key_config_selectorIssEEZZNS1_16scan_by_key_implILNS1_25lookback_scan_determinismE0ELb0ES3_N6thrust23THRUST_200600_302600_NS6detail15normal_iteratorINS9_10device_ptrIsEEEESE_SE_sNS9_10multipliesIsEENS9_8equal_toIsEEsEE10hipError_tPvRmT2_T3_T4_T5_mT6_T7_P12ihipStream_tbENKUlT_T0_E_clISt17integral_constantIbLb1EESZ_EEDaSU_SV_EUlSU_E_NS1_11comp_targetILNS1_3genE2ELNS1_11target_archE906ELNS1_3gpuE6ELNS1_3repE0EEENS1_30default_config_static_selectorELNS0_4arch9wavefront6targetE0EEEvT1_,comdat
.Lfunc_end295:
	.size	_ZN7rocprim17ROCPRIM_400000_NS6detail17trampoline_kernelINS0_14default_configENS1_27scan_by_key_config_selectorIssEEZZNS1_16scan_by_key_implILNS1_25lookback_scan_determinismE0ELb0ES3_N6thrust23THRUST_200600_302600_NS6detail15normal_iteratorINS9_10device_ptrIsEEEESE_SE_sNS9_10multipliesIsEENS9_8equal_toIsEEsEE10hipError_tPvRmT2_T3_T4_T5_mT6_T7_P12ihipStream_tbENKUlT_T0_E_clISt17integral_constantIbLb1EESZ_EEDaSU_SV_EUlSU_E_NS1_11comp_targetILNS1_3genE2ELNS1_11target_archE906ELNS1_3gpuE6ELNS1_3repE0EEENS1_30default_config_static_selectorELNS0_4arch9wavefront6targetE0EEEvT1_, .Lfunc_end295-_ZN7rocprim17ROCPRIM_400000_NS6detail17trampoline_kernelINS0_14default_configENS1_27scan_by_key_config_selectorIssEEZZNS1_16scan_by_key_implILNS1_25lookback_scan_determinismE0ELb0ES3_N6thrust23THRUST_200600_302600_NS6detail15normal_iteratorINS9_10device_ptrIsEEEESE_SE_sNS9_10multipliesIsEENS9_8equal_toIsEEsEE10hipError_tPvRmT2_T3_T4_T5_mT6_T7_P12ihipStream_tbENKUlT_T0_E_clISt17integral_constantIbLb1EESZ_EEDaSU_SV_EUlSU_E_NS1_11comp_targetILNS1_3genE2ELNS1_11target_archE906ELNS1_3gpuE6ELNS1_3repE0EEENS1_30default_config_static_selectorELNS0_4arch9wavefront6targetE0EEEvT1_
                                        ; -- End function
	.set _ZN7rocprim17ROCPRIM_400000_NS6detail17trampoline_kernelINS0_14default_configENS1_27scan_by_key_config_selectorIssEEZZNS1_16scan_by_key_implILNS1_25lookback_scan_determinismE0ELb0ES3_N6thrust23THRUST_200600_302600_NS6detail15normal_iteratorINS9_10device_ptrIsEEEESE_SE_sNS9_10multipliesIsEENS9_8equal_toIsEEsEE10hipError_tPvRmT2_T3_T4_T5_mT6_T7_P12ihipStream_tbENKUlT_T0_E_clISt17integral_constantIbLb1EESZ_EEDaSU_SV_EUlSU_E_NS1_11comp_targetILNS1_3genE2ELNS1_11target_archE906ELNS1_3gpuE6ELNS1_3repE0EEENS1_30default_config_static_selectorELNS0_4arch9wavefront6targetE0EEEvT1_.num_vgpr, 0
	.set _ZN7rocprim17ROCPRIM_400000_NS6detail17trampoline_kernelINS0_14default_configENS1_27scan_by_key_config_selectorIssEEZZNS1_16scan_by_key_implILNS1_25lookback_scan_determinismE0ELb0ES3_N6thrust23THRUST_200600_302600_NS6detail15normal_iteratorINS9_10device_ptrIsEEEESE_SE_sNS9_10multipliesIsEENS9_8equal_toIsEEsEE10hipError_tPvRmT2_T3_T4_T5_mT6_T7_P12ihipStream_tbENKUlT_T0_E_clISt17integral_constantIbLb1EESZ_EEDaSU_SV_EUlSU_E_NS1_11comp_targetILNS1_3genE2ELNS1_11target_archE906ELNS1_3gpuE6ELNS1_3repE0EEENS1_30default_config_static_selectorELNS0_4arch9wavefront6targetE0EEEvT1_.num_agpr, 0
	.set _ZN7rocprim17ROCPRIM_400000_NS6detail17trampoline_kernelINS0_14default_configENS1_27scan_by_key_config_selectorIssEEZZNS1_16scan_by_key_implILNS1_25lookback_scan_determinismE0ELb0ES3_N6thrust23THRUST_200600_302600_NS6detail15normal_iteratorINS9_10device_ptrIsEEEESE_SE_sNS9_10multipliesIsEENS9_8equal_toIsEEsEE10hipError_tPvRmT2_T3_T4_T5_mT6_T7_P12ihipStream_tbENKUlT_T0_E_clISt17integral_constantIbLb1EESZ_EEDaSU_SV_EUlSU_E_NS1_11comp_targetILNS1_3genE2ELNS1_11target_archE906ELNS1_3gpuE6ELNS1_3repE0EEENS1_30default_config_static_selectorELNS0_4arch9wavefront6targetE0EEEvT1_.numbered_sgpr, 0
	.set _ZN7rocprim17ROCPRIM_400000_NS6detail17trampoline_kernelINS0_14default_configENS1_27scan_by_key_config_selectorIssEEZZNS1_16scan_by_key_implILNS1_25lookback_scan_determinismE0ELb0ES3_N6thrust23THRUST_200600_302600_NS6detail15normal_iteratorINS9_10device_ptrIsEEEESE_SE_sNS9_10multipliesIsEENS9_8equal_toIsEEsEE10hipError_tPvRmT2_T3_T4_T5_mT6_T7_P12ihipStream_tbENKUlT_T0_E_clISt17integral_constantIbLb1EESZ_EEDaSU_SV_EUlSU_E_NS1_11comp_targetILNS1_3genE2ELNS1_11target_archE906ELNS1_3gpuE6ELNS1_3repE0EEENS1_30default_config_static_selectorELNS0_4arch9wavefront6targetE0EEEvT1_.num_named_barrier, 0
	.set _ZN7rocprim17ROCPRIM_400000_NS6detail17trampoline_kernelINS0_14default_configENS1_27scan_by_key_config_selectorIssEEZZNS1_16scan_by_key_implILNS1_25lookback_scan_determinismE0ELb0ES3_N6thrust23THRUST_200600_302600_NS6detail15normal_iteratorINS9_10device_ptrIsEEEESE_SE_sNS9_10multipliesIsEENS9_8equal_toIsEEsEE10hipError_tPvRmT2_T3_T4_T5_mT6_T7_P12ihipStream_tbENKUlT_T0_E_clISt17integral_constantIbLb1EESZ_EEDaSU_SV_EUlSU_E_NS1_11comp_targetILNS1_3genE2ELNS1_11target_archE906ELNS1_3gpuE6ELNS1_3repE0EEENS1_30default_config_static_selectorELNS0_4arch9wavefront6targetE0EEEvT1_.private_seg_size, 0
	.set _ZN7rocprim17ROCPRIM_400000_NS6detail17trampoline_kernelINS0_14default_configENS1_27scan_by_key_config_selectorIssEEZZNS1_16scan_by_key_implILNS1_25lookback_scan_determinismE0ELb0ES3_N6thrust23THRUST_200600_302600_NS6detail15normal_iteratorINS9_10device_ptrIsEEEESE_SE_sNS9_10multipliesIsEENS9_8equal_toIsEEsEE10hipError_tPvRmT2_T3_T4_T5_mT6_T7_P12ihipStream_tbENKUlT_T0_E_clISt17integral_constantIbLb1EESZ_EEDaSU_SV_EUlSU_E_NS1_11comp_targetILNS1_3genE2ELNS1_11target_archE906ELNS1_3gpuE6ELNS1_3repE0EEENS1_30default_config_static_selectorELNS0_4arch9wavefront6targetE0EEEvT1_.uses_vcc, 0
	.set _ZN7rocprim17ROCPRIM_400000_NS6detail17trampoline_kernelINS0_14default_configENS1_27scan_by_key_config_selectorIssEEZZNS1_16scan_by_key_implILNS1_25lookback_scan_determinismE0ELb0ES3_N6thrust23THRUST_200600_302600_NS6detail15normal_iteratorINS9_10device_ptrIsEEEESE_SE_sNS9_10multipliesIsEENS9_8equal_toIsEEsEE10hipError_tPvRmT2_T3_T4_T5_mT6_T7_P12ihipStream_tbENKUlT_T0_E_clISt17integral_constantIbLb1EESZ_EEDaSU_SV_EUlSU_E_NS1_11comp_targetILNS1_3genE2ELNS1_11target_archE906ELNS1_3gpuE6ELNS1_3repE0EEENS1_30default_config_static_selectorELNS0_4arch9wavefront6targetE0EEEvT1_.uses_flat_scratch, 0
	.set _ZN7rocprim17ROCPRIM_400000_NS6detail17trampoline_kernelINS0_14default_configENS1_27scan_by_key_config_selectorIssEEZZNS1_16scan_by_key_implILNS1_25lookback_scan_determinismE0ELb0ES3_N6thrust23THRUST_200600_302600_NS6detail15normal_iteratorINS9_10device_ptrIsEEEESE_SE_sNS9_10multipliesIsEENS9_8equal_toIsEEsEE10hipError_tPvRmT2_T3_T4_T5_mT6_T7_P12ihipStream_tbENKUlT_T0_E_clISt17integral_constantIbLb1EESZ_EEDaSU_SV_EUlSU_E_NS1_11comp_targetILNS1_3genE2ELNS1_11target_archE906ELNS1_3gpuE6ELNS1_3repE0EEENS1_30default_config_static_selectorELNS0_4arch9wavefront6targetE0EEEvT1_.has_dyn_sized_stack, 0
	.set _ZN7rocprim17ROCPRIM_400000_NS6detail17trampoline_kernelINS0_14default_configENS1_27scan_by_key_config_selectorIssEEZZNS1_16scan_by_key_implILNS1_25lookback_scan_determinismE0ELb0ES3_N6thrust23THRUST_200600_302600_NS6detail15normal_iteratorINS9_10device_ptrIsEEEESE_SE_sNS9_10multipliesIsEENS9_8equal_toIsEEsEE10hipError_tPvRmT2_T3_T4_T5_mT6_T7_P12ihipStream_tbENKUlT_T0_E_clISt17integral_constantIbLb1EESZ_EEDaSU_SV_EUlSU_E_NS1_11comp_targetILNS1_3genE2ELNS1_11target_archE906ELNS1_3gpuE6ELNS1_3repE0EEENS1_30default_config_static_selectorELNS0_4arch9wavefront6targetE0EEEvT1_.has_recursion, 0
	.set _ZN7rocprim17ROCPRIM_400000_NS6detail17trampoline_kernelINS0_14default_configENS1_27scan_by_key_config_selectorIssEEZZNS1_16scan_by_key_implILNS1_25lookback_scan_determinismE0ELb0ES3_N6thrust23THRUST_200600_302600_NS6detail15normal_iteratorINS9_10device_ptrIsEEEESE_SE_sNS9_10multipliesIsEENS9_8equal_toIsEEsEE10hipError_tPvRmT2_T3_T4_T5_mT6_T7_P12ihipStream_tbENKUlT_T0_E_clISt17integral_constantIbLb1EESZ_EEDaSU_SV_EUlSU_E_NS1_11comp_targetILNS1_3genE2ELNS1_11target_archE906ELNS1_3gpuE6ELNS1_3repE0EEENS1_30default_config_static_selectorELNS0_4arch9wavefront6targetE0EEEvT1_.has_indirect_call, 0
	.section	.AMDGPU.csdata,"",@progbits
; Kernel info:
; codeLenInByte = 0
; TotalNumSgprs: 0
; NumVgprs: 0
; ScratchSize: 0
; MemoryBound: 0
; FloatMode: 240
; IeeeMode: 1
; LDSByteSize: 0 bytes/workgroup (compile time only)
; SGPRBlocks: 0
; VGPRBlocks: 0
; NumSGPRsForWavesPerEU: 1
; NumVGPRsForWavesPerEU: 1
; NamedBarCnt: 0
; Occupancy: 16
; WaveLimiterHint : 0
; COMPUTE_PGM_RSRC2:SCRATCH_EN: 0
; COMPUTE_PGM_RSRC2:USER_SGPR: 2
; COMPUTE_PGM_RSRC2:TRAP_HANDLER: 0
; COMPUTE_PGM_RSRC2:TGID_X_EN: 1
; COMPUTE_PGM_RSRC2:TGID_Y_EN: 0
; COMPUTE_PGM_RSRC2:TGID_Z_EN: 0
; COMPUTE_PGM_RSRC2:TIDIG_COMP_CNT: 0
	.section	.text._ZN7rocprim17ROCPRIM_400000_NS6detail17trampoline_kernelINS0_14default_configENS1_27scan_by_key_config_selectorIssEEZZNS1_16scan_by_key_implILNS1_25lookback_scan_determinismE0ELb0ES3_N6thrust23THRUST_200600_302600_NS6detail15normal_iteratorINS9_10device_ptrIsEEEESE_SE_sNS9_10multipliesIsEENS9_8equal_toIsEEsEE10hipError_tPvRmT2_T3_T4_T5_mT6_T7_P12ihipStream_tbENKUlT_T0_E_clISt17integral_constantIbLb1EESZ_EEDaSU_SV_EUlSU_E_NS1_11comp_targetILNS1_3genE10ELNS1_11target_archE1200ELNS1_3gpuE4ELNS1_3repE0EEENS1_30default_config_static_selectorELNS0_4arch9wavefront6targetE0EEEvT1_,"axG",@progbits,_ZN7rocprim17ROCPRIM_400000_NS6detail17trampoline_kernelINS0_14default_configENS1_27scan_by_key_config_selectorIssEEZZNS1_16scan_by_key_implILNS1_25lookback_scan_determinismE0ELb0ES3_N6thrust23THRUST_200600_302600_NS6detail15normal_iteratorINS9_10device_ptrIsEEEESE_SE_sNS9_10multipliesIsEENS9_8equal_toIsEEsEE10hipError_tPvRmT2_T3_T4_T5_mT6_T7_P12ihipStream_tbENKUlT_T0_E_clISt17integral_constantIbLb1EESZ_EEDaSU_SV_EUlSU_E_NS1_11comp_targetILNS1_3genE10ELNS1_11target_archE1200ELNS1_3gpuE4ELNS1_3repE0EEENS1_30default_config_static_selectorELNS0_4arch9wavefront6targetE0EEEvT1_,comdat
	.protected	_ZN7rocprim17ROCPRIM_400000_NS6detail17trampoline_kernelINS0_14default_configENS1_27scan_by_key_config_selectorIssEEZZNS1_16scan_by_key_implILNS1_25lookback_scan_determinismE0ELb0ES3_N6thrust23THRUST_200600_302600_NS6detail15normal_iteratorINS9_10device_ptrIsEEEESE_SE_sNS9_10multipliesIsEENS9_8equal_toIsEEsEE10hipError_tPvRmT2_T3_T4_T5_mT6_T7_P12ihipStream_tbENKUlT_T0_E_clISt17integral_constantIbLb1EESZ_EEDaSU_SV_EUlSU_E_NS1_11comp_targetILNS1_3genE10ELNS1_11target_archE1200ELNS1_3gpuE4ELNS1_3repE0EEENS1_30default_config_static_selectorELNS0_4arch9wavefront6targetE0EEEvT1_ ; -- Begin function _ZN7rocprim17ROCPRIM_400000_NS6detail17trampoline_kernelINS0_14default_configENS1_27scan_by_key_config_selectorIssEEZZNS1_16scan_by_key_implILNS1_25lookback_scan_determinismE0ELb0ES3_N6thrust23THRUST_200600_302600_NS6detail15normal_iteratorINS9_10device_ptrIsEEEESE_SE_sNS9_10multipliesIsEENS9_8equal_toIsEEsEE10hipError_tPvRmT2_T3_T4_T5_mT6_T7_P12ihipStream_tbENKUlT_T0_E_clISt17integral_constantIbLb1EESZ_EEDaSU_SV_EUlSU_E_NS1_11comp_targetILNS1_3genE10ELNS1_11target_archE1200ELNS1_3gpuE4ELNS1_3repE0EEENS1_30default_config_static_selectorELNS0_4arch9wavefront6targetE0EEEvT1_
	.globl	_ZN7rocprim17ROCPRIM_400000_NS6detail17trampoline_kernelINS0_14default_configENS1_27scan_by_key_config_selectorIssEEZZNS1_16scan_by_key_implILNS1_25lookback_scan_determinismE0ELb0ES3_N6thrust23THRUST_200600_302600_NS6detail15normal_iteratorINS9_10device_ptrIsEEEESE_SE_sNS9_10multipliesIsEENS9_8equal_toIsEEsEE10hipError_tPvRmT2_T3_T4_T5_mT6_T7_P12ihipStream_tbENKUlT_T0_E_clISt17integral_constantIbLb1EESZ_EEDaSU_SV_EUlSU_E_NS1_11comp_targetILNS1_3genE10ELNS1_11target_archE1200ELNS1_3gpuE4ELNS1_3repE0EEENS1_30default_config_static_selectorELNS0_4arch9wavefront6targetE0EEEvT1_
	.p2align	8
	.type	_ZN7rocprim17ROCPRIM_400000_NS6detail17trampoline_kernelINS0_14default_configENS1_27scan_by_key_config_selectorIssEEZZNS1_16scan_by_key_implILNS1_25lookback_scan_determinismE0ELb0ES3_N6thrust23THRUST_200600_302600_NS6detail15normal_iteratorINS9_10device_ptrIsEEEESE_SE_sNS9_10multipliesIsEENS9_8equal_toIsEEsEE10hipError_tPvRmT2_T3_T4_T5_mT6_T7_P12ihipStream_tbENKUlT_T0_E_clISt17integral_constantIbLb1EESZ_EEDaSU_SV_EUlSU_E_NS1_11comp_targetILNS1_3genE10ELNS1_11target_archE1200ELNS1_3gpuE4ELNS1_3repE0EEENS1_30default_config_static_selectorELNS0_4arch9wavefront6targetE0EEEvT1_,@function
_ZN7rocprim17ROCPRIM_400000_NS6detail17trampoline_kernelINS0_14default_configENS1_27scan_by_key_config_selectorIssEEZZNS1_16scan_by_key_implILNS1_25lookback_scan_determinismE0ELb0ES3_N6thrust23THRUST_200600_302600_NS6detail15normal_iteratorINS9_10device_ptrIsEEEESE_SE_sNS9_10multipliesIsEENS9_8equal_toIsEEsEE10hipError_tPvRmT2_T3_T4_T5_mT6_T7_P12ihipStream_tbENKUlT_T0_E_clISt17integral_constantIbLb1EESZ_EEDaSU_SV_EUlSU_E_NS1_11comp_targetILNS1_3genE10ELNS1_11target_archE1200ELNS1_3gpuE4ELNS1_3repE0EEENS1_30default_config_static_selectorELNS0_4arch9wavefront6targetE0EEEvT1_: ; @_ZN7rocprim17ROCPRIM_400000_NS6detail17trampoline_kernelINS0_14default_configENS1_27scan_by_key_config_selectorIssEEZZNS1_16scan_by_key_implILNS1_25lookback_scan_determinismE0ELb0ES3_N6thrust23THRUST_200600_302600_NS6detail15normal_iteratorINS9_10device_ptrIsEEEESE_SE_sNS9_10multipliesIsEENS9_8equal_toIsEEsEE10hipError_tPvRmT2_T3_T4_T5_mT6_T7_P12ihipStream_tbENKUlT_T0_E_clISt17integral_constantIbLb1EESZ_EEDaSU_SV_EUlSU_E_NS1_11comp_targetILNS1_3genE10ELNS1_11target_archE1200ELNS1_3gpuE4ELNS1_3repE0EEENS1_30default_config_static_selectorELNS0_4arch9wavefront6targetE0EEEvT1_
; %bb.0:
	.section	.rodata,"a",@progbits
	.p2align	6, 0x0
	.amdhsa_kernel _ZN7rocprim17ROCPRIM_400000_NS6detail17trampoline_kernelINS0_14default_configENS1_27scan_by_key_config_selectorIssEEZZNS1_16scan_by_key_implILNS1_25lookback_scan_determinismE0ELb0ES3_N6thrust23THRUST_200600_302600_NS6detail15normal_iteratorINS9_10device_ptrIsEEEESE_SE_sNS9_10multipliesIsEENS9_8equal_toIsEEsEE10hipError_tPvRmT2_T3_T4_T5_mT6_T7_P12ihipStream_tbENKUlT_T0_E_clISt17integral_constantIbLb1EESZ_EEDaSU_SV_EUlSU_E_NS1_11comp_targetILNS1_3genE10ELNS1_11target_archE1200ELNS1_3gpuE4ELNS1_3repE0EEENS1_30default_config_static_selectorELNS0_4arch9wavefront6targetE0EEEvT1_
		.amdhsa_group_segment_fixed_size 0
		.amdhsa_private_segment_fixed_size 0
		.amdhsa_kernarg_size 112
		.amdhsa_user_sgpr_count 2
		.amdhsa_user_sgpr_dispatch_ptr 0
		.amdhsa_user_sgpr_queue_ptr 0
		.amdhsa_user_sgpr_kernarg_segment_ptr 1
		.amdhsa_user_sgpr_dispatch_id 0
		.amdhsa_user_sgpr_kernarg_preload_length 0
		.amdhsa_user_sgpr_kernarg_preload_offset 0
		.amdhsa_user_sgpr_private_segment_size 0
		.amdhsa_wavefront_size32 1
		.amdhsa_uses_dynamic_stack 0
		.amdhsa_enable_private_segment 0
		.amdhsa_system_sgpr_workgroup_id_x 1
		.amdhsa_system_sgpr_workgroup_id_y 0
		.amdhsa_system_sgpr_workgroup_id_z 0
		.amdhsa_system_sgpr_workgroup_info 0
		.amdhsa_system_vgpr_workitem_id 0
		.amdhsa_next_free_vgpr 1
		.amdhsa_next_free_sgpr 1
		.amdhsa_named_barrier_count 0
		.amdhsa_reserve_vcc 0
		.amdhsa_float_round_mode_32 0
		.amdhsa_float_round_mode_16_64 0
		.amdhsa_float_denorm_mode_32 3
		.amdhsa_float_denorm_mode_16_64 3
		.amdhsa_fp16_overflow 0
		.amdhsa_memory_ordered 1
		.amdhsa_forward_progress 1
		.amdhsa_inst_pref_size 0
		.amdhsa_round_robin_scheduling 0
		.amdhsa_exception_fp_ieee_invalid_op 0
		.amdhsa_exception_fp_denorm_src 0
		.amdhsa_exception_fp_ieee_div_zero 0
		.amdhsa_exception_fp_ieee_overflow 0
		.amdhsa_exception_fp_ieee_underflow 0
		.amdhsa_exception_fp_ieee_inexact 0
		.amdhsa_exception_int_div_zero 0
	.end_amdhsa_kernel
	.section	.text._ZN7rocprim17ROCPRIM_400000_NS6detail17trampoline_kernelINS0_14default_configENS1_27scan_by_key_config_selectorIssEEZZNS1_16scan_by_key_implILNS1_25lookback_scan_determinismE0ELb0ES3_N6thrust23THRUST_200600_302600_NS6detail15normal_iteratorINS9_10device_ptrIsEEEESE_SE_sNS9_10multipliesIsEENS9_8equal_toIsEEsEE10hipError_tPvRmT2_T3_T4_T5_mT6_T7_P12ihipStream_tbENKUlT_T0_E_clISt17integral_constantIbLb1EESZ_EEDaSU_SV_EUlSU_E_NS1_11comp_targetILNS1_3genE10ELNS1_11target_archE1200ELNS1_3gpuE4ELNS1_3repE0EEENS1_30default_config_static_selectorELNS0_4arch9wavefront6targetE0EEEvT1_,"axG",@progbits,_ZN7rocprim17ROCPRIM_400000_NS6detail17trampoline_kernelINS0_14default_configENS1_27scan_by_key_config_selectorIssEEZZNS1_16scan_by_key_implILNS1_25lookback_scan_determinismE0ELb0ES3_N6thrust23THRUST_200600_302600_NS6detail15normal_iteratorINS9_10device_ptrIsEEEESE_SE_sNS9_10multipliesIsEENS9_8equal_toIsEEsEE10hipError_tPvRmT2_T3_T4_T5_mT6_T7_P12ihipStream_tbENKUlT_T0_E_clISt17integral_constantIbLb1EESZ_EEDaSU_SV_EUlSU_E_NS1_11comp_targetILNS1_3genE10ELNS1_11target_archE1200ELNS1_3gpuE4ELNS1_3repE0EEENS1_30default_config_static_selectorELNS0_4arch9wavefront6targetE0EEEvT1_,comdat
.Lfunc_end296:
	.size	_ZN7rocprim17ROCPRIM_400000_NS6detail17trampoline_kernelINS0_14default_configENS1_27scan_by_key_config_selectorIssEEZZNS1_16scan_by_key_implILNS1_25lookback_scan_determinismE0ELb0ES3_N6thrust23THRUST_200600_302600_NS6detail15normal_iteratorINS9_10device_ptrIsEEEESE_SE_sNS9_10multipliesIsEENS9_8equal_toIsEEsEE10hipError_tPvRmT2_T3_T4_T5_mT6_T7_P12ihipStream_tbENKUlT_T0_E_clISt17integral_constantIbLb1EESZ_EEDaSU_SV_EUlSU_E_NS1_11comp_targetILNS1_3genE10ELNS1_11target_archE1200ELNS1_3gpuE4ELNS1_3repE0EEENS1_30default_config_static_selectorELNS0_4arch9wavefront6targetE0EEEvT1_, .Lfunc_end296-_ZN7rocprim17ROCPRIM_400000_NS6detail17trampoline_kernelINS0_14default_configENS1_27scan_by_key_config_selectorIssEEZZNS1_16scan_by_key_implILNS1_25lookback_scan_determinismE0ELb0ES3_N6thrust23THRUST_200600_302600_NS6detail15normal_iteratorINS9_10device_ptrIsEEEESE_SE_sNS9_10multipliesIsEENS9_8equal_toIsEEsEE10hipError_tPvRmT2_T3_T4_T5_mT6_T7_P12ihipStream_tbENKUlT_T0_E_clISt17integral_constantIbLb1EESZ_EEDaSU_SV_EUlSU_E_NS1_11comp_targetILNS1_3genE10ELNS1_11target_archE1200ELNS1_3gpuE4ELNS1_3repE0EEENS1_30default_config_static_selectorELNS0_4arch9wavefront6targetE0EEEvT1_
                                        ; -- End function
	.set _ZN7rocprim17ROCPRIM_400000_NS6detail17trampoline_kernelINS0_14default_configENS1_27scan_by_key_config_selectorIssEEZZNS1_16scan_by_key_implILNS1_25lookback_scan_determinismE0ELb0ES3_N6thrust23THRUST_200600_302600_NS6detail15normal_iteratorINS9_10device_ptrIsEEEESE_SE_sNS9_10multipliesIsEENS9_8equal_toIsEEsEE10hipError_tPvRmT2_T3_T4_T5_mT6_T7_P12ihipStream_tbENKUlT_T0_E_clISt17integral_constantIbLb1EESZ_EEDaSU_SV_EUlSU_E_NS1_11comp_targetILNS1_3genE10ELNS1_11target_archE1200ELNS1_3gpuE4ELNS1_3repE0EEENS1_30default_config_static_selectorELNS0_4arch9wavefront6targetE0EEEvT1_.num_vgpr, 0
	.set _ZN7rocprim17ROCPRIM_400000_NS6detail17trampoline_kernelINS0_14default_configENS1_27scan_by_key_config_selectorIssEEZZNS1_16scan_by_key_implILNS1_25lookback_scan_determinismE0ELb0ES3_N6thrust23THRUST_200600_302600_NS6detail15normal_iteratorINS9_10device_ptrIsEEEESE_SE_sNS9_10multipliesIsEENS9_8equal_toIsEEsEE10hipError_tPvRmT2_T3_T4_T5_mT6_T7_P12ihipStream_tbENKUlT_T0_E_clISt17integral_constantIbLb1EESZ_EEDaSU_SV_EUlSU_E_NS1_11comp_targetILNS1_3genE10ELNS1_11target_archE1200ELNS1_3gpuE4ELNS1_3repE0EEENS1_30default_config_static_selectorELNS0_4arch9wavefront6targetE0EEEvT1_.num_agpr, 0
	.set _ZN7rocprim17ROCPRIM_400000_NS6detail17trampoline_kernelINS0_14default_configENS1_27scan_by_key_config_selectorIssEEZZNS1_16scan_by_key_implILNS1_25lookback_scan_determinismE0ELb0ES3_N6thrust23THRUST_200600_302600_NS6detail15normal_iteratorINS9_10device_ptrIsEEEESE_SE_sNS9_10multipliesIsEENS9_8equal_toIsEEsEE10hipError_tPvRmT2_T3_T4_T5_mT6_T7_P12ihipStream_tbENKUlT_T0_E_clISt17integral_constantIbLb1EESZ_EEDaSU_SV_EUlSU_E_NS1_11comp_targetILNS1_3genE10ELNS1_11target_archE1200ELNS1_3gpuE4ELNS1_3repE0EEENS1_30default_config_static_selectorELNS0_4arch9wavefront6targetE0EEEvT1_.numbered_sgpr, 0
	.set _ZN7rocprim17ROCPRIM_400000_NS6detail17trampoline_kernelINS0_14default_configENS1_27scan_by_key_config_selectorIssEEZZNS1_16scan_by_key_implILNS1_25lookback_scan_determinismE0ELb0ES3_N6thrust23THRUST_200600_302600_NS6detail15normal_iteratorINS9_10device_ptrIsEEEESE_SE_sNS9_10multipliesIsEENS9_8equal_toIsEEsEE10hipError_tPvRmT2_T3_T4_T5_mT6_T7_P12ihipStream_tbENKUlT_T0_E_clISt17integral_constantIbLb1EESZ_EEDaSU_SV_EUlSU_E_NS1_11comp_targetILNS1_3genE10ELNS1_11target_archE1200ELNS1_3gpuE4ELNS1_3repE0EEENS1_30default_config_static_selectorELNS0_4arch9wavefront6targetE0EEEvT1_.num_named_barrier, 0
	.set _ZN7rocprim17ROCPRIM_400000_NS6detail17trampoline_kernelINS0_14default_configENS1_27scan_by_key_config_selectorIssEEZZNS1_16scan_by_key_implILNS1_25lookback_scan_determinismE0ELb0ES3_N6thrust23THRUST_200600_302600_NS6detail15normal_iteratorINS9_10device_ptrIsEEEESE_SE_sNS9_10multipliesIsEENS9_8equal_toIsEEsEE10hipError_tPvRmT2_T3_T4_T5_mT6_T7_P12ihipStream_tbENKUlT_T0_E_clISt17integral_constantIbLb1EESZ_EEDaSU_SV_EUlSU_E_NS1_11comp_targetILNS1_3genE10ELNS1_11target_archE1200ELNS1_3gpuE4ELNS1_3repE0EEENS1_30default_config_static_selectorELNS0_4arch9wavefront6targetE0EEEvT1_.private_seg_size, 0
	.set _ZN7rocprim17ROCPRIM_400000_NS6detail17trampoline_kernelINS0_14default_configENS1_27scan_by_key_config_selectorIssEEZZNS1_16scan_by_key_implILNS1_25lookback_scan_determinismE0ELb0ES3_N6thrust23THRUST_200600_302600_NS6detail15normal_iteratorINS9_10device_ptrIsEEEESE_SE_sNS9_10multipliesIsEENS9_8equal_toIsEEsEE10hipError_tPvRmT2_T3_T4_T5_mT6_T7_P12ihipStream_tbENKUlT_T0_E_clISt17integral_constantIbLb1EESZ_EEDaSU_SV_EUlSU_E_NS1_11comp_targetILNS1_3genE10ELNS1_11target_archE1200ELNS1_3gpuE4ELNS1_3repE0EEENS1_30default_config_static_selectorELNS0_4arch9wavefront6targetE0EEEvT1_.uses_vcc, 0
	.set _ZN7rocprim17ROCPRIM_400000_NS6detail17trampoline_kernelINS0_14default_configENS1_27scan_by_key_config_selectorIssEEZZNS1_16scan_by_key_implILNS1_25lookback_scan_determinismE0ELb0ES3_N6thrust23THRUST_200600_302600_NS6detail15normal_iteratorINS9_10device_ptrIsEEEESE_SE_sNS9_10multipliesIsEENS9_8equal_toIsEEsEE10hipError_tPvRmT2_T3_T4_T5_mT6_T7_P12ihipStream_tbENKUlT_T0_E_clISt17integral_constantIbLb1EESZ_EEDaSU_SV_EUlSU_E_NS1_11comp_targetILNS1_3genE10ELNS1_11target_archE1200ELNS1_3gpuE4ELNS1_3repE0EEENS1_30default_config_static_selectorELNS0_4arch9wavefront6targetE0EEEvT1_.uses_flat_scratch, 0
	.set _ZN7rocprim17ROCPRIM_400000_NS6detail17trampoline_kernelINS0_14default_configENS1_27scan_by_key_config_selectorIssEEZZNS1_16scan_by_key_implILNS1_25lookback_scan_determinismE0ELb0ES3_N6thrust23THRUST_200600_302600_NS6detail15normal_iteratorINS9_10device_ptrIsEEEESE_SE_sNS9_10multipliesIsEENS9_8equal_toIsEEsEE10hipError_tPvRmT2_T3_T4_T5_mT6_T7_P12ihipStream_tbENKUlT_T0_E_clISt17integral_constantIbLb1EESZ_EEDaSU_SV_EUlSU_E_NS1_11comp_targetILNS1_3genE10ELNS1_11target_archE1200ELNS1_3gpuE4ELNS1_3repE0EEENS1_30default_config_static_selectorELNS0_4arch9wavefront6targetE0EEEvT1_.has_dyn_sized_stack, 0
	.set _ZN7rocprim17ROCPRIM_400000_NS6detail17trampoline_kernelINS0_14default_configENS1_27scan_by_key_config_selectorIssEEZZNS1_16scan_by_key_implILNS1_25lookback_scan_determinismE0ELb0ES3_N6thrust23THRUST_200600_302600_NS6detail15normal_iteratorINS9_10device_ptrIsEEEESE_SE_sNS9_10multipliesIsEENS9_8equal_toIsEEsEE10hipError_tPvRmT2_T3_T4_T5_mT6_T7_P12ihipStream_tbENKUlT_T0_E_clISt17integral_constantIbLb1EESZ_EEDaSU_SV_EUlSU_E_NS1_11comp_targetILNS1_3genE10ELNS1_11target_archE1200ELNS1_3gpuE4ELNS1_3repE0EEENS1_30default_config_static_selectorELNS0_4arch9wavefront6targetE0EEEvT1_.has_recursion, 0
	.set _ZN7rocprim17ROCPRIM_400000_NS6detail17trampoline_kernelINS0_14default_configENS1_27scan_by_key_config_selectorIssEEZZNS1_16scan_by_key_implILNS1_25lookback_scan_determinismE0ELb0ES3_N6thrust23THRUST_200600_302600_NS6detail15normal_iteratorINS9_10device_ptrIsEEEESE_SE_sNS9_10multipliesIsEENS9_8equal_toIsEEsEE10hipError_tPvRmT2_T3_T4_T5_mT6_T7_P12ihipStream_tbENKUlT_T0_E_clISt17integral_constantIbLb1EESZ_EEDaSU_SV_EUlSU_E_NS1_11comp_targetILNS1_3genE10ELNS1_11target_archE1200ELNS1_3gpuE4ELNS1_3repE0EEENS1_30default_config_static_selectorELNS0_4arch9wavefront6targetE0EEEvT1_.has_indirect_call, 0
	.section	.AMDGPU.csdata,"",@progbits
; Kernel info:
; codeLenInByte = 0
; TotalNumSgprs: 0
; NumVgprs: 0
; ScratchSize: 0
; MemoryBound: 0
; FloatMode: 240
; IeeeMode: 1
; LDSByteSize: 0 bytes/workgroup (compile time only)
; SGPRBlocks: 0
; VGPRBlocks: 0
; NumSGPRsForWavesPerEU: 1
; NumVGPRsForWavesPerEU: 1
; NamedBarCnt: 0
; Occupancy: 16
; WaveLimiterHint : 0
; COMPUTE_PGM_RSRC2:SCRATCH_EN: 0
; COMPUTE_PGM_RSRC2:USER_SGPR: 2
; COMPUTE_PGM_RSRC2:TRAP_HANDLER: 0
; COMPUTE_PGM_RSRC2:TGID_X_EN: 1
; COMPUTE_PGM_RSRC2:TGID_Y_EN: 0
; COMPUTE_PGM_RSRC2:TGID_Z_EN: 0
; COMPUTE_PGM_RSRC2:TIDIG_COMP_CNT: 0
	.section	.text._ZN7rocprim17ROCPRIM_400000_NS6detail17trampoline_kernelINS0_14default_configENS1_27scan_by_key_config_selectorIssEEZZNS1_16scan_by_key_implILNS1_25lookback_scan_determinismE0ELb0ES3_N6thrust23THRUST_200600_302600_NS6detail15normal_iteratorINS9_10device_ptrIsEEEESE_SE_sNS9_10multipliesIsEENS9_8equal_toIsEEsEE10hipError_tPvRmT2_T3_T4_T5_mT6_T7_P12ihipStream_tbENKUlT_T0_E_clISt17integral_constantIbLb1EESZ_EEDaSU_SV_EUlSU_E_NS1_11comp_targetILNS1_3genE9ELNS1_11target_archE1100ELNS1_3gpuE3ELNS1_3repE0EEENS1_30default_config_static_selectorELNS0_4arch9wavefront6targetE0EEEvT1_,"axG",@progbits,_ZN7rocprim17ROCPRIM_400000_NS6detail17trampoline_kernelINS0_14default_configENS1_27scan_by_key_config_selectorIssEEZZNS1_16scan_by_key_implILNS1_25lookback_scan_determinismE0ELb0ES3_N6thrust23THRUST_200600_302600_NS6detail15normal_iteratorINS9_10device_ptrIsEEEESE_SE_sNS9_10multipliesIsEENS9_8equal_toIsEEsEE10hipError_tPvRmT2_T3_T4_T5_mT6_T7_P12ihipStream_tbENKUlT_T0_E_clISt17integral_constantIbLb1EESZ_EEDaSU_SV_EUlSU_E_NS1_11comp_targetILNS1_3genE9ELNS1_11target_archE1100ELNS1_3gpuE3ELNS1_3repE0EEENS1_30default_config_static_selectorELNS0_4arch9wavefront6targetE0EEEvT1_,comdat
	.protected	_ZN7rocprim17ROCPRIM_400000_NS6detail17trampoline_kernelINS0_14default_configENS1_27scan_by_key_config_selectorIssEEZZNS1_16scan_by_key_implILNS1_25lookback_scan_determinismE0ELb0ES3_N6thrust23THRUST_200600_302600_NS6detail15normal_iteratorINS9_10device_ptrIsEEEESE_SE_sNS9_10multipliesIsEENS9_8equal_toIsEEsEE10hipError_tPvRmT2_T3_T4_T5_mT6_T7_P12ihipStream_tbENKUlT_T0_E_clISt17integral_constantIbLb1EESZ_EEDaSU_SV_EUlSU_E_NS1_11comp_targetILNS1_3genE9ELNS1_11target_archE1100ELNS1_3gpuE3ELNS1_3repE0EEENS1_30default_config_static_selectorELNS0_4arch9wavefront6targetE0EEEvT1_ ; -- Begin function _ZN7rocprim17ROCPRIM_400000_NS6detail17trampoline_kernelINS0_14default_configENS1_27scan_by_key_config_selectorIssEEZZNS1_16scan_by_key_implILNS1_25lookback_scan_determinismE0ELb0ES3_N6thrust23THRUST_200600_302600_NS6detail15normal_iteratorINS9_10device_ptrIsEEEESE_SE_sNS9_10multipliesIsEENS9_8equal_toIsEEsEE10hipError_tPvRmT2_T3_T4_T5_mT6_T7_P12ihipStream_tbENKUlT_T0_E_clISt17integral_constantIbLb1EESZ_EEDaSU_SV_EUlSU_E_NS1_11comp_targetILNS1_3genE9ELNS1_11target_archE1100ELNS1_3gpuE3ELNS1_3repE0EEENS1_30default_config_static_selectorELNS0_4arch9wavefront6targetE0EEEvT1_
	.globl	_ZN7rocprim17ROCPRIM_400000_NS6detail17trampoline_kernelINS0_14default_configENS1_27scan_by_key_config_selectorIssEEZZNS1_16scan_by_key_implILNS1_25lookback_scan_determinismE0ELb0ES3_N6thrust23THRUST_200600_302600_NS6detail15normal_iteratorINS9_10device_ptrIsEEEESE_SE_sNS9_10multipliesIsEENS9_8equal_toIsEEsEE10hipError_tPvRmT2_T3_T4_T5_mT6_T7_P12ihipStream_tbENKUlT_T0_E_clISt17integral_constantIbLb1EESZ_EEDaSU_SV_EUlSU_E_NS1_11comp_targetILNS1_3genE9ELNS1_11target_archE1100ELNS1_3gpuE3ELNS1_3repE0EEENS1_30default_config_static_selectorELNS0_4arch9wavefront6targetE0EEEvT1_
	.p2align	8
	.type	_ZN7rocprim17ROCPRIM_400000_NS6detail17trampoline_kernelINS0_14default_configENS1_27scan_by_key_config_selectorIssEEZZNS1_16scan_by_key_implILNS1_25lookback_scan_determinismE0ELb0ES3_N6thrust23THRUST_200600_302600_NS6detail15normal_iteratorINS9_10device_ptrIsEEEESE_SE_sNS9_10multipliesIsEENS9_8equal_toIsEEsEE10hipError_tPvRmT2_T3_T4_T5_mT6_T7_P12ihipStream_tbENKUlT_T0_E_clISt17integral_constantIbLb1EESZ_EEDaSU_SV_EUlSU_E_NS1_11comp_targetILNS1_3genE9ELNS1_11target_archE1100ELNS1_3gpuE3ELNS1_3repE0EEENS1_30default_config_static_selectorELNS0_4arch9wavefront6targetE0EEEvT1_,@function
_ZN7rocprim17ROCPRIM_400000_NS6detail17trampoline_kernelINS0_14default_configENS1_27scan_by_key_config_selectorIssEEZZNS1_16scan_by_key_implILNS1_25lookback_scan_determinismE0ELb0ES3_N6thrust23THRUST_200600_302600_NS6detail15normal_iteratorINS9_10device_ptrIsEEEESE_SE_sNS9_10multipliesIsEENS9_8equal_toIsEEsEE10hipError_tPvRmT2_T3_T4_T5_mT6_T7_P12ihipStream_tbENKUlT_T0_E_clISt17integral_constantIbLb1EESZ_EEDaSU_SV_EUlSU_E_NS1_11comp_targetILNS1_3genE9ELNS1_11target_archE1100ELNS1_3gpuE3ELNS1_3repE0EEENS1_30default_config_static_selectorELNS0_4arch9wavefront6targetE0EEEvT1_: ; @_ZN7rocprim17ROCPRIM_400000_NS6detail17trampoline_kernelINS0_14default_configENS1_27scan_by_key_config_selectorIssEEZZNS1_16scan_by_key_implILNS1_25lookback_scan_determinismE0ELb0ES3_N6thrust23THRUST_200600_302600_NS6detail15normal_iteratorINS9_10device_ptrIsEEEESE_SE_sNS9_10multipliesIsEENS9_8equal_toIsEEsEE10hipError_tPvRmT2_T3_T4_T5_mT6_T7_P12ihipStream_tbENKUlT_T0_E_clISt17integral_constantIbLb1EESZ_EEDaSU_SV_EUlSU_E_NS1_11comp_targetILNS1_3genE9ELNS1_11target_archE1100ELNS1_3gpuE3ELNS1_3repE0EEENS1_30default_config_static_selectorELNS0_4arch9wavefront6targetE0EEEvT1_
; %bb.0:
	.section	.rodata,"a",@progbits
	.p2align	6, 0x0
	.amdhsa_kernel _ZN7rocprim17ROCPRIM_400000_NS6detail17trampoline_kernelINS0_14default_configENS1_27scan_by_key_config_selectorIssEEZZNS1_16scan_by_key_implILNS1_25lookback_scan_determinismE0ELb0ES3_N6thrust23THRUST_200600_302600_NS6detail15normal_iteratorINS9_10device_ptrIsEEEESE_SE_sNS9_10multipliesIsEENS9_8equal_toIsEEsEE10hipError_tPvRmT2_T3_T4_T5_mT6_T7_P12ihipStream_tbENKUlT_T0_E_clISt17integral_constantIbLb1EESZ_EEDaSU_SV_EUlSU_E_NS1_11comp_targetILNS1_3genE9ELNS1_11target_archE1100ELNS1_3gpuE3ELNS1_3repE0EEENS1_30default_config_static_selectorELNS0_4arch9wavefront6targetE0EEEvT1_
		.amdhsa_group_segment_fixed_size 0
		.amdhsa_private_segment_fixed_size 0
		.amdhsa_kernarg_size 112
		.amdhsa_user_sgpr_count 2
		.amdhsa_user_sgpr_dispatch_ptr 0
		.amdhsa_user_sgpr_queue_ptr 0
		.amdhsa_user_sgpr_kernarg_segment_ptr 1
		.amdhsa_user_sgpr_dispatch_id 0
		.amdhsa_user_sgpr_kernarg_preload_length 0
		.amdhsa_user_sgpr_kernarg_preload_offset 0
		.amdhsa_user_sgpr_private_segment_size 0
		.amdhsa_wavefront_size32 1
		.amdhsa_uses_dynamic_stack 0
		.amdhsa_enable_private_segment 0
		.amdhsa_system_sgpr_workgroup_id_x 1
		.amdhsa_system_sgpr_workgroup_id_y 0
		.amdhsa_system_sgpr_workgroup_id_z 0
		.amdhsa_system_sgpr_workgroup_info 0
		.amdhsa_system_vgpr_workitem_id 0
		.amdhsa_next_free_vgpr 1
		.amdhsa_next_free_sgpr 1
		.amdhsa_named_barrier_count 0
		.amdhsa_reserve_vcc 0
		.amdhsa_float_round_mode_32 0
		.amdhsa_float_round_mode_16_64 0
		.amdhsa_float_denorm_mode_32 3
		.amdhsa_float_denorm_mode_16_64 3
		.amdhsa_fp16_overflow 0
		.amdhsa_memory_ordered 1
		.amdhsa_forward_progress 1
		.amdhsa_inst_pref_size 0
		.amdhsa_round_robin_scheduling 0
		.amdhsa_exception_fp_ieee_invalid_op 0
		.amdhsa_exception_fp_denorm_src 0
		.amdhsa_exception_fp_ieee_div_zero 0
		.amdhsa_exception_fp_ieee_overflow 0
		.amdhsa_exception_fp_ieee_underflow 0
		.amdhsa_exception_fp_ieee_inexact 0
		.amdhsa_exception_int_div_zero 0
	.end_amdhsa_kernel
	.section	.text._ZN7rocprim17ROCPRIM_400000_NS6detail17trampoline_kernelINS0_14default_configENS1_27scan_by_key_config_selectorIssEEZZNS1_16scan_by_key_implILNS1_25lookback_scan_determinismE0ELb0ES3_N6thrust23THRUST_200600_302600_NS6detail15normal_iteratorINS9_10device_ptrIsEEEESE_SE_sNS9_10multipliesIsEENS9_8equal_toIsEEsEE10hipError_tPvRmT2_T3_T4_T5_mT6_T7_P12ihipStream_tbENKUlT_T0_E_clISt17integral_constantIbLb1EESZ_EEDaSU_SV_EUlSU_E_NS1_11comp_targetILNS1_3genE9ELNS1_11target_archE1100ELNS1_3gpuE3ELNS1_3repE0EEENS1_30default_config_static_selectorELNS0_4arch9wavefront6targetE0EEEvT1_,"axG",@progbits,_ZN7rocprim17ROCPRIM_400000_NS6detail17trampoline_kernelINS0_14default_configENS1_27scan_by_key_config_selectorIssEEZZNS1_16scan_by_key_implILNS1_25lookback_scan_determinismE0ELb0ES3_N6thrust23THRUST_200600_302600_NS6detail15normal_iteratorINS9_10device_ptrIsEEEESE_SE_sNS9_10multipliesIsEENS9_8equal_toIsEEsEE10hipError_tPvRmT2_T3_T4_T5_mT6_T7_P12ihipStream_tbENKUlT_T0_E_clISt17integral_constantIbLb1EESZ_EEDaSU_SV_EUlSU_E_NS1_11comp_targetILNS1_3genE9ELNS1_11target_archE1100ELNS1_3gpuE3ELNS1_3repE0EEENS1_30default_config_static_selectorELNS0_4arch9wavefront6targetE0EEEvT1_,comdat
.Lfunc_end297:
	.size	_ZN7rocprim17ROCPRIM_400000_NS6detail17trampoline_kernelINS0_14default_configENS1_27scan_by_key_config_selectorIssEEZZNS1_16scan_by_key_implILNS1_25lookback_scan_determinismE0ELb0ES3_N6thrust23THRUST_200600_302600_NS6detail15normal_iteratorINS9_10device_ptrIsEEEESE_SE_sNS9_10multipliesIsEENS9_8equal_toIsEEsEE10hipError_tPvRmT2_T3_T4_T5_mT6_T7_P12ihipStream_tbENKUlT_T0_E_clISt17integral_constantIbLb1EESZ_EEDaSU_SV_EUlSU_E_NS1_11comp_targetILNS1_3genE9ELNS1_11target_archE1100ELNS1_3gpuE3ELNS1_3repE0EEENS1_30default_config_static_selectorELNS0_4arch9wavefront6targetE0EEEvT1_, .Lfunc_end297-_ZN7rocprim17ROCPRIM_400000_NS6detail17trampoline_kernelINS0_14default_configENS1_27scan_by_key_config_selectorIssEEZZNS1_16scan_by_key_implILNS1_25lookback_scan_determinismE0ELb0ES3_N6thrust23THRUST_200600_302600_NS6detail15normal_iteratorINS9_10device_ptrIsEEEESE_SE_sNS9_10multipliesIsEENS9_8equal_toIsEEsEE10hipError_tPvRmT2_T3_T4_T5_mT6_T7_P12ihipStream_tbENKUlT_T0_E_clISt17integral_constantIbLb1EESZ_EEDaSU_SV_EUlSU_E_NS1_11comp_targetILNS1_3genE9ELNS1_11target_archE1100ELNS1_3gpuE3ELNS1_3repE0EEENS1_30default_config_static_selectorELNS0_4arch9wavefront6targetE0EEEvT1_
                                        ; -- End function
	.set _ZN7rocprim17ROCPRIM_400000_NS6detail17trampoline_kernelINS0_14default_configENS1_27scan_by_key_config_selectorIssEEZZNS1_16scan_by_key_implILNS1_25lookback_scan_determinismE0ELb0ES3_N6thrust23THRUST_200600_302600_NS6detail15normal_iteratorINS9_10device_ptrIsEEEESE_SE_sNS9_10multipliesIsEENS9_8equal_toIsEEsEE10hipError_tPvRmT2_T3_T4_T5_mT6_T7_P12ihipStream_tbENKUlT_T0_E_clISt17integral_constantIbLb1EESZ_EEDaSU_SV_EUlSU_E_NS1_11comp_targetILNS1_3genE9ELNS1_11target_archE1100ELNS1_3gpuE3ELNS1_3repE0EEENS1_30default_config_static_selectorELNS0_4arch9wavefront6targetE0EEEvT1_.num_vgpr, 0
	.set _ZN7rocprim17ROCPRIM_400000_NS6detail17trampoline_kernelINS0_14default_configENS1_27scan_by_key_config_selectorIssEEZZNS1_16scan_by_key_implILNS1_25lookback_scan_determinismE0ELb0ES3_N6thrust23THRUST_200600_302600_NS6detail15normal_iteratorINS9_10device_ptrIsEEEESE_SE_sNS9_10multipliesIsEENS9_8equal_toIsEEsEE10hipError_tPvRmT2_T3_T4_T5_mT6_T7_P12ihipStream_tbENKUlT_T0_E_clISt17integral_constantIbLb1EESZ_EEDaSU_SV_EUlSU_E_NS1_11comp_targetILNS1_3genE9ELNS1_11target_archE1100ELNS1_3gpuE3ELNS1_3repE0EEENS1_30default_config_static_selectorELNS0_4arch9wavefront6targetE0EEEvT1_.num_agpr, 0
	.set _ZN7rocprim17ROCPRIM_400000_NS6detail17trampoline_kernelINS0_14default_configENS1_27scan_by_key_config_selectorIssEEZZNS1_16scan_by_key_implILNS1_25lookback_scan_determinismE0ELb0ES3_N6thrust23THRUST_200600_302600_NS6detail15normal_iteratorINS9_10device_ptrIsEEEESE_SE_sNS9_10multipliesIsEENS9_8equal_toIsEEsEE10hipError_tPvRmT2_T3_T4_T5_mT6_T7_P12ihipStream_tbENKUlT_T0_E_clISt17integral_constantIbLb1EESZ_EEDaSU_SV_EUlSU_E_NS1_11comp_targetILNS1_3genE9ELNS1_11target_archE1100ELNS1_3gpuE3ELNS1_3repE0EEENS1_30default_config_static_selectorELNS0_4arch9wavefront6targetE0EEEvT1_.numbered_sgpr, 0
	.set _ZN7rocprim17ROCPRIM_400000_NS6detail17trampoline_kernelINS0_14default_configENS1_27scan_by_key_config_selectorIssEEZZNS1_16scan_by_key_implILNS1_25lookback_scan_determinismE0ELb0ES3_N6thrust23THRUST_200600_302600_NS6detail15normal_iteratorINS9_10device_ptrIsEEEESE_SE_sNS9_10multipliesIsEENS9_8equal_toIsEEsEE10hipError_tPvRmT2_T3_T4_T5_mT6_T7_P12ihipStream_tbENKUlT_T0_E_clISt17integral_constantIbLb1EESZ_EEDaSU_SV_EUlSU_E_NS1_11comp_targetILNS1_3genE9ELNS1_11target_archE1100ELNS1_3gpuE3ELNS1_3repE0EEENS1_30default_config_static_selectorELNS0_4arch9wavefront6targetE0EEEvT1_.num_named_barrier, 0
	.set _ZN7rocprim17ROCPRIM_400000_NS6detail17trampoline_kernelINS0_14default_configENS1_27scan_by_key_config_selectorIssEEZZNS1_16scan_by_key_implILNS1_25lookback_scan_determinismE0ELb0ES3_N6thrust23THRUST_200600_302600_NS6detail15normal_iteratorINS9_10device_ptrIsEEEESE_SE_sNS9_10multipliesIsEENS9_8equal_toIsEEsEE10hipError_tPvRmT2_T3_T4_T5_mT6_T7_P12ihipStream_tbENKUlT_T0_E_clISt17integral_constantIbLb1EESZ_EEDaSU_SV_EUlSU_E_NS1_11comp_targetILNS1_3genE9ELNS1_11target_archE1100ELNS1_3gpuE3ELNS1_3repE0EEENS1_30default_config_static_selectorELNS0_4arch9wavefront6targetE0EEEvT1_.private_seg_size, 0
	.set _ZN7rocprim17ROCPRIM_400000_NS6detail17trampoline_kernelINS0_14default_configENS1_27scan_by_key_config_selectorIssEEZZNS1_16scan_by_key_implILNS1_25lookback_scan_determinismE0ELb0ES3_N6thrust23THRUST_200600_302600_NS6detail15normal_iteratorINS9_10device_ptrIsEEEESE_SE_sNS9_10multipliesIsEENS9_8equal_toIsEEsEE10hipError_tPvRmT2_T3_T4_T5_mT6_T7_P12ihipStream_tbENKUlT_T0_E_clISt17integral_constantIbLb1EESZ_EEDaSU_SV_EUlSU_E_NS1_11comp_targetILNS1_3genE9ELNS1_11target_archE1100ELNS1_3gpuE3ELNS1_3repE0EEENS1_30default_config_static_selectorELNS0_4arch9wavefront6targetE0EEEvT1_.uses_vcc, 0
	.set _ZN7rocprim17ROCPRIM_400000_NS6detail17trampoline_kernelINS0_14default_configENS1_27scan_by_key_config_selectorIssEEZZNS1_16scan_by_key_implILNS1_25lookback_scan_determinismE0ELb0ES3_N6thrust23THRUST_200600_302600_NS6detail15normal_iteratorINS9_10device_ptrIsEEEESE_SE_sNS9_10multipliesIsEENS9_8equal_toIsEEsEE10hipError_tPvRmT2_T3_T4_T5_mT6_T7_P12ihipStream_tbENKUlT_T0_E_clISt17integral_constantIbLb1EESZ_EEDaSU_SV_EUlSU_E_NS1_11comp_targetILNS1_3genE9ELNS1_11target_archE1100ELNS1_3gpuE3ELNS1_3repE0EEENS1_30default_config_static_selectorELNS0_4arch9wavefront6targetE0EEEvT1_.uses_flat_scratch, 0
	.set _ZN7rocprim17ROCPRIM_400000_NS6detail17trampoline_kernelINS0_14default_configENS1_27scan_by_key_config_selectorIssEEZZNS1_16scan_by_key_implILNS1_25lookback_scan_determinismE0ELb0ES3_N6thrust23THRUST_200600_302600_NS6detail15normal_iteratorINS9_10device_ptrIsEEEESE_SE_sNS9_10multipliesIsEENS9_8equal_toIsEEsEE10hipError_tPvRmT2_T3_T4_T5_mT6_T7_P12ihipStream_tbENKUlT_T0_E_clISt17integral_constantIbLb1EESZ_EEDaSU_SV_EUlSU_E_NS1_11comp_targetILNS1_3genE9ELNS1_11target_archE1100ELNS1_3gpuE3ELNS1_3repE0EEENS1_30default_config_static_selectorELNS0_4arch9wavefront6targetE0EEEvT1_.has_dyn_sized_stack, 0
	.set _ZN7rocprim17ROCPRIM_400000_NS6detail17trampoline_kernelINS0_14default_configENS1_27scan_by_key_config_selectorIssEEZZNS1_16scan_by_key_implILNS1_25lookback_scan_determinismE0ELb0ES3_N6thrust23THRUST_200600_302600_NS6detail15normal_iteratorINS9_10device_ptrIsEEEESE_SE_sNS9_10multipliesIsEENS9_8equal_toIsEEsEE10hipError_tPvRmT2_T3_T4_T5_mT6_T7_P12ihipStream_tbENKUlT_T0_E_clISt17integral_constantIbLb1EESZ_EEDaSU_SV_EUlSU_E_NS1_11comp_targetILNS1_3genE9ELNS1_11target_archE1100ELNS1_3gpuE3ELNS1_3repE0EEENS1_30default_config_static_selectorELNS0_4arch9wavefront6targetE0EEEvT1_.has_recursion, 0
	.set _ZN7rocprim17ROCPRIM_400000_NS6detail17trampoline_kernelINS0_14default_configENS1_27scan_by_key_config_selectorIssEEZZNS1_16scan_by_key_implILNS1_25lookback_scan_determinismE0ELb0ES3_N6thrust23THRUST_200600_302600_NS6detail15normal_iteratorINS9_10device_ptrIsEEEESE_SE_sNS9_10multipliesIsEENS9_8equal_toIsEEsEE10hipError_tPvRmT2_T3_T4_T5_mT6_T7_P12ihipStream_tbENKUlT_T0_E_clISt17integral_constantIbLb1EESZ_EEDaSU_SV_EUlSU_E_NS1_11comp_targetILNS1_3genE9ELNS1_11target_archE1100ELNS1_3gpuE3ELNS1_3repE0EEENS1_30default_config_static_selectorELNS0_4arch9wavefront6targetE0EEEvT1_.has_indirect_call, 0
	.section	.AMDGPU.csdata,"",@progbits
; Kernel info:
; codeLenInByte = 0
; TotalNumSgprs: 0
; NumVgprs: 0
; ScratchSize: 0
; MemoryBound: 0
; FloatMode: 240
; IeeeMode: 1
; LDSByteSize: 0 bytes/workgroup (compile time only)
; SGPRBlocks: 0
; VGPRBlocks: 0
; NumSGPRsForWavesPerEU: 1
; NumVGPRsForWavesPerEU: 1
; NamedBarCnt: 0
; Occupancy: 16
; WaveLimiterHint : 0
; COMPUTE_PGM_RSRC2:SCRATCH_EN: 0
; COMPUTE_PGM_RSRC2:USER_SGPR: 2
; COMPUTE_PGM_RSRC2:TRAP_HANDLER: 0
; COMPUTE_PGM_RSRC2:TGID_X_EN: 1
; COMPUTE_PGM_RSRC2:TGID_Y_EN: 0
; COMPUTE_PGM_RSRC2:TGID_Z_EN: 0
; COMPUTE_PGM_RSRC2:TIDIG_COMP_CNT: 0
	.section	.text._ZN7rocprim17ROCPRIM_400000_NS6detail17trampoline_kernelINS0_14default_configENS1_27scan_by_key_config_selectorIssEEZZNS1_16scan_by_key_implILNS1_25lookback_scan_determinismE0ELb0ES3_N6thrust23THRUST_200600_302600_NS6detail15normal_iteratorINS9_10device_ptrIsEEEESE_SE_sNS9_10multipliesIsEENS9_8equal_toIsEEsEE10hipError_tPvRmT2_T3_T4_T5_mT6_T7_P12ihipStream_tbENKUlT_T0_E_clISt17integral_constantIbLb1EESZ_EEDaSU_SV_EUlSU_E_NS1_11comp_targetILNS1_3genE8ELNS1_11target_archE1030ELNS1_3gpuE2ELNS1_3repE0EEENS1_30default_config_static_selectorELNS0_4arch9wavefront6targetE0EEEvT1_,"axG",@progbits,_ZN7rocprim17ROCPRIM_400000_NS6detail17trampoline_kernelINS0_14default_configENS1_27scan_by_key_config_selectorIssEEZZNS1_16scan_by_key_implILNS1_25lookback_scan_determinismE0ELb0ES3_N6thrust23THRUST_200600_302600_NS6detail15normal_iteratorINS9_10device_ptrIsEEEESE_SE_sNS9_10multipliesIsEENS9_8equal_toIsEEsEE10hipError_tPvRmT2_T3_T4_T5_mT6_T7_P12ihipStream_tbENKUlT_T0_E_clISt17integral_constantIbLb1EESZ_EEDaSU_SV_EUlSU_E_NS1_11comp_targetILNS1_3genE8ELNS1_11target_archE1030ELNS1_3gpuE2ELNS1_3repE0EEENS1_30default_config_static_selectorELNS0_4arch9wavefront6targetE0EEEvT1_,comdat
	.protected	_ZN7rocprim17ROCPRIM_400000_NS6detail17trampoline_kernelINS0_14default_configENS1_27scan_by_key_config_selectorIssEEZZNS1_16scan_by_key_implILNS1_25lookback_scan_determinismE0ELb0ES3_N6thrust23THRUST_200600_302600_NS6detail15normal_iteratorINS9_10device_ptrIsEEEESE_SE_sNS9_10multipliesIsEENS9_8equal_toIsEEsEE10hipError_tPvRmT2_T3_T4_T5_mT6_T7_P12ihipStream_tbENKUlT_T0_E_clISt17integral_constantIbLb1EESZ_EEDaSU_SV_EUlSU_E_NS1_11comp_targetILNS1_3genE8ELNS1_11target_archE1030ELNS1_3gpuE2ELNS1_3repE0EEENS1_30default_config_static_selectorELNS0_4arch9wavefront6targetE0EEEvT1_ ; -- Begin function _ZN7rocprim17ROCPRIM_400000_NS6detail17trampoline_kernelINS0_14default_configENS1_27scan_by_key_config_selectorIssEEZZNS1_16scan_by_key_implILNS1_25lookback_scan_determinismE0ELb0ES3_N6thrust23THRUST_200600_302600_NS6detail15normal_iteratorINS9_10device_ptrIsEEEESE_SE_sNS9_10multipliesIsEENS9_8equal_toIsEEsEE10hipError_tPvRmT2_T3_T4_T5_mT6_T7_P12ihipStream_tbENKUlT_T0_E_clISt17integral_constantIbLb1EESZ_EEDaSU_SV_EUlSU_E_NS1_11comp_targetILNS1_3genE8ELNS1_11target_archE1030ELNS1_3gpuE2ELNS1_3repE0EEENS1_30default_config_static_selectorELNS0_4arch9wavefront6targetE0EEEvT1_
	.globl	_ZN7rocprim17ROCPRIM_400000_NS6detail17trampoline_kernelINS0_14default_configENS1_27scan_by_key_config_selectorIssEEZZNS1_16scan_by_key_implILNS1_25lookback_scan_determinismE0ELb0ES3_N6thrust23THRUST_200600_302600_NS6detail15normal_iteratorINS9_10device_ptrIsEEEESE_SE_sNS9_10multipliesIsEENS9_8equal_toIsEEsEE10hipError_tPvRmT2_T3_T4_T5_mT6_T7_P12ihipStream_tbENKUlT_T0_E_clISt17integral_constantIbLb1EESZ_EEDaSU_SV_EUlSU_E_NS1_11comp_targetILNS1_3genE8ELNS1_11target_archE1030ELNS1_3gpuE2ELNS1_3repE0EEENS1_30default_config_static_selectorELNS0_4arch9wavefront6targetE0EEEvT1_
	.p2align	8
	.type	_ZN7rocprim17ROCPRIM_400000_NS6detail17trampoline_kernelINS0_14default_configENS1_27scan_by_key_config_selectorIssEEZZNS1_16scan_by_key_implILNS1_25lookback_scan_determinismE0ELb0ES3_N6thrust23THRUST_200600_302600_NS6detail15normal_iteratorINS9_10device_ptrIsEEEESE_SE_sNS9_10multipliesIsEENS9_8equal_toIsEEsEE10hipError_tPvRmT2_T3_T4_T5_mT6_T7_P12ihipStream_tbENKUlT_T0_E_clISt17integral_constantIbLb1EESZ_EEDaSU_SV_EUlSU_E_NS1_11comp_targetILNS1_3genE8ELNS1_11target_archE1030ELNS1_3gpuE2ELNS1_3repE0EEENS1_30default_config_static_selectorELNS0_4arch9wavefront6targetE0EEEvT1_,@function
_ZN7rocprim17ROCPRIM_400000_NS6detail17trampoline_kernelINS0_14default_configENS1_27scan_by_key_config_selectorIssEEZZNS1_16scan_by_key_implILNS1_25lookback_scan_determinismE0ELb0ES3_N6thrust23THRUST_200600_302600_NS6detail15normal_iteratorINS9_10device_ptrIsEEEESE_SE_sNS9_10multipliesIsEENS9_8equal_toIsEEsEE10hipError_tPvRmT2_T3_T4_T5_mT6_T7_P12ihipStream_tbENKUlT_T0_E_clISt17integral_constantIbLb1EESZ_EEDaSU_SV_EUlSU_E_NS1_11comp_targetILNS1_3genE8ELNS1_11target_archE1030ELNS1_3gpuE2ELNS1_3repE0EEENS1_30default_config_static_selectorELNS0_4arch9wavefront6targetE0EEEvT1_: ; @_ZN7rocprim17ROCPRIM_400000_NS6detail17trampoline_kernelINS0_14default_configENS1_27scan_by_key_config_selectorIssEEZZNS1_16scan_by_key_implILNS1_25lookback_scan_determinismE0ELb0ES3_N6thrust23THRUST_200600_302600_NS6detail15normal_iteratorINS9_10device_ptrIsEEEESE_SE_sNS9_10multipliesIsEENS9_8equal_toIsEEsEE10hipError_tPvRmT2_T3_T4_T5_mT6_T7_P12ihipStream_tbENKUlT_T0_E_clISt17integral_constantIbLb1EESZ_EEDaSU_SV_EUlSU_E_NS1_11comp_targetILNS1_3genE8ELNS1_11target_archE1030ELNS1_3gpuE2ELNS1_3repE0EEENS1_30default_config_static_selectorELNS0_4arch9wavefront6targetE0EEEvT1_
; %bb.0:
	.section	.rodata,"a",@progbits
	.p2align	6, 0x0
	.amdhsa_kernel _ZN7rocprim17ROCPRIM_400000_NS6detail17trampoline_kernelINS0_14default_configENS1_27scan_by_key_config_selectorIssEEZZNS1_16scan_by_key_implILNS1_25lookback_scan_determinismE0ELb0ES3_N6thrust23THRUST_200600_302600_NS6detail15normal_iteratorINS9_10device_ptrIsEEEESE_SE_sNS9_10multipliesIsEENS9_8equal_toIsEEsEE10hipError_tPvRmT2_T3_T4_T5_mT6_T7_P12ihipStream_tbENKUlT_T0_E_clISt17integral_constantIbLb1EESZ_EEDaSU_SV_EUlSU_E_NS1_11comp_targetILNS1_3genE8ELNS1_11target_archE1030ELNS1_3gpuE2ELNS1_3repE0EEENS1_30default_config_static_selectorELNS0_4arch9wavefront6targetE0EEEvT1_
		.amdhsa_group_segment_fixed_size 0
		.amdhsa_private_segment_fixed_size 0
		.amdhsa_kernarg_size 112
		.amdhsa_user_sgpr_count 2
		.amdhsa_user_sgpr_dispatch_ptr 0
		.amdhsa_user_sgpr_queue_ptr 0
		.amdhsa_user_sgpr_kernarg_segment_ptr 1
		.amdhsa_user_sgpr_dispatch_id 0
		.amdhsa_user_sgpr_kernarg_preload_length 0
		.amdhsa_user_sgpr_kernarg_preload_offset 0
		.amdhsa_user_sgpr_private_segment_size 0
		.amdhsa_wavefront_size32 1
		.amdhsa_uses_dynamic_stack 0
		.amdhsa_enable_private_segment 0
		.amdhsa_system_sgpr_workgroup_id_x 1
		.amdhsa_system_sgpr_workgroup_id_y 0
		.amdhsa_system_sgpr_workgroup_id_z 0
		.amdhsa_system_sgpr_workgroup_info 0
		.amdhsa_system_vgpr_workitem_id 0
		.amdhsa_next_free_vgpr 1
		.amdhsa_next_free_sgpr 1
		.amdhsa_named_barrier_count 0
		.amdhsa_reserve_vcc 0
		.amdhsa_float_round_mode_32 0
		.amdhsa_float_round_mode_16_64 0
		.amdhsa_float_denorm_mode_32 3
		.amdhsa_float_denorm_mode_16_64 3
		.amdhsa_fp16_overflow 0
		.amdhsa_memory_ordered 1
		.amdhsa_forward_progress 1
		.amdhsa_inst_pref_size 0
		.amdhsa_round_robin_scheduling 0
		.amdhsa_exception_fp_ieee_invalid_op 0
		.amdhsa_exception_fp_denorm_src 0
		.amdhsa_exception_fp_ieee_div_zero 0
		.amdhsa_exception_fp_ieee_overflow 0
		.amdhsa_exception_fp_ieee_underflow 0
		.amdhsa_exception_fp_ieee_inexact 0
		.amdhsa_exception_int_div_zero 0
	.end_amdhsa_kernel
	.section	.text._ZN7rocprim17ROCPRIM_400000_NS6detail17trampoline_kernelINS0_14default_configENS1_27scan_by_key_config_selectorIssEEZZNS1_16scan_by_key_implILNS1_25lookback_scan_determinismE0ELb0ES3_N6thrust23THRUST_200600_302600_NS6detail15normal_iteratorINS9_10device_ptrIsEEEESE_SE_sNS9_10multipliesIsEENS9_8equal_toIsEEsEE10hipError_tPvRmT2_T3_T4_T5_mT6_T7_P12ihipStream_tbENKUlT_T0_E_clISt17integral_constantIbLb1EESZ_EEDaSU_SV_EUlSU_E_NS1_11comp_targetILNS1_3genE8ELNS1_11target_archE1030ELNS1_3gpuE2ELNS1_3repE0EEENS1_30default_config_static_selectorELNS0_4arch9wavefront6targetE0EEEvT1_,"axG",@progbits,_ZN7rocprim17ROCPRIM_400000_NS6detail17trampoline_kernelINS0_14default_configENS1_27scan_by_key_config_selectorIssEEZZNS1_16scan_by_key_implILNS1_25lookback_scan_determinismE0ELb0ES3_N6thrust23THRUST_200600_302600_NS6detail15normal_iteratorINS9_10device_ptrIsEEEESE_SE_sNS9_10multipliesIsEENS9_8equal_toIsEEsEE10hipError_tPvRmT2_T3_T4_T5_mT6_T7_P12ihipStream_tbENKUlT_T0_E_clISt17integral_constantIbLb1EESZ_EEDaSU_SV_EUlSU_E_NS1_11comp_targetILNS1_3genE8ELNS1_11target_archE1030ELNS1_3gpuE2ELNS1_3repE0EEENS1_30default_config_static_selectorELNS0_4arch9wavefront6targetE0EEEvT1_,comdat
.Lfunc_end298:
	.size	_ZN7rocprim17ROCPRIM_400000_NS6detail17trampoline_kernelINS0_14default_configENS1_27scan_by_key_config_selectorIssEEZZNS1_16scan_by_key_implILNS1_25lookback_scan_determinismE0ELb0ES3_N6thrust23THRUST_200600_302600_NS6detail15normal_iteratorINS9_10device_ptrIsEEEESE_SE_sNS9_10multipliesIsEENS9_8equal_toIsEEsEE10hipError_tPvRmT2_T3_T4_T5_mT6_T7_P12ihipStream_tbENKUlT_T0_E_clISt17integral_constantIbLb1EESZ_EEDaSU_SV_EUlSU_E_NS1_11comp_targetILNS1_3genE8ELNS1_11target_archE1030ELNS1_3gpuE2ELNS1_3repE0EEENS1_30default_config_static_selectorELNS0_4arch9wavefront6targetE0EEEvT1_, .Lfunc_end298-_ZN7rocprim17ROCPRIM_400000_NS6detail17trampoline_kernelINS0_14default_configENS1_27scan_by_key_config_selectorIssEEZZNS1_16scan_by_key_implILNS1_25lookback_scan_determinismE0ELb0ES3_N6thrust23THRUST_200600_302600_NS6detail15normal_iteratorINS9_10device_ptrIsEEEESE_SE_sNS9_10multipliesIsEENS9_8equal_toIsEEsEE10hipError_tPvRmT2_T3_T4_T5_mT6_T7_P12ihipStream_tbENKUlT_T0_E_clISt17integral_constantIbLb1EESZ_EEDaSU_SV_EUlSU_E_NS1_11comp_targetILNS1_3genE8ELNS1_11target_archE1030ELNS1_3gpuE2ELNS1_3repE0EEENS1_30default_config_static_selectorELNS0_4arch9wavefront6targetE0EEEvT1_
                                        ; -- End function
	.set _ZN7rocprim17ROCPRIM_400000_NS6detail17trampoline_kernelINS0_14default_configENS1_27scan_by_key_config_selectorIssEEZZNS1_16scan_by_key_implILNS1_25lookback_scan_determinismE0ELb0ES3_N6thrust23THRUST_200600_302600_NS6detail15normal_iteratorINS9_10device_ptrIsEEEESE_SE_sNS9_10multipliesIsEENS9_8equal_toIsEEsEE10hipError_tPvRmT2_T3_T4_T5_mT6_T7_P12ihipStream_tbENKUlT_T0_E_clISt17integral_constantIbLb1EESZ_EEDaSU_SV_EUlSU_E_NS1_11comp_targetILNS1_3genE8ELNS1_11target_archE1030ELNS1_3gpuE2ELNS1_3repE0EEENS1_30default_config_static_selectorELNS0_4arch9wavefront6targetE0EEEvT1_.num_vgpr, 0
	.set _ZN7rocprim17ROCPRIM_400000_NS6detail17trampoline_kernelINS0_14default_configENS1_27scan_by_key_config_selectorIssEEZZNS1_16scan_by_key_implILNS1_25lookback_scan_determinismE0ELb0ES3_N6thrust23THRUST_200600_302600_NS6detail15normal_iteratorINS9_10device_ptrIsEEEESE_SE_sNS9_10multipliesIsEENS9_8equal_toIsEEsEE10hipError_tPvRmT2_T3_T4_T5_mT6_T7_P12ihipStream_tbENKUlT_T0_E_clISt17integral_constantIbLb1EESZ_EEDaSU_SV_EUlSU_E_NS1_11comp_targetILNS1_3genE8ELNS1_11target_archE1030ELNS1_3gpuE2ELNS1_3repE0EEENS1_30default_config_static_selectorELNS0_4arch9wavefront6targetE0EEEvT1_.num_agpr, 0
	.set _ZN7rocprim17ROCPRIM_400000_NS6detail17trampoline_kernelINS0_14default_configENS1_27scan_by_key_config_selectorIssEEZZNS1_16scan_by_key_implILNS1_25lookback_scan_determinismE0ELb0ES3_N6thrust23THRUST_200600_302600_NS6detail15normal_iteratorINS9_10device_ptrIsEEEESE_SE_sNS9_10multipliesIsEENS9_8equal_toIsEEsEE10hipError_tPvRmT2_T3_T4_T5_mT6_T7_P12ihipStream_tbENKUlT_T0_E_clISt17integral_constantIbLb1EESZ_EEDaSU_SV_EUlSU_E_NS1_11comp_targetILNS1_3genE8ELNS1_11target_archE1030ELNS1_3gpuE2ELNS1_3repE0EEENS1_30default_config_static_selectorELNS0_4arch9wavefront6targetE0EEEvT1_.numbered_sgpr, 0
	.set _ZN7rocprim17ROCPRIM_400000_NS6detail17trampoline_kernelINS0_14default_configENS1_27scan_by_key_config_selectorIssEEZZNS1_16scan_by_key_implILNS1_25lookback_scan_determinismE0ELb0ES3_N6thrust23THRUST_200600_302600_NS6detail15normal_iteratorINS9_10device_ptrIsEEEESE_SE_sNS9_10multipliesIsEENS9_8equal_toIsEEsEE10hipError_tPvRmT2_T3_T4_T5_mT6_T7_P12ihipStream_tbENKUlT_T0_E_clISt17integral_constantIbLb1EESZ_EEDaSU_SV_EUlSU_E_NS1_11comp_targetILNS1_3genE8ELNS1_11target_archE1030ELNS1_3gpuE2ELNS1_3repE0EEENS1_30default_config_static_selectorELNS0_4arch9wavefront6targetE0EEEvT1_.num_named_barrier, 0
	.set _ZN7rocprim17ROCPRIM_400000_NS6detail17trampoline_kernelINS0_14default_configENS1_27scan_by_key_config_selectorIssEEZZNS1_16scan_by_key_implILNS1_25lookback_scan_determinismE0ELb0ES3_N6thrust23THRUST_200600_302600_NS6detail15normal_iteratorINS9_10device_ptrIsEEEESE_SE_sNS9_10multipliesIsEENS9_8equal_toIsEEsEE10hipError_tPvRmT2_T3_T4_T5_mT6_T7_P12ihipStream_tbENKUlT_T0_E_clISt17integral_constantIbLb1EESZ_EEDaSU_SV_EUlSU_E_NS1_11comp_targetILNS1_3genE8ELNS1_11target_archE1030ELNS1_3gpuE2ELNS1_3repE0EEENS1_30default_config_static_selectorELNS0_4arch9wavefront6targetE0EEEvT1_.private_seg_size, 0
	.set _ZN7rocprim17ROCPRIM_400000_NS6detail17trampoline_kernelINS0_14default_configENS1_27scan_by_key_config_selectorIssEEZZNS1_16scan_by_key_implILNS1_25lookback_scan_determinismE0ELb0ES3_N6thrust23THRUST_200600_302600_NS6detail15normal_iteratorINS9_10device_ptrIsEEEESE_SE_sNS9_10multipliesIsEENS9_8equal_toIsEEsEE10hipError_tPvRmT2_T3_T4_T5_mT6_T7_P12ihipStream_tbENKUlT_T0_E_clISt17integral_constantIbLb1EESZ_EEDaSU_SV_EUlSU_E_NS1_11comp_targetILNS1_3genE8ELNS1_11target_archE1030ELNS1_3gpuE2ELNS1_3repE0EEENS1_30default_config_static_selectorELNS0_4arch9wavefront6targetE0EEEvT1_.uses_vcc, 0
	.set _ZN7rocprim17ROCPRIM_400000_NS6detail17trampoline_kernelINS0_14default_configENS1_27scan_by_key_config_selectorIssEEZZNS1_16scan_by_key_implILNS1_25lookback_scan_determinismE0ELb0ES3_N6thrust23THRUST_200600_302600_NS6detail15normal_iteratorINS9_10device_ptrIsEEEESE_SE_sNS9_10multipliesIsEENS9_8equal_toIsEEsEE10hipError_tPvRmT2_T3_T4_T5_mT6_T7_P12ihipStream_tbENKUlT_T0_E_clISt17integral_constantIbLb1EESZ_EEDaSU_SV_EUlSU_E_NS1_11comp_targetILNS1_3genE8ELNS1_11target_archE1030ELNS1_3gpuE2ELNS1_3repE0EEENS1_30default_config_static_selectorELNS0_4arch9wavefront6targetE0EEEvT1_.uses_flat_scratch, 0
	.set _ZN7rocprim17ROCPRIM_400000_NS6detail17trampoline_kernelINS0_14default_configENS1_27scan_by_key_config_selectorIssEEZZNS1_16scan_by_key_implILNS1_25lookback_scan_determinismE0ELb0ES3_N6thrust23THRUST_200600_302600_NS6detail15normal_iteratorINS9_10device_ptrIsEEEESE_SE_sNS9_10multipliesIsEENS9_8equal_toIsEEsEE10hipError_tPvRmT2_T3_T4_T5_mT6_T7_P12ihipStream_tbENKUlT_T0_E_clISt17integral_constantIbLb1EESZ_EEDaSU_SV_EUlSU_E_NS1_11comp_targetILNS1_3genE8ELNS1_11target_archE1030ELNS1_3gpuE2ELNS1_3repE0EEENS1_30default_config_static_selectorELNS0_4arch9wavefront6targetE0EEEvT1_.has_dyn_sized_stack, 0
	.set _ZN7rocprim17ROCPRIM_400000_NS6detail17trampoline_kernelINS0_14default_configENS1_27scan_by_key_config_selectorIssEEZZNS1_16scan_by_key_implILNS1_25lookback_scan_determinismE0ELb0ES3_N6thrust23THRUST_200600_302600_NS6detail15normal_iteratorINS9_10device_ptrIsEEEESE_SE_sNS9_10multipliesIsEENS9_8equal_toIsEEsEE10hipError_tPvRmT2_T3_T4_T5_mT6_T7_P12ihipStream_tbENKUlT_T0_E_clISt17integral_constantIbLb1EESZ_EEDaSU_SV_EUlSU_E_NS1_11comp_targetILNS1_3genE8ELNS1_11target_archE1030ELNS1_3gpuE2ELNS1_3repE0EEENS1_30default_config_static_selectorELNS0_4arch9wavefront6targetE0EEEvT1_.has_recursion, 0
	.set _ZN7rocprim17ROCPRIM_400000_NS6detail17trampoline_kernelINS0_14default_configENS1_27scan_by_key_config_selectorIssEEZZNS1_16scan_by_key_implILNS1_25lookback_scan_determinismE0ELb0ES3_N6thrust23THRUST_200600_302600_NS6detail15normal_iteratorINS9_10device_ptrIsEEEESE_SE_sNS9_10multipliesIsEENS9_8equal_toIsEEsEE10hipError_tPvRmT2_T3_T4_T5_mT6_T7_P12ihipStream_tbENKUlT_T0_E_clISt17integral_constantIbLb1EESZ_EEDaSU_SV_EUlSU_E_NS1_11comp_targetILNS1_3genE8ELNS1_11target_archE1030ELNS1_3gpuE2ELNS1_3repE0EEENS1_30default_config_static_selectorELNS0_4arch9wavefront6targetE0EEEvT1_.has_indirect_call, 0
	.section	.AMDGPU.csdata,"",@progbits
; Kernel info:
; codeLenInByte = 0
; TotalNumSgprs: 0
; NumVgprs: 0
; ScratchSize: 0
; MemoryBound: 0
; FloatMode: 240
; IeeeMode: 1
; LDSByteSize: 0 bytes/workgroup (compile time only)
; SGPRBlocks: 0
; VGPRBlocks: 0
; NumSGPRsForWavesPerEU: 1
; NumVGPRsForWavesPerEU: 1
; NamedBarCnt: 0
; Occupancy: 16
; WaveLimiterHint : 0
; COMPUTE_PGM_RSRC2:SCRATCH_EN: 0
; COMPUTE_PGM_RSRC2:USER_SGPR: 2
; COMPUTE_PGM_RSRC2:TRAP_HANDLER: 0
; COMPUTE_PGM_RSRC2:TGID_X_EN: 1
; COMPUTE_PGM_RSRC2:TGID_Y_EN: 0
; COMPUTE_PGM_RSRC2:TGID_Z_EN: 0
; COMPUTE_PGM_RSRC2:TIDIG_COMP_CNT: 0
	.section	.text._ZN7rocprim17ROCPRIM_400000_NS6detail17trampoline_kernelINS0_14default_configENS1_27scan_by_key_config_selectorIssEEZZNS1_16scan_by_key_implILNS1_25lookback_scan_determinismE0ELb0ES3_N6thrust23THRUST_200600_302600_NS6detail15normal_iteratorINS9_10device_ptrIsEEEESE_SE_sNS9_10multipliesIsEENS9_8equal_toIsEEsEE10hipError_tPvRmT2_T3_T4_T5_mT6_T7_P12ihipStream_tbENKUlT_T0_E_clISt17integral_constantIbLb1EESY_IbLb0EEEEDaSU_SV_EUlSU_E_NS1_11comp_targetILNS1_3genE0ELNS1_11target_archE4294967295ELNS1_3gpuE0ELNS1_3repE0EEENS1_30default_config_static_selectorELNS0_4arch9wavefront6targetE0EEEvT1_,"axG",@progbits,_ZN7rocprim17ROCPRIM_400000_NS6detail17trampoline_kernelINS0_14default_configENS1_27scan_by_key_config_selectorIssEEZZNS1_16scan_by_key_implILNS1_25lookback_scan_determinismE0ELb0ES3_N6thrust23THRUST_200600_302600_NS6detail15normal_iteratorINS9_10device_ptrIsEEEESE_SE_sNS9_10multipliesIsEENS9_8equal_toIsEEsEE10hipError_tPvRmT2_T3_T4_T5_mT6_T7_P12ihipStream_tbENKUlT_T0_E_clISt17integral_constantIbLb1EESY_IbLb0EEEEDaSU_SV_EUlSU_E_NS1_11comp_targetILNS1_3genE0ELNS1_11target_archE4294967295ELNS1_3gpuE0ELNS1_3repE0EEENS1_30default_config_static_selectorELNS0_4arch9wavefront6targetE0EEEvT1_,comdat
	.protected	_ZN7rocprim17ROCPRIM_400000_NS6detail17trampoline_kernelINS0_14default_configENS1_27scan_by_key_config_selectorIssEEZZNS1_16scan_by_key_implILNS1_25lookback_scan_determinismE0ELb0ES3_N6thrust23THRUST_200600_302600_NS6detail15normal_iteratorINS9_10device_ptrIsEEEESE_SE_sNS9_10multipliesIsEENS9_8equal_toIsEEsEE10hipError_tPvRmT2_T3_T4_T5_mT6_T7_P12ihipStream_tbENKUlT_T0_E_clISt17integral_constantIbLb1EESY_IbLb0EEEEDaSU_SV_EUlSU_E_NS1_11comp_targetILNS1_3genE0ELNS1_11target_archE4294967295ELNS1_3gpuE0ELNS1_3repE0EEENS1_30default_config_static_selectorELNS0_4arch9wavefront6targetE0EEEvT1_ ; -- Begin function _ZN7rocprim17ROCPRIM_400000_NS6detail17trampoline_kernelINS0_14default_configENS1_27scan_by_key_config_selectorIssEEZZNS1_16scan_by_key_implILNS1_25lookback_scan_determinismE0ELb0ES3_N6thrust23THRUST_200600_302600_NS6detail15normal_iteratorINS9_10device_ptrIsEEEESE_SE_sNS9_10multipliesIsEENS9_8equal_toIsEEsEE10hipError_tPvRmT2_T3_T4_T5_mT6_T7_P12ihipStream_tbENKUlT_T0_E_clISt17integral_constantIbLb1EESY_IbLb0EEEEDaSU_SV_EUlSU_E_NS1_11comp_targetILNS1_3genE0ELNS1_11target_archE4294967295ELNS1_3gpuE0ELNS1_3repE0EEENS1_30default_config_static_selectorELNS0_4arch9wavefront6targetE0EEEvT1_
	.globl	_ZN7rocprim17ROCPRIM_400000_NS6detail17trampoline_kernelINS0_14default_configENS1_27scan_by_key_config_selectorIssEEZZNS1_16scan_by_key_implILNS1_25lookback_scan_determinismE0ELb0ES3_N6thrust23THRUST_200600_302600_NS6detail15normal_iteratorINS9_10device_ptrIsEEEESE_SE_sNS9_10multipliesIsEENS9_8equal_toIsEEsEE10hipError_tPvRmT2_T3_T4_T5_mT6_T7_P12ihipStream_tbENKUlT_T0_E_clISt17integral_constantIbLb1EESY_IbLb0EEEEDaSU_SV_EUlSU_E_NS1_11comp_targetILNS1_3genE0ELNS1_11target_archE4294967295ELNS1_3gpuE0ELNS1_3repE0EEENS1_30default_config_static_selectorELNS0_4arch9wavefront6targetE0EEEvT1_
	.p2align	8
	.type	_ZN7rocprim17ROCPRIM_400000_NS6detail17trampoline_kernelINS0_14default_configENS1_27scan_by_key_config_selectorIssEEZZNS1_16scan_by_key_implILNS1_25lookback_scan_determinismE0ELb0ES3_N6thrust23THRUST_200600_302600_NS6detail15normal_iteratorINS9_10device_ptrIsEEEESE_SE_sNS9_10multipliesIsEENS9_8equal_toIsEEsEE10hipError_tPvRmT2_T3_T4_T5_mT6_T7_P12ihipStream_tbENKUlT_T0_E_clISt17integral_constantIbLb1EESY_IbLb0EEEEDaSU_SV_EUlSU_E_NS1_11comp_targetILNS1_3genE0ELNS1_11target_archE4294967295ELNS1_3gpuE0ELNS1_3repE0EEENS1_30default_config_static_selectorELNS0_4arch9wavefront6targetE0EEEvT1_,@function
_ZN7rocprim17ROCPRIM_400000_NS6detail17trampoline_kernelINS0_14default_configENS1_27scan_by_key_config_selectorIssEEZZNS1_16scan_by_key_implILNS1_25lookback_scan_determinismE0ELb0ES3_N6thrust23THRUST_200600_302600_NS6detail15normal_iteratorINS9_10device_ptrIsEEEESE_SE_sNS9_10multipliesIsEENS9_8equal_toIsEEsEE10hipError_tPvRmT2_T3_T4_T5_mT6_T7_P12ihipStream_tbENKUlT_T0_E_clISt17integral_constantIbLb1EESY_IbLb0EEEEDaSU_SV_EUlSU_E_NS1_11comp_targetILNS1_3genE0ELNS1_11target_archE4294967295ELNS1_3gpuE0ELNS1_3repE0EEENS1_30default_config_static_selectorELNS0_4arch9wavefront6targetE0EEEvT1_: ; @_ZN7rocprim17ROCPRIM_400000_NS6detail17trampoline_kernelINS0_14default_configENS1_27scan_by_key_config_selectorIssEEZZNS1_16scan_by_key_implILNS1_25lookback_scan_determinismE0ELb0ES3_N6thrust23THRUST_200600_302600_NS6detail15normal_iteratorINS9_10device_ptrIsEEEESE_SE_sNS9_10multipliesIsEENS9_8equal_toIsEEsEE10hipError_tPvRmT2_T3_T4_T5_mT6_T7_P12ihipStream_tbENKUlT_T0_E_clISt17integral_constantIbLb1EESY_IbLb0EEEEDaSU_SV_EUlSU_E_NS1_11comp_targetILNS1_3genE0ELNS1_11target_archE4294967295ELNS1_3gpuE0ELNS1_3repE0EEENS1_30default_config_static_selectorELNS0_4arch9wavefront6targetE0EEEvT1_
; %bb.0:
	s_endpgm
	.section	.rodata,"a",@progbits
	.p2align	6, 0x0
	.amdhsa_kernel _ZN7rocprim17ROCPRIM_400000_NS6detail17trampoline_kernelINS0_14default_configENS1_27scan_by_key_config_selectorIssEEZZNS1_16scan_by_key_implILNS1_25lookback_scan_determinismE0ELb0ES3_N6thrust23THRUST_200600_302600_NS6detail15normal_iteratorINS9_10device_ptrIsEEEESE_SE_sNS9_10multipliesIsEENS9_8equal_toIsEEsEE10hipError_tPvRmT2_T3_T4_T5_mT6_T7_P12ihipStream_tbENKUlT_T0_E_clISt17integral_constantIbLb1EESY_IbLb0EEEEDaSU_SV_EUlSU_E_NS1_11comp_targetILNS1_3genE0ELNS1_11target_archE4294967295ELNS1_3gpuE0ELNS1_3repE0EEENS1_30default_config_static_selectorELNS0_4arch9wavefront6targetE0EEEvT1_
		.amdhsa_group_segment_fixed_size 0
		.amdhsa_private_segment_fixed_size 0
		.amdhsa_kernarg_size 112
		.amdhsa_user_sgpr_count 2
		.amdhsa_user_sgpr_dispatch_ptr 0
		.amdhsa_user_sgpr_queue_ptr 0
		.amdhsa_user_sgpr_kernarg_segment_ptr 1
		.amdhsa_user_sgpr_dispatch_id 0
		.amdhsa_user_sgpr_kernarg_preload_length 0
		.amdhsa_user_sgpr_kernarg_preload_offset 0
		.amdhsa_user_sgpr_private_segment_size 0
		.amdhsa_wavefront_size32 1
		.amdhsa_uses_dynamic_stack 0
		.amdhsa_enable_private_segment 0
		.amdhsa_system_sgpr_workgroup_id_x 1
		.amdhsa_system_sgpr_workgroup_id_y 0
		.amdhsa_system_sgpr_workgroup_id_z 0
		.amdhsa_system_sgpr_workgroup_info 0
		.amdhsa_system_vgpr_workitem_id 0
		.amdhsa_next_free_vgpr 1
		.amdhsa_next_free_sgpr 1
		.amdhsa_named_barrier_count 0
		.amdhsa_reserve_vcc 0
		.amdhsa_float_round_mode_32 0
		.amdhsa_float_round_mode_16_64 0
		.amdhsa_float_denorm_mode_32 3
		.amdhsa_float_denorm_mode_16_64 3
		.amdhsa_fp16_overflow 0
		.amdhsa_memory_ordered 1
		.amdhsa_forward_progress 1
		.amdhsa_inst_pref_size 1
		.amdhsa_round_robin_scheduling 0
		.amdhsa_exception_fp_ieee_invalid_op 0
		.amdhsa_exception_fp_denorm_src 0
		.amdhsa_exception_fp_ieee_div_zero 0
		.amdhsa_exception_fp_ieee_overflow 0
		.amdhsa_exception_fp_ieee_underflow 0
		.amdhsa_exception_fp_ieee_inexact 0
		.amdhsa_exception_int_div_zero 0
	.end_amdhsa_kernel
	.section	.text._ZN7rocprim17ROCPRIM_400000_NS6detail17trampoline_kernelINS0_14default_configENS1_27scan_by_key_config_selectorIssEEZZNS1_16scan_by_key_implILNS1_25lookback_scan_determinismE0ELb0ES3_N6thrust23THRUST_200600_302600_NS6detail15normal_iteratorINS9_10device_ptrIsEEEESE_SE_sNS9_10multipliesIsEENS9_8equal_toIsEEsEE10hipError_tPvRmT2_T3_T4_T5_mT6_T7_P12ihipStream_tbENKUlT_T0_E_clISt17integral_constantIbLb1EESY_IbLb0EEEEDaSU_SV_EUlSU_E_NS1_11comp_targetILNS1_3genE0ELNS1_11target_archE4294967295ELNS1_3gpuE0ELNS1_3repE0EEENS1_30default_config_static_selectorELNS0_4arch9wavefront6targetE0EEEvT1_,"axG",@progbits,_ZN7rocprim17ROCPRIM_400000_NS6detail17trampoline_kernelINS0_14default_configENS1_27scan_by_key_config_selectorIssEEZZNS1_16scan_by_key_implILNS1_25lookback_scan_determinismE0ELb0ES3_N6thrust23THRUST_200600_302600_NS6detail15normal_iteratorINS9_10device_ptrIsEEEESE_SE_sNS9_10multipliesIsEENS9_8equal_toIsEEsEE10hipError_tPvRmT2_T3_T4_T5_mT6_T7_P12ihipStream_tbENKUlT_T0_E_clISt17integral_constantIbLb1EESY_IbLb0EEEEDaSU_SV_EUlSU_E_NS1_11comp_targetILNS1_3genE0ELNS1_11target_archE4294967295ELNS1_3gpuE0ELNS1_3repE0EEENS1_30default_config_static_selectorELNS0_4arch9wavefront6targetE0EEEvT1_,comdat
.Lfunc_end299:
	.size	_ZN7rocprim17ROCPRIM_400000_NS6detail17trampoline_kernelINS0_14default_configENS1_27scan_by_key_config_selectorIssEEZZNS1_16scan_by_key_implILNS1_25lookback_scan_determinismE0ELb0ES3_N6thrust23THRUST_200600_302600_NS6detail15normal_iteratorINS9_10device_ptrIsEEEESE_SE_sNS9_10multipliesIsEENS9_8equal_toIsEEsEE10hipError_tPvRmT2_T3_T4_T5_mT6_T7_P12ihipStream_tbENKUlT_T0_E_clISt17integral_constantIbLb1EESY_IbLb0EEEEDaSU_SV_EUlSU_E_NS1_11comp_targetILNS1_3genE0ELNS1_11target_archE4294967295ELNS1_3gpuE0ELNS1_3repE0EEENS1_30default_config_static_selectorELNS0_4arch9wavefront6targetE0EEEvT1_, .Lfunc_end299-_ZN7rocprim17ROCPRIM_400000_NS6detail17trampoline_kernelINS0_14default_configENS1_27scan_by_key_config_selectorIssEEZZNS1_16scan_by_key_implILNS1_25lookback_scan_determinismE0ELb0ES3_N6thrust23THRUST_200600_302600_NS6detail15normal_iteratorINS9_10device_ptrIsEEEESE_SE_sNS9_10multipliesIsEENS9_8equal_toIsEEsEE10hipError_tPvRmT2_T3_T4_T5_mT6_T7_P12ihipStream_tbENKUlT_T0_E_clISt17integral_constantIbLb1EESY_IbLb0EEEEDaSU_SV_EUlSU_E_NS1_11comp_targetILNS1_3genE0ELNS1_11target_archE4294967295ELNS1_3gpuE0ELNS1_3repE0EEENS1_30default_config_static_selectorELNS0_4arch9wavefront6targetE0EEEvT1_
                                        ; -- End function
	.set _ZN7rocprim17ROCPRIM_400000_NS6detail17trampoline_kernelINS0_14default_configENS1_27scan_by_key_config_selectorIssEEZZNS1_16scan_by_key_implILNS1_25lookback_scan_determinismE0ELb0ES3_N6thrust23THRUST_200600_302600_NS6detail15normal_iteratorINS9_10device_ptrIsEEEESE_SE_sNS9_10multipliesIsEENS9_8equal_toIsEEsEE10hipError_tPvRmT2_T3_T4_T5_mT6_T7_P12ihipStream_tbENKUlT_T0_E_clISt17integral_constantIbLb1EESY_IbLb0EEEEDaSU_SV_EUlSU_E_NS1_11comp_targetILNS1_3genE0ELNS1_11target_archE4294967295ELNS1_3gpuE0ELNS1_3repE0EEENS1_30default_config_static_selectorELNS0_4arch9wavefront6targetE0EEEvT1_.num_vgpr, 0
	.set _ZN7rocprim17ROCPRIM_400000_NS6detail17trampoline_kernelINS0_14default_configENS1_27scan_by_key_config_selectorIssEEZZNS1_16scan_by_key_implILNS1_25lookback_scan_determinismE0ELb0ES3_N6thrust23THRUST_200600_302600_NS6detail15normal_iteratorINS9_10device_ptrIsEEEESE_SE_sNS9_10multipliesIsEENS9_8equal_toIsEEsEE10hipError_tPvRmT2_T3_T4_T5_mT6_T7_P12ihipStream_tbENKUlT_T0_E_clISt17integral_constantIbLb1EESY_IbLb0EEEEDaSU_SV_EUlSU_E_NS1_11comp_targetILNS1_3genE0ELNS1_11target_archE4294967295ELNS1_3gpuE0ELNS1_3repE0EEENS1_30default_config_static_selectorELNS0_4arch9wavefront6targetE0EEEvT1_.num_agpr, 0
	.set _ZN7rocprim17ROCPRIM_400000_NS6detail17trampoline_kernelINS0_14default_configENS1_27scan_by_key_config_selectorIssEEZZNS1_16scan_by_key_implILNS1_25lookback_scan_determinismE0ELb0ES3_N6thrust23THRUST_200600_302600_NS6detail15normal_iteratorINS9_10device_ptrIsEEEESE_SE_sNS9_10multipliesIsEENS9_8equal_toIsEEsEE10hipError_tPvRmT2_T3_T4_T5_mT6_T7_P12ihipStream_tbENKUlT_T0_E_clISt17integral_constantIbLb1EESY_IbLb0EEEEDaSU_SV_EUlSU_E_NS1_11comp_targetILNS1_3genE0ELNS1_11target_archE4294967295ELNS1_3gpuE0ELNS1_3repE0EEENS1_30default_config_static_selectorELNS0_4arch9wavefront6targetE0EEEvT1_.numbered_sgpr, 0
	.set _ZN7rocprim17ROCPRIM_400000_NS6detail17trampoline_kernelINS0_14default_configENS1_27scan_by_key_config_selectorIssEEZZNS1_16scan_by_key_implILNS1_25lookback_scan_determinismE0ELb0ES3_N6thrust23THRUST_200600_302600_NS6detail15normal_iteratorINS9_10device_ptrIsEEEESE_SE_sNS9_10multipliesIsEENS9_8equal_toIsEEsEE10hipError_tPvRmT2_T3_T4_T5_mT6_T7_P12ihipStream_tbENKUlT_T0_E_clISt17integral_constantIbLb1EESY_IbLb0EEEEDaSU_SV_EUlSU_E_NS1_11comp_targetILNS1_3genE0ELNS1_11target_archE4294967295ELNS1_3gpuE0ELNS1_3repE0EEENS1_30default_config_static_selectorELNS0_4arch9wavefront6targetE0EEEvT1_.num_named_barrier, 0
	.set _ZN7rocprim17ROCPRIM_400000_NS6detail17trampoline_kernelINS0_14default_configENS1_27scan_by_key_config_selectorIssEEZZNS1_16scan_by_key_implILNS1_25lookback_scan_determinismE0ELb0ES3_N6thrust23THRUST_200600_302600_NS6detail15normal_iteratorINS9_10device_ptrIsEEEESE_SE_sNS9_10multipliesIsEENS9_8equal_toIsEEsEE10hipError_tPvRmT2_T3_T4_T5_mT6_T7_P12ihipStream_tbENKUlT_T0_E_clISt17integral_constantIbLb1EESY_IbLb0EEEEDaSU_SV_EUlSU_E_NS1_11comp_targetILNS1_3genE0ELNS1_11target_archE4294967295ELNS1_3gpuE0ELNS1_3repE0EEENS1_30default_config_static_selectorELNS0_4arch9wavefront6targetE0EEEvT1_.private_seg_size, 0
	.set _ZN7rocprim17ROCPRIM_400000_NS6detail17trampoline_kernelINS0_14default_configENS1_27scan_by_key_config_selectorIssEEZZNS1_16scan_by_key_implILNS1_25lookback_scan_determinismE0ELb0ES3_N6thrust23THRUST_200600_302600_NS6detail15normal_iteratorINS9_10device_ptrIsEEEESE_SE_sNS9_10multipliesIsEENS9_8equal_toIsEEsEE10hipError_tPvRmT2_T3_T4_T5_mT6_T7_P12ihipStream_tbENKUlT_T0_E_clISt17integral_constantIbLb1EESY_IbLb0EEEEDaSU_SV_EUlSU_E_NS1_11comp_targetILNS1_3genE0ELNS1_11target_archE4294967295ELNS1_3gpuE0ELNS1_3repE0EEENS1_30default_config_static_selectorELNS0_4arch9wavefront6targetE0EEEvT1_.uses_vcc, 0
	.set _ZN7rocprim17ROCPRIM_400000_NS6detail17trampoline_kernelINS0_14default_configENS1_27scan_by_key_config_selectorIssEEZZNS1_16scan_by_key_implILNS1_25lookback_scan_determinismE0ELb0ES3_N6thrust23THRUST_200600_302600_NS6detail15normal_iteratorINS9_10device_ptrIsEEEESE_SE_sNS9_10multipliesIsEENS9_8equal_toIsEEsEE10hipError_tPvRmT2_T3_T4_T5_mT6_T7_P12ihipStream_tbENKUlT_T0_E_clISt17integral_constantIbLb1EESY_IbLb0EEEEDaSU_SV_EUlSU_E_NS1_11comp_targetILNS1_3genE0ELNS1_11target_archE4294967295ELNS1_3gpuE0ELNS1_3repE0EEENS1_30default_config_static_selectorELNS0_4arch9wavefront6targetE0EEEvT1_.uses_flat_scratch, 0
	.set _ZN7rocprim17ROCPRIM_400000_NS6detail17trampoline_kernelINS0_14default_configENS1_27scan_by_key_config_selectorIssEEZZNS1_16scan_by_key_implILNS1_25lookback_scan_determinismE0ELb0ES3_N6thrust23THRUST_200600_302600_NS6detail15normal_iteratorINS9_10device_ptrIsEEEESE_SE_sNS9_10multipliesIsEENS9_8equal_toIsEEsEE10hipError_tPvRmT2_T3_T4_T5_mT6_T7_P12ihipStream_tbENKUlT_T0_E_clISt17integral_constantIbLb1EESY_IbLb0EEEEDaSU_SV_EUlSU_E_NS1_11comp_targetILNS1_3genE0ELNS1_11target_archE4294967295ELNS1_3gpuE0ELNS1_3repE0EEENS1_30default_config_static_selectorELNS0_4arch9wavefront6targetE0EEEvT1_.has_dyn_sized_stack, 0
	.set _ZN7rocprim17ROCPRIM_400000_NS6detail17trampoline_kernelINS0_14default_configENS1_27scan_by_key_config_selectorIssEEZZNS1_16scan_by_key_implILNS1_25lookback_scan_determinismE0ELb0ES3_N6thrust23THRUST_200600_302600_NS6detail15normal_iteratorINS9_10device_ptrIsEEEESE_SE_sNS9_10multipliesIsEENS9_8equal_toIsEEsEE10hipError_tPvRmT2_T3_T4_T5_mT6_T7_P12ihipStream_tbENKUlT_T0_E_clISt17integral_constantIbLb1EESY_IbLb0EEEEDaSU_SV_EUlSU_E_NS1_11comp_targetILNS1_3genE0ELNS1_11target_archE4294967295ELNS1_3gpuE0ELNS1_3repE0EEENS1_30default_config_static_selectorELNS0_4arch9wavefront6targetE0EEEvT1_.has_recursion, 0
	.set _ZN7rocprim17ROCPRIM_400000_NS6detail17trampoline_kernelINS0_14default_configENS1_27scan_by_key_config_selectorIssEEZZNS1_16scan_by_key_implILNS1_25lookback_scan_determinismE0ELb0ES3_N6thrust23THRUST_200600_302600_NS6detail15normal_iteratorINS9_10device_ptrIsEEEESE_SE_sNS9_10multipliesIsEENS9_8equal_toIsEEsEE10hipError_tPvRmT2_T3_T4_T5_mT6_T7_P12ihipStream_tbENKUlT_T0_E_clISt17integral_constantIbLb1EESY_IbLb0EEEEDaSU_SV_EUlSU_E_NS1_11comp_targetILNS1_3genE0ELNS1_11target_archE4294967295ELNS1_3gpuE0ELNS1_3repE0EEENS1_30default_config_static_selectorELNS0_4arch9wavefront6targetE0EEEvT1_.has_indirect_call, 0
	.section	.AMDGPU.csdata,"",@progbits
; Kernel info:
; codeLenInByte = 4
; TotalNumSgprs: 0
; NumVgprs: 0
; ScratchSize: 0
; MemoryBound: 0
; FloatMode: 240
; IeeeMode: 1
; LDSByteSize: 0 bytes/workgroup (compile time only)
; SGPRBlocks: 0
; VGPRBlocks: 0
; NumSGPRsForWavesPerEU: 1
; NumVGPRsForWavesPerEU: 1
; NamedBarCnt: 0
; Occupancy: 16
; WaveLimiterHint : 0
; COMPUTE_PGM_RSRC2:SCRATCH_EN: 0
; COMPUTE_PGM_RSRC2:USER_SGPR: 2
; COMPUTE_PGM_RSRC2:TRAP_HANDLER: 0
; COMPUTE_PGM_RSRC2:TGID_X_EN: 1
; COMPUTE_PGM_RSRC2:TGID_Y_EN: 0
; COMPUTE_PGM_RSRC2:TGID_Z_EN: 0
; COMPUTE_PGM_RSRC2:TIDIG_COMP_CNT: 0
	.section	.text._ZN7rocprim17ROCPRIM_400000_NS6detail17trampoline_kernelINS0_14default_configENS1_27scan_by_key_config_selectorIssEEZZNS1_16scan_by_key_implILNS1_25lookback_scan_determinismE0ELb0ES3_N6thrust23THRUST_200600_302600_NS6detail15normal_iteratorINS9_10device_ptrIsEEEESE_SE_sNS9_10multipliesIsEENS9_8equal_toIsEEsEE10hipError_tPvRmT2_T3_T4_T5_mT6_T7_P12ihipStream_tbENKUlT_T0_E_clISt17integral_constantIbLb1EESY_IbLb0EEEEDaSU_SV_EUlSU_E_NS1_11comp_targetILNS1_3genE10ELNS1_11target_archE1201ELNS1_3gpuE5ELNS1_3repE0EEENS1_30default_config_static_selectorELNS0_4arch9wavefront6targetE0EEEvT1_,"axG",@progbits,_ZN7rocprim17ROCPRIM_400000_NS6detail17trampoline_kernelINS0_14default_configENS1_27scan_by_key_config_selectorIssEEZZNS1_16scan_by_key_implILNS1_25lookback_scan_determinismE0ELb0ES3_N6thrust23THRUST_200600_302600_NS6detail15normal_iteratorINS9_10device_ptrIsEEEESE_SE_sNS9_10multipliesIsEENS9_8equal_toIsEEsEE10hipError_tPvRmT2_T3_T4_T5_mT6_T7_P12ihipStream_tbENKUlT_T0_E_clISt17integral_constantIbLb1EESY_IbLb0EEEEDaSU_SV_EUlSU_E_NS1_11comp_targetILNS1_3genE10ELNS1_11target_archE1201ELNS1_3gpuE5ELNS1_3repE0EEENS1_30default_config_static_selectorELNS0_4arch9wavefront6targetE0EEEvT1_,comdat
	.protected	_ZN7rocprim17ROCPRIM_400000_NS6detail17trampoline_kernelINS0_14default_configENS1_27scan_by_key_config_selectorIssEEZZNS1_16scan_by_key_implILNS1_25lookback_scan_determinismE0ELb0ES3_N6thrust23THRUST_200600_302600_NS6detail15normal_iteratorINS9_10device_ptrIsEEEESE_SE_sNS9_10multipliesIsEENS9_8equal_toIsEEsEE10hipError_tPvRmT2_T3_T4_T5_mT6_T7_P12ihipStream_tbENKUlT_T0_E_clISt17integral_constantIbLb1EESY_IbLb0EEEEDaSU_SV_EUlSU_E_NS1_11comp_targetILNS1_3genE10ELNS1_11target_archE1201ELNS1_3gpuE5ELNS1_3repE0EEENS1_30default_config_static_selectorELNS0_4arch9wavefront6targetE0EEEvT1_ ; -- Begin function _ZN7rocprim17ROCPRIM_400000_NS6detail17trampoline_kernelINS0_14default_configENS1_27scan_by_key_config_selectorIssEEZZNS1_16scan_by_key_implILNS1_25lookback_scan_determinismE0ELb0ES3_N6thrust23THRUST_200600_302600_NS6detail15normal_iteratorINS9_10device_ptrIsEEEESE_SE_sNS9_10multipliesIsEENS9_8equal_toIsEEsEE10hipError_tPvRmT2_T3_T4_T5_mT6_T7_P12ihipStream_tbENKUlT_T0_E_clISt17integral_constantIbLb1EESY_IbLb0EEEEDaSU_SV_EUlSU_E_NS1_11comp_targetILNS1_3genE10ELNS1_11target_archE1201ELNS1_3gpuE5ELNS1_3repE0EEENS1_30default_config_static_selectorELNS0_4arch9wavefront6targetE0EEEvT1_
	.globl	_ZN7rocprim17ROCPRIM_400000_NS6detail17trampoline_kernelINS0_14default_configENS1_27scan_by_key_config_selectorIssEEZZNS1_16scan_by_key_implILNS1_25lookback_scan_determinismE0ELb0ES3_N6thrust23THRUST_200600_302600_NS6detail15normal_iteratorINS9_10device_ptrIsEEEESE_SE_sNS9_10multipliesIsEENS9_8equal_toIsEEsEE10hipError_tPvRmT2_T3_T4_T5_mT6_T7_P12ihipStream_tbENKUlT_T0_E_clISt17integral_constantIbLb1EESY_IbLb0EEEEDaSU_SV_EUlSU_E_NS1_11comp_targetILNS1_3genE10ELNS1_11target_archE1201ELNS1_3gpuE5ELNS1_3repE0EEENS1_30default_config_static_selectorELNS0_4arch9wavefront6targetE0EEEvT1_
	.p2align	8
	.type	_ZN7rocprim17ROCPRIM_400000_NS6detail17trampoline_kernelINS0_14default_configENS1_27scan_by_key_config_selectorIssEEZZNS1_16scan_by_key_implILNS1_25lookback_scan_determinismE0ELb0ES3_N6thrust23THRUST_200600_302600_NS6detail15normal_iteratorINS9_10device_ptrIsEEEESE_SE_sNS9_10multipliesIsEENS9_8equal_toIsEEsEE10hipError_tPvRmT2_T3_T4_T5_mT6_T7_P12ihipStream_tbENKUlT_T0_E_clISt17integral_constantIbLb1EESY_IbLb0EEEEDaSU_SV_EUlSU_E_NS1_11comp_targetILNS1_3genE10ELNS1_11target_archE1201ELNS1_3gpuE5ELNS1_3repE0EEENS1_30default_config_static_selectorELNS0_4arch9wavefront6targetE0EEEvT1_,@function
_ZN7rocprim17ROCPRIM_400000_NS6detail17trampoline_kernelINS0_14default_configENS1_27scan_by_key_config_selectorIssEEZZNS1_16scan_by_key_implILNS1_25lookback_scan_determinismE0ELb0ES3_N6thrust23THRUST_200600_302600_NS6detail15normal_iteratorINS9_10device_ptrIsEEEESE_SE_sNS9_10multipliesIsEENS9_8equal_toIsEEsEE10hipError_tPvRmT2_T3_T4_T5_mT6_T7_P12ihipStream_tbENKUlT_T0_E_clISt17integral_constantIbLb1EESY_IbLb0EEEEDaSU_SV_EUlSU_E_NS1_11comp_targetILNS1_3genE10ELNS1_11target_archE1201ELNS1_3gpuE5ELNS1_3repE0EEENS1_30default_config_static_selectorELNS0_4arch9wavefront6targetE0EEEvT1_: ; @_ZN7rocprim17ROCPRIM_400000_NS6detail17trampoline_kernelINS0_14default_configENS1_27scan_by_key_config_selectorIssEEZZNS1_16scan_by_key_implILNS1_25lookback_scan_determinismE0ELb0ES3_N6thrust23THRUST_200600_302600_NS6detail15normal_iteratorINS9_10device_ptrIsEEEESE_SE_sNS9_10multipliesIsEENS9_8equal_toIsEEsEE10hipError_tPvRmT2_T3_T4_T5_mT6_T7_P12ihipStream_tbENKUlT_T0_E_clISt17integral_constantIbLb1EESY_IbLb0EEEEDaSU_SV_EUlSU_E_NS1_11comp_targetILNS1_3genE10ELNS1_11target_archE1201ELNS1_3gpuE5ELNS1_3repE0EEENS1_30default_config_static_selectorELNS0_4arch9wavefront6targetE0EEEvT1_
; %bb.0:
	.section	.rodata,"a",@progbits
	.p2align	6, 0x0
	.amdhsa_kernel _ZN7rocprim17ROCPRIM_400000_NS6detail17trampoline_kernelINS0_14default_configENS1_27scan_by_key_config_selectorIssEEZZNS1_16scan_by_key_implILNS1_25lookback_scan_determinismE0ELb0ES3_N6thrust23THRUST_200600_302600_NS6detail15normal_iteratorINS9_10device_ptrIsEEEESE_SE_sNS9_10multipliesIsEENS9_8equal_toIsEEsEE10hipError_tPvRmT2_T3_T4_T5_mT6_T7_P12ihipStream_tbENKUlT_T0_E_clISt17integral_constantIbLb1EESY_IbLb0EEEEDaSU_SV_EUlSU_E_NS1_11comp_targetILNS1_3genE10ELNS1_11target_archE1201ELNS1_3gpuE5ELNS1_3repE0EEENS1_30default_config_static_selectorELNS0_4arch9wavefront6targetE0EEEvT1_
		.amdhsa_group_segment_fixed_size 0
		.amdhsa_private_segment_fixed_size 0
		.amdhsa_kernarg_size 112
		.amdhsa_user_sgpr_count 2
		.amdhsa_user_sgpr_dispatch_ptr 0
		.amdhsa_user_sgpr_queue_ptr 0
		.amdhsa_user_sgpr_kernarg_segment_ptr 1
		.amdhsa_user_sgpr_dispatch_id 0
		.amdhsa_user_sgpr_kernarg_preload_length 0
		.amdhsa_user_sgpr_kernarg_preload_offset 0
		.amdhsa_user_sgpr_private_segment_size 0
		.amdhsa_wavefront_size32 1
		.amdhsa_uses_dynamic_stack 0
		.amdhsa_enable_private_segment 0
		.amdhsa_system_sgpr_workgroup_id_x 1
		.amdhsa_system_sgpr_workgroup_id_y 0
		.amdhsa_system_sgpr_workgroup_id_z 0
		.amdhsa_system_sgpr_workgroup_info 0
		.amdhsa_system_vgpr_workitem_id 0
		.amdhsa_next_free_vgpr 1
		.amdhsa_next_free_sgpr 1
		.amdhsa_named_barrier_count 0
		.amdhsa_reserve_vcc 0
		.amdhsa_float_round_mode_32 0
		.amdhsa_float_round_mode_16_64 0
		.amdhsa_float_denorm_mode_32 3
		.amdhsa_float_denorm_mode_16_64 3
		.amdhsa_fp16_overflow 0
		.amdhsa_memory_ordered 1
		.amdhsa_forward_progress 1
		.amdhsa_inst_pref_size 0
		.amdhsa_round_robin_scheduling 0
		.amdhsa_exception_fp_ieee_invalid_op 0
		.amdhsa_exception_fp_denorm_src 0
		.amdhsa_exception_fp_ieee_div_zero 0
		.amdhsa_exception_fp_ieee_overflow 0
		.amdhsa_exception_fp_ieee_underflow 0
		.amdhsa_exception_fp_ieee_inexact 0
		.amdhsa_exception_int_div_zero 0
	.end_amdhsa_kernel
	.section	.text._ZN7rocprim17ROCPRIM_400000_NS6detail17trampoline_kernelINS0_14default_configENS1_27scan_by_key_config_selectorIssEEZZNS1_16scan_by_key_implILNS1_25lookback_scan_determinismE0ELb0ES3_N6thrust23THRUST_200600_302600_NS6detail15normal_iteratorINS9_10device_ptrIsEEEESE_SE_sNS9_10multipliesIsEENS9_8equal_toIsEEsEE10hipError_tPvRmT2_T3_T4_T5_mT6_T7_P12ihipStream_tbENKUlT_T0_E_clISt17integral_constantIbLb1EESY_IbLb0EEEEDaSU_SV_EUlSU_E_NS1_11comp_targetILNS1_3genE10ELNS1_11target_archE1201ELNS1_3gpuE5ELNS1_3repE0EEENS1_30default_config_static_selectorELNS0_4arch9wavefront6targetE0EEEvT1_,"axG",@progbits,_ZN7rocprim17ROCPRIM_400000_NS6detail17trampoline_kernelINS0_14default_configENS1_27scan_by_key_config_selectorIssEEZZNS1_16scan_by_key_implILNS1_25lookback_scan_determinismE0ELb0ES3_N6thrust23THRUST_200600_302600_NS6detail15normal_iteratorINS9_10device_ptrIsEEEESE_SE_sNS9_10multipliesIsEENS9_8equal_toIsEEsEE10hipError_tPvRmT2_T3_T4_T5_mT6_T7_P12ihipStream_tbENKUlT_T0_E_clISt17integral_constantIbLb1EESY_IbLb0EEEEDaSU_SV_EUlSU_E_NS1_11comp_targetILNS1_3genE10ELNS1_11target_archE1201ELNS1_3gpuE5ELNS1_3repE0EEENS1_30default_config_static_selectorELNS0_4arch9wavefront6targetE0EEEvT1_,comdat
.Lfunc_end300:
	.size	_ZN7rocprim17ROCPRIM_400000_NS6detail17trampoline_kernelINS0_14default_configENS1_27scan_by_key_config_selectorIssEEZZNS1_16scan_by_key_implILNS1_25lookback_scan_determinismE0ELb0ES3_N6thrust23THRUST_200600_302600_NS6detail15normal_iteratorINS9_10device_ptrIsEEEESE_SE_sNS9_10multipliesIsEENS9_8equal_toIsEEsEE10hipError_tPvRmT2_T3_T4_T5_mT6_T7_P12ihipStream_tbENKUlT_T0_E_clISt17integral_constantIbLb1EESY_IbLb0EEEEDaSU_SV_EUlSU_E_NS1_11comp_targetILNS1_3genE10ELNS1_11target_archE1201ELNS1_3gpuE5ELNS1_3repE0EEENS1_30default_config_static_selectorELNS0_4arch9wavefront6targetE0EEEvT1_, .Lfunc_end300-_ZN7rocprim17ROCPRIM_400000_NS6detail17trampoline_kernelINS0_14default_configENS1_27scan_by_key_config_selectorIssEEZZNS1_16scan_by_key_implILNS1_25lookback_scan_determinismE0ELb0ES3_N6thrust23THRUST_200600_302600_NS6detail15normal_iteratorINS9_10device_ptrIsEEEESE_SE_sNS9_10multipliesIsEENS9_8equal_toIsEEsEE10hipError_tPvRmT2_T3_T4_T5_mT6_T7_P12ihipStream_tbENKUlT_T0_E_clISt17integral_constantIbLb1EESY_IbLb0EEEEDaSU_SV_EUlSU_E_NS1_11comp_targetILNS1_3genE10ELNS1_11target_archE1201ELNS1_3gpuE5ELNS1_3repE0EEENS1_30default_config_static_selectorELNS0_4arch9wavefront6targetE0EEEvT1_
                                        ; -- End function
	.set _ZN7rocprim17ROCPRIM_400000_NS6detail17trampoline_kernelINS0_14default_configENS1_27scan_by_key_config_selectorIssEEZZNS1_16scan_by_key_implILNS1_25lookback_scan_determinismE0ELb0ES3_N6thrust23THRUST_200600_302600_NS6detail15normal_iteratorINS9_10device_ptrIsEEEESE_SE_sNS9_10multipliesIsEENS9_8equal_toIsEEsEE10hipError_tPvRmT2_T3_T4_T5_mT6_T7_P12ihipStream_tbENKUlT_T0_E_clISt17integral_constantIbLb1EESY_IbLb0EEEEDaSU_SV_EUlSU_E_NS1_11comp_targetILNS1_3genE10ELNS1_11target_archE1201ELNS1_3gpuE5ELNS1_3repE0EEENS1_30default_config_static_selectorELNS0_4arch9wavefront6targetE0EEEvT1_.num_vgpr, 0
	.set _ZN7rocprim17ROCPRIM_400000_NS6detail17trampoline_kernelINS0_14default_configENS1_27scan_by_key_config_selectorIssEEZZNS1_16scan_by_key_implILNS1_25lookback_scan_determinismE0ELb0ES3_N6thrust23THRUST_200600_302600_NS6detail15normal_iteratorINS9_10device_ptrIsEEEESE_SE_sNS9_10multipliesIsEENS9_8equal_toIsEEsEE10hipError_tPvRmT2_T3_T4_T5_mT6_T7_P12ihipStream_tbENKUlT_T0_E_clISt17integral_constantIbLb1EESY_IbLb0EEEEDaSU_SV_EUlSU_E_NS1_11comp_targetILNS1_3genE10ELNS1_11target_archE1201ELNS1_3gpuE5ELNS1_3repE0EEENS1_30default_config_static_selectorELNS0_4arch9wavefront6targetE0EEEvT1_.num_agpr, 0
	.set _ZN7rocprim17ROCPRIM_400000_NS6detail17trampoline_kernelINS0_14default_configENS1_27scan_by_key_config_selectorIssEEZZNS1_16scan_by_key_implILNS1_25lookback_scan_determinismE0ELb0ES3_N6thrust23THRUST_200600_302600_NS6detail15normal_iteratorINS9_10device_ptrIsEEEESE_SE_sNS9_10multipliesIsEENS9_8equal_toIsEEsEE10hipError_tPvRmT2_T3_T4_T5_mT6_T7_P12ihipStream_tbENKUlT_T0_E_clISt17integral_constantIbLb1EESY_IbLb0EEEEDaSU_SV_EUlSU_E_NS1_11comp_targetILNS1_3genE10ELNS1_11target_archE1201ELNS1_3gpuE5ELNS1_3repE0EEENS1_30default_config_static_selectorELNS0_4arch9wavefront6targetE0EEEvT1_.numbered_sgpr, 0
	.set _ZN7rocprim17ROCPRIM_400000_NS6detail17trampoline_kernelINS0_14default_configENS1_27scan_by_key_config_selectorIssEEZZNS1_16scan_by_key_implILNS1_25lookback_scan_determinismE0ELb0ES3_N6thrust23THRUST_200600_302600_NS6detail15normal_iteratorINS9_10device_ptrIsEEEESE_SE_sNS9_10multipliesIsEENS9_8equal_toIsEEsEE10hipError_tPvRmT2_T3_T4_T5_mT6_T7_P12ihipStream_tbENKUlT_T0_E_clISt17integral_constantIbLb1EESY_IbLb0EEEEDaSU_SV_EUlSU_E_NS1_11comp_targetILNS1_3genE10ELNS1_11target_archE1201ELNS1_3gpuE5ELNS1_3repE0EEENS1_30default_config_static_selectorELNS0_4arch9wavefront6targetE0EEEvT1_.num_named_barrier, 0
	.set _ZN7rocprim17ROCPRIM_400000_NS6detail17trampoline_kernelINS0_14default_configENS1_27scan_by_key_config_selectorIssEEZZNS1_16scan_by_key_implILNS1_25lookback_scan_determinismE0ELb0ES3_N6thrust23THRUST_200600_302600_NS6detail15normal_iteratorINS9_10device_ptrIsEEEESE_SE_sNS9_10multipliesIsEENS9_8equal_toIsEEsEE10hipError_tPvRmT2_T3_T4_T5_mT6_T7_P12ihipStream_tbENKUlT_T0_E_clISt17integral_constantIbLb1EESY_IbLb0EEEEDaSU_SV_EUlSU_E_NS1_11comp_targetILNS1_3genE10ELNS1_11target_archE1201ELNS1_3gpuE5ELNS1_3repE0EEENS1_30default_config_static_selectorELNS0_4arch9wavefront6targetE0EEEvT1_.private_seg_size, 0
	.set _ZN7rocprim17ROCPRIM_400000_NS6detail17trampoline_kernelINS0_14default_configENS1_27scan_by_key_config_selectorIssEEZZNS1_16scan_by_key_implILNS1_25lookback_scan_determinismE0ELb0ES3_N6thrust23THRUST_200600_302600_NS6detail15normal_iteratorINS9_10device_ptrIsEEEESE_SE_sNS9_10multipliesIsEENS9_8equal_toIsEEsEE10hipError_tPvRmT2_T3_T4_T5_mT6_T7_P12ihipStream_tbENKUlT_T0_E_clISt17integral_constantIbLb1EESY_IbLb0EEEEDaSU_SV_EUlSU_E_NS1_11comp_targetILNS1_3genE10ELNS1_11target_archE1201ELNS1_3gpuE5ELNS1_3repE0EEENS1_30default_config_static_selectorELNS0_4arch9wavefront6targetE0EEEvT1_.uses_vcc, 0
	.set _ZN7rocprim17ROCPRIM_400000_NS6detail17trampoline_kernelINS0_14default_configENS1_27scan_by_key_config_selectorIssEEZZNS1_16scan_by_key_implILNS1_25lookback_scan_determinismE0ELb0ES3_N6thrust23THRUST_200600_302600_NS6detail15normal_iteratorINS9_10device_ptrIsEEEESE_SE_sNS9_10multipliesIsEENS9_8equal_toIsEEsEE10hipError_tPvRmT2_T3_T4_T5_mT6_T7_P12ihipStream_tbENKUlT_T0_E_clISt17integral_constantIbLb1EESY_IbLb0EEEEDaSU_SV_EUlSU_E_NS1_11comp_targetILNS1_3genE10ELNS1_11target_archE1201ELNS1_3gpuE5ELNS1_3repE0EEENS1_30default_config_static_selectorELNS0_4arch9wavefront6targetE0EEEvT1_.uses_flat_scratch, 0
	.set _ZN7rocprim17ROCPRIM_400000_NS6detail17trampoline_kernelINS0_14default_configENS1_27scan_by_key_config_selectorIssEEZZNS1_16scan_by_key_implILNS1_25lookback_scan_determinismE0ELb0ES3_N6thrust23THRUST_200600_302600_NS6detail15normal_iteratorINS9_10device_ptrIsEEEESE_SE_sNS9_10multipliesIsEENS9_8equal_toIsEEsEE10hipError_tPvRmT2_T3_T4_T5_mT6_T7_P12ihipStream_tbENKUlT_T0_E_clISt17integral_constantIbLb1EESY_IbLb0EEEEDaSU_SV_EUlSU_E_NS1_11comp_targetILNS1_3genE10ELNS1_11target_archE1201ELNS1_3gpuE5ELNS1_3repE0EEENS1_30default_config_static_selectorELNS0_4arch9wavefront6targetE0EEEvT1_.has_dyn_sized_stack, 0
	.set _ZN7rocprim17ROCPRIM_400000_NS6detail17trampoline_kernelINS0_14default_configENS1_27scan_by_key_config_selectorIssEEZZNS1_16scan_by_key_implILNS1_25lookback_scan_determinismE0ELb0ES3_N6thrust23THRUST_200600_302600_NS6detail15normal_iteratorINS9_10device_ptrIsEEEESE_SE_sNS9_10multipliesIsEENS9_8equal_toIsEEsEE10hipError_tPvRmT2_T3_T4_T5_mT6_T7_P12ihipStream_tbENKUlT_T0_E_clISt17integral_constantIbLb1EESY_IbLb0EEEEDaSU_SV_EUlSU_E_NS1_11comp_targetILNS1_3genE10ELNS1_11target_archE1201ELNS1_3gpuE5ELNS1_3repE0EEENS1_30default_config_static_selectorELNS0_4arch9wavefront6targetE0EEEvT1_.has_recursion, 0
	.set _ZN7rocprim17ROCPRIM_400000_NS6detail17trampoline_kernelINS0_14default_configENS1_27scan_by_key_config_selectorIssEEZZNS1_16scan_by_key_implILNS1_25lookback_scan_determinismE0ELb0ES3_N6thrust23THRUST_200600_302600_NS6detail15normal_iteratorINS9_10device_ptrIsEEEESE_SE_sNS9_10multipliesIsEENS9_8equal_toIsEEsEE10hipError_tPvRmT2_T3_T4_T5_mT6_T7_P12ihipStream_tbENKUlT_T0_E_clISt17integral_constantIbLb1EESY_IbLb0EEEEDaSU_SV_EUlSU_E_NS1_11comp_targetILNS1_3genE10ELNS1_11target_archE1201ELNS1_3gpuE5ELNS1_3repE0EEENS1_30default_config_static_selectorELNS0_4arch9wavefront6targetE0EEEvT1_.has_indirect_call, 0
	.section	.AMDGPU.csdata,"",@progbits
; Kernel info:
; codeLenInByte = 0
; TotalNumSgprs: 0
; NumVgprs: 0
; ScratchSize: 0
; MemoryBound: 0
; FloatMode: 240
; IeeeMode: 1
; LDSByteSize: 0 bytes/workgroup (compile time only)
; SGPRBlocks: 0
; VGPRBlocks: 0
; NumSGPRsForWavesPerEU: 1
; NumVGPRsForWavesPerEU: 1
; NamedBarCnt: 0
; Occupancy: 16
; WaveLimiterHint : 0
; COMPUTE_PGM_RSRC2:SCRATCH_EN: 0
; COMPUTE_PGM_RSRC2:USER_SGPR: 2
; COMPUTE_PGM_RSRC2:TRAP_HANDLER: 0
; COMPUTE_PGM_RSRC2:TGID_X_EN: 1
; COMPUTE_PGM_RSRC2:TGID_Y_EN: 0
; COMPUTE_PGM_RSRC2:TGID_Z_EN: 0
; COMPUTE_PGM_RSRC2:TIDIG_COMP_CNT: 0
	.section	.text._ZN7rocprim17ROCPRIM_400000_NS6detail17trampoline_kernelINS0_14default_configENS1_27scan_by_key_config_selectorIssEEZZNS1_16scan_by_key_implILNS1_25lookback_scan_determinismE0ELb0ES3_N6thrust23THRUST_200600_302600_NS6detail15normal_iteratorINS9_10device_ptrIsEEEESE_SE_sNS9_10multipliesIsEENS9_8equal_toIsEEsEE10hipError_tPvRmT2_T3_T4_T5_mT6_T7_P12ihipStream_tbENKUlT_T0_E_clISt17integral_constantIbLb1EESY_IbLb0EEEEDaSU_SV_EUlSU_E_NS1_11comp_targetILNS1_3genE5ELNS1_11target_archE942ELNS1_3gpuE9ELNS1_3repE0EEENS1_30default_config_static_selectorELNS0_4arch9wavefront6targetE0EEEvT1_,"axG",@progbits,_ZN7rocprim17ROCPRIM_400000_NS6detail17trampoline_kernelINS0_14default_configENS1_27scan_by_key_config_selectorIssEEZZNS1_16scan_by_key_implILNS1_25lookback_scan_determinismE0ELb0ES3_N6thrust23THRUST_200600_302600_NS6detail15normal_iteratorINS9_10device_ptrIsEEEESE_SE_sNS9_10multipliesIsEENS9_8equal_toIsEEsEE10hipError_tPvRmT2_T3_T4_T5_mT6_T7_P12ihipStream_tbENKUlT_T0_E_clISt17integral_constantIbLb1EESY_IbLb0EEEEDaSU_SV_EUlSU_E_NS1_11comp_targetILNS1_3genE5ELNS1_11target_archE942ELNS1_3gpuE9ELNS1_3repE0EEENS1_30default_config_static_selectorELNS0_4arch9wavefront6targetE0EEEvT1_,comdat
	.protected	_ZN7rocprim17ROCPRIM_400000_NS6detail17trampoline_kernelINS0_14default_configENS1_27scan_by_key_config_selectorIssEEZZNS1_16scan_by_key_implILNS1_25lookback_scan_determinismE0ELb0ES3_N6thrust23THRUST_200600_302600_NS6detail15normal_iteratorINS9_10device_ptrIsEEEESE_SE_sNS9_10multipliesIsEENS9_8equal_toIsEEsEE10hipError_tPvRmT2_T3_T4_T5_mT6_T7_P12ihipStream_tbENKUlT_T0_E_clISt17integral_constantIbLb1EESY_IbLb0EEEEDaSU_SV_EUlSU_E_NS1_11comp_targetILNS1_3genE5ELNS1_11target_archE942ELNS1_3gpuE9ELNS1_3repE0EEENS1_30default_config_static_selectorELNS0_4arch9wavefront6targetE0EEEvT1_ ; -- Begin function _ZN7rocprim17ROCPRIM_400000_NS6detail17trampoline_kernelINS0_14default_configENS1_27scan_by_key_config_selectorIssEEZZNS1_16scan_by_key_implILNS1_25lookback_scan_determinismE0ELb0ES3_N6thrust23THRUST_200600_302600_NS6detail15normal_iteratorINS9_10device_ptrIsEEEESE_SE_sNS9_10multipliesIsEENS9_8equal_toIsEEsEE10hipError_tPvRmT2_T3_T4_T5_mT6_T7_P12ihipStream_tbENKUlT_T0_E_clISt17integral_constantIbLb1EESY_IbLb0EEEEDaSU_SV_EUlSU_E_NS1_11comp_targetILNS1_3genE5ELNS1_11target_archE942ELNS1_3gpuE9ELNS1_3repE0EEENS1_30default_config_static_selectorELNS0_4arch9wavefront6targetE0EEEvT1_
	.globl	_ZN7rocprim17ROCPRIM_400000_NS6detail17trampoline_kernelINS0_14default_configENS1_27scan_by_key_config_selectorIssEEZZNS1_16scan_by_key_implILNS1_25lookback_scan_determinismE0ELb0ES3_N6thrust23THRUST_200600_302600_NS6detail15normal_iteratorINS9_10device_ptrIsEEEESE_SE_sNS9_10multipliesIsEENS9_8equal_toIsEEsEE10hipError_tPvRmT2_T3_T4_T5_mT6_T7_P12ihipStream_tbENKUlT_T0_E_clISt17integral_constantIbLb1EESY_IbLb0EEEEDaSU_SV_EUlSU_E_NS1_11comp_targetILNS1_3genE5ELNS1_11target_archE942ELNS1_3gpuE9ELNS1_3repE0EEENS1_30default_config_static_selectorELNS0_4arch9wavefront6targetE0EEEvT1_
	.p2align	8
	.type	_ZN7rocprim17ROCPRIM_400000_NS6detail17trampoline_kernelINS0_14default_configENS1_27scan_by_key_config_selectorIssEEZZNS1_16scan_by_key_implILNS1_25lookback_scan_determinismE0ELb0ES3_N6thrust23THRUST_200600_302600_NS6detail15normal_iteratorINS9_10device_ptrIsEEEESE_SE_sNS9_10multipliesIsEENS9_8equal_toIsEEsEE10hipError_tPvRmT2_T3_T4_T5_mT6_T7_P12ihipStream_tbENKUlT_T0_E_clISt17integral_constantIbLb1EESY_IbLb0EEEEDaSU_SV_EUlSU_E_NS1_11comp_targetILNS1_3genE5ELNS1_11target_archE942ELNS1_3gpuE9ELNS1_3repE0EEENS1_30default_config_static_selectorELNS0_4arch9wavefront6targetE0EEEvT1_,@function
_ZN7rocprim17ROCPRIM_400000_NS6detail17trampoline_kernelINS0_14default_configENS1_27scan_by_key_config_selectorIssEEZZNS1_16scan_by_key_implILNS1_25lookback_scan_determinismE0ELb0ES3_N6thrust23THRUST_200600_302600_NS6detail15normal_iteratorINS9_10device_ptrIsEEEESE_SE_sNS9_10multipliesIsEENS9_8equal_toIsEEsEE10hipError_tPvRmT2_T3_T4_T5_mT6_T7_P12ihipStream_tbENKUlT_T0_E_clISt17integral_constantIbLb1EESY_IbLb0EEEEDaSU_SV_EUlSU_E_NS1_11comp_targetILNS1_3genE5ELNS1_11target_archE942ELNS1_3gpuE9ELNS1_3repE0EEENS1_30default_config_static_selectorELNS0_4arch9wavefront6targetE0EEEvT1_: ; @_ZN7rocprim17ROCPRIM_400000_NS6detail17trampoline_kernelINS0_14default_configENS1_27scan_by_key_config_selectorIssEEZZNS1_16scan_by_key_implILNS1_25lookback_scan_determinismE0ELb0ES3_N6thrust23THRUST_200600_302600_NS6detail15normal_iteratorINS9_10device_ptrIsEEEESE_SE_sNS9_10multipliesIsEENS9_8equal_toIsEEsEE10hipError_tPvRmT2_T3_T4_T5_mT6_T7_P12ihipStream_tbENKUlT_T0_E_clISt17integral_constantIbLb1EESY_IbLb0EEEEDaSU_SV_EUlSU_E_NS1_11comp_targetILNS1_3genE5ELNS1_11target_archE942ELNS1_3gpuE9ELNS1_3repE0EEENS1_30default_config_static_selectorELNS0_4arch9wavefront6targetE0EEEvT1_
; %bb.0:
	.section	.rodata,"a",@progbits
	.p2align	6, 0x0
	.amdhsa_kernel _ZN7rocprim17ROCPRIM_400000_NS6detail17trampoline_kernelINS0_14default_configENS1_27scan_by_key_config_selectorIssEEZZNS1_16scan_by_key_implILNS1_25lookback_scan_determinismE0ELb0ES3_N6thrust23THRUST_200600_302600_NS6detail15normal_iteratorINS9_10device_ptrIsEEEESE_SE_sNS9_10multipliesIsEENS9_8equal_toIsEEsEE10hipError_tPvRmT2_T3_T4_T5_mT6_T7_P12ihipStream_tbENKUlT_T0_E_clISt17integral_constantIbLb1EESY_IbLb0EEEEDaSU_SV_EUlSU_E_NS1_11comp_targetILNS1_3genE5ELNS1_11target_archE942ELNS1_3gpuE9ELNS1_3repE0EEENS1_30default_config_static_selectorELNS0_4arch9wavefront6targetE0EEEvT1_
		.amdhsa_group_segment_fixed_size 0
		.amdhsa_private_segment_fixed_size 0
		.amdhsa_kernarg_size 112
		.amdhsa_user_sgpr_count 2
		.amdhsa_user_sgpr_dispatch_ptr 0
		.amdhsa_user_sgpr_queue_ptr 0
		.amdhsa_user_sgpr_kernarg_segment_ptr 1
		.amdhsa_user_sgpr_dispatch_id 0
		.amdhsa_user_sgpr_kernarg_preload_length 0
		.amdhsa_user_sgpr_kernarg_preload_offset 0
		.amdhsa_user_sgpr_private_segment_size 0
		.amdhsa_wavefront_size32 1
		.amdhsa_uses_dynamic_stack 0
		.amdhsa_enable_private_segment 0
		.amdhsa_system_sgpr_workgroup_id_x 1
		.amdhsa_system_sgpr_workgroup_id_y 0
		.amdhsa_system_sgpr_workgroup_id_z 0
		.amdhsa_system_sgpr_workgroup_info 0
		.amdhsa_system_vgpr_workitem_id 0
		.amdhsa_next_free_vgpr 1
		.amdhsa_next_free_sgpr 1
		.amdhsa_named_barrier_count 0
		.amdhsa_reserve_vcc 0
		.amdhsa_float_round_mode_32 0
		.amdhsa_float_round_mode_16_64 0
		.amdhsa_float_denorm_mode_32 3
		.amdhsa_float_denorm_mode_16_64 3
		.amdhsa_fp16_overflow 0
		.amdhsa_memory_ordered 1
		.amdhsa_forward_progress 1
		.amdhsa_inst_pref_size 0
		.amdhsa_round_robin_scheduling 0
		.amdhsa_exception_fp_ieee_invalid_op 0
		.amdhsa_exception_fp_denorm_src 0
		.amdhsa_exception_fp_ieee_div_zero 0
		.amdhsa_exception_fp_ieee_overflow 0
		.amdhsa_exception_fp_ieee_underflow 0
		.amdhsa_exception_fp_ieee_inexact 0
		.amdhsa_exception_int_div_zero 0
	.end_amdhsa_kernel
	.section	.text._ZN7rocprim17ROCPRIM_400000_NS6detail17trampoline_kernelINS0_14default_configENS1_27scan_by_key_config_selectorIssEEZZNS1_16scan_by_key_implILNS1_25lookback_scan_determinismE0ELb0ES3_N6thrust23THRUST_200600_302600_NS6detail15normal_iteratorINS9_10device_ptrIsEEEESE_SE_sNS9_10multipliesIsEENS9_8equal_toIsEEsEE10hipError_tPvRmT2_T3_T4_T5_mT6_T7_P12ihipStream_tbENKUlT_T0_E_clISt17integral_constantIbLb1EESY_IbLb0EEEEDaSU_SV_EUlSU_E_NS1_11comp_targetILNS1_3genE5ELNS1_11target_archE942ELNS1_3gpuE9ELNS1_3repE0EEENS1_30default_config_static_selectorELNS0_4arch9wavefront6targetE0EEEvT1_,"axG",@progbits,_ZN7rocprim17ROCPRIM_400000_NS6detail17trampoline_kernelINS0_14default_configENS1_27scan_by_key_config_selectorIssEEZZNS1_16scan_by_key_implILNS1_25lookback_scan_determinismE0ELb0ES3_N6thrust23THRUST_200600_302600_NS6detail15normal_iteratorINS9_10device_ptrIsEEEESE_SE_sNS9_10multipliesIsEENS9_8equal_toIsEEsEE10hipError_tPvRmT2_T3_T4_T5_mT6_T7_P12ihipStream_tbENKUlT_T0_E_clISt17integral_constantIbLb1EESY_IbLb0EEEEDaSU_SV_EUlSU_E_NS1_11comp_targetILNS1_3genE5ELNS1_11target_archE942ELNS1_3gpuE9ELNS1_3repE0EEENS1_30default_config_static_selectorELNS0_4arch9wavefront6targetE0EEEvT1_,comdat
.Lfunc_end301:
	.size	_ZN7rocprim17ROCPRIM_400000_NS6detail17trampoline_kernelINS0_14default_configENS1_27scan_by_key_config_selectorIssEEZZNS1_16scan_by_key_implILNS1_25lookback_scan_determinismE0ELb0ES3_N6thrust23THRUST_200600_302600_NS6detail15normal_iteratorINS9_10device_ptrIsEEEESE_SE_sNS9_10multipliesIsEENS9_8equal_toIsEEsEE10hipError_tPvRmT2_T3_T4_T5_mT6_T7_P12ihipStream_tbENKUlT_T0_E_clISt17integral_constantIbLb1EESY_IbLb0EEEEDaSU_SV_EUlSU_E_NS1_11comp_targetILNS1_3genE5ELNS1_11target_archE942ELNS1_3gpuE9ELNS1_3repE0EEENS1_30default_config_static_selectorELNS0_4arch9wavefront6targetE0EEEvT1_, .Lfunc_end301-_ZN7rocprim17ROCPRIM_400000_NS6detail17trampoline_kernelINS0_14default_configENS1_27scan_by_key_config_selectorIssEEZZNS1_16scan_by_key_implILNS1_25lookback_scan_determinismE0ELb0ES3_N6thrust23THRUST_200600_302600_NS6detail15normal_iteratorINS9_10device_ptrIsEEEESE_SE_sNS9_10multipliesIsEENS9_8equal_toIsEEsEE10hipError_tPvRmT2_T3_T4_T5_mT6_T7_P12ihipStream_tbENKUlT_T0_E_clISt17integral_constantIbLb1EESY_IbLb0EEEEDaSU_SV_EUlSU_E_NS1_11comp_targetILNS1_3genE5ELNS1_11target_archE942ELNS1_3gpuE9ELNS1_3repE0EEENS1_30default_config_static_selectorELNS0_4arch9wavefront6targetE0EEEvT1_
                                        ; -- End function
	.set _ZN7rocprim17ROCPRIM_400000_NS6detail17trampoline_kernelINS0_14default_configENS1_27scan_by_key_config_selectorIssEEZZNS1_16scan_by_key_implILNS1_25lookback_scan_determinismE0ELb0ES3_N6thrust23THRUST_200600_302600_NS6detail15normal_iteratorINS9_10device_ptrIsEEEESE_SE_sNS9_10multipliesIsEENS9_8equal_toIsEEsEE10hipError_tPvRmT2_T3_T4_T5_mT6_T7_P12ihipStream_tbENKUlT_T0_E_clISt17integral_constantIbLb1EESY_IbLb0EEEEDaSU_SV_EUlSU_E_NS1_11comp_targetILNS1_3genE5ELNS1_11target_archE942ELNS1_3gpuE9ELNS1_3repE0EEENS1_30default_config_static_selectorELNS0_4arch9wavefront6targetE0EEEvT1_.num_vgpr, 0
	.set _ZN7rocprim17ROCPRIM_400000_NS6detail17trampoline_kernelINS0_14default_configENS1_27scan_by_key_config_selectorIssEEZZNS1_16scan_by_key_implILNS1_25lookback_scan_determinismE0ELb0ES3_N6thrust23THRUST_200600_302600_NS6detail15normal_iteratorINS9_10device_ptrIsEEEESE_SE_sNS9_10multipliesIsEENS9_8equal_toIsEEsEE10hipError_tPvRmT2_T3_T4_T5_mT6_T7_P12ihipStream_tbENKUlT_T0_E_clISt17integral_constantIbLb1EESY_IbLb0EEEEDaSU_SV_EUlSU_E_NS1_11comp_targetILNS1_3genE5ELNS1_11target_archE942ELNS1_3gpuE9ELNS1_3repE0EEENS1_30default_config_static_selectorELNS0_4arch9wavefront6targetE0EEEvT1_.num_agpr, 0
	.set _ZN7rocprim17ROCPRIM_400000_NS6detail17trampoline_kernelINS0_14default_configENS1_27scan_by_key_config_selectorIssEEZZNS1_16scan_by_key_implILNS1_25lookback_scan_determinismE0ELb0ES3_N6thrust23THRUST_200600_302600_NS6detail15normal_iteratorINS9_10device_ptrIsEEEESE_SE_sNS9_10multipliesIsEENS9_8equal_toIsEEsEE10hipError_tPvRmT2_T3_T4_T5_mT6_T7_P12ihipStream_tbENKUlT_T0_E_clISt17integral_constantIbLb1EESY_IbLb0EEEEDaSU_SV_EUlSU_E_NS1_11comp_targetILNS1_3genE5ELNS1_11target_archE942ELNS1_3gpuE9ELNS1_3repE0EEENS1_30default_config_static_selectorELNS0_4arch9wavefront6targetE0EEEvT1_.numbered_sgpr, 0
	.set _ZN7rocprim17ROCPRIM_400000_NS6detail17trampoline_kernelINS0_14default_configENS1_27scan_by_key_config_selectorIssEEZZNS1_16scan_by_key_implILNS1_25lookback_scan_determinismE0ELb0ES3_N6thrust23THRUST_200600_302600_NS6detail15normal_iteratorINS9_10device_ptrIsEEEESE_SE_sNS9_10multipliesIsEENS9_8equal_toIsEEsEE10hipError_tPvRmT2_T3_T4_T5_mT6_T7_P12ihipStream_tbENKUlT_T0_E_clISt17integral_constantIbLb1EESY_IbLb0EEEEDaSU_SV_EUlSU_E_NS1_11comp_targetILNS1_3genE5ELNS1_11target_archE942ELNS1_3gpuE9ELNS1_3repE0EEENS1_30default_config_static_selectorELNS0_4arch9wavefront6targetE0EEEvT1_.num_named_barrier, 0
	.set _ZN7rocprim17ROCPRIM_400000_NS6detail17trampoline_kernelINS0_14default_configENS1_27scan_by_key_config_selectorIssEEZZNS1_16scan_by_key_implILNS1_25lookback_scan_determinismE0ELb0ES3_N6thrust23THRUST_200600_302600_NS6detail15normal_iteratorINS9_10device_ptrIsEEEESE_SE_sNS9_10multipliesIsEENS9_8equal_toIsEEsEE10hipError_tPvRmT2_T3_T4_T5_mT6_T7_P12ihipStream_tbENKUlT_T0_E_clISt17integral_constantIbLb1EESY_IbLb0EEEEDaSU_SV_EUlSU_E_NS1_11comp_targetILNS1_3genE5ELNS1_11target_archE942ELNS1_3gpuE9ELNS1_3repE0EEENS1_30default_config_static_selectorELNS0_4arch9wavefront6targetE0EEEvT1_.private_seg_size, 0
	.set _ZN7rocprim17ROCPRIM_400000_NS6detail17trampoline_kernelINS0_14default_configENS1_27scan_by_key_config_selectorIssEEZZNS1_16scan_by_key_implILNS1_25lookback_scan_determinismE0ELb0ES3_N6thrust23THRUST_200600_302600_NS6detail15normal_iteratorINS9_10device_ptrIsEEEESE_SE_sNS9_10multipliesIsEENS9_8equal_toIsEEsEE10hipError_tPvRmT2_T3_T4_T5_mT6_T7_P12ihipStream_tbENKUlT_T0_E_clISt17integral_constantIbLb1EESY_IbLb0EEEEDaSU_SV_EUlSU_E_NS1_11comp_targetILNS1_3genE5ELNS1_11target_archE942ELNS1_3gpuE9ELNS1_3repE0EEENS1_30default_config_static_selectorELNS0_4arch9wavefront6targetE0EEEvT1_.uses_vcc, 0
	.set _ZN7rocprim17ROCPRIM_400000_NS6detail17trampoline_kernelINS0_14default_configENS1_27scan_by_key_config_selectorIssEEZZNS1_16scan_by_key_implILNS1_25lookback_scan_determinismE0ELb0ES3_N6thrust23THRUST_200600_302600_NS6detail15normal_iteratorINS9_10device_ptrIsEEEESE_SE_sNS9_10multipliesIsEENS9_8equal_toIsEEsEE10hipError_tPvRmT2_T3_T4_T5_mT6_T7_P12ihipStream_tbENKUlT_T0_E_clISt17integral_constantIbLb1EESY_IbLb0EEEEDaSU_SV_EUlSU_E_NS1_11comp_targetILNS1_3genE5ELNS1_11target_archE942ELNS1_3gpuE9ELNS1_3repE0EEENS1_30default_config_static_selectorELNS0_4arch9wavefront6targetE0EEEvT1_.uses_flat_scratch, 0
	.set _ZN7rocprim17ROCPRIM_400000_NS6detail17trampoline_kernelINS0_14default_configENS1_27scan_by_key_config_selectorIssEEZZNS1_16scan_by_key_implILNS1_25lookback_scan_determinismE0ELb0ES3_N6thrust23THRUST_200600_302600_NS6detail15normal_iteratorINS9_10device_ptrIsEEEESE_SE_sNS9_10multipliesIsEENS9_8equal_toIsEEsEE10hipError_tPvRmT2_T3_T4_T5_mT6_T7_P12ihipStream_tbENKUlT_T0_E_clISt17integral_constantIbLb1EESY_IbLb0EEEEDaSU_SV_EUlSU_E_NS1_11comp_targetILNS1_3genE5ELNS1_11target_archE942ELNS1_3gpuE9ELNS1_3repE0EEENS1_30default_config_static_selectorELNS0_4arch9wavefront6targetE0EEEvT1_.has_dyn_sized_stack, 0
	.set _ZN7rocprim17ROCPRIM_400000_NS6detail17trampoline_kernelINS0_14default_configENS1_27scan_by_key_config_selectorIssEEZZNS1_16scan_by_key_implILNS1_25lookback_scan_determinismE0ELb0ES3_N6thrust23THRUST_200600_302600_NS6detail15normal_iteratorINS9_10device_ptrIsEEEESE_SE_sNS9_10multipliesIsEENS9_8equal_toIsEEsEE10hipError_tPvRmT2_T3_T4_T5_mT6_T7_P12ihipStream_tbENKUlT_T0_E_clISt17integral_constantIbLb1EESY_IbLb0EEEEDaSU_SV_EUlSU_E_NS1_11comp_targetILNS1_3genE5ELNS1_11target_archE942ELNS1_3gpuE9ELNS1_3repE0EEENS1_30default_config_static_selectorELNS0_4arch9wavefront6targetE0EEEvT1_.has_recursion, 0
	.set _ZN7rocprim17ROCPRIM_400000_NS6detail17trampoline_kernelINS0_14default_configENS1_27scan_by_key_config_selectorIssEEZZNS1_16scan_by_key_implILNS1_25lookback_scan_determinismE0ELb0ES3_N6thrust23THRUST_200600_302600_NS6detail15normal_iteratorINS9_10device_ptrIsEEEESE_SE_sNS9_10multipliesIsEENS9_8equal_toIsEEsEE10hipError_tPvRmT2_T3_T4_T5_mT6_T7_P12ihipStream_tbENKUlT_T0_E_clISt17integral_constantIbLb1EESY_IbLb0EEEEDaSU_SV_EUlSU_E_NS1_11comp_targetILNS1_3genE5ELNS1_11target_archE942ELNS1_3gpuE9ELNS1_3repE0EEENS1_30default_config_static_selectorELNS0_4arch9wavefront6targetE0EEEvT1_.has_indirect_call, 0
	.section	.AMDGPU.csdata,"",@progbits
; Kernel info:
; codeLenInByte = 0
; TotalNumSgprs: 0
; NumVgprs: 0
; ScratchSize: 0
; MemoryBound: 0
; FloatMode: 240
; IeeeMode: 1
; LDSByteSize: 0 bytes/workgroup (compile time only)
; SGPRBlocks: 0
; VGPRBlocks: 0
; NumSGPRsForWavesPerEU: 1
; NumVGPRsForWavesPerEU: 1
; NamedBarCnt: 0
; Occupancy: 16
; WaveLimiterHint : 0
; COMPUTE_PGM_RSRC2:SCRATCH_EN: 0
; COMPUTE_PGM_RSRC2:USER_SGPR: 2
; COMPUTE_PGM_RSRC2:TRAP_HANDLER: 0
; COMPUTE_PGM_RSRC2:TGID_X_EN: 1
; COMPUTE_PGM_RSRC2:TGID_Y_EN: 0
; COMPUTE_PGM_RSRC2:TGID_Z_EN: 0
; COMPUTE_PGM_RSRC2:TIDIG_COMP_CNT: 0
	.section	.text._ZN7rocprim17ROCPRIM_400000_NS6detail17trampoline_kernelINS0_14default_configENS1_27scan_by_key_config_selectorIssEEZZNS1_16scan_by_key_implILNS1_25lookback_scan_determinismE0ELb0ES3_N6thrust23THRUST_200600_302600_NS6detail15normal_iteratorINS9_10device_ptrIsEEEESE_SE_sNS9_10multipliesIsEENS9_8equal_toIsEEsEE10hipError_tPvRmT2_T3_T4_T5_mT6_T7_P12ihipStream_tbENKUlT_T0_E_clISt17integral_constantIbLb1EESY_IbLb0EEEEDaSU_SV_EUlSU_E_NS1_11comp_targetILNS1_3genE4ELNS1_11target_archE910ELNS1_3gpuE8ELNS1_3repE0EEENS1_30default_config_static_selectorELNS0_4arch9wavefront6targetE0EEEvT1_,"axG",@progbits,_ZN7rocprim17ROCPRIM_400000_NS6detail17trampoline_kernelINS0_14default_configENS1_27scan_by_key_config_selectorIssEEZZNS1_16scan_by_key_implILNS1_25lookback_scan_determinismE0ELb0ES3_N6thrust23THRUST_200600_302600_NS6detail15normal_iteratorINS9_10device_ptrIsEEEESE_SE_sNS9_10multipliesIsEENS9_8equal_toIsEEsEE10hipError_tPvRmT2_T3_T4_T5_mT6_T7_P12ihipStream_tbENKUlT_T0_E_clISt17integral_constantIbLb1EESY_IbLb0EEEEDaSU_SV_EUlSU_E_NS1_11comp_targetILNS1_3genE4ELNS1_11target_archE910ELNS1_3gpuE8ELNS1_3repE0EEENS1_30default_config_static_selectorELNS0_4arch9wavefront6targetE0EEEvT1_,comdat
	.protected	_ZN7rocprim17ROCPRIM_400000_NS6detail17trampoline_kernelINS0_14default_configENS1_27scan_by_key_config_selectorIssEEZZNS1_16scan_by_key_implILNS1_25lookback_scan_determinismE0ELb0ES3_N6thrust23THRUST_200600_302600_NS6detail15normal_iteratorINS9_10device_ptrIsEEEESE_SE_sNS9_10multipliesIsEENS9_8equal_toIsEEsEE10hipError_tPvRmT2_T3_T4_T5_mT6_T7_P12ihipStream_tbENKUlT_T0_E_clISt17integral_constantIbLb1EESY_IbLb0EEEEDaSU_SV_EUlSU_E_NS1_11comp_targetILNS1_3genE4ELNS1_11target_archE910ELNS1_3gpuE8ELNS1_3repE0EEENS1_30default_config_static_selectorELNS0_4arch9wavefront6targetE0EEEvT1_ ; -- Begin function _ZN7rocprim17ROCPRIM_400000_NS6detail17trampoline_kernelINS0_14default_configENS1_27scan_by_key_config_selectorIssEEZZNS1_16scan_by_key_implILNS1_25lookback_scan_determinismE0ELb0ES3_N6thrust23THRUST_200600_302600_NS6detail15normal_iteratorINS9_10device_ptrIsEEEESE_SE_sNS9_10multipliesIsEENS9_8equal_toIsEEsEE10hipError_tPvRmT2_T3_T4_T5_mT6_T7_P12ihipStream_tbENKUlT_T0_E_clISt17integral_constantIbLb1EESY_IbLb0EEEEDaSU_SV_EUlSU_E_NS1_11comp_targetILNS1_3genE4ELNS1_11target_archE910ELNS1_3gpuE8ELNS1_3repE0EEENS1_30default_config_static_selectorELNS0_4arch9wavefront6targetE0EEEvT1_
	.globl	_ZN7rocprim17ROCPRIM_400000_NS6detail17trampoline_kernelINS0_14default_configENS1_27scan_by_key_config_selectorIssEEZZNS1_16scan_by_key_implILNS1_25lookback_scan_determinismE0ELb0ES3_N6thrust23THRUST_200600_302600_NS6detail15normal_iteratorINS9_10device_ptrIsEEEESE_SE_sNS9_10multipliesIsEENS9_8equal_toIsEEsEE10hipError_tPvRmT2_T3_T4_T5_mT6_T7_P12ihipStream_tbENKUlT_T0_E_clISt17integral_constantIbLb1EESY_IbLb0EEEEDaSU_SV_EUlSU_E_NS1_11comp_targetILNS1_3genE4ELNS1_11target_archE910ELNS1_3gpuE8ELNS1_3repE0EEENS1_30default_config_static_selectorELNS0_4arch9wavefront6targetE0EEEvT1_
	.p2align	8
	.type	_ZN7rocprim17ROCPRIM_400000_NS6detail17trampoline_kernelINS0_14default_configENS1_27scan_by_key_config_selectorIssEEZZNS1_16scan_by_key_implILNS1_25lookback_scan_determinismE0ELb0ES3_N6thrust23THRUST_200600_302600_NS6detail15normal_iteratorINS9_10device_ptrIsEEEESE_SE_sNS9_10multipliesIsEENS9_8equal_toIsEEsEE10hipError_tPvRmT2_T3_T4_T5_mT6_T7_P12ihipStream_tbENKUlT_T0_E_clISt17integral_constantIbLb1EESY_IbLb0EEEEDaSU_SV_EUlSU_E_NS1_11comp_targetILNS1_3genE4ELNS1_11target_archE910ELNS1_3gpuE8ELNS1_3repE0EEENS1_30default_config_static_selectorELNS0_4arch9wavefront6targetE0EEEvT1_,@function
_ZN7rocprim17ROCPRIM_400000_NS6detail17trampoline_kernelINS0_14default_configENS1_27scan_by_key_config_selectorIssEEZZNS1_16scan_by_key_implILNS1_25lookback_scan_determinismE0ELb0ES3_N6thrust23THRUST_200600_302600_NS6detail15normal_iteratorINS9_10device_ptrIsEEEESE_SE_sNS9_10multipliesIsEENS9_8equal_toIsEEsEE10hipError_tPvRmT2_T3_T4_T5_mT6_T7_P12ihipStream_tbENKUlT_T0_E_clISt17integral_constantIbLb1EESY_IbLb0EEEEDaSU_SV_EUlSU_E_NS1_11comp_targetILNS1_3genE4ELNS1_11target_archE910ELNS1_3gpuE8ELNS1_3repE0EEENS1_30default_config_static_selectorELNS0_4arch9wavefront6targetE0EEEvT1_: ; @_ZN7rocprim17ROCPRIM_400000_NS6detail17trampoline_kernelINS0_14default_configENS1_27scan_by_key_config_selectorIssEEZZNS1_16scan_by_key_implILNS1_25lookback_scan_determinismE0ELb0ES3_N6thrust23THRUST_200600_302600_NS6detail15normal_iteratorINS9_10device_ptrIsEEEESE_SE_sNS9_10multipliesIsEENS9_8equal_toIsEEsEE10hipError_tPvRmT2_T3_T4_T5_mT6_T7_P12ihipStream_tbENKUlT_T0_E_clISt17integral_constantIbLb1EESY_IbLb0EEEEDaSU_SV_EUlSU_E_NS1_11comp_targetILNS1_3genE4ELNS1_11target_archE910ELNS1_3gpuE8ELNS1_3repE0EEENS1_30default_config_static_selectorELNS0_4arch9wavefront6targetE0EEEvT1_
; %bb.0:
	.section	.rodata,"a",@progbits
	.p2align	6, 0x0
	.amdhsa_kernel _ZN7rocprim17ROCPRIM_400000_NS6detail17trampoline_kernelINS0_14default_configENS1_27scan_by_key_config_selectorIssEEZZNS1_16scan_by_key_implILNS1_25lookback_scan_determinismE0ELb0ES3_N6thrust23THRUST_200600_302600_NS6detail15normal_iteratorINS9_10device_ptrIsEEEESE_SE_sNS9_10multipliesIsEENS9_8equal_toIsEEsEE10hipError_tPvRmT2_T3_T4_T5_mT6_T7_P12ihipStream_tbENKUlT_T0_E_clISt17integral_constantIbLb1EESY_IbLb0EEEEDaSU_SV_EUlSU_E_NS1_11comp_targetILNS1_3genE4ELNS1_11target_archE910ELNS1_3gpuE8ELNS1_3repE0EEENS1_30default_config_static_selectorELNS0_4arch9wavefront6targetE0EEEvT1_
		.amdhsa_group_segment_fixed_size 0
		.amdhsa_private_segment_fixed_size 0
		.amdhsa_kernarg_size 112
		.amdhsa_user_sgpr_count 2
		.amdhsa_user_sgpr_dispatch_ptr 0
		.amdhsa_user_sgpr_queue_ptr 0
		.amdhsa_user_sgpr_kernarg_segment_ptr 1
		.amdhsa_user_sgpr_dispatch_id 0
		.amdhsa_user_sgpr_kernarg_preload_length 0
		.amdhsa_user_sgpr_kernarg_preload_offset 0
		.amdhsa_user_sgpr_private_segment_size 0
		.amdhsa_wavefront_size32 1
		.amdhsa_uses_dynamic_stack 0
		.amdhsa_enable_private_segment 0
		.amdhsa_system_sgpr_workgroup_id_x 1
		.amdhsa_system_sgpr_workgroup_id_y 0
		.amdhsa_system_sgpr_workgroup_id_z 0
		.amdhsa_system_sgpr_workgroup_info 0
		.amdhsa_system_vgpr_workitem_id 0
		.amdhsa_next_free_vgpr 1
		.amdhsa_next_free_sgpr 1
		.amdhsa_named_barrier_count 0
		.amdhsa_reserve_vcc 0
		.amdhsa_float_round_mode_32 0
		.amdhsa_float_round_mode_16_64 0
		.amdhsa_float_denorm_mode_32 3
		.amdhsa_float_denorm_mode_16_64 3
		.amdhsa_fp16_overflow 0
		.amdhsa_memory_ordered 1
		.amdhsa_forward_progress 1
		.amdhsa_inst_pref_size 0
		.amdhsa_round_robin_scheduling 0
		.amdhsa_exception_fp_ieee_invalid_op 0
		.amdhsa_exception_fp_denorm_src 0
		.amdhsa_exception_fp_ieee_div_zero 0
		.amdhsa_exception_fp_ieee_overflow 0
		.amdhsa_exception_fp_ieee_underflow 0
		.amdhsa_exception_fp_ieee_inexact 0
		.amdhsa_exception_int_div_zero 0
	.end_amdhsa_kernel
	.section	.text._ZN7rocprim17ROCPRIM_400000_NS6detail17trampoline_kernelINS0_14default_configENS1_27scan_by_key_config_selectorIssEEZZNS1_16scan_by_key_implILNS1_25lookback_scan_determinismE0ELb0ES3_N6thrust23THRUST_200600_302600_NS6detail15normal_iteratorINS9_10device_ptrIsEEEESE_SE_sNS9_10multipliesIsEENS9_8equal_toIsEEsEE10hipError_tPvRmT2_T3_T4_T5_mT6_T7_P12ihipStream_tbENKUlT_T0_E_clISt17integral_constantIbLb1EESY_IbLb0EEEEDaSU_SV_EUlSU_E_NS1_11comp_targetILNS1_3genE4ELNS1_11target_archE910ELNS1_3gpuE8ELNS1_3repE0EEENS1_30default_config_static_selectorELNS0_4arch9wavefront6targetE0EEEvT1_,"axG",@progbits,_ZN7rocprim17ROCPRIM_400000_NS6detail17trampoline_kernelINS0_14default_configENS1_27scan_by_key_config_selectorIssEEZZNS1_16scan_by_key_implILNS1_25lookback_scan_determinismE0ELb0ES3_N6thrust23THRUST_200600_302600_NS6detail15normal_iteratorINS9_10device_ptrIsEEEESE_SE_sNS9_10multipliesIsEENS9_8equal_toIsEEsEE10hipError_tPvRmT2_T3_T4_T5_mT6_T7_P12ihipStream_tbENKUlT_T0_E_clISt17integral_constantIbLb1EESY_IbLb0EEEEDaSU_SV_EUlSU_E_NS1_11comp_targetILNS1_3genE4ELNS1_11target_archE910ELNS1_3gpuE8ELNS1_3repE0EEENS1_30default_config_static_selectorELNS0_4arch9wavefront6targetE0EEEvT1_,comdat
.Lfunc_end302:
	.size	_ZN7rocprim17ROCPRIM_400000_NS6detail17trampoline_kernelINS0_14default_configENS1_27scan_by_key_config_selectorIssEEZZNS1_16scan_by_key_implILNS1_25lookback_scan_determinismE0ELb0ES3_N6thrust23THRUST_200600_302600_NS6detail15normal_iteratorINS9_10device_ptrIsEEEESE_SE_sNS9_10multipliesIsEENS9_8equal_toIsEEsEE10hipError_tPvRmT2_T3_T4_T5_mT6_T7_P12ihipStream_tbENKUlT_T0_E_clISt17integral_constantIbLb1EESY_IbLb0EEEEDaSU_SV_EUlSU_E_NS1_11comp_targetILNS1_3genE4ELNS1_11target_archE910ELNS1_3gpuE8ELNS1_3repE0EEENS1_30default_config_static_selectorELNS0_4arch9wavefront6targetE0EEEvT1_, .Lfunc_end302-_ZN7rocprim17ROCPRIM_400000_NS6detail17trampoline_kernelINS0_14default_configENS1_27scan_by_key_config_selectorIssEEZZNS1_16scan_by_key_implILNS1_25lookback_scan_determinismE0ELb0ES3_N6thrust23THRUST_200600_302600_NS6detail15normal_iteratorINS9_10device_ptrIsEEEESE_SE_sNS9_10multipliesIsEENS9_8equal_toIsEEsEE10hipError_tPvRmT2_T3_T4_T5_mT6_T7_P12ihipStream_tbENKUlT_T0_E_clISt17integral_constantIbLb1EESY_IbLb0EEEEDaSU_SV_EUlSU_E_NS1_11comp_targetILNS1_3genE4ELNS1_11target_archE910ELNS1_3gpuE8ELNS1_3repE0EEENS1_30default_config_static_selectorELNS0_4arch9wavefront6targetE0EEEvT1_
                                        ; -- End function
	.set _ZN7rocprim17ROCPRIM_400000_NS6detail17trampoline_kernelINS0_14default_configENS1_27scan_by_key_config_selectorIssEEZZNS1_16scan_by_key_implILNS1_25lookback_scan_determinismE0ELb0ES3_N6thrust23THRUST_200600_302600_NS6detail15normal_iteratorINS9_10device_ptrIsEEEESE_SE_sNS9_10multipliesIsEENS9_8equal_toIsEEsEE10hipError_tPvRmT2_T3_T4_T5_mT6_T7_P12ihipStream_tbENKUlT_T0_E_clISt17integral_constantIbLb1EESY_IbLb0EEEEDaSU_SV_EUlSU_E_NS1_11comp_targetILNS1_3genE4ELNS1_11target_archE910ELNS1_3gpuE8ELNS1_3repE0EEENS1_30default_config_static_selectorELNS0_4arch9wavefront6targetE0EEEvT1_.num_vgpr, 0
	.set _ZN7rocprim17ROCPRIM_400000_NS6detail17trampoline_kernelINS0_14default_configENS1_27scan_by_key_config_selectorIssEEZZNS1_16scan_by_key_implILNS1_25lookback_scan_determinismE0ELb0ES3_N6thrust23THRUST_200600_302600_NS6detail15normal_iteratorINS9_10device_ptrIsEEEESE_SE_sNS9_10multipliesIsEENS9_8equal_toIsEEsEE10hipError_tPvRmT2_T3_T4_T5_mT6_T7_P12ihipStream_tbENKUlT_T0_E_clISt17integral_constantIbLb1EESY_IbLb0EEEEDaSU_SV_EUlSU_E_NS1_11comp_targetILNS1_3genE4ELNS1_11target_archE910ELNS1_3gpuE8ELNS1_3repE0EEENS1_30default_config_static_selectorELNS0_4arch9wavefront6targetE0EEEvT1_.num_agpr, 0
	.set _ZN7rocprim17ROCPRIM_400000_NS6detail17trampoline_kernelINS0_14default_configENS1_27scan_by_key_config_selectorIssEEZZNS1_16scan_by_key_implILNS1_25lookback_scan_determinismE0ELb0ES3_N6thrust23THRUST_200600_302600_NS6detail15normal_iteratorINS9_10device_ptrIsEEEESE_SE_sNS9_10multipliesIsEENS9_8equal_toIsEEsEE10hipError_tPvRmT2_T3_T4_T5_mT6_T7_P12ihipStream_tbENKUlT_T0_E_clISt17integral_constantIbLb1EESY_IbLb0EEEEDaSU_SV_EUlSU_E_NS1_11comp_targetILNS1_3genE4ELNS1_11target_archE910ELNS1_3gpuE8ELNS1_3repE0EEENS1_30default_config_static_selectorELNS0_4arch9wavefront6targetE0EEEvT1_.numbered_sgpr, 0
	.set _ZN7rocprim17ROCPRIM_400000_NS6detail17trampoline_kernelINS0_14default_configENS1_27scan_by_key_config_selectorIssEEZZNS1_16scan_by_key_implILNS1_25lookback_scan_determinismE0ELb0ES3_N6thrust23THRUST_200600_302600_NS6detail15normal_iteratorINS9_10device_ptrIsEEEESE_SE_sNS9_10multipliesIsEENS9_8equal_toIsEEsEE10hipError_tPvRmT2_T3_T4_T5_mT6_T7_P12ihipStream_tbENKUlT_T0_E_clISt17integral_constantIbLb1EESY_IbLb0EEEEDaSU_SV_EUlSU_E_NS1_11comp_targetILNS1_3genE4ELNS1_11target_archE910ELNS1_3gpuE8ELNS1_3repE0EEENS1_30default_config_static_selectorELNS0_4arch9wavefront6targetE0EEEvT1_.num_named_barrier, 0
	.set _ZN7rocprim17ROCPRIM_400000_NS6detail17trampoline_kernelINS0_14default_configENS1_27scan_by_key_config_selectorIssEEZZNS1_16scan_by_key_implILNS1_25lookback_scan_determinismE0ELb0ES3_N6thrust23THRUST_200600_302600_NS6detail15normal_iteratorINS9_10device_ptrIsEEEESE_SE_sNS9_10multipliesIsEENS9_8equal_toIsEEsEE10hipError_tPvRmT2_T3_T4_T5_mT6_T7_P12ihipStream_tbENKUlT_T0_E_clISt17integral_constantIbLb1EESY_IbLb0EEEEDaSU_SV_EUlSU_E_NS1_11comp_targetILNS1_3genE4ELNS1_11target_archE910ELNS1_3gpuE8ELNS1_3repE0EEENS1_30default_config_static_selectorELNS0_4arch9wavefront6targetE0EEEvT1_.private_seg_size, 0
	.set _ZN7rocprim17ROCPRIM_400000_NS6detail17trampoline_kernelINS0_14default_configENS1_27scan_by_key_config_selectorIssEEZZNS1_16scan_by_key_implILNS1_25lookback_scan_determinismE0ELb0ES3_N6thrust23THRUST_200600_302600_NS6detail15normal_iteratorINS9_10device_ptrIsEEEESE_SE_sNS9_10multipliesIsEENS9_8equal_toIsEEsEE10hipError_tPvRmT2_T3_T4_T5_mT6_T7_P12ihipStream_tbENKUlT_T0_E_clISt17integral_constantIbLb1EESY_IbLb0EEEEDaSU_SV_EUlSU_E_NS1_11comp_targetILNS1_3genE4ELNS1_11target_archE910ELNS1_3gpuE8ELNS1_3repE0EEENS1_30default_config_static_selectorELNS0_4arch9wavefront6targetE0EEEvT1_.uses_vcc, 0
	.set _ZN7rocprim17ROCPRIM_400000_NS6detail17trampoline_kernelINS0_14default_configENS1_27scan_by_key_config_selectorIssEEZZNS1_16scan_by_key_implILNS1_25lookback_scan_determinismE0ELb0ES3_N6thrust23THRUST_200600_302600_NS6detail15normal_iteratorINS9_10device_ptrIsEEEESE_SE_sNS9_10multipliesIsEENS9_8equal_toIsEEsEE10hipError_tPvRmT2_T3_T4_T5_mT6_T7_P12ihipStream_tbENKUlT_T0_E_clISt17integral_constantIbLb1EESY_IbLb0EEEEDaSU_SV_EUlSU_E_NS1_11comp_targetILNS1_3genE4ELNS1_11target_archE910ELNS1_3gpuE8ELNS1_3repE0EEENS1_30default_config_static_selectorELNS0_4arch9wavefront6targetE0EEEvT1_.uses_flat_scratch, 0
	.set _ZN7rocprim17ROCPRIM_400000_NS6detail17trampoline_kernelINS0_14default_configENS1_27scan_by_key_config_selectorIssEEZZNS1_16scan_by_key_implILNS1_25lookback_scan_determinismE0ELb0ES3_N6thrust23THRUST_200600_302600_NS6detail15normal_iteratorINS9_10device_ptrIsEEEESE_SE_sNS9_10multipliesIsEENS9_8equal_toIsEEsEE10hipError_tPvRmT2_T3_T4_T5_mT6_T7_P12ihipStream_tbENKUlT_T0_E_clISt17integral_constantIbLb1EESY_IbLb0EEEEDaSU_SV_EUlSU_E_NS1_11comp_targetILNS1_3genE4ELNS1_11target_archE910ELNS1_3gpuE8ELNS1_3repE0EEENS1_30default_config_static_selectorELNS0_4arch9wavefront6targetE0EEEvT1_.has_dyn_sized_stack, 0
	.set _ZN7rocprim17ROCPRIM_400000_NS6detail17trampoline_kernelINS0_14default_configENS1_27scan_by_key_config_selectorIssEEZZNS1_16scan_by_key_implILNS1_25lookback_scan_determinismE0ELb0ES3_N6thrust23THRUST_200600_302600_NS6detail15normal_iteratorINS9_10device_ptrIsEEEESE_SE_sNS9_10multipliesIsEENS9_8equal_toIsEEsEE10hipError_tPvRmT2_T3_T4_T5_mT6_T7_P12ihipStream_tbENKUlT_T0_E_clISt17integral_constantIbLb1EESY_IbLb0EEEEDaSU_SV_EUlSU_E_NS1_11comp_targetILNS1_3genE4ELNS1_11target_archE910ELNS1_3gpuE8ELNS1_3repE0EEENS1_30default_config_static_selectorELNS0_4arch9wavefront6targetE0EEEvT1_.has_recursion, 0
	.set _ZN7rocprim17ROCPRIM_400000_NS6detail17trampoline_kernelINS0_14default_configENS1_27scan_by_key_config_selectorIssEEZZNS1_16scan_by_key_implILNS1_25lookback_scan_determinismE0ELb0ES3_N6thrust23THRUST_200600_302600_NS6detail15normal_iteratorINS9_10device_ptrIsEEEESE_SE_sNS9_10multipliesIsEENS9_8equal_toIsEEsEE10hipError_tPvRmT2_T3_T4_T5_mT6_T7_P12ihipStream_tbENKUlT_T0_E_clISt17integral_constantIbLb1EESY_IbLb0EEEEDaSU_SV_EUlSU_E_NS1_11comp_targetILNS1_3genE4ELNS1_11target_archE910ELNS1_3gpuE8ELNS1_3repE0EEENS1_30default_config_static_selectorELNS0_4arch9wavefront6targetE0EEEvT1_.has_indirect_call, 0
	.section	.AMDGPU.csdata,"",@progbits
; Kernel info:
; codeLenInByte = 0
; TotalNumSgprs: 0
; NumVgprs: 0
; ScratchSize: 0
; MemoryBound: 0
; FloatMode: 240
; IeeeMode: 1
; LDSByteSize: 0 bytes/workgroup (compile time only)
; SGPRBlocks: 0
; VGPRBlocks: 0
; NumSGPRsForWavesPerEU: 1
; NumVGPRsForWavesPerEU: 1
; NamedBarCnt: 0
; Occupancy: 16
; WaveLimiterHint : 0
; COMPUTE_PGM_RSRC2:SCRATCH_EN: 0
; COMPUTE_PGM_RSRC2:USER_SGPR: 2
; COMPUTE_PGM_RSRC2:TRAP_HANDLER: 0
; COMPUTE_PGM_RSRC2:TGID_X_EN: 1
; COMPUTE_PGM_RSRC2:TGID_Y_EN: 0
; COMPUTE_PGM_RSRC2:TGID_Z_EN: 0
; COMPUTE_PGM_RSRC2:TIDIG_COMP_CNT: 0
	.section	.text._ZN7rocprim17ROCPRIM_400000_NS6detail17trampoline_kernelINS0_14default_configENS1_27scan_by_key_config_selectorIssEEZZNS1_16scan_by_key_implILNS1_25lookback_scan_determinismE0ELb0ES3_N6thrust23THRUST_200600_302600_NS6detail15normal_iteratorINS9_10device_ptrIsEEEESE_SE_sNS9_10multipliesIsEENS9_8equal_toIsEEsEE10hipError_tPvRmT2_T3_T4_T5_mT6_T7_P12ihipStream_tbENKUlT_T0_E_clISt17integral_constantIbLb1EESY_IbLb0EEEEDaSU_SV_EUlSU_E_NS1_11comp_targetILNS1_3genE3ELNS1_11target_archE908ELNS1_3gpuE7ELNS1_3repE0EEENS1_30default_config_static_selectorELNS0_4arch9wavefront6targetE0EEEvT1_,"axG",@progbits,_ZN7rocprim17ROCPRIM_400000_NS6detail17trampoline_kernelINS0_14default_configENS1_27scan_by_key_config_selectorIssEEZZNS1_16scan_by_key_implILNS1_25lookback_scan_determinismE0ELb0ES3_N6thrust23THRUST_200600_302600_NS6detail15normal_iteratorINS9_10device_ptrIsEEEESE_SE_sNS9_10multipliesIsEENS9_8equal_toIsEEsEE10hipError_tPvRmT2_T3_T4_T5_mT6_T7_P12ihipStream_tbENKUlT_T0_E_clISt17integral_constantIbLb1EESY_IbLb0EEEEDaSU_SV_EUlSU_E_NS1_11comp_targetILNS1_3genE3ELNS1_11target_archE908ELNS1_3gpuE7ELNS1_3repE0EEENS1_30default_config_static_selectorELNS0_4arch9wavefront6targetE0EEEvT1_,comdat
	.protected	_ZN7rocprim17ROCPRIM_400000_NS6detail17trampoline_kernelINS0_14default_configENS1_27scan_by_key_config_selectorIssEEZZNS1_16scan_by_key_implILNS1_25lookback_scan_determinismE0ELb0ES3_N6thrust23THRUST_200600_302600_NS6detail15normal_iteratorINS9_10device_ptrIsEEEESE_SE_sNS9_10multipliesIsEENS9_8equal_toIsEEsEE10hipError_tPvRmT2_T3_T4_T5_mT6_T7_P12ihipStream_tbENKUlT_T0_E_clISt17integral_constantIbLb1EESY_IbLb0EEEEDaSU_SV_EUlSU_E_NS1_11comp_targetILNS1_3genE3ELNS1_11target_archE908ELNS1_3gpuE7ELNS1_3repE0EEENS1_30default_config_static_selectorELNS0_4arch9wavefront6targetE0EEEvT1_ ; -- Begin function _ZN7rocprim17ROCPRIM_400000_NS6detail17trampoline_kernelINS0_14default_configENS1_27scan_by_key_config_selectorIssEEZZNS1_16scan_by_key_implILNS1_25lookback_scan_determinismE0ELb0ES3_N6thrust23THRUST_200600_302600_NS6detail15normal_iteratorINS9_10device_ptrIsEEEESE_SE_sNS9_10multipliesIsEENS9_8equal_toIsEEsEE10hipError_tPvRmT2_T3_T4_T5_mT6_T7_P12ihipStream_tbENKUlT_T0_E_clISt17integral_constantIbLb1EESY_IbLb0EEEEDaSU_SV_EUlSU_E_NS1_11comp_targetILNS1_3genE3ELNS1_11target_archE908ELNS1_3gpuE7ELNS1_3repE0EEENS1_30default_config_static_selectorELNS0_4arch9wavefront6targetE0EEEvT1_
	.globl	_ZN7rocprim17ROCPRIM_400000_NS6detail17trampoline_kernelINS0_14default_configENS1_27scan_by_key_config_selectorIssEEZZNS1_16scan_by_key_implILNS1_25lookback_scan_determinismE0ELb0ES3_N6thrust23THRUST_200600_302600_NS6detail15normal_iteratorINS9_10device_ptrIsEEEESE_SE_sNS9_10multipliesIsEENS9_8equal_toIsEEsEE10hipError_tPvRmT2_T3_T4_T5_mT6_T7_P12ihipStream_tbENKUlT_T0_E_clISt17integral_constantIbLb1EESY_IbLb0EEEEDaSU_SV_EUlSU_E_NS1_11comp_targetILNS1_3genE3ELNS1_11target_archE908ELNS1_3gpuE7ELNS1_3repE0EEENS1_30default_config_static_selectorELNS0_4arch9wavefront6targetE0EEEvT1_
	.p2align	8
	.type	_ZN7rocprim17ROCPRIM_400000_NS6detail17trampoline_kernelINS0_14default_configENS1_27scan_by_key_config_selectorIssEEZZNS1_16scan_by_key_implILNS1_25lookback_scan_determinismE0ELb0ES3_N6thrust23THRUST_200600_302600_NS6detail15normal_iteratorINS9_10device_ptrIsEEEESE_SE_sNS9_10multipliesIsEENS9_8equal_toIsEEsEE10hipError_tPvRmT2_T3_T4_T5_mT6_T7_P12ihipStream_tbENKUlT_T0_E_clISt17integral_constantIbLb1EESY_IbLb0EEEEDaSU_SV_EUlSU_E_NS1_11comp_targetILNS1_3genE3ELNS1_11target_archE908ELNS1_3gpuE7ELNS1_3repE0EEENS1_30default_config_static_selectorELNS0_4arch9wavefront6targetE0EEEvT1_,@function
_ZN7rocprim17ROCPRIM_400000_NS6detail17trampoline_kernelINS0_14default_configENS1_27scan_by_key_config_selectorIssEEZZNS1_16scan_by_key_implILNS1_25lookback_scan_determinismE0ELb0ES3_N6thrust23THRUST_200600_302600_NS6detail15normal_iteratorINS9_10device_ptrIsEEEESE_SE_sNS9_10multipliesIsEENS9_8equal_toIsEEsEE10hipError_tPvRmT2_T3_T4_T5_mT6_T7_P12ihipStream_tbENKUlT_T0_E_clISt17integral_constantIbLb1EESY_IbLb0EEEEDaSU_SV_EUlSU_E_NS1_11comp_targetILNS1_3genE3ELNS1_11target_archE908ELNS1_3gpuE7ELNS1_3repE0EEENS1_30default_config_static_selectorELNS0_4arch9wavefront6targetE0EEEvT1_: ; @_ZN7rocprim17ROCPRIM_400000_NS6detail17trampoline_kernelINS0_14default_configENS1_27scan_by_key_config_selectorIssEEZZNS1_16scan_by_key_implILNS1_25lookback_scan_determinismE0ELb0ES3_N6thrust23THRUST_200600_302600_NS6detail15normal_iteratorINS9_10device_ptrIsEEEESE_SE_sNS9_10multipliesIsEENS9_8equal_toIsEEsEE10hipError_tPvRmT2_T3_T4_T5_mT6_T7_P12ihipStream_tbENKUlT_T0_E_clISt17integral_constantIbLb1EESY_IbLb0EEEEDaSU_SV_EUlSU_E_NS1_11comp_targetILNS1_3genE3ELNS1_11target_archE908ELNS1_3gpuE7ELNS1_3repE0EEENS1_30default_config_static_selectorELNS0_4arch9wavefront6targetE0EEEvT1_
; %bb.0:
	.section	.rodata,"a",@progbits
	.p2align	6, 0x0
	.amdhsa_kernel _ZN7rocprim17ROCPRIM_400000_NS6detail17trampoline_kernelINS0_14default_configENS1_27scan_by_key_config_selectorIssEEZZNS1_16scan_by_key_implILNS1_25lookback_scan_determinismE0ELb0ES3_N6thrust23THRUST_200600_302600_NS6detail15normal_iteratorINS9_10device_ptrIsEEEESE_SE_sNS9_10multipliesIsEENS9_8equal_toIsEEsEE10hipError_tPvRmT2_T3_T4_T5_mT6_T7_P12ihipStream_tbENKUlT_T0_E_clISt17integral_constantIbLb1EESY_IbLb0EEEEDaSU_SV_EUlSU_E_NS1_11comp_targetILNS1_3genE3ELNS1_11target_archE908ELNS1_3gpuE7ELNS1_3repE0EEENS1_30default_config_static_selectorELNS0_4arch9wavefront6targetE0EEEvT1_
		.amdhsa_group_segment_fixed_size 0
		.amdhsa_private_segment_fixed_size 0
		.amdhsa_kernarg_size 112
		.amdhsa_user_sgpr_count 2
		.amdhsa_user_sgpr_dispatch_ptr 0
		.amdhsa_user_sgpr_queue_ptr 0
		.amdhsa_user_sgpr_kernarg_segment_ptr 1
		.amdhsa_user_sgpr_dispatch_id 0
		.amdhsa_user_sgpr_kernarg_preload_length 0
		.amdhsa_user_sgpr_kernarg_preload_offset 0
		.amdhsa_user_sgpr_private_segment_size 0
		.amdhsa_wavefront_size32 1
		.amdhsa_uses_dynamic_stack 0
		.amdhsa_enable_private_segment 0
		.amdhsa_system_sgpr_workgroup_id_x 1
		.amdhsa_system_sgpr_workgroup_id_y 0
		.amdhsa_system_sgpr_workgroup_id_z 0
		.amdhsa_system_sgpr_workgroup_info 0
		.amdhsa_system_vgpr_workitem_id 0
		.amdhsa_next_free_vgpr 1
		.amdhsa_next_free_sgpr 1
		.amdhsa_named_barrier_count 0
		.amdhsa_reserve_vcc 0
		.amdhsa_float_round_mode_32 0
		.amdhsa_float_round_mode_16_64 0
		.amdhsa_float_denorm_mode_32 3
		.amdhsa_float_denorm_mode_16_64 3
		.amdhsa_fp16_overflow 0
		.amdhsa_memory_ordered 1
		.amdhsa_forward_progress 1
		.amdhsa_inst_pref_size 0
		.amdhsa_round_robin_scheduling 0
		.amdhsa_exception_fp_ieee_invalid_op 0
		.amdhsa_exception_fp_denorm_src 0
		.amdhsa_exception_fp_ieee_div_zero 0
		.amdhsa_exception_fp_ieee_overflow 0
		.amdhsa_exception_fp_ieee_underflow 0
		.amdhsa_exception_fp_ieee_inexact 0
		.amdhsa_exception_int_div_zero 0
	.end_amdhsa_kernel
	.section	.text._ZN7rocprim17ROCPRIM_400000_NS6detail17trampoline_kernelINS0_14default_configENS1_27scan_by_key_config_selectorIssEEZZNS1_16scan_by_key_implILNS1_25lookback_scan_determinismE0ELb0ES3_N6thrust23THRUST_200600_302600_NS6detail15normal_iteratorINS9_10device_ptrIsEEEESE_SE_sNS9_10multipliesIsEENS9_8equal_toIsEEsEE10hipError_tPvRmT2_T3_T4_T5_mT6_T7_P12ihipStream_tbENKUlT_T0_E_clISt17integral_constantIbLb1EESY_IbLb0EEEEDaSU_SV_EUlSU_E_NS1_11comp_targetILNS1_3genE3ELNS1_11target_archE908ELNS1_3gpuE7ELNS1_3repE0EEENS1_30default_config_static_selectorELNS0_4arch9wavefront6targetE0EEEvT1_,"axG",@progbits,_ZN7rocprim17ROCPRIM_400000_NS6detail17trampoline_kernelINS0_14default_configENS1_27scan_by_key_config_selectorIssEEZZNS1_16scan_by_key_implILNS1_25lookback_scan_determinismE0ELb0ES3_N6thrust23THRUST_200600_302600_NS6detail15normal_iteratorINS9_10device_ptrIsEEEESE_SE_sNS9_10multipliesIsEENS9_8equal_toIsEEsEE10hipError_tPvRmT2_T3_T4_T5_mT6_T7_P12ihipStream_tbENKUlT_T0_E_clISt17integral_constantIbLb1EESY_IbLb0EEEEDaSU_SV_EUlSU_E_NS1_11comp_targetILNS1_3genE3ELNS1_11target_archE908ELNS1_3gpuE7ELNS1_3repE0EEENS1_30default_config_static_selectorELNS0_4arch9wavefront6targetE0EEEvT1_,comdat
.Lfunc_end303:
	.size	_ZN7rocprim17ROCPRIM_400000_NS6detail17trampoline_kernelINS0_14default_configENS1_27scan_by_key_config_selectorIssEEZZNS1_16scan_by_key_implILNS1_25lookback_scan_determinismE0ELb0ES3_N6thrust23THRUST_200600_302600_NS6detail15normal_iteratorINS9_10device_ptrIsEEEESE_SE_sNS9_10multipliesIsEENS9_8equal_toIsEEsEE10hipError_tPvRmT2_T3_T4_T5_mT6_T7_P12ihipStream_tbENKUlT_T0_E_clISt17integral_constantIbLb1EESY_IbLb0EEEEDaSU_SV_EUlSU_E_NS1_11comp_targetILNS1_3genE3ELNS1_11target_archE908ELNS1_3gpuE7ELNS1_3repE0EEENS1_30default_config_static_selectorELNS0_4arch9wavefront6targetE0EEEvT1_, .Lfunc_end303-_ZN7rocprim17ROCPRIM_400000_NS6detail17trampoline_kernelINS0_14default_configENS1_27scan_by_key_config_selectorIssEEZZNS1_16scan_by_key_implILNS1_25lookback_scan_determinismE0ELb0ES3_N6thrust23THRUST_200600_302600_NS6detail15normal_iteratorINS9_10device_ptrIsEEEESE_SE_sNS9_10multipliesIsEENS9_8equal_toIsEEsEE10hipError_tPvRmT2_T3_T4_T5_mT6_T7_P12ihipStream_tbENKUlT_T0_E_clISt17integral_constantIbLb1EESY_IbLb0EEEEDaSU_SV_EUlSU_E_NS1_11comp_targetILNS1_3genE3ELNS1_11target_archE908ELNS1_3gpuE7ELNS1_3repE0EEENS1_30default_config_static_selectorELNS0_4arch9wavefront6targetE0EEEvT1_
                                        ; -- End function
	.set _ZN7rocprim17ROCPRIM_400000_NS6detail17trampoline_kernelINS0_14default_configENS1_27scan_by_key_config_selectorIssEEZZNS1_16scan_by_key_implILNS1_25lookback_scan_determinismE0ELb0ES3_N6thrust23THRUST_200600_302600_NS6detail15normal_iteratorINS9_10device_ptrIsEEEESE_SE_sNS9_10multipliesIsEENS9_8equal_toIsEEsEE10hipError_tPvRmT2_T3_T4_T5_mT6_T7_P12ihipStream_tbENKUlT_T0_E_clISt17integral_constantIbLb1EESY_IbLb0EEEEDaSU_SV_EUlSU_E_NS1_11comp_targetILNS1_3genE3ELNS1_11target_archE908ELNS1_3gpuE7ELNS1_3repE0EEENS1_30default_config_static_selectorELNS0_4arch9wavefront6targetE0EEEvT1_.num_vgpr, 0
	.set _ZN7rocprim17ROCPRIM_400000_NS6detail17trampoline_kernelINS0_14default_configENS1_27scan_by_key_config_selectorIssEEZZNS1_16scan_by_key_implILNS1_25lookback_scan_determinismE0ELb0ES3_N6thrust23THRUST_200600_302600_NS6detail15normal_iteratorINS9_10device_ptrIsEEEESE_SE_sNS9_10multipliesIsEENS9_8equal_toIsEEsEE10hipError_tPvRmT2_T3_T4_T5_mT6_T7_P12ihipStream_tbENKUlT_T0_E_clISt17integral_constantIbLb1EESY_IbLb0EEEEDaSU_SV_EUlSU_E_NS1_11comp_targetILNS1_3genE3ELNS1_11target_archE908ELNS1_3gpuE7ELNS1_3repE0EEENS1_30default_config_static_selectorELNS0_4arch9wavefront6targetE0EEEvT1_.num_agpr, 0
	.set _ZN7rocprim17ROCPRIM_400000_NS6detail17trampoline_kernelINS0_14default_configENS1_27scan_by_key_config_selectorIssEEZZNS1_16scan_by_key_implILNS1_25lookback_scan_determinismE0ELb0ES3_N6thrust23THRUST_200600_302600_NS6detail15normal_iteratorINS9_10device_ptrIsEEEESE_SE_sNS9_10multipliesIsEENS9_8equal_toIsEEsEE10hipError_tPvRmT2_T3_T4_T5_mT6_T7_P12ihipStream_tbENKUlT_T0_E_clISt17integral_constantIbLb1EESY_IbLb0EEEEDaSU_SV_EUlSU_E_NS1_11comp_targetILNS1_3genE3ELNS1_11target_archE908ELNS1_3gpuE7ELNS1_3repE0EEENS1_30default_config_static_selectorELNS0_4arch9wavefront6targetE0EEEvT1_.numbered_sgpr, 0
	.set _ZN7rocprim17ROCPRIM_400000_NS6detail17trampoline_kernelINS0_14default_configENS1_27scan_by_key_config_selectorIssEEZZNS1_16scan_by_key_implILNS1_25lookback_scan_determinismE0ELb0ES3_N6thrust23THRUST_200600_302600_NS6detail15normal_iteratorINS9_10device_ptrIsEEEESE_SE_sNS9_10multipliesIsEENS9_8equal_toIsEEsEE10hipError_tPvRmT2_T3_T4_T5_mT6_T7_P12ihipStream_tbENKUlT_T0_E_clISt17integral_constantIbLb1EESY_IbLb0EEEEDaSU_SV_EUlSU_E_NS1_11comp_targetILNS1_3genE3ELNS1_11target_archE908ELNS1_3gpuE7ELNS1_3repE0EEENS1_30default_config_static_selectorELNS0_4arch9wavefront6targetE0EEEvT1_.num_named_barrier, 0
	.set _ZN7rocprim17ROCPRIM_400000_NS6detail17trampoline_kernelINS0_14default_configENS1_27scan_by_key_config_selectorIssEEZZNS1_16scan_by_key_implILNS1_25lookback_scan_determinismE0ELb0ES3_N6thrust23THRUST_200600_302600_NS6detail15normal_iteratorINS9_10device_ptrIsEEEESE_SE_sNS9_10multipliesIsEENS9_8equal_toIsEEsEE10hipError_tPvRmT2_T3_T4_T5_mT6_T7_P12ihipStream_tbENKUlT_T0_E_clISt17integral_constantIbLb1EESY_IbLb0EEEEDaSU_SV_EUlSU_E_NS1_11comp_targetILNS1_3genE3ELNS1_11target_archE908ELNS1_3gpuE7ELNS1_3repE0EEENS1_30default_config_static_selectorELNS0_4arch9wavefront6targetE0EEEvT1_.private_seg_size, 0
	.set _ZN7rocprim17ROCPRIM_400000_NS6detail17trampoline_kernelINS0_14default_configENS1_27scan_by_key_config_selectorIssEEZZNS1_16scan_by_key_implILNS1_25lookback_scan_determinismE0ELb0ES3_N6thrust23THRUST_200600_302600_NS6detail15normal_iteratorINS9_10device_ptrIsEEEESE_SE_sNS9_10multipliesIsEENS9_8equal_toIsEEsEE10hipError_tPvRmT2_T3_T4_T5_mT6_T7_P12ihipStream_tbENKUlT_T0_E_clISt17integral_constantIbLb1EESY_IbLb0EEEEDaSU_SV_EUlSU_E_NS1_11comp_targetILNS1_3genE3ELNS1_11target_archE908ELNS1_3gpuE7ELNS1_3repE0EEENS1_30default_config_static_selectorELNS0_4arch9wavefront6targetE0EEEvT1_.uses_vcc, 0
	.set _ZN7rocprim17ROCPRIM_400000_NS6detail17trampoline_kernelINS0_14default_configENS1_27scan_by_key_config_selectorIssEEZZNS1_16scan_by_key_implILNS1_25lookback_scan_determinismE0ELb0ES3_N6thrust23THRUST_200600_302600_NS6detail15normal_iteratorINS9_10device_ptrIsEEEESE_SE_sNS9_10multipliesIsEENS9_8equal_toIsEEsEE10hipError_tPvRmT2_T3_T4_T5_mT6_T7_P12ihipStream_tbENKUlT_T0_E_clISt17integral_constantIbLb1EESY_IbLb0EEEEDaSU_SV_EUlSU_E_NS1_11comp_targetILNS1_3genE3ELNS1_11target_archE908ELNS1_3gpuE7ELNS1_3repE0EEENS1_30default_config_static_selectorELNS0_4arch9wavefront6targetE0EEEvT1_.uses_flat_scratch, 0
	.set _ZN7rocprim17ROCPRIM_400000_NS6detail17trampoline_kernelINS0_14default_configENS1_27scan_by_key_config_selectorIssEEZZNS1_16scan_by_key_implILNS1_25lookback_scan_determinismE0ELb0ES3_N6thrust23THRUST_200600_302600_NS6detail15normal_iteratorINS9_10device_ptrIsEEEESE_SE_sNS9_10multipliesIsEENS9_8equal_toIsEEsEE10hipError_tPvRmT2_T3_T4_T5_mT6_T7_P12ihipStream_tbENKUlT_T0_E_clISt17integral_constantIbLb1EESY_IbLb0EEEEDaSU_SV_EUlSU_E_NS1_11comp_targetILNS1_3genE3ELNS1_11target_archE908ELNS1_3gpuE7ELNS1_3repE0EEENS1_30default_config_static_selectorELNS0_4arch9wavefront6targetE0EEEvT1_.has_dyn_sized_stack, 0
	.set _ZN7rocprim17ROCPRIM_400000_NS6detail17trampoline_kernelINS0_14default_configENS1_27scan_by_key_config_selectorIssEEZZNS1_16scan_by_key_implILNS1_25lookback_scan_determinismE0ELb0ES3_N6thrust23THRUST_200600_302600_NS6detail15normal_iteratorINS9_10device_ptrIsEEEESE_SE_sNS9_10multipliesIsEENS9_8equal_toIsEEsEE10hipError_tPvRmT2_T3_T4_T5_mT6_T7_P12ihipStream_tbENKUlT_T0_E_clISt17integral_constantIbLb1EESY_IbLb0EEEEDaSU_SV_EUlSU_E_NS1_11comp_targetILNS1_3genE3ELNS1_11target_archE908ELNS1_3gpuE7ELNS1_3repE0EEENS1_30default_config_static_selectorELNS0_4arch9wavefront6targetE0EEEvT1_.has_recursion, 0
	.set _ZN7rocprim17ROCPRIM_400000_NS6detail17trampoline_kernelINS0_14default_configENS1_27scan_by_key_config_selectorIssEEZZNS1_16scan_by_key_implILNS1_25lookback_scan_determinismE0ELb0ES3_N6thrust23THRUST_200600_302600_NS6detail15normal_iteratorINS9_10device_ptrIsEEEESE_SE_sNS9_10multipliesIsEENS9_8equal_toIsEEsEE10hipError_tPvRmT2_T3_T4_T5_mT6_T7_P12ihipStream_tbENKUlT_T0_E_clISt17integral_constantIbLb1EESY_IbLb0EEEEDaSU_SV_EUlSU_E_NS1_11comp_targetILNS1_3genE3ELNS1_11target_archE908ELNS1_3gpuE7ELNS1_3repE0EEENS1_30default_config_static_selectorELNS0_4arch9wavefront6targetE0EEEvT1_.has_indirect_call, 0
	.section	.AMDGPU.csdata,"",@progbits
; Kernel info:
; codeLenInByte = 0
; TotalNumSgprs: 0
; NumVgprs: 0
; ScratchSize: 0
; MemoryBound: 0
; FloatMode: 240
; IeeeMode: 1
; LDSByteSize: 0 bytes/workgroup (compile time only)
; SGPRBlocks: 0
; VGPRBlocks: 0
; NumSGPRsForWavesPerEU: 1
; NumVGPRsForWavesPerEU: 1
; NamedBarCnt: 0
; Occupancy: 16
; WaveLimiterHint : 0
; COMPUTE_PGM_RSRC2:SCRATCH_EN: 0
; COMPUTE_PGM_RSRC2:USER_SGPR: 2
; COMPUTE_PGM_RSRC2:TRAP_HANDLER: 0
; COMPUTE_PGM_RSRC2:TGID_X_EN: 1
; COMPUTE_PGM_RSRC2:TGID_Y_EN: 0
; COMPUTE_PGM_RSRC2:TGID_Z_EN: 0
; COMPUTE_PGM_RSRC2:TIDIG_COMP_CNT: 0
	.section	.text._ZN7rocprim17ROCPRIM_400000_NS6detail17trampoline_kernelINS0_14default_configENS1_27scan_by_key_config_selectorIssEEZZNS1_16scan_by_key_implILNS1_25lookback_scan_determinismE0ELb0ES3_N6thrust23THRUST_200600_302600_NS6detail15normal_iteratorINS9_10device_ptrIsEEEESE_SE_sNS9_10multipliesIsEENS9_8equal_toIsEEsEE10hipError_tPvRmT2_T3_T4_T5_mT6_T7_P12ihipStream_tbENKUlT_T0_E_clISt17integral_constantIbLb1EESY_IbLb0EEEEDaSU_SV_EUlSU_E_NS1_11comp_targetILNS1_3genE2ELNS1_11target_archE906ELNS1_3gpuE6ELNS1_3repE0EEENS1_30default_config_static_selectorELNS0_4arch9wavefront6targetE0EEEvT1_,"axG",@progbits,_ZN7rocprim17ROCPRIM_400000_NS6detail17trampoline_kernelINS0_14default_configENS1_27scan_by_key_config_selectorIssEEZZNS1_16scan_by_key_implILNS1_25lookback_scan_determinismE0ELb0ES3_N6thrust23THRUST_200600_302600_NS6detail15normal_iteratorINS9_10device_ptrIsEEEESE_SE_sNS9_10multipliesIsEENS9_8equal_toIsEEsEE10hipError_tPvRmT2_T3_T4_T5_mT6_T7_P12ihipStream_tbENKUlT_T0_E_clISt17integral_constantIbLb1EESY_IbLb0EEEEDaSU_SV_EUlSU_E_NS1_11comp_targetILNS1_3genE2ELNS1_11target_archE906ELNS1_3gpuE6ELNS1_3repE0EEENS1_30default_config_static_selectorELNS0_4arch9wavefront6targetE0EEEvT1_,comdat
	.protected	_ZN7rocprim17ROCPRIM_400000_NS6detail17trampoline_kernelINS0_14default_configENS1_27scan_by_key_config_selectorIssEEZZNS1_16scan_by_key_implILNS1_25lookback_scan_determinismE0ELb0ES3_N6thrust23THRUST_200600_302600_NS6detail15normal_iteratorINS9_10device_ptrIsEEEESE_SE_sNS9_10multipliesIsEENS9_8equal_toIsEEsEE10hipError_tPvRmT2_T3_T4_T5_mT6_T7_P12ihipStream_tbENKUlT_T0_E_clISt17integral_constantIbLb1EESY_IbLb0EEEEDaSU_SV_EUlSU_E_NS1_11comp_targetILNS1_3genE2ELNS1_11target_archE906ELNS1_3gpuE6ELNS1_3repE0EEENS1_30default_config_static_selectorELNS0_4arch9wavefront6targetE0EEEvT1_ ; -- Begin function _ZN7rocprim17ROCPRIM_400000_NS6detail17trampoline_kernelINS0_14default_configENS1_27scan_by_key_config_selectorIssEEZZNS1_16scan_by_key_implILNS1_25lookback_scan_determinismE0ELb0ES3_N6thrust23THRUST_200600_302600_NS6detail15normal_iteratorINS9_10device_ptrIsEEEESE_SE_sNS9_10multipliesIsEENS9_8equal_toIsEEsEE10hipError_tPvRmT2_T3_T4_T5_mT6_T7_P12ihipStream_tbENKUlT_T0_E_clISt17integral_constantIbLb1EESY_IbLb0EEEEDaSU_SV_EUlSU_E_NS1_11comp_targetILNS1_3genE2ELNS1_11target_archE906ELNS1_3gpuE6ELNS1_3repE0EEENS1_30default_config_static_selectorELNS0_4arch9wavefront6targetE0EEEvT1_
	.globl	_ZN7rocprim17ROCPRIM_400000_NS6detail17trampoline_kernelINS0_14default_configENS1_27scan_by_key_config_selectorIssEEZZNS1_16scan_by_key_implILNS1_25lookback_scan_determinismE0ELb0ES3_N6thrust23THRUST_200600_302600_NS6detail15normal_iteratorINS9_10device_ptrIsEEEESE_SE_sNS9_10multipliesIsEENS9_8equal_toIsEEsEE10hipError_tPvRmT2_T3_T4_T5_mT6_T7_P12ihipStream_tbENKUlT_T0_E_clISt17integral_constantIbLb1EESY_IbLb0EEEEDaSU_SV_EUlSU_E_NS1_11comp_targetILNS1_3genE2ELNS1_11target_archE906ELNS1_3gpuE6ELNS1_3repE0EEENS1_30default_config_static_selectorELNS0_4arch9wavefront6targetE0EEEvT1_
	.p2align	8
	.type	_ZN7rocprim17ROCPRIM_400000_NS6detail17trampoline_kernelINS0_14default_configENS1_27scan_by_key_config_selectorIssEEZZNS1_16scan_by_key_implILNS1_25lookback_scan_determinismE0ELb0ES3_N6thrust23THRUST_200600_302600_NS6detail15normal_iteratorINS9_10device_ptrIsEEEESE_SE_sNS9_10multipliesIsEENS9_8equal_toIsEEsEE10hipError_tPvRmT2_T3_T4_T5_mT6_T7_P12ihipStream_tbENKUlT_T0_E_clISt17integral_constantIbLb1EESY_IbLb0EEEEDaSU_SV_EUlSU_E_NS1_11comp_targetILNS1_3genE2ELNS1_11target_archE906ELNS1_3gpuE6ELNS1_3repE0EEENS1_30default_config_static_selectorELNS0_4arch9wavefront6targetE0EEEvT1_,@function
_ZN7rocprim17ROCPRIM_400000_NS6detail17trampoline_kernelINS0_14default_configENS1_27scan_by_key_config_selectorIssEEZZNS1_16scan_by_key_implILNS1_25lookback_scan_determinismE0ELb0ES3_N6thrust23THRUST_200600_302600_NS6detail15normal_iteratorINS9_10device_ptrIsEEEESE_SE_sNS9_10multipliesIsEENS9_8equal_toIsEEsEE10hipError_tPvRmT2_T3_T4_T5_mT6_T7_P12ihipStream_tbENKUlT_T0_E_clISt17integral_constantIbLb1EESY_IbLb0EEEEDaSU_SV_EUlSU_E_NS1_11comp_targetILNS1_3genE2ELNS1_11target_archE906ELNS1_3gpuE6ELNS1_3repE0EEENS1_30default_config_static_selectorELNS0_4arch9wavefront6targetE0EEEvT1_: ; @_ZN7rocprim17ROCPRIM_400000_NS6detail17trampoline_kernelINS0_14default_configENS1_27scan_by_key_config_selectorIssEEZZNS1_16scan_by_key_implILNS1_25lookback_scan_determinismE0ELb0ES3_N6thrust23THRUST_200600_302600_NS6detail15normal_iteratorINS9_10device_ptrIsEEEESE_SE_sNS9_10multipliesIsEENS9_8equal_toIsEEsEE10hipError_tPvRmT2_T3_T4_T5_mT6_T7_P12ihipStream_tbENKUlT_T0_E_clISt17integral_constantIbLb1EESY_IbLb0EEEEDaSU_SV_EUlSU_E_NS1_11comp_targetILNS1_3genE2ELNS1_11target_archE906ELNS1_3gpuE6ELNS1_3repE0EEENS1_30default_config_static_selectorELNS0_4arch9wavefront6targetE0EEEvT1_
; %bb.0:
	.section	.rodata,"a",@progbits
	.p2align	6, 0x0
	.amdhsa_kernel _ZN7rocprim17ROCPRIM_400000_NS6detail17trampoline_kernelINS0_14default_configENS1_27scan_by_key_config_selectorIssEEZZNS1_16scan_by_key_implILNS1_25lookback_scan_determinismE0ELb0ES3_N6thrust23THRUST_200600_302600_NS6detail15normal_iteratorINS9_10device_ptrIsEEEESE_SE_sNS9_10multipliesIsEENS9_8equal_toIsEEsEE10hipError_tPvRmT2_T3_T4_T5_mT6_T7_P12ihipStream_tbENKUlT_T0_E_clISt17integral_constantIbLb1EESY_IbLb0EEEEDaSU_SV_EUlSU_E_NS1_11comp_targetILNS1_3genE2ELNS1_11target_archE906ELNS1_3gpuE6ELNS1_3repE0EEENS1_30default_config_static_selectorELNS0_4arch9wavefront6targetE0EEEvT1_
		.amdhsa_group_segment_fixed_size 0
		.amdhsa_private_segment_fixed_size 0
		.amdhsa_kernarg_size 112
		.amdhsa_user_sgpr_count 2
		.amdhsa_user_sgpr_dispatch_ptr 0
		.amdhsa_user_sgpr_queue_ptr 0
		.amdhsa_user_sgpr_kernarg_segment_ptr 1
		.amdhsa_user_sgpr_dispatch_id 0
		.amdhsa_user_sgpr_kernarg_preload_length 0
		.amdhsa_user_sgpr_kernarg_preload_offset 0
		.amdhsa_user_sgpr_private_segment_size 0
		.amdhsa_wavefront_size32 1
		.amdhsa_uses_dynamic_stack 0
		.amdhsa_enable_private_segment 0
		.amdhsa_system_sgpr_workgroup_id_x 1
		.amdhsa_system_sgpr_workgroup_id_y 0
		.amdhsa_system_sgpr_workgroup_id_z 0
		.amdhsa_system_sgpr_workgroup_info 0
		.amdhsa_system_vgpr_workitem_id 0
		.amdhsa_next_free_vgpr 1
		.amdhsa_next_free_sgpr 1
		.amdhsa_named_barrier_count 0
		.amdhsa_reserve_vcc 0
		.amdhsa_float_round_mode_32 0
		.amdhsa_float_round_mode_16_64 0
		.amdhsa_float_denorm_mode_32 3
		.amdhsa_float_denorm_mode_16_64 3
		.amdhsa_fp16_overflow 0
		.amdhsa_memory_ordered 1
		.amdhsa_forward_progress 1
		.amdhsa_inst_pref_size 0
		.amdhsa_round_robin_scheduling 0
		.amdhsa_exception_fp_ieee_invalid_op 0
		.amdhsa_exception_fp_denorm_src 0
		.amdhsa_exception_fp_ieee_div_zero 0
		.amdhsa_exception_fp_ieee_overflow 0
		.amdhsa_exception_fp_ieee_underflow 0
		.amdhsa_exception_fp_ieee_inexact 0
		.amdhsa_exception_int_div_zero 0
	.end_amdhsa_kernel
	.section	.text._ZN7rocprim17ROCPRIM_400000_NS6detail17trampoline_kernelINS0_14default_configENS1_27scan_by_key_config_selectorIssEEZZNS1_16scan_by_key_implILNS1_25lookback_scan_determinismE0ELb0ES3_N6thrust23THRUST_200600_302600_NS6detail15normal_iteratorINS9_10device_ptrIsEEEESE_SE_sNS9_10multipliesIsEENS9_8equal_toIsEEsEE10hipError_tPvRmT2_T3_T4_T5_mT6_T7_P12ihipStream_tbENKUlT_T0_E_clISt17integral_constantIbLb1EESY_IbLb0EEEEDaSU_SV_EUlSU_E_NS1_11comp_targetILNS1_3genE2ELNS1_11target_archE906ELNS1_3gpuE6ELNS1_3repE0EEENS1_30default_config_static_selectorELNS0_4arch9wavefront6targetE0EEEvT1_,"axG",@progbits,_ZN7rocprim17ROCPRIM_400000_NS6detail17trampoline_kernelINS0_14default_configENS1_27scan_by_key_config_selectorIssEEZZNS1_16scan_by_key_implILNS1_25lookback_scan_determinismE0ELb0ES3_N6thrust23THRUST_200600_302600_NS6detail15normal_iteratorINS9_10device_ptrIsEEEESE_SE_sNS9_10multipliesIsEENS9_8equal_toIsEEsEE10hipError_tPvRmT2_T3_T4_T5_mT6_T7_P12ihipStream_tbENKUlT_T0_E_clISt17integral_constantIbLb1EESY_IbLb0EEEEDaSU_SV_EUlSU_E_NS1_11comp_targetILNS1_3genE2ELNS1_11target_archE906ELNS1_3gpuE6ELNS1_3repE0EEENS1_30default_config_static_selectorELNS0_4arch9wavefront6targetE0EEEvT1_,comdat
.Lfunc_end304:
	.size	_ZN7rocprim17ROCPRIM_400000_NS6detail17trampoline_kernelINS0_14default_configENS1_27scan_by_key_config_selectorIssEEZZNS1_16scan_by_key_implILNS1_25lookback_scan_determinismE0ELb0ES3_N6thrust23THRUST_200600_302600_NS6detail15normal_iteratorINS9_10device_ptrIsEEEESE_SE_sNS9_10multipliesIsEENS9_8equal_toIsEEsEE10hipError_tPvRmT2_T3_T4_T5_mT6_T7_P12ihipStream_tbENKUlT_T0_E_clISt17integral_constantIbLb1EESY_IbLb0EEEEDaSU_SV_EUlSU_E_NS1_11comp_targetILNS1_3genE2ELNS1_11target_archE906ELNS1_3gpuE6ELNS1_3repE0EEENS1_30default_config_static_selectorELNS0_4arch9wavefront6targetE0EEEvT1_, .Lfunc_end304-_ZN7rocprim17ROCPRIM_400000_NS6detail17trampoline_kernelINS0_14default_configENS1_27scan_by_key_config_selectorIssEEZZNS1_16scan_by_key_implILNS1_25lookback_scan_determinismE0ELb0ES3_N6thrust23THRUST_200600_302600_NS6detail15normal_iteratorINS9_10device_ptrIsEEEESE_SE_sNS9_10multipliesIsEENS9_8equal_toIsEEsEE10hipError_tPvRmT2_T3_T4_T5_mT6_T7_P12ihipStream_tbENKUlT_T0_E_clISt17integral_constantIbLb1EESY_IbLb0EEEEDaSU_SV_EUlSU_E_NS1_11comp_targetILNS1_3genE2ELNS1_11target_archE906ELNS1_3gpuE6ELNS1_3repE0EEENS1_30default_config_static_selectorELNS0_4arch9wavefront6targetE0EEEvT1_
                                        ; -- End function
	.set _ZN7rocprim17ROCPRIM_400000_NS6detail17trampoline_kernelINS0_14default_configENS1_27scan_by_key_config_selectorIssEEZZNS1_16scan_by_key_implILNS1_25lookback_scan_determinismE0ELb0ES3_N6thrust23THRUST_200600_302600_NS6detail15normal_iteratorINS9_10device_ptrIsEEEESE_SE_sNS9_10multipliesIsEENS9_8equal_toIsEEsEE10hipError_tPvRmT2_T3_T4_T5_mT6_T7_P12ihipStream_tbENKUlT_T0_E_clISt17integral_constantIbLb1EESY_IbLb0EEEEDaSU_SV_EUlSU_E_NS1_11comp_targetILNS1_3genE2ELNS1_11target_archE906ELNS1_3gpuE6ELNS1_3repE0EEENS1_30default_config_static_selectorELNS0_4arch9wavefront6targetE0EEEvT1_.num_vgpr, 0
	.set _ZN7rocprim17ROCPRIM_400000_NS6detail17trampoline_kernelINS0_14default_configENS1_27scan_by_key_config_selectorIssEEZZNS1_16scan_by_key_implILNS1_25lookback_scan_determinismE0ELb0ES3_N6thrust23THRUST_200600_302600_NS6detail15normal_iteratorINS9_10device_ptrIsEEEESE_SE_sNS9_10multipliesIsEENS9_8equal_toIsEEsEE10hipError_tPvRmT2_T3_T4_T5_mT6_T7_P12ihipStream_tbENKUlT_T0_E_clISt17integral_constantIbLb1EESY_IbLb0EEEEDaSU_SV_EUlSU_E_NS1_11comp_targetILNS1_3genE2ELNS1_11target_archE906ELNS1_3gpuE6ELNS1_3repE0EEENS1_30default_config_static_selectorELNS0_4arch9wavefront6targetE0EEEvT1_.num_agpr, 0
	.set _ZN7rocprim17ROCPRIM_400000_NS6detail17trampoline_kernelINS0_14default_configENS1_27scan_by_key_config_selectorIssEEZZNS1_16scan_by_key_implILNS1_25lookback_scan_determinismE0ELb0ES3_N6thrust23THRUST_200600_302600_NS6detail15normal_iteratorINS9_10device_ptrIsEEEESE_SE_sNS9_10multipliesIsEENS9_8equal_toIsEEsEE10hipError_tPvRmT2_T3_T4_T5_mT6_T7_P12ihipStream_tbENKUlT_T0_E_clISt17integral_constantIbLb1EESY_IbLb0EEEEDaSU_SV_EUlSU_E_NS1_11comp_targetILNS1_3genE2ELNS1_11target_archE906ELNS1_3gpuE6ELNS1_3repE0EEENS1_30default_config_static_selectorELNS0_4arch9wavefront6targetE0EEEvT1_.numbered_sgpr, 0
	.set _ZN7rocprim17ROCPRIM_400000_NS6detail17trampoline_kernelINS0_14default_configENS1_27scan_by_key_config_selectorIssEEZZNS1_16scan_by_key_implILNS1_25lookback_scan_determinismE0ELb0ES3_N6thrust23THRUST_200600_302600_NS6detail15normal_iteratorINS9_10device_ptrIsEEEESE_SE_sNS9_10multipliesIsEENS9_8equal_toIsEEsEE10hipError_tPvRmT2_T3_T4_T5_mT6_T7_P12ihipStream_tbENKUlT_T0_E_clISt17integral_constantIbLb1EESY_IbLb0EEEEDaSU_SV_EUlSU_E_NS1_11comp_targetILNS1_3genE2ELNS1_11target_archE906ELNS1_3gpuE6ELNS1_3repE0EEENS1_30default_config_static_selectorELNS0_4arch9wavefront6targetE0EEEvT1_.num_named_barrier, 0
	.set _ZN7rocprim17ROCPRIM_400000_NS6detail17trampoline_kernelINS0_14default_configENS1_27scan_by_key_config_selectorIssEEZZNS1_16scan_by_key_implILNS1_25lookback_scan_determinismE0ELb0ES3_N6thrust23THRUST_200600_302600_NS6detail15normal_iteratorINS9_10device_ptrIsEEEESE_SE_sNS9_10multipliesIsEENS9_8equal_toIsEEsEE10hipError_tPvRmT2_T3_T4_T5_mT6_T7_P12ihipStream_tbENKUlT_T0_E_clISt17integral_constantIbLb1EESY_IbLb0EEEEDaSU_SV_EUlSU_E_NS1_11comp_targetILNS1_3genE2ELNS1_11target_archE906ELNS1_3gpuE6ELNS1_3repE0EEENS1_30default_config_static_selectorELNS0_4arch9wavefront6targetE0EEEvT1_.private_seg_size, 0
	.set _ZN7rocprim17ROCPRIM_400000_NS6detail17trampoline_kernelINS0_14default_configENS1_27scan_by_key_config_selectorIssEEZZNS1_16scan_by_key_implILNS1_25lookback_scan_determinismE0ELb0ES3_N6thrust23THRUST_200600_302600_NS6detail15normal_iteratorINS9_10device_ptrIsEEEESE_SE_sNS9_10multipliesIsEENS9_8equal_toIsEEsEE10hipError_tPvRmT2_T3_T4_T5_mT6_T7_P12ihipStream_tbENKUlT_T0_E_clISt17integral_constantIbLb1EESY_IbLb0EEEEDaSU_SV_EUlSU_E_NS1_11comp_targetILNS1_3genE2ELNS1_11target_archE906ELNS1_3gpuE6ELNS1_3repE0EEENS1_30default_config_static_selectorELNS0_4arch9wavefront6targetE0EEEvT1_.uses_vcc, 0
	.set _ZN7rocprim17ROCPRIM_400000_NS6detail17trampoline_kernelINS0_14default_configENS1_27scan_by_key_config_selectorIssEEZZNS1_16scan_by_key_implILNS1_25lookback_scan_determinismE0ELb0ES3_N6thrust23THRUST_200600_302600_NS6detail15normal_iteratorINS9_10device_ptrIsEEEESE_SE_sNS9_10multipliesIsEENS9_8equal_toIsEEsEE10hipError_tPvRmT2_T3_T4_T5_mT6_T7_P12ihipStream_tbENKUlT_T0_E_clISt17integral_constantIbLb1EESY_IbLb0EEEEDaSU_SV_EUlSU_E_NS1_11comp_targetILNS1_3genE2ELNS1_11target_archE906ELNS1_3gpuE6ELNS1_3repE0EEENS1_30default_config_static_selectorELNS0_4arch9wavefront6targetE0EEEvT1_.uses_flat_scratch, 0
	.set _ZN7rocprim17ROCPRIM_400000_NS6detail17trampoline_kernelINS0_14default_configENS1_27scan_by_key_config_selectorIssEEZZNS1_16scan_by_key_implILNS1_25lookback_scan_determinismE0ELb0ES3_N6thrust23THRUST_200600_302600_NS6detail15normal_iteratorINS9_10device_ptrIsEEEESE_SE_sNS9_10multipliesIsEENS9_8equal_toIsEEsEE10hipError_tPvRmT2_T3_T4_T5_mT6_T7_P12ihipStream_tbENKUlT_T0_E_clISt17integral_constantIbLb1EESY_IbLb0EEEEDaSU_SV_EUlSU_E_NS1_11comp_targetILNS1_3genE2ELNS1_11target_archE906ELNS1_3gpuE6ELNS1_3repE0EEENS1_30default_config_static_selectorELNS0_4arch9wavefront6targetE0EEEvT1_.has_dyn_sized_stack, 0
	.set _ZN7rocprim17ROCPRIM_400000_NS6detail17trampoline_kernelINS0_14default_configENS1_27scan_by_key_config_selectorIssEEZZNS1_16scan_by_key_implILNS1_25lookback_scan_determinismE0ELb0ES3_N6thrust23THRUST_200600_302600_NS6detail15normal_iteratorINS9_10device_ptrIsEEEESE_SE_sNS9_10multipliesIsEENS9_8equal_toIsEEsEE10hipError_tPvRmT2_T3_T4_T5_mT6_T7_P12ihipStream_tbENKUlT_T0_E_clISt17integral_constantIbLb1EESY_IbLb0EEEEDaSU_SV_EUlSU_E_NS1_11comp_targetILNS1_3genE2ELNS1_11target_archE906ELNS1_3gpuE6ELNS1_3repE0EEENS1_30default_config_static_selectorELNS0_4arch9wavefront6targetE0EEEvT1_.has_recursion, 0
	.set _ZN7rocprim17ROCPRIM_400000_NS6detail17trampoline_kernelINS0_14default_configENS1_27scan_by_key_config_selectorIssEEZZNS1_16scan_by_key_implILNS1_25lookback_scan_determinismE0ELb0ES3_N6thrust23THRUST_200600_302600_NS6detail15normal_iteratorINS9_10device_ptrIsEEEESE_SE_sNS9_10multipliesIsEENS9_8equal_toIsEEsEE10hipError_tPvRmT2_T3_T4_T5_mT6_T7_P12ihipStream_tbENKUlT_T0_E_clISt17integral_constantIbLb1EESY_IbLb0EEEEDaSU_SV_EUlSU_E_NS1_11comp_targetILNS1_3genE2ELNS1_11target_archE906ELNS1_3gpuE6ELNS1_3repE0EEENS1_30default_config_static_selectorELNS0_4arch9wavefront6targetE0EEEvT1_.has_indirect_call, 0
	.section	.AMDGPU.csdata,"",@progbits
; Kernel info:
; codeLenInByte = 0
; TotalNumSgprs: 0
; NumVgprs: 0
; ScratchSize: 0
; MemoryBound: 0
; FloatMode: 240
; IeeeMode: 1
; LDSByteSize: 0 bytes/workgroup (compile time only)
; SGPRBlocks: 0
; VGPRBlocks: 0
; NumSGPRsForWavesPerEU: 1
; NumVGPRsForWavesPerEU: 1
; NamedBarCnt: 0
; Occupancy: 16
; WaveLimiterHint : 0
; COMPUTE_PGM_RSRC2:SCRATCH_EN: 0
; COMPUTE_PGM_RSRC2:USER_SGPR: 2
; COMPUTE_PGM_RSRC2:TRAP_HANDLER: 0
; COMPUTE_PGM_RSRC2:TGID_X_EN: 1
; COMPUTE_PGM_RSRC2:TGID_Y_EN: 0
; COMPUTE_PGM_RSRC2:TGID_Z_EN: 0
; COMPUTE_PGM_RSRC2:TIDIG_COMP_CNT: 0
	.section	.text._ZN7rocprim17ROCPRIM_400000_NS6detail17trampoline_kernelINS0_14default_configENS1_27scan_by_key_config_selectorIssEEZZNS1_16scan_by_key_implILNS1_25lookback_scan_determinismE0ELb0ES3_N6thrust23THRUST_200600_302600_NS6detail15normal_iteratorINS9_10device_ptrIsEEEESE_SE_sNS9_10multipliesIsEENS9_8equal_toIsEEsEE10hipError_tPvRmT2_T3_T4_T5_mT6_T7_P12ihipStream_tbENKUlT_T0_E_clISt17integral_constantIbLb1EESY_IbLb0EEEEDaSU_SV_EUlSU_E_NS1_11comp_targetILNS1_3genE10ELNS1_11target_archE1200ELNS1_3gpuE4ELNS1_3repE0EEENS1_30default_config_static_selectorELNS0_4arch9wavefront6targetE0EEEvT1_,"axG",@progbits,_ZN7rocprim17ROCPRIM_400000_NS6detail17trampoline_kernelINS0_14default_configENS1_27scan_by_key_config_selectorIssEEZZNS1_16scan_by_key_implILNS1_25lookback_scan_determinismE0ELb0ES3_N6thrust23THRUST_200600_302600_NS6detail15normal_iteratorINS9_10device_ptrIsEEEESE_SE_sNS9_10multipliesIsEENS9_8equal_toIsEEsEE10hipError_tPvRmT2_T3_T4_T5_mT6_T7_P12ihipStream_tbENKUlT_T0_E_clISt17integral_constantIbLb1EESY_IbLb0EEEEDaSU_SV_EUlSU_E_NS1_11comp_targetILNS1_3genE10ELNS1_11target_archE1200ELNS1_3gpuE4ELNS1_3repE0EEENS1_30default_config_static_selectorELNS0_4arch9wavefront6targetE0EEEvT1_,comdat
	.protected	_ZN7rocprim17ROCPRIM_400000_NS6detail17trampoline_kernelINS0_14default_configENS1_27scan_by_key_config_selectorIssEEZZNS1_16scan_by_key_implILNS1_25lookback_scan_determinismE0ELb0ES3_N6thrust23THRUST_200600_302600_NS6detail15normal_iteratorINS9_10device_ptrIsEEEESE_SE_sNS9_10multipliesIsEENS9_8equal_toIsEEsEE10hipError_tPvRmT2_T3_T4_T5_mT6_T7_P12ihipStream_tbENKUlT_T0_E_clISt17integral_constantIbLb1EESY_IbLb0EEEEDaSU_SV_EUlSU_E_NS1_11comp_targetILNS1_3genE10ELNS1_11target_archE1200ELNS1_3gpuE4ELNS1_3repE0EEENS1_30default_config_static_selectorELNS0_4arch9wavefront6targetE0EEEvT1_ ; -- Begin function _ZN7rocprim17ROCPRIM_400000_NS6detail17trampoline_kernelINS0_14default_configENS1_27scan_by_key_config_selectorIssEEZZNS1_16scan_by_key_implILNS1_25lookback_scan_determinismE0ELb0ES3_N6thrust23THRUST_200600_302600_NS6detail15normal_iteratorINS9_10device_ptrIsEEEESE_SE_sNS9_10multipliesIsEENS9_8equal_toIsEEsEE10hipError_tPvRmT2_T3_T4_T5_mT6_T7_P12ihipStream_tbENKUlT_T0_E_clISt17integral_constantIbLb1EESY_IbLb0EEEEDaSU_SV_EUlSU_E_NS1_11comp_targetILNS1_3genE10ELNS1_11target_archE1200ELNS1_3gpuE4ELNS1_3repE0EEENS1_30default_config_static_selectorELNS0_4arch9wavefront6targetE0EEEvT1_
	.globl	_ZN7rocprim17ROCPRIM_400000_NS6detail17trampoline_kernelINS0_14default_configENS1_27scan_by_key_config_selectorIssEEZZNS1_16scan_by_key_implILNS1_25lookback_scan_determinismE0ELb0ES3_N6thrust23THRUST_200600_302600_NS6detail15normal_iteratorINS9_10device_ptrIsEEEESE_SE_sNS9_10multipliesIsEENS9_8equal_toIsEEsEE10hipError_tPvRmT2_T3_T4_T5_mT6_T7_P12ihipStream_tbENKUlT_T0_E_clISt17integral_constantIbLb1EESY_IbLb0EEEEDaSU_SV_EUlSU_E_NS1_11comp_targetILNS1_3genE10ELNS1_11target_archE1200ELNS1_3gpuE4ELNS1_3repE0EEENS1_30default_config_static_selectorELNS0_4arch9wavefront6targetE0EEEvT1_
	.p2align	8
	.type	_ZN7rocprim17ROCPRIM_400000_NS6detail17trampoline_kernelINS0_14default_configENS1_27scan_by_key_config_selectorIssEEZZNS1_16scan_by_key_implILNS1_25lookback_scan_determinismE0ELb0ES3_N6thrust23THRUST_200600_302600_NS6detail15normal_iteratorINS9_10device_ptrIsEEEESE_SE_sNS9_10multipliesIsEENS9_8equal_toIsEEsEE10hipError_tPvRmT2_T3_T4_T5_mT6_T7_P12ihipStream_tbENKUlT_T0_E_clISt17integral_constantIbLb1EESY_IbLb0EEEEDaSU_SV_EUlSU_E_NS1_11comp_targetILNS1_3genE10ELNS1_11target_archE1200ELNS1_3gpuE4ELNS1_3repE0EEENS1_30default_config_static_selectorELNS0_4arch9wavefront6targetE0EEEvT1_,@function
_ZN7rocprim17ROCPRIM_400000_NS6detail17trampoline_kernelINS0_14default_configENS1_27scan_by_key_config_selectorIssEEZZNS1_16scan_by_key_implILNS1_25lookback_scan_determinismE0ELb0ES3_N6thrust23THRUST_200600_302600_NS6detail15normal_iteratorINS9_10device_ptrIsEEEESE_SE_sNS9_10multipliesIsEENS9_8equal_toIsEEsEE10hipError_tPvRmT2_T3_T4_T5_mT6_T7_P12ihipStream_tbENKUlT_T0_E_clISt17integral_constantIbLb1EESY_IbLb0EEEEDaSU_SV_EUlSU_E_NS1_11comp_targetILNS1_3genE10ELNS1_11target_archE1200ELNS1_3gpuE4ELNS1_3repE0EEENS1_30default_config_static_selectorELNS0_4arch9wavefront6targetE0EEEvT1_: ; @_ZN7rocprim17ROCPRIM_400000_NS6detail17trampoline_kernelINS0_14default_configENS1_27scan_by_key_config_selectorIssEEZZNS1_16scan_by_key_implILNS1_25lookback_scan_determinismE0ELb0ES3_N6thrust23THRUST_200600_302600_NS6detail15normal_iteratorINS9_10device_ptrIsEEEESE_SE_sNS9_10multipliesIsEENS9_8equal_toIsEEsEE10hipError_tPvRmT2_T3_T4_T5_mT6_T7_P12ihipStream_tbENKUlT_T0_E_clISt17integral_constantIbLb1EESY_IbLb0EEEEDaSU_SV_EUlSU_E_NS1_11comp_targetILNS1_3genE10ELNS1_11target_archE1200ELNS1_3gpuE4ELNS1_3repE0EEENS1_30default_config_static_selectorELNS0_4arch9wavefront6targetE0EEEvT1_
; %bb.0:
	.section	.rodata,"a",@progbits
	.p2align	6, 0x0
	.amdhsa_kernel _ZN7rocprim17ROCPRIM_400000_NS6detail17trampoline_kernelINS0_14default_configENS1_27scan_by_key_config_selectorIssEEZZNS1_16scan_by_key_implILNS1_25lookback_scan_determinismE0ELb0ES3_N6thrust23THRUST_200600_302600_NS6detail15normal_iteratorINS9_10device_ptrIsEEEESE_SE_sNS9_10multipliesIsEENS9_8equal_toIsEEsEE10hipError_tPvRmT2_T3_T4_T5_mT6_T7_P12ihipStream_tbENKUlT_T0_E_clISt17integral_constantIbLb1EESY_IbLb0EEEEDaSU_SV_EUlSU_E_NS1_11comp_targetILNS1_3genE10ELNS1_11target_archE1200ELNS1_3gpuE4ELNS1_3repE0EEENS1_30default_config_static_selectorELNS0_4arch9wavefront6targetE0EEEvT1_
		.amdhsa_group_segment_fixed_size 0
		.amdhsa_private_segment_fixed_size 0
		.amdhsa_kernarg_size 112
		.amdhsa_user_sgpr_count 2
		.amdhsa_user_sgpr_dispatch_ptr 0
		.amdhsa_user_sgpr_queue_ptr 0
		.amdhsa_user_sgpr_kernarg_segment_ptr 1
		.amdhsa_user_sgpr_dispatch_id 0
		.amdhsa_user_sgpr_kernarg_preload_length 0
		.amdhsa_user_sgpr_kernarg_preload_offset 0
		.amdhsa_user_sgpr_private_segment_size 0
		.amdhsa_wavefront_size32 1
		.amdhsa_uses_dynamic_stack 0
		.amdhsa_enable_private_segment 0
		.amdhsa_system_sgpr_workgroup_id_x 1
		.amdhsa_system_sgpr_workgroup_id_y 0
		.amdhsa_system_sgpr_workgroup_id_z 0
		.amdhsa_system_sgpr_workgroup_info 0
		.amdhsa_system_vgpr_workitem_id 0
		.amdhsa_next_free_vgpr 1
		.amdhsa_next_free_sgpr 1
		.amdhsa_named_barrier_count 0
		.amdhsa_reserve_vcc 0
		.amdhsa_float_round_mode_32 0
		.amdhsa_float_round_mode_16_64 0
		.amdhsa_float_denorm_mode_32 3
		.amdhsa_float_denorm_mode_16_64 3
		.amdhsa_fp16_overflow 0
		.amdhsa_memory_ordered 1
		.amdhsa_forward_progress 1
		.amdhsa_inst_pref_size 0
		.amdhsa_round_robin_scheduling 0
		.amdhsa_exception_fp_ieee_invalid_op 0
		.amdhsa_exception_fp_denorm_src 0
		.amdhsa_exception_fp_ieee_div_zero 0
		.amdhsa_exception_fp_ieee_overflow 0
		.amdhsa_exception_fp_ieee_underflow 0
		.amdhsa_exception_fp_ieee_inexact 0
		.amdhsa_exception_int_div_zero 0
	.end_amdhsa_kernel
	.section	.text._ZN7rocprim17ROCPRIM_400000_NS6detail17trampoline_kernelINS0_14default_configENS1_27scan_by_key_config_selectorIssEEZZNS1_16scan_by_key_implILNS1_25lookback_scan_determinismE0ELb0ES3_N6thrust23THRUST_200600_302600_NS6detail15normal_iteratorINS9_10device_ptrIsEEEESE_SE_sNS9_10multipliesIsEENS9_8equal_toIsEEsEE10hipError_tPvRmT2_T3_T4_T5_mT6_T7_P12ihipStream_tbENKUlT_T0_E_clISt17integral_constantIbLb1EESY_IbLb0EEEEDaSU_SV_EUlSU_E_NS1_11comp_targetILNS1_3genE10ELNS1_11target_archE1200ELNS1_3gpuE4ELNS1_3repE0EEENS1_30default_config_static_selectorELNS0_4arch9wavefront6targetE0EEEvT1_,"axG",@progbits,_ZN7rocprim17ROCPRIM_400000_NS6detail17trampoline_kernelINS0_14default_configENS1_27scan_by_key_config_selectorIssEEZZNS1_16scan_by_key_implILNS1_25lookback_scan_determinismE0ELb0ES3_N6thrust23THRUST_200600_302600_NS6detail15normal_iteratorINS9_10device_ptrIsEEEESE_SE_sNS9_10multipliesIsEENS9_8equal_toIsEEsEE10hipError_tPvRmT2_T3_T4_T5_mT6_T7_P12ihipStream_tbENKUlT_T0_E_clISt17integral_constantIbLb1EESY_IbLb0EEEEDaSU_SV_EUlSU_E_NS1_11comp_targetILNS1_3genE10ELNS1_11target_archE1200ELNS1_3gpuE4ELNS1_3repE0EEENS1_30default_config_static_selectorELNS0_4arch9wavefront6targetE0EEEvT1_,comdat
.Lfunc_end305:
	.size	_ZN7rocprim17ROCPRIM_400000_NS6detail17trampoline_kernelINS0_14default_configENS1_27scan_by_key_config_selectorIssEEZZNS1_16scan_by_key_implILNS1_25lookback_scan_determinismE0ELb0ES3_N6thrust23THRUST_200600_302600_NS6detail15normal_iteratorINS9_10device_ptrIsEEEESE_SE_sNS9_10multipliesIsEENS9_8equal_toIsEEsEE10hipError_tPvRmT2_T3_T4_T5_mT6_T7_P12ihipStream_tbENKUlT_T0_E_clISt17integral_constantIbLb1EESY_IbLb0EEEEDaSU_SV_EUlSU_E_NS1_11comp_targetILNS1_3genE10ELNS1_11target_archE1200ELNS1_3gpuE4ELNS1_3repE0EEENS1_30default_config_static_selectorELNS0_4arch9wavefront6targetE0EEEvT1_, .Lfunc_end305-_ZN7rocprim17ROCPRIM_400000_NS6detail17trampoline_kernelINS0_14default_configENS1_27scan_by_key_config_selectorIssEEZZNS1_16scan_by_key_implILNS1_25lookback_scan_determinismE0ELb0ES3_N6thrust23THRUST_200600_302600_NS6detail15normal_iteratorINS9_10device_ptrIsEEEESE_SE_sNS9_10multipliesIsEENS9_8equal_toIsEEsEE10hipError_tPvRmT2_T3_T4_T5_mT6_T7_P12ihipStream_tbENKUlT_T0_E_clISt17integral_constantIbLb1EESY_IbLb0EEEEDaSU_SV_EUlSU_E_NS1_11comp_targetILNS1_3genE10ELNS1_11target_archE1200ELNS1_3gpuE4ELNS1_3repE0EEENS1_30default_config_static_selectorELNS0_4arch9wavefront6targetE0EEEvT1_
                                        ; -- End function
	.set _ZN7rocprim17ROCPRIM_400000_NS6detail17trampoline_kernelINS0_14default_configENS1_27scan_by_key_config_selectorIssEEZZNS1_16scan_by_key_implILNS1_25lookback_scan_determinismE0ELb0ES3_N6thrust23THRUST_200600_302600_NS6detail15normal_iteratorINS9_10device_ptrIsEEEESE_SE_sNS9_10multipliesIsEENS9_8equal_toIsEEsEE10hipError_tPvRmT2_T3_T4_T5_mT6_T7_P12ihipStream_tbENKUlT_T0_E_clISt17integral_constantIbLb1EESY_IbLb0EEEEDaSU_SV_EUlSU_E_NS1_11comp_targetILNS1_3genE10ELNS1_11target_archE1200ELNS1_3gpuE4ELNS1_3repE0EEENS1_30default_config_static_selectorELNS0_4arch9wavefront6targetE0EEEvT1_.num_vgpr, 0
	.set _ZN7rocprim17ROCPRIM_400000_NS6detail17trampoline_kernelINS0_14default_configENS1_27scan_by_key_config_selectorIssEEZZNS1_16scan_by_key_implILNS1_25lookback_scan_determinismE0ELb0ES3_N6thrust23THRUST_200600_302600_NS6detail15normal_iteratorINS9_10device_ptrIsEEEESE_SE_sNS9_10multipliesIsEENS9_8equal_toIsEEsEE10hipError_tPvRmT2_T3_T4_T5_mT6_T7_P12ihipStream_tbENKUlT_T0_E_clISt17integral_constantIbLb1EESY_IbLb0EEEEDaSU_SV_EUlSU_E_NS1_11comp_targetILNS1_3genE10ELNS1_11target_archE1200ELNS1_3gpuE4ELNS1_3repE0EEENS1_30default_config_static_selectorELNS0_4arch9wavefront6targetE0EEEvT1_.num_agpr, 0
	.set _ZN7rocprim17ROCPRIM_400000_NS6detail17trampoline_kernelINS0_14default_configENS1_27scan_by_key_config_selectorIssEEZZNS1_16scan_by_key_implILNS1_25lookback_scan_determinismE0ELb0ES3_N6thrust23THRUST_200600_302600_NS6detail15normal_iteratorINS9_10device_ptrIsEEEESE_SE_sNS9_10multipliesIsEENS9_8equal_toIsEEsEE10hipError_tPvRmT2_T3_T4_T5_mT6_T7_P12ihipStream_tbENKUlT_T0_E_clISt17integral_constantIbLb1EESY_IbLb0EEEEDaSU_SV_EUlSU_E_NS1_11comp_targetILNS1_3genE10ELNS1_11target_archE1200ELNS1_3gpuE4ELNS1_3repE0EEENS1_30default_config_static_selectorELNS0_4arch9wavefront6targetE0EEEvT1_.numbered_sgpr, 0
	.set _ZN7rocprim17ROCPRIM_400000_NS6detail17trampoline_kernelINS0_14default_configENS1_27scan_by_key_config_selectorIssEEZZNS1_16scan_by_key_implILNS1_25lookback_scan_determinismE0ELb0ES3_N6thrust23THRUST_200600_302600_NS6detail15normal_iteratorINS9_10device_ptrIsEEEESE_SE_sNS9_10multipliesIsEENS9_8equal_toIsEEsEE10hipError_tPvRmT2_T3_T4_T5_mT6_T7_P12ihipStream_tbENKUlT_T0_E_clISt17integral_constantIbLb1EESY_IbLb0EEEEDaSU_SV_EUlSU_E_NS1_11comp_targetILNS1_3genE10ELNS1_11target_archE1200ELNS1_3gpuE4ELNS1_3repE0EEENS1_30default_config_static_selectorELNS0_4arch9wavefront6targetE0EEEvT1_.num_named_barrier, 0
	.set _ZN7rocprim17ROCPRIM_400000_NS6detail17trampoline_kernelINS0_14default_configENS1_27scan_by_key_config_selectorIssEEZZNS1_16scan_by_key_implILNS1_25lookback_scan_determinismE0ELb0ES3_N6thrust23THRUST_200600_302600_NS6detail15normal_iteratorINS9_10device_ptrIsEEEESE_SE_sNS9_10multipliesIsEENS9_8equal_toIsEEsEE10hipError_tPvRmT2_T3_T4_T5_mT6_T7_P12ihipStream_tbENKUlT_T0_E_clISt17integral_constantIbLb1EESY_IbLb0EEEEDaSU_SV_EUlSU_E_NS1_11comp_targetILNS1_3genE10ELNS1_11target_archE1200ELNS1_3gpuE4ELNS1_3repE0EEENS1_30default_config_static_selectorELNS0_4arch9wavefront6targetE0EEEvT1_.private_seg_size, 0
	.set _ZN7rocprim17ROCPRIM_400000_NS6detail17trampoline_kernelINS0_14default_configENS1_27scan_by_key_config_selectorIssEEZZNS1_16scan_by_key_implILNS1_25lookback_scan_determinismE0ELb0ES3_N6thrust23THRUST_200600_302600_NS6detail15normal_iteratorINS9_10device_ptrIsEEEESE_SE_sNS9_10multipliesIsEENS9_8equal_toIsEEsEE10hipError_tPvRmT2_T3_T4_T5_mT6_T7_P12ihipStream_tbENKUlT_T0_E_clISt17integral_constantIbLb1EESY_IbLb0EEEEDaSU_SV_EUlSU_E_NS1_11comp_targetILNS1_3genE10ELNS1_11target_archE1200ELNS1_3gpuE4ELNS1_3repE0EEENS1_30default_config_static_selectorELNS0_4arch9wavefront6targetE0EEEvT1_.uses_vcc, 0
	.set _ZN7rocprim17ROCPRIM_400000_NS6detail17trampoline_kernelINS0_14default_configENS1_27scan_by_key_config_selectorIssEEZZNS1_16scan_by_key_implILNS1_25lookback_scan_determinismE0ELb0ES3_N6thrust23THRUST_200600_302600_NS6detail15normal_iteratorINS9_10device_ptrIsEEEESE_SE_sNS9_10multipliesIsEENS9_8equal_toIsEEsEE10hipError_tPvRmT2_T3_T4_T5_mT6_T7_P12ihipStream_tbENKUlT_T0_E_clISt17integral_constantIbLb1EESY_IbLb0EEEEDaSU_SV_EUlSU_E_NS1_11comp_targetILNS1_3genE10ELNS1_11target_archE1200ELNS1_3gpuE4ELNS1_3repE0EEENS1_30default_config_static_selectorELNS0_4arch9wavefront6targetE0EEEvT1_.uses_flat_scratch, 0
	.set _ZN7rocprim17ROCPRIM_400000_NS6detail17trampoline_kernelINS0_14default_configENS1_27scan_by_key_config_selectorIssEEZZNS1_16scan_by_key_implILNS1_25lookback_scan_determinismE0ELb0ES3_N6thrust23THRUST_200600_302600_NS6detail15normal_iteratorINS9_10device_ptrIsEEEESE_SE_sNS9_10multipliesIsEENS9_8equal_toIsEEsEE10hipError_tPvRmT2_T3_T4_T5_mT6_T7_P12ihipStream_tbENKUlT_T0_E_clISt17integral_constantIbLb1EESY_IbLb0EEEEDaSU_SV_EUlSU_E_NS1_11comp_targetILNS1_3genE10ELNS1_11target_archE1200ELNS1_3gpuE4ELNS1_3repE0EEENS1_30default_config_static_selectorELNS0_4arch9wavefront6targetE0EEEvT1_.has_dyn_sized_stack, 0
	.set _ZN7rocprim17ROCPRIM_400000_NS6detail17trampoline_kernelINS0_14default_configENS1_27scan_by_key_config_selectorIssEEZZNS1_16scan_by_key_implILNS1_25lookback_scan_determinismE0ELb0ES3_N6thrust23THRUST_200600_302600_NS6detail15normal_iteratorINS9_10device_ptrIsEEEESE_SE_sNS9_10multipliesIsEENS9_8equal_toIsEEsEE10hipError_tPvRmT2_T3_T4_T5_mT6_T7_P12ihipStream_tbENKUlT_T0_E_clISt17integral_constantIbLb1EESY_IbLb0EEEEDaSU_SV_EUlSU_E_NS1_11comp_targetILNS1_3genE10ELNS1_11target_archE1200ELNS1_3gpuE4ELNS1_3repE0EEENS1_30default_config_static_selectorELNS0_4arch9wavefront6targetE0EEEvT1_.has_recursion, 0
	.set _ZN7rocprim17ROCPRIM_400000_NS6detail17trampoline_kernelINS0_14default_configENS1_27scan_by_key_config_selectorIssEEZZNS1_16scan_by_key_implILNS1_25lookback_scan_determinismE0ELb0ES3_N6thrust23THRUST_200600_302600_NS6detail15normal_iteratorINS9_10device_ptrIsEEEESE_SE_sNS9_10multipliesIsEENS9_8equal_toIsEEsEE10hipError_tPvRmT2_T3_T4_T5_mT6_T7_P12ihipStream_tbENKUlT_T0_E_clISt17integral_constantIbLb1EESY_IbLb0EEEEDaSU_SV_EUlSU_E_NS1_11comp_targetILNS1_3genE10ELNS1_11target_archE1200ELNS1_3gpuE4ELNS1_3repE0EEENS1_30default_config_static_selectorELNS0_4arch9wavefront6targetE0EEEvT1_.has_indirect_call, 0
	.section	.AMDGPU.csdata,"",@progbits
; Kernel info:
; codeLenInByte = 0
; TotalNumSgprs: 0
; NumVgprs: 0
; ScratchSize: 0
; MemoryBound: 0
; FloatMode: 240
; IeeeMode: 1
; LDSByteSize: 0 bytes/workgroup (compile time only)
; SGPRBlocks: 0
; VGPRBlocks: 0
; NumSGPRsForWavesPerEU: 1
; NumVGPRsForWavesPerEU: 1
; NamedBarCnt: 0
; Occupancy: 16
; WaveLimiterHint : 0
; COMPUTE_PGM_RSRC2:SCRATCH_EN: 0
; COMPUTE_PGM_RSRC2:USER_SGPR: 2
; COMPUTE_PGM_RSRC2:TRAP_HANDLER: 0
; COMPUTE_PGM_RSRC2:TGID_X_EN: 1
; COMPUTE_PGM_RSRC2:TGID_Y_EN: 0
; COMPUTE_PGM_RSRC2:TGID_Z_EN: 0
; COMPUTE_PGM_RSRC2:TIDIG_COMP_CNT: 0
	.section	.text._ZN7rocprim17ROCPRIM_400000_NS6detail17trampoline_kernelINS0_14default_configENS1_27scan_by_key_config_selectorIssEEZZNS1_16scan_by_key_implILNS1_25lookback_scan_determinismE0ELb0ES3_N6thrust23THRUST_200600_302600_NS6detail15normal_iteratorINS9_10device_ptrIsEEEESE_SE_sNS9_10multipliesIsEENS9_8equal_toIsEEsEE10hipError_tPvRmT2_T3_T4_T5_mT6_T7_P12ihipStream_tbENKUlT_T0_E_clISt17integral_constantIbLb1EESY_IbLb0EEEEDaSU_SV_EUlSU_E_NS1_11comp_targetILNS1_3genE9ELNS1_11target_archE1100ELNS1_3gpuE3ELNS1_3repE0EEENS1_30default_config_static_selectorELNS0_4arch9wavefront6targetE0EEEvT1_,"axG",@progbits,_ZN7rocprim17ROCPRIM_400000_NS6detail17trampoline_kernelINS0_14default_configENS1_27scan_by_key_config_selectorIssEEZZNS1_16scan_by_key_implILNS1_25lookback_scan_determinismE0ELb0ES3_N6thrust23THRUST_200600_302600_NS6detail15normal_iteratorINS9_10device_ptrIsEEEESE_SE_sNS9_10multipliesIsEENS9_8equal_toIsEEsEE10hipError_tPvRmT2_T3_T4_T5_mT6_T7_P12ihipStream_tbENKUlT_T0_E_clISt17integral_constantIbLb1EESY_IbLb0EEEEDaSU_SV_EUlSU_E_NS1_11comp_targetILNS1_3genE9ELNS1_11target_archE1100ELNS1_3gpuE3ELNS1_3repE0EEENS1_30default_config_static_selectorELNS0_4arch9wavefront6targetE0EEEvT1_,comdat
	.protected	_ZN7rocprim17ROCPRIM_400000_NS6detail17trampoline_kernelINS0_14default_configENS1_27scan_by_key_config_selectorIssEEZZNS1_16scan_by_key_implILNS1_25lookback_scan_determinismE0ELb0ES3_N6thrust23THRUST_200600_302600_NS6detail15normal_iteratorINS9_10device_ptrIsEEEESE_SE_sNS9_10multipliesIsEENS9_8equal_toIsEEsEE10hipError_tPvRmT2_T3_T4_T5_mT6_T7_P12ihipStream_tbENKUlT_T0_E_clISt17integral_constantIbLb1EESY_IbLb0EEEEDaSU_SV_EUlSU_E_NS1_11comp_targetILNS1_3genE9ELNS1_11target_archE1100ELNS1_3gpuE3ELNS1_3repE0EEENS1_30default_config_static_selectorELNS0_4arch9wavefront6targetE0EEEvT1_ ; -- Begin function _ZN7rocprim17ROCPRIM_400000_NS6detail17trampoline_kernelINS0_14default_configENS1_27scan_by_key_config_selectorIssEEZZNS1_16scan_by_key_implILNS1_25lookback_scan_determinismE0ELb0ES3_N6thrust23THRUST_200600_302600_NS6detail15normal_iteratorINS9_10device_ptrIsEEEESE_SE_sNS9_10multipliesIsEENS9_8equal_toIsEEsEE10hipError_tPvRmT2_T3_T4_T5_mT6_T7_P12ihipStream_tbENKUlT_T0_E_clISt17integral_constantIbLb1EESY_IbLb0EEEEDaSU_SV_EUlSU_E_NS1_11comp_targetILNS1_3genE9ELNS1_11target_archE1100ELNS1_3gpuE3ELNS1_3repE0EEENS1_30default_config_static_selectorELNS0_4arch9wavefront6targetE0EEEvT1_
	.globl	_ZN7rocprim17ROCPRIM_400000_NS6detail17trampoline_kernelINS0_14default_configENS1_27scan_by_key_config_selectorIssEEZZNS1_16scan_by_key_implILNS1_25lookback_scan_determinismE0ELb0ES3_N6thrust23THRUST_200600_302600_NS6detail15normal_iteratorINS9_10device_ptrIsEEEESE_SE_sNS9_10multipliesIsEENS9_8equal_toIsEEsEE10hipError_tPvRmT2_T3_T4_T5_mT6_T7_P12ihipStream_tbENKUlT_T0_E_clISt17integral_constantIbLb1EESY_IbLb0EEEEDaSU_SV_EUlSU_E_NS1_11comp_targetILNS1_3genE9ELNS1_11target_archE1100ELNS1_3gpuE3ELNS1_3repE0EEENS1_30default_config_static_selectorELNS0_4arch9wavefront6targetE0EEEvT1_
	.p2align	8
	.type	_ZN7rocprim17ROCPRIM_400000_NS6detail17trampoline_kernelINS0_14default_configENS1_27scan_by_key_config_selectorIssEEZZNS1_16scan_by_key_implILNS1_25lookback_scan_determinismE0ELb0ES3_N6thrust23THRUST_200600_302600_NS6detail15normal_iteratorINS9_10device_ptrIsEEEESE_SE_sNS9_10multipliesIsEENS9_8equal_toIsEEsEE10hipError_tPvRmT2_T3_T4_T5_mT6_T7_P12ihipStream_tbENKUlT_T0_E_clISt17integral_constantIbLb1EESY_IbLb0EEEEDaSU_SV_EUlSU_E_NS1_11comp_targetILNS1_3genE9ELNS1_11target_archE1100ELNS1_3gpuE3ELNS1_3repE0EEENS1_30default_config_static_selectorELNS0_4arch9wavefront6targetE0EEEvT1_,@function
_ZN7rocprim17ROCPRIM_400000_NS6detail17trampoline_kernelINS0_14default_configENS1_27scan_by_key_config_selectorIssEEZZNS1_16scan_by_key_implILNS1_25lookback_scan_determinismE0ELb0ES3_N6thrust23THRUST_200600_302600_NS6detail15normal_iteratorINS9_10device_ptrIsEEEESE_SE_sNS9_10multipliesIsEENS9_8equal_toIsEEsEE10hipError_tPvRmT2_T3_T4_T5_mT6_T7_P12ihipStream_tbENKUlT_T0_E_clISt17integral_constantIbLb1EESY_IbLb0EEEEDaSU_SV_EUlSU_E_NS1_11comp_targetILNS1_3genE9ELNS1_11target_archE1100ELNS1_3gpuE3ELNS1_3repE0EEENS1_30default_config_static_selectorELNS0_4arch9wavefront6targetE0EEEvT1_: ; @_ZN7rocprim17ROCPRIM_400000_NS6detail17trampoline_kernelINS0_14default_configENS1_27scan_by_key_config_selectorIssEEZZNS1_16scan_by_key_implILNS1_25lookback_scan_determinismE0ELb0ES3_N6thrust23THRUST_200600_302600_NS6detail15normal_iteratorINS9_10device_ptrIsEEEESE_SE_sNS9_10multipliesIsEENS9_8equal_toIsEEsEE10hipError_tPvRmT2_T3_T4_T5_mT6_T7_P12ihipStream_tbENKUlT_T0_E_clISt17integral_constantIbLb1EESY_IbLb0EEEEDaSU_SV_EUlSU_E_NS1_11comp_targetILNS1_3genE9ELNS1_11target_archE1100ELNS1_3gpuE3ELNS1_3repE0EEENS1_30default_config_static_selectorELNS0_4arch9wavefront6targetE0EEEvT1_
; %bb.0:
	.section	.rodata,"a",@progbits
	.p2align	6, 0x0
	.amdhsa_kernel _ZN7rocprim17ROCPRIM_400000_NS6detail17trampoline_kernelINS0_14default_configENS1_27scan_by_key_config_selectorIssEEZZNS1_16scan_by_key_implILNS1_25lookback_scan_determinismE0ELb0ES3_N6thrust23THRUST_200600_302600_NS6detail15normal_iteratorINS9_10device_ptrIsEEEESE_SE_sNS9_10multipliesIsEENS9_8equal_toIsEEsEE10hipError_tPvRmT2_T3_T4_T5_mT6_T7_P12ihipStream_tbENKUlT_T0_E_clISt17integral_constantIbLb1EESY_IbLb0EEEEDaSU_SV_EUlSU_E_NS1_11comp_targetILNS1_3genE9ELNS1_11target_archE1100ELNS1_3gpuE3ELNS1_3repE0EEENS1_30default_config_static_selectorELNS0_4arch9wavefront6targetE0EEEvT1_
		.amdhsa_group_segment_fixed_size 0
		.amdhsa_private_segment_fixed_size 0
		.amdhsa_kernarg_size 112
		.amdhsa_user_sgpr_count 2
		.amdhsa_user_sgpr_dispatch_ptr 0
		.amdhsa_user_sgpr_queue_ptr 0
		.amdhsa_user_sgpr_kernarg_segment_ptr 1
		.amdhsa_user_sgpr_dispatch_id 0
		.amdhsa_user_sgpr_kernarg_preload_length 0
		.amdhsa_user_sgpr_kernarg_preload_offset 0
		.amdhsa_user_sgpr_private_segment_size 0
		.amdhsa_wavefront_size32 1
		.amdhsa_uses_dynamic_stack 0
		.amdhsa_enable_private_segment 0
		.amdhsa_system_sgpr_workgroup_id_x 1
		.amdhsa_system_sgpr_workgroup_id_y 0
		.amdhsa_system_sgpr_workgroup_id_z 0
		.amdhsa_system_sgpr_workgroup_info 0
		.amdhsa_system_vgpr_workitem_id 0
		.amdhsa_next_free_vgpr 1
		.amdhsa_next_free_sgpr 1
		.amdhsa_named_barrier_count 0
		.amdhsa_reserve_vcc 0
		.amdhsa_float_round_mode_32 0
		.amdhsa_float_round_mode_16_64 0
		.amdhsa_float_denorm_mode_32 3
		.amdhsa_float_denorm_mode_16_64 3
		.amdhsa_fp16_overflow 0
		.amdhsa_memory_ordered 1
		.amdhsa_forward_progress 1
		.amdhsa_inst_pref_size 0
		.amdhsa_round_robin_scheduling 0
		.amdhsa_exception_fp_ieee_invalid_op 0
		.amdhsa_exception_fp_denorm_src 0
		.amdhsa_exception_fp_ieee_div_zero 0
		.amdhsa_exception_fp_ieee_overflow 0
		.amdhsa_exception_fp_ieee_underflow 0
		.amdhsa_exception_fp_ieee_inexact 0
		.amdhsa_exception_int_div_zero 0
	.end_amdhsa_kernel
	.section	.text._ZN7rocprim17ROCPRIM_400000_NS6detail17trampoline_kernelINS0_14default_configENS1_27scan_by_key_config_selectorIssEEZZNS1_16scan_by_key_implILNS1_25lookback_scan_determinismE0ELb0ES3_N6thrust23THRUST_200600_302600_NS6detail15normal_iteratorINS9_10device_ptrIsEEEESE_SE_sNS9_10multipliesIsEENS9_8equal_toIsEEsEE10hipError_tPvRmT2_T3_T4_T5_mT6_T7_P12ihipStream_tbENKUlT_T0_E_clISt17integral_constantIbLb1EESY_IbLb0EEEEDaSU_SV_EUlSU_E_NS1_11comp_targetILNS1_3genE9ELNS1_11target_archE1100ELNS1_3gpuE3ELNS1_3repE0EEENS1_30default_config_static_selectorELNS0_4arch9wavefront6targetE0EEEvT1_,"axG",@progbits,_ZN7rocprim17ROCPRIM_400000_NS6detail17trampoline_kernelINS0_14default_configENS1_27scan_by_key_config_selectorIssEEZZNS1_16scan_by_key_implILNS1_25lookback_scan_determinismE0ELb0ES3_N6thrust23THRUST_200600_302600_NS6detail15normal_iteratorINS9_10device_ptrIsEEEESE_SE_sNS9_10multipliesIsEENS9_8equal_toIsEEsEE10hipError_tPvRmT2_T3_T4_T5_mT6_T7_P12ihipStream_tbENKUlT_T0_E_clISt17integral_constantIbLb1EESY_IbLb0EEEEDaSU_SV_EUlSU_E_NS1_11comp_targetILNS1_3genE9ELNS1_11target_archE1100ELNS1_3gpuE3ELNS1_3repE0EEENS1_30default_config_static_selectorELNS0_4arch9wavefront6targetE0EEEvT1_,comdat
.Lfunc_end306:
	.size	_ZN7rocprim17ROCPRIM_400000_NS6detail17trampoline_kernelINS0_14default_configENS1_27scan_by_key_config_selectorIssEEZZNS1_16scan_by_key_implILNS1_25lookback_scan_determinismE0ELb0ES3_N6thrust23THRUST_200600_302600_NS6detail15normal_iteratorINS9_10device_ptrIsEEEESE_SE_sNS9_10multipliesIsEENS9_8equal_toIsEEsEE10hipError_tPvRmT2_T3_T4_T5_mT6_T7_P12ihipStream_tbENKUlT_T0_E_clISt17integral_constantIbLb1EESY_IbLb0EEEEDaSU_SV_EUlSU_E_NS1_11comp_targetILNS1_3genE9ELNS1_11target_archE1100ELNS1_3gpuE3ELNS1_3repE0EEENS1_30default_config_static_selectorELNS0_4arch9wavefront6targetE0EEEvT1_, .Lfunc_end306-_ZN7rocprim17ROCPRIM_400000_NS6detail17trampoline_kernelINS0_14default_configENS1_27scan_by_key_config_selectorIssEEZZNS1_16scan_by_key_implILNS1_25lookback_scan_determinismE0ELb0ES3_N6thrust23THRUST_200600_302600_NS6detail15normal_iteratorINS9_10device_ptrIsEEEESE_SE_sNS9_10multipliesIsEENS9_8equal_toIsEEsEE10hipError_tPvRmT2_T3_T4_T5_mT6_T7_P12ihipStream_tbENKUlT_T0_E_clISt17integral_constantIbLb1EESY_IbLb0EEEEDaSU_SV_EUlSU_E_NS1_11comp_targetILNS1_3genE9ELNS1_11target_archE1100ELNS1_3gpuE3ELNS1_3repE0EEENS1_30default_config_static_selectorELNS0_4arch9wavefront6targetE0EEEvT1_
                                        ; -- End function
	.set _ZN7rocprim17ROCPRIM_400000_NS6detail17trampoline_kernelINS0_14default_configENS1_27scan_by_key_config_selectorIssEEZZNS1_16scan_by_key_implILNS1_25lookback_scan_determinismE0ELb0ES3_N6thrust23THRUST_200600_302600_NS6detail15normal_iteratorINS9_10device_ptrIsEEEESE_SE_sNS9_10multipliesIsEENS9_8equal_toIsEEsEE10hipError_tPvRmT2_T3_T4_T5_mT6_T7_P12ihipStream_tbENKUlT_T0_E_clISt17integral_constantIbLb1EESY_IbLb0EEEEDaSU_SV_EUlSU_E_NS1_11comp_targetILNS1_3genE9ELNS1_11target_archE1100ELNS1_3gpuE3ELNS1_3repE0EEENS1_30default_config_static_selectorELNS0_4arch9wavefront6targetE0EEEvT1_.num_vgpr, 0
	.set _ZN7rocprim17ROCPRIM_400000_NS6detail17trampoline_kernelINS0_14default_configENS1_27scan_by_key_config_selectorIssEEZZNS1_16scan_by_key_implILNS1_25lookback_scan_determinismE0ELb0ES3_N6thrust23THRUST_200600_302600_NS6detail15normal_iteratorINS9_10device_ptrIsEEEESE_SE_sNS9_10multipliesIsEENS9_8equal_toIsEEsEE10hipError_tPvRmT2_T3_T4_T5_mT6_T7_P12ihipStream_tbENKUlT_T0_E_clISt17integral_constantIbLb1EESY_IbLb0EEEEDaSU_SV_EUlSU_E_NS1_11comp_targetILNS1_3genE9ELNS1_11target_archE1100ELNS1_3gpuE3ELNS1_3repE0EEENS1_30default_config_static_selectorELNS0_4arch9wavefront6targetE0EEEvT1_.num_agpr, 0
	.set _ZN7rocprim17ROCPRIM_400000_NS6detail17trampoline_kernelINS0_14default_configENS1_27scan_by_key_config_selectorIssEEZZNS1_16scan_by_key_implILNS1_25lookback_scan_determinismE0ELb0ES3_N6thrust23THRUST_200600_302600_NS6detail15normal_iteratorINS9_10device_ptrIsEEEESE_SE_sNS9_10multipliesIsEENS9_8equal_toIsEEsEE10hipError_tPvRmT2_T3_T4_T5_mT6_T7_P12ihipStream_tbENKUlT_T0_E_clISt17integral_constantIbLb1EESY_IbLb0EEEEDaSU_SV_EUlSU_E_NS1_11comp_targetILNS1_3genE9ELNS1_11target_archE1100ELNS1_3gpuE3ELNS1_3repE0EEENS1_30default_config_static_selectorELNS0_4arch9wavefront6targetE0EEEvT1_.numbered_sgpr, 0
	.set _ZN7rocprim17ROCPRIM_400000_NS6detail17trampoline_kernelINS0_14default_configENS1_27scan_by_key_config_selectorIssEEZZNS1_16scan_by_key_implILNS1_25lookback_scan_determinismE0ELb0ES3_N6thrust23THRUST_200600_302600_NS6detail15normal_iteratorINS9_10device_ptrIsEEEESE_SE_sNS9_10multipliesIsEENS9_8equal_toIsEEsEE10hipError_tPvRmT2_T3_T4_T5_mT6_T7_P12ihipStream_tbENKUlT_T0_E_clISt17integral_constantIbLb1EESY_IbLb0EEEEDaSU_SV_EUlSU_E_NS1_11comp_targetILNS1_3genE9ELNS1_11target_archE1100ELNS1_3gpuE3ELNS1_3repE0EEENS1_30default_config_static_selectorELNS0_4arch9wavefront6targetE0EEEvT1_.num_named_barrier, 0
	.set _ZN7rocprim17ROCPRIM_400000_NS6detail17trampoline_kernelINS0_14default_configENS1_27scan_by_key_config_selectorIssEEZZNS1_16scan_by_key_implILNS1_25lookback_scan_determinismE0ELb0ES3_N6thrust23THRUST_200600_302600_NS6detail15normal_iteratorINS9_10device_ptrIsEEEESE_SE_sNS9_10multipliesIsEENS9_8equal_toIsEEsEE10hipError_tPvRmT2_T3_T4_T5_mT6_T7_P12ihipStream_tbENKUlT_T0_E_clISt17integral_constantIbLb1EESY_IbLb0EEEEDaSU_SV_EUlSU_E_NS1_11comp_targetILNS1_3genE9ELNS1_11target_archE1100ELNS1_3gpuE3ELNS1_3repE0EEENS1_30default_config_static_selectorELNS0_4arch9wavefront6targetE0EEEvT1_.private_seg_size, 0
	.set _ZN7rocprim17ROCPRIM_400000_NS6detail17trampoline_kernelINS0_14default_configENS1_27scan_by_key_config_selectorIssEEZZNS1_16scan_by_key_implILNS1_25lookback_scan_determinismE0ELb0ES3_N6thrust23THRUST_200600_302600_NS6detail15normal_iteratorINS9_10device_ptrIsEEEESE_SE_sNS9_10multipliesIsEENS9_8equal_toIsEEsEE10hipError_tPvRmT2_T3_T4_T5_mT6_T7_P12ihipStream_tbENKUlT_T0_E_clISt17integral_constantIbLb1EESY_IbLb0EEEEDaSU_SV_EUlSU_E_NS1_11comp_targetILNS1_3genE9ELNS1_11target_archE1100ELNS1_3gpuE3ELNS1_3repE0EEENS1_30default_config_static_selectorELNS0_4arch9wavefront6targetE0EEEvT1_.uses_vcc, 0
	.set _ZN7rocprim17ROCPRIM_400000_NS6detail17trampoline_kernelINS0_14default_configENS1_27scan_by_key_config_selectorIssEEZZNS1_16scan_by_key_implILNS1_25lookback_scan_determinismE0ELb0ES3_N6thrust23THRUST_200600_302600_NS6detail15normal_iteratorINS9_10device_ptrIsEEEESE_SE_sNS9_10multipliesIsEENS9_8equal_toIsEEsEE10hipError_tPvRmT2_T3_T4_T5_mT6_T7_P12ihipStream_tbENKUlT_T0_E_clISt17integral_constantIbLb1EESY_IbLb0EEEEDaSU_SV_EUlSU_E_NS1_11comp_targetILNS1_3genE9ELNS1_11target_archE1100ELNS1_3gpuE3ELNS1_3repE0EEENS1_30default_config_static_selectorELNS0_4arch9wavefront6targetE0EEEvT1_.uses_flat_scratch, 0
	.set _ZN7rocprim17ROCPRIM_400000_NS6detail17trampoline_kernelINS0_14default_configENS1_27scan_by_key_config_selectorIssEEZZNS1_16scan_by_key_implILNS1_25lookback_scan_determinismE0ELb0ES3_N6thrust23THRUST_200600_302600_NS6detail15normal_iteratorINS9_10device_ptrIsEEEESE_SE_sNS9_10multipliesIsEENS9_8equal_toIsEEsEE10hipError_tPvRmT2_T3_T4_T5_mT6_T7_P12ihipStream_tbENKUlT_T0_E_clISt17integral_constantIbLb1EESY_IbLb0EEEEDaSU_SV_EUlSU_E_NS1_11comp_targetILNS1_3genE9ELNS1_11target_archE1100ELNS1_3gpuE3ELNS1_3repE0EEENS1_30default_config_static_selectorELNS0_4arch9wavefront6targetE0EEEvT1_.has_dyn_sized_stack, 0
	.set _ZN7rocprim17ROCPRIM_400000_NS6detail17trampoline_kernelINS0_14default_configENS1_27scan_by_key_config_selectorIssEEZZNS1_16scan_by_key_implILNS1_25lookback_scan_determinismE0ELb0ES3_N6thrust23THRUST_200600_302600_NS6detail15normal_iteratorINS9_10device_ptrIsEEEESE_SE_sNS9_10multipliesIsEENS9_8equal_toIsEEsEE10hipError_tPvRmT2_T3_T4_T5_mT6_T7_P12ihipStream_tbENKUlT_T0_E_clISt17integral_constantIbLb1EESY_IbLb0EEEEDaSU_SV_EUlSU_E_NS1_11comp_targetILNS1_3genE9ELNS1_11target_archE1100ELNS1_3gpuE3ELNS1_3repE0EEENS1_30default_config_static_selectorELNS0_4arch9wavefront6targetE0EEEvT1_.has_recursion, 0
	.set _ZN7rocprim17ROCPRIM_400000_NS6detail17trampoline_kernelINS0_14default_configENS1_27scan_by_key_config_selectorIssEEZZNS1_16scan_by_key_implILNS1_25lookback_scan_determinismE0ELb0ES3_N6thrust23THRUST_200600_302600_NS6detail15normal_iteratorINS9_10device_ptrIsEEEESE_SE_sNS9_10multipliesIsEENS9_8equal_toIsEEsEE10hipError_tPvRmT2_T3_T4_T5_mT6_T7_P12ihipStream_tbENKUlT_T0_E_clISt17integral_constantIbLb1EESY_IbLb0EEEEDaSU_SV_EUlSU_E_NS1_11comp_targetILNS1_3genE9ELNS1_11target_archE1100ELNS1_3gpuE3ELNS1_3repE0EEENS1_30default_config_static_selectorELNS0_4arch9wavefront6targetE0EEEvT1_.has_indirect_call, 0
	.section	.AMDGPU.csdata,"",@progbits
; Kernel info:
; codeLenInByte = 0
; TotalNumSgprs: 0
; NumVgprs: 0
; ScratchSize: 0
; MemoryBound: 0
; FloatMode: 240
; IeeeMode: 1
; LDSByteSize: 0 bytes/workgroup (compile time only)
; SGPRBlocks: 0
; VGPRBlocks: 0
; NumSGPRsForWavesPerEU: 1
; NumVGPRsForWavesPerEU: 1
; NamedBarCnt: 0
; Occupancy: 16
; WaveLimiterHint : 0
; COMPUTE_PGM_RSRC2:SCRATCH_EN: 0
; COMPUTE_PGM_RSRC2:USER_SGPR: 2
; COMPUTE_PGM_RSRC2:TRAP_HANDLER: 0
; COMPUTE_PGM_RSRC2:TGID_X_EN: 1
; COMPUTE_PGM_RSRC2:TGID_Y_EN: 0
; COMPUTE_PGM_RSRC2:TGID_Z_EN: 0
; COMPUTE_PGM_RSRC2:TIDIG_COMP_CNT: 0
	.section	.text._ZN7rocprim17ROCPRIM_400000_NS6detail17trampoline_kernelINS0_14default_configENS1_27scan_by_key_config_selectorIssEEZZNS1_16scan_by_key_implILNS1_25lookback_scan_determinismE0ELb0ES3_N6thrust23THRUST_200600_302600_NS6detail15normal_iteratorINS9_10device_ptrIsEEEESE_SE_sNS9_10multipliesIsEENS9_8equal_toIsEEsEE10hipError_tPvRmT2_T3_T4_T5_mT6_T7_P12ihipStream_tbENKUlT_T0_E_clISt17integral_constantIbLb1EESY_IbLb0EEEEDaSU_SV_EUlSU_E_NS1_11comp_targetILNS1_3genE8ELNS1_11target_archE1030ELNS1_3gpuE2ELNS1_3repE0EEENS1_30default_config_static_selectorELNS0_4arch9wavefront6targetE0EEEvT1_,"axG",@progbits,_ZN7rocprim17ROCPRIM_400000_NS6detail17trampoline_kernelINS0_14default_configENS1_27scan_by_key_config_selectorIssEEZZNS1_16scan_by_key_implILNS1_25lookback_scan_determinismE0ELb0ES3_N6thrust23THRUST_200600_302600_NS6detail15normal_iteratorINS9_10device_ptrIsEEEESE_SE_sNS9_10multipliesIsEENS9_8equal_toIsEEsEE10hipError_tPvRmT2_T3_T4_T5_mT6_T7_P12ihipStream_tbENKUlT_T0_E_clISt17integral_constantIbLb1EESY_IbLb0EEEEDaSU_SV_EUlSU_E_NS1_11comp_targetILNS1_3genE8ELNS1_11target_archE1030ELNS1_3gpuE2ELNS1_3repE0EEENS1_30default_config_static_selectorELNS0_4arch9wavefront6targetE0EEEvT1_,comdat
	.protected	_ZN7rocprim17ROCPRIM_400000_NS6detail17trampoline_kernelINS0_14default_configENS1_27scan_by_key_config_selectorIssEEZZNS1_16scan_by_key_implILNS1_25lookback_scan_determinismE0ELb0ES3_N6thrust23THRUST_200600_302600_NS6detail15normal_iteratorINS9_10device_ptrIsEEEESE_SE_sNS9_10multipliesIsEENS9_8equal_toIsEEsEE10hipError_tPvRmT2_T3_T4_T5_mT6_T7_P12ihipStream_tbENKUlT_T0_E_clISt17integral_constantIbLb1EESY_IbLb0EEEEDaSU_SV_EUlSU_E_NS1_11comp_targetILNS1_3genE8ELNS1_11target_archE1030ELNS1_3gpuE2ELNS1_3repE0EEENS1_30default_config_static_selectorELNS0_4arch9wavefront6targetE0EEEvT1_ ; -- Begin function _ZN7rocprim17ROCPRIM_400000_NS6detail17trampoline_kernelINS0_14default_configENS1_27scan_by_key_config_selectorIssEEZZNS1_16scan_by_key_implILNS1_25lookback_scan_determinismE0ELb0ES3_N6thrust23THRUST_200600_302600_NS6detail15normal_iteratorINS9_10device_ptrIsEEEESE_SE_sNS9_10multipliesIsEENS9_8equal_toIsEEsEE10hipError_tPvRmT2_T3_T4_T5_mT6_T7_P12ihipStream_tbENKUlT_T0_E_clISt17integral_constantIbLb1EESY_IbLb0EEEEDaSU_SV_EUlSU_E_NS1_11comp_targetILNS1_3genE8ELNS1_11target_archE1030ELNS1_3gpuE2ELNS1_3repE0EEENS1_30default_config_static_selectorELNS0_4arch9wavefront6targetE0EEEvT1_
	.globl	_ZN7rocprim17ROCPRIM_400000_NS6detail17trampoline_kernelINS0_14default_configENS1_27scan_by_key_config_selectorIssEEZZNS1_16scan_by_key_implILNS1_25lookback_scan_determinismE0ELb0ES3_N6thrust23THRUST_200600_302600_NS6detail15normal_iteratorINS9_10device_ptrIsEEEESE_SE_sNS9_10multipliesIsEENS9_8equal_toIsEEsEE10hipError_tPvRmT2_T3_T4_T5_mT6_T7_P12ihipStream_tbENKUlT_T0_E_clISt17integral_constantIbLb1EESY_IbLb0EEEEDaSU_SV_EUlSU_E_NS1_11comp_targetILNS1_3genE8ELNS1_11target_archE1030ELNS1_3gpuE2ELNS1_3repE0EEENS1_30default_config_static_selectorELNS0_4arch9wavefront6targetE0EEEvT1_
	.p2align	8
	.type	_ZN7rocprim17ROCPRIM_400000_NS6detail17trampoline_kernelINS0_14default_configENS1_27scan_by_key_config_selectorIssEEZZNS1_16scan_by_key_implILNS1_25lookback_scan_determinismE0ELb0ES3_N6thrust23THRUST_200600_302600_NS6detail15normal_iteratorINS9_10device_ptrIsEEEESE_SE_sNS9_10multipliesIsEENS9_8equal_toIsEEsEE10hipError_tPvRmT2_T3_T4_T5_mT6_T7_P12ihipStream_tbENKUlT_T0_E_clISt17integral_constantIbLb1EESY_IbLb0EEEEDaSU_SV_EUlSU_E_NS1_11comp_targetILNS1_3genE8ELNS1_11target_archE1030ELNS1_3gpuE2ELNS1_3repE0EEENS1_30default_config_static_selectorELNS0_4arch9wavefront6targetE0EEEvT1_,@function
_ZN7rocprim17ROCPRIM_400000_NS6detail17trampoline_kernelINS0_14default_configENS1_27scan_by_key_config_selectorIssEEZZNS1_16scan_by_key_implILNS1_25lookback_scan_determinismE0ELb0ES3_N6thrust23THRUST_200600_302600_NS6detail15normal_iteratorINS9_10device_ptrIsEEEESE_SE_sNS9_10multipliesIsEENS9_8equal_toIsEEsEE10hipError_tPvRmT2_T3_T4_T5_mT6_T7_P12ihipStream_tbENKUlT_T0_E_clISt17integral_constantIbLb1EESY_IbLb0EEEEDaSU_SV_EUlSU_E_NS1_11comp_targetILNS1_3genE8ELNS1_11target_archE1030ELNS1_3gpuE2ELNS1_3repE0EEENS1_30default_config_static_selectorELNS0_4arch9wavefront6targetE0EEEvT1_: ; @_ZN7rocprim17ROCPRIM_400000_NS6detail17trampoline_kernelINS0_14default_configENS1_27scan_by_key_config_selectorIssEEZZNS1_16scan_by_key_implILNS1_25lookback_scan_determinismE0ELb0ES3_N6thrust23THRUST_200600_302600_NS6detail15normal_iteratorINS9_10device_ptrIsEEEESE_SE_sNS9_10multipliesIsEENS9_8equal_toIsEEsEE10hipError_tPvRmT2_T3_T4_T5_mT6_T7_P12ihipStream_tbENKUlT_T0_E_clISt17integral_constantIbLb1EESY_IbLb0EEEEDaSU_SV_EUlSU_E_NS1_11comp_targetILNS1_3genE8ELNS1_11target_archE1030ELNS1_3gpuE2ELNS1_3repE0EEENS1_30default_config_static_selectorELNS0_4arch9wavefront6targetE0EEEvT1_
; %bb.0:
	.section	.rodata,"a",@progbits
	.p2align	6, 0x0
	.amdhsa_kernel _ZN7rocprim17ROCPRIM_400000_NS6detail17trampoline_kernelINS0_14default_configENS1_27scan_by_key_config_selectorIssEEZZNS1_16scan_by_key_implILNS1_25lookback_scan_determinismE0ELb0ES3_N6thrust23THRUST_200600_302600_NS6detail15normal_iteratorINS9_10device_ptrIsEEEESE_SE_sNS9_10multipliesIsEENS9_8equal_toIsEEsEE10hipError_tPvRmT2_T3_T4_T5_mT6_T7_P12ihipStream_tbENKUlT_T0_E_clISt17integral_constantIbLb1EESY_IbLb0EEEEDaSU_SV_EUlSU_E_NS1_11comp_targetILNS1_3genE8ELNS1_11target_archE1030ELNS1_3gpuE2ELNS1_3repE0EEENS1_30default_config_static_selectorELNS0_4arch9wavefront6targetE0EEEvT1_
		.amdhsa_group_segment_fixed_size 0
		.amdhsa_private_segment_fixed_size 0
		.amdhsa_kernarg_size 112
		.amdhsa_user_sgpr_count 2
		.amdhsa_user_sgpr_dispatch_ptr 0
		.amdhsa_user_sgpr_queue_ptr 0
		.amdhsa_user_sgpr_kernarg_segment_ptr 1
		.amdhsa_user_sgpr_dispatch_id 0
		.amdhsa_user_sgpr_kernarg_preload_length 0
		.amdhsa_user_sgpr_kernarg_preload_offset 0
		.amdhsa_user_sgpr_private_segment_size 0
		.amdhsa_wavefront_size32 1
		.amdhsa_uses_dynamic_stack 0
		.amdhsa_enable_private_segment 0
		.amdhsa_system_sgpr_workgroup_id_x 1
		.amdhsa_system_sgpr_workgroup_id_y 0
		.amdhsa_system_sgpr_workgroup_id_z 0
		.amdhsa_system_sgpr_workgroup_info 0
		.amdhsa_system_vgpr_workitem_id 0
		.amdhsa_next_free_vgpr 1
		.amdhsa_next_free_sgpr 1
		.amdhsa_named_barrier_count 0
		.amdhsa_reserve_vcc 0
		.amdhsa_float_round_mode_32 0
		.amdhsa_float_round_mode_16_64 0
		.amdhsa_float_denorm_mode_32 3
		.amdhsa_float_denorm_mode_16_64 3
		.amdhsa_fp16_overflow 0
		.amdhsa_memory_ordered 1
		.amdhsa_forward_progress 1
		.amdhsa_inst_pref_size 0
		.amdhsa_round_robin_scheduling 0
		.amdhsa_exception_fp_ieee_invalid_op 0
		.amdhsa_exception_fp_denorm_src 0
		.amdhsa_exception_fp_ieee_div_zero 0
		.amdhsa_exception_fp_ieee_overflow 0
		.amdhsa_exception_fp_ieee_underflow 0
		.amdhsa_exception_fp_ieee_inexact 0
		.amdhsa_exception_int_div_zero 0
	.end_amdhsa_kernel
	.section	.text._ZN7rocprim17ROCPRIM_400000_NS6detail17trampoline_kernelINS0_14default_configENS1_27scan_by_key_config_selectorIssEEZZNS1_16scan_by_key_implILNS1_25lookback_scan_determinismE0ELb0ES3_N6thrust23THRUST_200600_302600_NS6detail15normal_iteratorINS9_10device_ptrIsEEEESE_SE_sNS9_10multipliesIsEENS9_8equal_toIsEEsEE10hipError_tPvRmT2_T3_T4_T5_mT6_T7_P12ihipStream_tbENKUlT_T0_E_clISt17integral_constantIbLb1EESY_IbLb0EEEEDaSU_SV_EUlSU_E_NS1_11comp_targetILNS1_3genE8ELNS1_11target_archE1030ELNS1_3gpuE2ELNS1_3repE0EEENS1_30default_config_static_selectorELNS0_4arch9wavefront6targetE0EEEvT1_,"axG",@progbits,_ZN7rocprim17ROCPRIM_400000_NS6detail17trampoline_kernelINS0_14default_configENS1_27scan_by_key_config_selectorIssEEZZNS1_16scan_by_key_implILNS1_25lookback_scan_determinismE0ELb0ES3_N6thrust23THRUST_200600_302600_NS6detail15normal_iteratorINS9_10device_ptrIsEEEESE_SE_sNS9_10multipliesIsEENS9_8equal_toIsEEsEE10hipError_tPvRmT2_T3_T4_T5_mT6_T7_P12ihipStream_tbENKUlT_T0_E_clISt17integral_constantIbLb1EESY_IbLb0EEEEDaSU_SV_EUlSU_E_NS1_11comp_targetILNS1_3genE8ELNS1_11target_archE1030ELNS1_3gpuE2ELNS1_3repE0EEENS1_30default_config_static_selectorELNS0_4arch9wavefront6targetE0EEEvT1_,comdat
.Lfunc_end307:
	.size	_ZN7rocprim17ROCPRIM_400000_NS6detail17trampoline_kernelINS0_14default_configENS1_27scan_by_key_config_selectorIssEEZZNS1_16scan_by_key_implILNS1_25lookback_scan_determinismE0ELb0ES3_N6thrust23THRUST_200600_302600_NS6detail15normal_iteratorINS9_10device_ptrIsEEEESE_SE_sNS9_10multipliesIsEENS9_8equal_toIsEEsEE10hipError_tPvRmT2_T3_T4_T5_mT6_T7_P12ihipStream_tbENKUlT_T0_E_clISt17integral_constantIbLb1EESY_IbLb0EEEEDaSU_SV_EUlSU_E_NS1_11comp_targetILNS1_3genE8ELNS1_11target_archE1030ELNS1_3gpuE2ELNS1_3repE0EEENS1_30default_config_static_selectorELNS0_4arch9wavefront6targetE0EEEvT1_, .Lfunc_end307-_ZN7rocprim17ROCPRIM_400000_NS6detail17trampoline_kernelINS0_14default_configENS1_27scan_by_key_config_selectorIssEEZZNS1_16scan_by_key_implILNS1_25lookback_scan_determinismE0ELb0ES3_N6thrust23THRUST_200600_302600_NS6detail15normal_iteratorINS9_10device_ptrIsEEEESE_SE_sNS9_10multipliesIsEENS9_8equal_toIsEEsEE10hipError_tPvRmT2_T3_T4_T5_mT6_T7_P12ihipStream_tbENKUlT_T0_E_clISt17integral_constantIbLb1EESY_IbLb0EEEEDaSU_SV_EUlSU_E_NS1_11comp_targetILNS1_3genE8ELNS1_11target_archE1030ELNS1_3gpuE2ELNS1_3repE0EEENS1_30default_config_static_selectorELNS0_4arch9wavefront6targetE0EEEvT1_
                                        ; -- End function
	.set _ZN7rocprim17ROCPRIM_400000_NS6detail17trampoline_kernelINS0_14default_configENS1_27scan_by_key_config_selectorIssEEZZNS1_16scan_by_key_implILNS1_25lookback_scan_determinismE0ELb0ES3_N6thrust23THRUST_200600_302600_NS6detail15normal_iteratorINS9_10device_ptrIsEEEESE_SE_sNS9_10multipliesIsEENS9_8equal_toIsEEsEE10hipError_tPvRmT2_T3_T4_T5_mT6_T7_P12ihipStream_tbENKUlT_T0_E_clISt17integral_constantIbLb1EESY_IbLb0EEEEDaSU_SV_EUlSU_E_NS1_11comp_targetILNS1_3genE8ELNS1_11target_archE1030ELNS1_3gpuE2ELNS1_3repE0EEENS1_30default_config_static_selectorELNS0_4arch9wavefront6targetE0EEEvT1_.num_vgpr, 0
	.set _ZN7rocprim17ROCPRIM_400000_NS6detail17trampoline_kernelINS0_14default_configENS1_27scan_by_key_config_selectorIssEEZZNS1_16scan_by_key_implILNS1_25lookback_scan_determinismE0ELb0ES3_N6thrust23THRUST_200600_302600_NS6detail15normal_iteratorINS9_10device_ptrIsEEEESE_SE_sNS9_10multipliesIsEENS9_8equal_toIsEEsEE10hipError_tPvRmT2_T3_T4_T5_mT6_T7_P12ihipStream_tbENKUlT_T0_E_clISt17integral_constantIbLb1EESY_IbLb0EEEEDaSU_SV_EUlSU_E_NS1_11comp_targetILNS1_3genE8ELNS1_11target_archE1030ELNS1_3gpuE2ELNS1_3repE0EEENS1_30default_config_static_selectorELNS0_4arch9wavefront6targetE0EEEvT1_.num_agpr, 0
	.set _ZN7rocprim17ROCPRIM_400000_NS6detail17trampoline_kernelINS0_14default_configENS1_27scan_by_key_config_selectorIssEEZZNS1_16scan_by_key_implILNS1_25lookback_scan_determinismE0ELb0ES3_N6thrust23THRUST_200600_302600_NS6detail15normal_iteratorINS9_10device_ptrIsEEEESE_SE_sNS9_10multipliesIsEENS9_8equal_toIsEEsEE10hipError_tPvRmT2_T3_T4_T5_mT6_T7_P12ihipStream_tbENKUlT_T0_E_clISt17integral_constantIbLb1EESY_IbLb0EEEEDaSU_SV_EUlSU_E_NS1_11comp_targetILNS1_3genE8ELNS1_11target_archE1030ELNS1_3gpuE2ELNS1_3repE0EEENS1_30default_config_static_selectorELNS0_4arch9wavefront6targetE0EEEvT1_.numbered_sgpr, 0
	.set _ZN7rocprim17ROCPRIM_400000_NS6detail17trampoline_kernelINS0_14default_configENS1_27scan_by_key_config_selectorIssEEZZNS1_16scan_by_key_implILNS1_25lookback_scan_determinismE0ELb0ES3_N6thrust23THRUST_200600_302600_NS6detail15normal_iteratorINS9_10device_ptrIsEEEESE_SE_sNS9_10multipliesIsEENS9_8equal_toIsEEsEE10hipError_tPvRmT2_T3_T4_T5_mT6_T7_P12ihipStream_tbENKUlT_T0_E_clISt17integral_constantIbLb1EESY_IbLb0EEEEDaSU_SV_EUlSU_E_NS1_11comp_targetILNS1_3genE8ELNS1_11target_archE1030ELNS1_3gpuE2ELNS1_3repE0EEENS1_30default_config_static_selectorELNS0_4arch9wavefront6targetE0EEEvT1_.num_named_barrier, 0
	.set _ZN7rocprim17ROCPRIM_400000_NS6detail17trampoline_kernelINS0_14default_configENS1_27scan_by_key_config_selectorIssEEZZNS1_16scan_by_key_implILNS1_25lookback_scan_determinismE0ELb0ES3_N6thrust23THRUST_200600_302600_NS6detail15normal_iteratorINS9_10device_ptrIsEEEESE_SE_sNS9_10multipliesIsEENS9_8equal_toIsEEsEE10hipError_tPvRmT2_T3_T4_T5_mT6_T7_P12ihipStream_tbENKUlT_T0_E_clISt17integral_constantIbLb1EESY_IbLb0EEEEDaSU_SV_EUlSU_E_NS1_11comp_targetILNS1_3genE8ELNS1_11target_archE1030ELNS1_3gpuE2ELNS1_3repE0EEENS1_30default_config_static_selectorELNS0_4arch9wavefront6targetE0EEEvT1_.private_seg_size, 0
	.set _ZN7rocprim17ROCPRIM_400000_NS6detail17trampoline_kernelINS0_14default_configENS1_27scan_by_key_config_selectorIssEEZZNS1_16scan_by_key_implILNS1_25lookback_scan_determinismE0ELb0ES3_N6thrust23THRUST_200600_302600_NS6detail15normal_iteratorINS9_10device_ptrIsEEEESE_SE_sNS9_10multipliesIsEENS9_8equal_toIsEEsEE10hipError_tPvRmT2_T3_T4_T5_mT6_T7_P12ihipStream_tbENKUlT_T0_E_clISt17integral_constantIbLb1EESY_IbLb0EEEEDaSU_SV_EUlSU_E_NS1_11comp_targetILNS1_3genE8ELNS1_11target_archE1030ELNS1_3gpuE2ELNS1_3repE0EEENS1_30default_config_static_selectorELNS0_4arch9wavefront6targetE0EEEvT1_.uses_vcc, 0
	.set _ZN7rocprim17ROCPRIM_400000_NS6detail17trampoline_kernelINS0_14default_configENS1_27scan_by_key_config_selectorIssEEZZNS1_16scan_by_key_implILNS1_25lookback_scan_determinismE0ELb0ES3_N6thrust23THRUST_200600_302600_NS6detail15normal_iteratorINS9_10device_ptrIsEEEESE_SE_sNS9_10multipliesIsEENS9_8equal_toIsEEsEE10hipError_tPvRmT2_T3_T4_T5_mT6_T7_P12ihipStream_tbENKUlT_T0_E_clISt17integral_constantIbLb1EESY_IbLb0EEEEDaSU_SV_EUlSU_E_NS1_11comp_targetILNS1_3genE8ELNS1_11target_archE1030ELNS1_3gpuE2ELNS1_3repE0EEENS1_30default_config_static_selectorELNS0_4arch9wavefront6targetE0EEEvT1_.uses_flat_scratch, 0
	.set _ZN7rocprim17ROCPRIM_400000_NS6detail17trampoline_kernelINS0_14default_configENS1_27scan_by_key_config_selectorIssEEZZNS1_16scan_by_key_implILNS1_25lookback_scan_determinismE0ELb0ES3_N6thrust23THRUST_200600_302600_NS6detail15normal_iteratorINS9_10device_ptrIsEEEESE_SE_sNS9_10multipliesIsEENS9_8equal_toIsEEsEE10hipError_tPvRmT2_T3_T4_T5_mT6_T7_P12ihipStream_tbENKUlT_T0_E_clISt17integral_constantIbLb1EESY_IbLb0EEEEDaSU_SV_EUlSU_E_NS1_11comp_targetILNS1_3genE8ELNS1_11target_archE1030ELNS1_3gpuE2ELNS1_3repE0EEENS1_30default_config_static_selectorELNS0_4arch9wavefront6targetE0EEEvT1_.has_dyn_sized_stack, 0
	.set _ZN7rocprim17ROCPRIM_400000_NS6detail17trampoline_kernelINS0_14default_configENS1_27scan_by_key_config_selectorIssEEZZNS1_16scan_by_key_implILNS1_25lookback_scan_determinismE0ELb0ES3_N6thrust23THRUST_200600_302600_NS6detail15normal_iteratorINS9_10device_ptrIsEEEESE_SE_sNS9_10multipliesIsEENS9_8equal_toIsEEsEE10hipError_tPvRmT2_T3_T4_T5_mT6_T7_P12ihipStream_tbENKUlT_T0_E_clISt17integral_constantIbLb1EESY_IbLb0EEEEDaSU_SV_EUlSU_E_NS1_11comp_targetILNS1_3genE8ELNS1_11target_archE1030ELNS1_3gpuE2ELNS1_3repE0EEENS1_30default_config_static_selectorELNS0_4arch9wavefront6targetE0EEEvT1_.has_recursion, 0
	.set _ZN7rocprim17ROCPRIM_400000_NS6detail17trampoline_kernelINS0_14default_configENS1_27scan_by_key_config_selectorIssEEZZNS1_16scan_by_key_implILNS1_25lookback_scan_determinismE0ELb0ES3_N6thrust23THRUST_200600_302600_NS6detail15normal_iteratorINS9_10device_ptrIsEEEESE_SE_sNS9_10multipliesIsEENS9_8equal_toIsEEsEE10hipError_tPvRmT2_T3_T4_T5_mT6_T7_P12ihipStream_tbENKUlT_T0_E_clISt17integral_constantIbLb1EESY_IbLb0EEEEDaSU_SV_EUlSU_E_NS1_11comp_targetILNS1_3genE8ELNS1_11target_archE1030ELNS1_3gpuE2ELNS1_3repE0EEENS1_30default_config_static_selectorELNS0_4arch9wavefront6targetE0EEEvT1_.has_indirect_call, 0
	.section	.AMDGPU.csdata,"",@progbits
; Kernel info:
; codeLenInByte = 0
; TotalNumSgprs: 0
; NumVgprs: 0
; ScratchSize: 0
; MemoryBound: 0
; FloatMode: 240
; IeeeMode: 1
; LDSByteSize: 0 bytes/workgroup (compile time only)
; SGPRBlocks: 0
; VGPRBlocks: 0
; NumSGPRsForWavesPerEU: 1
; NumVGPRsForWavesPerEU: 1
; NamedBarCnt: 0
; Occupancy: 16
; WaveLimiterHint : 0
; COMPUTE_PGM_RSRC2:SCRATCH_EN: 0
; COMPUTE_PGM_RSRC2:USER_SGPR: 2
; COMPUTE_PGM_RSRC2:TRAP_HANDLER: 0
; COMPUTE_PGM_RSRC2:TGID_X_EN: 1
; COMPUTE_PGM_RSRC2:TGID_Y_EN: 0
; COMPUTE_PGM_RSRC2:TGID_Z_EN: 0
; COMPUTE_PGM_RSRC2:TIDIG_COMP_CNT: 0
	.section	.text._ZN7rocprim17ROCPRIM_400000_NS6detail17trampoline_kernelINS0_14default_configENS1_27scan_by_key_config_selectorIssEEZZNS1_16scan_by_key_implILNS1_25lookback_scan_determinismE0ELb0ES3_N6thrust23THRUST_200600_302600_NS6detail15normal_iteratorINS9_10device_ptrIsEEEESE_SE_sNS9_10multipliesIsEENS9_8equal_toIsEEsEE10hipError_tPvRmT2_T3_T4_T5_mT6_T7_P12ihipStream_tbENKUlT_T0_E_clISt17integral_constantIbLb0EESY_IbLb1EEEEDaSU_SV_EUlSU_E_NS1_11comp_targetILNS1_3genE0ELNS1_11target_archE4294967295ELNS1_3gpuE0ELNS1_3repE0EEENS1_30default_config_static_selectorELNS0_4arch9wavefront6targetE0EEEvT1_,"axG",@progbits,_ZN7rocprim17ROCPRIM_400000_NS6detail17trampoline_kernelINS0_14default_configENS1_27scan_by_key_config_selectorIssEEZZNS1_16scan_by_key_implILNS1_25lookback_scan_determinismE0ELb0ES3_N6thrust23THRUST_200600_302600_NS6detail15normal_iteratorINS9_10device_ptrIsEEEESE_SE_sNS9_10multipliesIsEENS9_8equal_toIsEEsEE10hipError_tPvRmT2_T3_T4_T5_mT6_T7_P12ihipStream_tbENKUlT_T0_E_clISt17integral_constantIbLb0EESY_IbLb1EEEEDaSU_SV_EUlSU_E_NS1_11comp_targetILNS1_3genE0ELNS1_11target_archE4294967295ELNS1_3gpuE0ELNS1_3repE0EEENS1_30default_config_static_selectorELNS0_4arch9wavefront6targetE0EEEvT1_,comdat
	.protected	_ZN7rocprim17ROCPRIM_400000_NS6detail17trampoline_kernelINS0_14default_configENS1_27scan_by_key_config_selectorIssEEZZNS1_16scan_by_key_implILNS1_25lookback_scan_determinismE0ELb0ES3_N6thrust23THRUST_200600_302600_NS6detail15normal_iteratorINS9_10device_ptrIsEEEESE_SE_sNS9_10multipliesIsEENS9_8equal_toIsEEsEE10hipError_tPvRmT2_T3_T4_T5_mT6_T7_P12ihipStream_tbENKUlT_T0_E_clISt17integral_constantIbLb0EESY_IbLb1EEEEDaSU_SV_EUlSU_E_NS1_11comp_targetILNS1_3genE0ELNS1_11target_archE4294967295ELNS1_3gpuE0ELNS1_3repE0EEENS1_30default_config_static_selectorELNS0_4arch9wavefront6targetE0EEEvT1_ ; -- Begin function _ZN7rocprim17ROCPRIM_400000_NS6detail17trampoline_kernelINS0_14default_configENS1_27scan_by_key_config_selectorIssEEZZNS1_16scan_by_key_implILNS1_25lookback_scan_determinismE0ELb0ES3_N6thrust23THRUST_200600_302600_NS6detail15normal_iteratorINS9_10device_ptrIsEEEESE_SE_sNS9_10multipliesIsEENS9_8equal_toIsEEsEE10hipError_tPvRmT2_T3_T4_T5_mT6_T7_P12ihipStream_tbENKUlT_T0_E_clISt17integral_constantIbLb0EESY_IbLb1EEEEDaSU_SV_EUlSU_E_NS1_11comp_targetILNS1_3genE0ELNS1_11target_archE4294967295ELNS1_3gpuE0ELNS1_3repE0EEENS1_30default_config_static_selectorELNS0_4arch9wavefront6targetE0EEEvT1_
	.globl	_ZN7rocprim17ROCPRIM_400000_NS6detail17trampoline_kernelINS0_14default_configENS1_27scan_by_key_config_selectorIssEEZZNS1_16scan_by_key_implILNS1_25lookback_scan_determinismE0ELb0ES3_N6thrust23THRUST_200600_302600_NS6detail15normal_iteratorINS9_10device_ptrIsEEEESE_SE_sNS9_10multipliesIsEENS9_8equal_toIsEEsEE10hipError_tPvRmT2_T3_T4_T5_mT6_T7_P12ihipStream_tbENKUlT_T0_E_clISt17integral_constantIbLb0EESY_IbLb1EEEEDaSU_SV_EUlSU_E_NS1_11comp_targetILNS1_3genE0ELNS1_11target_archE4294967295ELNS1_3gpuE0ELNS1_3repE0EEENS1_30default_config_static_selectorELNS0_4arch9wavefront6targetE0EEEvT1_
	.p2align	8
	.type	_ZN7rocprim17ROCPRIM_400000_NS6detail17trampoline_kernelINS0_14default_configENS1_27scan_by_key_config_selectorIssEEZZNS1_16scan_by_key_implILNS1_25lookback_scan_determinismE0ELb0ES3_N6thrust23THRUST_200600_302600_NS6detail15normal_iteratorINS9_10device_ptrIsEEEESE_SE_sNS9_10multipliesIsEENS9_8equal_toIsEEsEE10hipError_tPvRmT2_T3_T4_T5_mT6_T7_P12ihipStream_tbENKUlT_T0_E_clISt17integral_constantIbLb0EESY_IbLb1EEEEDaSU_SV_EUlSU_E_NS1_11comp_targetILNS1_3genE0ELNS1_11target_archE4294967295ELNS1_3gpuE0ELNS1_3repE0EEENS1_30default_config_static_selectorELNS0_4arch9wavefront6targetE0EEEvT1_,@function
_ZN7rocprim17ROCPRIM_400000_NS6detail17trampoline_kernelINS0_14default_configENS1_27scan_by_key_config_selectorIssEEZZNS1_16scan_by_key_implILNS1_25lookback_scan_determinismE0ELb0ES3_N6thrust23THRUST_200600_302600_NS6detail15normal_iteratorINS9_10device_ptrIsEEEESE_SE_sNS9_10multipliesIsEENS9_8equal_toIsEEsEE10hipError_tPvRmT2_T3_T4_T5_mT6_T7_P12ihipStream_tbENKUlT_T0_E_clISt17integral_constantIbLb0EESY_IbLb1EEEEDaSU_SV_EUlSU_E_NS1_11comp_targetILNS1_3genE0ELNS1_11target_archE4294967295ELNS1_3gpuE0ELNS1_3repE0EEENS1_30default_config_static_selectorELNS0_4arch9wavefront6targetE0EEEvT1_: ; @_ZN7rocprim17ROCPRIM_400000_NS6detail17trampoline_kernelINS0_14default_configENS1_27scan_by_key_config_selectorIssEEZZNS1_16scan_by_key_implILNS1_25lookback_scan_determinismE0ELb0ES3_N6thrust23THRUST_200600_302600_NS6detail15normal_iteratorINS9_10device_ptrIsEEEESE_SE_sNS9_10multipliesIsEENS9_8equal_toIsEEsEE10hipError_tPvRmT2_T3_T4_T5_mT6_T7_P12ihipStream_tbENKUlT_T0_E_clISt17integral_constantIbLb0EESY_IbLb1EEEEDaSU_SV_EUlSU_E_NS1_11comp_targetILNS1_3genE0ELNS1_11target_archE4294967295ELNS1_3gpuE0ELNS1_3repE0EEENS1_30default_config_static_selectorELNS0_4arch9wavefront6targetE0EEEvT1_
; %bb.0:
	s_clause 0x1
	s_load_b128 s[36:39], s[0:1], 0x28
	s_load_b64 s[40:41], s[0:1], 0x38
	v_cmp_ne_u32_e64 s3, 0, v0
	v_cmp_eq_u32_e64 s2, 0, v0
	s_and_saveexec_b32 s4, s2
	s_cbranch_execz .LBB308_4
; %bb.1:
	s_mov_b32 s6, exec_lo
	s_mov_b32 s5, exec_lo
	v_mbcnt_lo_u32_b32 v1, s6, 0
                                        ; implicit-def: $vgpr2
	s_delay_alu instid0(VALU_DEP_1)
	v_cmpx_eq_u32_e32 0, v1
	s_cbranch_execz .LBB308_3
; %bb.2:
	s_load_b64 s[8:9], s[0:1], 0x68
	s_bcnt1_i32_b32 s6, s6
	s_delay_alu instid0(SALU_CYCLE_1)
	v_dual_mov_b32 v2, 0 :: v_dual_mov_b32 v3, s6
	s_wait_xcnt 0x0
	s_wait_kmcnt 0x0
	global_atomic_add_u32 v2, v2, v3, s[8:9] th:TH_ATOMIC_RETURN scope:SCOPE_DEV
.LBB308_3:
	s_wait_xcnt 0x0
	s_or_b32 exec_lo, exec_lo, s5
	s_wait_loadcnt 0x0
	v_readfirstlane_b32 s5, v2
	s_delay_alu instid0(VALU_DEP_1)
	v_dual_mov_b32 v2, 0 :: v_dual_add_nc_u32 v1, s5, v1
	ds_store_b32 v2, v1
.LBB308_4:
	s_or_b32 exec_lo, exec_lo, s4
	v_mov_b32_e32 v2, 0
	s_clause 0x2
	s_load_b256 s[16:23], s[0:1], 0x0
	s_load_b32 s4, s[0:1], 0x40
	s_load_b256 s[24:31], s[0:1], 0x48
	s_wait_dscnt 0x0
	s_barrier_signal -1
	s_barrier_wait -1
	ds_load_b32 v1, v2
	s_mov_b32 s5, 0
	s_wait_dscnt 0x0
	s_mov_b32 s11, s5
	s_barrier_signal -1
	s_barrier_wait -1
	s_barrier_signal -1
	s_barrier_wait -1
	s_wait_kmcnt 0x0
	s_lshl_b64 s[34:35], s[18:19], 1
	s_mul_u64 s[8:9], s[40:41], s[4:5]
	s_cmp_lg_u64 s[28:29], 0
	s_add_nc_u64 s[0:1], s[16:17], s[34:35]
	s_add_nc_u64 s[6:7], s[20:21], s[34:35]
	s_cselect_b32 s48, -1, 0
	v_readfirstlane_b32 s4, v1
	s_add_nc_u64 s[44:45], s[8:9], s[4:5]
	s_add_nc_u64 s[8:9], s[24:25], -1
	s_mul_i32 s10, s4, 0x1400
	v_cmp_ge_u64_e64 s33, s[44:45], s[8:9]
	s_lshl_b64 s[24:25], s[10:11], 1
	s_mul_i32 s39, s8, 0xffffec00
	s_add_nc_u64 s[42:43], s[0:1], s[24:25]
	s_add_nc_u64 s[28:29], s[6:7], s[24:25]
	s_and_b32 vcc_lo, exec_lo, s33
	s_cbranch_vccz .LBB308_48
; %bb.5:
	flat_load_u16 v3, v2, s[42:43]
	s_add_co_i32 s49, s39, s38
	s_delay_alu instid0(SALU_CYCLE_1)
	v_cmp_gt_u32_e64 s0, s49, v0
	s_wait_loadcnt_dscnt 0x0
	v_mov_b32_e32 v4, v3
	s_and_saveexec_b32 s1, s0
	s_cbranch_execz .LBB308_7
; %bb.6:
	flat_load_u16 v4, v0, s[42:43] scale_offset
.LBB308_7:
	s_wait_xcnt 0x0
	s_or_b32 exec_lo, exec_lo, s1
	v_or_b32_e32 v2, 0x100, v0
	v_mov_b32_e32 v5, v3
	s_delay_alu instid0(VALU_DEP_2)
	v_cmp_gt_u32_e64 s1, s49, v2
	s_and_saveexec_b32 s4, s1
	s_cbranch_execz .LBB308_9
; %bb.8:
	flat_load_u16 v5, v0, s[42:43] offset:512 scale_offset
.LBB308_9:
	s_wait_xcnt 0x0
	s_or_b32 exec_lo, exec_lo, s4
	v_or_b32_e32 v2, 0x200, v0
	v_mov_b32_e32 v6, v3
	s_delay_alu instid0(VALU_DEP_2)
	v_cmp_gt_u32_e64 s4, s49, v2
	s_and_saveexec_b32 s5, s4
	s_cbranch_execz .LBB308_11
; %bb.10:
	flat_load_u16 v6, v0, s[42:43] offset:1024 scale_offset
.LBB308_11:
	;; [unrolled: 11-line block ×18, first 2 shown]
	s_wait_xcnt 0x0
	s_or_b32 exec_lo, exec_lo, s21
	v_or_b32_e32 v2, 0x1300, v0
	s_mov_b32 s46, exec_lo
	s_delay_alu instid0(VALU_DEP_1) | instskip(SKIP_2) | instid1(SALU_CYCLE_1)
	v_cmp_gt_u32_e64 s21, s49, v2
	v_cmpx_le_u32_e64 s49, v2
	s_xor_b32 s46, exec_lo, s46
	s_and_not1_saveexec_b32 s46, s46
	s_cbranch_execz .LBB308_45
; %bb.44:
	flat_load_u16 v3, v0, s[42:43] offset:9728 scale_offset
.LBB308_45:
	s_wait_xcnt 0x0
	s_or_b32 exec_lo, exec_lo, s46
	v_lshlrev_b32_e32 v2, 1, v0
	s_cmp_eq_u64 s[44:45], 0
	s_mov_b64 s[46:47], s[42:43]
	s_wait_loadcnt_dscnt 0x0
	ds_store_b16 v2, v4
	ds_store_b16 v2, v5 offset:512
	ds_store_b16 v2, v6 offset:1024
	;; [unrolled: 1-line block ×19, first 2 shown]
	v_mad_u32_u24 v48, v0, 38, v2
	s_wait_dscnt 0x0
	s_barrier_signal -1
	s_barrier_wait -1
	ds_load_2addr_b64 v[10:13], v48 offset1:1
	ds_load_2addr_b64 v[6:9], v48 offset0:2 offset1:3
	ds_load_b64 v[14:15], v48 offset:32
	s_cbranch_scc1 .LBB308_51
; %bb.46:
	s_and_not1_b32 vcc_lo, exec_lo, s48
	s_cbranch_vccnz .LBB308_49
; %bb.47:
	s_lshl_b64 s[46:47], s[44:45], 1
	s_mov_b32 s50, 0
	s_add_nc_u64 s[46:47], s[30:31], s[46:47]
	s_delay_alu instid0(SALU_CYCLE_1)
	s_add_nc_u64 s[46:47], s[46:47], -2
	s_branch .LBB308_50
.LBB308_48:
                                        ; implicit-def: $sgpr4
                                        ; implicit-def: $vgpr42
                                        ; implicit-def: $vgpr31
                                        ; implicit-def: $vgpr2
                                        ; implicit-def: $vgpr44
                                        ; implicit-def: $vgpr54
                                        ; implicit-def: $vgpr50
                                        ; implicit-def: $vgpr52
                                        ; implicit-def: $vgpr49
                                        ; implicit-def: $vgpr47
                                        ; implicit-def: $vgpr46
                                        ; implicit-def: $vgpr45
                                        ; implicit-def: $vgpr43
                                        ; implicit-def: $vgpr41
                                        ; implicit-def: $vgpr40
                                        ; implicit-def: $vgpr39
                                        ; implicit-def: $vgpr38
                                        ; implicit-def: $vgpr37
                                        ; implicit-def: $vgpr35
                                        ; implicit-def: $vgpr36
                                        ; implicit-def: $vgpr34
                                        ; implicit-def: $vgpr33
                                        ; implicit-def: $vgpr32
                                        ; implicit-def: $vgpr30
                                        ; implicit-def: $vgpr29
                                        ; implicit-def: $vgpr28
                                        ; implicit-def: $vgpr27
                                        ; implicit-def: $vgpr26
                                        ; implicit-def: $vgpr25
                                        ; implicit-def: $vgpr24
                                        ; implicit-def: $vgpr23
                                        ; implicit-def: $vgpr22
                                        ; implicit-def: $vgpr21
                                        ; implicit-def: $vgpr20
                                        ; implicit-def: $vgpr19
                                        ; implicit-def: $vgpr18
                                        ; implicit-def: $vgpr17
                                        ; implicit-def: $vgpr16
	v_lshlrev_b32_e32 v10, 1, v0
	s_cbranch_execnz .LBB308_113
	s_branch .LBB308_140
.LBB308_49:
	s_add_nc_u64 s[46:47], s[42:43], -2
	s_mov_b32 s50, -1
.LBB308_50:
	s_delay_alu instid0(SALU_CYCLE_1)
	s_and_not1_b32 vcc_lo, exec_lo, s50
.LBB308_51:
	s_wait_dscnt 0x0
	v_dual_mov_b32 v3, 0 :: v_dual_lshrrev_b32 v51, 16, v15
	v_mad_i32_i24 v4, 0xffffffda, v0, v48
	flat_load_u16 v3, v3, s[46:47]
	ds_store_b16 v4, v51 offset:10240
	s_wait_loadcnt_dscnt 0x0
	s_barrier_signal -1
	s_barrier_wait -1
	s_and_saveexec_b32 s46, s3
; %bb.52:
	v_mul_i32_i24_e32 v3, 0xffffffda, v0
	s_delay_alu instid0(VALU_DEP_1)
	v_add_nc_u32_e32 v3, v48, v3
	ds_load_u16 v3, v3 offset:10238
; %bb.53:
	s_or_b32 exec_lo, exec_lo, s46
	s_wait_dscnt 0x0
	s_barrier_signal -1
	s_barrier_wait -1
                                        ; implicit-def: $vgpr4
	s_and_saveexec_b32 s46, s0
	s_cbranch_execnz .LBB308_116
; %bb.54:
	s_or_b32 exec_lo, exec_lo, s46
                                        ; implicit-def: $vgpr5
	s_and_saveexec_b32 s0, s1
	s_cbranch_execnz .LBB308_117
.LBB308_55:
	s_or_b32 exec_lo, exec_lo, s0
                                        ; implicit-def: $vgpr16
	s_and_saveexec_b32 s0, s4
	s_cbranch_execnz .LBB308_118
.LBB308_56:
	s_or_b32 exec_lo, exec_lo, s0
                                        ; implicit-def: $vgpr17
	s_and_saveexec_b32 s0, s5
	s_cbranch_execnz .LBB308_119
.LBB308_57:
	s_or_b32 exec_lo, exec_lo, s0
                                        ; implicit-def: $vgpr18
	s_and_saveexec_b32 s0, s6
	s_cbranch_execnz .LBB308_120
.LBB308_58:
	s_or_b32 exec_lo, exec_lo, s0
                                        ; implicit-def: $vgpr19
	s_and_saveexec_b32 s0, s7
	s_cbranch_execnz .LBB308_121
.LBB308_59:
	s_or_b32 exec_lo, exec_lo, s0
                                        ; implicit-def: $vgpr20
	s_and_saveexec_b32 s0, s8
	s_cbranch_execnz .LBB308_122
.LBB308_60:
	s_or_b32 exec_lo, exec_lo, s0
                                        ; implicit-def: $vgpr21
	s_and_saveexec_b32 s0, s9
	s_cbranch_execnz .LBB308_123
.LBB308_61:
	s_or_b32 exec_lo, exec_lo, s0
                                        ; implicit-def: $vgpr22
	s_and_saveexec_b32 s0, s10
	s_cbranch_execnz .LBB308_124
.LBB308_62:
	s_or_b32 exec_lo, exec_lo, s0
                                        ; implicit-def: $vgpr23
	s_and_saveexec_b32 s0, s11
	s_cbranch_execnz .LBB308_125
.LBB308_63:
	s_or_b32 exec_lo, exec_lo, s0
                                        ; implicit-def: $vgpr24
	s_and_saveexec_b32 s0, s12
	s_cbranch_execnz .LBB308_126
.LBB308_64:
	s_or_b32 exec_lo, exec_lo, s0
                                        ; implicit-def: $vgpr25
	s_and_saveexec_b32 s0, s13
	s_cbranch_execnz .LBB308_127
.LBB308_65:
	s_or_b32 exec_lo, exec_lo, s0
                                        ; implicit-def: $vgpr26
	s_and_saveexec_b32 s0, s14
	s_cbranch_execnz .LBB308_128
.LBB308_66:
	s_or_b32 exec_lo, exec_lo, s0
                                        ; implicit-def: $vgpr27
	s_and_saveexec_b32 s0, s15
	s_cbranch_execnz .LBB308_129
.LBB308_67:
	s_or_b32 exec_lo, exec_lo, s0
                                        ; implicit-def: $vgpr28
	s_and_saveexec_b32 s0, s16
	s_cbranch_execnz .LBB308_130
.LBB308_68:
	s_or_b32 exec_lo, exec_lo, s0
                                        ; implicit-def: $vgpr29
	s_and_saveexec_b32 s0, s17
	s_cbranch_execnz .LBB308_131
.LBB308_69:
	s_or_b32 exec_lo, exec_lo, s0
                                        ; implicit-def: $vgpr30
	s_and_saveexec_b32 s0, s18
	s_cbranch_execnz .LBB308_132
.LBB308_70:
	s_or_b32 exec_lo, exec_lo, s0
                                        ; implicit-def: $vgpr31
	s_and_saveexec_b32 s0, s19
	s_cbranch_execnz .LBB308_133
.LBB308_71:
	s_or_b32 exec_lo, exec_lo, s0
                                        ; implicit-def: $vgpr32
	s_and_saveexec_b32 s0, s20
	s_cbranch_execnz .LBB308_134
.LBB308_72:
	s_or_b32 exec_lo, exec_lo, s0
                                        ; implicit-def: $vgpr33
	s_and_saveexec_b32 s0, s21
	s_cbranch_execz .LBB308_74
.LBB308_73:
	flat_load_u16 v33, v0, s[28:29] offset:9728 scale_offset
.LBB308_74:
	s_wait_xcnt 0x0
	s_or_b32 exec_lo, exec_lo, s0
	v_mul_u32_u24_e32 v53, 20, v0
	s_wait_loadcnt_dscnt 0x0
	ds_store_b16 v2, v4
	ds_store_b16 v2, v5 offset:512
	ds_store_b16 v2, v16 offset:1024
	;; [unrolled: 1-line block ×19, first 2 shown]
	v_dual_mov_b32 v31, 0 :: v_dual_mov_b32 v2, 0
	v_dual_mov_b32 v44, 0 :: v_dual_mov_b32 v54, 0
	v_cmp_gt_u32_e32 vcc_lo, s49, v53
	v_dual_mov_b32 v50, 0 :: v_dual_mov_b32 v52, 0
	v_dual_mov_b32 v49, 0 :: v_dual_mov_b32 v47, 0
	;; [unrolled: 1-line block ×16, first 2 shown]
	s_mov_b32 s0, 0
	s_mov_b32 s5, 0
	s_wait_dscnt 0x0
	s_barrier_signal -1
	s_barrier_wait -1
                                        ; implicit-def: $sgpr4
                                        ; implicit-def: $vgpr42
	s_and_saveexec_b32 s1, vcc_lo
	s_cbranch_execz .LBB308_112
; %bb.75:
	ds_load_u16 v31, v48
	v_dual_mov_b32 v2, 0 :: v_dual_bitop2_b32 v4, 1, v53 bitop3:0x54
	v_cmp_eq_u16_e32 vcc_lo, v3, v10
	v_dual_mov_b32 v44, 0 :: v_dual_mov_b32 v54, 0
	v_dual_mov_b32 v50, 0 :: v_dual_mov_b32 v52, 0
	v_cndmask_b32_e64 v34, 0x10000, 0, vcc_lo
	v_cmp_gt_u32_e32 vcc_lo, s49, v4
	v_dual_mov_b32 v49, 0 :: v_dual_mov_b32 v47, 0
	v_dual_mov_b32 v46, 0 :: v_dual_mov_b32 v45, 0
	;; [unrolled: 1-line block ×14, first 2 shown]
	v_mov_b32_e32 v16, 0
	s_mov_b32 s6, 0
                                        ; implicit-def: $sgpr4
                                        ; implicit-def: $vgpr42
	s_and_saveexec_b32 s5, vcc_lo
	s_cbranch_execz .LBB308_111
; %bb.76:
	ds_load_b128 v[2:5], v48 offset:2
	v_dual_lshrrev_b32 v55, 16, v10 :: v_dual_bitop2_b32 v16, 2, v53 bitop3:0x54
	v_dual_mov_b32 v44, 0 :: v_dual_mov_b32 v54, 0
	v_dual_mov_b32 v50, 0 :: v_dual_mov_b32 v52, 0
	s_delay_alu instid0(VALU_DEP_3)
	v_cmp_eq_u16_e32 vcc_lo, v10, v55
	v_dual_mov_b32 v49, 0 :: v_dual_mov_b32 v47, 0
	v_dual_mov_b32 v46, 0 :: v_dual_mov_b32 v45, 0
	v_cndmask_b32_e64 v33, 0x10000, 0, vcc_lo
	v_cmp_gt_u32_e32 vcc_lo, s49, v16
	v_dual_mov_b32 v43, 0 :: v_dual_mov_b32 v41, 0
	v_dual_mov_b32 v40, 0 :: v_dual_mov_b32 v39, 0
	;; [unrolled: 1-line block ×12, first 2 shown]
	s_mov_b32 s7, 0
                                        ; implicit-def: $sgpr4
                                        ; implicit-def: $vgpr42
	s_and_saveexec_b32 s6, vcc_lo
	s_cbranch_execz .LBB308_110
; %bb.77:
	s_wait_dscnt 0x0
	v_dual_lshrrev_b32 v32, 16, v2 :: v_dual_bitop2_b32 v10, 3, v53 bitop3:0x54
	v_cmp_eq_u16_e32 vcc_lo, v55, v11
	v_dual_mov_b32 v54, 0 :: v_dual_mov_b32 v50, 0
	v_dual_mov_b32 v52, 0 :: v_dual_mov_b32 v49, 0
	v_cndmask_b32_e64 v44, 0x10000, 0, vcc_lo
	v_cmp_gt_u32_e32 vcc_lo, s49, v10
	v_dual_mov_b32 v47, 0 :: v_dual_mov_b32 v46, 0
	v_dual_mov_b32 v45, 0 :: v_dual_mov_b32 v43, 0
	;; [unrolled: 1-line block ×13, first 2 shown]
	s_mov_b32 s8, 0
                                        ; implicit-def: $sgpr4
                                        ; implicit-def: $vgpr42
	s_and_saveexec_b32 s7, vcc_lo
	s_cbranch_execz .LBB308_109
; %bb.78:
	v_dual_lshrrev_b32 v10, 16, v11 :: v_dual_add_nc_u32 v16, 4, v53
	v_dual_mov_b32 v50, 0 :: v_dual_mov_b32 v52, 0
	v_dual_mov_b32 v49, 0 :: v_dual_mov_b32 v47, 0
	s_delay_alu instid0(VALU_DEP_3)
	v_cmp_eq_u16_e32 vcc_lo, v11, v10
	v_dual_mov_b32 v46, 0 :: v_dual_mov_b32 v45, 0
	v_dual_mov_b32 v43, 0 :: v_dual_mov_b32 v41, 0
	v_cndmask_b32_e64 v30, 0x10000, 0, vcc_lo
	v_cmp_gt_u32_e32 vcc_lo, s49, v16
	v_dual_mov_b32 v40, 0 :: v_dual_mov_b32 v39, 0
	v_dual_mov_b32 v38, 0 :: v_dual_mov_b32 v37, 0
	;; [unrolled: 1-line block ×10, first 2 shown]
	s_mov_b32 s9, 0
                                        ; implicit-def: $sgpr4
                                        ; implicit-def: $vgpr42
	s_and_saveexec_b32 s8, vcc_lo
	s_cbranch_execz .LBB308_108
; %bb.79:
	v_dual_add_nc_u32 v11, 5, v53 :: v_dual_lshrrev_b32 v29, 16, v3
	v_cmp_eq_u16_e32 vcc_lo, v10, v12
	v_dual_mov_b32 v52, 0 :: v_dual_mov_b32 v49, 0
	v_dual_mov_b32 v47, 0 :: v_dual_mov_b32 v46, 0
	v_cndmask_b32_e64 v50, 0x10000, 0, vcc_lo
	v_cmp_gt_u32_e32 vcc_lo, s49, v11
	v_dual_mov_b32 v45, 0 :: v_dual_mov_b32 v43, 0
	v_dual_mov_b32 v41, 0 :: v_dual_mov_b32 v40, 0
	;; [unrolled: 1-line block ×11, first 2 shown]
	s_mov_b32 s10, 0
                                        ; implicit-def: $sgpr4
                                        ; implicit-def: $vgpr42
	s_and_saveexec_b32 s9, vcc_lo
	s_cbranch_execz .LBB308_107
; %bb.80:
	v_dual_lshrrev_b32 v10, 16, v12 :: v_dual_add_nc_u32 v11, 6, v53
	v_dual_mov_b32 v49, 0 :: v_dual_mov_b32 v47, 0
	v_dual_mov_b32 v46, 0 :: v_dual_mov_b32 v45, 0
	s_delay_alu instid0(VALU_DEP_3)
	v_cmp_eq_u16_e32 vcc_lo, v12, v10
	v_dual_mov_b32 v43, 0 :: v_dual_mov_b32 v41, 0
	v_dual_mov_b32 v40, 0 :: v_dual_mov_b32 v39, 0
	v_cndmask_b32_e64 v28, 0x10000, 0, vcc_lo
	v_cmp_gt_u32_e32 vcc_lo, s49, v11
	v_dual_mov_b32 v38, 0 :: v_dual_mov_b32 v37, 0
	v_dual_mov_b32 v35, 0 :: v_dual_mov_b32 v36, 0
	v_dual_mov_b32 v27, 0 :: v_dual_mov_b32 v26, 0
	v_dual_mov_b32 v25, 0 :: v_dual_mov_b32 v24, 0
	v_dual_mov_b32 v23, 0 :: v_dual_mov_b32 v22, 0
	v_dual_mov_b32 v21, 0 :: v_dual_mov_b32 v20, 0
	v_dual_mov_b32 v19, 0 :: v_dual_mov_b32 v18, 0
	v_dual_mov_b32 v17, 0 :: v_dual_mov_b32 v16, 0
	s_mov_b32 s11, 0
                                        ; implicit-def: $sgpr4
                                        ; implicit-def: $vgpr42
	s_and_saveexec_b32 s10, vcc_lo
	s_cbranch_execz .LBB308_106
; %bb.81:
	v_dual_add_nc_u32 v11, 7, v53 :: v_dual_lshrrev_b32 v27, 16, v4
	v_cmp_eq_u16_e32 vcc_lo, v10, v13
	v_dual_mov_b32 v47, 0 :: v_dual_mov_b32 v46, 0
	v_dual_mov_b32 v45, 0 :: v_dual_mov_b32 v43, 0
	v_cndmask_b32_e64 v49, 0x10000, 0, vcc_lo
	v_cmp_gt_u32_e32 vcc_lo, s49, v11
	v_dual_mov_b32 v41, 0 :: v_dual_mov_b32 v40, 0
	v_dual_mov_b32 v39, 0 :: v_dual_mov_b32 v38, 0
	;; [unrolled: 1-line block ×9, first 2 shown]
	s_mov_b32 s12, 0
                                        ; implicit-def: $sgpr4
                                        ; implicit-def: $vgpr42
	s_and_saveexec_b32 s11, vcc_lo
	s_cbranch_execz .LBB308_105
; %bb.82:
	v_dual_lshrrev_b32 v10, 16, v13 :: v_dual_mov_b32 v46, 0
	v_dual_add_nc_u32 v11, 8, v53 :: v_dual_mov_b32 v45, 0
	v_dual_mov_b32 v43, 0 :: v_dual_mov_b32 v41, 0
	s_delay_alu instid0(VALU_DEP_3)
	v_cmp_eq_u16_e32 vcc_lo, v13, v10
	v_dual_mov_b32 v40, 0 :: v_dual_mov_b32 v39, 0
	v_dual_mov_b32 v38, 0 :: v_dual_mov_b32 v37, 0
	v_cndmask_b32_e64 v26, 0x10000, 0, vcc_lo
	v_cmp_gt_u32_e32 vcc_lo, s49, v11
	v_dual_mov_b32 v35, 0 :: v_dual_mov_b32 v36, 0
	v_dual_mov_b32 v25, 0 :: v_dual_mov_b32 v24, 0
	;; [unrolled: 1-line block ×6, first 2 shown]
	s_mov_b32 s13, 0
                                        ; implicit-def: $sgpr4
                                        ; implicit-def: $vgpr42
	s_and_saveexec_b32 s12, vcc_lo
	s_cbranch_execz .LBB308_104
; %bb.83:
	v_dual_add_nc_u32 v11, 9, v53 :: v_dual_mov_b32 v45, 0
	v_cmp_eq_u16_e32 vcc_lo, v10, v6
	v_dual_lshrrev_b32 v25, 16, v5 :: v_dual_mov_b32 v43, 0
	v_dual_mov_b32 v41, 0 :: v_dual_mov_b32 v40, 0
	v_cndmask_b32_e64 v46, 0x10000, 0, vcc_lo
	v_cmp_gt_u32_e32 vcc_lo, s49, v11
	v_dual_mov_b32 v39, 0 :: v_dual_mov_b32 v38, 0
	v_dual_mov_b32 v37, 0 :: v_dual_mov_b32 v35, 0
	;; [unrolled: 1-line block ×7, first 2 shown]
	s_mov_b32 s14, 0
                                        ; implicit-def: $sgpr4
                                        ; implicit-def: $vgpr42
	s_and_saveexec_b32 s13, vcc_lo
	s_cbranch_execz .LBB308_103
; %bb.84:
	ds_load_b128 v[10:13], v48 offset:18
	v_dual_lshrrev_b32 v24, 16, v6 :: v_dual_add_nc_u32 v16, 10, v53
	v_dual_mov_b32 v43, 0 :: v_dual_mov_b32 v41, 0
	v_dual_mov_b32 v40, 0 :: v_dual_mov_b32 v39, 0
	s_delay_alu instid0(VALU_DEP_3)
	v_cmp_eq_u16_e32 vcc_lo, v6, v24
	v_dual_mov_b32 v38, 0 :: v_dual_mov_b32 v37, 0
	v_dual_mov_b32 v35, 0 :: v_dual_mov_b32 v36, 0
	v_cndmask_b32_e64 v6, 0x10000, 0, vcc_lo
	v_cmp_gt_u32_e32 vcc_lo, s49, v16
	v_dual_mov_b32 v23, 0 :: v_dual_mov_b32 v22, 0
	v_dual_mov_b32 v21, 0 :: v_dual_mov_b32 v20, 0
	;; [unrolled: 1-line block ×4, first 2 shown]
	s_mov_b32 s15, 0
                                        ; implicit-def: $sgpr4
                                        ; implicit-def: $vgpr42
	s_and_saveexec_b32 s14, vcc_lo
	s_cbranch_execz .LBB308_102
; %bb.85:
	s_wait_dscnt 0x0
	v_dual_add_nc_u32 v16, 11, v53 :: v_dual_lshrrev_b32 v23, 16, v10
	v_cmp_eq_u16_e32 vcc_lo, v24, v7
	v_dual_mov_b32 v41, 0 :: v_dual_mov_b32 v40, 0
	v_dual_mov_b32 v39, 0 :: v_dual_mov_b32 v38, 0
	v_cndmask_b32_e64 v24, 0x10000, 0, vcc_lo
	v_cmp_gt_u32_e32 vcc_lo, s49, v16
	v_dual_mov_b32 v37, 0 :: v_dual_mov_b32 v35, 0
	v_dual_mov_b32 v36, 0 :: v_dual_mov_b32 v22, 0
	;; [unrolled: 1-line block ×5, first 2 shown]
	s_mov_b32 s16, 0
                                        ; implicit-def: $sgpr4
                                        ; implicit-def: $vgpr42
	s_and_saveexec_b32 s15, vcc_lo
	s_cbranch_execz .LBB308_101
; %bb.86:
	v_dual_lshrrev_b32 v22, 16, v7 :: v_dual_add_nc_u32 v16, 12, v53
	v_dual_mov_b32 v40, 0 :: v_dual_mov_b32 v39, 0
	v_dual_mov_b32 v38, 0 :: v_dual_mov_b32 v37, 0
	s_delay_alu instid0(VALU_DEP_3)
	v_cmp_eq_u16_e32 vcc_lo, v7, v22
	v_dual_mov_b32 v35, 0 :: v_dual_mov_b32 v36, 0
	v_dual_mov_b32 v21, 0 :: v_dual_mov_b32 v20, 0
	v_cndmask_b32_e64 v7, 0x10000, 0, vcc_lo
	v_cmp_gt_u32_e32 vcc_lo, s49, v16
	v_dual_mov_b32 v19, 0 :: v_dual_mov_b32 v18, 0
	v_dual_mov_b32 v17, 0 :: v_dual_mov_b32 v16, 0
	s_mov_b32 s17, 0
                                        ; implicit-def: $sgpr4
                                        ; implicit-def: $vgpr42
	s_and_saveexec_b32 s16, vcc_lo
	s_cbranch_execz .LBB308_100
; %bb.87:
	v_dual_add_nc_u32 v16, 13, v53 :: v_dual_lshrrev_b32 v21, 16, v11
	v_cmp_eq_u16_e32 vcc_lo, v22, v8
	v_dual_mov_b32 v39, 0 :: v_dual_mov_b32 v38, 0
	v_dual_mov_b32 v37, 0 :: v_dual_mov_b32 v35, 0
	v_cndmask_b32_e64 v22, 0x10000, 0, vcc_lo
	v_cmp_gt_u32_e32 vcc_lo, s49, v16
	v_dual_mov_b32 v36, 0 :: v_dual_mov_b32 v20, 0
	v_dual_mov_b32 v19, 0 :: v_dual_mov_b32 v18, 0
	;; [unrolled: 1-line block ×3, first 2 shown]
	s_mov_b32 s18, 0
                                        ; implicit-def: $sgpr4
                                        ; implicit-def: $vgpr42
	s_and_saveexec_b32 s17, vcc_lo
	s_cbranch_execz .LBB308_99
; %bb.88:
	v_dual_lshrrev_b32 v20, 16, v8 :: v_dual_add_nc_u32 v16, 14, v53
	v_dual_mov_b32 v38, 0 :: v_dual_mov_b32 v37, 0
	v_dual_mov_b32 v35, 0 :: v_dual_mov_b32 v36, 0
	s_delay_alu instid0(VALU_DEP_3)
	v_cmp_eq_u16_e32 vcc_lo, v8, v20
	v_dual_mov_b32 v19, 0 :: v_dual_mov_b32 v18, 0
	v_mov_b32_e32 v17, 0
	s_mov_b32 s19, 0
	v_cndmask_b32_e64 v8, 0x10000, 0, vcc_lo
	v_cmp_gt_u32_e32 vcc_lo, s49, v16
	v_mov_b32_e32 v16, 0
                                        ; implicit-def: $sgpr4
                                        ; implicit-def: $vgpr42
	s_and_saveexec_b32 s18, vcc_lo
	s_cbranch_execz .LBB308_98
; %bb.89:
	v_dual_add_nc_u32 v16, 15, v53 :: v_dual_lshrrev_b32 v19, 16, v12
	v_cmp_eq_u16_e32 vcc_lo, v20, v9
	v_dual_mov_b32 v37, 0 :: v_dual_mov_b32 v35, 0
	v_dual_mov_b32 v36, 0 :: v_dual_mov_b32 v18, 0
	v_cndmask_b32_e64 v20, 0x10000, 0, vcc_lo
	v_cmp_gt_u32_e32 vcc_lo, s49, v16
	v_dual_mov_b32 v17, 0 :: v_dual_mov_b32 v16, 0
	s_mov_b32 s20, 0
                                        ; implicit-def: $sgpr4
                                        ; implicit-def: $vgpr42
	s_and_saveexec_b32 s19, vcc_lo
	s_cbranch_execz .LBB308_97
; %bb.90:
	v_dual_mov_b32 v35, 0 :: v_dual_lshrrev_b32 v18, 16, v9
	v_dual_add_nc_u32 v16, 16, v53 :: v_dual_mov_b32 v36, 0
	v_mov_b32_e32 v17, 0
	s_delay_alu instid0(VALU_DEP_3)
	v_cmp_eq_u16_e32 vcc_lo, v9, v18
	s_mov_b32 s21, 0
                                        ; implicit-def: $sgpr4
                                        ; implicit-def: $vgpr42
	v_cndmask_b32_e64 v9, 0x10000, 0, vcc_lo
	v_cmp_gt_u32_e32 vcc_lo, s49, v16
	v_mov_b32_e32 v16, 0
	s_and_saveexec_b32 s20, vcc_lo
	s_cbranch_execz .LBB308_96
; %bb.91:
	v_dual_add_nc_u32 v16, 17, v53 :: v_dual_mov_b32 v36, 0
	v_cmp_eq_u16_e32 vcc_lo, v18, v14
	v_lshrrev_b32_e32 v17, 16, v13
	s_mov_b32 s46, 0
                                        ; implicit-def: $sgpr4
                                        ; implicit-def: $vgpr42
	v_cndmask_b32_e64 v18, 0x10000, 0, vcc_lo
	v_cmp_gt_u32_e32 vcc_lo, s49, v16
	v_mov_b32_e32 v16, 0
	s_and_saveexec_b32 s21, vcc_lo
	s_cbranch_execz .LBB308_95
; %bb.92:
	ds_load_u16 v35, v48 offset:34
	v_dual_lshrrev_b32 v36, 16, v14 :: v_dual_add_nc_u32 v37, 18, v53
	v_mov_b32_e32 v16, 0
	s_mov_b32 s47, 0
	s_mov_b32 s46, exec_lo
	s_delay_alu instid0(VALU_DEP_2)
	v_cmp_eq_u16_e32 vcc_lo, v14, v36
                                        ; implicit-def: $sgpr4
                                        ; implicit-def: $vgpr42
	v_cndmask_b32_e64 v14, 0x10000, 0, vcc_lo
	v_cmpx_gt_u32_e64 s49, v37
	s_xor_b32 s46, exec_lo, s46
	s_cbranch_execz .LBB308_94
; %bb.93:
	ds_load_b32 v16, v48 offset:36
	v_cmp_eq_u16_e32 vcc_lo, v36, v15
	v_add_nc_u32_e32 v37, 19, v53
	v_cmp_ne_u16_e64 s4, v15, v51
	v_cndmask_b32_e64 v36, 0x10000, 0, vcc_lo
	s_wait_dscnt 0x0
	v_lshrrev_b32_e32 v42, 16, v16
	v_cmp_gt_u32_e32 vcc_lo, s49, v37
	s_delay_alu instid0(VALU_DEP_3)
	v_and_or_b32 v16, 0xffff, v16, v36
	s_and_b32 s47, vcc_lo, exec_lo
.LBB308_94:
	s_or_b32 exec_lo, exec_lo, s46
	s_wait_dscnt 0x0
	v_or_b32_e32 v36, v14, v35
	s_and_b32 s46, s47, exec_lo
.LBB308_95:
	s_or_b32 exec_lo, exec_lo, s21
	s_delay_alu instid0(VALU_DEP_1)
	v_dual_mov_b32 v17, v36 :: v_dual_bitop2_b32 v35, v18, v17 bitop3:0x54
	s_and_b32 s21, s46, exec_lo
.LBB308_96:
	s_or_b32 exec_lo, exec_lo, s20
	v_and_or_b32 v37, 0xffff, v13, v9
	s_delay_alu instid0(VALU_DEP_2)
	v_mov_b32_e32 v18, v35
	s_and_b32 s20, s21, exec_lo
.LBB308_97:
	s_or_b32 exec_lo, exec_lo, s19
	s_delay_alu instid0(VALU_DEP_2)
	v_dual_mov_b32 v19, v37 :: v_dual_bitop2_b32 v38, v20, v19 bitop3:0x54
	s_and_b32 s19, s20, exec_lo
.LBB308_98:
	s_or_b32 exec_lo, exec_lo, s18
	v_and_or_b32 v39, 0xffff, v12, v8
	s_delay_alu instid0(VALU_DEP_2)
	v_mov_b32_e32 v20, v38
	s_and_b32 s18, s19, exec_lo
.LBB308_99:
	s_or_b32 exec_lo, exec_lo, s17
	s_delay_alu instid0(VALU_DEP_2)
	v_dual_mov_b32 v21, v39 :: v_dual_bitop2_b32 v40, v22, v21 bitop3:0x54
	s_and_b32 s17, s18, exec_lo
.LBB308_100:
	s_or_b32 exec_lo, exec_lo, s16
	v_and_or_b32 v41, 0xffff, v11, v7
	s_delay_alu instid0(VALU_DEP_2)
	v_mov_b32_e32 v22, v40
	s_and_b32 s16, s17, exec_lo
.LBB308_101:
	s_or_b32 exec_lo, exec_lo, s15
	s_delay_alu instid0(VALU_DEP_2)
	v_dual_mov_b32 v23, v41 :: v_dual_bitop2_b32 v43, v24, v23 bitop3:0x54
	s_and_b32 s15, s16, exec_lo
.LBB308_102:
	s_or_b32 exec_lo, exec_lo, s14
	s_wait_dscnt 0x0
	v_and_or_b32 v45, 0xffff, v10, v6
	v_mov_b32_e32 v24, v43
	s_and_b32 s14, s15, exec_lo
.LBB308_103:
	s_or_b32 exec_lo, exec_lo, s13
	s_delay_alu instid0(VALU_DEP_2)
	v_dual_mov_b32 v25, v45 :: v_dual_bitop2_b32 v46, v46, v25 bitop3:0x54
	s_and_b32 s13, s14, exec_lo
.LBB308_104:
	s_or_b32 exec_lo, exec_lo, s12
	v_and_or_b32 v47, 0xffff, v5, v26
	s_delay_alu instid0(VALU_DEP_2)
	v_mov_b32_e32 v26, v46
	s_and_b32 s12, s13, exec_lo
.LBB308_105:
	s_or_b32 exec_lo, exec_lo, s11
	s_delay_alu instid0(VALU_DEP_2)
	v_dual_mov_b32 v27, v47 :: v_dual_bitop2_b32 v49, v49, v27 bitop3:0x54
	s_and_b32 s11, s12, exec_lo
.LBB308_106:
	s_or_b32 exec_lo, exec_lo, s10
	v_and_or_b32 v52, 0xffff, v4, v28
	s_delay_alu instid0(VALU_DEP_2)
	v_mov_b32_e32 v28, v49
	s_and_b32 s10, s11, exec_lo
.LBB308_107:
	s_or_b32 exec_lo, exec_lo, s9
	s_delay_alu instid0(VALU_DEP_2)
	v_dual_mov_b32 v29, v52 :: v_dual_bitop2_b32 v50, v50, v29 bitop3:0x54
	s_and_b32 s9, s10, exec_lo
.LBB308_108:
	s_or_b32 exec_lo, exec_lo, s8
	v_and_or_b32 v54, 0xffff, v3, v30
	s_delay_alu instid0(VALU_DEP_2)
	v_mov_b32_e32 v30, v50
	s_and_b32 s8, s9, exec_lo
.LBB308_109:
	s_or_b32 exec_lo, exec_lo, s7
	s_delay_alu instid0(VALU_DEP_2)
	v_dual_mov_b32 v32, v54 :: v_dual_bitop2_b32 v44, v44, v32 bitop3:0x54
	s_and_b32 s7, s8, exec_lo
.LBB308_110:
	s_or_b32 exec_lo, exec_lo, s6
	s_wait_dscnt 0x0
	v_and_or_b32 v2, 0xffff, v2, v33
	v_mov_b32_e32 v33, v44
	s_and_b32 s6, s7, exec_lo
.LBB308_111:
	s_or_b32 exec_lo, exec_lo, s5
	s_wait_dscnt 0x0
	v_or_b32_e32 v31, v34, v31
	v_mov_b32_e32 v34, v2
	s_and_b32 s5, s6, exec_lo
.LBB308_112:
	s_or_b32 exec_lo, exec_lo, s1
	v_lshlrev_b32_e32 v10, 1, v0
	s_and_b32 vcc_lo, exec_lo, s0
	s_cbranch_vccz .LBB308_140
.LBB308_113:
	s_clause 0x13
	flat_load_u16 v2, v0, s[42:43] scale_offset
	flat_load_u16 v3, v0, s[42:43] offset:512 scale_offset
	flat_load_u16 v4, v0, s[42:43] offset:1024 scale_offset
	flat_load_u16 v5, v0, s[42:43] offset:1536 scale_offset
	flat_load_u16 v6, v0, s[42:43] offset:2048 scale_offset
	flat_load_u16 v7, v0, s[42:43] offset:2560 scale_offset
	flat_load_u16 v8, v0, s[42:43] offset:3072 scale_offset
	flat_load_u16 v9, v0, s[42:43] offset:3584 scale_offset
	flat_load_u16 v12, v0, s[42:43] offset:4096 scale_offset
	flat_load_u16 v13, v0, s[42:43] offset:4608 scale_offset
	flat_load_u16 v14, v0, s[42:43] offset:5120 scale_offset
	flat_load_u16 v15, v0, s[42:43] offset:5632 scale_offset
	flat_load_u16 v16, v0, s[42:43] offset:6144 scale_offset
	flat_load_u16 v17, v0, s[42:43] offset:6656 scale_offset
	flat_load_u16 v18, v0, s[42:43] offset:7168 scale_offset
	flat_load_u16 v19, v0, s[42:43] offset:7680 scale_offset
	flat_load_u16 v20, v0, s[42:43] offset:8192 scale_offset
	flat_load_u16 v21, v0, s[42:43] offset:8704 scale_offset
	flat_load_u16 v22, v0, s[42:43] offset:9216 scale_offset
	flat_load_u16 v23, v0, s[42:43] offset:9728 scale_offset
	v_mad_u32_u24 v11, v0, 38, v10
	s_cmp_eq_u64 s[44:45], 0
	s_wait_loadcnt_dscnt 0x1313
	ds_store_b16 v10, v2
	s_wait_loadcnt_dscnt 0x1213
	ds_store_b16 v10, v3 offset:512
	s_wait_loadcnt_dscnt 0x1113
	ds_store_b16 v10, v4 offset:1024
	;; [unrolled: 2-line block ×19, first 2 shown]
	s_wait_dscnt 0x0
	s_barrier_signal -1
	s_barrier_wait -1
	ds_load_2addr_b64 v[6:9], v11 offset1:1
	ds_load_2addr_b64 v[2:5], v11 offset0:2 offset1:3
	ds_load_b64 v[12:13], v11 offset:32
	v_mov_b32_e32 v14, 0
	s_cbranch_scc1 .LBB308_137
; %bb.114:
	s_and_not1_b32 vcc_lo, exec_lo, s48
	s_cbranch_vccnz .LBB308_135
; %bb.115:
	s_lshl_b64 s[0:1], s[44:45], 1
	s_delay_alu instid0(SALU_CYCLE_1) | instskip(NEXT) | instid1(SALU_CYCLE_1)
	s_add_nc_u64 s[0:1], s[30:31], s[0:1]
	s_add_nc_u64 s[42:43], s[0:1], -2
	s_mov_b32 s0, 0
	s_branch .LBB308_136
.LBB308_116:
	flat_load_u16 v4, v0, s[28:29] scale_offset
	s_wait_xcnt 0x0
	s_or_b32 exec_lo, exec_lo, s46
                                        ; implicit-def: $vgpr5
	s_and_saveexec_b32 s0, s1
	s_cbranch_execz .LBB308_55
.LBB308_117:
	flat_load_u16 v5, v0, s[28:29] offset:512 scale_offset
	s_wait_xcnt 0x0
	s_or_b32 exec_lo, exec_lo, s0
                                        ; implicit-def: $vgpr16
	s_and_saveexec_b32 s0, s4
	s_cbranch_execz .LBB308_56
.LBB308_118:
	flat_load_u16 v16, v0, s[28:29] offset:1024 scale_offset
	s_wait_xcnt 0x0
	s_or_b32 exec_lo, exec_lo, s0
                                        ; implicit-def: $vgpr17
	s_and_saveexec_b32 s0, s5
	s_cbranch_execz .LBB308_57
.LBB308_119:
	flat_load_u16 v17, v0, s[28:29] offset:1536 scale_offset
	s_wait_xcnt 0x0
	s_or_b32 exec_lo, exec_lo, s0
                                        ; implicit-def: $vgpr18
	s_and_saveexec_b32 s0, s6
	s_cbranch_execz .LBB308_58
.LBB308_120:
	flat_load_u16 v18, v0, s[28:29] offset:2048 scale_offset
	s_wait_xcnt 0x0
	s_or_b32 exec_lo, exec_lo, s0
                                        ; implicit-def: $vgpr19
	s_and_saveexec_b32 s0, s7
	s_cbranch_execz .LBB308_59
.LBB308_121:
	flat_load_u16 v19, v0, s[28:29] offset:2560 scale_offset
	s_wait_xcnt 0x0
	s_or_b32 exec_lo, exec_lo, s0
                                        ; implicit-def: $vgpr20
	s_and_saveexec_b32 s0, s8
	s_cbranch_execz .LBB308_60
.LBB308_122:
	flat_load_u16 v20, v0, s[28:29] offset:3072 scale_offset
	s_wait_xcnt 0x0
	s_or_b32 exec_lo, exec_lo, s0
                                        ; implicit-def: $vgpr21
	s_and_saveexec_b32 s0, s9
	s_cbranch_execz .LBB308_61
.LBB308_123:
	flat_load_u16 v21, v0, s[28:29] offset:3584 scale_offset
	s_wait_xcnt 0x0
	s_or_b32 exec_lo, exec_lo, s0
                                        ; implicit-def: $vgpr22
	s_and_saveexec_b32 s0, s10
	s_cbranch_execz .LBB308_62
.LBB308_124:
	flat_load_u16 v22, v0, s[28:29] offset:4096 scale_offset
	s_wait_xcnt 0x0
	s_or_b32 exec_lo, exec_lo, s0
                                        ; implicit-def: $vgpr23
	s_and_saveexec_b32 s0, s11
	s_cbranch_execz .LBB308_63
.LBB308_125:
	flat_load_u16 v23, v0, s[28:29] offset:4608 scale_offset
	s_wait_xcnt 0x0
	s_or_b32 exec_lo, exec_lo, s0
                                        ; implicit-def: $vgpr24
	s_and_saveexec_b32 s0, s12
	s_cbranch_execz .LBB308_64
.LBB308_126:
	flat_load_u16 v24, v0, s[28:29] offset:5120 scale_offset
	s_wait_xcnt 0x0
	s_or_b32 exec_lo, exec_lo, s0
                                        ; implicit-def: $vgpr25
	s_and_saveexec_b32 s0, s13
	s_cbranch_execz .LBB308_65
.LBB308_127:
	flat_load_u16 v25, v0, s[28:29] offset:5632 scale_offset
	s_wait_xcnt 0x0
	s_or_b32 exec_lo, exec_lo, s0
                                        ; implicit-def: $vgpr26
	s_and_saveexec_b32 s0, s14
	s_cbranch_execz .LBB308_66
.LBB308_128:
	flat_load_u16 v26, v0, s[28:29] offset:6144 scale_offset
	s_wait_xcnt 0x0
	s_or_b32 exec_lo, exec_lo, s0
                                        ; implicit-def: $vgpr27
	s_and_saveexec_b32 s0, s15
	s_cbranch_execz .LBB308_67
.LBB308_129:
	flat_load_u16 v27, v0, s[28:29] offset:6656 scale_offset
	s_wait_xcnt 0x0
	s_or_b32 exec_lo, exec_lo, s0
                                        ; implicit-def: $vgpr28
	s_and_saveexec_b32 s0, s16
	s_cbranch_execz .LBB308_68
.LBB308_130:
	flat_load_u16 v28, v0, s[28:29] offset:7168 scale_offset
	s_wait_xcnt 0x0
	s_or_b32 exec_lo, exec_lo, s0
                                        ; implicit-def: $vgpr29
	s_and_saveexec_b32 s0, s17
	s_cbranch_execz .LBB308_69
.LBB308_131:
	flat_load_u16 v29, v0, s[28:29] offset:7680 scale_offset
	s_wait_xcnt 0x0
	s_or_b32 exec_lo, exec_lo, s0
                                        ; implicit-def: $vgpr30
	s_and_saveexec_b32 s0, s18
	s_cbranch_execz .LBB308_70
.LBB308_132:
	flat_load_u16 v30, v0, s[28:29] offset:8192 scale_offset
	s_wait_xcnt 0x0
	s_or_b32 exec_lo, exec_lo, s0
                                        ; implicit-def: $vgpr31
	s_and_saveexec_b32 s0, s19
	s_cbranch_execz .LBB308_71
.LBB308_133:
	flat_load_u16 v31, v0, s[28:29] offset:8704 scale_offset
	s_wait_xcnt 0x0
	s_or_b32 exec_lo, exec_lo, s0
                                        ; implicit-def: $vgpr32
	s_and_saveexec_b32 s0, s20
	s_cbranch_execz .LBB308_72
.LBB308_134:
	flat_load_u16 v32, v0, s[28:29] offset:9216 scale_offset
	s_wait_xcnt 0x0
	s_or_b32 exec_lo, exec_lo, s0
                                        ; implicit-def: $vgpr33
	s_and_saveexec_b32 s0, s21
	s_cbranch_execnz .LBB308_73
	s_branch .LBB308_74
.LBB308_135:
	s_add_nc_u64 s[42:43], s[42:43], -2
	s_mov_b32 s0, -1
.LBB308_136:
	s_delay_alu instid0(SALU_CYCLE_1)
	s_and_not1_b32 vcc_lo, exec_lo, s0
.LBB308_137:
	flat_load_u16 v15, v14, s[42:43]
	s_wait_dscnt 0x1
	s_wait_xcnt 0x0
	v_lshrrev_b32_e32 v14, 16, v13
	v_mad_i32_i24 v16, 0xffffffda, v0, v11
	ds_store_b16 v16, v14 offset:10240
	s_wait_loadcnt_dscnt 0x0
	s_barrier_signal -1
	s_barrier_wait -1
	s_and_saveexec_b32 s0, s3
; %bb.138:
	v_mul_i32_i24_e32 v15, 0xffffffda, v0
	s_delay_alu instid0(VALU_DEP_1)
	v_add_nc_u32_e32 v15, v11, v15
	ds_load_u16 v15, v15 offset:10238
; %bb.139:
	s_or_b32 exec_lo, exec_lo, s0
	s_wait_dscnt 0x0
	s_barrier_signal -1
	s_barrier_wait -1
	s_clause 0x13
	flat_load_u16 v16, v0, s[28:29] scale_offset
	flat_load_u16 v17, v0, s[28:29] offset:512 scale_offset
	flat_load_u16 v18, v0, s[28:29] offset:1024 scale_offset
	;; [unrolled: 1-line block ×19, first 2 shown]
	v_dual_lshrrev_b32 v36, 16, v6 :: v_dual_lshrrev_b32 v37, 16, v7
	v_cmp_eq_u16_e32 vcc_lo, v15, v6
	v_dual_lshrrev_b32 v38, 16, v8 :: v_dual_lshrrev_b32 v39, 16, v9
	v_dual_lshrrev_b32 v40, 16, v2 :: v_dual_lshrrev_b32 v41, 16, v3
	v_cndmask_b32_e64 v45, 0x10000, 0, vcc_lo
	v_cmp_eq_u16_e32 vcc_lo, v6, v36
	v_dual_lshrrev_b32 v42, 16, v4 :: v_dual_lshrrev_b32 v43, 16, v5
	v_cmp_ne_u16_e64 s4, v13, v14
	s_mov_b32 s5, -1
	v_cndmask_b32_e64 v47, 0x10000, 0, vcc_lo
	v_cmp_eq_u16_e32 vcc_lo, v36, v7
	s_wait_loadcnt_dscnt 0x1313
	ds_store_b16 v10, v16
	s_wait_loadcnt_dscnt 0x1213
	ds_store_b16 v10, v17 offset:512
	s_wait_loadcnt_dscnt 0x1113
	ds_store_b16 v10, v18 offset:1024
	;; [unrolled: 2-line block ×19, first 2 shown]
	v_cndmask_b32_e64 v36, 0x10000, 0, vcc_lo
	v_cmp_eq_u16_e32 vcc_lo, v7, v37
	s_wait_dscnt 0x0
	s_barrier_signal -1
	s_barrier_wait -1
	v_cndmask_b32_e64 v48, 0x10000, 0, vcc_lo
	v_cmp_eq_u16_e32 vcc_lo, v37, v8
	ds_load_2addr_b64 v[14:17], v11 offset0:2 offset1:3
	v_cndmask_b32_e64 v37, 0x10000, 0, vcc_lo
	v_cmp_eq_u16_e32 vcc_lo, v8, v38
	v_cndmask_b32_e64 v51, 0x10000, 0, vcc_lo
	v_cmp_eq_u16_e32 vcc_lo, v38, v9
	;; [unrolled: 2-line block ×3, first 2 shown]
	ds_load_2addr_b64 v[6:9], v11 offset1:1
	s_wait_dscnt 0x1
	v_dual_lshrrev_b32 v44, 16, v12 :: v_dual_lshrrev_b32 v26, 16, v14
	v_dual_lshrrev_b32 v27, 16, v15 :: v_dual_lshrrev_b32 v28, 16, v16
	v_cndmask_b32_e64 v53, 0x10000, 0, vcc_lo
	v_cmp_eq_u16_e32 vcc_lo, v39, v2
	v_cndmask_b32_e64 v39, 0x10000, 0, vcc_lo
	v_cmp_eq_u16_e32 vcc_lo, v2, v40
	s_delay_alu instid0(VALU_DEP_2)
	v_and_or_b32 v46, 0xffff, v14, v39
	v_cndmask_b32_e64 v55, 0x10000, 0, vcc_lo
	v_cmp_eq_u16_e32 vcc_lo, v40, v3
	s_wait_dscnt 0x0
	v_dual_lshrrev_b32 v22, 16, v6 :: v_dual_lshrrev_b32 v23, 16, v7
	v_lshrrev_b32_e32 v24, 16, v8
	v_cndmask_b32_e64 v18, 0x10000, 0, vcc_lo
	v_cmp_eq_u16_e32 vcc_lo, v3, v41
	ds_load_b64 v[2:3], v11 offset:32
	v_lshrrev_b32_e32 v25, 16, v9
	v_lshrrev_b32_e32 v29, 16, v17
	v_and_or_b32 v31, 0xffff, v6, v45
	v_cndmask_b32_e64 v19, 0x10000, 0, vcc_lo
	v_cmp_eq_u16_e32 vcc_lo, v41, v4
	v_and_or_b32 v50, 0xffff, v8, v37
	v_and_or_b32 v49, 0xffff, v9, v38
	v_or_b32_e32 v54, v48, v23
	v_or_b32_e32 v45, v55, v26
	v_cndmask_b32_e64 v20, 0x10000, 0, vcc_lo
	v_cmp_eq_u16_e32 vcc_lo, v4, v42
	v_mov_b32_e32 v26, v46
	s_delay_alu instid0(VALU_DEP_3)
	v_and_or_b32 v40, 0xffff, v16, v20
	v_cndmask_b32_e64 v4, 0x10000, 0, vcc_lo
	v_cmp_eq_u16_e32 vcc_lo, v42, v5
	s_wait_dscnt 0x0
	v_dual_lshrrev_b32 v30, 16, v2 :: v_dual_bitop2_b32 v41, v19, v27 bitop3:0x54
	v_lshrrev_b32_e32 v42, 16, v3
	v_cndmask_b32_e64 v11, 0x10000, 0, vcc_lo
	v_cmp_eq_u16_e32 vcc_lo, v5, v43
	s_delay_alu instid0(VALU_DEP_2) | instskip(SKIP_4) | instid1(VALU_DEP_4)
	v_and_or_b32 v38, 0xffff, v17, v11
	v_cndmask_b32_e64 v5, 0x10000, 0, vcc_lo
	v_cmp_eq_u16_e32 vcc_lo, v43, v12
	v_and_or_b32 v43, 0xffff, v15, v18
	v_dual_mov_b32 v28, v49 :: v_dual_bitop2_b32 v39, v4, v28 bitop3:0x54
	v_dual_mov_b32 v20, v38 :: v_dual_bitop2_b32 v37, v5, v29 bitop3:0x54
	v_cndmask_b32_e64 v21, 0x10000, 0, vcc_lo
	v_cmp_eq_u16_e32 vcc_lo, v12, v44
	s_delay_alu instid0(VALU_DEP_3) | instskip(NEXT) | instid1(VALU_DEP_3)
	v_mov_b32_e32 v19, v37
	v_and_or_b32 v35, 0xffff, v2, v21
	v_cndmask_b32_e64 v12, 0x10000, 0, vcc_lo
	v_cmp_eq_u16_e32 vcc_lo, v44, v13
	v_and_or_b32 v44, 0xffff, v7, v36
	v_or_b32_e32 v2, v47, v22
	v_or_b32_e32 v52, v51, v24
	;; [unrolled: 1-line block ×3, first 2 shown]
	v_cndmask_b32_e64 v13, 0x10000, 0, vcc_lo
	v_dual_mov_b32 v18, v35 :: v_dual_bitop2_b32 v36, v12, v30 bitop3:0x54
	v_dual_mov_b32 v33, v44 :: v_dual_mov_b32 v30, v50
	s_delay_alu instid0(VALU_DEP_3)
	v_and_or_b32 v16, 0xffff, v3, v13
	v_dual_mov_b32 v24, v43 :: v_dual_mov_b32 v22, v40
	v_dual_mov_b32 v34, v2 :: v_dual_mov_b32 v32, v54
	;; [unrolled: 1-line block ×5, first 2 shown]
.LBB308_140:
	v_mov_b32_e32 v11, 0
	s_and_saveexec_b32 s0, s5
	s_cbranch_execz .LBB308_142
; %bb.141:
	v_and_b32_e32 v3, 0xffff, v42
	v_cndmask_b32_e64 v4, 0, 0x10000, s4
	v_dual_mov_b32 v17, v36 :: v_dual_mov_b32 v18, v35
	v_dual_mov_b32 v19, v37 :: v_dual_mov_b32 v20, v38
	s_delay_alu instid0(VALU_DEP_3)
	v_dual_mov_b32 v21, v39 :: v_dual_bitop2_b32 v11, v4, v3 bitop3:0x54
	v_dual_mov_b32 v22, v40 :: v_dual_mov_b32 v23, v41
	v_dual_mov_b32 v24, v43 :: v_dual_mov_b32 v25, v45
	;; [unrolled: 1-line block ×6, first 2 shown]
.LBB308_142:
	s_or_b32 exec_lo, exec_lo, s0
	v_dual_lshrrev_b32 v45, 3, v0 :: v_dual_bitop2_b32 v2, v27, v26 bitop3:0x54
	v_or_b32_e32 v3, v19, v18
	v_cmp_ne_u32_e32 vcc_lo, 0, v1
	v_or_b32_e32 v43, v17, v16
	v_cmp_gt_u32_e64 s20, 0x10000, v34
	v_cmp_gt_u32_e64 s19, 0x10000, v33
	;; [unrolled: 1-line block ×8, first 2 shown]
	v_or3_b32 v44, v2, v28, v29
	v_cmp_gt_u32_e64 s13, 0x10000, v25
	v_cmp_gt_u32_e64 s11, 0x10000, v24
	;; [unrolled: 1-line block ×8, first 2 shown]
	v_or3_b32 v46, v3, v20, v21
	v_cmp_gt_u32_e64 s5, 0x10000, v17
	v_cmp_gt_u32_e64 s1, 0x10000, v16
	;; [unrolled: 1-line block ×4, first 2 shown]
	s_barrier_signal -1
	s_barrier_wait -1
	s_cbranch_vccz .LBB308_192
; %bb.143:
	v_dual_cndmask_b32 v2, 1, v31, s20 :: v_dual_bitop2_b32 v5, 28, v45 bitop3:0x40
	v_or3_b32 v3, v46, v22, v23
	v_or3_b32 v4, v44, v30, v32
	v_lshrrev_b32_e32 v12, 16, v31
	s_delay_alu instid0(VALU_DEP_4) | instskip(NEXT) | instid1(VALU_DEP_4)
	v_mul_lo_u16 v2, v2, v34
	v_or3_b32 v3, v3, v24, v25
	s_delay_alu instid0(VALU_DEP_4) | instskip(NEXT) | instid1(VALU_DEP_3)
	v_or3_b32 v4, v4, v33, v34
	v_cndmask_b32_e64 v2, 1, v2, s19
	s_delay_alu instid0(VALU_DEP_3) | instskip(NEXT) | instid1(VALU_DEP_2)
	v_or3_b32 v3, v11, v43, v3
	v_mul_lo_u16 v2, v2, v33
	s_delay_alu instid0(VALU_DEP_2) | instskip(SKIP_1) | instid1(VALU_DEP_2)
	v_bitop3_b32 v3, v3, 0xff0000, v4 bitop3:0xc8
	v_lshl_add_u32 v4, v0, 2, v5
	v_cmp_eq_u32_e32 vcc_lo, 0, v3
	s_delay_alu instid0(VALU_DEP_4) | instskip(NEXT) | instid1(VALU_DEP_1)
	v_dual_cndmask_b32 v2, 1, v2, s18 :: v_dual_cndmask_b32 v14, 1, v12, vcc_lo
	v_mul_lo_u16 v2, v2, v32
	s_delay_alu instid0(VALU_DEP_1) | instskip(NEXT) | instid1(VALU_DEP_1)
	v_cndmask_b32_e64 v2, 1, v2, s17
	v_mul_lo_u16 v2, v2, v30
	s_delay_alu instid0(VALU_DEP_1) | instskip(NEXT) | instid1(VALU_DEP_1)
	v_cndmask_b32_e64 v2, 1, v2, s16
	;; [unrolled: 3-line block ×16, first 2 shown]
	v_mul_lo_u16 v13, v2, v11
	ds_store_b16 v4, v13
	ds_store_b8 v4, v14 offset:2
	s_wait_dscnt 0x0
	s_barrier_signal -1
	s_barrier_wait -1
	s_and_saveexec_b32 s28, s21
	s_cbranch_execz .LBB308_155
; %bb.144:
	v_and_b32_e32 v2, 0xfc, v0
	v_lshlrev_b32_e32 v3, 5, v0
	s_mov_b32 s29, exec_lo
	s_delay_alu instid0(VALU_DEP_1)
	v_add_nc_u32_e32 v2, v2, v3
	ds_load_u8 v4, v2 offset:6
	ds_load_b32 v3, v2
	ds_load_u16 v5, v2 offset:4
	ds_load_u8 v6, v2 offset:10
	ds_load_u16 v7, v2 offset:8
	ds_load_u16 v8, v2 offset:12
	ds_load_u8 v9, v2 offset:14
	ds_load_u16 v15, v2 offset:16
	s_wait_dscnt 0x7
	v_cmp_eq_u16_e32 vcc_lo, 0, v4
	s_wait_dscnt 0x4
	v_dual_cndmask_b32 v35, 1, v3, vcc_lo :: v_dual_bitop2_b32 v4, v6, v4 bitop3:0x54
	v_cmp_eq_u16_e32 vcc_lo, 0, v6
	s_delay_alu instid0(VALU_DEP_2) | instskip(SKIP_4) | instid1(VALU_DEP_2)
	v_mul_lo_u16 v5, v35, v5
	ds_load_u8 v35, v2 offset:18
	v_cndmask_b32_e32 v5, 1, v5, vcc_lo
	s_wait_dscnt 0x2
	v_cmp_eq_u16_e32 vcc_lo, 0, v9
	v_mul_lo_u16 v5, v5, v7
	ds_load_u8 v7, v2 offset:22
	v_cndmask_b32_e32 v5, 1, v5, vcc_lo
	s_delay_alu instid0(VALU_DEP_1)
	v_mul_lo_u16 v5, v5, v8
	ds_load_u16 v8, v2 offset:20
	ds_load_u16 v36, v2 offset:24
	ds_load_u8 v37, v2 offset:26
	ds_load_u16 v38, v2 offset:28
	ds_load_u8 v39, v2 offset:30
	s_wait_dscnt 0x6
	v_cmp_eq_u16_e32 vcc_lo, 0, v35
	v_bitop3_b16 v6, v4, v35, v9 bitop3:0xfe
	v_and_b32_e32 v4, 0x10000, v3
	v_cndmask_b32_e32 v5, 1, v5, vcc_lo
	s_wait_dscnt 0x5
	v_cmp_eq_u16_e32 vcc_lo, 0, v7
	s_wait_dscnt 0x2
	v_bitop3_b16 v6, v6, v37, v7 bitop3:0xfe
	s_wait_dscnt 0x0
	v_and_b32_e32 v7, 1, v39
	v_mul_lo_u16 v5, v5, v15
	s_delay_alu instid0(VALU_DEP_1) | instskip(SKIP_1) | instid1(VALU_DEP_2)
	v_cndmask_b32_e32 v5, 1, v5, vcc_lo
	v_cmp_eq_u16_e32 vcc_lo, 0, v37
	v_mul_lo_u16 v5, v5, v8
	s_delay_alu instid0(VALU_DEP_1) | instskip(SKIP_1) | instid1(VALU_DEP_2)
	v_cndmask_b32_e32 v5, 1, v5, vcc_lo
	v_cmp_eq_u16_e32 vcc_lo, 0, v39
	;; [unrolled: 4-line block ×3, first 2 shown]
	v_mul_lo_u16 v6, v5, v38
	v_cndmask_b32_e32 v8, 0x10000, v4, vcc_lo
	v_cmp_eq_u32_e32 vcc_lo, 1, v7
	v_and_b32_e32 v5, 0xff000000, v3
	v_mbcnt_lo_u32_b32 v7, -1, 0
	v_and_b32_e32 v9, 0xffff, v6
	v_cndmask_b32_e64 v8, v8, 0x10000, vcc_lo
	s_delay_alu instid0(VALU_DEP_1) | instskip(NEXT) | instid1(VALU_DEP_3)
	v_or_b32_e32 v15, v8, v5
	v_or3_b32 v35, v5, v9, v8
	v_and_b32_e32 v8, 15, v7
	s_delay_alu instid0(VALU_DEP_3) | instskip(NEXT) | instid1(VALU_DEP_3)
	v_lshrrev_b32_e32 v9, 16, v15
	v_mov_b32_dpp v36, v35 row_shr:1 row_mask:0xf bank_mask:0xf
	s_delay_alu instid0(VALU_DEP_3)
	v_cmpx_ne_u32_e32 0, v8
	s_cbranch_execz .LBB308_146
; %bb.145:
	s_delay_alu instid0(VALU_DEP_2) | instskip(SKIP_1) | instid1(VALU_DEP_2)
	v_dual_lshrrev_b32 v9, 16, v15 :: v_dual_lshrrev_b32 v35, 16, v36
	v_and_b32_e32 v15, 0x10000, v15
	v_and_b32_e32 v9, 0xff, v9
	s_delay_alu instid0(VALU_DEP_1) | instskip(NEXT) | instid1(VALU_DEP_4)
	v_cmp_eq_u16_e32 vcc_lo, 0, v9
	v_dual_cndmask_b32 v36, 1, v36, vcc_lo :: v_dual_bitop2_b32 v35, 1, v35 bitop3:0x40
	s_delay_alu instid0(VALU_DEP_4) | instskip(NEXT) | instid1(VALU_DEP_2)
	v_cmp_ne_u32_e32 vcc_lo, 0, v15
	v_mul_lo_u16 v6, v36, v6
	s_delay_alu instid0(VALU_DEP_3) | instskip(NEXT) | instid1(VALU_DEP_2)
	v_cndmask_b32_e64 v9, v35, 1, vcc_lo
	v_and_b32_e32 v35, 0xffff, v6
	s_delay_alu instid0(VALU_DEP_2) | instskip(NEXT) | instid1(VALU_DEP_1)
	v_lshlrev_b32_e32 v15, 16, v9
	v_or3_b32 v35, v15, v35, v5
.LBB308_146:
	s_or_b32 exec_lo, exec_lo, s29
	s_delay_alu instid0(VALU_DEP_1)
	v_lshrrev_b32_e32 v15, 16, v35
	v_mov_b32_dpp v36, v35 row_shr:2 row_mask:0xf bank_mask:0xf
	s_mov_b32 s29, exec_lo
	v_cmpx_lt_u32_e32 1, v8
	s_cbranch_execz .LBB308_148
; %bb.147:
	v_and_b32_e32 v15, 0xff, v15
	v_and_b32_e32 v35, 0x10000, v35
	s_delay_alu instid0(VALU_DEP_2) | instskip(SKIP_1) | instid1(VALU_DEP_1)
	v_cmp_eq_u16_e32 vcc_lo, 0, v15
	v_dual_lshrrev_b32 v9, 16, v36 :: v_dual_cndmask_b32 v15, 1, v36, vcc_lo
	v_and_b32_e32 v9, 1, v9
	s_delay_alu instid0(VALU_DEP_4) | instskip(NEXT) | instid1(VALU_DEP_3)
	v_cmp_ne_u32_e32 vcc_lo, 0, v35
	v_mul_lo_u16 v6, v15, v6
	s_delay_alu instid0(VALU_DEP_3) | instskip(NEXT) | instid1(VALU_DEP_2)
	v_cndmask_b32_e64 v9, v9, 1, vcc_lo
	v_and_b32_e32 v35, 0xffff, v6
	s_delay_alu instid0(VALU_DEP_2) | instskip(NEXT) | instid1(VALU_DEP_1)
	v_lshlrev_b32_e32 v15, 16, v9
	v_or3_b32 v35, v15, v35, v5
	v_mov_b32_e32 v15, v9
.LBB308_148:
	s_or_b32 exec_lo, exec_lo, s29
	s_delay_alu instid0(VALU_DEP_2)
	v_mov_b32_dpp v36, v35 row_shr:4 row_mask:0xf bank_mask:0xf
	s_mov_b32 s29, exec_lo
	v_cmpx_lt_u32_e32 3, v8
	s_cbranch_execz .LBB308_150
; %bb.149:
	v_and_b32_e32 v35, 0xff, v15
	v_dual_lshrrev_b32 v9, 16, v36 :: v_dual_bitop2_b32 v15, 1, v15 bitop3:0x40
	s_delay_alu instid0(VALU_DEP_2) | instskip(NEXT) | instid1(VALU_DEP_2)
	v_cmp_eq_u16_e32 vcc_lo, 0, v35
	v_dual_cndmask_b32 v35, 1, v36, vcc_lo :: v_dual_bitop2_b32 v9, 1, v9 bitop3:0x40
	s_delay_alu instid0(VALU_DEP_3) | instskip(NEXT) | instid1(VALU_DEP_2)
	v_cmp_eq_u32_e32 vcc_lo, 1, v15
	v_mul_lo_u16 v6, v35, v6
	s_delay_alu instid0(VALU_DEP_3) | instskip(NEXT) | instid1(VALU_DEP_2)
	v_cndmask_b32_e64 v9, v9, 1, vcc_lo
	v_and_b32_e32 v35, 0xffff, v6
	s_delay_alu instid0(VALU_DEP_2) | instskip(NEXT) | instid1(VALU_DEP_1)
	v_lshlrev_b32_e32 v15, 16, v9
	v_or3_b32 v35, v15, v35, v5
	v_mov_b32_e32 v15, v9
.LBB308_150:
	s_or_b32 exec_lo, exec_lo, s29
	s_delay_alu instid0(VALU_DEP_2)
	v_mov_b32_dpp v36, v35 row_shr:8 row_mask:0xf bank_mask:0xf
	s_mov_b32 s29, exec_lo
	v_cmpx_lt_u32_e32 7, v8
	s_cbranch_execz .LBB308_152
; %bb.151:
	v_and_b32_e32 v9, 0xff, v15
	v_dual_lshrrev_b32 v8, 16, v36 :: v_dual_bitop2_b32 v15, 1, v15 bitop3:0x40
	s_delay_alu instid0(VALU_DEP_2) | instskip(NEXT) | instid1(VALU_DEP_2)
	v_cmp_eq_u16_e32 vcc_lo, 0, v9
	v_and_b32_e32 v8, 1, v8
	v_cndmask_b32_e32 v35, 1, v36, vcc_lo
	s_delay_alu instid0(VALU_DEP_4) | instskip(NEXT) | instid1(VALU_DEP_3)
	v_cmp_eq_u32_e32 vcc_lo, 1, v15
	v_cndmask_b32_e64 v9, v8, 1, vcc_lo
	s_delay_alu instid0(VALU_DEP_1) | instskip(NEXT) | instid1(VALU_DEP_4)
	v_lshlrev_b32_e32 v8, 16, v9
	v_mul_lo_u16 v6, v35, v6
	s_delay_alu instid0(VALU_DEP_1) | instskip(NEXT) | instid1(VALU_DEP_1)
	v_and_b32_e32 v15, 0xffff, v6
	v_or3_b32 v35, v8, v15, v5
	v_mov_b32_e32 v15, v9
.LBB308_152:
	s_or_b32 exec_lo, exec_lo, s29
	ds_swizzle_b32 v8, v35 offset:swizzle(BROADCAST,32,15)
	v_and_b32_e32 v35, 16, v7
	s_mov_b32 s29, exec_lo
	s_delay_alu instid0(VALU_DEP_1)
	v_cmpx_ne_u32_e32 0, v35
	s_cbranch_execz .LBB308_154
; %bb.153:
	v_and_b32_e32 v9, 0xff, v15
	s_delay_alu instid0(VALU_DEP_1) | instskip(SKIP_2) | instid1(VALU_DEP_1)
	v_cmp_eq_u16_e32 vcc_lo, 0, v9
	s_wait_dscnt 0x0
	v_dual_lshrrev_b32 v35, 16, v8 :: v_dual_bitop2_b32 v9, 1, v15 bitop3:0x40
	v_dual_cndmask_b32 v8, 1, v8, vcc_lo :: v_dual_bitop2_b32 v15, 1, v35 bitop3:0x40
	s_delay_alu instid0(VALU_DEP_2) | instskip(NEXT) | instid1(VALU_DEP_2)
	v_cmp_eq_u32_e32 vcc_lo, 1, v9
	v_mul_lo_u16 v6, v8, v6
	s_delay_alu instid0(VALU_DEP_3)
	v_cndmask_b32_e64 v9, v15, 1, vcc_lo
.LBB308_154:
	s_or_b32 exec_lo, exec_lo, s29
	s_wait_dscnt 0x0
	s_delay_alu instid0(VALU_DEP_1) | instskip(SKIP_2) | instid1(VALU_DEP_3)
	v_and_b32_e32 v8, 0xff, v9
	v_add_nc_u32_e32 v9, -1, v7
	v_and_b32_e32 v6, 0xffff, v6
	; wave barrier
	v_lshlrev_b32_e32 v8, 16, v8
	s_delay_alu instid0(VALU_DEP_3) | instskip(NEXT) | instid1(VALU_DEP_2)
	v_cmp_gt_i32_e32 vcc_lo, 0, v9
	v_or3_b32 v5, v8, v6, v5
	v_cndmask_b32_e32 v7, v9, v7, vcc_lo
	s_delay_alu instid0(VALU_DEP_1) | instskip(SKIP_2) | instid1(VALU_DEP_1)
	v_lshlrev_b32_e32 v6, 2, v7
	ds_bpermute_b32 v5, v6, v5
	v_and_b32_e32 v6, 0xff0000, v3
	v_cmp_eq_u32_e32 vcc_lo, 0, v6
	s_wait_dscnt 0x0
	v_dual_lshrrev_b32 v7, 16, v5 :: v_dual_cndmask_b32 v5, 1, v5, vcc_lo
	v_cmp_eq_u32_e32 vcc_lo, 0, v4
	s_delay_alu instid0(VALU_DEP_2) | instskip(NEXT) | instid1(VALU_DEP_1)
	v_mul_lo_u16 v3, v5, v3
	v_dual_cndmask_b32 v3, v3, v13, s2 :: v_dual_bitop2_b32 v6, 1, v7 bitop3:0x40
	s_delay_alu instid0(VALU_DEP_1) | instskip(NEXT) | instid1(VALU_DEP_1)
	v_cndmask_b32_e32 v4, 1, v6, vcc_lo
	v_cndmask_b32_e64 v4, v4, v14, s2
	ds_store_b16 v2, v3
	ds_store_b8 v2, v4 offset:2
	; wave barrier
	ds_load_u8 v5, v2 offset:6
	ds_load_u16 v6, v2 offset:4
	ds_load_u8 v7, v2 offset:10
	ds_load_u16 v8, v2 offset:8
	ds_load_u16 v9, v2 offset:12
	ds_load_u8 v15, v2 offset:14
	ds_load_u16 v35, v2 offset:16
	ds_load_u8 v36, v2 offset:18
	s_wait_dscnt 0x7
	v_cmp_eq_u16_e32 vcc_lo, 0, v5
	v_cndmask_b32_e32 v3, 1, v3, vcc_lo
	s_wait_dscnt 0x5
	v_cmp_eq_u16_e32 vcc_lo, 0, v7
	s_delay_alu instid0(VALU_DEP_2) | instskip(NEXT) | instid1(VALU_DEP_1)
	v_mul_lo_u16 v3, v3, v6
	v_cndmask_b32_e32 v6, 1, v3, vcc_lo
	s_wait_dscnt 0x2
	v_cmp_eq_u16_e32 vcc_lo, 0, v15
	s_delay_alu instid0(VALU_DEP_2)
	v_mul_lo_u16 v6, v6, v8
	v_and_b32_e32 v5, 1, v5
	ds_load_u8 v8, v2 offset:22
	ds_load_u16 v38, v2 offset:20
	ds_load_u8 v39, v2 offset:26
	ds_load_u8 v40, v2 offset:30
	v_cndmask_b32_e32 v37, 1, v6, vcc_lo
	v_cmp_eq_u32_e32 vcc_lo, 1, v5
	v_and_b32_e32 v5, 1, v15
	s_delay_alu instid0(VALU_DEP_3)
	v_mul_lo_u16 v9, v37, v9
	v_cndmask_b32_e64 v4, v4, 1, vcc_lo
	s_wait_dscnt 0x4
	v_cmp_eq_u16_e32 vcc_lo, 0, v36
	v_and_b32_e32 v7, 1, v7
	ds_load_u16 v37, v2 offset:24
	ds_load_u16 v41, v2 offset:28
	v_cndmask_b32_e32 v15, 1, v9, vcc_lo
	v_cmp_eq_u32_e32 vcc_lo, 1, v7
	s_delay_alu instid0(VALU_DEP_2)
	v_mul_lo_u16 v15, v15, v35
	v_cndmask_b32_e64 v7, v4, 1, vcc_lo
	v_cmp_eq_u32_e32 vcc_lo, 1, v5
	v_and_b32_e32 v35, 1, v36
	s_wait_dscnt 0x2
	v_and_b32_e32 v42, 1, v40
	v_cndmask_b32_e64 v5, v7, 1, vcc_lo
	v_cmp_eq_u16_e32 vcc_lo, 0, v8
	v_dual_cndmask_b32 v36, 1, v15, vcc_lo :: v_dual_bitop2_b32 v8, 1, v8 bitop3:0x40
	v_cmp_eq_u32_e32 vcc_lo, 1, v35
	s_delay_alu instid0(VALU_DEP_2) | instskip(SKIP_1) | instid1(VALU_DEP_4)
	v_mul_lo_u16 v36, v36, v38
	v_cndmask_b32_e64 v35, v5, 1, vcc_lo
	v_cmp_eq_u32_e32 vcc_lo, 1, v8
	v_and_b32_e32 v38, 1, v39
	ds_store_b16 v2, v3 offset:4
	ds_store_b8 v2, v4 offset:6
	ds_store_b16 v2, v6 offset:8
	ds_store_b8 v2, v7 offset:10
	;; [unrolled: 2-line block ×4, first 2 shown]
	v_cndmask_b32_e64 v8, v35, 1, vcc_lo
	v_cmp_eq_u16_e32 vcc_lo, 0, v39
	v_cndmask_b32_e32 v39, 1, v36, vcc_lo
	v_cmp_eq_u32_e32 vcc_lo, 1, v38
	s_wait_dscnt 0x9
	s_delay_alu instid0(VALU_DEP_2) | instskip(SKIP_2) | instid1(VALU_DEP_2)
	v_mul_lo_u16 v37, v39, v37
	v_cndmask_b32_e64 v38, v8, 1, vcc_lo
	v_cmp_eq_u32_e32 vcc_lo, 1, v42
	v_cndmask_b32_e64 v39, v38, 1, vcc_lo
	v_cmp_eq_u16_e32 vcc_lo, 0, v40
	v_cndmask_b32_e32 v40, 1, v37, vcc_lo
	s_wait_dscnt 0x8
	s_delay_alu instid0(VALU_DEP_1)
	v_mul_lo_u16 v3, v40, v41
	ds_store_b16 v2, v36 offset:20
	ds_store_b8 v2, v8 offset:22
	ds_store_b16 v2, v37 offset:24
	ds_store_b8 v2, v38 offset:26
	ds_store_b16 v2, v3 offset:28
	ds_store_b8 v2, v39 offset:30
.LBB308_155:
	s_or_b32 exec_lo, exec_lo, s28
	s_wait_dscnt 0x0
	s_barrier_signal -1
	s_barrier_wait -1
	s_and_saveexec_b32 s28, s3
	s_cbranch_execz .LBB308_157
; %bb.156:
	v_add_nc_u32_e32 v2, -1, v0
	s_delay_alu instid0(VALU_DEP_1) | instskip(NEXT) | instid1(VALU_DEP_1)
	v_lshrrev_b32_e32 v3, 3, v2
	v_and_b32_e32 v3, 0x1ffffffc, v3
	s_delay_alu instid0(VALU_DEP_1)
	v_lshl_add_u32 v2, v2, 2, v3
	ds_load_u16 v13, v2
	ds_load_u8 v14, v2 offset:2
.LBB308_157:
	s_or_b32 exec_lo, exec_lo, s28
	s_and_saveexec_b32 s28, s21
	s_cbranch_execz .LBB308_269
; %bb.158:
	v_dual_mov_b32 v9, 0 :: v_dual_add_nc_u32 v15, 32, v1
	v_mbcnt_lo_u32_b32 v35, -1, 0
	ds_load_b32 v2, v9 offset:1048
	v_cmp_eq_u32_e64 s21, 0, v35
	s_and_saveexec_b32 s29, s21
	s_cbranch_execz .LBB308_160
; %bb.159:
	v_mov_b32_e32 v3, 1
	s_wait_dscnt 0x0
	global_store_b64 v15, v[2:3], s[36:37] scale_offset scope:SCOPE_DEV
.LBB308_160:
	s_wait_xcnt 0x0
	s_or_b32 exec_lo, exec_lo, s29
	v_xad_u32 v4, v35, -1, v1
	s_mov_b32 s29, exec_lo
	s_delay_alu instid0(VALU_DEP_1) | instskip(SKIP_4) | instid1(VALU_DEP_1)
	v_add_nc_u32_e32 v8, 32, v4
	global_load_b64 v[6:7], v8, s[36:37] scale_offset scope:SCOPE_DEV
	s_wait_loadcnt 0x0
	v_and_b32_e32 v1, 0xff, v7
	s_wait_xcnt 0x0
	v_cmpx_eq_u16_e32 0, v1
	s_cbranch_execz .LBB308_164
; %bb.161:
	v_lshl_add_u64 v[8:9], v[8:9], 3, s[36:37]
	s_mov_b32 s30, 0
.LBB308_162:                            ; =>This Inner Loop Header: Depth=1
	global_load_b64 v[6:7], v[8:9], off scope:SCOPE_DEV
	s_wait_loadcnt 0x0
	v_and_b32_e32 v1, 0xff, v7
	s_delay_alu instid0(VALU_DEP_1)
	v_cmp_ne_u16_e32 vcc_lo, 0, v1
	s_or_b32 s30, vcc_lo, s30
	s_wait_xcnt 0x0
	s_and_not1_b32 exec_lo, exec_lo, s30
	s_cbranch_execnz .LBB308_162
; %bb.163:
	s_or_b32 exec_lo, exec_lo, s30
.LBB308_164:
	s_delay_alu instid0(SALU_CYCLE_1)
	s_or_b32 exec_lo, exec_lo, s29
	v_cmp_ne_u32_e32 vcc_lo, 31, v35
	v_and_b32_e32 v47, 0xffffff, v6
	v_and_b32_e32 v3, 0xff, v7
	v_bfe_u32 v9, v6, 16, 8
	s_mov_b32 s29, exec_lo
	v_add_co_ci_u32_e64 v1, null, 0, v35, vcc_lo
	s_delay_alu instid0(VALU_DEP_3) | instskip(SKIP_1) | instid1(VALU_DEP_3)
	v_cmp_eq_u16_e32 vcc_lo, 2, v3
	v_lshlrev_b32_e64 v3, v35, -1
	v_dual_lshrrev_b32 v8, 16, v6 :: v_dual_lshlrev_b32 v1, 2, v1
	s_delay_alu instid0(VALU_DEP_2) | instskip(SKIP_2) | instid1(VALU_DEP_1)
	v_and_or_b32 v5, vcc_lo, v3, 0x80000000
	ds_bpermute_b32 v36, v1, v47
	v_ctz_i32_b32_e32 v5, v5
	v_cmpx_lt_u32_e64 v35, v5
	s_cbranch_execz .LBB308_166
; %bb.165:
	v_and_b32_e32 v8, 0xff0000, v6
	s_delay_alu instid0(VALU_DEP_1) | instskip(SKIP_3) | instid1(VALU_DEP_1)
	v_and_b32_e32 v37, 0x10000, v8
	v_cmp_eq_u32_e32 vcc_lo, 0, v8
	s_wait_dscnt 0x0
	v_dual_cndmask_b32 v36, 1, v36 :: v_dual_lshrrev_b32 v9, 16, v36
	v_and_b32_e32 v9, 1, v9
	v_cmp_ne_u32_e32 vcc_lo, 0, v37
	s_delay_alu instid0(VALU_DEP_3) | instskip(NEXT) | instid1(VALU_DEP_3)
	v_mul_lo_u16 v6, v36, v6
	v_cndmask_b32_e64 v8, v9, 1, vcc_lo
	s_delay_alu instid0(VALU_DEP_2) | instskip(NEXT) | instid1(VALU_DEP_2)
	v_and_b32_e32 v36, 0xffff, v6
	v_lshlrev_b32_e32 v9, 16, v8
	s_delay_alu instid0(VALU_DEP_1)
	v_dual_mov_b32 v9, v8 :: v_dual_bitop2_b32 v47, v9, v36 bitop3:0x54
.LBB308_166:
	s_or_b32 exec_lo, exec_lo, s29
	v_cmp_gt_u32_e32 vcc_lo, 30, v35
	v_add_nc_u32_e32 v37, 2, v35
	s_mov_b32 s29, exec_lo
	s_wait_dscnt 0x0
	v_cndmask_b32_e64 v36, 0, 2, vcc_lo
	s_delay_alu instid0(VALU_DEP_1)
	v_add_lshl_u32 v36, v36, v35, 2
	ds_bpermute_b32 v38, v36, v47
	v_cmpx_le_u32_e64 v37, v5
	s_cbranch_execz .LBB308_168
; %bb.167:
	v_cmp_eq_u16_e32 vcc_lo, 0, v9
	s_wait_dscnt 0x0
	v_dual_lshrrev_b32 v8, 16, v38 :: v_dual_bitop2_b32 v9, 1, v9 bitop3:0x40
	s_delay_alu instid0(VALU_DEP_1) | instskip(NEXT) | instid1(VALU_DEP_2)
	v_dual_cndmask_b32 v38, 1, v38, vcc_lo :: v_dual_bitop2_b32 v8, 1, v8 bitop3:0x40
	v_cmp_eq_u32_e32 vcc_lo, 1, v9
	s_delay_alu instid0(VALU_DEP_2) | instskip(NEXT) | instid1(VALU_DEP_3)
	v_mul_lo_u16 v6, v38, v6
	v_cndmask_b32_e64 v8, v8, 1, vcc_lo
	s_delay_alu instid0(VALU_DEP_2) | instskip(NEXT) | instid1(VALU_DEP_2)
	v_and_b32_e32 v9, 0xffff, v6
	v_lshlrev_b32_e32 v38, 16, v8
	s_delay_alu instid0(VALU_DEP_1)
	v_dual_mov_b32 v9, v8 :: v_dual_bitop2_b32 v47, v38, v9 bitop3:0x54
.LBB308_168:
	s_or_b32 exec_lo, exec_lo, s29
	v_cmp_gt_u32_e32 vcc_lo, 28, v35
	v_add_nc_u32_e32 v39, 4, v35
	s_mov_b32 s29, exec_lo
	s_wait_dscnt 0x0
	v_cndmask_b32_e64 v38, 0, 4, vcc_lo
	s_delay_alu instid0(VALU_DEP_1)
	v_add_lshl_u32 v38, v38, v35, 2
	ds_bpermute_b32 v40, v38, v47
	v_cmpx_le_u32_e64 v39, v5
	s_cbranch_execz .LBB308_170
; %bb.169:
	v_cmp_eq_u16_e32 vcc_lo, 0, v9
	s_wait_dscnt 0x0
	v_dual_lshrrev_b32 v8, 16, v40 :: v_dual_bitop2_b32 v9, 1, v9 bitop3:0x40
	v_cndmask_b32_e32 v40, 1, v40, vcc_lo
	s_delay_alu instid0(VALU_DEP_2) | instskip(NEXT) | instid1(VALU_DEP_3)
	v_and_b32_e32 v8, 1, v8
	v_cmp_eq_u32_e32 vcc_lo, 1, v9
	s_delay_alu instid0(VALU_DEP_3) | instskip(NEXT) | instid1(VALU_DEP_3)
	v_mul_lo_u16 v6, v40, v6
	v_cndmask_b32_e64 v8, v8, 1, vcc_lo
	s_delay_alu instid0(VALU_DEP_2) | instskip(NEXT) | instid1(VALU_DEP_2)
	v_and_b32_e32 v9, 0xffff, v6
	v_lshlrev_b32_e32 v40, 16, v8
	s_delay_alu instid0(VALU_DEP_1)
	v_or_b32_e32 v47, v40, v9
	v_mov_b32_e32 v9, v8
.LBB308_170:
	s_or_b32 exec_lo, exec_lo, s29
	v_cmp_gt_u32_e32 vcc_lo, 24, v35
	v_add_nc_u32_e32 v41, 8, v35
	s_mov_b32 s29, exec_lo
	s_wait_dscnt 0x0
	v_cndmask_b32_e64 v40, 0, 8, vcc_lo
	s_delay_alu instid0(VALU_DEP_1)
	v_add_lshl_u32 v40, v40, v35, 2
	ds_bpermute_b32 v42, v40, v47
	v_cmpx_le_u32_e64 v41, v5
	s_cbranch_execz .LBB308_172
; %bb.171:
	v_cmp_eq_u16_e32 vcc_lo, 0, v9
	s_wait_dscnt 0x0
	v_dual_lshrrev_b32 v8, 16, v42 :: v_dual_bitop2_b32 v9, 1, v9 bitop3:0x40
	s_delay_alu instid0(VALU_DEP_1) | instskip(NEXT) | instid1(VALU_DEP_2)
	v_dual_cndmask_b32 v42, 1, v42, vcc_lo :: v_dual_bitop2_b32 v8, 1, v8 bitop3:0x40
	v_cmp_eq_u32_e32 vcc_lo, 1, v9
	s_delay_alu instid0(VALU_DEP_2) | instskip(NEXT) | instid1(VALU_DEP_3)
	v_mul_lo_u16 v6, v42, v6
	v_cndmask_b32_e64 v8, v8, 1, vcc_lo
	s_delay_alu instid0(VALU_DEP_2) | instskip(NEXT) | instid1(VALU_DEP_2)
	v_and_b32_e32 v9, 0xffff, v6
	v_lshlrev_b32_e32 v42, 16, v8
	s_delay_alu instid0(VALU_DEP_1)
	v_dual_mov_b32 v9, v8 :: v_dual_bitop2_b32 v47, v42, v9 bitop3:0x54
.LBB308_172:
	s_or_b32 exec_lo, exec_lo, s29
	s_wait_dscnt 0x0
	v_lshl_or_b32 v42, v35, 2, 64
	s_mov_b32 s29, exec_lo
	ds_bpermute_b32 v48, v42, v47
	v_add_nc_u32_e32 v47, 16, v35
	s_delay_alu instid0(VALU_DEP_1)
	v_cmpx_le_u32_e64 v47, v5
	s_cbranch_execz .LBB308_174
; %bb.173:
	v_cmp_eq_u16_e32 vcc_lo, 0, v9
	s_wait_dscnt 0x0
	v_dual_lshrrev_b32 v5, 16, v48 :: v_dual_bitop2_b32 v9, 1, v9 bitop3:0x40
	s_delay_alu instid0(VALU_DEP_1) | instskip(NEXT) | instid1(VALU_DEP_2)
	v_dual_cndmask_b32 v8, 1, v48, vcc_lo :: v_dual_bitop2_b32 v5, 1, v5 bitop3:0x40
	v_cmp_eq_u32_e32 vcc_lo, 1, v9
	s_delay_alu instid0(VALU_DEP_2) | instskip(NEXT) | instid1(VALU_DEP_3)
	v_mul_lo_u16 v6, v8, v6
	v_cndmask_b32_e64 v8, v5, 1, vcc_lo
.LBB308_174:
	s_or_b32 exec_lo, exec_lo, s29
	v_mov_b32_e32 v5, 0
	s_branch .LBB308_177
.LBB308_175:                            ;   in Loop: Header=BB308_177 Depth=1
	s_or_b32 exec_lo, exec_lo, s29
	v_and_b32_e32 v8, 0xff, v48
	s_delay_alu instid0(VALU_DEP_2) | instskip(SKIP_2) | instid1(VALU_DEP_3)
	v_and_b32_e32 v9, 1, v9
	v_subrev_nc_u32_e32 v4, 32, v4
	s_mov_b32 s29, 0
	v_cmp_eq_u16_e32 vcc_lo, 0, v8
	v_dual_cndmask_b32 v6, 1, v6, vcc_lo :: v_dual_bitop2_b32 v8, 1, v48 bitop3:0x40
	s_delay_alu instid0(VALU_DEP_1) | instskip(NEXT) | instid1(VALU_DEP_2)
	v_cmp_eq_u32_e32 vcc_lo, 1, v8
	v_mul_lo_u16 v6, v6, v49
	v_cndmask_b32_e64 v8, v9, 1, vcc_lo
.LBB308_176:                            ;   in Loop: Header=BB308_177 Depth=1
	s_and_b32 vcc_lo, exec_lo, s29
	s_cbranch_vccnz .LBB308_265
.LBB308_177:                            ; =>This Loop Header: Depth=1
                                        ;     Child Loop BB308_180 Depth 2
	v_and_b32_e32 v7, 0xff, v7
	s_wait_dscnt 0x0
	v_dual_mov_b32 v48, v8 :: v_dual_mov_b32 v49, v6
	s_mov_b32 s29, -1
                                        ; implicit-def: $vgpr8
	s_delay_alu instid0(VALU_DEP_2)
	v_cmp_ne_u16_e32 vcc_lo, 2, v7
                                        ; implicit-def: $vgpr6
	s_cmp_lg_u32 vcc_lo, exec_lo
	s_cbranch_scc1 .LBB308_176
; %bb.178:                              ;   in Loop: Header=BB308_177 Depth=1
	global_load_b64 v[6:7], v4, s[36:37] scale_offset scope:SCOPE_DEV
	s_mov_b32 s29, exec_lo
	s_wait_loadcnt 0x0
	v_and_b32_e32 v8, 0xff, v7
	s_wait_xcnt 0x0
	s_delay_alu instid0(VALU_DEP_1)
	v_cmpx_eq_u16_e32 0, v8
	s_cbranch_execz .LBB308_182
; %bb.179:                              ;   in Loop: Header=BB308_177 Depth=1
	v_lshl_add_u64 v[8:9], v[4:5], 3, s[36:37]
	s_mov_b32 s30, 0
.LBB308_180:                            ;   Parent Loop BB308_177 Depth=1
                                        ; =>  This Inner Loop Header: Depth=2
	global_load_b64 v[6:7], v[8:9], off scope:SCOPE_DEV
	s_wait_loadcnt 0x0
	v_and_b32_e32 v50, 0xff, v7
	s_delay_alu instid0(VALU_DEP_1)
	v_cmp_ne_u16_e32 vcc_lo, 0, v50
	s_or_b32 s30, vcc_lo, s30
	s_wait_xcnt 0x0
	s_and_not1_b32 exec_lo, exec_lo, s30
	s_cbranch_execnz .LBB308_180
; %bb.181:                              ;   in Loop: Header=BB308_177 Depth=1
	s_or_b32 exec_lo, exec_lo, s30
.LBB308_182:                            ;   in Loop: Header=BB308_177 Depth=1
	s_delay_alu instid0(SALU_CYCLE_1)
	s_or_b32 exec_lo, exec_lo, s29
	v_and_b32_e32 v51, 0xffffff, v6
	v_and_b32_e32 v8, 0xff, v7
	v_lshrrev_b32_e32 v9, 16, v6
	v_bfe_u32 v50, v6, 16, 8
	s_mov_b32 s29, exec_lo
	ds_bpermute_b32 v52, v1, v51
	v_cmp_eq_u16_e32 vcc_lo, 2, v8
	v_and_or_b32 v8, vcc_lo, v3, 0x80000000
	s_delay_alu instid0(VALU_DEP_1) | instskip(NEXT) | instid1(VALU_DEP_1)
	v_ctz_i32_b32_e32 v8, v8
	v_cmpx_lt_u32_e64 v35, v8
	s_cbranch_execz .LBB308_184
; %bb.183:                              ;   in Loop: Header=BB308_177 Depth=1
	v_and_b32_e32 v9, 0xff0000, v6
	s_delay_alu instid0(VALU_DEP_1) | instskip(SKIP_3) | instid1(VALU_DEP_1)
	v_and_b32_e32 v51, 0x10000, v9
	v_cmp_eq_u32_e32 vcc_lo, 0, v9
	s_wait_dscnt 0x0
	v_dual_lshrrev_b32 v50, 16, v52 :: v_dual_cndmask_b32 v52, 1, v52, vcc_lo
	v_and_b32_e32 v50, 1, v50
	v_cmp_ne_u32_e32 vcc_lo, 0, v51
	s_delay_alu instid0(VALU_DEP_3) | instskip(NEXT) | instid1(VALU_DEP_3)
	v_mul_lo_u16 v6, v52, v6
	v_cndmask_b32_e64 v9, v50, 1, vcc_lo
	s_delay_alu instid0(VALU_DEP_2) | instskip(NEXT) | instid1(VALU_DEP_2)
	v_and_b32_e32 v51, 0xffff, v6
	v_lshlrev_b32_e32 v50, 16, v9
	s_delay_alu instid0(VALU_DEP_1)
	v_dual_mov_b32 v50, v9 :: v_dual_bitop2_b32 v51, v50, v51 bitop3:0x54
.LBB308_184:                            ;   in Loop: Header=BB308_177 Depth=1
	s_or_b32 exec_lo, exec_lo, s29
	s_wait_dscnt 0x0
	ds_bpermute_b32 v52, v36, v51
	s_mov_b32 s29, exec_lo
	v_cmpx_le_u32_e64 v37, v8
	s_cbranch_execz .LBB308_186
; %bb.185:                              ;   in Loop: Header=BB308_177 Depth=1
	v_cmp_eq_u16_e32 vcc_lo, 0, v50
	s_wait_dscnt 0x0
	v_dual_lshrrev_b32 v9, 16, v52 :: v_dual_bitop2_b32 v50, 1, v50 bitop3:0x40
	s_delay_alu instid0(VALU_DEP_1) | instskip(NEXT) | instid1(VALU_DEP_2)
	v_dual_cndmask_b32 v51, 1, v52, vcc_lo :: v_dual_bitop2_b32 v9, 1, v9 bitop3:0x40
	v_cmp_eq_u32_e32 vcc_lo, 1, v50
	s_delay_alu instid0(VALU_DEP_2) | instskip(NEXT) | instid1(VALU_DEP_3)
	v_mul_lo_u16 v6, v51, v6
	v_cndmask_b32_e64 v9, v9, 1, vcc_lo
	s_delay_alu instid0(VALU_DEP_2) | instskip(NEXT) | instid1(VALU_DEP_2)
	v_and_b32_e32 v50, 0xffff, v6
	v_lshlrev_b32_e32 v51, 16, v9
	s_delay_alu instid0(VALU_DEP_1)
	v_dual_mov_b32 v50, v9 :: v_dual_bitop2_b32 v51, v51, v50 bitop3:0x54
.LBB308_186:                            ;   in Loop: Header=BB308_177 Depth=1
	s_or_b32 exec_lo, exec_lo, s29
	s_wait_dscnt 0x0
	ds_bpermute_b32 v52, v38, v51
	s_mov_b32 s29, exec_lo
	v_cmpx_le_u32_e64 v39, v8
	s_cbranch_execz .LBB308_188
; %bb.187:                              ;   in Loop: Header=BB308_177 Depth=1
	v_cmp_eq_u16_e32 vcc_lo, 0, v50
	s_wait_dscnt 0x0
	v_dual_lshrrev_b32 v9, 16, v52 :: v_dual_bitop2_b32 v50, 1, v50 bitop3:0x40
	s_delay_alu instid0(VALU_DEP_1) | instskip(NEXT) | instid1(VALU_DEP_2)
	v_dual_cndmask_b32 v51, 1, v52, vcc_lo :: v_dual_bitop2_b32 v9, 1, v9 bitop3:0x40
	v_cmp_eq_u32_e32 vcc_lo, 1, v50
	s_delay_alu instid0(VALU_DEP_2) | instskip(NEXT) | instid1(VALU_DEP_3)
	v_mul_lo_u16 v6, v51, v6
	v_cndmask_b32_e64 v9, v9, 1, vcc_lo
	s_delay_alu instid0(VALU_DEP_2) | instskip(NEXT) | instid1(VALU_DEP_2)
	v_and_b32_e32 v50, 0xffff, v6
	v_lshlrev_b32_e32 v51, 16, v9
	s_delay_alu instid0(VALU_DEP_1)
	v_dual_mov_b32 v50, v9 :: v_dual_bitop2_b32 v51, v51, v50 bitop3:0x54
.LBB308_188:                            ;   in Loop: Header=BB308_177 Depth=1
	s_or_b32 exec_lo, exec_lo, s29
	s_wait_dscnt 0x0
	ds_bpermute_b32 v52, v40, v51
	s_mov_b32 s29, exec_lo
	v_cmpx_le_u32_e64 v41, v8
	s_cbranch_execz .LBB308_190
; %bb.189:                              ;   in Loop: Header=BB308_177 Depth=1
	v_cmp_eq_u16_e32 vcc_lo, 0, v50
	s_wait_dscnt 0x0
	v_dual_lshrrev_b32 v9, 16, v52 :: v_dual_bitop2_b32 v50, 1, v50 bitop3:0x40
	s_delay_alu instid0(VALU_DEP_1) | instskip(NEXT) | instid1(VALU_DEP_2)
	v_dual_cndmask_b32 v51, 1, v52, vcc_lo :: v_dual_bitop2_b32 v9, 1, v9 bitop3:0x40
	v_cmp_eq_u32_e32 vcc_lo, 1, v50
	s_delay_alu instid0(VALU_DEP_2) | instskip(NEXT) | instid1(VALU_DEP_3)
	v_mul_lo_u16 v6, v51, v6
	v_cndmask_b32_e64 v9, v9, 1, vcc_lo
	s_delay_alu instid0(VALU_DEP_2) | instskip(NEXT) | instid1(VALU_DEP_2)
	v_and_b32_e32 v50, 0xffff, v6
	v_lshlrev_b32_e32 v51, 16, v9
	s_delay_alu instid0(VALU_DEP_1)
	v_dual_mov_b32 v50, v9 :: v_dual_bitop2_b32 v51, v51, v50 bitop3:0x54
.LBB308_190:                            ;   in Loop: Header=BB308_177 Depth=1
	s_or_b32 exec_lo, exec_lo, s29
	ds_bpermute_b32 v51, v42, v51
	s_mov_b32 s29, exec_lo
	v_cmpx_le_u32_e64 v47, v8
	s_cbranch_execz .LBB308_175
; %bb.191:                              ;   in Loop: Header=BB308_177 Depth=1
	v_cmp_eq_u16_e32 vcc_lo, 0, v50
	s_wait_dscnt 0x0
	v_dual_lshrrev_b32 v50, 16, v51 :: v_dual_bitop2_b32 v9, 1, v50 bitop3:0x40
	v_cndmask_b32_e32 v8, 1, v51, vcc_lo
	s_delay_alu instid0(VALU_DEP_2) | instskip(NEXT) | instid1(VALU_DEP_2)
	v_cmp_eq_u32_e32 vcc_lo, 1, v9
	v_mul_lo_u16 v6, v8, v6
	s_delay_alu instid0(VALU_DEP_4)
	v_cndmask_b32_e64 v9, v50, 1, vcc_lo
	s_branch .LBB308_175
.LBB308_192:
                                        ; implicit-def: $vgpr47
                                        ; implicit-def: $vgpr1
                                        ; implicit-def: $vgpr4
                                        ; implicit-def: $vgpr5
                                        ; implicit-def: $vgpr6
                                        ; implicit-def: $vgpr7
                                        ; implicit-def: $vgpr8
                                        ; implicit-def: $vgpr12
                                        ; implicit-def: $vgpr9
                                        ; implicit-def: $vgpr13
                                        ; implicit-def: $vgpr14
                                        ; implicit-def: $vgpr15
                                        ; implicit-def: $vgpr35
                                        ; implicit-def: $vgpr36
                                        ; implicit-def: $vgpr37
                                        ; implicit-def: $vgpr39
                                        ; implicit-def: $vgpr38
                                        ; implicit-def: $vgpr40
                                        ; implicit-def: $vgpr41
                                        ; implicit-def: $vgpr42
	s_cbranch_execnz .LBB308_272
.LBB308_193:
	s_add_nc_u64 s[0:1], s[22:23], s[34:35]
	s_and_b32 vcc_lo, exec_lo, s33
	s_add_nc_u64 s[0:1], s[0:1], s[24:25]
	s_cbranch_vccz .LBB308_291
.LBB308_194:
	v_mul_u32_u24_e32 v2, 20, v0
	s_add_co_i32 s39, s39, s38
	s_mov_b32 s2, exec_lo
	s_delay_alu instid0(VALU_DEP_1)
	v_cmpx_gt_u32_e64 s39, v2
	s_cbranch_execz .LBB308_226
; %bb.195:
	v_or_b32_e32 v3, 1, v2
	s_mov_b32 s3, exec_lo
	s_delay_alu instid0(VALU_DEP_1)
	v_cmpx_gt_u32_e64 s39, v3
	s_cbranch_execz .LBB308_225
; %bb.196:
	v_or_b32_e32 v3, 2, v2
	;; [unrolled: 6-line block ×3, first 2 shown]
	s_mov_b32 s5, exec_lo
	s_delay_alu instid0(VALU_DEP_1)
	v_cmpx_gt_u32_e64 s39, v3
	s_cbranch_execz .LBB308_223
; %bb.198:
	v_add_nc_u32_e32 v3, 4, v2
	s_mov_b32 s6, exec_lo
	s_delay_alu instid0(VALU_DEP_1)
	v_cmpx_gt_u32_e64 s39, v3
	s_cbranch_execz .LBB308_222
; %bb.199:
	v_add_nc_u32_e32 v3, 5, v2
	;; [unrolled: 6-line block ×12, first 2 shown]
	s_mov_b32 s17, exec_lo
	s_delay_alu instid0(VALU_DEP_1)
	v_cmpx_gt_u32_e64 s39, v3
; %bb.210:
	v_add_nc_u32_e32 v3, 16, v2
	s_mov_b32 s18, exec_lo
	s_delay_alu instid0(VALU_DEP_1)
	v_cmpx_gt_u32_e64 s39, v3
	s_or_b32 exec_lo, exec_lo, s18
; %bb.211:
	s_delay_alu instid0(SALU_CYCLE_1)
	s_or_b32 exec_lo, exec_lo, s17
.LBB308_212:
	s_delay_alu instid0(SALU_CYCLE_1)
	s_or_b32 exec_lo, exec_lo, s16
.LBB308_213:
	s_delay_alu instid0(SALU_CYCLE_1)
	s_or_b32 exec_lo, exec_lo, s15
.LBB308_214:
	s_delay_alu instid0(SALU_CYCLE_1)
	s_or_b32 exec_lo, exec_lo, s14
.LBB308_215:
	s_delay_alu instid0(SALU_CYCLE_1)
	s_or_b32 exec_lo, exec_lo, s13
.LBB308_216:
	s_delay_alu instid0(SALU_CYCLE_1)
	s_or_b32 exec_lo, exec_lo, s12
.LBB308_217:
	s_delay_alu instid0(SALU_CYCLE_1)
	s_or_b32 exec_lo, exec_lo, s11
.LBB308_218:
	s_delay_alu instid0(SALU_CYCLE_1)
	s_or_b32 exec_lo, exec_lo, s10
.LBB308_219:
	s_delay_alu instid0(SALU_CYCLE_1)
	s_or_b32 exec_lo, exec_lo, s9
.LBB308_220:
	s_delay_alu instid0(SALU_CYCLE_1)
	s_or_b32 exec_lo, exec_lo, s8
.LBB308_221:
	s_delay_alu instid0(SALU_CYCLE_1)
	s_or_b32 exec_lo, exec_lo, s7
.LBB308_222:
	s_delay_alu instid0(SALU_CYCLE_1)
	s_or_b32 exec_lo, exec_lo, s6
.LBB308_223:
	s_delay_alu instid0(SALU_CYCLE_1)
	s_or_b32 exec_lo, exec_lo, s5
.LBB308_224:
	s_delay_alu instid0(SALU_CYCLE_1)
	s_or_b32 exec_lo, exec_lo, s4
.LBB308_225:
	s_delay_alu instid0(SALU_CYCLE_1)
	s_or_b32 exec_lo, exec_lo, s3
.LBB308_226:
	s_delay_alu instid0(SALU_CYCLE_1)
	s_or_b32 exec_lo, exec_lo, s2
	v_dual_mov_b32 v11, 0 :: v_dual_lshlrev_b32 v32, 1, v2
	v_perm_b32 v3, v12, v8, 0x5040100
	v_perm_b32 v2, v7, v6, 0x5040100
	;; [unrolled: 1-line block ×10, first 2 shown]
	s_wait_storecnt 0x0
	s_barrier_signal -1
	s_barrier_wait -1
	ds_store_2addr_b64 v32, v[16:17], v[2:3] offset1:1
	ds_store_2addr_b64 v32, v[20:21], v[18:19] offset0:2 offset1:3
	ds_store_b64 v32, v[22:23] offset:32
	v_mad_i32_i24 v2, 0xffffffda, v0, v32
	s_wait_dscnt 0x0
	s_barrier_signal -1
	s_barrier_wait -1
	ds_load_u16 v43, v2 offset:512
	ds_load_u16 v34, v2 offset:1024
	;; [unrolled: 1-line block ×19, first 2 shown]
	v_add_nc_u64_e32 v[2:3], s[0:1], v[10:11]
	s_mov_b32 s2, exec_lo
	v_cmpx_gt_u32_e64 s39, v0
	s_cbranch_execz .LBB308_228
; %bb.227:
	v_mul_i32_i24_e32 v10, 0xffffffda, v0
	s_delay_alu instid0(VALU_DEP_1)
	v_add_nc_u32_e32 v10, v32, v10
	ds_load_u16 v10, v10
	s_wait_dscnt 0x0
	flat_store_b16 v[2:3], v10
.LBB308_228:
	s_wait_xcnt 0x0
	s_or_b32 exec_lo, exec_lo, s2
	v_or_b32_e32 v10, 0x100, v0
	s_mov_b32 s2, exec_lo
	s_delay_alu instid0(VALU_DEP_1)
	v_cmpx_gt_u32_e64 s39, v10
	s_cbranch_execz .LBB308_230
; %bb.229:
	s_wait_dscnt 0x12
	flat_store_b16 v[2:3], v43 offset:512
.LBB308_230:
	s_wait_xcnt 0x0
	s_or_b32 exec_lo, exec_lo, s2
	v_or_b32_e32 v10, 0x200, v0
	s_mov_b32 s2, exec_lo
	s_delay_alu instid0(VALU_DEP_1)
	v_cmpx_gt_u32_e64 s39, v10
	s_cbranch_execz .LBB308_232
; %bb.231:
	s_wait_dscnt 0x11
	flat_store_b16 v[2:3], v34 offset:1024
.LBB308_232:
	;; [unrolled: 11-line block ×18, first 2 shown]
	s_wait_xcnt 0x0
	s_or_b32 exec_lo, exec_lo, s2
	v_or_b32_e32 v2, 0x1300, v0
	s_delay_alu instid0(VALU_DEP_1)
	v_cmp_gt_u32_e64 s2, s39, v2
	s_branch .LBB308_293
.LBB308_265:
	s_and_saveexec_b32 s29, s21
	s_cbranch_execz .LBB308_267
; %bb.266:
	v_and_b32_e32 v1, 0xff0000, v2
	v_and_b32_e32 v4, 0x10000, v2
	s_delay_alu instid0(VALU_DEP_2) | instskip(SKIP_1) | instid1(VALU_DEP_3)
	v_cmp_eq_u32_e32 vcc_lo, 0, v1
	v_dual_cndmask_b32 v1, 1, v49, vcc_lo :: v_dual_bitop2_b32 v3, 1, v48 bitop3:0x40
	v_cmp_eq_u32_e32 vcc_lo, 0, v4
	s_delay_alu instid0(VALU_DEP_2) | instskip(NEXT) | instid1(VALU_DEP_1)
	v_mul_lo_u16 v1, v1, v2
	v_and_b32_e32 v1, 0xffff, v1
	s_delay_alu instid0(VALU_DEP_4) | instskip(NEXT) | instid1(VALU_DEP_1)
	v_lshlrev_b32_e32 v3, 16, v3
	v_dual_cndmask_b32 v2, 0x10000, v3 :: v_dual_mov_b32 v3, 2
	s_delay_alu instid0(VALU_DEP_1)
	v_or_b32_e32 v2, v2, v1
	global_store_b64 v15, v[2:3], s[36:37] scale_offset scope:SCOPE_DEV
.LBB308_267:
	s_wait_xcnt 0x0
	s_or_b32 exec_lo, exec_lo, s29
	s_delay_alu instid0(SALU_CYCLE_1)
	s_and_b32 exec_lo, exec_lo, s2
	s_cbranch_execz .LBB308_269
; %bb.268:
	v_mov_b32_e32 v1, 0
	ds_store_b16 v1, v49
	ds_store_b8 v1, v48 offset:2
.LBB308_269:
	s_or_b32 exec_lo, exec_lo, s28
	v_dual_mov_b32 v1, 0 :: v_dual_mov_b32 v2, v31
	s_wait_storecnt_dscnt 0x0
	s_barrier_signal -1
	s_barrier_wait -1
	ds_load_b32 v1, v1
	s_and_saveexec_b32 s21, s3
; %bb.270:
	v_and_b32_e32 v2, 0x10000, v31
	v_cmp_gt_u32_e32 vcc_lo, 0x10000, v31
	v_cndmask_b32_e32 v3, 1, v13, vcc_lo
	s_delay_alu instid0(VALU_DEP_3) | instskip(NEXT) | instid1(VALU_DEP_2)
	v_cmp_ne_u32_e32 vcc_lo, 0, v2
	v_mul_lo_u16 v2, v3, v31
	v_cndmask_b32_e64 v12, v14, 1, vcc_lo
; %bb.271:
	s_or_b32 exec_lo, exec_lo, s21
	s_delay_alu instid0(VALU_DEP_1) | instskip(NEXT) | instid1(VALU_DEP_1)
	v_and_b32_e32 v3, 0xff, v12
	v_cmp_eq_u16_e32 vcc_lo, 0, v3
	s_wait_dscnt 0x0
	v_cndmask_b32_e32 v1, 1, v1, vcc_lo
	s_delay_alu instid0(VALU_DEP_1) | instskip(NEXT) | instid1(VALU_DEP_1)
	v_mul_lo_u16 v2, v1, v2
	v_cndmask_b32_e64 v1, 1, v2, s20
	v_and_b32_e32 v47, 0xffff, v2
	s_delay_alu instid0(VALU_DEP_2) | instskip(NEXT) | instid1(VALU_DEP_1)
	v_mul_lo_u16 v1, v1, v34
	v_cndmask_b32_e64 v3, 1, v1, s19
	s_delay_alu instid0(VALU_DEP_1) | instskip(NEXT) | instid1(VALU_DEP_1)
	v_mul_lo_u16 v4, v3, v33
	v_cndmask_b32_e64 v3, 1, v4, s18
	s_delay_alu instid0(VALU_DEP_1) | instskip(NEXT) | instid1(VALU_DEP_1)
	;; [unrolled: 3-line block ×17, first 2 shown]
	v_mul_lo_u16 v41, v3, v16
	v_cndmask_b32_e64 v3, 1, v41, s0
	s_delay_alu instid0(VALU_DEP_1)
	v_mul_lo_u16 v42, v3, v11
	s_branch .LBB308_193
.LBB308_272:
	s_cmp_lg_u64 s[40:41], 0
	s_cselect_b32 s0, -1, 0
	s_cmp_lg_u64 s[26:27], 0
	s_cselect_b32 s1, -1, 0
	s_delay_alu instid0(SALU_CYCLE_1) | instskip(NEXT) | instid1(SALU_CYCLE_1)
	s_and_b32 s0, s0, s1
	s_and_b32 s1, s2, s0
	s_delay_alu instid0(SALU_CYCLE_1)
	s_and_saveexec_b32 s0, s1
	s_cbranch_execz .LBB308_274
; %bb.273:
	v_mov_b32_e32 v1, 0
	v_cmp_gt_u32_e32 vcc_lo, 0x10000, v31
	s_clause 0x1
	global_load_u16 v2, v1, s[26:27]
	global_load_u8 v3, v1, s[26:27] offset:2
	s_wait_loadcnt 0x0
	v_dual_cndmask_b32 v1, 1, v2, vcc_lo :: v_dual_bitop2_b32 v2, 1, v3 bitop3:0x40
	v_and_b32_e32 v3, 0x10000, v31
	s_delay_alu instid0(VALU_DEP_2) | instskip(NEXT) | instid1(VALU_DEP_3)
	v_lshlrev_b32_e32 v2, 16, v2
	v_mul_lo_u16 v1, v1, v31
	s_delay_alu instid0(VALU_DEP_3) | instskip(NEXT) | instid1(VALU_DEP_2)
	v_cmp_eq_u32_e32 vcc_lo, 0, v3
	v_and_b32_e32 v1, 0xffff, v1
	s_delay_alu instid0(VALU_DEP_4) | instskip(NEXT) | instid1(VALU_DEP_1)
	v_cndmask_b32_e32 v2, 0x10000, v2, vcc_lo
	v_or_b32_e32 v31, v2, v1
.LBB308_274:
	s_or_b32 exec_lo, exec_lo, s0
	v_cmp_gt_u32_e32 vcc_lo, 0x10000, v34
	v_cmp_gt_u32_e64 s1, 0x10000, v32
	v_cmp_gt_u32_e64 s0, 0x10000, v33
	;; [unrolled: 1-line block ×4, first 2 shown]
	v_cndmask_b32_e32 v1, 1, v31, vcc_lo
	v_cmp_gt_u32_e64 s5, 0x10000, v29
	v_cmp_gt_u32_e64 s6, 0x10000, v28
	;; [unrolled: 1-line block ×4, first 2 shown]
	v_mul_lo_u16 v1, v1, v34
	v_cmp_gt_u32_e64 s8, 0x10000, v26
	v_cmp_gt_u32_e64 s9, 0x10000, v25
	;; [unrolled: 1-line block ×4, first 2 shown]
	v_cndmask_b32_e64 v2, 1, v1, s0
	v_cmp_gt_u32_e64 s12, 0x10000, v22
	v_cmp_gt_u32_e64 s13, 0x10000, v21
	;; [unrolled: 1-line block ×4, first 2 shown]
	v_mul_lo_u16 v4, v2, v33
	v_cmp_gt_u32_e64 s16, 0x10000, v18
	v_cmp_gt_u32_e64 s17, 0x10000, v17
	v_or3_b32 v3, v44, v30, v32
	s_mov_b32 s21, exec_lo
	v_dual_cndmask_b32 v2, 1, v4, s1 :: v_dual_bitop2_b32 v42, 28, v45 bitop3:0x40
	s_delay_alu instid0(VALU_DEP_2) | instskip(NEXT) | instid1(VALU_DEP_2)
	v_or3_b32 v3, v3, v33, v34
	v_mul_lo_u16 v5, v2, v32
	s_delay_alu instid0(VALU_DEP_3) | instskip(NEXT) | instid1(VALU_DEP_2)
	v_lshl_add_u32 v44, v0, 2, v42
	v_cndmask_b32_e64 v2, 1, v5, s4
	s_delay_alu instid0(VALU_DEP_1) | instskip(NEXT) | instid1(VALU_DEP_1)
	v_mul_lo_u16 v6, v2, v30
	v_cndmask_b32_e64 v2, 1, v6, s5
	s_delay_alu instid0(VALU_DEP_1) | instskip(NEXT) | instid1(VALU_DEP_1)
	v_mul_lo_u16 v7, v2, v29
	;; [unrolled: 3-line block ×13, first 2 shown]
	v_cndmask_b32_e64 v2, 1, v38, s17
	s_delay_alu instid0(VALU_DEP_1) | instskip(SKIP_1) | instid1(VALU_DEP_2)
	v_mul_lo_u16 v40, v2, v17
	v_or3_b32 v2, v46, v22, v23
	v_cndmask_b32_e64 v41, 1, v40, s18
	s_delay_alu instid0(VALU_DEP_2) | instskip(NEXT) | instid1(VALU_DEP_2)
	v_or3_b32 v2, v2, v24, v25
	v_mul_lo_u16 v41, v41, v16
	s_delay_alu instid0(VALU_DEP_2) | instskip(NEXT) | instid1(VALU_DEP_2)
	v_or3_b32 v2, v11, v43, v2
	v_cndmask_b32_e64 v43, 1, v41, s19
	s_delay_alu instid0(VALU_DEP_2) | instskip(SKIP_1) | instid1(VALU_DEP_3)
	v_bitop3_b32 v2, v2, 0xff0000, v3 bitop3:0xc8
	v_lshrrev_b32_e32 v3, 16, v31
	v_mul_lo_u16 v42, v43, v11
	s_delay_alu instid0(VALU_DEP_3) | instskip(NEXT) | instid1(VALU_DEP_1)
	v_cmp_eq_u32_e64 s20, 0, v2
	v_cndmask_b32_e64 v3, 1, v3, s20
	ds_store_b16 v44, v42
	ds_store_b8 v44, v3 offset:2
	s_wait_dscnt 0x0
	s_barrier_signal -1
	s_barrier_wait -1
	v_cmpx_gt_u32_e32 32, v0
	s_cbranch_execz .LBB308_286
; %bb.275:
	v_and_b32_e32 v2, 0xfc, v0
	v_lshlrev_b32_e32 v43, 5, v0
	s_mov_b32 s26, exec_lo
	s_delay_alu instid0(VALU_DEP_1)
	v_add_nc_u32_e32 v2, v2, v43
	ds_load_u8 v44, v2 offset:6
	ds_load_b32 v43, v2
	ds_load_u16 v45, v2 offset:4
	ds_load_u8 v46, v2 offset:10
	ds_load_u16 v47, v2 offset:8
	ds_load_u16 v48, v2 offset:12
	ds_load_u8 v49, v2 offset:14
	ds_load_u16 v50, v2 offset:16
	s_wait_dscnt 0x7
	v_cmp_eq_u16_e64 s20, 0, v44
	s_wait_dscnt 0x4
	s_delay_alu instid0(VALU_DEP_1) | instskip(SKIP_1) | instid1(VALU_DEP_2)
	v_dual_cndmask_b32 v51, 1, v43, s20 :: v_dual_bitop2_b32 v44, v46, v44 bitop3:0x54
	v_cmp_eq_u16_e64 s20, 0, v46
	v_mul_lo_u16 v45, v51, v45
	ds_load_u8 v51, v2 offset:18
	v_cndmask_b32_e64 v45, 1, v45, s20
	s_wait_dscnt 0x2
	v_cmp_eq_u16_e64 s20, 0, v49
	s_delay_alu instid0(VALU_DEP_2) | instskip(SKIP_2) | instid1(VALU_DEP_1)
	v_mul_lo_u16 v45, v45, v47
	ds_load_u8 v47, v2 offset:22
	v_cndmask_b32_e64 v45, 1, v45, s20
	v_mul_lo_u16 v45, v45, v48
	ds_load_u16 v48, v2 offset:20
	ds_load_u16 v52, v2 offset:24
	ds_load_u8 v53, v2 offset:26
	ds_load_u16 v54, v2 offset:28
	ds_load_u8 v55, v2 offset:30
	s_wait_dscnt 0x6
	v_cmp_eq_u16_e64 s20, 0, v51
	v_bitop3_b16 v46, v44, v51, v49 bitop3:0xfe
	v_and_b32_e32 v44, 0x10000, v43
	s_delay_alu instid0(VALU_DEP_3)
	v_cndmask_b32_e64 v45, 1, v45, s20
	s_wait_dscnt 0x5
	v_cmp_eq_u16_e64 s20, 0, v47
	s_wait_dscnt 0x2
	v_bitop3_b16 v46, v46, v53, v47 bitop3:0xfe
	s_wait_dscnt 0x0
	v_and_b32_e32 v47, 1, v55
	v_mul_lo_u16 v45, v45, v50
	s_delay_alu instid0(VALU_DEP_1) | instskip(SKIP_1) | instid1(VALU_DEP_2)
	v_cndmask_b32_e64 v45, 1, v45, s20
	v_cmp_eq_u16_e64 s20, 0, v53
	v_mul_lo_u16 v45, v45, v48
	s_delay_alu instid0(VALU_DEP_1) | instskip(SKIP_1) | instid1(VALU_DEP_2)
	v_cndmask_b32_e64 v45, 1, v45, s20
	v_cmp_eq_u16_e64 s20, 0, v55
	;; [unrolled: 4-line block ×3, first 2 shown]
	v_mul_lo_u16 v46, v45, v54
	s_delay_alu instid0(VALU_DEP_2) | instskip(SKIP_4) | instid1(VALU_DEP_4)
	v_cndmask_b32_e64 v48, 0x10000, v44, s20
	v_cmp_eq_u32_e64 s20, 1, v47
	v_and_b32_e32 v45, 0xff000000, v43
	v_mbcnt_lo_u32_b32 v47, -1, 0
	v_and_b32_e32 v49, 0xffff, v46
	v_cndmask_b32_e64 v48, v48, 0x10000, s20
	s_delay_alu instid0(VALU_DEP_1) | instskip(NEXT) | instid1(VALU_DEP_3)
	v_or_b32_e32 v50, v48, v45
	v_or3_b32 v51, v45, v49, v48
	s_delay_alu instid0(VALU_DEP_2) | instskip(NEXT) | instid1(VALU_DEP_2)
	v_dual_lshrrev_b32 v49, 16, v50 :: v_dual_bitop2_b32 v48, 15, v47 bitop3:0x40
	v_mov_b32_dpp v52, v51 row_shr:1 row_mask:0xf bank_mask:0xf
	s_delay_alu instid0(VALU_DEP_2)
	v_cmpx_ne_u32_e32 0, v48
	s_cbranch_execz .LBB308_277
; %bb.276:
	s_delay_alu instid0(VALU_DEP_2) | instskip(SKIP_1) | instid1(VALU_DEP_2)
	v_dual_lshrrev_b32 v49, 16, v50 :: v_dual_lshrrev_b32 v51, 16, v52
	v_and_b32_e32 v50, 0x10000, v50
	v_and_b32_e32 v49, 0xff, v49
	s_delay_alu instid0(VALU_DEP_1) | instskip(NEXT) | instid1(VALU_DEP_1)
	v_cmp_eq_u16_e64 s20, 0, v49
	v_dual_cndmask_b32 v52, 1, v52, s20 :: v_dual_bitop2_b32 v51, 1, v51 bitop3:0x40
	s_delay_alu instid0(VALU_DEP_4) | instskip(NEXT) | instid1(VALU_DEP_2)
	v_cmp_ne_u32_e64 s20, 0, v50
	v_mul_lo_u16 v46, v52, v46
	s_delay_alu instid0(VALU_DEP_2) | instskip(NEXT) | instid1(VALU_DEP_2)
	v_cndmask_b32_e64 v49, v51, 1, s20
	v_and_b32_e32 v51, 0xffff, v46
	s_delay_alu instid0(VALU_DEP_2) | instskip(NEXT) | instid1(VALU_DEP_1)
	v_lshlrev_b32_e32 v50, 16, v49
	v_or3_b32 v51, v50, v51, v45
.LBB308_277:
	s_or_b32 exec_lo, exec_lo, s26
	s_delay_alu instid0(VALU_DEP_1)
	v_lshrrev_b32_e32 v50, 16, v51
	v_mov_b32_dpp v52, v51 row_shr:2 row_mask:0xf bank_mask:0xf
	s_mov_b32 s26, exec_lo
	v_cmpx_lt_u32_e32 1, v48
	s_cbranch_execz .LBB308_279
; %bb.278:
	v_and_b32_e32 v50, 0xff, v50
	v_and_b32_e32 v51, 0x10000, v51
	s_delay_alu instid0(VALU_DEP_2) | instskip(NEXT) | instid1(VALU_DEP_1)
	v_cmp_eq_u16_e64 s20, 0, v50
	v_dual_lshrrev_b32 v49, 16, v52 :: v_dual_cndmask_b32 v50, 1, v52, s20
	s_delay_alu instid0(VALU_DEP_1) | instskip(NEXT) | instid1(VALU_DEP_4)
	v_and_b32_e32 v49, 1, v49
	v_cmp_ne_u32_e64 s20, 0, v51
	s_delay_alu instid0(VALU_DEP_3) | instskip(NEXT) | instid1(VALU_DEP_2)
	v_mul_lo_u16 v46, v50, v46
	v_cndmask_b32_e64 v49, v49, 1, s20
	s_delay_alu instid0(VALU_DEP_2) | instskip(NEXT) | instid1(VALU_DEP_2)
	v_and_b32_e32 v51, 0xffff, v46
	v_lshlrev_b32_e32 v50, 16, v49
	s_delay_alu instid0(VALU_DEP_1)
	v_or3_b32 v51, v50, v51, v45
	v_mov_b32_e32 v50, v49
.LBB308_279:
	s_or_b32 exec_lo, exec_lo, s26
	s_delay_alu instid0(VALU_DEP_2)
	v_mov_b32_dpp v52, v51 row_shr:4 row_mask:0xf bank_mask:0xf
	s_mov_b32 s26, exec_lo
	v_cmpx_lt_u32_e32 3, v48
	s_cbranch_execz .LBB308_281
; %bb.280:
	v_and_b32_e32 v51, 0xff, v50
	v_dual_lshrrev_b32 v49, 16, v52 :: v_dual_bitop2_b32 v50, 1, v50 bitop3:0x40
	s_delay_alu instid0(VALU_DEP_2) | instskip(NEXT) | instid1(VALU_DEP_1)
	v_cmp_eq_u16_e64 s20, 0, v51
	v_dual_cndmask_b32 v51, 1, v52, s20 :: v_dual_bitop2_b32 v49, 1, v49 bitop3:0x40
	s_delay_alu instid0(VALU_DEP_3) | instskip(NEXT) | instid1(VALU_DEP_2)
	v_cmp_eq_u32_e64 s20, 1, v50
	v_mul_lo_u16 v46, v51, v46
	s_delay_alu instid0(VALU_DEP_2) | instskip(NEXT) | instid1(VALU_DEP_2)
	v_cndmask_b32_e64 v49, v49, 1, s20
	v_and_b32_e32 v51, 0xffff, v46
	s_delay_alu instid0(VALU_DEP_2) | instskip(NEXT) | instid1(VALU_DEP_1)
	v_lshlrev_b32_e32 v50, 16, v49
	v_or3_b32 v51, v50, v51, v45
	v_mov_b32_e32 v50, v49
.LBB308_281:
	s_or_b32 exec_lo, exec_lo, s26
	s_delay_alu instid0(VALU_DEP_2)
	v_mov_b32_dpp v52, v51 row_shr:8 row_mask:0xf bank_mask:0xf
	s_mov_b32 s26, exec_lo
	v_cmpx_lt_u32_e32 7, v48
	s_cbranch_execz .LBB308_283
; %bb.282:
	v_and_b32_e32 v49, 0xff, v50
	v_dual_lshrrev_b32 v48, 16, v52 :: v_dual_bitop2_b32 v50, 1, v50 bitop3:0x40
	s_delay_alu instid0(VALU_DEP_2) | instskip(NEXT) | instid1(VALU_DEP_2)
	v_cmp_eq_u16_e64 s20, 0, v49
	v_and_b32_e32 v48, 1, v48
	s_delay_alu instid0(VALU_DEP_2) | instskip(NEXT) | instid1(VALU_DEP_4)
	v_cndmask_b32_e64 v51, 1, v52, s20
	v_cmp_eq_u32_e64 s20, 1, v50
	s_delay_alu instid0(VALU_DEP_1) | instskip(NEXT) | instid1(VALU_DEP_1)
	v_cndmask_b32_e64 v49, v48, 1, s20
	v_lshlrev_b32_e32 v48, 16, v49
	s_delay_alu instid0(VALU_DEP_4) | instskip(NEXT) | instid1(VALU_DEP_1)
	v_mul_lo_u16 v46, v51, v46
	v_and_b32_e32 v50, 0xffff, v46
	s_delay_alu instid0(VALU_DEP_1)
	v_or3_b32 v51, v48, v50, v45
	v_mov_b32_e32 v50, v49
.LBB308_283:
	s_or_b32 exec_lo, exec_lo, s26
	ds_swizzle_b32 v48, v51 offset:swizzle(BROADCAST,32,15)
	v_and_b32_e32 v51, 16, v47
	s_mov_b32 s26, exec_lo
	s_delay_alu instid0(VALU_DEP_1)
	v_cmpx_ne_u32_e32 0, v51
	s_cbranch_execz .LBB308_285
; %bb.284:
	v_and_b32_e32 v49, 0xff, v50
	s_delay_alu instid0(VALU_DEP_1) | instskip(SKIP_2) | instid1(VALU_DEP_1)
	v_cmp_eq_u16_e64 s20, 0, v49
	s_wait_dscnt 0x0
	v_dual_lshrrev_b32 v51, 16, v48 :: v_dual_bitop2_b32 v49, 1, v50 bitop3:0x40
	v_dual_cndmask_b32 v48, 1, v48, s20 :: v_dual_bitop2_b32 v50, 1, v51 bitop3:0x40
	s_delay_alu instid0(VALU_DEP_2) | instskip(NEXT) | instid1(VALU_DEP_2)
	v_cmp_eq_u32_e64 s20, 1, v49
	v_mul_lo_u16 v46, v48, v46
	s_delay_alu instid0(VALU_DEP_2)
	v_cndmask_b32_e64 v49, v50, 1, s20
.LBB308_285:
	s_or_b32 exec_lo, exec_lo, s26
	s_wait_dscnt 0x0
	s_delay_alu instid0(VALU_DEP_1) | instskip(SKIP_2) | instid1(VALU_DEP_3)
	v_and_b32_e32 v48, 0xff, v49
	v_add_nc_u32_e32 v49, -1, v47
	v_and_b32_e32 v46, 0xffff, v46
	; wave barrier
	v_lshlrev_b32_e32 v48, 16, v48
	s_delay_alu instid0(VALU_DEP_3) | instskip(NEXT) | instid1(VALU_DEP_2)
	v_cmp_gt_i32_e64 s20, 0, v49
	v_or3_b32 v45, v48, v46, v45
	s_delay_alu instid0(VALU_DEP_2) | instskip(NEXT) | instid1(VALU_DEP_1)
	v_cndmask_b32_e64 v47, v49, v47, s20
	v_lshlrev_b32_e32 v46, 2, v47
	ds_bpermute_b32 v45, v46, v45
	v_and_b32_e32 v46, 0xff0000, v43
	s_delay_alu instid0(VALU_DEP_1) | instskip(SKIP_1) | instid1(VALU_DEP_1)
	v_cmp_eq_u32_e64 s20, 0, v46
	s_wait_dscnt 0x0
	v_dual_lshrrev_b32 v47, 16, v45 :: v_dual_cndmask_b32 v45, 1, v45, s20
	v_cmp_eq_u32_e64 s20, 0, v44
	s_delay_alu instid0(VALU_DEP_2) | instskip(NEXT) | instid1(VALU_DEP_1)
	v_mul_lo_u16 v43, v45, v43
	v_dual_cndmask_b32 v43, v43, v42, s2 :: v_dual_bitop2_b32 v46, 1, v47 bitop3:0x40
	s_delay_alu instid0(VALU_DEP_1) | instskip(NEXT) | instid1(VALU_DEP_1)
	v_cndmask_b32_e64 v44, 1, v46, s20
	v_cndmask_b32_e64 v3, v44, v3, s2
	ds_store_b16 v2, v43
	ds_store_b8 v2, v3 offset:2
	; wave barrier
	ds_load_u8 v44, v2 offset:6
	ds_load_u16 v45, v2 offset:4
	ds_load_u8 v46, v2 offset:10
	ds_load_u16 v47, v2 offset:8
	ds_load_u16 v48, v2 offset:12
	ds_load_u8 v49, v2 offset:14
	ds_load_u16 v50, v2 offset:16
	ds_load_u8 v51, v2 offset:18
	s_wait_dscnt 0x7
	v_cmp_eq_u16_e64 s20, 0, v44
	s_delay_alu instid0(VALU_DEP_1) | instskip(SKIP_3) | instid1(VALU_DEP_3)
	v_dual_cndmask_b32 v43, 1, v43, s20 :: v_dual_bitop2_b32 v44, 1, v44 bitop3:0x40
	s_wait_dscnt 0x5
	v_cmp_eq_u16_e64 s20, 0, v46
	v_and_b32_e32 v46, 1, v46
	v_mul_lo_u16 v43, v43, v45
	s_delay_alu instid0(VALU_DEP_1) | instskip(SKIP_2) | instid1(VALU_DEP_2)
	v_cndmask_b32_e64 v45, 1, v43, s20
	s_wait_dscnt 0x2
	v_cmp_eq_u16_e64 s20, 0, v49
	v_mul_lo_u16 v45, v45, v47
	ds_load_u8 v47, v2 offset:22
	ds_load_u16 v53, v2 offset:20
	ds_load_u8 v54, v2 offset:26
	ds_load_u8 v55, v2 offset:30
	v_cndmask_b32_e64 v52, 1, v45, s20
	v_cmp_eq_u32_e64 s20, 1, v44
	v_and_b32_e32 v44, 1, v49
	s_delay_alu instid0(VALU_DEP_3) | instskip(NEXT) | instid1(VALU_DEP_3)
	v_mul_lo_u16 v48, v52, v48
	v_cndmask_b32_e64 v3, v3, 1, s20
	s_wait_dscnt 0x4
	v_cmp_eq_u16_e64 s20, 0, v51
	ds_load_u16 v52, v2 offset:24
	ds_load_u16 v56, v2 offset:28
	v_cndmask_b32_e64 v49, 1, v48, s20
	v_cmp_eq_u32_e64 s20, 1, v46
	s_delay_alu instid0(VALU_DEP_2) | instskip(NEXT) | instid1(VALU_DEP_2)
	v_mul_lo_u16 v49, v49, v50
	v_cndmask_b32_e64 v46, v3, 1, s20
	v_cmp_eq_u32_e64 s20, 1, v44
	v_and_b32_e32 v50, 1, v51
	s_wait_dscnt 0x2
	v_and_b32_e32 v57, 1, v55
	s_delay_alu instid0(VALU_DEP_3) | instskip(SKIP_1) | instid1(VALU_DEP_1)
	v_cndmask_b32_e64 v44, v46, 1, s20
	v_cmp_eq_u16_e64 s20, 0, v47
	v_dual_cndmask_b32 v51, 1, v49, s20 :: v_dual_bitop2_b32 v47, 1, v47 bitop3:0x40
	v_cmp_eq_u32_e64 s20, 1, v50
	s_delay_alu instid0(VALU_DEP_2) | instskip(NEXT) | instid1(VALU_DEP_2)
	v_mul_lo_u16 v51, v51, v53
	v_cndmask_b32_e64 v50, v44, 1, s20
	s_delay_alu instid0(VALU_DEP_4)
	v_cmp_eq_u32_e64 s20, 1, v47
	v_and_b32_e32 v53, 1, v54
	ds_store_b16 v2, v43 offset:4
	ds_store_b8 v2, v3 offset:6
	ds_store_b16 v2, v45 offset:8
	ds_store_b8 v2, v46 offset:10
	;; [unrolled: 2-line block ×4, first 2 shown]
	v_cndmask_b32_e64 v47, v50, 1, s20
	v_cmp_eq_u16_e64 s20, 0, v54
	s_delay_alu instid0(VALU_DEP_1) | instskip(SKIP_2) | instid1(VALU_DEP_2)
	v_cndmask_b32_e64 v54, 1, v51, s20
	v_cmp_eq_u32_e64 s20, 1, v53
	s_wait_dscnt 0x9
	v_mul_lo_u16 v52, v54, v52
	s_delay_alu instid0(VALU_DEP_2) | instskip(SKIP_1) | instid1(VALU_DEP_1)
	v_cndmask_b32_e64 v53, v47, 1, s20
	v_cmp_eq_u32_e64 s20, 1, v57
	v_cndmask_b32_e64 v54, v53, 1, s20
	v_cmp_eq_u16_e64 s20, 0, v55
	s_delay_alu instid0(VALU_DEP_1) | instskip(SKIP_1) | instid1(VALU_DEP_1)
	v_cndmask_b32_e64 v55, 1, v52, s20
	s_wait_dscnt 0x8
	v_mul_lo_u16 v3, v55, v56
	ds_store_b16 v2, v51 offset:20
	ds_store_b8 v2, v47 offset:22
	ds_store_b16 v2, v52 offset:24
	ds_store_b8 v2, v53 offset:26
	;; [unrolled: 2-line block ×3, first 2 shown]
.LBB308_286:
	s_or_b32 exec_lo, exec_lo, s21
	s_wait_dscnt 0x0
	s_barrier_signal -1
	s_barrier_wait -1
	s_and_saveexec_b32 s20, s3
	s_cbranch_execz .LBB308_288
; %bb.287:
	v_add_nc_u32_e32 v1, -1, v0
	v_cmp_gt_u32_e64 s3, 0x10000, v31
	s_delay_alu instid0(VALU_DEP_2) | instskip(NEXT) | instid1(VALU_DEP_1)
	v_lshrrev_b32_e32 v2, 3, v1
	v_and_b32_e32 v2, 0x1ffffffc, v2
	s_delay_alu instid0(VALU_DEP_1) | instskip(SKIP_4) | instid1(VALU_DEP_1)
	v_lshl_add_u32 v1, v1, 2, v2
	ds_load_u16 v1, v1
	;;#ASMSTART
	;;#ASMEND
	s_wait_dscnt 0x0
	v_cndmask_b32_e64 v1, 1, v1, s3
	v_mul_lo_u32 v31, v1, v31
	s_delay_alu instid0(VALU_DEP_1) | instskip(NEXT) | instid1(VALU_DEP_1)
	v_cndmask_b32_e32 v1, 1, v31, vcc_lo
	v_mul_lo_u16 v1, v1, v34
	s_delay_alu instid0(VALU_DEP_1) | instskip(NEXT) | instid1(VALU_DEP_1)
	v_cndmask_b32_e64 v2, 1, v1, s0
	v_mul_lo_u16 v4, v2, v33
	s_delay_alu instid0(VALU_DEP_1) | instskip(NEXT) | instid1(VALU_DEP_1)
	v_cndmask_b32_e64 v2, 1, v4, s1
	;; [unrolled: 3-line block ×18, first 2 shown]
	v_mul_lo_u16 v42, v2, v11
.LBB308_288:
	s_or_b32 exec_lo, exec_lo, s20
	s_and_saveexec_b32 s0, s2
	s_cbranch_execz .LBB308_290
; %bb.289:
	v_mov_b32_e32 v11, 0
	ds_load_u8 v2, v11 offset:1050
	ds_load_u16 v3, v11 offset:1048
	s_wait_dscnt 0x1
	v_lshlrev_b32_e32 v2, 16, v2
	s_wait_dscnt 0x0
	v_and_b32_e32 v3, 0xffff, v3
	s_delay_alu instid0(VALU_DEP_1)
	v_dual_mov_b32 v3, 2 :: v_dual_bitop2_b32 v2, v2, v3 bitop3:0x54
	global_store_b64 v11, v[2:3], s[36:37] offset:256 scope:SCOPE_DEV
.LBB308_290:
	s_wait_xcnt 0x0
	s_or_b32 exec_lo, exec_lo, s0
	v_mov_b32_e32 v47, v31
	s_add_nc_u64 s[0:1], s[22:23], s[34:35]
	s_and_b32 vcc_lo, exec_lo, s33
	s_add_nc_u64 s[0:1], s[0:1], s[24:25]
	s_cbranch_vccnz .LBB308_194
.LBB308_291:
	s_mov_b32 s2, 0
                                        ; implicit-def: $vgpr16
	s_cbranch_execz .LBB308_293
; %bb.292:
	v_perm_b32 v5, v5, v4, 0x5040100
	v_perm_b32 v4, v1, v47, 0x5040100
	v_mul_i32_i24_e32 v1, 0xffffffda, v0
	s_wait_dscnt 0x0
	v_mul_u32_u24_e32 v16, 40, v0
	v_perm_b32 v3, v12, v8, 0x5040100
	v_perm_b32 v2, v7, v6, 0x5040100
	;; [unrolled: 1-line block ×3, first 2 shown]
	v_mad_u32_u24 v1, v0, 40, v1
	v_perm_b32 v6, v36, v35, 0x5040100
	v_perm_b32 v11, v15, v14, 0x5040100
	;; [unrolled: 1-line block ×5, first 2 shown]
	s_wait_storecnt 0x0
	s_barrier_signal -1
	s_barrier_wait -1
	ds_store_2addr_b64 v16, v[4:5], v[2:3] offset1:1
	ds_store_2addr_b64 v16, v[10:11], v[6:7] offset0:2 offset1:3
	ds_store_b64 v16, v[8:9] offset:32
	s_wait_dscnt 0x0
	s_barrier_signal -1
	s_barrier_wait -1
	ds_load_u16 v2, v1
	ds_load_u16 v3, v1 offset:512
	ds_load_u16 v4, v1 offset:1024
	;; [unrolled: 1-line block ×19, first 2 shown]
	s_or_b32 s2, s2, exec_lo
	s_wait_dscnt 0x13
	flat_store_b16 v0, v2, s[0:1] scale_offset
	s_wait_dscnt 0x13
	flat_store_b16 v0, v3, s[0:1] offset:512 scale_offset
	s_wait_dscnt 0x13
	flat_store_b16 v0, v4, s[0:1] offset:1024 scale_offset
	s_wait_dscnt 0x13
	flat_store_b16 v0, v5, s[0:1] offset:1536 scale_offset
	s_wait_dscnt 0x13
	flat_store_b16 v0, v6, s[0:1] offset:2048 scale_offset
	s_wait_dscnt 0x13
	flat_store_b16 v0, v7, s[0:1] offset:2560 scale_offset
	s_wait_dscnt 0x13
	flat_store_b16 v0, v8, s[0:1] offset:3072 scale_offset
	s_wait_dscnt 0x13
	flat_store_b16 v0, v9, s[0:1] offset:3584 scale_offset
	s_wait_dscnt 0x13
	flat_store_b16 v0, v10, s[0:1] offset:4096 scale_offset
	s_wait_dscnt 0x13
	flat_store_b16 v0, v11, s[0:1] offset:4608 scale_offset
	s_wait_dscnt 0x13
	flat_store_b16 v0, v12, s[0:1] offset:5120 scale_offset
	s_wait_dscnt 0x13
	flat_store_b16 v0, v13, s[0:1] offset:5632 scale_offset
	s_wait_dscnt 0x13
	flat_store_b16 v0, v14, s[0:1] offset:6144 scale_offset
	s_wait_dscnt 0x13
	flat_store_b16 v0, v15, s[0:1] offset:6656 scale_offset
	s_wait_dscnt 0x13
	flat_store_b16 v0, v17, s[0:1] offset:7168 scale_offset
	s_wait_dscnt 0x13
	flat_store_b16 v0, v18, s[0:1] offset:7680 scale_offset
	s_wait_dscnt 0x13
	flat_store_b16 v0, v19, s[0:1] offset:8192 scale_offset
	s_wait_dscnt 0x13
	flat_store_b16 v0, v20, s[0:1] offset:8704 scale_offset
	s_wait_dscnt 0x13
	flat_store_b16 v0, v21, s[0:1] offset:9216 scale_offset
.LBB308_293:
	s_wait_xcnt 0x0
	s_delay_alu instid0(VALU_DEP_1)
	s_and_saveexec_b32 s3, s2
	s_cbranch_execnz .LBB308_295
; %bb.294:
	s_endpgm
.LBB308_295:
	s_wait_dscnt 0x0
	flat_store_b16 v0, v16, s[0:1] offset:9728 scale_offset
	s_endpgm
	.section	.rodata,"a",@progbits
	.p2align	6, 0x0
	.amdhsa_kernel _ZN7rocprim17ROCPRIM_400000_NS6detail17trampoline_kernelINS0_14default_configENS1_27scan_by_key_config_selectorIssEEZZNS1_16scan_by_key_implILNS1_25lookback_scan_determinismE0ELb0ES3_N6thrust23THRUST_200600_302600_NS6detail15normal_iteratorINS9_10device_ptrIsEEEESE_SE_sNS9_10multipliesIsEENS9_8equal_toIsEEsEE10hipError_tPvRmT2_T3_T4_T5_mT6_T7_P12ihipStream_tbENKUlT_T0_E_clISt17integral_constantIbLb0EESY_IbLb1EEEEDaSU_SV_EUlSU_E_NS1_11comp_targetILNS1_3genE0ELNS1_11target_archE4294967295ELNS1_3gpuE0ELNS1_3repE0EEENS1_30default_config_static_selectorELNS0_4arch9wavefront6targetE0EEEvT1_
		.amdhsa_group_segment_fixed_size 11264
		.amdhsa_private_segment_fixed_size 0
		.amdhsa_kernarg_size 112
		.amdhsa_user_sgpr_count 2
		.amdhsa_user_sgpr_dispatch_ptr 0
		.amdhsa_user_sgpr_queue_ptr 0
		.amdhsa_user_sgpr_kernarg_segment_ptr 1
		.amdhsa_user_sgpr_dispatch_id 0
		.amdhsa_user_sgpr_kernarg_preload_length 0
		.amdhsa_user_sgpr_kernarg_preload_offset 0
		.amdhsa_user_sgpr_private_segment_size 0
		.amdhsa_wavefront_size32 1
		.amdhsa_uses_dynamic_stack 0
		.amdhsa_enable_private_segment 0
		.amdhsa_system_sgpr_workgroup_id_x 1
		.amdhsa_system_sgpr_workgroup_id_y 0
		.amdhsa_system_sgpr_workgroup_id_z 0
		.amdhsa_system_sgpr_workgroup_info 0
		.amdhsa_system_vgpr_workitem_id 0
		.amdhsa_next_free_vgpr 58
		.amdhsa_next_free_sgpr 51
		.amdhsa_named_barrier_count 0
		.amdhsa_reserve_vcc 1
		.amdhsa_float_round_mode_32 0
		.amdhsa_float_round_mode_16_64 0
		.amdhsa_float_denorm_mode_32 3
		.amdhsa_float_denorm_mode_16_64 3
		.amdhsa_fp16_overflow 0
		.amdhsa_memory_ordered 1
		.amdhsa_forward_progress 1
		.amdhsa_inst_pref_size 148
		.amdhsa_round_robin_scheduling 0
		.amdhsa_exception_fp_ieee_invalid_op 0
		.amdhsa_exception_fp_denorm_src 0
		.amdhsa_exception_fp_ieee_div_zero 0
		.amdhsa_exception_fp_ieee_overflow 0
		.amdhsa_exception_fp_ieee_underflow 0
		.amdhsa_exception_fp_ieee_inexact 0
		.amdhsa_exception_int_div_zero 0
	.end_amdhsa_kernel
	.section	.text._ZN7rocprim17ROCPRIM_400000_NS6detail17trampoline_kernelINS0_14default_configENS1_27scan_by_key_config_selectorIssEEZZNS1_16scan_by_key_implILNS1_25lookback_scan_determinismE0ELb0ES3_N6thrust23THRUST_200600_302600_NS6detail15normal_iteratorINS9_10device_ptrIsEEEESE_SE_sNS9_10multipliesIsEENS9_8equal_toIsEEsEE10hipError_tPvRmT2_T3_T4_T5_mT6_T7_P12ihipStream_tbENKUlT_T0_E_clISt17integral_constantIbLb0EESY_IbLb1EEEEDaSU_SV_EUlSU_E_NS1_11comp_targetILNS1_3genE0ELNS1_11target_archE4294967295ELNS1_3gpuE0ELNS1_3repE0EEENS1_30default_config_static_selectorELNS0_4arch9wavefront6targetE0EEEvT1_,"axG",@progbits,_ZN7rocprim17ROCPRIM_400000_NS6detail17trampoline_kernelINS0_14default_configENS1_27scan_by_key_config_selectorIssEEZZNS1_16scan_by_key_implILNS1_25lookback_scan_determinismE0ELb0ES3_N6thrust23THRUST_200600_302600_NS6detail15normal_iteratorINS9_10device_ptrIsEEEESE_SE_sNS9_10multipliesIsEENS9_8equal_toIsEEsEE10hipError_tPvRmT2_T3_T4_T5_mT6_T7_P12ihipStream_tbENKUlT_T0_E_clISt17integral_constantIbLb0EESY_IbLb1EEEEDaSU_SV_EUlSU_E_NS1_11comp_targetILNS1_3genE0ELNS1_11target_archE4294967295ELNS1_3gpuE0ELNS1_3repE0EEENS1_30default_config_static_selectorELNS0_4arch9wavefront6targetE0EEEvT1_,comdat
.Lfunc_end308:
	.size	_ZN7rocprim17ROCPRIM_400000_NS6detail17trampoline_kernelINS0_14default_configENS1_27scan_by_key_config_selectorIssEEZZNS1_16scan_by_key_implILNS1_25lookback_scan_determinismE0ELb0ES3_N6thrust23THRUST_200600_302600_NS6detail15normal_iteratorINS9_10device_ptrIsEEEESE_SE_sNS9_10multipliesIsEENS9_8equal_toIsEEsEE10hipError_tPvRmT2_T3_T4_T5_mT6_T7_P12ihipStream_tbENKUlT_T0_E_clISt17integral_constantIbLb0EESY_IbLb1EEEEDaSU_SV_EUlSU_E_NS1_11comp_targetILNS1_3genE0ELNS1_11target_archE4294967295ELNS1_3gpuE0ELNS1_3repE0EEENS1_30default_config_static_selectorELNS0_4arch9wavefront6targetE0EEEvT1_, .Lfunc_end308-_ZN7rocprim17ROCPRIM_400000_NS6detail17trampoline_kernelINS0_14default_configENS1_27scan_by_key_config_selectorIssEEZZNS1_16scan_by_key_implILNS1_25lookback_scan_determinismE0ELb0ES3_N6thrust23THRUST_200600_302600_NS6detail15normal_iteratorINS9_10device_ptrIsEEEESE_SE_sNS9_10multipliesIsEENS9_8equal_toIsEEsEE10hipError_tPvRmT2_T3_T4_T5_mT6_T7_P12ihipStream_tbENKUlT_T0_E_clISt17integral_constantIbLb0EESY_IbLb1EEEEDaSU_SV_EUlSU_E_NS1_11comp_targetILNS1_3genE0ELNS1_11target_archE4294967295ELNS1_3gpuE0ELNS1_3repE0EEENS1_30default_config_static_selectorELNS0_4arch9wavefront6targetE0EEEvT1_
                                        ; -- End function
	.set _ZN7rocprim17ROCPRIM_400000_NS6detail17trampoline_kernelINS0_14default_configENS1_27scan_by_key_config_selectorIssEEZZNS1_16scan_by_key_implILNS1_25lookback_scan_determinismE0ELb0ES3_N6thrust23THRUST_200600_302600_NS6detail15normal_iteratorINS9_10device_ptrIsEEEESE_SE_sNS9_10multipliesIsEENS9_8equal_toIsEEsEE10hipError_tPvRmT2_T3_T4_T5_mT6_T7_P12ihipStream_tbENKUlT_T0_E_clISt17integral_constantIbLb0EESY_IbLb1EEEEDaSU_SV_EUlSU_E_NS1_11comp_targetILNS1_3genE0ELNS1_11target_archE4294967295ELNS1_3gpuE0ELNS1_3repE0EEENS1_30default_config_static_selectorELNS0_4arch9wavefront6targetE0EEEvT1_.num_vgpr, 58
	.set _ZN7rocprim17ROCPRIM_400000_NS6detail17trampoline_kernelINS0_14default_configENS1_27scan_by_key_config_selectorIssEEZZNS1_16scan_by_key_implILNS1_25lookback_scan_determinismE0ELb0ES3_N6thrust23THRUST_200600_302600_NS6detail15normal_iteratorINS9_10device_ptrIsEEEESE_SE_sNS9_10multipliesIsEENS9_8equal_toIsEEsEE10hipError_tPvRmT2_T3_T4_T5_mT6_T7_P12ihipStream_tbENKUlT_T0_E_clISt17integral_constantIbLb0EESY_IbLb1EEEEDaSU_SV_EUlSU_E_NS1_11comp_targetILNS1_3genE0ELNS1_11target_archE4294967295ELNS1_3gpuE0ELNS1_3repE0EEENS1_30default_config_static_selectorELNS0_4arch9wavefront6targetE0EEEvT1_.num_agpr, 0
	.set _ZN7rocprim17ROCPRIM_400000_NS6detail17trampoline_kernelINS0_14default_configENS1_27scan_by_key_config_selectorIssEEZZNS1_16scan_by_key_implILNS1_25lookback_scan_determinismE0ELb0ES3_N6thrust23THRUST_200600_302600_NS6detail15normal_iteratorINS9_10device_ptrIsEEEESE_SE_sNS9_10multipliesIsEENS9_8equal_toIsEEsEE10hipError_tPvRmT2_T3_T4_T5_mT6_T7_P12ihipStream_tbENKUlT_T0_E_clISt17integral_constantIbLb0EESY_IbLb1EEEEDaSU_SV_EUlSU_E_NS1_11comp_targetILNS1_3genE0ELNS1_11target_archE4294967295ELNS1_3gpuE0ELNS1_3repE0EEENS1_30default_config_static_selectorELNS0_4arch9wavefront6targetE0EEEvT1_.numbered_sgpr, 51
	.set _ZN7rocprim17ROCPRIM_400000_NS6detail17trampoline_kernelINS0_14default_configENS1_27scan_by_key_config_selectorIssEEZZNS1_16scan_by_key_implILNS1_25lookback_scan_determinismE0ELb0ES3_N6thrust23THRUST_200600_302600_NS6detail15normal_iteratorINS9_10device_ptrIsEEEESE_SE_sNS9_10multipliesIsEENS9_8equal_toIsEEsEE10hipError_tPvRmT2_T3_T4_T5_mT6_T7_P12ihipStream_tbENKUlT_T0_E_clISt17integral_constantIbLb0EESY_IbLb1EEEEDaSU_SV_EUlSU_E_NS1_11comp_targetILNS1_3genE0ELNS1_11target_archE4294967295ELNS1_3gpuE0ELNS1_3repE0EEENS1_30default_config_static_selectorELNS0_4arch9wavefront6targetE0EEEvT1_.num_named_barrier, 0
	.set _ZN7rocprim17ROCPRIM_400000_NS6detail17trampoline_kernelINS0_14default_configENS1_27scan_by_key_config_selectorIssEEZZNS1_16scan_by_key_implILNS1_25lookback_scan_determinismE0ELb0ES3_N6thrust23THRUST_200600_302600_NS6detail15normal_iteratorINS9_10device_ptrIsEEEESE_SE_sNS9_10multipliesIsEENS9_8equal_toIsEEsEE10hipError_tPvRmT2_T3_T4_T5_mT6_T7_P12ihipStream_tbENKUlT_T0_E_clISt17integral_constantIbLb0EESY_IbLb1EEEEDaSU_SV_EUlSU_E_NS1_11comp_targetILNS1_3genE0ELNS1_11target_archE4294967295ELNS1_3gpuE0ELNS1_3repE0EEENS1_30default_config_static_selectorELNS0_4arch9wavefront6targetE0EEEvT1_.private_seg_size, 0
	.set _ZN7rocprim17ROCPRIM_400000_NS6detail17trampoline_kernelINS0_14default_configENS1_27scan_by_key_config_selectorIssEEZZNS1_16scan_by_key_implILNS1_25lookback_scan_determinismE0ELb0ES3_N6thrust23THRUST_200600_302600_NS6detail15normal_iteratorINS9_10device_ptrIsEEEESE_SE_sNS9_10multipliesIsEENS9_8equal_toIsEEsEE10hipError_tPvRmT2_T3_T4_T5_mT6_T7_P12ihipStream_tbENKUlT_T0_E_clISt17integral_constantIbLb0EESY_IbLb1EEEEDaSU_SV_EUlSU_E_NS1_11comp_targetILNS1_3genE0ELNS1_11target_archE4294967295ELNS1_3gpuE0ELNS1_3repE0EEENS1_30default_config_static_selectorELNS0_4arch9wavefront6targetE0EEEvT1_.uses_vcc, 1
	.set _ZN7rocprim17ROCPRIM_400000_NS6detail17trampoline_kernelINS0_14default_configENS1_27scan_by_key_config_selectorIssEEZZNS1_16scan_by_key_implILNS1_25lookback_scan_determinismE0ELb0ES3_N6thrust23THRUST_200600_302600_NS6detail15normal_iteratorINS9_10device_ptrIsEEEESE_SE_sNS9_10multipliesIsEENS9_8equal_toIsEEsEE10hipError_tPvRmT2_T3_T4_T5_mT6_T7_P12ihipStream_tbENKUlT_T0_E_clISt17integral_constantIbLb0EESY_IbLb1EEEEDaSU_SV_EUlSU_E_NS1_11comp_targetILNS1_3genE0ELNS1_11target_archE4294967295ELNS1_3gpuE0ELNS1_3repE0EEENS1_30default_config_static_selectorELNS0_4arch9wavefront6targetE0EEEvT1_.uses_flat_scratch, 1
	.set _ZN7rocprim17ROCPRIM_400000_NS6detail17trampoline_kernelINS0_14default_configENS1_27scan_by_key_config_selectorIssEEZZNS1_16scan_by_key_implILNS1_25lookback_scan_determinismE0ELb0ES3_N6thrust23THRUST_200600_302600_NS6detail15normal_iteratorINS9_10device_ptrIsEEEESE_SE_sNS9_10multipliesIsEENS9_8equal_toIsEEsEE10hipError_tPvRmT2_T3_T4_T5_mT6_T7_P12ihipStream_tbENKUlT_T0_E_clISt17integral_constantIbLb0EESY_IbLb1EEEEDaSU_SV_EUlSU_E_NS1_11comp_targetILNS1_3genE0ELNS1_11target_archE4294967295ELNS1_3gpuE0ELNS1_3repE0EEENS1_30default_config_static_selectorELNS0_4arch9wavefront6targetE0EEEvT1_.has_dyn_sized_stack, 0
	.set _ZN7rocprim17ROCPRIM_400000_NS6detail17trampoline_kernelINS0_14default_configENS1_27scan_by_key_config_selectorIssEEZZNS1_16scan_by_key_implILNS1_25lookback_scan_determinismE0ELb0ES3_N6thrust23THRUST_200600_302600_NS6detail15normal_iteratorINS9_10device_ptrIsEEEESE_SE_sNS9_10multipliesIsEENS9_8equal_toIsEEsEE10hipError_tPvRmT2_T3_T4_T5_mT6_T7_P12ihipStream_tbENKUlT_T0_E_clISt17integral_constantIbLb0EESY_IbLb1EEEEDaSU_SV_EUlSU_E_NS1_11comp_targetILNS1_3genE0ELNS1_11target_archE4294967295ELNS1_3gpuE0ELNS1_3repE0EEENS1_30default_config_static_selectorELNS0_4arch9wavefront6targetE0EEEvT1_.has_recursion, 0
	.set _ZN7rocprim17ROCPRIM_400000_NS6detail17trampoline_kernelINS0_14default_configENS1_27scan_by_key_config_selectorIssEEZZNS1_16scan_by_key_implILNS1_25lookback_scan_determinismE0ELb0ES3_N6thrust23THRUST_200600_302600_NS6detail15normal_iteratorINS9_10device_ptrIsEEEESE_SE_sNS9_10multipliesIsEENS9_8equal_toIsEEsEE10hipError_tPvRmT2_T3_T4_T5_mT6_T7_P12ihipStream_tbENKUlT_T0_E_clISt17integral_constantIbLb0EESY_IbLb1EEEEDaSU_SV_EUlSU_E_NS1_11comp_targetILNS1_3genE0ELNS1_11target_archE4294967295ELNS1_3gpuE0ELNS1_3repE0EEENS1_30default_config_static_selectorELNS0_4arch9wavefront6targetE0EEEvT1_.has_indirect_call, 0
	.section	.AMDGPU.csdata,"",@progbits
; Kernel info:
; codeLenInByte = 18832
; TotalNumSgprs: 53
; NumVgprs: 58
; ScratchSize: 0
; MemoryBound: 0
; FloatMode: 240
; IeeeMode: 1
; LDSByteSize: 11264 bytes/workgroup (compile time only)
; SGPRBlocks: 0
; VGPRBlocks: 3
; NumSGPRsForWavesPerEU: 53
; NumVGPRsForWavesPerEU: 58
; NamedBarCnt: 0
; Occupancy: 16
; WaveLimiterHint : 1
; COMPUTE_PGM_RSRC2:SCRATCH_EN: 0
; COMPUTE_PGM_RSRC2:USER_SGPR: 2
; COMPUTE_PGM_RSRC2:TRAP_HANDLER: 0
; COMPUTE_PGM_RSRC2:TGID_X_EN: 1
; COMPUTE_PGM_RSRC2:TGID_Y_EN: 0
; COMPUTE_PGM_RSRC2:TGID_Z_EN: 0
; COMPUTE_PGM_RSRC2:TIDIG_COMP_CNT: 0
	.section	.text._ZN7rocprim17ROCPRIM_400000_NS6detail17trampoline_kernelINS0_14default_configENS1_27scan_by_key_config_selectorIssEEZZNS1_16scan_by_key_implILNS1_25lookback_scan_determinismE0ELb0ES3_N6thrust23THRUST_200600_302600_NS6detail15normal_iteratorINS9_10device_ptrIsEEEESE_SE_sNS9_10multipliesIsEENS9_8equal_toIsEEsEE10hipError_tPvRmT2_T3_T4_T5_mT6_T7_P12ihipStream_tbENKUlT_T0_E_clISt17integral_constantIbLb0EESY_IbLb1EEEEDaSU_SV_EUlSU_E_NS1_11comp_targetILNS1_3genE10ELNS1_11target_archE1201ELNS1_3gpuE5ELNS1_3repE0EEENS1_30default_config_static_selectorELNS0_4arch9wavefront6targetE0EEEvT1_,"axG",@progbits,_ZN7rocprim17ROCPRIM_400000_NS6detail17trampoline_kernelINS0_14default_configENS1_27scan_by_key_config_selectorIssEEZZNS1_16scan_by_key_implILNS1_25lookback_scan_determinismE0ELb0ES3_N6thrust23THRUST_200600_302600_NS6detail15normal_iteratorINS9_10device_ptrIsEEEESE_SE_sNS9_10multipliesIsEENS9_8equal_toIsEEsEE10hipError_tPvRmT2_T3_T4_T5_mT6_T7_P12ihipStream_tbENKUlT_T0_E_clISt17integral_constantIbLb0EESY_IbLb1EEEEDaSU_SV_EUlSU_E_NS1_11comp_targetILNS1_3genE10ELNS1_11target_archE1201ELNS1_3gpuE5ELNS1_3repE0EEENS1_30default_config_static_selectorELNS0_4arch9wavefront6targetE0EEEvT1_,comdat
	.protected	_ZN7rocprim17ROCPRIM_400000_NS6detail17trampoline_kernelINS0_14default_configENS1_27scan_by_key_config_selectorIssEEZZNS1_16scan_by_key_implILNS1_25lookback_scan_determinismE0ELb0ES3_N6thrust23THRUST_200600_302600_NS6detail15normal_iteratorINS9_10device_ptrIsEEEESE_SE_sNS9_10multipliesIsEENS9_8equal_toIsEEsEE10hipError_tPvRmT2_T3_T4_T5_mT6_T7_P12ihipStream_tbENKUlT_T0_E_clISt17integral_constantIbLb0EESY_IbLb1EEEEDaSU_SV_EUlSU_E_NS1_11comp_targetILNS1_3genE10ELNS1_11target_archE1201ELNS1_3gpuE5ELNS1_3repE0EEENS1_30default_config_static_selectorELNS0_4arch9wavefront6targetE0EEEvT1_ ; -- Begin function _ZN7rocprim17ROCPRIM_400000_NS6detail17trampoline_kernelINS0_14default_configENS1_27scan_by_key_config_selectorIssEEZZNS1_16scan_by_key_implILNS1_25lookback_scan_determinismE0ELb0ES3_N6thrust23THRUST_200600_302600_NS6detail15normal_iteratorINS9_10device_ptrIsEEEESE_SE_sNS9_10multipliesIsEENS9_8equal_toIsEEsEE10hipError_tPvRmT2_T3_T4_T5_mT6_T7_P12ihipStream_tbENKUlT_T0_E_clISt17integral_constantIbLb0EESY_IbLb1EEEEDaSU_SV_EUlSU_E_NS1_11comp_targetILNS1_3genE10ELNS1_11target_archE1201ELNS1_3gpuE5ELNS1_3repE0EEENS1_30default_config_static_selectorELNS0_4arch9wavefront6targetE0EEEvT1_
	.globl	_ZN7rocprim17ROCPRIM_400000_NS6detail17trampoline_kernelINS0_14default_configENS1_27scan_by_key_config_selectorIssEEZZNS1_16scan_by_key_implILNS1_25lookback_scan_determinismE0ELb0ES3_N6thrust23THRUST_200600_302600_NS6detail15normal_iteratorINS9_10device_ptrIsEEEESE_SE_sNS9_10multipliesIsEENS9_8equal_toIsEEsEE10hipError_tPvRmT2_T3_T4_T5_mT6_T7_P12ihipStream_tbENKUlT_T0_E_clISt17integral_constantIbLb0EESY_IbLb1EEEEDaSU_SV_EUlSU_E_NS1_11comp_targetILNS1_3genE10ELNS1_11target_archE1201ELNS1_3gpuE5ELNS1_3repE0EEENS1_30default_config_static_selectorELNS0_4arch9wavefront6targetE0EEEvT1_
	.p2align	8
	.type	_ZN7rocprim17ROCPRIM_400000_NS6detail17trampoline_kernelINS0_14default_configENS1_27scan_by_key_config_selectorIssEEZZNS1_16scan_by_key_implILNS1_25lookback_scan_determinismE0ELb0ES3_N6thrust23THRUST_200600_302600_NS6detail15normal_iteratorINS9_10device_ptrIsEEEESE_SE_sNS9_10multipliesIsEENS9_8equal_toIsEEsEE10hipError_tPvRmT2_T3_T4_T5_mT6_T7_P12ihipStream_tbENKUlT_T0_E_clISt17integral_constantIbLb0EESY_IbLb1EEEEDaSU_SV_EUlSU_E_NS1_11comp_targetILNS1_3genE10ELNS1_11target_archE1201ELNS1_3gpuE5ELNS1_3repE0EEENS1_30default_config_static_selectorELNS0_4arch9wavefront6targetE0EEEvT1_,@function
_ZN7rocprim17ROCPRIM_400000_NS6detail17trampoline_kernelINS0_14default_configENS1_27scan_by_key_config_selectorIssEEZZNS1_16scan_by_key_implILNS1_25lookback_scan_determinismE0ELb0ES3_N6thrust23THRUST_200600_302600_NS6detail15normal_iteratorINS9_10device_ptrIsEEEESE_SE_sNS9_10multipliesIsEENS9_8equal_toIsEEsEE10hipError_tPvRmT2_T3_T4_T5_mT6_T7_P12ihipStream_tbENKUlT_T0_E_clISt17integral_constantIbLb0EESY_IbLb1EEEEDaSU_SV_EUlSU_E_NS1_11comp_targetILNS1_3genE10ELNS1_11target_archE1201ELNS1_3gpuE5ELNS1_3repE0EEENS1_30default_config_static_selectorELNS0_4arch9wavefront6targetE0EEEvT1_: ; @_ZN7rocprim17ROCPRIM_400000_NS6detail17trampoline_kernelINS0_14default_configENS1_27scan_by_key_config_selectorIssEEZZNS1_16scan_by_key_implILNS1_25lookback_scan_determinismE0ELb0ES3_N6thrust23THRUST_200600_302600_NS6detail15normal_iteratorINS9_10device_ptrIsEEEESE_SE_sNS9_10multipliesIsEENS9_8equal_toIsEEsEE10hipError_tPvRmT2_T3_T4_T5_mT6_T7_P12ihipStream_tbENKUlT_T0_E_clISt17integral_constantIbLb0EESY_IbLb1EEEEDaSU_SV_EUlSU_E_NS1_11comp_targetILNS1_3genE10ELNS1_11target_archE1201ELNS1_3gpuE5ELNS1_3repE0EEENS1_30default_config_static_selectorELNS0_4arch9wavefront6targetE0EEEvT1_
; %bb.0:
	.section	.rodata,"a",@progbits
	.p2align	6, 0x0
	.amdhsa_kernel _ZN7rocprim17ROCPRIM_400000_NS6detail17trampoline_kernelINS0_14default_configENS1_27scan_by_key_config_selectorIssEEZZNS1_16scan_by_key_implILNS1_25lookback_scan_determinismE0ELb0ES3_N6thrust23THRUST_200600_302600_NS6detail15normal_iteratorINS9_10device_ptrIsEEEESE_SE_sNS9_10multipliesIsEENS9_8equal_toIsEEsEE10hipError_tPvRmT2_T3_T4_T5_mT6_T7_P12ihipStream_tbENKUlT_T0_E_clISt17integral_constantIbLb0EESY_IbLb1EEEEDaSU_SV_EUlSU_E_NS1_11comp_targetILNS1_3genE10ELNS1_11target_archE1201ELNS1_3gpuE5ELNS1_3repE0EEENS1_30default_config_static_selectorELNS0_4arch9wavefront6targetE0EEEvT1_
		.amdhsa_group_segment_fixed_size 0
		.amdhsa_private_segment_fixed_size 0
		.amdhsa_kernarg_size 112
		.amdhsa_user_sgpr_count 2
		.amdhsa_user_sgpr_dispatch_ptr 0
		.amdhsa_user_sgpr_queue_ptr 0
		.amdhsa_user_sgpr_kernarg_segment_ptr 1
		.amdhsa_user_sgpr_dispatch_id 0
		.amdhsa_user_sgpr_kernarg_preload_length 0
		.amdhsa_user_sgpr_kernarg_preload_offset 0
		.amdhsa_user_sgpr_private_segment_size 0
		.amdhsa_wavefront_size32 1
		.amdhsa_uses_dynamic_stack 0
		.amdhsa_enable_private_segment 0
		.amdhsa_system_sgpr_workgroup_id_x 1
		.amdhsa_system_sgpr_workgroup_id_y 0
		.amdhsa_system_sgpr_workgroup_id_z 0
		.amdhsa_system_sgpr_workgroup_info 0
		.amdhsa_system_vgpr_workitem_id 0
		.amdhsa_next_free_vgpr 1
		.amdhsa_next_free_sgpr 1
		.amdhsa_named_barrier_count 0
		.amdhsa_reserve_vcc 0
		.amdhsa_float_round_mode_32 0
		.amdhsa_float_round_mode_16_64 0
		.amdhsa_float_denorm_mode_32 3
		.amdhsa_float_denorm_mode_16_64 3
		.amdhsa_fp16_overflow 0
		.amdhsa_memory_ordered 1
		.amdhsa_forward_progress 1
		.amdhsa_inst_pref_size 0
		.amdhsa_round_robin_scheduling 0
		.amdhsa_exception_fp_ieee_invalid_op 0
		.amdhsa_exception_fp_denorm_src 0
		.amdhsa_exception_fp_ieee_div_zero 0
		.amdhsa_exception_fp_ieee_overflow 0
		.amdhsa_exception_fp_ieee_underflow 0
		.amdhsa_exception_fp_ieee_inexact 0
		.amdhsa_exception_int_div_zero 0
	.end_amdhsa_kernel
	.section	.text._ZN7rocprim17ROCPRIM_400000_NS6detail17trampoline_kernelINS0_14default_configENS1_27scan_by_key_config_selectorIssEEZZNS1_16scan_by_key_implILNS1_25lookback_scan_determinismE0ELb0ES3_N6thrust23THRUST_200600_302600_NS6detail15normal_iteratorINS9_10device_ptrIsEEEESE_SE_sNS9_10multipliesIsEENS9_8equal_toIsEEsEE10hipError_tPvRmT2_T3_T4_T5_mT6_T7_P12ihipStream_tbENKUlT_T0_E_clISt17integral_constantIbLb0EESY_IbLb1EEEEDaSU_SV_EUlSU_E_NS1_11comp_targetILNS1_3genE10ELNS1_11target_archE1201ELNS1_3gpuE5ELNS1_3repE0EEENS1_30default_config_static_selectorELNS0_4arch9wavefront6targetE0EEEvT1_,"axG",@progbits,_ZN7rocprim17ROCPRIM_400000_NS6detail17trampoline_kernelINS0_14default_configENS1_27scan_by_key_config_selectorIssEEZZNS1_16scan_by_key_implILNS1_25lookback_scan_determinismE0ELb0ES3_N6thrust23THRUST_200600_302600_NS6detail15normal_iteratorINS9_10device_ptrIsEEEESE_SE_sNS9_10multipliesIsEENS9_8equal_toIsEEsEE10hipError_tPvRmT2_T3_T4_T5_mT6_T7_P12ihipStream_tbENKUlT_T0_E_clISt17integral_constantIbLb0EESY_IbLb1EEEEDaSU_SV_EUlSU_E_NS1_11comp_targetILNS1_3genE10ELNS1_11target_archE1201ELNS1_3gpuE5ELNS1_3repE0EEENS1_30default_config_static_selectorELNS0_4arch9wavefront6targetE0EEEvT1_,comdat
.Lfunc_end309:
	.size	_ZN7rocprim17ROCPRIM_400000_NS6detail17trampoline_kernelINS0_14default_configENS1_27scan_by_key_config_selectorIssEEZZNS1_16scan_by_key_implILNS1_25lookback_scan_determinismE0ELb0ES3_N6thrust23THRUST_200600_302600_NS6detail15normal_iteratorINS9_10device_ptrIsEEEESE_SE_sNS9_10multipliesIsEENS9_8equal_toIsEEsEE10hipError_tPvRmT2_T3_T4_T5_mT6_T7_P12ihipStream_tbENKUlT_T0_E_clISt17integral_constantIbLb0EESY_IbLb1EEEEDaSU_SV_EUlSU_E_NS1_11comp_targetILNS1_3genE10ELNS1_11target_archE1201ELNS1_3gpuE5ELNS1_3repE0EEENS1_30default_config_static_selectorELNS0_4arch9wavefront6targetE0EEEvT1_, .Lfunc_end309-_ZN7rocprim17ROCPRIM_400000_NS6detail17trampoline_kernelINS0_14default_configENS1_27scan_by_key_config_selectorIssEEZZNS1_16scan_by_key_implILNS1_25lookback_scan_determinismE0ELb0ES3_N6thrust23THRUST_200600_302600_NS6detail15normal_iteratorINS9_10device_ptrIsEEEESE_SE_sNS9_10multipliesIsEENS9_8equal_toIsEEsEE10hipError_tPvRmT2_T3_T4_T5_mT6_T7_P12ihipStream_tbENKUlT_T0_E_clISt17integral_constantIbLb0EESY_IbLb1EEEEDaSU_SV_EUlSU_E_NS1_11comp_targetILNS1_3genE10ELNS1_11target_archE1201ELNS1_3gpuE5ELNS1_3repE0EEENS1_30default_config_static_selectorELNS0_4arch9wavefront6targetE0EEEvT1_
                                        ; -- End function
	.set _ZN7rocprim17ROCPRIM_400000_NS6detail17trampoline_kernelINS0_14default_configENS1_27scan_by_key_config_selectorIssEEZZNS1_16scan_by_key_implILNS1_25lookback_scan_determinismE0ELb0ES3_N6thrust23THRUST_200600_302600_NS6detail15normal_iteratorINS9_10device_ptrIsEEEESE_SE_sNS9_10multipliesIsEENS9_8equal_toIsEEsEE10hipError_tPvRmT2_T3_T4_T5_mT6_T7_P12ihipStream_tbENKUlT_T0_E_clISt17integral_constantIbLb0EESY_IbLb1EEEEDaSU_SV_EUlSU_E_NS1_11comp_targetILNS1_3genE10ELNS1_11target_archE1201ELNS1_3gpuE5ELNS1_3repE0EEENS1_30default_config_static_selectorELNS0_4arch9wavefront6targetE0EEEvT1_.num_vgpr, 0
	.set _ZN7rocprim17ROCPRIM_400000_NS6detail17trampoline_kernelINS0_14default_configENS1_27scan_by_key_config_selectorIssEEZZNS1_16scan_by_key_implILNS1_25lookback_scan_determinismE0ELb0ES3_N6thrust23THRUST_200600_302600_NS6detail15normal_iteratorINS9_10device_ptrIsEEEESE_SE_sNS9_10multipliesIsEENS9_8equal_toIsEEsEE10hipError_tPvRmT2_T3_T4_T5_mT6_T7_P12ihipStream_tbENKUlT_T0_E_clISt17integral_constantIbLb0EESY_IbLb1EEEEDaSU_SV_EUlSU_E_NS1_11comp_targetILNS1_3genE10ELNS1_11target_archE1201ELNS1_3gpuE5ELNS1_3repE0EEENS1_30default_config_static_selectorELNS0_4arch9wavefront6targetE0EEEvT1_.num_agpr, 0
	.set _ZN7rocprim17ROCPRIM_400000_NS6detail17trampoline_kernelINS0_14default_configENS1_27scan_by_key_config_selectorIssEEZZNS1_16scan_by_key_implILNS1_25lookback_scan_determinismE0ELb0ES3_N6thrust23THRUST_200600_302600_NS6detail15normal_iteratorINS9_10device_ptrIsEEEESE_SE_sNS9_10multipliesIsEENS9_8equal_toIsEEsEE10hipError_tPvRmT2_T3_T4_T5_mT6_T7_P12ihipStream_tbENKUlT_T0_E_clISt17integral_constantIbLb0EESY_IbLb1EEEEDaSU_SV_EUlSU_E_NS1_11comp_targetILNS1_3genE10ELNS1_11target_archE1201ELNS1_3gpuE5ELNS1_3repE0EEENS1_30default_config_static_selectorELNS0_4arch9wavefront6targetE0EEEvT1_.numbered_sgpr, 0
	.set _ZN7rocprim17ROCPRIM_400000_NS6detail17trampoline_kernelINS0_14default_configENS1_27scan_by_key_config_selectorIssEEZZNS1_16scan_by_key_implILNS1_25lookback_scan_determinismE0ELb0ES3_N6thrust23THRUST_200600_302600_NS6detail15normal_iteratorINS9_10device_ptrIsEEEESE_SE_sNS9_10multipliesIsEENS9_8equal_toIsEEsEE10hipError_tPvRmT2_T3_T4_T5_mT6_T7_P12ihipStream_tbENKUlT_T0_E_clISt17integral_constantIbLb0EESY_IbLb1EEEEDaSU_SV_EUlSU_E_NS1_11comp_targetILNS1_3genE10ELNS1_11target_archE1201ELNS1_3gpuE5ELNS1_3repE0EEENS1_30default_config_static_selectorELNS0_4arch9wavefront6targetE0EEEvT1_.num_named_barrier, 0
	.set _ZN7rocprim17ROCPRIM_400000_NS6detail17trampoline_kernelINS0_14default_configENS1_27scan_by_key_config_selectorIssEEZZNS1_16scan_by_key_implILNS1_25lookback_scan_determinismE0ELb0ES3_N6thrust23THRUST_200600_302600_NS6detail15normal_iteratorINS9_10device_ptrIsEEEESE_SE_sNS9_10multipliesIsEENS9_8equal_toIsEEsEE10hipError_tPvRmT2_T3_T4_T5_mT6_T7_P12ihipStream_tbENKUlT_T0_E_clISt17integral_constantIbLb0EESY_IbLb1EEEEDaSU_SV_EUlSU_E_NS1_11comp_targetILNS1_3genE10ELNS1_11target_archE1201ELNS1_3gpuE5ELNS1_3repE0EEENS1_30default_config_static_selectorELNS0_4arch9wavefront6targetE0EEEvT1_.private_seg_size, 0
	.set _ZN7rocprim17ROCPRIM_400000_NS6detail17trampoline_kernelINS0_14default_configENS1_27scan_by_key_config_selectorIssEEZZNS1_16scan_by_key_implILNS1_25lookback_scan_determinismE0ELb0ES3_N6thrust23THRUST_200600_302600_NS6detail15normal_iteratorINS9_10device_ptrIsEEEESE_SE_sNS9_10multipliesIsEENS9_8equal_toIsEEsEE10hipError_tPvRmT2_T3_T4_T5_mT6_T7_P12ihipStream_tbENKUlT_T0_E_clISt17integral_constantIbLb0EESY_IbLb1EEEEDaSU_SV_EUlSU_E_NS1_11comp_targetILNS1_3genE10ELNS1_11target_archE1201ELNS1_3gpuE5ELNS1_3repE0EEENS1_30default_config_static_selectorELNS0_4arch9wavefront6targetE0EEEvT1_.uses_vcc, 0
	.set _ZN7rocprim17ROCPRIM_400000_NS6detail17trampoline_kernelINS0_14default_configENS1_27scan_by_key_config_selectorIssEEZZNS1_16scan_by_key_implILNS1_25lookback_scan_determinismE0ELb0ES3_N6thrust23THRUST_200600_302600_NS6detail15normal_iteratorINS9_10device_ptrIsEEEESE_SE_sNS9_10multipliesIsEENS9_8equal_toIsEEsEE10hipError_tPvRmT2_T3_T4_T5_mT6_T7_P12ihipStream_tbENKUlT_T0_E_clISt17integral_constantIbLb0EESY_IbLb1EEEEDaSU_SV_EUlSU_E_NS1_11comp_targetILNS1_3genE10ELNS1_11target_archE1201ELNS1_3gpuE5ELNS1_3repE0EEENS1_30default_config_static_selectorELNS0_4arch9wavefront6targetE0EEEvT1_.uses_flat_scratch, 0
	.set _ZN7rocprim17ROCPRIM_400000_NS6detail17trampoline_kernelINS0_14default_configENS1_27scan_by_key_config_selectorIssEEZZNS1_16scan_by_key_implILNS1_25lookback_scan_determinismE0ELb0ES3_N6thrust23THRUST_200600_302600_NS6detail15normal_iteratorINS9_10device_ptrIsEEEESE_SE_sNS9_10multipliesIsEENS9_8equal_toIsEEsEE10hipError_tPvRmT2_T3_T4_T5_mT6_T7_P12ihipStream_tbENKUlT_T0_E_clISt17integral_constantIbLb0EESY_IbLb1EEEEDaSU_SV_EUlSU_E_NS1_11comp_targetILNS1_3genE10ELNS1_11target_archE1201ELNS1_3gpuE5ELNS1_3repE0EEENS1_30default_config_static_selectorELNS0_4arch9wavefront6targetE0EEEvT1_.has_dyn_sized_stack, 0
	.set _ZN7rocprim17ROCPRIM_400000_NS6detail17trampoline_kernelINS0_14default_configENS1_27scan_by_key_config_selectorIssEEZZNS1_16scan_by_key_implILNS1_25lookback_scan_determinismE0ELb0ES3_N6thrust23THRUST_200600_302600_NS6detail15normal_iteratorINS9_10device_ptrIsEEEESE_SE_sNS9_10multipliesIsEENS9_8equal_toIsEEsEE10hipError_tPvRmT2_T3_T4_T5_mT6_T7_P12ihipStream_tbENKUlT_T0_E_clISt17integral_constantIbLb0EESY_IbLb1EEEEDaSU_SV_EUlSU_E_NS1_11comp_targetILNS1_3genE10ELNS1_11target_archE1201ELNS1_3gpuE5ELNS1_3repE0EEENS1_30default_config_static_selectorELNS0_4arch9wavefront6targetE0EEEvT1_.has_recursion, 0
	.set _ZN7rocprim17ROCPRIM_400000_NS6detail17trampoline_kernelINS0_14default_configENS1_27scan_by_key_config_selectorIssEEZZNS1_16scan_by_key_implILNS1_25lookback_scan_determinismE0ELb0ES3_N6thrust23THRUST_200600_302600_NS6detail15normal_iteratorINS9_10device_ptrIsEEEESE_SE_sNS9_10multipliesIsEENS9_8equal_toIsEEsEE10hipError_tPvRmT2_T3_T4_T5_mT6_T7_P12ihipStream_tbENKUlT_T0_E_clISt17integral_constantIbLb0EESY_IbLb1EEEEDaSU_SV_EUlSU_E_NS1_11comp_targetILNS1_3genE10ELNS1_11target_archE1201ELNS1_3gpuE5ELNS1_3repE0EEENS1_30default_config_static_selectorELNS0_4arch9wavefront6targetE0EEEvT1_.has_indirect_call, 0
	.section	.AMDGPU.csdata,"",@progbits
; Kernel info:
; codeLenInByte = 0
; TotalNumSgprs: 0
; NumVgprs: 0
; ScratchSize: 0
; MemoryBound: 0
; FloatMode: 240
; IeeeMode: 1
; LDSByteSize: 0 bytes/workgroup (compile time only)
; SGPRBlocks: 0
; VGPRBlocks: 0
; NumSGPRsForWavesPerEU: 1
; NumVGPRsForWavesPerEU: 1
; NamedBarCnt: 0
; Occupancy: 16
; WaveLimiterHint : 0
; COMPUTE_PGM_RSRC2:SCRATCH_EN: 0
; COMPUTE_PGM_RSRC2:USER_SGPR: 2
; COMPUTE_PGM_RSRC2:TRAP_HANDLER: 0
; COMPUTE_PGM_RSRC2:TGID_X_EN: 1
; COMPUTE_PGM_RSRC2:TGID_Y_EN: 0
; COMPUTE_PGM_RSRC2:TGID_Z_EN: 0
; COMPUTE_PGM_RSRC2:TIDIG_COMP_CNT: 0
	.section	.text._ZN7rocprim17ROCPRIM_400000_NS6detail17trampoline_kernelINS0_14default_configENS1_27scan_by_key_config_selectorIssEEZZNS1_16scan_by_key_implILNS1_25lookback_scan_determinismE0ELb0ES3_N6thrust23THRUST_200600_302600_NS6detail15normal_iteratorINS9_10device_ptrIsEEEESE_SE_sNS9_10multipliesIsEENS9_8equal_toIsEEsEE10hipError_tPvRmT2_T3_T4_T5_mT6_T7_P12ihipStream_tbENKUlT_T0_E_clISt17integral_constantIbLb0EESY_IbLb1EEEEDaSU_SV_EUlSU_E_NS1_11comp_targetILNS1_3genE5ELNS1_11target_archE942ELNS1_3gpuE9ELNS1_3repE0EEENS1_30default_config_static_selectorELNS0_4arch9wavefront6targetE0EEEvT1_,"axG",@progbits,_ZN7rocprim17ROCPRIM_400000_NS6detail17trampoline_kernelINS0_14default_configENS1_27scan_by_key_config_selectorIssEEZZNS1_16scan_by_key_implILNS1_25lookback_scan_determinismE0ELb0ES3_N6thrust23THRUST_200600_302600_NS6detail15normal_iteratorINS9_10device_ptrIsEEEESE_SE_sNS9_10multipliesIsEENS9_8equal_toIsEEsEE10hipError_tPvRmT2_T3_T4_T5_mT6_T7_P12ihipStream_tbENKUlT_T0_E_clISt17integral_constantIbLb0EESY_IbLb1EEEEDaSU_SV_EUlSU_E_NS1_11comp_targetILNS1_3genE5ELNS1_11target_archE942ELNS1_3gpuE9ELNS1_3repE0EEENS1_30default_config_static_selectorELNS0_4arch9wavefront6targetE0EEEvT1_,comdat
	.protected	_ZN7rocprim17ROCPRIM_400000_NS6detail17trampoline_kernelINS0_14default_configENS1_27scan_by_key_config_selectorIssEEZZNS1_16scan_by_key_implILNS1_25lookback_scan_determinismE0ELb0ES3_N6thrust23THRUST_200600_302600_NS6detail15normal_iteratorINS9_10device_ptrIsEEEESE_SE_sNS9_10multipliesIsEENS9_8equal_toIsEEsEE10hipError_tPvRmT2_T3_T4_T5_mT6_T7_P12ihipStream_tbENKUlT_T0_E_clISt17integral_constantIbLb0EESY_IbLb1EEEEDaSU_SV_EUlSU_E_NS1_11comp_targetILNS1_3genE5ELNS1_11target_archE942ELNS1_3gpuE9ELNS1_3repE0EEENS1_30default_config_static_selectorELNS0_4arch9wavefront6targetE0EEEvT1_ ; -- Begin function _ZN7rocprim17ROCPRIM_400000_NS6detail17trampoline_kernelINS0_14default_configENS1_27scan_by_key_config_selectorIssEEZZNS1_16scan_by_key_implILNS1_25lookback_scan_determinismE0ELb0ES3_N6thrust23THRUST_200600_302600_NS6detail15normal_iteratorINS9_10device_ptrIsEEEESE_SE_sNS9_10multipliesIsEENS9_8equal_toIsEEsEE10hipError_tPvRmT2_T3_T4_T5_mT6_T7_P12ihipStream_tbENKUlT_T0_E_clISt17integral_constantIbLb0EESY_IbLb1EEEEDaSU_SV_EUlSU_E_NS1_11comp_targetILNS1_3genE5ELNS1_11target_archE942ELNS1_3gpuE9ELNS1_3repE0EEENS1_30default_config_static_selectorELNS0_4arch9wavefront6targetE0EEEvT1_
	.globl	_ZN7rocprim17ROCPRIM_400000_NS6detail17trampoline_kernelINS0_14default_configENS1_27scan_by_key_config_selectorIssEEZZNS1_16scan_by_key_implILNS1_25lookback_scan_determinismE0ELb0ES3_N6thrust23THRUST_200600_302600_NS6detail15normal_iteratorINS9_10device_ptrIsEEEESE_SE_sNS9_10multipliesIsEENS9_8equal_toIsEEsEE10hipError_tPvRmT2_T3_T4_T5_mT6_T7_P12ihipStream_tbENKUlT_T0_E_clISt17integral_constantIbLb0EESY_IbLb1EEEEDaSU_SV_EUlSU_E_NS1_11comp_targetILNS1_3genE5ELNS1_11target_archE942ELNS1_3gpuE9ELNS1_3repE0EEENS1_30default_config_static_selectorELNS0_4arch9wavefront6targetE0EEEvT1_
	.p2align	8
	.type	_ZN7rocprim17ROCPRIM_400000_NS6detail17trampoline_kernelINS0_14default_configENS1_27scan_by_key_config_selectorIssEEZZNS1_16scan_by_key_implILNS1_25lookback_scan_determinismE0ELb0ES3_N6thrust23THRUST_200600_302600_NS6detail15normal_iteratorINS9_10device_ptrIsEEEESE_SE_sNS9_10multipliesIsEENS9_8equal_toIsEEsEE10hipError_tPvRmT2_T3_T4_T5_mT6_T7_P12ihipStream_tbENKUlT_T0_E_clISt17integral_constantIbLb0EESY_IbLb1EEEEDaSU_SV_EUlSU_E_NS1_11comp_targetILNS1_3genE5ELNS1_11target_archE942ELNS1_3gpuE9ELNS1_3repE0EEENS1_30default_config_static_selectorELNS0_4arch9wavefront6targetE0EEEvT1_,@function
_ZN7rocprim17ROCPRIM_400000_NS6detail17trampoline_kernelINS0_14default_configENS1_27scan_by_key_config_selectorIssEEZZNS1_16scan_by_key_implILNS1_25lookback_scan_determinismE0ELb0ES3_N6thrust23THRUST_200600_302600_NS6detail15normal_iteratorINS9_10device_ptrIsEEEESE_SE_sNS9_10multipliesIsEENS9_8equal_toIsEEsEE10hipError_tPvRmT2_T3_T4_T5_mT6_T7_P12ihipStream_tbENKUlT_T0_E_clISt17integral_constantIbLb0EESY_IbLb1EEEEDaSU_SV_EUlSU_E_NS1_11comp_targetILNS1_3genE5ELNS1_11target_archE942ELNS1_3gpuE9ELNS1_3repE0EEENS1_30default_config_static_selectorELNS0_4arch9wavefront6targetE0EEEvT1_: ; @_ZN7rocprim17ROCPRIM_400000_NS6detail17trampoline_kernelINS0_14default_configENS1_27scan_by_key_config_selectorIssEEZZNS1_16scan_by_key_implILNS1_25lookback_scan_determinismE0ELb0ES3_N6thrust23THRUST_200600_302600_NS6detail15normal_iteratorINS9_10device_ptrIsEEEESE_SE_sNS9_10multipliesIsEENS9_8equal_toIsEEsEE10hipError_tPvRmT2_T3_T4_T5_mT6_T7_P12ihipStream_tbENKUlT_T0_E_clISt17integral_constantIbLb0EESY_IbLb1EEEEDaSU_SV_EUlSU_E_NS1_11comp_targetILNS1_3genE5ELNS1_11target_archE942ELNS1_3gpuE9ELNS1_3repE0EEENS1_30default_config_static_selectorELNS0_4arch9wavefront6targetE0EEEvT1_
; %bb.0:
	.section	.rodata,"a",@progbits
	.p2align	6, 0x0
	.amdhsa_kernel _ZN7rocprim17ROCPRIM_400000_NS6detail17trampoline_kernelINS0_14default_configENS1_27scan_by_key_config_selectorIssEEZZNS1_16scan_by_key_implILNS1_25lookback_scan_determinismE0ELb0ES3_N6thrust23THRUST_200600_302600_NS6detail15normal_iteratorINS9_10device_ptrIsEEEESE_SE_sNS9_10multipliesIsEENS9_8equal_toIsEEsEE10hipError_tPvRmT2_T3_T4_T5_mT6_T7_P12ihipStream_tbENKUlT_T0_E_clISt17integral_constantIbLb0EESY_IbLb1EEEEDaSU_SV_EUlSU_E_NS1_11comp_targetILNS1_3genE5ELNS1_11target_archE942ELNS1_3gpuE9ELNS1_3repE0EEENS1_30default_config_static_selectorELNS0_4arch9wavefront6targetE0EEEvT1_
		.amdhsa_group_segment_fixed_size 0
		.amdhsa_private_segment_fixed_size 0
		.amdhsa_kernarg_size 112
		.amdhsa_user_sgpr_count 2
		.amdhsa_user_sgpr_dispatch_ptr 0
		.amdhsa_user_sgpr_queue_ptr 0
		.amdhsa_user_sgpr_kernarg_segment_ptr 1
		.amdhsa_user_sgpr_dispatch_id 0
		.amdhsa_user_sgpr_kernarg_preload_length 0
		.amdhsa_user_sgpr_kernarg_preload_offset 0
		.amdhsa_user_sgpr_private_segment_size 0
		.amdhsa_wavefront_size32 1
		.amdhsa_uses_dynamic_stack 0
		.amdhsa_enable_private_segment 0
		.amdhsa_system_sgpr_workgroup_id_x 1
		.amdhsa_system_sgpr_workgroup_id_y 0
		.amdhsa_system_sgpr_workgroup_id_z 0
		.amdhsa_system_sgpr_workgroup_info 0
		.amdhsa_system_vgpr_workitem_id 0
		.amdhsa_next_free_vgpr 1
		.amdhsa_next_free_sgpr 1
		.amdhsa_named_barrier_count 0
		.amdhsa_reserve_vcc 0
		.amdhsa_float_round_mode_32 0
		.amdhsa_float_round_mode_16_64 0
		.amdhsa_float_denorm_mode_32 3
		.amdhsa_float_denorm_mode_16_64 3
		.amdhsa_fp16_overflow 0
		.amdhsa_memory_ordered 1
		.amdhsa_forward_progress 1
		.amdhsa_inst_pref_size 0
		.amdhsa_round_robin_scheduling 0
		.amdhsa_exception_fp_ieee_invalid_op 0
		.amdhsa_exception_fp_denorm_src 0
		.amdhsa_exception_fp_ieee_div_zero 0
		.amdhsa_exception_fp_ieee_overflow 0
		.amdhsa_exception_fp_ieee_underflow 0
		.amdhsa_exception_fp_ieee_inexact 0
		.amdhsa_exception_int_div_zero 0
	.end_amdhsa_kernel
	.section	.text._ZN7rocprim17ROCPRIM_400000_NS6detail17trampoline_kernelINS0_14default_configENS1_27scan_by_key_config_selectorIssEEZZNS1_16scan_by_key_implILNS1_25lookback_scan_determinismE0ELb0ES3_N6thrust23THRUST_200600_302600_NS6detail15normal_iteratorINS9_10device_ptrIsEEEESE_SE_sNS9_10multipliesIsEENS9_8equal_toIsEEsEE10hipError_tPvRmT2_T3_T4_T5_mT6_T7_P12ihipStream_tbENKUlT_T0_E_clISt17integral_constantIbLb0EESY_IbLb1EEEEDaSU_SV_EUlSU_E_NS1_11comp_targetILNS1_3genE5ELNS1_11target_archE942ELNS1_3gpuE9ELNS1_3repE0EEENS1_30default_config_static_selectorELNS0_4arch9wavefront6targetE0EEEvT1_,"axG",@progbits,_ZN7rocprim17ROCPRIM_400000_NS6detail17trampoline_kernelINS0_14default_configENS1_27scan_by_key_config_selectorIssEEZZNS1_16scan_by_key_implILNS1_25lookback_scan_determinismE0ELb0ES3_N6thrust23THRUST_200600_302600_NS6detail15normal_iteratorINS9_10device_ptrIsEEEESE_SE_sNS9_10multipliesIsEENS9_8equal_toIsEEsEE10hipError_tPvRmT2_T3_T4_T5_mT6_T7_P12ihipStream_tbENKUlT_T0_E_clISt17integral_constantIbLb0EESY_IbLb1EEEEDaSU_SV_EUlSU_E_NS1_11comp_targetILNS1_3genE5ELNS1_11target_archE942ELNS1_3gpuE9ELNS1_3repE0EEENS1_30default_config_static_selectorELNS0_4arch9wavefront6targetE0EEEvT1_,comdat
.Lfunc_end310:
	.size	_ZN7rocprim17ROCPRIM_400000_NS6detail17trampoline_kernelINS0_14default_configENS1_27scan_by_key_config_selectorIssEEZZNS1_16scan_by_key_implILNS1_25lookback_scan_determinismE0ELb0ES3_N6thrust23THRUST_200600_302600_NS6detail15normal_iteratorINS9_10device_ptrIsEEEESE_SE_sNS9_10multipliesIsEENS9_8equal_toIsEEsEE10hipError_tPvRmT2_T3_T4_T5_mT6_T7_P12ihipStream_tbENKUlT_T0_E_clISt17integral_constantIbLb0EESY_IbLb1EEEEDaSU_SV_EUlSU_E_NS1_11comp_targetILNS1_3genE5ELNS1_11target_archE942ELNS1_3gpuE9ELNS1_3repE0EEENS1_30default_config_static_selectorELNS0_4arch9wavefront6targetE0EEEvT1_, .Lfunc_end310-_ZN7rocprim17ROCPRIM_400000_NS6detail17trampoline_kernelINS0_14default_configENS1_27scan_by_key_config_selectorIssEEZZNS1_16scan_by_key_implILNS1_25lookback_scan_determinismE0ELb0ES3_N6thrust23THRUST_200600_302600_NS6detail15normal_iteratorINS9_10device_ptrIsEEEESE_SE_sNS9_10multipliesIsEENS9_8equal_toIsEEsEE10hipError_tPvRmT2_T3_T4_T5_mT6_T7_P12ihipStream_tbENKUlT_T0_E_clISt17integral_constantIbLb0EESY_IbLb1EEEEDaSU_SV_EUlSU_E_NS1_11comp_targetILNS1_3genE5ELNS1_11target_archE942ELNS1_3gpuE9ELNS1_3repE0EEENS1_30default_config_static_selectorELNS0_4arch9wavefront6targetE0EEEvT1_
                                        ; -- End function
	.set _ZN7rocprim17ROCPRIM_400000_NS6detail17trampoline_kernelINS0_14default_configENS1_27scan_by_key_config_selectorIssEEZZNS1_16scan_by_key_implILNS1_25lookback_scan_determinismE0ELb0ES3_N6thrust23THRUST_200600_302600_NS6detail15normal_iteratorINS9_10device_ptrIsEEEESE_SE_sNS9_10multipliesIsEENS9_8equal_toIsEEsEE10hipError_tPvRmT2_T3_T4_T5_mT6_T7_P12ihipStream_tbENKUlT_T0_E_clISt17integral_constantIbLb0EESY_IbLb1EEEEDaSU_SV_EUlSU_E_NS1_11comp_targetILNS1_3genE5ELNS1_11target_archE942ELNS1_3gpuE9ELNS1_3repE0EEENS1_30default_config_static_selectorELNS0_4arch9wavefront6targetE0EEEvT1_.num_vgpr, 0
	.set _ZN7rocprim17ROCPRIM_400000_NS6detail17trampoline_kernelINS0_14default_configENS1_27scan_by_key_config_selectorIssEEZZNS1_16scan_by_key_implILNS1_25lookback_scan_determinismE0ELb0ES3_N6thrust23THRUST_200600_302600_NS6detail15normal_iteratorINS9_10device_ptrIsEEEESE_SE_sNS9_10multipliesIsEENS9_8equal_toIsEEsEE10hipError_tPvRmT2_T3_T4_T5_mT6_T7_P12ihipStream_tbENKUlT_T0_E_clISt17integral_constantIbLb0EESY_IbLb1EEEEDaSU_SV_EUlSU_E_NS1_11comp_targetILNS1_3genE5ELNS1_11target_archE942ELNS1_3gpuE9ELNS1_3repE0EEENS1_30default_config_static_selectorELNS0_4arch9wavefront6targetE0EEEvT1_.num_agpr, 0
	.set _ZN7rocprim17ROCPRIM_400000_NS6detail17trampoline_kernelINS0_14default_configENS1_27scan_by_key_config_selectorIssEEZZNS1_16scan_by_key_implILNS1_25lookback_scan_determinismE0ELb0ES3_N6thrust23THRUST_200600_302600_NS6detail15normal_iteratorINS9_10device_ptrIsEEEESE_SE_sNS9_10multipliesIsEENS9_8equal_toIsEEsEE10hipError_tPvRmT2_T3_T4_T5_mT6_T7_P12ihipStream_tbENKUlT_T0_E_clISt17integral_constantIbLb0EESY_IbLb1EEEEDaSU_SV_EUlSU_E_NS1_11comp_targetILNS1_3genE5ELNS1_11target_archE942ELNS1_3gpuE9ELNS1_3repE0EEENS1_30default_config_static_selectorELNS0_4arch9wavefront6targetE0EEEvT1_.numbered_sgpr, 0
	.set _ZN7rocprim17ROCPRIM_400000_NS6detail17trampoline_kernelINS0_14default_configENS1_27scan_by_key_config_selectorIssEEZZNS1_16scan_by_key_implILNS1_25lookback_scan_determinismE0ELb0ES3_N6thrust23THRUST_200600_302600_NS6detail15normal_iteratorINS9_10device_ptrIsEEEESE_SE_sNS9_10multipliesIsEENS9_8equal_toIsEEsEE10hipError_tPvRmT2_T3_T4_T5_mT6_T7_P12ihipStream_tbENKUlT_T0_E_clISt17integral_constantIbLb0EESY_IbLb1EEEEDaSU_SV_EUlSU_E_NS1_11comp_targetILNS1_3genE5ELNS1_11target_archE942ELNS1_3gpuE9ELNS1_3repE0EEENS1_30default_config_static_selectorELNS0_4arch9wavefront6targetE0EEEvT1_.num_named_barrier, 0
	.set _ZN7rocprim17ROCPRIM_400000_NS6detail17trampoline_kernelINS0_14default_configENS1_27scan_by_key_config_selectorIssEEZZNS1_16scan_by_key_implILNS1_25lookback_scan_determinismE0ELb0ES3_N6thrust23THRUST_200600_302600_NS6detail15normal_iteratorINS9_10device_ptrIsEEEESE_SE_sNS9_10multipliesIsEENS9_8equal_toIsEEsEE10hipError_tPvRmT2_T3_T4_T5_mT6_T7_P12ihipStream_tbENKUlT_T0_E_clISt17integral_constantIbLb0EESY_IbLb1EEEEDaSU_SV_EUlSU_E_NS1_11comp_targetILNS1_3genE5ELNS1_11target_archE942ELNS1_3gpuE9ELNS1_3repE0EEENS1_30default_config_static_selectorELNS0_4arch9wavefront6targetE0EEEvT1_.private_seg_size, 0
	.set _ZN7rocprim17ROCPRIM_400000_NS6detail17trampoline_kernelINS0_14default_configENS1_27scan_by_key_config_selectorIssEEZZNS1_16scan_by_key_implILNS1_25lookback_scan_determinismE0ELb0ES3_N6thrust23THRUST_200600_302600_NS6detail15normal_iteratorINS9_10device_ptrIsEEEESE_SE_sNS9_10multipliesIsEENS9_8equal_toIsEEsEE10hipError_tPvRmT2_T3_T4_T5_mT6_T7_P12ihipStream_tbENKUlT_T0_E_clISt17integral_constantIbLb0EESY_IbLb1EEEEDaSU_SV_EUlSU_E_NS1_11comp_targetILNS1_3genE5ELNS1_11target_archE942ELNS1_3gpuE9ELNS1_3repE0EEENS1_30default_config_static_selectorELNS0_4arch9wavefront6targetE0EEEvT1_.uses_vcc, 0
	.set _ZN7rocprim17ROCPRIM_400000_NS6detail17trampoline_kernelINS0_14default_configENS1_27scan_by_key_config_selectorIssEEZZNS1_16scan_by_key_implILNS1_25lookback_scan_determinismE0ELb0ES3_N6thrust23THRUST_200600_302600_NS6detail15normal_iteratorINS9_10device_ptrIsEEEESE_SE_sNS9_10multipliesIsEENS9_8equal_toIsEEsEE10hipError_tPvRmT2_T3_T4_T5_mT6_T7_P12ihipStream_tbENKUlT_T0_E_clISt17integral_constantIbLb0EESY_IbLb1EEEEDaSU_SV_EUlSU_E_NS1_11comp_targetILNS1_3genE5ELNS1_11target_archE942ELNS1_3gpuE9ELNS1_3repE0EEENS1_30default_config_static_selectorELNS0_4arch9wavefront6targetE0EEEvT1_.uses_flat_scratch, 0
	.set _ZN7rocprim17ROCPRIM_400000_NS6detail17trampoline_kernelINS0_14default_configENS1_27scan_by_key_config_selectorIssEEZZNS1_16scan_by_key_implILNS1_25lookback_scan_determinismE0ELb0ES3_N6thrust23THRUST_200600_302600_NS6detail15normal_iteratorINS9_10device_ptrIsEEEESE_SE_sNS9_10multipliesIsEENS9_8equal_toIsEEsEE10hipError_tPvRmT2_T3_T4_T5_mT6_T7_P12ihipStream_tbENKUlT_T0_E_clISt17integral_constantIbLb0EESY_IbLb1EEEEDaSU_SV_EUlSU_E_NS1_11comp_targetILNS1_3genE5ELNS1_11target_archE942ELNS1_3gpuE9ELNS1_3repE0EEENS1_30default_config_static_selectorELNS0_4arch9wavefront6targetE0EEEvT1_.has_dyn_sized_stack, 0
	.set _ZN7rocprim17ROCPRIM_400000_NS6detail17trampoline_kernelINS0_14default_configENS1_27scan_by_key_config_selectorIssEEZZNS1_16scan_by_key_implILNS1_25lookback_scan_determinismE0ELb0ES3_N6thrust23THRUST_200600_302600_NS6detail15normal_iteratorINS9_10device_ptrIsEEEESE_SE_sNS9_10multipliesIsEENS9_8equal_toIsEEsEE10hipError_tPvRmT2_T3_T4_T5_mT6_T7_P12ihipStream_tbENKUlT_T0_E_clISt17integral_constantIbLb0EESY_IbLb1EEEEDaSU_SV_EUlSU_E_NS1_11comp_targetILNS1_3genE5ELNS1_11target_archE942ELNS1_3gpuE9ELNS1_3repE0EEENS1_30default_config_static_selectorELNS0_4arch9wavefront6targetE0EEEvT1_.has_recursion, 0
	.set _ZN7rocprim17ROCPRIM_400000_NS6detail17trampoline_kernelINS0_14default_configENS1_27scan_by_key_config_selectorIssEEZZNS1_16scan_by_key_implILNS1_25lookback_scan_determinismE0ELb0ES3_N6thrust23THRUST_200600_302600_NS6detail15normal_iteratorINS9_10device_ptrIsEEEESE_SE_sNS9_10multipliesIsEENS9_8equal_toIsEEsEE10hipError_tPvRmT2_T3_T4_T5_mT6_T7_P12ihipStream_tbENKUlT_T0_E_clISt17integral_constantIbLb0EESY_IbLb1EEEEDaSU_SV_EUlSU_E_NS1_11comp_targetILNS1_3genE5ELNS1_11target_archE942ELNS1_3gpuE9ELNS1_3repE0EEENS1_30default_config_static_selectorELNS0_4arch9wavefront6targetE0EEEvT1_.has_indirect_call, 0
	.section	.AMDGPU.csdata,"",@progbits
; Kernel info:
; codeLenInByte = 0
; TotalNumSgprs: 0
; NumVgprs: 0
; ScratchSize: 0
; MemoryBound: 0
; FloatMode: 240
; IeeeMode: 1
; LDSByteSize: 0 bytes/workgroup (compile time only)
; SGPRBlocks: 0
; VGPRBlocks: 0
; NumSGPRsForWavesPerEU: 1
; NumVGPRsForWavesPerEU: 1
; NamedBarCnt: 0
; Occupancy: 16
; WaveLimiterHint : 0
; COMPUTE_PGM_RSRC2:SCRATCH_EN: 0
; COMPUTE_PGM_RSRC2:USER_SGPR: 2
; COMPUTE_PGM_RSRC2:TRAP_HANDLER: 0
; COMPUTE_PGM_RSRC2:TGID_X_EN: 1
; COMPUTE_PGM_RSRC2:TGID_Y_EN: 0
; COMPUTE_PGM_RSRC2:TGID_Z_EN: 0
; COMPUTE_PGM_RSRC2:TIDIG_COMP_CNT: 0
	.section	.text._ZN7rocprim17ROCPRIM_400000_NS6detail17trampoline_kernelINS0_14default_configENS1_27scan_by_key_config_selectorIssEEZZNS1_16scan_by_key_implILNS1_25lookback_scan_determinismE0ELb0ES3_N6thrust23THRUST_200600_302600_NS6detail15normal_iteratorINS9_10device_ptrIsEEEESE_SE_sNS9_10multipliesIsEENS9_8equal_toIsEEsEE10hipError_tPvRmT2_T3_T4_T5_mT6_T7_P12ihipStream_tbENKUlT_T0_E_clISt17integral_constantIbLb0EESY_IbLb1EEEEDaSU_SV_EUlSU_E_NS1_11comp_targetILNS1_3genE4ELNS1_11target_archE910ELNS1_3gpuE8ELNS1_3repE0EEENS1_30default_config_static_selectorELNS0_4arch9wavefront6targetE0EEEvT1_,"axG",@progbits,_ZN7rocprim17ROCPRIM_400000_NS6detail17trampoline_kernelINS0_14default_configENS1_27scan_by_key_config_selectorIssEEZZNS1_16scan_by_key_implILNS1_25lookback_scan_determinismE0ELb0ES3_N6thrust23THRUST_200600_302600_NS6detail15normal_iteratorINS9_10device_ptrIsEEEESE_SE_sNS9_10multipliesIsEENS9_8equal_toIsEEsEE10hipError_tPvRmT2_T3_T4_T5_mT6_T7_P12ihipStream_tbENKUlT_T0_E_clISt17integral_constantIbLb0EESY_IbLb1EEEEDaSU_SV_EUlSU_E_NS1_11comp_targetILNS1_3genE4ELNS1_11target_archE910ELNS1_3gpuE8ELNS1_3repE0EEENS1_30default_config_static_selectorELNS0_4arch9wavefront6targetE0EEEvT1_,comdat
	.protected	_ZN7rocprim17ROCPRIM_400000_NS6detail17trampoline_kernelINS0_14default_configENS1_27scan_by_key_config_selectorIssEEZZNS1_16scan_by_key_implILNS1_25lookback_scan_determinismE0ELb0ES3_N6thrust23THRUST_200600_302600_NS6detail15normal_iteratorINS9_10device_ptrIsEEEESE_SE_sNS9_10multipliesIsEENS9_8equal_toIsEEsEE10hipError_tPvRmT2_T3_T4_T5_mT6_T7_P12ihipStream_tbENKUlT_T0_E_clISt17integral_constantIbLb0EESY_IbLb1EEEEDaSU_SV_EUlSU_E_NS1_11comp_targetILNS1_3genE4ELNS1_11target_archE910ELNS1_3gpuE8ELNS1_3repE0EEENS1_30default_config_static_selectorELNS0_4arch9wavefront6targetE0EEEvT1_ ; -- Begin function _ZN7rocprim17ROCPRIM_400000_NS6detail17trampoline_kernelINS0_14default_configENS1_27scan_by_key_config_selectorIssEEZZNS1_16scan_by_key_implILNS1_25lookback_scan_determinismE0ELb0ES3_N6thrust23THRUST_200600_302600_NS6detail15normal_iteratorINS9_10device_ptrIsEEEESE_SE_sNS9_10multipliesIsEENS9_8equal_toIsEEsEE10hipError_tPvRmT2_T3_T4_T5_mT6_T7_P12ihipStream_tbENKUlT_T0_E_clISt17integral_constantIbLb0EESY_IbLb1EEEEDaSU_SV_EUlSU_E_NS1_11comp_targetILNS1_3genE4ELNS1_11target_archE910ELNS1_3gpuE8ELNS1_3repE0EEENS1_30default_config_static_selectorELNS0_4arch9wavefront6targetE0EEEvT1_
	.globl	_ZN7rocprim17ROCPRIM_400000_NS6detail17trampoline_kernelINS0_14default_configENS1_27scan_by_key_config_selectorIssEEZZNS1_16scan_by_key_implILNS1_25lookback_scan_determinismE0ELb0ES3_N6thrust23THRUST_200600_302600_NS6detail15normal_iteratorINS9_10device_ptrIsEEEESE_SE_sNS9_10multipliesIsEENS9_8equal_toIsEEsEE10hipError_tPvRmT2_T3_T4_T5_mT6_T7_P12ihipStream_tbENKUlT_T0_E_clISt17integral_constantIbLb0EESY_IbLb1EEEEDaSU_SV_EUlSU_E_NS1_11comp_targetILNS1_3genE4ELNS1_11target_archE910ELNS1_3gpuE8ELNS1_3repE0EEENS1_30default_config_static_selectorELNS0_4arch9wavefront6targetE0EEEvT1_
	.p2align	8
	.type	_ZN7rocprim17ROCPRIM_400000_NS6detail17trampoline_kernelINS0_14default_configENS1_27scan_by_key_config_selectorIssEEZZNS1_16scan_by_key_implILNS1_25lookback_scan_determinismE0ELb0ES3_N6thrust23THRUST_200600_302600_NS6detail15normal_iteratorINS9_10device_ptrIsEEEESE_SE_sNS9_10multipliesIsEENS9_8equal_toIsEEsEE10hipError_tPvRmT2_T3_T4_T5_mT6_T7_P12ihipStream_tbENKUlT_T0_E_clISt17integral_constantIbLb0EESY_IbLb1EEEEDaSU_SV_EUlSU_E_NS1_11comp_targetILNS1_3genE4ELNS1_11target_archE910ELNS1_3gpuE8ELNS1_3repE0EEENS1_30default_config_static_selectorELNS0_4arch9wavefront6targetE0EEEvT1_,@function
_ZN7rocprim17ROCPRIM_400000_NS6detail17trampoline_kernelINS0_14default_configENS1_27scan_by_key_config_selectorIssEEZZNS1_16scan_by_key_implILNS1_25lookback_scan_determinismE0ELb0ES3_N6thrust23THRUST_200600_302600_NS6detail15normal_iteratorINS9_10device_ptrIsEEEESE_SE_sNS9_10multipliesIsEENS9_8equal_toIsEEsEE10hipError_tPvRmT2_T3_T4_T5_mT6_T7_P12ihipStream_tbENKUlT_T0_E_clISt17integral_constantIbLb0EESY_IbLb1EEEEDaSU_SV_EUlSU_E_NS1_11comp_targetILNS1_3genE4ELNS1_11target_archE910ELNS1_3gpuE8ELNS1_3repE0EEENS1_30default_config_static_selectorELNS0_4arch9wavefront6targetE0EEEvT1_: ; @_ZN7rocprim17ROCPRIM_400000_NS6detail17trampoline_kernelINS0_14default_configENS1_27scan_by_key_config_selectorIssEEZZNS1_16scan_by_key_implILNS1_25lookback_scan_determinismE0ELb0ES3_N6thrust23THRUST_200600_302600_NS6detail15normal_iteratorINS9_10device_ptrIsEEEESE_SE_sNS9_10multipliesIsEENS9_8equal_toIsEEsEE10hipError_tPvRmT2_T3_T4_T5_mT6_T7_P12ihipStream_tbENKUlT_T0_E_clISt17integral_constantIbLb0EESY_IbLb1EEEEDaSU_SV_EUlSU_E_NS1_11comp_targetILNS1_3genE4ELNS1_11target_archE910ELNS1_3gpuE8ELNS1_3repE0EEENS1_30default_config_static_selectorELNS0_4arch9wavefront6targetE0EEEvT1_
; %bb.0:
	.section	.rodata,"a",@progbits
	.p2align	6, 0x0
	.amdhsa_kernel _ZN7rocprim17ROCPRIM_400000_NS6detail17trampoline_kernelINS0_14default_configENS1_27scan_by_key_config_selectorIssEEZZNS1_16scan_by_key_implILNS1_25lookback_scan_determinismE0ELb0ES3_N6thrust23THRUST_200600_302600_NS6detail15normal_iteratorINS9_10device_ptrIsEEEESE_SE_sNS9_10multipliesIsEENS9_8equal_toIsEEsEE10hipError_tPvRmT2_T3_T4_T5_mT6_T7_P12ihipStream_tbENKUlT_T0_E_clISt17integral_constantIbLb0EESY_IbLb1EEEEDaSU_SV_EUlSU_E_NS1_11comp_targetILNS1_3genE4ELNS1_11target_archE910ELNS1_3gpuE8ELNS1_3repE0EEENS1_30default_config_static_selectorELNS0_4arch9wavefront6targetE0EEEvT1_
		.amdhsa_group_segment_fixed_size 0
		.amdhsa_private_segment_fixed_size 0
		.amdhsa_kernarg_size 112
		.amdhsa_user_sgpr_count 2
		.amdhsa_user_sgpr_dispatch_ptr 0
		.amdhsa_user_sgpr_queue_ptr 0
		.amdhsa_user_sgpr_kernarg_segment_ptr 1
		.amdhsa_user_sgpr_dispatch_id 0
		.amdhsa_user_sgpr_kernarg_preload_length 0
		.amdhsa_user_sgpr_kernarg_preload_offset 0
		.amdhsa_user_sgpr_private_segment_size 0
		.amdhsa_wavefront_size32 1
		.amdhsa_uses_dynamic_stack 0
		.amdhsa_enable_private_segment 0
		.amdhsa_system_sgpr_workgroup_id_x 1
		.amdhsa_system_sgpr_workgroup_id_y 0
		.amdhsa_system_sgpr_workgroup_id_z 0
		.amdhsa_system_sgpr_workgroup_info 0
		.amdhsa_system_vgpr_workitem_id 0
		.amdhsa_next_free_vgpr 1
		.amdhsa_next_free_sgpr 1
		.amdhsa_named_barrier_count 0
		.amdhsa_reserve_vcc 0
		.amdhsa_float_round_mode_32 0
		.amdhsa_float_round_mode_16_64 0
		.amdhsa_float_denorm_mode_32 3
		.amdhsa_float_denorm_mode_16_64 3
		.amdhsa_fp16_overflow 0
		.amdhsa_memory_ordered 1
		.amdhsa_forward_progress 1
		.amdhsa_inst_pref_size 0
		.amdhsa_round_robin_scheduling 0
		.amdhsa_exception_fp_ieee_invalid_op 0
		.amdhsa_exception_fp_denorm_src 0
		.amdhsa_exception_fp_ieee_div_zero 0
		.amdhsa_exception_fp_ieee_overflow 0
		.amdhsa_exception_fp_ieee_underflow 0
		.amdhsa_exception_fp_ieee_inexact 0
		.amdhsa_exception_int_div_zero 0
	.end_amdhsa_kernel
	.section	.text._ZN7rocprim17ROCPRIM_400000_NS6detail17trampoline_kernelINS0_14default_configENS1_27scan_by_key_config_selectorIssEEZZNS1_16scan_by_key_implILNS1_25lookback_scan_determinismE0ELb0ES3_N6thrust23THRUST_200600_302600_NS6detail15normal_iteratorINS9_10device_ptrIsEEEESE_SE_sNS9_10multipliesIsEENS9_8equal_toIsEEsEE10hipError_tPvRmT2_T3_T4_T5_mT6_T7_P12ihipStream_tbENKUlT_T0_E_clISt17integral_constantIbLb0EESY_IbLb1EEEEDaSU_SV_EUlSU_E_NS1_11comp_targetILNS1_3genE4ELNS1_11target_archE910ELNS1_3gpuE8ELNS1_3repE0EEENS1_30default_config_static_selectorELNS0_4arch9wavefront6targetE0EEEvT1_,"axG",@progbits,_ZN7rocprim17ROCPRIM_400000_NS6detail17trampoline_kernelINS0_14default_configENS1_27scan_by_key_config_selectorIssEEZZNS1_16scan_by_key_implILNS1_25lookback_scan_determinismE0ELb0ES3_N6thrust23THRUST_200600_302600_NS6detail15normal_iteratorINS9_10device_ptrIsEEEESE_SE_sNS9_10multipliesIsEENS9_8equal_toIsEEsEE10hipError_tPvRmT2_T3_T4_T5_mT6_T7_P12ihipStream_tbENKUlT_T0_E_clISt17integral_constantIbLb0EESY_IbLb1EEEEDaSU_SV_EUlSU_E_NS1_11comp_targetILNS1_3genE4ELNS1_11target_archE910ELNS1_3gpuE8ELNS1_3repE0EEENS1_30default_config_static_selectorELNS0_4arch9wavefront6targetE0EEEvT1_,comdat
.Lfunc_end311:
	.size	_ZN7rocprim17ROCPRIM_400000_NS6detail17trampoline_kernelINS0_14default_configENS1_27scan_by_key_config_selectorIssEEZZNS1_16scan_by_key_implILNS1_25lookback_scan_determinismE0ELb0ES3_N6thrust23THRUST_200600_302600_NS6detail15normal_iteratorINS9_10device_ptrIsEEEESE_SE_sNS9_10multipliesIsEENS9_8equal_toIsEEsEE10hipError_tPvRmT2_T3_T4_T5_mT6_T7_P12ihipStream_tbENKUlT_T0_E_clISt17integral_constantIbLb0EESY_IbLb1EEEEDaSU_SV_EUlSU_E_NS1_11comp_targetILNS1_3genE4ELNS1_11target_archE910ELNS1_3gpuE8ELNS1_3repE0EEENS1_30default_config_static_selectorELNS0_4arch9wavefront6targetE0EEEvT1_, .Lfunc_end311-_ZN7rocprim17ROCPRIM_400000_NS6detail17trampoline_kernelINS0_14default_configENS1_27scan_by_key_config_selectorIssEEZZNS1_16scan_by_key_implILNS1_25lookback_scan_determinismE0ELb0ES3_N6thrust23THRUST_200600_302600_NS6detail15normal_iteratorINS9_10device_ptrIsEEEESE_SE_sNS9_10multipliesIsEENS9_8equal_toIsEEsEE10hipError_tPvRmT2_T3_T4_T5_mT6_T7_P12ihipStream_tbENKUlT_T0_E_clISt17integral_constantIbLb0EESY_IbLb1EEEEDaSU_SV_EUlSU_E_NS1_11comp_targetILNS1_3genE4ELNS1_11target_archE910ELNS1_3gpuE8ELNS1_3repE0EEENS1_30default_config_static_selectorELNS0_4arch9wavefront6targetE0EEEvT1_
                                        ; -- End function
	.set _ZN7rocprim17ROCPRIM_400000_NS6detail17trampoline_kernelINS0_14default_configENS1_27scan_by_key_config_selectorIssEEZZNS1_16scan_by_key_implILNS1_25lookback_scan_determinismE0ELb0ES3_N6thrust23THRUST_200600_302600_NS6detail15normal_iteratorINS9_10device_ptrIsEEEESE_SE_sNS9_10multipliesIsEENS9_8equal_toIsEEsEE10hipError_tPvRmT2_T3_T4_T5_mT6_T7_P12ihipStream_tbENKUlT_T0_E_clISt17integral_constantIbLb0EESY_IbLb1EEEEDaSU_SV_EUlSU_E_NS1_11comp_targetILNS1_3genE4ELNS1_11target_archE910ELNS1_3gpuE8ELNS1_3repE0EEENS1_30default_config_static_selectorELNS0_4arch9wavefront6targetE0EEEvT1_.num_vgpr, 0
	.set _ZN7rocprim17ROCPRIM_400000_NS6detail17trampoline_kernelINS0_14default_configENS1_27scan_by_key_config_selectorIssEEZZNS1_16scan_by_key_implILNS1_25lookback_scan_determinismE0ELb0ES3_N6thrust23THRUST_200600_302600_NS6detail15normal_iteratorINS9_10device_ptrIsEEEESE_SE_sNS9_10multipliesIsEENS9_8equal_toIsEEsEE10hipError_tPvRmT2_T3_T4_T5_mT6_T7_P12ihipStream_tbENKUlT_T0_E_clISt17integral_constantIbLb0EESY_IbLb1EEEEDaSU_SV_EUlSU_E_NS1_11comp_targetILNS1_3genE4ELNS1_11target_archE910ELNS1_3gpuE8ELNS1_3repE0EEENS1_30default_config_static_selectorELNS0_4arch9wavefront6targetE0EEEvT1_.num_agpr, 0
	.set _ZN7rocprim17ROCPRIM_400000_NS6detail17trampoline_kernelINS0_14default_configENS1_27scan_by_key_config_selectorIssEEZZNS1_16scan_by_key_implILNS1_25lookback_scan_determinismE0ELb0ES3_N6thrust23THRUST_200600_302600_NS6detail15normal_iteratorINS9_10device_ptrIsEEEESE_SE_sNS9_10multipliesIsEENS9_8equal_toIsEEsEE10hipError_tPvRmT2_T3_T4_T5_mT6_T7_P12ihipStream_tbENKUlT_T0_E_clISt17integral_constantIbLb0EESY_IbLb1EEEEDaSU_SV_EUlSU_E_NS1_11comp_targetILNS1_3genE4ELNS1_11target_archE910ELNS1_3gpuE8ELNS1_3repE0EEENS1_30default_config_static_selectorELNS0_4arch9wavefront6targetE0EEEvT1_.numbered_sgpr, 0
	.set _ZN7rocprim17ROCPRIM_400000_NS6detail17trampoline_kernelINS0_14default_configENS1_27scan_by_key_config_selectorIssEEZZNS1_16scan_by_key_implILNS1_25lookback_scan_determinismE0ELb0ES3_N6thrust23THRUST_200600_302600_NS6detail15normal_iteratorINS9_10device_ptrIsEEEESE_SE_sNS9_10multipliesIsEENS9_8equal_toIsEEsEE10hipError_tPvRmT2_T3_T4_T5_mT6_T7_P12ihipStream_tbENKUlT_T0_E_clISt17integral_constantIbLb0EESY_IbLb1EEEEDaSU_SV_EUlSU_E_NS1_11comp_targetILNS1_3genE4ELNS1_11target_archE910ELNS1_3gpuE8ELNS1_3repE0EEENS1_30default_config_static_selectorELNS0_4arch9wavefront6targetE0EEEvT1_.num_named_barrier, 0
	.set _ZN7rocprim17ROCPRIM_400000_NS6detail17trampoline_kernelINS0_14default_configENS1_27scan_by_key_config_selectorIssEEZZNS1_16scan_by_key_implILNS1_25lookback_scan_determinismE0ELb0ES3_N6thrust23THRUST_200600_302600_NS6detail15normal_iteratorINS9_10device_ptrIsEEEESE_SE_sNS9_10multipliesIsEENS9_8equal_toIsEEsEE10hipError_tPvRmT2_T3_T4_T5_mT6_T7_P12ihipStream_tbENKUlT_T0_E_clISt17integral_constantIbLb0EESY_IbLb1EEEEDaSU_SV_EUlSU_E_NS1_11comp_targetILNS1_3genE4ELNS1_11target_archE910ELNS1_3gpuE8ELNS1_3repE0EEENS1_30default_config_static_selectorELNS0_4arch9wavefront6targetE0EEEvT1_.private_seg_size, 0
	.set _ZN7rocprim17ROCPRIM_400000_NS6detail17trampoline_kernelINS0_14default_configENS1_27scan_by_key_config_selectorIssEEZZNS1_16scan_by_key_implILNS1_25lookback_scan_determinismE0ELb0ES3_N6thrust23THRUST_200600_302600_NS6detail15normal_iteratorINS9_10device_ptrIsEEEESE_SE_sNS9_10multipliesIsEENS9_8equal_toIsEEsEE10hipError_tPvRmT2_T3_T4_T5_mT6_T7_P12ihipStream_tbENKUlT_T0_E_clISt17integral_constantIbLb0EESY_IbLb1EEEEDaSU_SV_EUlSU_E_NS1_11comp_targetILNS1_3genE4ELNS1_11target_archE910ELNS1_3gpuE8ELNS1_3repE0EEENS1_30default_config_static_selectorELNS0_4arch9wavefront6targetE0EEEvT1_.uses_vcc, 0
	.set _ZN7rocprim17ROCPRIM_400000_NS6detail17trampoline_kernelINS0_14default_configENS1_27scan_by_key_config_selectorIssEEZZNS1_16scan_by_key_implILNS1_25lookback_scan_determinismE0ELb0ES3_N6thrust23THRUST_200600_302600_NS6detail15normal_iteratorINS9_10device_ptrIsEEEESE_SE_sNS9_10multipliesIsEENS9_8equal_toIsEEsEE10hipError_tPvRmT2_T3_T4_T5_mT6_T7_P12ihipStream_tbENKUlT_T0_E_clISt17integral_constantIbLb0EESY_IbLb1EEEEDaSU_SV_EUlSU_E_NS1_11comp_targetILNS1_3genE4ELNS1_11target_archE910ELNS1_3gpuE8ELNS1_3repE0EEENS1_30default_config_static_selectorELNS0_4arch9wavefront6targetE0EEEvT1_.uses_flat_scratch, 0
	.set _ZN7rocprim17ROCPRIM_400000_NS6detail17trampoline_kernelINS0_14default_configENS1_27scan_by_key_config_selectorIssEEZZNS1_16scan_by_key_implILNS1_25lookback_scan_determinismE0ELb0ES3_N6thrust23THRUST_200600_302600_NS6detail15normal_iteratorINS9_10device_ptrIsEEEESE_SE_sNS9_10multipliesIsEENS9_8equal_toIsEEsEE10hipError_tPvRmT2_T3_T4_T5_mT6_T7_P12ihipStream_tbENKUlT_T0_E_clISt17integral_constantIbLb0EESY_IbLb1EEEEDaSU_SV_EUlSU_E_NS1_11comp_targetILNS1_3genE4ELNS1_11target_archE910ELNS1_3gpuE8ELNS1_3repE0EEENS1_30default_config_static_selectorELNS0_4arch9wavefront6targetE0EEEvT1_.has_dyn_sized_stack, 0
	.set _ZN7rocprim17ROCPRIM_400000_NS6detail17trampoline_kernelINS0_14default_configENS1_27scan_by_key_config_selectorIssEEZZNS1_16scan_by_key_implILNS1_25lookback_scan_determinismE0ELb0ES3_N6thrust23THRUST_200600_302600_NS6detail15normal_iteratorINS9_10device_ptrIsEEEESE_SE_sNS9_10multipliesIsEENS9_8equal_toIsEEsEE10hipError_tPvRmT2_T3_T4_T5_mT6_T7_P12ihipStream_tbENKUlT_T0_E_clISt17integral_constantIbLb0EESY_IbLb1EEEEDaSU_SV_EUlSU_E_NS1_11comp_targetILNS1_3genE4ELNS1_11target_archE910ELNS1_3gpuE8ELNS1_3repE0EEENS1_30default_config_static_selectorELNS0_4arch9wavefront6targetE0EEEvT1_.has_recursion, 0
	.set _ZN7rocprim17ROCPRIM_400000_NS6detail17trampoline_kernelINS0_14default_configENS1_27scan_by_key_config_selectorIssEEZZNS1_16scan_by_key_implILNS1_25lookback_scan_determinismE0ELb0ES3_N6thrust23THRUST_200600_302600_NS6detail15normal_iteratorINS9_10device_ptrIsEEEESE_SE_sNS9_10multipliesIsEENS9_8equal_toIsEEsEE10hipError_tPvRmT2_T3_T4_T5_mT6_T7_P12ihipStream_tbENKUlT_T0_E_clISt17integral_constantIbLb0EESY_IbLb1EEEEDaSU_SV_EUlSU_E_NS1_11comp_targetILNS1_3genE4ELNS1_11target_archE910ELNS1_3gpuE8ELNS1_3repE0EEENS1_30default_config_static_selectorELNS0_4arch9wavefront6targetE0EEEvT1_.has_indirect_call, 0
	.section	.AMDGPU.csdata,"",@progbits
; Kernel info:
; codeLenInByte = 0
; TotalNumSgprs: 0
; NumVgprs: 0
; ScratchSize: 0
; MemoryBound: 0
; FloatMode: 240
; IeeeMode: 1
; LDSByteSize: 0 bytes/workgroup (compile time only)
; SGPRBlocks: 0
; VGPRBlocks: 0
; NumSGPRsForWavesPerEU: 1
; NumVGPRsForWavesPerEU: 1
; NamedBarCnt: 0
; Occupancy: 16
; WaveLimiterHint : 0
; COMPUTE_PGM_RSRC2:SCRATCH_EN: 0
; COMPUTE_PGM_RSRC2:USER_SGPR: 2
; COMPUTE_PGM_RSRC2:TRAP_HANDLER: 0
; COMPUTE_PGM_RSRC2:TGID_X_EN: 1
; COMPUTE_PGM_RSRC2:TGID_Y_EN: 0
; COMPUTE_PGM_RSRC2:TGID_Z_EN: 0
; COMPUTE_PGM_RSRC2:TIDIG_COMP_CNT: 0
	.section	.text._ZN7rocprim17ROCPRIM_400000_NS6detail17trampoline_kernelINS0_14default_configENS1_27scan_by_key_config_selectorIssEEZZNS1_16scan_by_key_implILNS1_25lookback_scan_determinismE0ELb0ES3_N6thrust23THRUST_200600_302600_NS6detail15normal_iteratorINS9_10device_ptrIsEEEESE_SE_sNS9_10multipliesIsEENS9_8equal_toIsEEsEE10hipError_tPvRmT2_T3_T4_T5_mT6_T7_P12ihipStream_tbENKUlT_T0_E_clISt17integral_constantIbLb0EESY_IbLb1EEEEDaSU_SV_EUlSU_E_NS1_11comp_targetILNS1_3genE3ELNS1_11target_archE908ELNS1_3gpuE7ELNS1_3repE0EEENS1_30default_config_static_selectorELNS0_4arch9wavefront6targetE0EEEvT1_,"axG",@progbits,_ZN7rocprim17ROCPRIM_400000_NS6detail17trampoline_kernelINS0_14default_configENS1_27scan_by_key_config_selectorIssEEZZNS1_16scan_by_key_implILNS1_25lookback_scan_determinismE0ELb0ES3_N6thrust23THRUST_200600_302600_NS6detail15normal_iteratorINS9_10device_ptrIsEEEESE_SE_sNS9_10multipliesIsEENS9_8equal_toIsEEsEE10hipError_tPvRmT2_T3_T4_T5_mT6_T7_P12ihipStream_tbENKUlT_T0_E_clISt17integral_constantIbLb0EESY_IbLb1EEEEDaSU_SV_EUlSU_E_NS1_11comp_targetILNS1_3genE3ELNS1_11target_archE908ELNS1_3gpuE7ELNS1_3repE0EEENS1_30default_config_static_selectorELNS0_4arch9wavefront6targetE0EEEvT1_,comdat
	.protected	_ZN7rocprim17ROCPRIM_400000_NS6detail17trampoline_kernelINS0_14default_configENS1_27scan_by_key_config_selectorIssEEZZNS1_16scan_by_key_implILNS1_25lookback_scan_determinismE0ELb0ES3_N6thrust23THRUST_200600_302600_NS6detail15normal_iteratorINS9_10device_ptrIsEEEESE_SE_sNS9_10multipliesIsEENS9_8equal_toIsEEsEE10hipError_tPvRmT2_T3_T4_T5_mT6_T7_P12ihipStream_tbENKUlT_T0_E_clISt17integral_constantIbLb0EESY_IbLb1EEEEDaSU_SV_EUlSU_E_NS1_11comp_targetILNS1_3genE3ELNS1_11target_archE908ELNS1_3gpuE7ELNS1_3repE0EEENS1_30default_config_static_selectorELNS0_4arch9wavefront6targetE0EEEvT1_ ; -- Begin function _ZN7rocprim17ROCPRIM_400000_NS6detail17trampoline_kernelINS0_14default_configENS1_27scan_by_key_config_selectorIssEEZZNS1_16scan_by_key_implILNS1_25lookback_scan_determinismE0ELb0ES3_N6thrust23THRUST_200600_302600_NS6detail15normal_iteratorINS9_10device_ptrIsEEEESE_SE_sNS9_10multipliesIsEENS9_8equal_toIsEEsEE10hipError_tPvRmT2_T3_T4_T5_mT6_T7_P12ihipStream_tbENKUlT_T0_E_clISt17integral_constantIbLb0EESY_IbLb1EEEEDaSU_SV_EUlSU_E_NS1_11comp_targetILNS1_3genE3ELNS1_11target_archE908ELNS1_3gpuE7ELNS1_3repE0EEENS1_30default_config_static_selectorELNS0_4arch9wavefront6targetE0EEEvT1_
	.globl	_ZN7rocprim17ROCPRIM_400000_NS6detail17trampoline_kernelINS0_14default_configENS1_27scan_by_key_config_selectorIssEEZZNS1_16scan_by_key_implILNS1_25lookback_scan_determinismE0ELb0ES3_N6thrust23THRUST_200600_302600_NS6detail15normal_iteratorINS9_10device_ptrIsEEEESE_SE_sNS9_10multipliesIsEENS9_8equal_toIsEEsEE10hipError_tPvRmT2_T3_T4_T5_mT6_T7_P12ihipStream_tbENKUlT_T0_E_clISt17integral_constantIbLb0EESY_IbLb1EEEEDaSU_SV_EUlSU_E_NS1_11comp_targetILNS1_3genE3ELNS1_11target_archE908ELNS1_3gpuE7ELNS1_3repE0EEENS1_30default_config_static_selectorELNS0_4arch9wavefront6targetE0EEEvT1_
	.p2align	8
	.type	_ZN7rocprim17ROCPRIM_400000_NS6detail17trampoline_kernelINS0_14default_configENS1_27scan_by_key_config_selectorIssEEZZNS1_16scan_by_key_implILNS1_25lookback_scan_determinismE0ELb0ES3_N6thrust23THRUST_200600_302600_NS6detail15normal_iteratorINS9_10device_ptrIsEEEESE_SE_sNS9_10multipliesIsEENS9_8equal_toIsEEsEE10hipError_tPvRmT2_T3_T4_T5_mT6_T7_P12ihipStream_tbENKUlT_T0_E_clISt17integral_constantIbLb0EESY_IbLb1EEEEDaSU_SV_EUlSU_E_NS1_11comp_targetILNS1_3genE3ELNS1_11target_archE908ELNS1_3gpuE7ELNS1_3repE0EEENS1_30default_config_static_selectorELNS0_4arch9wavefront6targetE0EEEvT1_,@function
_ZN7rocprim17ROCPRIM_400000_NS6detail17trampoline_kernelINS0_14default_configENS1_27scan_by_key_config_selectorIssEEZZNS1_16scan_by_key_implILNS1_25lookback_scan_determinismE0ELb0ES3_N6thrust23THRUST_200600_302600_NS6detail15normal_iteratorINS9_10device_ptrIsEEEESE_SE_sNS9_10multipliesIsEENS9_8equal_toIsEEsEE10hipError_tPvRmT2_T3_T4_T5_mT6_T7_P12ihipStream_tbENKUlT_T0_E_clISt17integral_constantIbLb0EESY_IbLb1EEEEDaSU_SV_EUlSU_E_NS1_11comp_targetILNS1_3genE3ELNS1_11target_archE908ELNS1_3gpuE7ELNS1_3repE0EEENS1_30default_config_static_selectorELNS0_4arch9wavefront6targetE0EEEvT1_: ; @_ZN7rocprim17ROCPRIM_400000_NS6detail17trampoline_kernelINS0_14default_configENS1_27scan_by_key_config_selectorIssEEZZNS1_16scan_by_key_implILNS1_25lookback_scan_determinismE0ELb0ES3_N6thrust23THRUST_200600_302600_NS6detail15normal_iteratorINS9_10device_ptrIsEEEESE_SE_sNS9_10multipliesIsEENS9_8equal_toIsEEsEE10hipError_tPvRmT2_T3_T4_T5_mT6_T7_P12ihipStream_tbENKUlT_T0_E_clISt17integral_constantIbLb0EESY_IbLb1EEEEDaSU_SV_EUlSU_E_NS1_11comp_targetILNS1_3genE3ELNS1_11target_archE908ELNS1_3gpuE7ELNS1_3repE0EEENS1_30default_config_static_selectorELNS0_4arch9wavefront6targetE0EEEvT1_
; %bb.0:
	.section	.rodata,"a",@progbits
	.p2align	6, 0x0
	.amdhsa_kernel _ZN7rocprim17ROCPRIM_400000_NS6detail17trampoline_kernelINS0_14default_configENS1_27scan_by_key_config_selectorIssEEZZNS1_16scan_by_key_implILNS1_25lookback_scan_determinismE0ELb0ES3_N6thrust23THRUST_200600_302600_NS6detail15normal_iteratorINS9_10device_ptrIsEEEESE_SE_sNS9_10multipliesIsEENS9_8equal_toIsEEsEE10hipError_tPvRmT2_T3_T4_T5_mT6_T7_P12ihipStream_tbENKUlT_T0_E_clISt17integral_constantIbLb0EESY_IbLb1EEEEDaSU_SV_EUlSU_E_NS1_11comp_targetILNS1_3genE3ELNS1_11target_archE908ELNS1_3gpuE7ELNS1_3repE0EEENS1_30default_config_static_selectorELNS0_4arch9wavefront6targetE0EEEvT1_
		.amdhsa_group_segment_fixed_size 0
		.amdhsa_private_segment_fixed_size 0
		.amdhsa_kernarg_size 112
		.amdhsa_user_sgpr_count 2
		.amdhsa_user_sgpr_dispatch_ptr 0
		.amdhsa_user_sgpr_queue_ptr 0
		.amdhsa_user_sgpr_kernarg_segment_ptr 1
		.amdhsa_user_sgpr_dispatch_id 0
		.amdhsa_user_sgpr_kernarg_preload_length 0
		.amdhsa_user_sgpr_kernarg_preload_offset 0
		.amdhsa_user_sgpr_private_segment_size 0
		.amdhsa_wavefront_size32 1
		.amdhsa_uses_dynamic_stack 0
		.amdhsa_enable_private_segment 0
		.amdhsa_system_sgpr_workgroup_id_x 1
		.amdhsa_system_sgpr_workgroup_id_y 0
		.amdhsa_system_sgpr_workgroup_id_z 0
		.amdhsa_system_sgpr_workgroup_info 0
		.amdhsa_system_vgpr_workitem_id 0
		.amdhsa_next_free_vgpr 1
		.amdhsa_next_free_sgpr 1
		.amdhsa_named_barrier_count 0
		.amdhsa_reserve_vcc 0
		.amdhsa_float_round_mode_32 0
		.amdhsa_float_round_mode_16_64 0
		.amdhsa_float_denorm_mode_32 3
		.amdhsa_float_denorm_mode_16_64 3
		.amdhsa_fp16_overflow 0
		.amdhsa_memory_ordered 1
		.amdhsa_forward_progress 1
		.amdhsa_inst_pref_size 0
		.amdhsa_round_robin_scheduling 0
		.amdhsa_exception_fp_ieee_invalid_op 0
		.amdhsa_exception_fp_denorm_src 0
		.amdhsa_exception_fp_ieee_div_zero 0
		.amdhsa_exception_fp_ieee_overflow 0
		.amdhsa_exception_fp_ieee_underflow 0
		.amdhsa_exception_fp_ieee_inexact 0
		.amdhsa_exception_int_div_zero 0
	.end_amdhsa_kernel
	.section	.text._ZN7rocprim17ROCPRIM_400000_NS6detail17trampoline_kernelINS0_14default_configENS1_27scan_by_key_config_selectorIssEEZZNS1_16scan_by_key_implILNS1_25lookback_scan_determinismE0ELb0ES3_N6thrust23THRUST_200600_302600_NS6detail15normal_iteratorINS9_10device_ptrIsEEEESE_SE_sNS9_10multipliesIsEENS9_8equal_toIsEEsEE10hipError_tPvRmT2_T3_T4_T5_mT6_T7_P12ihipStream_tbENKUlT_T0_E_clISt17integral_constantIbLb0EESY_IbLb1EEEEDaSU_SV_EUlSU_E_NS1_11comp_targetILNS1_3genE3ELNS1_11target_archE908ELNS1_3gpuE7ELNS1_3repE0EEENS1_30default_config_static_selectorELNS0_4arch9wavefront6targetE0EEEvT1_,"axG",@progbits,_ZN7rocprim17ROCPRIM_400000_NS6detail17trampoline_kernelINS0_14default_configENS1_27scan_by_key_config_selectorIssEEZZNS1_16scan_by_key_implILNS1_25lookback_scan_determinismE0ELb0ES3_N6thrust23THRUST_200600_302600_NS6detail15normal_iteratorINS9_10device_ptrIsEEEESE_SE_sNS9_10multipliesIsEENS9_8equal_toIsEEsEE10hipError_tPvRmT2_T3_T4_T5_mT6_T7_P12ihipStream_tbENKUlT_T0_E_clISt17integral_constantIbLb0EESY_IbLb1EEEEDaSU_SV_EUlSU_E_NS1_11comp_targetILNS1_3genE3ELNS1_11target_archE908ELNS1_3gpuE7ELNS1_3repE0EEENS1_30default_config_static_selectorELNS0_4arch9wavefront6targetE0EEEvT1_,comdat
.Lfunc_end312:
	.size	_ZN7rocprim17ROCPRIM_400000_NS6detail17trampoline_kernelINS0_14default_configENS1_27scan_by_key_config_selectorIssEEZZNS1_16scan_by_key_implILNS1_25lookback_scan_determinismE0ELb0ES3_N6thrust23THRUST_200600_302600_NS6detail15normal_iteratorINS9_10device_ptrIsEEEESE_SE_sNS9_10multipliesIsEENS9_8equal_toIsEEsEE10hipError_tPvRmT2_T3_T4_T5_mT6_T7_P12ihipStream_tbENKUlT_T0_E_clISt17integral_constantIbLb0EESY_IbLb1EEEEDaSU_SV_EUlSU_E_NS1_11comp_targetILNS1_3genE3ELNS1_11target_archE908ELNS1_3gpuE7ELNS1_3repE0EEENS1_30default_config_static_selectorELNS0_4arch9wavefront6targetE0EEEvT1_, .Lfunc_end312-_ZN7rocprim17ROCPRIM_400000_NS6detail17trampoline_kernelINS0_14default_configENS1_27scan_by_key_config_selectorIssEEZZNS1_16scan_by_key_implILNS1_25lookback_scan_determinismE0ELb0ES3_N6thrust23THRUST_200600_302600_NS6detail15normal_iteratorINS9_10device_ptrIsEEEESE_SE_sNS9_10multipliesIsEENS9_8equal_toIsEEsEE10hipError_tPvRmT2_T3_T4_T5_mT6_T7_P12ihipStream_tbENKUlT_T0_E_clISt17integral_constantIbLb0EESY_IbLb1EEEEDaSU_SV_EUlSU_E_NS1_11comp_targetILNS1_3genE3ELNS1_11target_archE908ELNS1_3gpuE7ELNS1_3repE0EEENS1_30default_config_static_selectorELNS0_4arch9wavefront6targetE0EEEvT1_
                                        ; -- End function
	.set _ZN7rocprim17ROCPRIM_400000_NS6detail17trampoline_kernelINS0_14default_configENS1_27scan_by_key_config_selectorIssEEZZNS1_16scan_by_key_implILNS1_25lookback_scan_determinismE0ELb0ES3_N6thrust23THRUST_200600_302600_NS6detail15normal_iteratorINS9_10device_ptrIsEEEESE_SE_sNS9_10multipliesIsEENS9_8equal_toIsEEsEE10hipError_tPvRmT2_T3_T4_T5_mT6_T7_P12ihipStream_tbENKUlT_T0_E_clISt17integral_constantIbLb0EESY_IbLb1EEEEDaSU_SV_EUlSU_E_NS1_11comp_targetILNS1_3genE3ELNS1_11target_archE908ELNS1_3gpuE7ELNS1_3repE0EEENS1_30default_config_static_selectorELNS0_4arch9wavefront6targetE0EEEvT1_.num_vgpr, 0
	.set _ZN7rocprim17ROCPRIM_400000_NS6detail17trampoline_kernelINS0_14default_configENS1_27scan_by_key_config_selectorIssEEZZNS1_16scan_by_key_implILNS1_25lookback_scan_determinismE0ELb0ES3_N6thrust23THRUST_200600_302600_NS6detail15normal_iteratorINS9_10device_ptrIsEEEESE_SE_sNS9_10multipliesIsEENS9_8equal_toIsEEsEE10hipError_tPvRmT2_T3_T4_T5_mT6_T7_P12ihipStream_tbENKUlT_T0_E_clISt17integral_constantIbLb0EESY_IbLb1EEEEDaSU_SV_EUlSU_E_NS1_11comp_targetILNS1_3genE3ELNS1_11target_archE908ELNS1_3gpuE7ELNS1_3repE0EEENS1_30default_config_static_selectorELNS0_4arch9wavefront6targetE0EEEvT1_.num_agpr, 0
	.set _ZN7rocprim17ROCPRIM_400000_NS6detail17trampoline_kernelINS0_14default_configENS1_27scan_by_key_config_selectorIssEEZZNS1_16scan_by_key_implILNS1_25lookback_scan_determinismE0ELb0ES3_N6thrust23THRUST_200600_302600_NS6detail15normal_iteratorINS9_10device_ptrIsEEEESE_SE_sNS9_10multipliesIsEENS9_8equal_toIsEEsEE10hipError_tPvRmT2_T3_T4_T5_mT6_T7_P12ihipStream_tbENKUlT_T0_E_clISt17integral_constantIbLb0EESY_IbLb1EEEEDaSU_SV_EUlSU_E_NS1_11comp_targetILNS1_3genE3ELNS1_11target_archE908ELNS1_3gpuE7ELNS1_3repE0EEENS1_30default_config_static_selectorELNS0_4arch9wavefront6targetE0EEEvT1_.numbered_sgpr, 0
	.set _ZN7rocprim17ROCPRIM_400000_NS6detail17trampoline_kernelINS0_14default_configENS1_27scan_by_key_config_selectorIssEEZZNS1_16scan_by_key_implILNS1_25lookback_scan_determinismE0ELb0ES3_N6thrust23THRUST_200600_302600_NS6detail15normal_iteratorINS9_10device_ptrIsEEEESE_SE_sNS9_10multipliesIsEENS9_8equal_toIsEEsEE10hipError_tPvRmT2_T3_T4_T5_mT6_T7_P12ihipStream_tbENKUlT_T0_E_clISt17integral_constantIbLb0EESY_IbLb1EEEEDaSU_SV_EUlSU_E_NS1_11comp_targetILNS1_3genE3ELNS1_11target_archE908ELNS1_3gpuE7ELNS1_3repE0EEENS1_30default_config_static_selectorELNS0_4arch9wavefront6targetE0EEEvT1_.num_named_barrier, 0
	.set _ZN7rocprim17ROCPRIM_400000_NS6detail17trampoline_kernelINS0_14default_configENS1_27scan_by_key_config_selectorIssEEZZNS1_16scan_by_key_implILNS1_25lookback_scan_determinismE0ELb0ES3_N6thrust23THRUST_200600_302600_NS6detail15normal_iteratorINS9_10device_ptrIsEEEESE_SE_sNS9_10multipliesIsEENS9_8equal_toIsEEsEE10hipError_tPvRmT2_T3_T4_T5_mT6_T7_P12ihipStream_tbENKUlT_T0_E_clISt17integral_constantIbLb0EESY_IbLb1EEEEDaSU_SV_EUlSU_E_NS1_11comp_targetILNS1_3genE3ELNS1_11target_archE908ELNS1_3gpuE7ELNS1_3repE0EEENS1_30default_config_static_selectorELNS0_4arch9wavefront6targetE0EEEvT1_.private_seg_size, 0
	.set _ZN7rocprim17ROCPRIM_400000_NS6detail17trampoline_kernelINS0_14default_configENS1_27scan_by_key_config_selectorIssEEZZNS1_16scan_by_key_implILNS1_25lookback_scan_determinismE0ELb0ES3_N6thrust23THRUST_200600_302600_NS6detail15normal_iteratorINS9_10device_ptrIsEEEESE_SE_sNS9_10multipliesIsEENS9_8equal_toIsEEsEE10hipError_tPvRmT2_T3_T4_T5_mT6_T7_P12ihipStream_tbENKUlT_T0_E_clISt17integral_constantIbLb0EESY_IbLb1EEEEDaSU_SV_EUlSU_E_NS1_11comp_targetILNS1_3genE3ELNS1_11target_archE908ELNS1_3gpuE7ELNS1_3repE0EEENS1_30default_config_static_selectorELNS0_4arch9wavefront6targetE0EEEvT1_.uses_vcc, 0
	.set _ZN7rocprim17ROCPRIM_400000_NS6detail17trampoline_kernelINS0_14default_configENS1_27scan_by_key_config_selectorIssEEZZNS1_16scan_by_key_implILNS1_25lookback_scan_determinismE0ELb0ES3_N6thrust23THRUST_200600_302600_NS6detail15normal_iteratorINS9_10device_ptrIsEEEESE_SE_sNS9_10multipliesIsEENS9_8equal_toIsEEsEE10hipError_tPvRmT2_T3_T4_T5_mT6_T7_P12ihipStream_tbENKUlT_T0_E_clISt17integral_constantIbLb0EESY_IbLb1EEEEDaSU_SV_EUlSU_E_NS1_11comp_targetILNS1_3genE3ELNS1_11target_archE908ELNS1_3gpuE7ELNS1_3repE0EEENS1_30default_config_static_selectorELNS0_4arch9wavefront6targetE0EEEvT1_.uses_flat_scratch, 0
	.set _ZN7rocprim17ROCPRIM_400000_NS6detail17trampoline_kernelINS0_14default_configENS1_27scan_by_key_config_selectorIssEEZZNS1_16scan_by_key_implILNS1_25lookback_scan_determinismE0ELb0ES3_N6thrust23THRUST_200600_302600_NS6detail15normal_iteratorINS9_10device_ptrIsEEEESE_SE_sNS9_10multipliesIsEENS9_8equal_toIsEEsEE10hipError_tPvRmT2_T3_T4_T5_mT6_T7_P12ihipStream_tbENKUlT_T0_E_clISt17integral_constantIbLb0EESY_IbLb1EEEEDaSU_SV_EUlSU_E_NS1_11comp_targetILNS1_3genE3ELNS1_11target_archE908ELNS1_3gpuE7ELNS1_3repE0EEENS1_30default_config_static_selectorELNS0_4arch9wavefront6targetE0EEEvT1_.has_dyn_sized_stack, 0
	.set _ZN7rocprim17ROCPRIM_400000_NS6detail17trampoline_kernelINS0_14default_configENS1_27scan_by_key_config_selectorIssEEZZNS1_16scan_by_key_implILNS1_25lookback_scan_determinismE0ELb0ES3_N6thrust23THRUST_200600_302600_NS6detail15normal_iteratorINS9_10device_ptrIsEEEESE_SE_sNS9_10multipliesIsEENS9_8equal_toIsEEsEE10hipError_tPvRmT2_T3_T4_T5_mT6_T7_P12ihipStream_tbENKUlT_T0_E_clISt17integral_constantIbLb0EESY_IbLb1EEEEDaSU_SV_EUlSU_E_NS1_11comp_targetILNS1_3genE3ELNS1_11target_archE908ELNS1_3gpuE7ELNS1_3repE0EEENS1_30default_config_static_selectorELNS0_4arch9wavefront6targetE0EEEvT1_.has_recursion, 0
	.set _ZN7rocprim17ROCPRIM_400000_NS6detail17trampoline_kernelINS0_14default_configENS1_27scan_by_key_config_selectorIssEEZZNS1_16scan_by_key_implILNS1_25lookback_scan_determinismE0ELb0ES3_N6thrust23THRUST_200600_302600_NS6detail15normal_iteratorINS9_10device_ptrIsEEEESE_SE_sNS9_10multipliesIsEENS9_8equal_toIsEEsEE10hipError_tPvRmT2_T3_T4_T5_mT6_T7_P12ihipStream_tbENKUlT_T0_E_clISt17integral_constantIbLb0EESY_IbLb1EEEEDaSU_SV_EUlSU_E_NS1_11comp_targetILNS1_3genE3ELNS1_11target_archE908ELNS1_3gpuE7ELNS1_3repE0EEENS1_30default_config_static_selectorELNS0_4arch9wavefront6targetE0EEEvT1_.has_indirect_call, 0
	.section	.AMDGPU.csdata,"",@progbits
; Kernel info:
; codeLenInByte = 0
; TotalNumSgprs: 0
; NumVgprs: 0
; ScratchSize: 0
; MemoryBound: 0
; FloatMode: 240
; IeeeMode: 1
; LDSByteSize: 0 bytes/workgroup (compile time only)
; SGPRBlocks: 0
; VGPRBlocks: 0
; NumSGPRsForWavesPerEU: 1
; NumVGPRsForWavesPerEU: 1
; NamedBarCnt: 0
; Occupancy: 16
; WaveLimiterHint : 0
; COMPUTE_PGM_RSRC2:SCRATCH_EN: 0
; COMPUTE_PGM_RSRC2:USER_SGPR: 2
; COMPUTE_PGM_RSRC2:TRAP_HANDLER: 0
; COMPUTE_PGM_RSRC2:TGID_X_EN: 1
; COMPUTE_PGM_RSRC2:TGID_Y_EN: 0
; COMPUTE_PGM_RSRC2:TGID_Z_EN: 0
; COMPUTE_PGM_RSRC2:TIDIG_COMP_CNT: 0
	.section	.text._ZN7rocprim17ROCPRIM_400000_NS6detail17trampoline_kernelINS0_14default_configENS1_27scan_by_key_config_selectorIssEEZZNS1_16scan_by_key_implILNS1_25lookback_scan_determinismE0ELb0ES3_N6thrust23THRUST_200600_302600_NS6detail15normal_iteratorINS9_10device_ptrIsEEEESE_SE_sNS9_10multipliesIsEENS9_8equal_toIsEEsEE10hipError_tPvRmT2_T3_T4_T5_mT6_T7_P12ihipStream_tbENKUlT_T0_E_clISt17integral_constantIbLb0EESY_IbLb1EEEEDaSU_SV_EUlSU_E_NS1_11comp_targetILNS1_3genE2ELNS1_11target_archE906ELNS1_3gpuE6ELNS1_3repE0EEENS1_30default_config_static_selectorELNS0_4arch9wavefront6targetE0EEEvT1_,"axG",@progbits,_ZN7rocprim17ROCPRIM_400000_NS6detail17trampoline_kernelINS0_14default_configENS1_27scan_by_key_config_selectorIssEEZZNS1_16scan_by_key_implILNS1_25lookback_scan_determinismE0ELb0ES3_N6thrust23THRUST_200600_302600_NS6detail15normal_iteratorINS9_10device_ptrIsEEEESE_SE_sNS9_10multipliesIsEENS9_8equal_toIsEEsEE10hipError_tPvRmT2_T3_T4_T5_mT6_T7_P12ihipStream_tbENKUlT_T0_E_clISt17integral_constantIbLb0EESY_IbLb1EEEEDaSU_SV_EUlSU_E_NS1_11comp_targetILNS1_3genE2ELNS1_11target_archE906ELNS1_3gpuE6ELNS1_3repE0EEENS1_30default_config_static_selectorELNS0_4arch9wavefront6targetE0EEEvT1_,comdat
	.protected	_ZN7rocprim17ROCPRIM_400000_NS6detail17trampoline_kernelINS0_14default_configENS1_27scan_by_key_config_selectorIssEEZZNS1_16scan_by_key_implILNS1_25lookback_scan_determinismE0ELb0ES3_N6thrust23THRUST_200600_302600_NS6detail15normal_iteratorINS9_10device_ptrIsEEEESE_SE_sNS9_10multipliesIsEENS9_8equal_toIsEEsEE10hipError_tPvRmT2_T3_T4_T5_mT6_T7_P12ihipStream_tbENKUlT_T0_E_clISt17integral_constantIbLb0EESY_IbLb1EEEEDaSU_SV_EUlSU_E_NS1_11comp_targetILNS1_3genE2ELNS1_11target_archE906ELNS1_3gpuE6ELNS1_3repE0EEENS1_30default_config_static_selectorELNS0_4arch9wavefront6targetE0EEEvT1_ ; -- Begin function _ZN7rocprim17ROCPRIM_400000_NS6detail17trampoline_kernelINS0_14default_configENS1_27scan_by_key_config_selectorIssEEZZNS1_16scan_by_key_implILNS1_25lookback_scan_determinismE0ELb0ES3_N6thrust23THRUST_200600_302600_NS6detail15normal_iteratorINS9_10device_ptrIsEEEESE_SE_sNS9_10multipliesIsEENS9_8equal_toIsEEsEE10hipError_tPvRmT2_T3_T4_T5_mT6_T7_P12ihipStream_tbENKUlT_T0_E_clISt17integral_constantIbLb0EESY_IbLb1EEEEDaSU_SV_EUlSU_E_NS1_11comp_targetILNS1_3genE2ELNS1_11target_archE906ELNS1_3gpuE6ELNS1_3repE0EEENS1_30default_config_static_selectorELNS0_4arch9wavefront6targetE0EEEvT1_
	.globl	_ZN7rocprim17ROCPRIM_400000_NS6detail17trampoline_kernelINS0_14default_configENS1_27scan_by_key_config_selectorIssEEZZNS1_16scan_by_key_implILNS1_25lookback_scan_determinismE0ELb0ES3_N6thrust23THRUST_200600_302600_NS6detail15normal_iteratorINS9_10device_ptrIsEEEESE_SE_sNS9_10multipliesIsEENS9_8equal_toIsEEsEE10hipError_tPvRmT2_T3_T4_T5_mT6_T7_P12ihipStream_tbENKUlT_T0_E_clISt17integral_constantIbLb0EESY_IbLb1EEEEDaSU_SV_EUlSU_E_NS1_11comp_targetILNS1_3genE2ELNS1_11target_archE906ELNS1_3gpuE6ELNS1_3repE0EEENS1_30default_config_static_selectorELNS0_4arch9wavefront6targetE0EEEvT1_
	.p2align	8
	.type	_ZN7rocprim17ROCPRIM_400000_NS6detail17trampoline_kernelINS0_14default_configENS1_27scan_by_key_config_selectorIssEEZZNS1_16scan_by_key_implILNS1_25lookback_scan_determinismE0ELb0ES3_N6thrust23THRUST_200600_302600_NS6detail15normal_iteratorINS9_10device_ptrIsEEEESE_SE_sNS9_10multipliesIsEENS9_8equal_toIsEEsEE10hipError_tPvRmT2_T3_T4_T5_mT6_T7_P12ihipStream_tbENKUlT_T0_E_clISt17integral_constantIbLb0EESY_IbLb1EEEEDaSU_SV_EUlSU_E_NS1_11comp_targetILNS1_3genE2ELNS1_11target_archE906ELNS1_3gpuE6ELNS1_3repE0EEENS1_30default_config_static_selectorELNS0_4arch9wavefront6targetE0EEEvT1_,@function
_ZN7rocprim17ROCPRIM_400000_NS6detail17trampoline_kernelINS0_14default_configENS1_27scan_by_key_config_selectorIssEEZZNS1_16scan_by_key_implILNS1_25lookback_scan_determinismE0ELb0ES3_N6thrust23THRUST_200600_302600_NS6detail15normal_iteratorINS9_10device_ptrIsEEEESE_SE_sNS9_10multipliesIsEENS9_8equal_toIsEEsEE10hipError_tPvRmT2_T3_T4_T5_mT6_T7_P12ihipStream_tbENKUlT_T0_E_clISt17integral_constantIbLb0EESY_IbLb1EEEEDaSU_SV_EUlSU_E_NS1_11comp_targetILNS1_3genE2ELNS1_11target_archE906ELNS1_3gpuE6ELNS1_3repE0EEENS1_30default_config_static_selectorELNS0_4arch9wavefront6targetE0EEEvT1_: ; @_ZN7rocprim17ROCPRIM_400000_NS6detail17trampoline_kernelINS0_14default_configENS1_27scan_by_key_config_selectorIssEEZZNS1_16scan_by_key_implILNS1_25lookback_scan_determinismE0ELb0ES3_N6thrust23THRUST_200600_302600_NS6detail15normal_iteratorINS9_10device_ptrIsEEEESE_SE_sNS9_10multipliesIsEENS9_8equal_toIsEEsEE10hipError_tPvRmT2_T3_T4_T5_mT6_T7_P12ihipStream_tbENKUlT_T0_E_clISt17integral_constantIbLb0EESY_IbLb1EEEEDaSU_SV_EUlSU_E_NS1_11comp_targetILNS1_3genE2ELNS1_11target_archE906ELNS1_3gpuE6ELNS1_3repE0EEENS1_30default_config_static_selectorELNS0_4arch9wavefront6targetE0EEEvT1_
; %bb.0:
	.section	.rodata,"a",@progbits
	.p2align	6, 0x0
	.amdhsa_kernel _ZN7rocprim17ROCPRIM_400000_NS6detail17trampoline_kernelINS0_14default_configENS1_27scan_by_key_config_selectorIssEEZZNS1_16scan_by_key_implILNS1_25lookback_scan_determinismE0ELb0ES3_N6thrust23THRUST_200600_302600_NS6detail15normal_iteratorINS9_10device_ptrIsEEEESE_SE_sNS9_10multipliesIsEENS9_8equal_toIsEEsEE10hipError_tPvRmT2_T3_T4_T5_mT6_T7_P12ihipStream_tbENKUlT_T0_E_clISt17integral_constantIbLb0EESY_IbLb1EEEEDaSU_SV_EUlSU_E_NS1_11comp_targetILNS1_3genE2ELNS1_11target_archE906ELNS1_3gpuE6ELNS1_3repE0EEENS1_30default_config_static_selectorELNS0_4arch9wavefront6targetE0EEEvT1_
		.amdhsa_group_segment_fixed_size 0
		.amdhsa_private_segment_fixed_size 0
		.amdhsa_kernarg_size 112
		.amdhsa_user_sgpr_count 2
		.amdhsa_user_sgpr_dispatch_ptr 0
		.amdhsa_user_sgpr_queue_ptr 0
		.amdhsa_user_sgpr_kernarg_segment_ptr 1
		.amdhsa_user_sgpr_dispatch_id 0
		.amdhsa_user_sgpr_kernarg_preload_length 0
		.amdhsa_user_sgpr_kernarg_preload_offset 0
		.amdhsa_user_sgpr_private_segment_size 0
		.amdhsa_wavefront_size32 1
		.amdhsa_uses_dynamic_stack 0
		.amdhsa_enable_private_segment 0
		.amdhsa_system_sgpr_workgroup_id_x 1
		.amdhsa_system_sgpr_workgroup_id_y 0
		.amdhsa_system_sgpr_workgroup_id_z 0
		.amdhsa_system_sgpr_workgroup_info 0
		.amdhsa_system_vgpr_workitem_id 0
		.amdhsa_next_free_vgpr 1
		.amdhsa_next_free_sgpr 1
		.amdhsa_named_barrier_count 0
		.amdhsa_reserve_vcc 0
		.amdhsa_float_round_mode_32 0
		.amdhsa_float_round_mode_16_64 0
		.amdhsa_float_denorm_mode_32 3
		.amdhsa_float_denorm_mode_16_64 3
		.amdhsa_fp16_overflow 0
		.amdhsa_memory_ordered 1
		.amdhsa_forward_progress 1
		.amdhsa_inst_pref_size 0
		.amdhsa_round_robin_scheduling 0
		.amdhsa_exception_fp_ieee_invalid_op 0
		.amdhsa_exception_fp_denorm_src 0
		.amdhsa_exception_fp_ieee_div_zero 0
		.amdhsa_exception_fp_ieee_overflow 0
		.amdhsa_exception_fp_ieee_underflow 0
		.amdhsa_exception_fp_ieee_inexact 0
		.amdhsa_exception_int_div_zero 0
	.end_amdhsa_kernel
	.section	.text._ZN7rocprim17ROCPRIM_400000_NS6detail17trampoline_kernelINS0_14default_configENS1_27scan_by_key_config_selectorIssEEZZNS1_16scan_by_key_implILNS1_25lookback_scan_determinismE0ELb0ES3_N6thrust23THRUST_200600_302600_NS6detail15normal_iteratorINS9_10device_ptrIsEEEESE_SE_sNS9_10multipliesIsEENS9_8equal_toIsEEsEE10hipError_tPvRmT2_T3_T4_T5_mT6_T7_P12ihipStream_tbENKUlT_T0_E_clISt17integral_constantIbLb0EESY_IbLb1EEEEDaSU_SV_EUlSU_E_NS1_11comp_targetILNS1_3genE2ELNS1_11target_archE906ELNS1_3gpuE6ELNS1_3repE0EEENS1_30default_config_static_selectorELNS0_4arch9wavefront6targetE0EEEvT1_,"axG",@progbits,_ZN7rocprim17ROCPRIM_400000_NS6detail17trampoline_kernelINS0_14default_configENS1_27scan_by_key_config_selectorIssEEZZNS1_16scan_by_key_implILNS1_25lookback_scan_determinismE0ELb0ES3_N6thrust23THRUST_200600_302600_NS6detail15normal_iteratorINS9_10device_ptrIsEEEESE_SE_sNS9_10multipliesIsEENS9_8equal_toIsEEsEE10hipError_tPvRmT2_T3_T4_T5_mT6_T7_P12ihipStream_tbENKUlT_T0_E_clISt17integral_constantIbLb0EESY_IbLb1EEEEDaSU_SV_EUlSU_E_NS1_11comp_targetILNS1_3genE2ELNS1_11target_archE906ELNS1_3gpuE6ELNS1_3repE0EEENS1_30default_config_static_selectorELNS0_4arch9wavefront6targetE0EEEvT1_,comdat
.Lfunc_end313:
	.size	_ZN7rocprim17ROCPRIM_400000_NS6detail17trampoline_kernelINS0_14default_configENS1_27scan_by_key_config_selectorIssEEZZNS1_16scan_by_key_implILNS1_25lookback_scan_determinismE0ELb0ES3_N6thrust23THRUST_200600_302600_NS6detail15normal_iteratorINS9_10device_ptrIsEEEESE_SE_sNS9_10multipliesIsEENS9_8equal_toIsEEsEE10hipError_tPvRmT2_T3_T4_T5_mT6_T7_P12ihipStream_tbENKUlT_T0_E_clISt17integral_constantIbLb0EESY_IbLb1EEEEDaSU_SV_EUlSU_E_NS1_11comp_targetILNS1_3genE2ELNS1_11target_archE906ELNS1_3gpuE6ELNS1_3repE0EEENS1_30default_config_static_selectorELNS0_4arch9wavefront6targetE0EEEvT1_, .Lfunc_end313-_ZN7rocprim17ROCPRIM_400000_NS6detail17trampoline_kernelINS0_14default_configENS1_27scan_by_key_config_selectorIssEEZZNS1_16scan_by_key_implILNS1_25lookback_scan_determinismE0ELb0ES3_N6thrust23THRUST_200600_302600_NS6detail15normal_iteratorINS9_10device_ptrIsEEEESE_SE_sNS9_10multipliesIsEENS9_8equal_toIsEEsEE10hipError_tPvRmT2_T3_T4_T5_mT6_T7_P12ihipStream_tbENKUlT_T0_E_clISt17integral_constantIbLb0EESY_IbLb1EEEEDaSU_SV_EUlSU_E_NS1_11comp_targetILNS1_3genE2ELNS1_11target_archE906ELNS1_3gpuE6ELNS1_3repE0EEENS1_30default_config_static_selectorELNS0_4arch9wavefront6targetE0EEEvT1_
                                        ; -- End function
	.set _ZN7rocprim17ROCPRIM_400000_NS6detail17trampoline_kernelINS0_14default_configENS1_27scan_by_key_config_selectorIssEEZZNS1_16scan_by_key_implILNS1_25lookback_scan_determinismE0ELb0ES3_N6thrust23THRUST_200600_302600_NS6detail15normal_iteratorINS9_10device_ptrIsEEEESE_SE_sNS9_10multipliesIsEENS9_8equal_toIsEEsEE10hipError_tPvRmT2_T3_T4_T5_mT6_T7_P12ihipStream_tbENKUlT_T0_E_clISt17integral_constantIbLb0EESY_IbLb1EEEEDaSU_SV_EUlSU_E_NS1_11comp_targetILNS1_3genE2ELNS1_11target_archE906ELNS1_3gpuE6ELNS1_3repE0EEENS1_30default_config_static_selectorELNS0_4arch9wavefront6targetE0EEEvT1_.num_vgpr, 0
	.set _ZN7rocprim17ROCPRIM_400000_NS6detail17trampoline_kernelINS0_14default_configENS1_27scan_by_key_config_selectorIssEEZZNS1_16scan_by_key_implILNS1_25lookback_scan_determinismE0ELb0ES3_N6thrust23THRUST_200600_302600_NS6detail15normal_iteratorINS9_10device_ptrIsEEEESE_SE_sNS9_10multipliesIsEENS9_8equal_toIsEEsEE10hipError_tPvRmT2_T3_T4_T5_mT6_T7_P12ihipStream_tbENKUlT_T0_E_clISt17integral_constantIbLb0EESY_IbLb1EEEEDaSU_SV_EUlSU_E_NS1_11comp_targetILNS1_3genE2ELNS1_11target_archE906ELNS1_3gpuE6ELNS1_3repE0EEENS1_30default_config_static_selectorELNS0_4arch9wavefront6targetE0EEEvT1_.num_agpr, 0
	.set _ZN7rocprim17ROCPRIM_400000_NS6detail17trampoline_kernelINS0_14default_configENS1_27scan_by_key_config_selectorIssEEZZNS1_16scan_by_key_implILNS1_25lookback_scan_determinismE0ELb0ES3_N6thrust23THRUST_200600_302600_NS6detail15normal_iteratorINS9_10device_ptrIsEEEESE_SE_sNS9_10multipliesIsEENS9_8equal_toIsEEsEE10hipError_tPvRmT2_T3_T4_T5_mT6_T7_P12ihipStream_tbENKUlT_T0_E_clISt17integral_constantIbLb0EESY_IbLb1EEEEDaSU_SV_EUlSU_E_NS1_11comp_targetILNS1_3genE2ELNS1_11target_archE906ELNS1_3gpuE6ELNS1_3repE0EEENS1_30default_config_static_selectorELNS0_4arch9wavefront6targetE0EEEvT1_.numbered_sgpr, 0
	.set _ZN7rocprim17ROCPRIM_400000_NS6detail17trampoline_kernelINS0_14default_configENS1_27scan_by_key_config_selectorIssEEZZNS1_16scan_by_key_implILNS1_25lookback_scan_determinismE0ELb0ES3_N6thrust23THRUST_200600_302600_NS6detail15normal_iteratorINS9_10device_ptrIsEEEESE_SE_sNS9_10multipliesIsEENS9_8equal_toIsEEsEE10hipError_tPvRmT2_T3_T4_T5_mT6_T7_P12ihipStream_tbENKUlT_T0_E_clISt17integral_constantIbLb0EESY_IbLb1EEEEDaSU_SV_EUlSU_E_NS1_11comp_targetILNS1_3genE2ELNS1_11target_archE906ELNS1_3gpuE6ELNS1_3repE0EEENS1_30default_config_static_selectorELNS0_4arch9wavefront6targetE0EEEvT1_.num_named_barrier, 0
	.set _ZN7rocprim17ROCPRIM_400000_NS6detail17trampoline_kernelINS0_14default_configENS1_27scan_by_key_config_selectorIssEEZZNS1_16scan_by_key_implILNS1_25lookback_scan_determinismE0ELb0ES3_N6thrust23THRUST_200600_302600_NS6detail15normal_iteratorINS9_10device_ptrIsEEEESE_SE_sNS9_10multipliesIsEENS9_8equal_toIsEEsEE10hipError_tPvRmT2_T3_T4_T5_mT6_T7_P12ihipStream_tbENKUlT_T0_E_clISt17integral_constantIbLb0EESY_IbLb1EEEEDaSU_SV_EUlSU_E_NS1_11comp_targetILNS1_3genE2ELNS1_11target_archE906ELNS1_3gpuE6ELNS1_3repE0EEENS1_30default_config_static_selectorELNS0_4arch9wavefront6targetE0EEEvT1_.private_seg_size, 0
	.set _ZN7rocprim17ROCPRIM_400000_NS6detail17trampoline_kernelINS0_14default_configENS1_27scan_by_key_config_selectorIssEEZZNS1_16scan_by_key_implILNS1_25lookback_scan_determinismE0ELb0ES3_N6thrust23THRUST_200600_302600_NS6detail15normal_iteratorINS9_10device_ptrIsEEEESE_SE_sNS9_10multipliesIsEENS9_8equal_toIsEEsEE10hipError_tPvRmT2_T3_T4_T5_mT6_T7_P12ihipStream_tbENKUlT_T0_E_clISt17integral_constantIbLb0EESY_IbLb1EEEEDaSU_SV_EUlSU_E_NS1_11comp_targetILNS1_3genE2ELNS1_11target_archE906ELNS1_3gpuE6ELNS1_3repE0EEENS1_30default_config_static_selectorELNS0_4arch9wavefront6targetE0EEEvT1_.uses_vcc, 0
	.set _ZN7rocprim17ROCPRIM_400000_NS6detail17trampoline_kernelINS0_14default_configENS1_27scan_by_key_config_selectorIssEEZZNS1_16scan_by_key_implILNS1_25lookback_scan_determinismE0ELb0ES3_N6thrust23THRUST_200600_302600_NS6detail15normal_iteratorINS9_10device_ptrIsEEEESE_SE_sNS9_10multipliesIsEENS9_8equal_toIsEEsEE10hipError_tPvRmT2_T3_T4_T5_mT6_T7_P12ihipStream_tbENKUlT_T0_E_clISt17integral_constantIbLb0EESY_IbLb1EEEEDaSU_SV_EUlSU_E_NS1_11comp_targetILNS1_3genE2ELNS1_11target_archE906ELNS1_3gpuE6ELNS1_3repE0EEENS1_30default_config_static_selectorELNS0_4arch9wavefront6targetE0EEEvT1_.uses_flat_scratch, 0
	.set _ZN7rocprim17ROCPRIM_400000_NS6detail17trampoline_kernelINS0_14default_configENS1_27scan_by_key_config_selectorIssEEZZNS1_16scan_by_key_implILNS1_25lookback_scan_determinismE0ELb0ES3_N6thrust23THRUST_200600_302600_NS6detail15normal_iteratorINS9_10device_ptrIsEEEESE_SE_sNS9_10multipliesIsEENS9_8equal_toIsEEsEE10hipError_tPvRmT2_T3_T4_T5_mT6_T7_P12ihipStream_tbENKUlT_T0_E_clISt17integral_constantIbLb0EESY_IbLb1EEEEDaSU_SV_EUlSU_E_NS1_11comp_targetILNS1_3genE2ELNS1_11target_archE906ELNS1_3gpuE6ELNS1_3repE0EEENS1_30default_config_static_selectorELNS0_4arch9wavefront6targetE0EEEvT1_.has_dyn_sized_stack, 0
	.set _ZN7rocprim17ROCPRIM_400000_NS6detail17trampoline_kernelINS0_14default_configENS1_27scan_by_key_config_selectorIssEEZZNS1_16scan_by_key_implILNS1_25lookback_scan_determinismE0ELb0ES3_N6thrust23THRUST_200600_302600_NS6detail15normal_iteratorINS9_10device_ptrIsEEEESE_SE_sNS9_10multipliesIsEENS9_8equal_toIsEEsEE10hipError_tPvRmT2_T3_T4_T5_mT6_T7_P12ihipStream_tbENKUlT_T0_E_clISt17integral_constantIbLb0EESY_IbLb1EEEEDaSU_SV_EUlSU_E_NS1_11comp_targetILNS1_3genE2ELNS1_11target_archE906ELNS1_3gpuE6ELNS1_3repE0EEENS1_30default_config_static_selectorELNS0_4arch9wavefront6targetE0EEEvT1_.has_recursion, 0
	.set _ZN7rocprim17ROCPRIM_400000_NS6detail17trampoline_kernelINS0_14default_configENS1_27scan_by_key_config_selectorIssEEZZNS1_16scan_by_key_implILNS1_25lookback_scan_determinismE0ELb0ES3_N6thrust23THRUST_200600_302600_NS6detail15normal_iteratorINS9_10device_ptrIsEEEESE_SE_sNS9_10multipliesIsEENS9_8equal_toIsEEsEE10hipError_tPvRmT2_T3_T4_T5_mT6_T7_P12ihipStream_tbENKUlT_T0_E_clISt17integral_constantIbLb0EESY_IbLb1EEEEDaSU_SV_EUlSU_E_NS1_11comp_targetILNS1_3genE2ELNS1_11target_archE906ELNS1_3gpuE6ELNS1_3repE0EEENS1_30default_config_static_selectorELNS0_4arch9wavefront6targetE0EEEvT1_.has_indirect_call, 0
	.section	.AMDGPU.csdata,"",@progbits
; Kernel info:
; codeLenInByte = 0
; TotalNumSgprs: 0
; NumVgprs: 0
; ScratchSize: 0
; MemoryBound: 0
; FloatMode: 240
; IeeeMode: 1
; LDSByteSize: 0 bytes/workgroup (compile time only)
; SGPRBlocks: 0
; VGPRBlocks: 0
; NumSGPRsForWavesPerEU: 1
; NumVGPRsForWavesPerEU: 1
; NamedBarCnt: 0
; Occupancy: 16
; WaveLimiterHint : 0
; COMPUTE_PGM_RSRC2:SCRATCH_EN: 0
; COMPUTE_PGM_RSRC2:USER_SGPR: 2
; COMPUTE_PGM_RSRC2:TRAP_HANDLER: 0
; COMPUTE_PGM_RSRC2:TGID_X_EN: 1
; COMPUTE_PGM_RSRC2:TGID_Y_EN: 0
; COMPUTE_PGM_RSRC2:TGID_Z_EN: 0
; COMPUTE_PGM_RSRC2:TIDIG_COMP_CNT: 0
	.section	.text._ZN7rocprim17ROCPRIM_400000_NS6detail17trampoline_kernelINS0_14default_configENS1_27scan_by_key_config_selectorIssEEZZNS1_16scan_by_key_implILNS1_25lookback_scan_determinismE0ELb0ES3_N6thrust23THRUST_200600_302600_NS6detail15normal_iteratorINS9_10device_ptrIsEEEESE_SE_sNS9_10multipliesIsEENS9_8equal_toIsEEsEE10hipError_tPvRmT2_T3_T4_T5_mT6_T7_P12ihipStream_tbENKUlT_T0_E_clISt17integral_constantIbLb0EESY_IbLb1EEEEDaSU_SV_EUlSU_E_NS1_11comp_targetILNS1_3genE10ELNS1_11target_archE1200ELNS1_3gpuE4ELNS1_3repE0EEENS1_30default_config_static_selectorELNS0_4arch9wavefront6targetE0EEEvT1_,"axG",@progbits,_ZN7rocprim17ROCPRIM_400000_NS6detail17trampoline_kernelINS0_14default_configENS1_27scan_by_key_config_selectorIssEEZZNS1_16scan_by_key_implILNS1_25lookback_scan_determinismE0ELb0ES3_N6thrust23THRUST_200600_302600_NS6detail15normal_iteratorINS9_10device_ptrIsEEEESE_SE_sNS9_10multipliesIsEENS9_8equal_toIsEEsEE10hipError_tPvRmT2_T3_T4_T5_mT6_T7_P12ihipStream_tbENKUlT_T0_E_clISt17integral_constantIbLb0EESY_IbLb1EEEEDaSU_SV_EUlSU_E_NS1_11comp_targetILNS1_3genE10ELNS1_11target_archE1200ELNS1_3gpuE4ELNS1_3repE0EEENS1_30default_config_static_selectorELNS0_4arch9wavefront6targetE0EEEvT1_,comdat
	.protected	_ZN7rocprim17ROCPRIM_400000_NS6detail17trampoline_kernelINS0_14default_configENS1_27scan_by_key_config_selectorIssEEZZNS1_16scan_by_key_implILNS1_25lookback_scan_determinismE0ELb0ES3_N6thrust23THRUST_200600_302600_NS6detail15normal_iteratorINS9_10device_ptrIsEEEESE_SE_sNS9_10multipliesIsEENS9_8equal_toIsEEsEE10hipError_tPvRmT2_T3_T4_T5_mT6_T7_P12ihipStream_tbENKUlT_T0_E_clISt17integral_constantIbLb0EESY_IbLb1EEEEDaSU_SV_EUlSU_E_NS1_11comp_targetILNS1_3genE10ELNS1_11target_archE1200ELNS1_3gpuE4ELNS1_3repE0EEENS1_30default_config_static_selectorELNS0_4arch9wavefront6targetE0EEEvT1_ ; -- Begin function _ZN7rocprim17ROCPRIM_400000_NS6detail17trampoline_kernelINS0_14default_configENS1_27scan_by_key_config_selectorIssEEZZNS1_16scan_by_key_implILNS1_25lookback_scan_determinismE0ELb0ES3_N6thrust23THRUST_200600_302600_NS6detail15normal_iteratorINS9_10device_ptrIsEEEESE_SE_sNS9_10multipliesIsEENS9_8equal_toIsEEsEE10hipError_tPvRmT2_T3_T4_T5_mT6_T7_P12ihipStream_tbENKUlT_T0_E_clISt17integral_constantIbLb0EESY_IbLb1EEEEDaSU_SV_EUlSU_E_NS1_11comp_targetILNS1_3genE10ELNS1_11target_archE1200ELNS1_3gpuE4ELNS1_3repE0EEENS1_30default_config_static_selectorELNS0_4arch9wavefront6targetE0EEEvT1_
	.globl	_ZN7rocprim17ROCPRIM_400000_NS6detail17trampoline_kernelINS0_14default_configENS1_27scan_by_key_config_selectorIssEEZZNS1_16scan_by_key_implILNS1_25lookback_scan_determinismE0ELb0ES3_N6thrust23THRUST_200600_302600_NS6detail15normal_iteratorINS9_10device_ptrIsEEEESE_SE_sNS9_10multipliesIsEENS9_8equal_toIsEEsEE10hipError_tPvRmT2_T3_T4_T5_mT6_T7_P12ihipStream_tbENKUlT_T0_E_clISt17integral_constantIbLb0EESY_IbLb1EEEEDaSU_SV_EUlSU_E_NS1_11comp_targetILNS1_3genE10ELNS1_11target_archE1200ELNS1_3gpuE4ELNS1_3repE0EEENS1_30default_config_static_selectorELNS0_4arch9wavefront6targetE0EEEvT1_
	.p2align	8
	.type	_ZN7rocprim17ROCPRIM_400000_NS6detail17trampoline_kernelINS0_14default_configENS1_27scan_by_key_config_selectorIssEEZZNS1_16scan_by_key_implILNS1_25lookback_scan_determinismE0ELb0ES3_N6thrust23THRUST_200600_302600_NS6detail15normal_iteratorINS9_10device_ptrIsEEEESE_SE_sNS9_10multipliesIsEENS9_8equal_toIsEEsEE10hipError_tPvRmT2_T3_T4_T5_mT6_T7_P12ihipStream_tbENKUlT_T0_E_clISt17integral_constantIbLb0EESY_IbLb1EEEEDaSU_SV_EUlSU_E_NS1_11comp_targetILNS1_3genE10ELNS1_11target_archE1200ELNS1_3gpuE4ELNS1_3repE0EEENS1_30default_config_static_selectorELNS0_4arch9wavefront6targetE0EEEvT1_,@function
_ZN7rocprim17ROCPRIM_400000_NS6detail17trampoline_kernelINS0_14default_configENS1_27scan_by_key_config_selectorIssEEZZNS1_16scan_by_key_implILNS1_25lookback_scan_determinismE0ELb0ES3_N6thrust23THRUST_200600_302600_NS6detail15normal_iteratorINS9_10device_ptrIsEEEESE_SE_sNS9_10multipliesIsEENS9_8equal_toIsEEsEE10hipError_tPvRmT2_T3_T4_T5_mT6_T7_P12ihipStream_tbENKUlT_T0_E_clISt17integral_constantIbLb0EESY_IbLb1EEEEDaSU_SV_EUlSU_E_NS1_11comp_targetILNS1_3genE10ELNS1_11target_archE1200ELNS1_3gpuE4ELNS1_3repE0EEENS1_30default_config_static_selectorELNS0_4arch9wavefront6targetE0EEEvT1_: ; @_ZN7rocprim17ROCPRIM_400000_NS6detail17trampoline_kernelINS0_14default_configENS1_27scan_by_key_config_selectorIssEEZZNS1_16scan_by_key_implILNS1_25lookback_scan_determinismE0ELb0ES3_N6thrust23THRUST_200600_302600_NS6detail15normal_iteratorINS9_10device_ptrIsEEEESE_SE_sNS9_10multipliesIsEENS9_8equal_toIsEEsEE10hipError_tPvRmT2_T3_T4_T5_mT6_T7_P12ihipStream_tbENKUlT_T0_E_clISt17integral_constantIbLb0EESY_IbLb1EEEEDaSU_SV_EUlSU_E_NS1_11comp_targetILNS1_3genE10ELNS1_11target_archE1200ELNS1_3gpuE4ELNS1_3repE0EEENS1_30default_config_static_selectorELNS0_4arch9wavefront6targetE0EEEvT1_
; %bb.0:
	.section	.rodata,"a",@progbits
	.p2align	6, 0x0
	.amdhsa_kernel _ZN7rocprim17ROCPRIM_400000_NS6detail17trampoline_kernelINS0_14default_configENS1_27scan_by_key_config_selectorIssEEZZNS1_16scan_by_key_implILNS1_25lookback_scan_determinismE0ELb0ES3_N6thrust23THRUST_200600_302600_NS6detail15normal_iteratorINS9_10device_ptrIsEEEESE_SE_sNS9_10multipliesIsEENS9_8equal_toIsEEsEE10hipError_tPvRmT2_T3_T4_T5_mT6_T7_P12ihipStream_tbENKUlT_T0_E_clISt17integral_constantIbLb0EESY_IbLb1EEEEDaSU_SV_EUlSU_E_NS1_11comp_targetILNS1_3genE10ELNS1_11target_archE1200ELNS1_3gpuE4ELNS1_3repE0EEENS1_30default_config_static_selectorELNS0_4arch9wavefront6targetE0EEEvT1_
		.amdhsa_group_segment_fixed_size 0
		.amdhsa_private_segment_fixed_size 0
		.amdhsa_kernarg_size 112
		.amdhsa_user_sgpr_count 2
		.amdhsa_user_sgpr_dispatch_ptr 0
		.amdhsa_user_sgpr_queue_ptr 0
		.amdhsa_user_sgpr_kernarg_segment_ptr 1
		.amdhsa_user_sgpr_dispatch_id 0
		.amdhsa_user_sgpr_kernarg_preload_length 0
		.amdhsa_user_sgpr_kernarg_preload_offset 0
		.amdhsa_user_sgpr_private_segment_size 0
		.amdhsa_wavefront_size32 1
		.amdhsa_uses_dynamic_stack 0
		.amdhsa_enable_private_segment 0
		.amdhsa_system_sgpr_workgroup_id_x 1
		.amdhsa_system_sgpr_workgroup_id_y 0
		.amdhsa_system_sgpr_workgroup_id_z 0
		.amdhsa_system_sgpr_workgroup_info 0
		.amdhsa_system_vgpr_workitem_id 0
		.amdhsa_next_free_vgpr 1
		.amdhsa_next_free_sgpr 1
		.amdhsa_named_barrier_count 0
		.amdhsa_reserve_vcc 0
		.amdhsa_float_round_mode_32 0
		.amdhsa_float_round_mode_16_64 0
		.amdhsa_float_denorm_mode_32 3
		.amdhsa_float_denorm_mode_16_64 3
		.amdhsa_fp16_overflow 0
		.amdhsa_memory_ordered 1
		.amdhsa_forward_progress 1
		.amdhsa_inst_pref_size 0
		.amdhsa_round_robin_scheduling 0
		.amdhsa_exception_fp_ieee_invalid_op 0
		.amdhsa_exception_fp_denorm_src 0
		.amdhsa_exception_fp_ieee_div_zero 0
		.amdhsa_exception_fp_ieee_overflow 0
		.amdhsa_exception_fp_ieee_underflow 0
		.amdhsa_exception_fp_ieee_inexact 0
		.amdhsa_exception_int_div_zero 0
	.end_amdhsa_kernel
	.section	.text._ZN7rocprim17ROCPRIM_400000_NS6detail17trampoline_kernelINS0_14default_configENS1_27scan_by_key_config_selectorIssEEZZNS1_16scan_by_key_implILNS1_25lookback_scan_determinismE0ELb0ES3_N6thrust23THRUST_200600_302600_NS6detail15normal_iteratorINS9_10device_ptrIsEEEESE_SE_sNS9_10multipliesIsEENS9_8equal_toIsEEsEE10hipError_tPvRmT2_T3_T4_T5_mT6_T7_P12ihipStream_tbENKUlT_T0_E_clISt17integral_constantIbLb0EESY_IbLb1EEEEDaSU_SV_EUlSU_E_NS1_11comp_targetILNS1_3genE10ELNS1_11target_archE1200ELNS1_3gpuE4ELNS1_3repE0EEENS1_30default_config_static_selectorELNS0_4arch9wavefront6targetE0EEEvT1_,"axG",@progbits,_ZN7rocprim17ROCPRIM_400000_NS6detail17trampoline_kernelINS0_14default_configENS1_27scan_by_key_config_selectorIssEEZZNS1_16scan_by_key_implILNS1_25lookback_scan_determinismE0ELb0ES3_N6thrust23THRUST_200600_302600_NS6detail15normal_iteratorINS9_10device_ptrIsEEEESE_SE_sNS9_10multipliesIsEENS9_8equal_toIsEEsEE10hipError_tPvRmT2_T3_T4_T5_mT6_T7_P12ihipStream_tbENKUlT_T0_E_clISt17integral_constantIbLb0EESY_IbLb1EEEEDaSU_SV_EUlSU_E_NS1_11comp_targetILNS1_3genE10ELNS1_11target_archE1200ELNS1_3gpuE4ELNS1_3repE0EEENS1_30default_config_static_selectorELNS0_4arch9wavefront6targetE0EEEvT1_,comdat
.Lfunc_end314:
	.size	_ZN7rocprim17ROCPRIM_400000_NS6detail17trampoline_kernelINS0_14default_configENS1_27scan_by_key_config_selectorIssEEZZNS1_16scan_by_key_implILNS1_25lookback_scan_determinismE0ELb0ES3_N6thrust23THRUST_200600_302600_NS6detail15normal_iteratorINS9_10device_ptrIsEEEESE_SE_sNS9_10multipliesIsEENS9_8equal_toIsEEsEE10hipError_tPvRmT2_T3_T4_T5_mT6_T7_P12ihipStream_tbENKUlT_T0_E_clISt17integral_constantIbLb0EESY_IbLb1EEEEDaSU_SV_EUlSU_E_NS1_11comp_targetILNS1_3genE10ELNS1_11target_archE1200ELNS1_3gpuE4ELNS1_3repE0EEENS1_30default_config_static_selectorELNS0_4arch9wavefront6targetE0EEEvT1_, .Lfunc_end314-_ZN7rocprim17ROCPRIM_400000_NS6detail17trampoline_kernelINS0_14default_configENS1_27scan_by_key_config_selectorIssEEZZNS1_16scan_by_key_implILNS1_25lookback_scan_determinismE0ELb0ES3_N6thrust23THRUST_200600_302600_NS6detail15normal_iteratorINS9_10device_ptrIsEEEESE_SE_sNS9_10multipliesIsEENS9_8equal_toIsEEsEE10hipError_tPvRmT2_T3_T4_T5_mT6_T7_P12ihipStream_tbENKUlT_T0_E_clISt17integral_constantIbLb0EESY_IbLb1EEEEDaSU_SV_EUlSU_E_NS1_11comp_targetILNS1_3genE10ELNS1_11target_archE1200ELNS1_3gpuE4ELNS1_3repE0EEENS1_30default_config_static_selectorELNS0_4arch9wavefront6targetE0EEEvT1_
                                        ; -- End function
	.set _ZN7rocprim17ROCPRIM_400000_NS6detail17trampoline_kernelINS0_14default_configENS1_27scan_by_key_config_selectorIssEEZZNS1_16scan_by_key_implILNS1_25lookback_scan_determinismE0ELb0ES3_N6thrust23THRUST_200600_302600_NS6detail15normal_iteratorINS9_10device_ptrIsEEEESE_SE_sNS9_10multipliesIsEENS9_8equal_toIsEEsEE10hipError_tPvRmT2_T3_T4_T5_mT6_T7_P12ihipStream_tbENKUlT_T0_E_clISt17integral_constantIbLb0EESY_IbLb1EEEEDaSU_SV_EUlSU_E_NS1_11comp_targetILNS1_3genE10ELNS1_11target_archE1200ELNS1_3gpuE4ELNS1_3repE0EEENS1_30default_config_static_selectorELNS0_4arch9wavefront6targetE0EEEvT1_.num_vgpr, 0
	.set _ZN7rocprim17ROCPRIM_400000_NS6detail17trampoline_kernelINS0_14default_configENS1_27scan_by_key_config_selectorIssEEZZNS1_16scan_by_key_implILNS1_25lookback_scan_determinismE0ELb0ES3_N6thrust23THRUST_200600_302600_NS6detail15normal_iteratorINS9_10device_ptrIsEEEESE_SE_sNS9_10multipliesIsEENS9_8equal_toIsEEsEE10hipError_tPvRmT2_T3_T4_T5_mT6_T7_P12ihipStream_tbENKUlT_T0_E_clISt17integral_constantIbLb0EESY_IbLb1EEEEDaSU_SV_EUlSU_E_NS1_11comp_targetILNS1_3genE10ELNS1_11target_archE1200ELNS1_3gpuE4ELNS1_3repE0EEENS1_30default_config_static_selectorELNS0_4arch9wavefront6targetE0EEEvT1_.num_agpr, 0
	.set _ZN7rocprim17ROCPRIM_400000_NS6detail17trampoline_kernelINS0_14default_configENS1_27scan_by_key_config_selectorIssEEZZNS1_16scan_by_key_implILNS1_25lookback_scan_determinismE0ELb0ES3_N6thrust23THRUST_200600_302600_NS6detail15normal_iteratorINS9_10device_ptrIsEEEESE_SE_sNS9_10multipliesIsEENS9_8equal_toIsEEsEE10hipError_tPvRmT2_T3_T4_T5_mT6_T7_P12ihipStream_tbENKUlT_T0_E_clISt17integral_constantIbLb0EESY_IbLb1EEEEDaSU_SV_EUlSU_E_NS1_11comp_targetILNS1_3genE10ELNS1_11target_archE1200ELNS1_3gpuE4ELNS1_3repE0EEENS1_30default_config_static_selectorELNS0_4arch9wavefront6targetE0EEEvT1_.numbered_sgpr, 0
	.set _ZN7rocprim17ROCPRIM_400000_NS6detail17trampoline_kernelINS0_14default_configENS1_27scan_by_key_config_selectorIssEEZZNS1_16scan_by_key_implILNS1_25lookback_scan_determinismE0ELb0ES3_N6thrust23THRUST_200600_302600_NS6detail15normal_iteratorINS9_10device_ptrIsEEEESE_SE_sNS9_10multipliesIsEENS9_8equal_toIsEEsEE10hipError_tPvRmT2_T3_T4_T5_mT6_T7_P12ihipStream_tbENKUlT_T0_E_clISt17integral_constantIbLb0EESY_IbLb1EEEEDaSU_SV_EUlSU_E_NS1_11comp_targetILNS1_3genE10ELNS1_11target_archE1200ELNS1_3gpuE4ELNS1_3repE0EEENS1_30default_config_static_selectorELNS0_4arch9wavefront6targetE0EEEvT1_.num_named_barrier, 0
	.set _ZN7rocprim17ROCPRIM_400000_NS6detail17trampoline_kernelINS0_14default_configENS1_27scan_by_key_config_selectorIssEEZZNS1_16scan_by_key_implILNS1_25lookback_scan_determinismE0ELb0ES3_N6thrust23THRUST_200600_302600_NS6detail15normal_iteratorINS9_10device_ptrIsEEEESE_SE_sNS9_10multipliesIsEENS9_8equal_toIsEEsEE10hipError_tPvRmT2_T3_T4_T5_mT6_T7_P12ihipStream_tbENKUlT_T0_E_clISt17integral_constantIbLb0EESY_IbLb1EEEEDaSU_SV_EUlSU_E_NS1_11comp_targetILNS1_3genE10ELNS1_11target_archE1200ELNS1_3gpuE4ELNS1_3repE0EEENS1_30default_config_static_selectorELNS0_4arch9wavefront6targetE0EEEvT1_.private_seg_size, 0
	.set _ZN7rocprim17ROCPRIM_400000_NS6detail17trampoline_kernelINS0_14default_configENS1_27scan_by_key_config_selectorIssEEZZNS1_16scan_by_key_implILNS1_25lookback_scan_determinismE0ELb0ES3_N6thrust23THRUST_200600_302600_NS6detail15normal_iteratorINS9_10device_ptrIsEEEESE_SE_sNS9_10multipliesIsEENS9_8equal_toIsEEsEE10hipError_tPvRmT2_T3_T4_T5_mT6_T7_P12ihipStream_tbENKUlT_T0_E_clISt17integral_constantIbLb0EESY_IbLb1EEEEDaSU_SV_EUlSU_E_NS1_11comp_targetILNS1_3genE10ELNS1_11target_archE1200ELNS1_3gpuE4ELNS1_3repE0EEENS1_30default_config_static_selectorELNS0_4arch9wavefront6targetE0EEEvT1_.uses_vcc, 0
	.set _ZN7rocprim17ROCPRIM_400000_NS6detail17trampoline_kernelINS0_14default_configENS1_27scan_by_key_config_selectorIssEEZZNS1_16scan_by_key_implILNS1_25lookback_scan_determinismE0ELb0ES3_N6thrust23THRUST_200600_302600_NS6detail15normal_iteratorINS9_10device_ptrIsEEEESE_SE_sNS9_10multipliesIsEENS9_8equal_toIsEEsEE10hipError_tPvRmT2_T3_T4_T5_mT6_T7_P12ihipStream_tbENKUlT_T0_E_clISt17integral_constantIbLb0EESY_IbLb1EEEEDaSU_SV_EUlSU_E_NS1_11comp_targetILNS1_3genE10ELNS1_11target_archE1200ELNS1_3gpuE4ELNS1_3repE0EEENS1_30default_config_static_selectorELNS0_4arch9wavefront6targetE0EEEvT1_.uses_flat_scratch, 0
	.set _ZN7rocprim17ROCPRIM_400000_NS6detail17trampoline_kernelINS0_14default_configENS1_27scan_by_key_config_selectorIssEEZZNS1_16scan_by_key_implILNS1_25lookback_scan_determinismE0ELb0ES3_N6thrust23THRUST_200600_302600_NS6detail15normal_iteratorINS9_10device_ptrIsEEEESE_SE_sNS9_10multipliesIsEENS9_8equal_toIsEEsEE10hipError_tPvRmT2_T3_T4_T5_mT6_T7_P12ihipStream_tbENKUlT_T0_E_clISt17integral_constantIbLb0EESY_IbLb1EEEEDaSU_SV_EUlSU_E_NS1_11comp_targetILNS1_3genE10ELNS1_11target_archE1200ELNS1_3gpuE4ELNS1_3repE0EEENS1_30default_config_static_selectorELNS0_4arch9wavefront6targetE0EEEvT1_.has_dyn_sized_stack, 0
	.set _ZN7rocprim17ROCPRIM_400000_NS6detail17trampoline_kernelINS0_14default_configENS1_27scan_by_key_config_selectorIssEEZZNS1_16scan_by_key_implILNS1_25lookback_scan_determinismE0ELb0ES3_N6thrust23THRUST_200600_302600_NS6detail15normal_iteratorINS9_10device_ptrIsEEEESE_SE_sNS9_10multipliesIsEENS9_8equal_toIsEEsEE10hipError_tPvRmT2_T3_T4_T5_mT6_T7_P12ihipStream_tbENKUlT_T0_E_clISt17integral_constantIbLb0EESY_IbLb1EEEEDaSU_SV_EUlSU_E_NS1_11comp_targetILNS1_3genE10ELNS1_11target_archE1200ELNS1_3gpuE4ELNS1_3repE0EEENS1_30default_config_static_selectorELNS0_4arch9wavefront6targetE0EEEvT1_.has_recursion, 0
	.set _ZN7rocprim17ROCPRIM_400000_NS6detail17trampoline_kernelINS0_14default_configENS1_27scan_by_key_config_selectorIssEEZZNS1_16scan_by_key_implILNS1_25lookback_scan_determinismE0ELb0ES3_N6thrust23THRUST_200600_302600_NS6detail15normal_iteratorINS9_10device_ptrIsEEEESE_SE_sNS9_10multipliesIsEENS9_8equal_toIsEEsEE10hipError_tPvRmT2_T3_T4_T5_mT6_T7_P12ihipStream_tbENKUlT_T0_E_clISt17integral_constantIbLb0EESY_IbLb1EEEEDaSU_SV_EUlSU_E_NS1_11comp_targetILNS1_3genE10ELNS1_11target_archE1200ELNS1_3gpuE4ELNS1_3repE0EEENS1_30default_config_static_selectorELNS0_4arch9wavefront6targetE0EEEvT1_.has_indirect_call, 0
	.section	.AMDGPU.csdata,"",@progbits
; Kernel info:
; codeLenInByte = 0
; TotalNumSgprs: 0
; NumVgprs: 0
; ScratchSize: 0
; MemoryBound: 0
; FloatMode: 240
; IeeeMode: 1
; LDSByteSize: 0 bytes/workgroup (compile time only)
; SGPRBlocks: 0
; VGPRBlocks: 0
; NumSGPRsForWavesPerEU: 1
; NumVGPRsForWavesPerEU: 1
; NamedBarCnt: 0
; Occupancy: 16
; WaveLimiterHint : 0
; COMPUTE_PGM_RSRC2:SCRATCH_EN: 0
; COMPUTE_PGM_RSRC2:USER_SGPR: 2
; COMPUTE_PGM_RSRC2:TRAP_HANDLER: 0
; COMPUTE_PGM_RSRC2:TGID_X_EN: 1
; COMPUTE_PGM_RSRC2:TGID_Y_EN: 0
; COMPUTE_PGM_RSRC2:TGID_Z_EN: 0
; COMPUTE_PGM_RSRC2:TIDIG_COMP_CNT: 0
	.section	.text._ZN7rocprim17ROCPRIM_400000_NS6detail17trampoline_kernelINS0_14default_configENS1_27scan_by_key_config_selectorIssEEZZNS1_16scan_by_key_implILNS1_25lookback_scan_determinismE0ELb0ES3_N6thrust23THRUST_200600_302600_NS6detail15normal_iteratorINS9_10device_ptrIsEEEESE_SE_sNS9_10multipliesIsEENS9_8equal_toIsEEsEE10hipError_tPvRmT2_T3_T4_T5_mT6_T7_P12ihipStream_tbENKUlT_T0_E_clISt17integral_constantIbLb0EESY_IbLb1EEEEDaSU_SV_EUlSU_E_NS1_11comp_targetILNS1_3genE9ELNS1_11target_archE1100ELNS1_3gpuE3ELNS1_3repE0EEENS1_30default_config_static_selectorELNS0_4arch9wavefront6targetE0EEEvT1_,"axG",@progbits,_ZN7rocprim17ROCPRIM_400000_NS6detail17trampoline_kernelINS0_14default_configENS1_27scan_by_key_config_selectorIssEEZZNS1_16scan_by_key_implILNS1_25lookback_scan_determinismE0ELb0ES3_N6thrust23THRUST_200600_302600_NS6detail15normal_iteratorINS9_10device_ptrIsEEEESE_SE_sNS9_10multipliesIsEENS9_8equal_toIsEEsEE10hipError_tPvRmT2_T3_T4_T5_mT6_T7_P12ihipStream_tbENKUlT_T0_E_clISt17integral_constantIbLb0EESY_IbLb1EEEEDaSU_SV_EUlSU_E_NS1_11comp_targetILNS1_3genE9ELNS1_11target_archE1100ELNS1_3gpuE3ELNS1_3repE0EEENS1_30default_config_static_selectorELNS0_4arch9wavefront6targetE0EEEvT1_,comdat
	.protected	_ZN7rocprim17ROCPRIM_400000_NS6detail17trampoline_kernelINS0_14default_configENS1_27scan_by_key_config_selectorIssEEZZNS1_16scan_by_key_implILNS1_25lookback_scan_determinismE0ELb0ES3_N6thrust23THRUST_200600_302600_NS6detail15normal_iteratorINS9_10device_ptrIsEEEESE_SE_sNS9_10multipliesIsEENS9_8equal_toIsEEsEE10hipError_tPvRmT2_T3_T4_T5_mT6_T7_P12ihipStream_tbENKUlT_T0_E_clISt17integral_constantIbLb0EESY_IbLb1EEEEDaSU_SV_EUlSU_E_NS1_11comp_targetILNS1_3genE9ELNS1_11target_archE1100ELNS1_3gpuE3ELNS1_3repE0EEENS1_30default_config_static_selectorELNS0_4arch9wavefront6targetE0EEEvT1_ ; -- Begin function _ZN7rocprim17ROCPRIM_400000_NS6detail17trampoline_kernelINS0_14default_configENS1_27scan_by_key_config_selectorIssEEZZNS1_16scan_by_key_implILNS1_25lookback_scan_determinismE0ELb0ES3_N6thrust23THRUST_200600_302600_NS6detail15normal_iteratorINS9_10device_ptrIsEEEESE_SE_sNS9_10multipliesIsEENS9_8equal_toIsEEsEE10hipError_tPvRmT2_T3_T4_T5_mT6_T7_P12ihipStream_tbENKUlT_T0_E_clISt17integral_constantIbLb0EESY_IbLb1EEEEDaSU_SV_EUlSU_E_NS1_11comp_targetILNS1_3genE9ELNS1_11target_archE1100ELNS1_3gpuE3ELNS1_3repE0EEENS1_30default_config_static_selectorELNS0_4arch9wavefront6targetE0EEEvT1_
	.globl	_ZN7rocprim17ROCPRIM_400000_NS6detail17trampoline_kernelINS0_14default_configENS1_27scan_by_key_config_selectorIssEEZZNS1_16scan_by_key_implILNS1_25lookback_scan_determinismE0ELb0ES3_N6thrust23THRUST_200600_302600_NS6detail15normal_iteratorINS9_10device_ptrIsEEEESE_SE_sNS9_10multipliesIsEENS9_8equal_toIsEEsEE10hipError_tPvRmT2_T3_T4_T5_mT6_T7_P12ihipStream_tbENKUlT_T0_E_clISt17integral_constantIbLb0EESY_IbLb1EEEEDaSU_SV_EUlSU_E_NS1_11comp_targetILNS1_3genE9ELNS1_11target_archE1100ELNS1_3gpuE3ELNS1_3repE0EEENS1_30default_config_static_selectorELNS0_4arch9wavefront6targetE0EEEvT1_
	.p2align	8
	.type	_ZN7rocprim17ROCPRIM_400000_NS6detail17trampoline_kernelINS0_14default_configENS1_27scan_by_key_config_selectorIssEEZZNS1_16scan_by_key_implILNS1_25lookback_scan_determinismE0ELb0ES3_N6thrust23THRUST_200600_302600_NS6detail15normal_iteratorINS9_10device_ptrIsEEEESE_SE_sNS9_10multipliesIsEENS9_8equal_toIsEEsEE10hipError_tPvRmT2_T3_T4_T5_mT6_T7_P12ihipStream_tbENKUlT_T0_E_clISt17integral_constantIbLb0EESY_IbLb1EEEEDaSU_SV_EUlSU_E_NS1_11comp_targetILNS1_3genE9ELNS1_11target_archE1100ELNS1_3gpuE3ELNS1_3repE0EEENS1_30default_config_static_selectorELNS0_4arch9wavefront6targetE0EEEvT1_,@function
_ZN7rocprim17ROCPRIM_400000_NS6detail17trampoline_kernelINS0_14default_configENS1_27scan_by_key_config_selectorIssEEZZNS1_16scan_by_key_implILNS1_25lookback_scan_determinismE0ELb0ES3_N6thrust23THRUST_200600_302600_NS6detail15normal_iteratorINS9_10device_ptrIsEEEESE_SE_sNS9_10multipliesIsEENS9_8equal_toIsEEsEE10hipError_tPvRmT2_T3_T4_T5_mT6_T7_P12ihipStream_tbENKUlT_T0_E_clISt17integral_constantIbLb0EESY_IbLb1EEEEDaSU_SV_EUlSU_E_NS1_11comp_targetILNS1_3genE9ELNS1_11target_archE1100ELNS1_3gpuE3ELNS1_3repE0EEENS1_30default_config_static_selectorELNS0_4arch9wavefront6targetE0EEEvT1_: ; @_ZN7rocprim17ROCPRIM_400000_NS6detail17trampoline_kernelINS0_14default_configENS1_27scan_by_key_config_selectorIssEEZZNS1_16scan_by_key_implILNS1_25lookback_scan_determinismE0ELb0ES3_N6thrust23THRUST_200600_302600_NS6detail15normal_iteratorINS9_10device_ptrIsEEEESE_SE_sNS9_10multipliesIsEENS9_8equal_toIsEEsEE10hipError_tPvRmT2_T3_T4_T5_mT6_T7_P12ihipStream_tbENKUlT_T0_E_clISt17integral_constantIbLb0EESY_IbLb1EEEEDaSU_SV_EUlSU_E_NS1_11comp_targetILNS1_3genE9ELNS1_11target_archE1100ELNS1_3gpuE3ELNS1_3repE0EEENS1_30default_config_static_selectorELNS0_4arch9wavefront6targetE0EEEvT1_
; %bb.0:
	.section	.rodata,"a",@progbits
	.p2align	6, 0x0
	.amdhsa_kernel _ZN7rocprim17ROCPRIM_400000_NS6detail17trampoline_kernelINS0_14default_configENS1_27scan_by_key_config_selectorIssEEZZNS1_16scan_by_key_implILNS1_25lookback_scan_determinismE0ELb0ES3_N6thrust23THRUST_200600_302600_NS6detail15normal_iteratorINS9_10device_ptrIsEEEESE_SE_sNS9_10multipliesIsEENS9_8equal_toIsEEsEE10hipError_tPvRmT2_T3_T4_T5_mT6_T7_P12ihipStream_tbENKUlT_T0_E_clISt17integral_constantIbLb0EESY_IbLb1EEEEDaSU_SV_EUlSU_E_NS1_11comp_targetILNS1_3genE9ELNS1_11target_archE1100ELNS1_3gpuE3ELNS1_3repE0EEENS1_30default_config_static_selectorELNS0_4arch9wavefront6targetE0EEEvT1_
		.amdhsa_group_segment_fixed_size 0
		.amdhsa_private_segment_fixed_size 0
		.amdhsa_kernarg_size 112
		.amdhsa_user_sgpr_count 2
		.amdhsa_user_sgpr_dispatch_ptr 0
		.amdhsa_user_sgpr_queue_ptr 0
		.amdhsa_user_sgpr_kernarg_segment_ptr 1
		.amdhsa_user_sgpr_dispatch_id 0
		.amdhsa_user_sgpr_kernarg_preload_length 0
		.amdhsa_user_sgpr_kernarg_preload_offset 0
		.amdhsa_user_sgpr_private_segment_size 0
		.amdhsa_wavefront_size32 1
		.amdhsa_uses_dynamic_stack 0
		.amdhsa_enable_private_segment 0
		.amdhsa_system_sgpr_workgroup_id_x 1
		.amdhsa_system_sgpr_workgroup_id_y 0
		.amdhsa_system_sgpr_workgroup_id_z 0
		.amdhsa_system_sgpr_workgroup_info 0
		.amdhsa_system_vgpr_workitem_id 0
		.amdhsa_next_free_vgpr 1
		.amdhsa_next_free_sgpr 1
		.amdhsa_named_barrier_count 0
		.amdhsa_reserve_vcc 0
		.amdhsa_float_round_mode_32 0
		.amdhsa_float_round_mode_16_64 0
		.amdhsa_float_denorm_mode_32 3
		.amdhsa_float_denorm_mode_16_64 3
		.amdhsa_fp16_overflow 0
		.amdhsa_memory_ordered 1
		.amdhsa_forward_progress 1
		.amdhsa_inst_pref_size 0
		.amdhsa_round_robin_scheduling 0
		.amdhsa_exception_fp_ieee_invalid_op 0
		.amdhsa_exception_fp_denorm_src 0
		.amdhsa_exception_fp_ieee_div_zero 0
		.amdhsa_exception_fp_ieee_overflow 0
		.amdhsa_exception_fp_ieee_underflow 0
		.amdhsa_exception_fp_ieee_inexact 0
		.amdhsa_exception_int_div_zero 0
	.end_amdhsa_kernel
	.section	.text._ZN7rocprim17ROCPRIM_400000_NS6detail17trampoline_kernelINS0_14default_configENS1_27scan_by_key_config_selectorIssEEZZNS1_16scan_by_key_implILNS1_25lookback_scan_determinismE0ELb0ES3_N6thrust23THRUST_200600_302600_NS6detail15normal_iteratorINS9_10device_ptrIsEEEESE_SE_sNS9_10multipliesIsEENS9_8equal_toIsEEsEE10hipError_tPvRmT2_T3_T4_T5_mT6_T7_P12ihipStream_tbENKUlT_T0_E_clISt17integral_constantIbLb0EESY_IbLb1EEEEDaSU_SV_EUlSU_E_NS1_11comp_targetILNS1_3genE9ELNS1_11target_archE1100ELNS1_3gpuE3ELNS1_3repE0EEENS1_30default_config_static_selectorELNS0_4arch9wavefront6targetE0EEEvT1_,"axG",@progbits,_ZN7rocprim17ROCPRIM_400000_NS6detail17trampoline_kernelINS0_14default_configENS1_27scan_by_key_config_selectorIssEEZZNS1_16scan_by_key_implILNS1_25lookback_scan_determinismE0ELb0ES3_N6thrust23THRUST_200600_302600_NS6detail15normal_iteratorINS9_10device_ptrIsEEEESE_SE_sNS9_10multipliesIsEENS9_8equal_toIsEEsEE10hipError_tPvRmT2_T3_T4_T5_mT6_T7_P12ihipStream_tbENKUlT_T0_E_clISt17integral_constantIbLb0EESY_IbLb1EEEEDaSU_SV_EUlSU_E_NS1_11comp_targetILNS1_3genE9ELNS1_11target_archE1100ELNS1_3gpuE3ELNS1_3repE0EEENS1_30default_config_static_selectorELNS0_4arch9wavefront6targetE0EEEvT1_,comdat
.Lfunc_end315:
	.size	_ZN7rocprim17ROCPRIM_400000_NS6detail17trampoline_kernelINS0_14default_configENS1_27scan_by_key_config_selectorIssEEZZNS1_16scan_by_key_implILNS1_25lookback_scan_determinismE0ELb0ES3_N6thrust23THRUST_200600_302600_NS6detail15normal_iteratorINS9_10device_ptrIsEEEESE_SE_sNS9_10multipliesIsEENS9_8equal_toIsEEsEE10hipError_tPvRmT2_T3_T4_T5_mT6_T7_P12ihipStream_tbENKUlT_T0_E_clISt17integral_constantIbLb0EESY_IbLb1EEEEDaSU_SV_EUlSU_E_NS1_11comp_targetILNS1_3genE9ELNS1_11target_archE1100ELNS1_3gpuE3ELNS1_3repE0EEENS1_30default_config_static_selectorELNS0_4arch9wavefront6targetE0EEEvT1_, .Lfunc_end315-_ZN7rocprim17ROCPRIM_400000_NS6detail17trampoline_kernelINS0_14default_configENS1_27scan_by_key_config_selectorIssEEZZNS1_16scan_by_key_implILNS1_25lookback_scan_determinismE0ELb0ES3_N6thrust23THRUST_200600_302600_NS6detail15normal_iteratorINS9_10device_ptrIsEEEESE_SE_sNS9_10multipliesIsEENS9_8equal_toIsEEsEE10hipError_tPvRmT2_T3_T4_T5_mT6_T7_P12ihipStream_tbENKUlT_T0_E_clISt17integral_constantIbLb0EESY_IbLb1EEEEDaSU_SV_EUlSU_E_NS1_11comp_targetILNS1_3genE9ELNS1_11target_archE1100ELNS1_3gpuE3ELNS1_3repE0EEENS1_30default_config_static_selectorELNS0_4arch9wavefront6targetE0EEEvT1_
                                        ; -- End function
	.set _ZN7rocprim17ROCPRIM_400000_NS6detail17trampoline_kernelINS0_14default_configENS1_27scan_by_key_config_selectorIssEEZZNS1_16scan_by_key_implILNS1_25lookback_scan_determinismE0ELb0ES3_N6thrust23THRUST_200600_302600_NS6detail15normal_iteratorINS9_10device_ptrIsEEEESE_SE_sNS9_10multipliesIsEENS9_8equal_toIsEEsEE10hipError_tPvRmT2_T3_T4_T5_mT6_T7_P12ihipStream_tbENKUlT_T0_E_clISt17integral_constantIbLb0EESY_IbLb1EEEEDaSU_SV_EUlSU_E_NS1_11comp_targetILNS1_3genE9ELNS1_11target_archE1100ELNS1_3gpuE3ELNS1_3repE0EEENS1_30default_config_static_selectorELNS0_4arch9wavefront6targetE0EEEvT1_.num_vgpr, 0
	.set _ZN7rocprim17ROCPRIM_400000_NS6detail17trampoline_kernelINS0_14default_configENS1_27scan_by_key_config_selectorIssEEZZNS1_16scan_by_key_implILNS1_25lookback_scan_determinismE0ELb0ES3_N6thrust23THRUST_200600_302600_NS6detail15normal_iteratorINS9_10device_ptrIsEEEESE_SE_sNS9_10multipliesIsEENS9_8equal_toIsEEsEE10hipError_tPvRmT2_T3_T4_T5_mT6_T7_P12ihipStream_tbENKUlT_T0_E_clISt17integral_constantIbLb0EESY_IbLb1EEEEDaSU_SV_EUlSU_E_NS1_11comp_targetILNS1_3genE9ELNS1_11target_archE1100ELNS1_3gpuE3ELNS1_3repE0EEENS1_30default_config_static_selectorELNS0_4arch9wavefront6targetE0EEEvT1_.num_agpr, 0
	.set _ZN7rocprim17ROCPRIM_400000_NS6detail17trampoline_kernelINS0_14default_configENS1_27scan_by_key_config_selectorIssEEZZNS1_16scan_by_key_implILNS1_25lookback_scan_determinismE0ELb0ES3_N6thrust23THRUST_200600_302600_NS6detail15normal_iteratorINS9_10device_ptrIsEEEESE_SE_sNS9_10multipliesIsEENS9_8equal_toIsEEsEE10hipError_tPvRmT2_T3_T4_T5_mT6_T7_P12ihipStream_tbENKUlT_T0_E_clISt17integral_constantIbLb0EESY_IbLb1EEEEDaSU_SV_EUlSU_E_NS1_11comp_targetILNS1_3genE9ELNS1_11target_archE1100ELNS1_3gpuE3ELNS1_3repE0EEENS1_30default_config_static_selectorELNS0_4arch9wavefront6targetE0EEEvT1_.numbered_sgpr, 0
	.set _ZN7rocprim17ROCPRIM_400000_NS6detail17trampoline_kernelINS0_14default_configENS1_27scan_by_key_config_selectorIssEEZZNS1_16scan_by_key_implILNS1_25lookback_scan_determinismE0ELb0ES3_N6thrust23THRUST_200600_302600_NS6detail15normal_iteratorINS9_10device_ptrIsEEEESE_SE_sNS9_10multipliesIsEENS9_8equal_toIsEEsEE10hipError_tPvRmT2_T3_T4_T5_mT6_T7_P12ihipStream_tbENKUlT_T0_E_clISt17integral_constantIbLb0EESY_IbLb1EEEEDaSU_SV_EUlSU_E_NS1_11comp_targetILNS1_3genE9ELNS1_11target_archE1100ELNS1_3gpuE3ELNS1_3repE0EEENS1_30default_config_static_selectorELNS0_4arch9wavefront6targetE0EEEvT1_.num_named_barrier, 0
	.set _ZN7rocprim17ROCPRIM_400000_NS6detail17trampoline_kernelINS0_14default_configENS1_27scan_by_key_config_selectorIssEEZZNS1_16scan_by_key_implILNS1_25lookback_scan_determinismE0ELb0ES3_N6thrust23THRUST_200600_302600_NS6detail15normal_iteratorINS9_10device_ptrIsEEEESE_SE_sNS9_10multipliesIsEENS9_8equal_toIsEEsEE10hipError_tPvRmT2_T3_T4_T5_mT6_T7_P12ihipStream_tbENKUlT_T0_E_clISt17integral_constantIbLb0EESY_IbLb1EEEEDaSU_SV_EUlSU_E_NS1_11comp_targetILNS1_3genE9ELNS1_11target_archE1100ELNS1_3gpuE3ELNS1_3repE0EEENS1_30default_config_static_selectorELNS0_4arch9wavefront6targetE0EEEvT1_.private_seg_size, 0
	.set _ZN7rocprim17ROCPRIM_400000_NS6detail17trampoline_kernelINS0_14default_configENS1_27scan_by_key_config_selectorIssEEZZNS1_16scan_by_key_implILNS1_25lookback_scan_determinismE0ELb0ES3_N6thrust23THRUST_200600_302600_NS6detail15normal_iteratorINS9_10device_ptrIsEEEESE_SE_sNS9_10multipliesIsEENS9_8equal_toIsEEsEE10hipError_tPvRmT2_T3_T4_T5_mT6_T7_P12ihipStream_tbENKUlT_T0_E_clISt17integral_constantIbLb0EESY_IbLb1EEEEDaSU_SV_EUlSU_E_NS1_11comp_targetILNS1_3genE9ELNS1_11target_archE1100ELNS1_3gpuE3ELNS1_3repE0EEENS1_30default_config_static_selectorELNS0_4arch9wavefront6targetE0EEEvT1_.uses_vcc, 0
	.set _ZN7rocprim17ROCPRIM_400000_NS6detail17trampoline_kernelINS0_14default_configENS1_27scan_by_key_config_selectorIssEEZZNS1_16scan_by_key_implILNS1_25lookback_scan_determinismE0ELb0ES3_N6thrust23THRUST_200600_302600_NS6detail15normal_iteratorINS9_10device_ptrIsEEEESE_SE_sNS9_10multipliesIsEENS9_8equal_toIsEEsEE10hipError_tPvRmT2_T3_T4_T5_mT6_T7_P12ihipStream_tbENKUlT_T0_E_clISt17integral_constantIbLb0EESY_IbLb1EEEEDaSU_SV_EUlSU_E_NS1_11comp_targetILNS1_3genE9ELNS1_11target_archE1100ELNS1_3gpuE3ELNS1_3repE0EEENS1_30default_config_static_selectorELNS0_4arch9wavefront6targetE0EEEvT1_.uses_flat_scratch, 0
	.set _ZN7rocprim17ROCPRIM_400000_NS6detail17trampoline_kernelINS0_14default_configENS1_27scan_by_key_config_selectorIssEEZZNS1_16scan_by_key_implILNS1_25lookback_scan_determinismE0ELb0ES3_N6thrust23THRUST_200600_302600_NS6detail15normal_iteratorINS9_10device_ptrIsEEEESE_SE_sNS9_10multipliesIsEENS9_8equal_toIsEEsEE10hipError_tPvRmT2_T3_T4_T5_mT6_T7_P12ihipStream_tbENKUlT_T0_E_clISt17integral_constantIbLb0EESY_IbLb1EEEEDaSU_SV_EUlSU_E_NS1_11comp_targetILNS1_3genE9ELNS1_11target_archE1100ELNS1_3gpuE3ELNS1_3repE0EEENS1_30default_config_static_selectorELNS0_4arch9wavefront6targetE0EEEvT1_.has_dyn_sized_stack, 0
	.set _ZN7rocprim17ROCPRIM_400000_NS6detail17trampoline_kernelINS0_14default_configENS1_27scan_by_key_config_selectorIssEEZZNS1_16scan_by_key_implILNS1_25lookback_scan_determinismE0ELb0ES3_N6thrust23THRUST_200600_302600_NS6detail15normal_iteratorINS9_10device_ptrIsEEEESE_SE_sNS9_10multipliesIsEENS9_8equal_toIsEEsEE10hipError_tPvRmT2_T3_T4_T5_mT6_T7_P12ihipStream_tbENKUlT_T0_E_clISt17integral_constantIbLb0EESY_IbLb1EEEEDaSU_SV_EUlSU_E_NS1_11comp_targetILNS1_3genE9ELNS1_11target_archE1100ELNS1_3gpuE3ELNS1_3repE0EEENS1_30default_config_static_selectorELNS0_4arch9wavefront6targetE0EEEvT1_.has_recursion, 0
	.set _ZN7rocprim17ROCPRIM_400000_NS6detail17trampoline_kernelINS0_14default_configENS1_27scan_by_key_config_selectorIssEEZZNS1_16scan_by_key_implILNS1_25lookback_scan_determinismE0ELb0ES3_N6thrust23THRUST_200600_302600_NS6detail15normal_iteratorINS9_10device_ptrIsEEEESE_SE_sNS9_10multipliesIsEENS9_8equal_toIsEEsEE10hipError_tPvRmT2_T3_T4_T5_mT6_T7_P12ihipStream_tbENKUlT_T0_E_clISt17integral_constantIbLb0EESY_IbLb1EEEEDaSU_SV_EUlSU_E_NS1_11comp_targetILNS1_3genE9ELNS1_11target_archE1100ELNS1_3gpuE3ELNS1_3repE0EEENS1_30default_config_static_selectorELNS0_4arch9wavefront6targetE0EEEvT1_.has_indirect_call, 0
	.section	.AMDGPU.csdata,"",@progbits
; Kernel info:
; codeLenInByte = 0
; TotalNumSgprs: 0
; NumVgprs: 0
; ScratchSize: 0
; MemoryBound: 0
; FloatMode: 240
; IeeeMode: 1
; LDSByteSize: 0 bytes/workgroup (compile time only)
; SGPRBlocks: 0
; VGPRBlocks: 0
; NumSGPRsForWavesPerEU: 1
; NumVGPRsForWavesPerEU: 1
; NamedBarCnt: 0
; Occupancy: 16
; WaveLimiterHint : 0
; COMPUTE_PGM_RSRC2:SCRATCH_EN: 0
; COMPUTE_PGM_RSRC2:USER_SGPR: 2
; COMPUTE_PGM_RSRC2:TRAP_HANDLER: 0
; COMPUTE_PGM_RSRC2:TGID_X_EN: 1
; COMPUTE_PGM_RSRC2:TGID_Y_EN: 0
; COMPUTE_PGM_RSRC2:TGID_Z_EN: 0
; COMPUTE_PGM_RSRC2:TIDIG_COMP_CNT: 0
	.section	.text._ZN7rocprim17ROCPRIM_400000_NS6detail17trampoline_kernelINS0_14default_configENS1_27scan_by_key_config_selectorIssEEZZNS1_16scan_by_key_implILNS1_25lookback_scan_determinismE0ELb0ES3_N6thrust23THRUST_200600_302600_NS6detail15normal_iteratorINS9_10device_ptrIsEEEESE_SE_sNS9_10multipliesIsEENS9_8equal_toIsEEsEE10hipError_tPvRmT2_T3_T4_T5_mT6_T7_P12ihipStream_tbENKUlT_T0_E_clISt17integral_constantIbLb0EESY_IbLb1EEEEDaSU_SV_EUlSU_E_NS1_11comp_targetILNS1_3genE8ELNS1_11target_archE1030ELNS1_3gpuE2ELNS1_3repE0EEENS1_30default_config_static_selectorELNS0_4arch9wavefront6targetE0EEEvT1_,"axG",@progbits,_ZN7rocprim17ROCPRIM_400000_NS6detail17trampoline_kernelINS0_14default_configENS1_27scan_by_key_config_selectorIssEEZZNS1_16scan_by_key_implILNS1_25lookback_scan_determinismE0ELb0ES3_N6thrust23THRUST_200600_302600_NS6detail15normal_iteratorINS9_10device_ptrIsEEEESE_SE_sNS9_10multipliesIsEENS9_8equal_toIsEEsEE10hipError_tPvRmT2_T3_T4_T5_mT6_T7_P12ihipStream_tbENKUlT_T0_E_clISt17integral_constantIbLb0EESY_IbLb1EEEEDaSU_SV_EUlSU_E_NS1_11comp_targetILNS1_3genE8ELNS1_11target_archE1030ELNS1_3gpuE2ELNS1_3repE0EEENS1_30default_config_static_selectorELNS0_4arch9wavefront6targetE0EEEvT1_,comdat
	.protected	_ZN7rocprim17ROCPRIM_400000_NS6detail17trampoline_kernelINS0_14default_configENS1_27scan_by_key_config_selectorIssEEZZNS1_16scan_by_key_implILNS1_25lookback_scan_determinismE0ELb0ES3_N6thrust23THRUST_200600_302600_NS6detail15normal_iteratorINS9_10device_ptrIsEEEESE_SE_sNS9_10multipliesIsEENS9_8equal_toIsEEsEE10hipError_tPvRmT2_T3_T4_T5_mT6_T7_P12ihipStream_tbENKUlT_T0_E_clISt17integral_constantIbLb0EESY_IbLb1EEEEDaSU_SV_EUlSU_E_NS1_11comp_targetILNS1_3genE8ELNS1_11target_archE1030ELNS1_3gpuE2ELNS1_3repE0EEENS1_30default_config_static_selectorELNS0_4arch9wavefront6targetE0EEEvT1_ ; -- Begin function _ZN7rocprim17ROCPRIM_400000_NS6detail17trampoline_kernelINS0_14default_configENS1_27scan_by_key_config_selectorIssEEZZNS1_16scan_by_key_implILNS1_25lookback_scan_determinismE0ELb0ES3_N6thrust23THRUST_200600_302600_NS6detail15normal_iteratorINS9_10device_ptrIsEEEESE_SE_sNS9_10multipliesIsEENS9_8equal_toIsEEsEE10hipError_tPvRmT2_T3_T4_T5_mT6_T7_P12ihipStream_tbENKUlT_T0_E_clISt17integral_constantIbLb0EESY_IbLb1EEEEDaSU_SV_EUlSU_E_NS1_11comp_targetILNS1_3genE8ELNS1_11target_archE1030ELNS1_3gpuE2ELNS1_3repE0EEENS1_30default_config_static_selectorELNS0_4arch9wavefront6targetE0EEEvT1_
	.globl	_ZN7rocprim17ROCPRIM_400000_NS6detail17trampoline_kernelINS0_14default_configENS1_27scan_by_key_config_selectorIssEEZZNS1_16scan_by_key_implILNS1_25lookback_scan_determinismE0ELb0ES3_N6thrust23THRUST_200600_302600_NS6detail15normal_iteratorINS9_10device_ptrIsEEEESE_SE_sNS9_10multipliesIsEENS9_8equal_toIsEEsEE10hipError_tPvRmT2_T3_T4_T5_mT6_T7_P12ihipStream_tbENKUlT_T0_E_clISt17integral_constantIbLb0EESY_IbLb1EEEEDaSU_SV_EUlSU_E_NS1_11comp_targetILNS1_3genE8ELNS1_11target_archE1030ELNS1_3gpuE2ELNS1_3repE0EEENS1_30default_config_static_selectorELNS0_4arch9wavefront6targetE0EEEvT1_
	.p2align	8
	.type	_ZN7rocprim17ROCPRIM_400000_NS6detail17trampoline_kernelINS0_14default_configENS1_27scan_by_key_config_selectorIssEEZZNS1_16scan_by_key_implILNS1_25lookback_scan_determinismE0ELb0ES3_N6thrust23THRUST_200600_302600_NS6detail15normal_iteratorINS9_10device_ptrIsEEEESE_SE_sNS9_10multipliesIsEENS9_8equal_toIsEEsEE10hipError_tPvRmT2_T3_T4_T5_mT6_T7_P12ihipStream_tbENKUlT_T0_E_clISt17integral_constantIbLb0EESY_IbLb1EEEEDaSU_SV_EUlSU_E_NS1_11comp_targetILNS1_3genE8ELNS1_11target_archE1030ELNS1_3gpuE2ELNS1_3repE0EEENS1_30default_config_static_selectorELNS0_4arch9wavefront6targetE0EEEvT1_,@function
_ZN7rocprim17ROCPRIM_400000_NS6detail17trampoline_kernelINS0_14default_configENS1_27scan_by_key_config_selectorIssEEZZNS1_16scan_by_key_implILNS1_25lookback_scan_determinismE0ELb0ES3_N6thrust23THRUST_200600_302600_NS6detail15normal_iteratorINS9_10device_ptrIsEEEESE_SE_sNS9_10multipliesIsEENS9_8equal_toIsEEsEE10hipError_tPvRmT2_T3_T4_T5_mT6_T7_P12ihipStream_tbENKUlT_T0_E_clISt17integral_constantIbLb0EESY_IbLb1EEEEDaSU_SV_EUlSU_E_NS1_11comp_targetILNS1_3genE8ELNS1_11target_archE1030ELNS1_3gpuE2ELNS1_3repE0EEENS1_30default_config_static_selectorELNS0_4arch9wavefront6targetE0EEEvT1_: ; @_ZN7rocprim17ROCPRIM_400000_NS6detail17trampoline_kernelINS0_14default_configENS1_27scan_by_key_config_selectorIssEEZZNS1_16scan_by_key_implILNS1_25lookback_scan_determinismE0ELb0ES3_N6thrust23THRUST_200600_302600_NS6detail15normal_iteratorINS9_10device_ptrIsEEEESE_SE_sNS9_10multipliesIsEENS9_8equal_toIsEEsEE10hipError_tPvRmT2_T3_T4_T5_mT6_T7_P12ihipStream_tbENKUlT_T0_E_clISt17integral_constantIbLb0EESY_IbLb1EEEEDaSU_SV_EUlSU_E_NS1_11comp_targetILNS1_3genE8ELNS1_11target_archE1030ELNS1_3gpuE2ELNS1_3repE0EEENS1_30default_config_static_selectorELNS0_4arch9wavefront6targetE0EEEvT1_
; %bb.0:
	.section	.rodata,"a",@progbits
	.p2align	6, 0x0
	.amdhsa_kernel _ZN7rocprim17ROCPRIM_400000_NS6detail17trampoline_kernelINS0_14default_configENS1_27scan_by_key_config_selectorIssEEZZNS1_16scan_by_key_implILNS1_25lookback_scan_determinismE0ELb0ES3_N6thrust23THRUST_200600_302600_NS6detail15normal_iteratorINS9_10device_ptrIsEEEESE_SE_sNS9_10multipliesIsEENS9_8equal_toIsEEsEE10hipError_tPvRmT2_T3_T4_T5_mT6_T7_P12ihipStream_tbENKUlT_T0_E_clISt17integral_constantIbLb0EESY_IbLb1EEEEDaSU_SV_EUlSU_E_NS1_11comp_targetILNS1_3genE8ELNS1_11target_archE1030ELNS1_3gpuE2ELNS1_3repE0EEENS1_30default_config_static_selectorELNS0_4arch9wavefront6targetE0EEEvT1_
		.amdhsa_group_segment_fixed_size 0
		.amdhsa_private_segment_fixed_size 0
		.amdhsa_kernarg_size 112
		.amdhsa_user_sgpr_count 2
		.amdhsa_user_sgpr_dispatch_ptr 0
		.amdhsa_user_sgpr_queue_ptr 0
		.amdhsa_user_sgpr_kernarg_segment_ptr 1
		.amdhsa_user_sgpr_dispatch_id 0
		.amdhsa_user_sgpr_kernarg_preload_length 0
		.amdhsa_user_sgpr_kernarg_preload_offset 0
		.amdhsa_user_sgpr_private_segment_size 0
		.amdhsa_wavefront_size32 1
		.amdhsa_uses_dynamic_stack 0
		.amdhsa_enable_private_segment 0
		.amdhsa_system_sgpr_workgroup_id_x 1
		.amdhsa_system_sgpr_workgroup_id_y 0
		.amdhsa_system_sgpr_workgroup_id_z 0
		.amdhsa_system_sgpr_workgroup_info 0
		.amdhsa_system_vgpr_workitem_id 0
		.amdhsa_next_free_vgpr 1
		.amdhsa_next_free_sgpr 1
		.amdhsa_named_barrier_count 0
		.amdhsa_reserve_vcc 0
		.amdhsa_float_round_mode_32 0
		.amdhsa_float_round_mode_16_64 0
		.amdhsa_float_denorm_mode_32 3
		.amdhsa_float_denorm_mode_16_64 3
		.amdhsa_fp16_overflow 0
		.amdhsa_memory_ordered 1
		.amdhsa_forward_progress 1
		.amdhsa_inst_pref_size 0
		.amdhsa_round_robin_scheduling 0
		.amdhsa_exception_fp_ieee_invalid_op 0
		.amdhsa_exception_fp_denorm_src 0
		.amdhsa_exception_fp_ieee_div_zero 0
		.amdhsa_exception_fp_ieee_overflow 0
		.amdhsa_exception_fp_ieee_underflow 0
		.amdhsa_exception_fp_ieee_inexact 0
		.amdhsa_exception_int_div_zero 0
	.end_amdhsa_kernel
	.section	.text._ZN7rocprim17ROCPRIM_400000_NS6detail17trampoline_kernelINS0_14default_configENS1_27scan_by_key_config_selectorIssEEZZNS1_16scan_by_key_implILNS1_25lookback_scan_determinismE0ELb0ES3_N6thrust23THRUST_200600_302600_NS6detail15normal_iteratorINS9_10device_ptrIsEEEESE_SE_sNS9_10multipliesIsEENS9_8equal_toIsEEsEE10hipError_tPvRmT2_T3_T4_T5_mT6_T7_P12ihipStream_tbENKUlT_T0_E_clISt17integral_constantIbLb0EESY_IbLb1EEEEDaSU_SV_EUlSU_E_NS1_11comp_targetILNS1_3genE8ELNS1_11target_archE1030ELNS1_3gpuE2ELNS1_3repE0EEENS1_30default_config_static_selectorELNS0_4arch9wavefront6targetE0EEEvT1_,"axG",@progbits,_ZN7rocprim17ROCPRIM_400000_NS6detail17trampoline_kernelINS0_14default_configENS1_27scan_by_key_config_selectorIssEEZZNS1_16scan_by_key_implILNS1_25lookback_scan_determinismE0ELb0ES3_N6thrust23THRUST_200600_302600_NS6detail15normal_iteratorINS9_10device_ptrIsEEEESE_SE_sNS9_10multipliesIsEENS9_8equal_toIsEEsEE10hipError_tPvRmT2_T3_T4_T5_mT6_T7_P12ihipStream_tbENKUlT_T0_E_clISt17integral_constantIbLb0EESY_IbLb1EEEEDaSU_SV_EUlSU_E_NS1_11comp_targetILNS1_3genE8ELNS1_11target_archE1030ELNS1_3gpuE2ELNS1_3repE0EEENS1_30default_config_static_selectorELNS0_4arch9wavefront6targetE0EEEvT1_,comdat
.Lfunc_end316:
	.size	_ZN7rocprim17ROCPRIM_400000_NS6detail17trampoline_kernelINS0_14default_configENS1_27scan_by_key_config_selectorIssEEZZNS1_16scan_by_key_implILNS1_25lookback_scan_determinismE0ELb0ES3_N6thrust23THRUST_200600_302600_NS6detail15normal_iteratorINS9_10device_ptrIsEEEESE_SE_sNS9_10multipliesIsEENS9_8equal_toIsEEsEE10hipError_tPvRmT2_T3_T4_T5_mT6_T7_P12ihipStream_tbENKUlT_T0_E_clISt17integral_constantIbLb0EESY_IbLb1EEEEDaSU_SV_EUlSU_E_NS1_11comp_targetILNS1_3genE8ELNS1_11target_archE1030ELNS1_3gpuE2ELNS1_3repE0EEENS1_30default_config_static_selectorELNS0_4arch9wavefront6targetE0EEEvT1_, .Lfunc_end316-_ZN7rocprim17ROCPRIM_400000_NS6detail17trampoline_kernelINS0_14default_configENS1_27scan_by_key_config_selectorIssEEZZNS1_16scan_by_key_implILNS1_25lookback_scan_determinismE0ELb0ES3_N6thrust23THRUST_200600_302600_NS6detail15normal_iteratorINS9_10device_ptrIsEEEESE_SE_sNS9_10multipliesIsEENS9_8equal_toIsEEsEE10hipError_tPvRmT2_T3_T4_T5_mT6_T7_P12ihipStream_tbENKUlT_T0_E_clISt17integral_constantIbLb0EESY_IbLb1EEEEDaSU_SV_EUlSU_E_NS1_11comp_targetILNS1_3genE8ELNS1_11target_archE1030ELNS1_3gpuE2ELNS1_3repE0EEENS1_30default_config_static_selectorELNS0_4arch9wavefront6targetE0EEEvT1_
                                        ; -- End function
	.set _ZN7rocprim17ROCPRIM_400000_NS6detail17trampoline_kernelINS0_14default_configENS1_27scan_by_key_config_selectorIssEEZZNS1_16scan_by_key_implILNS1_25lookback_scan_determinismE0ELb0ES3_N6thrust23THRUST_200600_302600_NS6detail15normal_iteratorINS9_10device_ptrIsEEEESE_SE_sNS9_10multipliesIsEENS9_8equal_toIsEEsEE10hipError_tPvRmT2_T3_T4_T5_mT6_T7_P12ihipStream_tbENKUlT_T0_E_clISt17integral_constantIbLb0EESY_IbLb1EEEEDaSU_SV_EUlSU_E_NS1_11comp_targetILNS1_3genE8ELNS1_11target_archE1030ELNS1_3gpuE2ELNS1_3repE0EEENS1_30default_config_static_selectorELNS0_4arch9wavefront6targetE0EEEvT1_.num_vgpr, 0
	.set _ZN7rocprim17ROCPRIM_400000_NS6detail17trampoline_kernelINS0_14default_configENS1_27scan_by_key_config_selectorIssEEZZNS1_16scan_by_key_implILNS1_25lookback_scan_determinismE0ELb0ES3_N6thrust23THRUST_200600_302600_NS6detail15normal_iteratorINS9_10device_ptrIsEEEESE_SE_sNS9_10multipliesIsEENS9_8equal_toIsEEsEE10hipError_tPvRmT2_T3_T4_T5_mT6_T7_P12ihipStream_tbENKUlT_T0_E_clISt17integral_constantIbLb0EESY_IbLb1EEEEDaSU_SV_EUlSU_E_NS1_11comp_targetILNS1_3genE8ELNS1_11target_archE1030ELNS1_3gpuE2ELNS1_3repE0EEENS1_30default_config_static_selectorELNS0_4arch9wavefront6targetE0EEEvT1_.num_agpr, 0
	.set _ZN7rocprim17ROCPRIM_400000_NS6detail17trampoline_kernelINS0_14default_configENS1_27scan_by_key_config_selectorIssEEZZNS1_16scan_by_key_implILNS1_25lookback_scan_determinismE0ELb0ES3_N6thrust23THRUST_200600_302600_NS6detail15normal_iteratorINS9_10device_ptrIsEEEESE_SE_sNS9_10multipliesIsEENS9_8equal_toIsEEsEE10hipError_tPvRmT2_T3_T4_T5_mT6_T7_P12ihipStream_tbENKUlT_T0_E_clISt17integral_constantIbLb0EESY_IbLb1EEEEDaSU_SV_EUlSU_E_NS1_11comp_targetILNS1_3genE8ELNS1_11target_archE1030ELNS1_3gpuE2ELNS1_3repE0EEENS1_30default_config_static_selectorELNS0_4arch9wavefront6targetE0EEEvT1_.numbered_sgpr, 0
	.set _ZN7rocprim17ROCPRIM_400000_NS6detail17trampoline_kernelINS0_14default_configENS1_27scan_by_key_config_selectorIssEEZZNS1_16scan_by_key_implILNS1_25lookback_scan_determinismE0ELb0ES3_N6thrust23THRUST_200600_302600_NS6detail15normal_iteratorINS9_10device_ptrIsEEEESE_SE_sNS9_10multipliesIsEENS9_8equal_toIsEEsEE10hipError_tPvRmT2_T3_T4_T5_mT6_T7_P12ihipStream_tbENKUlT_T0_E_clISt17integral_constantIbLb0EESY_IbLb1EEEEDaSU_SV_EUlSU_E_NS1_11comp_targetILNS1_3genE8ELNS1_11target_archE1030ELNS1_3gpuE2ELNS1_3repE0EEENS1_30default_config_static_selectorELNS0_4arch9wavefront6targetE0EEEvT1_.num_named_barrier, 0
	.set _ZN7rocprim17ROCPRIM_400000_NS6detail17trampoline_kernelINS0_14default_configENS1_27scan_by_key_config_selectorIssEEZZNS1_16scan_by_key_implILNS1_25lookback_scan_determinismE0ELb0ES3_N6thrust23THRUST_200600_302600_NS6detail15normal_iteratorINS9_10device_ptrIsEEEESE_SE_sNS9_10multipliesIsEENS9_8equal_toIsEEsEE10hipError_tPvRmT2_T3_T4_T5_mT6_T7_P12ihipStream_tbENKUlT_T0_E_clISt17integral_constantIbLb0EESY_IbLb1EEEEDaSU_SV_EUlSU_E_NS1_11comp_targetILNS1_3genE8ELNS1_11target_archE1030ELNS1_3gpuE2ELNS1_3repE0EEENS1_30default_config_static_selectorELNS0_4arch9wavefront6targetE0EEEvT1_.private_seg_size, 0
	.set _ZN7rocprim17ROCPRIM_400000_NS6detail17trampoline_kernelINS0_14default_configENS1_27scan_by_key_config_selectorIssEEZZNS1_16scan_by_key_implILNS1_25lookback_scan_determinismE0ELb0ES3_N6thrust23THRUST_200600_302600_NS6detail15normal_iteratorINS9_10device_ptrIsEEEESE_SE_sNS9_10multipliesIsEENS9_8equal_toIsEEsEE10hipError_tPvRmT2_T3_T4_T5_mT6_T7_P12ihipStream_tbENKUlT_T0_E_clISt17integral_constantIbLb0EESY_IbLb1EEEEDaSU_SV_EUlSU_E_NS1_11comp_targetILNS1_3genE8ELNS1_11target_archE1030ELNS1_3gpuE2ELNS1_3repE0EEENS1_30default_config_static_selectorELNS0_4arch9wavefront6targetE0EEEvT1_.uses_vcc, 0
	.set _ZN7rocprim17ROCPRIM_400000_NS6detail17trampoline_kernelINS0_14default_configENS1_27scan_by_key_config_selectorIssEEZZNS1_16scan_by_key_implILNS1_25lookback_scan_determinismE0ELb0ES3_N6thrust23THRUST_200600_302600_NS6detail15normal_iteratorINS9_10device_ptrIsEEEESE_SE_sNS9_10multipliesIsEENS9_8equal_toIsEEsEE10hipError_tPvRmT2_T3_T4_T5_mT6_T7_P12ihipStream_tbENKUlT_T0_E_clISt17integral_constantIbLb0EESY_IbLb1EEEEDaSU_SV_EUlSU_E_NS1_11comp_targetILNS1_3genE8ELNS1_11target_archE1030ELNS1_3gpuE2ELNS1_3repE0EEENS1_30default_config_static_selectorELNS0_4arch9wavefront6targetE0EEEvT1_.uses_flat_scratch, 0
	.set _ZN7rocprim17ROCPRIM_400000_NS6detail17trampoline_kernelINS0_14default_configENS1_27scan_by_key_config_selectorIssEEZZNS1_16scan_by_key_implILNS1_25lookback_scan_determinismE0ELb0ES3_N6thrust23THRUST_200600_302600_NS6detail15normal_iteratorINS9_10device_ptrIsEEEESE_SE_sNS9_10multipliesIsEENS9_8equal_toIsEEsEE10hipError_tPvRmT2_T3_T4_T5_mT6_T7_P12ihipStream_tbENKUlT_T0_E_clISt17integral_constantIbLb0EESY_IbLb1EEEEDaSU_SV_EUlSU_E_NS1_11comp_targetILNS1_3genE8ELNS1_11target_archE1030ELNS1_3gpuE2ELNS1_3repE0EEENS1_30default_config_static_selectorELNS0_4arch9wavefront6targetE0EEEvT1_.has_dyn_sized_stack, 0
	.set _ZN7rocprim17ROCPRIM_400000_NS6detail17trampoline_kernelINS0_14default_configENS1_27scan_by_key_config_selectorIssEEZZNS1_16scan_by_key_implILNS1_25lookback_scan_determinismE0ELb0ES3_N6thrust23THRUST_200600_302600_NS6detail15normal_iteratorINS9_10device_ptrIsEEEESE_SE_sNS9_10multipliesIsEENS9_8equal_toIsEEsEE10hipError_tPvRmT2_T3_T4_T5_mT6_T7_P12ihipStream_tbENKUlT_T0_E_clISt17integral_constantIbLb0EESY_IbLb1EEEEDaSU_SV_EUlSU_E_NS1_11comp_targetILNS1_3genE8ELNS1_11target_archE1030ELNS1_3gpuE2ELNS1_3repE0EEENS1_30default_config_static_selectorELNS0_4arch9wavefront6targetE0EEEvT1_.has_recursion, 0
	.set _ZN7rocprim17ROCPRIM_400000_NS6detail17trampoline_kernelINS0_14default_configENS1_27scan_by_key_config_selectorIssEEZZNS1_16scan_by_key_implILNS1_25lookback_scan_determinismE0ELb0ES3_N6thrust23THRUST_200600_302600_NS6detail15normal_iteratorINS9_10device_ptrIsEEEESE_SE_sNS9_10multipliesIsEENS9_8equal_toIsEEsEE10hipError_tPvRmT2_T3_T4_T5_mT6_T7_P12ihipStream_tbENKUlT_T0_E_clISt17integral_constantIbLb0EESY_IbLb1EEEEDaSU_SV_EUlSU_E_NS1_11comp_targetILNS1_3genE8ELNS1_11target_archE1030ELNS1_3gpuE2ELNS1_3repE0EEENS1_30default_config_static_selectorELNS0_4arch9wavefront6targetE0EEEvT1_.has_indirect_call, 0
	.section	.AMDGPU.csdata,"",@progbits
; Kernel info:
; codeLenInByte = 0
; TotalNumSgprs: 0
; NumVgprs: 0
; ScratchSize: 0
; MemoryBound: 0
; FloatMode: 240
; IeeeMode: 1
; LDSByteSize: 0 bytes/workgroup (compile time only)
; SGPRBlocks: 0
; VGPRBlocks: 0
; NumSGPRsForWavesPerEU: 1
; NumVGPRsForWavesPerEU: 1
; NamedBarCnt: 0
; Occupancy: 16
; WaveLimiterHint : 0
; COMPUTE_PGM_RSRC2:SCRATCH_EN: 0
; COMPUTE_PGM_RSRC2:USER_SGPR: 2
; COMPUTE_PGM_RSRC2:TRAP_HANDLER: 0
; COMPUTE_PGM_RSRC2:TGID_X_EN: 1
; COMPUTE_PGM_RSRC2:TGID_Y_EN: 0
; COMPUTE_PGM_RSRC2:TGID_Z_EN: 0
; COMPUTE_PGM_RSRC2:TIDIG_COMP_CNT: 0
	.section	.text._ZN7rocprim17ROCPRIM_400000_NS6detail17trampoline_kernelINS0_14default_configENS1_27scan_by_key_config_selectorIssEEZZNS1_16scan_by_key_implILNS1_25lookback_scan_determinismE0ELb0ES3_N6thrust23THRUST_200600_302600_NS6detail15normal_iteratorINS9_10device_ptrIsEEEESE_SE_sNS9_4plusIvEENS9_8equal_toIsEEsEE10hipError_tPvRmT2_T3_T4_T5_mT6_T7_P12ihipStream_tbENKUlT_T0_E_clISt17integral_constantIbLb0EESZ_EEDaSU_SV_EUlSU_E_NS1_11comp_targetILNS1_3genE0ELNS1_11target_archE4294967295ELNS1_3gpuE0ELNS1_3repE0EEENS1_30default_config_static_selectorELNS0_4arch9wavefront6targetE0EEEvT1_,"axG",@progbits,_ZN7rocprim17ROCPRIM_400000_NS6detail17trampoline_kernelINS0_14default_configENS1_27scan_by_key_config_selectorIssEEZZNS1_16scan_by_key_implILNS1_25lookback_scan_determinismE0ELb0ES3_N6thrust23THRUST_200600_302600_NS6detail15normal_iteratorINS9_10device_ptrIsEEEESE_SE_sNS9_4plusIvEENS9_8equal_toIsEEsEE10hipError_tPvRmT2_T3_T4_T5_mT6_T7_P12ihipStream_tbENKUlT_T0_E_clISt17integral_constantIbLb0EESZ_EEDaSU_SV_EUlSU_E_NS1_11comp_targetILNS1_3genE0ELNS1_11target_archE4294967295ELNS1_3gpuE0ELNS1_3repE0EEENS1_30default_config_static_selectorELNS0_4arch9wavefront6targetE0EEEvT1_,comdat
	.protected	_ZN7rocprim17ROCPRIM_400000_NS6detail17trampoline_kernelINS0_14default_configENS1_27scan_by_key_config_selectorIssEEZZNS1_16scan_by_key_implILNS1_25lookback_scan_determinismE0ELb0ES3_N6thrust23THRUST_200600_302600_NS6detail15normal_iteratorINS9_10device_ptrIsEEEESE_SE_sNS9_4plusIvEENS9_8equal_toIsEEsEE10hipError_tPvRmT2_T3_T4_T5_mT6_T7_P12ihipStream_tbENKUlT_T0_E_clISt17integral_constantIbLb0EESZ_EEDaSU_SV_EUlSU_E_NS1_11comp_targetILNS1_3genE0ELNS1_11target_archE4294967295ELNS1_3gpuE0ELNS1_3repE0EEENS1_30default_config_static_selectorELNS0_4arch9wavefront6targetE0EEEvT1_ ; -- Begin function _ZN7rocprim17ROCPRIM_400000_NS6detail17trampoline_kernelINS0_14default_configENS1_27scan_by_key_config_selectorIssEEZZNS1_16scan_by_key_implILNS1_25lookback_scan_determinismE0ELb0ES3_N6thrust23THRUST_200600_302600_NS6detail15normal_iteratorINS9_10device_ptrIsEEEESE_SE_sNS9_4plusIvEENS9_8equal_toIsEEsEE10hipError_tPvRmT2_T3_T4_T5_mT6_T7_P12ihipStream_tbENKUlT_T0_E_clISt17integral_constantIbLb0EESZ_EEDaSU_SV_EUlSU_E_NS1_11comp_targetILNS1_3genE0ELNS1_11target_archE4294967295ELNS1_3gpuE0ELNS1_3repE0EEENS1_30default_config_static_selectorELNS0_4arch9wavefront6targetE0EEEvT1_
	.globl	_ZN7rocprim17ROCPRIM_400000_NS6detail17trampoline_kernelINS0_14default_configENS1_27scan_by_key_config_selectorIssEEZZNS1_16scan_by_key_implILNS1_25lookback_scan_determinismE0ELb0ES3_N6thrust23THRUST_200600_302600_NS6detail15normal_iteratorINS9_10device_ptrIsEEEESE_SE_sNS9_4plusIvEENS9_8equal_toIsEEsEE10hipError_tPvRmT2_T3_T4_T5_mT6_T7_P12ihipStream_tbENKUlT_T0_E_clISt17integral_constantIbLb0EESZ_EEDaSU_SV_EUlSU_E_NS1_11comp_targetILNS1_3genE0ELNS1_11target_archE4294967295ELNS1_3gpuE0ELNS1_3repE0EEENS1_30default_config_static_selectorELNS0_4arch9wavefront6targetE0EEEvT1_
	.p2align	8
	.type	_ZN7rocprim17ROCPRIM_400000_NS6detail17trampoline_kernelINS0_14default_configENS1_27scan_by_key_config_selectorIssEEZZNS1_16scan_by_key_implILNS1_25lookback_scan_determinismE0ELb0ES3_N6thrust23THRUST_200600_302600_NS6detail15normal_iteratorINS9_10device_ptrIsEEEESE_SE_sNS9_4plusIvEENS9_8equal_toIsEEsEE10hipError_tPvRmT2_T3_T4_T5_mT6_T7_P12ihipStream_tbENKUlT_T0_E_clISt17integral_constantIbLb0EESZ_EEDaSU_SV_EUlSU_E_NS1_11comp_targetILNS1_3genE0ELNS1_11target_archE4294967295ELNS1_3gpuE0ELNS1_3repE0EEENS1_30default_config_static_selectorELNS0_4arch9wavefront6targetE0EEEvT1_,@function
_ZN7rocprim17ROCPRIM_400000_NS6detail17trampoline_kernelINS0_14default_configENS1_27scan_by_key_config_selectorIssEEZZNS1_16scan_by_key_implILNS1_25lookback_scan_determinismE0ELb0ES3_N6thrust23THRUST_200600_302600_NS6detail15normal_iteratorINS9_10device_ptrIsEEEESE_SE_sNS9_4plusIvEENS9_8equal_toIsEEsEE10hipError_tPvRmT2_T3_T4_T5_mT6_T7_P12ihipStream_tbENKUlT_T0_E_clISt17integral_constantIbLb0EESZ_EEDaSU_SV_EUlSU_E_NS1_11comp_targetILNS1_3genE0ELNS1_11target_archE4294967295ELNS1_3gpuE0ELNS1_3repE0EEENS1_30default_config_static_selectorELNS0_4arch9wavefront6targetE0EEEvT1_: ; @_ZN7rocprim17ROCPRIM_400000_NS6detail17trampoline_kernelINS0_14default_configENS1_27scan_by_key_config_selectorIssEEZZNS1_16scan_by_key_implILNS1_25lookback_scan_determinismE0ELb0ES3_N6thrust23THRUST_200600_302600_NS6detail15normal_iteratorINS9_10device_ptrIsEEEESE_SE_sNS9_4plusIvEENS9_8equal_toIsEEsEE10hipError_tPvRmT2_T3_T4_T5_mT6_T7_P12ihipStream_tbENKUlT_T0_E_clISt17integral_constantIbLb0EESZ_EEDaSU_SV_EUlSU_E_NS1_11comp_targetILNS1_3genE0ELNS1_11target_archE4294967295ELNS1_3gpuE0ELNS1_3repE0EEENS1_30default_config_static_selectorELNS0_4arch9wavefront6targetE0EEEvT1_
; %bb.0:
	s_clause 0x3
	s_load_b256 s[16:23], s[0:1], 0x0
	s_load_b256 s[24:31], s[0:1], 0x48
	s_load_b96 s[40:42], s[0:1], 0x38
	s_load_b128 s[36:39], s[0:1], 0x28
	s_getreg_b32 s4, hwreg(HW_REG_IB_STS2, 6, 4)
	s_wait_xcnt 0x0
	s_mov_b32 s1, 0
	s_barrier_signal -1
	s_barrier_wait -1
	s_wait_kmcnt 0x0
	s_lshl_b64 s[34:35], s[18:19], 1
	s_cmp_lg_u64 s[28:29], 0
	s_mov_b32 s0, s42
	s_cselect_b32 s39, -1, 0
	s_bfe_u32 s2, ttmp6, 0x4000c
	s_and_b32 s5, ttmp6, 15
	s_add_co_i32 s2, s2, 1
	s_mov_b32 s29, s1
	s_mul_i32 s6, ttmp9, s2
	s_add_nc_u64 s[2:3], s[16:17], s[34:35]
	s_add_co_i32 s6, s5, s6
	s_cmp_eq_u32 s4, 0
	s_mul_u64 s[4:5], s[40:41], s[0:1]
	s_cselect_b32 s28, ttmp9, s6
	s_add_nc_u64 s[6:7], s[20:21], s[34:35]
	s_add_nc_u64 s[44:45], s[4:5], s[28:29]
	s_add_nc_u64 s[4:5], s[24:25], -1
	s_mul_i32 s0, s28, 0x1400
	v_cmp_ge_u64_e64 s29, s[44:45], s[4:5]
	s_lshl_b64 s[24:25], s[0:1], 1
	s_mul_i32 s33, s4, 0xffffec00
	s_add_nc_u64 s[42:43], s[2:3], s[24:25]
	s_add_nc_u64 s[20:21], s[6:7], s[24:25]
	s_and_b32 vcc_lo, exec_lo, s29
	s_cbranch_vccz .LBB317_44
; %bb.1:
	v_mov_b32_e32 v1, 0
	s_add_co_i32 s48, s33, s38
	s_delay_alu instid0(SALU_CYCLE_1)
	v_cmp_gt_u32_e64 s0, s48, v0
	flat_load_u16 v2, v1, s[42:43]
	s_wait_loadcnt_dscnt 0x0
	v_mov_b32_e32 v3, v2
	s_and_saveexec_b32 s1, s0
	s_cbranch_execz .LBB317_3
; %bb.2:
	flat_load_u16 v3, v0, s[42:43] scale_offset
.LBB317_3:
	s_wait_xcnt 0x0
	s_or_b32 exec_lo, exec_lo, s1
	v_or_b32_e32 v1, 0x100, v0
	v_mov_b32_e32 v4, v2
	s_delay_alu instid0(VALU_DEP_2)
	v_cmp_gt_u32_e64 s1, s48, v1
	s_and_saveexec_b32 s2, s1
	s_cbranch_execz .LBB317_5
; %bb.4:
	flat_load_u16 v4, v0, s[42:43] offset:512 scale_offset
.LBB317_5:
	s_wait_xcnt 0x0
	s_or_b32 exec_lo, exec_lo, s2
	v_or_b32_e32 v1, 0x200, v0
	v_mov_b32_e32 v5, v2
	s_delay_alu instid0(VALU_DEP_2)
	v_cmp_gt_u32_e64 s2, s48, v1
	s_and_saveexec_b32 s3, s2
	s_cbranch_execz .LBB317_7
; %bb.6:
	flat_load_u16 v5, v0, s[42:43] offset:1024 scale_offset
.LBB317_7:
	;; [unrolled: 11-line block ×18, first 2 shown]
	s_wait_xcnt 0x0
	s_or_b32 exec_lo, exec_lo, s19
	v_or_b32_e32 v1, 0x1300, v0
	s_mov_b32 s46, exec_lo
	s_delay_alu instid0(VALU_DEP_1) | instskip(SKIP_2) | instid1(SALU_CYCLE_1)
	v_cmp_gt_u32_e64 s19, s48, v1
	v_cmpx_le_u32_e64 s48, v1
	s_xor_b32 s46, exec_lo, s46
	s_and_not1_saveexec_b32 s46, s46
	s_cbranch_execz .LBB317_41
; %bb.40:
	flat_load_u16 v2, v0, s[42:43] offset:9728 scale_offset
.LBB317_41:
	s_wait_xcnt 0x0
	s_or_b32 exec_lo, exec_lo, s46
	v_lshlrev_b32_e32 v1, 1, v0
	s_cmp_eq_u64 s[44:45], 0
	s_mov_b64 s[46:47], s[42:43]
	s_wait_loadcnt_dscnt 0x0
	ds_store_b16 v1, v3
	ds_store_b16 v1, v4 offset:512
	ds_store_b16 v1, v5 offset:1024
	;; [unrolled: 1-line block ×19, first 2 shown]
	v_mad_u32_u24 v47, v0, 38, v1
	s_wait_dscnt 0x0
	s_barrier_signal -1
	s_barrier_wait -1
	ds_load_2addr_b64 v[10:13], v47 offset1:1
	ds_load_2addr_b64 v[6:9], v47 offset0:2 offset1:3
	ds_load_b64 v[14:15], v47 offset:32
	s_cbranch_scc1 .LBB317_47
; %bb.42:
	s_and_not1_b32 vcc_lo, exec_lo, s39
	s_cbranch_vccnz .LBB317_45
; %bb.43:
	s_lshl_b64 s[46:47], s[44:45], 1
	s_mov_b32 s49, 0
	s_add_nc_u64 s[46:47], s[30:31], s[46:47]
	s_delay_alu instid0(SALU_CYCLE_1)
	s_add_nc_u64 s[46:47], s[46:47], -2
	s_branch .LBB317_46
.LBB317_44:
                                        ; implicit-def: $sgpr3
                                        ; implicit-def: $vgpr41
                                        ; implicit-def: $vgpr30
                                        ; implicit-def: $vgpr2
                                        ; implicit-def: $vgpr43
                                        ; implicit-def: $vgpr53
                                        ; implicit-def: $vgpr50
                                        ; implicit-def: $vgpr51
                                        ; implicit-def: $vgpr48
                                        ; implicit-def: $vgpr46
                                        ; implicit-def: $vgpr45
                                        ; implicit-def: $vgpr44
                                        ; implicit-def: $vgpr42
                                        ; implicit-def: $vgpr40
                                        ; implicit-def: $vgpr39
                                        ; implicit-def: $vgpr38
                                        ; implicit-def: $vgpr37
                                        ; implicit-def: $vgpr36
                                        ; implicit-def: $vgpr34
                                        ; implicit-def: $vgpr35
                                        ; implicit-def: $vgpr33
                                        ; implicit-def: $vgpr32
                                        ; implicit-def: $vgpr31
                                        ; implicit-def: $vgpr29
                                        ; implicit-def: $vgpr28
                                        ; implicit-def: $vgpr27
                                        ; implicit-def: $vgpr26
                                        ; implicit-def: $vgpr25
                                        ; implicit-def: $vgpr24
                                        ; implicit-def: $vgpr23
                                        ; implicit-def: $vgpr22
                                        ; implicit-def: $vgpr21
                                        ; implicit-def: $vgpr20
                                        ; implicit-def: $vgpr19
                                        ; implicit-def: $vgpr18
                                        ; implicit-def: $vgpr17
                                        ; implicit-def: $vgpr16
                                        ; implicit-def: $vgpr1
	v_lshlrev_b32_e32 v10, 1, v0
	s_cbranch_execnz .LBB317_109
	s_branch .LBB317_136
.LBB317_45:
	s_add_nc_u64 s[46:47], s[42:43], -2
	s_mov_b32 s49, -1
.LBB317_46:
	s_delay_alu instid0(SALU_CYCLE_1)
	s_and_not1_b32 vcc_lo, exec_lo, s49
.LBB317_47:
	s_wait_dscnt 0x0
	v_dual_mov_b32 v2, 0 :: v_dual_lshrrev_b32 v49, 16, v15
	flat_load_u16 v3, v2, s[46:47]
	s_wait_xcnt 0x0
	v_mad_i32_i24 v2, 0xffffffda, v0, v47
	s_mov_b32 s46, exec_lo
	ds_store_b16 v2, v49 offset:10240
	s_wait_loadcnt_dscnt 0x0
	s_barrier_signal -1
	s_barrier_wait -1
	v_cmpx_ne_u32_e32 0, v0
; %bb.48:
	v_mul_i32_i24_e32 v2, 0xffffffda, v0
	s_delay_alu instid0(VALU_DEP_1)
	v_add_nc_u32_e32 v2, v47, v2
	ds_load_u16 v3, v2 offset:10238
; %bb.49:
	s_or_b32 exec_lo, exec_lo, s46
	s_wait_dscnt 0x0
	s_barrier_signal -1
	s_barrier_wait -1
                                        ; implicit-def: $vgpr2
	s_and_saveexec_b32 s46, s0
	s_cbranch_execnz .LBB317_112
; %bb.50:
	s_or_b32 exec_lo, exec_lo, s46
                                        ; implicit-def: $vgpr4
	s_and_saveexec_b32 s0, s1
	s_cbranch_execnz .LBB317_113
.LBB317_51:
	s_or_b32 exec_lo, exec_lo, s0
                                        ; implicit-def: $vgpr5
	s_and_saveexec_b32 s0, s2
	s_cbranch_execnz .LBB317_114
.LBB317_52:
	s_or_b32 exec_lo, exec_lo, s0
                                        ; implicit-def: $vgpr16
	s_and_saveexec_b32 s0, s3
	s_cbranch_execnz .LBB317_115
.LBB317_53:
	s_or_b32 exec_lo, exec_lo, s0
                                        ; implicit-def: $vgpr17
	s_and_saveexec_b32 s0, s4
	s_cbranch_execnz .LBB317_116
.LBB317_54:
	s_or_b32 exec_lo, exec_lo, s0
                                        ; implicit-def: $vgpr18
	s_and_saveexec_b32 s0, s5
	s_cbranch_execnz .LBB317_117
.LBB317_55:
	s_or_b32 exec_lo, exec_lo, s0
                                        ; implicit-def: $vgpr19
	s_and_saveexec_b32 s0, s6
	s_cbranch_execnz .LBB317_118
.LBB317_56:
	s_or_b32 exec_lo, exec_lo, s0
                                        ; implicit-def: $vgpr20
	s_and_saveexec_b32 s0, s7
	s_cbranch_execnz .LBB317_119
.LBB317_57:
	s_or_b32 exec_lo, exec_lo, s0
                                        ; implicit-def: $vgpr21
	s_and_saveexec_b32 s0, s8
	s_cbranch_execnz .LBB317_120
.LBB317_58:
	s_or_b32 exec_lo, exec_lo, s0
                                        ; implicit-def: $vgpr22
	s_and_saveexec_b32 s0, s9
	s_cbranch_execnz .LBB317_121
.LBB317_59:
	s_or_b32 exec_lo, exec_lo, s0
                                        ; implicit-def: $vgpr23
	s_and_saveexec_b32 s0, s10
	s_cbranch_execnz .LBB317_122
.LBB317_60:
	s_or_b32 exec_lo, exec_lo, s0
                                        ; implicit-def: $vgpr24
	s_and_saveexec_b32 s0, s11
	s_cbranch_execnz .LBB317_123
.LBB317_61:
	s_or_b32 exec_lo, exec_lo, s0
                                        ; implicit-def: $vgpr25
	s_and_saveexec_b32 s0, s12
	s_cbranch_execnz .LBB317_124
.LBB317_62:
	s_or_b32 exec_lo, exec_lo, s0
                                        ; implicit-def: $vgpr26
	s_and_saveexec_b32 s0, s13
	s_cbranch_execnz .LBB317_125
.LBB317_63:
	s_or_b32 exec_lo, exec_lo, s0
                                        ; implicit-def: $vgpr27
	s_and_saveexec_b32 s0, s14
	s_cbranch_execnz .LBB317_126
.LBB317_64:
	s_or_b32 exec_lo, exec_lo, s0
                                        ; implicit-def: $vgpr28
	s_and_saveexec_b32 s0, s15
	s_cbranch_execnz .LBB317_127
.LBB317_65:
	s_or_b32 exec_lo, exec_lo, s0
                                        ; implicit-def: $vgpr29
	s_and_saveexec_b32 s0, s16
	s_cbranch_execnz .LBB317_128
.LBB317_66:
	s_or_b32 exec_lo, exec_lo, s0
                                        ; implicit-def: $vgpr30
	s_and_saveexec_b32 s0, s17
	s_cbranch_execnz .LBB317_129
.LBB317_67:
	s_or_b32 exec_lo, exec_lo, s0
                                        ; implicit-def: $vgpr31
	s_and_saveexec_b32 s0, s18
	s_cbranch_execnz .LBB317_130
.LBB317_68:
	s_or_b32 exec_lo, exec_lo, s0
                                        ; implicit-def: $vgpr32
	s_and_saveexec_b32 s0, s19
	s_cbranch_execz .LBB317_70
.LBB317_69:
	flat_load_u16 v32, v0, s[20:21] offset:9728 scale_offset
.LBB317_70:
	s_wait_xcnt 0x0
	s_or_b32 exec_lo, exec_lo, s0
	v_mul_u32_u24_e32 v52, 20, v0
	s_wait_loadcnt_dscnt 0x0
	ds_store_b16 v1, v2
	ds_store_b16 v1, v4 offset:512
	ds_store_b16 v1, v5 offset:1024
	;; [unrolled: 1-line block ×19, first 2 shown]
	v_dual_mov_b32 v30, 0 :: v_dual_mov_b32 v2, 0
	v_dual_mov_b32 v43, 0 :: v_dual_mov_b32 v53, 0
	v_cmp_gt_u32_e32 vcc_lo, s48, v52
	v_dual_mov_b32 v50, 0 :: v_dual_mov_b32 v51, 0
	v_dual_mov_b32 v48, 0 :: v_dual_mov_b32 v46, 0
	;; [unrolled: 1-line block ×16, first 2 shown]
	s_mov_b32 s0, 0
	s_mov_b32 s1, 0
	s_wait_dscnt 0x0
	s_barrier_signal -1
	s_barrier_wait -1
                                        ; implicit-def: $sgpr3
                                        ; implicit-def: $vgpr41
	s_and_saveexec_b32 s2, vcc_lo
	s_cbranch_execz .LBB317_108
; %bb.71:
	ds_load_u16 v30, v47
	v_dual_mov_b32 v2, 0 :: v_dual_bitop2_b32 v1, 1, v52 bitop3:0x54
	v_cmp_eq_u16_e32 vcc_lo, v3, v10
	v_dual_mov_b32 v43, 0 :: v_dual_mov_b32 v53, 0
	v_dual_mov_b32 v50, 0 :: v_dual_mov_b32 v51, 0
	v_cndmask_b32_e64 v33, 0x10000, 0, vcc_lo
	v_cmp_gt_u32_e32 vcc_lo, s48, v1
	v_dual_mov_b32 v48, 0 :: v_dual_mov_b32 v46, 0
	v_dual_mov_b32 v45, 0 :: v_dual_mov_b32 v44, 0
	;; [unrolled: 1-line block ×14, first 2 shown]
	v_mov_b32_e32 v1, 0
	s_mov_b32 s4, 0
                                        ; implicit-def: $sgpr3
                                        ; implicit-def: $vgpr41
	s_and_saveexec_b32 s1, vcc_lo
	s_cbranch_execz .LBB317_107
; %bb.72:
	ds_load_b128 v[2:5], v47 offset:2
	v_dual_lshrrev_b32 v54, 16, v10 :: v_dual_bitop2_b32 v1, 2, v52 bitop3:0x54
	v_dual_mov_b32 v43, 0 :: v_dual_mov_b32 v53, 0
	v_dual_mov_b32 v50, 0 :: v_dual_mov_b32 v51, 0
	s_delay_alu instid0(VALU_DEP_3)
	v_cmp_eq_u16_e32 vcc_lo, v10, v54
	v_dual_mov_b32 v48, 0 :: v_dual_mov_b32 v46, 0
	v_dual_mov_b32 v45, 0 :: v_dual_mov_b32 v44, 0
	v_cndmask_b32_e64 v32, 0x10000, 0, vcc_lo
	v_cmp_gt_u32_e32 vcc_lo, s48, v1
	v_dual_mov_b32 v42, 0 :: v_dual_mov_b32 v40, 0
	v_dual_mov_b32 v39, 0 :: v_dual_mov_b32 v38, 0
	;; [unrolled: 1-line block ×12, first 2 shown]
	s_mov_b32 s5, 0
                                        ; implicit-def: $sgpr3
                                        ; implicit-def: $vgpr41
	s_and_saveexec_b32 s4, vcc_lo
	s_cbranch_execz .LBB317_106
; %bb.73:
	s_wait_dscnt 0x0
	v_dual_lshrrev_b32 v31, 16, v2 :: v_dual_bitop2_b32 v1, 3, v52 bitop3:0x54
	v_cmp_eq_u16_e32 vcc_lo, v54, v11
	v_dual_mov_b32 v53, 0 :: v_dual_mov_b32 v50, 0
	v_dual_mov_b32 v51, 0 :: v_dual_mov_b32 v48, 0
	v_cndmask_b32_e64 v43, 0x10000, 0, vcc_lo
	v_cmp_gt_u32_e32 vcc_lo, s48, v1
	v_dual_mov_b32 v46, 0 :: v_dual_mov_b32 v45, 0
	v_dual_mov_b32 v44, 0 :: v_dual_mov_b32 v42, 0
	;; [unrolled: 1-line block ×13, first 2 shown]
	s_mov_b32 s6, 0
                                        ; implicit-def: $sgpr3
                                        ; implicit-def: $vgpr41
	s_and_saveexec_b32 s5, vcc_lo
	s_cbranch_execz .LBB317_105
; %bb.74:
	v_dual_lshrrev_b32 v10, 16, v11 :: v_dual_add_nc_u32 v1, 4, v52
	v_dual_mov_b32 v50, 0 :: v_dual_mov_b32 v51, 0
	v_dual_mov_b32 v48, 0 :: v_dual_mov_b32 v46, 0
	s_delay_alu instid0(VALU_DEP_3)
	v_cmp_eq_u16_e32 vcc_lo, v11, v10
	v_dual_mov_b32 v45, 0 :: v_dual_mov_b32 v44, 0
	v_dual_mov_b32 v42, 0 :: v_dual_mov_b32 v40, 0
	v_cndmask_b32_e64 v29, 0x10000, 0, vcc_lo
	v_cmp_gt_u32_e32 vcc_lo, s48, v1
	v_dual_mov_b32 v39, 0 :: v_dual_mov_b32 v38, 0
	v_dual_mov_b32 v37, 0 :: v_dual_mov_b32 v36, 0
	;; [unrolled: 1-line block ×10, first 2 shown]
	s_mov_b32 s7, 0
                                        ; implicit-def: $sgpr3
                                        ; implicit-def: $vgpr41
	s_and_saveexec_b32 s6, vcc_lo
	s_cbranch_execz .LBB317_104
; %bb.75:
	v_dual_add_nc_u32 v1, 5, v52 :: v_dual_lshrrev_b32 v28, 16, v3
	v_cmp_eq_u16_e32 vcc_lo, v10, v12
	v_dual_mov_b32 v51, 0 :: v_dual_mov_b32 v48, 0
	v_dual_mov_b32 v46, 0 :: v_dual_mov_b32 v45, 0
	v_cndmask_b32_e64 v50, 0x10000, 0, vcc_lo
	v_cmp_gt_u32_e32 vcc_lo, s48, v1
	v_dual_mov_b32 v44, 0 :: v_dual_mov_b32 v42, 0
	v_dual_mov_b32 v40, 0 :: v_dual_mov_b32 v39, 0
	;; [unrolled: 1-line block ×11, first 2 shown]
	s_mov_b32 s8, 0
                                        ; implicit-def: $sgpr3
                                        ; implicit-def: $vgpr41
	s_and_saveexec_b32 s7, vcc_lo
	s_cbranch_execz .LBB317_103
; %bb.76:
	v_dual_lshrrev_b32 v10, 16, v12 :: v_dual_mov_b32 v48, 0
	v_dual_mov_b32 v46, 0 :: v_dual_add_nc_u32 v1, 6, v52
	v_dual_mov_b32 v45, 0 :: v_dual_mov_b32 v44, 0
	s_delay_alu instid0(VALU_DEP_3)
	v_cmp_eq_u16_e32 vcc_lo, v12, v10
	v_dual_mov_b32 v42, 0 :: v_dual_mov_b32 v40, 0
	v_dual_mov_b32 v39, 0 :: v_dual_mov_b32 v38, 0
	v_cndmask_b32_e64 v27, 0x10000, 0, vcc_lo
	v_cmp_gt_u32_e32 vcc_lo, s48, v1
	v_dual_mov_b32 v37, 0 :: v_dual_mov_b32 v36, 0
	v_dual_mov_b32 v34, 0 :: v_dual_mov_b32 v35, 0
	;; [unrolled: 1-line block ×8, first 2 shown]
	s_mov_b32 s9, 0
                                        ; implicit-def: $sgpr3
                                        ; implicit-def: $vgpr41
	s_and_saveexec_b32 s8, vcc_lo
	s_cbranch_execz .LBB317_102
; %bb.77:
	v_dual_mov_b32 v46, 0 :: v_dual_add_nc_u32 v1, 7, v52
	v_cmp_eq_u16_e32 vcc_lo, v10, v13
	v_dual_mov_b32 v45, 0 :: v_dual_lshrrev_b32 v26, 16, v4
	v_dual_mov_b32 v44, 0 :: v_dual_mov_b32 v42, 0
	v_cndmask_b32_e64 v48, 0x10000, 0, vcc_lo
	v_cmp_gt_u32_e32 vcc_lo, s48, v1
	v_dual_mov_b32 v40, 0 :: v_dual_mov_b32 v39, 0
	v_dual_mov_b32 v38, 0 :: v_dual_mov_b32 v37, 0
	;; [unrolled: 1-line block ×9, first 2 shown]
	s_mov_b32 s10, 0
                                        ; implicit-def: $sgpr3
                                        ; implicit-def: $vgpr41
	s_and_saveexec_b32 s9, vcc_lo
	s_cbranch_execz .LBB317_101
; %bb.78:
	v_dual_lshrrev_b32 v10, 16, v13 :: v_dual_add_nc_u32 v1, 8, v52
	v_dual_mov_b32 v45, 0 :: v_dual_mov_b32 v44, 0
	v_dual_mov_b32 v42, 0 :: v_dual_mov_b32 v40, 0
	s_delay_alu instid0(VALU_DEP_3)
	v_cmp_eq_u16_e32 vcc_lo, v13, v10
	v_dual_mov_b32 v39, 0 :: v_dual_mov_b32 v38, 0
	v_dual_mov_b32 v37, 0 :: v_dual_mov_b32 v36, 0
	v_cndmask_b32_e64 v25, 0x10000, 0, vcc_lo
	v_cmp_gt_u32_e32 vcc_lo, s48, v1
	v_dual_mov_b32 v34, 0 :: v_dual_mov_b32 v35, 0
	v_dual_mov_b32 v24, 0 :: v_dual_mov_b32 v23, 0
	;; [unrolled: 1-line block ×6, first 2 shown]
	s_mov_b32 s11, 0
                                        ; implicit-def: $sgpr3
                                        ; implicit-def: $vgpr41
	s_and_saveexec_b32 s10, vcc_lo
	s_cbranch_execz .LBB317_100
; %bb.79:
	v_dual_add_nc_u32 v1, 9, v52 :: v_dual_lshrrev_b32 v24, 16, v5
	v_cmp_eq_u16_e32 vcc_lo, v10, v6
	v_dual_mov_b32 v44, 0 :: v_dual_mov_b32 v42, 0
	v_dual_mov_b32 v40, 0 :: v_dual_mov_b32 v39, 0
	v_cndmask_b32_e64 v45, 0x10000, 0, vcc_lo
	v_cmp_gt_u32_e32 vcc_lo, s48, v1
	v_dual_mov_b32 v38, 0 :: v_dual_mov_b32 v37, 0
	v_dual_mov_b32 v36, 0 :: v_dual_mov_b32 v34, 0
	;; [unrolled: 1-line block ×7, first 2 shown]
	s_mov_b32 s12, 0
                                        ; implicit-def: $sgpr3
                                        ; implicit-def: $vgpr41
	s_and_saveexec_b32 s11, vcc_lo
	s_cbranch_execz .LBB317_99
; %bb.80:
	ds_load_b128 v[10:13], v47 offset:18
	v_dual_lshrrev_b32 v23, 16, v6 :: v_dual_add_nc_u32 v1, 10, v52
	v_dual_mov_b32 v42, 0 :: v_dual_mov_b32 v40, 0
	v_dual_mov_b32 v39, 0 :: v_dual_mov_b32 v38, 0
	s_delay_alu instid0(VALU_DEP_3)
	v_cmp_eq_u16_e32 vcc_lo, v6, v23
	v_dual_mov_b32 v37, 0 :: v_dual_mov_b32 v36, 0
	v_dual_mov_b32 v34, 0 :: v_dual_mov_b32 v35, 0
	v_cndmask_b32_e64 v6, 0x10000, 0, vcc_lo
	v_cmp_gt_u32_e32 vcc_lo, s48, v1
	v_dual_mov_b32 v22, 0 :: v_dual_mov_b32 v21, 0
	v_dual_mov_b32 v20, 0 :: v_dual_mov_b32 v19, 0
	;; [unrolled: 1-line block ×4, first 2 shown]
	s_mov_b32 s13, 0
                                        ; implicit-def: $sgpr3
                                        ; implicit-def: $vgpr41
	s_and_saveexec_b32 s12, vcc_lo
	s_cbranch_execz .LBB317_98
; %bb.81:
	s_wait_dscnt 0x0
	v_dual_add_nc_u32 v1, 11, v52 :: v_dual_lshrrev_b32 v22, 16, v10
	v_cmp_eq_u16_e32 vcc_lo, v23, v7
	v_dual_mov_b32 v40, 0 :: v_dual_mov_b32 v39, 0
	v_dual_mov_b32 v38, 0 :: v_dual_mov_b32 v37, 0
	v_cndmask_b32_e64 v23, 0x10000, 0, vcc_lo
	v_cmp_gt_u32_e32 vcc_lo, s48, v1
	v_dual_mov_b32 v36, 0 :: v_dual_mov_b32 v34, 0
	v_dual_mov_b32 v35, 0 :: v_dual_mov_b32 v21, 0
	;; [unrolled: 1-line block ×5, first 2 shown]
	s_mov_b32 s14, 0
                                        ; implicit-def: $sgpr3
                                        ; implicit-def: $vgpr41
	s_and_saveexec_b32 s13, vcc_lo
	s_cbranch_execz .LBB317_97
; %bb.82:
	v_dual_lshrrev_b32 v21, 16, v7 :: v_dual_add_nc_u32 v1, 12, v52
	v_dual_mov_b32 v39, 0 :: v_dual_mov_b32 v38, 0
	v_dual_mov_b32 v37, 0 :: v_dual_mov_b32 v36, 0
	s_delay_alu instid0(VALU_DEP_3)
	v_cmp_eq_u16_e32 vcc_lo, v7, v21
	v_dual_mov_b32 v34, 0 :: v_dual_mov_b32 v35, 0
	v_dual_mov_b32 v20, 0 :: v_dual_mov_b32 v19, 0
	v_cndmask_b32_e64 v7, 0x10000, 0, vcc_lo
	v_cmp_gt_u32_e32 vcc_lo, s48, v1
	v_dual_mov_b32 v18, 0 :: v_dual_mov_b32 v17, 0
	v_dual_mov_b32 v16, 0 :: v_dual_mov_b32 v1, 0
	s_mov_b32 s15, 0
                                        ; implicit-def: $sgpr3
                                        ; implicit-def: $vgpr41
	s_and_saveexec_b32 s14, vcc_lo
	s_cbranch_execz .LBB317_96
; %bb.83:
	v_dual_add_nc_u32 v1, 13, v52 :: v_dual_lshrrev_b32 v20, 16, v11
	v_cmp_eq_u16_e32 vcc_lo, v21, v8
	v_dual_mov_b32 v38, 0 :: v_dual_mov_b32 v37, 0
	v_dual_mov_b32 v36, 0 :: v_dual_mov_b32 v34, 0
	v_cndmask_b32_e64 v21, 0x10000, 0, vcc_lo
	v_cmp_gt_u32_e32 vcc_lo, s48, v1
	v_dual_mov_b32 v35, 0 :: v_dual_mov_b32 v19, 0
	v_dual_mov_b32 v18, 0 :: v_dual_mov_b32 v17, 0
	;; [unrolled: 1-line block ×3, first 2 shown]
	s_mov_b32 s16, 0
                                        ; implicit-def: $sgpr3
                                        ; implicit-def: $vgpr41
	s_and_saveexec_b32 s15, vcc_lo
	s_cbranch_execz .LBB317_95
; %bb.84:
	v_dual_lshrrev_b32 v19, 16, v8 :: v_dual_mov_b32 v37, 0
	v_dual_mov_b32 v36, 0 :: v_dual_add_nc_u32 v1, 14, v52
	v_dual_mov_b32 v34, 0 :: v_dual_mov_b32 v35, 0
	s_delay_alu instid0(VALU_DEP_3)
	v_cmp_eq_u16_e32 vcc_lo, v8, v19
	v_dual_mov_b32 v18, 0 :: v_dual_mov_b32 v17, 0
	v_mov_b32_e32 v16, 0
	s_mov_b32 s17, 0
	v_cndmask_b32_e64 v8, 0x10000, 0, vcc_lo
	v_cmp_gt_u32_e32 vcc_lo, s48, v1
	v_mov_b32_e32 v1, 0
                                        ; implicit-def: $sgpr3
                                        ; implicit-def: $vgpr41
	s_and_saveexec_b32 s16, vcc_lo
	s_cbranch_execz .LBB317_94
; %bb.85:
	v_dual_mov_b32 v36, 0 :: v_dual_add_nc_u32 v1, 15, v52
	v_cmp_eq_u16_e32 vcc_lo, v19, v9
	v_dual_lshrrev_b32 v18, 16, v12 :: v_dual_mov_b32 v34, 0
	v_dual_mov_b32 v35, 0 :: v_dual_mov_b32 v17, 0
	v_cndmask_b32_e64 v19, 0x10000, 0, vcc_lo
	v_cmp_gt_u32_e32 vcc_lo, s48, v1
	v_dual_mov_b32 v16, 0 :: v_dual_mov_b32 v1, 0
	s_mov_b32 s18, 0
                                        ; implicit-def: $sgpr3
                                        ; implicit-def: $vgpr41
	s_and_saveexec_b32 s17, vcc_lo
	s_cbranch_execz .LBB317_93
; %bb.86:
	v_dual_lshrrev_b32 v17, 16, v9 :: v_dual_add_nc_u32 v1, 16, v52
	v_dual_mov_b32 v34, 0 :: v_dual_mov_b32 v35, 0
	v_mov_b32_e32 v16, 0
	s_delay_alu instid0(VALU_DEP_3)
	v_cmp_eq_u16_e32 vcc_lo, v9, v17
	s_mov_b32 s19, 0
                                        ; implicit-def: $sgpr3
                                        ; implicit-def: $vgpr41
	v_cndmask_b32_e64 v9, 0x10000, 0, vcc_lo
	v_cmp_gt_u32_e32 vcc_lo, s48, v1
	v_mov_b32_e32 v1, 0
	s_and_saveexec_b32 s18, vcc_lo
	s_cbranch_execz .LBB317_92
; %bb.87:
	v_dual_add_nc_u32 v1, 17, v52 :: v_dual_lshrrev_b32 v16, 16, v13
	v_cmp_eq_u16_e32 vcc_lo, v17, v14
	v_mov_b32_e32 v35, 0
	s_mov_b32 s46, 0
                                        ; implicit-def: $sgpr3
                                        ; implicit-def: $vgpr41
	v_cndmask_b32_e64 v17, 0x10000, 0, vcc_lo
	v_cmp_gt_u32_e32 vcc_lo, s48, v1
	v_mov_b32_e32 v1, 0
	s_and_saveexec_b32 s19, vcc_lo
	s_cbranch_execz .LBB317_91
; %bb.88:
	ds_load_u16 v34, v47 offset:34
	v_dual_lshrrev_b32 v35, 16, v14 :: v_dual_add_nc_u32 v36, 18, v52
	v_mov_b32_e32 v1, 0
	s_mov_b32 s47, 0
	s_mov_b32 s46, exec_lo
	s_delay_alu instid0(VALU_DEP_2)
	v_cmp_eq_u16_e32 vcc_lo, v14, v35
                                        ; implicit-def: $sgpr3
                                        ; implicit-def: $vgpr41
	v_cndmask_b32_e64 v14, 0x10000, 0, vcc_lo
	v_cmpx_gt_u32_e64 s48, v36
	s_xor_b32 s46, exec_lo, s46
	s_cbranch_execz .LBB317_90
; %bb.89:
	ds_load_b32 v1, v47 offset:36
	v_cmp_eq_u16_e32 vcc_lo, v35, v15
	v_add_nc_u32_e32 v36, 19, v52
	v_cmp_ne_u16_e64 s3, v15, v49
	v_cndmask_b32_e64 v35, 0x10000, 0, vcc_lo
	s_wait_dscnt 0x0
	v_lshrrev_b32_e32 v41, 16, v1
	v_cmp_gt_u32_e32 vcc_lo, s48, v36
	s_delay_alu instid0(VALU_DEP_3)
	v_and_or_b32 v1, 0xffff, v1, v35
	s_and_b32 s47, vcc_lo, exec_lo
.LBB317_90:
	s_or_b32 exec_lo, exec_lo, s46
	s_wait_dscnt 0x0
	v_or_b32_e32 v35, v14, v34
	s_and_b32 s46, s47, exec_lo
.LBB317_91:
	s_or_b32 exec_lo, exec_lo, s19
	s_delay_alu instid0(VALU_DEP_1)
	v_dual_mov_b32 v16, v35 :: v_dual_bitop2_b32 v34, v17, v16 bitop3:0x54
	s_and_b32 s19, s46, exec_lo
.LBB317_92:
	s_or_b32 exec_lo, exec_lo, s18
	v_and_or_b32 v36, 0xffff, v13, v9
	s_delay_alu instid0(VALU_DEP_2)
	v_mov_b32_e32 v17, v34
	s_and_b32 s18, s19, exec_lo
.LBB317_93:
	s_or_b32 exec_lo, exec_lo, s17
	s_delay_alu instid0(VALU_DEP_2)
	v_dual_mov_b32 v18, v36 :: v_dual_bitop2_b32 v37, v19, v18 bitop3:0x54
	s_and_b32 s17, s18, exec_lo
.LBB317_94:
	s_or_b32 exec_lo, exec_lo, s16
	v_and_or_b32 v38, 0xffff, v12, v8
	s_delay_alu instid0(VALU_DEP_2)
	v_mov_b32_e32 v19, v37
	s_and_b32 s16, s17, exec_lo
.LBB317_95:
	s_or_b32 exec_lo, exec_lo, s15
	s_delay_alu instid0(VALU_DEP_2)
	v_dual_mov_b32 v20, v38 :: v_dual_bitop2_b32 v39, v21, v20 bitop3:0x54
	s_and_b32 s15, s16, exec_lo
.LBB317_96:
	s_or_b32 exec_lo, exec_lo, s14
	v_and_or_b32 v40, 0xffff, v11, v7
	s_delay_alu instid0(VALU_DEP_2)
	v_mov_b32_e32 v21, v39
	s_and_b32 s14, s15, exec_lo
.LBB317_97:
	s_or_b32 exec_lo, exec_lo, s13
	s_delay_alu instid0(VALU_DEP_2)
	v_dual_mov_b32 v22, v40 :: v_dual_bitop2_b32 v42, v23, v22 bitop3:0x54
	s_and_b32 s13, s14, exec_lo
.LBB317_98:
	s_or_b32 exec_lo, exec_lo, s12
	s_wait_dscnt 0x0
	v_and_or_b32 v44, 0xffff, v10, v6
	v_mov_b32_e32 v23, v42
	s_and_b32 s12, s13, exec_lo
.LBB317_99:
	s_or_b32 exec_lo, exec_lo, s11
	s_delay_alu instid0(VALU_DEP_2)
	v_dual_mov_b32 v24, v44 :: v_dual_bitop2_b32 v45, v45, v24 bitop3:0x54
	s_and_b32 s11, s12, exec_lo
.LBB317_100:
	s_or_b32 exec_lo, exec_lo, s10
	v_and_or_b32 v46, 0xffff, v5, v25
	s_delay_alu instid0(VALU_DEP_2)
	v_mov_b32_e32 v25, v45
	s_and_b32 s10, s11, exec_lo
.LBB317_101:
	s_or_b32 exec_lo, exec_lo, s9
	s_delay_alu instid0(VALU_DEP_2)
	v_dual_mov_b32 v26, v46 :: v_dual_bitop2_b32 v48, v48, v26 bitop3:0x54
	s_and_b32 s9, s10, exec_lo
.LBB317_102:
	s_or_b32 exec_lo, exec_lo, s8
	v_and_or_b32 v51, 0xffff, v4, v27
	s_delay_alu instid0(VALU_DEP_2)
	v_mov_b32_e32 v27, v48
	s_and_b32 s8, s9, exec_lo
.LBB317_103:
	s_or_b32 exec_lo, exec_lo, s7
	s_delay_alu instid0(VALU_DEP_2)
	v_dual_mov_b32 v28, v51 :: v_dual_bitop2_b32 v50, v50, v28 bitop3:0x54
	s_and_b32 s7, s8, exec_lo
.LBB317_104:
	s_or_b32 exec_lo, exec_lo, s6
	v_and_or_b32 v53, 0xffff, v3, v29
	s_delay_alu instid0(VALU_DEP_2)
	v_mov_b32_e32 v29, v50
	s_and_b32 s6, s7, exec_lo
.LBB317_105:
	s_or_b32 exec_lo, exec_lo, s5
	s_delay_alu instid0(VALU_DEP_2)
	v_dual_mov_b32 v31, v53 :: v_dual_bitop2_b32 v43, v43, v31 bitop3:0x54
	s_and_b32 s5, s6, exec_lo
.LBB317_106:
	s_or_b32 exec_lo, exec_lo, s4
	s_wait_dscnt 0x0
	v_and_or_b32 v2, 0xffff, v2, v32
	v_mov_b32_e32 v32, v43
	s_and_b32 s4, s5, exec_lo
.LBB317_107:
	s_or_b32 exec_lo, exec_lo, s1
	s_wait_dscnt 0x0
	v_dual_mov_b32 v33, v2 :: v_dual_bitop2_b32 v30, v33, v30 bitop3:0x54
	s_and_b32 s1, s4, exec_lo
.LBB317_108:
	s_or_b32 exec_lo, exec_lo, s2
	v_lshlrev_b32_e32 v10, 1, v0
	s_and_b32 vcc_lo, exec_lo, s0
	s_cbranch_vccz .LBB317_136
.LBB317_109:
	s_clause 0x13
	flat_load_u16 v2, v0, s[42:43] scale_offset
	flat_load_u16 v3, v0, s[42:43] offset:512 scale_offset
	flat_load_u16 v4, v0, s[42:43] offset:1024 scale_offset
	;; [unrolled: 1-line block ×19, first 2 shown]
	v_mad_u32_u24 v1, v0, 38, v10
	s_cmp_eq_u64 s[44:45], 0
	s_wait_loadcnt_dscnt 0x1313
	ds_store_b16 v10, v2
	s_wait_loadcnt_dscnt 0x1213
	ds_store_b16 v10, v3 offset:512
	s_wait_loadcnt_dscnt 0x1113
	ds_store_b16 v10, v4 offset:1024
	;; [unrolled: 2-line block ×19, first 2 shown]
	s_wait_dscnt 0x0
	s_barrier_signal -1
	s_barrier_wait -1
	ds_load_2addr_b64 v[6:9], v1 offset1:1
	ds_load_2addr_b64 v[2:5], v1 offset0:2 offset1:3
	ds_load_b64 v[12:13], v1 offset:32
	v_mov_b32_e32 v11, 0
	s_cbranch_scc1 .LBB317_133
; %bb.110:
	s_and_not1_b32 vcc_lo, exec_lo, s39
	s_cbranch_vccnz .LBB317_131
; %bb.111:
	s_lshl_b64 s[0:1], s[44:45], 1
	s_delay_alu instid0(SALU_CYCLE_1) | instskip(NEXT) | instid1(SALU_CYCLE_1)
	s_add_nc_u64 s[0:1], s[30:31], s[0:1]
	s_add_nc_u64 s[42:43], s[0:1], -2
	s_mov_b32 s0, 0
	s_branch .LBB317_132
.LBB317_112:
	flat_load_u16 v2, v0, s[20:21] scale_offset
	s_wait_xcnt 0x0
	s_or_b32 exec_lo, exec_lo, s46
                                        ; implicit-def: $vgpr4
	s_and_saveexec_b32 s0, s1
	s_cbranch_execz .LBB317_51
.LBB317_113:
	flat_load_u16 v4, v0, s[20:21] offset:512 scale_offset
	s_wait_xcnt 0x0
	s_or_b32 exec_lo, exec_lo, s0
                                        ; implicit-def: $vgpr5
	s_and_saveexec_b32 s0, s2
	s_cbranch_execz .LBB317_52
.LBB317_114:
	flat_load_u16 v5, v0, s[20:21] offset:1024 scale_offset
	s_wait_xcnt 0x0
	s_or_b32 exec_lo, exec_lo, s0
                                        ; implicit-def: $vgpr16
	s_and_saveexec_b32 s0, s3
	s_cbranch_execz .LBB317_53
.LBB317_115:
	flat_load_u16 v16, v0, s[20:21] offset:1536 scale_offset
	s_wait_xcnt 0x0
	s_or_b32 exec_lo, exec_lo, s0
                                        ; implicit-def: $vgpr17
	s_and_saveexec_b32 s0, s4
	s_cbranch_execz .LBB317_54
.LBB317_116:
	flat_load_u16 v17, v0, s[20:21] offset:2048 scale_offset
	s_wait_xcnt 0x0
	s_or_b32 exec_lo, exec_lo, s0
                                        ; implicit-def: $vgpr18
	s_and_saveexec_b32 s0, s5
	s_cbranch_execz .LBB317_55
.LBB317_117:
	flat_load_u16 v18, v0, s[20:21] offset:2560 scale_offset
	s_wait_xcnt 0x0
	s_or_b32 exec_lo, exec_lo, s0
                                        ; implicit-def: $vgpr19
	s_and_saveexec_b32 s0, s6
	s_cbranch_execz .LBB317_56
.LBB317_118:
	flat_load_u16 v19, v0, s[20:21] offset:3072 scale_offset
	s_wait_xcnt 0x0
	s_or_b32 exec_lo, exec_lo, s0
                                        ; implicit-def: $vgpr20
	s_and_saveexec_b32 s0, s7
	s_cbranch_execz .LBB317_57
.LBB317_119:
	flat_load_u16 v20, v0, s[20:21] offset:3584 scale_offset
	s_wait_xcnt 0x0
	s_or_b32 exec_lo, exec_lo, s0
                                        ; implicit-def: $vgpr21
	s_and_saveexec_b32 s0, s8
	s_cbranch_execz .LBB317_58
.LBB317_120:
	flat_load_u16 v21, v0, s[20:21] offset:4096 scale_offset
	s_wait_xcnt 0x0
	s_or_b32 exec_lo, exec_lo, s0
                                        ; implicit-def: $vgpr22
	s_and_saveexec_b32 s0, s9
	s_cbranch_execz .LBB317_59
.LBB317_121:
	flat_load_u16 v22, v0, s[20:21] offset:4608 scale_offset
	s_wait_xcnt 0x0
	s_or_b32 exec_lo, exec_lo, s0
                                        ; implicit-def: $vgpr23
	s_and_saveexec_b32 s0, s10
	s_cbranch_execz .LBB317_60
.LBB317_122:
	flat_load_u16 v23, v0, s[20:21] offset:5120 scale_offset
	s_wait_xcnt 0x0
	s_or_b32 exec_lo, exec_lo, s0
                                        ; implicit-def: $vgpr24
	s_and_saveexec_b32 s0, s11
	s_cbranch_execz .LBB317_61
.LBB317_123:
	flat_load_u16 v24, v0, s[20:21] offset:5632 scale_offset
	s_wait_xcnt 0x0
	s_or_b32 exec_lo, exec_lo, s0
                                        ; implicit-def: $vgpr25
	s_and_saveexec_b32 s0, s12
	s_cbranch_execz .LBB317_62
.LBB317_124:
	flat_load_u16 v25, v0, s[20:21] offset:6144 scale_offset
	s_wait_xcnt 0x0
	s_or_b32 exec_lo, exec_lo, s0
                                        ; implicit-def: $vgpr26
	s_and_saveexec_b32 s0, s13
	s_cbranch_execz .LBB317_63
.LBB317_125:
	flat_load_u16 v26, v0, s[20:21] offset:6656 scale_offset
	s_wait_xcnt 0x0
	s_or_b32 exec_lo, exec_lo, s0
                                        ; implicit-def: $vgpr27
	s_and_saveexec_b32 s0, s14
	s_cbranch_execz .LBB317_64
.LBB317_126:
	flat_load_u16 v27, v0, s[20:21] offset:7168 scale_offset
	s_wait_xcnt 0x0
	s_or_b32 exec_lo, exec_lo, s0
                                        ; implicit-def: $vgpr28
	s_and_saveexec_b32 s0, s15
	s_cbranch_execz .LBB317_65
.LBB317_127:
	flat_load_u16 v28, v0, s[20:21] offset:7680 scale_offset
	s_wait_xcnt 0x0
	s_or_b32 exec_lo, exec_lo, s0
                                        ; implicit-def: $vgpr29
	s_and_saveexec_b32 s0, s16
	s_cbranch_execz .LBB317_66
.LBB317_128:
	flat_load_u16 v29, v0, s[20:21] offset:8192 scale_offset
	s_wait_xcnt 0x0
	s_or_b32 exec_lo, exec_lo, s0
                                        ; implicit-def: $vgpr30
	s_and_saveexec_b32 s0, s17
	s_cbranch_execz .LBB317_67
.LBB317_129:
	flat_load_u16 v30, v0, s[20:21] offset:8704 scale_offset
	s_wait_xcnt 0x0
	s_or_b32 exec_lo, exec_lo, s0
                                        ; implicit-def: $vgpr31
	s_and_saveexec_b32 s0, s18
	s_cbranch_execz .LBB317_68
.LBB317_130:
	flat_load_u16 v31, v0, s[20:21] offset:9216 scale_offset
	s_wait_xcnt 0x0
	s_or_b32 exec_lo, exec_lo, s0
                                        ; implicit-def: $vgpr32
	s_and_saveexec_b32 s0, s19
	s_cbranch_execnz .LBB317_69
	s_branch .LBB317_70
.LBB317_131:
	s_add_nc_u64 s[42:43], s[42:43], -2
	s_mov_b32 s0, -1
.LBB317_132:
	s_delay_alu instid0(SALU_CYCLE_1)
	s_and_not1_b32 vcc_lo, exec_lo, s0
.LBB317_133:
	flat_load_u16 v14, v11, s[42:43]
	s_wait_dscnt 0x1
	s_wait_xcnt 0x0
	v_lshrrev_b32_e32 v11, 16, v13
	v_mad_i32_i24 v15, 0xffffffda, v0, v1
	s_mov_b32 s0, exec_lo
	ds_store_b16 v15, v11 offset:10240
	s_wait_loadcnt_dscnt 0x0
	s_barrier_signal -1
	s_barrier_wait -1
	v_cmpx_ne_u32_e32 0, v0
; %bb.134:
	v_mul_i32_i24_e32 v14, 0xffffffda, v0
	s_delay_alu instid0(VALU_DEP_1)
	v_add_nc_u32_e32 v14, v1, v14
	ds_load_u16 v14, v14 offset:10238
; %bb.135:
	s_or_b32 exec_lo, exec_lo, s0
	s_wait_dscnt 0x0
	s_barrier_signal -1
	s_barrier_wait -1
	s_clause 0x13
	flat_load_u16 v15, v0, s[20:21] scale_offset
	flat_load_u16 v16, v0, s[20:21] offset:512 scale_offset
	flat_load_u16 v17, v0, s[20:21] offset:1024 scale_offset
	;; [unrolled: 1-line block ×19, first 2 shown]
	v_dual_lshrrev_b32 v35, 16, v6 :: v_dual_lshrrev_b32 v36, 16, v7
	v_cmp_eq_u16_e32 vcc_lo, v14, v6
	v_cmp_ne_u16_e64 s3, v13, v11
	v_dual_lshrrev_b32 v37, 16, v8 :: v_dual_lshrrev_b32 v38, 16, v9
	v_dual_lshrrev_b32 v39, 16, v2 :: v_dual_lshrrev_b32 v40, 16, v3
	v_cndmask_b32_e64 v11, 0x10000, 0, vcc_lo
	v_cmp_eq_u16_e32 vcc_lo, v6, v35
	v_dual_lshrrev_b32 v41, 16, v4 :: v_dual_lshrrev_b32 v42, 16, v5
	s_mov_b32 s1, -1
	s_wait_loadcnt_dscnt 0x1313
	ds_store_b16 v10, v15
	s_wait_loadcnt_dscnt 0x1213
	ds_store_b16 v10, v16 offset:512
	s_wait_loadcnt_dscnt 0x1113
	ds_store_b16 v10, v17 offset:1024
	;; [unrolled: 2-line block ×19, first 2 shown]
	v_cndmask_b32_e64 v44, 0x10000, 0, vcc_lo
	v_cmp_eq_u16_e32 vcc_lo, v35, v7
	s_wait_dscnt 0x0
	s_barrier_signal -1
	s_barrier_wait -1
	v_cndmask_b32_e64 v35, 0x10000, 0, vcc_lo
	v_cmp_eq_u16_e32 vcc_lo, v7, v36
	ds_load_2addr_b64 v[14:17], v1 offset0:2 offset1:3
	v_cndmask_b32_e64 v46, 0x10000, 0, vcc_lo
	v_cmp_eq_u16_e32 vcc_lo, v36, v8
	v_cndmask_b32_e64 v36, 0x10000, 0, vcc_lo
	v_cmp_eq_u16_e32 vcc_lo, v8, v37
	;; [unrolled: 2-line block ×3, first 2 shown]
	s_wait_dscnt 0x0
	v_dual_lshrrev_b32 v26, 16, v14 :: v_dual_lshrrev_b32 v27, 16, v15
	v_lshrrev_b32_e32 v28, 16, v16
	v_cndmask_b32_e64 v37, 0x10000, 0, vcc_lo
	v_cmp_eq_u16_e32 vcc_lo, v9, v38
	ds_load_2addr_b64 v[6:9], v1 offset1:1
	v_lshrrev_b32_e32 v43, 16, v12
	v_cndmask_b32_e64 v49, 0x10000, 0, vcc_lo
	v_cmp_eq_u16_e32 vcc_lo, v38, v2
	v_cndmask_b32_e64 v38, 0x10000, 0, vcc_lo
	v_cmp_eq_u16_e32 vcc_lo, v2, v39
	s_delay_alu instid0(VALU_DEP_2)
	v_and_or_b32 v45, 0xffff, v14, v38
	v_cndmask_b32_e64 v52, 0x10000, 0, vcc_lo
	v_cmp_eq_u16_e32 vcc_lo, v39, v3
	s_wait_dscnt 0x0
	v_dual_lshrrev_b32 v22, 16, v6 :: v_dual_lshrrev_b32 v23, 16, v7
	v_lshrrev_b32_e32 v24, 16, v8
	v_cndmask_b32_e64 v18, 0x10000, 0, vcc_lo
	v_cmp_eq_u16_e32 vcc_lo, v3, v40
	ds_load_b64 v[2:3], v1 offset:32
	v_lshrrev_b32_e32 v25, 16, v9
	v_lshrrev_b32_e32 v29, 16, v17
	v_and_or_b32 v50, 0xffff, v8, v36
	v_cndmask_b32_e64 v19, 0x10000, 0, vcc_lo
	v_cmp_eq_u16_e32 vcc_lo, v40, v4
	v_and_or_b32 v48, 0xffff, v9, v37
	v_or_b32_e32 v51, v47, v24
	v_and_or_b32 v30, 0xffff, v6, v11
	v_cndmask_b32_e64 v20, 0x10000, 0, vcc_lo
	v_cmp_eq_u16_e32 vcc_lo, v4, v41
	s_delay_alu instid0(VALU_DEP_2)
	v_and_or_b32 v39, 0xffff, v16, v20
	v_cndmask_b32_e64 v4, 0x10000, 0, vcc_lo
	v_cmp_eq_u16_e32 vcc_lo, v41, v5
	s_wait_dscnt 0x0
	v_dual_lshrrev_b32 v31, 16, v2 :: v_dual_lshrrev_b32 v41, 16, v3
	v_cndmask_b32_e64 v1, 0x10000, 0, vcc_lo
	v_cmp_eq_u16_e32 vcc_lo, v5, v42
	v_or_b32_e32 v38, v4, v28
	s_delay_alu instid0(VALU_DEP_3)
	v_and_or_b32 v37, 0xffff, v17, v1
	v_cndmask_b32_e64 v5, 0x10000, 0, vcc_lo
	v_cmp_eq_u16_e32 vcc_lo, v42, v12
	v_and_or_b32 v42, 0xffff, v15, v18
	v_dual_mov_b32 v27, v48 :: v_dual_bitop2_b32 v40, v19, v27 bitop3:0x54
	v_mov_b32_e32 v19, v37
	v_cndmask_b32_e64 v21, 0x10000, 0, vcc_lo
	v_cmp_eq_u16_e32 vcc_lo, v12, v43
	s_delay_alu instid0(VALU_DEP_2)
	v_and_or_b32 v34, 0xffff, v2, v21
	v_cndmask_b32_e64 v12, 0x10000, 0, vcc_lo
	v_cmp_eq_u16_e32 vcc_lo, v43, v13
	v_and_or_b32 v43, 0xffff, v7, v35
	v_or_b32_e32 v2, v44, v22
	v_or_b32_e32 v53, v46, v23
	;; [unrolled: 1-line block ×3, first 2 shown]
	v_cndmask_b32_e64 v13, 0x10000, 0, vcc_lo
	v_dual_mov_b32 v25, v45 :: v_dual_bitop2_b32 v44, v52, v26 bitop3:0x54
	v_dual_mov_b32 v17, v34 :: v_dual_bitop2_b32 v36, v5, v29 bitop3:0x54
	v_or_b32_e32 v35, v12, v31
	s_delay_alu instid0(VALU_DEP_4)
	v_and_or_b32 v1, 0xffff, v3, v13
	v_dual_mov_b32 v32, v43 :: v_dual_mov_b32 v29, v50
	v_dual_mov_b32 v23, v42 :: v_dual_mov_b32 v21, v39
	;; [unrolled: 1-line block ×6, first 2 shown]
	v_mov_b32_e32 v16, v35
.LBB317_136:
	v_mov_b32_e32 v11, 0
	s_and_saveexec_b32 s0, s1
	s_cbranch_execz .LBB317_138
; %bb.137:
	v_and_b32_e32 v3, 0xffff, v41
	v_cndmask_b32_e64 v4, 0, 0x10000, s3
	v_dual_mov_b32 v16, v35 :: v_dual_mov_b32 v17, v34
	v_dual_mov_b32 v18, v36 :: v_dual_mov_b32 v19, v37
	s_delay_alu instid0(VALU_DEP_3)
	v_dual_mov_b32 v20, v38 :: v_dual_bitop2_b32 v11, v4, v3 bitop3:0x54
	v_dual_mov_b32 v21, v39 :: v_dual_mov_b32 v22, v40
	v_dual_mov_b32 v23, v42 :: v_dual_mov_b32 v24, v44
	;; [unrolled: 1-line block ×6, first 2 shown]
.LBB317_138:
	s_or_b32 exec_lo, exec_lo, s0
	v_dual_lshrrev_b32 v45, 3, v0 :: v_dual_bitop2_b32 v2, v26, v25 bitop3:0x54
	v_or_b32_e32 v3, v18, v17
	v_or_b32_e32 v43, v16, v1
	v_cmp_gt_u32_e64 s18, 0x10000, v33
	v_cmp_gt_u32_e64 s17, 0x10000, v32
	v_cmp_gt_u32_e64 s16, 0x10000, v31
	v_cmp_gt_u32_e64 s15, 0x10000, v29
	v_cmp_gt_u32_e64 s14, 0x10000, v28
	v_cmp_gt_u32_e64 s13, 0x10000, v27
	v_cmp_gt_u32_e64 s12, 0x10000, v26
	v_cmp_gt_u32_e64 s10, 0x10000, v25
	v_or3_b32 v44, v2, v27, v28
	v_cmp_gt_u32_e64 s11, 0x10000, v24
	v_cmp_gt_u32_e64 s9, 0x10000, v23
	;; [unrolled: 1-line block ×8, first 2 shown]
	v_or3_b32 v46, v3, v19, v20
	v_cmp_gt_u32_e64 s3, 0x10000, v16
	v_cmp_gt_u32_e64 s1, 0x10000, v1
	;; [unrolled: 1-line block ×3, first 2 shown]
	s_cmp_lg_u32 s28, 0
	v_cmp_gt_u32_e32 vcc_lo, 32, v0
	s_barrier_signal -1
	s_barrier_wait -1
	s_cbranch_scc0 .LBB317_188
; %bb.139:
	v_or3_b32 v3, v46, v21, v22
	v_or3_b32 v4, v44, v29, v31
	v_dual_cndmask_b32 v2, 0, v30, s18 :: v_dual_bitop2_b32 v5, 28, v45 bitop3:0x40
	v_lshrrev_b32_e32 v12, 16, v30
	s_delay_alu instid0(VALU_DEP_4) | instskip(NEXT) | instid1(VALU_DEP_4)
	v_or3_b32 v3, v3, v23, v24
	v_or3_b32 v4, v4, v32, v33
	s_delay_alu instid0(VALU_DEP_4) | instskip(NEXT) | instid1(VALU_DEP_3)
	v_add_nc_u16 v2, v2, v33
	v_or3_b32 v3, v11, v43, v3
	s_delay_alu instid0(VALU_DEP_1) | instskip(SKIP_1) | instid1(VALU_DEP_2)
	v_bitop3_b32 v3, v3, 0xff0000, v4 bitop3:0xc8
	v_lshl_add_u32 v4, v0, 2, v5
	v_cmp_eq_u32_e64 s19, 0, v3
	s_delay_alu instid0(VALU_DEP_1) | instskip(NEXT) | instid1(VALU_DEP_1)
	v_dual_cndmask_b32 v2, 0, v2, s17 :: v_dual_cndmask_b32 v14, 1, v12, s19
	v_add_nc_u16 v2, v2, v32
	s_delay_alu instid0(VALU_DEP_1) | instskip(NEXT) | instid1(VALU_DEP_1)
	v_cndmask_b32_e64 v2, 0, v2, s16
	v_add_nc_u16 v2, v2, v31
	s_delay_alu instid0(VALU_DEP_1) | instskip(NEXT) | instid1(VALU_DEP_1)
	v_cndmask_b32_e64 v2, 0, v2, s15
	;; [unrolled: 3-line block ×17, first 2 shown]
	v_add_nc_u16 v13, v2, v11
	ds_store_b16 v4, v13
	ds_store_b8 v4, v14 offset:2
	s_wait_dscnt 0x0
	s_barrier_signal -1
	s_barrier_wait -1
	s_and_saveexec_b32 s20, vcc_lo
	s_cbranch_execz .LBB317_151
; %bb.140:
	v_and_b32_e32 v2, 0xfc, v0
	v_lshlrev_b32_e32 v3, 5, v0
	s_mov_b32 s21, exec_lo
	s_delay_alu instid0(VALU_DEP_1)
	v_add_nc_u32_e32 v2, v2, v3
	ds_load_u8 v4, v2 offset:6
	ds_load_b32 v3, v2
	ds_load_u16 v5, v2 offset:4
	ds_load_u8 v6, v2 offset:10
	ds_load_u16 v7, v2 offset:8
	ds_load_u16 v8, v2 offset:12
	ds_load_u8 v9, v2 offset:14
	ds_load_u16 v15, v2 offset:16
	s_wait_dscnt 0x7
	v_cmp_eq_u16_e64 s19, 0, v4
	s_wait_dscnt 0x4
	s_delay_alu instid0(VALU_DEP_1) | instskip(SKIP_1) | instid1(VALU_DEP_2)
	v_dual_cndmask_b32 v34, 0, v3, s19 :: v_dual_bitop2_b32 v4, v6, v4 bitop3:0x54
	v_cmp_eq_u16_e64 s19, 0, v6
	v_add_nc_u16 v5, v34, v5
	ds_load_u8 v34, v2 offset:18
	v_cndmask_b32_e64 v5, 0, v5, s19
	s_wait_dscnt 0x2
	v_cmp_eq_u16_e64 s19, 0, v9
	s_delay_alu instid0(VALU_DEP_2) | instskip(SKIP_2) | instid1(VALU_DEP_1)
	v_add_nc_u16 v5, v5, v7
	ds_load_u8 v7, v2 offset:22
	v_cndmask_b32_e64 v5, 0, v5, s19
	v_add_nc_u16 v5, v5, v8
	ds_load_u16 v8, v2 offset:20
	ds_load_u16 v35, v2 offset:24
	ds_load_u8 v36, v2 offset:26
	ds_load_u16 v37, v2 offset:28
	ds_load_u8 v38, v2 offset:30
	s_wait_dscnt 0x6
	v_cmp_eq_u16_e64 s19, 0, v34
	v_bitop3_b16 v6, v4, v34, v9 bitop3:0xfe
	v_and_b32_e32 v4, 0x10000, v3
	s_delay_alu instid0(VALU_DEP_3)
	v_cndmask_b32_e64 v5, 0, v5, s19
	s_wait_dscnt 0x5
	v_cmp_eq_u16_e64 s19, 0, v7
	s_wait_dscnt 0x2
	v_bitop3_b16 v6, v6, v36, v7 bitop3:0xfe
	s_wait_dscnt 0x0
	v_and_b32_e32 v7, 1, v38
	v_add_nc_u16 v5, v5, v15
	s_delay_alu instid0(VALU_DEP_1) | instskip(SKIP_1) | instid1(VALU_DEP_2)
	v_cndmask_b32_e64 v5, 0, v5, s19
	v_cmp_eq_u16_e64 s19, 0, v36
	v_add_nc_u16 v5, v5, v8
	s_delay_alu instid0(VALU_DEP_1) | instskip(SKIP_1) | instid1(VALU_DEP_2)
	v_cndmask_b32_e64 v5, 0, v5, s19
	v_cmp_eq_u16_e64 s19, 0, v38
	;; [unrolled: 4-line block ×3, first 2 shown]
	v_add_nc_u16 v6, v5, v37
	s_delay_alu instid0(VALU_DEP_2) | instskip(SKIP_4) | instid1(VALU_DEP_4)
	v_cndmask_b32_e64 v8, 0x10000, v4, s19
	v_cmp_eq_u32_e64 s19, 1, v7
	v_and_b32_e32 v5, 0xff000000, v3
	v_mbcnt_lo_u32_b32 v7, -1, 0
	v_and_b32_e32 v9, 0xffff, v6
	v_cndmask_b32_e64 v8, v8, 0x10000, s19
	s_delay_alu instid0(VALU_DEP_1) | instskip(NEXT) | instid1(VALU_DEP_3)
	v_or_b32_e32 v15, v8, v5
	v_or3_b32 v34, v5, v9, v8
	v_and_b32_e32 v8, 15, v7
	s_delay_alu instid0(VALU_DEP_3) | instskip(NEXT) | instid1(VALU_DEP_3)
	v_lshrrev_b32_e32 v9, 16, v15
	v_mov_b32_dpp v35, v34 row_shr:1 row_mask:0xf bank_mask:0xf
	s_delay_alu instid0(VALU_DEP_3)
	v_cmpx_ne_u32_e32 0, v8
	s_cbranch_execz .LBB317_142
; %bb.141:
	s_delay_alu instid0(VALU_DEP_2) | instskip(SKIP_2) | instid1(VALU_DEP_3)
	v_lshrrev_b32_e32 v34, 16, v35
	v_lshrrev_b32_e32 v9, 16, v15
	v_and_b32_e32 v15, 0x10000, v15
	v_and_b32_e32 v34, 1, v34
	s_delay_alu instid0(VALU_DEP_3) | instskip(NEXT) | instid1(VALU_DEP_1)
	v_and_b32_e32 v9, 0xff, v9
	v_cmp_eq_u16_e64 s19, 0, v9
	s_delay_alu instid0(VALU_DEP_1) | instskip(SKIP_1) | instid1(VALU_DEP_2)
	v_cndmask_b32_e64 v35, 0, v35, s19
	v_cmp_ne_u32_e64 s19, 0, v15
	v_add_nc_u16 v6, v35, v6
	s_delay_alu instid0(VALU_DEP_2) | instskip(NEXT) | instid1(VALU_DEP_2)
	v_cndmask_b32_e64 v9, v34, 1, s19
	v_and_b32_e32 v34, 0xffff, v6
	s_delay_alu instid0(VALU_DEP_2) | instskip(NEXT) | instid1(VALU_DEP_1)
	v_lshlrev_b32_e32 v15, 16, v9
	v_or3_b32 v34, v15, v34, v5
.LBB317_142:
	s_or_b32 exec_lo, exec_lo, s21
	s_delay_alu instid0(VALU_DEP_1)
	v_lshrrev_b32_e32 v15, 16, v34
	v_mov_b32_dpp v35, v34 row_shr:2 row_mask:0xf bank_mask:0xf
	s_mov_b32 s21, exec_lo
	v_cmpx_lt_u32_e32 1, v8
	s_cbranch_execz .LBB317_144
; %bb.143:
	v_and_b32_e32 v15, 0xff, v15
	v_and_b32_e32 v34, 0x10000, v34
	s_delay_alu instid0(VALU_DEP_2) | instskip(NEXT) | instid1(VALU_DEP_1)
	v_cmp_eq_u16_e64 s19, 0, v15
	v_dual_lshrrev_b32 v9, 16, v35 :: v_dual_cndmask_b32 v15, 0, v35, s19
	s_delay_alu instid0(VALU_DEP_1) | instskip(NEXT) | instid1(VALU_DEP_4)
	v_and_b32_e32 v9, 1, v9
	v_cmp_ne_u32_e64 s19, 0, v34
	s_delay_alu instid0(VALU_DEP_3) | instskip(NEXT) | instid1(VALU_DEP_2)
	v_add_nc_u16 v6, v15, v6
	v_cndmask_b32_e64 v9, v9, 1, s19
	s_delay_alu instid0(VALU_DEP_2) | instskip(NEXT) | instid1(VALU_DEP_2)
	v_and_b32_e32 v34, 0xffff, v6
	v_lshlrev_b32_e32 v15, 16, v9
	s_delay_alu instid0(VALU_DEP_1)
	v_or3_b32 v34, v15, v34, v5
	v_mov_b32_e32 v15, v9
.LBB317_144:
	s_or_b32 exec_lo, exec_lo, s21
	s_delay_alu instid0(VALU_DEP_2)
	v_mov_b32_dpp v35, v34 row_shr:4 row_mask:0xf bank_mask:0xf
	s_mov_b32 s21, exec_lo
	v_cmpx_lt_u32_e32 3, v8
	s_cbranch_execz .LBB317_146
; %bb.145:
	v_and_b32_e32 v34, 0xff, v15
	v_and_b32_e32 v15, 1, v15
	s_delay_alu instid0(VALU_DEP_2) | instskip(NEXT) | instid1(VALU_DEP_1)
	v_cmp_eq_u16_e64 s19, 0, v34
	v_dual_lshrrev_b32 v9, 16, v35 :: v_dual_cndmask_b32 v34, 0, v35, s19
	s_delay_alu instid0(VALU_DEP_1) | instskip(NEXT) | instid1(VALU_DEP_4)
	v_and_b32_e32 v9, 1, v9
	v_cmp_eq_u32_e64 s19, 1, v15
	s_delay_alu instid0(VALU_DEP_3) | instskip(NEXT) | instid1(VALU_DEP_2)
	v_add_nc_u16 v6, v34, v6
	v_cndmask_b32_e64 v9, v9, 1, s19
	s_delay_alu instid0(VALU_DEP_2) | instskip(NEXT) | instid1(VALU_DEP_2)
	v_and_b32_e32 v34, 0xffff, v6
	v_lshlrev_b32_e32 v15, 16, v9
	s_delay_alu instid0(VALU_DEP_1)
	v_or3_b32 v34, v15, v34, v5
	v_mov_b32_e32 v15, v9
.LBB317_146:
	s_or_b32 exec_lo, exec_lo, s21
	s_delay_alu instid0(VALU_DEP_2)
	v_mov_b32_dpp v35, v34 row_shr:8 row_mask:0xf bank_mask:0xf
	s_mov_b32 s21, exec_lo
	v_cmpx_lt_u32_e32 7, v8
	s_cbranch_execz .LBB317_148
; %bb.147:
	v_and_b32_e32 v9, 0xff, v15
	v_and_b32_e32 v15, 1, v15
	s_delay_alu instid0(VALU_DEP_2) | instskip(NEXT) | instid1(VALU_DEP_1)
	v_cmp_eq_u16_e64 s19, 0, v9
	v_dual_lshrrev_b32 v8, 16, v35 :: v_dual_cndmask_b32 v34, 0, v35, s19
	s_delay_alu instid0(VALU_DEP_1) | instskip(NEXT) | instid1(VALU_DEP_4)
	v_and_b32_e32 v8, 1, v8
	v_cmp_eq_u32_e64 s19, 1, v15
	s_delay_alu instid0(VALU_DEP_3) | instskip(NEXT) | instid1(VALU_DEP_2)
	v_add_nc_u16 v6, v34, v6
	v_cndmask_b32_e64 v9, v8, 1, s19
	s_delay_alu instid0(VALU_DEP_2) | instskip(NEXT) | instid1(VALU_DEP_2)
	v_and_b32_e32 v15, 0xffff, v6
	v_lshlrev_b32_e32 v8, 16, v9
	s_delay_alu instid0(VALU_DEP_1)
	v_or3_b32 v34, v8, v15, v5
	v_mov_b32_e32 v15, v9
.LBB317_148:
	s_or_b32 exec_lo, exec_lo, s21
	ds_swizzle_b32 v8, v34 offset:swizzle(BROADCAST,32,15)
	v_and_b32_e32 v34, 16, v7
	s_mov_b32 s21, exec_lo
	s_delay_alu instid0(VALU_DEP_1)
	v_cmpx_ne_u32_e32 0, v34
	s_cbranch_execz .LBB317_150
; %bb.149:
	v_and_b32_e32 v9, 0xff, v15
	s_delay_alu instid0(VALU_DEP_1) | instskip(SKIP_2) | instid1(VALU_DEP_1)
	v_cmp_eq_u16_e64 s19, 0, v9
	s_wait_dscnt 0x0
	v_dual_lshrrev_b32 v34, 16, v8 :: v_dual_bitop2_b32 v9, 1, v15 bitop3:0x40
	v_dual_cndmask_b32 v8, 0, v8, s19 :: v_dual_bitop2_b32 v15, 1, v34 bitop3:0x40
	s_delay_alu instid0(VALU_DEP_2) | instskip(NEXT) | instid1(VALU_DEP_2)
	v_cmp_eq_u32_e64 s19, 1, v9
	v_add_nc_u16 v6, v8, v6
	s_delay_alu instid0(VALU_DEP_2)
	v_cndmask_b32_e64 v9, v15, 1, s19
.LBB317_150:
	s_or_b32 exec_lo, exec_lo, s21
	s_wait_dscnt 0x0
	s_delay_alu instid0(VALU_DEP_1) | instskip(SKIP_2) | instid1(VALU_DEP_3)
	v_and_b32_e32 v8, 0xff, v9
	v_add_nc_u32_e32 v9, -1, v7
	v_and_b32_e32 v6, 0xffff, v6
	; wave barrier
	v_lshlrev_b32_e32 v8, 16, v8
	s_delay_alu instid0(VALU_DEP_3) | instskip(NEXT) | instid1(VALU_DEP_2)
	v_cmp_gt_i32_e64 s19, 0, v9
	v_or3_b32 v5, v8, v6, v5
	s_delay_alu instid0(VALU_DEP_2) | instskip(NEXT) | instid1(VALU_DEP_1)
	v_cndmask_b32_e64 v7, v9, v7, s19
	v_lshlrev_b32_e32 v6, 2, v7
	ds_bpermute_b32 v5, v6, v5
	v_and_b32_e32 v6, 0xff0000, v3
	s_delay_alu instid0(VALU_DEP_1) | instskip(SKIP_1) | instid1(VALU_DEP_1)
	v_cmp_eq_u32_e64 s19, 0, v6
	s_wait_dscnt 0x0
	v_dual_lshrrev_b32 v7, 16, v5 :: v_dual_cndmask_b32 v5, 0, v5, s19
	v_cmp_eq_u32_e64 s19, 0, v4
	s_delay_alu instid0(VALU_DEP_2) | instskip(NEXT) | instid1(VALU_DEP_3)
	v_add_nc_u16 v3, v5, v3
	v_and_b32_e32 v6, 1, v7
	s_delay_alu instid0(VALU_DEP_1) | instskip(SKIP_1) | instid1(VALU_DEP_1)
	v_cndmask_b32_e64 v4, 1, v6, s19
	v_cmp_eq_u32_e64 s19, 0, v0
	v_dual_cndmask_b32 v3, v3, v13, s19 :: v_dual_cndmask_b32 v4, v4, v14, s19
	ds_store_b16 v2, v3
	ds_store_b8 v2, v4 offset:2
	; wave barrier
	ds_load_u8 v5, v2 offset:6
	ds_load_u16 v6, v2 offset:4
	ds_load_u8 v7, v2 offset:10
	ds_load_u16 v8, v2 offset:8
	ds_load_u16 v9, v2 offset:12
	ds_load_u8 v15, v2 offset:14
	ds_load_u16 v34, v2 offset:16
	ds_load_u8 v35, v2 offset:18
	s_wait_dscnt 0x7
	v_cmp_eq_u16_e64 s19, 0, v5
	s_delay_alu instid0(VALU_DEP_1) | instskip(SKIP_2) | instid1(VALU_DEP_2)
	v_cndmask_b32_e64 v3, 0, v3, s19
	s_wait_dscnt 0x5
	v_cmp_eq_u16_e64 s19, 0, v7
	v_add_nc_u16 v3, v3, v6
	s_delay_alu instid0(VALU_DEP_1) | instskip(SKIP_2) | instid1(VALU_DEP_2)
	v_cndmask_b32_e64 v6, 0, v3, s19
	s_wait_dscnt 0x2
	v_cmp_eq_u16_e64 s19, 0, v15
	v_add_nc_u16 v6, v6, v8
	v_and_b32_e32 v5, 1, v5
	ds_load_u8 v8, v2 offset:22
	ds_load_u16 v37, v2 offset:20
	ds_load_u8 v38, v2 offset:26
	ds_load_u8 v39, v2 offset:30
	v_cndmask_b32_e64 v36, 0, v6, s19
	v_cmp_eq_u32_e64 s19, 1, v5
	v_and_b32_e32 v5, 1, v15
	s_delay_alu instid0(VALU_DEP_3) | instskip(NEXT) | instid1(VALU_DEP_3)
	v_add_nc_u16 v9, v36, v9
	v_cndmask_b32_e64 v4, v4, 1, s19
	s_wait_dscnt 0x4
	v_cmp_eq_u16_e64 s19, 0, v35
	v_and_b32_e32 v7, 1, v7
	ds_load_u16 v36, v2 offset:24
	ds_load_u16 v40, v2 offset:28
	v_cndmask_b32_e64 v15, 0, v9, s19
	v_cmp_eq_u32_e64 s19, 1, v7
	s_delay_alu instid0(VALU_DEP_2) | instskip(NEXT) | instid1(VALU_DEP_2)
	v_add_nc_u16 v15, v15, v34
	v_cndmask_b32_e64 v7, v4, 1, s19
	v_cmp_eq_u32_e64 s19, 1, v5
	v_and_b32_e32 v34, 1, v35
	s_wait_dscnt 0x2
	v_and_b32_e32 v41, 1, v39
	s_delay_alu instid0(VALU_DEP_3) | instskip(SKIP_1) | instid1(VALU_DEP_1)
	v_cndmask_b32_e64 v5, v7, 1, s19
	v_cmp_eq_u16_e64 s19, 0, v8
	v_dual_cndmask_b32 v35, 0, v15, s19 :: v_dual_bitop2_b32 v8, 1, v8 bitop3:0x40
	v_cmp_eq_u32_e64 s19, 1, v34
	s_delay_alu instid0(VALU_DEP_2) | instskip(NEXT) | instid1(VALU_DEP_2)
	v_add_nc_u16 v35, v35, v37
	v_cndmask_b32_e64 v34, v5, 1, s19
	s_delay_alu instid0(VALU_DEP_4)
	v_cmp_eq_u32_e64 s19, 1, v8
	v_and_b32_e32 v37, 1, v38
	ds_store_b16 v2, v3 offset:4
	ds_store_b8 v2, v4 offset:6
	ds_store_b16 v2, v6 offset:8
	ds_store_b8 v2, v7 offset:10
	;; [unrolled: 2-line block ×4, first 2 shown]
	v_cndmask_b32_e64 v8, v34, 1, s19
	v_cmp_eq_u16_e64 s19, 0, v38
	s_delay_alu instid0(VALU_DEP_1) | instskip(SKIP_2) | instid1(VALU_DEP_2)
	v_cndmask_b32_e64 v38, 0, v35, s19
	v_cmp_eq_u32_e64 s19, 1, v37
	s_wait_dscnt 0x9
	v_add_nc_u16 v36, v38, v36
	s_delay_alu instid0(VALU_DEP_2) | instskip(SKIP_1) | instid1(VALU_DEP_1)
	v_cndmask_b32_e64 v37, v8, 1, s19
	v_cmp_eq_u32_e64 s19, 1, v41
	v_cndmask_b32_e64 v38, v37, 1, s19
	v_cmp_eq_u16_e64 s19, 0, v39
	s_delay_alu instid0(VALU_DEP_1) | instskip(SKIP_1) | instid1(VALU_DEP_1)
	v_cndmask_b32_e64 v39, 0, v36, s19
	s_wait_dscnt 0x8
	v_add_nc_u16 v3, v39, v40
	ds_store_b16 v2, v35 offset:20
	ds_store_b8 v2, v8 offset:22
	ds_store_b16 v2, v36 offset:24
	ds_store_b8 v2, v37 offset:26
	;; [unrolled: 2-line block ×3, first 2 shown]
.LBB317_151:
	s_or_b32 exec_lo, exec_lo, s20
	v_cmp_eq_u32_e64 s19, 0, v0
	s_mov_b32 s21, exec_lo
	s_wait_dscnt 0x0
	s_barrier_signal -1
	s_barrier_wait -1
	v_cmpx_ne_u32_e32 0, v0
	s_cbranch_execz .LBB317_153
; %bb.152:
	v_add_nc_u32_e32 v2, -1, v0
	s_delay_alu instid0(VALU_DEP_1) | instskip(NEXT) | instid1(VALU_DEP_1)
	v_lshrrev_b32_e32 v3, 3, v2
	v_and_b32_e32 v3, 0x1ffffffc, v3
	s_delay_alu instid0(VALU_DEP_1)
	v_lshl_add_u32 v2, v2, 2, v3
	ds_load_u16 v13, v2
	ds_load_u8 v14, v2 offset:2
.LBB317_153:
	s_or_b32 exec_lo, exec_lo, s21
	s_and_saveexec_b32 s21, vcc_lo
	s_cbranch_execz .LBB317_265
; %bb.154:
	v_mov_b32_e32 v9, 0
	v_mbcnt_lo_u32_b32 v15, -1, 0
	ds_load_b32 v2, v9 offset:1048
	v_cmp_eq_u32_e64 s20, 0, v15
	s_and_saveexec_b32 s30, s20
	s_cbranch_execz .LBB317_156
; %bb.155:
	s_add_co_i32 s31, s28, 32
	s_delay_alu instid0(SALU_CYCLE_1)
	v_dual_mov_b32 v3, 1 :: v_dual_mov_b32 v4, s31
	s_wait_dscnt 0x0
	global_store_b64 v4, v[2:3], s[36:37] scale_offset scope:SCOPE_DEV
.LBB317_156:
	s_wait_xcnt 0x0
	s_or_b32 exec_lo, exec_lo, s30
	v_xad_u32 v4, v15, -1, s28
	s_mov_b32 s30, exec_lo
	s_delay_alu instid0(VALU_DEP_1) | instskip(SKIP_4) | instid1(VALU_DEP_1)
	v_add_nc_u32_e32 v8, 32, v4
	global_load_b64 v[6:7], v8, s[36:37] scale_offset scope:SCOPE_DEV
	s_wait_loadcnt 0x0
	v_and_b32_e32 v3, 0xff, v7
	s_wait_xcnt 0x0
	v_cmpx_eq_u16_e32 0, v3
	s_cbranch_execz .LBB317_160
; %bb.157:
	v_lshl_add_u64 v[8:9], v[8:9], 3, s[36:37]
	s_mov_b32 s31, 0
.LBB317_158:                            ; =>This Inner Loop Header: Depth=1
	global_load_b64 v[6:7], v[8:9], off scope:SCOPE_DEV
	s_wait_loadcnt 0x0
	v_and_b32_e32 v3, 0xff, v7
	s_delay_alu instid0(VALU_DEP_1)
	v_cmp_ne_u16_e32 vcc_lo, 0, v3
	s_or_b32 s31, vcc_lo, s31
	s_wait_xcnt 0x0
	s_and_not1_b32 exec_lo, exec_lo, s31
	s_cbranch_execnz .LBB317_158
; %bb.159:
	s_or_b32 exec_lo, exec_lo, s31
.LBB317_160:
	s_delay_alu instid0(SALU_CYCLE_1)
	s_or_b32 exec_lo, exec_lo, s30
	v_cmp_ne_u32_e32 vcc_lo, 31, v15
	v_and_b32_e32 v42, 0xffffff, v6
	v_and_b32_e32 v5, 0xff, v7
	v_lshlrev_b32_e64 v34, v15, -1
	v_bfe_u32 v9, v6, 16, 8
	v_add_co_ci_u32_e64 v3, null, 0, v15, vcc_lo
	s_delay_alu instid0(VALU_DEP_4) | instskip(SKIP_1) | instid1(VALU_DEP_2)
	v_cmp_eq_u16_e32 vcc_lo, 2, v5
	s_mov_b32 s30, exec_lo
	v_dual_lshrrev_b32 v8, 16, v6 :: v_dual_lshlrev_b32 v3, 2, v3
	v_and_or_b32 v5, vcc_lo, v34, 0x80000000
	ds_bpermute_b32 v35, v3, v42
	v_ctz_i32_b32_e32 v5, v5
	s_delay_alu instid0(VALU_DEP_1)
	v_cmpx_lt_u32_e64 v15, v5
	s_cbranch_execz .LBB317_162
; %bb.161:
	v_and_b32_e32 v8, 0xff0000, v6
	s_delay_alu instid0(VALU_DEP_1) | instskip(SKIP_3) | instid1(VALU_DEP_1)
	v_and_b32_e32 v36, 0x10000, v8
	v_cmp_eq_u32_e32 vcc_lo, 0, v8
	s_wait_dscnt 0x0
	v_dual_lshrrev_b32 v9, 16, v35 :: v_dual_cndmask_b32 v35, 0, v35, vcc_lo
	v_and_b32_e32 v9, 1, v9
	v_cmp_ne_u32_e32 vcc_lo, 0, v36
	s_delay_alu instid0(VALU_DEP_3) | instskip(NEXT) | instid1(VALU_DEP_3)
	v_add_nc_u16 v6, v35, v6
	v_cndmask_b32_e64 v8, v9, 1, vcc_lo
	s_delay_alu instid0(VALU_DEP_2) | instskip(NEXT) | instid1(VALU_DEP_2)
	v_and_b32_e32 v35, 0xffff, v6
	v_lshlrev_b32_e32 v9, 16, v8
	s_delay_alu instid0(VALU_DEP_1)
	v_dual_mov_b32 v9, v8 :: v_dual_bitop2_b32 v42, v9, v35 bitop3:0x54
.LBB317_162:
	s_or_b32 exec_lo, exec_lo, s30
	v_cmp_gt_u32_e32 vcc_lo, 30, v15
	v_add_nc_u32_e32 v36, 2, v15
	s_mov_b32 s30, exec_lo
	s_wait_dscnt 0x0
	v_cndmask_b32_e64 v35, 0, 2, vcc_lo
	s_delay_alu instid0(VALU_DEP_1)
	v_add_lshl_u32 v35, v35, v15, 2
	ds_bpermute_b32 v37, v35, v42
	v_cmpx_le_u32_e64 v36, v5
	s_cbranch_execz .LBB317_164
; %bb.163:
	v_cmp_eq_u16_e32 vcc_lo, 0, v9
	s_wait_dscnt 0x0
	v_lshrrev_b32_e32 v8, 16, v37
	v_and_b32_e32 v9, 1, v9
	s_delay_alu instid0(VALU_DEP_2) | instskip(NEXT) | instid1(VALU_DEP_2)
	v_dual_cndmask_b32 v37, 0, v37, vcc_lo :: v_dual_bitop2_b32 v8, 1, v8 bitop3:0x40
	v_cmp_eq_u32_e32 vcc_lo, 1, v9
	s_delay_alu instid0(VALU_DEP_2) | instskip(NEXT) | instid1(VALU_DEP_3)
	v_add_nc_u16 v6, v37, v6
	v_cndmask_b32_e64 v8, v8, 1, vcc_lo
	s_delay_alu instid0(VALU_DEP_2) | instskip(NEXT) | instid1(VALU_DEP_2)
	v_and_b32_e32 v9, 0xffff, v6
	v_lshlrev_b32_e32 v37, 16, v8
	s_delay_alu instid0(VALU_DEP_1)
	v_dual_mov_b32 v9, v8 :: v_dual_bitop2_b32 v42, v37, v9 bitop3:0x54
.LBB317_164:
	s_or_b32 exec_lo, exec_lo, s30
	v_cmp_gt_u32_e32 vcc_lo, 28, v15
	v_add_nc_u32_e32 v38, 4, v15
	s_mov_b32 s30, exec_lo
	s_wait_dscnt 0x0
	v_cndmask_b32_e64 v37, 0, 4, vcc_lo
	s_delay_alu instid0(VALU_DEP_1)
	v_add_lshl_u32 v37, v37, v15, 2
	ds_bpermute_b32 v39, v37, v42
	v_cmpx_le_u32_e64 v38, v5
	s_cbranch_execz .LBB317_166
; %bb.165:
	v_cmp_eq_u16_e32 vcc_lo, 0, v9
	s_wait_dscnt 0x0
	v_dual_lshrrev_b32 v8, 16, v39 :: v_dual_bitop2_b32 v9, 1, v9 bitop3:0x40
	s_delay_alu instid0(VALU_DEP_1) | instskip(NEXT) | instid1(VALU_DEP_2)
	v_dual_cndmask_b32 v39, 0, v39, vcc_lo :: v_dual_bitop2_b32 v8, 1, v8 bitop3:0x40
	v_cmp_eq_u32_e32 vcc_lo, 1, v9
	s_delay_alu instid0(VALU_DEP_2) | instskip(NEXT) | instid1(VALU_DEP_3)
	v_add_nc_u16 v6, v39, v6
	v_cndmask_b32_e64 v8, v8, 1, vcc_lo
	s_delay_alu instid0(VALU_DEP_2) | instskip(NEXT) | instid1(VALU_DEP_2)
	v_and_b32_e32 v9, 0xffff, v6
	v_lshlrev_b32_e32 v39, 16, v8
	s_delay_alu instid0(VALU_DEP_1)
	v_dual_mov_b32 v9, v8 :: v_dual_bitop2_b32 v42, v39, v9 bitop3:0x54
.LBB317_166:
	s_or_b32 exec_lo, exec_lo, s30
	v_cmp_gt_u32_e32 vcc_lo, 24, v15
	v_add_nc_u32_e32 v40, 8, v15
	s_mov_b32 s30, exec_lo
	s_wait_dscnt 0x0
	v_cndmask_b32_e64 v39, 0, 8, vcc_lo
	s_delay_alu instid0(VALU_DEP_1)
	v_add_lshl_u32 v39, v39, v15, 2
	ds_bpermute_b32 v41, v39, v42
	v_cmpx_le_u32_e64 v40, v5
	s_cbranch_execz .LBB317_168
; %bb.167:
	v_cmp_eq_u16_e32 vcc_lo, 0, v9
	s_wait_dscnt 0x0
	v_lshrrev_b32_e32 v8, 16, v41
	v_and_b32_e32 v9, 1, v9
	s_delay_alu instid0(VALU_DEP_2) | instskip(NEXT) | instid1(VALU_DEP_2)
	v_dual_cndmask_b32 v41, 0, v41, vcc_lo :: v_dual_bitop2_b32 v8, 1, v8 bitop3:0x40
	v_cmp_eq_u32_e32 vcc_lo, 1, v9
	s_delay_alu instid0(VALU_DEP_2) | instskip(NEXT) | instid1(VALU_DEP_3)
	v_add_nc_u16 v6, v41, v6
	v_cndmask_b32_e64 v8, v8, 1, vcc_lo
	s_delay_alu instid0(VALU_DEP_2) | instskip(NEXT) | instid1(VALU_DEP_2)
	v_and_b32_e32 v9, 0xffff, v6
	v_lshlrev_b32_e32 v41, 16, v8
	s_delay_alu instid0(VALU_DEP_1)
	v_dual_mov_b32 v9, v8 :: v_dual_bitop2_b32 v42, v41, v9 bitop3:0x54
.LBB317_168:
	s_or_b32 exec_lo, exec_lo, s30
	s_wait_dscnt 0x0
	v_lshl_or_b32 v41, v15, 2, 64
	v_add_nc_u32_e32 v47, 16, v15
	s_mov_b32 s30, exec_lo
	ds_bpermute_b32 v42, v41, v42
	v_cmpx_le_u32_e64 v47, v5
	s_cbranch_execz .LBB317_170
; %bb.169:
	v_cmp_eq_u16_e32 vcc_lo, 0, v9
	s_wait_dscnt 0x0
	v_dual_lshrrev_b32 v5, 16, v42 :: v_dual_bitop2_b32 v9, 1, v9 bitop3:0x40
	s_delay_alu instid0(VALU_DEP_1) | instskip(NEXT) | instid1(VALU_DEP_2)
	v_dual_cndmask_b32 v8, 0, v42, vcc_lo :: v_dual_bitop2_b32 v5, 1, v5 bitop3:0x40
	v_cmp_eq_u32_e32 vcc_lo, 1, v9
	s_delay_alu instid0(VALU_DEP_2) | instskip(NEXT) | instid1(VALU_DEP_3)
	v_add_nc_u16 v6, v8, v6
	v_cndmask_b32_e64 v8, v5, 1, vcc_lo
.LBB317_170:
	s_or_b32 exec_lo, exec_lo, s30
	v_mov_b32_e32 v5, 0
	s_branch .LBB317_173
.LBB317_171:                            ;   in Loop: Header=BB317_173 Depth=1
	s_or_b32 exec_lo, exec_lo, s30
	v_and_b32_e32 v8, 0xff, v42
	v_subrev_nc_u32_e32 v4, 32, v4
	s_mov_b32 s30, 0
	v_and_b32_e32 v9, 1, v9
	s_delay_alu instid0(VALU_DEP_3) | instskip(SKIP_2) | instid1(VALU_DEP_2)
	v_cmp_eq_u16_e32 vcc_lo, 0, v8
	v_and_b32_e32 v8, 1, v42
	v_cndmask_b32_e32 v6, 0, v6, vcc_lo
	v_cmp_eq_u32_e32 vcc_lo, 1, v8
	s_delay_alu instid0(VALU_DEP_2)
	v_add_nc_u16 v6, v6, v48
	v_cndmask_b32_e64 v8, v9, 1, vcc_lo
.LBB317_172:                            ;   in Loop: Header=BB317_173 Depth=1
	s_and_b32 vcc_lo, exec_lo, s30
	s_cbranch_vccnz .LBB317_261
.LBB317_173:                            ; =>This Loop Header: Depth=1
                                        ;     Child Loop BB317_176 Depth 2
	v_and_b32_e32 v7, 0xff, v7
	s_wait_dscnt 0x0
	v_dual_mov_b32 v42, v8 :: v_dual_mov_b32 v48, v6
	s_mov_b32 s30, -1
                                        ; implicit-def: $vgpr8
	s_delay_alu instid0(VALU_DEP_2)
	v_cmp_ne_u16_e32 vcc_lo, 2, v7
                                        ; implicit-def: $vgpr6
	s_cmp_lg_u32 vcc_lo, exec_lo
	s_cbranch_scc1 .LBB317_172
; %bb.174:                              ;   in Loop: Header=BB317_173 Depth=1
	global_load_b64 v[6:7], v4, s[36:37] scale_offset scope:SCOPE_DEV
	s_mov_b32 s30, exec_lo
	s_wait_loadcnt 0x0
	v_and_b32_e32 v8, 0xff, v7
	s_wait_xcnt 0x0
	s_delay_alu instid0(VALU_DEP_1)
	v_cmpx_eq_u16_e32 0, v8
	s_cbranch_execz .LBB317_178
; %bb.175:                              ;   in Loop: Header=BB317_173 Depth=1
	v_lshl_add_u64 v[8:9], v[4:5], 3, s[36:37]
	s_mov_b32 s31, 0
.LBB317_176:                            ;   Parent Loop BB317_173 Depth=1
                                        ; =>  This Inner Loop Header: Depth=2
	global_load_b64 v[6:7], v[8:9], off scope:SCOPE_DEV
	s_wait_loadcnt 0x0
	v_and_b32_e32 v49, 0xff, v7
	s_delay_alu instid0(VALU_DEP_1)
	v_cmp_ne_u16_e32 vcc_lo, 0, v49
	s_or_b32 s31, vcc_lo, s31
	s_wait_xcnt 0x0
	s_and_not1_b32 exec_lo, exec_lo, s31
	s_cbranch_execnz .LBB317_176
; %bb.177:                              ;   in Loop: Header=BB317_173 Depth=1
	s_or_b32 exec_lo, exec_lo, s31
.LBB317_178:                            ;   in Loop: Header=BB317_173 Depth=1
	s_delay_alu instid0(SALU_CYCLE_1)
	s_or_b32 exec_lo, exec_lo, s30
	v_and_b32_e32 v50, 0xffffff, v6
	v_and_b32_e32 v8, 0xff, v7
	v_lshrrev_b32_e32 v9, 16, v6
	v_bfe_u32 v49, v6, 16, 8
	s_mov_b32 s30, exec_lo
	ds_bpermute_b32 v51, v3, v50
	v_cmp_eq_u16_e32 vcc_lo, 2, v8
	v_and_or_b32 v8, vcc_lo, v34, 0x80000000
	s_delay_alu instid0(VALU_DEP_1) | instskip(NEXT) | instid1(VALU_DEP_1)
	v_ctz_i32_b32_e32 v8, v8
	v_cmpx_lt_u32_e64 v15, v8
	s_cbranch_execz .LBB317_180
; %bb.179:                              ;   in Loop: Header=BB317_173 Depth=1
	v_and_b32_e32 v9, 0xff0000, v6
	s_delay_alu instid0(VALU_DEP_1) | instskip(SKIP_3) | instid1(VALU_DEP_1)
	v_and_b32_e32 v50, 0x10000, v9
	v_cmp_eq_u32_e32 vcc_lo, 0, v9
	s_wait_dscnt 0x0
	v_dual_lshrrev_b32 v49, 16, v51 :: v_dual_cndmask_b32 v51, 0, v51, vcc_lo
	v_and_b32_e32 v49, 1, v49
	v_cmp_ne_u32_e32 vcc_lo, 0, v50
	s_delay_alu instid0(VALU_DEP_3) | instskip(NEXT) | instid1(VALU_DEP_3)
	v_add_nc_u16 v6, v51, v6
	v_cndmask_b32_e64 v9, v49, 1, vcc_lo
	s_delay_alu instid0(VALU_DEP_2) | instskip(NEXT) | instid1(VALU_DEP_2)
	v_and_b32_e32 v50, 0xffff, v6
	v_lshlrev_b32_e32 v49, 16, v9
	s_delay_alu instid0(VALU_DEP_1)
	v_or_b32_e32 v50, v49, v50
	v_mov_b32_e32 v49, v9
.LBB317_180:                            ;   in Loop: Header=BB317_173 Depth=1
	s_or_b32 exec_lo, exec_lo, s30
	s_wait_dscnt 0x0
	ds_bpermute_b32 v51, v35, v50
	s_mov_b32 s30, exec_lo
	v_cmpx_le_u32_e64 v36, v8
	s_cbranch_execz .LBB317_182
; %bb.181:                              ;   in Loop: Header=BB317_173 Depth=1
	v_cmp_eq_u16_e32 vcc_lo, 0, v49
	s_wait_dscnt 0x0
	v_dual_lshrrev_b32 v9, 16, v51 :: v_dual_bitop2_b32 v49, 1, v49 bitop3:0x40
	s_delay_alu instid0(VALU_DEP_1) | instskip(NEXT) | instid1(VALU_DEP_2)
	v_dual_cndmask_b32 v50, 0, v51, vcc_lo :: v_dual_bitop2_b32 v9, 1, v9 bitop3:0x40
	v_cmp_eq_u32_e32 vcc_lo, 1, v49
	s_delay_alu instid0(VALU_DEP_2) | instskip(NEXT) | instid1(VALU_DEP_3)
	v_add_nc_u16 v6, v50, v6
	v_cndmask_b32_e64 v9, v9, 1, vcc_lo
	s_delay_alu instid0(VALU_DEP_2) | instskip(NEXT) | instid1(VALU_DEP_2)
	v_and_b32_e32 v49, 0xffff, v6
	v_lshlrev_b32_e32 v50, 16, v9
	s_delay_alu instid0(VALU_DEP_1)
	v_dual_mov_b32 v49, v9 :: v_dual_bitop2_b32 v50, v50, v49 bitop3:0x54
.LBB317_182:                            ;   in Loop: Header=BB317_173 Depth=1
	s_or_b32 exec_lo, exec_lo, s30
	s_wait_dscnt 0x0
	ds_bpermute_b32 v51, v37, v50
	s_mov_b32 s30, exec_lo
	v_cmpx_le_u32_e64 v38, v8
	s_cbranch_execz .LBB317_184
; %bb.183:                              ;   in Loop: Header=BB317_173 Depth=1
	v_cmp_eq_u16_e32 vcc_lo, 0, v49
	s_wait_dscnt 0x0
	v_dual_lshrrev_b32 v9, 16, v51 :: v_dual_bitop2_b32 v49, 1, v49 bitop3:0x40
	s_delay_alu instid0(VALU_DEP_1) | instskip(NEXT) | instid1(VALU_DEP_2)
	v_dual_cndmask_b32 v50, 0, v51, vcc_lo :: v_dual_bitop2_b32 v9, 1, v9 bitop3:0x40
	v_cmp_eq_u32_e32 vcc_lo, 1, v49
	s_delay_alu instid0(VALU_DEP_2) | instskip(NEXT) | instid1(VALU_DEP_3)
	v_add_nc_u16 v6, v50, v6
	v_cndmask_b32_e64 v9, v9, 1, vcc_lo
	s_delay_alu instid0(VALU_DEP_2) | instskip(NEXT) | instid1(VALU_DEP_2)
	v_and_b32_e32 v49, 0xffff, v6
	v_lshlrev_b32_e32 v50, 16, v9
	s_delay_alu instid0(VALU_DEP_1)
	v_dual_mov_b32 v49, v9 :: v_dual_bitop2_b32 v50, v50, v49 bitop3:0x54
.LBB317_184:                            ;   in Loop: Header=BB317_173 Depth=1
	;; [unrolled: 22-line block ×3, first 2 shown]
	s_or_b32 exec_lo, exec_lo, s30
	ds_bpermute_b32 v50, v41, v50
	s_mov_b32 s30, exec_lo
	v_cmpx_le_u32_e64 v47, v8
	s_cbranch_execz .LBB317_171
; %bb.187:                              ;   in Loop: Header=BB317_173 Depth=1
	v_cmp_eq_u16_e32 vcc_lo, 0, v49
	s_wait_dscnt 0x0
	v_dual_lshrrev_b32 v49, 16, v50 :: v_dual_bitop2_b32 v9, 1, v49 bitop3:0x40
	v_cndmask_b32_e32 v8, 0, v50, vcc_lo
	s_delay_alu instid0(VALU_DEP_2) | instskip(NEXT) | instid1(VALU_DEP_2)
	v_cmp_eq_u32_e32 vcc_lo, 1, v9
	v_add_nc_u16 v6, v8, v6
	s_delay_alu instid0(VALU_DEP_4)
	v_cndmask_b32_e64 v9, v49, 1, vcc_lo
	s_branch .LBB317_171
.LBB317_188:
                                        ; implicit-def: $vgpr47
                                        ; implicit-def: $vgpr4
                                        ; implicit-def: $vgpr5
                                        ; implicit-def: $vgpr6
                                        ; implicit-def: $vgpr7
                                        ; implicit-def: $vgpr8
                                        ; implicit-def: $vgpr9
                                        ; implicit-def: $vgpr13
                                        ; implicit-def: $vgpr12
                                        ; implicit-def: $vgpr14
                                        ; implicit-def: $vgpr15
                                        ; implicit-def: $vgpr34
                                        ; implicit-def: $vgpr35
                                        ; implicit-def: $vgpr36
                                        ; implicit-def: $vgpr37
                                        ; implicit-def: $vgpr39
                                        ; implicit-def: $vgpr38
                                        ; implicit-def: $vgpr40
                                        ; implicit-def: $vgpr41
                                        ; implicit-def: $vgpr42
	s_cbranch_execnz .LBB317_266
.LBB317_189:
	s_add_nc_u64 s[0:1], s[22:23], s[34:35]
	s_and_b32 vcc_lo, exec_lo, s29
	s_add_nc_u64 s[0:1], s[0:1], s[24:25]
	s_cbranch_vccz .LBB317_285
.LBB317_190:
	v_mul_u32_u24_e32 v1, 20, v0
	s_add_co_i32 s33, s33, s38
	s_mov_b32 s2, exec_lo
	s_delay_alu instid0(VALU_DEP_1)
	v_cmpx_gt_u32_e64 s33, v1
	s_cbranch_execz .LBB317_222
; %bb.191:
	v_or_b32_e32 v2, 1, v1
	s_mov_b32 s3, exec_lo
	s_delay_alu instid0(VALU_DEP_1)
	v_cmpx_gt_u32_e64 s33, v2
	s_cbranch_execz .LBB317_221
; %bb.192:
	v_or_b32_e32 v2, 2, v1
	s_mov_b32 s4, exec_lo
	s_delay_alu instid0(VALU_DEP_1)
	v_cmpx_gt_u32_e64 s33, v2
	s_cbranch_execz .LBB317_220
; %bb.193:
	v_or_b32_e32 v2, 3, v1
	s_mov_b32 s5, exec_lo
	s_delay_alu instid0(VALU_DEP_1)
	v_cmpx_gt_u32_e64 s33, v2
	s_cbranch_execz .LBB317_219
; %bb.194:
	v_add_nc_u32_e32 v2, 4, v1
	s_mov_b32 s6, exec_lo
	s_delay_alu instid0(VALU_DEP_1)
	v_cmpx_gt_u32_e64 s33, v2
	s_cbranch_execz .LBB317_218
; %bb.195:
	v_add_nc_u32_e32 v2, 5, v1
	s_mov_b32 s7, exec_lo
	s_delay_alu instid0(VALU_DEP_1)
	v_cmpx_gt_u32_e64 s33, v2
	s_cbranch_execz .LBB317_217
; %bb.196:
	v_add_nc_u32_e32 v2, 6, v1
	s_mov_b32 s8, exec_lo
	s_delay_alu instid0(VALU_DEP_1)
	v_cmpx_gt_u32_e64 s33, v2
	s_cbranch_execz .LBB317_216
; %bb.197:
	v_add_nc_u32_e32 v2, 7, v1
	s_mov_b32 s9, exec_lo
	s_delay_alu instid0(VALU_DEP_1)
	v_cmpx_gt_u32_e64 s33, v2
	s_cbranch_execz .LBB317_215
; %bb.198:
	v_add_nc_u32_e32 v2, 8, v1
	s_mov_b32 s10, exec_lo
	s_delay_alu instid0(VALU_DEP_1)
	v_cmpx_gt_u32_e64 s33, v2
	s_cbranch_execz .LBB317_214
; %bb.199:
	v_add_nc_u32_e32 v2, 9, v1
	s_mov_b32 s11, exec_lo
	s_delay_alu instid0(VALU_DEP_1)
	v_cmpx_gt_u32_e64 s33, v2
	s_cbranch_execz .LBB317_213
; %bb.200:
	v_add_nc_u32_e32 v2, 10, v1
	s_mov_b32 s12, exec_lo
	s_delay_alu instid0(VALU_DEP_1)
	v_cmpx_gt_u32_e64 s33, v2
	s_cbranch_execz .LBB317_212
; %bb.201:
	v_add_nc_u32_e32 v2, 11, v1
	s_mov_b32 s13, exec_lo
	s_delay_alu instid0(VALU_DEP_1)
	v_cmpx_gt_u32_e64 s33, v2
	s_cbranch_execz .LBB317_211
; %bb.202:
	v_add_nc_u32_e32 v2, 12, v1
	s_mov_b32 s14, exec_lo
	s_delay_alu instid0(VALU_DEP_1)
	v_cmpx_gt_u32_e64 s33, v2
	s_cbranch_execz .LBB317_210
; %bb.203:
	v_add_nc_u32_e32 v2, 13, v1
	s_mov_b32 s15, exec_lo
	s_delay_alu instid0(VALU_DEP_1)
	v_cmpx_gt_u32_e64 s33, v2
	s_cbranch_execz .LBB317_209
; %bb.204:
	v_add_nc_u32_e32 v2, 14, v1
	s_mov_b32 s16, exec_lo
	s_delay_alu instid0(VALU_DEP_1)
	v_cmpx_gt_u32_e64 s33, v2
	s_cbranch_execz .LBB317_208
; %bb.205:
	v_add_nc_u32_e32 v2, 15, v1
	s_mov_b32 s17, exec_lo
	s_delay_alu instid0(VALU_DEP_1)
	v_cmpx_gt_u32_e64 s33, v2
; %bb.206:
	v_add_nc_u32_e32 v2, 16, v1
	s_mov_b32 s18, exec_lo
	s_delay_alu instid0(VALU_DEP_1)
	v_cmpx_gt_u32_e64 s33, v2
	s_or_b32 exec_lo, exec_lo, s18
; %bb.207:
	s_delay_alu instid0(SALU_CYCLE_1)
	s_or_b32 exec_lo, exec_lo, s17
.LBB317_208:
	s_delay_alu instid0(SALU_CYCLE_1)
	s_or_b32 exec_lo, exec_lo, s16
.LBB317_209:
	s_delay_alu instid0(SALU_CYCLE_1)
	s_or_b32 exec_lo, exec_lo, s15
.LBB317_210:
	s_delay_alu instid0(SALU_CYCLE_1)
	s_or_b32 exec_lo, exec_lo, s14
.LBB317_211:
	s_delay_alu instid0(SALU_CYCLE_1)
	s_or_b32 exec_lo, exec_lo, s13
.LBB317_212:
	s_delay_alu instid0(SALU_CYCLE_1)
	s_or_b32 exec_lo, exec_lo, s12
.LBB317_213:
	s_delay_alu instid0(SALU_CYCLE_1)
	s_or_b32 exec_lo, exec_lo, s11
.LBB317_214:
	s_delay_alu instid0(SALU_CYCLE_1)
	s_or_b32 exec_lo, exec_lo, s10
.LBB317_215:
	s_delay_alu instid0(SALU_CYCLE_1)
	s_or_b32 exec_lo, exec_lo, s9
.LBB317_216:
	s_delay_alu instid0(SALU_CYCLE_1)
	s_or_b32 exec_lo, exec_lo, s8
.LBB317_217:
	s_delay_alu instid0(SALU_CYCLE_1)
	s_or_b32 exec_lo, exec_lo, s7
.LBB317_218:
	s_delay_alu instid0(SALU_CYCLE_1)
	s_or_b32 exec_lo, exec_lo, s6
.LBB317_219:
	s_delay_alu instid0(SALU_CYCLE_1)
	s_or_b32 exec_lo, exec_lo, s5
.LBB317_220:
	s_delay_alu instid0(SALU_CYCLE_1)
	s_or_b32 exec_lo, exec_lo, s4
.LBB317_221:
	s_delay_alu instid0(SALU_CYCLE_1)
	s_or_b32 exec_lo, exec_lo, s3
.LBB317_222:
	s_delay_alu instid0(SALU_CYCLE_1)
	s_or_b32 exec_lo, exec_lo, s2
	v_dual_lshlrev_b32 v31, 1, v1 :: v_dual_mov_b32 v11, 0
	v_perm_b32 v3, v13, v9, 0x5040100
	v_perm_b32 v2, v8, v7, 0x5040100
	;; [unrolled: 1-line block ×4, first 2 shown]
	v_mad_i32_i24 v1, 0xffffffda, v0, v31
	v_perm_b32 v19, v39, v37, 0x5040100
	v_perm_b32 v18, v36, v35, 0x5040100
	;; [unrolled: 1-line block ×6, first 2 shown]
	s_wait_storecnt 0x0
	s_barrier_signal -1
	s_barrier_wait -1
	ds_store_2addr_b64 v31, v[16:17], v[2:3] offset1:1
	ds_store_2addr_b64 v31, v[20:21], v[18:19] offset0:2 offset1:3
	ds_store_b64 v31, v[22:23] offset:32
	s_wait_dscnt 0x0
	s_barrier_signal -1
	s_barrier_wait -1
	ds_load_u16 v43, v1 offset:512
	ds_load_u16 v33, v1 offset:1024
	;; [unrolled: 1-line block ×19, first 2 shown]
	v_add_nc_u64_e32 v[2:3], s[0:1], v[10:11]
	s_mov_b32 s2, exec_lo
	v_cmpx_gt_u32_e64 s33, v0
	s_cbranch_execz .LBB317_224
; %bb.223:
	v_mul_i32_i24_e32 v10, 0xffffffda, v0
	s_delay_alu instid0(VALU_DEP_1)
	v_add_nc_u32_e32 v10, v31, v10
	ds_load_u16 v10, v10
	s_wait_dscnt 0x0
	flat_store_b16 v[2:3], v10
.LBB317_224:
	s_wait_xcnt 0x0
	s_or_b32 exec_lo, exec_lo, s2
	v_or_b32_e32 v10, 0x100, v0
	s_mov_b32 s2, exec_lo
	s_delay_alu instid0(VALU_DEP_1)
	v_cmpx_gt_u32_e64 s33, v10
	s_cbranch_execz .LBB317_226
; %bb.225:
	s_wait_dscnt 0x12
	flat_store_b16 v[2:3], v43 offset:512
.LBB317_226:
	s_wait_xcnt 0x0
	s_or_b32 exec_lo, exec_lo, s2
	v_or_b32_e32 v10, 0x200, v0
	s_mov_b32 s2, exec_lo
	s_delay_alu instid0(VALU_DEP_1)
	v_cmpx_gt_u32_e64 s33, v10
	s_cbranch_execz .LBB317_228
; %bb.227:
	s_wait_dscnt 0x11
	flat_store_b16 v[2:3], v33 offset:1024
.LBB317_228:
	;; [unrolled: 11-line block ×18, first 2 shown]
	s_wait_xcnt 0x0
	s_or_b32 exec_lo, exec_lo, s2
	v_or_b32_e32 v2, 0x1300, v0
	s_delay_alu instid0(VALU_DEP_1)
	v_cmp_gt_u32_e64 s2, s33, v2
	s_branch .LBB317_287
.LBB317_261:
	s_and_saveexec_b32 s30, s20
	s_cbranch_execz .LBB317_263
; %bb.262:
	v_and_b32_e32 v3, 0xff0000, v2
	v_and_b32_e32 v5, 0x10000, v2
	s_add_co_i32 s20, s28, 32
	s_delay_alu instid0(VALU_DEP_2) | instskip(SKIP_1) | instid1(VALU_DEP_1)
	v_cmp_eq_u32_e32 vcc_lo, 0, v3
	v_dual_cndmask_b32 v3, 0, v48, vcc_lo :: v_dual_bitop2_b32 v4, 1, v42 bitop3:0x40
	v_lshlrev_b32_e32 v4, 16, v4
	v_cmp_eq_u32_e32 vcc_lo, 0, v5
	s_delay_alu instid0(VALU_DEP_3) | instskip(NEXT) | instid1(VALU_DEP_3)
	v_add_nc_u16 v2, v3, v2
	v_dual_mov_b32 v3, 2 :: v_dual_cndmask_b32 v4, 0x10000, v4
	s_delay_alu instid0(VALU_DEP_2) | instskip(NEXT) | instid1(VALU_DEP_1)
	v_and_b32_e32 v2, 0xffff, v2
	v_dual_mov_b32 v4, s20 :: v_dual_bitop2_b32 v2, v4, v2 bitop3:0x54
	global_store_b64 v4, v[2:3], s[36:37] scale_offset scope:SCOPE_DEV
.LBB317_263:
	s_wait_xcnt 0x0
	s_or_b32 exec_lo, exec_lo, s30
	s_delay_alu instid0(SALU_CYCLE_1)
	s_and_b32 exec_lo, exec_lo, s19
	s_cbranch_execz .LBB317_265
; %bb.264:
	v_mov_b32_e32 v2, 0
	ds_store_b16 v2, v48
	ds_store_b8 v2, v42 offset:2
.LBB317_265:
	s_or_b32 exec_lo, exec_lo, s21
	v_and_b32_e32 v3, 0x10000, v30
	s_wait_storecnt_dscnt 0x0
	s_barrier_signal -1
	s_barrier_wait -1
	s_delay_alu instid0(VALU_DEP_1)
	v_cmp_ne_u32_e32 vcc_lo, 0, v3
	v_cndmask_b32_e64 v3, v14, 1, vcc_lo
	v_cmp_gt_u32_e32 vcc_lo, 0x10000, v30
	v_dual_mov_b32 v2, 0 :: v_dual_cndmask_b32 v4, 0, v13, vcc_lo
	ds_load_b32 v2, v2
	v_cndmask_b32_e64 v3, v3, v12, s19
	v_cndmask_b32_e64 v4, v4, 0, s19
	s_delay_alu instid0(VALU_DEP_2) | instskip(NEXT) | instid1(VALU_DEP_2)
	v_and_b32_e32 v3, 0xff, v3
	v_add_nc_u16 v4, v4, v30
	s_delay_alu instid0(VALU_DEP_2) | instskip(SKIP_2) | instid1(VALU_DEP_1)
	v_cmp_eq_u16_e32 vcc_lo, 0, v3
	s_wait_dscnt 0x0
	v_cndmask_b32_e32 v2, 0, v2, vcc_lo
	v_add_nc_u16 v2, v4, v2
	s_delay_alu instid0(VALU_DEP_1) | instskip(SKIP_1) | instid1(VALU_DEP_2)
	v_cndmask_b32_e64 v3, 0, v2, s18
	v_and_b32_e32 v47, 0xffff, v2
	v_add_nc_u16 v4, v3, v33
	s_delay_alu instid0(VALU_DEP_1) | instskip(NEXT) | instid1(VALU_DEP_1)
	v_cndmask_b32_e64 v3, 0, v4, s17
	v_add_nc_u16 v5, v3, v32
	s_delay_alu instid0(VALU_DEP_1) | instskip(NEXT) | instid1(VALU_DEP_1)
	v_cndmask_b32_e64 v3, 0, v5, s16
	;; [unrolled: 3-line block ×18, first 2 shown]
	v_add_nc_u16 v42, v3, v11
	s_branch .LBB317_189
.LBB317_266:
	s_cmp_lg_u64 s[40:41], 0
	v_cmp_eq_u32_e32 vcc_lo, 0, v0
	s_cselect_b32 s1, -1, 0
	s_cmp_lg_u64 s[26:27], 0
	v_cmp_ne_u32_e64 s0, 0, v0
	s_cselect_b32 s2, -1, 0
	s_delay_alu instid0(SALU_CYCLE_1) | instskip(NEXT) | instid1(SALU_CYCLE_1)
	s_and_b32 s1, s1, s2
	s_and_b32 s1, vcc_lo, s1
	s_delay_alu instid0(SALU_CYCLE_1)
	s_and_saveexec_b32 s2, s1
	s_cbranch_execz .LBB317_268
; %bb.267:
	v_mov_b32_e32 v2, 0
	v_cmp_gt_u32_e64 s1, 0x10000, v30
	s_clause 0x1
	global_load_u16 v3, v2, s[26:27]
	global_load_u8 v4, v2, s[26:27] offset:2
	s_wait_loadcnt 0x0
	v_dual_cndmask_b32 v2, 0, v3, s1 :: v_dual_bitop2_b32 v3, 1, v4 bitop3:0x40
	v_and_b32_e32 v4, 0x10000, v30
	s_delay_alu instid0(VALU_DEP_2) | instskip(NEXT) | instid1(VALU_DEP_3)
	v_lshlrev_b32_e32 v3, 16, v3
	v_add_nc_u16 v2, v2, v30
	s_delay_alu instid0(VALU_DEP_3) | instskip(NEXT) | instid1(VALU_DEP_2)
	v_cmp_eq_u32_e64 s1, 0, v4
	v_and_b32_e32 v2, 0xffff, v2
	s_delay_alu instid0(VALU_DEP_2) | instskip(NEXT) | instid1(VALU_DEP_1)
	v_cndmask_b32_e64 v3, 0x10000, v3, s1
	v_or_b32_e32 v30, v3, v2
.LBB317_268:
	s_or_b32 exec_lo, exec_lo, s2
	v_cmp_gt_u32_e64 s1, 0x10000, v33
	v_cmp_gt_u32_e64 s18, 0x10000, v1
	;; [unrolled: 1-line block ×5, first 2 shown]
	v_cndmask_b32_e64 v2, 0, v30, s1
	v_cmp_gt_u32_e64 s19, 0x10000, v11
	v_cmp_gt_u32_e64 s5, 0x10000, v28
	;; [unrolled: 1-line block ×4, first 2 shown]
	v_add_nc_u16 v4, v2, v33
	v_cmp_gt_u32_e64 s8, 0x10000, v25
	v_cmp_gt_u32_e64 s9, 0x10000, v24
	;; [unrolled: 1-line block ×4, first 2 shown]
	v_dual_cndmask_b32 v2, 0, v4, s2 :: v_dual_bitop2_b32 v42, 28, v45 bitop3:0x40
	v_cmp_gt_u32_e64 s12, 0x10000, v21
	v_cmp_gt_u32_e64 s13, 0x10000, v20
	;; [unrolled: 1-line block ×3, first 2 shown]
	s_delay_alu instid0(VALU_DEP_4)
	v_add_nc_u16 v5, v2, v32
	v_cmp_gt_u32_e64 s15, 0x10000, v18
	v_cmp_gt_u32_e64 s16, 0x10000, v17
	;; [unrolled: 1-line block ×3, first 2 shown]
	v_or3_b32 v3, v44, v29, v31
	v_cndmask_b32_e64 v2, 0, v5, s3
	v_lshl_add_u32 v44, v0, 2, v42
	s_mov_b32 s21, exec_lo
	s_delay_alu instid0(VALU_DEP_3) | instskip(NEXT) | instid1(VALU_DEP_3)
	v_or3_b32 v3, v3, v32, v33
	v_add_nc_u16 v6, v2, v31
	s_delay_alu instid0(VALU_DEP_1) | instskip(NEXT) | instid1(VALU_DEP_1)
	v_cndmask_b32_e64 v2, 0, v6, s4
	v_add_nc_u16 v7, v2, v29
	s_delay_alu instid0(VALU_DEP_1) | instskip(NEXT) | instid1(VALU_DEP_1)
	v_cndmask_b32_e64 v2, 0, v7, s5
	;; [unrolled: 3-line block ×14, first 2 shown]
	v_add_nc_u16 v40, v2, v16
	v_or3_b32 v2, v46, v21, v22
	s_delay_alu instid0(VALU_DEP_2) | instskip(NEXT) | instid1(VALU_DEP_2)
	v_cndmask_b32_e64 v41, 0, v40, s18
	v_or3_b32 v2, v2, v23, v24
	s_delay_alu instid0(VALU_DEP_2) | instskip(NEXT) | instid1(VALU_DEP_2)
	v_add_nc_u16 v41, v41, v1
	v_or3_b32 v2, v11, v43, v2
	s_delay_alu instid0(VALU_DEP_2) | instskip(NEXT) | instid1(VALU_DEP_2)
	v_cndmask_b32_e64 v43, 0, v41, s19
	v_bitop3_b32 v2, v2, 0xff0000, v3 bitop3:0xc8
	v_lshrrev_b32_e32 v3, 16, v30
	s_delay_alu instid0(VALU_DEP_3) | instskip(NEXT) | instid1(VALU_DEP_3)
	v_add_nc_u16 v42, v43, v11
	v_cmp_eq_u32_e64 s20, 0, v2
	s_delay_alu instid0(VALU_DEP_1)
	v_cndmask_b32_e64 v3, 1, v3, s20
	ds_store_b16 v44, v42
	ds_store_b8 v44, v3 offset:2
	s_wait_dscnt 0x0
	s_barrier_signal -1
	s_barrier_wait -1
	v_cmpx_gt_u32_e32 32, v0
	s_cbranch_execz .LBB317_280
; %bb.269:
	v_and_b32_e32 v2, 0xfc, v0
	v_lshlrev_b32_e32 v43, 5, v0
	s_mov_b32 s26, exec_lo
	s_delay_alu instid0(VALU_DEP_1)
	v_add_nc_u32_e32 v2, v2, v43
	ds_load_u8 v44, v2 offset:6
	ds_load_b32 v43, v2
	ds_load_u16 v45, v2 offset:4
	ds_load_u8 v46, v2 offset:10
	ds_load_u16 v47, v2 offset:8
	ds_load_u16 v48, v2 offset:12
	ds_load_u8 v49, v2 offset:14
	ds_load_u16 v50, v2 offset:16
	s_wait_dscnt 0x7
	v_cmp_eq_u16_e64 s20, 0, v44
	s_wait_dscnt 0x4
	s_delay_alu instid0(VALU_DEP_1) | instskip(SKIP_1) | instid1(VALU_DEP_2)
	v_dual_cndmask_b32 v51, 0, v43, s20 :: v_dual_bitop2_b32 v44, v46, v44 bitop3:0x54
	v_cmp_eq_u16_e64 s20, 0, v46
	v_add_nc_u16 v45, v51, v45
	ds_load_u8 v51, v2 offset:18
	v_cndmask_b32_e64 v45, 0, v45, s20
	s_wait_dscnt 0x2
	v_cmp_eq_u16_e64 s20, 0, v49
	s_delay_alu instid0(VALU_DEP_2) | instskip(SKIP_2) | instid1(VALU_DEP_1)
	v_add_nc_u16 v45, v45, v47
	ds_load_u8 v47, v2 offset:22
	v_cndmask_b32_e64 v45, 0, v45, s20
	v_add_nc_u16 v45, v45, v48
	ds_load_u16 v48, v2 offset:20
	ds_load_u16 v52, v2 offset:24
	ds_load_u8 v53, v2 offset:26
	ds_load_u16 v54, v2 offset:28
	ds_load_u8 v55, v2 offset:30
	s_wait_dscnt 0x6
	v_cmp_eq_u16_e64 s20, 0, v51
	v_bitop3_b16 v46, v44, v51, v49 bitop3:0xfe
	v_and_b32_e32 v44, 0x10000, v43
	s_delay_alu instid0(VALU_DEP_3)
	v_cndmask_b32_e64 v45, 0, v45, s20
	s_wait_dscnt 0x5
	v_cmp_eq_u16_e64 s20, 0, v47
	s_wait_dscnt 0x2
	v_bitop3_b16 v46, v46, v53, v47 bitop3:0xfe
	s_wait_dscnt 0x0
	v_and_b32_e32 v47, 1, v55
	v_add_nc_u16 v45, v45, v50
	s_delay_alu instid0(VALU_DEP_1) | instskip(SKIP_1) | instid1(VALU_DEP_2)
	v_cndmask_b32_e64 v45, 0, v45, s20
	v_cmp_eq_u16_e64 s20, 0, v53
	v_add_nc_u16 v45, v45, v48
	s_delay_alu instid0(VALU_DEP_1) | instskip(SKIP_1) | instid1(VALU_DEP_2)
	v_cndmask_b32_e64 v45, 0, v45, s20
	v_cmp_eq_u16_e64 s20, 0, v55
	;; [unrolled: 4-line block ×3, first 2 shown]
	v_add_nc_u16 v46, v45, v54
	s_delay_alu instid0(VALU_DEP_2) | instskip(SKIP_4) | instid1(VALU_DEP_4)
	v_cndmask_b32_e64 v48, 0x10000, v44, s20
	v_cmp_eq_u32_e64 s20, 1, v47
	v_and_b32_e32 v45, 0xff000000, v43
	v_mbcnt_lo_u32_b32 v47, -1, 0
	v_and_b32_e32 v49, 0xffff, v46
	v_cndmask_b32_e64 v48, v48, 0x10000, s20
	s_delay_alu instid0(VALU_DEP_1) | instskip(NEXT) | instid1(VALU_DEP_3)
	v_or_b32_e32 v50, v48, v45
	v_or3_b32 v51, v45, v49, v48
	s_delay_alu instid0(VALU_DEP_2) | instskip(NEXT) | instid1(VALU_DEP_2)
	v_dual_lshrrev_b32 v49, 16, v50 :: v_dual_bitop2_b32 v48, 15, v47 bitop3:0x40
	v_mov_b32_dpp v52, v51 row_shr:1 row_mask:0xf bank_mask:0xf
	s_delay_alu instid0(VALU_DEP_2)
	v_cmpx_ne_u32_e32 0, v48
	s_cbranch_execz .LBB317_271
; %bb.270:
	s_delay_alu instid0(VALU_DEP_2) | instskip(SKIP_1) | instid1(VALU_DEP_2)
	v_dual_lshrrev_b32 v49, 16, v50 :: v_dual_lshrrev_b32 v51, 16, v52
	v_and_b32_e32 v50, 0x10000, v50
	v_and_b32_e32 v49, 0xff, v49
	s_delay_alu instid0(VALU_DEP_1) | instskip(NEXT) | instid1(VALU_DEP_1)
	v_cmp_eq_u16_e64 s20, 0, v49
	v_dual_cndmask_b32 v52, 0, v52, s20 :: v_dual_bitop2_b32 v51, 1, v51 bitop3:0x40
	s_delay_alu instid0(VALU_DEP_4) | instskip(NEXT) | instid1(VALU_DEP_2)
	v_cmp_ne_u32_e64 s20, 0, v50
	v_add_nc_u16 v46, v52, v46
	s_delay_alu instid0(VALU_DEP_2) | instskip(NEXT) | instid1(VALU_DEP_2)
	v_cndmask_b32_e64 v49, v51, 1, s20
	v_and_b32_e32 v51, 0xffff, v46
	s_delay_alu instid0(VALU_DEP_2) | instskip(NEXT) | instid1(VALU_DEP_1)
	v_lshlrev_b32_e32 v50, 16, v49
	v_or3_b32 v51, v50, v51, v45
.LBB317_271:
	s_or_b32 exec_lo, exec_lo, s26
	s_delay_alu instid0(VALU_DEP_1)
	v_lshrrev_b32_e32 v50, 16, v51
	v_mov_b32_dpp v52, v51 row_shr:2 row_mask:0xf bank_mask:0xf
	s_mov_b32 s26, exec_lo
	v_cmpx_lt_u32_e32 1, v48
	s_cbranch_execz .LBB317_273
; %bb.272:
	v_and_b32_e32 v50, 0xff, v50
	v_and_b32_e32 v51, 0x10000, v51
	s_delay_alu instid0(VALU_DEP_2) | instskip(NEXT) | instid1(VALU_DEP_1)
	v_cmp_eq_u16_e64 s20, 0, v50
	v_dual_lshrrev_b32 v49, 16, v52 :: v_dual_cndmask_b32 v50, 0, v52, s20
	s_delay_alu instid0(VALU_DEP_1) | instskip(NEXT) | instid1(VALU_DEP_4)
	v_and_b32_e32 v49, 1, v49
	v_cmp_ne_u32_e64 s20, 0, v51
	s_delay_alu instid0(VALU_DEP_3) | instskip(NEXT) | instid1(VALU_DEP_2)
	v_add_nc_u16 v46, v50, v46
	v_cndmask_b32_e64 v49, v49, 1, s20
	s_delay_alu instid0(VALU_DEP_2) | instskip(NEXT) | instid1(VALU_DEP_2)
	v_and_b32_e32 v51, 0xffff, v46
	v_lshlrev_b32_e32 v50, 16, v49
	s_delay_alu instid0(VALU_DEP_1)
	v_or3_b32 v51, v50, v51, v45
	v_mov_b32_e32 v50, v49
.LBB317_273:
	s_or_b32 exec_lo, exec_lo, s26
	s_delay_alu instid0(VALU_DEP_2)
	v_mov_b32_dpp v52, v51 row_shr:4 row_mask:0xf bank_mask:0xf
	s_mov_b32 s26, exec_lo
	v_cmpx_lt_u32_e32 3, v48
	s_cbranch_execz .LBB317_275
; %bb.274:
	v_and_b32_e32 v51, 0xff, v50
	v_dual_lshrrev_b32 v49, 16, v52 :: v_dual_bitop2_b32 v50, 1, v50 bitop3:0x40
	s_delay_alu instid0(VALU_DEP_2) | instskip(NEXT) | instid1(VALU_DEP_1)
	v_cmp_eq_u16_e64 s20, 0, v51
	v_dual_cndmask_b32 v51, 0, v52, s20 :: v_dual_bitop2_b32 v49, 1, v49 bitop3:0x40
	s_delay_alu instid0(VALU_DEP_3) | instskip(NEXT) | instid1(VALU_DEP_2)
	v_cmp_eq_u32_e64 s20, 1, v50
	v_add_nc_u16 v46, v51, v46
	s_delay_alu instid0(VALU_DEP_2) | instskip(NEXT) | instid1(VALU_DEP_2)
	v_cndmask_b32_e64 v49, v49, 1, s20
	v_and_b32_e32 v51, 0xffff, v46
	s_delay_alu instid0(VALU_DEP_2) | instskip(NEXT) | instid1(VALU_DEP_1)
	v_lshlrev_b32_e32 v50, 16, v49
	v_or3_b32 v51, v50, v51, v45
	v_mov_b32_e32 v50, v49
.LBB317_275:
	s_or_b32 exec_lo, exec_lo, s26
	s_delay_alu instid0(VALU_DEP_2)
	v_mov_b32_dpp v52, v51 row_shr:8 row_mask:0xf bank_mask:0xf
	s_mov_b32 s26, exec_lo
	v_cmpx_lt_u32_e32 7, v48
	s_cbranch_execz .LBB317_277
; %bb.276:
	v_and_b32_e32 v49, 0xff, v50
	v_dual_lshrrev_b32 v48, 16, v52 :: v_dual_bitop2_b32 v50, 1, v50 bitop3:0x40
	s_delay_alu instid0(VALU_DEP_2) | instskip(NEXT) | instid1(VALU_DEP_2)
	v_cmp_eq_u16_e64 s20, 0, v49
	v_and_b32_e32 v48, 1, v48
	s_delay_alu instid0(VALU_DEP_2) | instskip(NEXT) | instid1(VALU_DEP_4)
	v_cndmask_b32_e64 v51, 0, v52, s20
	v_cmp_eq_u32_e64 s20, 1, v50
	s_delay_alu instid0(VALU_DEP_1) | instskip(NEXT) | instid1(VALU_DEP_1)
	v_cndmask_b32_e64 v49, v48, 1, s20
	v_lshlrev_b32_e32 v48, 16, v49
	s_delay_alu instid0(VALU_DEP_4) | instskip(NEXT) | instid1(VALU_DEP_1)
	v_add_nc_u16 v46, v51, v46
	v_and_b32_e32 v50, 0xffff, v46
	s_delay_alu instid0(VALU_DEP_1)
	v_or3_b32 v51, v48, v50, v45
	v_mov_b32_e32 v50, v49
.LBB317_277:
	s_or_b32 exec_lo, exec_lo, s26
	ds_swizzle_b32 v48, v51 offset:swizzle(BROADCAST,32,15)
	v_and_b32_e32 v51, 16, v47
	s_mov_b32 s26, exec_lo
	s_delay_alu instid0(VALU_DEP_1)
	v_cmpx_ne_u32_e32 0, v51
	s_cbranch_execz .LBB317_279
; %bb.278:
	v_and_b32_e32 v49, 0xff, v50
	s_delay_alu instid0(VALU_DEP_1) | instskip(SKIP_2) | instid1(VALU_DEP_1)
	v_cmp_eq_u16_e64 s20, 0, v49
	s_wait_dscnt 0x0
	v_dual_lshrrev_b32 v51, 16, v48 :: v_dual_bitop2_b32 v49, 1, v50 bitop3:0x40
	v_dual_cndmask_b32 v48, 0, v48, s20 :: v_dual_bitop2_b32 v50, 1, v51 bitop3:0x40
	s_delay_alu instid0(VALU_DEP_2) | instskip(NEXT) | instid1(VALU_DEP_2)
	v_cmp_eq_u32_e64 s20, 1, v49
	v_add_nc_u16 v46, v48, v46
	s_delay_alu instid0(VALU_DEP_2)
	v_cndmask_b32_e64 v49, v50, 1, s20
.LBB317_279:
	s_or_b32 exec_lo, exec_lo, s26
	s_wait_dscnt 0x0
	s_delay_alu instid0(VALU_DEP_1) | instskip(SKIP_2) | instid1(VALU_DEP_3)
	v_and_b32_e32 v48, 0xff, v49
	v_add_nc_u32_e32 v49, -1, v47
	v_and_b32_e32 v46, 0xffff, v46
	; wave barrier
	v_lshlrev_b32_e32 v48, 16, v48
	s_delay_alu instid0(VALU_DEP_3) | instskip(NEXT) | instid1(VALU_DEP_2)
	v_cmp_gt_i32_e64 s20, 0, v49
	v_or3_b32 v45, v48, v46, v45
	s_delay_alu instid0(VALU_DEP_2) | instskip(NEXT) | instid1(VALU_DEP_1)
	v_cndmask_b32_e64 v47, v49, v47, s20
	v_lshlrev_b32_e32 v46, 2, v47
	ds_bpermute_b32 v45, v46, v45
	v_and_b32_e32 v46, 0xff0000, v43
	s_delay_alu instid0(VALU_DEP_1) | instskip(SKIP_1) | instid1(VALU_DEP_1)
	v_cmp_eq_u32_e64 s20, 0, v46
	s_wait_dscnt 0x0
	v_dual_lshrrev_b32 v47, 16, v45 :: v_dual_cndmask_b32 v45, 0, v45, s20
	v_cmp_eq_u32_e64 s20, 0, v44
	s_delay_alu instid0(VALU_DEP_2) | instskip(NEXT) | instid1(VALU_DEP_1)
	v_add_nc_u16 v43, v45, v43
	v_dual_cndmask_b32 v43, v43, v42, vcc_lo :: v_dual_bitop2_b32 v46, 1, v47 bitop3:0x40
	s_delay_alu instid0(VALU_DEP_1) | instskip(NEXT) | instid1(VALU_DEP_1)
	v_cndmask_b32_e64 v44, 1, v46, s20
	v_cndmask_b32_e32 v3, v44, v3, vcc_lo
	ds_store_b16 v2, v43
	ds_store_b8 v2, v3 offset:2
	; wave barrier
	ds_load_u8 v44, v2 offset:6
	ds_load_u16 v45, v2 offset:4
	ds_load_u8 v46, v2 offset:10
	ds_load_u16 v47, v2 offset:8
	ds_load_u16 v48, v2 offset:12
	ds_load_u8 v49, v2 offset:14
	ds_load_u16 v50, v2 offset:16
	ds_load_u8 v51, v2 offset:18
	s_wait_dscnt 0x7
	v_cmp_eq_u16_e64 s20, 0, v44
	s_delay_alu instid0(VALU_DEP_1) | instskip(SKIP_3) | instid1(VALU_DEP_3)
	v_dual_cndmask_b32 v43, 0, v43, s20 :: v_dual_bitop2_b32 v44, 1, v44 bitop3:0x40
	s_wait_dscnt 0x5
	v_cmp_eq_u16_e64 s20, 0, v46
	v_and_b32_e32 v46, 1, v46
	v_add_nc_u16 v43, v43, v45
	s_delay_alu instid0(VALU_DEP_1) | instskip(SKIP_2) | instid1(VALU_DEP_2)
	v_cndmask_b32_e64 v45, 0, v43, s20
	s_wait_dscnt 0x2
	v_cmp_eq_u16_e64 s20, 0, v49
	v_add_nc_u16 v45, v45, v47
	ds_load_u8 v47, v2 offset:22
	ds_load_u16 v53, v2 offset:20
	ds_load_u8 v54, v2 offset:26
	ds_load_u8 v55, v2 offset:30
	v_cndmask_b32_e64 v52, 0, v45, s20
	v_cmp_eq_u32_e64 s20, 1, v44
	v_and_b32_e32 v44, 1, v49
	s_delay_alu instid0(VALU_DEP_3) | instskip(NEXT) | instid1(VALU_DEP_3)
	v_add_nc_u16 v48, v52, v48
	v_cndmask_b32_e64 v3, v3, 1, s20
	s_wait_dscnt 0x4
	v_cmp_eq_u16_e64 s20, 0, v51
	ds_load_u16 v52, v2 offset:24
	ds_load_u16 v56, v2 offset:28
	v_cndmask_b32_e64 v49, 0, v48, s20
	v_cmp_eq_u32_e64 s20, 1, v46
	s_delay_alu instid0(VALU_DEP_2) | instskip(NEXT) | instid1(VALU_DEP_2)
	v_add_nc_u16 v49, v49, v50
	v_cndmask_b32_e64 v46, v3, 1, s20
	v_cmp_eq_u32_e64 s20, 1, v44
	v_and_b32_e32 v50, 1, v51
	s_wait_dscnt 0x2
	v_and_b32_e32 v57, 1, v55
	s_delay_alu instid0(VALU_DEP_3) | instskip(SKIP_1) | instid1(VALU_DEP_1)
	v_cndmask_b32_e64 v44, v46, 1, s20
	v_cmp_eq_u16_e64 s20, 0, v47
	v_dual_cndmask_b32 v51, 0, v49, s20 :: v_dual_bitop2_b32 v47, 1, v47 bitop3:0x40
	v_cmp_eq_u32_e64 s20, 1, v50
	s_delay_alu instid0(VALU_DEP_2) | instskip(NEXT) | instid1(VALU_DEP_2)
	v_add_nc_u16 v51, v51, v53
	v_cndmask_b32_e64 v50, v44, 1, s20
	s_delay_alu instid0(VALU_DEP_4)
	v_cmp_eq_u32_e64 s20, 1, v47
	v_and_b32_e32 v53, 1, v54
	ds_store_b16 v2, v43 offset:4
	ds_store_b8 v2, v3 offset:6
	ds_store_b16 v2, v45 offset:8
	ds_store_b8 v2, v46 offset:10
	ds_store_b16 v2, v48 offset:12
	ds_store_b8 v2, v44 offset:14
	ds_store_b16 v2, v49 offset:16
	ds_store_b8 v2, v50 offset:18
	v_cndmask_b32_e64 v47, v50, 1, s20
	v_cmp_eq_u16_e64 s20, 0, v54
	s_delay_alu instid0(VALU_DEP_1) | instskip(SKIP_2) | instid1(VALU_DEP_2)
	v_cndmask_b32_e64 v54, 0, v51, s20
	v_cmp_eq_u32_e64 s20, 1, v53
	s_wait_dscnt 0x9
	v_add_nc_u16 v52, v54, v52
	s_delay_alu instid0(VALU_DEP_2) | instskip(SKIP_1) | instid1(VALU_DEP_1)
	v_cndmask_b32_e64 v53, v47, 1, s20
	v_cmp_eq_u32_e64 s20, 1, v57
	v_cndmask_b32_e64 v54, v53, 1, s20
	v_cmp_eq_u16_e64 s20, 0, v55
	s_delay_alu instid0(VALU_DEP_1) | instskip(SKIP_1) | instid1(VALU_DEP_1)
	v_cndmask_b32_e64 v55, 0, v52, s20
	s_wait_dscnt 0x8
	v_add_nc_u16 v3, v55, v56
	ds_store_b16 v2, v51 offset:20
	ds_store_b8 v2, v47 offset:22
	ds_store_b16 v2, v52 offset:24
	ds_store_b8 v2, v53 offset:26
	;; [unrolled: 2-line block ×3, first 2 shown]
.LBB317_280:
	s_or_b32 exec_lo, exec_lo, s21
	s_wait_dscnt 0x0
	s_barrier_signal -1
	s_barrier_wait -1
	s_and_saveexec_b32 s20, s0
	s_cbranch_execz .LBB317_282
; %bb.281:
	v_add_nc_u32_e32 v2, -1, v0
	v_cmp_gt_u32_e64 s0, 0x10000, v30
	s_delay_alu instid0(VALU_DEP_2) | instskip(NEXT) | instid1(VALU_DEP_1)
	v_lshrrev_b32_e32 v3, 3, v2
	v_and_b32_e32 v3, 0x1ffffffc, v3
	s_delay_alu instid0(VALU_DEP_1) | instskip(SKIP_4) | instid1(VALU_DEP_1)
	v_lshl_add_u32 v2, v2, 2, v3
	ds_load_u16 v2, v2
	;;#ASMSTART
	;;#ASMEND
	s_wait_dscnt 0x0
	v_cndmask_b32_e64 v2, 0, v2, s0
	v_add_nc_u32_e32 v30, v2, v30
	s_delay_alu instid0(VALU_DEP_1) | instskip(NEXT) | instid1(VALU_DEP_1)
	v_cndmask_b32_e64 v2, 0, v30, s1
	v_add_nc_u16 v4, v2, v33
	s_delay_alu instid0(VALU_DEP_1) | instskip(NEXT) | instid1(VALU_DEP_1)
	v_cndmask_b32_e64 v2, 0, v4, s2
	v_add_nc_u16 v5, v2, v32
	;; [unrolled: 3-line block ×19, first 2 shown]
.LBB317_282:
	s_or_b32 exec_lo, exec_lo, s20
	s_and_saveexec_b32 s0, vcc_lo
	s_cbranch_execz .LBB317_284
; %bb.283:
	v_mov_b32_e32 v1, 0
	ds_load_u8 v2, v1 offset:1050
	ds_load_u16 v3, v1 offset:1048
	s_wait_dscnt 0x1
	v_lshlrev_b32_e32 v2, 16, v2
	s_wait_dscnt 0x0
	v_and_b32_e32 v3, 0xffff, v3
	s_delay_alu instid0(VALU_DEP_1)
	v_dual_mov_b32 v3, 2 :: v_dual_bitop2_b32 v2, v2, v3 bitop3:0x54
	global_store_b64 v1, v[2:3], s[36:37] offset:256 scope:SCOPE_DEV
.LBB317_284:
	s_wait_xcnt 0x0
	s_or_b32 exec_lo, exec_lo, s0
	v_mov_b32_e32 v47, v30
	s_add_nc_u64 s[0:1], s[22:23], s[34:35]
	s_and_b32 vcc_lo, exec_lo, s29
	s_add_nc_u64 s[0:1], s[0:1], s[24:25]
	s_cbranch_vccnz .LBB317_190
.LBB317_285:
	s_mov_b32 s2, 0
                                        ; implicit-def: $vgpr1
	s_cbranch_execz .LBB317_287
; %bb.286:
	s_wait_dscnt 0x0
	v_mul_u32_u24_e32 v1, 40, v0
	v_perm_b32 v3, v13, v9, 0x5040100
	v_perm_b32 v2, v8, v7, 0x5040100
	;; [unrolled: 1-line block ×5, first 2 shown]
	v_mul_i32_i24_e32 v12, 0xffffffda, v0
	v_perm_b32 v7, v39, v37, 0x5040100
	v_perm_b32 v6, v36, v35, 0x5040100
	;; [unrolled: 1-line block ×5, first 2 shown]
	s_wait_storecnt 0x0
	s_barrier_signal -1
	s_barrier_wait -1
	ds_store_2addr_b64 v1, v[4:5], v[2:3] offset1:1
	ds_store_2addr_b64 v1, v[8:9], v[6:7] offset0:2 offset1:3
	ds_store_b64 v1, v[10:11] offset:32
	v_mad_u32_u24 v1, v0, 40, v12
	s_wait_dscnt 0x0
	s_barrier_signal -1
	s_barrier_wait -1
	ds_load_u16 v2, v1
	ds_load_u16 v3, v1 offset:512
	ds_load_u16 v4, v1 offset:1024
	;; [unrolled: 1-line block ×19, first 2 shown]
	s_or_b32 s2, s2, exec_lo
	s_wait_dscnt 0x13
	flat_store_b16 v0, v2, s[0:1] scale_offset
	s_wait_dscnt 0x13
	flat_store_b16 v0, v3, s[0:1] offset:512 scale_offset
	s_wait_dscnt 0x13
	flat_store_b16 v0, v4, s[0:1] offset:1024 scale_offset
	;; [unrolled: 2-line block ×18, first 2 shown]
.LBB317_287:
	s_wait_xcnt 0x0
	s_delay_alu instid0(VALU_DEP_1)
	s_and_saveexec_b32 s3, s2
	s_cbranch_execnz .LBB317_289
; %bb.288:
	s_endpgm
.LBB317_289:
	s_wait_dscnt 0x0
	flat_store_b16 v0, v1, s[0:1] offset:9728 scale_offset
	s_endpgm
	.section	.rodata,"a",@progbits
	.p2align	6, 0x0
	.amdhsa_kernel _ZN7rocprim17ROCPRIM_400000_NS6detail17trampoline_kernelINS0_14default_configENS1_27scan_by_key_config_selectorIssEEZZNS1_16scan_by_key_implILNS1_25lookback_scan_determinismE0ELb0ES3_N6thrust23THRUST_200600_302600_NS6detail15normal_iteratorINS9_10device_ptrIsEEEESE_SE_sNS9_4plusIvEENS9_8equal_toIsEEsEE10hipError_tPvRmT2_T3_T4_T5_mT6_T7_P12ihipStream_tbENKUlT_T0_E_clISt17integral_constantIbLb0EESZ_EEDaSU_SV_EUlSU_E_NS1_11comp_targetILNS1_3genE0ELNS1_11target_archE4294967295ELNS1_3gpuE0ELNS1_3repE0EEENS1_30default_config_static_selectorELNS0_4arch9wavefront6targetE0EEEvT1_
		.amdhsa_group_segment_fixed_size 11264
		.amdhsa_private_segment_fixed_size 0
		.amdhsa_kernarg_size 112
		.amdhsa_user_sgpr_count 2
		.amdhsa_user_sgpr_dispatch_ptr 0
		.amdhsa_user_sgpr_queue_ptr 0
		.amdhsa_user_sgpr_kernarg_segment_ptr 1
		.amdhsa_user_sgpr_dispatch_id 0
		.amdhsa_user_sgpr_kernarg_preload_length 0
		.amdhsa_user_sgpr_kernarg_preload_offset 0
		.amdhsa_user_sgpr_private_segment_size 0
		.amdhsa_wavefront_size32 1
		.amdhsa_uses_dynamic_stack 0
		.amdhsa_enable_private_segment 0
		.amdhsa_system_sgpr_workgroup_id_x 1
		.amdhsa_system_sgpr_workgroup_id_y 0
		.amdhsa_system_sgpr_workgroup_id_z 0
		.amdhsa_system_sgpr_workgroup_info 0
		.amdhsa_system_vgpr_workitem_id 0
		.amdhsa_next_free_vgpr 58
		.amdhsa_next_free_sgpr 50
		.amdhsa_named_barrier_count 0
		.amdhsa_reserve_vcc 1
		.amdhsa_float_round_mode_32 0
		.amdhsa_float_round_mode_16_64 0
		.amdhsa_float_denorm_mode_32 3
		.amdhsa_float_denorm_mode_16_64 3
		.amdhsa_fp16_overflow 0
		.amdhsa_memory_ordered 1
		.amdhsa_forward_progress 1
		.amdhsa_inst_pref_size 149
		.amdhsa_round_robin_scheduling 0
		.amdhsa_exception_fp_ieee_invalid_op 0
		.amdhsa_exception_fp_denorm_src 0
		.amdhsa_exception_fp_ieee_div_zero 0
		.amdhsa_exception_fp_ieee_overflow 0
		.amdhsa_exception_fp_ieee_underflow 0
		.amdhsa_exception_fp_ieee_inexact 0
		.amdhsa_exception_int_div_zero 0
	.end_amdhsa_kernel
	.section	.text._ZN7rocprim17ROCPRIM_400000_NS6detail17trampoline_kernelINS0_14default_configENS1_27scan_by_key_config_selectorIssEEZZNS1_16scan_by_key_implILNS1_25lookback_scan_determinismE0ELb0ES3_N6thrust23THRUST_200600_302600_NS6detail15normal_iteratorINS9_10device_ptrIsEEEESE_SE_sNS9_4plusIvEENS9_8equal_toIsEEsEE10hipError_tPvRmT2_T3_T4_T5_mT6_T7_P12ihipStream_tbENKUlT_T0_E_clISt17integral_constantIbLb0EESZ_EEDaSU_SV_EUlSU_E_NS1_11comp_targetILNS1_3genE0ELNS1_11target_archE4294967295ELNS1_3gpuE0ELNS1_3repE0EEENS1_30default_config_static_selectorELNS0_4arch9wavefront6targetE0EEEvT1_,"axG",@progbits,_ZN7rocprim17ROCPRIM_400000_NS6detail17trampoline_kernelINS0_14default_configENS1_27scan_by_key_config_selectorIssEEZZNS1_16scan_by_key_implILNS1_25lookback_scan_determinismE0ELb0ES3_N6thrust23THRUST_200600_302600_NS6detail15normal_iteratorINS9_10device_ptrIsEEEESE_SE_sNS9_4plusIvEENS9_8equal_toIsEEsEE10hipError_tPvRmT2_T3_T4_T5_mT6_T7_P12ihipStream_tbENKUlT_T0_E_clISt17integral_constantIbLb0EESZ_EEDaSU_SV_EUlSU_E_NS1_11comp_targetILNS1_3genE0ELNS1_11target_archE4294967295ELNS1_3gpuE0ELNS1_3repE0EEENS1_30default_config_static_selectorELNS0_4arch9wavefront6targetE0EEEvT1_,comdat
.Lfunc_end317:
	.size	_ZN7rocprim17ROCPRIM_400000_NS6detail17trampoline_kernelINS0_14default_configENS1_27scan_by_key_config_selectorIssEEZZNS1_16scan_by_key_implILNS1_25lookback_scan_determinismE0ELb0ES3_N6thrust23THRUST_200600_302600_NS6detail15normal_iteratorINS9_10device_ptrIsEEEESE_SE_sNS9_4plusIvEENS9_8equal_toIsEEsEE10hipError_tPvRmT2_T3_T4_T5_mT6_T7_P12ihipStream_tbENKUlT_T0_E_clISt17integral_constantIbLb0EESZ_EEDaSU_SV_EUlSU_E_NS1_11comp_targetILNS1_3genE0ELNS1_11target_archE4294967295ELNS1_3gpuE0ELNS1_3repE0EEENS1_30default_config_static_selectorELNS0_4arch9wavefront6targetE0EEEvT1_, .Lfunc_end317-_ZN7rocprim17ROCPRIM_400000_NS6detail17trampoline_kernelINS0_14default_configENS1_27scan_by_key_config_selectorIssEEZZNS1_16scan_by_key_implILNS1_25lookback_scan_determinismE0ELb0ES3_N6thrust23THRUST_200600_302600_NS6detail15normal_iteratorINS9_10device_ptrIsEEEESE_SE_sNS9_4plusIvEENS9_8equal_toIsEEsEE10hipError_tPvRmT2_T3_T4_T5_mT6_T7_P12ihipStream_tbENKUlT_T0_E_clISt17integral_constantIbLb0EESZ_EEDaSU_SV_EUlSU_E_NS1_11comp_targetILNS1_3genE0ELNS1_11target_archE4294967295ELNS1_3gpuE0ELNS1_3repE0EEENS1_30default_config_static_selectorELNS0_4arch9wavefront6targetE0EEEvT1_
                                        ; -- End function
	.set _ZN7rocprim17ROCPRIM_400000_NS6detail17trampoline_kernelINS0_14default_configENS1_27scan_by_key_config_selectorIssEEZZNS1_16scan_by_key_implILNS1_25lookback_scan_determinismE0ELb0ES3_N6thrust23THRUST_200600_302600_NS6detail15normal_iteratorINS9_10device_ptrIsEEEESE_SE_sNS9_4plusIvEENS9_8equal_toIsEEsEE10hipError_tPvRmT2_T3_T4_T5_mT6_T7_P12ihipStream_tbENKUlT_T0_E_clISt17integral_constantIbLb0EESZ_EEDaSU_SV_EUlSU_E_NS1_11comp_targetILNS1_3genE0ELNS1_11target_archE4294967295ELNS1_3gpuE0ELNS1_3repE0EEENS1_30default_config_static_selectorELNS0_4arch9wavefront6targetE0EEEvT1_.num_vgpr, 58
	.set _ZN7rocprim17ROCPRIM_400000_NS6detail17trampoline_kernelINS0_14default_configENS1_27scan_by_key_config_selectorIssEEZZNS1_16scan_by_key_implILNS1_25lookback_scan_determinismE0ELb0ES3_N6thrust23THRUST_200600_302600_NS6detail15normal_iteratorINS9_10device_ptrIsEEEESE_SE_sNS9_4plusIvEENS9_8equal_toIsEEsEE10hipError_tPvRmT2_T3_T4_T5_mT6_T7_P12ihipStream_tbENKUlT_T0_E_clISt17integral_constantIbLb0EESZ_EEDaSU_SV_EUlSU_E_NS1_11comp_targetILNS1_3genE0ELNS1_11target_archE4294967295ELNS1_3gpuE0ELNS1_3repE0EEENS1_30default_config_static_selectorELNS0_4arch9wavefront6targetE0EEEvT1_.num_agpr, 0
	.set _ZN7rocprim17ROCPRIM_400000_NS6detail17trampoline_kernelINS0_14default_configENS1_27scan_by_key_config_selectorIssEEZZNS1_16scan_by_key_implILNS1_25lookback_scan_determinismE0ELb0ES3_N6thrust23THRUST_200600_302600_NS6detail15normal_iteratorINS9_10device_ptrIsEEEESE_SE_sNS9_4plusIvEENS9_8equal_toIsEEsEE10hipError_tPvRmT2_T3_T4_T5_mT6_T7_P12ihipStream_tbENKUlT_T0_E_clISt17integral_constantIbLb0EESZ_EEDaSU_SV_EUlSU_E_NS1_11comp_targetILNS1_3genE0ELNS1_11target_archE4294967295ELNS1_3gpuE0ELNS1_3repE0EEENS1_30default_config_static_selectorELNS0_4arch9wavefront6targetE0EEEvT1_.numbered_sgpr, 50
	.set _ZN7rocprim17ROCPRIM_400000_NS6detail17trampoline_kernelINS0_14default_configENS1_27scan_by_key_config_selectorIssEEZZNS1_16scan_by_key_implILNS1_25lookback_scan_determinismE0ELb0ES3_N6thrust23THRUST_200600_302600_NS6detail15normal_iteratorINS9_10device_ptrIsEEEESE_SE_sNS9_4plusIvEENS9_8equal_toIsEEsEE10hipError_tPvRmT2_T3_T4_T5_mT6_T7_P12ihipStream_tbENKUlT_T0_E_clISt17integral_constantIbLb0EESZ_EEDaSU_SV_EUlSU_E_NS1_11comp_targetILNS1_3genE0ELNS1_11target_archE4294967295ELNS1_3gpuE0ELNS1_3repE0EEENS1_30default_config_static_selectorELNS0_4arch9wavefront6targetE0EEEvT1_.num_named_barrier, 0
	.set _ZN7rocprim17ROCPRIM_400000_NS6detail17trampoline_kernelINS0_14default_configENS1_27scan_by_key_config_selectorIssEEZZNS1_16scan_by_key_implILNS1_25lookback_scan_determinismE0ELb0ES3_N6thrust23THRUST_200600_302600_NS6detail15normal_iteratorINS9_10device_ptrIsEEEESE_SE_sNS9_4plusIvEENS9_8equal_toIsEEsEE10hipError_tPvRmT2_T3_T4_T5_mT6_T7_P12ihipStream_tbENKUlT_T0_E_clISt17integral_constantIbLb0EESZ_EEDaSU_SV_EUlSU_E_NS1_11comp_targetILNS1_3genE0ELNS1_11target_archE4294967295ELNS1_3gpuE0ELNS1_3repE0EEENS1_30default_config_static_selectorELNS0_4arch9wavefront6targetE0EEEvT1_.private_seg_size, 0
	.set _ZN7rocprim17ROCPRIM_400000_NS6detail17trampoline_kernelINS0_14default_configENS1_27scan_by_key_config_selectorIssEEZZNS1_16scan_by_key_implILNS1_25lookback_scan_determinismE0ELb0ES3_N6thrust23THRUST_200600_302600_NS6detail15normal_iteratorINS9_10device_ptrIsEEEESE_SE_sNS9_4plusIvEENS9_8equal_toIsEEsEE10hipError_tPvRmT2_T3_T4_T5_mT6_T7_P12ihipStream_tbENKUlT_T0_E_clISt17integral_constantIbLb0EESZ_EEDaSU_SV_EUlSU_E_NS1_11comp_targetILNS1_3genE0ELNS1_11target_archE4294967295ELNS1_3gpuE0ELNS1_3repE0EEENS1_30default_config_static_selectorELNS0_4arch9wavefront6targetE0EEEvT1_.uses_vcc, 1
	.set _ZN7rocprim17ROCPRIM_400000_NS6detail17trampoline_kernelINS0_14default_configENS1_27scan_by_key_config_selectorIssEEZZNS1_16scan_by_key_implILNS1_25lookback_scan_determinismE0ELb0ES3_N6thrust23THRUST_200600_302600_NS6detail15normal_iteratorINS9_10device_ptrIsEEEESE_SE_sNS9_4plusIvEENS9_8equal_toIsEEsEE10hipError_tPvRmT2_T3_T4_T5_mT6_T7_P12ihipStream_tbENKUlT_T0_E_clISt17integral_constantIbLb0EESZ_EEDaSU_SV_EUlSU_E_NS1_11comp_targetILNS1_3genE0ELNS1_11target_archE4294967295ELNS1_3gpuE0ELNS1_3repE0EEENS1_30default_config_static_selectorELNS0_4arch9wavefront6targetE0EEEvT1_.uses_flat_scratch, 1
	.set _ZN7rocprim17ROCPRIM_400000_NS6detail17trampoline_kernelINS0_14default_configENS1_27scan_by_key_config_selectorIssEEZZNS1_16scan_by_key_implILNS1_25lookback_scan_determinismE0ELb0ES3_N6thrust23THRUST_200600_302600_NS6detail15normal_iteratorINS9_10device_ptrIsEEEESE_SE_sNS9_4plusIvEENS9_8equal_toIsEEsEE10hipError_tPvRmT2_T3_T4_T5_mT6_T7_P12ihipStream_tbENKUlT_T0_E_clISt17integral_constantIbLb0EESZ_EEDaSU_SV_EUlSU_E_NS1_11comp_targetILNS1_3genE0ELNS1_11target_archE4294967295ELNS1_3gpuE0ELNS1_3repE0EEENS1_30default_config_static_selectorELNS0_4arch9wavefront6targetE0EEEvT1_.has_dyn_sized_stack, 0
	.set _ZN7rocprim17ROCPRIM_400000_NS6detail17trampoline_kernelINS0_14default_configENS1_27scan_by_key_config_selectorIssEEZZNS1_16scan_by_key_implILNS1_25lookback_scan_determinismE0ELb0ES3_N6thrust23THRUST_200600_302600_NS6detail15normal_iteratorINS9_10device_ptrIsEEEESE_SE_sNS9_4plusIvEENS9_8equal_toIsEEsEE10hipError_tPvRmT2_T3_T4_T5_mT6_T7_P12ihipStream_tbENKUlT_T0_E_clISt17integral_constantIbLb0EESZ_EEDaSU_SV_EUlSU_E_NS1_11comp_targetILNS1_3genE0ELNS1_11target_archE4294967295ELNS1_3gpuE0ELNS1_3repE0EEENS1_30default_config_static_selectorELNS0_4arch9wavefront6targetE0EEEvT1_.has_recursion, 0
	.set _ZN7rocprim17ROCPRIM_400000_NS6detail17trampoline_kernelINS0_14default_configENS1_27scan_by_key_config_selectorIssEEZZNS1_16scan_by_key_implILNS1_25lookback_scan_determinismE0ELb0ES3_N6thrust23THRUST_200600_302600_NS6detail15normal_iteratorINS9_10device_ptrIsEEEESE_SE_sNS9_4plusIvEENS9_8equal_toIsEEsEE10hipError_tPvRmT2_T3_T4_T5_mT6_T7_P12ihipStream_tbENKUlT_T0_E_clISt17integral_constantIbLb0EESZ_EEDaSU_SV_EUlSU_E_NS1_11comp_targetILNS1_3genE0ELNS1_11target_archE4294967295ELNS1_3gpuE0ELNS1_3repE0EEENS1_30default_config_static_selectorELNS0_4arch9wavefront6targetE0EEEvT1_.has_indirect_call, 0
	.section	.AMDGPU.csdata,"",@progbits
; Kernel info:
; codeLenInByte = 18968
; TotalNumSgprs: 52
; NumVgprs: 58
; ScratchSize: 0
; MemoryBound: 0
; FloatMode: 240
; IeeeMode: 1
; LDSByteSize: 11264 bytes/workgroup (compile time only)
; SGPRBlocks: 0
; VGPRBlocks: 3
; NumSGPRsForWavesPerEU: 52
; NumVGPRsForWavesPerEU: 58
; NamedBarCnt: 0
; Occupancy: 16
; WaveLimiterHint : 1
; COMPUTE_PGM_RSRC2:SCRATCH_EN: 0
; COMPUTE_PGM_RSRC2:USER_SGPR: 2
; COMPUTE_PGM_RSRC2:TRAP_HANDLER: 0
; COMPUTE_PGM_RSRC2:TGID_X_EN: 1
; COMPUTE_PGM_RSRC2:TGID_Y_EN: 0
; COMPUTE_PGM_RSRC2:TGID_Z_EN: 0
; COMPUTE_PGM_RSRC2:TIDIG_COMP_CNT: 0
	.section	.text._ZN7rocprim17ROCPRIM_400000_NS6detail17trampoline_kernelINS0_14default_configENS1_27scan_by_key_config_selectorIssEEZZNS1_16scan_by_key_implILNS1_25lookback_scan_determinismE0ELb0ES3_N6thrust23THRUST_200600_302600_NS6detail15normal_iteratorINS9_10device_ptrIsEEEESE_SE_sNS9_4plusIvEENS9_8equal_toIsEEsEE10hipError_tPvRmT2_T3_T4_T5_mT6_T7_P12ihipStream_tbENKUlT_T0_E_clISt17integral_constantIbLb0EESZ_EEDaSU_SV_EUlSU_E_NS1_11comp_targetILNS1_3genE10ELNS1_11target_archE1201ELNS1_3gpuE5ELNS1_3repE0EEENS1_30default_config_static_selectorELNS0_4arch9wavefront6targetE0EEEvT1_,"axG",@progbits,_ZN7rocprim17ROCPRIM_400000_NS6detail17trampoline_kernelINS0_14default_configENS1_27scan_by_key_config_selectorIssEEZZNS1_16scan_by_key_implILNS1_25lookback_scan_determinismE0ELb0ES3_N6thrust23THRUST_200600_302600_NS6detail15normal_iteratorINS9_10device_ptrIsEEEESE_SE_sNS9_4plusIvEENS9_8equal_toIsEEsEE10hipError_tPvRmT2_T3_T4_T5_mT6_T7_P12ihipStream_tbENKUlT_T0_E_clISt17integral_constantIbLb0EESZ_EEDaSU_SV_EUlSU_E_NS1_11comp_targetILNS1_3genE10ELNS1_11target_archE1201ELNS1_3gpuE5ELNS1_3repE0EEENS1_30default_config_static_selectorELNS0_4arch9wavefront6targetE0EEEvT1_,comdat
	.protected	_ZN7rocprim17ROCPRIM_400000_NS6detail17trampoline_kernelINS0_14default_configENS1_27scan_by_key_config_selectorIssEEZZNS1_16scan_by_key_implILNS1_25lookback_scan_determinismE0ELb0ES3_N6thrust23THRUST_200600_302600_NS6detail15normal_iteratorINS9_10device_ptrIsEEEESE_SE_sNS9_4plusIvEENS9_8equal_toIsEEsEE10hipError_tPvRmT2_T3_T4_T5_mT6_T7_P12ihipStream_tbENKUlT_T0_E_clISt17integral_constantIbLb0EESZ_EEDaSU_SV_EUlSU_E_NS1_11comp_targetILNS1_3genE10ELNS1_11target_archE1201ELNS1_3gpuE5ELNS1_3repE0EEENS1_30default_config_static_selectorELNS0_4arch9wavefront6targetE0EEEvT1_ ; -- Begin function _ZN7rocprim17ROCPRIM_400000_NS6detail17trampoline_kernelINS0_14default_configENS1_27scan_by_key_config_selectorIssEEZZNS1_16scan_by_key_implILNS1_25lookback_scan_determinismE0ELb0ES3_N6thrust23THRUST_200600_302600_NS6detail15normal_iteratorINS9_10device_ptrIsEEEESE_SE_sNS9_4plusIvEENS9_8equal_toIsEEsEE10hipError_tPvRmT2_T3_T4_T5_mT6_T7_P12ihipStream_tbENKUlT_T0_E_clISt17integral_constantIbLb0EESZ_EEDaSU_SV_EUlSU_E_NS1_11comp_targetILNS1_3genE10ELNS1_11target_archE1201ELNS1_3gpuE5ELNS1_3repE0EEENS1_30default_config_static_selectorELNS0_4arch9wavefront6targetE0EEEvT1_
	.globl	_ZN7rocprim17ROCPRIM_400000_NS6detail17trampoline_kernelINS0_14default_configENS1_27scan_by_key_config_selectorIssEEZZNS1_16scan_by_key_implILNS1_25lookback_scan_determinismE0ELb0ES3_N6thrust23THRUST_200600_302600_NS6detail15normal_iteratorINS9_10device_ptrIsEEEESE_SE_sNS9_4plusIvEENS9_8equal_toIsEEsEE10hipError_tPvRmT2_T3_T4_T5_mT6_T7_P12ihipStream_tbENKUlT_T0_E_clISt17integral_constantIbLb0EESZ_EEDaSU_SV_EUlSU_E_NS1_11comp_targetILNS1_3genE10ELNS1_11target_archE1201ELNS1_3gpuE5ELNS1_3repE0EEENS1_30default_config_static_selectorELNS0_4arch9wavefront6targetE0EEEvT1_
	.p2align	8
	.type	_ZN7rocprim17ROCPRIM_400000_NS6detail17trampoline_kernelINS0_14default_configENS1_27scan_by_key_config_selectorIssEEZZNS1_16scan_by_key_implILNS1_25lookback_scan_determinismE0ELb0ES3_N6thrust23THRUST_200600_302600_NS6detail15normal_iteratorINS9_10device_ptrIsEEEESE_SE_sNS9_4plusIvEENS9_8equal_toIsEEsEE10hipError_tPvRmT2_T3_T4_T5_mT6_T7_P12ihipStream_tbENKUlT_T0_E_clISt17integral_constantIbLb0EESZ_EEDaSU_SV_EUlSU_E_NS1_11comp_targetILNS1_3genE10ELNS1_11target_archE1201ELNS1_3gpuE5ELNS1_3repE0EEENS1_30default_config_static_selectorELNS0_4arch9wavefront6targetE0EEEvT1_,@function
_ZN7rocprim17ROCPRIM_400000_NS6detail17trampoline_kernelINS0_14default_configENS1_27scan_by_key_config_selectorIssEEZZNS1_16scan_by_key_implILNS1_25lookback_scan_determinismE0ELb0ES3_N6thrust23THRUST_200600_302600_NS6detail15normal_iteratorINS9_10device_ptrIsEEEESE_SE_sNS9_4plusIvEENS9_8equal_toIsEEsEE10hipError_tPvRmT2_T3_T4_T5_mT6_T7_P12ihipStream_tbENKUlT_T0_E_clISt17integral_constantIbLb0EESZ_EEDaSU_SV_EUlSU_E_NS1_11comp_targetILNS1_3genE10ELNS1_11target_archE1201ELNS1_3gpuE5ELNS1_3repE0EEENS1_30default_config_static_selectorELNS0_4arch9wavefront6targetE0EEEvT1_: ; @_ZN7rocprim17ROCPRIM_400000_NS6detail17trampoline_kernelINS0_14default_configENS1_27scan_by_key_config_selectorIssEEZZNS1_16scan_by_key_implILNS1_25lookback_scan_determinismE0ELb0ES3_N6thrust23THRUST_200600_302600_NS6detail15normal_iteratorINS9_10device_ptrIsEEEESE_SE_sNS9_4plusIvEENS9_8equal_toIsEEsEE10hipError_tPvRmT2_T3_T4_T5_mT6_T7_P12ihipStream_tbENKUlT_T0_E_clISt17integral_constantIbLb0EESZ_EEDaSU_SV_EUlSU_E_NS1_11comp_targetILNS1_3genE10ELNS1_11target_archE1201ELNS1_3gpuE5ELNS1_3repE0EEENS1_30default_config_static_selectorELNS0_4arch9wavefront6targetE0EEEvT1_
; %bb.0:
	.section	.rodata,"a",@progbits
	.p2align	6, 0x0
	.amdhsa_kernel _ZN7rocprim17ROCPRIM_400000_NS6detail17trampoline_kernelINS0_14default_configENS1_27scan_by_key_config_selectorIssEEZZNS1_16scan_by_key_implILNS1_25lookback_scan_determinismE0ELb0ES3_N6thrust23THRUST_200600_302600_NS6detail15normal_iteratorINS9_10device_ptrIsEEEESE_SE_sNS9_4plusIvEENS9_8equal_toIsEEsEE10hipError_tPvRmT2_T3_T4_T5_mT6_T7_P12ihipStream_tbENKUlT_T0_E_clISt17integral_constantIbLb0EESZ_EEDaSU_SV_EUlSU_E_NS1_11comp_targetILNS1_3genE10ELNS1_11target_archE1201ELNS1_3gpuE5ELNS1_3repE0EEENS1_30default_config_static_selectorELNS0_4arch9wavefront6targetE0EEEvT1_
		.amdhsa_group_segment_fixed_size 0
		.amdhsa_private_segment_fixed_size 0
		.amdhsa_kernarg_size 112
		.amdhsa_user_sgpr_count 2
		.amdhsa_user_sgpr_dispatch_ptr 0
		.amdhsa_user_sgpr_queue_ptr 0
		.amdhsa_user_sgpr_kernarg_segment_ptr 1
		.amdhsa_user_sgpr_dispatch_id 0
		.amdhsa_user_sgpr_kernarg_preload_length 0
		.amdhsa_user_sgpr_kernarg_preload_offset 0
		.amdhsa_user_sgpr_private_segment_size 0
		.amdhsa_wavefront_size32 1
		.amdhsa_uses_dynamic_stack 0
		.amdhsa_enable_private_segment 0
		.amdhsa_system_sgpr_workgroup_id_x 1
		.amdhsa_system_sgpr_workgroup_id_y 0
		.amdhsa_system_sgpr_workgroup_id_z 0
		.amdhsa_system_sgpr_workgroup_info 0
		.amdhsa_system_vgpr_workitem_id 0
		.amdhsa_next_free_vgpr 1
		.amdhsa_next_free_sgpr 1
		.amdhsa_named_barrier_count 0
		.amdhsa_reserve_vcc 0
		.amdhsa_float_round_mode_32 0
		.amdhsa_float_round_mode_16_64 0
		.amdhsa_float_denorm_mode_32 3
		.amdhsa_float_denorm_mode_16_64 3
		.amdhsa_fp16_overflow 0
		.amdhsa_memory_ordered 1
		.amdhsa_forward_progress 1
		.amdhsa_inst_pref_size 0
		.amdhsa_round_robin_scheduling 0
		.amdhsa_exception_fp_ieee_invalid_op 0
		.amdhsa_exception_fp_denorm_src 0
		.amdhsa_exception_fp_ieee_div_zero 0
		.amdhsa_exception_fp_ieee_overflow 0
		.amdhsa_exception_fp_ieee_underflow 0
		.amdhsa_exception_fp_ieee_inexact 0
		.amdhsa_exception_int_div_zero 0
	.end_amdhsa_kernel
	.section	.text._ZN7rocprim17ROCPRIM_400000_NS6detail17trampoline_kernelINS0_14default_configENS1_27scan_by_key_config_selectorIssEEZZNS1_16scan_by_key_implILNS1_25lookback_scan_determinismE0ELb0ES3_N6thrust23THRUST_200600_302600_NS6detail15normal_iteratorINS9_10device_ptrIsEEEESE_SE_sNS9_4plusIvEENS9_8equal_toIsEEsEE10hipError_tPvRmT2_T3_T4_T5_mT6_T7_P12ihipStream_tbENKUlT_T0_E_clISt17integral_constantIbLb0EESZ_EEDaSU_SV_EUlSU_E_NS1_11comp_targetILNS1_3genE10ELNS1_11target_archE1201ELNS1_3gpuE5ELNS1_3repE0EEENS1_30default_config_static_selectorELNS0_4arch9wavefront6targetE0EEEvT1_,"axG",@progbits,_ZN7rocprim17ROCPRIM_400000_NS6detail17trampoline_kernelINS0_14default_configENS1_27scan_by_key_config_selectorIssEEZZNS1_16scan_by_key_implILNS1_25lookback_scan_determinismE0ELb0ES3_N6thrust23THRUST_200600_302600_NS6detail15normal_iteratorINS9_10device_ptrIsEEEESE_SE_sNS9_4plusIvEENS9_8equal_toIsEEsEE10hipError_tPvRmT2_T3_T4_T5_mT6_T7_P12ihipStream_tbENKUlT_T0_E_clISt17integral_constantIbLb0EESZ_EEDaSU_SV_EUlSU_E_NS1_11comp_targetILNS1_3genE10ELNS1_11target_archE1201ELNS1_3gpuE5ELNS1_3repE0EEENS1_30default_config_static_selectorELNS0_4arch9wavefront6targetE0EEEvT1_,comdat
.Lfunc_end318:
	.size	_ZN7rocprim17ROCPRIM_400000_NS6detail17trampoline_kernelINS0_14default_configENS1_27scan_by_key_config_selectorIssEEZZNS1_16scan_by_key_implILNS1_25lookback_scan_determinismE0ELb0ES3_N6thrust23THRUST_200600_302600_NS6detail15normal_iteratorINS9_10device_ptrIsEEEESE_SE_sNS9_4plusIvEENS9_8equal_toIsEEsEE10hipError_tPvRmT2_T3_T4_T5_mT6_T7_P12ihipStream_tbENKUlT_T0_E_clISt17integral_constantIbLb0EESZ_EEDaSU_SV_EUlSU_E_NS1_11comp_targetILNS1_3genE10ELNS1_11target_archE1201ELNS1_3gpuE5ELNS1_3repE0EEENS1_30default_config_static_selectorELNS0_4arch9wavefront6targetE0EEEvT1_, .Lfunc_end318-_ZN7rocprim17ROCPRIM_400000_NS6detail17trampoline_kernelINS0_14default_configENS1_27scan_by_key_config_selectorIssEEZZNS1_16scan_by_key_implILNS1_25lookback_scan_determinismE0ELb0ES3_N6thrust23THRUST_200600_302600_NS6detail15normal_iteratorINS9_10device_ptrIsEEEESE_SE_sNS9_4plusIvEENS9_8equal_toIsEEsEE10hipError_tPvRmT2_T3_T4_T5_mT6_T7_P12ihipStream_tbENKUlT_T0_E_clISt17integral_constantIbLb0EESZ_EEDaSU_SV_EUlSU_E_NS1_11comp_targetILNS1_3genE10ELNS1_11target_archE1201ELNS1_3gpuE5ELNS1_3repE0EEENS1_30default_config_static_selectorELNS0_4arch9wavefront6targetE0EEEvT1_
                                        ; -- End function
	.set _ZN7rocprim17ROCPRIM_400000_NS6detail17trampoline_kernelINS0_14default_configENS1_27scan_by_key_config_selectorIssEEZZNS1_16scan_by_key_implILNS1_25lookback_scan_determinismE0ELb0ES3_N6thrust23THRUST_200600_302600_NS6detail15normal_iteratorINS9_10device_ptrIsEEEESE_SE_sNS9_4plusIvEENS9_8equal_toIsEEsEE10hipError_tPvRmT2_T3_T4_T5_mT6_T7_P12ihipStream_tbENKUlT_T0_E_clISt17integral_constantIbLb0EESZ_EEDaSU_SV_EUlSU_E_NS1_11comp_targetILNS1_3genE10ELNS1_11target_archE1201ELNS1_3gpuE5ELNS1_3repE0EEENS1_30default_config_static_selectorELNS0_4arch9wavefront6targetE0EEEvT1_.num_vgpr, 0
	.set _ZN7rocprim17ROCPRIM_400000_NS6detail17trampoline_kernelINS0_14default_configENS1_27scan_by_key_config_selectorIssEEZZNS1_16scan_by_key_implILNS1_25lookback_scan_determinismE0ELb0ES3_N6thrust23THRUST_200600_302600_NS6detail15normal_iteratorINS9_10device_ptrIsEEEESE_SE_sNS9_4plusIvEENS9_8equal_toIsEEsEE10hipError_tPvRmT2_T3_T4_T5_mT6_T7_P12ihipStream_tbENKUlT_T0_E_clISt17integral_constantIbLb0EESZ_EEDaSU_SV_EUlSU_E_NS1_11comp_targetILNS1_3genE10ELNS1_11target_archE1201ELNS1_3gpuE5ELNS1_3repE0EEENS1_30default_config_static_selectorELNS0_4arch9wavefront6targetE0EEEvT1_.num_agpr, 0
	.set _ZN7rocprim17ROCPRIM_400000_NS6detail17trampoline_kernelINS0_14default_configENS1_27scan_by_key_config_selectorIssEEZZNS1_16scan_by_key_implILNS1_25lookback_scan_determinismE0ELb0ES3_N6thrust23THRUST_200600_302600_NS6detail15normal_iteratorINS9_10device_ptrIsEEEESE_SE_sNS9_4plusIvEENS9_8equal_toIsEEsEE10hipError_tPvRmT2_T3_T4_T5_mT6_T7_P12ihipStream_tbENKUlT_T0_E_clISt17integral_constantIbLb0EESZ_EEDaSU_SV_EUlSU_E_NS1_11comp_targetILNS1_3genE10ELNS1_11target_archE1201ELNS1_3gpuE5ELNS1_3repE0EEENS1_30default_config_static_selectorELNS0_4arch9wavefront6targetE0EEEvT1_.numbered_sgpr, 0
	.set _ZN7rocprim17ROCPRIM_400000_NS6detail17trampoline_kernelINS0_14default_configENS1_27scan_by_key_config_selectorIssEEZZNS1_16scan_by_key_implILNS1_25lookback_scan_determinismE0ELb0ES3_N6thrust23THRUST_200600_302600_NS6detail15normal_iteratorINS9_10device_ptrIsEEEESE_SE_sNS9_4plusIvEENS9_8equal_toIsEEsEE10hipError_tPvRmT2_T3_T4_T5_mT6_T7_P12ihipStream_tbENKUlT_T0_E_clISt17integral_constantIbLb0EESZ_EEDaSU_SV_EUlSU_E_NS1_11comp_targetILNS1_3genE10ELNS1_11target_archE1201ELNS1_3gpuE5ELNS1_3repE0EEENS1_30default_config_static_selectorELNS0_4arch9wavefront6targetE0EEEvT1_.num_named_barrier, 0
	.set _ZN7rocprim17ROCPRIM_400000_NS6detail17trampoline_kernelINS0_14default_configENS1_27scan_by_key_config_selectorIssEEZZNS1_16scan_by_key_implILNS1_25lookback_scan_determinismE0ELb0ES3_N6thrust23THRUST_200600_302600_NS6detail15normal_iteratorINS9_10device_ptrIsEEEESE_SE_sNS9_4plusIvEENS9_8equal_toIsEEsEE10hipError_tPvRmT2_T3_T4_T5_mT6_T7_P12ihipStream_tbENKUlT_T0_E_clISt17integral_constantIbLb0EESZ_EEDaSU_SV_EUlSU_E_NS1_11comp_targetILNS1_3genE10ELNS1_11target_archE1201ELNS1_3gpuE5ELNS1_3repE0EEENS1_30default_config_static_selectorELNS0_4arch9wavefront6targetE0EEEvT1_.private_seg_size, 0
	.set _ZN7rocprim17ROCPRIM_400000_NS6detail17trampoline_kernelINS0_14default_configENS1_27scan_by_key_config_selectorIssEEZZNS1_16scan_by_key_implILNS1_25lookback_scan_determinismE0ELb0ES3_N6thrust23THRUST_200600_302600_NS6detail15normal_iteratorINS9_10device_ptrIsEEEESE_SE_sNS9_4plusIvEENS9_8equal_toIsEEsEE10hipError_tPvRmT2_T3_T4_T5_mT6_T7_P12ihipStream_tbENKUlT_T0_E_clISt17integral_constantIbLb0EESZ_EEDaSU_SV_EUlSU_E_NS1_11comp_targetILNS1_3genE10ELNS1_11target_archE1201ELNS1_3gpuE5ELNS1_3repE0EEENS1_30default_config_static_selectorELNS0_4arch9wavefront6targetE0EEEvT1_.uses_vcc, 0
	.set _ZN7rocprim17ROCPRIM_400000_NS6detail17trampoline_kernelINS0_14default_configENS1_27scan_by_key_config_selectorIssEEZZNS1_16scan_by_key_implILNS1_25lookback_scan_determinismE0ELb0ES3_N6thrust23THRUST_200600_302600_NS6detail15normal_iteratorINS9_10device_ptrIsEEEESE_SE_sNS9_4plusIvEENS9_8equal_toIsEEsEE10hipError_tPvRmT2_T3_T4_T5_mT6_T7_P12ihipStream_tbENKUlT_T0_E_clISt17integral_constantIbLb0EESZ_EEDaSU_SV_EUlSU_E_NS1_11comp_targetILNS1_3genE10ELNS1_11target_archE1201ELNS1_3gpuE5ELNS1_3repE0EEENS1_30default_config_static_selectorELNS0_4arch9wavefront6targetE0EEEvT1_.uses_flat_scratch, 0
	.set _ZN7rocprim17ROCPRIM_400000_NS6detail17trampoline_kernelINS0_14default_configENS1_27scan_by_key_config_selectorIssEEZZNS1_16scan_by_key_implILNS1_25lookback_scan_determinismE0ELb0ES3_N6thrust23THRUST_200600_302600_NS6detail15normal_iteratorINS9_10device_ptrIsEEEESE_SE_sNS9_4plusIvEENS9_8equal_toIsEEsEE10hipError_tPvRmT2_T3_T4_T5_mT6_T7_P12ihipStream_tbENKUlT_T0_E_clISt17integral_constantIbLb0EESZ_EEDaSU_SV_EUlSU_E_NS1_11comp_targetILNS1_3genE10ELNS1_11target_archE1201ELNS1_3gpuE5ELNS1_3repE0EEENS1_30default_config_static_selectorELNS0_4arch9wavefront6targetE0EEEvT1_.has_dyn_sized_stack, 0
	.set _ZN7rocprim17ROCPRIM_400000_NS6detail17trampoline_kernelINS0_14default_configENS1_27scan_by_key_config_selectorIssEEZZNS1_16scan_by_key_implILNS1_25lookback_scan_determinismE0ELb0ES3_N6thrust23THRUST_200600_302600_NS6detail15normal_iteratorINS9_10device_ptrIsEEEESE_SE_sNS9_4plusIvEENS9_8equal_toIsEEsEE10hipError_tPvRmT2_T3_T4_T5_mT6_T7_P12ihipStream_tbENKUlT_T0_E_clISt17integral_constantIbLb0EESZ_EEDaSU_SV_EUlSU_E_NS1_11comp_targetILNS1_3genE10ELNS1_11target_archE1201ELNS1_3gpuE5ELNS1_3repE0EEENS1_30default_config_static_selectorELNS0_4arch9wavefront6targetE0EEEvT1_.has_recursion, 0
	.set _ZN7rocprim17ROCPRIM_400000_NS6detail17trampoline_kernelINS0_14default_configENS1_27scan_by_key_config_selectorIssEEZZNS1_16scan_by_key_implILNS1_25lookback_scan_determinismE0ELb0ES3_N6thrust23THRUST_200600_302600_NS6detail15normal_iteratorINS9_10device_ptrIsEEEESE_SE_sNS9_4plusIvEENS9_8equal_toIsEEsEE10hipError_tPvRmT2_T3_T4_T5_mT6_T7_P12ihipStream_tbENKUlT_T0_E_clISt17integral_constantIbLb0EESZ_EEDaSU_SV_EUlSU_E_NS1_11comp_targetILNS1_3genE10ELNS1_11target_archE1201ELNS1_3gpuE5ELNS1_3repE0EEENS1_30default_config_static_selectorELNS0_4arch9wavefront6targetE0EEEvT1_.has_indirect_call, 0
	.section	.AMDGPU.csdata,"",@progbits
; Kernel info:
; codeLenInByte = 0
; TotalNumSgprs: 0
; NumVgprs: 0
; ScratchSize: 0
; MemoryBound: 0
; FloatMode: 240
; IeeeMode: 1
; LDSByteSize: 0 bytes/workgroup (compile time only)
; SGPRBlocks: 0
; VGPRBlocks: 0
; NumSGPRsForWavesPerEU: 1
; NumVGPRsForWavesPerEU: 1
; NamedBarCnt: 0
; Occupancy: 16
; WaveLimiterHint : 0
; COMPUTE_PGM_RSRC2:SCRATCH_EN: 0
; COMPUTE_PGM_RSRC2:USER_SGPR: 2
; COMPUTE_PGM_RSRC2:TRAP_HANDLER: 0
; COMPUTE_PGM_RSRC2:TGID_X_EN: 1
; COMPUTE_PGM_RSRC2:TGID_Y_EN: 0
; COMPUTE_PGM_RSRC2:TGID_Z_EN: 0
; COMPUTE_PGM_RSRC2:TIDIG_COMP_CNT: 0
	.section	.text._ZN7rocprim17ROCPRIM_400000_NS6detail17trampoline_kernelINS0_14default_configENS1_27scan_by_key_config_selectorIssEEZZNS1_16scan_by_key_implILNS1_25lookback_scan_determinismE0ELb0ES3_N6thrust23THRUST_200600_302600_NS6detail15normal_iteratorINS9_10device_ptrIsEEEESE_SE_sNS9_4plusIvEENS9_8equal_toIsEEsEE10hipError_tPvRmT2_T3_T4_T5_mT6_T7_P12ihipStream_tbENKUlT_T0_E_clISt17integral_constantIbLb0EESZ_EEDaSU_SV_EUlSU_E_NS1_11comp_targetILNS1_3genE5ELNS1_11target_archE942ELNS1_3gpuE9ELNS1_3repE0EEENS1_30default_config_static_selectorELNS0_4arch9wavefront6targetE0EEEvT1_,"axG",@progbits,_ZN7rocprim17ROCPRIM_400000_NS6detail17trampoline_kernelINS0_14default_configENS1_27scan_by_key_config_selectorIssEEZZNS1_16scan_by_key_implILNS1_25lookback_scan_determinismE0ELb0ES3_N6thrust23THRUST_200600_302600_NS6detail15normal_iteratorINS9_10device_ptrIsEEEESE_SE_sNS9_4plusIvEENS9_8equal_toIsEEsEE10hipError_tPvRmT2_T3_T4_T5_mT6_T7_P12ihipStream_tbENKUlT_T0_E_clISt17integral_constantIbLb0EESZ_EEDaSU_SV_EUlSU_E_NS1_11comp_targetILNS1_3genE5ELNS1_11target_archE942ELNS1_3gpuE9ELNS1_3repE0EEENS1_30default_config_static_selectorELNS0_4arch9wavefront6targetE0EEEvT1_,comdat
	.protected	_ZN7rocprim17ROCPRIM_400000_NS6detail17trampoline_kernelINS0_14default_configENS1_27scan_by_key_config_selectorIssEEZZNS1_16scan_by_key_implILNS1_25lookback_scan_determinismE0ELb0ES3_N6thrust23THRUST_200600_302600_NS6detail15normal_iteratorINS9_10device_ptrIsEEEESE_SE_sNS9_4plusIvEENS9_8equal_toIsEEsEE10hipError_tPvRmT2_T3_T4_T5_mT6_T7_P12ihipStream_tbENKUlT_T0_E_clISt17integral_constantIbLb0EESZ_EEDaSU_SV_EUlSU_E_NS1_11comp_targetILNS1_3genE5ELNS1_11target_archE942ELNS1_3gpuE9ELNS1_3repE0EEENS1_30default_config_static_selectorELNS0_4arch9wavefront6targetE0EEEvT1_ ; -- Begin function _ZN7rocprim17ROCPRIM_400000_NS6detail17trampoline_kernelINS0_14default_configENS1_27scan_by_key_config_selectorIssEEZZNS1_16scan_by_key_implILNS1_25lookback_scan_determinismE0ELb0ES3_N6thrust23THRUST_200600_302600_NS6detail15normal_iteratorINS9_10device_ptrIsEEEESE_SE_sNS9_4plusIvEENS9_8equal_toIsEEsEE10hipError_tPvRmT2_T3_T4_T5_mT6_T7_P12ihipStream_tbENKUlT_T0_E_clISt17integral_constantIbLb0EESZ_EEDaSU_SV_EUlSU_E_NS1_11comp_targetILNS1_3genE5ELNS1_11target_archE942ELNS1_3gpuE9ELNS1_3repE0EEENS1_30default_config_static_selectorELNS0_4arch9wavefront6targetE0EEEvT1_
	.globl	_ZN7rocprim17ROCPRIM_400000_NS6detail17trampoline_kernelINS0_14default_configENS1_27scan_by_key_config_selectorIssEEZZNS1_16scan_by_key_implILNS1_25lookback_scan_determinismE0ELb0ES3_N6thrust23THRUST_200600_302600_NS6detail15normal_iteratorINS9_10device_ptrIsEEEESE_SE_sNS9_4plusIvEENS9_8equal_toIsEEsEE10hipError_tPvRmT2_T3_T4_T5_mT6_T7_P12ihipStream_tbENKUlT_T0_E_clISt17integral_constantIbLb0EESZ_EEDaSU_SV_EUlSU_E_NS1_11comp_targetILNS1_3genE5ELNS1_11target_archE942ELNS1_3gpuE9ELNS1_3repE0EEENS1_30default_config_static_selectorELNS0_4arch9wavefront6targetE0EEEvT1_
	.p2align	8
	.type	_ZN7rocprim17ROCPRIM_400000_NS6detail17trampoline_kernelINS0_14default_configENS1_27scan_by_key_config_selectorIssEEZZNS1_16scan_by_key_implILNS1_25lookback_scan_determinismE0ELb0ES3_N6thrust23THRUST_200600_302600_NS6detail15normal_iteratorINS9_10device_ptrIsEEEESE_SE_sNS9_4plusIvEENS9_8equal_toIsEEsEE10hipError_tPvRmT2_T3_T4_T5_mT6_T7_P12ihipStream_tbENKUlT_T0_E_clISt17integral_constantIbLb0EESZ_EEDaSU_SV_EUlSU_E_NS1_11comp_targetILNS1_3genE5ELNS1_11target_archE942ELNS1_3gpuE9ELNS1_3repE0EEENS1_30default_config_static_selectorELNS0_4arch9wavefront6targetE0EEEvT1_,@function
_ZN7rocprim17ROCPRIM_400000_NS6detail17trampoline_kernelINS0_14default_configENS1_27scan_by_key_config_selectorIssEEZZNS1_16scan_by_key_implILNS1_25lookback_scan_determinismE0ELb0ES3_N6thrust23THRUST_200600_302600_NS6detail15normal_iteratorINS9_10device_ptrIsEEEESE_SE_sNS9_4plusIvEENS9_8equal_toIsEEsEE10hipError_tPvRmT2_T3_T4_T5_mT6_T7_P12ihipStream_tbENKUlT_T0_E_clISt17integral_constantIbLb0EESZ_EEDaSU_SV_EUlSU_E_NS1_11comp_targetILNS1_3genE5ELNS1_11target_archE942ELNS1_3gpuE9ELNS1_3repE0EEENS1_30default_config_static_selectorELNS0_4arch9wavefront6targetE0EEEvT1_: ; @_ZN7rocprim17ROCPRIM_400000_NS6detail17trampoline_kernelINS0_14default_configENS1_27scan_by_key_config_selectorIssEEZZNS1_16scan_by_key_implILNS1_25lookback_scan_determinismE0ELb0ES3_N6thrust23THRUST_200600_302600_NS6detail15normal_iteratorINS9_10device_ptrIsEEEESE_SE_sNS9_4plusIvEENS9_8equal_toIsEEsEE10hipError_tPvRmT2_T3_T4_T5_mT6_T7_P12ihipStream_tbENKUlT_T0_E_clISt17integral_constantIbLb0EESZ_EEDaSU_SV_EUlSU_E_NS1_11comp_targetILNS1_3genE5ELNS1_11target_archE942ELNS1_3gpuE9ELNS1_3repE0EEENS1_30default_config_static_selectorELNS0_4arch9wavefront6targetE0EEEvT1_
; %bb.0:
	.section	.rodata,"a",@progbits
	.p2align	6, 0x0
	.amdhsa_kernel _ZN7rocprim17ROCPRIM_400000_NS6detail17trampoline_kernelINS0_14default_configENS1_27scan_by_key_config_selectorIssEEZZNS1_16scan_by_key_implILNS1_25lookback_scan_determinismE0ELb0ES3_N6thrust23THRUST_200600_302600_NS6detail15normal_iteratorINS9_10device_ptrIsEEEESE_SE_sNS9_4plusIvEENS9_8equal_toIsEEsEE10hipError_tPvRmT2_T3_T4_T5_mT6_T7_P12ihipStream_tbENKUlT_T0_E_clISt17integral_constantIbLb0EESZ_EEDaSU_SV_EUlSU_E_NS1_11comp_targetILNS1_3genE5ELNS1_11target_archE942ELNS1_3gpuE9ELNS1_3repE0EEENS1_30default_config_static_selectorELNS0_4arch9wavefront6targetE0EEEvT1_
		.amdhsa_group_segment_fixed_size 0
		.amdhsa_private_segment_fixed_size 0
		.amdhsa_kernarg_size 112
		.amdhsa_user_sgpr_count 2
		.amdhsa_user_sgpr_dispatch_ptr 0
		.amdhsa_user_sgpr_queue_ptr 0
		.amdhsa_user_sgpr_kernarg_segment_ptr 1
		.amdhsa_user_sgpr_dispatch_id 0
		.amdhsa_user_sgpr_kernarg_preload_length 0
		.amdhsa_user_sgpr_kernarg_preload_offset 0
		.amdhsa_user_sgpr_private_segment_size 0
		.amdhsa_wavefront_size32 1
		.amdhsa_uses_dynamic_stack 0
		.amdhsa_enable_private_segment 0
		.amdhsa_system_sgpr_workgroup_id_x 1
		.amdhsa_system_sgpr_workgroup_id_y 0
		.amdhsa_system_sgpr_workgroup_id_z 0
		.amdhsa_system_sgpr_workgroup_info 0
		.amdhsa_system_vgpr_workitem_id 0
		.amdhsa_next_free_vgpr 1
		.amdhsa_next_free_sgpr 1
		.amdhsa_named_barrier_count 0
		.amdhsa_reserve_vcc 0
		.amdhsa_float_round_mode_32 0
		.amdhsa_float_round_mode_16_64 0
		.amdhsa_float_denorm_mode_32 3
		.amdhsa_float_denorm_mode_16_64 3
		.amdhsa_fp16_overflow 0
		.amdhsa_memory_ordered 1
		.amdhsa_forward_progress 1
		.amdhsa_inst_pref_size 0
		.amdhsa_round_robin_scheduling 0
		.amdhsa_exception_fp_ieee_invalid_op 0
		.amdhsa_exception_fp_denorm_src 0
		.amdhsa_exception_fp_ieee_div_zero 0
		.amdhsa_exception_fp_ieee_overflow 0
		.amdhsa_exception_fp_ieee_underflow 0
		.amdhsa_exception_fp_ieee_inexact 0
		.amdhsa_exception_int_div_zero 0
	.end_amdhsa_kernel
	.section	.text._ZN7rocprim17ROCPRIM_400000_NS6detail17trampoline_kernelINS0_14default_configENS1_27scan_by_key_config_selectorIssEEZZNS1_16scan_by_key_implILNS1_25lookback_scan_determinismE0ELb0ES3_N6thrust23THRUST_200600_302600_NS6detail15normal_iteratorINS9_10device_ptrIsEEEESE_SE_sNS9_4plusIvEENS9_8equal_toIsEEsEE10hipError_tPvRmT2_T3_T4_T5_mT6_T7_P12ihipStream_tbENKUlT_T0_E_clISt17integral_constantIbLb0EESZ_EEDaSU_SV_EUlSU_E_NS1_11comp_targetILNS1_3genE5ELNS1_11target_archE942ELNS1_3gpuE9ELNS1_3repE0EEENS1_30default_config_static_selectorELNS0_4arch9wavefront6targetE0EEEvT1_,"axG",@progbits,_ZN7rocprim17ROCPRIM_400000_NS6detail17trampoline_kernelINS0_14default_configENS1_27scan_by_key_config_selectorIssEEZZNS1_16scan_by_key_implILNS1_25lookback_scan_determinismE0ELb0ES3_N6thrust23THRUST_200600_302600_NS6detail15normal_iteratorINS9_10device_ptrIsEEEESE_SE_sNS9_4plusIvEENS9_8equal_toIsEEsEE10hipError_tPvRmT2_T3_T4_T5_mT6_T7_P12ihipStream_tbENKUlT_T0_E_clISt17integral_constantIbLb0EESZ_EEDaSU_SV_EUlSU_E_NS1_11comp_targetILNS1_3genE5ELNS1_11target_archE942ELNS1_3gpuE9ELNS1_3repE0EEENS1_30default_config_static_selectorELNS0_4arch9wavefront6targetE0EEEvT1_,comdat
.Lfunc_end319:
	.size	_ZN7rocprim17ROCPRIM_400000_NS6detail17trampoline_kernelINS0_14default_configENS1_27scan_by_key_config_selectorIssEEZZNS1_16scan_by_key_implILNS1_25lookback_scan_determinismE0ELb0ES3_N6thrust23THRUST_200600_302600_NS6detail15normal_iteratorINS9_10device_ptrIsEEEESE_SE_sNS9_4plusIvEENS9_8equal_toIsEEsEE10hipError_tPvRmT2_T3_T4_T5_mT6_T7_P12ihipStream_tbENKUlT_T0_E_clISt17integral_constantIbLb0EESZ_EEDaSU_SV_EUlSU_E_NS1_11comp_targetILNS1_3genE5ELNS1_11target_archE942ELNS1_3gpuE9ELNS1_3repE0EEENS1_30default_config_static_selectorELNS0_4arch9wavefront6targetE0EEEvT1_, .Lfunc_end319-_ZN7rocprim17ROCPRIM_400000_NS6detail17trampoline_kernelINS0_14default_configENS1_27scan_by_key_config_selectorIssEEZZNS1_16scan_by_key_implILNS1_25lookback_scan_determinismE0ELb0ES3_N6thrust23THRUST_200600_302600_NS6detail15normal_iteratorINS9_10device_ptrIsEEEESE_SE_sNS9_4plusIvEENS9_8equal_toIsEEsEE10hipError_tPvRmT2_T3_T4_T5_mT6_T7_P12ihipStream_tbENKUlT_T0_E_clISt17integral_constantIbLb0EESZ_EEDaSU_SV_EUlSU_E_NS1_11comp_targetILNS1_3genE5ELNS1_11target_archE942ELNS1_3gpuE9ELNS1_3repE0EEENS1_30default_config_static_selectorELNS0_4arch9wavefront6targetE0EEEvT1_
                                        ; -- End function
	.set _ZN7rocprim17ROCPRIM_400000_NS6detail17trampoline_kernelINS0_14default_configENS1_27scan_by_key_config_selectorIssEEZZNS1_16scan_by_key_implILNS1_25lookback_scan_determinismE0ELb0ES3_N6thrust23THRUST_200600_302600_NS6detail15normal_iteratorINS9_10device_ptrIsEEEESE_SE_sNS9_4plusIvEENS9_8equal_toIsEEsEE10hipError_tPvRmT2_T3_T4_T5_mT6_T7_P12ihipStream_tbENKUlT_T0_E_clISt17integral_constantIbLb0EESZ_EEDaSU_SV_EUlSU_E_NS1_11comp_targetILNS1_3genE5ELNS1_11target_archE942ELNS1_3gpuE9ELNS1_3repE0EEENS1_30default_config_static_selectorELNS0_4arch9wavefront6targetE0EEEvT1_.num_vgpr, 0
	.set _ZN7rocprim17ROCPRIM_400000_NS6detail17trampoline_kernelINS0_14default_configENS1_27scan_by_key_config_selectorIssEEZZNS1_16scan_by_key_implILNS1_25lookback_scan_determinismE0ELb0ES3_N6thrust23THRUST_200600_302600_NS6detail15normal_iteratorINS9_10device_ptrIsEEEESE_SE_sNS9_4plusIvEENS9_8equal_toIsEEsEE10hipError_tPvRmT2_T3_T4_T5_mT6_T7_P12ihipStream_tbENKUlT_T0_E_clISt17integral_constantIbLb0EESZ_EEDaSU_SV_EUlSU_E_NS1_11comp_targetILNS1_3genE5ELNS1_11target_archE942ELNS1_3gpuE9ELNS1_3repE0EEENS1_30default_config_static_selectorELNS0_4arch9wavefront6targetE0EEEvT1_.num_agpr, 0
	.set _ZN7rocprim17ROCPRIM_400000_NS6detail17trampoline_kernelINS0_14default_configENS1_27scan_by_key_config_selectorIssEEZZNS1_16scan_by_key_implILNS1_25lookback_scan_determinismE0ELb0ES3_N6thrust23THRUST_200600_302600_NS6detail15normal_iteratorINS9_10device_ptrIsEEEESE_SE_sNS9_4plusIvEENS9_8equal_toIsEEsEE10hipError_tPvRmT2_T3_T4_T5_mT6_T7_P12ihipStream_tbENKUlT_T0_E_clISt17integral_constantIbLb0EESZ_EEDaSU_SV_EUlSU_E_NS1_11comp_targetILNS1_3genE5ELNS1_11target_archE942ELNS1_3gpuE9ELNS1_3repE0EEENS1_30default_config_static_selectorELNS0_4arch9wavefront6targetE0EEEvT1_.numbered_sgpr, 0
	.set _ZN7rocprim17ROCPRIM_400000_NS6detail17trampoline_kernelINS0_14default_configENS1_27scan_by_key_config_selectorIssEEZZNS1_16scan_by_key_implILNS1_25lookback_scan_determinismE0ELb0ES3_N6thrust23THRUST_200600_302600_NS6detail15normal_iteratorINS9_10device_ptrIsEEEESE_SE_sNS9_4plusIvEENS9_8equal_toIsEEsEE10hipError_tPvRmT2_T3_T4_T5_mT6_T7_P12ihipStream_tbENKUlT_T0_E_clISt17integral_constantIbLb0EESZ_EEDaSU_SV_EUlSU_E_NS1_11comp_targetILNS1_3genE5ELNS1_11target_archE942ELNS1_3gpuE9ELNS1_3repE0EEENS1_30default_config_static_selectorELNS0_4arch9wavefront6targetE0EEEvT1_.num_named_barrier, 0
	.set _ZN7rocprim17ROCPRIM_400000_NS6detail17trampoline_kernelINS0_14default_configENS1_27scan_by_key_config_selectorIssEEZZNS1_16scan_by_key_implILNS1_25lookback_scan_determinismE0ELb0ES3_N6thrust23THRUST_200600_302600_NS6detail15normal_iteratorINS9_10device_ptrIsEEEESE_SE_sNS9_4plusIvEENS9_8equal_toIsEEsEE10hipError_tPvRmT2_T3_T4_T5_mT6_T7_P12ihipStream_tbENKUlT_T0_E_clISt17integral_constantIbLb0EESZ_EEDaSU_SV_EUlSU_E_NS1_11comp_targetILNS1_3genE5ELNS1_11target_archE942ELNS1_3gpuE9ELNS1_3repE0EEENS1_30default_config_static_selectorELNS0_4arch9wavefront6targetE0EEEvT1_.private_seg_size, 0
	.set _ZN7rocprim17ROCPRIM_400000_NS6detail17trampoline_kernelINS0_14default_configENS1_27scan_by_key_config_selectorIssEEZZNS1_16scan_by_key_implILNS1_25lookback_scan_determinismE0ELb0ES3_N6thrust23THRUST_200600_302600_NS6detail15normal_iteratorINS9_10device_ptrIsEEEESE_SE_sNS9_4plusIvEENS9_8equal_toIsEEsEE10hipError_tPvRmT2_T3_T4_T5_mT6_T7_P12ihipStream_tbENKUlT_T0_E_clISt17integral_constantIbLb0EESZ_EEDaSU_SV_EUlSU_E_NS1_11comp_targetILNS1_3genE5ELNS1_11target_archE942ELNS1_3gpuE9ELNS1_3repE0EEENS1_30default_config_static_selectorELNS0_4arch9wavefront6targetE0EEEvT1_.uses_vcc, 0
	.set _ZN7rocprim17ROCPRIM_400000_NS6detail17trampoline_kernelINS0_14default_configENS1_27scan_by_key_config_selectorIssEEZZNS1_16scan_by_key_implILNS1_25lookback_scan_determinismE0ELb0ES3_N6thrust23THRUST_200600_302600_NS6detail15normal_iteratorINS9_10device_ptrIsEEEESE_SE_sNS9_4plusIvEENS9_8equal_toIsEEsEE10hipError_tPvRmT2_T3_T4_T5_mT6_T7_P12ihipStream_tbENKUlT_T0_E_clISt17integral_constantIbLb0EESZ_EEDaSU_SV_EUlSU_E_NS1_11comp_targetILNS1_3genE5ELNS1_11target_archE942ELNS1_3gpuE9ELNS1_3repE0EEENS1_30default_config_static_selectorELNS0_4arch9wavefront6targetE0EEEvT1_.uses_flat_scratch, 0
	.set _ZN7rocprim17ROCPRIM_400000_NS6detail17trampoline_kernelINS0_14default_configENS1_27scan_by_key_config_selectorIssEEZZNS1_16scan_by_key_implILNS1_25lookback_scan_determinismE0ELb0ES3_N6thrust23THRUST_200600_302600_NS6detail15normal_iteratorINS9_10device_ptrIsEEEESE_SE_sNS9_4plusIvEENS9_8equal_toIsEEsEE10hipError_tPvRmT2_T3_T4_T5_mT6_T7_P12ihipStream_tbENKUlT_T0_E_clISt17integral_constantIbLb0EESZ_EEDaSU_SV_EUlSU_E_NS1_11comp_targetILNS1_3genE5ELNS1_11target_archE942ELNS1_3gpuE9ELNS1_3repE0EEENS1_30default_config_static_selectorELNS0_4arch9wavefront6targetE0EEEvT1_.has_dyn_sized_stack, 0
	.set _ZN7rocprim17ROCPRIM_400000_NS6detail17trampoline_kernelINS0_14default_configENS1_27scan_by_key_config_selectorIssEEZZNS1_16scan_by_key_implILNS1_25lookback_scan_determinismE0ELb0ES3_N6thrust23THRUST_200600_302600_NS6detail15normal_iteratorINS9_10device_ptrIsEEEESE_SE_sNS9_4plusIvEENS9_8equal_toIsEEsEE10hipError_tPvRmT2_T3_T4_T5_mT6_T7_P12ihipStream_tbENKUlT_T0_E_clISt17integral_constantIbLb0EESZ_EEDaSU_SV_EUlSU_E_NS1_11comp_targetILNS1_3genE5ELNS1_11target_archE942ELNS1_3gpuE9ELNS1_3repE0EEENS1_30default_config_static_selectorELNS0_4arch9wavefront6targetE0EEEvT1_.has_recursion, 0
	.set _ZN7rocprim17ROCPRIM_400000_NS6detail17trampoline_kernelINS0_14default_configENS1_27scan_by_key_config_selectorIssEEZZNS1_16scan_by_key_implILNS1_25lookback_scan_determinismE0ELb0ES3_N6thrust23THRUST_200600_302600_NS6detail15normal_iteratorINS9_10device_ptrIsEEEESE_SE_sNS9_4plusIvEENS9_8equal_toIsEEsEE10hipError_tPvRmT2_T3_T4_T5_mT6_T7_P12ihipStream_tbENKUlT_T0_E_clISt17integral_constantIbLb0EESZ_EEDaSU_SV_EUlSU_E_NS1_11comp_targetILNS1_3genE5ELNS1_11target_archE942ELNS1_3gpuE9ELNS1_3repE0EEENS1_30default_config_static_selectorELNS0_4arch9wavefront6targetE0EEEvT1_.has_indirect_call, 0
	.section	.AMDGPU.csdata,"",@progbits
; Kernel info:
; codeLenInByte = 0
; TotalNumSgprs: 0
; NumVgprs: 0
; ScratchSize: 0
; MemoryBound: 0
; FloatMode: 240
; IeeeMode: 1
; LDSByteSize: 0 bytes/workgroup (compile time only)
; SGPRBlocks: 0
; VGPRBlocks: 0
; NumSGPRsForWavesPerEU: 1
; NumVGPRsForWavesPerEU: 1
; NamedBarCnt: 0
; Occupancy: 16
; WaveLimiterHint : 0
; COMPUTE_PGM_RSRC2:SCRATCH_EN: 0
; COMPUTE_PGM_RSRC2:USER_SGPR: 2
; COMPUTE_PGM_RSRC2:TRAP_HANDLER: 0
; COMPUTE_PGM_RSRC2:TGID_X_EN: 1
; COMPUTE_PGM_RSRC2:TGID_Y_EN: 0
; COMPUTE_PGM_RSRC2:TGID_Z_EN: 0
; COMPUTE_PGM_RSRC2:TIDIG_COMP_CNT: 0
	.section	.text._ZN7rocprim17ROCPRIM_400000_NS6detail17trampoline_kernelINS0_14default_configENS1_27scan_by_key_config_selectorIssEEZZNS1_16scan_by_key_implILNS1_25lookback_scan_determinismE0ELb0ES3_N6thrust23THRUST_200600_302600_NS6detail15normal_iteratorINS9_10device_ptrIsEEEESE_SE_sNS9_4plusIvEENS9_8equal_toIsEEsEE10hipError_tPvRmT2_T3_T4_T5_mT6_T7_P12ihipStream_tbENKUlT_T0_E_clISt17integral_constantIbLb0EESZ_EEDaSU_SV_EUlSU_E_NS1_11comp_targetILNS1_3genE4ELNS1_11target_archE910ELNS1_3gpuE8ELNS1_3repE0EEENS1_30default_config_static_selectorELNS0_4arch9wavefront6targetE0EEEvT1_,"axG",@progbits,_ZN7rocprim17ROCPRIM_400000_NS6detail17trampoline_kernelINS0_14default_configENS1_27scan_by_key_config_selectorIssEEZZNS1_16scan_by_key_implILNS1_25lookback_scan_determinismE0ELb0ES3_N6thrust23THRUST_200600_302600_NS6detail15normal_iteratorINS9_10device_ptrIsEEEESE_SE_sNS9_4plusIvEENS9_8equal_toIsEEsEE10hipError_tPvRmT2_T3_T4_T5_mT6_T7_P12ihipStream_tbENKUlT_T0_E_clISt17integral_constantIbLb0EESZ_EEDaSU_SV_EUlSU_E_NS1_11comp_targetILNS1_3genE4ELNS1_11target_archE910ELNS1_3gpuE8ELNS1_3repE0EEENS1_30default_config_static_selectorELNS0_4arch9wavefront6targetE0EEEvT1_,comdat
	.protected	_ZN7rocprim17ROCPRIM_400000_NS6detail17trampoline_kernelINS0_14default_configENS1_27scan_by_key_config_selectorIssEEZZNS1_16scan_by_key_implILNS1_25lookback_scan_determinismE0ELb0ES3_N6thrust23THRUST_200600_302600_NS6detail15normal_iteratorINS9_10device_ptrIsEEEESE_SE_sNS9_4plusIvEENS9_8equal_toIsEEsEE10hipError_tPvRmT2_T3_T4_T5_mT6_T7_P12ihipStream_tbENKUlT_T0_E_clISt17integral_constantIbLb0EESZ_EEDaSU_SV_EUlSU_E_NS1_11comp_targetILNS1_3genE4ELNS1_11target_archE910ELNS1_3gpuE8ELNS1_3repE0EEENS1_30default_config_static_selectorELNS0_4arch9wavefront6targetE0EEEvT1_ ; -- Begin function _ZN7rocprim17ROCPRIM_400000_NS6detail17trampoline_kernelINS0_14default_configENS1_27scan_by_key_config_selectorIssEEZZNS1_16scan_by_key_implILNS1_25lookback_scan_determinismE0ELb0ES3_N6thrust23THRUST_200600_302600_NS6detail15normal_iteratorINS9_10device_ptrIsEEEESE_SE_sNS9_4plusIvEENS9_8equal_toIsEEsEE10hipError_tPvRmT2_T3_T4_T5_mT6_T7_P12ihipStream_tbENKUlT_T0_E_clISt17integral_constantIbLb0EESZ_EEDaSU_SV_EUlSU_E_NS1_11comp_targetILNS1_3genE4ELNS1_11target_archE910ELNS1_3gpuE8ELNS1_3repE0EEENS1_30default_config_static_selectorELNS0_4arch9wavefront6targetE0EEEvT1_
	.globl	_ZN7rocprim17ROCPRIM_400000_NS6detail17trampoline_kernelINS0_14default_configENS1_27scan_by_key_config_selectorIssEEZZNS1_16scan_by_key_implILNS1_25lookback_scan_determinismE0ELb0ES3_N6thrust23THRUST_200600_302600_NS6detail15normal_iteratorINS9_10device_ptrIsEEEESE_SE_sNS9_4plusIvEENS9_8equal_toIsEEsEE10hipError_tPvRmT2_T3_T4_T5_mT6_T7_P12ihipStream_tbENKUlT_T0_E_clISt17integral_constantIbLb0EESZ_EEDaSU_SV_EUlSU_E_NS1_11comp_targetILNS1_3genE4ELNS1_11target_archE910ELNS1_3gpuE8ELNS1_3repE0EEENS1_30default_config_static_selectorELNS0_4arch9wavefront6targetE0EEEvT1_
	.p2align	8
	.type	_ZN7rocprim17ROCPRIM_400000_NS6detail17trampoline_kernelINS0_14default_configENS1_27scan_by_key_config_selectorIssEEZZNS1_16scan_by_key_implILNS1_25lookback_scan_determinismE0ELb0ES3_N6thrust23THRUST_200600_302600_NS6detail15normal_iteratorINS9_10device_ptrIsEEEESE_SE_sNS9_4plusIvEENS9_8equal_toIsEEsEE10hipError_tPvRmT2_T3_T4_T5_mT6_T7_P12ihipStream_tbENKUlT_T0_E_clISt17integral_constantIbLb0EESZ_EEDaSU_SV_EUlSU_E_NS1_11comp_targetILNS1_3genE4ELNS1_11target_archE910ELNS1_3gpuE8ELNS1_3repE0EEENS1_30default_config_static_selectorELNS0_4arch9wavefront6targetE0EEEvT1_,@function
_ZN7rocprim17ROCPRIM_400000_NS6detail17trampoline_kernelINS0_14default_configENS1_27scan_by_key_config_selectorIssEEZZNS1_16scan_by_key_implILNS1_25lookback_scan_determinismE0ELb0ES3_N6thrust23THRUST_200600_302600_NS6detail15normal_iteratorINS9_10device_ptrIsEEEESE_SE_sNS9_4plusIvEENS9_8equal_toIsEEsEE10hipError_tPvRmT2_T3_T4_T5_mT6_T7_P12ihipStream_tbENKUlT_T0_E_clISt17integral_constantIbLb0EESZ_EEDaSU_SV_EUlSU_E_NS1_11comp_targetILNS1_3genE4ELNS1_11target_archE910ELNS1_3gpuE8ELNS1_3repE0EEENS1_30default_config_static_selectorELNS0_4arch9wavefront6targetE0EEEvT1_: ; @_ZN7rocprim17ROCPRIM_400000_NS6detail17trampoline_kernelINS0_14default_configENS1_27scan_by_key_config_selectorIssEEZZNS1_16scan_by_key_implILNS1_25lookback_scan_determinismE0ELb0ES3_N6thrust23THRUST_200600_302600_NS6detail15normal_iteratorINS9_10device_ptrIsEEEESE_SE_sNS9_4plusIvEENS9_8equal_toIsEEsEE10hipError_tPvRmT2_T3_T4_T5_mT6_T7_P12ihipStream_tbENKUlT_T0_E_clISt17integral_constantIbLb0EESZ_EEDaSU_SV_EUlSU_E_NS1_11comp_targetILNS1_3genE4ELNS1_11target_archE910ELNS1_3gpuE8ELNS1_3repE0EEENS1_30default_config_static_selectorELNS0_4arch9wavefront6targetE0EEEvT1_
; %bb.0:
	.section	.rodata,"a",@progbits
	.p2align	6, 0x0
	.amdhsa_kernel _ZN7rocprim17ROCPRIM_400000_NS6detail17trampoline_kernelINS0_14default_configENS1_27scan_by_key_config_selectorIssEEZZNS1_16scan_by_key_implILNS1_25lookback_scan_determinismE0ELb0ES3_N6thrust23THRUST_200600_302600_NS6detail15normal_iteratorINS9_10device_ptrIsEEEESE_SE_sNS9_4plusIvEENS9_8equal_toIsEEsEE10hipError_tPvRmT2_T3_T4_T5_mT6_T7_P12ihipStream_tbENKUlT_T0_E_clISt17integral_constantIbLb0EESZ_EEDaSU_SV_EUlSU_E_NS1_11comp_targetILNS1_3genE4ELNS1_11target_archE910ELNS1_3gpuE8ELNS1_3repE0EEENS1_30default_config_static_selectorELNS0_4arch9wavefront6targetE0EEEvT1_
		.amdhsa_group_segment_fixed_size 0
		.amdhsa_private_segment_fixed_size 0
		.amdhsa_kernarg_size 112
		.amdhsa_user_sgpr_count 2
		.amdhsa_user_sgpr_dispatch_ptr 0
		.amdhsa_user_sgpr_queue_ptr 0
		.amdhsa_user_sgpr_kernarg_segment_ptr 1
		.amdhsa_user_sgpr_dispatch_id 0
		.amdhsa_user_sgpr_kernarg_preload_length 0
		.amdhsa_user_sgpr_kernarg_preload_offset 0
		.amdhsa_user_sgpr_private_segment_size 0
		.amdhsa_wavefront_size32 1
		.amdhsa_uses_dynamic_stack 0
		.amdhsa_enable_private_segment 0
		.amdhsa_system_sgpr_workgroup_id_x 1
		.amdhsa_system_sgpr_workgroup_id_y 0
		.amdhsa_system_sgpr_workgroup_id_z 0
		.amdhsa_system_sgpr_workgroup_info 0
		.amdhsa_system_vgpr_workitem_id 0
		.amdhsa_next_free_vgpr 1
		.amdhsa_next_free_sgpr 1
		.amdhsa_named_barrier_count 0
		.amdhsa_reserve_vcc 0
		.amdhsa_float_round_mode_32 0
		.amdhsa_float_round_mode_16_64 0
		.amdhsa_float_denorm_mode_32 3
		.amdhsa_float_denorm_mode_16_64 3
		.amdhsa_fp16_overflow 0
		.amdhsa_memory_ordered 1
		.amdhsa_forward_progress 1
		.amdhsa_inst_pref_size 0
		.amdhsa_round_robin_scheduling 0
		.amdhsa_exception_fp_ieee_invalid_op 0
		.amdhsa_exception_fp_denorm_src 0
		.amdhsa_exception_fp_ieee_div_zero 0
		.amdhsa_exception_fp_ieee_overflow 0
		.amdhsa_exception_fp_ieee_underflow 0
		.amdhsa_exception_fp_ieee_inexact 0
		.amdhsa_exception_int_div_zero 0
	.end_amdhsa_kernel
	.section	.text._ZN7rocprim17ROCPRIM_400000_NS6detail17trampoline_kernelINS0_14default_configENS1_27scan_by_key_config_selectorIssEEZZNS1_16scan_by_key_implILNS1_25lookback_scan_determinismE0ELb0ES3_N6thrust23THRUST_200600_302600_NS6detail15normal_iteratorINS9_10device_ptrIsEEEESE_SE_sNS9_4plusIvEENS9_8equal_toIsEEsEE10hipError_tPvRmT2_T3_T4_T5_mT6_T7_P12ihipStream_tbENKUlT_T0_E_clISt17integral_constantIbLb0EESZ_EEDaSU_SV_EUlSU_E_NS1_11comp_targetILNS1_3genE4ELNS1_11target_archE910ELNS1_3gpuE8ELNS1_3repE0EEENS1_30default_config_static_selectorELNS0_4arch9wavefront6targetE0EEEvT1_,"axG",@progbits,_ZN7rocprim17ROCPRIM_400000_NS6detail17trampoline_kernelINS0_14default_configENS1_27scan_by_key_config_selectorIssEEZZNS1_16scan_by_key_implILNS1_25lookback_scan_determinismE0ELb0ES3_N6thrust23THRUST_200600_302600_NS6detail15normal_iteratorINS9_10device_ptrIsEEEESE_SE_sNS9_4plusIvEENS9_8equal_toIsEEsEE10hipError_tPvRmT2_T3_T4_T5_mT6_T7_P12ihipStream_tbENKUlT_T0_E_clISt17integral_constantIbLb0EESZ_EEDaSU_SV_EUlSU_E_NS1_11comp_targetILNS1_3genE4ELNS1_11target_archE910ELNS1_3gpuE8ELNS1_3repE0EEENS1_30default_config_static_selectorELNS0_4arch9wavefront6targetE0EEEvT1_,comdat
.Lfunc_end320:
	.size	_ZN7rocprim17ROCPRIM_400000_NS6detail17trampoline_kernelINS0_14default_configENS1_27scan_by_key_config_selectorIssEEZZNS1_16scan_by_key_implILNS1_25lookback_scan_determinismE0ELb0ES3_N6thrust23THRUST_200600_302600_NS6detail15normal_iteratorINS9_10device_ptrIsEEEESE_SE_sNS9_4plusIvEENS9_8equal_toIsEEsEE10hipError_tPvRmT2_T3_T4_T5_mT6_T7_P12ihipStream_tbENKUlT_T0_E_clISt17integral_constantIbLb0EESZ_EEDaSU_SV_EUlSU_E_NS1_11comp_targetILNS1_3genE4ELNS1_11target_archE910ELNS1_3gpuE8ELNS1_3repE0EEENS1_30default_config_static_selectorELNS0_4arch9wavefront6targetE0EEEvT1_, .Lfunc_end320-_ZN7rocprim17ROCPRIM_400000_NS6detail17trampoline_kernelINS0_14default_configENS1_27scan_by_key_config_selectorIssEEZZNS1_16scan_by_key_implILNS1_25lookback_scan_determinismE0ELb0ES3_N6thrust23THRUST_200600_302600_NS6detail15normal_iteratorINS9_10device_ptrIsEEEESE_SE_sNS9_4plusIvEENS9_8equal_toIsEEsEE10hipError_tPvRmT2_T3_T4_T5_mT6_T7_P12ihipStream_tbENKUlT_T0_E_clISt17integral_constantIbLb0EESZ_EEDaSU_SV_EUlSU_E_NS1_11comp_targetILNS1_3genE4ELNS1_11target_archE910ELNS1_3gpuE8ELNS1_3repE0EEENS1_30default_config_static_selectorELNS0_4arch9wavefront6targetE0EEEvT1_
                                        ; -- End function
	.set _ZN7rocprim17ROCPRIM_400000_NS6detail17trampoline_kernelINS0_14default_configENS1_27scan_by_key_config_selectorIssEEZZNS1_16scan_by_key_implILNS1_25lookback_scan_determinismE0ELb0ES3_N6thrust23THRUST_200600_302600_NS6detail15normal_iteratorINS9_10device_ptrIsEEEESE_SE_sNS9_4plusIvEENS9_8equal_toIsEEsEE10hipError_tPvRmT2_T3_T4_T5_mT6_T7_P12ihipStream_tbENKUlT_T0_E_clISt17integral_constantIbLb0EESZ_EEDaSU_SV_EUlSU_E_NS1_11comp_targetILNS1_3genE4ELNS1_11target_archE910ELNS1_3gpuE8ELNS1_3repE0EEENS1_30default_config_static_selectorELNS0_4arch9wavefront6targetE0EEEvT1_.num_vgpr, 0
	.set _ZN7rocprim17ROCPRIM_400000_NS6detail17trampoline_kernelINS0_14default_configENS1_27scan_by_key_config_selectorIssEEZZNS1_16scan_by_key_implILNS1_25lookback_scan_determinismE0ELb0ES3_N6thrust23THRUST_200600_302600_NS6detail15normal_iteratorINS9_10device_ptrIsEEEESE_SE_sNS9_4plusIvEENS9_8equal_toIsEEsEE10hipError_tPvRmT2_T3_T4_T5_mT6_T7_P12ihipStream_tbENKUlT_T0_E_clISt17integral_constantIbLb0EESZ_EEDaSU_SV_EUlSU_E_NS1_11comp_targetILNS1_3genE4ELNS1_11target_archE910ELNS1_3gpuE8ELNS1_3repE0EEENS1_30default_config_static_selectorELNS0_4arch9wavefront6targetE0EEEvT1_.num_agpr, 0
	.set _ZN7rocprim17ROCPRIM_400000_NS6detail17trampoline_kernelINS0_14default_configENS1_27scan_by_key_config_selectorIssEEZZNS1_16scan_by_key_implILNS1_25lookback_scan_determinismE0ELb0ES3_N6thrust23THRUST_200600_302600_NS6detail15normal_iteratorINS9_10device_ptrIsEEEESE_SE_sNS9_4plusIvEENS9_8equal_toIsEEsEE10hipError_tPvRmT2_T3_T4_T5_mT6_T7_P12ihipStream_tbENKUlT_T0_E_clISt17integral_constantIbLb0EESZ_EEDaSU_SV_EUlSU_E_NS1_11comp_targetILNS1_3genE4ELNS1_11target_archE910ELNS1_3gpuE8ELNS1_3repE0EEENS1_30default_config_static_selectorELNS0_4arch9wavefront6targetE0EEEvT1_.numbered_sgpr, 0
	.set _ZN7rocprim17ROCPRIM_400000_NS6detail17trampoline_kernelINS0_14default_configENS1_27scan_by_key_config_selectorIssEEZZNS1_16scan_by_key_implILNS1_25lookback_scan_determinismE0ELb0ES3_N6thrust23THRUST_200600_302600_NS6detail15normal_iteratorINS9_10device_ptrIsEEEESE_SE_sNS9_4plusIvEENS9_8equal_toIsEEsEE10hipError_tPvRmT2_T3_T4_T5_mT6_T7_P12ihipStream_tbENKUlT_T0_E_clISt17integral_constantIbLb0EESZ_EEDaSU_SV_EUlSU_E_NS1_11comp_targetILNS1_3genE4ELNS1_11target_archE910ELNS1_3gpuE8ELNS1_3repE0EEENS1_30default_config_static_selectorELNS0_4arch9wavefront6targetE0EEEvT1_.num_named_barrier, 0
	.set _ZN7rocprim17ROCPRIM_400000_NS6detail17trampoline_kernelINS0_14default_configENS1_27scan_by_key_config_selectorIssEEZZNS1_16scan_by_key_implILNS1_25lookback_scan_determinismE0ELb0ES3_N6thrust23THRUST_200600_302600_NS6detail15normal_iteratorINS9_10device_ptrIsEEEESE_SE_sNS9_4plusIvEENS9_8equal_toIsEEsEE10hipError_tPvRmT2_T3_T4_T5_mT6_T7_P12ihipStream_tbENKUlT_T0_E_clISt17integral_constantIbLb0EESZ_EEDaSU_SV_EUlSU_E_NS1_11comp_targetILNS1_3genE4ELNS1_11target_archE910ELNS1_3gpuE8ELNS1_3repE0EEENS1_30default_config_static_selectorELNS0_4arch9wavefront6targetE0EEEvT1_.private_seg_size, 0
	.set _ZN7rocprim17ROCPRIM_400000_NS6detail17trampoline_kernelINS0_14default_configENS1_27scan_by_key_config_selectorIssEEZZNS1_16scan_by_key_implILNS1_25lookback_scan_determinismE0ELb0ES3_N6thrust23THRUST_200600_302600_NS6detail15normal_iteratorINS9_10device_ptrIsEEEESE_SE_sNS9_4plusIvEENS9_8equal_toIsEEsEE10hipError_tPvRmT2_T3_T4_T5_mT6_T7_P12ihipStream_tbENKUlT_T0_E_clISt17integral_constantIbLb0EESZ_EEDaSU_SV_EUlSU_E_NS1_11comp_targetILNS1_3genE4ELNS1_11target_archE910ELNS1_3gpuE8ELNS1_3repE0EEENS1_30default_config_static_selectorELNS0_4arch9wavefront6targetE0EEEvT1_.uses_vcc, 0
	.set _ZN7rocprim17ROCPRIM_400000_NS6detail17trampoline_kernelINS0_14default_configENS1_27scan_by_key_config_selectorIssEEZZNS1_16scan_by_key_implILNS1_25lookback_scan_determinismE0ELb0ES3_N6thrust23THRUST_200600_302600_NS6detail15normal_iteratorINS9_10device_ptrIsEEEESE_SE_sNS9_4plusIvEENS9_8equal_toIsEEsEE10hipError_tPvRmT2_T3_T4_T5_mT6_T7_P12ihipStream_tbENKUlT_T0_E_clISt17integral_constantIbLb0EESZ_EEDaSU_SV_EUlSU_E_NS1_11comp_targetILNS1_3genE4ELNS1_11target_archE910ELNS1_3gpuE8ELNS1_3repE0EEENS1_30default_config_static_selectorELNS0_4arch9wavefront6targetE0EEEvT1_.uses_flat_scratch, 0
	.set _ZN7rocprim17ROCPRIM_400000_NS6detail17trampoline_kernelINS0_14default_configENS1_27scan_by_key_config_selectorIssEEZZNS1_16scan_by_key_implILNS1_25lookback_scan_determinismE0ELb0ES3_N6thrust23THRUST_200600_302600_NS6detail15normal_iteratorINS9_10device_ptrIsEEEESE_SE_sNS9_4plusIvEENS9_8equal_toIsEEsEE10hipError_tPvRmT2_T3_T4_T5_mT6_T7_P12ihipStream_tbENKUlT_T0_E_clISt17integral_constantIbLb0EESZ_EEDaSU_SV_EUlSU_E_NS1_11comp_targetILNS1_3genE4ELNS1_11target_archE910ELNS1_3gpuE8ELNS1_3repE0EEENS1_30default_config_static_selectorELNS0_4arch9wavefront6targetE0EEEvT1_.has_dyn_sized_stack, 0
	.set _ZN7rocprim17ROCPRIM_400000_NS6detail17trampoline_kernelINS0_14default_configENS1_27scan_by_key_config_selectorIssEEZZNS1_16scan_by_key_implILNS1_25lookback_scan_determinismE0ELb0ES3_N6thrust23THRUST_200600_302600_NS6detail15normal_iteratorINS9_10device_ptrIsEEEESE_SE_sNS9_4plusIvEENS9_8equal_toIsEEsEE10hipError_tPvRmT2_T3_T4_T5_mT6_T7_P12ihipStream_tbENKUlT_T0_E_clISt17integral_constantIbLb0EESZ_EEDaSU_SV_EUlSU_E_NS1_11comp_targetILNS1_3genE4ELNS1_11target_archE910ELNS1_3gpuE8ELNS1_3repE0EEENS1_30default_config_static_selectorELNS0_4arch9wavefront6targetE0EEEvT1_.has_recursion, 0
	.set _ZN7rocprim17ROCPRIM_400000_NS6detail17trampoline_kernelINS0_14default_configENS1_27scan_by_key_config_selectorIssEEZZNS1_16scan_by_key_implILNS1_25lookback_scan_determinismE0ELb0ES3_N6thrust23THRUST_200600_302600_NS6detail15normal_iteratorINS9_10device_ptrIsEEEESE_SE_sNS9_4plusIvEENS9_8equal_toIsEEsEE10hipError_tPvRmT2_T3_T4_T5_mT6_T7_P12ihipStream_tbENKUlT_T0_E_clISt17integral_constantIbLb0EESZ_EEDaSU_SV_EUlSU_E_NS1_11comp_targetILNS1_3genE4ELNS1_11target_archE910ELNS1_3gpuE8ELNS1_3repE0EEENS1_30default_config_static_selectorELNS0_4arch9wavefront6targetE0EEEvT1_.has_indirect_call, 0
	.section	.AMDGPU.csdata,"",@progbits
; Kernel info:
; codeLenInByte = 0
; TotalNumSgprs: 0
; NumVgprs: 0
; ScratchSize: 0
; MemoryBound: 0
; FloatMode: 240
; IeeeMode: 1
; LDSByteSize: 0 bytes/workgroup (compile time only)
; SGPRBlocks: 0
; VGPRBlocks: 0
; NumSGPRsForWavesPerEU: 1
; NumVGPRsForWavesPerEU: 1
; NamedBarCnt: 0
; Occupancy: 16
; WaveLimiterHint : 0
; COMPUTE_PGM_RSRC2:SCRATCH_EN: 0
; COMPUTE_PGM_RSRC2:USER_SGPR: 2
; COMPUTE_PGM_RSRC2:TRAP_HANDLER: 0
; COMPUTE_PGM_RSRC2:TGID_X_EN: 1
; COMPUTE_PGM_RSRC2:TGID_Y_EN: 0
; COMPUTE_PGM_RSRC2:TGID_Z_EN: 0
; COMPUTE_PGM_RSRC2:TIDIG_COMP_CNT: 0
	.section	.text._ZN7rocprim17ROCPRIM_400000_NS6detail17trampoline_kernelINS0_14default_configENS1_27scan_by_key_config_selectorIssEEZZNS1_16scan_by_key_implILNS1_25lookback_scan_determinismE0ELb0ES3_N6thrust23THRUST_200600_302600_NS6detail15normal_iteratorINS9_10device_ptrIsEEEESE_SE_sNS9_4plusIvEENS9_8equal_toIsEEsEE10hipError_tPvRmT2_T3_T4_T5_mT6_T7_P12ihipStream_tbENKUlT_T0_E_clISt17integral_constantIbLb0EESZ_EEDaSU_SV_EUlSU_E_NS1_11comp_targetILNS1_3genE3ELNS1_11target_archE908ELNS1_3gpuE7ELNS1_3repE0EEENS1_30default_config_static_selectorELNS0_4arch9wavefront6targetE0EEEvT1_,"axG",@progbits,_ZN7rocprim17ROCPRIM_400000_NS6detail17trampoline_kernelINS0_14default_configENS1_27scan_by_key_config_selectorIssEEZZNS1_16scan_by_key_implILNS1_25lookback_scan_determinismE0ELb0ES3_N6thrust23THRUST_200600_302600_NS6detail15normal_iteratorINS9_10device_ptrIsEEEESE_SE_sNS9_4plusIvEENS9_8equal_toIsEEsEE10hipError_tPvRmT2_T3_T4_T5_mT6_T7_P12ihipStream_tbENKUlT_T0_E_clISt17integral_constantIbLb0EESZ_EEDaSU_SV_EUlSU_E_NS1_11comp_targetILNS1_3genE3ELNS1_11target_archE908ELNS1_3gpuE7ELNS1_3repE0EEENS1_30default_config_static_selectorELNS0_4arch9wavefront6targetE0EEEvT1_,comdat
	.protected	_ZN7rocprim17ROCPRIM_400000_NS6detail17trampoline_kernelINS0_14default_configENS1_27scan_by_key_config_selectorIssEEZZNS1_16scan_by_key_implILNS1_25lookback_scan_determinismE0ELb0ES3_N6thrust23THRUST_200600_302600_NS6detail15normal_iteratorINS9_10device_ptrIsEEEESE_SE_sNS9_4plusIvEENS9_8equal_toIsEEsEE10hipError_tPvRmT2_T3_T4_T5_mT6_T7_P12ihipStream_tbENKUlT_T0_E_clISt17integral_constantIbLb0EESZ_EEDaSU_SV_EUlSU_E_NS1_11comp_targetILNS1_3genE3ELNS1_11target_archE908ELNS1_3gpuE7ELNS1_3repE0EEENS1_30default_config_static_selectorELNS0_4arch9wavefront6targetE0EEEvT1_ ; -- Begin function _ZN7rocprim17ROCPRIM_400000_NS6detail17trampoline_kernelINS0_14default_configENS1_27scan_by_key_config_selectorIssEEZZNS1_16scan_by_key_implILNS1_25lookback_scan_determinismE0ELb0ES3_N6thrust23THRUST_200600_302600_NS6detail15normal_iteratorINS9_10device_ptrIsEEEESE_SE_sNS9_4plusIvEENS9_8equal_toIsEEsEE10hipError_tPvRmT2_T3_T4_T5_mT6_T7_P12ihipStream_tbENKUlT_T0_E_clISt17integral_constantIbLb0EESZ_EEDaSU_SV_EUlSU_E_NS1_11comp_targetILNS1_3genE3ELNS1_11target_archE908ELNS1_3gpuE7ELNS1_3repE0EEENS1_30default_config_static_selectorELNS0_4arch9wavefront6targetE0EEEvT1_
	.globl	_ZN7rocprim17ROCPRIM_400000_NS6detail17trampoline_kernelINS0_14default_configENS1_27scan_by_key_config_selectorIssEEZZNS1_16scan_by_key_implILNS1_25lookback_scan_determinismE0ELb0ES3_N6thrust23THRUST_200600_302600_NS6detail15normal_iteratorINS9_10device_ptrIsEEEESE_SE_sNS9_4plusIvEENS9_8equal_toIsEEsEE10hipError_tPvRmT2_T3_T4_T5_mT6_T7_P12ihipStream_tbENKUlT_T0_E_clISt17integral_constantIbLb0EESZ_EEDaSU_SV_EUlSU_E_NS1_11comp_targetILNS1_3genE3ELNS1_11target_archE908ELNS1_3gpuE7ELNS1_3repE0EEENS1_30default_config_static_selectorELNS0_4arch9wavefront6targetE0EEEvT1_
	.p2align	8
	.type	_ZN7rocprim17ROCPRIM_400000_NS6detail17trampoline_kernelINS0_14default_configENS1_27scan_by_key_config_selectorIssEEZZNS1_16scan_by_key_implILNS1_25lookback_scan_determinismE0ELb0ES3_N6thrust23THRUST_200600_302600_NS6detail15normal_iteratorINS9_10device_ptrIsEEEESE_SE_sNS9_4plusIvEENS9_8equal_toIsEEsEE10hipError_tPvRmT2_T3_T4_T5_mT6_T7_P12ihipStream_tbENKUlT_T0_E_clISt17integral_constantIbLb0EESZ_EEDaSU_SV_EUlSU_E_NS1_11comp_targetILNS1_3genE3ELNS1_11target_archE908ELNS1_3gpuE7ELNS1_3repE0EEENS1_30default_config_static_selectorELNS0_4arch9wavefront6targetE0EEEvT1_,@function
_ZN7rocprim17ROCPRIM_400000_NS6detail17trampoline_kernelINS0_14default_configENS1_27scan_by_key_config_selectorIssEEZZNS1_16scan_by_key_implILNS1_25lookback_scan_determinismE0ELb0ES3_N6thrust23THRUST_200600_302600_NS6detail15normal_iteratorINS9_10device_ptrIsEEEESE_SE_sNS9_4plusIvEENS9_8equal_toIsEEsEE10hipError_tPvRmT2_T3_T4_T5_mT6_T7_P12ihipStream_tbENKUlT_T0_E_clISt17integral_constantIbLb0EESZ_EEDaSU_SV_EUlSU_E_NS1_11comp_targetILNS1_3genE3ELNS1_11target_archE908ELNS1_3gpuE7ELNS1_3repE0EEENS1_30default_config_static_selectorELNS0_4arch9wavefront6targetE0EEEvT1_: ; @_ZN7rocprim17ROCPRIM_400000_NS6detail17trampoline_kernelINS0_14default_configENS1_27scan_by_key_config_selectorIssEEZZNS1_16scan_by_key_implILNS1_25lookback_scan_determinismE0ELb0ES3_N6thrust23THRUST_200600_302600_NS6detail15normal_iteratorINS9_10device_ptrIsEEEESE_SE_sNS9_4plusIvEENS9_8equal_toIsEEsEE10hipError_tPvRmT2_T3_T4_T5_mT6_T7_P12ihipStream_tbENKUlT_T0_E_clISt17integral_constantIbLb0EESZ_EEDaSU_SV_EUlSU_E_NS1_11comp_targetILNS1_3genE3ELNS1_11target_archE908ELNS1_3gpuE7ELNS1_3repE0EEENS1_30default_config_static_selectorELNS0_4arch9wavefront6targetE0EEEvT1_
; %bb.0:
	.section	.rodata,"a",@progbits
	.p2align	6, 0x0
	.amdhsa_kernel _ZN7rocprim17ROCPRIM_400000_NS6detail17trampoline_kernelINS0_14default_configENS1_27scan_by_key_config_selectorIssEEZZNS1_16scan_by_key_implILNS1_25lookback_scan_determinismE0ELb0ES3_N6thrust23THRUST_200600_302600_NS6detail15normal_iteratorINS9_10device_ptrIsEEEESE_SE_sNS9_4plusIvEENS9_8equal_toIsEEsEE10hipError_tPvRmT2_T3_T4_T5_mT6_T7_P12ihipStream_tbENKUlT_T0_E_clISt17integral_constantIbLb0EESZ_EEDaSU_SV_EUlSU_E_NS1_11comp_targetILNS1_3genE3ELNS1_11target_archE908ELNS1_3gpuE7ELNS1_3repE0EEENS1_30default_config_static_selectorELNS0_4arch9wavefront6targetE0EEEvT1_
		.amdhsa_group_segment_fixed_size 0
		.amdhsa_private_segment_fixed_size 0
		.amdhsa_kernarg_size 112
		.amdhsa_user_sgpr_count 2
		.amdhsa_user_sgpr_dispatch_ptr 0
		.amdhsa_user_sgpr_queue_ptr 0
		.amdhsa_user_sgpr_kernarg_segment_ptr 1
		.amdhsa_user_sgpr_dispatch_id 0
		.amdhsa_user_sgpr_kernarg_preload_length 0
		.amdhsa_user_sgpr_kernarg_preload_offset 0
		.amdhsa_user_sgpr_private_segment_size 0
		.amdhsa_wavefront_size32 1
		.amdhsa_uses_dynamic_stack 0
		.amdhsa_enable_private_segment 0
		.amdhsa_system_sgpr_workgroup_id_x 1
		.amdhsa_system_sgpr_workgroup_id_y 0
		.amdhsa_system_sgpr_workgroup_id_z 0
		.amdhsa_system_sgpr_workgroup_info 0
		.amdhsa_system_vgpr_workitem_id 0
		.amdhsa_next_free_vgpr 1
		.amdhsa_next_free_sgpr 1
		.amdhsa_named_barrier_count 0
		.amdhsa_reserve_vcc 0
		.amdhsa_float_round_mode_32 0
		.amdhsa_float_round_mode_16_64 0
		.amdhsa_float_denorm_mode_32 3
		.amdhsa_float_denorm_mode_16_64 3
		.amdhsa_fp16_overflow 0
		.amdhsa_memory_ordered 1
		.amdhsa_forward_progress 1
		.amdhsa_inst_pref_size 0
		.amdhsa_round_robin_scheduling 0
		.amdhsa_exception_fp_ieee_invalid_op 0
		.amdhsa_exception_fp_denorm_src 0
		.amdhsa_exception_fp_ieee_div_zero 0
		.amdhsa_exception_fp_ieee_overflow 0
		.amdhsa_exception_fp_ieee_underflow 0
		.amdhsa_exception_fp_ieee_inexact 0
		.amdhsa_exception_int_div_zero 0
	.end_amdhsa_kernel
	.section	.text._ZN7rocprim17ROCPRIM_400000_NS6detail17trampoline_kernelINS0_14default_configENS1_27scan_by_key_config_selectorIssEEZZNS1_16scan_by_key_implILNS1_25lookback_scan_determinismE0ELb0ES3_N6thrust23THRUST_200600_302600_NS6detail15normal_iteratorINS9_10device_ptrIsEEEESE_SE_sNS9_4plusIvEENS9_8equal_toIsEEsEE10hipError_tPvRmT2_T3_T4_T5_mT6_T7_P12ihipStream_tbENKUlT_T0_E_clISt17integral_constantIbLb0EESZ_EEDaSU_SV_EUlSU_E_NS1_11comp_targetILNS1_3genE3ELNS1_11target_archE908ELNS1_3gpuE7ELNS1_3repE0EEENS1_30default_config_static_selectorELNS0_4arch9wavefront6targetE0EEEvT1_,"axG",@progbits,_ZN7rocprim17ROCPRIM_400000_NS6detail17trampoline_kernelINS0_14default_configENS1_27scan_by_key_config_selectorIssEEZZNS1_16scan_by_key_implILNS1_25lookback_scan_determinismE0ELb0ES3_N6thrust23THRUST_200600_302600_NS6detail15normal_iteratorINS9_10device_ptrIsEEEESE_SE_sNS9_4plusIvEENS9_8equal_toIsEEsEE10hipError_tPvRmT2_T3_T4_T5_mT6_T7_P12ihipStream_tbENKUlT_T0_E_clISt17integral_constantIbLb0EESZ_EEDaSU_SV_EUlSU_E_NS1_11comp_targetILNS1_3genE3ELNS1_11target_archE908ELNS1_3gpuE7ELNS1_3repE0EEENS1_30default_config_static_selectorELNS0_4arch9wavefront6targetE0EEEvT1_,comdat
.Lfunc_end321:
	.size	_ZN7rocprim17ROCPRIM_400000_NS6detail17trampoline_kernelINS0_14default_configENS1_27scan_by_key_config_selectorIssEEZZNS1_16scan_by_key_implILNS1_25lookback_scan_determinismE0ELb0ES3_N6thrust23THRUST_200600_302600_NS6detail15normal_iteratorINS9_10device_ptrIsEEEESE_SE_sNS9_4plusIvEENS9_8equal_toIsEEsEE10hipError_tPvRmT2_T3_T4_T5_mT6_T7_P12ihipStream_tbENKUlT_T0_E_clISt17integral_constantIbLb0EESZ_EEDaSU_SV_EUlSU_E_NS1_11comp_targetILNS1_3genE3ELNS1_11target_archE908ELNS1_3gpuE7ELNS1_3repE0EEENS1_30default_config_static_selectorELNS0_4arch9wavefront6targetE0EEEvT1_, .Lfunc_end321-_ZN7rocprim17ROCPRIM_400000_NS6detail17trampoline_kernelINS0_14default_configENS1_27scan_by_key_config_selectorIssEEZZNS1_16scan_by_key_implILNS1_25lookback_scan_determinismE0ELb0ES3_N6thrust23THRUST_200600_302600_NS6detail15normal_iteratorINS9_10device_ptrIsEEEESE_SE_sNS9_4plusIvEENS9_8equal_toIsEEsEE10hipError_tPvRmT2_T3_T4_T5_mT6_T7_P12ihipStream_tbENKUlT_T0_E_clISt17integral_constantIbLb0EESZ_EEDaSU_SV_EUlSU_E_NS1_11comp_targetILNS1_3genE3ELNS1_11target_archE908ELNS1_3gpuE7ELNS1_3repE0EEENS1_30default_config_static_selectorELNS0_4arch9wavefront6targetE0EEEvT1_
                                        ; -- End function
	.set _ZN7rocprim17ROCPRIM_400000_NS6detail17trampoline_kernelINS0_14default_configENS1_27scan_by_key_config_selectorIssEEZZNS1_16scan_by_key_implILNS1_25lookback_scan_determinismE0ELb0ES3_N6thrust23THRUST_200600_302600_NS6detail15normal_iteratorINS9_10device_ptrIsEEEESE_SE_sNS9_4plusIvEENS9_8equal_toIsEEsEE10hipError_tPvRmT2_T3_T4_T5_mT6_T7_P12ihipStream_tbENKUlT_T0_E_clISt17integral_constantIbLb0EESZ_EEDaSU_SV_EUlSU_E_NS1_11comp_targetILNS1_3genE3ELNS1_11target_archE908ELNS1_3gpuE7ELNS1_3repE0EEENS1_30default_config_static_selectorELNS0_4arch9wavefront6targetE0EEEvT1_.num_vgpr, 0
	.set _ZN7rocprim17ROCPRIM_400000_NS6detail17trampoline_kernelINS0_14default_configENS1_27scan_by_key_config_selectorIssEEZZNS1_16scan_by_key_implILNS1_25lookback_scan_determinismE0ELb0ES3_N6thrust23THRUST_200600_302600_NS6detail15normal_iteratorINS9_10device_ptrIsEEEESE_SE_sNS9_4plusIvEENS9_8equal_toIsEEsEE10hipError_tPvRmT2_T3_T4_T5_mT6_T7_P12ihipStream_tbENKUlT_T0_E_clISt17integral_constantIbLb0EESZ_EEDaSU_SV_EUlSU_E_NS1_11comp_targetILNS1_3genE3ELNS1_11target_archE908ELNS1_3gpuE7ELNS1_3repE0EEENS1_30default_config_static_selectorELNS0_4arch9wavefront6targetE0EEEvT1_.num_agpr, 0
	.set _ZN7rocprim17ROCPRIM_400000_NS6detail17trampoline_kernelINS0_14default_configENS1_27scan_by_key_config_selectorIssEEZZNS1_16scan_by_key_implILNS1_25lookback_scan_determinismE0ELb0ES3_N6thrust23THRUST_200600_302600_NS6detail15normal_iteratorINS9_10device_ptrIsEEEESE_SE_sNS9_4plusIvEENS9_8equal_toIsEEsEE10hipError_tPvRmT2_T3_T4_T5_mT6_T7_P12ihipStream_tbENKUlT_T0_E_clISt17integral_constantIbLb0EESZ_EEDaSU_SV_EUlSU_E_NS1_11comp_targetILNS1_3genE3ELNS1_11target_archE908ELNS1_3gpuE7ELNS1_3repE0EEENS1_30default_config_static_selectorELNS0_4arch9wavefront6targetE0EEEvT1_.numbered_sgpr, 0
	.set _ZN7rocprim17ROCPRIM_400000_NS6detail17trampoline_kernelINS0_14default_configENS1_27scan_by_key_config_selectorIssEEZZNS1_16scan_by_key_implILNS1_25lookback_scan_determinismE0ELb0ES3_N6thrust23THRUST_200600_302600_NS6detail15normal_iteratorINS9_10device_ptrIsEEEESE_SE_sNS9_4plusIvEENS9_8equal_toIsEEsEE10hipError_tPvRmT2_T3_T4_T5_mT6_T7_P12ihipStream_tbENKUlT_T0_E_clISt17integral_constantIbLb0EESZ_EEDaSU_SV_EUlSU_E_NS1_11comp_targetILNS1_3genE3ELNS1_11target_archE908ELNS1_3gpuE7ELNS1_3repE0EEENS1_30default_config_static_selectorELNS0_4arch9wavefront6targetE0EEEvT1_.num_named_barrier, 0
	.set _ZN7rocprim17ROCPRIM_400000_NS6detail17trampoline_kernelINS0_14default_configENS1_27scan_by_key_config_selectorIssEEZZNS1_16scan_by_key_implILNS1_25lookback_scan_determinismE0ELb0ES3_N6thrust23THRUST_200600_302600_NS6detail15normal_iteratorINS9_10device_ptrIsEEEESE_SE_sNS9_4plusIvEENS9_8equal_toIsEEsEE10hipError_tPvRmT2_T3_T4_T5_mT6_T7_P12ihipStream_tbENKUlT_T0_E_clISt17integral_constantIbLb0EESZ_EEDaSU_SV_EUlSU_E_NS1_11comp_targetILNS1_3genE3ELNS1_11target_archE908ELNS1_3gpuE7ELNS1_3repE0EEENS1_30default_config_static_selectorELNS0_4arch9wavefront6targetE0EEEvT1_.private_seg_size, 0
	.set _ZN7rocprim17ROCPRIM_400000_NS6detail17trampoline_kernelINS0_14default_configENS1_27scan_by_key_config_selectorIssEEZZNS1_16scan_by_key_implILNS1_25lookback_scan_determinismE0ELb0ES3_N6thrust23THRUST_200600_302600_NS6detail15normal_iteratorINS9_10device_ptrIsEEEESE_SE_sNS9_4plusIvEENS9_8equal_toIsEEsEE10hipError_tPvRmT2_T3_T4_T5_mT6_T7_P12ihipStream_tbENKUlT_T0_E_clISt17integral_constantIbLb0EESZ_EEDaSU_SV_EUlSU_E_NS1_11comp_targetILNS1_3genE3ELNS1_11target_archE908ELNS1_3gpuE7ELNS1_3repE0EEENS1_30default_config_static_selectorELNS0_4arch9wavefront6targetE0EEEvT1_.uses_vcc, 0
	.set _ZN7rocprim17ROCPRIM_400000_NS6detail17trampoline_kernelINS0_14default_configENS1_27scan_by_key_config_selectorIssEEZZNS1_16scan_by_key_implILNS1_25lookback_scan_determinismE0ELb0ES3_N6thrust23THRUST_200600_302600_NS6detail15normal_iteratorINS9_10device_ptrIsEEEESE_SE_sNS9_4plusIvEENS9_8equal_toIsEEsEE10hipError_tPvRmT2_T3_T4_T5_mT6_T7_P12ihipStream_tbENKUlT_T0_E_clISt17integral_constantIbLb0EESZ_EEDaSU_SV_EUlSU_E_NS1_11comp_targetILNS1_3genE3ELNS1_11target_archE908ELNS1_3gpuE7ELNS1_3repE0EEENS1_30default_config_static_selectorELNS0_4arch9wavefront6targetE0EEEvT1_.uses_flat_scratch, 0
	.set _ZN7rocprim17ROCPRIM_400000_NS6detail17trampoline_kernelINS0_14default_configENS1_27scan_by_key_config_selectorIssEEZZNS1_16scan_by_key_implILNS1_25lookback_scan_determinismE0ELb0ES3_N6thrust23THRUST_200600_302600_NS6detail15normal_iteratorINS9_10device_ptrIsEEEESE_SE_sNS9_4plusIvEENS9_8equal_toIsEEsEE10hipError_tPvRmT2_T3_T4_T5_mT6_T7_P12ihipStream_tbENKUlT_T0_E_clISt17integral_constantIbLb0EESZ_EEDaSU_SV_EUlSU_E_NS1_11comp_targetILNS1_3genE3ELNS1_11target_archE908ELNS1_3gpuE7ELNS1_3repE0EEENS1_30default_config_static_selectorELNS0_4arch9wavefront6targetE0EEEvT1_.has_dyn_sized_stack, 0
	.set _ZN7rocprim17ROCPRIM_400000_NS6detail17trampoline_kernelINS0_14default_configENS1_27scan_by_key_config_selectorIssEEZZNS1_16scan_by_key_implILNS1_25lookback_scan_determinismE0ELb0ES3_N6thrust23THRUST_200600_302600_NS6detail15normal_iteratorINS9_10device_ptrIsEEEESE_SE_sNS9_4plusIvEENS9_8equal_toIsEEsEE10hipError_tPvRmT2_T3_T4_T5_mT6_T7_P12ihipStream_tbENKUlT_T0_E_clISt17integral_constantIbLb0EESZ_EEDaSU_SV_EUlSU_E_NS1_11comp_targetILNS1_3genE3ELNS1_11target_archE908ELNS1_3gpuE7ELNS1_3repE0EEENS1_30default_config_static_selectorELNS0_4arch9wavefront6targetE0EEEvT1_.has_recursion, 0
	.set _ZN7rocprim17ROCPRIM_400000_NS6detail17trampoline_kernelINS0_14default_configENS1_27scan_by_key_config_selectorIssEEZZNS1_16scan_by_key_implILNS1_25lookback_scan_determinismE0ELb0ES3_N6thrust23THRUST_200600_302600_NS6detail15normal_iteratorINS9_10device_ptrIsEEEESE_SE_sNS9_4plusIvEENS9_8equal_toIsEEsEE10hipError_tPvRmT2_T3_T4_T5_mT6_T7_P12ihipStream_tbENKUlT_T0_E_clISt17integral_constantIbLb0EESZ_EEDaSU_SV_EUlSU_E_NS1_11comp_targetILNS1_3genE3ELNS1_11target_archE908ELNS1_3gpuE7ELNS1_3repE0EEENS1_30default_config_static_selectorELNS0_4arch9wavefront6targetE0EEEvT1_.has_indirect_call, 0
	.section	.AMDGPU.csdata,"",@progbits
; Kernel info:
; codeLenInByte = 0
; TotalNumSgprs: 0
; NumVgprs: 0
; ScratchSize: 0
; MemoryBound: 0
; FloatMode: 240
; IeeeMode: 1
; LDSByteSize: 0 bytes/workgroup (compile time only)
; SGPRBlocks: 0
; VGPRBlocks: 0
; NumSGPRsForWavesPerEU: 1
; NumVGPRsForWavesPerEU: 1
; NamedBarCnt: 0
; Occupancy: 16
; WaveLimiterHint : 0
; COMPUTE_PGM_RSRC2:SCRATCH_EN: 0
; COMPUTE_PGM_RSRC2:USER_SGPR: 2
; COMPUTE_PGM_RSRC2:TRAP_HANDLER: 0
; COMPUTE_PGM_RSRC2:TGID_X_EN: 1
; COMPUTE_PGM_RSRC2:TGID_Y_EN: 0
; COMPUTE_PGM_RSRC2:TGID_Z_EN: 0
; COMPUTE_PGM_RSRC2:TIDIG_COMP_CNT: 0
	.section	.text._ZN7rocprim17ROCPRIM_400000_NS6detail17trampoline_kernelINS0_14default_configENS1_27scan_by_key_config_selectorIssEEZZNS1_16scan_by_key_implILNS1_25lookback_scan_determinismE0ELb0ES3_N6thrust23THRUST_200600_302600_NS6detail15normal_iteratorINS9_10device_ptrIsEEEESE_SE_sNS9_4plusIvEENS9_8equal_toIsEEsEE10hipError_tPvRmT2_T3_T4_T5_mT6_T7_P12ihipStream_tbENKUlT_T0_E_clISt17integral_constantIbLb0EESZ_EEDaSU_SV_EUlSU_E_NS1_11comp_targetILNS1_3genE2ELNS1_11target_archE906ELNS1_3gpuE6ELNS1_3repE0EEENS1_30default_config_static_selectorELNS0_4arch9wavefront6targetE0EEEvT1_,"axG",@progbits,_ZN7rocprim17ROCPRIM_400000_NS6detail17trampoline_kernelINS0_14default_configENS1_27scan_by_key_config_selectorIssEEZZNS1_16scan_by_key_implILNS1_25lookback_scan_determinismE0ELb0ES3_N6thrust23THRUST_200600_302600_NS6detail15normal_iteratorINS9_10device_ptrIsEEEESE_SE_sNS9_4plusIvEENS9_8equal_toIsEEsEE10hipError_tPvRmT2_T3_T4_T5_mT6_T7_P12ihipStream_tbENKUlT_T0_E_clISt17integral_constantIbLb0EESZ_EEDaSU_SV_EUlSU_E_NS1_11comp_targetILNS1_3genE2ELNS1_11target_archE906ELNS1_3gpuE6ELNS1_3repE0EEENS1_30default_config_static_selectorELNS0_4arch9wavefront6targetE0EEEvT1_,comdat
	.protected	_ZN7rocprim17ROCPRIM_400000_NS6detail17trampoline_kernelINS0_14default_configENS1_27scan_by_key_config_selectorIssEEZZNS1_16scan_by_key_implILNS1_25lookback_scan_determinismE0ELb0ES3_N6thrust23THRUST_200600_302600_NS6detail15normal_iteratorINS9_10device_ptrIsEEEESE_SE_sNS9_4plusIvEENS9_8equal_toIsEEsEE10hipError_tPvRmT2_T3_T4_T5_mT6_T7_P12ihipStream_tbENKUlT_T0_E_clISt17integral_constantIbLb0EESZ_EEDaSU_SV_EUlSU_E_NS1_11comp_targetILNS1_3genE2ELNS1_11target_archE906ELNS1_3gpuE6ELNS1_3repE0EEENS1_30default_config_static_selectorELNS0_4arch9wavefront6targetE0EEEvT1_ ; -- Begin function _ZN7rocprim17ROCPRIM_400000_NS6detail17trampoline_kernelINS0_14default_configENS1_27scan_by_key_config_selectorIssEEZZNS1_16scan_by_key_implILNS1_25lookback_scan_determinismE0ELb0ES3_N6thrust23THRUST_200600_302600_NS6detail15normal_iteratorINS9_10device_ptrIsEEEESE_SE_sNS9_4plusIvEENS9_8equal_toIsEEsEE10hipError_tPvRmT2_T3_T4_T5_mT6_T7_P12ihipStream_tbENKUlT_T0_E_clISt17integral_constantIbLb0EESZ_EEDaSU_SV_EUlSU_E_NS1_11comp_targetILNS1_3genE2ELNS1_11target_archE906ELNS1_3gpuE6ELNS1_3repE0EEENS1_30default_config_static_selectorELNS0_4arch9wavefront6targetE0EEEvT1_
	.globl	_ZN7rocprim17ROCPRIM_400000_NS6detail17trampoline_kernelINS0_14default_configENS1_27scan_by_key_config_selectorIssEEZZNS1_16scan_by_key_implILNS1_25lookback_scan_determinismE0ELb0ES3_N6thrust23THRUST_200600_302600_NS6detail15normal_iteratorINS9_10device_ptrIsEEEESE_SE_sNS9_4plusIvEENS9_8equal_toIsEEsEE10hipError_tPvRmT2_T3_T4_T5_mT6_T7_P12ihipStream_tbENKUlT_T0_E_clISt17integral_constantIbLb0EESZ_EEDaSU_SV_EUlSU_E_NS1_11comp_targetILNS1_3genE2ELNS1_11target_archE906ELNS1_3gpuE6ELNS1_3repE0EEENS1_30default_config_static_selectorELNS0_4arch9wavefront6targetE0EEEvT1_
	.p2align	8
	.type	_ZN7rocprim17ROCPRIM_400000_NS6detail17trampoline_kernelINS0_14default_configENS1_27scan_by_key_config_selectorIssEEZZNS1_16scan_by_key_implILNS1_25lookback_scan_determinismE0ELb0ES3_N6thrust23THRUST_200600_302600_NS6detail15normal_iteratorINS9_10device_ptrIsEEEESE_SE_sNS9_4plusIvEENS9_8equal_toIsEEsEE10hipError_tPvRmT2_T3_T4_T5_mT6_T7_P12ihipStream_tbENKUlT_T0_E_clISt17integral_constantIbLb0EESZ_EEDaSU_SV_EUlSU_E_NS1_11comp_targetILNS1_3genE2ELNS1_11target_archE906ELNS1_3gpuE6ELNS1_3repE0EEENS1_30default_config_static_selectorELNS0_4arch9wavefront6targetE0EEEvT1_,@function
_ZN7rocprim17ROCPRIM_400000_NS6detail17trampoline_kernelINS0_14default_configENS1_27scan_by_key_config_selectorIssEEZZNS1_16scan_by_key_implILNS1_25lookback_scan_determinismE0ELb0ES3_N6thrust23THRUST_200600_302600_NS6detail15normal_iteratorINS9_10device_ptrIsEEEESE_SE_sNS9_4plusIvEENS9_8equal_toIsEEsEE10hipError_tPvRmT2_T3_T4_T5_mT6_T7_P12ihipStream_tbENKUlT_T0_E_clISt17integral_constantIbLb0EESZ_EEDaSU_SV_EUlSU_E_NS1_11comp_targetILNS1_3genE2ELNS1_11target_archE906ELNS1_3gpuE6ELNS1_3repE0EEENS1_30default_config_static_selectorELNS0_4arch9wavefront6targetE0EEEvT1_: ; @_ZN7rocprim17ROCPRIM_400000_NS6detail17trampoline_kernelINS0_14default_configENS1_27scan_by_key_config_selectorIssEEZZNS1_16scan_by_key_implILNS1_25lookback_scan_determinismE0ELb0ES3_N6thrust23THRUST_200600_302600_NS6detail15normal_iteratorINS9_10device_ptrIsEEEESE_SE_sNS9_4plusIvEENS9_8equal_toIsEEsEE10hipError_tPvRmT2_T3_T4_T5_mT6_T7_P12ihipStream_tbENKUlT_T0_E_clISt17integral_constantIbLb0EESZ_EEDaSU_SV_EUlSU_E_NS1_11comp_targetILNS1_3genE2ELNS1_11target_archE906ELNS1_3gpuE6ELNS1_3repE0EEENS1_30default_config_static_selectorELNS0_4arch9wavefront6targetE0EEEvT1_
; %bb.0:
	.section	.rodata,"a",@progbits
	.p2align	6, 0x0
	.amdhsa_kernel _ZN7rocprim17ROCPRIM_400000_NS6detail17trampoline_kernelINS0_14default_configENS1_27scan_by_key_config_selectorIssEEZZNS1_16scan_by_key_implILNS1_25lookback_scan_determinismE0ELb0ES3_N6thrust23THRUST_200600_302600_NS6detail15normal_iteratorINS9_10device_ptrIsEEEESE_SE_sNS9_4plusIvEENS9_8equal_toIsEEsEE10hipError_tPvRmT2_T3_T4_T5_mT6_T7_P12ihipStream_tbENKUlT_T0_E_clISt17integral_constantIbLb0EESZ_EEDaSU_SV_EUlSU_E_NS1_11comp_targetILNS1_3genE2ELNS1_11target_archE906ELNS1_3gpuE6ELNS1_3repE0EEENS1_30default_config_static_selectorELNS0_4arch9wavefront6targetE0EEEvT1_
		.amdhsa_group_segment_fixed_size 0
		.amdhsa_private_segment_fixed_size 0
		.amdhsa_kernarg_size 112
		.amdhsa_user_sgpr_count 2
		.amdhsa_user_sgpr_dispatch_ptr 0
		.amdhsa_user_sgpr_queue_ptr 0
		.amdhsa_user_sgpr_kernarg_segment_ptr 1
		.amdhsa_user_sgpr_dispatch_id 0
		.amdhsa_user_sgpr_kernarg_preload_length 0
		.amdhsa_user_sgpr_kernarg_preload_offset 0
		.amdhsa_user_sgpr_private_segment_size 0
		.amdhsa_wavefront_size32 1
		.amdhsa_uses_dynamic_stack 0
		.amdhsa_enable_private_segment 0
		.amdhsa_system_sgpr_workgroup_id_x 1
		.amdhsa_system_sgpr_workgroup_id_y 0
		.amdhsa_system_sgpr_workgroup_id_z 0
		.amdhsa_system_sgpr_workgroup_info 0
		.amdhsa_system_vgpr_workitem_id 0
		.amdhsa_next_free_vgpr 1
		.amdhsa_next_free_sgpr 1
		.amdhsa_named_barrier_count 0
		.amdhsa_reserve_vcc 0
		.amdhsa_float_round_mode_32 0
		.amdhsa_float_round_mode_16_64 0
		.amdhsa_float_denorm_mode_32 3
		.amdhsa_float_denorm_mode_16_64 3
		.amdhsa_fp16_overflow 0
		.amdhsa_memory_ordered 1
		.amdhsa_forward_progress 1
		.amdhsa_inst_pref_size 0
		.amdhsa_round_robin_scheduling 0
		.amdhsa_exception_fp_ieee_invalid_op 0
		.amdhsa_exception_fp_denorm_src 0
		.amdhsa_exception_fp_ieee_div_zero 0
		.amdhsa_exception_fp_ieee_overflow 0
		.amdhsa_exception_fp_ieee_underflow 0
		.amdhsa_exception_fp_ieee_inexact 0
		.amdhsa_exception_int_div_zero 0
	.end_amdhsa_kernel
	.section	.text._ZN7rocprim17ROCPRIM_400000_NS6detail17trampoline_kernelINS0_14default_configENS1_27scan_by_key_config_selectorIssEEZZNS1_16scan_by_key_implILNS1_25lookback_scan_determinismE0ELb0ES3_N6thrust23THRUST_200600_302600_NS6detail15normal_iteratorINS9_10device_ptrIsEEEESE_SE_sNS9_4plusIvEENS9_8equal_toIsEEsEE10hipError_tPvRmT2_T3_T4_T5_mT6_T7_P12ihipStream_tbENKUlT_T0_E_clISt17integral_constantIbLb0EESZ_EEDaSU_SV_EUlSU_E_NS1_11comp_targetILNS1_3genE2ELNS1_11target_archE906ELNS1_3gpuE6ELNS1_3repE0EEENS1_30default_config_static_selectorELNS0_4arch9wavefront6targetE0EEEvT1_,"axG",@progbits,_ZN7rocprim17ROCPRIM_400000_NS6detail17trampoline_kernelINS0_14default_configENS1_27scan_by_key_config_selectorIssEEZZNS1_16scan_by_key_implILNS1_25lookback_scan_determinismE0ELb0ES3_N6thrust23THRUST_200600_302600_NS6detail15normal_iteratorINS9_10device_ptrIsEEEESE_SE_sNS9_4plusIvEENS9_8equal_toIsEEsEE10hipError_tPvRmT2_T3_T4_T5_mT6_T7_P12ihipStream_tbENKUlT_T0_E_clISt17integral_constantIbLb0EESZ_EEDaSU_SV_EUlSU_E_NS1_11comp_targetILNS1_3genE2ELNS1_11target_archE906ELNS1_3gpuE6ELNS1_3repE0EEENS1_30default_config_static_selectorELNS0_4arch9wavefront6targetE0EEEvT1_,comdat
.Lfunc_end322:
	.size	_ZN7rocprim17ROCPRIM_400000_NS6detail17trampoline_kernelINS0_14default_configENS1_27scan_by_key_config_selectorIssEEZZNS1_16scan_by_key_implILNS1_25lookback_scan_determinismE0ELb0ES3_N6thrust23THRUST_200600_302600_NS6detail15normal_iteratorINS9_10device_ptrIsEEEESE_SE_sNS9_4plusIvEENS9_8equal_toIsEEsEE10hipError_tPvRmT2_T3_T4_T5_mT6_T7_P12ihipStream_tbENKUlT_T0_E_clISt17integral_constantIbLb0EESZ_EEDaSU_SV_EUlSU_E_NS1_11comp_targetILNS1_3genE2ELNS1_11target_archE906ELNS1_3gpuE6ELNS1_3repE0EEENS1_30default_config_static_selectorELNS0_4arch9wavefront6targetE0EEEvT1_, .Lfunc_end322-_ZN7rocprim17ROCPRIM_400000_NS6detail17trampoline_kernelINS0_14default_configENS1_27scan_by_key_config_selectorIssEEZZNS1_16scan_by_key_implILNS1_25lookback_scan_determinismE0ELb0ES3_N6thrust23THRUST_200600_302600_NS6detail15normal_iteratorINS9_10device_ptrIsEEEESE_SE_sNS9_4plusIvEENS9_8equal_toIsEEsEE10hipError_tPvRmT2_T3_T4_T5_mT6_T7_P12ihipStream_tbENKUlT_T0_E_clISt17integral_constantIbLb0EESZ_EEDaSU_SV_EUlSU_E_NS1_11comp_targetILNS1_3genE2ELNS1_11target_archE906ELNS1_3gpuE6ELNS1_3repE0EEENS1_30default_config_static_selectorELNS0_4arch9wavefront6targetE0EEEvT1_
                                        ; -- End function
	.set _ZN7rocprim17ROCPRIM_400000_NS6detail17trampoline_kernelINS0_14default_configENS1_27scan_by_key_config_selectorIssEEZZNS1_16scan_by_key_implILNS1_25lookback_scan_determinismE0ELb0ES3_N6thrust23THRUST_200600_302600_NS6detail15normal_iteratorINS9_10device_ptrIsEEEESE_SE_sNS9_4plusIvEENS9_8equal_toIsEEsEE10hipError_tPvRmT2_T3_T4_T5_mT6_T7_P12ihipStream_tbENKUlT_T0_E_clISt17integral_constantIbLb0EESZ_EEDaSU_SV_EUlSU_E_NS1_11comp_targetILNS1_3genE2ELNS1_11target_archE906ELNS1_3gpuE6ELNS1_3repE0EEENS1_30default_config_static_selectorELNS0_4arch9wavefront6targetE0EEEvT1_.num_vgpr, 0
	.set _ZN7rocprim17ROCPRIM_400000_NS6detail17trampoline_kernelINS0_14default_configENS1_27scan_by_key_config_selectorIssEEZZNS1_16scan_by_key_implILNS1_25lookback_scan_determinismE0ELb0ES3_N6thrust23THRUST_200600_302600_NS6detail15normal_iteratorINS9_10device_ptrIsEEEESE_SE_sNS9_4plusIvEENS9_8equal_toIsEEsEE10hipError_tPvRmT2_T3_T4_T5_mT6_T7_P12ihipStream_tbENKUlT_T0_E_clISt17integral_constantIbLb0EESZ_EEDaSU_SV_EUlSU_E_NS1_11comp_targetILNS1_3genE2ELNS1_11target_archE906ELNS1_3gpuE6ELNS1_3repE0EEENS1_30default_config_static_selectorELNS0_4arch9wavefront6targetE0EEEvT1_.num_agpr, 0
	.set _ZN7rocprim17ROCPRIM_400000_NS6detail17trampoline_kernelINS0_14default_configENS1_27scan_by_key_config_selectorIssEEZZNS1_16scan_by_key_implILNS1_25lookback_scan_determinismE0ELb0ES3_N6thrust23THRUST_200600_302600_NS6detail15normal_iteratorINS9_10device_ptrIsEEEESE_SE_sNS9_4plusIvEENS9_8equal_toIsEEsEE10hipError_tPvRmT2_T3_T4_T5_mT6_T7_P12ihipStream_tbENKUlT_T0_E_clISt17integral_constantIbLb0EESZ_EEDaSU_SV_EUlSU_E_NS1_11comp_targetILNS1_3genE2ELNS1_11target_archE906ELNS1_3gpuE6ELNS1_3repE0EEENS1_30default_config_static_selectorELNS0_4arch9wavefront6targetE0EEEvT1_.numbered_sgpr, 0
	.set _ZN7rocprim17ROCPRIM_400000_NS6detail17trampoline_kernelINS0_14default_configENS1_27scan_by_key_config_selectorIssEEZZNS1_16scan_by_key_implILNS1_25lookback_scan_determinismE0ELb0ES3_N6thrust23THRUST_200600_302600_NS6detail15normal_iteratorINS9_10device_ptrIsEEEESE_SE_sNS9_4plusIvEENS9_8equal_toIsEEsEE10hipError_tPvRmT2_T3_T4_T5_mT6_T7_P12ihipStream_tbENKUlT_T0_E_clISt17integral_constantIbLb0EESZ_EEDaSU_SV_EUlSU_E_NS1_11comp_targetILNS1_3genE2ELNS1_11target_archE906ELNS1_3gpuE6ELNS1_3repE0EEENS1_30default_config_static_selectorELNS0_4arch9wavefront6targetE0EEEvT1_.num_named_barrier, 0
	.set _ZN7rocprim17ROCPRIM_400000_NS6detail17trampoline_kernelINS0_14default_configENS1_27scan_by_key_config_selectorIssEEZZNS1_16scan_by_key_implILNS1_25lookback_scan_determinismE0ELb0ES3_N6thrust23THRUST_200600_302600_NS6detail15normal_iteratorINS9_10device_ptrIsEEEESE_SE_sNS9_4plusIvEENS9_8equal_toIsEEsEE10hipError_tPvRmT2_T3_T4_T5_mT6_T7_P12ihipStream_tbENKUlT_T0_E_clISt17integral_constantIbLb0EESZ_EEDaSU_SV_EUlSU_E_NS1_11comp_targetILNS1_3genE2ELNS1_11target_archE906ELNS1_3gpuE6ELNS1_3repE0EEENS1_30default_config_static_selectorELNS0_4arch9wavefront6targetE0EEEvT1_.private_seg_size, 0
	.set _ZN7rocprim17ROCPRIM_400000_NS6detail17trampoline_kernelINS0_14default_configENS1_27scan_by_key_config_selectorIssEEZZNS1_16scan_by_key_implILNS1_25lookback_scan_determinismE0ELb0ES3_N6thrust23THRUST_200600_302600_NS6detail15normal_iteratorINS9_10device_ptrIsEEEESE_SE_sNS9_4plusIvEENS9_8equal_toIsEEsEE10hipError_tPvRmT2_T3_T4_T5_mT6_T7_P12ihipStream_tbENKUlT_T0_E_clISt17integral_constantIbLb0EESZ_EEDaSU_SV_EUlSU_E_NS1_11comp_targetILNS1_3genE2ELNS1_11target_archE906ELNS1_3gpuE6ELNS1_3repE0EEENS1_30default_config_static_selectorELNS0_4arch9wavefront6targetE0EEEvT1_.uses_vcc, 0
	.set _ZN7rocprim17ROCPRIM_400000_NS6detail17trampoline_kernelINS0_14default_configENS1_27scan_by_key_config_selectorIssEEZZNS1_16scan_by_key_implILNS1_25lookback_scan_determinismE0ELb0ES3_N6thrust23THRUST_200600_302600_NS6detail15normal_iteratorINS9_10device_ptrIsEEEESE_SE_sNS9_4plusIvEENS9_8equal_toIsEEsEE10hipError_tPvRmT2_T3_T4_T5_mT6_T7_P12ihipStream_tbENKUlT_T0_E_clISt17integral_constantIbLb0EESZ_EEDaSU_SV_EUlSU_E_NS1_11comp_targetILNS1_3genE2ELNS1_11target_archE906ELNS1_3gpuE6ELNS1_3repE0EEENS1_30default_config_static_selectorELNS0_4arch9wavefront6targetE0EEEvT1_.uses_flat_scratch, 0
	.set _ZN7rocprim17ROCPRIM_400000_NS6detail17trampoline_kernelINS0_14default_configENS1_27scan_by_key_config_selectorIssEEZZNS1_16scan_by_key_implILNS1_25lookback_scan_determinismE0ELb0ES3_N6thrust23THRUST_200600_302600_NS6detail15normal_iteratorINS9_10device_ptrIsEEEESE_SE_sNS9_4plusIvEENS9_8equal_toIsEEsEE10hipError_tPvRmT2_T3_T4_T5_mT6_T7_P12ihipStream_tbENKUlT_T0_E_clISt17integral_constantIbLb0EESZ_EEDaSU_SV_EUlSU_E_NS1_11comp_targetILNS1_3genE2ELNS1_11target_archE906ELNS1_3gpuE6ELNS1_3repE0EEENS1_30default_config_static_selectorELNS0_4arch9wavefront6targetE0EEEvT1_.has_dyn_sized_stack, 0
	.set _ZN7rocprim17ROCPRIM_400000_NS6detail17trampoline_kernelINS0_14default_configENS1_27scan_by_key_config_selectorIssEEZZNS1_16scan_by_key_implILNS1_25lookback_scan_determinismE0ELb0ES3_N6thrust23THRUST_200600_302600_NS6detail15normal_iteratorINS9_10device_ptrIsEEEESE_SE_sNS9_4plusIvEENS9_8equal_toIsEEsEE10hipError_tPvRmT2_T3_T4_T5_mT6_T7_P12ihipStream_tbENKUlT_T0_E_clISt17integral_constantIbLb0EESZ_EEDaSU_SV_EUlSU_E_NS1_11comp_targetILNS1_3genE2ELNS1_11target_archE906ELNS1_3gpuE6ELNS1_3repE0EEENS1_30default_config_static_selectorELNS0_4arch9wavefront6targetE0EEEvT1_.has_recursion, 0
	.set _ZN7rocprim17ROCPRIM_400000_NS6detail17trampoline_kernelINS0_14default_configENS1_27scan_by_key_config_selectorIssEEZZNS1_16scan_by_key_implILNS1_25lookback_scan_determinismE0ELb0ES3_N6thrust23THRUST_200600_302600_NS6detail15normal_iteratorINS9_10device_ptrIsEEEESE_SE_sNS9_4plusIvEENS9_8equal_toIsEEsEE10hipError_tPvRmT2_T3_T4_T5_mT6_T7_P12ihipStream_tbENKUlT_T0_E_clISt17integral_constantIbLb0EESZ_EEDaSU_SV_EUlSU_E_NS1_11comp_targetILNS1_3genE2ELNS1_11target_archE906ELNS1_3gpuE6ELNS1_3repE0EEENS1_30default_config_static_selectorELNS0_4arch9wavefront6targetE0EEEvT1_.has_indirect_call, 0
	.section	.AMDGPU.csdata,"",@progbits
; Kernel info:
; codeLenInByte = 0
; TotalNumSgprs: 0
; NumVgprs: 0
; ScratchSize: 0
; MemoryBound: 0
; FloatMode: 240
; IeeeMode: 1
; LDSByteSize: 0 bytes/workgroup (compile time only)
; SGPRBlocks: 0
; VGPRBlocks: 0
; NumSGPRsForWavesPerEU: 1
; NumVGPRsForWavesPerEU: 1
; NamedBarCnt: 0
; Occupancy: 16
; WaveLimiterHint : 0
; COMPUTE_PGM_RSRC2:SCRATCH_EN: 0
; COMPUTE_PGM_RSRC2:USER_SGPR: 2
; COMPUTE_PGM_RSRC2:TRAP_HANDLER: 0
; COMPUTE_PGM_RSRC2:TGID_X_EN: 1
; COMPUTE_PGM_RSRC2:TGID_Y_EN: 0
; COMPUTE_PGM_RSRC2:TGID_Z_EN: 0
; COMPUTE_PGM_RSRC2:TIDIG_COMP_CNT: 0
	.section	.text._ZN7rocprim17ROCPRIM_400000_NS6detail17trampoline_kernelINS0_14default_configENS1_27scan_by_key_config_selectorIssEEZZNS1_16scan_by_key_implILNS1_25lookback_scan_determinismE0ELb0ES3_N6thrust23THRUST_200600_302600_NS6detail15normal_iteratorINS9_10device_ptrIsEEEESE_SE_sNS9_4plusIvEENS9_8equal_toIsEEsEE10hipError_tPvRmT2_T3_T4_T5_mT6_T7_P12ihipStream_tbENKUlT_T0_E_clISt17integral_constantIbLb0EESZ_EEDaSU_SV_EUlSU_E_NS1_11comp_targetILNS1_3genE10ELNS1_11target_archE1200ELNS1_3gpuE4ELNS1_3repE0EEENS1_30default_config_static_selectorELNS0_4arch9wavefront6targetE0EEEvT1_,"axG",@progbits,_ZN7rocprim17ROCPRIM_400000_NS6detail17trampoline_kernelINS0_14default_configENS1_27scan_by_key_config_selectorIssEEZZNS1_16scan_by_key_implILNS1_25lookback_scan_determinismE0ELb0ES3_N6thrust23THRUST_200600_302600_NS6detail15normal_iteratorINS9_10device_ptrIsEEEESE_SE_sNS9_4plusIvEENS9_8equal_toIsEEsEE10hipError_tPvRmT2_T3_T4_T5_mT6_T7_P12ihipStream_tbENKUlT_T0_E_clISt17integral_constantIbLb0EESZ_EEDaSU_SV_EUlSU_E_NS1_11comp_targetILNS1_3genE10ELNS1_11target_archE1200ELNS1_3gpuE4ELNS1_3repE0EEENS1_30default_config_static_selectorELNS0_4arch9wavefront6targetE0EEEvT1_,comdat
	.protected	_ZN7rocprim17ROCPRIM_400000_NS6detail17trampoline_kernelINS0_14default_configENS1_27scan_by_key_config_selectorIssEEZZNS1_16scan_by_key_implILNS1_25lookback_scan_determinismE0ELb0ES3_N6thrust23THRUST_200600_302600_NS6detail15normal_iteratorINS9_10device_ptrIsEEEESE_SE_sNS9_4plusIvEENS9_8equal_toIsEEsEE10hipError_tPvRmT2_T3_T4_T5_mT6_T7_P12ihipStream_tbENKUlT_T0_E_clISt17integral_constantIbLb0EESZ_EEDaSU_SV_EUlSU_E_NS1_11comp_targetILNS1_3genE10ELNS1_11target_archE1200ELNS1_3gpuE4ELNS1_3repE0EEENS1_30default_config_static_selectorELNS0_4arch9wavefront6targetE0EEEvT1_ ; -- Begin function _ZN7rocprim17ROCPRIM_400000_NS6detail17trampoline_kernelINS0_14default_configENS1_27scan_by_key_config_selectorIssEEZZNS1_16scan_by_key_implILNS1_25lookback_scan_determinismE0ELb0ES3_N6thrust23THRUST_200600_302600_NS6detail15normal_iteratorINS9_10device_ptrIsEEEESE_SE_sNS9_4plusIvEENS9_8equal_toIsEEsEE10hipError_tPvRmT2_T3_T4_T5_mT6_T7_P12ihipStream_tbENKUlT_T0_E_clISt17integral_constantIbLb0EESZ_EEDaSU_SV_EUlSU_E_NS1_11comp_targetILNS1_3genE10ELNS1_11target_archE1200ELNS1_3gpuE4ELNS1_3repE0EEENS1_30default_config_static_selectorELNS0_4arch9wavefront6targetE0EEEvT1_
	.globl	_ZN7rocprim17ROCPRIM_400000_NS6detail17trampoline_kernelINS0_14default_configENS1_27scan_by_key_config_selectorIssEEZZNS1_16scan_by_key_implILNS1_25lookback_scan_determinismE0ELb0ES3_N6thrust23THRUST_200600_302600_NS6detail15normal_iteratorINS9_10device_ptrIsEEEESE_SE_sNS9_4plusIvEENS9_8equal_toIsEEsEE10hipError_tPvRmT2_T3_T4_T5_mT6_T7_P12ihipStream_tbENKUlT_T0_E_clISt17integral_constantIbLb0EESZ_EEDaSU_SV_EUlSU_E_NS1_11comp_targetILNS1_3genE10ELNS1_11target_archE1200ELNS1_3gpuE4ELNS1_3repE0EEENS1_30default_config_static_selectorELNS0_4arch9wavefront6targetE0EEEvT1_
	.p2align	8
	.type	_ZN7rocprim17ROCPRIM_400000_NS6detail17trampoline_kernelINS0_14default_configENS1_27scan_by_key_config_selectorIssEEZZNS1_16scan_by_key_implILNS1_25lookback_scan_determinismE0ELb0ES3_N6thrust23THRUST_200600_302600_NS6detail15normal_iteratorINS9_10device_ptrIsEEEESE_SE_sNS9_4plusIvEENS9_8equal_toIsEEsEE10hipError_tPvRmT2_T3_T4_T5_mT6_T7_P12ihipStream_tbENKUlT_T0_E_clISt17integral_constantIbLb0EESZ_EEDaSU_SV_EUlSU_E_NS1_11comp_targetILNS1_3genE10ELNS1_11target_archE1200ELNS1_3gpuE4ELNS1_3repE0EEENS1_30default_config_static_selectorELNS0_4arch9wavefront6targetE0EEEvT1_,@function
_ZN7rocprim17ROCPRIM_400000_NS6detail17trampoline_kernelINS0_14default_configENS1_27scan_by_key_config_selectorIssEEZZNS1_16scan_by_key_implILNS1_25lookback_scan_determinismE0ELb0ES3_N6thrust23THRUST_200600_302600_NS6detail15normal_iteratorINS9_10device_ptrIsEEEESE_SE_sNS9_4plusIvEENS9_8equal_toIsEEsEE10hipError_tPvRmT2_T3_T4_T5_mT6_T7_P12ihipStream_tbENKUlT_T0_E_clISt17integral_constantIbLb0EESZ_EEDaSU_SV_EUlSU_E_NS1_11comp_targetILNS1_3genE10ELNS1_11target_archE1200ELNS1_3gpuE4ELNS1_3repE0EEENS1_30default_config_static_selectorELNS0_4arch9wavefront6targetE0EEEvT1_: ; @_ZN7rocprim17ROCPRIM_400000_NS6detail17trampoline_kernelINS0_14default_configENS1_27scan_by_key_config_selectorIssEEZZNS1_16scan_by_key_implILNS1_25lookback_scan_determinismE0ELb0ES3_N6thrust23THRUST_200600_302600_NS6detail15normal_iteratorINS9_10device_ptrIsEEEESE_SE_sNS9_4plusIvEENS9_8equal_toIsEEsEE10hipError_tPvRmT2_T3_T4_T5_mT6_T7_P12ihipStream_tbENKUlT_T0_E_clISt17integral_constantIbLb0EESZ_EEDaSU_SV_EUlSU_E_NS1_11comp_targetILNS1_3genE10ELNS1_11target_archE1200ELNS1_3gpuE4ELNS1_3repE0EEENS1_30default_config_static_selectorELNS0_4arch9wavefront6targetE0EEEvT1_
; %bb.0:
	.section	.rodata,"a",@progbits
	.p2align	6, 0x0
	.amdhsa_kernel _ZN7rocprim17ROCPRIM_400000_NS6detail17trampoline_kernelINS0_14default_configENS1_27scan_by_key_config_selectorIssEEZZNS1_16scan_by_key_implILNS1_25lookback_scan_determinismE0ELb0ES3_N6thrust23THRUST_200600_302600_NS6detail15normal_iteratorINS9_10device_ptrIsEEEESE_SE_sNS9_4plusIvEENS9_8equal_toIsEEsEE10hipError_tPvRmT2_T3_T4_T5_mT6_T7_P12ihipStream_tbENKUlT_T0_E_clISt17integral_constantIbLb0EESZ_EEDaSU_SV_EUlSU_E_NS1_11comp_targetILNS1_3genE10ELNS1_11target_archE1200ELNS1_3gpuE4ELNS1_3repE0EEENS1_30default_config_static_selectorELNS0_4arch9wavefront6targetE0EEEvT1_
		.amdhsa_group_segment_fixed_size 0
		.amdhsa_private_segment_fixed_size 0
		.amdhsa_kernarg_size 112
		.amdhsa_user_sgpr_count 2
		.amdhsa_user_sgpr_dispatch_ptr 0
		.amdhsa_user_sgpr_queue_ptr 0
		.amdhsa_user_sgpr_kernarg_segment_ptr 1
		.amdhsa_user_sgpr_dispatch_id 0
		.amdhsa_user_sgpr_kernarg_preload_length 0
		.amdhsa_user_sgpr_kernarg_preload_offset 0
		.amdhsa_user_sgpr_private_segment_size 0
		.amdhsa_wavefront_size32 1
		.amdhsa_uses_dynamic_stack 0
		.amdhsa_enable_private_segment 0
		.amdhsa_system_sgpr_workgroup_id_x 1
		.amdhsa_system_sgpr_workgroup_id_y 0
		.amdhsa_system_sgpr_workgroup_id_z 0
		.amdhsa_system_sgpr_workgroup_info 0
		.amdhsa_system_vgpr_workitem_id 0
		.amdhsa_next_free_vgpr 1
		.amdhsa_next_free_sgpr 1
		.amdhsa_named_barrier_count 0
		.amdhsa_reserve_vcc 0
		.amdhsa_float_round_mode_32 0
		.amdhsa_float_round_mode_16_64 0
		.amdhsa_float_denorm_mode_32 3
		.amdhsa_float_denorm_mode_16_64 3
		.amdhsa_fp16_overflow 0
		.amdhsa_memory_ordered 1
		.amdhsa_forward_progress 1
		.amdhsa_inst_pref_size 0
		.amdhsa_round_robin_scheduling 0
		.amdhsa_exception_fp_ieee_invalid_op 0
		.amdhsa_exception_fp_denorm_src 0
		.amdhsa_exception_fp_ieee_div_zero 0
		.amdhsa_exception_fp_ieee_overflow 0
		.amdhsa_exception_fp_ieee_underflow 0
		.amdhsa_exception_fp_ieee_inexact 0
		.amdhsa_exception_int_div_zero 0
	.end_amdhsa_kernel
	.section	.text._ZN7rocprim17ROCPRIM_400000_NS6detail17trampoline_kernelINS0_14default_configENS1_27scan_by_key_config_selectorIssEEZZNS1_16scan_by_key_implILNS1_25lookback_scan_determinismE0ELb0ES3_N6thrust23THRUST_200600_302600_NS6detail15normal_iteratorINS9_10device_ptrIsEEEESE_SE_sNS9_4plusIvEENS9_8equal_toIsEEsEE10hipError_tPvRmT2_T3_T4_T5_mT6_T7_P12ihipStream_tbENKUlT_T0_E_clISt17integral_constantIbLb0EESZ_EEDaSU_SV_EUlSU_E_NS1_11comp_targetILNS1_3genE10ELNS1_11target_archE1200ELNS1_3gpuE4ELNS1_3repE0EEENS1_30default_config_static_selectorELNS0_4arch9wavefront6targetE0EEEvT1_,"axG",@progbits,_ZN7rocprim17ROCPRIM_400000_NS6detail17trampoline_kernelINS0_14default_configENS1_27scan_by_key_config_selectorIssEEZZNS1_16scan_by_key_implILNS1_25lookback_scan_determinismE0ELb0ES3_N6thrust23THRUST_200600_302600_NS6detail15normal_iteratorINS9_10device_ptrIsEEEESE_SE_sNS9_4plusIvEENS9_8equal_toIsEEsEE10hipError_tPvRmT2_T3_T4_T5_mT6_T7_P12ihipStream_tbENKUlT_T0_E_clISt17integral_constantIbLb0EESZ_EEDaSU_SV_EUlSU_E_NS1_11comp_targetILNS1_3genE10ELNS1_11target_archE1200ELNS1_3gpuE4ELNS1_3repE0EEENS1_30default_config_static_selectorELNS0_4arch9wavefront6targetE0EEEvT1_,comdat
.Lfunc_end323:
	.size	_ZN7rocprim17ROCPRIM_400000_NS6detail17trampoline_kernelINS0_14default_configENS1_27scan_by_key_config_selectorIssEEZZNS1_16scan_by_key_implILNS1_25lookback_scan_determinismE0ELb0ES3_N6thrust23THRUST_200600_302600_NS6detail15normal_iteratorINS9_10device_ptrIsEEEESE_SE_sNS9_4plusIvEENS9_8equal_toIsEEsEE10hipError_tPvRmT2_T3_T4_T5_mT6_T7_P12ihipStream_tbENKUlT_T0_E_clISt17integral_constantIbLb0EESZ_EEDaSU_SV_EUlSU_E_NS1_11comp_targetILNS1_3genE10ELNS1_11target_archE1200ELNS1_3gpuE4ELNS1_3repE0EEENS1_30default_config_static_selectorELNS0_4arch9wavefront6targetE0EEEvT1_, .Lfunc_end323-_ZN7rocprim17ROCPRIM_400000_NS6detail17trampoline_kernelINS0_14default_configENS1_27scan_by_key_config_selectorIssEEZZNS1_16scan_by_key_implILNS1_25lookback_scan_determinismE0ELb0ES3_N6thrust23THRUST_200600_302600_NS6detail15normal_iteratorINS9_10device_ptrIsEEEESE_SE_sNS9_4plusIvEENS9_8equal_toIsEEsEE10hipError_tPvRmT2_T3_T4_T5_mT6_T7_P12ihipStream_tbENKUlT_T0_E_clISt17integral_constantIbLb0EESZ_EEDaSU_SV_EUlSU_E_NS1_11comp_targetILNS1_3genE10ELNS1_11target_archE1200ELNS1_3gpuE4ELNS1_3repE0EEENS1_30default_config_static_selectorELNS0_4arch9wavefront6targetE0EEEvT1_
                                        ; -- End function
	.set _ZN7rocprim17ROCPRIM_400000_NS6detail17trampoline_kernelINS0_14default_configENS1_27scan_by_key_config_selectorIssEEZZNS1_16scan_by_key_implILNS1_25lookback_scan_determinismE0ELb0ES3_N6thrust23THRUST_200600_302600_NS6detail15normal_iteratorINS9_10device_ptrIsEEEESE_SE_sNS9_4plusIvEENS9_8equal_toIsEEsEE10hipError_tPvRmT2_T3_T4_T5_mT6_T7_P12ihipStream_tbENKUlT_T0_E_clISt17integral_constantIbLb0EESZ_EEDaSU_SV_EUlSU_E_NS1_11comp_targetILNS1_3genE10ELNS1_11target_archE1200ELNS1_3gpuE4ELNS1_3repE0EEENS1_30default_config_static_selectorELNS0_4arch9wavefront6targetE0EEEvT1_.num_vgpr, 0
	.set _ZN7rocprim17ROCPRIM_400000_NS6detail17trampoline_kernelINS0_14default_configENS1_27scan_by_key_config_selectorIssEEZZNS1_16scan_by_key_implILNS1_25lookback_scan_determinismE0ELb0ES3_N6thrust23THRUST_200600_302600_NS6detail15normal_iteratorINS9_10device_ptrIsEEEESE_SE_sNS9_4plusIvEENS9_8equal_toIsEEsEE10hipError_tPvRmT2_T3_T4_T5_mT6_T7_P12ihipStream_tbENKUlT_T0_E_clISt17integral_constantIbLb0EESZ_EEDaSU_SV_EUlSU_E_NS1_11comp_targetILNS1_3genE10ELNS1_11target_archE1200ELNS1_3gpuE4ELNS1_3repE0EEENS1_30default_config_static_selectorELNS0_4arch9wavefront6targetE0EEEvT1_.num_agpr, 0
	.set _ZN7rocprim17ROCPRIM_400000_NS6detail17trampoline_kernelINS0_14default_configENS1_27scan_by_key_config_selectorIssEEZZNS1_16scan_by_key_implILNS1_25lookback_scan_determinismE0ELb0ES3_N6thrust23THRUST_200600_302600_NS6detail15normal_iteratorINS9_10device_ptrIsEEEESE_SE_sNS9_4plusIvEENS9_8equal_toIsEEsEE10hipError_tPvRmT2_T3_T4_T5_mT6_T7_P12ihipStream_tbENKUlT_T0_E_clISt17integral_constantIbLb0EESZ_EEDaSU_SV_EUlSU_E_NS1_11comp_targetILNS1_3genE10ELNS1_11target_archE1200ELNS1_3gpuE4ELNS1_3repE0EEENS1_30default_config_static_selectorELNS0_4arch9wavefront6targetE0EEEvT1_.numbered_sgpr, 0
	.set _ZN7rocprim17ROCPRIM_400000_NS6detail17trampoline_kernelINS0_14default_configENS1_27scan_by_key_config_selectorIssEEZZNS1_16scan_by_key_implILNS1_25lookback_scan_determinismE0ELb0ES3_N6thrust23THRUST_200600_302600_NS6detail15normal_iteratorINS9_10device_ptrIsEEEESE_SE_sNS9_4plusIvEENS9_8equal_toIsEEsEE10hipError_tPvRmT2_T3_T4_T5_mT6_T7_P12ihipStream_tbENKUlT_T0_E_clISt17integral_constantIbLb0EESZ_EEDaSU_SV_EUlSU_E_NS1_11comp_targetILNS1_3genE10ELNS1_11target_archE1200ELNS1_3gpuE4ELNS1_3repE0EEENS1_30default_config_static_selectorELNS0_4arch9wavefront6targetE0EEEvT1_.num_named_barrier, 0
	.set _ZN7rocprim17ROCPRIM_400000_NS6detail17trampoline_kernelINS0_14default_configENS1_27scan_by_key_config_selectorIssEEZZNS1_16scan_by_key_implILNS1_25lookback_scan_determinismE0ELb0ES3_N6thrust23THRUST_200600_302600_NS6detail15normal_iteratorINS9_10device_ptrIsEEEESE_SE_sNS9_4plusIvEENS9_8equal_toIsEEsEE10hipError_tPvRmT2_T3_T4_T5_mT6_T7_P12ihipStream_tbENKUlT_T0_E_clISt17integral_constantIbLb0EESZ_EEDaSU_SV_EUlSU_E_NS1_11comp_targetILNS1_3genE10ELNS1_11target_archE1200ELNS1_3gpuE4ELNS1_3repE0EEENS1_30default_config_static_selectorELNS0_4arch9wavefront6targetE0EEEvT1_.private_seg_size, 0
	.set _ZN7rocprim17ROCPRIM_400000_NS6detail17trampoline_kernelINS0_14default_configENS1_27scan_by_key_config_selectorIssEEZZNS1_16scan_by_key_implILNS1_25lookback_scan_determinismE0ELb0ES3_N6thrust23THRUST_200600_302600_NS6detail15normal_iteratorINS9_10device_ptrIsEEEESE_SE_sNS9_4plusIvEENS9_8equal_toIsEEsEE10hipError_tPvRmT2_T3_T4_T5_mT6_T7_P12ihipStream_tbENKUlT_T0_E_clISt17integral_constantIbLb0EESZ_EEDaSU_SV_EUlSU_E_NS1_11comp_targetILNS1_3genE10ELNS1_11target_archE1200ELNS1_3gpuE4ELNS1_3repE0EEENS1_30default_config_static_selectorELNS0_4arch9wavefront6targetE0EEEvT1_.uses_vcc, 0
	.set _ZN7rocprim17ROCPRIM_400000_NS6detail17trampoline_kernelINS0_14default_configENS1_27scan_by_key_config_selectorIssEEZZNS1_16scan_by_key_implILNS1_25lookback_scan_determinismE0ELb0ES3_N6thrust23THRUST_200600_302600_NS6detail15normal_iteratorINS9_10device_ptrIsEEEESE_SE_sNS9_4plusIvEENS9_8equal_toIsEEsEE10hipError_tPvRmT2_T3_T4_T5_mT6_T7_P12ihipStream_tbENKUlT_T0_E_clISt17integral_constantIbLb0EESZ_EEDaSU_SV_EUlSU_E_NS1_11comp_targetILNS1_3genE10ELNS1_11target_archE1200ELNS1_3gpuE4ELNS1_3repE0EEENS1_30default_config_static_selectorELNS0_4arch9wavefront6targetE0EEEvT1_.uses_flat_scratch, 0
	.set _ZN7rocprim17ROCPRIM_400000_NS6detail17trampoline_kernelINS0_14default_configENS1_27scan_by_key_config_selectorIssEEZZNS1_16scan_by_key_implILNS1_25lookback_scan_determinismE0ELb0ES3_N6thrust23THRUST_200600_302600_NS6detail15normal_iteratorINS9_10device_ptrIsEEEESE_SE_sNS9_4plusIvEENS9_8equal_toIsEEsEE10hipError_tPvRmT2_T3_T4_T5_mT6_T7_P12ihipStream_tbENKUlT_T0_E_clISt17integral_constantIbLb0EESZ_EEDaSU_SV_EUlSU_E_NS1_11comp_targetILNS1_3genE10ELNS1_11target_archE1200ELNS1_3gpuE4ELNS1_3repE0EEENS1_30default_config_static_selectorELNS0_4arch9wavefront6targetE0EEEvT1_.has_dyn_sized_stack, 0
	.set _ZN7rocprim17ROCPRIM_400000_NS6detail17trampoline_kernelINS0_14default_configENS1_27scan_by_key_config_selectorIssEEZZNS1_16scan_by_key_implILNS1_25lookback_scan_determinismE0ELb0ES3_N6thrust23THRUST_200600_302600_NS6detail15normal_iteratorINS9_10device_ptrIsEEEESE_SE_sNS9_4plusIvEENS9_8equal_toIsEEsEE10hipError_tPvRmT2_T3_T4_T5_mT6_T7_P12ihipStream_tbENKUlT_T0_E_clISt17integral_constantIbLb0EESZ_EEDaSU_SV_EUlSU_E_NS1_11comp_targetILNS1_3genE10ELNS1_11target_archE1200ELNS1_3gpuE4ELNS1_3repE0EEENS1_30default_config_static_selectorELNS0_4arch9wavefront6targetE0EEEvT1_.has_recursion, 0
	.set _ZN7rocprim17ROCPRIM_400000_NS6detail17trampoline_kernelINS0_14default_configENS1_27scan_by_key_config_selectorIssEEZZNS1_16scan_by_key_implILNS1_25lookback_scan_determinismE0ELb0ES3_N6thrust23THRUST_200600_302600_NS6detail15normal_iteratorINS9_10device_ptrIsEEEESE_SE_sNS9_4plusIvEENS9_8equal_toIsEEsEE10hipError_tPvRmT2_T3_T4_T5_mT6_T7_P12ihipStream_tbENKUlT_T0_E_clISt17integral_constantIbLb0EESZ_EEDaSU_SV_EUlSU_E_NS1_11comp_targetILNS1_3genE10ELNS1_11target_archE1200ELNS1_3gpuE4ELNS1_3repE0EEENS1_30default_config_static_selectorELNS0_4arch9wavefront6targetE0EEEvT1_.has_indirect_call, 0
	.section	.AMDGPU.csdata,"",@progbits
; Kernel info:
; codeLenInByte = 0
; TotalNumSgprs: 0
; NumVgprs: 0
; ScratchSize: 0
; MemoryBound: 0
; FloatMode: 240
; IeeeMode: 1
; LDSByteSize: 0 bytes/workgroup (compile time only)
; SGPRBlocks: 0
; VGPRBlocks: 0
; NumSGPRsForWavesPerEU: 1
; NumVGPRsForWavesPerEU: 1
; NamedBarCnt: 0
; Occupancy: 16
; WaveLimiterHint : 0
; COMPUTE_PGM_RSRC2:SCRATCH_EN: 0
; COMPUTE_PGM_RSRC2:USER_SGPR: 2
; COMPUTE_PGM_RSRC2:TRAP_HANDLER: 0
; COMPUTE_PGM_RSRC2:TGID_X_EN: 1
; COMPUTE_PGM_RSRC2:TGID_Y_EN: 0
; COMPUTE_PGM_RSRC2:TGID_Z_EN: 0
; COMPUTE_PGM_RSRC2:TIDIG_COMP_CNT: 0
	.section	.text._ZN7rocprim17ROCPRIM_400000_NS6detail17trampoline_kernelINS0_14default_configENS1_27scan_by_key_config_selectorIssEEZZNS1_16scan_by_key_implILNS1_25lookback_scan_determinismE0ELb0ES3_N6thrust23THRUST_200600_302600_NS6detail15normal_iteratorINS9_10device_ptrIsEEEESE_SE_sNS9_4plusIvEENS9_8equal_toIsEEsEE10hipError_tPvRmT2_T3_T4_T5_mT6_T7_P12ihipStream_tbENKUlT_T0_E_clISt17integral_constantIbLb0EESZ_EEDaSU_SV_EUlSU_E_NS1_11comp_targetILNS1_3genE9ELNS1_11target_archE1100ELNS1_3gpuE3ELNS1_3repE0EEENS1_30default_config_static_selectorELNS0_4arch9wavefront6targetE0EEEvT1_,"axG",@progbits,_ZN7rocprim17ROCPRIM_400000_NS6detail17trampoline_kernelINS0_14default_configENS1_27scan_by_key_config_selectorIssEEZZNS1_16scan_by_key_implILNS1_25lookback_scan_determinismE0ELb0ES3_N6thrust23THRUST_200600_302600_NS6detail15normal_iteratorINS9_10device_ptrIsEEEESE_SE_sNS9_4plusIvEENS9_8equal_toIsEEsEE10hipError_tPvRmT2_T3_T4_T5_mT6_T7_P12ihipStream_tbENKUlT_T0_E_clISt17integral_constantIbLb0EESZ_EEDaSU_SV_EUlSU_E_NS1_11comp_targetILNS1_3genE9ELNS1_11target_archE1100ELNS1_3gpuE3ELNS1_3repE0EEENS1_30default_config_static_selectorELNS0_4arch9wavefront6targetE0EEEvT1_,comdat
	.protected	_ZN7rocprim17ROCPRIM_400000_NS6detail17trampoline_kernelINS0_14default_configENS1_27scan_by_key_config_selectorIssEEZZNS1_16scan_by_key_implILNS1_25lookback_scan_determinismE0ELb0ES3_N6thrust23THRUST_200600_302600_NS6detail15normal_iteratorINS9_10device_ptrIsEEEESE_SE_sNS9_4plusIvEENS9_8equal_toIsEEsEE10hipError_tPvRmT2_T3_T4_T5_mT6_T7_P12ihipStream_tbENKUlT_T0_E_clISt17integral_constantIbLb0EESZ_EEDaSU_SV_EUlSU_E_NS1_11comp_targetILNS1_3genE9ELNS1_11target_archE1100ELNS1_3gpuE3ELNS1_3repE0EEENS1_30default_config_static_selectorELNS0_4arch9wavefront6targetE0EEEvT1_ ; -- Begin function _ZN7rocprim17ROCPRIM_400000_NS6detail17trampoline_kernelINS0_14default_configENS1_27scan_by_key_config_selectorIssEEZZNS1_16scan_by_key_implILNS1_25lookback_scan_determinismE0ELb0ES3_N6thrust23THRUST_200600_302600_NS6detail15normal_iteratorINS9_10device_ptrIsEEEESE_SE_sNS9_4plusIvEENS9_8equal_toIsEEsEE10hipError_tPvRmT2_T3_T4_T5_mT6_T7_P12ihipStream_tbENKUlT_T0_E_clISt17integral_constantIbLb0EESZ_EEDaSU_SV_EUlSU_E_NS1_11comp_targetILNS1_3genE9ELNS1_11target_archE1100ELNS1_3gpuE3ELNS1_3repE0EEENS1_30default_config_static_selectorELNS0_4arch9wavefront6targetE0EEEvT1_
	.globl	_ZN7rocprim17ROCPRIM_400000_NS6detail17trampoline_kernelINS0_14default_configENS1_27scan_by_key_config_selectorIssEEZZNS1_16scan_by_key_implILNS1_25lookback_scan_determinismE0ELb0ES3_N6thrust23THRUST_200600_302600_NS6detail15normal_iteratorINS9_10device_ptrIsEEEESE_SE_sNS9_4plusIvEENS9_8equal_toIsEEsEE10hipError_tPvRmT2_T3_T4_T5_mT6_T7_P12ihipStream_tbENKUlT_T0_E_clISt17integral_constantIbLb0EESZ_EEDaSU_SV_EUlSU_E_NS1_11comp_targetILNS1_3genE9ELNS1_11target_archE1100ELNS1_3gpuE3ELNS1_3repE0EEENS1_30default_config_static_selectorELNS0_4arch9wavefront6targetE0EEEvT1_
	.p2align	8
	.type	_ZN7rocprim17ROCPRIM_400000_NS6detail17trampoline_kernelINS0_14default_configENS1_27scan_by_key_config_selectorIssEEZZNS1_16scan_by_key_implILNS1_25lookback_scan_determinismE0ELb0ES3_N6thrust23THRUST_200600_302600_NS6detail15normal_iteratorINS9_10device_ptrIsEEEESE_SE_sNS9_4plusIvEENS9_8equal_toIsEEsEE10hipError_tPvRmT2_T3_T4_T5_mT6_T7_P12ihipStream_tbENKUlT_T0_E_clISt17integral_constantIbLb0EESZ_EEDaSU_SV_EUlSU_E_NS1_11comp_targetILNS1_3genE9ELNS1_11target_archE1100ELNS1_3gpuE3ELNS1_3repE0EEENS1_30default_config_static_selectorELNS0_4arch9wavefront6targetE0EEEvT1_,@function
_ZN7rocprim17ROCPRIM_400000_NS6detail17trampoline_kernelINS0_14default_configENS1_27scan_by_key_config_selectorIssEEZZNS1_16scan_by_key_implILNS1_25lookback_scan_determinismE0ELb0ES3_N6thrust23THRUST_200600_302600_NS6detail15normal_iteratorINS9_10device_ptrIsEEEESE_SE_sNS9_4plusIvEENS9_8equal_toIsEEsEE10hipError_tPvRmT2_T3_T4_T5_mT6_T7_P12ihipStream_tbENKUlT_T0_E_clISt17integral_constantIbLb0EESZ_EEDaSU_SV_EUlSU_E_NS1_11comp_targetILNS1_3genE9ELNS1_11target_archE1100ELNS1_3gpuE3ELNS1_3repE0EEENS1_30default_config_static_selectorELNS0_4arch9wavefront6targetE0EEEvT1_: ; @_ZN7rocprim17ROCPRIM_400000_NS6detail17trampoline_kernelINS0_14default_configENS1_27scan_by_key_config_selectorIssEEZZNS1_16scan_by_key_implILNS1_25lookback_scan_determinismE0ELb0ES3_N6thrust23THRUST_200600_302600_NS6detail15normal_iteratorINS9_10device_ptrIsEEEESE_SE_sNS9_4plusIvEENS9_8equal_toIsEEsEE10hipError_tPvRmT2_T3_T4_T5_mT6_T7_P12ihipStream_tbENKUlT_T0_E_clISt17integral_constantIbLb0EESZ_EEDaSU_SV_EUlSU_E_NS1_11comp_targetILNS1_3genE9ELNS1_11target_archE1100ELNS1_3gpuE3ELNS1_3repE0EEENS1_30default_config_static_selectorELNS0_4arch9wavefront6targetE0EEEvT1_
; %bb.0:
	.section	.rodata,"a",@progbits
	.p2align	6, 0x0
	.amdhsa_kernel _ZN7rocprim17ROCPRIM_400000_NS6detail17trampoline_kernelINS0_14default_configENS1_27scan_by_key_config_selectorIssEEZZNS1_16scan_by_key_implILNS1_25lookback_scan_determinismE0ELb0ES3_N6thrust23THRUST_200600_302600_NS6detail15normal_iteratorINS9_10device_ptrIsEEEESE_SE_sNS9_4plusIvEENS9_8equal_toIsEEsEE10hipError_tPvRmT2_T3_T4_T5_mT6_T7_P12ihipStream_tbENKUlT_T0_E_clISt17integral_constantIbLb0EESZ_EEDaSU_SV_EUlSU_E_NS1_11comp_targetILNS1_3genE9ELNS1_11target_archE1100ELNS1_3gpuE3ELNS1_3repE0EEENS1_30default_config_static_selectorELNS0_4arch9wavefront6targetE0EEEvT1_
		.amdhsa_group_segment_fixed_size 0
		.amdhsa_private_segment_fixed_size 0
		.amdhsa_kernarg_size 112
		.amdhsa_user_sgpr_count 2
		.amdhsa_user_sgpr_dispatch_ptr 0
		.amdhsa_user_sgpr_queue_ptr 0
		.amdhsa_user_sgpr_kernarg_segment_ptr 1
		.amdhsa_user_sgpr_dispatch_id 0
		.amdhsa_user_sgpr_kernarg_preload_length 0
		.amdhsa_user_sgpr_kernarg_preload_offset 0
		.amdhsa_user_sgpr_private_segment_size 0
		.amdhsa_wavefront_size32 1
		.amdhsa_uses_dynamic_stack 0
		.amdhsa_enable_private_segment 0
		.amdhsa_system_sgpr_workgroup_id_x 1
		.amdhsa_system_sgpr_workgroup_id_y 0
		.amdhsa_system_sgpr_workgroup_id_z 0
		.amdhsa_system_sgpr_workgroup_info 0
		.amdhsa_system_vgpr_workitem_id 0
		.amdhsa_next_free_vgpr 1
		.amdhsa_next_free_sgpr 1
		.amdhsa_named_barrier_count 0
		.amdhsa_reserve_vcc 0
		.amdhsa_float_round_mode_32 0
		.amdhsa_float_round_mode_16_64 0
		.amdhsa_float_denorm_mode_32 3
		.amdhsa_float_denorm_mode_16_64 3
		.amdhsa_fp16_overflow 0
		.amdhsa_memory_ordered 1
		.amdhsa_forward_progress 1
		.amdhsa_inst_pref_size 0
		.amdhsa_round_robin_scheduling 0
		.amdhsa_exception_fp_ieee_invalid_op 0
		.amdhsa_exception_fp_denorm_src 0
		.amdhsa_exception_fp_ieee_div_zero 0
		.amdhsa_exception_fp_ieee_overflow 0
		.amdhsa_exception_fp_ieee_underflow 0
		.amdhsa_exception_fp_ieee_inexact 0
		.amdhsa_exception_int_div_zero 0
	.end_amdhsa_kernel
	.section	.text._ZN7rocprim17ROCPRIM_400000_NS6detail17trampoline_kernelINS0_14default_configENS1_27scan_by_key_config_selectorIssEEZZNS1_16scan_by_key_implILNS1_25lookback_scan_determinismE0ELb0ES3_N6thrust23THRUST_200600_302600_NS6detail15normal_iteratorINS9_10device_ptrIsEEEESE_SE_sNS9_4plusIvEENS9_8equal_toIsEEsEE10hipError_tPvRmT2_T3_T4_T5_mT6_T7_P12ihipStream_tbENKUlT_T0_E_clISt17integral_constantIbLb0EESZ_EEDaSU_SV_EUlSU_E_NS1_11comp_targetILNS1_3genE9ELNS1_11target_archE1100ELNS1_3gpuE3ELNS1_3repE0EEENS1_30default_config_static_selectorELNS0_4arch9wavefront6targetE0EEEvT1_,"axG",@progbits,_ZN7rocprim17ROCPRIM_400000_NS6detail17trampoline_kernelINS0_14default_configENS1_27scan_by_key_config_selectorIssEEZZNS1_16scan_by_key_implILNS1_25lookback_scan_determinismE0ELb0ES3_N6thrust23THRUST_200600_302600_NS6detail15normal_iteratorINS9_10device_ptrIsEEEESE_SE_sNS9_4plusIvEENS9_8equal_toIsEEsEE10hipError_tPvRmT2_T3_T4_T5_mT6_T7_P12ihipStream_tbENKUlT_T0_E_clISt17integral_constantIbLb0EESZ_EEDaSU_SV_EUlSU_E_NS1_11comp_targetILNS1_3genE9ELNS1_11target_archE1100ELNS1_3gpuE3ELNS1_3repE0EEENS1_30default_config_static_selectorELNS0_4arch9wavefront6targetE0EEEvT1_,comdat
.Lfunc_end324:
	.size	_ZN7rocprim17ROCPRIM_400000_NS6detail17trampoline_kernelINS0_14default_configENS1_27scan_by_key_config_selectorIssEEZZNS1_16scan_by_key_implILNS1_25lookback_scan_determinismE0ELb0ES3_N6thrust23THRUST_200600_302600_NS6detail15normal_iteratorINS9_10device_ptrIsEEEESE_SE_sNS9_4plusIvEENS9_8equal_toIsEEsEE10hipError_tPvRmT2_T3_T4_T5_mT6_T7_P12ihipStream_tbENKUlT_T0_E_clISt17integral_constantIbLb0EESZ_EEDaSU_SV_EUlSU_E_NS1_11comp_targetILNS1_3genE9ELNS1_11target_archE1100ELNS1_3gpuE3ELNS1_3repE0EEENS1_30default_config_static_selectorELNS0_4arch9wavefront6targetE0EEEvT1_, .Lfunc_end324-_ZN7rocprim17ROCPRIM_400000_NS6detail17trampoline_kernelINS0_14default_configENS1_27scan_by_key_config_selectorIssEEZZNS1_16scan_by_key_implILNS1_25lookback_scan_determinismE0ELb0ES3_N6thrust23THRUST_200600_302600_NS6detail15normal_iteratorINS9_10device_ptrIsEEEESE_SE_sNS9_4plusIvEENS9_8equal_toIsEEsEE10hipError_tPvRmT2_T3_T4_T5_mT6_T7_P12ihipStream_tbENKUlT_T0_E_clISt17integral_constantIbLb0EESZ_EEDaSU_SV_EUlSU_E_NS1_11comp_targetILNS1_3genE9ELNS1_11target_archE1100ELNS1_3gpuE3ELNS1_3repE0EEENS1_30default_config_static_selectorELNS0_4arch9wavefront6targetE0EEEvT1_
                                        ; -- End function
	.set _ZN7rocprim17ROCPRIM_400000_NS6detail17trampoline_kernelINS0_14default_configENS1_27scan_by_key_config_selectorIssEEZZNS1_16scan_by_key_implILNS1_25lookback_scan_determinismE0ELb0ES3_N6thrust23THRUST_200600_302600_NS6detail15normal_iteratorINS9_10device_ptrIsEEEESE_SE_sNS9_4plusIvEENS9_8equal_toIsEEsEE10hipError_tPvRmT2_T3_T4_T5_mT6_T7_P12ihipStream_tbENKUlT_T0_E_clISt17integral_constantIbLb0EESZ_EEDaSU_SV_EUlSU_E_NS1_11comp_targetILNS1_3genE9ELNS1_11target_archE1100ELNS1_3gpuE3ELNS1_3repE0EEENS1_30default_config_static_selectorELNS0_4arch9wavefront6targetE0EEEvT1_.num_vgpr, 0
	.set _ZN7rocprim17ROCPRIM_400000_NS6detail17trampoline_kernelINS0_14default_configENS1_27scan_by_key_config_selectorIssEEZZNS1_16scan_by_key_implILNS1_25lookback_scan_determinismE0ELb0ES3_N6thrust23THRUST_200600_302600_NS6detail15normal_iteratorINS9_10device_ptrIsEEEESE_SE_sNS9_4plusIvEENS9_8equal_toIsEEsEE10hipError_tPvRmT2_T3_T4_T5_mT6_T7_P12ihipStream_tbENKUlT_T0_E_clISt17integral_constantIbLb0EESZ_EEDaSU_SV_EUlSU_E_NS1_11comp_targetILNS1_3genE9ELNS1_11target_archE1100ELNS1_3gpuE3ELNS1_3repE0EEENS1_30default_config_static_selectorELNS0_4arch9wavefront6targetE0EEEvT1_.num_agpr, 0
	.set _ZN7rocprim17ROCPRIM_400000_NS6detail17trampoline_kernelINS0_14default_configENS1_27scan_by_key_config_selectorIssEEZZNS1_16scan_by_key_implILNS1_25lookback_scan_determinismE0ELb0ES3_N6thrust23THRUST_200600_302600_NS6detail15normal_iteratorINS9_10device_ptrIsEEEESE_SE_sNS9_4plusIvEENS9_8equal_toIsEEsEE10hipError_tPvRmT2_T3_T4_T5_mT6_T7_P12ihipStream_tbENKUlT_T0_E_clISt17integral_constantIbLb0EESZ_EEDaSU_SV_EUlSU_E_NS1_11comp_targetILNS1_3genE9ELNS1_11target_archE1100ELNS1_3gpuE3ELNS1_3repE0EEENS1_30default_config_static_selectorELNS0_4arch9wavefront6targetE0EEEvT1_.numbered_sgpr, 0
	.set _ZN7rocprim17ROCPRIM_400000_NS6detail17trampoline_kernelINS0_14default_configENS1_27scan_by_key_config_selectorIssEEZZNS1_16scan_by_key_implILNS1_25lookback_scan_determinismE0ELb0ES3_N6thrust23THRUST_200600_302600_NS6detail15normal_iteratorINS9_10device_ptrIsEEEESE_SE_sNS9_4plusIvEENS9_8equal_toIsEEsEE10hipError_tPvRmT2_T3_T4_T5_mT6_T7_P12ihipStream_tbENKUlT_T0_E_clISt17integral_constantIbLb0EESZ_EEDaSU_SV_EUlSU_E_NS1_11comp_targetILNS1_3genE9ELNS1_11target_archE1100ELNS1_3gpuE3ELNS1_3repE0EEENS1_30default_config_static_selectorELNS0_4arch9wavefront6targetE0EEEvT1_.num_named_barrier, 0
	.set _ZN7rocprim17ROCPRIM_400000_NS6detail17trampoline_kernelINS0_14default_configENS1_27scan_by_key_config_selectorIssEEZZNS1_16scan_by_key_implILNS1_25lookback_scan_determinismE0ELb0ES3_N6thrust23THRUST_200600_302600_NS6detail15normal_iteratorINS9_10device_ptrIsEEEESE_SE_sNS9_4plusIvEENS9_8equal_toIsEEsEE10hipError_tPvRmT2_T3_T4_T5_mT6_T7_P12ihipStream_tbENKUlT_T0_E_clISt17integral_constantIbLb0EESZ_EEDaSU_SV_EUlSU_E_NS1_11comp_targetILNS1_3genE9ELNS1_11target_archE1100ELNS1_3gpuE3ELNS1_3repE0EEENS1_30default_config_static_selectorELNS0_4arch9wavefront6targetE0EEEvT1_.private_seg_size, 0
	.set _ZN7rocprim17ROCPRIM_400000_NS6detail17trampoline_kernelINS0_14default_configENS1_27scan_by_key_config_selectorIssEEZZNS1_16scan_by_key_implILNS1_25lookback_scan_determinismE0ELb0ES3_N6thrust23THRUST_200600_302600_NS6detail15normal_iteratorINS9_10device_ptrIsEEEESE_SE_sNS9_4plusIvEENS9_8equal_toIsEEsEE10hipError_tPvRmT2_T3_T4_T5_mT6_T7_P12ihipStream_tbENKUlT_T0_E_clISt17integral_constantIbLb0EESZ_EEDaSU_SV_EUlSU_E_NS1_11comp_targetILNS1_3genE9ELNS1_11target_archE1100ELNS1_3gpuE3ELNS1_3repE0EEENS1_30default_config_static_selectorELNS0_4arch9wavefront6targetE0EEEvT1_.uses_vcc, 0
	.set _ZN7rocprim17ROCPRIM_400000_NS6detail17trampoline_kernelINS0_14default_configENS1_27scan_by_key_config_selectorIssEEZZNS1_16scan_by_key_implILNS1_25lookback_scan_determinismE0ELb0ES3_N6thrust23THRUST_200600_302600_NS6detail15normal_iteratorINS9_10device_ptrIsEEEESE_SE_sNS9_4plusIvEENS9_8equal_toIsEEsEE10hipError_tPvRmT2_T3_T4_T5_mT6_T7_P12ihipStream_tbENKUlT_T0_E_clISt17integral_constantIbLb0EESZ_EEDaSU_SV_EUlSU_E_NS1_11comp_targetILNS1_3genE9ELNS1_11target_archE1100ELNS1_3gpuE3ELNS1_3repE0EEENS1_30default_config_static_selectorELNS0_4arch9wavefront6targetE0EEEvT1_.uses_flat_scratch, 0
	.set _ZN7rocprim17ROCPRIM_400000_NS6detail17trampoline_kernelINS0_14default_configENS1_27scan_by_key_config_selectorIssEEZZNS1_16scan_by_key_implILNS1_25lookback_scan_determinismE0ELb0ES3_N6thrust23THRUST_200600_302600_NS6detail15normal_iteratorINS9_10device_ptrIsEEEESE_SE_sNS9_4plusIvEENS9_8equal_toIsEEsEE10hipError_tPvRmT2_T3_T4_T5_mT6_T7_P12ihipStream_tbENKUlT_T0_E_clISt17integral_constantIbLb0EESZ_EEDaSU_SV_EUlSU_E_NS1_11comp_targetILNS1_3genE9ELNS1_11target_archE1100ELNS1_3gpuE3ELNS1_3repE0EEENS1_30default_config_static_selectorELNS0_4arch9wavefront6targetE0EEEvT1_.has_dyn_sized_stack, 0
	.set _ZN7rocprim17ROCPRIM_400000_NS6detail17trampoline_kernelINS0_14default_configENS1_27scan_by_key_config_selectorIssEEZZNS1_16scan_by_key_implILNS1_25lookback_scan_determinismE0ELb0ES3_N6thrust23THRUST_200600_302600_NS6detail15normal_iteratorINS9_10device_ptrIsEEEESE_SE_sNS9_4plusIvEENS9_8equal_toIsEEsEE10hipError_tPvRmT2_T3_T4_T5_mT6_T7_P12ihipStream_tbENKUlT_T0_E_clISt17integral_constantIbLb0EESZ_EEDaSU_SV_EUlSU_E_NS1_11comp_targetILNS1_3genE9ELNS1_11target_archE1100ELNS1_3gpuE3ELNS1_3repE0EEENS1_30default_config_static_selectorELNS0_4arch9wavefront6targetE0EEEvT1_.has_recursion, 0
	.set _ZN7rocprim17ROCPRIM_400000_NS6detail17trampoline_kernelINS0_14default_configENS1_27scan_by_key_config_selectorIssEEZZNS1_16scan_by_key_implILNS1_25lookback_scan_determinismE0ELb0ES3_N6thrust23THRUST_200600_302600_NS6detail15normal_iteratorINS9_10device_ptrIsEEEESE_SE_sNS9_4plusIvEENS9_8equal_toIsEEsEE10hipError_tPvRmT2_T3_T4_T5_mT6_T7_P12ihipStream_tbENKUlT_T0_E_clISt17integral_constantIbLb0EESZ_EEDaSU_SV_EUlSU_E_NS1_11comp_targetILNS1_3genE9ELNS1_11target_archE1100ELNS1_3gpuE3ELNS1_3repE0EEENS1_30default_config_static_selectorELNS0_4arch9wavefront6targetE0EEEvT1_.has_indirect_call, 0
	.section	.AMDGPU.csdata,"",@progbits
; Kernel info:
; codeLenInByte = 0
; TotalNumSgprs: 0
; NumVgprs: 0
; ScratchSize: 0
; MemoryBound: 0
; FloatMode: 240
; IeeeMode: 1
; LDSByteSize: 0 bytes/workgroup (compile time only)
; SGPRBlocks: 0
; VGPRBlocks: 0
; NumSGPRsForWavesPerEU: 1
; NumVGPRsForWavesPerEU: 1
; NamedBarCnt: 0
; Occupancy: 16
; WaveLimiterHint : 0
; COMPUTE_PGM_RSRC2:SCRATCH_EN: 0
; COMPUTE_PGM_RSRC2:USER_SGPR: 2
; COMPUTE_PGM_RSRC2:TRAP_HANDLER: 0
; COMPUTE_PGM_RSRC2:TGID_X_EN: 1
; COMPUTE_PGM_RSRC2:TGID_Y_EN: 0
; COMPUTE_PGM_RSRC2:TGID_Z_EN: 0
; COMPUTE_PGM_RSRC2:TIDIG_COMP_CNT: 0
	.section	.text._ZN7rocprim17ROCPRIM_400000_NS6detail17trampoline_kernelINS0_14default_configENS1_27scan_by_key_config_selectorIssEEZZNS1_16scan_by_key_implILNS1_25lookback_scan_determinismE0ELb0ES3_N6thrust23THRUST_200600_302600_NS6detail15normal_iteratorINS9_10device_ptrIsEEEESE_SE_sNS9_4plusIvEENS9_8equal_toIsEEsEE10hipError_tPvRmT2_T3_T4_T5_mT6_T7_P12ihipStream_tbENKUlT_T0_E_clISt17integral_constantIbLb0EESZ_EEDaSU_SV_EUlSU_E_NS1_11comp_targetILNS1_3genE8ELNS1_11target_archE1030ELNS1_3gpuE2ELNS1_3repE0EEENS1_30default_config_static_selectorELNS0_4arch9wavefront6targetE0EEEvT1_,"axG",@progbits,_ZN7rocprim17ROCPRIM_400000_NS6detail17trampoline_kernelINS0_14default_configENS1_27scan_by_key_config_selectorIssEEZZNS1_16scan_by_key_implILNS1_25lookback_scan_determinismE0ELb0ES3_N6thrust23THRUST_200600_302600_NS6detail15normal_iteratorINS9_10device_ptrIsEEEESE_SE_sNS9_4plusIvEENS9_8equal_toIsEEsEE10hipError_tPvRmT2_T3_T4_T5_mT6_T7_P12ihipStream_tbENKUlT_T0_E_clISt17integral_constantIbLb0EESZ_EEDaSU_SV_EUlSU_E_NS1_11comp_targetILNS1_3genE8ELNS1_11target_archE1030ELNS1_3gpuE2ELNS1_3repE0EEENS1_30default_config_static_selectorELNS0_4arch9wavefront6targetE0EEEvT1_,comdat
	.protected	_ZN7rocprim17ROCPRIM_400000_NS6detail17trampoline_kernelINS0_14default_configENS1_27scan_by_key_config_selectorIssEEZZNS1_16scan_by_key_implILNS1_25lookback_scan_determinismE0ELb0ES3_N6thrust23THRUST_200600_302600_NS6detail15normal_iteratorINS9_10device_ptrIsEEEESE_SE_sNS9_4plusIvEENS9_8equal_toIsEEsEE10hipError_tPvRmT2_T3_T4_T5_mT6_T7_P12ihipStream_tbENKUlT_T0_E_clISt17integral_constantIbLb0EESZ_EEDaSU_SV_EUlSU_E_NS1_11comp_targetILNS1_3genE8ELNS1_11target_archE1030ELNS1_3gpuE2ELNS1_3repE0EEENS1_30default_config_static_selectorELNS0_4arch9wavefront6targetE0EEEvT1_ ; -- Begin function _ZN7rocprim17ROCPRIM_400000_NS6detail17trampoline_kernelINS0_14default_configENS1_27scan_by_key_config_selectorIssEEZZNS1_16scan_by_key_implILNS1_25lookback_scan_determinismE0ELb0ES3_N6thrust23THRUST_200600_302600_NS6detail15normal_iteratorINS9_10device_ptrIsEEEESE_SE_sNS9_4plusIvEENS9_8equal_toIsEEsEE10hipError_tPvRmT2_T3_T4_T5_mT6_T7_P12ihipStream_tbENKUlT_T0_E_clISt17integral_constantIbLb0EESZ_EEDaSU_SV_EUlSU_E_NS1_11comp_targetILNS1_3genE8ELNS1_11target_archE1030ELNS1_3gpuE2ELNS1_3repE0EEENS1_30default_config_static_selectorELNS0_4arch9wavefront6targetE0EEEvT1_
	.globl	_ZN7rocprim17ROCPRIM_400000_NS6detail17trampoline_kernelINS0_14default_configENS1_27scan_by_key_config_selectorIssEEZZNS1_16scan_by_key_implILNS1_25lookback_scan_determinismE0ELb0ES3_N6thrust23THRUST_200600_302600_NS6detail15normal_iteratorINS9_10device_ptrIsEEEESE_SE_sNS9_4plusIvEENS9_8equal_toIsEEsEE10hipError_tPvRmT2_T3_T4_T5_mT6_T7_P12ihipStream_tbENKUlT_T0_E_clISt17integral_constantIbLb0EESZ_EEDaSU_SV_EUlSU_E_NS1_11comp_targetILNS1_3genE8ELNS1_11target_archE1030ELNS1_3gpuE2ELNS1_3repE0EEENS1_30default_config_static_selectorELNS0_4arch9wavefront6targetE0EEEvT1_
	.p2align	8
	.type	_ZN7rocprim17ROCPRIM_400000_NS6detail17trampoline_kernelINS0_14default_configENS1_27scan_by_key_config_selectorIssEEZZNS1_16scan_by_key_implILNS1_25lookback_scan_determinismE0ELb0ES3_N6thrust23THRUST_200600_302600_NS6detail15normal_iteratorINS9_10device_ptrIsEEEESE_SE_sNS9_4plusIvEENS9_8equal_toIsEEsEE10hipError_tPvRmT2_T3_T4_T5_mT6_T7_P12ihipStream_tbENKUlT_T0_E_clISt17integral_constantIbLb0EESZ_EEDaSU_SV_EUlSU_E_NS1_11comp_targetILNS1_3genE8ELNS1_11target_archE1030ELNS1_3gpuE2ELNS1_3repE0EEENS1_30default_config_static_selectorELNS0_4arch9wavefront6targetE0EEEvT1_,@function
_ZN7rocprim17ROCPRIM_400000_NS6detail17trampoline_kernelINS0_14default_configENS1_27scan_by_key_config_selectorIssEEZZNS1_16scan_by_key_implILNS1_25lookback_scan_determinismE0ELb0ES3_N6thrust23THRUST_200600_302600_NS6detail15normal_iteratorINS9_10device_ptrIsEEEESE_SE_sNS9_4plusIvEENS9_8equal_toIsEEsEE10hipError_tPvRmT2_T3_T4_T5_mT6_T7_P12ihipStream_tbENKUlT_T0_E_clISt17integral_constantIbLb0EESZ_EEDaSU_SV_EUlSU_E_NS1_11comp_targetILNS1_3genE8ELNS1_11target_archE1030ELNS1_3gpuE2ELNS1_3repE0EEENS1_30default_config_static_selectorELNS0_4arch9wavefront6targetE0EEEvT1_: ; @_ZN7rocprim17ROCPRIM_400000_NS6detail17trampoline_kernelINS0_14default_configENS1_27scan_by_key_config_selectorIssEEZZNS1_16scan_by_key_implILNS1_25lookback_scan_determinismE0ELb0ES3_N6thrust23THRUST_200600_302600_NS6detail15normal_iteratorINS9_10device_ptrIsEEEESE_SE_sNS9_4plusIvEENS9_8equal_toIsEEsEE10hipError_tPvRmT2_T3_T4_T5_mT6_T7_P12ihipStream_tbENKUlT_T0_E_clISt17integral_constantIbLb0EESZ_EEDaSU_SV_EUlSU_E_NS1_11comp_targetILNS1_3genE8ELNS1_11target_archE1030ELNS1_3gpuE2ELNS1_3repE0EEENS1_30default_config_static_selectorELNS0_4arch9wavefront6targetE0EEEvT1_
; %bb.0:
	.section	.rodata,"a",@progbits
	.p2align	6, 0x0
	.amdhsa_kernel _ZN7rocprim17ROCPRIM_400000_NS6detail17trampoline_kernelINS0_14default_configENS1_27scan_by_key_config_selectorIssEEZZNS1_16scan_by_key_implILNS1_25lookback_scan_determinismE0ELb0ES3_N6thrust23THRUST_200600_302600_NS6detail15normal_iteratorINS9_10device_ptrIsEEEESE_SE_sNS9_4plusIvEENS9_8equal_toIsEEsEE10hipError_tPvRmT2_T3_T4_T5_mT6_T7_P12ihipStream_tbENKUlT_T0_E_clISt17integral_constantIbLb0EESZ_EEDaSU_SV_EUlSU_E_NS1_11comp_targetILNS1_3genE8ELNS1_11target_archE1030ELNS1_3gpuE2ELNS1_3repE0EEENS1_30default_config_static_selectorELNS0_4arch9wavefront6targetE0EEEvT1_
		.amdhsa_group_segment_fixed_size 0
		.amdhsa_private_segment_fixed_size 0
		.amdhsa_kernarg_size 112
		.amdhsa_user_sgpr_count 2
		.amdhsa_user_sgpr_dispatch_ptr 0
		.amdhsa_user_sgpr_queue_ptr 0
		.amdhsa_user_sgpr_kernarg_segment_ptr 1
		.amdhsa_user_sgpr_dispatch_id 0
		.amdhsa_user_sgpr_kernarg_preload_length 0
		.amdhsa_user_sgpr_kernarg_preload_offset 0
		.amdhsa_user_sgpr_private_segment_size 0
		.amdhsa_wavefront_size32 1
		.amdhsa_uses_dynamic_stack 0
		.amdhsa_enable_private_segment 0
		.amdhsa_system_sgpr_workgroup_id_x 1
		.amdhsa_system_sgpr_workgroup_id_y 0
		.amdhsa_system_sgpr_workgroup_id_z 0
		.amdhsa_system_sgpr_workgroup_info 0
		.amdhsa_system_vgpr_workitem_id 0
		.amdhsa_next_free_vgpr 1
		.amdhsa_next_free_sgpr 1
		.amdhsa_named_barrier_count 0
		.amdhsa_reserve_vcc 0
		.amdhsa_float_round_mode_32 0
		.amdhsa_float_round_mode_16_64 0
		.amdhsa_float_denorm_mode_32 3
		.amdhsa_float_denorm_mode_16_64 3
		.amdhsa_fp16_overflow 0
		.amdhsa_memory_ordered 1
		.amdhsa_forward_progress 1
		.amdhsa_inst_pref_size 0
		.amdhsa_round_robin_scheduling 0
		.amdhsa_exception_fp_ieee_invalid_op 0
		.amdhsa_exception_fp_denorm_src 0
		.amdhsa_exception_fp_ieee_div_zero 0
		.amdhsa_exception_fp_ieee_overflow 0
		.amdhsa_exception_fp_ieee_underflow 0
		.amdhsa_exception_fp_ieee_inexact 0
		.amdhsa_exception_int_div_zero 0
	.end_amdhsa_kernel
	.section	.text._ZN7rocprim17ROCPRIM_400000_NS6detail17trampoline_kernelINS0_14default_configENS1_27scan_by_key_config_selectorIssEEZZNS1_16scan_by_key_implILNS1_25lookback_scan_determinismE0ELb0ES3_N6thrust23THRUST_200600_302600_NS6detail15normal_iteratorINS9_10device_ptrIsEEEESE_SE_sNS9_4plusIvEENS9_8equal_toIsEEsEE10hipError_tPvRmT2_T3_T4_T5_mT6_T7_P12ihipStream_tbENKUlT_T0_E_clISt17integral_constantIbLb0EESZ_EEDaSU_SV_EUlSU_E_NS1_11comp_targetILNS1_3genE8ELNS1_11target_archE1030ELNS1_3gpuE2ELNS1_3repE0EEENS1_30default_config_static_selectorELNS0_4arch9wavefront6targetE0EEEvT1_,"axG",@progbits,_ZN7rocprim17ROCPRIM_400000_NS6detail17trampoline_kernelINS0_14default_configENS1_27scan_by_key_config_selectorIssEEZZNS1_16scan_by_key_implILNS1_25lookback_scan_determinismE0ELb0ES3_N6thrust23THRUST_200600_302600_NS6detail15normal_iteratorINS9_10device_ptrIsEEEESE_SE_sNS9_4plusIvEENS9_8equal_toIsEEsEE10hipError_tPvRmT2_T3_T4_T5_mT6_T7_P12ihipStream_tbENKUlT_T0_E_clISt17integral_constantIbLb0EESZ_EEDaSU_SV_EUlSU_E_NS1_11comp_targetILNS1_3genE8ELNS1_11target_archE1030ELNS1_3gpuE2ELNS1_3repE0EEENS1_30default_config_static_selectorELNS0_4arch9wavefront6targetE0EEEvT1_,comdat
.Lfunc_end325:
	.size	_ZN7rocprim17ROCPRIM_400000_NS6detail17trampoline_kernelINS0_14default_configENS1_27scan_by_key_config_selectorIssEEZZNS1_16scan_by_key_implILNS1_25lookback_scan_determinismE0ELb0ES3_N6thrust23THRUST_200600_302600_NS6detail15normal_iteratorINS9_10device_ptrIsEEEESE_SE_sNS9_4plusIvEENS9_8equal_toIsEEsEE10hipError_tPvRmT2_T3_T4_T5_mT6_T7_P12ihipStream_tbENKUlT_T0_E_clISt17integral_constantIbLb0EESZ_EEDaSU_SV_EUlSU_E_NS1_11comp_targetILNS1_3genE8ELNS1_11target_archE1030ELNS1_3gpuE2ELNS1_3repE0EEENS1_30default_config_static_selectorELNS0_4arch9wavefront6targetE0EEEvT1_, .Lfunc_end325-_ZN7rocprim17ROCPRIM_400000_NS6detail17trampoline_kernelINS0_14default_configENS1_27scan_by_key_config_selectorIssEEZZNS1_16scan_by_key_implILNS1_25lookback_scan_determinismE0ELb0ES3_N6thrust23THRUST_200600_302600_NS6detail15normal_iteratorINS9_10device_ptrIsEEEESE_SE_sNS9_4plusIvEENS9_8equal_toIsEEsEE10hipError_tPvRmT2_T3_T4_T5_mT6_T7_P12ihipStream_tbENKUlT_T0_E_clISt17integral_constantIbLb0EESZ_EEDaSU_SV_EUlSU_E_NS1_11comp_targetILNS1_3genE8ELNS1_11target_archE1030ELNS1_3gpuE2ELNS1_3repE0EEENS1_30default_config_static_selectorELNS0_4arch9wavefront6targetE0EEEvT1_
                                        ; -- End function
	.set _ZN7rocprim17ROCPRIM_400000_NS6detail17trampoline_kernelINS0_14default_configENS1_27scan_by_key_config_selectorIssEEZZNS1_16scan_by_key_implILNS1_25lookback_scan_determinismE0ELb0ES3_N6thrust23THRUST_200600_302600_NS6detail15normal_iteratorINS9_10device_ptrIsEEEESE_SE_sNS9_4plusIvEENS9_8equal_toIsEEsEE10hipError_tPvRmT2_T3_T4_T5_mT6_T7_P12ihipStream_tbENKUlT_T0_E_clISt17integral_constantIbLb0EESZ_EEDaSU_SV_EUlSU_E_NS1_11comp_targetILNS1_3genE8ELNS1_11target_archE1030ELNS1_3gpuE2ELNS1_3repE0EEENS1_30default_config_static_selectorELNS0_4arch9wavefront6targetE0EEEvT1_.num_vgpr, 0
	.set _ZN7rocprim17ROCPRIM_400000_NS6detail17trampoline_kernelINS0_14default_configENS1_27scan_by_key_config_selectorIssEEZZNS1_16scan_by_key_implILNS1_25lookback_scan_determinismE0ELb0ES3_N6thrust23THRUST_200600_302600_NS6detail15normal_iteratorINS9_10device_ptrIsEEEESE_SE_sNS9_4plusIvEENS9_8equal_toIsEEsEE10hipError_tPvRmT2_T3_T4_T5_mT6_T7_P12ihipStream_tbENKUlT_T0_E_clISt17integral_constantIbLb0EESZ_EEDaSU_SV_EUlSU_E_NS1_11comp_targetILNS1_3genE8ELNS1_11target_archE1030ELNS1_3gpuE2ELNS1_3repE0EEENS1_30default_config_static_selectorELNS0_4arch9wavefront6targetE0EEEvT1_.num_agpr, 0
	.set _ZN7rocprim17ROCPRIM_400000_NS6detail17trampoline_kernelINS0_14default_configENS1_27scan_by_key_config_selectorIssEEZZNS1_16scan_by_key_implILNS1_25lookback_scan_determinismE0ELb0ES3_N6thrust23THRUST_200600_302600_NS6detail15normal_iteratorINS9_10device_ptrIsEEEESE_SE_sNS9_4plusIvEENS9_8equal_toIsEEsEE10hipError_tPvRmT2_T3_T4_T5_mT6_T7_P12ihipStream_tbENKUlT_T0_E_clISt17integral_constantIbLb0EESZ_EEDaSU_SV_EUlSU_E_NS1_11comp_targetILNS1_3genE8ELNS1_11target_archE1030ELNS1_3gpuE2ELNS1_3repE0EEENS1_30default_config_static_selectorELNS0_4arch9wavefront6targetE0EEEvT1_.numbered_sgpr, 0
	.set _ZN7rocprim17ROCPRIM_400000_NS6detail17trampoline_kernelINS0_14default_configENS1_27scan_by_key_config_selectorIssEEZZNS1_16scan_by_key_implILNS1_25lookback_scan_determinismE0ELb0ES3_N6thrust23THRUST_200600_302600_NS6detail15normal_iteratorINS9_10device_ptrIsEEEESE_SE_sNS9_4plusIvEENS9_8equal_toIsEEsEE10hipError_tPvRmT2_T3_T4_T5_mT6_T7_P12ihipStream_tbENKUlT_T0_E_clISt17integral_constantIbLb0EESZ_EEDaSU_SV_EUlSU_E_NS1_11comp_targetILNS1_3genE8ELNS1_11target_archE1030ELNS1_3gpuE2ELNS1_3repE0EEENS1_30default_config_static_selectorELNS0_4arch9wavefront6targetE0EEEvT1_.num_named_barrier, 0
	.set _ZN7rocprim17ROCPRIM_400000_NS6detail17trampoline_kernelINS0_14default_configENS1_27scan_by_key_config_selectorIssEEZZNS1_16scan_by_key_implILNS1_25lookback_scan_determinismE0ELb0ES3_N6thrust23THRUST_200600_302600_NS6detail15normal_iteratorINS9_10device_ptrIsEEEESE_SE_sNS9_4plusIvEENS9_8equal_toIsEEsEE10hipError_tPvRmT2_T3_T4_T5_mT6_T7_P12ihipStream_tbENKUlT_T0_E_clISt17integral_constantIbLb0EESZ_EEDaSU_SV_EUlSU_E_NS1_11comp_targetILNS1_3genE8ELNS1_11target_archE1030ELNS1_3gpuE2ELNS1_3repE0EEENS1_30default_config_static_selectorELNS0_4arch9wavefront6targetE0EEEvT1_.private_seg_size, 0
	.set _ZN7rocprim17ROCPRIM_400000_NS6detail17trampoline_kernelINS0_14default_configENS1_27scan_by_key_config_selectorIssEEZZNS1_16scan_by_key_implILNS1_25lookback_scan_determinismE0ELb0ES3_N6thrust23THRUST_200600_302600_NS6detail15normal_iteratorINS9_10device_ptrIsEEEESE_SE_sNS9_4plusIvEENS9_8equal_toIsEEsEE10hipError_tPvRmT2_T3_T4_T5_mT6_T7_P12ihipStream_tbENKUlT_T0_E_clISt17integral_constantIbLb0EESZ_EEDaSU_SV_EUlSU_E_NS1_11comp_targetILNS1_3genE8ELNS1_11target_archE1030ELNS1_3gpuE2ELNS1_3repE0EEENS1_30default_config_static_selectorELNS0_4arch9wavefront6targetE0EEEvT1_.uses_vcc, 0
	.set _ZN7rocprim17ROCPRIM_400000_NS6detail17trampoline_kernelINS0_14default_configENS1_27scan_by_key_config_selectorIssEEZZNS1_16scan_by_key_implILNS1_25lookback_scan_determinismE0ELb0ES3_N6thrust23THRUST_200600_302600_NS6detail15normal_iteratorINS9_10device_ptrIsEEEESE_SE_sNS9_4plusIvEENS9_8equal_toIsEEsEE10hipError_tPvRmT2_T3_T4_T5_mT6_T7_P12ihipStream_tbENKUlT_T0_E_clISt17integral_constantIbLb0EESZ_EEDaSU_SV_EUlSU_E_NS1_11comp_targetILNS1_3genE8ELNS1_11target_archE1030ELNS1_3gpuE2ELNS1_3repE0EEENS1_30default_config_static_selectorELNS0_4arch9wavefront6targetE0EEEvT1_.uses_flat_scratch, 0
	.set _ZN7rocprim17ROCPRIM_400000_NS6detail17trampoline_kernelINS0_14default_configENS1_27scan_by_key_config_selectorIssEEZZNS1_16scan_by_key_implILNS1_25lookback_scan_determinismE0ELb0ES3_N6thrust23THRUST_200600_302600_NS6detail15normal_iteratorINS9_10device_ptrIsEEEESE_SE_sNS9_4plusIvEENS9_8equal_toIsEEsEE10hipError_tPvRmT2_T3_T4_T5_mT6_T7_P12ihipStream_tbENKUlT_T0_E_clISt17integral_constantIbLb0EESZ_EEDaSU_SV_EUlSU_E_NS1_11comp_targetILNS1_3genE8ELNS1_11target_archE1030ELNS1_3gpuE2ELNS1_3repE0EEENS1_30default_config_static_selectorELNS0_4arch9wavefront6targetE0EEEvT1_.has_dyn_sized_stack, 0
	.set _ZN7rocprim17ROCPRIM_400000_NS6detail17trampoline_kernelINS0_14default_configENS1_27scan_by_key_config_selectorIssEEZZNS1_16scan_by_key_implILNS1_25lookback_scan_determinismE0ELb0ES3_N6thrust23THRUST_200600_302600_NS6detail15normal_iteratorINS9_10device_ptrIsEEEESE_SE_sNS9_4plusIvEENS9_8equal_toIsEEsEE10hipError_tPvRmT2_T3_T4_T5_mT6_T7_P12ihipStream_tbENKUlT_T0_E_clISt17integral_constantIbLb0EESZ_EEDaSU_SV_EUlSU_E_NS1_11comp_targetILNS1_3genE8ELNS1_11target_archE1030ELNS1_3gpuE2ELNS1_3repE0EEENS1_30default_config_static_selectorELNS0_4arch9wavefront6targetE0EEEvT1_.has_recursion, 0
	.set _ZN7rocprim17ROCPRIM_400000_NS6detail17trampoline_kernelINS0_14default_configENS1_27scan_by_key_config_selectorIssEEZZNS1_16scan_by_key_implILNS1_25lookback_scan_determinismE0ELb0ES3_N6thrust23THRUST_200600_302600_NS6detail15normal_iteratorINS9_10device_ptrIsEEEESE_SE_sNS9_4plusIvEENS9_8equal_toIsEEsEE10hipError_tPvRmT2_T3_T4_T5_mT6_T7_P12ihipStream_tbENKUlT_T0_E_clISt17integral_constantIbLb0EESZ_EEDaSU_SV_EUlSU_E_NS1_11comp_targetILNS1_3genE8ELNS1_11target_archE1030ELNS1_3gpuE2ELNS1_3repE0EEENS1_30default_config_static_selectorELNS0_4arch9wavefront6targetE0EEEvT1_.has_indirect_call, 0
	.section	.AMDGPU.csdata,"",@progbits
; Kernel info:
; codeLenInByte = 0
; TotalNumSgprs: 0
; NumVgprs: 0
; ScratchSize: 0
; MemoryBound: 0
; FloatMode: 240
; IeeeMode: 1
; LDSByteSize: 0 bytes/workgroup (compile time only)
; SGPRBlocks: 0
; VGPRBlocks: 0
; NumSGPRsForWavesPerEU: 1
; NumVGPRsForWavesPerEU: 1
; NamedBarCnt: 0
; Occupancy: 16
; WaveLimiterHint : 0
; COMPUTE_PGM_RSRC2:SCRATCH_EN: 0
; COMPUTE_PGM_RSRC2:USER_SGPR: 2
; COMPUTE_PGM_RSRC2:TRAP_HANDLER: 0
; COMPUTE_PGM_RSRC2:TGID_X_EN: 1
; COMPUTE_PGM_RSRC2:TGID_Y_EN: 0
; COMPUTE_PGM_RSRC2:TGID_Z_EN: 0
; COMPUTE_PGM_RSRC2:TIDIG_COMP_CNT: 0
	.section	.text._ZN7rocprim17ROCPRIM_400000_NS6detail17trampoline_kernelINS0_14default_configENS1_27scan_by_key_config_selectorIssEEZZNS1_16scan_by_key_implILNS1_25lookback_scan_determinismE0ELb0ES3_N6thrust23THRUST_200600_302600_NS6detail15normal_iteratorINS9_10device_ptrIsEEEESE_SE_sNS9_4plusIvEENS9_8equal_toIsEEsEE10hipError_tPvRmT2_T3_T4_T5_mT6_T7_P12ihipStream_tbENKUlT_T0_E_clISt17integral_constantIbLb1EESZ_EEDaSU_SV_EUlSU_E_NS1_11comp_targetILNS1_3genE0ELNS1_11target_archE4294967295ELNS1_3gpuE0ELNS1_3repE0EEENS1_30default_config_static_selectorELNS0_4arch9wavefront6targetE0EEEvT1_,"axG",@progbits,_ZN7rocprim17ROCPRIM_400000_NS6detail17trampoline_kernelINS0_14default_configENS1_27scan_by_key_config_selectorIssEEZZNS1_16scan_by_key_implILNS1_25lookback_scan_determinismE0ELb0ES3_N6thrust23THRUST_200600_302600_NS6detail15normal_iteratorINS9_10device_ptrIsEEEESE_SE_sNS9_4plusIvEENS9_8equal_toIsEEsEE10hipError_tPvRmT2_T3_T4_T5_mT6_T7_P12ihipStream_tbENKUlT_T0_E_clISt17integral_constantIbLb1EESZ_EEDaSU_SV_EUlSU_E_NS1_11comp_targetILNS1_3genE0ELNS1_11target_archE4294967295ELNS1_3gpuE0ELNS1_3repE0EEENS1_30default_config_static_selectorELNS0_4arch9wavefront6targetE0EEEvT1_,comdat
	.protected	_ZN7rocprim17ROCPRIM_400000_NS6detail17trampoline_kernelINS0_14default_configENS1_27scan_by_key_config_selectorIssEEZZNS1_16scan_by_key_implILNS1_25lookback_scan_determinismE0ELb0ES3_N6thrust23THRUST_200600_302600_NS6detail15normal_iteratorINS9_10device_ptrIsEEEESE_SE_sNS9_4plusIvEENS9_8equal_toIsEEsEE10hipError_tPvRmT2_T3_T4_T5_mT6_T7_P12ihipStream_tbENKUlT_T0_E_clISt17integral_constantIbLb1EESZ_EEDaSU_SV_EUlSU_E_NS1_11comp_targetILNS1_3genE0ELNS1_11target_archE4294967295ELNS1_3gpuE0ELNS1_3repE0EEENS1_30default_config_static_selectorELNS0_4arch9wavefront6targetE0EEEvT1_ ; -- Begin function _ZN7rocprim17ROCPRIM_400000_NS6detail17trampoline_kernelINS0_14default_configENS1_27scan_by_key_config_selectorIssEEZZNS1_16scan_by_key_implILNS1_25lookback_scan_determinismE0ELb0ES3_N6thrust23THRUST_200600_302600_NS6detail15normal_iteratorINS9_10device_ptrIsEEEESE_SE_sNS9_4plusIvEENS9_8equal_toIsEEsEE10hipError_tPvRmT2_T3_T4_T5_mT6_T7_P12ihipStream_tbENKUlT_T0_E_clISt17integral_constantIbLb1EESZ_EEDaSU_SV_EUlSU_E_NS1_11comp_targetILNS1_3genE0ELNS1_11target_archE4294967295ELNS1_3gpuE0ELNS1_3repE0EEENS1_30default_config_static_selectorELNS0_4arch9wavefront6targetE0EEEvT1_
	.globl	_ZN7rocprim17ROCPRIM_400000_NS6detail17trampoline_kernelINS0_14default_configENS1_27scan_by_key_config_selectorIssEEZZNS1_16scan_by_key_implILNS1_25lookback_scan_determinismE0ELb0ES3_N6thrust23THRUST_200600_302600_NS6detail15normal_iteratorINS9_10device_ptrIsEEEESE_SE_sNS9_4plusIvEENS9_8equal_toIsEEsEE10hipError_tPvRmT2_T3_T4_T5_mT6_T7_P12ihipStream_tbENKUlT_T0_E_clISt17integral_constantIbLb1EESZ_EEDaSU_SV_EUlSU_E_NS1_11comp_targetILNS1_3genE0ELNS1_11target_archE4294967295ELNS1_3gpuE0ELNS1_3repE0EEENS1_30default_config_static_selectorELNS0_4arch9wavefront6targetE0EEEvT1_
	.p2align	8
	.type	_ZN7rocprim17ROCPRIM_400000_NS6detail17trampoline_kernelINS0_14default_configENS1_27scan_by_key_config_selectorIssEEZZNS1_16scan_by_key_implILNS1_25lookback_scan_determinismE0ELb0ES3_N6thrust23THRUST_200600_302600_NS6detail15normal_iteratorINS9_10device_ptrIsEEEESE_SE_sNS9_4plusIvEENS9_8equal_toIsEEsEE10hipError_tPvRmT2_T3_T4_T5_mT6_T7_P12ihipStream_tbENKUlT_T0_E_clISt17integral_constantIbLb1EESZ_EEDaSU_SV_EUlSU_E_NS1_11comp_targetILNS1_3genE0ELNS1_11target_archE4294967295ELNS1_3gpuE0ELNS1_3repE0EEENS1_30default_config_static_selectorELNS0_4arch9wavefront6targetE0EEEvT1_,@function
_ZN7rocprim17ROCPRIM_400000_NS6detail17trampoline_kernelINS0_14default_configENS1_27scan_by_key_config_selectorIssEEZZNS1_16scan_by_key_implILNS1_25lookback_scan_determinismE0ELb0ES3_N6thrust23THRUST_200600_302600_NS6detail15normal_iteratorINS9_10device_ptrIsEEEESE_SE_sNS9_4plusIvEENS9_8equal_toIsEEsEE10hipError_tPvRmT2_T3_T4_T5_mT6_T7_P12ihipStream_tbENKUlT_T0_E_clISt17integral_constantIbLb1EESZ_EEDaSU_SV_EUlSU_E_NS1_11comp_targetILNS1_3genE0ELNS1_11target_archE4294967295ELNS1_3gpuE0ELNS1_3repE0EEENS1_30default_config_static_selectorELNS0_4arch9wavefront6targetE0EEEvT1_: ; @_ZN7rocprim17ROCPRIM_400000_NS6detail17trampoline_kernelINS0_14default_configENS1_27scan_by_key_config_selectorIssEEZZNS1_16scan_by_key_implILNS1_25lookback_scan_determinismE0ELb0ES3_N6thrust23THRUST_200600_302600_NS6detail15normal_iteratorINS9_10device_ptrIsEEEESE_SE_sNS9_4plusIvEENS9_8equal_toIsEEsEE10hipError_tPvRmT2_T3_T4_T5_mT6_T7_P12ihipStream_tbENKUlT_T0_E_clISt17integral_constantIbLb1EESZ_EEDaSU_SV_EUlSU_E_NS1_11comp_targetILNS1_3genE0ELNS1_11target_archE4294967295ELNS1_3gpuE0ELNS1_3repE0EEENS1_30default_config_static_selectorELNS0_4arch9wavefront6targetE0EEEvT1_
; %bb.0:
	s_endpgm
	.section	.rodata,"a",@progbits
	.p2align	6, 0x0
	.amdhsa_kernel _ZN7rocprim17ROCPRIM_400000_NS6detail17trampoline_kernelINS0_14default_configENS1_27scan_by_key_config_selectorIssEEZZNS1_16scan_by_key_implILNS1_25lookback_scan_determinismE0ELb0ES3_N6thrust23THRUST_200600_302600_NS6detail15normal_iteratorINS9_10device_ptrIsEEEESE_SE_sNS9_4plusIvEENS9_8equal_toIsEEsEE10hipError_tPvRmT2_T3_T4_T5_mT6_T7_P12ihipStream_tbENKUlT_T0_E_clISt17integral_constantIbLb1EESZ_EEDaSU_SV_EUlSU_E_NS1_11comp_targetILNS1_3genE0ELNS1_11target_archE4294967295ELNS1_3gpuE0ELNS1_3repE0EEENS1_30default_config_static_selectorELNS0_4arch9wavefront6targetE0EEEvT1_
		.amdhsa_group_segment_fixed_size 0
		.amdhsa_private_segment_fixed_size 0
		.amdhsa_kernarg_size 112
		.amdhsa_user_sgpr_count 2
		.amdhsa_user_sgpr_dispatch_ptr 0
		.amdhsa_user_sgpr_queue_ptr 0
		.amdhsa_user_sgpr_kernarg_segment_ptr 1
		.amdhsa_user_sgpr_dispatch_id 0
		.amdhsa_user_sgpr_kernarg_preload_length 0
		.amdhsa_user_sgpr_kernarg_preload_offset 0
		.amdhsa_user_sgpr_private_segment_size 0
		.amdhsa_wavefront_size32 1
		.amdhsa_uses_dynamic_stack 0
		.amdhsa_enable_private_segment 0
		.amdhsa_system_sgpr_workgroup_id_x 1
		.amdhsa_system_sgpr_workgroup_id_y 0
		.amdhsa_system_sgpr_workgroup_id_z 0
		.amdhsa_system_sgpr_workgroup_info 0
		.amdhsa_system_vgpr_workitem_id 0
		.amdhsa_next_free_vgpr 1
		.amdhsa_next_free_sgpr 1
		.amdhsa_named_barrier_count 0
		.amdhsa_reserve_vcc 0
		.amdhsa_float_round_mode_32 0
		.amdhsa_float_round_mode_16_64 0
		.amdhsa_float_denorm_mode_32 3
		.amdhsa_float_denorm_mode_16_64 3
		.amdhsa_fp16_overflow 0
		.amdhsa_memory_ordered 1
		.amdhsa_forward_progress 1
		.amdhsa_inst_pref_size 1
		.amdhsa_round_robin_scheduling 0
		.amdhsa_exception_fp_ieee_invalid_op 0
		.amdhsa_exception_fp_denorm_src 0
		.amdhsa_exception_fp_ieee_div_zero 0
		.amdhsa_exception_fp_ieee_overflow 0
		.amdhsa_exception_fp_ieee_underflow 0
		.amdhsa_exception_fp_ieee_inexact 0
		.amdhsa_exception_int_div_zero 0
	.end_amdhsa_kernel
	.section	.text._ZN7rocprim17ROCPRIM_400000_NS6detail17trampoline_kernelINS0_14default_configENS1_27scan_by_key_config_selectorIssEEZZNS1_16scan_by_key_implILNS1_25lookback_scan_determinismE0ELb0ES3_N6thrust23THRUST_200600_302600_NS6detail15normal_iteratorINS9_10device_ptrIsEEEESE_SE_sNS9_4plusIvEENS9_8equal_toIsEEsEE10hipError_tPvRmT2_T3_T4_T5_mT6_T7_P12ihipStream_tbENKUlT_T0_E_clISt17integral_constantIbLb1EESZ_EEDaSU_SV_EUlSU_E_NS1_11comp_targetILNS1_3genE0ELNS1_11target_archE4294967295ELNS1_3gpuE0ELNS1_3repE0EEENS1_30default_config_static_selectorELNS0_4arch9wavefront6targetE0EEEvT1_,"axG",@progbits,_ZN7rocprim17ROCPRIM_400000_NS6detail17trampoline_kernelINS0_14default_configENS1_27scan_by_key_config_selectorIssEEZZNS1_16scan_by_key_implILNS1_25lookback_scan_determinismE0ELb0ES3_N6thrust23THRUST_200600_302600_NS6detail15normal_iteratorINS9_10device_ptrIsEEEESE_SE_sNS9_4plusIvEENS9_8equal_toIsEEsEE10hipError_tPvRmT2_T3_T4_T5_mT6_T7_P12ihipStream_tbENKUlT_T0_E_clISt17integral_constantIbLb1EESZ_EEDaSU_SV_EUlSU_E_NS1_11comp_targetILNS1_3genE0ELNS1_11target_archE4294967295ELNS1_3gpuE0ELNS1_3repE0EEENS1_30default_config_static_selectorELNS0_4arch9wavefront6targetE0EEEvT1_,comdat
.Lfunc_end326:
	.size	_ZN7rocprim17ROCPRIM_400000_NS6detail17trampoline_kernelINS0_14default_configENS1_27scan_by_key_config_selectorIssEEZZNS1_16scan_by_key_implILNS1_25lookback_scan_determinismE0ELb0ES3_N6thrust23THRUST_200600_302600_NS6detail15normal_iteratorINS9_10device_ptrIsEEEESE_SE_sNS9_4plusIvEENS9_8equal_toIsEEsEE10hipError_tPvRmT2_T3_T4_T5_mT6_T7_P12ihipStream_tbENKUlT_T0_E_clISt17integral_constantIbLb1EESZ_EEDaSU_SV_EUlSU_E_NS1_11comp_targetILNS1_3genE0ELNS1_11target_archE4294967295ELNS1_3gpuE0ELNS1_3repE0EEENS1_30default_config_static_selectorELNS0_4arch9wavefront6targetE0EEEvT1_, .Lfunc_end326-_ZN7rocprim17ROCPRIM_400000_NS6detail17trampoline_kernelINS0_14default_configENS1_27scan_by_key_config_selectorIssEEZZNS1_16scan_by_key_implILNS1_25lookback_scan_determinismE0ELb0ES3_N6thrust23THRUST_200600_302600_NS6detail15normal_iteratorINS9_10device_ptrIsEEEESE_SE_sNS9_4plusIvEENS9_8equal_toIsEEsEE10hipError_tPvRmT2_T3_T4_T5_mT6_T7_P12ihipStream_tbENKUlT_T0_E_clISt17integral_constantIbLb1EESZ_EEDaSU_SV_EUlSU_E_NS1_11comp_targetILNS1_3genE0ELNS1_11target_archE4294967295ELNS1_3gpuE0ELNS1_3repE0EEENS1_30default_config_static_selectorELNS0_4arch9wavefront6targetE0EEEvT1_
                                        ; -- End function
	.set _ZN7rocprim17ROCPRIM_400000_NS6detail17trampoline_kernelINS0_14default_configENS1_27scan_by_key_config_selectorIssEEZZNS1_16scan_by_key_implILNS1_25lookback_scan_determinismE0ELb0ES3_N6thrust23THRUST_200600_302600_NS6detail15normal_iteratorINS9_10device_ptrIsEEEESE_SE_sNS9_4plusIvEENS9_8equal_toIsEEsEE10hipError_tPvRmT2_T3_T4_T5_mT6_T7_P12ihipStream_tbENKUlT_T0_E_clISt17integral_constantIbLb1EESZ_EEDaSU_SV_EUlSU_E_NS1_11comp_targetILNS1_3genE0ELNS1_11target_archE4294967295ELNS1_3gpuE0ELNS1_3repE0EEENS1_30default_config_static_selectorELNS0_4arch9wavefront6targetE0EEEvT1_.num_vgpr, 0
	.set _ZN7rocprim17ROCPRIM_400000_NS6detail17trampoline_kernelINS0_14default_configENS1_27scan_by_key_config_selectorIssEEZZNS1_16scan_by_key_implILNS1_25lookback_scan_determinismE0ELb0ES3_N6thrust23THRUST_200600_302600_NS6detail15normal_iteratorINS9_10device_ptrIsEEEESE_SE_sNS9_4plusIvEENS9_8equal_toIsEEsEE10hipError_tPvRmT2_T3_T4_T5_mT6_T7_P12ihipStream_tbENKUlT_T0_E_clISt17integral_constantIbLb1EESZ_EEDaSU_SV_EUlSU_E_NS1_11comp_targetILNS1_3genE0ELNS1_11target_archE4294967295ELNS1_3gpuE0ELNS1_3repE0EEENS1_30default_config_static_selectorELNS0_4arch9wavefront6targetE0EEEvT1_.num_agpr, 0
	.set _ZN7rocprim17ROCPRIM_400000_NS6detail17trampoline_kernelINS0_14default_configENS1_27scan_by_key_config_selectorIssEEZZNS1_16scan_by_key_implILNS1_25lookback_scan_determinismE0ELb0ES3_N6thrust23THRUST_200600_302600_NS6detail15normal_iteratorINS9_10device_ptrIsEEEESE_SE_sNS9_4plusIvEENS9_8equal_toIsEEsEE10hipError_tPvRmT2_T3_T4_T5_mT6_T7_P12ihipStream_tbENKUlT_T0_E_clISt17integral_constantIbLb1EESZ_EEDaSU_SV_EUlSU_E_NS1_11comp_targetILNS1_3genE0ELNS1_11target_archE4294967295ELNS1_3gpuE0ELNS1_3repE0EEENS1_30default_config_static_selectorELNS0_4arch9wavefront6targetE0EEEvT1_.numbered_sgpr, 0
	.set _ZN7rocprim17ROCPRIM_400000_NS6detail17trampoline_kernelINS0_14default_configENS1_27scan_by_key_config_selectorIssEEZZNS1_16scan_by_key_implILNS1_25lookback_scan_determinismE0ELb0ES3_N6thrust23THRUST_200600_302600_NS6detail15normal_iteratorINS9_10device_ptrIsEEEESE_SE_sNS9_4plusIvEENS9_8equal_toIsEEsEE10hipError_tPvRmT2_T3_T4_T5_mT6_T7_P12ihipStream_tbENKUlT_T0_E_clISt17integral_constantIbLb1EESZ_EEDaSU_SV_EUlSU_E_NS1_11comp_targetILNS1_3genE0ELNS1_11target_archE4294967295ELNS1_3gpuE0ELNS1_3repE0EEENS1_30default_config_static_selectorELNS0_4arch9wavefront6targetE0EEEvT1_.num_named_barrier, 0
	.set _ZN7rocprim17ROCPRIM_400000_NS6detail17trampoline_kernelINS0_14default_configENS1_27scan_by_key_config_selectorIssEEZZNS1_16scan_by_key_implILNS1_25lookback_scan_determinismE0ELb0ES3_N6thrust23THRUST_200600_302600_NS6detail15normal_iteratorINS9_10device_ptrIsEEEESE_SE_sNS9_4plusIvEENS9_8equal_toIsEEsEE10hipError_tPvRmT2_T3_T4_T5_mT6_T7_P12ihipStream_tbENKUlT_T0_E_clISt17integral_constantIbLb1EESZ_EEDaSU_SV_EUlSU_E_NS1_11comp_targetILNS1_3genE0ELNS1_11target_archE4294967295ELNS1_3gpuE0ELNS1_3repE0EEENS1_30default_config_static_selectorELNS0_4arch9wavefront6targetE0EEEvT1_.private_seg_size, 0
	.set _ZN7rocprim17ROCPRIM_400000_NS6detail17trampoline_kernelINS0_14default_configENS1_27scan_by_key_config_selectorIssEEZZNS1_16scan_by_key_implILNS1_25lookback_scan_determinismE0ELb0ES3_N6thrust23THRUST_200600_302600_NS6detail15normal_iteratorINS9_10device_ptrIsEEEESE_SE_sNS9_4plusIvEENS9_8equal_toIsEEsEE10hipError_tPvRmT2_T3_T4_T5_mT6_T7_P12ihipStream_tbENKUlT_T0_E_clISt17integral_constantIbLb1EESZ_EEDaSU_SV_EUlSU_E_NS1_11comp_targetILNS1_3genE0ELNS1_11target_archE4294967295ELNS1_3gpuE0ELNS1_3repE0EEENS1_30default_config_static_selectorELNS0_4arch9wavefront6targetE0EEEvT1_.uses_vcc, 0
	.set _ZN7rocprim17ROCPRIM_400000_NS6detail17trampoline_kernelINS0_14default_configENS1_27scan_by_key_config_selectorIssEEZZNS1_16scan_by_key_implILNS1_25lookback_scan_determinismE0ELb0ES3_N6thrust23THRUST_200600_302600_NS6detail15normal_iteratorINS9_10device_ptrIsEEEESE_SE_sNS9_4plusIvEENS9_8equal_toIsEEsEE10hipError_tPvRmT2_T3_T4_T5_mT6_T7_P12ihipStream_tbENKUlT_T0_E_clISt17integral_constantIbLb1EESZ_EEDaSU_SV_EUlSU_E_NS1_11comp_targetILNS1_3genE0ELNS1_11target_archE4294967295ELNS1_3gpuE0ELNS1_3repE0EEENS1_30default_config_static_selectorELNS0_4arch9wavefront6targetE0EEEvT1_.uses_flat_scratch, 0
	.set _ZN7rocprim17ROCPRIM_400000_NS6detail17trampoline_kernelINS0_14default_configENS1_27scan_by_key_config_selectorIssEEZZNS1_16scan_by_key_implILNS1_25lookback_scan_determinismE0ELb0ES3_N6thrust23THRUST_200600_302600_NS6detail15normal_iteratorINS9_10device_ptrIsEEEESE_SE_sNS9_4plusIvEENS9_8equal_toIsEEsEE10hipError_tPvRmT2_T3_T4_T5_mT6_T7_P12ihipStream_tbENKUlT_T0_E_clISt17integral_constantIbLb1EESZ_EEDaSU_SV_EUlSU_E_NS1_11comp_targetILNS1_3genE0ELNS1_11target_archE4294967295ELNS1_3gpuE0ELNS1_3repE0EEENS1_30default_config_static_selectorELNS0_4arch9wavefront6targetE0EEEvT1_.has_dyn_sized_stack, 0
	.set _ZN7rocprim17ROCPRIM_400000_NS6detail17trampoline_kernelINS0_14default_configENS1_27scan_by_key_config_selectorIssEEZZNS1_16scan_by_key_implILNS1_25lookback_scan_determinismE0ELb0ES3_N6thrust23THRUST_200600_302600_NS6detail15normal_iteratorINS9_10device_ptrIsEEEESE_SE_sNS9_4plusIvEENS9_8equal_toIsEEsEE10hipError_tPvRmT2_T3_T4_T5_mT6_T7_P12ihipStream_tbENKUlT_T0_E_clISt17integral_constantIbLb1EESZ_EEDaSU_SV_EUlSU_E_NS1_11comp_targetILNS1_3genE0ELNS1_11target_archE4294967295ELNS1_3gpuE0ELNS1_3repE0EEENS1_30default_config_static_selectorELNS0_4arch9wavefront6targetE0EEEvT1_.has_recursion, 0
	.set _ZN7rocprim17ROCPRIM_400000_NS6detail17trampoline_kernelINS0_14default_configENS1_27scan_by_key_config_selectorIssEEZZNS1_16scan_by_key_implILNS1_25lookback_scan_determinismE0ELb0ES3_N6thrust23THRUST_200600_302600_NS6detail15normal_iteratorINS9_10device_ptrIsEEEESE_SE_sNS9_4plusIvEENS9_8equal_toIsEEsEE10hipError_tPvRmT2_T3_T4_T5_mT6_T7_P12ihipStream_tbENKUlT_T0_E_clISt17integral_constantIbLb1EESZ_EEDaSU_SV_EUlSU_E_NS1_11comp_targetILNS1_3genE0ELNS1_11target_archE4294967295ELNS1_3gpuE0ELNS1_3repE0EEENS1_30default_config_static_selectorELNS0_4arch9wavefront6targetE0EEEvT1_.has_indirect_call, 0
	.section	.AMDGPU.csdata,"",@progbits
; Kernel info:
; codeLenInByte = 4
; TotalNumSgprs: 0
; NumVgprs: 0
; ScratchSize: 0
; MemoryBound: 0
; FloatMode: 240
; IeeeMode: 1
; LDSByteSize: 0 bytes/workgroup (compile time only)
; SGPRBlocks: 0
; VGPRBlocks: 0
; NumSGPRsForWavesPerEU: 1
; NumVGPRsForWavesPerEU: 1
; NamedBarCnt: 0
; Occupancy: 16
; WaveLimiterHint : 0
; COMPUTE_PGM_RSRC2:SCRATCH_EN: 0
; COMPUTE_PGM_RSRC2:USER_SGPR: 2
; COMPUTE_PGM_RSRC2:TRAP_HANDLER: 0
; COMPUTE_PGM_RSRC2:TGID_X_EN: 1
; COMPUTE_PGM_RSRC2:TGID_Y_EN: 0
; COMPUTE_PGM_RSRC2:TGID_Z_EN: 0
; COMPUTE_PGM_RSRC2:TIDIG_COMP_CNT: 0
	.section	.text._ZN7rocprim17ROCPRIM_400000_NS6detail17trampoline_kernelINS0_14default_configENS1_27scan_by_key_config_selectorIssEEZZNS1_16scan_by_key_implILNS1_25lookback_scan_determinismE0ELb0ES3_N6thrust23THRUST_200600_302600_NS6detail15normal_iteratorINS9_10device_ptrIsEEEESE_SE_sNS9_4plusIvEENS9_8equal_toIsEEsEE10hipError_tPvRmT2_T3_T4_T5_mT6_T7_P12ihipStream_tbENKUlT_T0_E_clISt17integral_constantIbLb1EESZ_EEDaSU_SV_EUlSU_E_NS1_11comp_targetILNS1_3genE10ELNS1_11target_archE1201ELNS1_3gpuE5ELNS1_3repE0EEENS1_30default_config_static_selectorELNS0_4arch9wavefront6targetE0EEEvT1_,"axG",@progbits,_ZN7rocprim17ROCPRIM_400000_NS6detail17trampoline_kernelINS0_14default_configENS1_27scan_by_key_config_selectorIssEEZZNS1_16scan_by_key_implILNS1_25lookback_scan_determinismE0ELb0ES3_N6thrust23THRUST_200600_302600_NS6detail15normal_iteratorINS9_10device_ptrIsEEEESE_SE_sNS9_4plusIvEENS9_8equal_toIsEEsEE10hipError_tPvRmT2_T3_T4_T5_mT6_T7_P12ihipStream_tbENKUlT_T0_E_clISt17integral_constantIbLb1EESZ_EEDaSU_SV_EUlSU_E_NS1_11comp_targetILNS1_3genE10ELNS1_11target_archE1201ELNS1_3gpuE5ELNS1_3repE0EEENS1_30default_config_static_selectorELNS0_4arch9wavefront6targetE0EEEvT1_,comdat
	.protected	_ZN7rocprim17ROCPRIM_400000_NS6detail17trampoline_kernelINS0_14default_configENS1_27scan_by_key_config_selectorIssEEZZNS1_16scan_by_key_implILNS1_25lookback_scan_determinismE0ELb0ES3_N6thrust23THRUST_200600_302600_NS6detail15normal_iteratorINS9_10device_ptrIsEEEESE_SE_sNS9_4plusIvEENS9_8equal_toIsEEsEE10hipError_tPvRmT2_T3_T4_T5_mT6_T7_P12ihipStream_tbENKUlT_T0_E_clISt17integral_constantIbLb1EESZ_EEDaSU_SV_EUlSU_E_NS1_11comp_targetILNS1_3genE10ELNS1_11target_archE1201ELNS1_3gpuE5ELNS1_3repE0EEENS1_30default_config_static_selectorELNS0_4arch9wavefront6targetE0EEEvT1_ ; -- Begin function _ZN7rocprim17ROCPRIM_400000_NS6detail17trampoline_kernelINS0_14default_configENS1_27scan_by_key_config_selectorIssEEZZNS1_16scan_by_key_implILNS1_25lookback_scan_determinismE0ELb0ES3_N6thrust23THRUST_200600_302600_NS6detail15normal_iteratorINS9_10device_ptrIsEEEESE_SE_sNS9_4plusIvEENS9_8equal_toIsEEsEE10hipError_tPvRmT2_T3_T4_T5_mT6_T7_P12ihipStream_tbENKUlT_T0_E_clISt17integral_constantIbLb1EESZ_EEDaSU_SV_EUlSU_E_NS1_11comp_targetILNS1_3genE10ELNS1_11target_archE1201ELNS1_3gpuE5ELNS1_3repE0EEENS1_30default_config_static_selectorELNS0_4arch9wavefront6targetE0EEEvT1_
	.globl	_ZN7rocprim17ROCPRIM_400000_NS6detail17trampoline_kernelINS0_14default_configENS1_27scan_by_key_config_selectorIssEEZZNS1_16scan_by_key_implILNS1_25lookback_scan_determinismE0ELb0ES3_N6thrust23THRUST_200600_302600_NS6detail15normal_iteratorINS9_10device_ptrIsEEEESE_SE_sNS9_4plusIvEENS9_8equal_toIsEEsEE10hipError_tPvRmT2_T3_T4_T5_mT6_T7_P12ihipStream_tbENKUlT_T0_E_clISt17integral_constantIbLb1EESZ_EEDaSU_SV_EUlSU_E_NS1_11comp_targetILNS1_3genE10ELNS1_11target_archE1201ELNS1_3gpuE5ELNS1_3repE0EEENS1_30default_config_static_selectorELNS0_4arch9wavefront6targetE0EEEvT1_
	.p2align	8
	.type	_ZN7rocprim17ROCPRIM_400000_NS6detail17trampoline_kernelINS0_14default_configENS1_27scan_by_key_config_selectorIssEEZZNS1_16scan_by_key_implILNS1_25lookback_scan_determinismE0ELb0ES3_N6thrust23THRUST_200600_302600_NS6detail15normal_iteratorINS9_10device_ptrIsEEEESE_SE_sNS9_4plusIvEENS9_8equal_toIsEEsEE10hipError_tPvRmT2_T3_T4_T5_mT6_T7_P12ihipStream_tbENKUlT_T0_E_clISt17integral_constantIbLb1EESZ_EEDaSU_SV_EUlSU_E_NS1_11comp_targetILNS1_3genE10ELNS1_11target_archE1201ELNS1_3gpuE5ELNS1_3repE0EEENS1_30default_config_static_selectorELNS0_4arch9wavefront6targetE0EEEvT1_,@function
_ZN7rocprim17ROCPRIM_400000_NS6detail17trampoline_kernelINS0_14default_configENS1_27scan_by_key_config_selectorIssEEZZNS1_16scan_by_key_implILNS1_25lookback_scan_determinismE0ELb0ES3_N6thrust23THRUST_200600_302600_NS6detail15normal_iteratorINS9_10device_ptrIsEEEESE_SE_sNS9_4plusIvEENS9_8equal_toIsEEsEE10hipError_tPvRmT2_T3_T4_T5_mT6_T7_P12ihipStream_tbENKUlT_T0_E_clISt17integral_constantIbLb1EESZ_EEDaSU_SV_EUlSU_E_NS1_11comp_targetILNS1_3genE10ELNS1_11target_archE1201ELNS1_3gpuE5ELNS1_3repE0EEENS1_30default_config_static_selectorELNS0_4arch9wavefront6targetE0EEEvT1_: ; @_ZN7rocprim17ROCPRIM_400000_NS6detail17trampoline_kernelINS0_14default_configENS1_27scan_by_key_config_selectorIssEEZZNS1_16scan_by_key_implILNS1_25lookback_scan_determinismE0ELb0ES3_N6thrust23THRUST_200600_302600_NS6detail15normal_iteratorINS9_10device_ptrIsEEEESE_SE_sNS9_4plusIvEENS9_8equal_toIsEEsEE10hipError_tPvRmT2_T3_T4_T5_mT6_T7_P12ihipStream_tbENKUlT_T0_E_clISt17integral_constantIbLb1EESZ_EEDaSU_SV_EUlSU_E_NS1_11comp_targetILNS1_3genE10ELNS1_11target_archE1201ELNS1_3gpuE5ELNS1_3repE0EEENS1_30default_config_static_selectorELNS0_4arch9wavefront6targetE0EEEvT1_
; %bb.0:
	.section	.rodata,"a",@progbits
	.p2align	6, 0x0
	.amdhsa_kernel _ZN7rocprim17ROCPRIM_400000_NS6detail17trampoline_kernelINS0_14default_configENS1_27scan_by_key_config_selectorIssEEZZNS1_16scan_by_key_implILNS1_25lookback_scan_determinismE0ELb0ES3_N6thrust23THRUST_200600_302600_NS6detail15normal_iteratorINS9_10device_ptrIsEEEESE_SE_sNS9_4plusIvEENS9_8equal_toIsEEsEE10hipError_tPvRmT2_T3_T4_T5_mT6_T7_P12ihipStream_tbENKUlT_T0_E_clISt17integral_constantIbLb1EESZ_EEDaSU_SV_EUlSU_E_NS1_11comp_targetILNS1_3genE10ELNS1_11target_archE1201ELNS1_3gpuE5ELNS1_3repE0EEENS1_30default_config_static_selectorELNS0_4arch9wavefront6targetE0EEEvT1_
		.amdhsa_group_segment_fixed_size 0
		.amdhsa_private_segment_fixed_size 0
		.amdhsa_kernarg_size 112
		.amdhsa_user_sgpr_count 2
		.amdhsa_user_sgpr_dispatch_ptr 0
		.amdhsa_user_sgpr_queue_ptr 0
		.amdhsa_user_sgpr_kernarg_segment_ptr 1
		.amdhsa_user_sgpr_dispatch_id 0
		.amdhsa_user_sgpr_kernarg_preload_length 0
		.amdhsa_user_sgpr_kernarg_preload_offset 0
		.amdhsa_user_sgpr_private_segment_size 0
		.amdhsa_wavefront_size32 1
		.amdhsa_uses_dynamic_stack 0
		.amdhsa_enable_private_segment 0
		.amdhsa_system_sgpr_workgroup_id_x 1
		.amdhsa_system_sgpr_workgroup_id_y 0
		.amdhsa_system_sgpr_workgroup_id_z 0
		.amdhsa_system_sgpr_workgroup_info 0
		.amdhsa_system_vgpr_workitem_id 0
		.amdhsa_next_free_vgpr 1
		.amdhsa_next_free_sgpr 1
		.amdhsa_named_barrier_count 0
		.amdhsa_reserve_vcc 0
		.amdhsa_float_round_mode_32 0
		.amdhsa_float_round_mode_16_64 0
		.amdhsa_float_denorm_mode_32 3
		.amdhsa_float_denorm_mode_16_64 3
		.amdhsa_fp16_overflow 0
		.amdhsa_memory_ordered 1
		.amdhsa_forward_progress 1
		.amdhsa_inst_pref_size 0
		.amdhsa_round_robin_scheduling 0
		.amdhsa_exception_fp_ieee_invalid_op 0
		.amdhsa_exception_fp_denorm_src 0
		.amdhsa_exception_fp_ieee_div_zero 0
		.amdhsa_exception_fp_ieee_overflow 0
		.amdhsa_exception_fp_ieee_underflow 0
		.amdhsa_exception_fp_ieee_inexact 0
		.amdhsa_exception_int_div_zero 0
	.end_amdhsa_kernel
	.section	.text._ZN7rocprim17ROCPRIM_400000_NS6detail17trampoline_kernelINS0_14default_configENS1_27scan_by_key_config_selectorIssEEZZNS1_16scan_by_key_implILNS1_25lookback_scan_determinismE0ELb0ES3_N6thrust23THRUST_200600_302600_NS6detail15normal_iteratorINS9_10device_ptrIsEEEESE_SE_sNS9_4plusIvEENS9_8equal_toIsEEsEE10hipError_tPvRmT2_T3_T4_T5_mT6_T7_P12ihipStream_tbENKUlT_T0_E_clISt17integral_constantIbLb1EESZ_EEDaSU_SV_EUlSU_E_NS1_11comp_targetILNS1_3genE10ELNS1_11target_archE1201ELNS1_3gpuE5ELNS1_3repE0EEENS1_30default_config_static_selectorELNS0_4arch9wavefront6targetE0EEEvT1_,"axG",@progbits,_ZN7rocprim17ROCPRIM_400000_NS6detail17trampoline_kernelINS0_14default_configENS1_27scan_by_key_config_selectorIssEEZZNS1_16scan_by_key_implILNS1_25lookback_scan_determinismE0ELb0ES3_N6thrust23THRUST_200600_302600_NS6detail15normal_iteratorINS9_10device_ptrIsEEEESE_SE_sNS9_4plusIvEENS9_8equal_toIsEEsEE10hipError_tPvRmT2_T3_T4_T5_mT6_T7_P12ihipStream_tbENKUlT_T0_E_clISt17integral_constantIbLb1EESZ_EEDaSU_SV_EUlSU_E_NS1_11comp_targetILNS1_3genE10ELNS1_11target_archE1201ELNS1_3gpuE5ELNS1_3repE0EEENS1_30default_config_static_selectorELNS0_4arch9wavefront6targetE0EEEvT1_,comdat
.Lfunc_end327:
	.size	_ZN7rocprim17ROCPRIM_400000_NS6detail17trampoline_kernelINS0_14default_configENS1_27scan_by_key_config_selectorIssEEZZNS1_16scan_by_key_implILNS1_25lookback_scan_determinismE0ELb0ES3_N6thrust23THRUST_200600_302600_NS6detail15normal_iteratorINS9_10device_ptrIsEEEESE_SE_sNS9_4plusIvEENS9_8equal_toIsEEsEE10hipError_tPvRmT2_T3_T4_T5_mT6_T7_P12ihipStream_tbENKUlT_T0_E_clISt17integral_constantIbLb1EESZ_EEDaSU_SV_EUlSU_E_NS1_11comp_targetILNS1_3genE10ELNS1_11target_archE1201ELNS1_3gpuE5ELNS1_3repE0EEENS1_30default_config_static_selectorELNS0_4arch9wavefront6targetE0EEEvT1_, .Lfunc_end327-_ZN7rocprim17ROCPRIM_400000_NS6detail17trampoline_kernelINS0_14default_configENS1_27scan_by_key_config_selectorIssEEZZNS1_16scan_by_key_implILNS1_25lookback_scan_determinismE0ELb0ES3_N6thrust23THRUST_200600_302600_NS6detail15normal_iteratorINS9_10device_ptrIsEEEESE_SE_sNS9_4plusIvEENS9_8equal_toIsEEsEE10hipError_tPvRmT2_T3_T4_T5_mT6_T7_P12ihipStream_tbENKUlT_T0_E_clISt17integral_constantIbLb1EESZ_EEDaSU_SV_EUlSU_E_NS1_11comp_targetILNS1_3genE10ELNS1_11target_archE1201ELNS1_3gpuE5ELNS1_3repE0EEENS1_30default_config_static_selectorELNS0_4arch9wavefront6targetE0EEEvT1_
                                        ; -- End function
	.set _ZN7rocprim17ROCPRIM_400000_NS6detail17trampoline_kernelINS0_14default_configENS1_27scan_by_key_config_selectorIssEEZZNS1_16scan_by_key_implILNS1_25lookback_scan_determinismE0ELb0ES3_N6thrust23THRUST_200600_302600_NS6detail15normal_iteratorINS9_10device_ptrIsEEEESE_SE_sNS9_4plusIvEENS9_8equal_toIsEEsEE10hipError_tPvRmT2_T3_T4_T5_mT6_T7_P12ihipStream_tbENKUlT_T0_E_clISt17integral_constantIbLb1EESZ_EEDaSU_SV_EUlSU_E_NS1_11comp_targetILNS1_3genE10ELNS1_11target_archE1201ELNS1_3gpuE5ELNS1_3repE0EEENS1_30default_config_static_selectorELNS0_4arch9wavefront6targetE0EEEvT1_.num_vgpr, 0
	.set _ZN7rocprim17ROCPRIM_400000_NS6detail17trampoline_kernelINS0_14default_configENS1_27scan_by_key_config_selectorIssEEZZNS1_16scan_by_key_implILNS1_25lookback_scan_determinismE0ELb0ES3_N6thrust23THRUST_200600_302600_NS6detail15normal_iteratorINS9_10device_ptrIsEEEESE_SE_sNS9_4plusIvEENS9_8equal_toIsEEsEE10hipError_tPvRmT2_T3_T4_T5_mT6_T7_P12ihipStream_tbENKUlT_T0_E_clISt17integral_constantIbLb1EESZ_EEDaSU_SV_EUlSU_E_NS1_11comp_targetILNS1_3genE10ELNS1_11target_archE1201ELNS1_3gpuE5ELNS1_3repE0EEENS1_30default_config_static_selectorELNS0_4arch9wavefront6targetE0EEEvT1_.num_agpr, 0
	.set _ZN7rocprim17ROCPRIM_400000_NS6detail17trampoline_kernelINS0_14default_configENS1_27scan_by_key_config_selectorIssEEZZNS1_16scan_by_key_implILNS1_25lookback_scan_determinismE0ELb0ES3_N6thrust23THRUST_200600_302600_NS6detail15normal_iteratorINS9_10device_ptrIsEEEESE_SE_sNS9_4plusIvEENS9_8equal_toIsEEsEE10hipError_tPvRmT2_T3_T4_T5_mT6_T7_P12ihipStream_tbENKUlT_T0_E_clISt17integral_constantIbLb1EESZ_EEDaSU_SV_EUlSU_E_NS1_11comp_targetILNS1_3genE10ELNS1_11target_archE1201ELNS1_3gpuE5ELNS1_3repE0EEENS1_30default_config_static_selectorELNS0_4arch9wavefront6targetE0EEEvT1_.numbered_sgpr, 0
	.set _ZN7rocprim17ROCPRIM_400000_NS6detail17trampoline_kernelINS0_14default_configENS1_27scan_by_key_config_selectorIssEEZZNS1_16scan_by_key_implILNS1_25lookback_scan_determinismE0ELb0ES3_N6thrust23THRUST_200600_302600_NS6detail15normal_iteratorINS9_10device_ptrIsEEEESE_SE_sNS9_4plusIvEENS9_8equal_toIsEEsEE10hipError_tPvRmT2_T3_T4_T5_mT6_T7_P12ihipStream_tbENKUlT_T0_E_clISt17integral_constantIbLb1EESZ_EEDaSU_SV_EUlSU_E_NS1_11comp_targetILNS1_3genE10ELNS1_11target_archE1201ELNS1_3gpuE5ELNS1_3repE0EEENS1_30default_config_static_selectorELNS0_4arch9wavefront6targetE0EEEvT1_.num_named_barrier, 0
	.set _ZN7rocprim17ROCPRIM_400000_NS6detail17trampoline_kernelINS0_14default_configENS1_27scan_by_key_config_selectorIssEEZZNS1_16scan_by_key_implILNS1_25lookback_scan_determinismE0ELb0ES3_N6thrust23THRUST_200600_302600_NS6detail15normal_iteratorINS9_10device_ptrIsEEEESE_SE_sNS9_4plusIvEENS9_8equal_toIsEEsEE10hipError_tPvRmT2_T3_T4_T5_mT6_T7_P12ihipStream_tbENKUlT_T0_E_clISt17integral_constantIbLb1EESZ_EEDaSU_SV_EUlSU_E_NS1_11comp_targetILNS1_3genE10ELNS1_11target_archE1201ELNS1_3gpuE5ELNS1_3repE0EEENS1_30default_config_static_selectorELNS0_4arch9wavefront6targetE0EEEvT1_.private_seg_size, 0
	.set _ZN7rocprim17ROCPRIM_400000_NS6detail17trampoline_kernelINS0_14default_configENS1_27scan_by_key_config_selectorIssEEZZNS1_16scan_by_key_implILNS1_25lookback_scan_determinismE0ELb0ES3_N6thrust23THRUST_200600_302600_NS6detail15normal_iteratorINS9_10device_ptrIsEEEESE_SE_sNS9_4plusIvEENS9_8equal_toIsEEsEE10hipError_tPvRmT2_T3_T4_T5_mT6_T7_P12ihipStream_tbENKUlT_T0_E_clISt17integral_constantIbLb1EESZ_EEDaSU_SV_EUlSU_E_NS1_11comp_targetILNS1_3genE10ELNS1_11target_archE1201ELNS1_3gpuE5ELNS1_3repE0EEENS1_30default_config_static_selectorELNS0_4arch9wavefront6targetE0EEEvT1_.uses_vcc, 0
	.set _ZN7rocprim17ROCPRIM_400000_NS6detail17trampoline_kernelINS0_14default_configENS1_27scan_by_key_config_selectorIssEEZZNS1_16scan_by_key_implILNS1_25lookback_scan_determinismE0ELb0ES3_N6thrust23THRUST_200600_302600_NS6detail15normal_iteratorINS9_10device_ptrIsEEEESE_SE_sNS9_4plusIvEENS9_8equal_toIsEEsEE10hipError_tPvRmT2_T3_T4_T5_mT6_T7_P12ihipStream_tbENKUlT_T0_E_clISt17integral_constantIbLb1EESZ_EEDaSU_SV_EUlSU_E_NS1_11comp_targetILNS1_3genE10ELNS1_11target_archE1201ELNS1_3gpuE5ELNS1_3repE0EEENS1_30default_config_static_selectorELNS0_4arch9wavefront6targetE0EEEvT1_.uses_flat_scratch, 0
	.set _ZN7rocprim17ROCPRIM_400000_NS6detail17trampoline_kernelINS0_14default_configENS1_27scan_by_key_config_selectorIssEEZZNS1_16scan_by_key_implILNS1_25lookback_scan_determinismE0ELb0ES3_N6thrust23THRUST_200600_302600_NS6detail15normal_iteratorINS9_10device_ptrIsEEEESE_SE_sNS9_4plusIvEENS9_8equal_toIsEEsEE10hipError_tPvRmT2_T3_T4_T5_mT6_T7_P12ihipStream_tbENKUlT_T0_E_clISt17integral_constantIbLb1EESZ_EEDaSU_SV_EUlSU_E_NS1_11comp_targetILNS1_3genE10ELNS1_11target_archE1201ELNS1_3gpuE5ELNS1_3repE0EEENS1_30default_config_static_selectorELNS0_4arch9wavefront6targetE0EEEvT1_.has_dyn_sized_stack, 0
	.set _ZN7rocprim17ROCPRIM_400000_NS6detail17trampoline_kernelINS0_14default_configENS1_27scan_by_key_config_selectorIssEEZZNS1_16scan_by_key_implILNS1_25lookback_scan_determinismE0ELb0ES3_N6thrust23THRUST_200600_302600_NS6detail15normal_iteratorINS9_10device_ptrIsEEEESE_SE_sNS9_4plusIvEENS9_8equal_toIsEEsEE10hipError_tPvRmT2_T3_T4_T5_mT6_T7_P12ihipStream_tbENKUlT_T0_E_clISt17integral_constantIbLb1EESZ_EEDaSU_SV_EUlSU_E_NS1_11comp_targetILNS1_3genE10ELNS1_11target_archE1201ELNS1_3gpuE5ELNS1_3repE0EEENS1_30default_config_static_selectorELNS0_4arch9wavefront6targetE0EEEvT1_.has_recursion, 0
	.set _ZN7rocprim17ROCPRIM_400000_NS6detail17trampoline_kernelINS0_14default_configENS1_27scan_by_key_config_selectorIssEEZZNS1_16scan_by_key_implILNS1_25lookback_scan_determinismE0ELb0ES3_N6thrust23THRUST_200600_302600_NS6detail15normal_iteratorINS9_10device_ptrIsEEEESE_SE_sNS9_4plusIvEENS9_8equal_toIsEEsEE10hipError_tPvRmT2_T3_T4_T5_mT6_T7_P12ihipStream_tbENKUlT_T0_E_clISt17integral_constantIbLb1EESZ_EEDaSU_SV_EUlSU_E_NS1_11comp_targetILNS1_3genE10ELNS1_11target_archE1201ELNS1_3gpuE5ELNS1_3repE0EEENS1_30default_config_static_selectorELNS0_4arch9wavefront6targetE0EEEvT1_.has_indirect_call, 0
	.section	.AMDGPU.csdata,"",@progbits
; Kernel info:
; codeLenInByte = 0
; TotalNumSgprs: 0
; NumVgprs: 0
; ScratchSize: 0
; MemoryBound: 0
; FloatMode: 240
; IeeeMode: 1
; LDSByteSize: 0 bytes/workgroup (compile time only)
; SGPRBlocks: 0
; VGPRBlocks: 0
; NumSGPRsForWavesPerEU: 1
; NumVGPRsForWavesPerEU: 1
; NamedBarCnt: 0
; Occupancy: 16
; WaveLimiterHint : 0
; COMPUTE_PGM_RSRC2:SCRATCH_EN: 0
; COMPUTE_PGM_RSRC2:USER_SGPR: 2
; COMPUTE_PGM_RSRC2:TRAP_HANDLER: 0
; COMPUTE_PGM_RSRC2:TGID_X_EN: 1
; COMPUTE_PGM_RSRC2:TGID_Y_EN: 0
; COMPUTE_PGM_RSRC2:TGID_Z_EN: 0
; COMPUTE_PGM_RSRC2:TIDIG_COMP_CNT: 0
	.section	.text._ZN7rocprim17ROCPRIM_400000_NS6detail17trampoline_kernelINS0_14default_configENS1_27scan_by_key_config_selectorIssEEZZNS1_16scan_by_key_implILNS1_25lookback_scan_determinismE0ELb0ES3_N6thrust23THRUST_200600_302600_NS6detail15normal_iteratorINS9_10device_ptrIsEEEESE_SE_sNS9_4plusIvEENS9_8equal_toIsEEsEE10hipError_tPvRmT2_T3_T4_T5_mT6_T7_P12ihipStream_tbENKUlT_T0_E_clISt17integral_constantIbLb1EESZ_EEDaSU_SV_EUlSU_E_NS1_11comp_targetILNS1_3genE5ELNS1_11target_archE942ELNS1_3gpuE9ELNS1_3repE0EEENS1_30default_config_static_selectorELNS0_4arch9wavefront6targetE0EEEvT1_,"axG",@progbits,_ZN7rocprim17ROCPRIM_400000_NS6detail17trampoline_kernelINS0_14default_configENS1_27scan_by_key_config_selectorIssEEZZNS1_16scan_by_key_implILNS1_25lookback_scan_determinismE0ELb0ES3_N6thrust23THRUST_200600_302600_NS6detail15normal_iteratorINS9_10device_ptrIsEEEESE_SE_sNS9_4plusIvEENS9_8equal_toIsEEsEE10hipError_tPvRmT2_T3_T4_T5_mT6_T7_P12ihipStream_tbENKUlT_T0_E_clISt17integral_constantIbLb1EESZ_EEDaSU_SV_EUlSU_E_NS1_11comp_targetILNS1_3genE5ELNS1_11target_archE942ELNS1_3gpuE9ELNS1_3repE0EEENS1_30default_config_static_selectorELNS0_4arch9wavefront6targetE0EEEvT1_,comdat
	.protected	_ZN7rocprim17ROCPRIM_400000_NS6detail17trampoline_kernelINS0_14default_configENS1_27scan_by_key_config_selectorIssEEZZNS1_16scan_by_key_implILNS1_25lookback_scan_determinismE0ELb0ES3_N6thrust23THRUST_200600_302600_NS6detail15normal_iteratorINS9_10device_ptrIsEEEESE_SE_sNS9_4plusIvEENS9_8equal_toIsEEsEE10hipError_tPvRmT2_T3_T4_T5_mT6_T7_P12ihipStream_tbENKUlT_T0_E_clISt17integral_constantIbLb1EESZ_EEDaSU_SV_EUlSU_E_NS1_11comp_targetILNS1_3genE5ELNS1_11target_archE942ELNS1_3gpuE9ELNS1_3repE0EEENS1_30default_config_static_selectorELNS0_4arch9wavefront6targetE0EEEvT1_ ; -- Begin function _ZN7rocprim17ROCPRIM_400000_NS6detail17trampoline_kernelINS0_14default_configENS1_27scan_by_key_config_selectorIssEEZZNS1_16scan_by_key_implILNS1_25lookback_scan_determinismE0ELb0ES3_N6thrust23THRUST_200600_302600_NS6detail15normal_iteratorINS9_10device_ptrIsEEEESE_SE_sNS9_4plusIvEENS9_8equal_toIsEEsEE10hipError_tPvRmT2_T3_T4_T5_mT6_T7_P12ihipStream_tbENKUlT_T0_E_clISt17integral_constantIbLb1EESZ_EEDaSU_SV_EUlSU_E_NS1_11comp_targetILNS1_3genE5ELNS1_11target_archE942ELNS1_3gpuE9ELNS1_3repE0EEENS1_30default_config_static_selectorELNS0_4arch9wavefront6targetE0EEEvT1_
	.globl	_ZN7rocprim17ROCPRIM_400000_NS6detail17trampoline_kernelINS0_14default_configENS1_27scan_by_key_config_selectorIssEEZZNS1_16scan_by_key_implILNS1_25lookback_scan_determinismE0ELb0ES3_N6thrust23THRUST_200600_302600_NS6detail15normal_iteratorINS9_10device_ptrIsEEEESE_SE_sNS9_4plusIvEENS9_8equal_toIsEEsEE10hipError_tPvRmT2_T3_T4_T5_mT6_T7_P12ihipStream_tbENKUlT_T0_E_clISt17integral_constantIbLb1EESZ_EEDaSU_SV_EUlSU_E_NS1_11comp_targetILNS1_3genE5ELNS1_11target_archE942ELNS1_3gpuE9ELNS1_3repE0EEENS1_30default_config_static_selectorELNS0_4arch9wavefront6targetE0EEEvT1_
	.p2align	8
	.type	_ZN7rocprim17ROCPRIM_400000_NS6detail17trampoline_kernelINS0_14default_configENS1_27scan_by_key_config_selectorIssEEZZNS1_16scan_by_key_implILNS1_25lookback_scan_determinismE0ELb0ES3_N6thrust23THRUST_200600_302600_NS6detail15normal_iteratorINS9_10device_ptrIsEEEESE_SE_sNS9_4plusIvEENS9_8equal_toIsEEsEE10hipError_tPvRmT2_T3_T4_T5_mT6_T7_P12ihipStream_tbENKUlT_T0_E_clISt17integral_constantIbLb1EESZ_EEDaSU_SV_EUlSU_E_NS1_11comp_targetILNS1_3genE5ELNS1_11target_archE942ELNS1_3gpuE9ELNS1_3repE0EEENS1_30default_config_static_selectorELNS0_4arch9wavefront6targetE0EEEvT1_,@function
_ZN7rocprim17ROCPRIM_400000_NS6detail17trampoline_kernelINS0_14default_configENS1_27scan_by_key_config_selectorIssEEZZNS1_16scan_by_key_implILNS1_25lookback_scan_determinismE0ELb0ES3_N6thrust23THRUST_200600_302600_NS6detail15normal_iteratorINS9_10device_ptrIsEEEESE_SE_sNS9_4plusIvEENS9_8equal_toIsEEsEE10hipError_tPvRmT2_T3_T4_T5_mT6_T7_P12ihipStream_tbENKUlT_T0_E_clISt17integral_constantIbLb1EESZ_EEDaSU_SV_EUlSU_E_NS1_11comp_targetILNS1_3genE5ELNS1_11target_archE942ELNS1_3gpuE9ELNS1_3repE0EEENS1_30default_config_static_selectorELNS0_4arch9wavefront6targetE0EEEvT1_: ; @_ZN7rocprim17ROCPRIM_400000_NS6detail17trampoline_kernelINS0_14default_configENS1_27scan_by_key_config_selectorIssEEZZNS1_16scan_by_key_implILNS1_25lookback_scan_determinismE0ELb0ES3_N6thrust23THRUST_200600_302600_NS6detail15normal_iteratorINS9_10device_ptrIsEEEESE_SE_sNS9_4plusIvEENS9_8equal_toIsEEsEE10hipError_tPvRmT2_T3_T4_T5_mT6_T7_P12ihipStream_tbENKUlT_T0_E_clISt17integral_constantIbLb1EESZ_EEDaSU_SV_EUlSU_E_NS1_11comp_targetILNS1_3genE5ELNS1_11target_archE942ELNS1_3gpuE9ELNS1_3repE0EEENS1_30default_config_static_selectorELNS0_4arch9wavefront6targetE0EEEvT1_
; %bb.0:
	.section	.rodata,"a",@progbits
	.p2align	6, 0x0
	.amdhsa_kernel _ZN7rocprim17ROCPRIM_400000_NS6detail17trampoline_kernelINS0_14default_configENS1_27scan_by_key_config_selectorIssEEZZNS1_16scan_by_key_implILNS1_25lookback_scan_determinismE0ELb0ES3_N6thrust23THRUST_200600_302600_NS6detail15normal_iteratorINS9_10device_ptrIsEEEESE_SE_sNS9_4plusIvEENS9_8equal_toIsEEsEE10hipError_tPvRmT2_T3_T4_T5_mT6_T7_P12ihipStream_tbENKUlT_T0_E_clISt17integral_constantIbLb1EESZ_EEDaSU_SV_EUlSU_E_NS1_11comp_targetILNS1_3genE5ELNS1_11target_archE942ELNS1_3gpuE9ELNS1_3repE0EEENS1_30default_config_static_selectorELNS0_4arch9wavefront6targetE0EEEvT1_
		.amdhsa_group_segment_fixed_size 0
		.amdhsa_private_segment_fixed_size 0
		.amdhsa_kernarg_size 112
		.amdhsa_user_sgpr_count 2
		.amdhsa_user_sgpr_dispatch_ptr 0
		.amdhsa_user_sgpr_queue_ptr 0
		.amdhsa_user_sgpr_kernarg_segment_ptr 1
		.amdhsa_user_sgpr_dispatch_id 0
		.amdhsa_user_sgpr_kernarg_preload_length 0
		.amdhsa_user_sgpr_kernarg_preload_offset 0
		.amdhsa_user_sgpr_private_segment_size 0
		.amdhsa_wavefront_size32 1
		.amdhsa_uses_dynamic_stack 0
		.amdhsa_enable_private_segment 0
		.amdhsa_system_sgpr_workgroup_id_x 1
		.amdhsa_system_sgpr_workgroup_id_y 0
		.amdhsa_system_sgpr_workgroup_id_z 0
		.amdhsa_system_sgpr_workgroup_info 0
		.amdhsa_system_vgpr_workitem_id 0
		.amdhsa_next_free_vgpr 1
		.amdhsa_next_free_sgpr 1
		.amdhsa_named_barrier_count 0
		.amdhsa_reserve_vcc 0
		.amdhsa_float_round_mode_32 0
		.amdhsa_float_round_mode_16_64 0
		.amdhsa_float_denorm_mode_32 3
		.amdhsa_float_denorm_mode_16_64 3
		.amdhsa_fp16_overflow 0
		.amdhsa_memory_ordered 1
		.amdhsa_forward_progress 1
		.amdhsa_inst_pref_size 0
		.amdhsa_round_robin_scheduling 0
		.amdhsa_exception_fp_ieee_invalid_op 0
		.amdhsa_exception_fp_denorm_src 0
		.amdhsa_exception_fp_ieee_div_zero 0
		.amdhsa_exception_fp_ieee_overflow 0
		.amdhsa_exception_fp_ieee_underflow 0
		.amdhsa_exception_fp_ieee_inexact 0
		.amdhsa_exception_int_div_zero 0
	.end_amdhsa_kernel
	.section	.text._ZN7rocprim17ROCPRIM_400000_NS6detail17trampoline_kernelINS0_14default_configENS1_27scan_by_key_config_selectorIssEEZZNS1_16scan_by_key_implILNS1_25lookback_scan_determinismE0ELb0ES3_N6thrust23THRUST_200600_302600_NS6detail15normal_iteratorINS9_10device_ptrIsEEEESE_SE_sNS9_4plusIvEENS9_8equal_toIsEEsEE10hipError_tPvRmT2_T3_T4_T5_mT6_T7_P12ihipStream_tbENKUlT_T0_E_clISt17integral_constantIbLb1EESZ_EEDaSU_SV_EUlSU_E_NS1_11comp_targetILNS1_3genE5ELNS1_11target_archE942ELNS1_3gpuE9ELNS1_3repE0EEENS1_30default_config_static_selectorELNS0_4arch9wavefront6targetE0EEEvT1_,"axG",@progbits,_ZN7rocprim17ROCPRIM_400000_NS6detail17trampoline_kernelINS0_14default_configENS1_27scan_by_key_config_selectorIssEEZZNS1_16scan_by_key_implILNS1_25lookback_scan_determinismE0ELb0ES3_N6thrust23THRUST_200600_302600_NS6detail15normal_iteratorINS9_10device_ptrIsEEEESE_SE_sNS9_4plusIvEENS9_8equal_toIsEEsEE10hipError_tPvRmT2_T3_T4_T5_mT6_T7_P12ihipStream_tbENKUlT_T0_E_clISt17integral_constantIbLb1EESZ_EEDaSU_SV_EUlSU_E_NS1_11comp_targetILNS1_3genE5ELNS1_11target_archE942ELNS1_3gpuE9ELNS1_3repE0EEENS1_30default_config_static_selectorELNS0_4arch9wavefront6targetE0EEEvT1_,comdat
.Lfunc_end328:
	.size	_ZN7rocprim17ROCPRIM_400000_NS6detail17trampoline_kernelINS0_14default_configENS1_27scan_by_key_config_selectorIssEEZZNS1_16scan_by_key_implILNS1_25lookback_scan_determinismE0ELb0ES3_N6thrust23THRUST_200600_302600_NS6detail15normal_iteratorINS9_10device_ptrIsEEEESE_SE_sNS9_4plusIvEENS9_8equal_toIsEEsEE10hipError_tPvRmT2_T3_T4_T5_mT6_T7_P12ihipStream_tbENKUlT_T0_E_clISt17integral_constantIbLb1EESZ_EEDaSU_SV_EUlSU_E_NS1_11comp_targetILNS1_3genE5ELNS1_11target_archE942ELNS1_3gpuE9ELNS1_3repE0EEENS1_30default_config_static_selectorELNS0_4arch9wavefront6targetE0EEEvT1_, .Lfunc_end328-_ZN7rocprim17ROCPRIM_400000_NS6detail17trampoline_kernelINS0_14default_configENS1_27scan_by_key_config_selectorIssEEZZNS1_16scan_by_key_implILNS1_25lookback_scan_determinismE0ELb0ES3_N6thrust23THRUST_200600_302600_NS6detail15normal_iteratorINS9_10device_ptrIsEEEESE_SE_sNS9_4plusIvEENS9_8equal_toIsEEsEE10hipError_tPvRmT2_T3_T4_T5_mT6_T7_P12ihipStream_tbENKUlT_T0_E_clISt17integral_constantIbLb1EESZ_EEDaSU_SV_EUlSU_E_NS1_11comp_targetILNS1_3genE5ELNS1_11target_archE942ELNS1_3gpuE9ELNS1_3repE0EEENS1_30default_config_static_selectorELNS0_4arch9wavefront6targetE0EEEvT1_
                                        ; -- End function
	.set _ZN7rocprim17ROCPRIM_400000_NS6detail17trampoline_kernelINS0_14default_configENS1_27scan_by_key_config_selectorIssEEZZNS1_16scan_by_key_implILNS1_25lookback_scan_determinismE0ELb0ES3_N6thrust23THRUST_200600_302600_NS6detail15normal_iteratorINS9_10device_ptrIsEEEESE_SE_sNS9_4plusIvEENS9_8equal_toIsEEsEE10hipError_tPvRmT2_T3_T4_T5_mT6_T7_P12ihipStream_tbENKUlT_T0_E_clISt17integral_constantIbLb1EESZ_EEDaSU_SV_EUlSU_E_NS1_11comp_targetILNS1_3genE5ELNS1_11target_archE942ELNS1_3gpuE9ELNS1_3repE0EEENS1_30default_config_static_selectorELNS0_4arch9wavefront6targetE0EEEvT1_.num_vgpr, 0
	.set _ZN7rocprim17ROCPRIM_400000_NS6detail17trampoline_kernelINS0_14default_configENS1_27scan_by_key_config_selectorIssEEZZNS1_16scan_by_key_implILNS1_25lookback_scan_determinismE0ELb0ES3_N6thrust23THRUST_200600_302600_NS6detail15normal_iteratorINS9_10device_ptrIsEEEESE_SE_sNS9_4plusIvEENS9_8equal_toIsEEsEE10hipError_tPvRmT2_T3_T4_T5_mT6_T7_P12ihipStream_tbENKUlT_T0_E_clISt17integral_constantIbLb1EESZ_EEDaSU_SV_EUlSU_E_NS1_11comp_targetILNS1_3genE5ELNS1_11target_archE942ELNS1_3gpuE9ELNS1_3repE0EEENS1_30default_config_static_selectorELNS0_4arch9wavefront6targetE0EEEvT1_.num_agpr, 0
	.set _ZN7rocprim17ROCPRIM_400000_NS6detail17trampoline_kernelINS0_14default_configENS1_27scan_by_key_config_selectorIssEEZZNS1_16scan_by_key_implILNS1_25lookback_scan_determinismE0ELb0ES3_N6thrust23THRUST_200600_302600_NS6detail15normal_iteratorINS9_10device_ptrIsEEEESE_SE_sNS9_4plusIvEENS9_8equal_toIsEEsEE10hipError_tPvRmT2_T3_T4_T5_mT6_T7_P12ihipStream_tbENKUlT_T0_E_clISt17integral_constantIbLb1EESZ_EEDaSU_SV_EUlSU_E_NS1_11comp_targetILNS1_3genE5ELNS1_11target_archE942ELNS1_3gpuE9ELNS1_3repE0EEENS1_30default_config_static_selectorELNS0_4arch9wavefront6targetE0EEEvT1_.numbered_sgpr, 0
	.set _ZN7rocprim17ROCPRIM_400000_NS6detail17trampoline_kernelINS0_14default_configENS1_27scan_by_key_config_selectorIssEEZZNS1_16scan_by_key_implILNS1_25lookback_scan_determinismE0ELb0ES3_N6thrust23THRUST_200600_302600_NS6detail15normal_iteratorINS9_10device_ptrIsEEEESE_SE_sNS9_4plusIvEENS9_8equal_toIsEEsEE10hipError_tPvRmT2_T3_T4_T5_mT6_T7_P12ihipStream_tbENKUlT_T0_E_clISt17integral_constantIbLb1EESZ_EEDaSU_SV_EUlSU_E_NS1_11comp_targetILNS1_3genE5ELNS1_11target_archE942ELNS1_3gpuE9ELNS1_3repE0EEENS1_30default_config_static_selectorELNS0_4arch9wavefront6targetE0EEEvT1_.num_named_barrier, 0
	.set _ZN7rocprim17ROCPRIM_400000_NS6detail17trampoline_kernelINS0_14default_configENS1_27scan_by_key_config_selectorIssEEZZNS1_16scan_by_key_implILNS1_25lookback_scan_determinismE0ELb0ES3_N6thrust23THRUST_200600_302600_NS6detail15normal_iteratorINS9_10device_ptrIsEEEESE_SE_sNS9_4plusIvEENS9_8equal_toIsEEsEE10hipError_tPvRmT2_T3_T4_T5_mT6_T7_P12ihipStream_tbENKUlT_T0_E_clISt17integral_constantIbLb1EESZ_EEDaSU_SV_EUlSU_E_NS1_11comp_targetILNS1_3genE5ELNS1_11target_archE942ELNS1_3gpuE9ELNS1_3repE0EEENS1_30default_config_static_selectorELNS0_4arch9wavefront6targetE0EEEvT1_.private_seg_size, 0
	.set _ZN7rocprim17ROCPRIM_400000_NS6detail17trampoline_kernelINS0_14default_configENS1_27scan_by_key_config_selectorIssEEZZNS1_16scan_by_key_implILNS1_25lookback_scan_determinismE0ELb0ES3_N6thrust23THRUST_200600_302600_NS6detail15normal_iteratorINS9_10device_ptrIsEEEESE_SE_sNS9_4plusIvEENS9_8equal_toIsEEsEE10hipError_tPvRmT2_T3_T4_T5_mT6_T7_P12ihipStream_tbENKUlT_T0_E_clISt17integral_constantIbLb1EESZ_EEDaSU_SV_EUlSU_E_NS1_11comp_targetILNS1_3genE5ELNS1_11target_archE942ELNS1_3gpuE9ELNS1_3repE0EEENS1_30default_config_static_selectorELNS0_4arch9wavefront6targetE0EEEvT1_.uses_vcc, 0
	.set _ZN7rocprim17ROCPRIM_400000_NS6detail17trampoline_kernelINS0_14default_configENS1_27scan_by_key_config_selectorIssEEZZNS1_16scan_by_key_implILNS1_25lookback_scan_determinismE0ELb0ES3_N6thrust23THRUST_200600_302600_NS6detail15normal_iteratorINS9_10device_ptrIsEEEESE_SE_sNS9_4plusIvEENS9_8equal_toIsEEsEE10hipError_tPvRmT2_T3_T4_T5_mT6_T7_P12ihipStream_tbENKUlT_T0_E_clISt17integral_constantIbLb1EESZ_EEDaSU_SV_EUlSU_E_NS1_11comp_targetILNS1_3genE5ELNS1_11target_archE942ELNS1_3gpuE9ELNS1_3repE0EEENS1_30default_config_static_selectorELNS0_4arch9wavefront6targetE0EEEvT1_.uses_flat_scratch, 0
	.set _ZN7rocprim17ROCPRIM_400000_NS6detail17trampoline_kernelINS0_14default_configENS1_27scan_by_key_config_selectorIssEEZZNS1_16scan_by_key_implILNS1_25lookback_scan_determinismE0ELb0ES3_N6thrust23THRUST_200600_302600_NS6detail15normal_iteratorINS9_10device_ptrIsEEEESE_SE_sNS9_4plusIvEENS9_8equal_toIsEEsEE10hipError_tPvRmT2_T3_T4_T5_mT6_T7_P12ihipStream_tbENKUlT_T0_E_clISt17integral_constantIbLb1EESZ_EEDaSU_SV_EUlSU_E_NS1_11comp_targetILNS1_3genE5ELNS1_11target_archE942ELNS1_3gpuE9ELNS1_3repE0EEENS1_30default_config_static_selectorELNS0_4arch9wavefront6targetE0EEEvT1_.has_dyn_sized_stack, 0
	.set _ZN7rocprim17ROCPRIM_400000_NS6detail17trampoline_kernelINS0_14default_configENS1_27scan_by_key_config_selectorIssEEZZNS1_16scan_by_key_implILNS1_25lookback_scan_determinismE0ELb0ES3_N6thrust23THRUST_200600_302600_NS6detail15normal_iteratorINS9_10device_ptrIsEEEESE_SE_sNS9_4plusIvEENS9_8equal_toIsEEsEE10hipError_tPvRmT2_T3_T4_T5_mT6_T7_P12ihipStream_tbENKUlT_T0_E_clISt17integral_constantIbLb1EESZ_EEDaSU_SV_EUlSU_E_NS1_11comp_targetILNS1_3genE5ELNS1_11target_archE942ELNS1_3gpuE9ELNS1_3repE0EEENS1_30default_config_static_selectorELNS0_4arch9wavefront6targetE0EEEvT1_.has_recursion, 0
	.set _ZN7rocprim17ROCPRIM_400000_NS6detail17trampoline_kernelINS0_14default_configENS1_27scan_by_key_config_selectorIssEEZZNS1_16scan_by_key_implILNS1_25lookback_scan_determinismE0ELb0ES3_N6thrust23THRUST_200600_302600_NS6detail15normal_iteratorINS9_10device_ptrIsEEEESE_SE_sNS9_4plusIvEENS9_8equal_toIsEEsEE10hipError_tPvRmT2_T3_T4_T5_mT6_T7_P12ihipStream_tbENKUlT_T0_E_clISt17integral_constantIbLb1EESZ_EEDaSU_SV_EUlSU_E_NS1_11comp_targetILNS1_3genE5ELNS1_11target_archE942ELNS1_3gpuE9ELNS1_3repE0EEENS1_30default_config_static_selectorELNS0_4arch9wavefront6targetE0EEEvT1_.has_indirect_call, 0
	.section	.AMDGPU.csdata,"",@progbits
; Kernel info:
; codeLenInByte = 0
; TotalNumSgprs: 0
; NumVgprs: 0
; ScratchSize: 0
; MemoryBound: 0
; FloatMode: 240
; IeeeMode: 1
; LDSByteSize: 0 bytes/workgroup (compile time only)
; SGPRBlocks: 0
; VGPRBlocks: 0
; NumSGPRsForWavesPerEU: 1
; NumVGPRsForWavesPerEU: 1
; NamedBarCnt: 0
; Occupancy: 16
; WaveLimiterHint : 0
; COMPUTE_PGM_RSRC2:SCRATCH_EN: 0
; COMPUTE_PGM_RSRC2:USER_SGPR: 2
; COMPUTE_PGM_RSRC2:TRAP_HANDLER: 0
; COMPUTE_PGM_RSRC2:TGID_X_EN: 1
; COMPUTE_PGM_RSRC2:TGID_Y_EN: 0
; COMPUTE_PGM_RSRC2:TGID_Z_EN: 0
; COMPUTE_PGM_RSRC2:TIDIG_COMP_CNT: 0
	.section	.text._ZN7rocprim17ROCPRIM_400000_NS6detail17trampoline_kernelINS0_14default_configENS1_27scan_by_key_config_selectorIssEEZZNS1_16scan_by_key_implILNS1_25lookback_scan_determinismE0ELb0ES3_N6thrust23THRUST_200600_302600_NS6detail15normal_iteratorINS9_10device_ptrIsEEEESE_SE_sNS9_4plusIvEENS9_8equal_toIsEEsEE10hipError_tPvRmT2_T3_T4_T5_mT6_T7_P12ihipStream_tbENKUlT_T0_E_clISt17integral_constantIbLb1EESZ_EEDaSU_SV_EUlSU_E_NS1_11comp_targetILNS1_3genE4ELNS1_11target_archE910ELNS1_3gpuE8ELNS1_3repE0EEENS1_30default_config_static_selectorELNS0_4arch9wavefront6targetE0EEEvT1_,"axG",@progbits,_ZN7rocprim17ROCPRIM_400000_NS6detail17trampoline_kernelINS0_14default_configENS1_27scan_by_key_config_selectorIssEEZZNS1_16scan_by_key_implILNS1_25lookback_scan_determinismE0ELb0ES3_N6thrust23THRUST_200600_302600_NS6detail15normal_iteratorINS9_10device_ptrIsEEEESE_SE_sNS9_4plusIvEENS9_8equal_toIsEEsEE10hipError_tPvRmT2_T3_T4_T5_mT6_T7_P12ihipStream_tbENKUlT_T0_E_clISt17integral_constantIbLb1EESZ_EEDaSU_SV_EUlSU_E_NS1_11comp_targetILNS1_3genE4ELNS1_11target_archE910ELNS1_3gpuE8ELNS1_3repE0EEENS1_30default_config_static_selectorELNS0_4arch9wavefront6targetE0EEEvT1_,comdat
	.protected	_ZN7rocprim17ROCPRIM_400000_NS6detail17trampoline_kernelINS0_14default_configENS1_27scan_by_key_config_selectorIssEEZZNS1_16scan_by_key_implILNS1_25lookback_scan_determinismE0ELb0ES3_N6thrust23THRUST_200600_302600_NS6detail15normal_iteratorINS9_10device_ptrIsEEEESE_SE_sNS9_4plusIvEENS9_8equal_toIsEEsEE10hipError_tPvRmT2_T3_T4_T5_mT6_T7_P12ihipStream_tbENKUlT_T0_E_clISt17integral_constantIbLb1EESZ_EEDaSU_SV_EUlSU_E_NS1_11comp_targetILNS1_3genE4ELNS1_11target_archE910ELNS1_3gpuE8ELNS1_3repE0EEENS1_30default_config_static_selectorELNS0_4arch9wavefront6targetE0EEEvT1_ ; -- Begin function _ZN7rocprim17ROCPRIM_400000_NS6detail17trampoline_kernelINS0_14default_configENS1_27scan_by_key_config_selectorIssEEZZNS1_16scan_by_key_implILNS1_25lookback_scan_determinismE0ELb0ES3_N6thrust23THRUST_200600_302600_NS6detail15normal_iteratorINS9_10device_ptrIsEEEESE_SE_sNS9_4plusIvEENS9_8equal_toIsEEsEE10hipError_tPvRmT2_T3_T4_T5_mT6_T7_P12ihipStream_tbENKUlT_T0_E_clISt17integral_constantIbLb1EESZ_EEDaSU_SV_EUlSU_E_NS1_11comp_targetILNS1_3genE4ELNS1_11target_archE910ELNS1_3gpuE8ELNS1_3repE0EEENS1_30default_config_static_selectorELNS0_4arch9wavefront6targetE0EEEvT1_
	.globl	_ZN7rocprim17ROCPRIM_400000_NS6detail17trampoline_kernelINS0_14default_configENS1_27scan_by_key_config_selectorIssEEZZNS1_16scan_by_key_implILNS1_25lookback_scan_determinismE0ELb0ES3_N6thrust23THRUST_200600_302600_NS6detail15normal_iteratorINS9_10device_ptrIsEEEESE_SE_sNS9_4plusIvEENS9_8equal_toIsEEsEE10hipError_tPvRmT2_T3_T4_T5_mT6_T7_P12ihipStream_tbENKUlT_T0_E_clISt17integral_constantIbLb1EESZ_EEDaSU_SV_EUlSU_E_NS1_11comp_targetILNS1_3genE4ELNS1_11target_archE910ELNS1_3gpuE8ELNS1_3repE0EEENS1_30default_config_static_selectorELNS0_4arch9wavefront6targetE0EEEvT1_
	.p2align	8
	.type	_ZN7rocprim17ROCPRIM_400000_NS6detail17trampoline_kernelINS0_14default_configENS1_27scan_by_key_config_selectorIssEEZZNS1_16scan_by_key_implILNS1_25lookback_scan_determinismE0ELb0ES3_N6thrust23THRUST_200600_302600_NS6detail15normal_iteratorINS9_10device_ptrIsEEEESE_SE_sNS9_4plusIvEENS9_8equal_toIsEEsEE10hipError_tPvRmT2_T3_T4_T5_mT6_T7_P12ihipStream_tbENKUlT_T0_E_clISt17integral_constantIbLb1EESZ_EEDaSU_SV_EUlSU_E_NS1_11comp_targetILNS1_3genE4ELNS1_11target_archE910ELNS1_3gpuE8ELNS1_3repE0EEENS1_30default_config_static_selectorELNS0_4arch9wavefront6targetE0EEEvT1_,@function
_ZN7rocprim17ROCPRIM_400000_NS6detail17trampoline_kernelINS0_14default_configENS1_27scan_by_key_config_selectorIssEEZZNS1_16scan_by_key_implILNS1_25lookback_scan_determinismE0ELb0ES3_N6thrust23THRUST_200600_302600_NS6detail15normal_iteratorINS9_10device_ptrIsEEEESE_SE_sNS9_4plusIvEENS9_8equal_toIsEEsEE10hipError_tPvRmT2_T3_T4_T5_mT6_T7_P12ihipStream_tbENKUlT_T0_E_clISt17integral_constantIbLb1EESZ_EEDaSU_SV_EUlSU_E_NS1_11comp_targetILNS1_3genE4ELNS1_11target_archE910ELNS1_3gpuE8ELNS1_3repE0EEENS1_30default_config_static_selectorELNS0_4arch9wavefront6targetE0EEEvT1_: ; @_ZN7rocprim17ROCPRIM_400000_NS6detail17trampoline_kernelINS0_14default_configENS1_27scan_by_key_config_selectorIssEEZZNS1_16scan_by_key_implILNS1_25lookback_scan_determinismE0ELb0ES3_N6thrust23THRUST_200600_302600_NS6detail15normal_iteratorINS9_10device_ptrIsEEEESE_SE_sNS9_4plusIvEENS9_8equal_toIsEEsEE10hipError_tPvRmT2_T3_T4_T5_mT6_T7_P12ihipStream_tbENKUlT_T0_E_clISt17integral_constantIbLb1EESZ_EEDaSU_SV_EUlSU_E_NS1_11comp_targetILNS1_3genE4ELNS1_11target_archE910ELNS1_3gpuE8ELNS1_3repE0EEENS1_30default_config_static_selectorELNS0_4arch9wavefront6targetE0EEEvT1_
; %bb.0:
	.section	.rodata,"a",@progbits
	.p2align	6, 0x0
	.amdhsa_kernel _ZN7rocprim17ROCPRIM_400000_NS6detail17trampoline_kernelINS0_14default_configENS1_27scan_by_key_config_selectorIssEEZZNS1_16scan_by_key_implILNS1_25lookback_scan_determinismE0ELb0ES3_N6thrust23THRUST_200600_302600_NS6detail15normal_iteratorINS9_10device_ptrIsEEEESE_SE_sNS9_4plusIvEENS9_8equal_toIsEEsEE10hipError_tPvRmT2_T3_T4_T5_mT6_T7_P12ihipStream_tbENKUlT_T0_E_clISt17integral_constantIbLb1EESZ_EEDaSU_SV_EUlSU_E_NS1_11comp_targetILNS1_3genE4ELNS1_11target_archE910ELNS1_3gpuE8ELNS1_3repE0EEENS1_30default_config_static_selectorELNS0_4arch9wavefront6targetE0EEEvT1_
		.amdhsa_group_segment_fixed_size 0
		.amdhsa_private_segment_fixed_size 0
		.amdhsa_kernarg_size 112
		.amdhsa_user_sgpr_count 2
		.amdhsa_user_sgpr_dispatch_ptr 0
		.amdhsa_user_sgpr_queue_ptr 0
		.amdhsa_user_sgpr_kernarg_segment_ptr 1
		.amdhsa_user_sgpr_dispatch_id 0
		.amdhsa_user_sgpr_kernarg_preload_length 0
		.amdhsa_user_sgpr_kernarg_preload_offset 0
		.amdhsa_user_sgpr_private_segment_size 0
		.amdhsa_wavefront_size32 1
		.amdhsa_uses_dynamic_stack 0
		.amdhsa_enable_private_segment 0
		.amdhsa_system_sgpr_workgroup_id_x 1
		.amdhsa_system_sgpr_workgroup_id_y 0
		.amdhsa_system_sgpr_workgroup_id_z 0
		.amdhsa_system_sgpr_workgroup_info 0
		.amdhsa_system_vgpr_workitem_id 0
		.amdhsa_next_free_vgpr 1
		.amdhsa_next_free_sgpr 1
		.amdhsa_named_barrier_count 0
		.amdhsa_reserve_vcc 0
		.amdhsa_float_round_mode_32 0
		.amdhsa_float_round_mode_16_64 0
		.amdhsa_float_denorm_mode_32 3
		.amdhsa_float_denorm_mode_16_64 3
		.amdhsa_fp16_overflow 0
		.amdhsa_memory_ordered 1
		.amdhsa_forward_progress 1
		.amdhsa_inst_pref_size 0
		.amdhsa_round_robin_scheduling 0
		.amdhsa_exception_fp_ieee_invalid_op 0
		.amdhsa_exception_fp_denorm_src 0
		.amdhsa_exception_fp_ieee_div_zero 0
		.amdhsa_exception_fp_ieee_overflow 0
		.amdhsa_exception_fp_ieee_underflow 0
		.amdhsa_exception_fp_ieee_inexact 0
		.amdhsa_exception_int_div_zero 0
	.end_amdhsa_kernel
	.section	.text._ZN7rocprim17ROCPRIM_400000_NS6detail17trampoline_kernelINS0_14default_configENS1_27scan_by_key_config_selectorIssEEZZNS1_16scan_by_key_implILNS1_25lookback_scan_determinismE0ELb0ES3_N6thrust23THRUST_200600_302600_NS6detail15normal_iteratorINS9_10device_ptrIsEEEESE_SE_sNS9_4plusIvEENS9_8equal_toIsEEsEE10hipError_tPvRmT2_T3_T4_T5_mT6_T7_P12ihipStream_tbENKUlT_T0_E_clISt17integral_constantIbLb1EESZ_EEDaSU_SV_EUlSU_E_NS1_11comp_targetILNS1_3genE4ELNS1_11target_archE910ELNS1_3gpuE8ELNS1_3repE0EEENS1_30default_config_static_selectorELNS0_4arch9wavefront6targetE0EEEvT1_,"axG",@progbits,_ZN7rocprim17ROCPRIM_400000_NS6detail17trampoline_kernelINS0_14default_configENS1_27scan_by_key_config_selectorIssEEZZNS1_16scan_by_key_implILNS1_25lookback_scan_determinismE0ELb0ES3_N6thrust23THRUST_200600_302600_NS6detail15normal_iteratorINS9_10device_ptrIsEEEESE_SE_sNS9_4plusIvEENS9_8equal_toIsEEsEE10hipError_tPvRmT2_T3_T4_T5_mT6_T7_P12ihipStream_tbENKUlT_T0_E_clISt17integral_constantIbLb1EESZ_EEDaSU_SV_EUlSU_E_NS1_11comp_targetILNS1_3genE4ELNS1_11target_archE910ELNS1_3gpuE8ELNS1_3repE0EEENS1_30default_config_static_selectorELNS0_4arch9wavefront6targetE0EEEvT1_,comdat
.Lfunc_end329:
	.size	_ZN7rocprim17ROCPRIM_400000_NS6detail17trampoline_kernelINS0_14default_configENS1_27scan_by_key_config_selectorIssEEZZNS1_16scan_by_key_implILNS1_25lookback_scan_determinismE0ELb0ES3_N6thrust23THRUST_200600_302600_NS6detail15normal_iteratorINS9_10device_ptrIsEEEESE_SE_sNS9_4plusIvEENS9_8equal_toIsEEsEE10hipError_tPvRmT2_T3_T4_T5_mT6_T7_P12ihipStream_tbENKUlT_T0_E_clISt17integral_constantIbLb1EESZ_EEDaSU_SV_EUlSU_E_NS1_11comp_targetILNS1_3genE4ELNS1_11target_archE910ELNS1_3gpuE8ELNS1_3repE0EEENS1_30default_config_static_selectorELNS0_4arch9wavefront6targetE0EEEvT1_, .Lfunc_end329-_ZN7rocprim17ROCPRIM_400000_NS6detail17trampoline_kernelINS0_14default_configENS1_27scan_by_key_config_selectorIssEEZZNS1_16scan_by_key_implILNS1_25lookback_scan_determinismE0ELb0ES3_N6thrust23THRUST_200600_302600_NS6detail15normal_iteratorINS9_10device_ptrIsEEEESE_SE_sNS9_4plusIvEENS9_8equal_toIsEEsEE10hipError_tPvRmT2_T3_T4_T5_mT6_T7_P12ihipStream_tbENKUlT_T0_E_clISt17integral_constantIbLb1EESZ_EEDaSU_SV_EUlSU_E_NS1_11comp_targetILNS1_3genE4ELNS1_11target_archE910ELNS1_3gpuE8ELNS1_3repE0EEENS1_30default_config_static_selectorELNS0_4arch9wavefront6targetE0EEEvT1_
                                        ; -- End function
	.set _ZN7rocprim17ROCPRIM_400000_NS6detail17trampoline_kernelINS0_14default_configENS1_27scan_by_key_config_selectorIssEEZZNS1_16scan_by_key_implILNS1_25lookback_scan_determinismE0ELb0ES3_N6thrust23THRUST_200600_302600_NS6detail15normal_iteratorINS9_10device_ptrIsEEEESE_SE_sNS9_4plusIvEENS9_8equal_toIsEEsEE10hipError_tPvRmT2_T3_T4_T5_mT6_T7_P12ihipStream_tbENKUlT_T0_E_clISt17integral_constantIbLb1EESZ_EEDaSU_SV_EUlSU_E_NS1_11comp_targetILNS1_3genE4ELNS1_11target_archE910ELNS1_3gpuE8ELNS1_3repE0EEENS1_30default_config_static_selectorELNS0_4arch9wavefront6targetE0EEEvT1_.num_vgpr, 0
	.set _ZN7rocprim17ROCPRIM_400000_NS6detail17trampoline_kernelINS0_14default_configENS1_27scan_by_key_config_selectorIssEEZZNS1_16scan_by_key_implILNS1_25lookback_scan_determinismE0ELb0ES3_N6thrust23THRUST_200600_302600_NS6detail15normal_iteratorINS9_10device_ptrIsEEEESE_SE_sNS9_4plusIvEENS9_8equal_toIsEEsEE10hipError_tPvRmT2_T3_T4_T5_mT6_T7_P12ihipStream_tbENKUlT_T0_E_clISt17integral_constantIbLb1EESZ_EEDaSU_SV_EUlSU_E_NS1_11comp_targetILNS1_3genE4ELNS1_11target_archE910ELNS1_3gpuE8ELNS1_3repE0EEENS1_30default_config_static_selectorELNS0_4arch9wavefront6targetE0EEEvT1_.num_agpr, 0
	.set _ZN7rocprim17ROCPRIM_400000_NS6detail17trampoline_kernelINS0_14default_configENS1_27scan_by_key_config_selectorIssEEZZNS1_16scan_by_key_implILNS1_25lookback_scan_determinismE0ELb0ES3_N6thrust23THRUST_200600_302600_NS6detail15normal_iteratorINS9_10device_ptrIsEEEESE_SE_sNS9_4plusIvEENS9_8equal_toIsEEsEE10hipError_tPvRmT2_T3_T4_T5_mT6_T7_P12ihipStream_tbENKUlT_T0_E_clISt17integral_constantIbLb1EESZ_EEDaSU_SV_EUlSU_E_NS1_11comp_targetILNS1_3genE4ELNS1_11target_archE910ELNS1_3gpuE8ELNS1_3repE0EEENS1_30default_config_static_selectorELNS0_4arch9wavefront6targetE0EEEvT1_.numbered_sgpr, 0
	.set _ZN7rocprim17ROCPRIM_400000_NS6detail17trampoline_kernelINS0_14default_configENS1_27scan_by_key_config_selectorIssEEZZNS1_16scan_by_key_implILNS1_25lookback_scan_determinismE0ELb0ES3_N6thrust23THRUST_200600_302600_NS6detail15normal_iteratorINS9_10device_ptrIsEEEESE_SE_sNS9_4plusIvEENS9_8equal_toIsEEsEE10hipError_tPvRmT2_T3_T4_T5_mT6_T7_P12ihipStream_tbENKUlT_T0_E_clISt17integral_constantIbLb1EESZ_EEDaSU_SV_EUlSU_E_NS1_11comp_targetILNS1_3genE4ELNS1_11target_archE910ELNS1_3gpuE8ELNS1_3repE0EEENS1_30default_config_static_selectorELNS0_4arch9wavefront6targetE0EEEvT1_.num_named_barrier, 0
	.set _ZN7rocprim17ROCPRIM_400000_NS6detail17trampoline_kernelINS0_14default_configENS1_27scan_by_key_config_selectorIssEEZZNS1_16scan_by_key_implILNS1_25lookback_scan_determinismE0ELb0ES3_N6thrust23THRUST_200600_302600_NS6detail15normal_iteratorINS9_10device_ptrIsEEEESE_SE_sNS9_4plusIvEENS9_8equal_toIsEEsEE10hipError_tPvRmT2_T3_T4_T5_mT6_T7_P12ihipStream_tbENKUlT_T0_E_clISt17integral_constantIbLb1EESZ_EEDaSU_SV_EUlSU_E_NS1_11comp_targetILNS1_3genE4ELNS1_11target_archE910ELNS1_3gpuE8ELNS1_3repE0EEENS1_30default_config_static_selectorELNS0_4arch9wavefront6targetE0EEEvT1_.private_seg_size, 0
	.set _ZN7rocprim17ROCPRIM_400000_NS6detail17trampoline_kernelINS0_14default_configENS1_27scan_by_key_config_selectorIssEEZZNS1_16scan_by_key_implILNS1_25lookback_scan_determinismE0ELb0ES3_N6thrust23THRUST_200600_302600_NS6detail15normal_iteratorINS9_10device_ptrIsEEEESE_SE_sNS9_4plusIvEENS9_8equal_toIsEEsEE10hipError_tPvRmT2_T3_T4_T5_mT6_T7_P12ihipStream_tbENKUlT_T0_E_clISt17integral_constantIbLb1EESZ_EEDaSU_SV_EUlSU_E_NS1_11comp_targetILNS1_3genE4ELNS1_11target_archE910ELNS1_3gpuE8ELNS1_3repE0EEENS1_30default_config_static_selectorELNS0_4arch9wavefront6targetE0EEEvT1_.uses_vcc, 0
	.set _ZN7rocprim17ROCPRIM_400000_NS6detail17trampoline_kernelINS0_14default_configENS1_27scan_by_key_config_selectorIssEEZZNS1_16scan_by_key_implILNS1_25lookback_scan_determinismE0ELb0ES3_N6thrust23THRUST_200600_302600_NS6detail15normal_iteratorINS9_10device_ptrIsEEEESE_SE_sNS9_4plusIvEENS9_8equal_toIsEEsEE10hipError_tPvRmT2_T3_T4_T5_mT6_T7_P12ihipStream_tbENKUlT_T0_E_clISt17integral_constantIbLb1EESZ_EEDaSU_SV_EUlSU_E_NS1_11comp_targetILNS1_3genE4ELNS1_11target_archE910ELNS1_3gpuE8ELNS1_3repE0EEENS1_30default_config_static_selectorELNS0_4arch9wavefront6targetE0EEEvT1_.uses_flat_scratch, 0
	.set _ZN7rocprim17ROCPRIM_400000_NS6detail17trampoline_kernelINS0_14default_configENS1_27scan_by_key_config_selectorIssEEZZNS1_16scan_by_key_implILNS1_25lookback_scan_determinismE0ELb0ES3_N6thrust23THRUST_200600_302600_NS6detail15normal_iteratorINS9_10device_ptrIsEEEESE_SE_sNS9_4plusIvEENS9_8equal_toIsEEsEE10hipError_tPvRmT2_T3_T4_T5_mT6_T7_P12ihipStream_tbENKUlT_T0_E_clISt17integral_constantIbLb1EESZ_EEDaSU_SV_EUlSU_E_NS1_11comp_targetILNS1_3genE4ELNS1_11target_archE910ELNS1_3gpuE8ELNS1_3repE0EEENS1_30default_config_static_selectorELNS0_4arch9wavefront6targetE0EEEvT1_.has_dyn_sized_stack, 0
	.set _ZN7rocprim17ROCPRIM_400000_NS6detail17trampoline_kernelINS0_14default_configENS1_27scan_by_key_config_selectorIssEEZZNS1_16scan_by_key_implILNS1_25lookback_scan_determinismE0ELb0ES3_N6thrust23THRUST_200600_302600_NS6detail15normal_iteratorINS9_10device_ptrIsEEEESE_SE_sNS9_4plusIvEENS9_8equal_toIsEEsEE10hipError_tPvRmT2_T3_T4_T5_mT6_T7_P12ihipStream_tbENKUlT_T0_E_clISt17integral_constantIbLb1EESZ_EEDaSU_SV_EUlSU_E_NS1_11comp_targetILNS1_3genE4ELNS1_11target_archE910ELNS1_3gpuE8ELNS1_3repE0EEENS1_30default_config_static_selectorELNS0_4arch9wavefront6targetE0EEEvT1_.has_recursion, 0
	.set _ZN7rocprim17ROCPRIM_400000_NS6detail17trampoline_kernelINS0_14default_configENS1_27scan_by_key_config_selectorIssEEZZNS1_16scan_by_key_implILNS1_25lookback_scan_determinismE0ELb0ES3_N6thrust23THRUST_200600_302600_NS6detail15normal_iteratorINS9_10device_ptrIsEEEESE_SE_sNS9_4plusIvEENS9_8equal_toIsEEsEE10hipError_tPvRmT2_T3_T4_T5_mT6_T7_P12ihipStream_tbENKUlT_T0_E_clISt17integral_constantIbLb1EESZ_EEDaSU_SV_EUlSU_E_NS1_11comp_targetILNS1_3genE4ELNS1_11target_archE910ELNS1_3gpuE8ELNS1_3repE0EEENS1_30default_config_static_selectorELNS0_4arch9wavefront6targetE0EEEvT1_.has_indirect_call, 0
	.section	.AMDGPU.csdata,"",@progbits
; Kernel info:
; codeLenInByte = 0
; TotalNumSgprs: 0
; NumVgprs: 0
; ScratchSize: 0
; MemoryBound: 0
; FloatMode: 240
; IeeeMode: 1
; LDSByteSize: 0 bytes/workgroup (compile time only)
; SGPRBlocks: 0
; VGPRBlocks: 0
; NumSGPRsForWavesPerEU: 1
; NumVGPRsForWavesPerEU: 1
; NamedBarCnt: 0
; Occupancy: 16
; WaveLimiterHint : 0
; COMPUTE_PGM_RSRC2:SCRATCH_EN: 0
; COMPUTE_PGM_RSRC2:USER_SGPR: 2
; COMPUTE_PGM_RSRC2:TRAP_HANDLER: 0
; COMPUTE_PGM_RSRC2:TGID_X_EN: 1
; COMPUTE_PGM_RSRC2:TGID_Y_EN: 0
; COMPUTE_PGM_RSRC2:TGID_Z_EN: 0
; COMPUTE_PGM_RSRC2:TIDIG_COMP_CNT: 0
	.section	.text._ZN7rocprim17ROCPRIM_400000_NS6detail17trampoline_kernelINS0_14default_configENS1_27scan_by_key_config_selectorIssEEZZNS1_16scan_by_key_implILNS1_25lookback_scan_determinismE0ELb0ES3_N6thrust23THRUST_200600_302600_NS6detail15normal_iteratorINS9_10device_ptrIsEEEESE_SE_sNS9_4plusIvEENS9_8equal_toIsEEsEE10hipError_tPvRmT2_T3_T4_T5_mT6_T7_P12ihipStream_tbENKUlT_T0_E_clISt17integral_constantIbLb1EESZ_EEDaSU_SV_EUlSU_E_NS1_11comp_targetILNS1_3genE3ELNS1_11target_archE908ELNS1_3gpuE7ELNS1_3repE0EEENS1_30default_config_static_selectorELNS0_4arch9wavefront6targetE0EEEvT1_,"axG",@progbits,_ZN7rocprim17ROCPRIM_400000_NS6detail17trampoline_kernelINS0_14default_configENS1_27scan_by_key_config_selectorIssEEZZNS1_16scan_by_key_implILNS1_25lookback_scan_determinismE0ELb0ES3_N6thrust23THRUST_200600_302600_NS6detail15normal_iteratorINS9_10device_ptrIsEEEESE_SE_sNS9_4plusIvEENS9_8equal_toIsEEsEE10hipError_tPvRmT2_T3_T4_T5_mT6_T7_P12ihipStream_tbENKUlT_T0_E_clISt17integral_constantIbLb1EESZ_EEDaSU_SV_EUlSU_E_NS1_11comp_targetILNS1_3genE3ELNS1_11target_archE908ELNS1_3gpuE7ELNS1_3repE0EEENS1_30default_config_static_selectorELNS0_4arch9wavefront6targetE0EEEvT1_,comdat
	.protected	_ZN7rocprim17ROCPRIM_400000_NS6detail17trampoline_kernelINS0_14default_configENS1_27scan_by_key_config_selectorIssEEZZNS1_16scan_by_key_implILNS1_25lookback_scan_determinismE0ELb0ES3_N6thrust23THRUST_200600_302600_NS6detail15normal_iteratorINS9_10device_ptrIsEEEESE_SE_sNS9_4plusIvEENS9_8equal_toIsEEsEE10hipError_tPvRmT2_T3_T4_T5_mT6_T7_P12ihipStream_tbENKUlT_T0_E_clISt17integral_constantIbLb1EESZ_EEDaSU_SV_EUlSU_E_NS1_11comp_targetILNS1_3genE3ELNS1_11target_archE908ELNS1_3gpuE7ELNS1_3repE0EEENS1_30default_config_static_selectorELNS0_4arch9wavefront6targetE0EEEvT1_ ; -- Begin function _ZN7rocprim17ROCPRIM_400000_NS6detail17trampoline_kernelINS0_14default_configENS1_27scan_by_key_config_selectorIssEEZZNS1_16scan_by_key_implILNS1_25lookback_scan_determinismE0ELb0ES3_N6thrust23THRUST_200600_302600_NS6detail15normal_iteratorINS9_10device_ptrIsEEEESE_SE_sNS9_4plusIvEENS9_8equal_toIsEEsEE10hipError_tPvRmT2_T3_T4_T5_mT6_T7_P12ihipStream_tbENKUlT_T0_E_clISt17integral_constantIbLb1EESZ_EEDaSU_SV_EUlSU_E_NS1_11comp_targetILNS1_3genE3ELNS1_11target_archE908ELNS1_3gpuE7ELNS1_3repE0EEENS1_30default_config_static_selectorELNS0_4arch9wavefront6targetE0EEEvT1_
	.globl	_ZN7rocprim17ROCPRIM_400000_NS6detail17trampoline_kernelINS0_14default_configENS1_27scan_by_key_config_selectorIssEEZZNS1_16scan_by_key_implILNS1_25lookback_scan_determinismE0ELb0ES3_N6thrust23THRUST_200600_302600_NS6detail15normal_iteratorINS9_10device_ptrIsEEEESE_SE_sNS9_4plusIvEENS9_8equal_toIsEEsEE10hipError_tPvRmT2_T3_T4_T5_mT6_T7_P12ihipStream_tbENKUlT_T0_E_clISt17integral_constantIbLb1EESZ_EEDaSU_SV_EUlSU_E_NS1_11comp_targetILNS1_3genE3ELNS1_11target_archE908ELNS1_3gpuE7ELNS1_3repE0EEENS1_30default_config_static_selectorELNS0_4arch9wavefront6targetE0EEEvT1_
	.p2align	8
	.type	_ZN7rocprim17ROCPRIM_400000_NS6detail17trampoline_kernelINS0_14default_configENS1_27scan_by_key_config_selectorIssEEZZNS1_16scan_by_key_implILNS1_25lookback_scan_determinismE0ELb0ES3_N6thrust23THRUST_200600_302600_NS6detail15normal_iteratorINS9_10device_ptrIsEEEESE_SE_sNS9_4plusIvEENS9_8equal_toIsEEsEE10hipError_tPvRmT2_T3_T4_T5_mT6_T7_P12ihipStream_tbENKUlT_T0_E_clISt17integral_constantIbLb1EESZ_EEDaSU_SV_EUlSU_E_NS1_11comp_targetILNS1_3genE3ELNS1_11target_archE908ELNS1_3gpuE7ELNS1_3repE0EEENS1_30default_config_static_selectorELNS0_4arch9wavefront6targetE0EEEvT1_,@function
_ZN7rocprim17ROCPRIM_400000_NS6detail17trampoline_kernelINS0_14default_configENS1_27scan_by_key_config_selectorIssEEZZNS1_16scan_by_key_implILNS1_25lookback_scan_determinismE0ELb0ES3_N6thrust23THRUST_200600_302600_NS6detail15normal_iteratorINS9_10device_ptrIsEEEESE_SE_sNS9_4plusIvEENS9_8equal_toIsEEsEE10hipError_tPvRmT2_T3_T4_T5_mT6_T7_P12ihipStream_tbENKUlT_T0_E_clISt17integral_constantIbLb1EESZ_EEDaSU_SV_EUlSU_E_NS1_11comp_targetILNS1_3genE3ELNS1_11target_archE908ELNS1_3gpuE7ELNS1_3repE0EEENS1_30default_config_static_selectorELNS0_4arch9wavefront6targetE0EEEvT1_: ; @_ZN7rocprim17ROCPRIM_400000_NS6detail17trampoline_kernelINS0_14default_configENS1_27scan_by_key_config_selectorIssEEZZNS1_16scan_by_key_implILNS1_25lookback_scan_determinismE0ELb0ES3_N6thrust23THRUST_200600_302600_NS6detail15normal_iteratorINS9_10device_ptrIsEEEESE_SE_sNS9_4plusIvEENS9_8equal_toIsEEsEE10hipError_tPvRmT2_T3_T4_T5_mT6_T7_P12ihipStream_tbENKUlT_T0_E_clISt17integral_constantIbLb1EESZ_EEDaSU_SV_EUlSU_E_NS1_11comp_targetILNS1_3genE3ELNS1_11target_archE908ELNS1_3gpuE7ELNS1_3repE0EEENS1_30default_config_static_selectorELNS0_4arch9wavefront6targetE0EEEvT1_
; %bb.0:
	.section	.rodata,"a",@progbits
	.p2align	6, 0x0
	.amdhsa_kernel _ZN7rocprim17ROCPRIM_400000_NS6detail17trampoline_kernelINS0_14default_configENS1_27scan_by_key_config_selectorIssEEZZNS1_16scan_by_key_implILNS1_25lookback_scan_determinismE0ELb0ES3_N6thrust23THRUST_200600_302600_NS6detail15normal_iteratorINS9_10device_ptrIsEEEESE_SE_sNS9_4plusIvEENS9_8equal_toIsEEsEE10hipError_tPvRmT2_T3_T4_T5_mT6_T7_P12ihipStream_tbENKUlT_T0_E_clISt17integral_constantIbLb1EESZ_EEDaSU_SV_EUlSU_E_NS1_11comp_targetILNS1_3genE3ELNS1_11target_archE908ELNS1_3gpuE7ELNS1_3repE0EEENS1_30default_config_static_selectorELNS0_4arch9wavefront6targetE0EEEvT1_
		.amdhsa_group_segment_fixed_size 0
		.amdhsa_private_segment_fixed_size 0
		.amdhsa_kernarg_size 112
		.amdhsa_user_sgpr_count 2
		.amdhsa_user_sgpr_dispatch_ptr 0
		.amdhsa_user_sgpr_queue_ptr 0
		.amdhsa_user_sgpr_kernarg_segment_ptr 1
		.amdhsa_user_sgpr_dispatch_id 0
		.amdhsa_user_sgpr_kernarg_preload_length 0
		.amdhsa_user_sgpr_kernarg_preload_offset 0
		.amdhsa_user_sgpr_private_segment_size 0
		.amdhsa_wavefront_size32 1
		.amdhsa_uses_dynamic_stack 0
		.amdhsa_enable_private_segment 0
		.amdhsa_system_sgpr_workgroup_id_x 1
		.amdhsa_system_sgpr_workgroup_id_y 0
		.amdhsa_system_sgpr_workgroup_id_z 0
		.amdhsa_system_sgpr_workgroup_info 0
		.amdhsa_system_vgpr_workitem_id 0
		.amdhsa_next_free_vgpr 1
		.amdhsa_next_free_sgpr 1
		.amdhsa_named_barrier_count 0
		.amdhsa_reserve_vcc 0
		.amdhsa_float_round_mode_32 0
		.amdhsa_float_round_mode_16_64 0
		.amdhsa_float_denorm_mode_32 3
		.amdhsa_float_denorm_mode_16_64 3
		.amdhsa_fp16_overflow 0
		.amdhsa_memory_ordered 1
		.amdhsa_forward_progress 1
		.amdhsa_inst_pref_size 0
		.amdhsa_round_robin_scheduling 0
		.amdhsa_exception_fp_ieee_invalid_op 0
		.amdhsa_exception_fp_denorm_src 0
		.amdhsa_exception_fp_ieee_div_zero 0
		.amdhsa_exception_fp_ieee_overflow 0
		.amdhsa_exception_fp_ieee_underflow 0
		.amdhsa_exception_fp_ieee_inexact 0
		.amdhsa_exception_int_div_zero 0
	.end_amdhsa_kernel
	.section	.text._ZN7rocprim17ROCPRIM_400000_NS6detail17trampoline_kernelINS0_14default_configENS1_27scan_by_key_config_selectorIssEEZZNS1_16scan_by_key_implILNS1_25lookback_scan_determinismE0ELb0ES3_N6thrust23THRUST_200600_302600_NS6detail15normal_iteratorINS9_10device_ptrIsEEEESE_SE_sNS9_4plusIvEENS9_8equal_toIsEEsEE10hipError_tPvRmT2_T3_T4_T5_mT6_T7_P12ihipStream_tbENKUlT_T0_E_clISt17integral_constantIbLb1EESZ_EEDaSU_SV_EUlSU_E_NS1_11comp_targetILNS1_3genE3ELNS1_11target_archE908ELNS1_3gpuE7ELNS1_3repE0EEENS1_30default_config_static_selectorELNS0_4arch9wavefront6targetE0EEEvT1_,"axG",@progbits,_ZN7rocprim17ROCPRIM_400000_NS6detail17trampoline_kernelINS0_14default_configENS1_27scan_by_key_config_selectorIssEEZZNS1_16scan_by_key_implILNS1_25lookback_scan_determinismE0ELb0ES3_N6thrust23THRUST_200600_302600_NS6detail15normal_iteratorINS9_10device_ptrIsEEEESE_SE_sNS9_4plusIvEENS9_8equal_toIsEEsEE10hipError_tPvRmT2_T3_T4_T5_mT6_T7_P12ihipStream_tbENKUlT_T0_E_clISt17integral_constantIbLb1EESZ_EEDaSU_SV_EUlSU_E_NS1_11comp_targetILNS1_3genE3ELNS1_11target_archE908ELNS1_3gpuE7ELNS1_3repE0EEENS1_30default_config_static_selectorELNS0_4arch9wavefront6targetE0EEEvT1_,comdat
.Lfunc_end330:
	.size	_ZN7rocprim17ROCPRIM_400000_NS6detail17trampoline_kernelINS0_14default_configENS1_27scan_by_key_config_selectorIssEEZZNS1_16scan_by_key_implILNS1_25lookback_scan_determinismE0ELb0ES3_N6thrust23THRUST_200600_302600_NS6detail15normal_iteratorINS9_10device_ptrIsEEEESE_SE_sNS9_4plusIvEENS9_8equal_toIsEEsEE10hipError_tPvRmT2_T3_T4_T5_mT6_T7_P12ihipStream_tbENKUlT_T0_E_clISt17integral_constantIbLb1EESZ_EEDaSU_SV_EUlSU_E_NS1_11comp_targetILNS1_3genE3ELNS1_11target_archE908ELNS1_3gpuE7ELNS1_3repE0EEENS1_30default_config_static_selectorELNS0_4arch9wavefront6targetE0EEEvT1_, .Lfunc_end330-_ZN7rocprim17ROCPRIM_400000_NS6detail17trampoline_kernelINS0_14default_configENS1_27scan_by_key_config_selectorIssEEZZNS1_16scan_by_key_implILNS1_25lookback_scan_determinismE0ELb0ES3_N6thrust23THRUST_200600_302600_NS6detail15normal_iteratorINS9_10device_ptrIsEEEESE_SE_sNS9_4plusIvEENS9_8equal_toIsEEsEE10hipError_tPvRmT2_T3_T4_T5_mT6_T7_P12ihipStream_tbENKUlT_T0_E_clISt17integral_constantIbLb1EESZ_EEDaSU_SV_EUlSU_E_NS1_11comp_targetILNS1_3genE3ELNS1_11target_archE908ELNS1_3gpuE7ELNS1_3repE0EEENS1_30default_config_static_selectorELNS0_4arch9wavefront6targetE0EEEvT1_
                                        ; -- End function
	.set _ZN7rocprim17ROCPRIM_400000_NS6detail17trampoline_kernelINS0_14default_configENS1_27scan_by_key_config_selectorIssEEZZNS1_16scan_by_key_implILNS1_25lookback_scan_determinismE0ELb0ES3_N6thrust23THRUST_200600_302600_NS6detail15normal_iteratorINS9_10device_ptrIsEEEESE_SE_sNS9_4plusIvEENS9_8equal_toIsEEsEE10hipError_tPvRmT2_T3_T4_T5_mT6_T7_P12ihipStream_tbENKUlT_T0_E_clISt17integral_constantIbLb1EESZ_EEDaSU_SV_EUlSU_E_NS1_11comp_targetILNS1_3genE3ELNS1_11target_archE908ELNS1_3gpuE7ELNS1_3repE0EEENS1_30default_config_static_selectorELNS0_4arch9wavefront6targetE0EEEvT1_.num_vgpr, 0
	.set _ZN7rocprim17ROCPRIM_400000_NS6detail17trampoline_kernelINS0_14default_configENS1_27scan_by_key_config_selectorIssEEZZNS1_16scan_by_key_implILNS1_25lookback_scan_determinismE0ELb0ES3_N6thrust23THRUST_200600_302600_NS6detail15normal_iteratorINS9_10device_ptrIsEEEESE_SE_sNS9_4plusIvEENS9_8equal_toIsEEsEE10hipError_tPvRmT2_T3_T4_T5_mT6_T7_P12ihipStream_tbENKUlT_T0_E_clISt17integral_constantIbLb1EESZ_EEDaSU_SV_EUlSU_E_NS1_11comp_targetILNS1_3genE3ELNS1_11target_archE908ELNS1_3gpuE7ELNS1_3repE0EEENS1_30default_config_static_selectorELNS0_4arch9wavefront6targetE0EEEvT1_.num_agpr, 0
	.set _ZN7rocprim17ROCPRIM_400000_NS6detail17trampoline_kernelINS0_14default_configENS1_27scan_by_key_config_selectorIssEEZZNS1_16scan_by_key_implILNS1_25lookback_scan_determinismE0ELb0ES3_N6thrust23THRUST_200600_302600_NS6detail15normal_iteratorINS9_10device_ptrIsEEEESE_SE_sNS9_4plusIvEENS9_8equal_toIsEEsEE10hipError_tPvRmT2_T3_T4_T5_mT6_T7_P12ihipStream_tbENKUlT_T0_E_clISt17integral_constantIbLb1EESZ_EEDaSU_SV_EUlSU_E_NS1_11comp_targetILNS1_3genE3ELNS1_11target_archE908ELNS1_3gpuE7ELNS1_3repE0EEENS1_30default_config_static_selectorELNS0_4arch9wavefront6targetE0EEEvT1_.numbered_sgpr, 0
	.set _ZN7rocprim17ROCPRIM_400000_NS6detail17trampoline_kernelINS0_14default_configENS1_27scan_by_key_config_selectorIssEEZZNS1_16scan_by_key_implILNS1_25lookback_scan_determinismE0ELb0ES3_N6thrust23THRUST_200600_302600_NS6detail15normal_iteratorINS9_10device_ptrIsEEEESE_SE_sNS9_4plusIvEENS9_8equal_toIsEEsEE10hipError_tPvRmT2_T3_T4_T5_mT6_T7_P12ihipStream_tbENKUlT_T0_E_clISt17integral_constantIbLb1EESZ_EEDaSU_SV_EUlSU_E_NS1_11comp_targetILNS1_3genE3ELNS1_11target_archE908ELNS1_3gpuE7ELNS1_3repE0EEENS1_30default_config_static_selectorELNS0_4arch9wavefront6targetE0EEEvT1_.num_named_barrier, 0
	.set _ZN7rocprim17ROCPRIM_400000_NS6detail17trampoline_kernelINS0_14default_configENS1_27scan_by_key_config_selectorIssEEZZNS1_16scan_by_key_implILNS1_25lookback_scan_determinismE0ELb0ES3_N6thrust23THRUST_200600_302600_NS6detail15normal_iteratorINS9_10device_ptrIsEEEESE_SE_sNS9_4plusIvEENS9_8equal_toIsEEsEE10hipError_tPvRmT2_T3_T4_T5_mT6_T7_P12ihipStream_tbENKUlT_T0_E_clISt17integral_constantIbLb1EESZ_EEDaSU_SV_EUlSU_E_NS1_11comp_targetILNS1_3genE3ELNS1_11target_archE908ELNS1_3gpuE7ELNS1_3repE0EEENS1_30default_config_static_selectorELNS0_4arch9wavefront6targetE0EEEvT1_.private_seg_size, 0
	.set _ZN7rocprim17ROCPRIM_400000_NS6detail17trampoline_kernelINS0_14default_configENS1_27scan_by_key_config_selectorIssEEZZNS1_16scan_by_key_implILNS1_25lookback_scan_determinismE0ELb0ES3_N6thrust23THRUST_200600_302600_NS6detail15normal_iteratorINS9_10device_ptrIsEEEESE_SE_sNS9_4plusIvEENS9_8equal_toIsEEsEE10hipError_tPvRmT2_T3_T4_T5_mT6_T7_P12ihipStream_tbENKUlT_T0_E_clISt17integral_constantIbLb1EESZ_EEDaSU_SV_EUlSU_E_NS1_11comp_targetILNS1_3genE3ELNS1_11target_archE908ELNS1_3gpuE7ELNS1_3repE0EEENS1_30default_config_static_selectorELNS0_4arch9wavefront6targetE0EEEvT1_.uses_vcc, 0
	.set _ZN7rocprim17ROCPRIM_400000_NS6detail17trampoline_kernelINS0_14default_configENS1_27scan_by_key_config_selectorIssEEZZNS1_16scan_by_key_implILNS1_25lookback_scan_determinismE0ELb0ES3_N6thrust23THRUST_200600_302600_NS6detail15normal_iteratorINS9_10device_ptrIsEEEESE_SE_sNS9_4plusIvEENS9_8equal_toIsEEsEE10hipError_tPvRmT2_T3_T4_T5_mT6_T7_P12ihipStream_tbENKUlT_T0_E_clISt17integral_constantIbLb1EESZ_EEDaSU_SV_EUlSU_E_NS1_11comp_targetILNS1_3genE3ELNS1_11target_archE908ELNS1_3gpuE7ELNS1_3repE0EEENS1_30default_config_static_selectorELNS0_4arch9wavefront6targetE0EEEvT1_.uses_flat_scratch, 0
	.set _ZN7rocprim17ROCPRIM_400000_NS6detail17trampoline_kernelINS0_14default_configENS1_27scan_by_key_config_selectorIssEEZZNS1_16scan_by_key_implILNS1_25lookback_scan_determinismE0ELb0ES3_N6thrust23THRUST_200600_302600_NS6detail15normal_iteratorINS9_10device_ptrIsEEEESE_SE_sNS9_4plusIvEENS9_8equal_toIsEEsEE10hipError_tPvRmT2_T3_T4_T5_mT6_T7_P12ihipStream_tbENKUlT_T0_E_clISt17integral_constantIbLb1EESZ_EEDaSU_SV_EUlSU_E_NS1_11comp_targetILNS1_3genE3ELNS1_11target_archE908ELNS1_3gpuE7ELNS1_3repE0EEENS1_30default_config_static_selectorELNS0_4arch9wavefront6targetE0EEEvT1_.has_dyn_sized_stack, 0
	.set _ZN7rocprim17ROCPRIM_400000_NS6detail17trampoline_kernelINS0_14default_configENS1_27scan_by_key_config_selectorIssEEZZNS1_16scan_by_key_implILNS1_25lookback_scan_determinismE0ELb0ES3_N6thrust23THRUST_200600_302600_NS6detail15normal_iteratorINS9_10device_ptrIsEEEESE_SE_sNS9_4plusIvEENS9_8equal_toIsEEsEE10hipError_tPvRmT2_T3_T4_T5_mT6_T7_P12ihipStream_tbENKUlT_T0_E_clISt17integral_constantIbLb1EESZ_EEDaSU_SV_EUlSU_E_NS1_11comp_targetILNS1_3genE3ELNS1_11target_archE908ELNS1_3gpuE7ELNS1_3repE0EEENS1_30default_config_static_selectorELNS0_4arch9wavefront6targetE0EEEvT1_.has_recursion, 0
	.set _ZN7rocprim17ROCPRIM_400000_NS6detail17trampoline_kernelINS0_14default_configENS1_27scan_by_key_config_selectorIssEEZZNS1_16scan_by_key_implILNS1_25lookback_scan_determinismE0ELb0ES3_N6thrust23THRUST_200600_302600_NS6detail15normal_iteratorINS9_10device_ptrIsEEEESE_SE_sNS9_4plusIvEENS9_8equal_toIsEEsEE10hipError_tPvRmT2_T3_T4_T5_mT6_T7_P12ihipStream_tbENKUlT_T0_E_clISt17integral_constantIbLb1EESZ_EEDaSU_SV_EUlSU_E_NS1_11comp_targetILNS1_3genE3ELNS1_11target_archE908ELNS1_3gpuE7ELNS1_3repE0EEENS1_30default_config_static_selectorELNS0_4arch9wavefront6targetE0EEEvT1_.has_indirect_call, 0
	.section	.AMDGPU.csdata,"",@progbits
; Kernel info:
; codeLenInByte = 0
; TotalNumSgprs: 0
; NumVgprs: 0
; ScratchSize: 0
; MemoryBound: 0
; FloatMode: 240
; IeeeMode: 1
; LDSByteSize: 0 bytes/workgroup (compile time only)
; SGPRBlocks: 0
; VGPRBlocks: 0
; NumSGPRsForWavesPerEU: 1
; NumVGPRsForWavesPerEU: 1
; NamedBarCnt: 0
; Occupancy: 16
; WaveLimiterHint : 0
; COMPUTE_PGM_RSRC2:SCRATCH_EN: 0
; COMPUTE_PGM_RSRC2:USER_SGPR: 2
; COMPUTE_PGM_RSRC2:TRAP_HANDLER: 0
; COMPUTE_PGM_RSRC2:TGID_X_EN: 1
; COMPUTE_PGM_RSRC2:TGID_Y_EN: 0
; COMPUTE_PGM_RSRC2:TGID_Z_EN: 0
; COMPUTE_PGM_RSRC2:TIDIG_COMP_CNT: 0
	.section	.text._ZN7rocprim17ROCPRIM_400000_NS6detail17trampoline_kernelINS0_14default_configENS1_27scan_by_key_config_selectorIssEEZZNS1_16scan_by_key_implILNS1_25lookback_scan_determinismE0ELb0ES3_N6thrust23THRUST_200600_302600_NS6detail15normal_iteratorINS9_10device_ptrIsEEEESE_SE_sNS9_4plusIvEENS9_8equal_toIsEEsEE10hipError_tPvRmT2_T3_T4_T5_mT6_T7_P12ihipStream_tbENKUlT_T0_E_clISt17integral_constantIbLb1EESZ_EEDaSU_SV_EUlSU_E_NS1_11comp_targetILNS1_3genE2ELNS1_11target_archE906ELNS1_3gpuE6ELNS1_3repE0EEENS1_30default_config_static_selectorELNS0_4arch9wavefront6targetE0EEEvT1_,"axG",@progbits,_ZN7rocprim17ROCPRIM_400000_NS6detail17trampoline_kernelINS0_14default_configENS1_27scan_by_key_config_selectorIssEEZZNS1_16scan_by_key_implILNS1_25lookback_scan_determinismE0ELb0ES3_N6thrust23THRUST_200600_302600_NS6detail15normal_iteratorINS9_10device_ptrIsEEEESE_SE_sNS9_4plusIvEENS9_8equal_toIsEEsEE10hipError_tPvRmT2_T3_T4_T5_mT6_T7_P12ihipStream_tbENKUlT_T0_E_clISt17integral_constantIbLb1EESZ_EEDaSU_SV_EUlSU_E_NS1_11comp_targetILNS1_3genE2ELNS1_11target_archE906ELNS1_3gpuE6ELNS1_3repE0EEENS1_30default_config_static_selectorELNS0_4arch9wavefront6targetE0EEEvT1_,comdat
	.protected	_ZN7rocprim17ROCPRIM_400000_NS6detail17trampoline_kernelINS0_14default_configENS1_27scan_by_key_config_selectorIssEEZZNS1_16scan_by_key_implILNS1_25lookback_scan_determinismE0ELb0ES3_N6thrust23THRUST_200600_302600_NS6detail15normal_iteratorINS9_10device_ptrIsEEEESE_SE_sNS9_4plusIvEENS9_8equal_toIsEEsEE10hipError_tPvRmT2_T3_T4_T5_mT6_T7_P12ihipStream_tbENKUlT_T0_E_clISt17integral_constantIbLb1EESZ_EEDaSU_SV_EUlSU_E_NS1_11comp_targetILNS1_3genE2ELNS1_11target_archE906ELNS1_3gpuE6ELNS1_3repE0EEENS1_30default_config_static_selectorELNS0_4arch9wavefront6targetE0EEEvT1_ ; -- Begin function _ZN7rocprim17ROCPRIM_400000_NS6detail17trampoline_kernelINS0_14default_configENS1_27scan_by_key_config_selectorIssEEZZNS1_16scan_by_key_implILNS1_25lookback_scan_determinismE0ELb0ES3_N6thrust23THRUST_200600_302600_NS6detail15normal_iteratorINS9_10device_ptrIsEEEESE_SE_sNS9_4plusIvEENS9_8equal_toIsEEsEE10hipError_tPvRmT2_T3_T4_T5_mT6_T7_P12ihipStream_tbENKUlT_T0_E_clISt17integral_constantIbLb1EESZ_EEDaSU_SV_EUlSU_E_NS1_11comp_targetILNS1_3genE2ELNS1_11target_archE906ELNS1_3gpuE6ELNS1_3repE0EEENS1_30default_config_static_selectorELNS0_4arch9wavefront6targetE0EEEvT1_
	.globl	_ZN7rocprim17ROCPRIM_400000_NS6detail17trampoline_kernelINS0_14default_configENS1_27scan_by_key_config_selectorIssEEZZNS1_16scan_by_key_implILNS1_25lookback_scan_determinismE0ELb0ES3_N6thrust23THRUST_200600_302600_NS6detail15normal_iteratorINS9_10device_ptrIsEEEESE_SE_sNS9_4plusIvEENS9_8equal_toIsEEsEE10hipError_tPvRmT2_T3_T4_T5_mT6_T7_P12ihipStream_tbENKUlT_T0_E_clISt17integral_constantIbLb1EESZ_EEDaSU_SV_EUlSU_E_NS1_11comp_targetILNS1_3genE2ELNS1_11target_archE906ELNS1_3gpuE6ELNS1_3repE0EEENS1_30default_config_static_selectorELNS0_4arch9wavefront6targetE0EEEvT1_
	.p2align	8
	.type	_ZN7rocprim17ROCPRIM_400000_NS6detail17trampoline_kernelINS0_14default_configENS1_27scan_by_key_config_selectorIssEEZZNS1_16scan_by_key_implILNS1_25lookback_scan_determinismE0ELb0ES3_N6thrust23THRUST_200600_302600_NS6detail15normal_iteratorINS9_10device_ptrIsEEEESE_SE_sNS9_4plusIvEENS9_8equal_toIsEEsEE10hipError_tPvRmT2_T3_T4_T5_mT6_T7_P12ihipStream_tbENKUlT_T0_E_clISt17integral_constantIbLb1EESZ_EEDaSU_SV_EUlSU_E_NS1_11comp_targetILNS1_3genE2ELNS1_11target_archE906ELNS1_3gpuE6ELNS1_3repE0EEENS1_30default_config_static_selectorELNS0_4arch9wavefront6targetE0EEEvT1_,@function
_ZN7rocprim17ROCPRIM_400000_NS6detail17trampoline_kernelINS0_14default_configENS1_27scan_by_key_config_selectorIssEEZZNS1_16scan_by_key_implILNS1_25lookback_scan_determinismE0ELb0ES3_N6thrust23THRUST_200600_302600_NS6detail15normal_iteratorINS9_10device_ptrIsEEEESE_SE_sNS9_4plusIvEENS9_8equal_toIsEEsEE10hipError_tPvRmT2_T3_T4_T5_mT6_T7_P12ihipStream_tbENKUlT_T0_E_clISt17integral_constantIbLb1EESZ_EEDaSU_SV_EUlSU_E_NS1_11comp_targetILNS1_3genE2ELNS1_11target_archE906ELNS1_3gpuE6ELNS1_3repE0EEENS1_30default_config_static_selectorELNS0_4arch9wavefront6targetE0EEEvT1_: ; @_ZN7rocprim17ROCPRIM_400000_NS6detail17trampoline_kernelINS0_14default_configENS1_27scan_by_key_config_selectorIssEEZZNS1_16scan_by_key_implILNS1_25lookback_scan_determinismE0ELb0ES3_N6thrust23THRUST_200600_302600_NS6detail15normal_iteratorINS9_10device_ptrIsEEEESE_SE_sNS9_4plusIvEENS9_8equal_toIsEEsEE10hipError_tPvRmT2_T3_T4_T5_mT6_T7_P12ihipStream_tbENKUlT_T0_E_clISt17integral_constantIbLb1EESZ_EEDaSU_SV_EUlSU_E_NS1_11comp_targetILNS1_3genE2ELNS1_11target_archE906ELNS1_3gpuE6ELNS1_3repE0EEENS1_30default_config_static_selectorELNS0_4arch9wavefront6targetE0EEEvT1_
; %bb.0:
	.section	.rodata,"a",@progbits
	.p2align	6, 0x0
	.amdhsa_kernel _ZN7rocprim17ROCPRIM_400000_NS6detail17trampoline_kernelINS0_14default_configENS1_27scan_by_key_config_selectorIssEEZZNS1_16scan_by_key_implILNS1_25lookback_scan_determinismE0ELb0ES3_N6thrust23THRUST_200600_302600_NS6detail15normal_iteratorINS9_10device_ptrIsEEEESE_SE_sNS9_4plusIvEENS9_8equal_toIsEEsEE10hipError_tPvRmT2_T3_T4_T5_mT6_T7_P12ihipStream_tbENKUlT_T0_E_clISt17integral_constantIbLb1EESZ_EEDaSU_SV_EUlSU_E_NS1_11comp_targetILNS1_3genE2ELNS1_11target_archE906ELNS1_3gpuE6ELNS1_3repE0EEENS1_30default_config_static_selectorELNS0_4arch9wavefront6targetE0EEEvT1_
		.amdhsa_group_segment_fixed_size 0
		.amdhsa_private_segment_fixed_size 0
		.amdhsa_kernarg_size 112
		.amdhsa_user_sgpr_count 2
		.amdhsa_user_sgpr_dispatch_ptr 0
		.amdhsa_user_sgpr_queue_ptr 0
		.amdhsa_user_sgpr_kernarg_segment_ptr 1
		.amdhsa_user_sgpr_dispatch_id 0
		.amdhsa_user_sgpr_kernarg_preload_length 0
		.amdhsa_user_sgpr_kernarg_preload_offset 0
		.amdhsa_user_sgpr_private_segment_size 0
		.amdhsa_wavefront_size32 1
		.amdhsa_uses_dynamic_stack 0
		.amdhsa_enable_private_segment 0
		.amdhsa_system_sgpr_workgroup_id_x 1
		.amdhsa_system_sgpr_workgroup_id_y 0
		.amdhsa_system_sgpr_workgroup_id_z 0
		.amdhsa_system_sgpr_workgroup_info 0
		.amdhsa_system_vgpr_workitem_id 0
		.amdhsa_next_free_vgpr 1
		.amdhsa_next_free_sgpr 1
		.amdhsa_named_barrier_count 0
		.amdhsa_reserve_vcc 0
		.amdhsa_float_round_mode_32 0
		.amdhsa_float_round_mode_16_64 0
		.amdhsa_float_denorm_mode_32 3
		.amdhsa_float_denorm_mode_16_64 3
		.amdhsa_fp16_overflow 0
		.amdhsa_memory_ordered 1
		.amdhsa_forward_progress 1
		.amdhsa_inst_pref_size 0
		.amdhsa_round_robin_scheduling 0
		.amdhsa_exception_fp_ieee_invalid_op 0
		.amdhsa_exception_fp_denorm_src 0
		.amdhsa_exception_fp_ieee_div_zero 0
		.amdhsa_exception_fp_ieee_overflow 0
		.amdhsa_exception_fp_ieee_underflow 0
		.amdhsa_exception_fp_ieee_inexact 0
		.amdhsa_exception_int_div_zero 0
	.end_amdhsa_kernel
	.section	.text._ZN7rocprim17ROCPRIM_400000_NS6detail17trampoline_kernelINS0_14default_configENS1_27scan_by_key_config_selectorIssEEZZNS1_16scan_by_key_implILNS1_25lookback_scan_determinismE0ELb0ES3_N6thrust23THRUST_200600_302600_NS6detail15normal_iteratorINS9_10device_ptrIsEEEESE_SE_sNS9_4plusIvEENS9_8equal_toIsEEsEE10hipError_tPvRmT2_T3_T4_T5_mT6_T7_P12ihipStream_tbENKUlT_T0_E_clISt17integral_constantIbLb1EESZ_EEDaSU_SV_EUlSU_E_NS1_11comp_targetILNS1_3genE2ELNS1_11target_archE906ELNS1_3gpuE6ELNS1_3repE0EEENS1_30default_config_static_selectorELNS0_4arch9wavefront6targetE0EEEvT1_,"axG",@progbits,_ZN7rocprim17ROCPRIM_400000_NS6detail17trampoline_kernelINS0_14default_configENS1_27scan_by_key_config_selectorIssEEZZNS1_16scan_by_key_implILNS1_25lookback_scan_determinismE0ELb0ES3_N6thrust23THRUST_200600_302600_NS6detail15normal_iteratorINS9_10device_ptrIsEEEESE_SE_sNS9_4plusIvEENS9_8equal_toIsEEsEE10hipError_tPvRmT2_T3_T4_T5_mT6_T7_P12ihipStream_tbENKUlT_T0_E_clISt17integral_constantIbLb1EESZ_EEDaSU_SV_EUlSU_E_NS1_11comp_targetILNS1_3genE2ELNS1_11target_archE906ELNS1_3gpuE6ELNS1_3repE0EEENS1_30default_config_static_selectorELNS0_4arch9wavefront6targetE0EEEvT1_,comdat
.Lfunc_end331:
	.size	_ZN7rocprim17ROCPRIM_400000_NS6detail17trampoline_kernelINS0_14default_configENS1_27scan_by_key_config_selectorIssEEZZNS1_16scan_by_key_implILNS1_25lookback_scan_determinismE0ELb0ES3_N6thrust23THRUST_200600_302600_NS6detail15normal_iteratorINS9_10device_ptrIsEEEESE_SE_sNS9_4plusIvEENS9_8equal_toIsEEsEE10hipError_tPvRmT2_T3_T4_T5_mT6_T7_P12ihipStream_tbENKUlT_T0_E_clISt17integral_constantIbLb1EESZ_EEDaSU_SV_EUlSU_E_NS1_11comp_targetILNS1_3genE2ELNS1_11target_archE906ELNS1_3gpuE6ELNS1_3repE0EEENS1_30default_config_static_selectorELNS0_4arch9wavefront6targetE0EEEvT1_, .Lfunc_end331-_ZN7rocprim17ROCPRIM_400000_NS6detail17trampoline_kernelINS0_14default_configENS1_27scan_by_key_config_selectorIssEEZZNS1_16scan_by_key_implILNS1_25lookback_scan_determinismE0ELb0ES3_N6thrust23THRUST_200600_302600_NS6detail15normal_iteratorINS9_10device_ptrIsEEEESE_SE_sNS9_4plusIvEENS9_8equal_toIsEEsEE10hipError_tPvRmT2_T3_T4_T5_mT6_T7_P12ihipStream_tbENKUlT_T0_E_clISt17integral_constantIbLb1EESZ_EEDaSU_SV_EUlSU_E_NS1_11comp_targetILNS1_3genE2ELNS1_11target_archE906ELNS1_3gpuE6ELNS1_3repE0EEENS1_30default_config_static_selectorELNS0_4arch9wavefront6targetE0EEEvT1_
                                        ; -- End function
	.set _ZN7rocprim17ROCPRIM_400000_NS6detail17trampoline_kernelINS0_14default_configENS1_27scan_by_key_config_selectorIssEEZZNS1_16scan_by_key_implILNS1_25lookback_scan_determinismE0ELb0ES3_N6thrust23THRUST_200600_302600_NS6detail15normal_iteratorINS9_10device_ptrIsEEEESE_SE_sNS9_4plusIvEENS9_8equal_toIsEEsEE10hipError_tPvRmT2_T3_T4_T5_mT6_T7_P12ihipStream_tbENKUlT_T0_E_clISt17integral_constantIbLb1EESZ_EEDaSU_SV_EUlSU_E_NS1_11comp_targetILNS1_3genE2ELNS1_11target_archE906ELNS1_3gpuE6ELNS1_3repE0EEENS1_30default_config_static_selectorELNS0_4arch9wavefront6targetE0EEEvT1_.num_vgpr, 0
	.set _ZN7rocprim17ROCPRIM_400000_NS6detail17trampoline_kernelINS0_14default_configENS1_27scan_by_key_config_selectorIssEEZZNS1_16scan_by_key_implILNS1_25lookback_scan_determinismE0ELb0ES3_N6thrust23THRUST_200600_302600_NS6detail15normal_iteratorINS9_10device_ptrIsEEEESE_SE_sNS9_4plusIvEENS9_8equal_toIsEEsEE10hipError_tPvRmT2_T3_T4_T5_mT6_T7_P12ihipStream_tbENKUlT_T0_E_clISt17integral_constantIbLb1EESZ_EEDaSU_SV_EUlSU_E_NS1_11comp_targetILNS1_3genE2ELNS1_11target_archE906ELNS1_3gpuE6ELNS1_3repE0EEENS1_30default_config_static_selectorELNS0_4arch9wavefront6targetE0EEEvT1_.num_agpr, 0
	.set _ZN7rocprim17ROCPRIM_400000_NS6detail17trampoline_kernelINS0_14default_configENS1_27scan_by_key_config_selectorIssEEZZNS1_16scan_by_key_implILNS1_25lookback_scan_determinismE0ELb0ES3_N6thrust23THRUST_200600_302600_NS6detail15normal_iteratorINS9_10device_ptrIsEEEESE_SE_sNS9_4plusIvEENS9_8equal_toIsEEsEE10hipError_tPvRmT2_T3_T4_T5_mT6_T7_P12ihipStream_tbENKUlT_T0_E_clISt17integral_constantIbLb1EESZ_EEDaSU_SV_EUlSU_E_NS1_11comp_targetILNS1_3genE2ELNS1_11target_archE906ELNS1_3gpuE6ELNS1_3repE0EEENS1_30default_config_static_selectorELNS0_4arch9wavefront6targetE0EEEvT1_.numbered_sgpr, 0
	.set _ZN7rocprim17ROCPRIM_400000_NS6detail17trampoline_kernelINS0_14default_configENS1_27scan_by_key_config_selectorIssEEZZNS1_16scan_by_key_implILNS1_25lookback_scan_determinismE0ELb0ES3_N6thrust23THRUST_200600_302600_NS6detail15normal_iteratorINS9_10device_ptrIsEEEESE_SE_sNS9_4plusIvEENS9_8equal_toIsEEsEE10hipError_tPvRmT2_T3_T4_T5_mT6_T7_P12ihipStream_tbENKUlT_T0_E_clISt17integral_constantIbLb1EESZ_EEDaSU_SV_EUlSU_E_NS1_11comp_targetILNS1_3genE2ELNS1_11target_archE906ELNS1_3gpuE6ELNS1_3repE0EEENS1_30default_config_static_selectorELNS0_4arch9wavefront6targetE0EEEvT1_.num_named_barrier, 0
	.set _ZN7rocprim17ROCPRIM_400000_NS6detail17trampoline_kernelINS0_14default_configENS1_27scan_by_key_config_selectorIssEEZZNS1_16scan_by_key_implILNS1_25lookback_scan_determinismE0ELb0ES3_N6thrust23THRUST_200600_302600_NS6detail15normal_iteratorINS9_10device_ptrIsEEEESE_SE_sNS9_4plusIvEENS9_8equal_toIsEEsEE10hipError_tPvRmT2_T3_T4_T5_mT6_T7_P12ihipStream_tbENKUlT_T0_E_clISt17integral_constantIbLb1EESZ_EEDaSU_SV_EUlSU_E_NS1_11comp_targetILNS1_3genE2ELNS1_11target_archE906ELNS1_3gpuE6ELNS1_3repE0EEENS1_30default_config_static_selectorELNS0_4arch9wavefront6targetE0EEEvT1_.private_seg_size, 0
	.set _ZN7rocprim17ROCPRIM_400000_NS6detail17trampoline_kernelINS0_14default_configENS1_27scan_by_key_config_selectorIssEEZZNS1_16scan_by_key_implILNS1_25lookback_scan_determinismE0ELb0ES3_N6thrust23THRUST_200600_302600_NS6detail15normal_iteratorINS9_10device_ptrIsEEEESE_SE_sNS9_4plusIvEENS9_8equal_toIsEEsEE10hipError_tPvRmT2_T3_T4_T5_mT6_T7_P12ihipStream_tbENKUlT_T0_E_clISt17integral_constantIbLb1EESZ_EEDaSU_SV_EUlSU_E_NS1_11comp_targetILNS1_3genE2ELNS1_11target_archE906ELNS1_3gpuE6ELNS1_3repE0EEENS1_30default_config_static_selectorELNS0_4arch9wavefront6targetE0EEEvT1_.uses_vcc, 0
	.set _ZN7rocprim17ROCPRIM_400000_NS6detail17trampoline_kernelINS0_14default_configENS1_27scan_by_key_config_selectorIssEEZZNS1_16scan_by_key_implILNS1_25lookback_scan_determinismE0ELb0ES3_N6thrust23THRUST_200600_302600_NS6detail15normal_iteratorINS9_10device_ptrIsEEEESE_SE_sNS9_4plusIvEENS9_8equal_toIsEEsEE10hipError_tPvRmT2_T3_T4_T5_mT6_T7_P12ihipStream_tbENKUlT_T0_E_clISt17integral_constantIbLb1EESZ_EEDaSU_SV_EUlSU_E_NS1_11comp_targetILNS1_3genE2ELNS1_11target_archE906ELNS1_3gpuE6ELNS1_3repE0EEENS1_30default_config_static_selectorELNS0_4arch9wavefront6targetE0EEEvT1_.uses_flat_scratch, 0
	.set _ZN7rocprim17ROCPRIM_400000_NS6detail17trampoline_kernelINS0_14default_configENS1_27scan_by_key_config_selectorIssEEZZNS1_16scan_by_key_implILNS1_25lookback_scan_determinismE0ELb0ES3_N6thrust23THRUST_200600_302600_NS6detail15normal_iteratorINS9_10device_ptrIsEEEESE_SE_sNS9_4plusIvEENS9_8equal_toIsEEsEE10hipError_tPvRmT2_T3_T4_T5_mT6_T7_P12ihipStream_tbENKUlT_T0_E_clISt17integral_constantIbLb1EESZ_EEDaSU_SV_EUlSU_E_NS1_11comp_targetILNS1_3genE2ELNS1_11target_archE906ELNS1_3gpuE6ELNS1_3repE0EEENS1_30default_config_static_selectorELNS0_4arch9wavefront6targetE0EEEvT1_.has_dyn_sized_stack, 0
	.set _ZN7rocprim17ROCPRIM_400000_NS6detail17trampoline_kernelINS0_14default_configENS1_27scan_by_key_config_selectorIssEEZZNS1_16scan_by_key_implILNS1_25lookback_scan_determinismE0ELb0ES3_N6thrust23THRUST_200600_302600_NS6detail15normal_iteratorINS9_10device_ptrIsEEEESE_SE_sNS9_4plusIvEENS9_8equal_toIsEEsEE10hipError_tPvRmT2_T3_T4_T5_mT6_T7_P12ihipStream_tbENKUlT_T0_E_clISt17integral_constantIbLb1EESZ_EEDaSU_SV_EUlSU_E_NS1_11comp_targetILNS1_3genE2ELNS1_11target_archE906ELNS1_3gpuE6ELNS1_3repE0EEENS1_30default_config_static_selectorELNS0_4arch9wavefront6targetE0EEEvT1_.has_recursion, 0
	.set _ZN7rocprim17ROCPRIM_400000_NS6detail17trampoline_kernelINS0_14default_configENS1_27scan_by_key_config_selectorIssEEZZNS1_16scan_by_key_implILNS1_25lookback_scan_determinismE0ELb0ES3_N6thrust23THRUST_200600_302600_NS6detail15normal_iteratorINS9_10device_ptrIsEEEESE_SE_sNS9_4plusIvEENS9_8equal_toIsEEsEE10hipError_tPvRmT2_T3_T4_T5_mT6_T7_P12ihipStream_tbENKUlT_T0_E_clISt17integral_constantIbLb1EESZ_EEDaSU_SV_EUlSU_E_NS1_11comp_targetILNS1_3genE2ELNS1_11target_archE906ELNS1_3gpuE6ELNS1_3repE0EEENS1_30default_config_static_selectorELNS0_4arch9wavefront6targetE0EEEvT1_.has_indirect_call, 0
	.section	.AMDGPU.csdata,"",@progbits
; Kernel info:
; codeLenInByte = 0
; TotalNumSgprs: 0
; NumVgprs: 0
; ScratchSize: 0
; MemoryBound: 0
; FloatMode: 240
; IeeeMode: 1
; LDSByteSize: 0 bytes/workgroup (compile time only)
; SGPRBlocks: 0
; VGPRBlocks: 0
; NumSGPRsForWavesPerEU: 1
; NumVGPRsForWavesPerEU: 1
; NamedBarCnt: 0
; Occupancy: 16
; WaveLimiterHint : 0
; COMPUTE_PGM_RSRC2:SCRATCH_EN: 0
; COMPUTE_PGM_RSRC2:USER_SGPR: 2
; COMPUTE_PGM_RSRC2:TRAP_HANDLER: 0
; COMPUTE_PGM_RSRC2:TGID_X_EN: 1
; COMPUTE_PGM_RSRC2:TGID_Y_EN: 0
; COMPUTE_PGM_RSRC2:TGID_Z_EN: 0
; COMPUTE_PGM_RSRC2:TIDIG_COMP_CNT: 0
	.section	.text._ZN7rocprim17ROCPRIM_400000_NS6detail17trampoline_kernelINS0_14default_configENS1_27scan_by_key_config_selectorIssEEZZNS1_16scan_by_key_implILNS1_25lookback_scan_determinismE0ELb0ES3_N6thrust23THRUST_200600_302600_NS6detail15normal_iteratorINS9_10device_ptrIsEEEESE_SE_sNS9_4plusIvEENS9_8equal_toIsEEsEE10hipError_tPvRmT2_T3_T4_T5_mT6_T7_P12ihipStream_tbENKUlT_T0_E_clISt17integral_constantIbLb1EESZ_EEDaSU_SV_EUlSU_E_NS1_11comp_targetILNS1_3genE10ELNS1_11target_archE1200ELNS1_3gpuE4ELNS1_3repE0EEENS1_30default_config_static_selectorELNS0_4arch9wavefront6targetE0EEEvT1_,"axG",@progbits,_ZN7rocprim17ROCPRIM_400000_NS6detail17trampoline_kernelINS0_14default_configENS1_27scan_by_key_config_selectorIssEEZZNS1_16scan_by_key_implILNS1_25lookback_scan_determinismE0ELb0ES3_N6thrust23THRUST_200600_302600_NS6detail15normal_iteratorINS9_10device_ptrIsEEEESE_SE_sNS9_4plusIvEENS9_8equal_toIsEEsEE10hipError_tPvRmT2_T3_T4_T5_mT6_T7_P12ihipStream_tbENKUlT_T0_E_clISt17integral_constantIbLb1EESZ_EEDaSU_SV_EUlSU_E_NS1_11comp_targetILNS1_3genE10ELNS1_11target_archE1200ELNS1_3gpuE4ELNS1_3repE0EEENS1_30default_config_static_selectorELNS0_4arch9wavefront6targetE0EEEvT1_,comdat
	.protected	_ZN7rocprim17ROCPRIM_400000_NS6detail17trampoline_kernelINS0_14default_configENS1_27scan_by_key_config_selectorIssEEZZNS1_16scan_by_key_implILNS1_25lookback_scan_determinismE0ELb0ES3_N6thrust23THRUST_200600_302600_NS6detail15normal_iteratorINS9_10device_ptrIsEEEESE_SE_sNS9_4plusIvEENS9_8equal_toIsEEsEE10hipError_tPvRmT2_T3_T4_T5_mT6_T7_P12ihipStream_tbENKUlT_T0_E_clISt17integral_constantIbLb1EESZ_EEDaSU_SV_EUlSU_E_NS1_11comp_targetILNS1_3genE10ELNS1_11target_archE1200ELNS1_3gpuE4ELNS1_3repE0EEENS1_30default_config_static_selectorELNS0_4arch9wavefront6targetE0EEEvT1_ ; -- Begin function _ZN7rocprim17ROCPRIM_400000_NS6detail17trampoline_kernelINS0_14default_configENS1_27scan_by_key_config_selectorIssEEZZNS1_16scan_by_key_implILNS1_25lookback_scan_determinismE0ELb0ES3_N6thrust23THRUST_200600_302600_NS6detail15normal_iteratorINS9_10device_ptrIsEEEESE_SE_sNS9_4plusIvEENS9_8equal_toIsEEsEE10hipError_tPvRmT2_T3_T4_T5_mT6_T7_P12ihipStream_tbENKUlT_T0_E_clISt17integral_constantIbLb1EESZ_EEDaSU_SV_EUlSU_E_NS1_11comp_targetILNS1_3genE10ELNS1_11target_archE1200ELNS1_3gpuE4ELNS1_3repE0EEENS1_30default_config_static_selectorELNS0_4arch9wavefront6targetE0EEEvT1_
	.globl	_ZN7rocprim17ROCPRIM_400000_NS6detail17trampoline_kernelINS0_14default_configENS1_27scan_by_key_config_selectorIssEEZZNS1_16scan_by_key_implILNS1_25lookback_scan_determinismE0ELb0ES3_N6thrust23THRUST_200600_302600_NS6detail15normal_iteratorINS9_10device_ptrIsEEEESE_SE_sNS9_4plusIvEENS9_8equal_toIsEEsEE10hipError_tPvRmT2_T3_T4_T5_mT6_T7_P12ihipStream_tbENKUlT_T0_E_clISt17integral_constantIbLb1EESZ_EEDaSU_SV_EUlSU_E_NS1_11comp_targetILNS1_3genE10ELNS1_11target_archE1200ELNS1_3gpuE4ELNS1_3repE0EEENS1_30default_config_static_selectorELNS0_4arch9wavefront6targetE0EEEvT1_
	.p2align	8
	.type	_ZN7rocprim17ROCPRIM_400000_NS6detail17trampoline_kernelINS0_14default_configENS1_27scan_by_key_config_selectorIssEEZZNS1_16scan_by_key_implILNS1_25lookback_scan_determinismE0ELb0ES3_N6thrust23THRUST_200600_302600_NS6detail15normal_iteratorINS9_10device_ptrIsEEEESE_SE_sNS9_4plusIvEENS9_8equal_toIsEEsEE10hipError_tPvRmT2_T3_T4_T5_mT6_T7_P12ihipStream_tbENKUlT_T0_E_clISt17integral_constantIbLb1EESZ_EEDaSU_SV_EUlSU_E_NS1_11comp_targetILNS1_3genE10ELNS1_11target_archE1200ELNS1_3gpuE4ELNS1_3repE0EEENS1_30default_config_static_selectorELNS0_4arch9wavefront6targetE0EEEvT1_,@function
_ZN7rocprim17ROCPRIM_400000_NS6detail17trampoline_kernelINS0_14default_configENS1_27scan_by_key_config_selectorIssEEZZNS1_16scan_by_key_implILNS1_25lookback_scan_determinismE0ELb0ES3_N6thrust23THRUST_200600_302600_NS6detail15normal_iteratorINS9_10device_ptrIsEEEESE_SE_sNS9_4plusIvEENS9_8equal_toIsEEsEE10hipError_tPvRmT2_T3_T4_T5_mT6_T7_P12ihipStream_tbENKUlT_T0_E_clISt17integral_constantIbLb1EESZ_EEDaSU_SV_EUlSU_E_NS1_11comp_targetILNS1_3genE10ELNS1_11target_archE1200ELNS1_3gpuE4ELNS1_3repE0EEENS1_30default_config_static_selectorELNS0_4arch9wavefront6targetE0EEEvT1_: ; @_ZN7rocprim17ROCPRIM_400000_NS6detail17trampoline_kernelINS0_14default_configENS1_27scan_by_key_config_selectorIssEEZZNS1_16scan_by_key_implILNS1_25lookback_scan_determinismE0ELb0ES3_N6thrust23THRUST_200600_302600_NS6detail15normal_iteratorINS9_10device_ptrIsEEEESE_SE_sNS9_4plusIvEENS9_8equal_toIsEEsEE10hipError_tPvRmT2_T3_T4_T5_mT6_T7_P12ihipStream_tbENKUlT_T0_E_clISt17integral_constantIbLb1EESZ_EEDaSU_SV_EUlSU_E_NS1_11comp_targetILNS1_3genE10ELNS1_11target_archE1200ELNS1_3gpuE4ELNS1_3repE0EEENS1_30default_config_static_selectorELNS0_4arch9wavefront6targetE0EEEvT1_
; %bb.0:
	.section	.rodata,"a",@progbits
	.p2align	6, 0x0
	.amdhsa_kernel _ZN7rocprim17ROCPRIM_400000_NS6detail17trampoline_kernelINS0_14default_configENS1_27scan_by_key_config_selectorIssEEZZNS1_16scan_by_key_implILNS1_25lookback_scan_determinismE0ELb0ES3_N6thrust23THRUST_200600_302600_NS6detail15normal_iteratorINS9_10device_ptrIsEEEESE_SE_sNS9_4plusIvEENS9_8equal_toIsEEsEE10hipError_tPvRmT2_T3_T4_T5_mT6_T7_P12ihipStream_tbENKUlT_T0_E_clISt17integral_constantIbLb1EESZ_EEDaSU_SV_EUlSU_E_NS1_11comp_targetILNS1_3genE10ELNS1_11target_archE1200ELNS1_3gpuE4ELNS1_3repE0EEENS1_30default_config_static_selectorELNS0_4arch9wavefront6targetE0EEEvT1_
		.amdhsa_group_segment_fixed_size 0
		.amdhsa_private_segment_fixed_size 0
		.amdhsa_kernarg_size 112
		.amdhsa_user_sgpr_count 2
		.amdhsa_user_sgpr_dispatch_ptr 0
		.amdhsa_user_sgpr_queue_ptr 0
		.amdhsa_user_sgpr_kernarg_segment_ptr 1
		.amdhsa_user_sgpr_dispatch_id 0
		.amdhsa_user_sgpr_kernarg_preload_length 0
		.amdhsa_user_sgpr_kernarg_preload_offset 0
		.amdhsa_user_sgpr_private_segment_size 0
		.amdhsa_wavefront_size32 1
		.amdhsa_uses_dynamic_stack 0
		.amdhsa_enable_private_segment 0
		.amdhsa_system_sgpr_workgroup_id_x 1
		.amdhsa_system_sgpr_workgroup_id_y 0
		.amdhsa_system_sgpr_workgroup_id_z 0
		.amdhsa_system_sgpr_workgroup_info 0
		.amdhsa_system_vgpr_workitem_id 0
		.amdhsa_next_free_vgpr 1
		.amdhsa_next_free_sgpr 1
		.amdhsa_named_barrier_count 0
		.amdhsa_reserve_vcc 0
		.amdhsa_float_round_mode_32 0
		.amdhsa_float_round_mode_16_64 0
		.amdhsa_float_denorm_mode_32 3
		.amdhsa_float_denorm_mode_16_64 3
		.amdhsa_fp16_overflow 0
		.amdhsa_memory_ordered 1
		.amdhsa_forward_progress 1
		.amdhsa_inst_pref_size 0
		.amdhsa_round_robin_scheduling 0
		.amdhsa_exception_fp_ieee_invalid_op 0
		.amdhsa_exception_fp_denorm_src 0
		.amdhsa_exception_fp_ieee_div_zero 0
		.amdhsa_exception_fp_ieee_overflow 0
		.amdhsa_exception_fp_ieee_underflow 0
		.amdhsa_exception_fp_ieee_inexact 0
		.amdhsa_exception_int_div_zero 0
	.end_amdhsa_kernel
	.section	.text._ZN7rocprim17ROCPRIM_400000_NS6detail17trampoline_kernelINS0_14default_configENS1_27scan_by_key_config_selectorIssEEZZNS1_16scan_by_key_implILNS1_25lookback_scan_determinismE0ELb0ES3_N6thrust23THRUST_200600_302600_NS6detail15normal_iteratorINS9_10device_ptrIsEEEESE_SE_sNS9_4plusIvEENS9_8equal_toIsEEsEE10hipError_tPvRmT2_T3_T4_T5_mT6_T7_P12ihipStream_tbENKUlT_T0_E_clISt17integral_constantIbLb1EESZ_EEDaSU_SV_EUlSU_E_NS1_11comp_targetILNS1_3genE10ELNS1_11target_archE1200ELNS1_3gpuE4ELNS1_3repE0EEENS1_30default_config_static_selectorELNS0_4arch9wavefront6targetE0EEEvT1_,"axG",@progbits,_ZN7rocprim17ROCPRIM_400000_NS6detail17trampoline_kernelINS0_14default_configENS1_27scan_by_key_config_selectorIssEEZZNS1_16scan_by_key_implILNS1_25lookback_scan_determinismE0ELb0ES3_N6thrust23THRUST_200600_302600_NS6detail15normal_iteratorINS9_10device_ptrIsEEEESE_SE_sNS9_4plusIvEENS9_8equal_toIsEEsEE10hipError_tPvRmT2_T3_T4_T5_mT6_T7_P12ihipStream_tbENKUlT_T0_E_clISt17integral_constantIbLb1EESZ_EEDaSU_SV_EUlSU_E_NS1_11comp_targetILNS1_3genE10ELNS1_11target_archE1200ELNS1_3gpuE4ELNS1_3repE0EEENS1_30default_config_static_selectorELNS0_4arch9wavefront6targetE0EEEvT1_,comdat
.Lfunc_end332:
	.size	_ZN7rocprim17ROCPRIM_400000_NS6detail17trampoline_kernelINS0_14default_configENS1_27scan_by_key_config_selectorIssEEZZNS1_16scan_by_key_implILNS1_25lookback_scan_determinismE0ELb0ES3_N6thrust23THRUST_200600_302600_NS6detail15normal_iteratorINS9_10device_ptrIsEEEESE_SE_sNS9_4plusIvEENS9_8equal_toIsEEsEE10hipError_tPvRmT2_T3_T4_T5_mT6_T7_P12ihipStream_tbENKUlT_T0_E_clISt17integral_constantIbLb1EESZ_EEDaSU_SV_EUlSU_E_NS1_11comp_targetILNS1_3genE10ELNS1_11target_archE1200ELNS1_3gpuE4ELNS1_3repE0EEENS1_30default_config_static_selectorELNS0_4arch9wavefront6targetE0EEEvT1_, .Lfunc_end332-_ZN7rocprim17ROCPRIM_400000_NS6detail17trampoline_kernelINS0_14default_configENS1_27scan_by_key_config_selectorIssEEZZNS1_16scan_by_key_implILNS1_25lookback_scan_determinismE0ELb0ES3_N6thrust23THRUST_200600_302600_NS6detail15normal_iteratorINS9_10device_ptrIsEEEESE_SE_sNS9_4plusIvEENS9_8equal_toIsEEsEE10hipError_tPvRmT2_T3_T4_T5_mT6_T7_P12ihipStream_tbENKUlT_T0_E_clISt17integral_constantIbLb1EESZ_EEDaSU_SV_EUlSU_E_NS1_11comp_targetILNS1_3genE10ELNS1_11target_archE1200ELNS1_3gpuE4ELNS1_3repE0EEENS1_30default_config_static_selectorELNS0_4arch9wavefront6targetE0EEEvT1_
                                        ; -- End function
	.set _ZN7rocprim17ROCPRIM_400000_NS6detail17trampoline_kernelINS0_14default_configENS1_27scan_by_key_config_selectorIssEEZZNS1_16scan_by_key_implILNS1_25lookback_scan_determinismE0ELb0ES3_N6thrust23THRUST_200600_302600_NS6detail15normal_iteratorINS9_10device_ptrIsEEEESE_SE_sNS9_4plusIvEENS9_8equal_toIsEEsEE10hipError_tPvRmT2_T3_T4_T5_mT6_T7_P12ihipStream_tbENKUlT_T0_E_clISt17integral_constantIbLb1EESZ_EEDaSU_SV_EUlSU_E_NS1_11comp_targetILNS1_3genE10ELNS1_11target_archE1200ELNS1_3gpuE4ELNS1_3repE0EEENS1_30default_config_static_selectorELNS0_4arch9wavefront6targetE0EEEvT1_.num_vgpr, 0
	.set _ZN7rocprim17ROCPRIM_400000_NS6detail17trampoline_kernelINS0_14default_configENS1_27scan_by_key_config_selectorIssEEZZNS1_16scan_by_key_implILNS1_25lookback_scan_determinismE0ELb0ES3_N6thrust23THRUST_200600_302600_NS6detail15normal_iteratorINS9_10device_ptrIsEEEESE_SE_sNS9_4plusIvEENS9_8equal_toIsEEsEE10hipError_tPvRmT2_T3_T4_T5_mT6_T7_P12ihipStream_tbENKUlT_T0_E_clISt17integral_constantIbLb1EESZ_EEDaSU_SV_EUlSU_E_NS1_11comp_targetILNS1_3genE10ELNS1_11target_archE1200ELNS1_3gpuE4ELNS1_3repE0EEENS1_30default_config_static_selectorELNS0_4arch9wavefront6targetE0EEEvT1_.num_agpr, 0
	.set _ZN7rocprim17ROCPRIM_400000_NS6detail17trampoline_kernelINS0_14default_configENS1_27scan_by_key_config_selectorIssEEZZNS1_16scan_by_key_implILNS1_25lookback_scan_determinismE0ELb0ES3_N6thrust23THRUST_200600_302600_NS6detail15normal_iteratorINS9_10device_ptrIsEEEESE_SE_sNS9_4plusIvEENS9_8equal_toIsEEsEE10hipError_tPvRmT2_T3_T4_T5_mT6_T7_P12ihipStream_tbENKUlT_T0_E_clISt17integral_constantIbLb1EESZ_EEDaSU_SV_EUlSU_E_NS1_11comp_targetILNS1_3genE10ELNS1_11target_archE1200ELNS1_3gpuE4ELNS1_3repE0EEENS1_30default_config_static_selectorELNS0_4arch9wavefront6targetE0EEEvT1_.numbered_sgpr, 0
	.set _ZN7rocprim17ROCPRIM_400000_NS6detail17trampoline_kernelINS0_14default_configENS1_27scan_by_key_config_selectorIssEEZZNS1_16scan_by_key_implILNS1_25lookback_scan_determinismE0ELb0ES3_N6thrust23THRUST_200600_302600_NS6detail15normal_iteratorINS9_10device_ptrIsEEEESE_SE_sNS9_4plusIvEENS9_8equal_toIsEEsEE10hipError_tPvRmT2_T3_T4_T5_mT6_T7_P12ihipStream_tbENKUlT_T0_E_clISt17integral_constantIbLb1EESZ_EEDaSU_SV_EUlSU_E_NS1_11comp_targetILNS1_3genE10ELNS1_11target_archE1200ELNS1_3gpuE4ELNS1_3repE0EEENS1_30default_config_static_selectorELNS0_4arch9wavefront6targetE0EEEvT1_.num_named_barrier, 0
	.set _ZN7rocprim17ROCPRIM_400000_NS6detail17trampoline_kernelINS0_14default_configENS1_27scan_by_key_config_selectorIssEEZZNS1_16scan_by_key_implILNS1_25lookback_scan_determinismE0ELb0ES3_N6thrust23THRUST_200600_302600_NS6detail15normal_iteratorINS9_10device_ptrIsEEEESE_SE_sNS9_4plusIvEENS9_8equal_toIsEEsEE10hipError_tPvRmT2_T3_T4_T5_mT6_T7_P12ihipStream_tbENKUlT_T0_E_clISt17integral_constantIbLb1EESZ_EEDaSU_SV_EUlSU_E_NS1_11comp_targetILNS1_3genE10ELNS1_11target_archE1200ELNS1_3gpuE4ELNS1_3repE0EEENS1_30default_config_static_selectorELNS0_4arch9wavefront6targetE0EEEvT1_.private_seg_size, 0
	.set _ZN7rocprim17ROCPRIM_400000_NS6detail17trampoline_kernelINS0_14default_configENS1_27scan_by_key_config_selectorIssEEZZNS1_16scan_by_key_implILNS1_25lookback_scan_determinismE0ELb0ES3_N6thrust23THRUST_200600_302600_NS6detail15normal_iteratorINS9_10device_ptrIsEEEESE_SE_sNS9_4plusIvEENS9_8equal_toIsEEsEE10hipError_tPvRmT2_T3_T4_T5_mT6_T7_P12ihipStream_tbENKUlT_T0_E_clISt17integral_constantIbLb1EESZ_EEDaSU_SV_EUlSU_E_NS1_11comp_targetILNS1_3genE10ELNS1_11target_archE1200ELNS1_3gpuE4ELNS1_3repE0EEENS1_30default_config_static_selectorELNS0_4arch9wavefront6targetE0EEEvT1_.uses_vcc, 0
	.set _ZN7rocprim17ROCPRIM_400000_NS6detail17trampoline_kernelINS0_14default_configENS1_27scan_by_key_config_selectorIssEEZZNS1_16scan_by_key_implILNS1_25lookback_scan_determinismE0ELb0ES3_N6thrust23THRUST_200600_302600_NS6detail15normal_iteratorINS9_10device_ptrIsEEEESE_SE_sNS9_4plusIvEENS9_8equal_toIsEEsEE10hipError_tPvRmT2_T3_T4_T5_mT6_T7_P12ihipStream_tbENKUlT_T0_E_clISt17integral_constantIbLb1EESZ_EEDaSU_SV_EUlSU_E_NS1_11comp_targetILNS1_3genE10ELNS1_11target_archE1200ELNS1_3gpuE4ELNS1_3repE0EEENS1_30default_config_static_selectorELNS0_4arch9wavefront6targetE0EEEvT1_.uses_flat_scratch, 0
	.set _ZN7rocprim17ROCPRIM_400000_NS6detail17trampoline_kernelINS0_14default_configENS1_27scan_by_key_config_selectorIssEEZZNS1_16scan_by_key_implILNS1_25lookback_scan_determinismE0ELb0ES3_N6thrust23THRUST_200600_302600_NS6detail15normal_iteratorINS9_10device_ptrIsEEEESE_SE_sNS9_4plusIvEENS9_8equal_toIsEEsEE10hipError_tPvRmT2_T3_T4_T5_mT6_T7_P12ihipStream_tbENKUlT_T0_E_clISt17integral_constantIbLb1EESZ_EEDaSU_SV_EUlSU_E_NS1_11comp_targetILNS1_3genE10ELNS1_11target_archE1200ELNS1_3gpuE4ELNS1_3repE0EEENS1_30default_config_static_selectorELNS0_4arch9wavefront6targetE0EEEvT1_.has_dyn_sized_stack, 0
	.set _ZN7rocprim17ROCPRIM_400000_NS6detail17trampoline_kernelINS0_14default_configENS1_27scan_by_key_config_selectorIssEEZZNS1_16scan_by_key_implILNS1_25lookback_scan_determinismE0ELb0ES3_N6thrust23THRUST_200600_302600_NS6detail15normal_iteratorINS9_10device_ptrIsEEEESE_SE_sNS9_4plusIvEENS9_8equal_toIsEEsEE10hipError_tPvRmT2_T3_T4_T5_mT6_T7_P12ihipStream_tbENKUlT_T0_E_clISt17integral_constantIbLb1EESZ_EEDaSU_SV_EUlSU_E_NS1_11comp_targetILNS1_3genE10ELNS1_11target_archE1200ELNS1_3gpuE4ELNS1_3repE0EEENS1_30default_config_static_selectorELNS0_4arch9wavefront6targetE0EEEvT1_.has_recursion, 0
	.set _ZN7rocprim17ROCPRIM_400000_NS6detail17trampoline_kernelINS0_14default_configENS1_27scan_by_key_config_selectorIssEEZZNS1_16scan_by_key_implILNS1_25lookback_scan_determinismE0ELb0ES3_N6thrust23THRUST_200600_302600_NS6detail15normal_iteratorINS9_10device_ptrIsEEEESE_SE_sNS9_4plusIvEENS9_8equal_toIsEEsEE10hipError_tPvRmT2_T3_T4_T5_mT6_T7_P12ihipStream_tbENKUlT_T0_E_clISt17integral_constantIbLb1EESZ_EEDaSU_SV_EUlSU_E_NS1_11comp_targetILNS1_3genE10ELNS1_11target_archE1200ELNS1_3gpuE4ELNS1_3repE0EEENS1_30default_config_static_selectorELNS0_4arch9wavefront6targetE0EEEvT1_.has_indirect_call, 0
	.section	.AMDGPU.csdata,"",@progbits
; Kernel info:
; codeLenInByte = 0
; TotalNumSgprs: 0
; NumVgprs: 0
; ScratchSize: 0
; MemoryBound: 0
; FloatMode: 240
; IeeeMode: 1
; LDSByteSize: 0 bytes/workgroup (compile time only)
; SGPRBlocks: 0
; VGPRBlocks: 0
; NumSGPRsForWavesPerEU: 1
; NumVGPRsForWavesPerEU: 1
; NamedBarCnt: 0
; Occupancy: 16
; WaveLimiterHint : 0
; COMPUTE_PGM_RSRC2:SCRATCH_EN: 0
; COMPUTE_PGM_RSRC2:USER_SGPR: 2
; COMPUTE_PGM_RSRC2:TRAP_HANDLER: 0
; COMPUTE_PGM_RSRC2:TGID_X_EN: 1
; COMPUTE_PGM_RSRC2:TGID_Y_EN: 0
; COMPUTE_PGM_RSRC2:TGID_Z_EN: 0
; COMPUTE_PGM_RSRC2:TIDIG_COMP_CNT: 0
	.section	.text._ZN7rocprim17ROCPRIM_400000_NS6detail17trampoline_kernelINS0_14default_configENS1_27scan_by_key_config_selectorIssEEZZNS1_16scan_by_key_implILNS1_25lookback_scan_determinismE0ELb0ES3_N6thrust23THRUST_200600_302600_NS6detail15normal_iteratorINS9_10device_ptrIsEEEESE_SE_sNS9_4plusIvEENS9_8equal_toIsEEsEE10hipError_tPvRmT2_T3_T4_T5_mT6_T7_P12ihipStream_tbENKUlT_T0_E_clISt17integral_constantIbLb1EESZ_EEDaSU_SV_EUlSU_E_NS1_11comp_targetILNS1_3genE9ELNS1_11target_archE1100ELNS1_3gpuE3ELNS1_3repE0EEENS1_30default_config_static_selectorELNS0_4arch9wavefront6targetE0EEEvT1_,"axG",@progbits,_ZN7rocprim17ROCPRIM_400000_NS6detail17trampoline_kernelINS0_14default_configENS1_27scan_by_key_config_selectorIssEEZZNS1_16scan_by_key_implILNS1_25lookback_scan_determinismE0ELb0ES3_N6thrust23THRUST_200600_302600_NS6detail15normal_iteratorINS9_10device_ptrIsEEEESE_SE_sNS9_4plusIvEENS9_8equal_toIsEEsEE10hipError_tPvRmT2_T3_T4_T5_mT6_T7_P12ihipStream_tbENKUlT_T0_E_clISt17integral_constantIbLb1EESZ_EEDaSU_SV_EUlSU_E_NS1_11comp_targetILNS1_3genE9ELNS1_11target_archE1100ELNS1_3gpuE3ELNS1_3repE0EEENS1_30default_config_static_selectorELNS0_4arch9wavefront6targetE0EEEvT1_,comdat
	.protected	_ZN7rocprim17ROCPRIM_400000_NS6detail17trampoline_kernelINS0_14default_configENS1_27scan_by_key_config_selectorIssEEZZNS1_16scan_by_key_implILNS1_25lookback_scan_determinismE0ELb0ES3_N6thrust23THRUST_200600_302600_NS6detail15normal_iteratorINS9_10device_ptrIsEEEESE_SE_sNS9_4plusIvEENS9_8equal_toIsEEsEE10hipError_tPvRmT2_T3_T4_T5_mT6_T7_P12ihipStream_tbENKUlT_T0_E_clISt17integral_constantIbLb1EESZ_EEDaSU_SV_EUlSU_E_NS1_11comp_targetILNS1_3genE9ELNS1_11target_archE1100ELNS1_3gpuE3ELNS1_3repE0EEENS1_30default_config_static_selectorELNS0_4arch9wavefront6targetE0EEEvT1_ ; -- Begin function _ZN7rocprim17ROCPRIM_400000_NS6detail17trampoline_kernelINS0_14default_configENS1_27scan_by_key_config_selectorIssEEZZNS1_16scan_by_key_implILNS1_25lookback_scan_determinismE0ELb0ES3_N6thrust23THRUST_200600_302600_NS6detail15normal_iteratorINS9_10device_ptrIsEEEESE_SE_sNS9_4plusIvEENS9_8equal_toIsEEsEE10hipError_tPvRmT2_T3_T4_T5_mT6_T7_P12ihipStream_tbENKUlT_T0_E_clISt17integral_constantIbLb1EESZ_EEDaSU_SV_EUlSU_E_NS1_11comp_targetILNS1_3genE9ELNS1_11target_archE1100ELNS1_3gpuE3ELNS1_3repE0EEENS1_30default_config_static_selectorELNS0_4arch9wavefront6targetE0EEEvT1_
	.globl	_ZN7rocprim17ROCPRIM_400000_NS6detail17trampoline_kernelINS0_14default_configENS1_27scan_by_key_config_selectorIssEEZZNS1_16scan_by_key_implILNS1_25lookback_scan_determinismE0ELb0ES3_N6thrust23THRUST_200600_302600_NS6detail15normal_iteratorINS9_10device_ptrIsEEEESE_SE_sNS9_4plusIvEENS9_8equal_toIsEEsEE10hipError_tPvRmT2_T3_T4_T5_mT6_T7_P12ihipStream_tbENKUlT_T0_E_clISt17integral_constantIbLb1EESZ_EEDaSU_SV_EUlSU_E_NS1_11comp_targetILNS1_3genE9ELNS1_11target_archE1100ELNS1_3gpuE3ELNS1_3repE0EEENS1_30default_config_static_selectorELNS0_4arch9wavefront6targetE0EEEvT1_
	.p2align	8
	.type	_ZN7rocprim17ROCPRIM_400000_NS6detail17trampoline_kernelINS0_14default_configENS1_27scan_by_key_config_selectorIssEEZZNS1_16scan_by_key_implILNS1_25lookback_scan_determinismE0ELb0ES3_N6thrust23THRUST_200600_302600_NS6detail15normal_iteratorINS9_10device_ptrIsEEEESE_SE_sNS9_4plusIvEENS9_8equal_toIsEEsEE10hipError_tPvRmT2_T3_T4_T5_mT6_T7_P12ihipStream_tbENKUlT_T0_E_clISt17integral_constantIbLb1EESZ_EEDaSU_SV_EUlSU_E_NS1_11comp_targetILNS1_3genE9ELNS1_11target_archE1100ELNS1_3gpuE3ELNS1_3repE0EEENS1_30default_config_static_selectorELNS0_4arch9wavefront6targetE0EEEvT1_,@function
_ZN7rocprim17ROCPRIM_400000_NS6detail17trampoline_kernelINS0_14default_configENS1_27scan_by_key_config_selectorIssEEZZNS1_16scan_by_key_implILNS1_25lookback_scan_determinismE0ELb0ES3_N6thrust23THRUST_200600_302600_NS6detail15normal_iteratorINS9_10device_ptrIsEEEESE_SE_sNS9_4plusIvEENS9_8equal_toIsEEsEE10hipError_tPvRmT2_T3_T4_T5_mT6_T7_P12ihipStream_tbENKUlT_T0_E_clISt17integral_constantIbLb1EESZ_EEDaSU_SV_EUlSU_E_NS1_11comp_targetILNS1_3genE9ELNS1_11target_archE1100ELNS1_3gpuE3ELNS1_3repE0EEENS1_30default_config_static_selectorELNS0_4arch9wavefront6targetE0EEEvT1_: ; @_ZN7rocprim17ROCPRIM_400000_NS6detail17trampoline_kernelINS0_14default_configENS1_27scan_by_key_config_selectorIssEEZZNS1_16scan_by_key_implILNS1_25lookback_scan_determinismE0ELb0ES3_N6thrust23THRUST_200600_302600_NS6detail15normal_iteratorINS9_10device_ptrIsEEEESE_SE_sNS9_4plusIvEENS9_8equal_toIsEEsEE10hipError_tPvRmT2_T3_T4_T5_mT6_T7_P12ihipStream_tbENKUlT_T0_E_clISt17integral_constantIbLb1EESZ_EEDaSU_SV_EUlSU_E_NS1_11comp_targetILNS1_3genE9ELNS1_11target_archE1100ELNS1_3gpuE3ELNS1_3repE0EEENS1_30default_config_static_selectorELNS0_4arch9wavefront6targetE0EEEvT1_
; %bb.0:
	.section	.rodata,"a",@progbits
	.p2align	6, 0x0
	.amdhsa_kernel _ZN7rocprim17ROCPRIM_400000_NS6detail17trampoline_kernelINS0_14default_configENS1_27scan_by_key_config_selectorIssEEZZNS1_16scan_by_key_implILNS1_25lookback_scan_determinismE0ELb0ES3_N6thrust23THRUST_200600_302600_NS6detail15normal_iteratorINS9_10device_ptrIsEEEESE_SE_sNS9_4plusIvEENS9_8equal_toIsEEsEE10hipError_tPvRmT2_T3_T4_T5_mT6_T7_P12ihipStream_tbENKUlT_T0_E_clISt17integral_constantIbLb1EESZ_EEDaSU_SV_EUlSU_E_NS1_11comp_targetILNS1_3genE9ELNS1_11target_archE1100ELNS1_3gpuE3ELNS1_3repE0EEENS1_30default_config_static_selectorELNS0_4arch9wavefront6targetE0EEEvT1_
		.amdhsa_group_segment_fixed_size 0
		.amdhsa_private_segment_fixed_size 0
		.amdhsa_kernarg_size 112
		.amdhsa_user_sgpr_count 2
		.amdhsa_user_sgpr_dispatch_ptr 0
		.amdhsa_user_sgpr_queue_ptr 0
		.amdhsa_user_sgpr_kernarg_segment_ptr 1
		.amdhsa_user_sgpr_dispatch_id 0
		.amdhsa_user_sgpr_kernarg_preload_length 0
		.amdhsa_user_sgpr_kernarg_preload_offset 0
		.amdhsa_user_sgpr_private_segment_size 0
		.amdhsa_wavefront_size32 1
		.amdhsa_uses_dynamic_stack 0
		.amdhsa_enable_private_segment 0
		.amdhsa_system_sgpr_workgroup_id_x 1
		.amdhsa_system_sgpr_workgroup_id_y 0
		.amdhsa_system_sgpr_workgroup_id_z 0
		.amdhsa_system_sgpr_workgroup_info 0
		.amdhsa_system_vgpr_workitem_id 0
		.amdhsa_next_free_vgpr 1
		.amdhsa_next_free_sgpr 1
		.amdhsa_named_barrier_count 0
		.amdhsa_reserve_vcc 0
		.amdhsa_float_round_mode_32 0
		.amdhsa_float_round_mode_16_64 0
		.amdhsa_float_denorm_mode_32 3
		.amdhsa_float_denorm_mode_16_64 3
		.amdhsa_fp16_overflow 0
		.amdhsa_memory_ordered 1
		.amdhsa_forward_progress 1
		.amdhsa_inst_pref_size 0
		.amdhsa_round_robin_scheduling 0
		.amdhsa_exception_fp_ieee_invalid_op 0
		.amdhsa_exception_fp_denorm_src 0
		.amdhsa_exception_fp_ieee_div_zero 0
		.amdhsa_exception_fp_ieee_overflow 0
		.amdhsa_exception_fp_ieee_underflow 0
		.amdhsa_exception_fp_ieee_inexact 0
		.amdhsa_exception_int_div_zero 0
	.end_amdhsa_kernel
	.section	.text._ZN7rocprim17ROCPRIM_400000_NS6detail17trampoline_kernelINS0_14default_configENS1_27scan_by_key_config_selectorIssEEZZNS1_16scan_by_key_implILNS1_25lookback_scan_determinismE0ELb0ES3_N6thrust23THRUST_200600_302600_NS6detail15normal_iteratorINS9_10device_ptrIsEEEESE_SE_sNS9_4plusIvEENS9_8equal_toIsEEsEE10hipError_tPvRmT2_T3_T4_T5_mT6_T7_P12ihipStream_tbENKUlT_T0_E_clISt17integral_constantIbLb1EESZ_EEDaSU_SV_EUlSU_E_NS1_11comp_targetILNS1_3genE9ELNS1_11target_archE1100ELNS1_3gpuE3ELNS1_3repE0EEENS1_30default_config_static_selectorELNS0_4arch9wavefront6targetE0EEEvT1_,"axG",@progbits,_ZN7rocprim17ROCPRIM_400000_NS6detail17trampoline_kernelINS0_14default_configENS1_27scan_by_key_config_selectorIssEEZZNS1_16scan_by_key_implILNS1_25lookback_scan_determinismE0ELb0ES3_N6thrust23THRUST_200600_302600_NS6detail15normal_iteratorINS9_10device_ptrIsEEEESE_SE_sNS9_4plusIvEENS9_8equal_toIsEEsEE10hipError_tPvRmT2_T3_T4_T5_mT6_T7_P12ihipStream_tbENKUlT_T0_E_clISt17integral_constantIbLb1EESZ_EEDaSU_SV_EUlSU_E_NS1_11comp_targetILNS1_3genE9ELNS1_11target_archE1100ELNS1_3gpuE3ELNS1_3repE0EEENS1_30default_config_static_selectorELNS0_4arch9wavefront6targetE0EEEvT1_,comdat
.Lfunc_end333:
	.size	_ZN7rocprim17ROCPRIM_400000_NS6detail17trampoline_kernelINS0_14default_configENS1_27scan_by_key_config_selectorIssEEZZNS1_16scan_by_key_implILNS1_25lookback_scan_determinismE0ELb0ES3_N6thrust23THRUST_200600_302600_NS6detail15normal_iteratorINS9_10device_ptrIsEEEESE_SE_sNS9_4plusIvEENS9_8equal_toIsEEsEE10hipError_tPvRmT2_T3_T4_T5_mT6_T7_P12ihipStream_tbENKUlT_T0_E_clISt17integral_constantIbLb1EESZ_EEDaSU_SV_EUlSU_E_NS1_11comp_targetILNS1_3genE9ELNS1_11target_archE1100ELNS1_3gpuE3ELNS1_3repE0EEENS1_30default_config_static_selectorELNS0_4arch9wavefront6targetE0EEEvT1_, .Lfunc_end333-_ZN7rocprim17ROCPRIM_400000_NS6detail17trampoline_kernelINS0_14default_configENS1_27scan_by_key_config_selectorIssEEZZNS1_16scan_by_key_implILNS1_25lookback_scan_determinismE0ELb0ES3_N6thrust23THRUST_200600_302600_NS6detail15normal_iteratorINS9_10device_ptrIsEEEESE_SE_sNS9_4plusIvEENS9_8equal_toIsEEsEE10hipError_tPvRmT2_T3_T4_T5_mT6_T7_P12ihipStream_tbENKUlT_T0_E_clISt17integral_constantIbLb1EESZ_EEDaSU_SV_EUlSU_E_NS1_11comp_targetILNS1_3genE9ELNS1_11target_archE1100ELNS1_3gpuE3ELNS1_3repE0EEENS1_30default_config_static_selectorELNS0_4arch9wavefront6targetE0EEEvT1_
                                        ; -- End function
	.set _ZN7rocprim17ROCPRIM_400000_NS6detail17trampoline_kernelINS0_14default_configENS1_27scan_by_key_config_selectorIssEEZZNS1_16scan_by_key_implILNS1_25lookback_scan_determinismE0ELb0ES3_N6thrust23THRUST_200600_302600_NS6detail15normal_iteratorINS9_10device_ptrIsEEEESE_SE_sNS9_4plusIvEENS9_8equal_toIsEEsEE10hipError_tPvRmT2_T3_T4_T5_mT6_T7_P12ihipStream_tbENKUlT_T0_E_clISt17integral_constantIbLb1EESZ_EEDaSU_SV_EUlSU_E_NS1_11comp_targetILNS1_3genE9ELNS1_11target_archE1100ELNS1_3gpuE3ELNS1_3repE0EEENS1_30default_config_static_selectorELNS0_4arch9wavefront6targetE0EEEvT1_.num_vgpr, 0
	.set _ZN7rocprim17ROCPRIM_400000_NS6detail17trampoline_kernelINS0_14default_configENS1_27scan_by_key_config_selectorIssEEZZNS1_16scan_by_key_implILNS1_25lookback_scan_determinismE0ELb0ES3_N6thrust23THRUST_200600_302600_NS6detail15normal_iteratorINS9_10device_ptrIsEEEESE_SE_sNS9_4plusIvEENS9_8equal_toIsEEsEE10hipError_tPvRmT2_T3_T4_T5_mT6_T7_P12ihipStream_tbENKUlT_T0_E_clISt17integral_constantIbLb1EESZ_EEDaSU_SV_EUlSU_E_NS1_11comp_targetILNS1_3genE9ELNS1_11target_archE1100ELNS1_3gpuE3ELNS1_3repE0EEENS1_30default_config_static_selectorELNS0_4arch9wavefront6targetE0EEEvT1_.num_agpr, 0
	.set _ZN7rocprim17ROCPRIM_400000_NS6detail17trampoline_kernelINS0_14default_configENS1_27scan_by_key_config_selectorIssEEZZNS1_16scan_by_key_implILNS1_25lookback_scan_determinismE0ELb0ES3_N6thrust23THRUST_200600_302600_NS6detail15normal_iteratorINS9_10device_ptrIsEEEESE_SE_sNS9_4plusIvEENS9_8equal_toIsEEsEE10hipError_tPvRmT2_T3_T4_T5_mT6_T7_P12ihipStream_tbENKUlT_T0_E_clISt17integral_constantIbLb1EESZ_EEDaSU_SV_EUlSU_E_NS1_11comp_targetILNS1_3genE9ELNS1_11target_archE1100ELNS1_3gpuE3ELNS1_3repE0EEENS1_30default_config_static_selectorELNS0_4arch9wavefront6targetE0EEEvT1_.numbered_sgpr, 0
	.set _ZN7rocprim17ROCPRIM_400000_NS6detail17trampoline_kernelINS0_14default_configENS1_27scan_by_key_config_selectorIssEEZZNS1_16scan_by_key_implILNS1_25lookback_scan_determinismE0ELb0ES3_N6thrust23THRUST_200600_302600_NS6detail15normal_iteratorINS9_10device_ptrIsEEEESE_SE_sNS9_4plusIvEENS9_8equal_toIsEEsEE10hipError_tPvRmT2_T3_T4_T5_mT6_T7_P12ihipStream_tbENKUlT_T0_E_clISt17integral_constantIbLb1EESZ_EEDaSU_SV_EUlSU_E_NS1_11comp_targetILNS1_3genE9ELNS1_11target_archE1100ELNS1_3gpuE3ELNS1_3repE0EEENS1_30default_config_static_selectorELNS0_4arch9wavefront6targetE0EEEvT1_.num_named_barrier, 0
	.set _ZN7rocprim17ROCPRIM_400000_NS6detail17trampoline_kernelINS0_14default_configENS1_27scan_by_key_config_selectorIssEEZZNS1_16scan_by_key_implILNS1_25lookback_scan_determinismE0ELb0ES3_N6thrust23THRUST_200600_302600_NS6detail15normal_iteratorINS9_10device_ptrIsEEEESE_SE_sNS9_4plusIvEENS9_8equal_toIsEEsEE10hipError_tPvRmT2_T3_T4_T5_mT6_T7_P12ihipStream_tbENKUlT_T0_E_clISt17integral_constantIbLb1EESZ_EEDaSU_SV_EUlSU_E_NS1_11comp_targetILNS1_3genE9ELNS1_11target_archE1100ELNS1_3gpuE3ELNS1_3repE0EEENS1_30default_config_static_selectorELNS0_4arch9wavefront6targetE0EEEvT1_.private_seg_size, 0
	.set _ZN7rocprim17ROCPRIM_400000_NS6detail17trampoline_kernelINS0_14default_configENS1_27scan_by_key_config_selectorIssEEZZNS1_16scan_by_key_implILNS1_25lookback_scan_determinismE0ELb0ES3_N6thrust23THRUST_200600_302600_NS6detail15normal_iteratorINS9_10device_ptrIsEEEESE_SE_sNS9_4plusIvEENS9_8equal_toIsEEsEE10hipError_tPvRmT2_T3_T4_T5_mT6_T7_P12ihipStream_tbENKUlT_T0_E_clISt17integral_constantIbLb1EESZ_EEDaSU_SV_EUlSU_E_NS1_11comp_targetILNS1_3genE9ELNS1_11target_archE1100ELNS1_3gpuE3ELNS1_3repE0EEENS1_30default_config_static_selectorELNS0_4arch9wavefront6targetE0EEEvT1_.uses_vcc, 0
	.set _ZN7rocprim17ROCPRIM_400000_NS6detail17trampoline_kernelINS0_14default_configENS1_27scan_by_key_config_selectorIssEEZZNS1_16scan_by_key_implILNS1_25lookback_scan_determinismE0ELb0ES3_N6thrust23THRUST_200600_302600_NS6detail15normal_iteratorINS9_10device_ptrIsEEEESE_SE_sNS9_4plusIvEENS9_8equal_toIsEEsEE10hipError_tPvRmT2_T3_T4_T5_mT6_T7_P12ihipStream_tbENKUlT_T0_E_clISt17integral_constantIbLb1EESZ_EEDaSU_SV_EUlSU_E_NS1_11comp_targetILNS1_3genE9ELNS1_11target_archE1100ELNS1_3gpuE3ELNS1_3repE0EEENS1_30default_config_static_selectorELNS0_4arch9wavefront6targetE0EEEvT1_.uses_flat_scratch, 0
	.set _ZN7rocprim17ROCPRIM_400000_NS6detail17trampoline_kernelINS0_14default_configENS1_27scan_by_key_config_selectorIssEEZZNS1_16scan_by_key_implILNS1_25lookback_scan_determinismE0ELb0ES3_N6thrust23THRUST_200600_302600_NS6detail15normal_iteratorINS9_10device_ptrIsEEEESE_SE_sNS9_4plusIvEENS9_8equal_toIsEEsEE10hipError_tPvRmT2_T3_T4_T5_mT6_T7_P12ihipStream_tbENKUlT_T0_E_clISt17integral_constantIbLb1EESZ_EEDaSU_SV_EUlSU_E_NS1_11comp_targetILNS1_3genE9ELNS1_11target_archE1100ELNS1_3gpuE3ELNS1_3repE0EEENS1_30default_config_static_selectorELNS0_4arch9wavefront6targetE0EEEvT1_.has_dyn_sized_stack, 0
	.set _ZN7rocprim17ROCPRIM_400000_NS6detail17trampoline_kernelINS0_14default_configENS1_27scan_by_key_config_selectorIssEEZZNS1_16scan_by_key_implILNS1_25lookback_scan_determinismE0ELb0ES3_N6thrust23THRUST_200600_302600_NS6detail15normal_iteratorINS9_10device_ptrIsEEEESE_SE_sNS9_4plusIvEENS9_8equal_toIsEEsEE10hipError_tPvRmT2_T3_T4_T5_mT6_T7_P12ihipStream_tbENKUlT_T0_E_clISt17integral_constantIbLb1EESZ_EEDaSU_SV_EUlSU_E_NS1_11comp_targetILNS1_3genE9ELNS1_11target_archE1100ELNS1_3gpuE3ELNS1_3repE0EEENS1_30default_config_static_selectorELNS0_4arch9wavefront6targetE0EEEvT1_.has_recursion, 0
	.set _ZN7rocprim17ROCPRIM_400000_NS6detail17trampoline_kernelINS0_14default_configENS1_27scan_by_key_config_selectorIssEEZZNS1_16scan_by_key_implILNS1_25lookback_scan_determinismE0ELb0ES3_N6thrust23THRUST_200600_302600_NS6detail15normal_iteratorINS9_10device_ptrIsEEEESE_SE_sNS9_4plusIvEENS9_8equal_toIsEEsEE10hipError_tPvRmT2_T3_T4_T5_mT6_T7_P12ihipStream_tbENKUlT_T0_E_clISt17integral_constantIbLb1EESZ_EEDaSU_SV_EUlSU_E_NS1_11comp_targetILNS1_3genE9ELNS1_11target_archE1100ELNS1_3gpuE3ELNS1_3repE0EEENS1_30default_config_static_selectorELNS0_4arch9wavefront6targetE0EEEvT1_.has_indirect_call, 0
	.section	.AMDGPU.csdata,"",@progbits
; Kernel info:
; codeLenInByte = 0
; TotalNumSgprs: 0
; NumVgprs: 0
; ScratchSize: 0
; MemoryBound: 0
; FloatMode: 240
; IeeeMode: 1
; LDSByteSize: 0 bytes/workgroup (compile time only)
; SGPRBlocks: 0
; VGPRBlocks: 0
; NumSGPRsForWavesPerEU: 1
; NumVGPRsForWavesPerEU: 1
; NamedBarCnt: 0
; Occupancy: 16
; WaveLimiterHint : 0
; COMPUTE_PGM_RSRC2:SCRATCH_EN: 0
; COMPUTE_PGM_RSRC2:USER_SGPR: 2
; COMPUTE_PGM_RSRC2:TRAP_HANDLER: 0
; COMPUTE_PGM_RSRC2:TGID_X_EN: 1
; COMPUTE_PGM_RSRC2:TGID_Y_EN: 0
; COMPUTE_PGM_RSRC2:TGID_Z_EN: 0
; COMPUTE_PGM_RSRC2:TIDIG_COMP_CNT: 0
	.section	.text._ZN7rocprim17ROCPRIM_400000_NS6detail17trampoline_kernelINS0_14default_configENS1_27scan_by_key_config_selectorIssEEZZNS1_16scan_by_key_implILNS1_25lookback_scan_determinismE0ELb0ES3_N6thrust23THRUST_200600_302600_NS6detail15normal_iteratorINS9_10device_ptrIsEEEESE_SE_sNS9_4plusIvEENS9_8equal_toIsEEsEE10hipError_tPvRmT2_T3_T4_T5_mT6_T7_P12ihipStream_tbENKUlT_T0_E_clISt17integral_constantIbLb1EESZ_EEDaSU_SV_EUlSU_E_NS1_11comp_targetILNS1_3genE8ELNS1_11target_archE1030ELNS1_3gpuE2ELNS1_3repE0EEENS1_30default_config_static_selectorELNS0_4arch9wavefront6targetE0EEEvT1_,"axG",@progbits,_ZN7rocprim17ROCPRIM_400000_NS6detail17trampoline_kernelINS0_14default_configENS1_27scan_by_key_config_selectorIssEEZZNS1_16scan_by_key_implILNS1_25lookback_scan_determinismE0ELb0ES3_N6thrust23THRUST_200600_302600_NS6detail15normal_iteratorINS9_10device_ptrIsEEEESE_SE_sNS9_4plusIvEENS9_8equal_toIsEEsEE10hipError_tPvRmT2_T3_T4_T5_mT6_T7_P12ihipStream_tbENKUlT_T0_E_clISt17integral_constantIbLb1EESZ_EEDaSU_SV_EUlSU_E_NS1_11comp_targetILNS1_3genE8ELNS1_11target_archE1030ELNS1_3gpuE2ELNS1_3repE0EEENS1_30default_config_static_selectorELNS0_4arch9wavefront6targetE0EEEvT1_,comdat
	.protected	_ZN7rocprim17ROCPRIM_400000_NS6detail17trampoline_kernelINS0_14default_configENS1_27scan_by_key_config_selectorIssEEZZNS1_16scan_by_key_implILNS1_25lookback_scan_determinismE0ELb0ES3_N6thrust23THRUST_200600_302600_NS6detail15normal_iteratorINS9_10device_ptrIsEEEESE_SE_sNS9_4plusIvEENS9_8equal_toIsEEsEE10hipError_tPvRmT2_T3_T4_T5_mT6_T7_P12ihipStream_tbENKUlT_T0_E_clISt17integral_constantIbLb1EESZ_EEDaSU_SV_EUlSU_E_NS1_11comp_targetILNS1_3genE8ELNS1_11target_archE1030ELNS1_3gpuE2ELNS1_3repE0EEENS1_30default_config_static_selectorELNS0_4arch9wavefront6targetE0EEEvT1_ ; -- Begin function _ZN7rocprim17ROCPRIM_400000_NS6detail17trampoline_kernelINS0_14default_configENS1_27scan_by_key_config_selectorIssEEZZNS1_16scan_by_key_implILNS1_25lookback_scan_determinismE0ELb0ES3_N6thrust23THRUST_200600_302600_NS6detail15normal_iteratorINS9_10device_ptrIsEEEESE_SE_sNS9_4plusIvEENS9_8equal_toIsEEsEE10hipError_tPvRmT2_T3_T4_T5_mT6_T7_P12ihipStream_tbENKUlT_T0_E_clISt17integral_constantIbLb1EESZ_EEDaSU_SV_EUlSU_E_NS1_11comp_targetILNS1_3genE8ELNS1_11target_archE1030ELNS1_3gpuE2ELNS1_3repE0EEENS1_30default_config_static_selectorELNS0_4arch9wavefront6targetE0EEEvT1_
	.globl	_ZN7rocprim17ROCPRIM_400000_NS6detail17trampoline_kernelINS0_14default_configENS1_27scan_by_key_config_selectorIssEEZZNS1_16scan_by_key_implILNS1_25lookback_scan_determinismE0ELb0ES3_N6thrust23THRUST_200600_302600_NS6detail15normal_iteratorINS9_10device_ptrIsEEEESE_SE_sNS9_4plusIvEENS9_8equal_toIsEEsEE10hipError_tPvRmT2_T3_T4_T5_mT6_T7_P12ihipStream_tbENKUlT_T0_E_clISt17integral_constantIbLb1EESZ_EEDaSU_SV_EUlSU_E_NS1_11comp_targetILNS1_3genE8ELNS1_11target_archE1030ELNS1_3gpuE2ELNS1_3repE0EEENS1_30default_config_static_selectorELNS0_4arch9wavefront6targetE0EEEvT1_
	.p2align	8
	.type	_ZN7rocprim17ROCPRIM_400000_NS6detail17trampoline_kernelINS0_14default_configENS1_27scan_by_key_config_selectorIssEEZZNS1_16scan_by_key_implILNS1_25lookback_scan_determinismE0ELb0ES3_N6thrust23THRUST_200600_302600_NS6detail15normal_iteratorINS9_10device_ptrIsEEEESE_SE_sNS9_4plusIvEENS9_8equal_toIsEEsEE10hipError_tPvRmT2_T3_T4_T5_mT6_T7_P12ihipStream_tbENKUlT_T0_E_clISt17integral_constantIbLb1EESZ_EEDaSU_SV_EUlSU_E_NS1_11comp_targetILNS1_3genE8ELNS1_11target_archE1030ELNS1_3gpuE2ELNS1_3repE0EEENS1_30default_config_static_selectorELNS0_4arch9wavefront6targetE0EEEvT1_,@function
_ZN7rocprim17ROCPRIM_400000_NS6detail17trampoline_kernelINS0_14default_configENS1_27scan_by_key_config_selectorIssEEZZNS1_16scan_by_key_implILNS1_25lookback_scan_determinismE0ELb0ES3_N6thrust23THRUST_200600_302600_NS6detail15normal_iteratorINS9_10device_ptrIsEEEESE_SE_sNS9_4plusIvEENS9_8equal_toIsEEsEE10hipError_tPvRmT2_T3_T4_T5_mT6_T7_P12ihipStream_tbENKUlT_T0_E_clISt17integral_constantIbLb1EESZ_EEDaSU_SV_EUlSU_E_NS1_11comp_targetILNS1_3genE8ELNS1_11target_archE1030ELNS1_3gpuE2ELNS1_3repE0EEENS1_30default_config_static_selectorELNS0_4arch9wavefront6targetE0EEEvT1_: ; @_ZN7rocprim17ROCPRIM_400000_NS6detail17trampoline_kernelINS0_14default_configENS1_27scan_by_key_config_selectorIssEEZZNS1_16scan_by_key_implILNS1_25lookback_scan_determinismE0ELb0ES3_N6thrust23THRUST_200600_302600_NS6detail15normal_iteratorINS9_10device_ptrIsEEEESE_SE_sNS9_4plusIvEENS9_8equal_toIsEEsEE10hipError_tPvRmT2_T3_T4_T5_mT6_T7_P12ihipStream_tbENKUlT_T0_E_clISt17integral_constantIbLb1EESZ_EEDaSU_SV_EUlSU_E_NS1_11comp_targetILNS1_3genE8ELNS1_11target_archE1030ELNS1_3gpuE2ELNS1_3repE0EEENS1_30default_config_static_selectorELNS0_4arch9wavefront6targetE0EEEvT1_
; %bb.0:
	.section	.rodata,"a",@progbits
	.p2align	6, 0x0
	.amdhsa_kernel _ZN7rocprim17ROCPRIM_400000_NS6detail17trampoline_kernelINS0_14default_configENS1_27scan_by_key_config_selectorIssEEZZNS1_16scan_by_key_implILNS1_25lookback_scan_determinismE0ELb0ES3_N6thrust23THRUST_200600_302600_NS6detail15normal_iteratorINS9_10device_ptrIsEEEESE_SE_sNS9_4plusIvEENS9_8equal_toIsEEsEE10hipError_tPvRmT2_T3_T4_T5_mT6_T7_P12ihipStream_tbENKUlT_T0_E_clISt17integral_constantIbLb1EESZ_EEDaSU_SV_EUlSU_E_NS1_11comp_targetILNS1_3genE8ELNS1_11target_archE1030ELNS1_3gpuE2ELNS1_3repE0EEENS1_30default_config_static_selectorELNS0_4arch9wavefront6targetE0EEEvT1_
		.amdhsa_group_segment_fixed_size 0
		.amdhsa_private_segment_fixed_size 0
		.amdhsa_kernarg_size 112
		.amdhsa_user_sgpr_count 2
		.amdhsa_user_sgpr_dispatch_ptr 0
		.amdhsa_user_sgpr_queue_ptr 0
		.amdhsa_user_sgpr_kernarg_segment_ptr 1
		.amdhsa_user_sgpr_dispatch_id 0
		.amdhsa_user_sgpr_kernarg_preload_length 0
		.amdhsa_user_sgpr_kernarg_preload_offset 0
		.amdhsa_user_sgpr_private_segment_size 0
		.amdhsa_wavefront_size32 1
		.amdhsa_uses_dynamic_stack 0
		.amdhsa_enable_private_segment 0
		.amdhsa_system_sgpr_workgroup_id_x 1
		.amdhsa_system_sgpr_workgroup_id_y 0
		.amdhsa_system_sgpr_workgroup_id_z 0
		.amdhsa_system_sgpr_workgroup_info 0
		.amdhsa_system_vgpr_workitem_id 0
		.amdhsa_next_free_vgpr 1
		.amdhsa_next_free_sgpr 1
		.amdhsa_named_barrier_count 0
		.amdhsa_reserve_vcc 0
		.amdhsa_float_round_mode_32 0
		.amdhsa_float_round_mode_16_64 0
		.amdhsa_float_denorm_mode_32 3
		.amdhsa_float_denorm_mode_16_64 3
		.amdhsa_fp16_overflow 0
		.amdhsa_memory_ordered 1
		.amdhsa_forward_progress 1
		.amdhsa_inst_pref_size 0
		.amdhsa_round_robin_scheduling 0
		.amdhsa_exception_fp_ieee_invalid_op 0
		.amdhsa_exception_fp_denorm_src 0
		.amdhsa_exception_fp_ieee_div_zero 0
		.amdhsa_exception_fp_ieee_overflow 0
		.amdhsa_exception_fp_ieee_underflow 0
		.amdhsa_exception_fp_ieee_inexact 0
		.amdhsa_exception_int_div_zero 0
	.end_amdhsa_kernel
	.section	.text._ZN7rocprim17ROCPRIM_400000_NS6detail17trampoline_kernelINS0_14default_configENS1_27scan_by_key_config_selectorIssEEZZNS1_16scan_by_key_implILNS1_25lookback_scan_determinismE0ELb0ES3_N6thrust23THRUST_200600_302600_NS6detail15normal_iteratorINS9_10device_ptrIsEEEESE_SE_sNS9_4plusIvEENS9_8equal_toIsEEsEE10hipError_tPvRmT2_T3_T4_T5_mT6_T7_P12ihipStream_tbENKUlT_T0_E_clISt17integral_constantIbLb1EESZ_EEDaSU_SV_EUlSU_E_NS1_11comp_targetILNS1_3genE8ELNS1_11target_archE1030ELNS1_3gpuE2ELNS1_3repE0EEENS1_30default_config_static_selectorELNS0_4arch9wavefront6targetE0EEEvT1_,"axG",@progbits,_ZN7rocprim17ROCPRIM_400000_NS6detail17trampoline_kernelINS0_14default_configENS1_27scan_by_key_config_selectorIssEEZZNS1_16scan_by_key_implILNS1_25lookback_scan_determinismE0ELb0ES3_N6thrust23THRUST_200600_302600_NS6detail15normal_iteratorINS9_10device_ptrIsEEEESE_SE_sNS9_4plusIvEENS9_8equal_toIsEEsEE10hipError_tPvRmT2_T3_T4_T5_mT6_T7_P12ihipStream_tbENKUlT_T0_E_clISt17integral_constantIbLb1EESZ_EEDaSU_SV_EUlSU_E_NS1_11comp_targetILNS1_3genE8ELNS1_11target_archE1030ELNS1_3gpuE2ELNS1_3repE0EEENS1_30default_config_static_selectorELNS0_4arch9wavefront6targetE0EEEvT1_,comdat
.Lfunc_end334:
	.size	_ZN7rocprim17ROCPRIM_400000_NS6detail17trampoline_kernelINS0_14default_configENS1_27scan_by_key_config_selectorIssEEZZNS1_16scan_by_key_implILNS1_25lookback_scan_determinismE0ELb0ES3_N6thrust23THRUST_200600_302600_NS6detail15normal_iteratorINS9_10device_ptrIsEEEESE_SE_sNS9_4plusIvEENS9_8equal_toIsEEsEE10hipError_tPvRmT2_T3_T4_T5_mT6_T7_P12ihipStream_tbENKUlT_T0_E_clISt17integral_constantIbLb1EESZ_EEDaSU_SV_EUlSU_E_NS1_11comp_targetILNS1_3genE8ELNS1_11target_archE1030ELNS1_3gpuE2ELNS1_3repE0EEENS1_30default_config_static_selectorELNS0_4arch9wavefront6targetE0EEEvT1_, .Lfunc_end334-_ZN7rocprim17ROCPRIM_400000_NS6detail17trampoline_kernelINS0_14default_configENS1_27scan_by_key_config_selectorIssEEZZNS1_16scan_by_key_implILNS1_25lookback_scan_determinismE0ELb0ES3_N6thrust23THRUST_200600_302600_NS6detail15normal_iteratorINS9_10device_ptrIsEEEESE_SE_sNS9_4plusIvEENS9_8equal_toIsEEsEE10hipError_tPvRmT2_T3_T4_T5_mT6_T7_P12ihipStream_tbENKUlT_T0_E_clISt17integral_constantIbLb1EESZ_EEDaSU_SV_EUlSU_E_NS1_11comp_targetILNS1_3genE8ELNS1_11target_archE1030ELNS1_3gpuE2ELNS1_3repE0EEENS1_30default_config_static_selectorELNS0_4arch9wavefront6targetE0EEEvT1_
                                        ; -- End function
	.set _ZN7rocprim17ROCPRIM_400000_NS6detail17trampoline_kernelINS0_14default_configENS1_27scan_by_key_config_selectorIssEEZZNS1_16scan_by_key_implILNS1_25lookback_scan_determinismE0ELb0ES3_N6thrust23THRUST_200600_302600_NS6detail15normal_iteratorINS9_10device_ptrIsEEEESE_SE_sNS9_4plusIvEENS9_8equal_toIsEEsEE10hipError_tPvRmT2_T3_T4_T5_mT6_T7_P12ihipStream_tbENKUlT_T0_E_clISt17integral_constantIbLb1EESZ_EEDaSU_SV_EUlSU_E_NS1_11comp_targetILNS1_3genE8ELNS1_11target_archE1030ELNS1_3gpuE2ELNS1_3repE0EEENS1_30default_config_static_selectorELNS0_4arch9wavefront6targetE0EEEvT1_.num_vgpr, 0
	.set _ZN7rocprim17ROCPRIM_400000_NS6detail17trampoline_kernelINS0_14default_configENS1_27scan_by_key_config_selectorIssEEZZNS1_16scan_by_key_implILNS1_25lookback_scan_determinismE0ELb0ES3_N6thrust23THRUST_200600_302600_NS6detail15normal_iteratorINS9_10device_ptrIsEEEESE_SE_sNS9_4plusIvEENS9_8equal_toIsEEsEE10hipError_tPvRmT2_T3_T4_T5_mT6_T7_P12ihipStream_tbENKUlT_T0_E_clISt17integral_constantIbLb1EESZ_EEDaSU_SV_EUlSU_E_NS1_11comp_targetILNS1_3genE8ELNS1_11target_archE1030ELNS1_3gpuE2ELNS1_3repE0EEENS1_30default_config_static_selectorELNS0_4arch9wavefront6targetE0EEEvT1_.num_agpr, 0
	.set _ZN7rocprim17ROCPRIM_400000_NS6detail17trampoline_kernelINS0_14default_configENS1_27scan_by_key_config_selectorIssEEZZNS1_16scan_by_key_implILNS1_25lookback_scan_determinismE0ELb0ES3_N6thrust23THRUST_200600_302600_NS6detail15normal_iteratorINS9_10device_ptrIsEEEESE_SE_sNS9_4plusIvEENS9_8equal_toIsEEsEE10hipError_tPvRmT2_T3_T4_T5_mT6_T7_P12ihipStream_tbENKUlT_T0_E_clISt17integral_constantIbLb1EESZ_EEDaSU_SV_EUlSU_E_NS1_11comp_targetILNS1_3genE8ELNS1_11target_archE1030ELNS1_3gpuE2ELNS1_3repE0EEENS1_30default_config_static_selectorELNS0_4arch9wavefront6targetE0EEEvT1_.numbered_sgpr, 0
	.set _ZN7rocprim17ROCPRIM_400000_NS6detail17trampoline_kernelINS0_14default_configENS1_27scan_by_key_config_selectorIssEEZZNS1_16scan_by_key_implILNS1_25lookback_scan_determinismE0ELb0ES3_N6thrust23THRUST_200600_302600_NS6detail15normal_iteratorINS9_10device_ptrIsEEEESE_SE_sNS9_4plusIvEENS9_8equal_toIsEEsEE10hipError_tPvRmT2_T3_T4_T5_mT6_T7_P12ihipStream_tbENKUlT_T0_E_clISt17integral_constantIbLb1EESZ_EEDaSU_SV_EUlSU_E_NS1_11comp_targetILNS1_3genE8ELNS1_11target_archE1030ELNS1_3gpuE2ELNS1_3repE0EEENS1_30default_config_static_selectorELNS0_4arch9wavefront6targetE0EEEvT1_.num_named_barrier, 0
	.set _ZN7rocprim17ROCPRIM_400000_NS6detail17trampoline_kernelINS0_14default_configENS1_27scan_by_key_config_selectorIssEEZZNS1_16scan_by_key_implILNS1_25lookback_scan_determinismE0ELb0ES3_N6thrust23THRUST_200600_302600_NS6detail15normal_iteratorINS9_10device_ptrIsEEEESE_SE_sNS9_4plusIvEENS9_8equal_toIsEEsEE10hipError_tPvRmT2_T3_T4_T5_mT6_T7_P12ihipStream_tbENKUlT_T0_E_clISt17integral_constantIbLb1EESZ_EEDaSU_SV_EUlSU_E_NS1_11comp_targetILNS1_3genE8ELNS1_11target_archE1030ELNS1_3gpuE2ELNS1_3repE0EEENS1_30default_config_static_selectorELNS0_4arch9wavefront6targetE0EEEvT1_.private_seg_size, 0
	.set _ZN7rocprim17ROCPRIM_400000_NS6detail17trampoline_kernelINS0_14default_configENS1_27scan_by_key_config_selectorIssEEZZNS1_16scan_by_key_implILNS1_25lookback_scan_determinismE0ELb0ES3_N6thrust23THRUST_200600_302600_NS6detail15normal_iteratorINS9_10device_ptrIsEEEESE_SE_sNS9_4plusIvEENS9_8equal_toIsEEsEE10hipError_tPvRmT2_T3_T4_T5_mT6_T7_P12ihipStream_tbENKUlT_T0_E_clISt17integral_constantIbLb1EESZ_EEDaSU_SV_EUlSU_E_NS1_11comp_targetILNS1_3genE8ELNS1_11target_archE1030ELNS1_3gpuE2ELNS1_3repE0EEENS1_30default_config_static_selectorELNS0_4arch9wavefront6targetE0EEEvT1_.uses_vcc, 0
	.set _ZN7rocprim17ROCPRIM_400000_NS6detail17trampoline_kernelINS0_14default_configENS1_27scan_by_key_config_selectorIssEEZZNS1_16scan_by_key_implILNS1_25lookback_scan_determinismE0ELb0ES3_N6thrust23THRUST_200600_302600_NS6detail15normal_iteratorINS9_10device_ptrIsEEEESE_SE_sNS9_4plusIvEENS9_8equal_toIsEEsEE10hipError_tPvRmT2_T3_T4_T5_mT6_T7_P12ihipStream_tbENKUlT_T0_E_clISt17integral_constantIbLb1EESZ_EEDaSU_SV_EUlSU_E_NS1_11comp_targetILNS1_3genE8ELNS1_11target_archE1030ELNS1_3gpuE2ELNS1_3repE0EEENS1_30default_config_static_selectorELNS0_4arch9wavefront6targetE0EEEvT1_.uses_flat_scratch, 0
	.set _ZN7rocprim17ROCPRIM_400000_NS6detail17trampoline_kernelINS0_14default_configENS1_27scan_by_key_config_selectorIssEEZZNS1_16scan_by_key_implILNS1_25lookback_scan_determinismE0ELb0ES3_N6thrust23THRUST_200600_302600_NS6detail15normal_iteratorINS9_10device_ptrIsEEEESE_SE_sNS9_4plusIvEENS9_8equal_toIsEEsEE10hipError_tPvRmT2_T3_T4_T5_mT6_T7_P12ihipStream_tbENKUlT_T0_E_clISt17integral_constantIbLb1EESZ_EEDaSU_SV_EUlSU_E_NS1_11comp_targetILNS1_3genE8ELNS1_11target_archE1030ELNS1_3gpuE2ELNS1_3repE0EEENS1_30default_config_static_selectorELNS0_4arch9wavefront6targetE0EEEvT1_.has_dyn_sized_stack, 0
	.set _ZN7rocprim17ROCPRIM_400000_NS6detail17trampoline_kernelINS0_14default_configENS1_27scan_by_key_config_selectorIssEEZZNS1_16scan_by_key_implILNS1_25lookback_scan_determinismE0ELb0ES3_N6thrust23THRUST_200600_302600_NS6detail15normal_iteratorINS9_10device_ptrIsEEEESE_SE_sNS9_4plusIvEENS9_8equal_toIsEEsEE10hipError_tPvRmT2_T3_T4_T5_mT6_T7_P12ihipStream_tbENKUlT_T0_E_clISt17integral_constantIbLb1EESZ_EEDaSU_SV_EUlSU_E_NS1_11comp_targetILNS1_3genE8ELNS1_11target_archE1030ELNS1_3gpuE2ELNS1_3repE0EEENS1_30default_config_static_selectorELNS0_4arch9wavefront6targetE0EEEvT1_.has_recursion, 0
	.set _ZN7rocprim17ROCPRIM_400000_NS6detail17trampoline_kernelINS0_14default_configENS1_27scan_by_key_config_selectorIssEEZZNS1_16scan_by_key_implILNS1_25lookback_scan_determinismE0ELb0ES3_N6thrust23THRUST_200600_302600_NS6detail15normal_iteratorINS9_10device_ptrIsEEEESE_SE_sNS9_4plusIvEENS9_8equal_toIsEEsEE10hipError_tPvRmT2_T3_T4_T5_mT6_T7_P12ihipStream_tbENKUlT_T0_E_clISt17integral_constantIbLb1EESZ_EEDaSU_SV_EUlSU_E_NS1_11comp_targetILNS1_3genE8ELNS1_11target_archE1030ELNS1_3gpuE2ELNS1_3repE0EEENS1_30default_config_static_selectorELNS0_4arch9wavefront6targetE0EEEvT1_.has_indirect_call, 0
	.section	.AMDGPU.csdata,"",@progbits
; Kernel info:
; codeLenInByte = 0
; TotalNumSgprs: 0
; NumVgprs: 0
; ScratchSize: 0
; MemoryBound: 0
; FloatMode: 240
; IeeeMode: 1
; LDSByteSize: 0 bytes/workgroup (compile time only)
; SGPRBlocks: 0
; VGPRBlocks: 0
; NumSGPRsForWavesPerEU: 1
; NumVGPRsForWavesPerEU: 1
; NamedBarCnt: 0
; Occupancy: 16
; WaveLimiterHint : 0
; COMPUTE_PGM_RSRC2:SCRATCH_EN: 0
; COMPUTE_PGM_RSRC2:USER_SGPR: 2
; COMPUTE_PGM_RSRC2:TRAP_HANDLER: 0
; COMPUTE_PGM_RSRC2:TGID_X_EN: 1
; COMPUTE_PGM_RSRC2:TGID_Y_EN: 0
; COMPUTE_PGM_RSRC2:TGID_Z_EN: 0
; COMPUTE_PGM_RSRC2:TIDIG_COMP_CNT: 0
	.section	.text._ZN7rocprim17ROCPRIM_400000_NS6detail17trampoline_kernelINS0_14default_configENS1_27scan_by_key_config_selectorIssEEZZNS1_16scan_by_key_implILNS1_25lookback_scan_determinismE0ELb0ES3_N6thrust23THRUST_200600_302600_NS6detail15normal_iteratorINS9_10device_ptrIsEEEESE_SE_sNS9_4plusIvEENS9_8equal_toIsEEsEE10hipError_tPvRmT2_T3_T4_T5_mT6_T7_P12ihipStream_tbENKUlT_T0_E_clISt17integral_constantIbLb1EESY_IbLb0EEEEDaSU_SV_EUlSU_E_NS1_11comp_targetILNS1_3genE0ELNS1_11target_archE4294967295ELNS1_3gpuE0ELNS1_3repE0EEENS1_30default_config_static_selectorELNS0_4arch9wavefront6targetE0EEEvT1_,"axG",@progbits,_ZN7rocprim17ROCPRIM_400000_NS6detail17trampoline_kernelINS0_14default_configENS1_27scan_by_key_config_selectorIssEEZZNS1_16scan_by_key_implILNS1_25lookback_scan_determinismE0ELb0ES3_N6thrust23THRUST_200600_302600_NS6detail15normal_iteratorINS9_10device_ptrIsEEEESE_SE_sNS9_4plusIvEENS9_8equal_toIsEEsEE10hipError_tPvRmT2_T3_T4_T5_mT6_T7_P12ihipStream_tbENKUlT_T0_E_clISt17integral_constantIbLb1EESY_IbLb0EEEEDaSU_SV_EUlSU_E_NS1_11comp_targetILNS1_3genE0ELNS1_11target_archE4294967295ELNS1_3gpuE0ELNS1_3repE0EEENS1_30default_config_static_selectorELNS0_4arch9wavefront6targetE0EEEvT1_,comdat
	.protected	_ZN7rocprim17ROCPRIM_400000_NS6detail17trampoline_kernelINS0_14default_configENS1_27scan_by_key_config_selectorIssEEZZNS1_16scan_by_key_implILNS1_25lookback_scan_determinismE0ELb0ES3_N6thrust23THRUST_200600_302600_NS6detail15normal_iteratorINS9_10device_ptrIsEEEESE_SE_sNS9_4plusIvEENS9_8equal_toIsEEsEE10hipError_tPvRmT2_T3_T4_T5_mT6_T7_P12ihipStream_tbENKUlT_T0_E_clISt17integral_constantIbLb1EESY_IbLb0EEEEDaSU_SV_EUlSU_E_NS1_11comp_targetILNS1_3genE0ELNS1_11target_archE4294967295ELNS1_3gpuE0ELNS1_3repE0EEENS1_30default_config_static_selectorELNS0_4arch9wavefront6targetE0EEEvT1_ ; -- Begin function _ZN7rocprim17ROCPRIM_400000_NS6detail17trampoline_kernelINS0_14default_configENS1_27scan_by_key_config_selectorIssEEZZNS1_16scan_by_key_implILNS1_25lookback_scan_determinismE0ELb0ES3_N6thrust23THRUST_200600_302600_NS6detail15normal_iteratorINS9_10device_ptrIsEEEESE_SE_sNS9_4plusIvEENS9_8equal_toIsEEsEE10hipError_tPvRmT2_T3_T4_T5_mT6_T7_P12ihipStream_tbENKUlT_T0_E_clISt17integral_constantIbLb1EESY_IbLb0EEEEDaSU_SV_EUlSU_E_NS1_11comp_targetILNS1_3genE0ELNS1_11target_archE4294967295ELNS1_3gpuE0ELNS1_3repE0EEENS1_30default_config_static_selectorELNS0_4arch9wavefront6targetE0EEEvT1_
	.globl	_ZN7rocprim17ROCPRIM_400000_NS6detail17trampoline_kernelINS0_14default_configENS1_27scan_by_key_config_selectorIssEEZZNS1_16scan_by_key_implILNS1_25lookback_scan_determinismE0ELb0ES3_N6thrust23THRUST_200600_302600_NS6detail15normal_iteratorINS9_10device_ptrIsEEEESE_SE_sNS9_4plusIvEENS9_8equal_toIsEEsEE10hipError_tPvRmT2_T3_T4_T5_mT6_T7_P12ihipStream_tbENKUlT_T0_E_clISt17integral_constantIbLb1EESY_IbLb0EEEEDaSU_SV_EUlSU_E_NS1_11comp_targetILNS1_3genE0ELNS1_11target_archE4294967295ELNS1_3gpuE0ELNS1_3repE0EEENS1_30default_config_static_selectorELNS0_4arch9wavefront6targetE0EEEvT1_
	.p2align	8
	.type	_ZN7rocprim17ROCPRIM_400000_NS6detail17trampoline_kernelINS0_14default_configENS1_27scan_by_key_config_selectorIssEEZZNS1_16scan_by_key_implILNS1_25lookback_scan_determinismE0ELb0ES3_N6thrust23THRUST_200600_302600_NS6detail15normal_iteratorINS9_10device_ptrIsEEEESE_SE_sNS9_4plusIvEENS9_8equal_toIsEEsEE10hipError_tPvRmT2_T3_T4_T5_mT6_T7_P12ihipStream_tbENKUlT_T0_E_clISt17integral_constantIbLb1EESY_IbLb0EEEEDaSU_SV_EUlSU_E_NS1_11comp_targetILNS1_3genE0ELNS1_11target_archE4294967295ELNS1_3gpuE0ELNS1_3repE0EEENS1_30default_config_static_selectorELNS0_4arch9wavefront6targetE0EEEvT1_,@function
_ZN7rocprim17ROCPRIM_400000_NS6detail17trampoline_kernelINS0_14default_configENS1_27scan_by_key_config_selectorIssEEZZNS1_16scan_by_key_implILNS1_25lookback_scan_determinismE0ELb0ES3_N6thrust23THRUST_200600_302600_NS6detail15normal_iteratorINS9_10device_ptrIsEEEESE_SE_sNS9_4plusIvEENS9_8equal_toIsEEsEE10hipError_tPvRmT2_T3_T4_T5_mT6_T7_P12ihipStream_tbENKUlT_T0_E_clISt17integral_constantIbLb1EESY_IbLb0EEEEDaSU_SV_EUlSU_E_NS1_11comp_targetILNS1_3genE0ELNS1_11target_archE4294967295ELNS1_3gpuE0ELNS1_3repE0EEENS1_30default_config_static_selectorELNS0_4arch9wavefront6targetE0EEEvT1_: ; @_ZN7rocprim17ROCPRIM_400000_NS6detail17trampoline_kernelINS0_14default_configENS1_27scan_by_key_config_selectorIssEEZZNS1_16scan_by_key_implILNS1_25lookback_scan_determinismE0ELb0ES3_N6thrust23THRUST_200600_302600_NS6detail15normal_iteratorINS9_10device_ptrIsEEEESE_SE_sNS9_4plusIvEENS9_8equal_toIsEEsEE10hipError_tPvRmT2_T3_T4_T5_mT6_T7_P12ihipStream_tbENKUlT_T0_E_clISt17integral_constantIbLb1EESY_IbLb0EEEEDaSU_SV_EUlSU_E_NS1_11comp_targetILNS1_3genE0ELNS1_11target_archE4294967295ELNS1_3gpuE0ELNS1_3repE0EEENS1_30default_config_static_selectorELNS0_4arch9wavefront6targetE0EEEvT1_
; %bb.0:
	s_endpgm
	.section	.rodata,"a",@progbits
	.p2align	6, 0x0
	.amdhsa_kernel _ZN7rocprim17ROCPRIM_400000_NS6detail17trampoline_kernelINS0_14default_configENS1_27scan_by_key_config_selectorIssEEZZNS1_16scan_by_key_implILNS1_25lookback_scan_determinismE0ELb0ES3_N6thrust23THRUST_200600_302600_NS6detail15normal_iteratorINS9_10device_ptrIsEEEESE_SE_sNS9_4plusIvEENS9_8equal_toIsEEsEE10hipError_tPvRmT2_T3_T4_T5_mT6_T7_P12ihipStream_tbENKUlT_T0_E_clISt17integral_constantIbLb1EESY_IbLb0EEEEDaSU_SV_EUlSU_E_NS1_11comp_targetILNS1_3genE0ELNS1_11target_archE4294967295ELNS1_3gpuE0ELNS1_3repE0EEENS1_30default_config_static_selectorELNS0_4arch9wavefront6targetE0EEEvT1_
		.amdhsa_group_segment_fixed_size 0
		.amdhsa_private_segment_fixed_size 0
		.amdhsa_kernarg_size 112
		.amdhsa_user_sgpr_count 2
		.amdhsa_user_sgpr_dispatch_ptr 0
		.amdhsa_user_sgpr_queue_ptr 0
		.amdhsa_user_sgpr_kernarg_segment_ptr 1
		.amdhsa_user_sgpr_dispatch_id 0
		.amdhsa_user_sgpr_kernarg_preload_length 0
		.amdhsa_user_sgpr_kernarg_preload_offset 0
		.amdhsa_user_sgpr_private_segment_size 0
		.amdhsa_wavefront_size32 1
		.amdhsa_uses_dynamic_stack 0
		.amdhsa_enable_private_segment 0
		.amdhsa_system_sgpr_workgroup_id_x 1
		.amdhsa_system_sgpr_workgroup_id_y 0
		.amdhsa_system_sgpr_workgroup_id_z 0
		.amdhsa_system_sgpr_workgroup_info 0
		.amdhsa_system_vgpr_workitem_id 0
		.amdhsa_next_free_vgpr 1
		.amdhsa_next_free_sgpr 1
		.amdhsa_named_barrier_count 0
		.amdhsa_reserve_vcc 0
		.amdhsa_float_round_mode_32 0
		.amdhsa_float_round_mode_16_64 0
		.amdhsa_float_denorm_mode_32 3
		.amdhsa_float_denorm_mode_16_64 3
		.amdhsa_fp16_overflow 0
		.amdhsa_memory_ordered 1
		.amdhsa_forward_progress 1
		.amdhsa_inst_pref_size 1
		.amdhsa_round_robin_scheduling 0
		.amdhsa_exception_fp_ieee_invalid_op 0
		.amdhsa_exception_fp_denorm_src 0
		.amdhsa_exception_fp_ieee_div_zero 0
		.amdhsa_exception_fp_ieee_overflow 0
		.amdhsa_exception_fp_ieee_underflow 0
		.amdhsa_exception_fp_ieee_inexact 0
		.amdhsa_exception_int_div_zero 0
	.end_amdhsa_kernel
	.section	.text._ZN7rocprim17ROCPRIM_400000_NS6detail17trampoline_kernelINS0_14default_configENS1_27scan_by_key_config_selectorIssEEZZNS1_16scan_by_key_implILNS1_25lookback_scan_determinismE0ELb0ES3_N6thrust23THRUST_200600_302600_NS6detail15normal_iteratorINS9_10device_ptrIsEEEESE_SE_sNS9_4plusIvEENS9_8equal_toIsEEsEE10hipError_tPvRmT2_T3_T4_T5_mT6_T7_P12ihipStream_tbENKUlT_T0_E_clISt17integral_constantIbLb1EESY_IbLb0EEEEDaSU_SV_EUlSU_E_NS1_11comp_targetILNS1_3genE0ELNS1_11target_archE4294967295ELNS1_3gpuE0ELNS1_3repE0EEENS1_30default_config_static_selectorELNS0_4arch9wavefront6targetE0EEEvT1_,"axG",@progbits,_ZN7rocprim17ROCPRIM_400000_NS6detail17trampoline_kernelINS0_14default_configENS1_27scan_by_key_config_selectorIssEEZZNS1_16scan_by_key_implILNS1_25lookback_scan_determinismE0ELb0ES3_N6thrust23THRUST_200600_302600_NS6detail15normal_iteratorINS9_10device_ptrIsEEEESE_SE_sNS9_4plusIvEENS9_8equal_toIsEEsEE10hipError_tPvRmT2_T3_T4_T5_mT6_T7_P12ihipStream_tbENKUlT_T0_E_clISt17integral_constantIbLb1EESY_IbLb0EEEEDaSU_SV_EUlSU_E_NS1_11comp_targetILNS1_3genE0ELNS1_11target_archE4294967295ELNS1_3gpuE0ELNS1_3repE0EEENS1_30default_config_static_selectorELNS0_4arch9wavefront6targetE0EEEvT1_,comdat
.Lfunc_end335:
	.size	_ZN7rocprim17ROCPRIM_400000_NS6detail17trampoline_kernelINS0_14default_configENS1_27scan_by_key_config_selectorIssEEZZNS1_16scan_by_key_implILNS1_25lookback_scan_determinismE0ELb0ES3_N6thrust23THRUST_200600_302600_NS6detail15normal_iteratorINS9_10device_ptrIsEEEESE_SE_sNS9_4plusIvEENS9_8equal_toIsEEsEE10hipError_tPvRmT2_T3_T4_T5_mT6_T7_P12ihipStream_tbENKUlT_T0_E_clISt17integral_constantIbLb1EESY_IbLb0EEEEDaSU_SV_EUlSU_E_NS1_11comp_targetILNS1_3genE0ELNS1_11target_archE4294967295ELNS1_3gpuE0ELNS1_3repE0EEENS1_30default_config_static_selectorELNS0_4arch9wavefront6targetE0EEEvT1_, .Lfunc_end335-_ZN7rocprim17ROCPRIM_400000_NS6detail17trampoline_kernelINS0_14default_configENS1_27scan_by_key_config_selectorIssEEZZNS1_16scan_by_key_implILNS1_25lookback_scan_determinismE0ELb0ES3_N6thrust23THRUST_200600_302600_NS6detail15normal_iteratorINS9_10device_ptrIsEEEESE_SE_sNS9_4plusIvEENS9_8equal_toIsEEsEE10hipError_tPvRmT2_T3_T4_T5_mT6_T7_P12ihipStream_tbENKUlT_T0_E_clISt17integral_constantIbLb1EESY_IbLb0EEEEDaSU_SV_EUlSU_E_NS1_11comp_targetILNS1_3genE0ELNS1_11target_archE4294967295ELNS1_3gpuE0ELNS1_3repE0EEENS1_30default_config_static_selectorELNS0_4arch9wavefront6targetE0EEEvT1_
                                        ; -- End function
	.set _ZN7rocprim17ROCPRIM_400000_NS6detail17trampoline_kernelINS0_14default_configENS1_27scan_by_key_config_selectorIssEEZZNS1_16scan_by_key_implILNS1_25lookback_scan_determinismE0ELb0ES3_N6thrust23THRUST_200600_302600_NS6detail15normal_iteratorINS9_10device_ptrIsEEEESE_SE_sNS9_4plusIvEENS9_8equal_toIsEEsEE10hipError_tPvRmT2_T3_T4_T5_mT6_T7_P12ihipStream_tbENKUlT_T0_E_clISt17integral_constantIbLb1EESY_IbLb0EEEEDaSU_SV_EUlSU_E_NS1_11comp_targetILNS1_3genE0ELNS1_11target_archE4294967295ELNS1_3gpuE0ELNS1_3repE0EEENS1_30default_config_static_selectorELNS0_4arch9wavefront6targetE0EEEvT1_.num_vgpr, 0
	.set _ZN7rocprim17ROCPRIM_400000_NS6detail17trampoline_kernelINS0_14default_configENS1_27scan_by_key_config_selectorIssEEZZNS1_16scan_by_key_implILNS1_25lookback_scan_determinismE0ELb0ES3_N6thrust23THRUST_200600_302600_NS6detail15normal_iteratorINS9_10device_ptrIsEEEESE_SE_sNS9_4plusIvEENS9_8equal_toIsEEsEE10hipError_tPvRmT2_T3_T4_T5_mT6_T7_P12ihipStream_tbENKUlT_T0_E_clISt17integral_constantIbLb1EESY_IbLb0EEEEDaSU_SV_EUlSU_E_NS1_11comp_targetILNS1_3genE0ELNS1_11target_archE4294967295ELNS1_3gpuE0ELNS1_3repE0EEENS1_30default_config_static_selectorELNS0_4arch9wavefront6targetE0EEEvT1_.num_agpr, 0
	.set _ZN7rocprim17ROCPRIM_400000_NS6detail17trampoline_kernelINS0_14default_configENS1_27scan_by_key_config_selectorIssEEZZNS1_16scan_by_key_implILNS1_25lookback_scan_determinismE0ELb0ES3_N6thrust23THRUST_200600_302600_NS6detail15normal_iteratorINS9_10device_ptrIsEEEESE_SE_sNS9_4plusIvEENS9_8equal_toIsEEsEE10hipError_tPvRmT2_T3_T4_T5_mT6_T7_P12ihipStream_tbENKUlT_T0_E_clISt17integral_constantIbLb1EESY_IbLb0EEEEDaSU_SV_EUlSU_E_NS1_11comp_targetILNS1_3genE0ELNS1_11target_archE4294967295ELNS1_3gpuE0ELNS1_3repE0EEENS1_30default_config_static_selectorELNS0_4arch9wavefront6targetE0EEEvT1_.numbered_sgpr, 0
	.set _ZN7rocprim17ROCPRIM_400000_NS6detail17trampoline_kernelINS0_14default_configENS1_27scan_by_key_config_selectorIssEEZZNS1_16scan_by_key_implILNS1_25lookback_scan_determinismE0ELb0ES3_N6thrust23THRUST_200600_302600_NS6detail15normal_iteratorINS9_10device_ptrIsEEEESE_SE_sNS9_4plusIvEENS9_8equal_toIsEEsEE10hipError_tPvRmT2_T3_T4_T5_mT6_T7_P12ihipStream_tbENKUlT_T0_E_clISt17integral_constantIbLb1EESY_IbLb0EEEEDaSU_SV_EUlSU_E_NS1_11comp_targetILNS1_3genE0ELNS1_11target_archE4294967295ELNS1_3gpuE0ELNS1_3repE0EEENS1_30default_config_static_selectorELNS0_4arch9wavefront6targetE0EEEvT1_.num_named_barrier, 0
	.set _ZN7rocprim17ROCPRIM_400000_NS6detail17trampoline_kernelINS0_14default_configENS1_27scan_by_key_config_selectorIssEEZZNS1_16scan_by_key_implILNS1_25lookback_scan_determinismE0ELb0ES3_N6thrust23THRUST_200600_302600_NS6detail15normal_iteratorINS9_10device_ptrIsEEEESE_SE_sNS9_4plusIvEENS9_8equal_toIsEEsEE10hipError_tPvRmT2_T3_T4_T5_mT6_T7_P12ihipStream_tbENKUlT_T0_E_clISt17integral_constantIbLb1EESY_IbLb0EEEEDaSU_SV_EUlSU_E_NS1_11comp_targetILNS1_3genE0ELNS1_11target_archE4294967295ELNS1_3gpuE0ELNS1_3repE0EEENS1_30default_config_static_selectorELNS0_4arch9wavefront6targetE0EEEvT1_.private_seg_size, 0
	.set _ZN7rocprim17ROCPRIM_400000_NS6detail17trampoline_kernelINS0_14default_configENS1_27scan_by_key_config_selectorIssEEZZNS1_16scan_by_key_implILNS1_25lookback_scan_determinismE0ELb0ES3_N6thrust23THRUST_200600_302600_NS6detail15normal_iteratorINS9_10device_ptrIsEEEESE_SE_sNS9_4plusIvEENS9_8equal_toIsEEsEE10hipError_tPvRmT2_T3_T4_T5_mT6_T7_P12ihipStream_tbENKUlT_T0_E_clISt17integral_constantIbLb1EESY_IbLb0EEEEDaSU_SV_EUlSU_E_NS1_11comp_targetILNS1_3genE0ELNS1_11target_archE4294967295ELNS1_3gpuE0ELNS1_3repE0EEENS1_30default_config_static_selectorELNS0_4arch9wavefront6targetE0EEEvT1_.uses_vcc, 0
	.set _ZN7rocprim17ROCPRIM_400000_NS6detail17trampoline_kernelINS0_14default_configENS1_27scan_by_key_config_selectorIssEEZZNS1_16scan_by_key_implILNS1_25lookback_scan_determinismE0ELb0ES3_N6thrust23THRUST_200600_302600_NS6detail15normal_iteratorINS9_10device_ptrIsEEEESE_SE_sNS9_4plusIvEENS9_8equal_toIsEEsEE10hipError_tPvRmT2_T3_T4_T5_mT6_T7_P12ihipStream_tbENKUlT_T0_E_clISt17integral_constantIbLb1EESY_IbLb0EEEEDaSU_SV_EUlSU_E_NS1_11comp_targetILNS1_3genE0ELNS1_11target_archE4294967295ELNS1_3gpuE0ELNS1_3repE0EEENS1_30default_config_static_selectorELNS0_4arch9wavefront6targetE0EEEvT1_.uses_flat_scratch, 0
	.set _ZN7rocprim17ROCPRIM_400000_NS6detail17trampoline_kernelINS0_14default_configENS1_27scan_by_key_config_selectorIssEEZZNS1_16scan_by_key_implILNS1_25lookback_scan_determinismE0ELb0ES3_N6thrust23THRUST_200600_302600_NS6detail15normal_iteratorINS9_10device_ptrIsEEEESE_SE_sNS9_4plusIvEENS9_8equal_toIsEEsEE10hipError_tPvRmT2_T3_T4_T5_mT6_T7_P12ihipStream_tbENKUlT_T0_E_clISt17integral_constantIbLb1EESY_IbLb0EEEEDaSU_SV_EUlSU_E_NS1_11comp_targetILNS1_3genE0ELNS1_11target_archE4294967295ELNS1_3gpuE0ELNS1_3repE0EEENS1_30default_config_static_selectorELNS0_4arch9wavefront6targetE0EEEvT1_.has_dyn_sized_stack, 0
	.set _ZN7rocprim17ROCPRIM_400000_NS6detail17trampoline_kernelINS0_14default_configENS1_27scan_by_key_config_selectorIssEEZZNS1_16scan_by_key_implILNS1_25lookback_scan_determinismE0ELb0ES3_N6thrust23THRUST_200600_302600_NS6detail15normal_iteratorINS9_10device_ptrIsEEEESE_SE_sNS9_4plusIvEENS9_8equal_toIsEEsEE10hipError_tPvRmT2_T3_T4_T5_mT6_T7_P12ihipStream_tbENKUlT_T0_E_clISt17integral_constantIbLb1EESY_IbLb0EEEEDaSU_SV_EUlSU_E_NS1_11comp_targetILNS1_3genE0ELNS1_11target_archE4294967295ELNS1_3gpuE0ELNS1_3repE0EEENS1_30default_config_static_selectorELNS0_4arch9wavefront6targetE0EEEvT1_.has_recursion, 0
	.set _ZN7rocprim17ROCPRIM_400000_NS6detail17trampoline_kernelINS0_14default_configENS1_27scan_by_key_config_selectorIssEEZZNS1_16scan_by_key_implILNS1_25lookback_scan_determinismE0ELb0ES3_N6thrust23THRUST_200600_302600_NS6detail15normal_iteratorINS9_10device_ptrIsEEEESE_SE_sNS9_4plusIvEENS9_8equal_toIsEEsEE10hipError_tPvRmT2_T3_T4_T5_mT6_T7_P12ihipStream_tbENKUlT_T0_E_clISt17integral_constantIbLb1EESY_IbLb0EEEEDaSU_SV_EUlSU_E_NS1_11comp_targetILNS1_3genE0ELNS1_11target_archE4294967295ELNS1_3gpuE0ELNS1_3repE0EEENS1_30default_config_static_selectorELNS0_4arch9wavefront6targetE0EEEvT1_.has_indirect_call, 0
	.section	.AMDGPU.csdata,"",@progbits
; Kernel info:
; codeLenInByte = 4
; TotalNumSgprs: 0
; NumVgprs: 0
; ScratchSize: 0
; MemoryBound: 0
; FloatMode: 240
; IeeeMode: 1
; LDSByteSize: 0 bytes/workgroup (compile time only)
; SGPRBlocks: 0
; VGPRBlocks: 0
; NumSGPRsForWavesPerEU: 1
; NumVGPRsForWavesPerEU: 1
; NamedBarCnt: 0
; Occupancy: 16
; WaveLimiterHint : 0
; COMPUTE_PGM_RSRC2:SCRATCH_EN: 0
; COMPUTE_PGM_RSRC2:USER_SGPR: 2
; COMPUTE_PGM_RSRC2:TRAP_HANDLER: 0
; COMPUTE_PGM_RSRC2:TGID_X_EN: 1
; COMPUTE_PGM_RSRC2:TGID_Y_EN: 0
; COMPUTE_PGM_RSRC2:TGID_Z_EN: 0
; COMPUTE_PGM_RSRC2:TIDIG_COMP_CNT: 0
	.section	.text._ZN7rocprim17ROCPRIM_400000_NS6detail17trampoline_kernelINS0_14default_configENS1_27scan_by_key_config_selectorIssEEZZNS1_16scan_by_key_implILNS1_25lookback_scan_determinismE0ELb0ES3_N6thrust23THRUST_200600_302600_NS6detail15normal_iteratorINS9_10device_ptrIsEEEESE_SE_sNS9_4plusIvEENS9_8equal_toIsEEsEE10hipError_tPvRmT2_T3_T4_T5_mT6_T7_P12ihipStream_tbENKUlT_T0_E_clISt17integral_constantIbLb1EESY_IbLb0EEEEDaSU_SV_EUlSU_E_NS1_11comp_targetILNS1_3genE10ELNS1_11target_archE1201ELNS1_3gpuE5ELNS1_3repE0EEENS1_30default_config_static_selectorELNS0_4arch9wavefront6targetE0EEEvT1_,"axG",@progbits,_ZN7rocprim17ROCPRIM_400000_NS6detail17trampoline_kernelINS0_14default_configENS1_27scan_by_key_config_selectorIssEEZZNS1_16scan_by_key_implILNS1_25lookback_scan_determinismE0ELb0ES3_N6thrust23THRUST_200600_302600_NS6detail15normal_iteratorINS9_10device_ptrIsEEEESE_SE_sNS9_4plusIvEENS9_8equal_toIsEEsEE10hipError_tPvRmT2_T3_T4_T5_mT6_T7_P12ihipStream_tbENKUlT_T0_E_clISt17integral_constantIbLb1EESY_IbLb0EEEEDaSU_SV_EUlSU_E_NS1_11comp_targetILNS1_3genE10ELNS1_11target_archE1201ELNS1_3gpuE5ELNS1_3repE0EEENS1_30default_config_static_selectorELNS0_4arch9wavefront6targetE0EEEvT1_,comdat
	.protected	_ZN7rocprim17ROCPRIM_400000_NS6detail17trampoline_kernelINS0_14default_configENS1_27scan_by_key_config_selectorIssEEZZNS1_16scan_by_key_implILNS1_25lookback_scan_determinismE0ELb0ES3_N6thrust23THRUST_200600_302600_NS6detail15normal_iteratorINS9_10device_ptrIsEEEESE_SE_sNS9_4plusIvEENS9_8equal_toIsEEsEE10hipError_tPvRmT2_T3_T4_T5_mT6_T7_P12ihipStream_tbENKUlT_T0_E_clISt17integral_constantIbLb1EESY_IbLb0EEEEDaSU_SV_EUlSU_E_NS1_11comp_targetILNS1_3genE10ELNS1_11target_archE1201ELNS1_3gpuE5ELNS1_3repE0EEENS1_30default_config_static_selectorELNS0_4arch9wavefront6targetE0EEEvT1_ ; -- Begin function _ZN7rocprim17ROCPRIM_400000_NS6detail17trampoline_kernelINS0_14default_configENS1_27scan_by_key_config_selectorIssEEZZNS1_16scan_by_key_implILNS1_25lookback_scan_determinismE0ELb0ES3_N6thrust23THRUST_200600_302600_NS6detail15normal_iteratorINS9_10device_ptrIsEEEESE_SE_sNS9_4plusIvEENS9_8equal_toIsEEsEE10hipError_tPvRmT2_T3_T4_T5_mT6_T7_P12ihipStream_tbENKUlT_T0_E_clISt17integral_constantIbLb1EESY_IbLb0EEEEDaSU_SV_EUlSU_E_NS1_11comp_targetILNS1_3genE10ELNS1_11target_archE1201ELNS1_3gpuE5ELNS1_3repE0EEENS1_30default_config_static_selectorELNS0_4arch9wavefront6targetE0EEEvT1_
	.globl	_ZN7rocprim17ROCPRIM_400000_NS6detail17trampoline_kernelINS0_14default_configENS1_27scan_by_key_config_selectorIssEEZZNS1_16scan_by_key_implILNS1_25lookback_scan_determinismE0ELb0ES3_N6thrust23THRUST_200600_302600_NS6detail15normal_iteratorINS9_10device_ptrIsEEEESE_SE_sNS9_4plusIvEENS9_8equal_toIsEEsEE10hipError_tPvRmT2_T3_T4_T5_mT6_T7_P12ihipStream_tbENKUlT_T0_E_clISt17integral_constantIbLb1EESY_IbLb0EEEEDaSU_SV_EUlSU_E_NS1_11comp_targetILNS1_3genE10ELNS1_11target_archE1201ELNS1_3gpuE5ELNS1_3repE0EEENS1_30default_config_static_selectorELNS0_4arch9wavefront6targetE0EEEvT1_
	.p2align	8
	.type	_ZN7rocprim17ROCPRIM_400000_NS6detail17trampoline_kernelINS0_14default_configENS1_27scan_by_key_config_selectorIssEEZZNS1_16scan_by_key_implILNS1_25lookback_scan_determinismE0ELb0ES3_N6thrust23THRUST_200600_302600_NS6detail15normal_iteratorINS9_10device_ptrIsEEEESE_SE_sNS9_4plusIvEENS9_8equal_toIsEEsEE10hipError_tPvRmT2_T3_T4_T5_mT6_T7_P12ihipStream_tbENKUlT_T0_E_clISt17integral_constantIbLb1EESY_IbLb0EEEEDaSU_SV_EUlSU_E_NS1_11comp_targetILNS1_3genE10ELNS1_11target_archE1201ELNS1_3gpuE5ELNS1_3repE0EEENS1_30default_config_static_selectorELNS0_4arch9wavefront6targetE0EEEvT1_,@function
_ZN7rocprim17ROCPRIM_400000_NS6detail17trampoline_kernelINS0_14default_configENS1_27scan_by_key_config_selectorIssEEZZNS1_16scan_by_key_implILNS1_25lookback_scan_determinismE0ELb0ES3_N6thrust23THRUST_200600_302600_NS6detail15normal_iteratorINS9_10device_ptrIsEEEESE_SE_sNS9_4plusIvEENS9_8equal_toIsEEsEE10hipError_tPvRmT2_T3_T4_T5_mT6_T7_P12ihipStream_tbENKUlT_T0_E_clISt17integral_constantIbLb1EESY_IbLb0EEEEDaSU_SV_EUlSU_E_NS1_11comp_targetILNS1_3genE10ELNS1_11target_archE1201ELNS1_3gpuE5ELNS1_3repE0EEENS1_30default_config_static_selectorELNS0_4arch9wavefront6targetE0EEEvT1_: ; @_ZN7rocprim17ROCPRIM_400000_NS6detail17trampoline_kernelINS0_14default_configENS1_27scan_by_key_config_selectorIssEEZZNS1_16scan_by_key_implILNS1_25lookback_scan_determinismE0ELb0ES3_N6thrust23THRUST_200600_302600_NS6detail15normal_iteratorINS9_10device_ptrIsEEEESE_SE_sNS9_4plusIvEENS9_8equal_toIsEEsEE10hipError_tPvRmT2_T3_T4_T5_mT6_T7_P12ihipStream_tbENKUlT_T0_E_clISt17integral_constantIbLb1EESY_IbLb0EEEEDaSU_SV_EUlSU_E_NS1_11comp_targetILNS1_3genE10ELNS1_11target_archE1201ELNS1_3gpuE5ELNS1_3repE0EEENS1_30default_config_static_selectorELNS0_4arch9wavefront6targetE0EEEvT1_
; %bb.0:
	.section	.rodata,"a",@progbits
	.p2align	6, 0x0
	.amdhsa_kernel _ZN7rocprim17ROCPRIM_400000_NS6detail17trampoline_kernelINS0_14default_configENS1_27scan_by_key_config_selectorIssEEZZNS1_16scan_by_key_implILNS1_25lookback_scan_determinismE0ELb0ES3_N6thrust23THRUST_200600_302600_NS6detail15normal_iteratorINS9_10device_ptrIsEEEESE_SE_sNS9_4plusIvEENS9_8equal_toIsEEsEE10hipError_tPvRmT2_T3_T4_T5_mT6_T7_P12ihipStream_tbENKUlT_T0_E_clISt17integral_constantIbLb1EESY_IbLb0EEEEDaSU_SV_EUlSU_E_NS1_11comp_targetILNS1_3genE10ELNS1_11target_archE1201ELNS1_3gpuE5ELNS1_3repE0EEENS1_30default_config_static_selectorELNS0_4arch9wavefront6targetE0EEEvT1_
		.amdhsa_group_segment_fixed_size 0
		.amdhsa_private_segment_fixed_size 0
		.amdhsa_kernarg_size 112
		.amdhsa_user_sgpr_count 2
		.amdhsa_user_sgpr_dispatch_ptr 0
		.amdhsa_user_sgpr_queue_ptr 0
		.amdhsa_user_sgpr_kernarg_segment_ptr 1
		.amdhsa_user_sgpr_dispatch_id 0
		.amdhsa_user_sgpr_kernarg_preload_length 0
		.amdhsa_user_sgpr_kernarg_preload_offset 0
		.amdhsa_user_sgpr_private_segment_size 0
		.amdhsa_wavefront_size32 1
		.amdhsa_uses_dynamic_stack 0
		.amdhsa_enable_private_segment 0
		.amdhsa_system_sgpr_workgroup_id_x 1
		.amdhsa_system_sgpr_workgroup_id_y 0
		.amdhsa_system_sgpr_workgroup_id_z 0
		.amdhsa_system_sgpr_workgroup_info 0
		.amdhsa_system_vgpr_workitem_id 0
		.amdhsa_next_free_vgpr 1
		.amdhsa_next_free_sgpr 1
		.amdhsa_named_barrier_count 0
		.amdhsa_reserve_vcc 0
		.amdhsa_float_round_mode_32 0
		.amdhsa_float_round_mode_16_64 0
		.amdhsa_float_denorm_mode_32 3
		.amdhsa_float_denorm_mode_16_64 3
		.amdhsa_fp16_overflow 0
		.amdhsa_memory_ordered 1
		.amdhsa_forward_progress 1
		.amdhsa_inst_pref_size 0
		.amdhsa_round_robin_scheduling 0
		.amdhsa_exception_fp_ieee_invalid_op 0
		.amdhsa_exception_fp_denorm_src 0
		.amdhsa_exception_fp_ieee_div_zero 0
		.amdhsa_exception_fp_ieee_overflow 0
		.amdhsa_exception_fp_ieee_underflow 0
		.amdhsa_exception_fp_ieee_inexact 0
		.amdhsa_exception_int_div_zero 0
	.end_amdhsa_kernel
	.section	.text._ZN7rocprim17ROCPRIM_400000_NS6detail17trampoline_kernelINS0_14default_configENS1_27scan_by_key_config_selectorIssEEZZNS1_16scan_by_key_implILNS1_25lookback_scan_determinismE0ELb0ES3_N6thrust23THRUST_200600_302600_NS6detail15normal_iteratorINS9_10device_ptrIsEEEESE_SE_sNS9_4plusIvEENS9_8equal_toIsEEsEE10hipError_tPvRmT2_T3_T4_T5_mT6_T7_P12ihipStream_tbENKUlT_T0_E_clISt17integral_constantIbLb1EESY_IbLb0EEEEDaSU_SV_EUlSU_E_NS1_11comp_targetILNS1_3genE10ELNS1_11target_archE1201ELNS1_3gpuE5ELNS1_3repE0EEENS1_30default_config_static_selectorELNS0_4arch9wavefront6targetE0EEEvT1_,"axG",@progbits,_ZN7rocprim17ROCPRIM_400000_NS6detail17trampoline_kernelINS0_14default_configENS1_27scan_by_key_config_selectorIssEEZZNS1_16scan_by_key_implILNS1_25lookback_scan_determinismE0ELb0ES3_N6thrust23THRUST_200600_302600_NS6detail15normal_iteratorINS9_10device_ptrIsEEEESE_SE_sNS9_4plusIvEENS9_8equal_toIsEEsEE10hipError_tPvRmT2_T3_T4_T5_mT6_T7_P12ihipStream_tbENKUlT_T0_E_clISt17integral_constantIbLb1EESY_IbLb0EEEEDaSU_SV_EUlSU_E_NS1_11comp_targetILNS1_3genE10ELNS1_11target_archE1201ELNS1_3gpuE5ELNS1_3repE0EEENS1_30default_config_static_selectorELNS0_4arch9wavefront6targetE0EEEvT1_,comdat
.Lfunc_end336:
	.size	_ZN7rocprim17ROCPRIM_400000_NS6detail17trampoline_kernelINS0_14default_configENS1_27scan_by_key_config_selectorIssEEZZNS1_16scan_by_key_implILNS1_25lookback_scan_determinismE0ELb0ES3_N6thrust23THRUST_200600_302600_NS6detail15normal_iteratorINS9_10device_ptrIsEEEESE_SE_sNS9_4plusIvEENS9_8equal_toIsEEsEE10hipError_tPvRmT2_T3_T4_T5_mT6_T7_P12ihipStream_tbENKUlT_T0_E_clISt17integral_constantIbLb1EESY_IbLb0EEEEDaSU_SV_EUlSU_E_NS1_11comp_targetILNS1_3genE10ELNS1_11target_archE1201ELNS1_3gpuE5ELNS1_3repE0EEENS1_30default_config_static_selectorELNS0_4arch9wavefront6targetE0EEEvT1_, .Lfunc_end336-_ZN7rocprim17ROCPRIM_400000_NS6detail17trampoline_kernelINS0_14default_configENS1_27scan_by_key_config_selectorIssEEZZNS1_16scan_by_key_implILNS1_25lookback_scan_determinismE0ELb0ES3_N6thrust23THRUST_200600_302600_NS6detail15normal_iteratorINS9_10device_ptrIsEEEESE_SE_sNS9_4plusIvEENS9_8equal_toIsEEsEE10hipError_tPvRmT2_T3_T4_T5_mT6_T7_P12ihipStream_tbENKUlT_T0_E_clISt17integral_constantIbLb1EESY_IbLb0EEEEDaSU_SV_EUlSU_E_NS1_11comp_targetILNS1_3genE10ELNS1_11target_archE1201ELNS1_3gpuE5ELNS1_3repE0EEENS1_30default_config_static_selectorELNS0_4arch9wavefront6targetE0EEEvT1_
                                        ; -- End function
	.set _ZN7rocprim17ROCPRIM_400000_NS6detail17trampoline_kernelINS0_14default_configENS1_27scan_by_key_config_selectorIssEEZZNS1_16scan_by_key_implILNS1_25lookback_scan_determinismE0ELb0ES3_N6thrust23THRUST_200600_302600_NS6detail15normal_iteratorINS9_10device_ptrIsEEEESE_SE_sNS9_4plusIvEENS9_8equal_toIsEEsEE10hipError_tPvRmT2_T3_T4_T5_mT6_T7_P12ihipStream_tbENKUlT_T0_E_clISt17integral_constantIbLb1EESY_IbLb0EEEEDaSU_SV_EUlSU_E_NS1_11comp_targetILNS1_3genE10ELNS1_11target_archE1201ELNS1_3gpuE5ELNS1_3repE0EEENS1_30default_config_static_selectorELNS0_4arch9wavefront6targetE0EEEvT1_.num_vgpr, 0
	.set _ZN7rocprim17ROCPRIM_400000_NS6detail17trampoline_kernelINS0_14default_configENS1_27scan_by_key_config_selectorIssEEZZNS1_16scan_by_key_implILNS1_25lookback_scan_determinismE0ELb0ES3_N6thrust23THRUST_200600_302600_NS6detail15normal_iteratorINS9_10device_ptrIsEEEESE_SE_sNS9_4plusIvEENS9_8equal_toIsEEsEE10hipError_tPvRmT2_T3_T4_T5_mT6_T7_P12ihipStream_tbENKUlT_T0_E_clISt17integral_constantIbLb1EESY_IbLb0EEEEDaSU_SV_EUlSU_E_NS1_11comp_targetILNS1_3genE10ELNS1_11target_archE1201ELNS1_3gpuE5ELNS1_3repE0EEENS1_30default_config_static_selectorELNS0_4arch9wavefront6targetE0EEEvT1_.num_agpr, 0
	.set _ZN7rocprim17ROCPRIM_400000_NS6detail17trampoline_kernelINS0_14default_configENS1_27scan_by_key_config_selectorIssEEZZNS1_16scan_by_key_implILNS1_25lookback_scan_determinismE0ELb0ES3_N6thrust23THRUST_200600_302600_NS6detail15normal_iteratorINS9_10device_ptrIsEEEESE_SE_sNS9_4plusIvEENS9_8equal_toIsEEsEE10hipError_tPvRmT2_T3_T4_T5_mT6_T7_P12ihipStream_tbENKUlT_T0_E_clISt17integral_constantIbLb1EESY_IbLb0EEEEDaSU_SV_EUlSU_E_NS1_11comp_targetILNS1_3genE10ELNS1_11target_archE1201ELNS1_3gpuE5ELNS1_3repE0EEENS1_30default_config_static_selectorELNS0_4arch9wavefront6targetE0EEEvT1_.numbered_sgpr, 0
	.set _ZN7rocprim17ROCPRIM_400000_NS6detail17trampoline_kernelINS0_14default_configENS1_27scan_by_key_config_selectorIssEEZZNS1_16scan_by_key_implILNS1_25lookback_scan_determinismE0ELb0ES3_N6thrust23THRUST_200600_302600_NS6detail15normal_iteratorINS9_10device_ptrIsEEEESE_SE_sNS9_4plusIvEENS9_8equal_toIsEEsEE10hipError_tPvRmT2_T3_T4_T5_mT6_T7_P12ihipStream_tbENKUlT_T0_E_clISt17integral_constantIbLb1EESY_IbLb0EEEEDaSU_SV_EUlSU_E_NS1_11comp_targetILNS1_3genE10ELNS1_11target_archE1201ELNS1_3gpuE5ELNS1_3repE0EEENS1_30default_config_static_selectorELNS0_4arch9wavefront6targetE0EEEvT1_.num_named_barrier, 0
	.set _ZN7rocprim17ROCPRIM_400000_NS6detail17trampoline_kernelINS0_14default_configENS1_27scan_by_key_config_selectorIssEEZZNS1_16scan_by_key_implILNS1_25lookback_scan_determinismE0ELb0ES3_N6thrust23THRUST_200600_302600_NS6detail15normal_iteratorINS9_10device_ptrIsEEEESE_SE_sNS9_4plusIvEENS9_8equal_toIsEEsEE10hipError_tPvRmT2_T3_T4_T5_mT6_T7_P12ihipStream_tbENKUlT_T0_E_clISt17integral_constantIbLb1EESY_IbLb0EEEEDaSU_SV_EUlSU_E_NS1_11comp_targetILNS1_3genE10ELNS1_11target_archE1201ELNS1_3gpuE5ELNS1_3repE0EEENS1_30default_config_static_selectorELNS0_4arch9wavefront6targetE0EEEvT1_.private_seg_size, 0
	.set _ZN7rocprim17ROCPRIM_400000_NS6detail17trampoline_kernelINS0_14default_configENS1_27scan_by_key_config_selectorIssEEZZNS1_16scan_by_key_implILNS1_25lookback_scan_determinismE0ELb0ES3_N6thrust23THRUST_200600_302600_NS6detail15normal_iteratorINS9_10device_ptrIsEEEESE_SE_sNS9_4plusIvEENS9_8equal_toIsEEsEE10hipError_tPvRmT2_T3_T4_T5_mT6_T7_P12ihipStream_tbENKUlT_T0_E_clISt17integral_constantIbLb1EESY_IbLb0EEEEDaSU_SV_EUlSU_E_NS1_11comp_targetILNS1_3genE10ELNS1_11target_archE1201ELNS1_3gpuE5ELNS1_3repE0EEENS1_30default_config_static_selectorELNS0_4arch9wavefront6targetE0EEEvT1_.uses_vcc, 0
	.set _ZN7rocprim17ROCPRIM_400000_NS6detail17trampoline_kernelINS0_14default_configENS1_27scan_by_key_config_selectorIssEEZZNS1_16scan_by_key_implILNS1_25lookback_scan_determinismE0ELb0ES3_N6thrust23THRUST_200600_302600_NS6detail15normal_iteratorINS9_10device_ptrIsEEEESE_SE_sNS9_4plusIvEENS9_8equal_toIsEEsEE10hipError_tPvRmT2_T3_T4_T5_mT6_T7_P12ihipStream_tbENKUlT_T0_E_clISt17integral_constantIbLb1EESY_IbLb0EEEEDaSU_SV_EUlSU_E_NS1_11comp_targetILNS1_3genE10ELNS1_11target_archE1201ELNS1_3gpuE5ELNS1_3repE0EEENS1_30default_config_static_selectorELNS0_4arch9wavefront6targetE0EEEvT1_.uses_flat_scratch, 0
	.set _ZN7rocprim17ROCPRIM_400000_NS6detail17trampoline_kernelINS0_14default_configENS1_27scan_by_key_config_selectorIssEEZZNS1_16scan_by_key_implILNS1_25lookback_scan_determinismE0ELb0ES3_N6thrust23THRUST_200600_302600_NS6detail15normal_iteratorINS9_10device_ptrIsEEEESE_SE_sNS9_4plusIvEENS9_8equal_toIsEEsEE10hipError_tPvRmT2_T3_T4_T5_mT6_T7_P12ihipStream_tbENKUlT_T0_E_clISt17integral_constantIbLb1EESY_IbLb0EEEEDaSU_SV_EUlSU_E_NS1_11comp_targetILNS1_3genE10ELNS1_11target_archE1201ELNS1_3gpuE5ELNS1_3repE0EEENS1_30default_config_static_selectorELNS0_4arch9wavefront6targetE0EEEvT1_.has_dyn_sized_stack, 0
	.set _ZN7rocprim17ROCPRIM_400000_NS6detail17trampoline_kernelINS0_14default_configENS1_27scan_by_key_config_selectorIssEEZZNS1_16scan_by_key_implILNS1_25lookback_scan_determinismE0ELb0ES3_N6thrust23THRUST_200600_302600_NS6detail15normal_iteratorINS9_10device_ptrIsEEEESE_SE_sNS9_4plusIvEENS9_8equal_toIsEEsEE10hipError_tPvRmT2_T3_T4_T5_mT6_T7_P12ihipStream_tbENKUlT_T0_E_clISt17integral_constantIbLb1EESY_IbLb0EEEEDaSU_SV_EUlSU_E_NS1_11comp_targetILNS1_3genE10ELNS1_11target_archE1201ELNS1_3gpuE5ELNS1_3repE0EEENS1_30default_config_static_selectorELNS0_4arch9wavefront6targetE0EEEvT1_.has_recursion, 0
	.set _ZN7rocprim17ROCPRIM_400000_NS6detail17trampoline_kernelINS0_14default_configENS1_27scan_by_key_config_selectorIssEEZZNS1_16scan_by_key_implILNS1_25lookback_scan_determinismE0ELb0ES3_N6thrust23THRUST_200600_302600_NS6detail15normal_iteratorINS9_10device_ptrIsEEEESE_SE_sNS9_4plusIvEENS9_8equal_toIsEEsEE10hipError_tPvRmT2_T3_T4_T5_mT6_T7_P12ihipStream_tbENKUlT_T0_E_clISt17integral_constantIbLb1EESY_IbLb0EEEEDaSU_SV_EUlSU_E_NS1_11comp_targetILNS1_3genE10ELNS1_11target_archE1201ELNS1_3gpuE5ELNS1_3repE0EEENS1_30default_config_static_selectorELNS0_4arch9wavefront6targetE0EEEvT1_.has_indirect_call, 0
	.section	.AMDGPU.csdata,"",@progbits
; Kernel info:
; codeLenInByte = 0
; TotalNumSgprs: 0
; NumVgprs: 0
; ScratchSize: 0
; MemoryBound: 0
; FloatMode: 240
; IeeeMode: 1
; LDSByteSize: 0 bytes/workgroup (compile time only)
; SGPRBlocks: 0
; VGPRBlocks: 0
; NumSGPRsForWavesPerEU: 1
; NumVGPRsForWavesPerEU: 1
; NamedBarCnt: 0
; Occupancy: 16
; WaveLimiterHint : 0
; COMPUTE_PGM_RSRC2:SCRATCH_EN: 0
; COMPUTE_PGM_RSRC2:USER_SGPR: 2
; COMPUTE_PGM_RSRC2:TRAP_HANDLER: 0
; COMPUTE_PGM_RSRC2:TGID_X_EN: 1
; COMPUTE_PGM_RSRC2:TGID_Y_EN: 0
; COMPUTE_PGM_RSRC2:TGID_Z_EN: 0
; COMPUTE_PGM_RSRC2:TIDIG_COMP_CNT: 0
	.section	.text._ZN7rocprim17ROCPRIM_400000_NS6detail17trampoline_kernelINS0_14default_configENS1_27scan_by_key_config_selectorIssEEZZNS1_16scan_by_key_implILNS1_25lookback_scan_determinismE0ELb0ES3_N6thrust23THRUST_200600_302600_NS6detail15normal_iteratorINS9_10device_ptrIsEEEESE_SE_sNS9_4plusIvEENS9_8equal_toIsEEsEE10hipError_tPvRmT2_T3_T4_T5_mT6_T7_P12ihipStream_tbENKUlT_T0_E_clISt17integral_constantIbLb1EESY_IbLb0EEEEDaSU_SV_EUlSU_E_NS1_11comp_targetILNS1_3genE5ELNS1_11target_archE942ELNS1_3gpuE9ELNS1_3repE0EEENS1_30default_config_static_selectorELNS0_4arch9wavefront6targetE0EEEvT1_,"axG",@progbits,_ZN7rocprim17ROCPRIM_400000_NS6detail17trampoline_kernelINS0_14default_configENS1_27scan_by_key_config_selectorIssEEZZNS1_16scan_by_key_implILNS1_25lookback_scan_determinismE0ELb0ES3_N6thrust23THRUST_200600_302600_NS6detail15normal_iteratorINS9_10device_ptrIsEEEESE_SE_sNS9_4plusIvEENS9_8equal_toIsEEsEE10hipError_tPvRmT2_T3_T4_T5_mT6_T7_P12ihipStream_tbENKUlT_T0_E_clISt17integral_constantIbLb1EESY_IbLb0EEEEDaSU_SV_EUlSU_E_NS1_11comp_targetILNS1_3genE5ELNS1_11target_archE942ELNS1_3gpuE9ELNS1_3repE0EEENS1_30default_config_static_selectorELNS0_4arch9wavefront6targetE0EEEvT1_,comdat
	.protected	_ZN7rocprim17ROCPRIM_400000_NS6detail17trampoline_kernelINS0_14default_configENS1_27scan_by_key_config_selectorIssEEZZNS1_16scan_by_key_implILNS1_25lookback_scan_determinismE0ELb0ES3_N6thrust23THRUST_200600_302600_NS6detail15normal_iteratorINS9_10device_ptrIsEEEESE_SE_sNS9_4plusIvEENS9_8equal_toIsEEsEE10hipError_tPvRmT2_T3_T4_T5_mT6_T7_P12ihipStream_tbENKUlT_T0_E_clISt17integral_constantIbLb1EESY_IbLb0EEEEDaSU_SV_EUlSU_E_NS1_11comp_targetILNS1_3genE5ELNS1_11target_archE942ELNS1_3gpuE9ELNS1_3repE0EEENS1_30default_config_static_selectorELNS0_4arch9wavefront6targetE0EEEvT1_ ; -- Begin function _ZN7rocprim17ROCPRIM_400000_NS6detail17trampoline_kernelINS0_14default_configENS1_27scan_by_key_config_selectorIssEEZZNS1_16scan_by_key_implILNS1_25lookback_scan_determinismE0ELb0ES3_N6thrust23THRUST_200600_302600_NS6detail15normal_iteratorINS9_10device_ptrIsEEEESE_SE_sNS9_4plusIvEENS9_8equal_toIsEEsEE10hipError_tPvRmT2_T3_T4_T5_mT6_T7_P12ihipStream_tbENKUlT_T0_E_clISt17integral_constantIbLb1EESY_IbLb0EEEEDaSU_SV_EUlSU_E_NS1_11comp_targetILNS1_3genE5ELNS1_11target_archE942ELNS1_3gpuE9ELNS1_3repE0EEENS1_30default_config_static_selectorELNS0_4arch9wavefront6targetE0EEEvT1_
	.globl	_ZN7rocprim17ROCPRIM_400000_NS6detail17trampoline_kernelINS0_14default_configENS1_27scan_by_key_config_selectorIssEEZZNS1_16scan_by_key_implILNS1_25lookback_scan_determinismE0ELb0ES3_N6thrust23THRUST_200600_302600_NS6detail15normal_iteratorINS9_10device_ptrIsEEEESE_SE_sNS9_4plusIvEENS9_8equal_toIsEEsEE10hipError_tPvRmT2_T3_T4_T5_mT6_T7_P12ihipStream_tbENKUlT_T0_E_clISt17integral_constantIbLb1EESY_IbLb0EEEEDaSU_SV_EUlSU_E_NS1_11comp_targetILNS1_3genE5ELNS1_11target_archE942ELNS1_3gpuE9ELNS1_3repE0EEENS1_30default_config_static_selectorELNS0_4arch9wavefront6targetE0EEEvT1_
	.p2align	8
	.type	_ZN7rocprim17ROCPRIM_400000_NS6detail17trampoline_kernelINS0_14default_configENS1_27scan_by_key_config_selectorIssEEZZNS1_16scan_by_key_implILNS1_25lookback_scan_determinismE0ELb0ES3_N6thrust23THRUST_200600_302600_NS6detail15normal_iteratorINS9_10device_ptrIsEEEESE_SE_sNS9_4plusIvEENS9_8equal_toIsEEsEE10hipError_tPvRmT2_T3_T4_T5_mT6_T7_P12ihipStream_tbENKUlT_T0_E_clISt17integral_constantIbLb1EESY_IbLb0EEEEDaSU_SV_EUlSU_E_NS1_11comp_targetILNS1_3genE5ELNS1_11target_archE942ELNS1_3gpuE9ELNS1_3repE0EEENS1_30default_config_static_selectorELNS0_4arch9wavefront6targetE0EEEvT1_,@function
_ZN7rocprim17ROCPRIM_400000_NS6detail17trampoline_kernelINS0_14default_configENS1_27scan_by_key_config_selectorIssEEZZNS1_16scan_by_key_implILNS1_25lookback_scan_determinismE0ELb0ES3_N6thrust23THRUST_200600_302600_NS6detail15normal_iteratorINS9_10device_ptrIsEEEESE_SE_sNS9_4plusIvEENS9_8equal_toIsEEsEE10hipError_tPvRmT2_T3_T4_T5_mT6_T7_P12ihipStream_tbENKUlT_T0_E_clISt17integral_constantIbLb1EESY_IbLb0EEEEDaSU_SV_EUlSU_E_NS1_11comp_targetILNS1_3genE5ELNS1_11target_archE942ELNS1_3gpuE9ELNS1_3repE0EEENS1_30default_config_static_selectorELNS0_4arch9wavefront6targetE0EEEvT1_: ; @_ZN7rocprim17ROCPRIM_400000_NS6detail17trampoline_kernelINS0_14default_configENS1_27scan_by_key_config_selectorIssEEZZNS1_16scan_by_key_implILNS1_25lookback_scan_determinismE0ELb0ES3_N6thrust23THRUST_200600_302600_NS6detail15normal_iteratorINS9_10device_ptrIsEEEESE_SE_sNS9_4plusIvEENS9_8equal_toIsEEsEE10hipError_tPvRmT2_T3_T4_T5_mT6_T7_P12ihipStream_tbENKUlT_T0_E_clISt17integral_constantIbLb1EESY_IbLb0EEEEDaSU_SV_EUlSU_E_NS1_11comp_targetILNS1_3genE5ELNS1_11target_archE942ELNS1_3gpuE9ELNS1_3repE0EEENS1_30default_config_static_selectorELNS0_4arch9wavefront6targetE0EEEvT1_
; %bb.0:
	.section	.rodata,"a",@progbits
	.p2align	6, 0x0
	.amdhsa_kernel _ZN7rocprim17ROCPRIM_400000_NS6detail17trampoline_kernelINS0_14default_configENS1_27scan_by_key_config_selectorIssEEZZNS1_16scan_by_key_implILNS1_25lookback_scan_determinismE0ELb0ES3_N6thrust23THRUST_200600_302600_NS6detail15normal_iteratorINS9_10device_ptrIsEEEESE_SE_sNS9_4plusIvEENS9_8equal_toIsEEsEE10hipError_tPvRmT2_T3_T4_T5_mT6_T7_P12ihipStream_tbENKUlT_T0_E_clISt17integral_constantIbLb1EESY_IbLb0EEEEDaSU_SV_EUlSU_E_NS1_11comp_targetILNS1_3genE5ELNS1_11target_archE942ELNS1_3gpuE9ELNS1_3repE0EEENS1_30default_config_static_selectorELNS0_4arch9wavefront6targetE0EEEvT1_
		.amdhsa_group_segment_fixed_size 0
		.amdhsa_private_segment_fixed_size 0
		.amdhsa_kernarg_size 112
		.amdhsa_user_sgpr_count 2
		.amdhsa_user_sgpr_dispatch_ptr 0
		.amdhsa_user_sgpr_queue_ptr 0
		.amdhsa_user_sgpr_kernarg_segment_ptr 1
		.amdhsa_user_sgpr_dispatch_id 0
		.amdhsa_user_sgpr_kernarg_preload_length 0
		.amdhsa_user_sgpr_kernarg_preload_offset 0
		.amdhsa_user_sgpr_private_segment_size 0
		.amdhsa_wavefront_size32 1
		.amdhsa_uses_dynamic_stack 0
		.amdhsa_enable_private_segment 0
		.amdhsa_system_sgpr_workgroup_id_x 1
		.amdhsa_system_sgpr_workgroup_id_y 0
		.amdhsa_system_sgpr_workgroup_id_z 0
		.amdhsa_system_sgpr_workgroup_info 0
		.amdhsa_system_vgpr_workitem_id 0
		.amdhsa_next_free_vgpr 1
		.amdhsa_next_free_sgpr 1
		.amdhsa_named_barrier_count 0
		.amdhsa_reserve_vcc 0
		.amdhsa_float_round_mode_32 0
		.amdhsa_float_round_mode_16_64 0
		.amdhsa_float_denorm_mode_32 3
		.amdhsa_float_denorm_mode_16_64 3
		.amdhsa_fp16_overflow 0
		.amdhsa_memory_ordered 1
		.amdhsa_forward_progress 1
		.amdhsa_inst_pref_size 0
		.amdhsa_round_robin_scheduling 0
		.amdhsa_exception_fp_ieee_invalid_op 0
		.amdhsa_exception_fp_denorm_src 0
		.amdhsa_exception_fp_ieee_div_zero 0
		.amdhsa_exception_fp_ieee_overflow 0
		.amdhsa_exception_fp_ieee_underflow 0
		.amdhsa_exception_fp_ieee_inexact 0
		.amdhsa_exception_int_div_zero 0
	.end_amdhsa_kernel
	.section	.text._ZN7rocprim17ROCPRIM_400000_NS6detail17trampoline_kernelINS0_14default_configENS1_27scan_by_key_config_selectorIssEEZZNS1_16scan_by_key_implILNS1_25lookback_scan_determinismE0ELb0ES3_N6thrust23THRUST_200600_302600_NS6detail15normal_iteratorINS9_10device_ptrIsEEEESE_SE_sNS9_4plusIvEENS9_8equal_toIsEEsEE10hipError_tPvRmT2_T3_T4_T5_mT6_T7_P12ihipStream_tbENKUlT_T0_E_clISt17integral_constantIbLb1EESY_IbLb0EEEEDaSU_SV_EUlSU_E_NS1_11comp_targetILNS1_3genE5ELNS1_11target_archE942ELNS1_3gpuE9ELNS1_3repE0EEENS1_30default_config_static_selectorELNS0_4arch9wavefront6targetE0EEEvT1_,"axG",@progbits,_ZN7rocprim17ROCPRIM_400000_NS6detail17trampoline_kernelINS0_14default_configENS1_27scan_by_key_config_selectorIssEEZZNS1_16scan_by_key_implILNS1_25lookback_scan_determinismE0ELb0ES3_N6thrust23THRUST_200600_302600_NS6detail15normal_iteratorINS9_10device_ptrIsEEEESE_SE_sNS9_4plusIvEENS9_8equal_toIsEEsEE10hipError_tPvRmT2_T3_T4_T5_mT6_T7_P12ihipStream_tbENKUlT_T0_E_clISt17integral_constantIbLb1EESY_IbLb0EEEEDaSU_SV_EUlSU_E_NS1_11comp_targetILNS1_3genE5ELNS1_11target_archE942ELNS1_3gpuE9ELNS1_3repE0EEENS1_30default_config_static_selectorELNS0_4arch9wavefront6targetE0EEEvT1_,comdat
.Lfunc_end337:
	.size	_ZN7rocprim17ROCPRIM_400000_NS6detail17trampoline_kernelINS0_14default_configENS1_27scan_by_key_config_selectorIssEEZZNS1_16scan_by_key_implILNS1_25lookback_scan_determinismE0ELb0ES3_N6thrust23THRUST_200600_302600_NS6detail15normal_iteratorINS9_10device_ptrIsEEEESE_SE_sNS9_4plusIvEENS9_8equal_toIsEEsEE10hipError_tPvRmT2_T3_T4_T5_mT6_T7_P12ihipStream_tbENKUlT_T0_E_clISt17integral_constantIbLb1EESY_IbLb0EEEEDaSU_SV_EUlSU_E_NS1_11comp_targetILNS1_3genE5ELNS1_11target_archE942ELNS1_3gpuE9ELNS1_3repE0EEENS1_30default_config_static_selectorELNS0_4arch9wavefront6targetE0EEEvT1_, .Lfunc_end337-_ZN7rocprim17ROCPRIM_400000_NS6detail17trampoline_kernelINS0_14default_configENS1_27scan_by_key_config_selectorIssEEZZNS1_16scan_by_key_implILNS1_25lookback_scan_determinismE0ELb0ES3_N6thrust23THRUST_200600_302600_NS6detail15normal_iteratorINS9_10device_ptrIsEEEESE_SE_sNS9_4plusIvEENS9_8equal_toIsEEsEE10hipError_tPvRmT2_T3_T4_T5_mT6_T7_P12ihipStream_tbENKUlT_T0_E_clISt17integral_constantIbLb1EESY_IbLb0EEEEDaSU_SV_EUlSU_E_NS1_11comp_targetILNS1_3genE5ELNS1_11target_archE942ELNS1_3gpuE9ELNS1_3repE0EEENS1_30default_config_static_selectorELNS0_4arch9wavefront6targetE0EEEvT1_
                                        ; -- End function
	.set _ZN7rocprim17ROCPRIM_400000_NS6detail17trampoline_kernelINS0_14default_configENS1_27scan_by_key_config_selectorIssEEZZNS1_16scan_by_key_implILNS1_25lookback_scan_determinismE0ELb0ES3_N6thrust23THRUST_200600_302600_NS6detail15normal_iteratorINS9_10device_ptrIsEEEESE_SE_sNS9_4plusIvEENS9_8equal_toIsEEsEE10hipError_tPvRmT2_T3_T4_T5_mT6_T7_P12ihipStream_tbENKUlT_T0_E_clISt17integral_constantIbLb1EESY_IbLb0EEEEDaSU_SV_EUlSU_E_NS1_11comp_targetILNS1_3genE5ELNS1_11target_archE942ELNS1_3gpuE9ELNS1_3repE0EEENS1_30default_config_static_selectorELNS0_4arch9wavefront6targetE0EEEvT1_.num_vgpr, 0
	.set _ZN7rocprim17ROCPRIM_400000_NS6detail17trampoline_kernelINS0_14default_configENS1_27scan_by_key_config_selectorIssEEZZNS1_16scan_by_key_implILNS1_25lookback_scan_determinismE0ELb0ES3_N6thrust23THRUST_200600_302600_NS6detail15normal_iteratorINS9_10device_ptrIsEEEESE_SE_sNS9_4plusIvEENS9_8equal_toIsEEsEE10hipError_tPvRmT2_T3_T4_T5_mT6_T7_P12ihipStream_tbENKUlT_T0_E_clISt17integral_constantIbLb1EESY_IbLb0EEEEDaSU_SV_EUlSU_E_NS1_11comp_targetILNS1_3genE5ELNS1_11target_archE942ELNS1_3gpuE9ELNS1_3repE0EEENS1_30default_config_static_selectorELNS0_4arch9wavefront6targetE0EEEvT1_.num_agpr, 0
	.set _ZN7rocprim17ROCPRIM_400000_NS6detail17trampoline_kernelINS0_14default_configENS1_27scan_by_key_config_selectorIssEEZZNS1_16scan_by_key_implILNS1_25lookback_scan_determinismE0ELb0ES3_N6thrust23THRUST_200600_302600_NS6detail15normal_iteratorINS9_10device_ptrIsEEEESE_SE_sNS9_4plusIvEENS9_8equal_toIsEEsEE10hipError_tPvRmT2_T3_T4_T5_mT6_T7_P12ihipStream_tbENKUlT_T0_E_clISt17integral_constantIbLb1EESY_IbLb0EEEEDaSU_SV_EUlSU_E_NS1_11comp_targetILNS1_3genE5ELNS1_11target_archE942ELNS1_3gpuE9ELNS1_3repE0EEENS1_30default_config_static_selectorELNS0_4arch9wavefront6targetE0EEEvT1_.numbered_sgpr, 0
	.set _ZN7rocprim17ROCPRIM_400000_NS6detail17trampoline_kernelINS0_14default_configENS1_27scan_by_key_config_selectorIssEEZZNS1_16scan_by_key_implILNS1_25lookback_scan_determinismE0ELb0ES3_N6thrust23THRUST_200600_302600_NS6detail15normal_iteratorINS9_10device_ptrIsEEEESE_SE_sNS9_4plusIvEENS9_8equal_toIsEEsEE10hipError_tPvRmT2_T3_T4_T5_mT6_T7_P12ihipStream_tbENKUlT_T0_E_clISt17integral_constantIbLb1EESY_IbLb0EEEEDaSU_SV_EUlSU_E_NS1_11comp_targetILNS1_3genE5ELNS1_11target_archE942ELNS1_3gpuE9ELNS1_3repE0EEENS1_30default_config_static_selectorELNS0_4arch9wavefront6targetE0EEEvT1_.num_named_barrier, 0
	.set _ZN7rocprim17ROCPRIM_400000_NS6detail17trampoline_kernelINS0_14default_configENS1_27scan_by_key_config_selectorIssEEZZNS1_16scan_by_key_implILNS1_25lookback_scan_determinismE0ELb0ES3_N6thrust23THRUST_200600_302600_NS6detail15normal_iteratorINS9_10device_ptrIsEEEESE_SE_sNS9_4plusIvEENS9_8equal_toIsEEsEE10hipError_tPvRmT2_T3_T4_T5_mT6_T7_P12ihipStream_tbENKUlT_T0_E_clISt17integral_constantIbLb1EESY_IbLb0EEEEDaSU_SV_EUlSU_E_NS1_11comp_targetILNS1_3genE5ELNS1_11target_archE942ELNS1_3gpuE9ELNS1_3repE0EEENS1_30default_config_static_selectorELNS0_4arch9wavefront6targetE0EEEvT1_.private_seg_size, 0
	.set _ZN7rocprim17ROCPRIM_400000_NS6detail17trampoline_kernelINS0_14default_configENS1_27scan_by_key_config_selectorIssEEZZNS1_16scan_by_key_implILNS1_25lookback_scan_determinismE0ELb0ES3_N6thrust23THRUST_200600_302600_NS6detail15normal_iteratorINS9_10device_ptrIsEEEESE_SE_sNS9_4plusIvEENS9_8equal_toIsEEsEE10hipError_tPvRmT2_T3_T4_T5_mT6_T7_P12ihipStream_tbENKUlT_T0_E_clISt17integral_constantIbLb1EESY_IbLb0EEEEDaSU_SV_EUlSU_E_NS1_11comp_targetILNS1_3genE5ELNS1_11target_archE942ELNS1_3gpuE9ELNS1_3repE0EEENS1_30default_config_static_selectorELNS0_4arch9wavefront6targetE0EEEvT1_.uses_vcc, 0
	.set _ZN7rocprim17ROCPRIM_400000_NS6detail17trampoline_kernelINS0_14default_configENS1_27scan_by_key_config_selectorIssEEZZNS1_16scan_by_key_implILNS1_25lookback_scan_determinismE0ELb0ES3_N6thrust23THRUST_200600_302600_NS6detail15normal_iteratorINS9_10device_ptrIsEEEESE_SE_sNS9_4plusIvEENS9_8equal_toIsEEsEE10hipError_tPvRmT2_T3_T4_T5_mT6_T7_P12ihipStream_tbENKUlT_T0_E_clISt17integral_constantIbLb1EESY_IbLb0EEEEDaSU_SV_EUlSU_E_NS1_11comp_targetILNS1_3genE5ELNS1_11target_archE942ELNS1_3gpuE9ELNS1_3repE0EEENS1_30default_config_static_selectorELNS0_4arch9wavefront6targetE0EEEvT1_.uses_flat_scratch, 0
	.set _ZN7rocprim17ROCPRIM_400000_NS6detail17trampoline_kernelINS0_14default_configENS1_27scan_by_key_config_selectorIssEEZZNS1_16scan_by_key_implILNS1_25lookback_scan_determinismE0ELb0ES3_N6thrust23THRUST_200600_302600_NS6detail15normal_iteratorINS9_10device_ptrIsEEEESE_SE_sNS9_4plusIvEENS9_8equal_toIsEEsEE10hipError_tPvRmT2_T3_T4_T5_mT6_T7_P12ihipStream_tbENKUlT_T0_E_clISt17integral_constantIbLb1EESY_IbLb0EEEEDaSU_SV_EUlSU_E_NS1_11comp_targetILNS1_3genE5ELNS1_11target_archE942ELNS1_3gpuE9ELNS1_3repE0EEENS1_30default_config_static_selectorELNS0_4arch9wavefront6targetE0EEEvT1_.has_dyn_sized_stack, 0
	.set _ZN7rocprim17ROCPRIM_400000_NS6detail17trampoline_kernelINS0_14default_configENS1_27scan_by_key_config_selectorIssEEZZNS1_16scan_by_key_implILNS1_25lookback_scan_determinismE0ELb0ES3_N6thrust23THRUST_200600_302600_NS6detail15normal_iteratorINS9_10device_ptrIsEEEESE_SE_sNS9_4plusIvEENS9_8equal_toIsEEsEE10hipError_tPvRmT2_T3_T4_T5_mT6_T7_P12ihipStream_tbENKUlT_T0_E_clISt17integral_constantIbLb1EESY_IbLb0EEEEDaSU_SV_EUlSU_E_NS1_11comp_targetILNS1_3genE5ELNS1_11target_archE942ELNS1_3gpuE9ELNS1_3repE0EEENS1_30default_config_static_selectorELNS0_4arch9wavefront6targetE0EEEvT1_.has_recursion, 0
	.set _ZN7rocprim17ROCPRIM_400000_NS6detail17trampoline_kernelINS0_14default_configENS1_27scan_by_key_config_selectorIssEEZZNS1_16scan_by_key_implILNS1_25lookback_scan_determinismE0ELb0ES3_N6thrust23THRUST_200600_302600_NS6detail15normal_iteratorINS9_10device_ptrIsEEEESE_SE_sNS9_4plusIvEENS9_8equal_toIsEEsEE10hipError_tPvRmT2_T3_T4_T5_mT6_T7_P12ihipStream_tbENKUlT_T0_E_clISt17integral_constantIbLb1EESY_IbLb0EEEEDaSU_SV_EUlSU_E_NS1_11comp_targetILNS1_3genE5ELNS1_11target_archE942ELNS1_3gpuE9ELNS1_3repE0EEENS1_30default_config_static_selectorELNS0_4arch9wavefront6targetE0EEEvT1_.has_indirect_call, 0
	.section	.AMDGPU.csdata,"",@progbits
; Kernel info:
; codeLenInByte = 0
; TotalNumSgprs: 0
; NumVgprs: 0
; ScratchSize: 0
; MemoryBound: 0
; FloatMode: 240
; IeeeMode: 1
; LDSByteSize: 0 bytes/workgroup (compile time only)
; SGPRBlocks: 0
; VGPRBlocks: 0
; NumSGPRsForWavesPerEU: 1
; NumVGPRsForWavesPerEU: 1
; NamedBarCnt: 0
; Occupancy: 16
; WaveLimiterHint : 0
; COMPUTE_PGM_RSRC2:SCRATCH_EN: 0
; COMPUTE_PGM_RSRC2:USER_SGPR: 2
; COMPUTE_PGM_RSRC2:TRAP_HANDLER: 0
; COMPUTE_PGM_RSRC2:TGID_X_EN: 1
; COMPUTE_PGM_RSRC2:TGID_Y_EN: 0
; COMPUTE_PGM_RSRC2:TGID_Z_EN: 0
; COMPUTE_PGM_RSRC2:TIDIG_COMP_CNT: 0
	.section	.text._ZN7rocprim17ROCPRIM_400000_NS6detail17trampoline_kernelINS0_14default_configENS1_27scan_by_key_config_selectorIssEEZZNS1_16scan_by_key_implILNS1_25lookback_scan_determinismE0ELb0ES3_N6thrust23THRUST_200600_302600_NS6detail15normal_iteratorINS9_10device_ptrIsEEEESE_SE_sNS9_4plusIvEENS9_8equal_toIsEEsEE10hipError_tPvRmT2_T3_T4_T5_mT6_T7_P12ihipStream_tbENKUlT_T0_E_clISt17integral_constantIbLb1EESY_IbLb0EEEEDaSU_SV_EUlSU_E_NS1_11comp_targetILNS1_3genE4ELNS1_11target_archE910ELNS1_3gpuE8ELNS1_3repE0EEENS1_30default_config_static_selectorELNS0_4arch9wavefront6targetE0EEEvT1_,"axG",@progbits,_ZN7rocprim17ROCPRIM_400000_NS6detail17trampoline_kernelINS0_14default_configENS1_27scan_by_key_config_selectorIssEEZZNS1_16scan_by_key_implILNS1_25lookback_scan_determinismE0ELb0ES3_N6thrust23THRUST_200600_302600_NS6detail15normal_iteratorINS9_10device_ptrIsEEEESE_SE_sNS9_4plusIvEENS9_8equal_toIsEEsEE10hipError_tPvRmT2_T3_T4_T5_mT6_T7_P12ihipStream_tbENKUlT_T0_E_clISt17integral_constantIbLb1EESY_IbLb0EEEEDaSU_SV_EUlSU_E_NS1_11comp_targetILNS1_3genE4ELNS1_11target_archE910ELNS1_3gpuE8ELNS1_3repE0EEENS1_30default_config_static_selectorELNS0_4arch9wavefront6targetE0EEEvT1_,comdat
	.protected	_ZN7rocprim17ROCPRIM_400000_NS6detail17trampoline_kernelINS0_14default_configENS1_27scan_by_key_config_selectorIssEEZZNS1_16scan_by_key_implILNS1_25lookback_scan_determinismE0ELb0ES3_N6thrust23THRUST_200600_302600_NS6detail15normal_iteratorINS9_10device_ptrIsEEEESE_SE_sNS9_4plusIvEENS9_8equal_toIsEEsEE10hipError_tPvRmT2_T3_T4_T5_mT6_T7_P12ihipStream_tbENKUlT_T0_E_clISt17integral_constantIbLb1EESY_IbLb0EEEEDaSU_SV_EUlSU_E_NS1_11comp_targetILNS1_3genE4ELNS1_11target_archE910ELNS1_3gpuE8ELNS1_3repE0EEENS1_30default_config_static_selectorELNS0_4arch9wavefront6targetE0EEEvT1_ ; -- Begin function _ZN7rocprim17ROCPRIM_400000_NS6detail17trampoline_kernelINS0_14default_configENS1_27scan_by_key_config_selectorIssEEZZNS1_16scan_by_key_implILNS1_25lookback_scan_determinismE0ELb0ES3_N6thrust23THRUST_200600_302600_NS6detail15normal_iteratorINS9_10device_ptrIsEEEESE_SE_sNS9_4plusIvEENS9_8equal_toIsEEsEE10hipError_tPvRmT2_T3_T4_T5_mT6_T7_P12ihipStream_tbENKUlT_T0_E_clISt17integral_constantIbLb1EESY_IbLb0EEEEDaSU_SV_EUlSU_E_NS1_11comp_targetILNS1_3genE4ELNS1_11target_archE910ELNS1_3gpuE8ELNS1_3repE0EEENS1_30default_config_static_selectorELNS0_4arch9wavefront6targetE0EEEvT1_
	.globl	_ZN7rocprim17ROCPRIM_400000_NS6detail17trampoline_kernelINS0_14default_configENS1_27scan_by_key_config_selectorIssEEZZNS1_16scan_by_key_implILNS1_25lookback_scan_determinismE0ELb0ES3_N6thrust23THRUST_200600_302600_NS6detail15normal_iteratorINS9_10device_ptrIsEEEESE_SE_sNS9_4plusIvEENS9_8equal_toIsEEsEE10hipError_tPvRmT2_T3_T4_T5_mT6_T7_P12ihipStream_tbENKUlT_T0_E_clISt17integral_constantIbLb1EESY_IbLb0EEEEDaSU_SV_EUlSU_E_NS1_11comp_targetILNS1_3genE4ELNS1_11target_archE910ELNS1_3gpuE8ELNS1_3repE0EEENS1_30default_config_static_selectorELNS0_4arch9wavefront6targetE0EEEvT1_
	.p2align	8
	.type	_ZN7rocprim17ROCPRIM_400000_NS6detail17trampoline_kernelINS0_14default_configENS1_27scan_by_key_config_selectorIssEEZZNS1_16scan_by_key_implILNS1_25lookback_scan_determinismE0ELb0ES3_N6thrust23THRUST_200600_302600_NS6detail15normal_iteratorINS9_10device_ptrIsEEEESE_SE_sNS9_4plusIvEENS9_8equal_toIsEEsEE10hipError_tPvRmT2_T3_T4_T5_mT6_T7_P12ihipStream_tbENKUlT_T0_E_clISt17integral_constantIbLb1EESY_IbLb0EEEEDaSU_SV_EUlSU_E_NS1_11comp_targetILNS1_3genE4ELNS1_11target_archE910ELNS1_3gpuE8ELNS1_3repE0EEENS1_30default_config_static_selectorELNS0_4arch9wavefront6targetE0EEEvT1_,@function
_ZN7rocprim17ROCPRIM_400000_NS6detail17trampoline_kernelINS0_14default_configENS1_27scan_by_key_config_selectorIssEEZZNS1_16scan_by_key_implILNS1_25lookback_scan_determinismE0ELb0ES3_N6thrust23THRUST_200600_302600_NS6detail15normal_iteratorINS9_10device_ptrIsEEEESE_SE_sNS9_4plusIvEENS9_8equal_toIsEEsEE10hipError_tPvRmT2_T3_T4_T5_mT6_T7_P12ihipStream_tbENKUlT_T0_E_clISt17integral_constantIbLb1EESY_IbLb0EEEEDaSU_SV_EUlSU_E_NS1_11comp_targetILNS1_3genE4ELNS1_11target_archE910ELNS1_3gpuE8ELNS1_3repE0EEENS1_30default_config_static_selectorELNS0_4arch9wavefront6targetE0EEEvT1_: ; @_ZN7rocprim17ROCPRIM_400000_NS6detail17trampoline_kernelINS0_14default_configENS1_27scan_by_key_config_selectorIssEEZZNS1_16scan_by_key_implILNS1_25lookback_scan_determinismE0ELb0ES3_N6thrust23THRUST_200600_302600_NS6detail15normal_iteratorINS9_10device_ptrIsEEEESE_SE_sNS9_4plusIvEENS9_8equal_toIsEEsEE10hipError_tPvRmT2_T3_T4_T5_mT6_T7_P12ihipStream_tbENKUlT_T0_E_clISt17integral_constantIbLb1EESY_IbLb0EEEEDaSU_SV_EUlSU_E_NS1_11comp_targetILNS1_3genE4ELNS1_11target_archE910ELNS1_3gpuE8ELNS1_3repE0EEENS1_30default_config_static_selectorELNS0_4arch9wavefront6targetE0EEEvT1_
; %bb.0:
	.section	.rodata,"a",@progbits
	.p2align	6, 0x0
	.amdhsa_kernel _ZN7rocprim17ROCPRIM_400000_NS6detail17trampoline_kernelINS0_14default_configENS1_27scan_by_key_config_selectorIssEEZZNS1_16scan_by_key_implILNS1_25lookback_scan_determinismE0ELb0ES3_N6thrust23THRUST_200600_302600_NS6detail15normal_iteratorINS9_10device_ptrIsEEEESE_SE_sNS9_4plusIvEENS9_8equal_toIsEEsEE10hipError_tPvRmT2_T3_T4_T5_mT6_T7_P12ihipStream_tbENKUlT_T0_E_clISt17integral_constantIbLb1EESY_IbLb0EEEEDaSU_SV_EUlSU_E_NS1_11comp_targetILNS1_3genE4ELNS1_11target_archE910ELNS1_3gpuE8ELNS1_3repE0EEENS1_30default_config_static_selectorELNS0_4arch9wavefront6targetE0EEEvT1_
		.amdhsa_group_segment_fixed_size 0
		.amdhsa_private_segment_fixed_size 0
		.amdhsa_kernarg_size 112
		.amdhsa_user_sgpr_count 2
		.amdhsa_user_sgpr_dispatch_ptr 0
		.amdhsa_user_sgpr_queue_ptr 0
		.amdhsa_user_sgpr_kernarg_segment_ptr 1
		.amdhsa_user_sgpr_dispatch_id 0
		.amdhsa_user_sgpr_kernarg_preload_length 0
		.amdhsa_user_sgpr_kernarg_preload_offset 0
		.amdhsa_user_sgpr_private_segment_size 0
		.amdhsa_wavefront_size32 1
		.amdhsa_uses_dynamic_stack 0
		.amdhsa_enable_private_segment 0
		.amdhsa_system_sgpr_workgroup_id_x 1
		.amdhsa_system_sgpr_workgroup_id_y 0
		.amdhsa_system_sgpr_workgroup_id_z 0
		.amdhsa_system_sgpr_workgroup_info 0
		.amdhsa_system_vgpr_workitem_id 0
		.amdhsa_next_free_vgpr 1
		.amdhsa_next_free_sgpr 1
		.amdhsa_named_barrier_count 0
		.amdhsa_reserve_vcc 0
		.amdhsa_float_round_mode_32 0
		.amdhsa_float_round_mode_16_64 0
		.amdhsa_float_denorm_mode_32 3
		.amdhsa_float_denorm_mode_16_64 3
		.amdhsa_fp16_overflow 0
		.amdhsa_memory_ordered 1
		.amdhsa_forward_progress 1
		.amdhsa_inst_pref_size 0
		.amdhsa_round_robin_scheduling 0
		.amdhsa_exception_fp_ieee_invalid_op 0
		.amdhsa_exception_fp_denorm_src 0
		.amdhsa_exception_fp_ieee_div_zero 0
		.amdhsa_exception_fp_ieee_overflow 0
		.amdhsa_exception_fp_ieee_underflow 0
		.amdhsa_exception_fp_ieee_inexact 0
		.amdhsa_exception_int_div_zero 0
	.end_amdhsa_kernel
	.section	.text._ZN7rocprim17ROCPRIM_400000_NS6detail17trampoline_kernelINS0_14default_configENS1_27scan_by_key_config_selectorIssEEZZNS1_16scan_by_key_implILNS1_25lookback_scan_determinismE0ELb0ES3_N6thrust23THRUST_200600_302600_NS6detail15normal_iteratorINS9_10device_ptrIsEEEESE_SE_sNS9_4plusIvEENS9_8equal_toIsEEsEE10hipError_tPvRmT2_T3_T4_T5_mT6_T7_P12ihipStream_tbENKUlT_T0_E_clISt17integral_constantIbLb1EESY_IbLb0EEEEDaSU_SV_EUlSU_E_NS1_11comp_targetILNS1_3genE4ELNS1_11target_archE910ELNS1_3gpuE8ELNS1_3repE0EEENS1_30default_config_static_selectorELNS0_4arch9wavefront6targetE0EEEvT1_,"axG",@progbits,_ZN7rocprim17ROCPRIM_400000_NS6detail17trampoline_kernelINS0_14default_configENS1_27scan_by_key_config_selectorIssEEZZNS1_16scan_by_key_implILNS1_25lookback_scan_determinismE0ELb0ES3_N6thrust23THRUST_200600_302600_NS6detail15normal_iteratorINS9_10device_ptrIsEEEESE_SE_sNS9_4plusIvEENS9_8equal_toIsEEsEE10hipError_tPvRmT2_T3_T4_T5_mT6_T7_P12ihipStream_tbENKUlT_T0_E_clISt17integral_constantIbLb1EESY_IbLb0EEEEDaSU_SV_EUlSU_E_NS1_11comp_targetILNS1_3genE4ELNS1_11target_archE910ELNS1_3gpuE8ELNS1_3repE0EEENS1_30default_config_static_selectorELNS0_4arch9wavefront6targetE0EEEvT1_,comdat
.Lfunc_end338:
	.size	_ZN7rocprim17ROCPRIM_400000_NS6detail17trampoline_kernelINS0_14default_configENS1_27scan_by_key_config_selectorIssEEZZNS1_16scan_by_key_implILNS1_25lookback_scan_determinismE0ELb0ES3_N6thrust23THRUST_200600_302600_NS6detail15normal_iteratorINS9_10device_ptrIsEEEESE_SE_sNS9_4plusIvEENS9_8equal_toIsEEsEE10hipError_tPvRmT2_T3_T4_T5_mT6_T7_P12ihipStream_tbENKUlT_T0_E_clISt17integral_constantIbLb1EESY_IbLb0EEEEDaSU_SV_EUlSU_E_NS1_11comp_targetILNS1_3genE4ELNS1_11target_archE910ELNS1_3gpuE8ELNS1_3repE0EEENS1_30default_config_static_selectorELNS0_4arch9wavefront6targetE0EEEvT1_, .Lfunc_end338-_ZN7rocprim17ROCPRIM_400000_NS6detail17trampoline_kernelINS0_14default_configENS1_27scan_by_key_config_selectorIssEEZZNS1_16scan_by_key_implILNS1_25lookback_scan_determinismE0ELb0ES3_N6thrust23THRUST_200600_302600_NS6detail15normal_iteratorINS9_10device_ptrIsEEEESE_SE_sNS9_4plusIvEENS9_8equal_toIsEEsEE10hipError_tPvRmT2_T3_T4_T5_mT6_T7_P12ihipStream_tbENKUlT_T0_E_clISt17integral_constantIbLb1EESY_IbLb0EEEEDaSU_SV_EUlSU_E_NS1_11comp_targetILNS1_3genE4ELNS1_11target_archE910ELNS1_3gpuE8ELNS1_3repE0EEENS1_30default_config_static_selectorELNS0_4arch9wavefront6targetE0EEEvT1_
                                        ; -- End function
	.set _ZN7rocprim17ROCPRIM_400000_NS6detail17trampoline_kernelINS0_14default_configENS1_27scan_by_key_config_selectorIssEEZZNS1_16scan_by_key_implILNS1_25lookback_scan_determinismE0ELb0ES3_N6thrust23THRUST_200600_302600_NS6detail15normal_iteratorINS9_10device_ptrIsEEEESE_SE_sNS9_4plusIvEENS9_8equal_toIsEEsEE10hipError_tPvRmT2_T3_T4_T5_mT6_T7_P12ihipStream_tbENKUlT_T0_E_clISt17integral_constantIbLb1EESY_IbLb0EEEEDaSU_SV_EUlSU_E_NS1_11comp_targetILNS1_3genE4ELNS1_11target_archE910ELNS1_3gpuE8ELNS1_3repE0EEENS1_30default_config_static_selectorELNS0_4arch9wavefront6targetE0EEEvT1_.num_vgpr, 0
	.set _ZN7rocprim17ROCPRIM_400000_NS6detail17trampoline_kernelINS0_14default_configENS1_27scan_by_key_config_selectorIssEEZZNS1_16scan_by_key_implILNS1_25lookback_scan_determinismE0ELb0ES3_N6thrust23THRUST_200600_302600_NS6detail15normal_iteratorINS9_10device_ptrIsEEEESE_SE_sNS9_4plusIvEENS9_8equal_toIsEEsEE10hipError_tPvRmT2_T3_T4_T5_mT6_T7_P12ihipStream_tbENKUlT_T0_E_clISt17integral_constantIbLb1EESY_IbLb0EEEEDaSU_SV_EUlSU_E_NS1_11comp_targetILNS1_3genE4ELNS1_11target_archE910ELNS1_3gpuE8ELNS1_3repE0EEENS1_30default_config_static_selectorELNS0_4arch9wavefront6targetE0EEEvT1_.num_agpr, 0
	.set _ZN7rocprim17ROCPRIM_400000_NS6detail17trampoline_kernelINS0_14default_configENS1_27scan_by_key_config_selectorIssEEZZNS1_16scan_by_key_implILNS1_25lookback_scan_determinismE0ELb0ES3_N6thrust23THRUST_200600_302600_NS6detail15normal_iteratorINS9_10device_ptrIsEEEESE_SE_sNS9_4plusIvEENS9_8equal_toIsEEsEE10hipError_tPvRmT2_T3_T4_T5_mT6_T7_P12ihipStream_tbENKUlT_T0_E_clISt17integral_constantIbLb1EESY_IbLb0EEEEDaSU_SV_EUlSU_E_NS1_11comp_targetILNS1_3genE4ELNS1_11target_archE910ELNS1_3gpuE8ELNS1_3repE0EEENS1_30default_config_static_selectorELNS0_4arch9wavefront6targetE0EEEvT1_.numbered_sgpr, 0
	.set _ZN7rocprim17ROCPRIM_400000_NS6detail17trampoline_kernelINS0_14default_configENS1_27scan_by_key_config_selectorIssEEZZNS1_16scan_by_key_implILNS1_25lookback_scan_determinismE0ELb0ES3_N6thrust23THRUST_200600_302600_NS6detail15normal_iteratorINS9_10device_ptrIsEEEESE_SE_sNS9_4plusIvEENS9_8equal_toIsEEsEE10hipError_tPvRmT2_T3_T4_T5_mT6_T7_P12ihipStream_tbENKUlT_T0_E_clISt17integral_constantIbLb1EESY_IbLb0EEEEDaSU_SV_EUlSU_E_NS1_11comp_targetILNS1_3genE4ELNS1_11target_archE910ELNS1_3gpuE8ELNS1_3repE0EEENS1_30default_config_static_selectorELNS0_4arch9wavefront6targetE0EEEvT1_.num_named_barrier, 0
	.set _ZN7rocprim17ROCPRIM_400000_NS6detail17trampoline_kernelINS0_14default_configENS1_27scan_by_key_config_selectorIssEEZZNS1_16scan_by_key_implILNS1_25lookback_scan_determinismE0ELb0ES3_N6thrust23THRUST_200600_302600_NS6detail15normal_iteratorINS9_10device_ptrIsEEEESE_SE_sNS9_4plusIvEENS9_8equal_toIsEEsEE10hipError_tPvRmT2_T3_T4_T5_mT6_T7_P12ihipStream_tbENKUlT_T0_E_clISt17integral_constantIbLb1EESY_IbLb0EEEEDaSU_SV_EUlSU_E_NS1_11comp_targetILNS1_3genE4ELNS1_11target_archE910ELNS1_3gpuE8ELNS1_3repE0EEENS1_30default_config_static_selectorELNS0_4arch9wavefront6targetE0EEEvT1_.private_seg_size, 0
	.set _ZN7rocprim17ROCPRIM_400000_NS6detail17trampoline_kernelINS0_14default_configENS1_27scan_by_key_config_selectorIssEEZZNS1_16scan_by_key_implILNS1_25lookback_scan_determinismE0ELb0ES3_N6thrust23THRUST_200600_302600_NS6detail15normal_iteratorINS9_10device_ptrIsEEEESE_SE_sNS9_4plusIvEENS9_8equal_toIsEEsEE10hipError_tPvRmT2_T3_T4_T5_mT6_T7_P12ihipStream_tbENKUlT_T0_E_clISt17integral_constantIbLb1EESY_IbLb0EEEEDaSU_SV_EUlSU_E_NS1_11comp_targetILNS1_3genE4ELNS1_11target_archE910ELNS1_3gpuE8ELNS1_3repE0EEENS1_30default_config_static_selectorELNS0_4arch9wavefront6targetE0EEEvT1_.uses_vcc, 0
	.set _ZN7rocprim17ROCPRIM_400000_NS6detail17trampoline_kernelINS0_14default_configENS1_27scan_by_key_config_selectorIssEEZZNS1_16scan_by_key_implILNS1_25lookback_scan_determinismE0ELb0ES3_N6thrust23THRUST_200600_302600_NS6detail15normal_iteratorINS9_10device_ptrIsEEEESE_SE_sNS9_4plusIvEENS9_8equal_toIsEEsEE10hipError_tPvRmT2_T3_T4_T5_mT6_T7_P12ihipStream_tbENKUlT_T0_E_clISt17integral_constantIbLb1EESY_IbLb0EEEEDaSU_SV_EUlSU_E_NS1_11comp_targetILNS1_3genE4ELNS1_11target_archE910ELNS1_3gpuE8ELNS1_3repE0EEENS1_30default_config_static_selectorELNS0_4arch9wavefront6targetE0EEEvT1_.uses_flat_scratch, 0
	.set _ZN7rocprim17ROCPRIM_400000_NS6detail17trampoline_kernelINS0_14default_configENS1_27scan_by_key_config_selectorIssEEZZNS1_16scan_by_key_implILNS1_25lookback_scan_determinismE0ELb0ES3_N6thrust23THRUST_200600_302600_NS6detail15normal_iteratorINS9_10device_ptrIsEEEESE_SE_sNS9_4plusIvEENS9_8equal_toIsEEsEE10hipError_tPvRmT2_T3_T4_T5_mT6_T7_P12ihipStream_tbENKUlT_T0_E_clISt17integral_constantIbLb1EESY_IbLb0EEEEDaSU_SV_EUlSU_E_NS1_11comp_targetILNS1_3genE4ELNS1_11target_archE910ELNS1_3gpuE8ELNS1_3repE0EEENS1_30default_config_static_selectorELNS0_4arch9wavefront6targetE0EEEvT1_.has_dyn_sized_stack, 0
	.set _ZN7rocprim17ROCPRIM_400000_NS6detail17trampoline_kernelINS0_14default_configENS1_27scan_by_key_config_selectorIssEEZZNS1_16scan_by_key_implILNS1_25lookback_scan_determinismE0ELb0ES3_N6thrust23THRUST_200600_302600_NS6detail15normal_iteratorINS9_10device_ptrIsEEEESE_SE_sNS9_4plusIvEENS9_8equal_toIsEEsEE10hipError_tPvRmT2_T3_T4_T5_mT6_T7_P12ihipStream_tbENKUlT_T0_E_clISt17integral_constantIbLb1EESY_IbLb0EEEEDaSU_SV_EUlSU_E_NS1_11comp_targetILNS1_3genE4ELNS1_11target_archE910ELNS1_3gpuE8ELNS1_3repE0EEENS1_30default_config_static_selectorELNS0_4arch9wavefront6targetE0EEEvT1_.has_recursion, 0
	.set _ZN7rocprim17ROCPRIM_400000_NS6detail17trampoline_kernelINS0_14default_configENS1_27scan_by_key_config_selectorIssEEZZNS1_16scan_by_key_implILNS1_25lookback_scan_determinismE0ELb0ES3_N6thrust23THRUST_200600_302600_NS6detail15normal_iteratorINS9_10device_ptrIsEEEESE_SE_sNS9_4plusIvEENS9_8equal_toIsEEsEE10hipError_tPvRmT2_T3_T4_T5_mT6_T7_P12ihipStream_tbENKUlT_T0_E_clISt17integral_constantIbLb1EESY_IbLb0EEEEDaSU_SV_EUlSU_E_NS1_11comp_targetILNS1_3genE4ELNS1_11target_archE910ELNS1_3gpuE8ELNS1_3repE0EEENS1_30default_config_static_selectorELNS0_4arch9wavefront6targetE0EEEvT1_.has_indirect_call, 0
	.section	.AMDGPU.csdata,"",@progbits
; Kernel info:
; codeLenInByte = 0
; TotalNumSgprs: 0
; NumVgprs: 0
; ScratchSize: 0
; MemoryBound: 0
; FloatMode: 240
; IeeeMode: 1
; LDSByteSize: 0 bytes/workgroup (compile time only)
; SGPRBlocks: 0
; VGPRBlocks: 0
; NumSGPRsForWavesPerEU: 1
; NumVGPRsForWavesPerEU: 1
; NamedBarCnt: 0
; Occupancy: 16
; WaveLimiterHint : 0
; COMPUTE_PGM_RSRC2:SCRATCH_EN: 0
; COMPUTE_PGM_RSRC2:USER_SGPR: 2
; COMPUTE_PGM_RSRC2:TRAP_HANDLER: 0
; COMPUTE_PGM_RSRC2:TGID_X_EN: 1
; COMPUTE_PGM_RSRC2:TGID_Y_EN: 0
; COMPUTE_PGM_RSRC2:TGID_Z_EN: 0
; COMPUTE_PGM_RSRC2:TIDIG_COMP_CNT: 0
	.section	.text._ZN7rocprim17ROCPRIM_400000_NS6detail17trampoline_kernelINS0_14default_configENS1_27scan_by_key_config_selectorIssEEZZNS1_16scan_by_key_implILNS1_25lookback_scan_determinismE0ELb0ES3_N6thrust23THRUST_200600_302600_NS6detail15normal_iteratorINS9_10device_ptrIsEEEESE_SE_sNS9_4plusIvEENS9_8equal_toIsEEsEE10hipError_tPvRmT2_T3_T4_T5_mT6_T7_P12ihipStream_tbENKUlT_T0_E_clISt17integral_constantIbLb1EESY_IbLb0EEEEDaSU_SV_EUlSU_E_NS1_11comp_targetILNS1_3genE3ELNS1_11target_archE908ELNS1_3gpuE7ELNS1_3repE0EEENS1_30default_config_static_selectorELNS0_4arch9wavefront6targetE0EEEvT1_,"axG",@progbits,_ZN7rocprim17ROCPRIM_400000_NS6detail17trampoline_kernelINS0_14default_configENS1_27scan_by_key_config_selectorIssEEZZNS1_16scan_by_key_implILNS1_25lookback_scan_determinismE0ELb0ES3_N6thrust23THRUST_200600_302600_NS6detail15normal_iteratorINS9_10device_ptrIsEEEESE_SE_sNS9_4plusIvEENS9_8equal_toIsEEsEE10hipError_tPvRmT2_T3_T4_T5_mT6_T7_P12ihipStream_tbENKUlT_T0_E_clISt17integral_constantIbLb1EESY_IbLb0EEEEDaSU_SV_EUlSU_E_NS1_11comp_targetILNS1_3genE3ELNS1_11target_archE908ELNS1_3gpuE7ELNS1_3repE0EEENS1_30default_config_static_selectorELNS0_4arch9wavefront6targetE0EEEvT1_,comdat
	.protected	_ZN7rocprim17ROCPRIM_400000_NS6detail17trampoline_kernelINS0_14default_configENS1_27scan_by_key_config_selectorIssEEZZNS1_16scan_by_key_implILNS1_25lookback_scan_determinismE0ELb0ES3_N6thrust23THRUST_200600_302600_NS6detail15normal_iteratorINS9_10device_ptrIsEEEESE_SE_sNS9_4plusIvEENS9_8equal_toIsEEsEE10hipError_tPvRmT2_T3_T4_T5_mT6_T7_P12ihipStream_tbENKUlT_T0_E_clISt17integral_constantIbLb1EESY_IbLb0EEEEDaSU_SV_EUlSU_E_NS1_11comp_targetILNS1_3genE3ELNS1_11target_archE908ELNS1_3gpuE7ELNS1_3repE0EEENS1_30default_config_static_selectorELNS0_4arch9wavefront6targetE0EEEvT1_ ; -- Begin function _ZN7rocprim17ROCPRIM_400000_NS6detail17trampoline_kernelINS0_14default_configENS1_27scan_by_key_config_selectorIssEEZZNS1_16scan_by_key_implILNS1_25lookback_scan_determinismE0ELb0ES3_N6thrust23THRUST_200600_302600_NS6detail15normal_iteratorINS9_10device_ptrIsEEEESE_SE_sNS9_4plusIvEENS9_8equal_toIsEEsEE10hipError_tPvRmT2_T3_T4_T5_mT6_T7_P12ihipStream_tbENKUlT_T0_E_clISt17integral_constantIbLb1EESY_IbLb0EEEEDaSU_SV_EUlSU_E_NS1_11comp_targetILNS1_3genE3ELNS1_11target_archE908ELNS1_3gpuE7ELNS1_3repE0EEENS1_30default_config_static_selectorELNS0_4arch9wavefront6targetE0EEEvT1_
	.globl	_ZN7rocprim17ROCPRIM_400000_NS6detail17trampoline_kernelINS0_14default_configENS1_27scan_by_key_config_selectorIssEEZZNS1_16scan_by_key_implILNS1_25lookback_scan_determinismE0ELb0ES3_N6thrust23THRUST_200600_302600_NS6detail15normal_iteratorINS9_10device_ptrIsEEEESE_SE_sNS9_4plusIvEENS9_8equal_toIsEEsEE10hipError_tPvRmT2_T3_T4_T5_mT6_T7_P12ihipStream_tbENKUlT_T0_E_clISt17integral_constantIbLb1EESY_IbLb0EEEEDaSU_SV_EUlSU_E_NS1_11comp_targetILNS1_3genE3ELNS1_11target_archE908ELNS1_3gpuE7ELNS1_3repE0EEENS1_30default_config_static_selectorELNS0_4arch9wavefront6targetE0EEEvT1_
	.p2align	8
	.type	_ZN7rocprim17ROCPRIM_400000_NS6detail17trampoline_kernelINS0_14default_configENS1_27scan_by_key_config_selectorIssEEZZNS1_16scan_by_key_implILNS1_25lookback_scan_determinismE0ELb0ES3_N6thrust23THRUST_200600_302600_NS6detail15normal_iteratorINS9_10device_ptrIsEEEESE_SE_sNS9_4plusIvEENS9_8equal_toIsEEsEE10hipError_tPvRmT2_T3_T4_T5_mT6_T7_P12ihipStream_tbENKUlT_T0_E_clISt17integral_constantIbLb1EESY_IbLb0EEEEDaSU_SV_EUlSU_E_NS1_11comp_targetILNS1_3genE3ELNS1_11target_archE908ELNS1_3gpuE7ELNS1_3repE0EEENS1_30default_config_static_selectorELNS0_4arch9wavefront6targetE0EEEvT1_,@function
_ZN7rocprim17ROCPRIM_400000_NS6detail17trampoline_kernelINS0_14default_configENS1_27scan_by_key_config_selectorIssEEZZNS1_16scan_by_key_implILNS1_25lookback_scan_determinismE0ELb0ES3_N6thrust23THRUST_200600_302600_NS6detail15normal_iteratorINS9_10device_ptrIsEEEESE_SE_sNS9_4plusIvEENS9_8equal_toIsEEsEE10hipError_tPvRmT2_T3_T4_T5_mT6_T7_P12ihipStream_tbENKUlT_T0_E_clISt17integral_constantIbLb1EESY_IbLb0EEEEDaSU_SV_EUlSU_E_NS1_11comp_targetILNS1_3genE3ELNS1_11target_archE908ELNS1_3gpuE7ELNS1_3repE0EEENS1_30default_config_static_selectorELNS0_4arch9wavefront6targetE0EEEvT1_: ; @_ZN7rocprim17ROCPRIM_400000_NS6detail17trampoline_kernelINS0_14default_configENS1_27scan_by_key_config_selectorIssEEZZNS1_16scan_by_key_implILNS1_25lookback_scan_determinismE0ELb0ES3_N6thrust23THRUST_200600_302600_NS6detail15normal_iteratorINS9_10device_ptrIsEEEESE_SE_sNS9_4plusIvEENS9_8equal_toIsEEsEE10hipError_tPvRmT2_T3_T4_T5_mT6_T7_P12ihipStream_tbENKUlT_T0_E_clISt17integral_constantIbLb1EESY_IbLb0EEEEDaSU_SV_EUlSU_E_NS1_11comp_targetILNS1_3genE3ELNS1_11target_archE908ELNS1_3gpuE7ELNS1_3repE0EEENS1_30default_config_static_selectorELNS0_4arch9wavefront6targetE0EEEvT1_
; %bb.0:
	.section	.rodata,"a",@progbits
	.p2align	6, 0x0
	.amdhsa_kernel _ZN7rocprim17ROCPRIM_400000_NS6detail17trampoline_kernelINS0_14default_configENS1_27scan_by_key_config_selectorIssEEZZNS1_16scan_by_key_implILNS1_25lookback_scan_determinismE0ELb0ES3_N6thrust23THRUST_200600_302600_NS6detail15normal_iteratorINS9_10device_ptrIsEEEESE_SE_sNS9_4plusIvEENS9_8equal_toIsEEsEE10hipError_tPvRmT2_T3_T4_T5_mT6_T7_P12ihipStream_tbENKUlT_T0_E_clISt17integral_constantIbLb1EESY_IbLb0EEEEDaSU_SV_EUlSU_E_NS1_11comp_targetILNS1_3genE3ELNS1_11target_archE908ELNS1_3gpuE7ELNS1_3repE0EEENS1_30default_config_static_selectorELNS0_4arch9wavefront6targetE0EEEvT1_
		.amdhsa_group_segment_fixed_size 0
		.amdhsa_private_segment_fixed_size 0
		.amdhsa_kernarg_size 112
		.amdhsa_user_sgpr_count 2
		.amdhsa_user_sgpr_dispatch_ptr 0
		.amdhsa_user_sgpr_queue_ptr 0
		.amdhsa_user_sgpr_kernarg_segment_ptr 1
		.amdhsa_user_sgpr_dispatch_id 0
		.amdhsa_user_sgpr_kernarg_preload_length 0
		.amdhsa_user_sgpr_kernarg_preload_offset 0
		.amdhsa_user_sgpr_private_segment_size 0
		.amdhsa_wavefront_size32 1
		.amdhsa_uses_dynamic_stack 0
		.amdhsa_enable_private_segment 0
		.amdhsa_system_sgpr_workgroup_id_x 1
		.amdhsa_system_sgpr_workgroup_id_y 0
		.amdhsa_system_sgpr_workgroup_id_z 0
		.amdhsa_system_sgpr_workgroup_info 0
		.amdhsa_system_vgpr_workitem_id 0
		.amdhsa_next_free_vgpr 1
		.amdhsa_next_free_sgpr 1
		.amdhsa_named_barrier_count 0
		.amdhsa_reserve_vcc 0
		.amdhsa_float_round_mode_32 0
		.amdhsa_float_round_mode_16_64 0
		.amdhsa_float_denorm_mode_32 3
		.amdhsa_float_denorm_mode_16_64 3
		.amdhsa_fp16_overflow 0
		.amdhsa_memory_ordered 1
		.amdhsa_forward_progress 1
		.amdhsa_inst_pref_size 0
		.amdhsa_round_robin_scheduling 0
		.amdhsa_exception_fp_ieee_invalid_op 0
		.amdhsa_exception_fp_denorm_src 0
		.amdhsa_exception_fp_ieee_div_zero 0
		.amdhsa_exception_fp_ieee_overflow 0
		.amdhsa_exception_fp_ieee_underflow 0
		.amdhsa_exception_fp_ieee_inexact 0
		.amdhsa_exception_int_div_zero 0
	.end_amdhsa_kernel
	.section	.text._ZN7rocprim17ROCPRIM_400000_NS6detail17trampoline_kernelINS0_14default_configENS1_27scan_by_key_config_selectorIssEEZZNS1_16scan_by_key_implILNS1_25lookback_scan_determinismE0ELb0ES3_N6thrust23THRUST_200600_302600_NS6detail15normal_iteratorINS9_10device_ptrIsEEEESE_SE_sNS9_4plusIvEENS9_8equal_toIsEEsEE10hipError_tPvRmT2_T3_T4_T5_mT6_T7_P12ihipStream_tbENKUlT_T0_E_clISt17integral_constantIbLb1EESY_IbLb0EEEEDaSU_SV_EUlSU_E_NS1_11comp_targetILNS1_3genE3ELNS1_11target_archE908ELNS1_3gpuE7ELNS1_3repE0EEENS1_30default_config_static_selectorELNS0_4arch9wavefront6targetE0EEEvT1_,"axG",@progbits,_ZN7rocprim17ROCPRIM_400000_NS6detail17trampoline_kernelINS0_14default_configENS1_27scan_by_key_config_selectorIssEEZZNS1_16scan_by_key_implILNS1_25lookback_scan_determinismE0ELb0ES3_N6thrust23THRUST_200600_302600_NS6detail15normal_iteratorINS9_10device_ptrIsEEEESE_SE_sNS9_4plusIvEENS9_8equal_toIsEEsEE10hipError_tPvRmT2_T3_T4_T5_mT6_T7_P12ihipStream_tbENKUlT_T0_E_clISt17integral_constantIbLb1EESY_IbLb0EEEEDaSU_SV_EUlSU_E_NS1_11comp_targetILNS1_3genE3ELNS1_11target_archE908ELNS1_3gpuE7ELNS1_3repE0EEENS1_30default_config_static_selectorELNS0_4arch9wavefront6targetE0EEEvT1_,comdat
.Lfunc_end339:
	.size	_ZN7rocprim17ROCPRIM_400000_NS6detail17trampoline_kernelINS0_14default_configENS1_27scan_by_key_config_selectorIssEEZZNS1_16scan_by_key_implILNS1_25lookback_scan_determinismE0ELb0ES3_N6thrust23THRUST_200600_302600_NS6detail15normal_iteratorINS9_10device_ptrIsEEEESE_SE_sNS9_4plusIvEENS9_8equal_toIsEEsEE10hipError_tPvRmT2_T3_T4_T5_mT6_T7_P12ihipStream_tbENKUlT_T0_E_clISt17integral_constantIbLb1EESY_IbLb0EEEEDaSU_SV_EUlSU_E_NS1_11comp_targetILNS1_3genE3ELNS1_11target_archE908ELNS1_3gpuE7ELNS1_3repE0EEENS1_30default_config_static_selectorELNS0_4arch9wavefront6targetE0EEEvT1_, .Lfunc_end339-_ZN7rocprim17ROCPRIM_400000_NS6detail17trampoline_kernelINS0_14default_configENS1_27scan_by_key_config_selectorIssEEZZNS1_16scan_by_key_implILNS1_25lookback_scan_determinismE0ELb0ES3_N6thrust23THRUST_200600_302600_NS6detail15normal_iteratorINS9_10device_ptrIsEEEESE_SE_sNS9_4plusIvEENS9_8equal_toIsEEsEE10hipError_tPvRmT2_T3_T4_T5_mT6_T7_P12ihipStream_tbENKUlT_T0_E_clISt17integral_constantIbLb1EESY_IbLb0EEEEDaSU_SV_EUlSU_E_NS1_11comp_targetILNS1_3genE3ELNS1_11target_archE908ELNS1_3gpuE7ELNS1_3repE0EEENS1_30default_config_static_selectorELNS0_4arch9wavefront6targetE0EEEvT1_
                                        ; -- End function
	.set _ZN7rocprim17ROCPRIM_400000_NS6detail17trampoline_kernelINS0_14default_configENS1_27scan_by_key_config_selectorIssEEZZNS1_16scan_by_key_implILNS1_25lookback_scan_determinismE0ELb0ES3_N6thrust23THRUST_200600_302600_NS6detail15normal_iteratorINS9_10device_ptrIsEEEESE_SE_sNS9_4plusIvEENS9_8equal_toIsEEsEE10hipError_tPvRmT2_T3_T4_T5_mT6_T7_P12ihipStream_tbENKUlT_T0_E_clISt17integral_constantIbLb1EESY_IbLb0EEEEDaSU_SV_EUlSU_E_NS1_11comp_targetILNS1_3genE3ELNS1_11target_archE908ELNS1_3gpuE7ELNS1_3repE0EEENS1_30default_config_static_selectorELNS0_4arch9wavefront6targetE0EEEvT1_.num_vgpr, 0
	.set _ZN7rocprim17ROCPRIM_400000_NS6detail17trampoline_kernelINS0_14default_configENS1_27scan_by_key_config_selectorIssEEZZNS1_16scan_by_key_implILNS1_25lookback_scan_determinismE0ELb0ES3_N6thrust23THRUST_200600_302600_NS6detail15normal_iteratorINS9_10device_ptrIsEEEESE_SE_sNS9_4plusIvEENS9_8equal_toIsEEsEE10hipError_tPvRmT2_T3_T4_T5_mT6_T7_P12ihipStream_tbENKUlT_T0_E_clISt17integral_constantIbLb1EESY_IbLb0EEEEDaSU_SV_EUlSU_E_NS1_11comp_targetILNS1_3genE3ELNS1_11target_archE908ELNS1_3gpuE7ELNS1_3repE0EEENS1_30default_config_static_selectorELNS0_4arch9wavefront6targetE0EEEvT1_.num_agpr, 0
	.set _ZN7rocprim17ROCPRIM_400000_NS6detail17trampoline_kernelINS0_14default_configENS1_27scan_by_key_config_selectorIssEEZZNS1_16scan_by_key_implILNS1_25lookback_scan_determinismE0ELb0ES3_N6thrust23THRUST_200600_302600_NS6detail15normal_iteratorINS9_10device_ptrIsEEEESE_SE_sNS9_4plusIvEENS9_8equal_toIsEEsEE10hipError_tPvRmT2_T3_T4_T5_mT6_T7_P12ihipStream_tbENKUlT_T0_E_clISt17integral_constantIbLb1EESY_IbLb0EEEEDaSU_SV_EUlSU_E_NS1_11comp_targetILNS1_3genE3ELNS1_11target_archE908ELNS1_3gpuE7ELNS1_3repE0EEENS1_30default_config_static_selectorELNS0_4arch9wavefront6targetE0EEEvT1_.numbered_sgpr, 0
	.set _ZN7rocprim17ROCPRIM_400000_NS6detail17trampoline_kernelINS0_14default_configENS1_27scan_by_key_config_selectorIssEEZZNS1_16scan_by_key_implILNS1_25lookback_scan_determinismE0ELb0ES3_N6thrust23THRUST_200600_302600_NS6detail15normal_iteratorINS9_10device_ptrIsEEEESE_SE_sNS9_4plusIvEENS9_8equal_toIsEEsEE10hipError_tPvRmT2_T3_T4_T5_mT6_T7_P12ihipStream_tbENKUlT_T0_E_clISt17integral_constantIbLb1EESY_IbLb0EEEEDaSU_SV_EUlSU_E_NS1_11comp_targetILNS1_3genE3ELNS1_11target_archE908ELNS1_3gpuE7ELNS1_3repE0EEENS1_30default_config_static_selectorELNS0_4arch9wavefront6targetE0EEEvT1_.num_named_barrier, 0
	.set _ZN7rocprim17ROCPRIM_400000_NS6detail17trampoline_kernelINS0_14default_configENS1_27scan_by_key_config_selectorIssEEZZNS1_16scan_by_key_implILNS1_25lookback_scan_determinismE0ELb0ES3_N6thrust23THRUST_200600_302600_NS6detail15normal_iteratorINS9_10device_ptrIsEEEESE_SE_sNS9_4plusIvEENS9_8equal_toIsEEsEE10hipError_tPvRmT2_T3_T4_T5_mT6_T7_P12ihipStream_tbENKUlT_T0_E_clISt17integral_constantIbLb1EESY_IbLb0EEEEDaSU_SV_EUlSU_E_NS1_11comp_targetILNS1_3genE3ELNS1_11target_archE908ELNS1_3gpuE7ELNS1_3repE0EEENS1_30default_config_static_selectorELNS0_4arch9wavefront6targetE0EEEvT1_.private_seg_size, 0
	.set _ZN7rocprim17ROCPRIM_400000_NS6detail17trampoline_kernelINS0_14default_configENS1_27scan_by_key_config_selectorIssEEZZNS1_16scan_by_key_implILNS1_25lookback_scan_determinismE0ELb0ES3_N6thrust23THRUST_200600_302600_NS6detail15normal_iteratorINS9_10device_ptrIsEEEESE_SE_sNS9_4plusIvEENS9_8equal_toIsEEsEE10hipError_tPvRmT2_T3_T4_T5_mT6_T7_P12ihipStream_tbENKUlT_T0_E_clISt17integral_constantIbLb1EESY_IbLb0EEEEDaSU_SV_EUlSU_E_NS1_11comp_targetILNS1_3genE3ELNS1_11target_archE908ELNS1_3gpuE7ELNS1_3repE0EEENS1_30default_config_static_selectorELNS0_4arch9wavefront6targetE0EEEvT1_.uses_vcc, 0
	.set _ZN7rocprim17ROCPRIM_400000_NS6detail17trampoline_kernelINS0_14default_configENS1_27scan_by_key_config_selectorIssEEZZNS1_16scan_by_key_implILNS1_25lookback_scan_determinismE0ELb0ES3_N6thrust23THRUST_200600_302600_NS6detail15normal_iteratorINS9_10device_ptrIsEEEESE_SE_sNS9_4plusIvEENS9_8equal_toIsEEsEE10hipError_tPvRmT2_T3_T4_T5_mT6_T7_P12ihipStream_tbENKUlT_T0_E_clISt17integral_constantIbLb1EESY_IbLb0EEEEDaSU_SV_EUlSU_E_NS1_11comp_targetILNS1_3genE3ELNS1_11target_archE908ELNS1_3gpuE7ELNS1_3repE0EEENS1_30default_config_static_selectorELNS0_4arch9wavefront6targetE0EEEvT1_.uses_flat_scratch, 0
	.set _ZN7rocprim17ROCPRIM_400000_NS6detail17trampoline_kernelINS0_14default_configENS1_27scan_by_key_config_selectorIssEEZZNS1_16scan_by_key_implILNS1_25lookback_scan_determinismE0ELb0ES3_N6thrust23THRUST_200600_302600_NS6detail15normal_iteratorINS9_10device_ptrIsEEEESE_SE_sNS9_4plusIvEENS9_8equal_toIsEEsEE10hipError_tPvRmT2_T3_T4_T5_mT6_T7_P12ihipStream_tbENKUlT_T0_E_clISt17integral_constantIbLb1EESY_IbLb0EEEEDaSU_SV_EUlSU_E_NS1_11comp_targetILNS1_3genE3ELNS1_11target_archE908ELNS1_3gpuE7ELNS1_3repE0EEENS1_30default_config_static_selectorELNS0_4arch9wavefront6targetE0EEEvT1_.has_dyn_sized_stack, 0
	.set _ZN7rocprim17ROCPRIM_400000_NS6detail17trampoline_kernelINS0_14default_configENS1_27scan_by_key_config_selectorIssEEZZNS1_16scan_by_key_implILNS1_25lookback_scan_determinismE0ELb0ES3_N6thrust23THRUST_200600_302600_NS6detail15normal_iteratorINS9_10device_ptrIsEEEESE_SE_sNS9_4plusIvEENS9_8equal_toIsEEsEE10hipError_tPvRmT2_T3_T4_T5_mT6_T7_P12ihipStream_tbENKUlT_T0_E_clISt17integral_constantIbLb1EESY_IbLb0EEEEDaSU_SV_EUlSU_E_NS1_11comp_targetILNS1_3genE3ELNS1_11target_archE908ELNS1_3gpuE7ELNS1_3repE0EEENS1_30default_config_static_selectorELNS0_4arch9wavefront6targetE0EEEvT1_.has_recursion, 0
	.set _ZN7rocprim17ROCPRIM_400000_NS6detail17trampoline_kernelINS0_14default_configENS1_27scan_by_key_config_selectorIssEEZZNS1_16scan_by_key_implILNS1_25lookback_scan_determinismE0ELb0ES3_N6thrust23THRUST_200600_302600_NS6detail15normal_iteratorINS9_10device_ptrIsEEEESE_SE_sNS9_4plusIvEENS9_8equal_toIsEEsEE10hipError_tPvRmT2_T3_T4_T5_mT6_T7_P12ihipStream_tbENKUlT_T0_E_clISt17integral_constantIbLb1EESY_IbLb0EEEEDaSU_SV_EUlSU_E_NS1_11comp_targetILNS1_3genE3ELNS1_11target_archE908ELNS1_3gpuE7ELNS1_3repE0EEENS1_30default_config_static_selectorELNS0_4arch9wavefront6targetE0EEEvT1_.has_indirect_call, 0
	.section	.AMDGPU.csdata,"",@progbits
; Kernel info:
; codeLenInByte = 0
; TotalNumSgprs: 0
; NumVgprs: 0
; ScratchSize: 0
; MemoryBound: 0
; FloatMode: 240
; IeeeMode: 1
; LDSByteSize: 0 bytes/workgroup (compile time only)
; SGPRBlocks: 0
; VGPRBlocks: 0
; NumSGPRsForWavesPerEU: 1
; NumVGPRsForWavesPerEU: 1
; NamedBarCnt: 0
; Occupancy: 16
; WaveLimiterHint : 0
; COMPUTE_PGM_RSRC2:SCRATCH_EN: 0
; COMPUTE_PGM_RSRC2:USER_SGPR: 2
; COMPUTE_PGM_RSRC2:TRAP_HANDLER: 0
; COMPUTE_PGM_RSRC2:TGID_X_EN: 1
; COMPUTE_PGM_RSRC2:TGID_Y_EN: 0
; COMPUTE_PGM_RSRC2:TGID_Z_EN: 0
; COMPUTE_PGM_RSRC2:TIDIG_COMP_CNT: 0
	.section	.text._ZN7rocprim17ROCPRIM_400000_NS6detail17trampoline_kernelINS0_14default_configENS1_27scan_by_key_config_selectorIssEEZZNS1_16scan_by_key_implILNS1_25lookback_scan_determinismE0ELb0ES3_N6thrust23THRUST_200600_302600_NS6detail15normal_iteratorINS9_10device_ptrIsEEEESE_SE_sNS9_4plusIvEENS9_8equal_toIsEEsEE10hipError_tPvRmT2_T3_T4_T5_mT6_T7_P12ihipStream_tbENKUlT_T0_E_clISt17integral_constantIbLb1EESY_IbLb0EEEEDaSU_SV_EUlSU_E_NS1_11comp_targetILNS1_3genE2ELNS1_11target_archE906ELNS1_3gpuE6ELNS1_3repE0EEENS1_30default_config_static_selectorELNS0_4arch9wavefront6targetE0EEEvT1_,"axG",@progbits,_ZN7rocprim17ROCPRIM_400000_NS6detail17trampoline_kernelINS0_14default_configENS1_27scan_by_key_config_selectorIssEEZZNS1_16scan_by_key_implILNS1_25lookback_scan_determinismE0ELb0ES3_N6thrust23THRUST_200600_302600_NS6detail15normal_iteratorINS9_10device_ptrIsEEEESE_SE_sNS9_4plusIvEENS9_8equal_toIsEEsEE10hipError_tPvRmT2_T3_T4_T5_mT6_T7_P12ihipStream_tbENKUlT_T0_E_clISt17integral_constantIbLb1EESY_IbLb0EEEEDaSU_SV_EUlSU_E_NS1_11comp_targetILNS1_3genE2ELNS1_11target_archE906ELNS1_3gpuE6ELNS1_3repE0EEENS1_30default_config_static_selectorELNS0_4arch9wavefront6targetE0EEEvT1_,comdat
	.protected	_ZN7rocprim17ROCPRIM_400000_NS6detail17trampoline_kernelINS0_14default_configENS1_27scan_by_key_config_selectorIssEEZZNS1_16scan_by_key_implILNS1_25lookback_scan_determinismE0ELb0ES3_N6thrust23THRUST_200600_302600_NS6detail15normal_iteratorINS9_10device_ptrIsEEEESE_SE_sNS9_4plusIvEENS9_8equal_toIsEEsEE10hipError_tPvRmT2_T3_T4_T5_mT6_T7_P12ihipStream_tbENKUlT_T0_E_clISt17integral_constantIbLb1EESY_IbLb0EEEEDaSU_SV_EUlSU_E_NS1_11comp_targetILNS1_3genE2ELNS1_11target_archE906ELNS1_3gpuE6ELNS1_3repE0EEENS1_30default_config_static_selectorELNS0_4arch9wavefront6targetE0EEEvT1_ ; -- Begin function _ZN7rocprim17ROCPRIM_400000_NS6detail17trampoline_kernelINS0_14default_configENS1_27scan_by_key_config_selectorIssEEZZNS1_16scan_by_key_implILNS1_25lookback_scan_determinismE0ELb0ES3_N6thrust23THRUST_200600_302600_NS6detail15normal_iteratorINS9_10device_ptrIsEEEESE_SE_sNS9_4plusIvEENS9_8equal_toIsEEsEE10hipError_tPvRmT2_T3_T4_T5_mT6_T7_P12ihipStream_tbENKUlT_T0_E_clISt17integral_constantIbLb1EESY_IbLb0EEEEDaSU_SV_EUlSU_E_NS1_11comp_targetILNS1_3genE2ELNS1_11target_archE906ELNS1_3gpuE6ELNS1_3repE0EEENS1_30default_config_static_selectorELNS0_4arch9wavefront6targetE0EEEvT1_
	.globl	_ZN7rocprim17ROCPRIM_400000_NS6detail17trampoline_kernelINS0_14default_configENS1_27scan_by_key_config_selectorIssEEZZNS1_16scan_by_key_implILNS1_25lookback_scan_determinismE0ELb0ES3_N6thrust23THRUST_200600_302600_NS6detail15normal_iteratorINS9_10device_ptrIsEEEESE_SE_sNS9_4plusIvEENS9_8equal_toIsEEsEE10hipError_tPvRmT2_T3_T4_T5_mT6_T7_P12ihipStream_tbENKUlT_T0_E_clISt17integral_constantIbLb1EESY_IbLb0EEEEDaSU_SV_EUlSU_E_NS1_11comp_targetILNS1_3genE2ELNS1_11target_archE906ELNS1_3gpuE6ELNS1_3repE0EEENS1_30default_config_static_selectorELNS0_4arch9wavefront6targetE0EEEvT1_
	.p2align	8
	.type	_ZN7rocprim17ROCPRIM_400000_NS6detail17trampoline_kernelINS0_14default_configENS1_27scan_by_key_config_selectorIssEEZZNS1_16scan_by_key_implILNS1_25lookback_scan_determinismE0ELb0ES3_N6thrust23THRUST_200600_302600_NS6detail15normal_iteratorINS9_10device_ptrIsEEEESE_SE_sNS9_4plusIvEENS9_8equal_toIsEEsEE10hipError_tPvRmT2_T3_T4_T5_mT6_T7_P12ihipStream_tbENKUlT_T0_E_clISt17integral_constantIbLb1EESY_IbLb0EEEEDaSU_SV_EUlSU_E_NS1_11comp_targetILNS1_3genE2ELNS1_11target_archE906ELNS1_3gpuE6ELNS1_3repE0EEENS1_30default_config_static_selectorELNS0_4arch9wavefront6targetE0EEEvT1_,@function
_ZN7rocprim17ROCPRIM_400000_NS6detail17trampoline_kernelINS0_14default_configENS1_27scan_by_key_config_selectorIssEEZZNS1_16scan_by_key_implILNS1_25lookback_scan_determinismE0ELb0ES3_N6thrust23THRUST_200600_302600_NS6detail15normal_iteratorINS9_10device_ptrIsEEEESE_SE_sNS9_4plusIvEENS9_8equal_toIsEEsEE10hipError_tPvRmT2_T3_T4_T5_mT6_T7_P12ihipStream_tbENKUlT_T0_E_clISt17integral_constantIbLb1EESY_IbLb0EEEEDaSU_SV_EUlSU_E_NS1_11comp_targetILNS1_3genE2ELNS1_11target_archE906ELNS1_3gpuE6ELNS1_3repE0EEENS1_30default_config_static_selectorELNS0_4arch9wavefront6targetE0EEEvT1_: ; @_ZN7rocprim17ROCPRIM_400000_NS6detail17trampoline_kernelINS0_14default_configENS1_27scan_by_key_config_selectorIssEEZZNS1_16scan_by_key_implILNS1_25lookback_scan_determinismE0ELb0ES3_N6thrust23THRUST_200600_302600_NS6detail15normal_iteratorINS9_10device_ptrIsEEEESE_SE_sNS9_4plusIvEENS9_8equal_toIsEEsEE10hipError_tPvRmT2_T3_T4_T5_mT6_T7_P12ihipStream_tbENKUlT_T0_E_clISt17integral_constantIbLb1EESY_IbLb0EEEEDaSU_SV_EUlSU_E_NS1_11comp_targetILNS1_3genE2ELNS1_11target_archE906ELNS1_3gpuE6ELNS1_3repE0EEENS1_30default_config_static_selectorELNS0_4arch9wavefront6targetE0EEEvT1_
; %bb.0:
	.section	.rodata,"a",@progbits
	.p2align	6, 0x0
	.amdhsa_kernel _ZN7rocprim17ROCPRIM_400000_NS6detail17trampoline_kernelINS0_14default_configENS1_27scan_by_key_config_selectorIssEEZZNS1_16scan_by_key_implILNS1_25lookback_scan_determinismE0ELb0ES3_N6thrust23THRUST_200600_302600_NS6detail15normal_iteratorINS9_10device_ptrIsEEEESE_SE_sNS9_4plusIvEENS9_8equal_toIsEEsEE10hipError_tPvRmT2_T3_T4_T5_mT6_T7_P12ihipStream_tbENKUlT_T0_E_clISt17integral_constantIbLb1EESY_IbLb0EEEEDaSU_SV_EUlSU_E_NS1_11comp_targetILNS1_3genE2ELNS1_11target_archE906ELNS1_3gpuE6ELNS1_3repE0EEENS1_30default_config_static_selectorELNS0_4arch9wavefront6targetE0EEEvT1_
		.amdhsa_group_segment_fixed_size 0
		.amdhsa_private_segment_fixed_size 0
		.amdhsa_kernarg_size 112
		.amdhsa_user_sgpr_count 2
		.amdhsa_user_sgpr_dispatch_ptr 0
		.amdhsa_user_sgpr_queue_ptr 0
		.amdhsa_user_sgpr_kernarg_segment_ptr 1
		.amdhsa_user_sgpr_dispatch_id 0
		.amdhsa_user_sgpr_kernarg_preload_length 0
		.amdhsa_user_sgpr_kernarg_preload_offset 0
		.amdhsa_user_sgpr_private_segment_size 0
		.amdhsa_wavefront_size32 1
		.amdhsa_uses_dynamic_stack 0
		.amdhsa_enable_private_segment 0
		.amdhsa_system_sgpr_workgroup_id_x 1
		.amdhsa_system_sgpr_workgroup_id_y 0
		.amdhsa_system_sgpr_workgroup_id_z 0
		.amdhsa_system_sgpr_workgroup_info 0
		.amdhsa_system_vgpr_workitem_id 0
		.amdhsa_next_free_vgpr 1
		.amdhsa_next_free_sgpr 1
		.amdhsa_named_barrier_count 0
		.amdhsa_reserve_vcc 0
		.amdhsa_float_round_mode_32 0
		.amdhsa_float_round_mode_16_64 0
		.amdhsa_float_denorm_mode_32 3
		.amdhsa_float_denorm_mode_16_64 3
		.amdhsa_fp16_overflow 0
		.amdhsa_memory_ordered 1
		.amdhsa_forward_progress 1
		.amdhsa_inst_pref_size 0
		.amdhsa_round_robin_scheduling 0
		.amdhsa_exception_fp_ieee_invalid_op 0
		.amdhsa_exception_fp_denorm_src 0
		.amdhsa_exception_fp_ieee_div_zero 0
		.amdhsa_exception_fp_ieee_overflow 0
		.amdhsa_exception_fp_ieee_underflow 0
		.amdhsa_exception_fp_ieee_inexact 0
		.amdhsa_exception_int_div_zero 0
	.end_amdhsa_kernel
	.section	.text._ZN7rocprim17ROCPRIM_400000_NS6detail17trampoline_kernelINS0_14default_configENS1_27scan_by_key_config_selectorIssEEZZNS1_16scan_by_key_implILNS1_25lookback_scan_determinismE0ELb0ES3_N6thrust23THRUST_200600_302600_NS6detail15normal_iteratorINS9_10device_ptrIsEEEESE_SE_sNS9_4plusIvEENS9_8equal_toIsEEsEE10hipError_tPvRmT2_T3_T4_T5_mT6_T7_P12ihipStream_tbENKUlT_T0_E_clISt17integral_constantIbLb1EESY_IbLb0EEEEDaSU_SV_EUlSU_E_NS1_11comp_targetILNS1_3genE2ELNS1_11target_archE906ELNS1_3gpuE6ELNS1_3repE0EEENS1_30default_config_static_selectorELNS0_4arch9wavefront6targetE0EEEvT1_,"axG",@progbits,_ZN7rocprim17ROCPRIM_400000_NS6detail17trampoline_kernelINS0_14default_configENS1_27scan_by_key_config_selectorIssEEZZNS1_16scan_by_key_implILNS1_25lookback_scan_determinismE0ELb0ES3_N6thrust23THRUST_200600_302600_NS6detail15normal_iteratorINS9_10device_ptrIsEEEESE_SE_sNS9_4plusIvEENS9_8equal_toIsEEsEE10hipError_tPvRmT2_T3_T4_T5_mT6_T7_P12ihipStream_tbENKUlT_T0_E_clISt17integral_constantIbLb1EESY_IbLb0EEEEDaSU_SV_EUlSU_E_NS1_11comp_targetILNS1_3genE2ELNS1_11target_archE906ELNS1_3gpuE6ELNS1_3repE0EEENS1_30default_config_static_selectorELNS0_4arch9wavefront6targetE0EEEvT1_,comdat
.Lfunc_end340:
	.size	_ZN7rocprim17ROCPRIM_400000_NS6detail17trampoline_kernelINS0_14default_configENS1_27scan_by_key_config_selectorIssEEZZNS1_16scan_by_key_implILNS1_25lookback_scan_determinismE0ELb0ES3_N6thrust23THRUST_200600_302600_NS6detail15normal_iteratorINS9_10device_ptrIsEEEESE_SE_sNS9_4plusIvEENS9_8equal_toIsEEsEE10hipError_tPvRmT2_T3_T4_T5_mT6_T7_P12ihipStream_tbENKUlT_T0_E_clISt17integral_constantIbLb1EESY_IbLb0EEEEDaSU_SV_EUlSU_E_NS1_11comp_targetILNS1_3genE2ELNS1_11target_archE906ELNS1_3gpuE6ELNS1_3repE0EEENS1_30default_config_static_selectorELNS0_4arch9wavefront6targetE0EEEvT1_, .Lfunc_end340-_ZN7rocprim17ROCPRIM_400000_NS6detail17trampoline_kernelINS0_14default_configENS1_27scan_by_key_config_selectorIssEEZZNS1_16scan_by_key_implILNS1_25lookback_scan_determinismE0ELb0ES3_N6thrust23THRUST_200600_302600_NS6detail15normal_iteratorINS9_10device_ptrIsEEEESE_SE_sNS9_4plusIvEENS9_8equal_toIsEEsEE10hipError_tPvRmT2_T3_T4_T5_mT6_T7_P12ihipStream_tbENKUlT_T0_E_clISt17integral_constantIbLb1EESY_IbLb0EEEEDaSU_SV_EUlSU_E_NS1_11comp_targetILNS1_3genE2ELNS1_11target_archE906ELNS1_3gpuE6ELNS1_3repE0EEENS1_30default_config_static_selectorELNS0_4arch9wavefront6targetE0EEEvT1_
                                        ; -- End function
	.set _ZN7rocprim17ROCPRIM_400000_NS6detail17trampoline_kernelINS0_14default_configENS1_27scan_by_key_config_selectorIssEEZZNS1_16scan_by_key_implILNS1_25lookback_scan_determinismE0ELb0ES3_N6thrust23THRUST_200600_302600_NS6detail15normal_iteratorINS9_10device_ptrIsEEEESE_SE_sNS9_4plusIvEENS9_8equal_toIsEEsEE10hipError_tPvRmT2_T3_T4_T5_mT6_T7_P12ihipStream_tbENKUlT_T0_E_clISt17integral_constantIbLb1EESY_IbLb0EEEEDaSU_SV_EUlSU_E_NS1_11comp_targetILNS1_3genE2ELNS1_11target_archE906ELNS1_3gpuE6ELNS1_3repE0EEENS1_30default_config_static_selectorELNS0_4arch9wavefront6targetE0EEEvT1_.num_vgpr, 0
	.set _ZN7rocprim17ROCPRIM_400000_NS6detail17trampoline_kernelINS0_14default_configENS1_27scan_by_key_config_selectorIssEEZZNS1_16scan_by_key_implILNS1_25lookback_scan_determinismE0ELb0ES3_N6thrust23THRUST_200600_302600_NS6detail15normal_iteratorINS9_10device_ptrIsEEEESE_SE_sNS9_4plusIvEENS9_8equal_toIsEEsEE10hipError_tPvRmT2_T3_T4_T5_mT6_T7_P12ihipStream_tbENKUlT_T0_E_clISt17integral_constantIbLb1EESY_IbLb0EEEEDaSU_SV_EUlSU_E_NS1_11comp_targetILNS1_3genE2ELNS1_11target_archE906ELNS1_3gpuE6ELNS1_3repE0EEENS1_30default_config_static_selectorELNS0_4arch9wavefront6targetE0EEEvT1_.num_agpr, 0
	.set _ZN7rocprim17ROCPRIM_400000_NS6detail17trampoline_kernelINS0_14default_configENS1_27scan_by_key_config_selectorIssEEZZNS1_16scan_by_key_implILNS1_25lookback_scan_determinismE0ELb0ES3_N6thrust23THRUST_200600_302600_NS6detail15normal_iteratorINS9_10device_ptrIsEEEESE_SE_sNS9_4plusIvEENS9_8equal_toIsEEsEE10hipError_tPvRmT2_T3_T4_T5_mT6_T7_P12ihipStream_tbENKUlT_T0_E_clISt17integral_constantIbLb1EESY_IbLb0EEEEDaSU_SV_EUlSU_E_NS1_11comp_targetILNS1_3genE2ELNS1_11target_archE906ELNS1_3gpuE6ELNS1_3repE0EEENS1_30default_config_static_selectorELNS0_4arch9wavefront6targetE0EEEvT1_.numbered_sgpr, 0
	.set _ZN7rocprim17ROCPRIM_400000_NS6detail17trampoline_kernelINS0_14default_configENS1_27scan_by_key_config_selectorIssEEZZNS1_16scan_by_key_implILNS1_25lookback_scan_determinismE0ELb0ES3_N6thrust23THRUST_200600_302600_NS6detail15normal_iteratorINS9_10device_ptrIsEEEESE_SE_sNS9_4plusIvEENS9_8equal_toIsEEsEE10hipError_tPvRmT2_T3_T4_T5_mT6_T7_P12ihipStream_tbENKUlT_T0_E_clISt17integral_constantIbLb1EESY_IbLb0EEEEDaSU_SV_EUlSU_E_NS1_11comp_targetILNS1_3genE2ELNS1_11target_archE906ELNS1_3gpuE6ELNS1_3repE0EEENS1_30default_config_static_selectorELNS0_4arch9wavefront6targetE0EEEvT1_.num_named_barrier, 0
	.set _ZN7rocprim17ROCPRIM_400000_NS6detail17trampoline_kernelINS0_14default_configENS1_27scan_by_key_config_selectorIssEEZZNS1_16scan_by_key_implILNS1_25lookback_scan_determinismE0ELb0ES3_N6thrust23THRUST_200600_302600_NS6detail15normal_iteratorINS9_10device_ptrIsEEEESE_SE_sNS9_4plusIvEENS9_8equal_toIsEEsEE10hipError_tPvRmT2_T3_T4_T5_mT6_T7_P12ihipStream_tbENKUlT_T0_E_clISt17integral_constantIbLb1EESY_IbLb0EEEEDaSU_SV_EUlSU_E_NS1_11comp_targetILNS1_3genE2ELNS1_11target_archE906ELNS1_3gpuE6ELNS1_3repE0EEENS1_30default_config_static_selectorELNS0_4arch9wavefront6targetE0EEEvT1_.private_seg_size, 0
	.set _ZN7rocprim17ROCPRIM_400000_NS6detail17trampoline_kernelINS0_14default_configENS1_27scan_by_key_config_selectorIssEEZZNS1_16scan_by_key_implILNS1_25lookback_scan_determinismE0ELb0ES3_N6thrust23THRUST_200600_302600_NS6detail15normal_iteratorINS9_10device_ptrIsEEEESE_SE_sNS9_4plusIvEENS9_8equal_toIsEEsEE10hipError_tPvRmT2_T3_T4_T5_mT6_T7_P12ihipStream_tbENKUlT_T0_E_clISt17integral_constantIbLb1EESY_IbLb0EEEEDaSU_SV_EUlSU_E_NS1_11comp_targetILNS1_3genE2ELNS1_11target_archE906ELNS1_3gpuE6ELNS1_3repE0EEENS1_30default_config_static_selectorELNS0_4arch9wavefront6targetE0EEEvT1_.uses_vcc, 0
	.set _ZN7rocprim17ROCPRIM_400000_NS6detail17trampoline_kernelINS0_14default_configENS1_27scan_by_key_config_selectorIssEEZZNS1_16scan_by_key_implILNS1_25lookback_scan_determinismE0ELb0ES3_N6thrust23THRUST_200600_302600_NS6detail15normal_iteratorINS9_10device_ptrIsEEEESE_SE_sNS9_4plusIvEENS9_8equal_toIsEEsEE10hipError_tPvRmT2_T3_T4_T5_mT6_T7_P12ihipStream_tbENKUlT_T0_E_clISt17integral_constantIbLb1EESY_IbLb0EEEEDaSU_SV_EUlSU_E_NS1_11comp_targetILNS1_3genE2ELNS1_11target_archE906ELNS1_3gpuE6ELNS1_3repE0EEENS1_30default_config_static_selectorELNS0_4arch9wavefront6targetE0EEEvT1_.uses_flat_scratch, 0
	.set _ZN7rocprim17ROCPRIM_400000_NS6detail17trampoline_kernelINS0_14default_configENS1_27scan_by_key_config_selectorIssEEZZNS1_16scan_by_key_implILNS1_25lookback_scan_determinismE0ELb0ES3_N6thrust23THRUST_200600_302600_NS6detail15normal_iteratorINS9_10device_ptrIsEEEESE_SE_sNS9_4plusIvEENS9_8equal_toIsEEsEE10hipError_tPvRmT2_T3_T4_T5_mT6_T7_P12ihipStream_tbENKUlT_T0_E_clISt17integral_constantIbLb1EESY_IbLb0EEEEDaSU_SV_EUlSU_E_NS1_11comp_targetILNS1_3genE2ELNS1_11target_archE906ELNS1_3gpuE6ELNS1_3repE0EEENS1_30default_config_static_selectorELNS0_4arch9wavefront6targetE0EEEvT1_.has_dyn_sized_stack, 0
	.set _ZN7rocprim17ROCPRIM_400000_NS6detail17trampoline_kernelINS0_14default_configENS1_27scan_by_key_config_selectorIssEEZZNS1_16scan_by_key_implILNS1_25lookback_scan_determinismE0ELb0ES3_N6thrust23THRUST_200600_302600_NS6detail15normal_iteratorINS9_10device_ptrIsEEEESE_SE_sNS9_4plusIvEENS9_8equal_toIsEEsEE10hipError_tPvRmT2_T3_T4_T5_mT6_T7_P12ihipStream_tbENKUlT_T0_E_clISt17integral_constantIbLb1EESY_IbLb0EEEEDaSU_SV_EUlSU_E_NS1_11comp_targetILNS1_3genE2ELNS1_11target_archE906ELNS1_3gpuE6ELNS1_3repE0EEENS1_30default_config_static_selectorELNS0_4arch9wavefront6targetE0EEEvT1_.has_recursion, 0
	.set _ZN7rocprim17ROCPRIM_400000_NS6detail17trampoline_kernelINS0_14default_configENS1_27scan_by_key_config_selectorIssEEZZNS1_16scan_by_key_implILNS1_25lookback_scan_determinismE0ELb0ES3_N6thrust23THRUST_200600_302600_NS6detail15normal_iteratorINS9_10device_ptrIsEEEESE_SE_sNS9_4plusIvEENS9_8equal_toIsEEsEE10hipError_tPvRmT2_T3_T4_T5_mT6_T7_P12ihipStream_tbENKUlT_T0_E_clISt17integral_constantIbLb1EESY_IbLb0EEEEDaSU_SV_EUlSU_E_NS1_11comp_targetILNS1_3genE2ELNS1_11target_archE906ELNS1_3gpuE6ELNS1_3repE0EEENS1_30default_config_static_selectorELNS0_4arch9wavefront6targetE0EEEvT1_.has_indirect_call, 0
	.section	.AMDGPU.csdata,"",@progbits
; Kernel info:
; codeLenInByte = 0
; TotalNumSgprs: 0
; NumVgprs: 0
; ScratchSize: 0
; MemoryBound: 0
; FloatMode: 240
; IeeeMode: 1
; LDSByteSize: 0 bytes/workgroup (compile time only)
; SGPRBlocks: 0
; VGPRBlocks: 0
; NumSGPRsForWavesPerEU: 1
; NumVGPRsForWavesPerEU: 1
; NamedBarCnt: 0
; Occupancy: 16
; WaveLimiterHint : 0
; COMPUTE_PGM_RSRC2:SCRATCH_EN: 0
; COMPUTE_PGM_RSRC2:USER_SGPR: 2
; COMPUTE_PGM_RSRC2:TRAP_HANDLER: 0
; COMPUTE_PGM_RSRC2:TGID_X_EN: 1
; COMPUTE_PGM_RSRC2:TGID_Y_EN: 0
; COMPUTE_PGM_RSRC2:TGID_Z_EN: 0
; COMPUTE_PGM_RSRC2:TIDIG_COMP_CNT: 0
	.section	.text._ZN7rocprim17ROCPRIM_400000_NS6detail17trampoline_kernelINS0_14default_configENS1_27scan_by_key_config_selectorIssEEZZNS1_16scan_by_key_implILNS1_25lookback_scan_determinismE0ELb0ES3_N6thrust23THRUST_200600_302600_NS6detail15normal_iteratorINS9_10device_ptrIsEEEESE_SE_sNS9_4plusIvEENS9_8equal_toIsEEsEE10hipError_tPvRmT2_T3_T4_T5_mT6_T7_P12ihipStream_tbENKUlT_T0_E_clISt17integral_constantIbLb1EESY_IbLb0EEEEDaSU_SV_EUlSU_E_NS1_11comp_targetILNS1_3genE10ELNS1_11target_archE1200ELNS1_3gpuE4ELNS1_3repE0EEENS1_30default_config_static_selectorELNS0_4arch9wavefront6targetE0EEEvT1_,"axG",@progbits,_ZN7rocprim17ROCPRIM_400000_NS6detail17trampoline_kernelINS0_14default_configENS1_27scan_by_key_config_selectorIssEEZZNS1_16scan_by_key_implILNS1_25lookback_scan_determinismE0ELb0ES3_N6thrust23THRUST_200600_302600_NS6detail15normal_iteratorINS9_10device_ptrIsEEEESE_SE_sNS9_4plusIvEENS9_8equal_toIsEEsEE10hipError_tPvRmT2_T3_T4_T5_mT6_T7_P12ihipStream_tbENKUlT_T0_E_clISt17integral_constantIbLb1EESY_IbLb0EEEEDaSU_SV_EUlSU_E_NS1_11comp_targetILNS1_3genE10ELNS1_11target_archE1200ELNS1_3gpuE4ELNS1_3repE0EEENS1_30default_config_static_selectorELNS0_4arch9wavefront6targetE0EEEvT1_,comdat
	.protected	_ZN7rocprim17ROCPRIM_400000_NS6detail17trampoline_kernelINS0_14default_configENS1_27scan_by_key_config_selectorIssEEZZNS1_16scan_by_key_implILNS1_25lookback_scan_determinismE0ELb0ES3_N6thrust23THRUST_200600_302600_NS6detail15normal_iteratorINS9_10device_ptrIsEEEESE_SE_sNS9_4plusIvEENS9_8equal_toIsEEsEE10hipError_tPvRmT2_T3_T4_T5_mT6_T7_P12ihipStream_tbENKUlT_T0_E_clISt17integral_constantIbLb1EESY_IbLb0EEEEDaSU_SV_EUlSU_E_NS1_11comp_targetILNS1_3genE10ELNS1_11target_archE1200ELNS1_3gpuE4ELNS1_3repE0EEENS1_30default_config_static_selectorELNS0_4arch9wavefront6targetE0EEEvT1_ ; -- Begin function _ZN7rocprim17ROCPRIM_400000_NS6detail17trampoline_kernelINS0_14default_configENS1_27scan_by_key_config_selectorIssEEZZNS1_16scan_by_key_implILNS1_25lookback_scan_determinismE0ELb0ES3_N6thrust23THRUST_200600_302600_NS6detail15normal_iteratorINS9_10device_ptrIsEEEESE_SE_sNS9_4plusIvEENS9_8equal_toIsEEsEE10hipError_tPvRmT2_T3_T4_T5_mT6_T7_P12ihipStream_tbENKUlT_T0_E_clISt17integral_constantIbLb1EESY_IbLb0EEEEDaSU_SV_EUlSU_E_NS1_11comp_targetILNS1_3genE10ELNS1_11target_archE1200ELNS1_3gpuE4ELNS1_3repE0EEENS1_30default_config_static_selectorELNS0_4arch9wavefront6targetE0EEEvT1_
	.globl	_ZN7rocprim17ROCPRIM_400000_NS6detail17trampoline_kernelINS0_14default_configENS1_27scan_by_key_config_selectorIssEEZZNS1_16scan_by_key_implILNS1_25lookback_scan_determinismE0ELb0ES3_N6thrust23THRUST_200600_302600_NS6detail15normal_iteratorINS9_10device_ptrIsEEEESE_SE_sNS9_4plusIvEENS9_8equal_toIsEEsEE10hipError_tPvRmT2_T3_T4_T5_mT6_T7_P12ihipStream_tbENKUlT_T0_E_clISt17integral_constantIbLb1EESY_IbLb0EEEEDaSU_SV_EUlSU_E_NS1_11comp_targetILNS1_3genE10ELNS1_11target_archE1200ELNS1_3gpuE4ELNS1_3repE0EEENS1_30default_config_static_selectorELNS0_4arch9wavefront6targetE0EEEvT1_
	.p2align	8
	.type	_ZN7rocprim17ROCPRIM_400000_NS6detail17trampoline_kernelINS0_14default_configENS1_27scan_by_key_config_selectorIssEEZZNS1_16scan_by_key_implILNS1_25lookback_scan_determinismE0ELb0ES3_N6thrust23THRUST_200600_302600_NS6detail15normal_iteratorINS9_10device_ptrIsEEEESE_SE_sNS9_4plusIvEENS9_8equal_toIsEEsEE10hipError_tPvRmT2_T3_T4_T5_mT6_T7_P12ihipStream_tbENKUlT_T0_E_clISt17integral_constantIbLb1EESY_IbLb0EEEEDaSU_SV_EUlSU_E_NS1_11comp_targetILNS1_3genE10ELNS1_11target_archE1200ELNS1_3gpuE4ELNS1_3repE0EEENS1_30default_config_static_selectorELNS0_4arch9wavefront6targetE0EEEvT1_,@function
_ZN7rocprim17ROCPRIM_400000_NS6detail17trampoline_kernelINS0_14default_configENS1_27scan_by_key_config_selectorIssEEZZNS1_16scan_by_key_implILNS1_25lookback_scan_determinismE0ELb0ES3_N6thrust23THRUST_200600_302600_NS6detail15normal_iteratorINS9_10device_ptrIsEEEESE_SE_sNS9_4plusIvEENS9_8equal_toIsEEsEE10hipError_tPvRmT2_T3_T4_T5_mT6_T7_P12ihipStream_tbENKUlT_T0_E_clISt17integral_constantIbLb1EESY_IbLb0EEEEDaSU_SV_EUlSU_E_NS1_11comp_targetILNS1_3genE10ELNS1_11target_archE1200ELNS1_3gpuE4ELNS1_3repE0EEENS1_30default_config_static_selectorELNS0_4arch9wavefront6targetE0EEEvT1_: ; @_ZN7rocprim17ROCPRIM_400000_NS6detail17trampoline_kernelINS0_14default_configENS1_27scan_by_key_config_selectorIssEEZZNS1_16scan_by_key_implILNS1_25lookback_scan_determinismE0ELb0ES3_N6thrust23THRUST_200600_302600_NS6detail15normal_iteratorINS9_10device_ptrIsEEEESE_SE_sNS9_4plusIvEENS9_8equal_toIsEEsEE10hipError_tPvRmT2_T3_T4_T5_mT6_T7_P12ihipStream_tbENKUlT_T0_E_clISt17integral_constantIbLb1EESY_IbLb0EEEEDaSU_SV_EUlSU_E_NS1_11comp_targetILNS1_3genE10ELNS1_11target_archE1200ELNS1_3gpuE4ELNS1_3repE0EEENS1_30default_config_static_selectorELNS0_4arch9wavefront6targetE0EEEvT1_
; %bb.0:
	.section	.rodata,"a",@progbits
	.p2align	6, 0x0
	.amdhsa_kernel _ZN7rocprim17ROCPRIM_400000_NS6detail17trampoline_kernelINS0_14default_configENS1_27scan_by_key_config_selectorIssEEZZNS1_16scan_by_key_implILNS1_25lookback_scan_determinismE0ELb0ES3_N6thrust23THRUST_200600_302600_NS6detail15normal_iteratorINS9_10device_ptrIsEEEESE_SE_sNS9_4plusIvEENS9_8equal_toIsEEsEE10hipError_tPvRmT2_T3_T4_T5_mT6_T7_P12ihipStream_tbENKUlT_T0_E_clISt17integral_constantIbLb1EESY_IbLb0EEEEDaSU_SV_EUlSU_E_NS1_11comp_targetILNS1_3genE10ELNS1_11target_archE1200ELNS1_3gpuE4ELNS1_3repE0EEENS1_30default_config_static_selectorELNS0_4arch9wavefront6targetE0EEEvT1_
		.amdhsa_group_segment_fixed_size 0
		.amdhsa_private_segment_fixed_size 0
		.amdhsa_kernarg_size 112
		.amdhsa_user_sgpr_count 2
		.amdhsa_user_sgpr_dispatch_ptr 0
		.amdhsa_user_sgpr_queue_ptr 0
		.amdhsa_user_sgpr_kernarg_segment_ptr 1
		.amdhsa_user_sgpr_dispatch_id 0
		.amdhsa_user_sgpr_kernarg_preload_length 0
		.amdhsa_user_sgpr_kernarg_preload_offset 0
		.amdhsa_user_sgpr_private_segment_size 0
		.amdhsa_wavefront_size32 1
		.amdhsa_uses_dynamic_stack 0
		.amdhsa_enable_private_segment 0
		.amdhsa_system_sgpr_workgroup_id_x 1
		.amdhsa_system_sgpr_workgroup_id_y 0
		.amdhsa_system_sgpr_workgroup_id_z 0
		.amdhsa_system_sgpr_workgroup_info 0
		.amdhsa_system_vgpr_workitem_id 0
		.amdhsa_next_free_vgpr 1
		.amdhsa_next_free_sgpr 1
		.amdhsa_named_barrier_count 0
		.amdhsa_reserve_vcc 0
		.amdhsa_float_round_mode_32 0
		.amdhsa_float_round_mode_16_64 0
		.amdhsa_float_denorm_mode_32 3
		.amdhsa_float_denorm_mode_16_64 3
		.amdhsa_fp16_overflow 0
		.amdhsa_memory_ordered 1
		.amdhsa_forward_progress 1
		.amdhsa_inst_pref_size 0
		.amdhsa_round_robin_scheduling 0
		.amdhsa_exception_fp_ieee_invalid_op 0
		.amdhsa_exception_fp_denorm_src 0
		.amdhsa_exception_fp_ieee_div_zero 0
		.amdhsa_exception_fp_ieee_overflow 0
		.amdhsa_exception_fp_ieee_underflow 0
		.amdhsa_exception_fp_ieee_inexact 0
		.amdhsa_exception_int_div_zero 0
	.end_amdhsa_kernel
	.section	.text._ZN7rocprim17ROCPRIM_400000_NS6detail17trampoline_kernelINS0_14default_configENS1_27scan_by_key_config_selectorIssEEZZNS1_16scan_by_key_implILNS1_25lookback_scan_determinismE0ELb0ES3_N6thrust23THRUST_200600_302600_NS6detail15normal_iteratorINS9_10device_ptrIsEEEESE_SE_sNS9_4plusIvEENS9_8equal_toIsEEsEE10hipError_tPvRmT2_T3_T4_T5_mT6_T7_P12ihipStream_tbENKUlT_T0_E_clISt17integral_constantIbLb1EESY_IbLb0EEEEDaSU_SV_EUlSU_E_NS1_11comp_targetILNS1_3genE10ELNS1_11target_archE1200ELNS1_3gpuE4ELNS1_3repE0EEENS1_30default_config_static_selectorELNS0_4arch9wavefront6targetE0EEEvT1_,"axG",@progbits,_ZN7rocprim17ROCPRIM_400000_NS6detail17trampoline_kernelINS0_14default_configENS1_27scan_by_key_config_selectorIssEEZZNS1_16scan_by_key_implILNS1_25lookback_scan_determinismE0ELb0ES3_N6thrust23THRUST_200600_302600_NS6detail15normal_iteratorINS9_10device_ptrIsEEEESE_SE_sNS9_4plusIvEENS9_8equal_toIsEEsEE10hipError_tPvRmT2_T3_T4_T5_mT6_T7_P12ihipStream_tbENKUlT_T0_E_clISt17integral_constantIbLb1EESY_IbLb0EEEEDaSU_SV_EUlSU_E_NS1_11comp_targetILNS1_3genE10ELNS1_11target_archE1200ELNS1_3gpuE4ELNS1_3repE0EEENS1_30default_config_static_selectorELNS0_4arch9wavefront6targetE0EEEvT1_,comdat
.Lfunc_end341:
	.size	_ZN7rocprim17ROCPRIM_400000_NS6detail17trampoline_kernelINS0_14default_configENS1_27scan_by_key_config_selectorIssEEZZNS1_16scan_by_key_implILNS1_25lookback_scan_determinismE0ELb0ES3_N6thrust23THRUST_200600_302600_NS6detail15normal_iteratorINS9_10device_ptrIsEEEESE_SE_sNS9_4plusIvEENS9_8equal_toIsEEsEE10hipError_tPvRmT2_T3_T4_T5_mT6_T7_P12ihipStream_tbENKUlT_T0_E_clISt17integral_constantIbLb1EESY_IbLb0EEEEDaSU_SV_EUlSU_E_NS1_11comp_targetILNS1_3genE10ELNS1_11target_archE1200ELNS1_3gpuE4ELNS1_3repE0EEENS1_30default_config_static_selectorELNS0_4arch9wavefront6targetE0EEEvT1_, .Lfunc_end341-_ZN7rocprim17ROCPRIM_400000_NS6detail17trampoline_kernelINS0_14default_configENS1_27scan_by_key_config_selectorIssEEZZNS1_16scan_by_key_implILNS1_25lookback_scan_determinismE0ELb0ES3_N6thrust23THRUST_200600_302600_NS6detail15normal_iteratorINS9_10device_ptrIsEEEESE_SE_sNS9_4plusIvEENS9_8equal_toIsEEsEE10hipError_tPvRmT2_T3_T4_T5_mT6_T7_P12ihipStream_tbENKUlT_T0_E_clISt17integral_constantIbLb1EESY_IbLb0EEEEDaSU_SV_EUlSU_E_NS1_11comp_targetILNS1_3genE10ELNS1_11target_archE1200ELNS1_3gpuE4ELNS1_3repE0EEENS1_30default_config_static_selectorELNS0_4arch9wavefront6targetE0EEEvT1_
                                        ; -- End function
	.set _ZN7rocprim17ROCPRIM_400000_NS6detail17trampoline_kernelINS0_14default_configENS1_27scan_by_key_config_selectorIssEEZZNS1_16scan_by_key_implILNS1_25lookback_scan_determinismE0ELb0ES3_N6thrust23THRUST_200600_302600_NS6detail15normal_iteratorINS9_10device_ptrIsEEEESE_SE_sNS9_4plusIvEENS9_8equal_toIsEEsEE10hipError_tPvRmT2_T3_T4_T5_mT6_T7_P12ihipStream_tbENKUlT_T0_E_clISt17integral_constantIbLb1EESY_IbLb0EEEEDaSU_SV_EUlSU_E_NS1_11comp_targetILNS1_3genE10ELNS1_11target_archE1200ELNS1_3gpuE4ELNS1_3repE0EEENS1_30default_config_static_selectorELNS0_4arch9wavefront6targetE0EEEvT1_.num_vgpr, 0
	.set _ZN7rocprim17ROCPRIM_400000_NS6detail17trampoline_kernelINS0_14default_configENS1_27scan_by_key_config_selectorIssEEZZNS1_16scan_by_key_implILNS1_25lookback_scan_determinismE0ELb0ES3_N6thrust23THRUST_200600_302600_NS6detail15normal_iteratorINS9_10device_ptrIsEEEESE_SE_sNS9_4plusIvEENS9_8equal_toIsEEsEE10hipError_tPvRmT2_T3_T4_T5_mT6_T7_P12ihipStream_tbENKUlT_T0_E_clISt17integral_constantIbLb1EESY_IbLb0EEEEDaSU_SV_EUlSU_E_NS1_11comp_targetILNS1_3genE10ELNS1_11target_archE1200ELNS1_3gpuE4ELNS1_3repE0EEENS1_30default_config_static_selectorELNS0_4arch9wavefront6targetE0EEEvT1_.num_agpr, 0
	.set _ZN7rocprim17ROCPRIM_400000_NS6detail17trampoline_kernelINS0_14default_configENS1_27scan_by_key_config_selectorIssEEZZNS1_16scan_by_key_implILNS1_25lookback_scan_determinismE0ELb0ES3_N6thrust23THRUST_200600_302600_NS6detail15normal_iteratorINS9_10device_ptrIsEEEESE_SE_sNS9_4plusIvEENS9_8equal_toIsEEsEE10hipError_tPvRmT2_T3_T4_T5_mT6_T7_P12ihipStream_tbENKUlT_T0_E_clISt17integral_constantIbLb1EESY_IbLb0EEEEDaSU_SV_EUlSU_E_NS1_11comp_targetILNS1_3genE10ELNS1_11target_archE1200ELNS1_3gpuE4ELNS1_3repE0EEENS1_30default_config_static_selectorELNS0_4arch9wavefront6targetE0EEEvT1_.numbered_sgpr, 0
	.set _ZN7rocprim17ROCPRIM_400000_NS6detail17trampoline_kernelINS0_14default_configENS1_27scan_by_key_config_selectorIssEEZZNS1_16scan_by_key_implILNS1_25lookback_scan_determinismE0ELb0ES3_N6thrust23THRUST_200600_302600_NS6detail15normal_iteratorINS9_10device_ptrIsEEEESE_SE_sNS9_4plusIvEENS9_8equal_toIsEEsEE10hipError_tPvRmT2_T3_T4_T5_mT6_T7_P12ihipStream_tbENKUlT_T0_E_clISt17integral_constantIbLb1EESY_IbLb0EEEEDaSU_SV_EUlSU_E_NS1_11comp_targetILNS1_3genE10ELNS1_11target_archE1200ELNS1_3gpuE4ELNS1_3repE0EEENS1_30default_config_static_selectorELNS0_4arch9wavefront6targetE0EEEvT1_.num_named_barrier, 0
	.set _ZN7rocprim17ROCPRIM_400000_NS6detail17trampoline_kernelINS0_14default_configENS1_27scan_by_key_config_selectorIssEEZZNS1_16scan_by_key_implILNS1_25lookback_scan_determinismE0ELb0ES3_N6thrust23THRUST_200600_302600_NS6detail15normal_iteratorINS9_10device_ptrIsEEEESE_SE_sNS9_4plusIvEENS9_8equal_toIsEEsEE10hipError_tPvRmT2_T3_T4_T5_mT6_T7_P12ihipStream_tbENKUlT_T0_E_clISt17integral_constantIbLb1EESY_IbLb0EEEEDaSU_SV_EUlSU_E_NS1_11comp_targetILNS1_3genE10ELNS1_11target_archE1200ELNS1_3gpuE4ELNS1_3repE0EEENS1_30default_config_static_selectorELNS0_4arch9wavefront6targetE0EEEvT1_.private_seg_size, 0
	.set _ZN7rocprim17ROCPRIM_400000_NS6detail17trampoline_kernelINS0_14default_configENS1_27scan_by_key_config_selectorIssEEZZNS1_16scan_by_key_implILNS1_25lookback_scan_determinismE0ELb0ES3_N6thrust23THRUST_200600_302600_NS6detail15normal_iteratorINS9_10device_ptrIsEEEESE_SE_sNS9_4plusIvEENS9_8equal_toIsEEsEE10hipError_tPvRmT2_T3_T4_T5_mT6_T7_P12ihipStream_tbENKUlT_T0_E_clISt17integral_constantIbLb1EESY_IbLb0EEEEDaSU_SV_EUlSU_E_NS1_11comp_targetILNS1_3genE10ELNS1_11target_archE1200ELNS1_3gpuE4ELNS1_3repE0EEENS1_30default_config_static_selectorELNS0_4arch9wavefront6targetE0EEEvT1_.uses_vcc, 0
	.set _ZN7rocprim17ROCPRIM_400000_NS6detail17trampoline_kernelINS0_14default_configENS1_27scan_by_key_config_selectorIssEEZZNS1_16scan_by_key_implILNS1_25lookback_scan_determinismE0ELb0ES3_N6thrust23THRUST_200600_302600_NS6detail15normal_iteratorINS9_10device_ptrIsEEEESE_SE_sNS9_4plusIvEENS9_8equal_toIsEEsEE10hipError_tPvRmT2_T3_T4_T5_mT6_T7_P12ihipStream_tbENKUlT_T0_E_clISt17integral_constantIbLb1EESY_IbLb0EEEEDaSU_SV_EUlSU_E_NS1_11comp_targetILNS1_3genE10ELNS1_11target_archE1200ELNS1_3gpuE4ELNS1_3repE0EEENS1_30default_config_static_selectorELNS0_4arch9wavefront6targetE0EEEvT1_.uses_flat_scratch, 0
	.set _ZN7rocprim17ROCPRIM_400000_NS6detail17trampoline_kernelINS0_14default_configENS1_27scan_by_key_config_selectorIssEEZZNS1_16scan_by_key_implILNS1_25lookback_scan_determinismE0ELb0ES3_N6thrust23THRUST_200600_302600_NS6detail15normal_iteratorINS9_10device_ptrIsEEEESE_SE_sNS9_4plusIvEENS9_8equal_toIsEEsEE10hipError_tPvRmT2_T3_T4_T5_mT6_T7_P12ihipStream_tbENKUlT_T0_E_clISt17integral_constantIbLb1EESY_IbLb0EEEEDaSU_SV_EUlSU_E_NS1_11comp_targetILNS1_3genE10ELNS1_11target_archE1200ELNS1_3gpuE4ELNS1_3repE0EEENS1_30default_config_static_selectorELNS0_4arch9wavefront6targetE0EEEvT1_.has_dyn_sized_stack, 0
	.set _ZN7rocprim17ROCPRIM_400000_NS6detail17trampoline_kernelINS0_14default_configENS1_27scan_by_key_config_selectorIssEEZZNS1_16scan_by_key_implILNS1_25lookback_scan_determinismE0ELb0ES3_N6thrust23THRUST_200600_302600_NS6detail15normal_iteratorINS9_10device_ptrIsEEEESE_SE_sNS9_4plusIvEENS9_8equal_toIsEEsEE10hipError_tPvRmT2_T3_T4_T5_mT6_T7_P12ihipStream_tbENKUlT_T0_E_clISt17integral_constantIbLb1EESY_IbLb0EEEEDaSU_SV_EUlSU_E_NS1_11comp_targetILNS1_3genE10ELNS1_11target_archE1200ELNS1_3gpuE4ELNS1_3repE0EEENS1_30default_config_static_selectorELNS0_4arch9wavefront6targetE0EEEvT1_.has_recursion, 0
	.set _ZN7rocprim17ROCPRIM_400000_NS6detail17trampoline_kernelINS0_14default_configENS1_27scan_by_key_config_selectorIssEEZZNS1_16scan_by_key_implILNS1_25lookback_scan_determinismE0ELb0ES3_N6thrust23THRUST_200600_302600_NS6detail15normal_iteratorINS9_10device_ptrIsEEEESE_SE_sNS9_4plusIvEENS9_8equal_toIsEEsEE10hipError_tPvRmT2_T3_T4_T5_mT6_T7_P12ihipStream_tbENKUlT_T0_E_clISt17integral_constantIbLb1EESY_IbLb0EEEEDaSU_SV_EUlSU_E_NS1_11comp_targetILNS1_3genE10ELNS1_11target_archE1200ELNS1_3gpuE4ELNS1_3repE0EEENS1_30default_config_static_selectorELNS0_4arch9wavefront6targetE0EEEvT1_.has_indirect_call, 0
	.section	.AMDGPU.csdata,"",@progbits
; Kernel info:
; codeLenInByte = 0
; TotalNumSgprs: 0
; NumVgprs: 0
; ScratchSize: 0
; MemoryBound: 0
; FloatMode: 240
; IeeeMode: 1
; LDSByteSize: 0 bytes/workgroup (compile time only)
; SGPRBlocks: 0
; VGPRBlocks: 0
; NumSGPRsForWavesPerEU: 1
; NumVGPRsForWavesPerEU: 1
; NamedBarCnt: 0
; Occupancy: 16
; WaveLimiterHint : 0
; COMPUTE_PGM_RSRC2:SCRATCH_EN: 0
; COMPUTE_PGM_RSRC2:USER_SGPR: 2
; COMPUTE_PGM_RSRC2:TRAP_HANDLER: 0
; COMPUTE_PGM_RSRC2:TGID_X_EN: 1
; COMPUTE_PGM_RSRC2:TGID_Y_EN: 0
; COMPUTE_PGM_RSRC2:TGID_Z_EN: 0
; COMPUTE_PGM_RSRC2:TIDIG_COMP_CNT: 0
	.section	.text._ZN7rocprim17ROCPRIM_400000_NS6detail17trampoline_kernelINS0_14default_configENS1_27scan_by_key_config_selectorIssEEZZNS1_16scan_by_key_implILNS1_25lookback_scan_determinismE0ELb0ES3_N6thrust23THRUST_200600_302600_NS6detail15normal_iteratorINS9_10device_ptrIsEEEESE_SE_sNS9_4plusIvEENS9_8equal_toIsEEsEE10hipError_tPvRmT2_T3_T4_T5_mT6_T7_P12ihipStream_tbENKUlT_T0_E_clISt17integral_constantIbLb1EESY_IbLb0EEEEDaSU_SV_EUlSU_E_NS1_11comp_targetILNS1_3genE9ELNS1_11target_archE1100ELNS1_3gpuE3ELNS1_3repE0EEENS1_30default_config_static_selectorELNS0_4arch9wavefront6targetE0EEEvT1_,"axG",@progbits,_ZN7rocprim17ROCPRIM_400000_NS6detail17trampoline_kernelINS0_14default_configENS1_27scan_by_key_config_selectorIssEEZZNS1_16scan_by_key_implILNS1_25lookback_scan_determinismE0ELb0ES3_N6thrust23THRUST_200600_302600_NS6detail15normal_iteratorINS9_10device_ptrIsEEEESE_SE_sNS9_4plusIvEENS9_8equal_toIsEEsEE10hipError_tPvRmT2_T3_T4_T5_mT6_T7_P12ihipStream_tbENKUlT_T0_E_clISt17integral_constantIbLb1EESY_IbLb0EEEEDaSU_SV_EUlSU_E_NS1_11comp_targetILNS1_3genE9ELNS1_11target_archE1100ELNS1_3gpuE3ELNS1_3repE0EEENS1_30default_config_static_selectorELNS0_4arch9wavefront6targetE0EEEvT1_,comdat
	.protected	_ZN7rocprim17ROCPRIM_400000_NS6detail17trampoline_kernelINS0_14default_configENS1_27scan_by_key_config_selectorIssEEZZNS1_16scan_by_key_implILNS1_25lookback_scan_determinismE0ELb0ES3_N6thrust23THRUST_200600_302600_NS6detail15normal_iteratorINS9_10device_ptrIsEEEESE_SE_sNS9_4plusIvEENS9_8equal_toIsEEsEE10hipError_tPvRmT2_T3_T4_T5_mT6_T7_P12ihipStream_tbENKUlT_T0_E_clISt17integral_constantIbLb1EESY_IbLb0EEEEDaSU_SV_EUlSU_E_NS1_11comp_targetILNS1_3genE9ELNS1_11target_archE1100ELNS1_3gpuE3ELNS1_3repE0EEENS1_30default_config_static_selectorELNS0_4arch9wavefront6targetE0EEEvT1_ ; -- Begin function _ZN7rocprim17ROCPRIM_400000_NS6detail17trampoline_kernelINS0_14default_configENS1_27scan_by_key_config_selectorIssEEZZNS1_16scan_by_key_implILNS1_25lookback_scan_determinismE0ELb0ES3_N6thrust23THRUST_200600_302600_NS6detail15normal_iteratorINS9_10device_ptrIsEEEESE_SE_sNS9_4plusIvEENS9_8equal_toIsEEsEE10hipError_tPvRmT2_T3_T4_T5_mT6_T7_P12ihipStream_tbENKUlT_T0_E_clISt17integral_constantIbLb1EESY_IbLb0EEEEDaSU_SV_EUlSU_E_NS1_11comp_targetILNS1_3genE9ELNS1_11target_archE1100ELNS1_3gpuE3ELNS1_3repE0EEENS1_30default_config_static_selectorELNS0_4arch9wavefront6targetE0EEEvT1_
	.globl	_ZN7rocprim17ROCPRIM_400000_NS6detail17trampoline_kernelINS0_14default_configENS1_27scan_by_key_config_selectorIssEEZZNS1_16scan_by_key_implILNS1_25lookback_scan_determinismE0ELb0ES3_N6thrust23THRUST_200600_302600_NS6detail15normal_iteratorINS9_10device_ptrIsEEEESE_SE_sNS9_4plusIvEENS9_8equal_toIsEEsEE10hipError_tPvRmT2_T3_T4_T5_mT6_T7_P12ihipStream_tbENKUlT_T0_E_clISt17integral_constantIbLb1EESY_IbLb0EEEEDaSU_SV_EUlSU_E_NS1_11comp_targetILNS1_3genE9ELNS1_11target_archE1100ELNS1_3gpuE3ELNS1_3repE0EEENS1_30default_config_static_selectorELNS0_4arch9wavefront6targetE0EEEvT1_
	.p2align	8
	.type	_ZN7rocprim17ROCPRIM_400000_NS6detail17trampoline_kernelINS0_14default_configENS1_27scan_by_key_config_selectorIssEEZZNS1_16scan_by_key_implILNS1_25lookback_scan_determinismE0ELb0ES3_N6thrust23THRUST_200600_302600_NS6detail15normal_iteratorINS9_10device_ptrIsEEEESE_SE_sNS9_4plusIvEENS9_8equal_toIsEEsEE10hipError_tPvRmT2_T3_T4_T5_mT6_T7_P12ihipStream_tbENKUlT_T0_E_clISt17integral_constantIbLb1EESY_IbLb0EEEEDaSU_SV_EUlSU_E_NS1_11comp_targetILNS1_3genE9ELNS1_11target_archE1100ELNS1_3gpuE3ELNS1_3repE0EEENS1_30default_config_static_selectorELNS0_4arch9wavefront6targetE0EEEvT1_,@function
_ZN7rocprim17ROCPRIM_400000_NS6detail17trampoline_kernelINS0_14default_configENS1_27scan_by_key_config_selectorIssEEZZNS1_16scan_by_key_implILNS1_25lookback_scan_determinismE0ELb0ES3_N6thrust23THRUST_200600_302600_NS6detail15normal_iteratorINS9_10device_ptrIsEEEESE_SE_sNS9_4plusIvEENS9_8equal_toIsEEsEE10hipError_tPvRmT2_T3_T4_T5_mT6_T7_P12ihipStream_tbENKUlT_T0_E_clISt17integral_constantIbLb1EESY_IbLb0EEEEDaSU_SV_EUlSU_E_NS1_11comp_targetILNS1_3genE9ELNS1_11target_archE1100ELNS1_3gpuE3ELNS1_3repE0EEENS1_30default_config_static_selectorELNS0_4arch9wavefront6targetE0EEEvT1_: ; @_ZN7rocprim17ROCPRIM_400000_NS6detail17trampoline_kernelINS0_14default_configENS1_27scan_by_key_config_selectorIssEEZZNS1_16scan_by_key_implILNS1_25lookback_scan_determinismE0ELb0ES3_N6thrust23THRUST_200600_302600_NS6detail15normal_iteratorINS9_10device_ptrIsEEEESE_SE_sNS9_4plusIvEENS9_8equal_toIsEEsEE10hipError_tPvRmT2_T3_T4_T5_mT6_T7_P12ihipStream_tbENKUlT_T0_E_clISt17integral_constantIbLb1EESY_IbLb0EEEEDaSU_SV_EUlSU_E_NS1_11comp_targetILNS1_3genE9ELNS1_11target_archE1100ELNS1_3gpuE3ELNS1_3repE0EEENS1_30default_config_static_selectorELNS0_4arch9wavefront6targetE0EEEvT1_
; %bb.0:
	.section	.rodata,"a",@progbits
	.p2align	6, 0x0
	.amdhsa_kernel _ZN7rocprim17ROCPRIM_400000_NS6detail17trampoline_kernelINS0_14default_configENS1_27scan_by_key_config_selectorIssEEZZNS1_16scan_by_key_implILNS1_25lookback_scan_determinismE0ELb0ES3_N6thrust23THRUST_200600_302600_NS6detail15normal_iteratorINS9_10device_ptrIsEEEESE_SE_sNS9_4plusIvEENS9_8equal_toIsEEsEE10hipError_tPvRmT2_T3_T4_T5_mT6_T7_P12ihipStream_tbENKUlT_T0_E_clISt17integral_constantIbLb1EESY_IbLb0EEEEDaSU_SV_EUlSU_E_NS1_11comp_targetILNS1_3genE9ELNS1_11target_archE1100ELNS1_3gpuE3ELNS1_3repE0EEENS1_30default_config_static_selectorELNS0_4arch9wavefront6targetE0EEEvT1_
		.amdhsa_group_segment_fixed_size 0
		.amdhsa_private_segment_fixed_size 0
		.amdhsa_kernarg_size 112
		.amdhsa_user_sgpr_count 2
		.amdhsa_user_sgpr_dispatch_ptr 0
		.amdhsa_user_sgpr_queue_ptr 0
		.amdhsa_user_sgpr_kernarg_segment_ptr 1
		.amdhsa_user_sgpr_dispatch_id 0
		.amdhsa_user_sgpr_kernarg_preload_length 0
		.amdhsa_user_sgpr_kernarg_preload_offset 0
		.amdhsa_user_sgpr_private_segment_size 0
		.amdhsa_wavefront_size32 1
		.amdhsa_uses_dynamic_stack 0
		.amdhsa_enable_private_segment 0
		.amdhsa_system_sgpr_workgroup_id_x 1
		.amdhsa_system_sgpr_workgroup_id_y 0
		.amdhsa_system_sgpr_workgroup_id_z 0
		.amdhsa_system_sgpr_workgroup_info 0
		.amdhsa_system_vgpr_workitem_id 0
		.amdhsa_next_free_vgpr 1
		.amdhsa_next_free_sgpr 1
		.amdhsa_named_barrier_count 0
		.amdhsa_reserve_vcc 0
		.amdhsa_float_round_mode_32 0
		.amdhsa_float_round_mode_16_64 0
		.amdhsa_float_denorm_mode_32 3
		.amdhsa_float_denorm_mode_16_64 3
		.amdhsa_fp16_overflow 0
		.amdhsa_memory_ordered 1
		.amdhsa_forward_progress 1
		.amdhsa_inst_pref_size 0
		.amdhsa_round_robin_scheduling 0
		.amdhsa_exception_fp_ieee_invalid_op 0
		.amdhsa_exception_fp_denorm_src 0
		.amdhsa_exception_fp_ieee_div_zero 0
		.amdhsa_exception_fp_ieee_overflow 0
		.amdhsa_exception_fp_ieee_underflow 0
		.amdhsa_exception_fp_ieee_inexact 0
		.amdhsa_exception_int_div_zero 0
	.end_amdhsa_kernel
	.section	.text._ZN7rocprim17ROCPRIM_400000_NS6detail17trampoline_kernelINS0_14default_configENS1_27scan_by_key_config_selectorIssEEZZNS1_16scan_by_key_implILNS1_25lookback_scan_determinismE0ELb0ES3_N6thrust23THRUST_200600_302600_NS6detail15normal_iteratorINS9_10device_ptrIsEEEESE_SE_sNS9_4plusIvEENS9_8equal_toIsEEsEE10hipError_tPvRmT2_T3_T4_T5_mT6_T7_P12ihipStream_tbENKUlT_T0_E_clISt17integral_constantIbLb1EESY_IbLb0EEEEDaSU_SV_EUlSU_E_NS1_11comp_targetILNS1_3genE9ELNS1_11target_archE1100ELNS1_3gpuE3ELNS1_3repE0EEENS1_30default_config_static_selectorELNS0_4arch9wavefront6targetE0EEEvT1_,"axG",@progbits,_ZN7rocprim17ROCPRIM_400000_NS6detail17trampoline_kernelINS0_14default_configENS1_27scan_by_key_config_selectorIssEEZZNS1_16scan_by_key_implILNS1_25lookback_scan_determinismE0ELb0ES3_N6thrust23THRUST_200600_302600_NS6detail15normal_iteratorINS9_10device_ptrIsEEEESE_SE_sNS9_4plusIvEENS9_8equal_toIsEEsEE10hipError_tPvRmT2_T3_T4_T5_mT6_T7_P12ihipStream_tbENKUlT_T0_E_clISt17integral_constantIbLb1EESY_IbLb0EEEEDaSU_SV_EUlSU_E_NS1_11comp_targetILNS1_3genE9ELNS1_11target_archE1100ELNS1_3gpuE3ELNS1_3repE0EEENS1_30default_config_static_selectorELNS0_4arch9wavefront6targetE0EEEvT1_,comdat
.Lfunc_end342:
	.size	_ZN7rocprim17ROCPRIM_400000_NS6detail17trampoline_kernelINS0_14default_configENS1_27scan_by_key_config_selectorIssEEZZNS1_16scan_by_key_implILNS1_25lookback_scan_determinismE0ELb0ES3_N6thrust23THRUST_200600_302600_NS6detail15normal_iteratorINS9_10device_ptrIsEEEESE_SE_sNS9_4plusIvEENS9_8equal_toIsEEsEE10hipError_tPvRmT2_T3_T4_T5_mT6_T7_P12ihipStream_tbENKUlT_T0_E_clISt17integral_constantIbLb1EESY_IbLb0EEEEDaSU_SV_EUlSU_E_NS1_11comp_targetILNS1_3genE9ELNS1_11target_archE1100ELNS1_3gpuE3ELNS1_3repE0EEENS1_30default_config_static_selectorELNS0_4arch9wavefront6targetE0EEEvT1_, .Lfunc_end342-_ZN7rocprim17ROCPRIM_400000_NS6detail17trampoline_kernelINS0_14default_configENS1_27scan_by_key_config_selectorIssEEZZNS1_16scan_by_key_implILNS1_25lookback_scan_determinismE0ELb0ES3_N6thrust23THRUST_200600_302600_NS6detail15normal_iteratorINS9_10device_ptrIsEEEESE_SE_sNS9_4plusIvEENS9_8equal_toIsEEsEE10hipError_tPvRmT2_T3_T4_T5_mT6_T7_P12ihipStream_tbENKUlT_T0_E_clISt17integral_constantIbLb1EESY_IbLb0EEEEDaSU_SV_EUlSU_E_NS1_11comp_targetILNS1_3genE9ELNS1_11target_archE1100ELNS1_3gpuE3ELNS1_3repE0EEENS1_30default_config_static_selectorELNS0_4arch9wavefront6targetE0EEEvT1_
                                        ; -- End function
	.set _ZN7rocprim17ROCPRIM_400000_NS6detail17trampoline_kernelINS0_14default_configENS1_27scan_by_key_config_selectorIssEEZZNS1_16scan_by_key_implILNS1_25lookback_scan_determinismE0ELb0ES3_N6thrust23THRUST_200600_302600_NS6detail15normal_iteratorINS9_10device_ptrIsEEEESE_SE_sNS9_4plusIvEENS9_8equal_toIsEEsEE10hipError_tPvRmT2_T3_T4_T5_mT6_T7_P12ihipStream_tbENKUlT_T0_E_clISt17integral_constantIbLb1EESY_IbLb0EEEEDaSU_SV_EUlSU_E_NS1_11comp_targetILNS1_3genE9ELNS1_11target_archE1100ELNS1_3gpuE3ELNS1_3repE0EEENS1_30default_config_static_selectorELNS0_4arch9wavefront6targetE0EEEvT1_.num_vgpr, 0
	.set _ZN7rocprim17ROCPRIM_400000_NS6detail17trampoline_kernelINS0_14default_configENS1_27scan_by_key_config_selectorIssEEZZNS1_16scan_by_key_implILNS1_25lookback_scan_determinismE0ELb0ES3_N6thrust23THRUST_200600_302600_NS6detail15normal_iteratorINS9_10device_ptrIsEEEESE_SE_sNS9_4plusIvEENS9_8equal_toIsEEsEE10hipError_tPvRmT2_T3_T4_T5_mT6_T7_P12ihipStream_tbENKUlT_T0_E_clISt17integral_constantIbLb1EESY_IbLb0EEEEDaSU_SV_EUlSU_E_NS1_11comp_targetILNS1_3genE9ELNS1_11target_archE1100ELNS1_3gpuE3ELNS1_3repE0EEENS1_30default_config_static_selectorELNS0_4arch9wavefront6targetE0EEEvT1_.num_agpr, 0
	.set _ZN7rocprim17ROCPRIM_400000_NS6detail17trampoline_kernelINS0_14default_configENS1_27scan_by_key_config_selectorIssEEZZNS1_16scan_by_key_implILNS1_25lookback_scan_determinismE0ELb0ES3_N6thrust23THRUST_200600_302600_NS6detail15normal_iteratorINS9_10device_ptrIsEEEESE_SE_sNS9_4plusIvEENS9_8equal_toIsEEsEE10hipError_tPvRmT2_T3_T4_T5_mT6_T7_P12ihipStream_tbENKUlT_T0_E_clISt17integral_constantIbLb1EESY_IbLb0EEEEDaSU_SV_EUlSU_E_NS1_11comp_targetILNS1_3genE9ELNS1_11target_archE1100ELNS1_3gpuE3ELNS1_3repE0EEENS1_30default_config_static_selectorELNS0_4arch9wavefront6targetE0EEEvT1_.numbered_sgpr, 0
	.set _ZN7rocprim17ROCPRIM_400000_NS6detail17trampoline_kernelINS0_14default_configENS1_27scan_by_key_config_selectorIssEEZZNS1_16scan_by_key_implILNS1_25lookback_scan_determinismE0ELb0ES3_N6thrust23THRUST_200600_302600_NS6detail15normal_iteratorINS9_10device_ptrIsEEEESE_SE_sNS9_4plusIvEENS9_8equal_toIsEEsEE10hipError_tPvRmT2_T3_T4_T5_mT6_T7_P12ihipStream_tbENKUlT_T0_E_clISt17integral_constantIbLb1EESY_IbLb0EEEEDaSU_SV_EUlSU_E_NS1_11comp_targetILNS1_3genE9ELNS1_11target_archE1100ELNS1_3gpuE3ELNS1_3repE0EEENS1_30default_config_static_selectorELNS0_4arch9wavefront6targetE0EEEvT1_.num_named_barrier, 0
	.set _ZN7rocprim17ROCPRIM_400000_NS6detail17trampoline_kernelINS0_14default_configENS1_27scan_by_key_config_selectorIssEEZZNS1_16scan_by_key_implILNS1_25lookback_scan_determinismE0ELb0ES3_N6thrust23THRUST_200600_302600_NS6detail15normal_iteratorINS9_10device_ptrIsEEEESE_SE_sNS9_4plusIvEENS9_8equal_toIsEEsEE10hipError_tPvRmT2_T3_T4_T5_mT6_T7_P12ihipStream_tbENKUlT_T0_E_clISt17integral_constantIbLb1EESY_IbLb0EEEEDaSU_SV_EUlSU_E_NS1_11comp_targetILNS1_3genE9ELNS1_11target_archE1100ELNS1_3gpuE3ELNS1_3repE0EEENS1_30default_config_static_selectorELNS0_4arch9wavefront6targetE0EEEvT1_.private_seg_size, 0
	.set _ZN7rocprim17ROCPRIM_400000_NS6detail17trampoline_kernelINS0_14default_configENS1_27scan_by_key_config_selectorIssEEZZNS1_16scan_by_key_implILNS1_25lookback_scan_determinismE0ELb0ES3_N6thrust23THRUST_200600_302600_NS6detail15normal_iteratorINS9_10device_ptrIsEEEESE_SE_sNS9_4plusIvEENS9_8equal_toIsEEsEE10hipError_tPvRmT2_T3_T4_T5_mT6_T7_P12ihipStream_tbENKUlT_T0_E_clISt17integral_constantIbLb1EESY_IbLb0EEEEDaSU_SV_EUlSU_E_NS1_11comp_targetILNS1_3genE9ELNS1_11target_archE1100ELNS1_3gpuE3ELNS1_3repE0EEENS1_30default_config_static_selectorELNS0_4arch9wavefront6targetE0EEEvT1_.uses_vcc, 0
	.set _ZN7rocprim17ROCPRIM_400000_NS6detail17trampoline_kernelINS0_14default_configENS1_27scan_by_key_config_selectorIssEEZZNS1_16scan_by_key_implILNS1_25lookback_scan_determinismE0ELb0ES3_N6thrust23THRUST_200600_302600_NS6detail15normal_iteratorINS9_10device_ptrIsEEEESE_SE_sNS9_4plusIvEENS9_8equal_toIsEEsEE10hipError_tPvRmT2_T3_T4_T5_mT6_T7_P12ihipStream_tbENKUlT_T0_E_clISt17integral_constantIbLb1EESY_IbLb0EEEEDaSU_SV_EUlSU_E_NS1_11comp_targetILNS1_3genE9ELNS1_11target_archE1100ELNS1_3gpuE3ELNS1_3repE0EEENS1_30default_config_static_selectorELNS0_4arch9wavefront6targetE0EEEvT1_.uses_flat_scratch, 0
	.set _ZN7rocprim17ROCPRIM_400000_NS6detail17trampoline_kernelINS0_14default_configENS1_27scan_by_key_config_selectorIssEEZZNS1_16scan_by_key_implILNS1_25lookback_scan_determinismE0ELb0ES3_N6thrust23THRUST_200600_302600_NS6detail15normal_iteratorINS9_10device_ptrIsEEEESE_SE_sNS9_4plusIvEENS9_8equal_toIsEEsEE10hipError_tPvRmT2_T3_T4_T5_mT6_T7_P12ihipStream_tbENKUlT_T0_E_clISt17integral_constantIbLb1EESY_IbLb0EEEEDaSU_SV_EUlSU_E_NS1_11comp_targetILNS1_3genE9ELNS1_11target_archE1100ELNS1_3gpuE3ELNS1_3repE0EEENS1_30default_config_static_selectorELNS0_4arch9wavefront6targetE0EEEvT1_.has_dyn_sized_stack, 0
	.set _ZN7rocprim17ROCPRIM_400000_NS6detail17trampoline_kernelINS0_14default_configENS1_27scan_by_key_config_selectorIssEEZZNS1_16scan_by_key_implILNS1_25lookback_scan_determinismE0ELb0ES3_N6thrust23THRUST_200600_302600_NS6detail15normal_iteratorINS9_10device_ptrIsEEEESE_SE_sNS9_4plusIvEENS9_8equal_toIsEEsEE10hipError_tPvRmT2_T3_T4_T5_mT6_T7_P12ihipStream_tbENKUlT_T0_E_clISt17integral_constantIbLb1EESY_IbLb0EEEEDaSU_SV_EUlSU_E_NS1_11comp_targetILNS1_3genE9ELNS1_11target_archE1100ELNS1_3gpuE3ELNS1_3repE0EEENS1_30default_config_static_selectorELNS0_4arch9wavefront6targetE0EEEvT1_.has_recursion, 0
	.set _ZN7rocprim17ROCPRIM_400000_NS6detail17trampoline_kernelINS0_14default_configENS1_27scan_by_key_config_selectorIssEEZZNS1_16scan_by_key_implILNS1_25lookback_scan_determinismE0ELb0ES3_N6thrust23THRUST_200600_302600_NS6detail15normal_iteratorINS9_10device_ptrIsEEEESE_SE_sNS9_4plusIvEENS9_8equal_toIsEEsEE10hipError_tPvRmT2_T3_T4_T5_mT6_T7_P12ihipStream_tbENKUlT_T0_E_clISt17integral_constantIbLb1EESY_IbLb0EEEEDaSU_SV_EUlSU_E_NS1_11comp_targetILNS1_3genE9ELNS1_11target_archE1100ELNS1_3gpuE3ELNS1_3repE0EEENS1_30default_config_static_selectorELNS0_4arch9wavefront6targetE0EEEvT1_.has_indirect_call, 0
	.section	.AMDGPU.csdata,"",@progbits
; Kernel info:
; codeLenInByte = 0
; TotalNumSgprs: 0
; NumVgprs: 0
; ScratchSize: 0
; MemoryBound: 0
; FloatMode: 240
; IeeeMode: 1
; LDSByteSize: 0 bytes/workgroup (compile time only)
; SGPRBlocks: 0
; VGPRBlocks: 0
; NumSGPRsForWavesPerEU: 1
; NumVGPRsForWavesPerEU: 1
; NamedBarCnt: 0
; Occupancy: 16
; WaveLimiterHint : 0
; COMPUTE_PGM_RSRC2:SCRATCH_EN: 0
; COMPUTE_PGM_RSRC2:USER_SGPR: 2
; COMPUTE_PGM_RSRC2:TRAP_HANDLER: 0
; COMPUTE_PGM_RSRC2:TGID_X_EN: 1
; COMPUTE_PGM_RSRC2:TGID_Y_EN: 0
; COMPUTE_PGM_RSRC2:TGID_Z_EN: 0
; COMPUTE_PGM_RSRC2:TIDIG_COMP_CNT: 0
	.section	.text._ZN7rocprim17ROCPRIM_400000_NS6detail17trampoline_kernelINS0_14default_configENS1_27scan_by_key_config_selectorIssEEZZNS1_16scan_by_key_implILNS1_25lookback_scan_determinismE0ELb0ES3_N6thrust23THRUST_200600_302600_NS6detail15normal_iteratorINS9_10device_ptrIsEEEESE_SE_sNS9_4plusIvEENS9_8equal_toIsEEsEE10hipError_tPvRmT2_T3_T4_T5_mT6_T7_P12ihipStream_tbENKUlT_T0_E_clISt17integral_constantIbLb1EESY_IbLb0EEEEDaSU_SV_EUlSU_E_NS1_11comp_targetILNS1_3genE8ELNS1_11target_archE1030ELNS1_3gpuE2ELNS1_3repE0EEENS1_30default_config_static_selectorELNS0_4arch9wavefront6targetE0EEEvT1_,"axG",@progbits,_ZN7rocprim17ROCPRIM_400000_NS6detail17trampoline_kernelINS0_14default_configENS1_27scan_by_key_config_selectorIssEEZZNS1_16scan_by_key_implILNS1_25lookback_scan_determinismE0ELb0ES3_N6thrust23THRUST_200600_302600_NS6detail15normal_iteratorINS9_10device_ptrIsEEEESE_SE_sNS9_4plusIvEENS9_8equal_toIsEEsEE10hipError_tPvRmT2_T3_T4_T5_mT6_T7_P12ihipStream_tbENKUlT_T0_E_clISt17integral_constantIbLb1EESY_IbLb0EEEEDaSU_SV_EUlSU_E_NS1_11comp_targetILNS1_3genE8ELNS1_11target_archE1030ELNS1_3gpuE2ELNS1_3repE0EEENS1_30default_config_static_selectorELNS0_4arch9wavefront6targetE0EEEvT1_,comdat
	.protected	_ZN7rocprim17ROCPRIM_400000_NS6detail17trampoline_kernelINS0_14default_configENS1_27scan_by_key_config_selectorIssEEZZNS1_16scan_by_key_implILNS1_25lookback_scan_determinismE0ELb0ES3_N6thrust23THRUST_200600_302600_NS6detail15normal_iteratorINS9_10device_ptrIsEEEESE_SE_sNS9_4plusIvEENS9_8equal_toIsEEsEE10hipError_tPvRmT2_T3_T4_T5_mT6_T7_P12ihipStream_tbENKUlT_T0_E_clISt17integral_constantIbLb1EESY_IbLb0EEEEDaSU_SV_EUlSU_E_NS1_11comp_targetILNS1_3genE8ELNS1_11target_archE1030ELNS1_3gpuE2ELNS1_3repE0EEENS1_30default_config_static_selectorELNS0_4arch9wavefront6targetE0EEEvT1_ ; -- Begin function _ZN7rocprim17ROCPRIM_400000_NS6detail17trampoline_kernelINS0_14default_configENS1_27scan_by_key_config_selectorIssEEZZNS1_16scan_by_key_implILNS1_25lookback_scan_determinismE0ELb0ES3_N6thrust23THRUST_200600_302600_NS6detail15normal_iteratorINS9_10device_ptrIsEEEESE_SE_sNS9_4plusIvEENS9_8equal_toIsEEsEE10hipError_tPvRmT2_T3_T4_T5_mT6_T7_P12ihipStream_tbENKUlT_T0_E_clISt17integral_constantIbLb1EESY_IbLb0EEEEDaSU_SV_EUlSU_E_NS1_11comp_targetILNS1_3genE8ELNS1_11target_archE1030ELNS1_3gpuE2ELNS1_3repE0EEENS1_30default_config_static_selectorELNS0_4arch9wavefront6targetE0EEEvT1_
	.globl	_ZN7rocprim17ROCPRIM_400000_NS6detail17trampoline_kernelINS0_14default_configENS1_27scan_by_key_config_selectorIssEEZZNS1_16scan_by_key_implILNS1_25lookback_scan_determinismE0ELb0ES3_N6thrust23THRUST_200600_302600_NS6detail15normal_iteratorINS9_10device_ptrIsEEEESE_SE_sNS9_4plusIvEENS9_8equal_toIsEEsEE10hipError_tPvRmT2_T3_T4_T5_mT6_T7_P12ihipStream_tbENKUlT_T0_E_clISt17integral_constantIbLb1EESY_IbLb0EEEEDaSU_SV_EUlSU_E_NS1_11comp_targetILNS1_3genE8ELNS1_11target_archE1030ELNS1_3gpuE2ELNS1_3repE0EEENS1_30default_config_static_selectorELNS0_4arch9wavefront6targetE0EEEvT1_
	.p2align	8
	.type	_ZN7rocprim17ROCPRIM_400000_NS6detail17trampoline_kernelINS0_14default_configENS1_27scan_by_key_config_selectorIssEEZZNS1_16scan_by_key_implILNS1_25lookback_scan_determinismE0ELb0ES3_N6thrust23THRUST_200600_302600_NS6detail15normal_iteratorINS9_10device_ptrIsEEEESE_SE_sNS9_4plusIvEENS9_8equal_toIsEEsEE10hipError_tPvRmT2_T3_T4_T5_mT6_T7_P12ihipStream_tbENKUlT_T0_E_clISt17integral_constantIbLb1EESY_IbLb0EEEEDaSU_SV_EUlSU_E_NS1_11comp_targetILNS1_3genE8ELNS1_11target_archE1030ELNS1_3gpuE2ELNS1_3repE0EEENS1_30default_config_static_selectorELNS0_4arch9wavefront6targetE0EEEvT1_,@function
_ZN7rocprim17ROCPRIM_400000_NS6detail17trampoline_kernelINS0_14default_configENS1_27scan_by_key_config_selectorIssEEZZNS1_16scan_by_key_implILNS1_25lookback_scan_determinismE0ELb0ES3_N6thrust23THRUST_200600_302600_NS6detail15normal_iteratorINS9_10device_ptrIsEEEESE_SE_sNS9_4plusIvEENS9_8equal_toIsEEsEE10hipError_tPvRmT2_T3_T4_T5_mT6_T7_P12ihipStream_tbENKUlT_T0_E_clISt17integral_constantIbLb1EESY_IbLb0EEEEDaSU_SV_EUlSU_E_NS1_11comp_targetILNS1_3genE8ELNS1_11target_archE1030ELNS1_3gpuE2ELNS1_3repE0EEENS1_30default_config_static_selectorELNS0_4arch9wavefront6targetE0EEEvT1_: ; @_ZN7rocprim17ROCPRIM_400000_NS6detail17trampoline_kernelINS0_14default_configENS1_27scan_by_key_config_selectorIssEEZZNS1_16scan_by_key_implILNS1_25lookback_scan_determinismE0ELb0ES3_N6thrust23THRUST_200600_302600_NS6detail15normal_iteratorINS9_10device_ptrIsEEEESE_SE_sNS9_4plusIvEENS9_8equal_toIsEEsEE10hipError_tPvRmT2_T3_T4_T5_mT6_T7_P12ihipStream_tbENKUlT_T0_E_clISt17integral_constantIbLb1EESY_IbLb0EEEEDaSU_SV_EUlSU_E_NS1_11comp_targetILNS1_3genE8ELNS1_11target_archE1030ELNS1_3gpuE2ELNS1_3repE0EEENS1_30default_config_static_selectorELNS0_4arch9wavefront6targetE0EEEvT1_
; %bb.0:
	.section	.rodata,"a",@progbits
	.p2align	6, 0x0
	.amdhsa_kernel _ZN7rocprim17ROCPRIM_400000_NS6detail17trampoline_kernelINS0_14default_configENS1_27scan_by_key_config_selectorIssEEZZNS1_16scan_by_key_implILNS1_25lookback_scan_determinismE0ELb0ES3_N6thrust23THRUST_200600_302600_NS6detail15normal_iteratorINS9_10device_ptrIsEEEESE_SE_sNS9_4plusIvEENS9_8equal_toIsEEsEE10hipError_tPvRmT2_T3_T4_T5_mT6_T7_P12ihipStream_tbENKUlT_T0_E_clISt17integral_constantIbLb1EESY_IbLb0EEEEDaSU_SV_EUlSU_E_NS1_11comp_targetILNS1_3genE8ELNS1_11target_archE1030ELNS1_3gpuE2ELNS1_3repE0EEENS1_30default_config_static_selectorELNS0_4arch9wavefront6targetE0EEEvT1_
		.amdhsa_group_segment_fixed_size 0
		.amdhsa_private_segment_fixed_size 0
		.amdhsa_kernarg_size 112
		.amdhsa_user_sgpr_count 2
		.amdhsa_user_sgpr_dispatch_ptr 0
		.amdhsa_user_sgpr_queue_ptr 0
		.amdhsa_user_sgpr_kernarg_segment_ptr 1
		.amdhsa_user_sgpr_dispatch_id 0
		.amdhsa_user_sgpr_kernarg_preload_length 0
		.amdhsa_user_sgpr_kernarg_preload_offset 0
		.amdhsa_user_sgpr_private_segment_size 0
		.amdhsa_wavefront_size32 1
		.amdhsa_uses_dynamic_stack 0
		.amdhsa_enable_private_segment 0
		.amdhsa_system_sgpr_workgroup_id_x 1
		.amdhsa_system_sgpr_workgroup_id_y 0
		.amdhsa_system_sgpr_workgroup_id_z 0
		.amdhsa_system_sgpr_workgroup_info 0
		.amdhsa_system_vgpr_workitem_id 0
		.amdhsa_next_free_vgpr 1
		.amdhsa_next_free_sgpr 1
		.amdhsa_named_barrier_count 0
		.amdhsa_reserve_vcc 0
		.amdhsa_float_round_mode_32 0
		.amdhsa_float_round_mode_16_64 0
		.amdhsa_float_denorm_mode_32 3
		.amdhsa_float_denorm_mode_16_64 3
		.amdhsa_fp16_overflow 0
		.amdhsa_memory_ordered 1
		.amdhsa_forward_progress 1
		.amdhsa_inst_pref_size 0
		.amdhsa_round_robin_scheduling 0
		.amdhsa_exception_fp_ieee_invalid_op 0
		.amdhsa_exception_fp_denorm_src 0
		.amdhsa_exception_fp_ieee_div_zero 0
		.amdhsa_exception_fp_ieee_overflow 0
		.amdhsa_exception_fp_ieee_underflow 0
		.amdhsa_exception_fp_ieee_inexact 0
		.amdhsa_exception_int_div_zero 0
	.end_amdhsa_kernel
	.section	.text._ZN7rocprim17ROCPRIM_400000_NS6detail17trampoline_kernelINS0_14default_configENS1_27scan_by_key_config_selectorIssEEZZNS1_16scan_by_key_implILNS1_25lookback_scan_determinismE0ELb0ES3_N6thrust23THRUST_200600_302600_NS6detail15normal_iteratorINS9_10device_ptrIsEEEESE_SE_sNS9_4plusIvEENS9_8equal_toIsEEsEE10hipError_tPvRmT2_T3_T4_T5_mT6_T7_P12ihipStream_tbENKUlT_T0_E_clISt17integral_constantIbLb1EESY_IbLb0EEEEDaSU_SV_EUlSU_E_NS1_11comp_targetILNS1_3genE8ELNS1_11target_archE1030ELNS1_3gpuE2ELNS1_3repE0EEENS1_30default_config_static_selectorELNS0_4arch9wavefront6targetE0EEEvT1_,"axG",@progbits,_ZN7rocprim17ROCPRIM_400000_NS6detail17trampoline_kernelINS0_14default_configENS1_27scan_by_key_config_selectorIssEEZZNS1_16scan_by_key_implILNS1_25lookback_scan_determinismE0ELb0ES3_N6thrust23THRUST_200600_302600_NS6detail15normal_iteratorINS9_10device_ptrIsEEEESE_SE_sNS9_4plusIvEENS9_8equal_toIsEEsEE10hipError_tPvRmT2_T3_T4_T5_mT6_T7_P12ihipStream_tbENKUlT_T0_E_clISt17integral_constantIbLb1EESY_IbLb0EEEEDaSU_SV_EUlSU_E_NS1_11comp_targetILNS1_3genE8ELNS1_11target_archE1030ELNS1_3gpuE2ELNS1_3repE0EEENS1_30default_config_static_selectorELNS0_4arch9wavefront6targetE0EEEvT1_,comdat
.Lfunc_end343:
	.size	_ZN7rocprim17ROCPRIM_400000_NS6detail17trampoline_kernelINS0_14default_configENS1_27scan_by_key_config_selectorIssEEZZNS1_16scan_by_key_implILNS1_25lookback_scan_determinismE0ELb0ES3_N6thrust23THRUST_200600_302600_NS6detail15normal_iteratorINS9_10device_ptrIsEEEESE_SE_sNS9_4plusIvEENS9_8equal_toIsEEsEE10hipError_tPvRmT2_T3_T4_T5_mT6_T7_P12ihipStream_tbENKUlT_T0_E_clISt17integral_constantIbLb1EESY_IbLb0EEEEDaSU_SV_EUlSU_E_NS1_11comp_targetILNS1_3genE8ELNS1_11target_archE1030ELNS1_3gpuE2ELNS1_3repE0EEENS1_30default_config_static_selectorELNS0_4arch9wavefront6targetE0EEEvT1_, .Lfunc_end343-_ZN7rocprim17ROCPRIM_400000_NS6detail17trampoline_kernelINS0_14default_configENS1_27scan_by_key_config_selectorIssEEZZNS1_16scan_by_key_implILNS1_25lookback_scan_determinismE0ELb0ES3_N6thrust23THRUST_200600_302600_NS6detail15normal_iteratorINS9_10device_ptrIsEEEESE_SE_sNS9_4plusIvEENS9_8equal_toIsEEsEE10hipError_tPvRmT2_T3_T4_T5_mT6_T7_P12ihipStream_tbENKUlT_T0_E_clISt17integral_constantIbLb1EESY_IbLb0EEEEDaSU_SV_EUlSU_E_NS1_11comp_targetILNS1_3genE8ELNS1_11target_archE1030ELNS1_3gpuE2ELNS1_3repE0EEENS1_30default_config_static_selectorELNS0_4arch9wavefront6targetE0EEEvT1_
                                        ; -- End function
	.set _ZN7rocprim17ROCPRIM_400000_NS6detail17trampoline_kernelINS0_14default_configENS1_27scan_by_key_config_selectorIssEEZZNS1_16scan_by_key_implILNS1_25lookback_scan_determinismE0ELb0ES3_N6thrust23THRUST_200600_302600_NS6detail15normal_iteratorINS9_10device_ptrIsEEEESE_SE_sNS9_4plusIvEENS9_8equal_toIsEEsEE10hipError_tPvRmT2_T3_T4_T5_mT6_T7_P12ihipStream_tbENKUlT_T0_E_clISt17integral_constantIbLb1EESY_IbLb0EEEEDaSU_SV_EUlSU_E_NS1_11comp_targetILNS1_3genE8ELNS1_11target_archE1030ELNS1_3gpuE2ELNS1_3repE0EEENS1_30default_config_static_selectorELNS0_4arch9wavefront6targetE0EEEvT1_.num_vgpr, 0
	.set _ZN7rocprim17ROCPRIM_400000_NS6detail17trampoline_kernelINS0_14default_configENS1_27scan_by_key_config_selectorIssEEZZNS1_16scan_by_key_implILNS1_25lookback_scan_determinismE0ELb0ES3_N6thrust23THRUST_200600_302600_NS6detail15normal_iteratorINS9_10device_ptrIsEEEESE_SE_sNS9_4plusIvEENS9_8equal_toIsEEsEE10hipError_tPvRmT2_T3_T4_T5_mT6_T7_P12ihipStream_tbENKUlT_T0_E_clISt17integral_constantIbLb1EESY_IbLb0EEEEDaSU_SV_EUlSU_E_NS1_11comp_targetILNS1_3genE8ELNS1_11target_archE1030ELNS1_3gpuE2ELNS1_3repE0EEENS1_30default_config_static_selectorELNS0_4arch9wavefront6targetE0EEEvT1_.num_agpr, 0
	.set _ZN7rocprim17ROCPRIM_400000_NS6detail17trampoline_kernelINS0_14default_configENS1_27scan_by_key_config_selectorIssEEZZNS1_16scan_by_key_implILNS1_25lookback_scan_determinismE0ELb0ES3_N6thrust23THRUST_200600_302600_NS6detail15normal_iteratorINS9_10device_ptrIsEEEESE_SE_sNS9_4plusIvEENS9_8equal_toIsEEsEE10hipError_tPvRmT2_T3_T4_T5_mT6_T7_P12ihipStream_tbENKUlT_T0_E_clISt17integral_constantIbLb1EESY_IbLb0EEEEDaSU_SV_EUlSU_E_NS1_11comp_targetILNS1_3genE8ELNS1_11target_archE1030ELNS1_3gpuE2ELNS1_3repE0EEENS1_30default_config_static_selectorELNS0_4arch9wavefront6targetE0EEEvT1_.numbered_sgpr, 0
	.set _ZN7rocprim17ROCPRIM_400000_NS6detail17trampoline_kernelINS0_14default_configENS1_27scan_by_key_config_selectorIssEEZZNS1_16scan_by_key_implILNS1_25lookback_scan_determinismE0ELb0ES3_N6thrust23THRUST_200600_302600_NS6detail15normal_iteratorINS9_10device_ptrIsEEEESE_SE_sNS9_4plusIvEENS9_8equal_toIsEEsEE10hipError_tPvRmT2_T3_T4_T5_mT6_T7_P12ihipStream_tbENKUlT_T0_E_clISt17integral_constantIbLb1EESY_IbLb0EEEEDaSU_SV_EUlSU_E_NS1_11comp_targetILNS1_3genE8ELNS1_11target_archE1030ELNS1_3gpuE2ELNS1_3repE0EEENS1_30default_config_static_selectorELNS0_4arch9wavefront6targetE0EEEvT1_.num_named_barrier, 0
	.set _ZN7rocprim17ROCPRIM_400000_NS6detail17trampoline_kernelINS0_14default_configENS1_27scan_by_key_config_selectorIssEEZZNS1_16scan_by_key_implILNS1_25lookback_scan_determinismE0ELb0ES3_N6thrust23THRUST_200600_302600_NS6detail15normal_iteratorINS9_10device_ptrIsEEEESE_SE_sNS9_4plusIvEENS9_8equal_toIsEEsEE10hipError_tPvRmT2_T3_T4_T5_mT6_T7_P12ihipStream_tbENKUlT_T0_E_clISt17integral_constantIbLb1EESY_IbLb0EEEEDaSU_SV_EUlSU_E_NS1_11comp_targetILNS1_3genE8ELNS1_11target_archE1030ELNS1_3gpuE2ELNS1_3repE0EEENS1_30default_config_static_selectorELNS0_4arch9wavefront6targetE0EEEvT1_.private_seg_size, 0
	.set _ZN7rocprim17ROCPRIM_400000_NS6detail17trampoline_kernelINS0_14default_configENS1_27scan_by_key_config_selectorIssEEZZNS1_16scan_by_key_implILNS1_25lookback_scan_determinismE0ELb0ES3_N6thrust23THRUST_200600_302600_NS6detail15normal_iteratorINS9_10device_ptrIsEEEESE_SE_sNS9_4plusIvEENS9_8equal_toIsEEsEE10hipError_tPvRmT2_T3_T4_T5_mT6_T7_P12ihipStream_tbENKUlT_T0_E_clISt17integral_constantIbLb1EESY_IbLb0EEEEDaSU_SV_EUlSU_E_NS1_11comp_targetILNS1_3genE8ELNS1_11target_archE1030ELNS1_3gpuE2ELNS1_3repE0EEENS1_30default_config_static_selectorELNS0_4arch9wavefront6targetE0EEEvT1_.uses_vcc, 0
	.set _ZN7rocprim17ROCPRIM_400000_NS6detail17trampoline_kernelINS0_14default_configENS1_27scan_by_key_config_selectorIssEEZZNS1_16scan_by_key_implILNS1_25lookback_scan_determinismE0ELb0ES3_N6thrust23THRUST_200600_302600_NS6detail15normal_iteratorINS9_10device_ptrIsEEEESE_SE_sNS9_4plusIvEENS9_8equal_toIsEEsEE10hipError_tPvRmT2_T3_T4_T5_mT6_T7_P12ihipStream_tbENKUlT_T0_E_clISt17integral_constantIbLb1EESY_IbLb0EEEEDaSU_SV_EUlSU_E_NS1_11comp_targetILNS1_3genE8ELNS1_11target_archE1030ELNS1_3gpuE2ELNS1_3repE0EEENS1_30default_config_static_selectorELNS0_4arch9wavefront6targetE0EEEvT1_.uses_flat_scratch, 0
	.set _ZN7rocprim17ROCPRIM_400000_NS6detail17trampoline_kernelINS0_14default_configENS1_27scan_by_key_config_selectorIssEEZZNS1_16scan_by_key_implILNS1_25lookback_scan_determinismE0ELb0ES3_N6thrust23THRUST_200600_302600_NS6detail15normal_iteratorINS9_10device_ptrIsEEEESE_SE_sNS9_4plusIvEENS9_8equal_toIsEEsEE10hipError_tPvRmT2_T3_T4_T5_mT6_T7_P12ihipStream_tbENKUlT_T0_E_clISt17integral_constantIbLb1EESY_IbLb0EEEEDaSU_SV_EUlSU_E_NS1_11comp_targetILNS1_3genE8ELNS1_11target_archE1030ELNS1_3gpuE2ELNS1_3repE0EEENS1_30default_config_static_selectorELNS0_4arch9wavefront6targetE0EEEvT1_.has_dyn_sized_stack, 0
	.set _ZN7rocprim17ROCPRIM_400000_NS6detail17trampoline_kernelINS0_14default_configENS1_27scan_by_key_config_selectorIssEEZZNS1_16scan_by_key_implILNS1_25lookback_scan_determinismE0ELb0ES3_N6thrust23THRUST_200600_302600_NS6detail15normal_iteratorINS9_10device_ptrIsEEEESE_SE_sNS9_4plusIvEENS9_8equal_toIsEEsEE10hipError_tPvRmT2_T3_T4_T5_mT6_T7_P12ihipStream_tbENKUlT_T0_E_clISt17integral_constantIbLb1EESY_IbLb0EEEEDaSU_SV_EUlSU_E_NS1_11comp_targetILNS1_3genE8ELNS1_11target_archE1030ELNS1_3gpuE2ELNS1_3repE0EEENS1_30default_config_static_selectorELNS0_4arch9wavefront6targetE0EEEvT1_.has_recursion, 0
	.set _ZN7rocprim17ROCPRIM_400000_NS6detail17trampoline_kernelINS0_14default_configENS1_27scan_by_key_config_selectorIssEEZZNS1_16scan_by_key_implILNS1_25lookback_scan_determinismE0ELb0ES3_N6thrust23THRUST_200600_302600_NS6detail15normal_iteratorINS9_10device_ptrIsEEEESE_SE_sNS9_4plusIvEENS9_8equal_toIsEEsEE10hipError_tPvRmT2_T3_T4_T5_mT6_T7_P12ihipStream_tbENKUlT_T0_E_clISt17integral_constantIbLb1EESY_IbLb0EEEEDaSU_SV_EUlSU_E_NS1_11comp_targetILNS1_3genE8ELNS1_11target_archE1030ELNS1_3gpuE2ELNS1_3repE0EEENS1_30default_config_static_selectorELNS0_4arch9wavefront6targetE0EEEvT1_.has_indirect_call, 0
	.section	.AMDGPU.csdata,"",@progbits
; Kernel info:
; codeLenInByte = 0
; TotalNumSgprs: 0
; NumVgprs: 0
; ScratchSize: 0
; MemoryBound: 0
; FloatMode: 240
; IeeeMode: 1
; LDSByteSize: 0 bytes/workgroup (compile time only)
; SGPRBlocks: 0
; VGPRBlocks: 0
; NumSGPRsForWavesPerEU: 1
; NumVGPRsForWavesPerEU: 1
; NamedBarCnt: 0
; Occupancy: 16
; WaveLimiterHint : 0
; COMPUTE_PGM_RSRC2:SCRATCH_EN: 0
; COMPUTE_PGM_RSRC2:USER_SGPR: 2
; COMPUTE_PGM_RSRC2:TRAP_HANDLER: 0
; COMPUTE_PGM_RSRC2:TGID_X_EN: 1
; COMPUTE_PGM_RSRC2:TGID_Y_EN: 0
; COMPUTE_PGM_RSRC2:TGID_Z_EN: 0
; COMPUTE_PGM_RSRC2:TIDIG_COMP_CNT: 0
	.section	.text._ZN7rocprim17ROCPRIM_400000_NS6detail17trampoline_kernelINS0_14default_configENS1_27scan_by_key_config_selectorIssEEZZNS1_16scan_by_key_implILNS1_25lookback_scan_determinismE0ELb0ES3_N6thrust23THRUST_200600_302600_NS6detail15normal_iteratorINS9_10device_ptrIsEEEESE_SE_sNS9_4plusIvEENS9_8equal_toIsEEsEE10hipError_tPvRmT2_T3_T4_T5_mT6_T7_P12ihipStream_tbENKUlT_T0_E_clISt17integral_constantIbLb0EESY_IbLb1EEEEDaSU_SV_EUlSU_E_NS1_11comp_targetILNS1_3genE0ELNS1_11target_archE4294967295ELNS1_3gpuE0ELNS1_3repE0EEENS1_30default_config_static_selectorELNS0_4arch9wavefront6targetE0EEEvT1_,"axG",@progbits,_ZN7rocprim17ROCPRIM_400000_NS6detail17trampoline_kernelINS0_14default_configENS1_27scan_by_key_config_selectorIssEEZZNS1_16scan_by_key_implILNS1_25lookback_scan_determinismE0ELb0ES3_N6thrust23THRUST_200600_302600_NS6detail15normal_iteratorINS9_10device_ptrIsEEEESE_SE_sNS9_4plusIvEENS9_8equal_toIsEEsEE10hipError_tPvRmT2_T3_T4_T5_mT6_T7_P12ihipStream_tbENKUlT_T0_E_clISt17integral_constantIbLb0EESY_IbLb1EEEEDaSU_SV_EUlSU_E_NS1_11comp_targetILNS1_3genE0ELNS1_11target_archE4294967295ELNS1_3gpuE0ELNS1_3repE0EEENS1_30default_config_static_selectorELNS0_4arch9wavefront6targetE0EEEvT1_,comdat
	.protected	_ZN7rocprim17ROCPRIM_400000_NS6detail17trampoline_kernelINS0_14default_configENS1_27scan_by_key_config_selectorIssEEZZNS1_16scan_by_key_implILNS1_25lookback_scan_determinismE0ELb0ES3_N6thrust23THRUST_200600_302600_NS6detail15normal_iteratorINS9_10device_ptrIsEEEESE_SE_sNS9_4plusIvEENS9_8equal_toIsEEsEE10hipError_tPvRmT2_T3_T4_T5_mT6_T7_P12ihipStream_tbENKUlT_T0_E_clISt17integral_constantIbLb0EESY_IbLb1EEEEDaSU_SV_EUlSU_E_NS1_11comp_targetILNS1_3genE0ELNS1_11target_archE4294967295ELNS1_3gpuE0ELNS1_3repE0EEENS1_30default_config_static_selectorELNS0_4arch9wavefront6targetE0EEEvT1_ ; -- Begin function _ZN7rocprim17ROCPRIM_400000_NS6detail17trampoline_kernelINS0_14default_configENS1_27scan_by_key_config_selectorIssEEZZNS1_16scan_by_key_implILNS1_25lookback_scan_determinismE0ELb0ES3_N6thrust23THRUST_200600_302600_NS6detail15normal_iteratorINS9_10device_ptrIsEEEESE_SE_sNS9_4plusIvEENS9_8equal_toIsEEsEE10hipError_tPvRmT2_T3_T4_T5_mT6_T7_P12ihipStream_tbENKUlT_T0_E_clISt17integral_constantIbLb0EESY_IbLb1EEEEDaSU_SV_EUlSU_E_NS1_11comp_targetILNS1_3genE0ELNS1_11target_archE4294967295ELNS1_3gpuE0ELNS1_3repE0EEENS1_30default_config_static_selectorELNS0_4arch9wavefront6targetE0EEEvT1_
	.globl	_ZN7rocprim17ROCPRIM_400000_NS6detail17trampoline_kernelINS0_14default_configENS1_27scan_by_key_config_selectorIssEEZZNS1_16scan_by_key_implILNS1_25lookback_scan_determinismE0ELb0ES3_N6thrust23THRUST_200600_302600_NS6detail15normal_iteratorINS9_10device_ptrIsEEEESE_SE_sNS9_4plusIvEENS9_8equal_toIsEEsEE10hipError_tPvRmT2_T3_T4_T5_mT6_T7_P12ihipStream_tbENKUlT_T0_E_clISt17integral_constantIbLb0EESY_IbLb1EEEEDaSU_SV_EUlSU_E_NS1_11comp_targetILNS1_3genE0ELNS1_11target_archE4294967295ELNS1_3gpuE0ELNS1_3repE0EEENS1_30default_config_static_selectorELNS0_4arch9wavefront6targetE0EEEvT1_
	.p2align	8
	.type	_ZN7rocprim17ROCPRIM_400000_NS6detail17trampoline_kernelINS0_14default_configENS1_27scan_by_key_config_selectorIssEEZZNS1_16scan_by_key_implILNS1_25lookback_scan_determinismE0ELb0ES3_N6thrust23THRUST_200600_302600_NS6detail15normal_iteratorINS9_10device_ptrIsEEEESE_SE_sNS9_4plusIvEENS9_8equal_toIsEEsEE10hipError_tPvRmT2_T3_T4_T5_mT6_T7_P12ihipStream_tbENKUlT_T0_E_clISt17integral_constantIbLb0EESY_IbLb1EEEEDaSU_SV_EUlSU_E_NS1_11comp_targetILNS1_3genE0ELNS1_11target_archE4294967295ELNS1_3gpuE0ELNS1_3repE0EEENS1_30default_config_static_selectorELNS0_4arch9wavefront6targetE0EEEvT1_,@function
_ZN7rocprim17ROCPRIM_400000_NS6detail17trampoline_kernelINS0_14default_configENS1_27scan_by_key_config_selectorIssEEZZNS1_16scan_by_key_implILNS1_25lookback_scan_determinismE0ELb0ES3_N6thrust23THRUST_200600_302600_NS6detail15normal_iteratorINS9_10device_ptrIsEEEESE_SE_sNS9_4plusIvEENS9_8equal_toIsEEsEE10hipError_tPvRmT2_T3_T4_T5_mT6_T7_P12ihipStream_tbENKUlT_T0_E_clISt17integral_constantIbLb0EESY_IbLb1EEEEDaSU_SV_EUlSU_E_NS1_11comp_targetILNS1_3genE0ELNS1_11target_archE4294967295ELNS1_3gpuE0ELNS1_3repE0EEENS1_30default_config_static_selectorELNS0_4arch9wavefront6targetE0EEEvT1_: ; @_ZN7rocprim17ROCPRIM_400000_NS6detail17trampoline_kernelINS0_14default_configENS1_27scan_by_key_config_selectorIssEEZZNS1_16scan_by_key_implILNS1_25lookback_scan_determinismE0ELb0ES3_N6thrust23THRUST_200600_302600_NS6detail15normal_iteratorINS9_10device_ptrIsEEEESE_SE_sNS9_4plusIvEENS9_8equal_toIsEEsEE10hipError_tPvRmT2_T3_T4_T5_mT6_T7_P12ihipStream_tbENKUlT_T0_E_clISt17integral_constantIbLb0EESY_IbLb1EEEEDaSU_SV_EUlSU_E_NS1_11comp_targetILNS1_3genE0ELNS1_11target_archE4294967295ELNS1_3gpuE0ELNS1_3repE0EEENS1_30default_config_static_selectorELNS0_4arch9wavefront6targetE0EEEvT1_
; %bb.0:
	s_clause 0x1
	s_load_b128 s[36:39], s[0:1], 0x28
	s_load_b64 s[40:41], s[0:1], 0x38
	v_cmp_ne_u32_e64 s3, 0, v0
	v_cmp_eq_u32_e64 s2, 0, v0
	s_and_saveexec_b32 s4, s2
	s_cbranch_execz .LBB344_4
; %bb.1:
	s_mov_b32 s6, exec_lo
	s_mov_b32 s5, exec_lo
	v_mbcnt_lo_u32_b32 v1, s6, 0
                                        ; implicit-def: $vgpr2
	s_delay_alu instid0(VALU_DEP_1)
	v_cmpx_eq_u32_e32 0, v1
	s_cbranch_execz .LBB344_3
; %bb.2:
	s_load_b64 s[8:9], s[0:1], 0x68
	s_bcnt1_i32_b32 s6, s6
	s_delay_alu instid0(SALU_CYCLE_1)
	v_dual_mov_b32 v2, 0 :: v_dual_mov_b32 v3, s6
	s_wait_xcnt 0x0
	s_wait_kmcnt 0x0
	global_atomic_add_u32 v2, v2, v3, s[8:9] th:TH_ATOMIC_RETURN scope:SCOPE_DEV
.LBB344_3:
	s_wait_xcnt 0x0
	s_or_b32 exec_lo, exec_lo, s5
	s_wait_loadcnt 0x0
	v_readfirstlane_b32 s5, v2
	s_delay_alu instid0(VALU_DEP_1)
	v_dual_mov_b32 v2, 0 :: v_dual_add_nc_u32 v1, s5, v1
	ds_store_b32 v2, v1
.LBB344_4:
	s_or_b32 exec_lo, exec_lo, s4
	v_mov_b32_e32 v2, 0
	s_clause 0x2
	s_load_b256 s[16:23], s[0:1], 0x0
	s_load_b32 s4, s[0:1], 0x40
	s_load_b256 s[24:31], s[0:1], 0x48
	s_wait_dscnt 0x0
	s_barrier_signal -1
	s_barrier_wait -1
	ds_load_b32 v1, v2
	s_mov_b32 s5, 0
	s_wait_dscnt 0x0
	s_mov_b32 s11, s5
	s_barrier_signal -1
	s_barrier_wait -1
	s_barrier_signal -1
	s_barrier_wait -1
	s_wait_kmcnt 0x0
	s_lshl_b64 s[34:35], s[18:19], 1
	s_mul_u64 s[8:9], s[40:41], s[4:5]
	s_cmp_lg_u64 s[28:29], 0
	s_add_nc_u64 s[0:1], s[16:17], s[34:35]
	s_add_nc_u64 s[6:7], s[20:21], s[34:35]
	s_cselect_b32 s48, -1, 0
	v_readfirstlane_b32 s4, v1
	s_add_nc_u64 s[44:45], s[8:9], s[4:5]
	s_add_nc_u64 s[8:9], s[24:25], -1
	s_mul_i32 s10, s4, 0x1400
	v_cmp_ge_u64_e64 s33, s[44:45], s[8:9]
	s_lshl_b64 s[24:25], s[10:11], 1
	s_mul_i32 s39, s8, 0xffffec00
	s_add_nc_u64 s[42:43], s[0:1], s[24:25]
	s_add_nc_u64 s[28:29], s[6:7], s[24:25]
	s_and_b32 vcc_lo, exec_lo, s33
	s_cbranch_vccz .LBB344_48
; %bb.5:
	flat_load_u16 v3, v2, s[42:43]
	s_add_co_i32 s49, s39, s38
	s_delay_alu instid0(SALU_CYCLE_1)
	v_cmp_gt_u32_e64 s0, s49, v0
	s_wait_loadcnt_dscnt 0x0
	v_mov_b32_e32 v4, v3
	s_and_saveexec_b32 s1, s0
	s_cbranch_execz .LBB344_7
; %bb.6:
	flat_load_u16 v4, v0, s[42:43] scale_offset
.LBB344_7:
	s_wait_xcnt 0x0
	s_or_b32 exec_lo, exec_lo, s1
	v_or_b32_e32 v2, 0x100, v0
	v_mov_b32_e32 v5, v3
	s_delay_alu instid0(VALU_DEP_2)
	v_cmp_gt_u32_e64 s1, s49, v2
	s_and_saveexec_b32 s4, s1
	s_cbranch_execz .LBB344_9
; %bb.8:
	flat_load_u16 v5, v0, s[42:43] offset:512 scale_offset
.LBB344_9:
	s_wait_xcnt 0x0
	s_or_b32 exec_lo, exec_lo, s4
	v_or_b32_e32 v2, 0x200, v0
	v_mov_b32_e32 v6, v3
	s_delay_alu instid0(VALU_DEP_2)
	v_cmp_gt_u32_e64 s4, s49, v2
	s_and_saveexec_b32 s5, s4
	s_cbranch_execz .LBB344_11
; %bb.10:
	flat_load_u16 v6, v0, s[42:43] offset:1024 scale_offset
.LBB344_11:
	;; [unrolled: 11-line block ×18, first 2 shown]
	s_wait_xcnt 0x0
	s_or_b32 exec_lo, exec_lo, s21
	v_or_b32_e32 v2, 0x1300, v0
	s_mov_b32 s46, exec_lo
	s_delay_alu instid0(VALU_DEP_1) | instskip(SKIP_2) | instid1(SALU_CYCLE_1)
	v_cmp_gt_u32_e64 s21, s49, v2
	v_cmpx_le_u32_e64 s49, v2
	s_xor_b32 s46, exec_lo, s46
	s_and_not1_saveexec_b32 s46, s46
	s_cbranch_execz .LBB344_45
; %bb.44:
	flat_load_u16 v3, v0, s[42:43] offset:9728 scale_offset
.LBB344_45:
	s_wait_xcnt 0x0
	s_or_b32 exec_lo, exec_lo, s46
	v_lshlrev_b32_e32 v2, 1, v0
	s_cmp_eq_u64 s[44:45], 0
	s_mov_b64 s[46:47], s[42:43]
	s_wait_loadcnt_dscnt 0x0
	ds_store_b16 v2, v4
	ds_store_b16 v2, v5 offset:512
	ds_store_b16 v2, v6 offset:1024
	;; [unrolled: 1-line block ×19, first 2 shown]
	v_mad_u32_u24 v48, v0, 38, v2
	s_wait_dscnt 0x0
	s_barrier_signal -1
	s_barrier_wait -1
	ds_load_2addr_b64 v[10:13], v48 offset1:1
	ds_load_2addr_b64 v[6:9], v48 offset0:2 offset1:3
	ds_load_b64 v[14:15], v48 offset:32
	s_cbranch_scc1 .LBB344_51
; %bb.46:
	s_and_not1_b32 vcc_lo, exec_lo, s48
	s_cbranch_vccnz .LBB344_49
; %bb.47:
	s_lshl_b64 s[46:47], s[44:45], 1
	s_mov_b32 s50, 0
	s_add_nc_u64 s[46:47], s[30:31], s[46:47]
	s_delay_alu instid0(SALU_CYCLE_1)
	s_add_nc_u64 s[46:47], s[46:47], -2
	s_branch .LBB344_50
.LBB344_48:
                                        ; implicit-def: $sgpr4
                                        ; implicit-def: $vgpr42
                                        ; implicit-def: $vgpr31
                                        ; implicit-def: $vgpr2
                                        ; implicit-def: $vgpr44
                                        ; implicit-def: $vgpr54
                                        ; implicit-def: $vgpr50
                                        ; implicit-def: $vgpr52
                                        ; implicit-def: $vgpr49
                                        ; implicit-def: $vgpr47
                                        ; implicit-def: $vgpr46
                                        ; implicit-def: $vgpr45
                                        ; implicit-def: $vgpr43
                                        ; implicit-def: $vgpr41
                                        ; implicit-def: $vgpr40
                                        ; implicit-def: $vgpr39
                                        ; implicit-def: $vgpr38
                                        ; implicit-def: $vgpr37
                                        ; implicit-def: $vgpr35
                                        ; implicit-def: $vgpr36
                                        ; implicit-def: $vgpr34
                                        ; implicit-def: $vgpr33
                                        ; implicit-def: $vgpr32
                                        ; implicit-def: $vgpr30
                                        ; implicit-def: $vgpr29
                                        ; implicit-def: $vgpr28
                                        ; implicit-def: $vgpr27
                                        ; implicit-def: $vgpr26
                                        ; implicit-def: $vgpr25
                                        ; implicit-def: $vgpr24
                                        ; implicit-def: $vgpr23
                                        ; implicit-def: $vgpr22
                                        ; implicit-def: $vgpr21
                                        ; implicit-def: $vgpr20
                                        ; implicit-def: $vgpr19
                                        ; implicit-def: $vgpr18
                                        ; implicit-def: $vgpr17
                                        ; implicit-def: $vgpr16
	v_lshlrev_b32_e32 v10, 1, v0
	s_cbranch_execnz .LBB344_113
	s_branch .LBB344_140
.LBB344_49:
	s_add_nc_u64 s[46:47], s[42:43], -2
	s_mov_b32 s50, -1
.LBB344_50:
	s_delay_alu instid0(SALU_CYCLE_1)
	s_and_not1_b32 vcc_lo, exec_lo, s50
.LBB344_51:
	s_wait_dscnt 0x0
	v_dual_mov_b32 v3, 0 :: v_dual_lshrrev_b32 v51, 16, v15
	v_mad_i32_i24 v4, 0xffffffda, v0, v48
	flat_load_u16 v3, v3, s[46:47]
	ds_store_b16 v4, v51 offset:10240
	s_wait_loadcnt_dscnt 0x0
	s_barrier_signal -1
	s_barrier_wait -1
	s_and_saveexec_b32 s46, s3
; %bb.52:
	v_mul_i32_i24_e32 v3, 0xffffffda, v0
	s_delay_alu instid0(VALU_DEP_1)
	v_add_nc_u32_e32 v3, v48, v3
	ds_load_u16 v3, v3 offset:10238
; %bb.53:
	s_or_b32 exec_lo, exec_lo, s46
	s_wait_dscnt 0x0
	s_barrier_signal -1
	s_barrier_wait -1
                                        ; implicit-def: $vgpr4
	s_and_saveexec_b32 s46, s0
	s_cbranch_execnz .LBB344_116
; %bb.54:
	s_or_b32 exec_lo, exec_lo, s46
                                        ; implicit-def: $vgpr5
	s_and_saveexec_b32 s0, s1
	s_cbranch_execnz .LBB344_117
.LBB344_55:
	s_or_b32 exec_lo, exec_lo, s0
                                        ; implicit-def: $vgpr16
	s_and_saveexec_b32 s0, s4
	s_cbranch_execnz .LBB344_118
.LBB344_56:
	s_or_b32 exec_lo, exec_lo, s0
                                        ; implicit-def: $vgpr17
	s_and_saveexec_b32 s0, s5
	s_cbranch_execnz .LBB344_119
.LBB344_57:
	s_or_b32 exec_lo, exec_lo, s0
                                        ; implicit-def: $vgpr18
	s_and_saveexec_b32 s0, s6
	s_cbranch_execnz .LBB344_120
.LBB344_58:
	s_or_b32 exec_lo, exec_lo, s0
                                        ; implicit-def: $vgpr19
	s_and_saveexec_b32 s0, s7
	s_cbranch_execnz .LBB344_121
.LBB344_59:
	s_or_b32 exec_lo, exec_lo, s0
                                        ; implicit-def: $vgpr20
	s_and_saveexec_b32 s0, s8
	s_cbranch_execnz .LBB344_122
.LBB344_60:
	s_or_b32 exec_lo, exec_lo, s0
                                        ; implicit-def: $vgpr21
	s_and_saveexec_b32 s0, s9
	s_cbranch_execnz .LBB344_123
.LBB344_61:
	s_or_b32 exec_lo, exec_lo, s0
                                        ; implicit-def: $vgpr22
	s_and_saveexec_b32 s0, s10
	s_cbranch_execnz .LBB344_124
.LBB344_62:
	s_or_b32 exec_lo, exec_lo, s0
                                        ; implicit-def: $vgpr23
	s_and_saveexec_b32 s0, s11
	s_cbranch_execnz .LBB344_125
.LBB344_63:
	s_or_b32 exec_lo, exec_lo, s0
                                        ; implicit-def: $vgpr24
	s_and_saveexec_b32 s0, s12
	s_cbranch_execnz .LBB344_126
.LBB344_64:
	s_or_b32 exec_lo, exec_lo, s0
                                        ; implicit-def: $vgpr25
	s_and_saveexec_b32 s0, s13
	s_cbranch_execnz .LBB344_127
.LBB344_65:
	s_or_b32 exec_lo, exec_lo, s0
                                        ; implicit-def: $vgpr26
	s_and_saveexec_b32 s0, s14
	s_cbranch_execnz .LBB344_128
.LBB344_66:
	s_or_b32 exec_lo, exec_lo, s0
                                        ; implicit-def: $vgpr27
	s_and_saveexec_b32 s0, s15
	s_cbranch_execnz .LBB344_129
.LBB344_67:
	s_or_b32 exec_lo, exec_lo, s0
                                        ; implicit-def: $vgpr28
	s_and_saveexec_b32 s0, s16
	s_cbranch_execnz .LBB344_130
.LBB344_68:
	s_or_b32 exec_lo, exec_lo, s0
                                        ; implicit-def: $vgpr29
	s_and_saveexec_b32 s0, s17
	s_cbranch_execnz .LBB344_131
.LBB344_69:
	s_or_b32 exec_lo, exec_lo, s0
                                        ; implicit-def: $vgpr30
	s_and_saveexec_b32 s0, s18
	s_cbranch_execnz .LBB344_132
.LBB344_70:
	s_or_b32 exec_lo, exec_lo, s0
                                        ; implicit-def: $vgpr31
	s_and_saveexec_b32 s0, s19
	s_cbranch_execnz .LBB344_133
.LBB344_71:
	s_or_b32 exec_lo, exec_lo, s0
                                        ; implicit-def: $vgpr32
	s_and_saveexec_b32 s0, s20
	s_cbranch_execnz .LBB344_134
.LBB344_72:
	s_or_b32 exec_lo, exec_lo, s0
                                        ; implicit-def: $vgpr33
	s_and_saveexec_b32 s0, s21
	s_cbranch_execz .LBB344_74
.LBB344_73:
	flat_load_u16 v33, v0, s[28:29] offset:9728 scale_offset
.LBB344_74:
	s_wait_xcnt 0x0
	s_or_b32 exec_lo, exec_lo, s0
	v_mul_u32_u24_e32 v53, 20, v0
	s_wait_loadcnt_dscnt 0x0
	ds_store_b16 v2, v4
	ds_store_b16 v2, v5 offset:512
	ds_store_b16 v2, v16 offset:1024
	;; [unrolled: 1-line block ×19, first 2 shown]
	v_dual_mov_b32 v31, 0 :: v_dual_mov_b32 v2, 0
	v_dual_mov_b32 v44, 0 :: v_dual_mov_b32 v54, 0
	v_cmp_gt_u32_e32 vcc_lo, s49, v53
	v_dual_mov_b32 v50, 0 :: v_dual_mov_b32 v52, 0
	v_dual_mov_b32 v49, 0 :: v_dual_mov_b32 v47, 0
	;; [unrolled: 1-line block ×16, first 2 shown]
	s_mov_b32 s0, 0
	s_mov_b32 s5, 0
	s_wait_dscnt 0x0
	s_barrier_signal -1
	s_barrier_wait -1
                                        ; implicit-def: $sgpr4
                                        ; implicit-def: $vgpr42
	s_and_saveexec_b32 s1, vcc_lo
	s_cbranch_execz .LBB344_112
; %bb.75:
	ds_load_u16 v31, v48
	v_dual_mov_b32 v2, 0 :: v_dual_bitop2_b32 v4, 1, v53 bitop3:0x54
	v_cmp_eq_u16_e32 vcc_lo, v3, v10
	v_dual_mov_b32 v44, 0 :: v_dual_mov_b32 v54, 0
	v_dual_mov_b32 v50, 0 :: v_dual_mov_b32 v52, 0
	v_cndmask_b32_e64 v34, 0x10000, 0, vcc_lo
	v_cmp_gt_u32_e32 vcc_lo, s49, v4
	v_dual_mov_b32 v49, 0 :: v_dual_mov_b32 v47, 0
	v_dual_mov_b32 v46, 0 :: v_dual_mov_b32 v45, 0
	;; [unrolled: 1-line block ×14, first 2 shown]
	v_mov_b32_e32 v16, 0
	s_mov_b32 s6, 0
                                        ; implicit-def: $sgpr4
                                        ; implicit-def: $vgpr42
	s_and_saveexec_b32 s5, vcc_lo
	s_cbranch_execz .LBB344_111
; %bb.76:
	ds_load_b128 v[2:5], v48 offset:2
	v_dual_lshrrev_b32 v55, 16, v10 :: v_dual_bitop2_b32 v16, 2, v53 bitop3:0x54
	v_dual_mov_b32 v44, 0 :: v_dual_mov_b32 v54, 0
	v_dual_mov_b32 v50, 0 :: v_dual_mov_b32 v52, 0
	s_delay_alu instid0(VALU_DEP_3)
	v_cmp_eq_u16_e32 vcc_lo, v10, v55
	v_dual_mov_b32 v49, 0 :: v_dual_mov_b32 v47, 0
	v_dual_mov_b32 v46, 0 :: v_dual_mov_b32 v45, 0
	v_cndmask_b32_e64 v33, 0x10000, 0, vcc_lo
	v_cmp_gt_u32_e32 vcc_lo, s49, v16
	v_dual_mov_b32 v43, 0 :: v_dual_mov_b32 v41, 0
	v_dual_mov_b32 v40, 0 :: v_dual_mov_b32 v39, 0
	;; [unrolled: 1-line block ×12, first 2 shown]
	s_mov_b32 s7, 0
                                        ; implicit-def: $sgpr4
                                        ; implicit-def: $vgpr42
	s_and_saveexec_b32 s6, vcc_lo
	s_cbranch_execz .LBB344_110
; %bb.77:
	s_wait_dscnt 0x0
	v_dual_lshrrev_b32 v32, 16, v2 :: v_dual_bitop2_b32 v10, 3, v53 bitop3:0x54
	v_cmp_eq_u16_e32 vcc_lo, v55, v11
	v_dual_mov_b32 v54, 0 :: v_dual_mov_b32 v50, 0
	v_dual_mov_b32 v52, 0 :: v_dual_mov_b32 v49, 0
	v_cndmask_b32_e64 v44, 0x10000, 0, vcc_lo
	v_cmp_gt_u32_e32 vcc_lo, s49, v10
	v_dual_mov_b32 v47, 0 :: v_dual_mov_b32 v46, 0
	v_dual_mov_b32 v45, 0 :: v_dual_mov_b32 v43, 0
	;; [unrolled: 1-line block ×13, first 2 shown]
	s_mov_b32 s8, 0
                                        ; implicit-def: $sgpr4
                                        ; implicit-def: $vgpr42
	s_and_saveexec_b32 s7, vcc_lo
	s_cbranch_execz .LBB344_109
; %bb.78:
	v_dual_lshrrev_b32 v10, 16, v11 :: v_dual_add_nc_u32 v16, 4, v53
	v_dual_mov_b32 v50, 0 :: v_dual_mov_b32 v52, 0
	v_dual_mov_b32 v49, 0 :: v_dual_mov_b32 v47, 0
	s_delay_alu instid0(VALU_DEP_3)
	v_cmp_eq_u16_e32 vcc_lo, v11, v10
	v_dual_mov_b32 v46, 0 :: v_dual_mov_b32 v45, 0
	v_dual_mov_b32 v43, 0 :: v_dual_mov_b32 v41, 0
	v_cndmask_b32_e64 v30, 0x10000, 0, vcc_lo
	v_cmp_gt_u32_e32 vcc_lo, s49, v16
	v_dual_mov_b32 v40, 0 :: v_dual_mov_b32 v39, 0
	v_dual_mov_b32 v38, 0 :: v_dual_mov_b32 v37, 0
	;; [unrolled: 1-line block ×10, first 2 shown]
	s_mov_b32 s9, 0
                                        ; implicit-def: $sgpr4
                                        ; implicit-def: $vgpr42
	s_and_saveexec_b32 s8, vcc_lo
	s_cbranch_execz .LBB344_108
; %bb.79:
	v_dual_add_nc_u32 v11, 5, v53 :: v_dual_lshrrev_b32 v29, 16, v3
	v_cmp_eq_u16_e32 vcc_lo, v10, v12
	v_dual_mov_b32 v52, 0 :: v_dual_mov_b32 v49, 0
	v_dual_mov_b32 v47, 0 :: v_dual_mov_b32 v46, 0
	v_cndmask_b32_e64 v50, 0x10000, 0, vcc_lo
	v_cmp_gt_u32_e32 vcc_lo, s49, v11
	v_dual_mov_b32 v45, 0 :: v_dual_mov_b32 v43, 0
	v_dual_mov_b32 v41, 0 :: v_dual_mov_b32 v40, 0
	v_dual_mov_b32 v39, 0 :: v_dual_mov_b32 v38, 0
	v_dual_mov_b32 v37, 0 :: v_dual_mov_b32 v35, 0
	v_dual_mov_b32 v36, 0 :: v_dual_mov_b32 v28, 0
	v_dual_mov_b32 v27, 0 :: v_dual_mov_b32 v26, 0
	v_dual_mov_b32 v25, 0 :: v_dual_mov_b32 v24, 0
	v_dual_mov_b32 v23, 0 :: v_dual_mov_b32 v22, 0
	v_dual_mov_b32 v21, 0 :: v_dual_mov_b32 v20, 0
	v_dual_mov_b32 v19, 0 :: v_dual_mov_b32 v18, 0
	v_dual_mov_b32 v17, 0 :: v_dual_mov_b32 v16, 0
	s_mov_b32 s10, 0
                                        ; implicit-def: $sgpr4
                                        ; implicit-def: $vgpr42
	s_and_saveexec_b32 s9, vcc_lo
	s_cbranch_execz .LBB344_107
; %bb.80:
	v_dual_lshrrev_b32 v10, 16, v12 :: v_dual_add_nc_u32 v11, 6, v53
	v_dual_mov_b32 v49, 0 :: v_dual_mov_b32 v47, 0
	v_dual_mov_b32 v46, 0 :: v_dual_mov_b32 v45, 0
	s_delay_alu instid0(VALU_DEP_3)
	v_cmp_eq_u16_e32 vcc_lo, v12, v10
	v_dual_mov_b32 v43, 0 :: v_dual_mov_b32 v41, 0
	v_dual_mov_b32 v40, 0 :: v_dual_mov_b32 v39, 0
	v_cndmask_b32_e64 v28, 0x10000, 0, vcc_lo
	v_cmp_gt_u32_e32 vcc_lo, s49, v11
	v_dual_mov_b32 v38, 0 :: v_dual_mov_b32 v37, 0
	v_dual_mov_b32 v35, 0 :: v_dual_mov_b32 v36, 0
	;; [unrolled: 1-line block ×8, first 2 shown]
	s_mov_b32 s11, 0
                                        ; implicit-def: $sgpr4
                                        ; implicit-def: $vgpr42
	s_and_saveexec_b32 s10, vcc_lo
	s_cbranch_execz .LBB344_106
; %bb.81:
	v_dual_add_nc_u32 v11, 7, v53 :: v_dual_lshrrev_b32 v27, 16, v4
	v_cmp_eq_u16_e32 vcc_lo, v10, v13
	v_dual_mov_b32 v47, 0 :: v_dual_mov_b32 v46, 0
	v_dual_mov_b32 v45, 0 :: v_dual_mov_b32 v43, 0
	v_cndmask_b32_e64 v49, 0x10000, 0, vcc_lo
	v_cmp_gt_u32_e32 vcc_lo, s49, v11
	v_dual_mov_b32 v41, 0 :: v_dual_mov_b32 v40, 0
	v_dual_mov_b32 v39, 0 :: v_dual_mov_b32 v38, 0
	;; [unrolled: 1-line block ×9, first 2 shown]
	s_mov_b32 s12, 0
                                        ; implicit-def: $sgpr4
                                        ; implicit-def: $vgpr42
	s_and_saveexec_b32 s11, vcc_lo
	s_cbranch_execz .LBB344_105
; %bb.82:
	v_dual_lshrrev_b32 v10, 16, v13 :: v_dual_mov_b32 v46, 0
	v_dual_add_nc_u32 v11, 8, v53 :: v_dual_mov_b32 v45, 0
	v_dual_mov_b32 v43, 0 :: v_dual_mov_b32 v41, 0
	s_delay_alu instid0(VALU_DEP_3)
	v_cmp_eq_u16_e32 vcc_lo, v13, v10
	v_dual_mov_b32 v40, 0 :: v_dual_mov_b32 v39, 0
	v_dual_mov_b32 v38, 0 :: v_dual_mov_b32 v37, 0
	v_cndmask_b32_e64 v26, 0x10000, 0, vcc_lo
	v_cmp_gt_u32_e32 vcc_lo, s49, v11
	v_dual_mov_b32 v35, 0 :: v_dual_mov_b32 v36, 0
	v_dual_mov_b32 v25, 0 :: v_dual_mov_b32 v24, 0
	v_dual_mov_b32 v23, 0 :: v_dual_mov_b32 v22, 0
	v_dual_mov_b32 v21, 0 :: v_dual_mov_b32 v20, 0
	v_dual_mov_b32 v19, 0 :: v_dual_mov_b32 v18, 0
	v_dual_mov_b32 v17, 0 :: v_dual_mov_b32 v16, 0
	s_mov_b32 s13, 0
                                        ; implicit-def: $sgpr4
                                        ; implicit-def: $vgpr42
	s_and_saveexec_b32 s12, vcc_lo
	s_cbranch_execz .LBB344_104
; %bb.83:
	v_dual_add_nc_u32 v11, 9, v53 :: v_dual_mov_b32 v45, 0
	v_cmp_eq_u16_e32 vcc_lo, v10, v6
	v_dual_lshrrev_b32 v25, 16, v5 :: v_dual_mov_b32 v43, 0
	v_dual_mov_b32 v41, 0 :: v_dual_mov_b32 v40, 0
	v_cndmask_b32_e64 v46, 0x10000, 0, vcc_lo
	v_cmp_gt_u32_e32 vcc_lo, s49, v11
	v_dual_mov_b32 v39, 0 :: v_dual_mov_b32 v38, 0
	v_dual_mov_b32 v37, 0 :: v_dual_mov_b32 v35, 0
	;; [unrolled: 1-line block ×7, first 2 shown]
	s_mov_b32 s14, 0
                                        ; implicit-def: $sgpr4
                                        ; implicit-def: $vgpr42
	s_and_saveexec_b32 s13, vcc_lo
	s_cbranch_execz .LBB344_103
; %bb.84:
	ds_load_b128 v[10:13], v48 offset:18
	v_dual_lshrrev_b32 v24, 16, v6 :: v_dual_add_nc_u32 v16, 10, v53
	v_dual_mov_b32 v43, 0 :: v_dual_mov_b32 v41, 0
	v_dual_mov_b32 v40, 0 :: v_dual_mov_b32 v39, 0
	s_delay_alu instid0(VALU_DEP_3)
	v_cmp_eq_u16_e32 vcc_lo, v6, v24
	v_dual_mov_b32 v38, 0 :: v_dual_mov_b32 v37, 0
	v_dual_mov_b32 v35, 0 :: v_dual_mov_b32 v36, 0
	v_cndmask_b32_e64 v6, 0x10000, 0, vcc_lo
	v_cmp_gt_u32_e32 vcc_lo, s49, v16
	v_dual_mov_b32 v23, 0 :: v_dual_mov_b32 v22, 0
	v_dual_mov_b32 v21, 0 :: v_dual_mov_b32 v20, 0
	;; [unrolled: 1-line block ×4, first 2 shown]
	s_mov_b32 s15, 0
                                        ; implicit-def: $sgpr4
                                        ; implicit-def: $vgpr42
	s_and_saveexec_b32 s14, vcc_lo
	s_cbranch_execz .LBB344_102
; %bb.85:
	s_wait_dscnt 0x0
	v_dual_add_nc_u32 v16, 11, v53 :: v_dual_lshrrev_b32 v23, 16, v10
	v_cmp_eq_u16_e32 vcc_lo, v24, v7
	v_dual_mov_b32 v41, 0 :: v_dual_mov_b32 v40, 0
	v_dual_mov_b32 v39, 0 :: v_dual_mov_b32 v38, 0
	v_cndmask_b32_e64 v24, 0x10000, 0, vcc_lo
	v_cmp_gt_u32_e32 vcc_lo, s49, v16
	v_dual_mov_b32 v37, 0 :: v_dual_mov_b32 v35, 0
	v_dual_mov_b32 v36, 0 :: v_dual_mov_b32 v22, 0
	;; [unrolled: 1-line block ×5, first 2 shown]
	s_mov_b32 s16, 0
                                        ; implicit-def: $sgpr4
                                        ; implicit-def: $vgpr42
	s_and_saveexec_b32 s15, vcc_lo
	s_cbranch_execz .LBB344_101
; %bb.86:
	v_dual_lshrrev_b32 v22, 16, v7 :: v_dual_add_nc_u32 v16, 12, v53
	v_dual_mov_b32 v40, 0 :: v_dual_mov_b32 v39, 0
	v_dual_mov_b32 v38, 0 :: v_dual_mov_b32 v37, 0
	s_delay_alu instid0(VALU_DEP_3)
	v_cmp_eq_u16_e32 vcc_lo, v7, v22
	v_dual_mov_b32 v35, 0 :: v_dual_mov_b32 v36, 0
	v_dual_mov_b32 v21, 0 :: v_dual_mov_b32 v20, 0
	v_cndmask_b32_e64 v7, 0x10000, 0, vcc_lo
	v_cmp_gt_u32_e32 vcc_lo, s49, v16
	v_dual_mov_b32 v19, 0 :: v_dual_mov_b32 v18, 0
	v_dual_mov_b32 v17, 0 :: v_dual_mov_b32 v16, 0
	s_mov_b32 s17, 0
                                        ; implicit-def: $sgpr4
                                        ; implicit-def: $vgpr42
	s_and_saveexec_b32 s16, vcc_lo
	s_cbranch_execz .LBB344_100
; %bb.87:
	v_dual_add_nc_u32 v16, 13, v53 :: v_dual_lshrrev_b32 v21, 16, v11
	v_cmp_eq_u16_e32 vcc_lo, v22, v8
	v_dual_mov_b32 v39, 0 :: v_dual_mov_b32 v38, 0
	v_dual_mov_b32 v37, 0 :: v_dual_mov_b32 v35, 0
	v_cndmask_b32_e64 v22, 0x10000, 0, vcc_lo
	v_cmp_gt_u32_e32 vcc_lo, s49, v16
	v_dual_mov_b32 v36, 0 :: v_dual_mov_b32 v20, 0
	v_dual_mov_b32 v19, 0 :: v_dual_mov_b32 v18, 0
	;; [unrolled: 1-line block ×3, first 2 shown]
	s_mov_b32 s18, 0
                                        ; implicit-def: $sgpr4
                                        ; implicit-def: $vgpr42
	s_and_saveexec_b32 s17, vcc_lo
	s_cbranch_execz .LBB344_99
; %bb.88:
	v_dual_lshrrev_b32 v20, 16, v8 :: v_dual_add_nc_u32 v16, 14, v53
	v_dual_mov_b32 v38, 0 :: v_dual_mov_b32 v37, 0
	v_dual_mov_b32 v35, 0 :: v_dual_mov_b32 v36, 0
	s_delay_alu instid0(VALU_DEP_3)
	v_cmp_eq_u16_e32 vcc_lo, v8, v20
	v_dual_mov_b32 v19, 0 :: v_dual_mov_b32 v18, 0
	v_mov_b32_e32 v17, 0
	s_mov_b32 s19, 0
	v_cndmask_b32_e64 v8, 0x10000, 0, vcc_lo
	v_cmp_gt_u32_e32 vcc_lo, s49, v16
	v_mov_b32_e32 v16, 0
                                        ; implicit-def: $sgpr4
                                        ; implicit-def: $vgpr42
	s_and_saveexec_b32 s18, vcc_lo
	s_cbranch_execz .LBB344_98
; %bb.89:
	v_dual_add_nc_u32 v16, 15, v53 :: v_dual_lshrrev_b32 v19, 16, v12
	v_cmp_eq_u16_e32 vcc_lo, v20, v9
	v_dual_mov_b32 v37, 0 :: v_dual_mov_b32 v35, 0
	v_dual_mov_b32 v36, 0 :: v_dual_mov_b32 v18, 0
	v_cndmask_b32_e64 v20, 0x10000, 0, vcc_lo
	v_cmp_gt_u32_e32 vcc_lo, s49, v16
	v_dual_mov_b32 v17, 0 :: v_dual_mov_b32 v16, 0
	s_mov_b32 s20, 0
                                        ; implicit-def: $sgpr4
                                        ; implicit-def: $vgpr42
	s_and_saveexec_b32 s19, vcc_lo
	s_cbranch_execz .LBB344_97
; %bb.90:
	v_dual_mov_b32 v35, 0 :: v_dual_lshrrev_b32 v18, 16, v9
	v_dual_add_nc_u32 v16, 16, v53 :: v_dual_mov_b32 v36, 0
	v_mov_b32_e32 v17, 0
	s_delay_alu instid0(VALU_DEP_3)
	v_cmp_eq_u16_e32 vcc_lo, v9, v18
	s_mov_b32 s21, 0
                                        ; implicit-def: $sgpr4
                                        ; implicit-def: $vgpr42
	v_cndmask_b32_e64 v9, 0x10000, 0, vcc_lo
	v_cmp_gt_u32_e32 vcc_lo, s49, v16
	v_mov_b32_e32 v16, 0
	s_and_saveexec_b32 s20, vcc_lo
	s_cbranch_execz .LBB344_96
; %bb.91:
	v_dual_add_nc_u32 v16, 17, v53 :: v_dual_mov_b32 v36, 0
	v_cmp_eq_u16_e32 vcc_lo, v18, v14
	v_lshrrev_b32_e32 v17, 16, v13
	s_mov_b32 s46, 0
                                        ; implicit-def: $sgpr4
                                        ; implicit-def: $vgpr42
	v_cndmask_b32_e64 v18, 0x10000, 0, vcc_lo
	v_cmp_gt_u32_e32 vcc_lo, s49, v16
	v_mov_b32_e32 v16, 0
	s_and_saveexec_b32 s21, vcc_lo
	s_cbranch_execz .LBB344_95
; %bb.92:
	ds_load_u16 v35, v48 offset:34
	v_dual_lshrrev_b32 v36, 16, v14 :: v_dual_add_nc_u32 v37, 18, v53
	v_mov_b32_e32 v16, 0
	s_mov_b32 s47, 0
	s_mov_b32 s46, exec_lo
	s_delay_alu instid0(VALU_DEP_2)
	v_cmp_eq_u16_e32 vcc_lo, v14, v36
                                        ; implicit-def: $sgpr4
                                        ; implicit-def: $vgpr42
	v_cndmask_b32_e64 v14, 0x10000, 0, vcc_lo
	v_cmpx_gt_u32_e64 s49, v37
	s_xor_b32 s46, exec_lo, s46
	s_cbranch_execz .LBB344_94
; %bb.93:
	ds_load_b32 v16, v48 offset:36
	v_cmp_eq_u16_e32 vcc_lo, v36, v15
	v_add_nc_u32_e32 v37, 19, v53
	v_cmp_ne_u16_e64 s4, v15, v51
	v_cndmask_b32_e64 v36, 0x10000, 0, vcc_lo
	s_wait_dscnt 0x0
	v_lshrrev_b32_e32 v42, 16, v16
	v_cmp_gt_u32_e32 vcc_lo, s49, v37
	s_delay_alu instid0(VALU_DEP_3)
	v_and_or_b32 v16, 0xffff, v16, v36
	s_and_b32 s47, vcc_lo, exec_lo
.LBB344_94:
	s_or_b32 exec_lo, exec_lo, s46
	s_wait_dscnt 0x0
	v_or_b32_e32 v36, v14, v35
	s_and_b32 s46, s47, exec_lo
.LBB344_95:
	s_or_b32 exec_lo, exec_lo, s21
	s_delay_alu instid0(VALU_DEP_1)
	v_dual_mov_b32 v17, v36 :: v_dual_bitop2_b32 v35, v18, v17 bitop3:0x54
	s_and_b32 s21, s46, exec_lo
.LBB344_96:
	s_or_b32 exec_lo, exec_lo, s20
	v_and_or_b32 v37, 0xffff, v13, v9
	s_delay_alu instid0(VALU_DEP_2)
	v_mov_b32_e32 v18, v35
	s_and_b32 s20, s21, exec_lo
.LBB344_97:
	s_or_b32 exec_lo, exec_lo, s19
	s_delay_alu instid0(VALU_DEP_2)
	v_dual_mov_b32 v19, v37 :: v_dual_bitop2_b32 v38, v20, v19 bitop3:0x54
	s_and_b32 s19, s20, exec_lo
.LBB344_98:
	s_or_b32 exec_lo, exec_lo, s18
	v_and_or_b32 v39, 0xffff, v12, v8
	s_delay_alu instid0(VALU_DEP_2)
	v_mov_b32_e32 v20, v38
	s_and_b32 s18, s19, exec_lo
.LBB344_99:
	s_or_b32 exec_lo, exec_lo, s17
	s_delay_alu instid0(VALU_DEP_2)
	v_dual_mov_b32 v21, v39 :: v_dual_bitop2_b32 v40, v22, v21 bitop3:0x54
	s_and_b32 s17, s18, exec_lo
.LBB344_100:
	s_or_b32 exec_lo, exec_lo, s16
	v_and_or_b32 v41, 0xffff, v11, v7
	s_delay_alu instid0(VALU_DEP_2)
	v_mov_b32_e32 v22, v40
	s_and_b32 s16, s17, exec_lo
.LBB344_101:
	s_or_b32 exec_lo, exec_lo, s15
	s_delay_alu instid0(VALU_DEP_2)
	v_dual_mov_b32 v23, v41 :: v_dual_bitop2_b32 v43, v24, v23 bitop3:0x54
	s_and_b32 s15, s16, exec_lo
.LBB344_102:
	s_or_b32 exec_lo, exec_lo, s14
	s_wait_dscnt 0x0
	v_and_or_b32 v45, 0xffff, v10, v6
	v_mov_b32_e32 v24, v43
	s_and_b32 s14, s15, exec_lo
.LBB344_103:
	s_or_b32 exec_lo, exec_lo, s13
	s_delay_alu instid0(VALU_DEP_2)
	v_dual_mov_b32 v25, v45 :: v_dual_bitop2_b32 v46, v46, v25 bitop3:0x54
	s_and_b32 s13, s14, exec_lo
.LBB344_104:
	s_or_b32 exec_lo, exec_lo, s12
	v_and_or_b32 v47, 0xffff, v5, v26
	s_delay_alu instid0(VALU_DEP_2)
	v_mov_b32_e32 v26, v46
	s_and_b32 s12, s13, exec_lo
.LBB344_105:
	s_or_b32 exec_lo, exec_lo, s11
	s_delay_alu instid0(VALU_DEP_2)
	v_dual_mov_b32 v27, v47 :: v_dual_bitop2_b32 v49, v49, v27 bitop3:0x54
	s_and_b32 s11, s12, exec_lo
.LBB344_106:
	s_or_b32 exec_lo, exec_lo, s10
	v_and_or_b32 v52, 0xffff, v4, v28
	s_delay_alu instid0(VALU_DEP_2)
	v_mov_b32_e32 v28, v49
	s_and_b32 s10, s11, exec_lo
.LBB344_107:
	s_or_b32 exec_lo, exec_lo, s9
	s_delay_alu instid0(VALU_DEP_2)
	v_dual_mov_b32 v29, v52 :: v_dual_bitop2_b32 v50, v50, v29 bitop3:0x54
	s_and_b32 s9, s10, exec_lo
.LBB344_108:
	s_or_b32 exec_lo, exec_lo, s8
	v_and_or_b32 v54, 0xffff, v3, v30
	s_delay_alu instid0(VALU_DEP_2)
	v_mov_b32_e32 v30, v50
	s_and_b32 s8, s9, exec_lo
.LBB344_109:
	s_or_b32 exec_lo, exec_lo, s7
	s_delay_alu instid0(VALU_DEP_2)
	v_dual_mov_b32 v32, v54 :: v_dual_bitop2_b32 v44, v44, v32 bitop3:0x54
	s_and_b32 s7, s8, exec_lo
.LBB344_110:
	s_or_b32 exec_lo, exec_lo, s6
	s_wait_dscnt 0x0
	v_and_or_b32 v2, 0xffff, v2, v33
	v_mov_b32_e32 v33, v44
	s_and_b32 s6, s7, exec_lo
.LBB344_111:
	s_or_b32 exec_lo, exec_lo, s5
	s_wait_dscnt 0x0
	v_or_b32_e32 v31, v34, v31
	v_mov_b32_e32 v34, v2
	s_and_b32 s5, s6, exec_lo
.LBB344_112:
	s_or_b32 exec_lo, exec_lo, s1
	v_lshlrev_b32_e32 v10, 1, v0
	s_and_b32 vcc_lo, exec_lo, s0
	s_cbranch_vccz .LBB344_140
.LBB344_113:
	s_clause 0x13
	flat_load_u16 v2, v0, s[42:43] scale_offset
	flat_load_u16 v3, v0, s[42:43] offset:512 scale_offset
	flat_load_u16 v4, v0, s[42:43] offset:1024 scale_offset
	;; [unrolled: 1-line block ×19, first 2 shown]
	v_mad_u32_u24 v11, v0, 38, v10
	s_cmp_eq_u64 s[44:45], 0
	s_wait_loadcnt_dscnt 0x1313
	ds_store_b16 v10, v2
	s_wait_loadcnt_dscnt 0x1213
	ds_store_b16 v10, v3 offset:512
	s_wait_loadcnt_dscnt 0x1113
	ds_store_b16 v10, v4 offset:1024
	s_wait_loadcnt_dscnt 0x1013
	ds_store_b16 v10, v5 offset:1536
	s_wait_loadcnt_dscnt 0xf13
	ds_store_b16 v10, v6 offset:2048
	s_wait_loadcnt_dscnt 0xe13
	ds_store_b16 v10, v7 offset:2560
	s_wait_loadcnt_dscnt 0xd13
	ds_store_b16 v10, v8 offset:3072
	s_wait_loadcnt_dscnt 0xc13
	ds_store_b16 v10, v9 offset:3584
	s_wait_loadcnt_dscnt 0xb13
	ds_store_b16 v10, v12 offset:4096
	s_wait_loadcnt_dscnt 0xa13
	ds_store_b16 v10, v13 offset:4608
	s_wait_loadcnt_dscnt 0x913
	ds_store_b16 v10, v14 offset:5120
	s_wait_loadcnt_dscnt 0x813
	ds_store_b16 v10, v15 offset:5632
	s_wait_loadcnt_dscnt 0x713
	ds_store_b16 v10, v16 offset:6144
	s_wait_loadcnt_dscnt 0x613
	ds_store_b16 v10, v17 offset:6656
	s_wait_loadcnt_dscnt 0x513
	ds_store_b16 v10, v18 offset:7168
	s_wait_loadcnt_dscnt 0x413
	ds_store_b16 v10, v19 offset:7680
	s_wait_loadcnt_dscnt 0x313
	ds_store_b16 v10, v20 offset:8192
	s_wait_loadcnt_dscnt 0x213
	ds_store_b16 v10, v21 offset:8704
	s_wait_loadcnt_dscnt 0x113
	ds_store_b16 v10, v22 offset:9216
	s_wait_loadcnt_dscnt 0x13
	ds_store_b16 v10, v23 offset:9728
	s_wait_dscnt 0x0
	s_barrier_signal -1
	s_barrier_wait -1
	ds_load_2addr_b64 v[6:9], v11 offset1:1
	ds_load_2addr_b64 v[2:5], v11 offset0:2 offset1:3
	ds_load_b64 v[12:13], v11 offset:32
	v_mov_b32_e32 v14, 0
	s_cbranch_scc1 .LBB344_137
; %bb.114:
	s_and_not1_b32 vcc_lo, exec_lo, s48
	s_cbranch_vccnz .LBB344_135
; %bb.115:
	s_lshl_b64 s[0:1], s[44:45], 1
	s_delay_alu instid0(SALU_CYCLE_1) | instskip(NEXT) | instid1(SALU_CYCLE_1)
	s_add_nc_u64 s[0:1], s[30:31], s[0:1]
	s_add_nc_u64 s[42:43], s[0:1], -2
	s_mov_b32 s0, 0
	s_branch .LBB344_136
.LBB344_116:
	flat_load_u16 v4, v0, s[28:29] scale_offset
	s_wait_xcnt 0x0
	s_or_b32 exec_lo, exec_lo, s46
                                        ; implicit-def: $vgpr5
	s_and_saveexec_b32 s0, s1
	s_cbranch_execz .LBB344_55
.LBB344_117:
	flat_load_u16 v5, v0, s[28:29] offset:512 scale_offset
	s_wait_xcnt 0x0
	s_or_b32 exec_lo, exec_lo, s0
                                        ; implicit-def: $vgpr16
	s_and_saveexec_b32 s0, s4
	s_cbranch_execz .LBB344_56
.LBB344_118:
	flat_load_u16 v16, v0, s[28:29] offset:1024 scale_offset
	s_wait_xcnt 0x0
	s_or_b32 exec_lo, exec_lo, s0
                                        ; implicit-def: $vgpr17
	s_and_saveexec_b32 s0, s5
	s_cbranch_execz .LBB344_57
.LBB344_119:
	flat_load_u16 v17, v0, s[28:29] offset:1536 scale_offset
	s_wait_xcnt 0x0
	s_or_b32 exec_lo, exec_lo, s0
                                        ; implicit-def: $vgpr18
	s_and_saveexec_b32 s0, s6
	s_cbranch_execz .LBB344_58
.LBB344_120:
	flat_load_u16 v18, v0, s[28:29] offset:2048 scale_offset
	s_wait_xcnt 0x0
	s_or_b32 exec_lo, exec_lo, s0
                                        ; implicit-def: $vgpr19
	s_and_saveexec_b32 s0, s7
	s_cbranch_execz .LBB344_59
.LBB344_121:
	flat_load_u16 v19, v0, s[28:29] offset:2560 scale_offset
	s_wait_xcnt 0x0
	s_or_b32 exec_lo, exec_lo, s0
                                        ; implicit-def: $vgpr20
	s_and_saveexec_b32 s0, s8
	s_cbranch_execz .LBB344_60
.LBB344_122:
	flat_load_u16 v20, v0, s[28:29] offset:3072 scale_offset
	s_wait_xcnt 0x0
	s_or_b32 exec_lo, exec_lo, s0
                                        ; implicit-def: $vgpr21
	s_and_saveexec_b32 s0, s9
	s_cbranch_execz .LBB344_61
.LBB344_123:
	flat_load_u16 v21, v0, s[28:29] offset:3584 scale_offset
	s_wait_xcnt 0x0
	s_or_b32 exec_lo, exec_lo, s0
                                        ; implicit-def: $vgpr22
	s_and_saveexec_b32 s0, s10
	s_cbranch_execz .LBB344_62
.LBB344_124:
	flat_load_u16 v22, v0, s[28:29] offset:4096 scale_offset
	s_wait_xcnt 0x0
	s_or_b32 exec_lo, exec_lo, s0
                                        ; implicit-def: $vgpr23
	s_and_saveexec_b32 s0, s11
	s_cbranch_execz .LBB344_63
.LBB344_125:
	flat_load_u16 v23, v0, s[28:29] offset:4608 scale_offset
	s_wait_xcnt 0x0
	s_or_b32 exec_lo, exec_lo, s0
                                        ; implicit-def: $vgpr24
	s_and_saveexec_b32 s0, s12
	s_cbranch_execz .LBB344_64
.LBB344_126:
	flat_load_u16 v24, v0, s[28:29] offset:5120 scale_offset
	s_wait_xcnt 0x0
	s_or_b32 exec_lo, exec_lo, s0
                                        ; implicit-def: $vgpr25
	s_and_saveexec_b32 s0, s13
	s_cbranch_execz .LBB344_65
.LBB344_127:
	flat_load_u16 v25, v0, s[28:29] offset:5632 scale_offset
	s_wait_xcnt 0x0
	s_or_b32 exec_lo, exec_lo, s0
                                        ; implicit-def: $vgpr26
	s_and_saveexec_b32 s0, s14
	s_cbranch_execz .LBB344_66
.LBB344_128:
	flat_load_u16 v26, v0, s[28:29] offset:6144 scale_offset
	s_wait_xcnt 0x0
	s_or_b32 exec_lo, exec_lo, s0
                                        ; implicit-def: $vgpr27
	s_and_saveexec_b32 s0, s15
	s_cbranch_execz .LBB344_67
.LBB344_129:
	flat_load_u16 v27, v0, s[28:29] offset:6656 scale_offset
	s_wait_xcnt 0x0
	s_or_b32 exec_lo, exec_lo, s0
                                        ; implicit-def: $vgpr28
	s_and_saveexec_b32 s0, s16
	s_cbranch_execz .LBB344_68
.LBB344_130:
	flat_load_u16 v28, v0, s[28:29] offset:7168 scale_offset
	s_wait_xcnt 0x0
	s_or_b32 exec_lo, exec_lo, s0
                                        ; implicit-def: $vgpr29
	s_and_saveexec_b32 s0, s17
	s_cbranch_execz .LBB344_69
.LBB344_131:
	flat_load_u16 v29, v0, s[28:29] offset:7680 scale_offset
	s_wait_xcnt 0x0
	s_or_b32 exec_lo, exec_lo, s0
                                        ; implicit-def: $vgpr30
	s_and_saveexec_b32 s0, s18
	s_cbranch_execz .LBB344_70
.LBB344_132:
	flat_load_u16 v30, v0, s[28:29] offset:8192 scale_offset
	s_wait_xcnt 0x0
	s_or_b32 exec_lo, exec_lo, s0
                                        ; implicit-def: $vgpr31
	s_and_saveexec_b32 s0, s19
	s_cbranch_execz .LBB344_71
.LBB344_133:
	flat_load_u16 v31, v0, s[28:29] offset:8704 scale_offset
	s_wait_xcnt 0x0
	s_or_b32 exec_lo, exec_lo, s0
                                        ; implicit-def: $vgpr32
	s_and_saveexec_b32 s0, s20
	s_cbranch_execz .LBB344_72
.LBB344_134:
	flat_load_u16 v32, v0, s[28:29] offset:9216 scale_offset
	s_wait_xcnt 0x0
	s_or_b32 exec_lo, exec_lo, s0
                                        ; implicit-def: $vgpr33
	s_and_saveexec_b32 s0, s21
	s_cbranch_execnz .LBB344_73
	s_branch .LBB344_74
.LBB344_135:
	s_add_nc_u64 s[42:43], s[42:43], -2
	s_mov_b32 s0, -1
.LBB344_136:
	s_delay_alu instid0(SALU_CYCLE_1)
	s_and_not1_b32 vcc_lo, exec_lo, s0
.LBB344_137:
	flat_load_u16 v15, v14, s[42:43]
	s_wait_dscnt 0x1
	s_wait_xcnt 0x0
	v_lshrrev_b32_e32 v14, 16, v13
	v_mad_i32_i24 v16, 0xffffffda, v0, v11
	ds_store_b16 v16, v14 offset:10240
	s_wait_loadcnt_dscnt 0x0
	s_barrier_signal -1
	s_barrier_wait -1
	s_and_saveexec_b32 s0, s3
; %bb.138:
	v_mul_i32_i24_e32 v15, 0xffffffda, v0
	s_delay_alu instid0(VALU_DEP_1)
	v_add_nc_u32_e32 v15, v11, v15
	ds_load_u16 v15, v15 offset:10238
; %bb.139:
	s_or_b32 exec_lo, exec_lo, s0
	s_wait_dscnt 0x0
	s_barrier_signal -1
	s_barrier_wait -1
	s_clause 0x13
	flat_load_u16 v16, v0, s[28:29] scale_offset
	flat_load_u16 v17, v0, s[28:29] offset:512 scale_offset
	flat_load_u16 v18, v0, s[28:29] offset:1024 scale_offset
	flat_load_u16 v19, v0, s[28:29] offset:1536 scale_offset
	flat_load_u16 v20, v0, s[28:29] offset:2048 scale_offset
	flat_load_u16 v21, v0, s[28:29] offset:2560 scale_offset
	flat_load_u16 v22, v0, s[28:29] offset:3072 scale_offset
	flat_load_u16 v23, v0, s[28:29] offset:3584 scale_offset
	flat_load_u16 v24, v0, s[28:29] offset:4096 scale_offset
	flat_load_u16 v25, v0, s[28:29] offset:4608 scale_offset
	flat_load_u16 v26, v0, s[28:29] offset:5120 scale_offset
	flat_load_u16 v27, v0, s[28:29] offset:5632 scale_offset
	flat_load_u16 v28, v0, s[28:29] offset:6144 scale_offset
	flat_load_u16 v29, v0, s[28:29] offset:6656 scale_offset
	flat_load_u16 v30, v0, s[28:29] offset:7168 scale_offset
	flat_load_u16 v31, v0, s[28:29] offset:7680 scale_offset
	flat_load_u16 v32, v0, s[28:29] offset:8192 scale_offset
	flat_load_u16 v33, v0, s[28:29] offset:8704 scale_offset
	flat_load_u16 v34, v0, s[28:29] offset:9216 scale_offset
	flat_load_u16 v35, v0, s[28:29] offset:9728 scale_offset
	v_dual_lshrrev_b32 v36, 16, v6 :: v_dual_lshrrev_b32 v37, 16, v7
	v_cmp_eq_u16_e32 vcc_lo, v15, v6
	v_dual_lshrrev_b32 v38, 16, v8 :: v_dual_lshrrev_b32 v39, 16, v9
	v_dual_lshrrev_b32 v40, 16, v2 :: v_dual_lshrrev_b32 v41, 16, v3
	v_cndmask_b32_e64 v45, 0x10000, 0, vcc_lo
	v_cmp_eq_u16_e32 vcc_lo, v6, v36
	v_dual_lshrrev_b32 v42, 16, v4 :: v_dual_lshrrev_b32 v43, 16, v5
	v_cmp_ne_u16_e64 s4, v13, v14
	s_mov_b32 s5, -1
	v_cndmask_b32_e64 v47, 0x10000, 0, vcc_lo
	v_cmp_eq_u16_e32 vcc_lo, v36, v7
	s_wait_loadcnt_dscnt 0x1313
	ds_store_b16 v10, v16
	s_wait_loadcnt_dscnt 0x1213
	ds_store_b16 v10, v17 offset:512
	s_wait_loadcnt_dscnt 0x1113
	ds_store_b16 v10, v18 offset:1024
	;; [unrolled: 2-line block ×19, first 2 shown]
	v_cndmask_b32_e64 v36, 0x10000, 0, vcc_lo
	v_cmp_eq_u16_e32 vcc_lo, v7, v37
	s_wait_dscnt 0x0
	s_barrier_signal -1
	s_barrier_wait -1
	v_cndmask_b32_e64 v48, 0x10000, 0, vcc_lo
	v_cmp_eq_u16_e32 vcc_lo, v37, v8
	ds_load_2addr_b64 v[14:17], v11 offset0:2 offset1:3
	v_cndmask_b32_e64 v37, 0x10000, 0, vcc_lo
	v_cmp_eq_u16_e32 vcc_lo, v8, v38
	v_cndmask_b32_e64 v51, 0x10000, 0, vcc_lo
	v_cmp_eq_u16_e32 vcc_lo, v38, v9
	;; [unrolled: 2-line block ×3, first 2 shown]
	ds_load_2addr_b64 v[6:9], v11 offset1:1
	s_wait_dscnt 0x1
	v_dual_lshrrev_b32 v44, 16, v12 :: v_dual_lshrrev_b32 v26, 16, v14
	v_dual_lshrrev_b32 v27, 16, v15 :: v_dual_lshrrev_b32 v28, 16, v16
	v_cndmask_b32_e64 v53, 0x10000, 0, vcc_lo
	v_cmp_eq_u16_e32 vcc_lo, v39, v2
	v_cndmask_b32_e64 v39, 0x10000, 0, vcc_lo
	v_cmp_eq_u16_e32 vcc_lo, v2, v40
	s_delay_alu instid0(VALU_DEP_2)
	v_and_or_b32 v46, 0xffff, v14, v39
	v_cndmask_b32_e64 v55, 0x10000, 0, vcc_lo
	v_cmp_eq_u16_e32 vcc_lo, v40, v3
	s_wait_dscnt 0x0
	v_dual_lshrrev_b32 v22, 16, v6 :: v_dual_lshrrev_b32 v23, 16, v7
	v_lshrrev_b32_e32 v24, 16, v8
	v_cndmask_b32_e64 v18, 0x10000, 0, vcc_lo
	v_cmp_eq_u16_e32 vcc_lo, v3, v41
	ds_load_b64 v[2:3], v11 offset:32
	v_lshrrev_b32_e32 v25, 16, v9
	v_lshrrev_b32_e32 v29, 16, v17
	v_and_or_b32 v31, 0xffff, v6, v45
	v_cndmask_b32_e64 v19, 0x10000, 0, vcc_lo
	v_cmp_eq_u16_e32 vcc_lo, v41, v4
	v_and_or_b32 v50, 0xffff, v8, v37
	v_and_or_b32 v49, 0xffff, v9, v38
	v_or_b32_e32 v54, v48, v23
	v_or_b32_e32 v45, v55, v26
	v_cndmask_b32_e64 v20, 0x10000, 0, vcc_lo
	v_cmp_eq_u16_e32 vcc_lo, v4, v42
	v_mov_b32_e32 v26, v46
	s_delay_alu instid0(VALU_DEP_3)
	v_and_or_b32 v40, 0xffff, v16, v20
	v_cndmask_b32_e64 v4, 0x10000, 0, vcc_lo
	v_cmp_eq_u16_e32 vcc_lo, v42, v5
	s_wait_dscnt 0x0
	v_dual_lshrrev_b32 v30, 16, v2 :: v_dual_bitop2_b32 v41, v19, v27 bitop3:0x54
	v_lshrrev_b32_e32 v42, 16, v3
	v_cndmask_b32_e64 v11, 0x10000, 0, vcc_lo
	v_cmp_eq_u16_e32 vcc_lo, v5, v43
	s_delay_alu instid0(VALU_DEP_2) | instskip(SKIP_4) | instid1(VALU_DEP_4)
	v_and_or_b32 v38, 0xffff, v17, v11
	v_cndmask_b32_e64 v5, 0x10000, 0, vcc_lo
	v_cmp_eq_u16_e32 vcc_lo, v43, v12
	v_and_or_b32 v43, 0xffff, v15, v18
	v_dual_mov_b32 v28, v49 :: v_dual_bitop2_b32 v39, v4, v28 bitop3:0x54
	v_dual_mov_b32 v20, v38 :: v_dual_bitop2_b32 v37, v5, v29 bitop3:0x54
	v_cndmask_b32_e64 v21, 0x10000, 0, vcc_lo
	v_cmp_eq_u16_e32 vcc_lo, v12, v44
	s_delay_alu instid0(VALU_DEP_3) | instskip(NEXT) | instid1(VALU_DEP_3)
	v_mov_b32_e32 v19, v37
	v_and_or_b32 v35, 0xffff, v2, v21
	v_cndmask_b32_e64 v12, 0x10000, 0, vcc_lo
	v_cmp_eq_u16_e32 vcc_lo, v44, v13
	v_and_or_b32 v44, 0xffff, v7, v36
	v_or_b32_e32 v2, v47, v22
	v_or_b32_e32 v52, v51, v24
	v_or_b32_e32 v47, v53, v25
	v_cndmask_b32_e64 v13, 0x10000, 0, vcc_lo
	v_dual_mov_b32 v18, v35 :: v_dual_bitop2_b32 v36, v12, v30 bitop3:0x54
	v_dual_mov_b32 v33, v44 :: v_dual_mov_b32 v30, v50
	s_delay_alu instid0(VALU_DEP_3)
	v_and_or_b32 v16, 0xffff, v3, v13
	v_dual_mov_b32 v24, v43 :: v_dual_mov_b32 v22, v40
	v_dual_mov_b32 v34, v2 :: v_dual_mov_b32 v32, v54
	;; [unrolled: 1-line block ×5, first 2 shown]
.LBB344_140:
	v_mov_b32_e32 v11, 0
	s_and_saveexec_b32 s0, s5
	s_cbranch_execz .LBB344_142
; %bb.141:
	v_and_b32_e32 v3, 0xffff, v42
	v_cndmask_b32_e64 v4, 0, 0x10000, s4
	v_dual_mov_b32 v17, v36 :: v_dual_mov_b32 v18, v35
	v_dual_mov_b32 v19, v37 :: v_dual_mov_b32 v20, v38
	s_delay_alu instid0(VALU_DEP_3)
	v_dual_mov_b32 v21, v39 :: v_dual_bitop2_b32 v11, v4, v3 bitop3:0x54
	v_dual_mov_b32 v22, v40 :: v_dual_mov_b32 v23, v41
	v_dual_mov_b32 v24, v43 :: v_dual_mov_b32 v25, v45
	;; [unrolled: 1-line block ×6, first 2 shown]
.LBB344_142:
	s_or_b32 exec_lo, exec_lo, s0
	v_dual_lshrrev_b32 v45, 3, v0 :: v_dual_bitop2_b32 v2, v27, v26 bitop3:0x54
	v_or_b32_e32 v3, v19, v18
	v_cmp_ne_u32_e32 vcc_lo, 0, v1
	v_or_b32_e32 v43, v17, v16
	v_cmp_gt_u32_e64 s20, 0x10000, v34
	v_cmp_gt_u32_e64 s19, 0x10000, v33
	;; [unrolled: 1-line block ×8, first 2 shown]
	v_or3_b32 v44, v2, v28, v29
	v_cmp_gt_u32_e64 s13, 0x10000, v25
	v_cmp_gt_u32_e64 s11, 0x10000, v24
	;; [unrolled: 1-line block ×8, first 2 shown]
	v_or3_b32 v46, v3, v20, v21
	v_cmp_gt_u32_e64 s5, 0x10000, v17
	v_cmp_gt_u32_e64 s1, 0x10000, v16
	;; [unrolled: 1-line block ×4, first 2 shown]
	s_barrier_signal -1
	s_barrier_wait -1
	s_cbranch_vccz .LBB344_192
; %bb.143:
	v_dual_cndmask_b32 v2, 0, v31, s20 :: v_dual_bitop2_b32 v5, 28, v45 bitop3:0x40
	v_or3_b32 v3, v46, v22, v23
	v_or3_b32 v4, v44, v30, v32
	v_lshrrev_b32_e32 v12, 16, v31
	s_delay_alu instid0(VALU_DEP_4) | instskip(NEXT) | instid1(VALU_DEP_4)
	v_add_nc_u16 v2, v2, v34
	v_or3_b32 v3, v3, v24, v25
	s_delay_alu instid0(VALU_DEP_4) | instskip(NEXT) | instid1(VALU_DEP_3)
	v_or3_b32 v4, v4, v33, v34
	v_cndmask_b32_e64 v2, 0, v2, s19
	s_delay_alu instid0(VALU_DEP_3) | instskip(NEXT) | instid1(VALU_DEP_2)
	v_or3_b32 v3, v11, v43, v3
	v_add_nc_u16 v2, v2, v33
	s_delay_alu instid0(VALU_DEP_2) | instskip(SKIP_1) | instid1(VALU_DEP_2)
	v_bitop3_b32 v3, v3, 0xff0000, v4 bitop3:0xc8
	v_lshl_add_u32 v4, v0, 2, v5
	v_cmp_eq_u32_e32 vcc_lo, 0, v3
	s_delay_alu instid0(VALU_DEP_4) | instskip(NEXT) | instid1(VALU_DEP_1)
	v_dual_cndmask_b32 v2, 0, v2, s18 :: v_dual_cndmask_b32 v14, 1, v12, vcc_lo
	v_add_nc_u16 v2, v2, v32
	s_delay_alu instid0(VALU_DEP_1) | instskip(NEXT) | instid1(VALU_DEP_1)
	v_cndmask_b32_e64 v2, 0, v2, s17
	v_add_nc_u16 v2, v2, v30
	s_delay_alu instid0(VALU_DEP_1) | instskip(NEXT) | instid1(VALU_DEP_1)
	v_cndmask_b32_e64 v2, 0, v2, s16
	;; [unrolled: 3-line block ×16, first 2 shown]
	v_add_nc_u16 v13, v2, v11
	ds_store_b16 v4, v13
	ds_store_b8 v4, v14 offset:2
	s_wait_dscnt 0x0
	s_barrier_signal -1
	s_barrier_wait -1
	s_and_saveexec_b32 s28, s21
	s_cbranch_execz .LBB344_155
; %bb.144:
	v_and_b32_e32 v2, 0xfc, v0
	v_lshlrev_b32_e32 v3, 5, v0
	s_mov_b32 s29, exec_lo
	s_delay_alu instid0(VALU_DEP_1)
	v_add_nc_u32_e32 v2, v2, v3
	ds_load_u8 v4, v2 offset:6
	ds_load_b32 v3, v2
	ds_load_u16 v5, v2 offset:4
	ds_load_u8 v6, v2 offset:10
	ds_load_u16 v7, v2 offset:8
	ds_load_u16 v8, v2 offset:12
	ds_load_u8 v9, v2 offset:14
	ds_load_u16 v15, v2 offset:16
	s_wait_dscnt 0x7
	v_cmp_eq_u16_e32 vcc_lo, 0, v4
	s_wait_dscnt 0x4
	v_dual_cndmask_b32 v35, 0, v3, vcc_lo :: v_dual_bitop2_b32 v4, v6, v4 bitop3:0x54
	v_cmp_eq_u16_e32 vcc_lo, 0, v6
	s_delay_alu instid0(VALU_DEP_2) | instskip(SKIP_4) | instid1(VALU_DEP_2)
	v_add_nc_u16 v5, v35, v5
	ds_load_u8 v35, v2 offset:18
	v_cndmask_b32_e32 v5, 0, v5, vcc_lo
	s_wait_dscnt 0x2
	v_cmp_eq_u16_e32 vcc_lo, 0, v9
	v_add_nc_u16 v5, v5, v7
	ds_load_u8 v7, v2 offset:22
	v_cndmask_b32_e32 v5, 0, v5, vcc_lo
	s_delay_alu instid0(VALU_DEP_1)
	v_add_nc_u16 v5, v5, v8
	ds_load_u16 v8, v2 offset:20
	ds_load_u16 v36, v2 offset:24
	ds_load_u8 v37, v2 offset:26
	ds_load_u16 v38, v2 offset:28
	ds_load_u8 v39, v2 offset:30
	s_wait_dscnt 0x6
	v_cmp_eq_u16_e32 vcc_lo, 0, v35
	v_bitop3_b16 v6, v4, v35, v9 bitop3:0xfe
	v_and_b32_e32 v4, 0x10000, v3
	v_cndmask_b32_e32 v5, 0, v5, vcc_lo
	s_wait_dscnt 0x5
	v_cmp_eq_u16_e32 vcc_lo, 0, v7
	s_wait_dscnt 0x2
	v_bitop3_b16 v6, v6, v37, v7 bitop3:0xfe
	s_wait_dscnt 0x0
	v_and_b32_e32 v7, 1, v39
	v_add_nc_u16 v5, v5, v15
	s_delay_alu instid0(VALU_DEP_1) | instskip(SKIP_1) | instid1(VALU_DEP_2)
	v_cndmask_b32_e32 v5, 0, v5, vcc_lo
	v_cmp_eq_u16_e32 vcc_lo, 0, v37
	v_add_nc_u16 v5, v5, v8
	s_delay_alu instid0(VALU_DEP_1) | instskip(SKIP_1) | instid1(VALU_DEP_2)
	v_cndmask_b32_e32 v5, 0, v5, vcc_lo
	v_cmp_eq_u16_e32 vcc_lo, 0, v39
	;; [unrolled: 4-line block ×3, first 2 shown]
	v_add_nc_u16 v6, v5, v38
	v_cndmask_b32_e32 v8, 0x10000, v4, vcc_lo
	v_cmp_eq_u32_e32 vcc_lo, 1, v7
	v_and_b32_e32 v5, 0xff000000, v3
	v_mbcnt_lo_u32_b32 v7, -1, 0
	v_and_b32_e32 v9, 0xffff, v6
	v_cndmask_b32_e64 v8, v8, 0x10000, vcc_lo
	s_delay_alu instid0(VALU_DEP_1) | instskip(NEXT) | instid1(VALU_DEP_3)
	v_or_b32_e32 v15, v8, v5
	v_or3_b32 v35, v5, v9, v8
	v_and_b32_e32 v8, 15, v7
	s_delay_alu instid0(VALU_DEP_3) | instskip(NEXT) | instid1(VALU_DEP_3)
	v_lshrrev_b32_e32 v9, 16, v15
	v_mov_b32_dpp v36, v35 row_shr:1 row_mask:0xf bank_mask:0xf
	s_delay_alu instid0(VALU_DEP_3)
	v_cmpx_ne_u32_e32 0, v8
	s_cbranch_execz .LBB344_146
; %bb.145:
	s_delay_alu instid0(VALU_DEP_2) | instskip(SKIP_1) | instid1(VALU_DEP_2)
	v_dual_lshrrev_b32 v9, 16, v15 :: v_dual_lshrrev_b32 v35, 16, v36
	v_and_b32_e32 v15, 0x10000, v15
	v_and_b32_e32 v9, 0xff, v9
	s_delay_alu instid0(VALU_DEP_1) | instskip(NEXT) | instid1(VALU_DEP_4)
	v_cmp_eq_u16_e32 vcc_lo, 0, v9
	v_dual_cndmask_b32 v36, 0, v36, vcc_lo :: v_dual_bitop2_b32 v35, 1, v35 bitop3:0x40
	s_delay_alu instid0(VALU_DEP_4) | instskip(NEXT) | instid1(VALU_DEP_2)
	v_cmp_ne_u32_e32 vcc_lo, 0, v15
	v_add_nc_u16 v6, v36, v6
	s_delay_alu instid0(VALU_DEP_3) | instskip(NEXT) | instid1(VALU_DEP_2)
	v_cndmask_b32_e64 v9, v35, 1, vcc_lo
	v_and_b32_e32 v35, 0xffff, v6
	s_delay_alu instid0(VALU_DEP_2) | instskip(NEXT) | instid1(VALU_DEP_1)
	v_lshlrev_b32_e32 v15, 16, v9
	v_or3_b32 v35, v15, v35, v5
.LBB344_146:
	s_or_b32 exec_lo, exec_lo, s29
	s_delay_alu instid0(VALU_DEP_1)
	v_lshrrev_b32_e32 v15, 16, v35
	v_mov_b32_dpp v36, v35 row_shr:2 row_mask:0xf bank_mask:0xf
	s_mov_b32 s29, exec_lo
	v_cmpx_lt_u32_e32 1, v8
	s_cbranch_execz .LBB344_148
; %bb.147:
	v_and_b32_e32 v15, 0xff, v15
	v_and_b32_e32 v35, 0x10000, v35
	s_delay_alu instid0(VALU_DEP_2) | instskip(SKIP_1) | instid1(VALU_DEP_1)
	v_cmp_eq_u16_e32 vcc_lo, 0, v15
	v_dual_lshrrev_b32 v9, 16, v36 :: v_dual_cndmask_b32 v15, 0, v36, vcc_lo
	v_and_b32_e32 v9, 1, v9
	s_delay_alu instid0(VALU_DEP_4) | instskip(NEXT) | instid1(VALU_DEP_3)
	v_cmp_ne_u32_e32 vcc_lo, 0, v35
	v_add_nc_u16 v6, v15, v6
	s_delay_alu instid0(VALU_DEP_3) | instskip(NEXT) | instid1(VALU_DEP_2)
	v_cndmask_b32_e64 v9, v9, 1, vcc_lo
	v_and_b32_e32 v35, 0xffff, v6
	s_delay_alu instid0(VALU_DEP_2) | instskip(NEXT) | instid1(VALU_DEP_1)
	v_lshlrev_b32_e32 v15, 16, v9
	v_or3_b32 v35, v15, v35, v5
	v_mov_b32_e32 v15, v9
.LBB344_148:
	s_or_b32 exec_lo, exec_lo, s29
	s_delay_alu instid0(VALU_DEP_2)
	v_mov_b32_dpp v36, v35 row_shr:4 row_mask:0xf bank_mask:0xf
	s_mov_b32 s29, exec_lo
	v_cmpx_lt_u32_e32 3, v8
	s_cbranch_execz .LBB344_150
; %bb.149:
	v_and_b32_e32 v35, 0xff, v15
	v_dual_lshrrev_b32 v9, 16, v36 :: v_dual_bitop2_b32 v15, 1, v15 bitop3:0x40
	s_delay_alu instid0(VALU_DEP_2) | instskip(NEXT) | instid1(VALU_DEP_2)
	v_cmp_eq_u16_e32 vcc_lo, 0, v35
	v_dual_cndmask_b32 v35, 0, v36, vcc_lo :: v_dual_bitop2_b32 v9, 1, v9 bitop3:0x40
	s_delay_alu instid0(VALU_DEP_3) | instskip(NEXT) | instid1(VALU_DEP_2)
	v_cmp_eq_u32_e32 vcc_lo, 1, v15
	v_add_nc_u16 v6, v35, v6
	s_delay_alu instid0(VALU_DEP_3) | instskip(NEXT) | instid1(VALU_DEP_2)
	v_cndmask_b32_e64 v9, v9, 1, vcc_lo
	v_and_b32_e32 v35, 0xffff, v6
	s_delay_alu instid0(VALU_DEP_2) | instskip(NEXT) | instid1(VALU_DEP_1)
	v_lshlrev_b32_e32 v15, 16, v9
	v_or3_b32 v35, v15, v35, v5
	v_mov_b32_e32 v15, v9
.LBB344_150:
	s_or_b32 exec_lo, exec_lo, s29
	s_delay_alu instid0(VALU_DEP_2)
	v_mov_b32_dpp v36, v35 row_shr:8 row_mask:0xf bank_mask:0xf
	s_mov_b32 s29, exec_lo
	v_cmpx_lt_u32_e32 7, v8
	s_cbranch_execz .LBB344_152
; %bb.151:
	v_and_b32_e32 v9, 0xff, v15
	v_dual_lshrrev_b32 v8, 16, v36 :: v_dual_bitop2_b32 v15, 1, v15 bitop3:0x40
	s_delay_alu instid0(VALU_DEP_2) | instskip(NEXT) | instid1(VALU_DEP_2)
	v_cmp_eq_u16_e32 vcc_lo, 0, v9
	v_and_b32_e32 v8, 1, v8
	v_cndmask_b32_e32 v35, 0, v36, vcc_lo
	s_delay_alu instid0(VALU_DEP_4) | instskip(NEXT) | instid1(VALU_DEP_3)
	v_cmp_eq_u32_e32 vcc_lo, 1, v15
	v_cndmask_b32_e64 v9, v8, 1, vcc_lo
	s_delay_alu instid0(VALU_DEP_1) | instskip(NEXT) | instid1(VALU_DEP_4)
	v_lshlrev_b32_e32 v8, 16, v9
	v_add_nc_u16 v6, v35, v6
	s_delay_alu instid0(VALU_DEP_1) | instskip(NEXT) | instid1(VALU_DEP_1)
	v_and_b32_e32 v15, 0xffff, v6
	v_or3_b32 v35, v8, v15, v5
	v_mov_b32_e32 v15, v9
.LBB344_152:
	s_or_b32 exec_lo, exec_lo, s29
	ds_swizzle_b32 v8, v35 offset:swizzle(BROADCAST,32,15)
	v_and_b32_e32 v35, 16, v7
	s_mov_b32 s29, exec_lo
	s_delay_alu instid0(VALU_DEP_1)
	v_cmpx_ne_u32_e32 0, v35
	s_cbranch_execz .LBB344_154
; %bb.153:
	v_and_b32_e32 v9, 0xff, v15
	s_delay_alu instid0(VALU_DEP_1) | instskip(SKIP_2) | instid1(VALU_DEP_1)
	v_cmp_eq_u16_e32 vcc_lo, 0, v9
	s_wait_dscnt 0x0
	v_dual_lshrrev_b32 v35, 16, v8 :: v_dual_bitop2_b32 v9, 1, v15 bitop3:0x40
	v_dual_cndmask_b32 v8, 0, v8, vcc_lo :: v_dual_bitop2_b32 v15, 1, v35 bitop3:0x40
	s_delay_alu instid0(VALU_DEP_2) | instskip(NEXT) | instid1(VALU_DEP_2)
	v_cmp_eq_u32_e32 vcc_lo, 1, v9
	v_add_nc_u16 v6, v8, v6
	s_delay_alu instid0(VALU_DEP_3)
	v_cndmask_b32_e64 v9, v15, 1, vcc_lo
.LBB344_154:
	s_or_b32 exec_lo, exec_lo, s29
	s_wait_dscnt 0x0
	s_delay_alu instid0(VALU_DEP_1) | instskip(SKIP_2) | instid1(VALU_DEP_3)
	v_and_b32_e32 v8, 0xff, v9
	v_add_nc_u32_e32 v9, -1, v7
	v_and_b32_e32 v6, 0xffff, v6
	; wave barrier
	v_lshlrev_b32_e32 v8, 16, v8
	s_delay_alu instid0(VALU_DEP_3) | instskip(NEXT) | instid1(VALU_DEP_2)
	v_cmp_gt_i32_e32 vcc_lo, 0, v9
	v_or3_b32 v5, v8, v6, v5
	v_cndmask_b32_e32 v7, v9, v7, vcc_lo
	s_delay_alu instid0(VALU_DEP_1) | instskip(SKIP_2) | instid1(VALU_DEP_1)
	v_lshlrev_b32_e32 v6, 2, v7
	ds_bpermute_b32 v5, v6, v5
	v_and_b32_e32 v6, 0xff0000, v3
	v_cmp_eq_u32_e32 vcc_lo, 0, v6
	s_wait_dscnt 0x0
	v_dual_lshrrev_b32 v7, 16, v5 :: v_dual_cndmask_b32 v5, 0, v5, vcc_lo
	v_cmp_eq_u32_e32 vcc_lo, 0, v4
	s_delay_alu instid0(VALU_DEP_2) | instskip(NEXT) | instid1(VALU_DEP_1)
	v_add_nc_u16 v3, v5, v3
	v_dual_cndmask_b32 v3, v3, v13, s2 :: v_dual_bitop2_b32 v6, 1, v7 bitop3:0x40
	s_delay_alu instid0(VALU_DEP_1) | instskip(NEXT) | instid1(VALU_DEP_1)
	v_cndmask_b32_e32 v4, 1, v6, vcc_lo
	v_cndmask_b32_e64 v4, v4, v14, s2
	ds_store_b16 v2, v3
	ds_store_b8 v2, v4 offset:2
	; wave barrier
	ds_load_u8 v5, v2 offset:6
	ds_load_u16 v6, v2 offset:4
	ds_load_u8 v7, v2 offset:10
	ds_load_u16 v8, v2 offset:8
	ds_load_u16 v9, v2 offset:12
	ds_load_u8 v15, v2 offset:14
	ds_load_u16 v35, v2 offset:16
	ds_load_u8 v36, v2 offset:18
	s_wait_dscnt 0x7
	v_cmp_eq_u16_e32 vcc_lo, 0, v5
	v_cndmask_b32_e32 v3, 0, v3, vcc_lo
	s_wait_dscnt 0x5
	v_cmp_eq_u16_e32 vcc_lo, 0, v7
	s_delay_alu instid0(VALU_DEP_2) | instskip(NEXT) | instid1(VALU_DEP_1)
	v_add_nc_u16 v3, v3, v6
	v_cndmask_b32_e32 v6, 0, v3, vcc_lo
	s_wait_dscnt 0x2
	v_cmp_eq_u16_e32 vcc_lo, 0, v15
	s_delay_alu instid0(VALU_DEP_2)
	v_add_nc_u16 v6, v6, v8
	v_and_b32_e32 v5, 1, v5
	ds_load_u8 v8, v2 offset:22
	ds_load_u16 v38, v2 offset:20
	ds_load_u8 v39, v2 offset:26
	ds_load_u8 v40, v2 offset:30
	v_cndmask_b32_e32 v37, 0, v6, vcc_lo
	v_cmp_eq_u32_e32 vcc_lo, 1, v5
	v_and_b32_e32 v5, 1, v15
	s_delay_alu instid0(VALU_DEP_3)
	v_add_nc_u16 v9, v37, v9
	v_cndmask_b32_e64 v4, v4, 1, vcc_lo
	s_wait_dscnt 0x4
	v_cmp_eq_u16_e32 vcc_lo, 0, v36
	v_and_b32_e32 v7, 1, v7
	ds_load_u16 v37, v2 offset:24
	ds_load_u16 v41, v2 offset:28
	v_cndmask_b32_e32 v15, 0, v9, vcc_lo
	v_cmp_eq_u32_e32 vcc_lo, 1, v7
	s_delay_alu instid0(VALU_DEP_2)
	v_add_nc_u16 v15, v15, v35
	v_cndmask_b32_e64 v7, v4, 1, vcc_lo
	v_cmp_eq_u32_e32 vcc_lo, 1, v5
	v_and_b32_e32 v35, 1, v36
	s_wait_dscnt 0x2
	v_and_b32_e32 v42, 1, v40
	v_cndmask_b32_e64 v5, v7, 1, vcc_lo
	v_cmp_eq_u16_e32 vcc_lo, 0, v8
	v_dual_cndmask_b32 v36, 0, v15, vcc_lo :: v_dual_bitop2_b32 v8, 1, v8 bitop3:0x40
	v_cmp_eq_u32_e32 vcc_lo, 1, v35
	s_delay_alu instid0(VALU_DEP_2) | instskip(SKIP_1) | instid1(VALU_DEP_4)
	v_add_nc_u16 v36, v36, v38
	v_cndmask_b32_e64 v35, v5, 1, vcc_lo
	v_cmp_eq_u32_e32 vcc_lo, 1, v8
	v_and_b32_e32 v38, 1, v39
	ds_store_b16 v2, v3 offset:4
	ds_store_b8 v2, v4 offset:6
	ds_store_b16 v2, v6 offset:8
	ds_store_b8 v2, v7 offset:10
	;; [unrolled: 2-line block ×4, first 2 shown]
	v_cndmask_b32_e64 v8, v35, 1, vcc_lo
	v_cmp_eq_u16_e32 vcc_lo, 0, v39
	v_cndmask_b32_e32 v39, 0, v36, vcc_lo
	v_cmp_eq_u32_e32 vcc_lo, 1, v38
	s_wait_dscnt 0x9
	s_delay_alu instid0(VALU_DEP_2) | instskip(SKIP_2) | instid1(VALU_DEP_2)
	v_add_nc_u16 v37, v39, v37
	v_cndmask_b32_e64 v38, v8, 1, vcc_lo
	v_cmp_eq_u32_e32 vcc_lo, 1, v42
	v_cndmask_b32_e64 v39, v38, 1, vcc_lo
	v_cmp_eq_u16_e32 vcc_lo, 0, v40
	v_cndmask_b32_e32 v40, 0, v37, vcc_lo
	s_wait_dscnt 0x8
	s_delay_alu instid0(VALU_DEP_1)
	v_add_nc_u16 v3, v40, v41
	ds_store_b16 v2, v36 offset:20
	ds_store_b8 v2, v8 offset:22
	ds_store_b16 v2, v37 offset:24
	ds_store_b8 v2, v38 offset:26
	;; [unrolled: 2-line block ×3, first 2 shown]
.LBB344_155:
	s_or_b32 exec_lo, exec_lo, s28
	s_wait_dscnt 0x0
	s_barrier_signal -1
	s_barrier_wait -1
	s_and_saveexec_b32 s28, s3
	s_cbranch_execz .LBB344_157
; %bb.156:
	v_add_nc_u32_e32 v2, -1, v0
	s_delay_alu instid0(VALU_DEP_1) | instskip(NEXT) | instid1(VALU_DEP_1)
	v_lshrrev_b32_e32 v3, 3, v2
	v_and_b32_e32 v3, 0x1ffffffc, v3
	s_delay_alu instid0(VALU_DEP_1)
	v_lshl_add_u32 v2, v2, 2, v3
	ds_load_u16 v13, v2
	ds_load_u8 v14, v2 offset:2
.LBB344_157:
	s_or_b32 exec_lo, exec_lo, s28
	s_and_saveexec_b32 s28, s21
	s_cbranch_execz .LBB344_269
; %bb.158:
	v_dual_mov_b32 v9, 0 :: v_dual_add_nc_u32 v15, 32, v1
	v_mbcnt_lo_u32_b32 v35, -1, 0
	ds_load_b32 v2, v9 offset:1048
	v_cmp_eq_u32_e64 s21, 0, v35
	s_and_saveexec_b32 s29, s21
	s_cbranch_execz .LBB344_160
; %bb.159:
	v_mov_b32_e32 v3, 1
	s_wait_dscnt 0x0
	global_store_b64 v15, v[2:3], s[36:37] scale_offset scope:SCOPE_DEV
.LBB344_160:
	s_wait_xcnt 0x0
	s_or_b32 exec_lo, exec_lo, s29
	v_xad_u32 v4, v35, -1, v1
	s_mov_b32 s29, exec_lo
	s_delay_alu instid0(VALU_DEP_1) | instskip(SKIP_4) | instid1(VALU_DEP_1)
	v_add_nc_u32_e32 v8, 32, v4
	global_load_b64 v[6:7], v8, s[36:37] scale_offset scope:SCOPE_DEV
	s_wait_loadcnt 0x0
	v_and_b32_e32 v1, 0xff, v7
	s_wait_xcnt 0x0
	v_cmpx_eq_u16_e32 0, v1
	s_cbranch_execz .LBB344_164
; %bb.161:
	v_lshl_add_u64 v[8:9], v[8:9], 3, s[36:37]
	s_mov_b32 s30, 0
.LBB344_162:                            ; =>This Inner Loop Header: Depth=1
	global_load_b64 v[6:7], v[8:9], off scope:SCOPE_DEV
	s_wait_loadcnt 0x0
	v_and_b32_e32 v1, 0xff, v7
	s_delay_alu instid0(VALU_DEP_1)
	v_cmp_ne_u16_e32 vcc_lo, 0, v1
	s_or_b32 s30, vcc_lo, s30
	s_wait_xcnt 0x0
	s_and_not1_b32 exec_lo, exec_lo, s30
	s_cbranch_execnz .LBB344_162
; %bb.163:
	s_or_b32 exec_lo, exec_lo, s30
.LBB344_164:
	s_delay_alu instid0(SALU_CYCLE_1)
	s_or_b32 exec_lo, exec_lo, s29
	v_cmp_ne_u32_e32 vcc_lo, 31, v35
	v_and_b32_e32 v47, 0xffffff, v6
	v_and_b32_e32 v3, 0xff, v7
	v_bfe_u32 v9, v6, 16, 8
	s_mov_b32 s29, exec_lo
	v_add_co_ci_u32_e64 v1, null, 0, v35, vcc_lo
	s_delay_alu instid0(VALU_DEP_3) | instskip(SKIP_1) | instid1(VALU_DEP_3)
	v_cmp_eq_u16_e32 vcc_lo, 2, v3
	v_lshlrev_b32_e64 v3, v35, -1
	v_dual_lshrrev_b32 v8, 16, v6 :: v_dual_lshlrev_b32 v1, 2, v1
	s_delay_alu instid0(VALU_DEP_2) | instskip(SKIP_2) | instid1(VALU_DEP_1)
	v_and_or_b32 v5, vcc_lo, v3, 0x80000000
	ds_bpermute_b32 v36, v1, v47
	v_ctz_i32_b32_e32 v5, v5
	v_cmpx_lt_u32_e64 v35, v5
	s_cbranch_execz .LBB344_166
; %bb.165:
	v_and_b32_e32 v8, 0xff0000, v6
	s_delay_alu instid0(VALU_DEP_1) | instskip(SKIP_3) | instid1(VALU_DEP_1)
	v_and_b32_e32 v37, 0x10000, v8
	v_cmp_eq_u32_e32 vcc_lo, 0, v8
	s_wait_dscnt 0x0
	v_dual_cndmask_b32 v36, 0, v36 :: v_dual_lshrrev_b32 v9, 16, v36
	v_and_b32_e32 v9, 1, v9
	v_cmp_ne_u32_e32 vcc_lo, 0, v37
	s_delay_alu instid0(VALU_DEP_3) | instskip(NEXT) | instid1(VALU_DEP_3)
	v_add_nc_u16 v6, v36, v6
	v_cndmask_b32_e64 v8, v9, 1, vcc_lo
	s_delay_alu instid0(VALU_DEP_2) | instskip(NEXT) | instid1(VALU_DEP_2)
	v_and_b32_e32 v36, 0xffff, v6
	v_lshlrev_b32_e32 v9, 16, v8
	s_delay_alu instid0(VALU_DEP_1)
	v_dual_mov_b32 v9, v8 :: v_dual_bitop2_b32 v47, v9, v36 bitop3:0x54
.LBB344_166:
	s_or_b32 exec_lo, exec_lo, s29
	v_cmp_gt_u32_e32 vcc_lo, 30, v35
	v_add_nc_u32_e32 v37, 2, v35
	s_mov_b32 s29, exec_lo
	s_wait_dscnt 0x0
	v_cndmask_b32_e64 v36, 0, 2, vcc_lo
	s_delay_alu instid0(VALU_DEP_1)
	v_add_lshl_u32 v36, v36, v35, 2
	ds_bpermute_b32 v38, v36, v47
	v_cmpx_le_u32_e64 v37, v5
	s_cbranch_execz .LBB344_168
; %bb.167:
	v_cmp_eq_u16_e32 vcc_lo, 0, v9
	s_wait_dscnt 0x0
	v_dual_lshrrev_b32 v8, 16, v38 :: v_dual_bitop2_b32 v9, 1, v9 bitop3:0x40
	s_delay_alu instid0(VALU_DEP_1) | instskip(NEXT) | instid1(VALU_DEP_2)
	v_dual_cndmask_b32 v38, 0, v38, vcc_lo :: v_dual_bitop2_b32 v8, 1, v8 bitop3:0x40
	v_cmp_eq_u32_e32 vcc_lo, 1, v9
	s_delay_alu instid0(VALU_DEP_2) | instskip(NEXT) | instid1(VALU_DEP_3)
	v_add_nc_u16 v6, v38, v6
	v_cndmask_b32_e64 v8, v8, 1, vcc_lo
	s_delay_alu instid0(VALU_DEP_2) | instskip(NEXT) | instid1(VALU_DEP_2)
	v_and_b32_e32 v9, 0xffff, v6
	v_lshlrev_b32_e32 v38, 16, v8
	s_delay_alu instid0(VALU_DEP_1)
	v_dual_mov_b32 v9, v8 :: v_dual_bitop2_b32 v47, v38, v9 bitop3:0x54
.LBB344_168:
	s_or_b32 exec_lo, exec_lo, s29
	v_cmp_gt_u32_e32 vcc_lo, 28, v35
	v_add_nc_u32_e32 v39, 4, v35
	s_mov_b32 s29, exec_lo
	s_wait_dscnt 0x0
	v_cndmask_b32_e64 v38, 0, 4, vcc_lo
	s_delay_alu instid0(VALU_DEP_1)
	v_add_lshl_u32 v38, v38, v35, 2
	ds_bpermute_b32 v40, v38, v47
	v_cmpx_le_u32_e64 v39, v5
	s_cbranch_execz .LBB344_170
; %bb.169:
	v_cmp_eq_u16_e32 vcc_lo, 0, v9
	s_wait_dscnt 0x0
	v_dual_lshrrev_b32 v8, 16, v40 :: v_dual_bitop2_b32 v9, 1, v9 bitop3:0x40
	v_cndmask_b32_e32 v40, 0, v40, vcc_lo
	s_delay_alu instid0(VALU_DEP_2) | instskip(NEXT) | instid1(VALU_DEP_3)
	v_and_b32_e32 v8, 1, v8
	v_cmp_eq_u32_e32 vcc_lo, 1, v9
	s_delay_alu instid0(VALU_DEP_3) | instskip(NEXT) | instid1(VALU_DEP_3)
	v_add_nc_u16 v6, v40, v6
	v_cndmask_b32_e64 v8, v8, 1, vcc_lo
	s_delay_alu instid0(VALU_DEP_2) | instskip(NEXT) | instid1(VALU_DEP_2)
	v_and_b32_e32 v9, 0xffff, v6
	v_lshlrev_b32_e32 v40, 16, v8
	s_delay_alu instid0(VALU_DEP_1)
	v_or_b32_e32 v47, v40, v9
	v_mov_b32_e32 v9, v8
.LBB344_170:
	s_or_b32 exec_lo, exec_lo, s29
	v_cmp_gt_u32_e32 vcc_lo, 24, v35
	v_add_nc_u32_e32 v41, 8, v35
	s_mov_b32 s29, exec_lo
	s_wait_dscnt 0x0
	v_cndmask_b32_e64 v40, 0, 8, vcc_lo
	s_delay_alu instid0(VALU_DEP_1)
	v_add_lshl_u32 v40, v40, v35, 2
	ds_bpermute_b32 v42, v40, v47
	v_cmpx_le_u32_e64 v41, v5
	s_cbranch_execz .LBB344_172
; %bb.171:
	v_cmp_eq_u16_e32 vcc_lo, 0, v9
	s_wait_dscnt 0x0
	v_dual_lshrrev_b32 v8, 16, v42 :: v_dual_bitop2_b32 v9, 1, v9 bitop3:0x40
	s_delay_alu instid0(VALU_DEP_1) | instskip(NEXT) | instid1(VALU_DEP_2)
	v_dual_cndmask_b32 v42, 0, v42, vcc_lo :: v_dual_bitop2_b32 v8, 1, v8 bitop3:0x40
	v_cmp_eq_u32_e32 vcc_lo, 1, v9
	s_delay_alu instid0(VALU_DEP_2) | instskip(NEXT) | instid1(VALU_DEP_3)
	v_add_nc_u16 v6, v42, v6
	v_cndmask_b32_e64 v8, v8, 1, vcc_lo
	s_delay_alu instid0(VALU_DEP_2) | instskip(NEXT) | instid1(VALU_DEP_2)
	v_and_b32_e32 v9, 0xffff, v6
	v_lshlrev_b32_e32 v42, 16, v8
	s_delay_alu instid0(VALU_DEP_1)
	v_dual_mov_b32 v9, v8 :: v_dual_bitop2_b32 v47, v42, v9 bitop3:0x54
.LBB344_172:
	s_or_b32 exec_lo, exec_lo, s29
	s_wait_dscnt 0x0
	v_lshl_or_b32 v42, v35, 2, 64
	s_mov_b32 s29, exec_lo
	ds_bpermute_b32 v48, v42, v47
	v_add_nc_u32_e32 v47, 16, v35
	s_delay_alu instid0(VALU_DEP_1)
	v_cmpx_le_u32_e64 v47, v5
	s_cbranch_execz .LBB344_174
; %bb.173:
	v_cmp_eq_u16_e32 vcc_lo, 0, v9
	s_wait_dscnt 0x0
	v_dual_lshrrev_b32 v5, 16, v48 :: v_dual_bitop2_b32 v9, 1, v9 bitop3:0x40
	s_delay_alu instid0(VALU_DEP_1) | instskip(NEXT) | instid1(VALU_DEP_2)
	v_dual_cndmask_b32 v8, 0, v48, vcc_lo :: v_dual_bitop2_b32 v5, 1, v5 bitop3:0x40
	v_cmp_eq_u32_e32 vcc_lo, 1, v9
	s_delay_alu instid0(VALU_DEP_2) | instskip(NEXT) | instid1(VALU_DEP_3)
	v_add_nc_u16 v6, v8, v6
	v_cndmask_b32_e64 v8, v5, 1, vcc_lo
.LBB344_174:
	s_or_b32 exec_lo, exec_lo, s29
	v_mov_b32_e32 v5, 0
	s_branch .LBB344_177
.LBB344_175:                            ;   in Loop: Header=BB344_177 Depth=1
	s_or_b32 exec_lo, exec_lo, s29
	v_and_b32_e32 v8, 0xff, v48
	s_delay_alu instid0(VALU_DEP_2) | instskip(SKIP_2) | instid1(VALU_DEP_3)
	v_and_b32_e32 v9, 1, v9
	v_subrev_nc_u32_e32 v4, 32, v4
	s_mov_b32 s29, 0
	v_cmp_eq_u16_e32 vcc_lo, 0, v8
	v_dual_cndmask_b32 v6, 0, v6, vcc_lo :: v_dual_bitop2_b32 v8, 1, v48 bitop3:0x40
	s_delay_alu instid0(VALU_DEP_1) | instskip(NEXT) | instid1(VALU_DEP_2)
	v_cmp_eq_u32_e32 vcc_lo, 1, v8
	v_add_nc_u16 v6, v6, v49
	v_cndmask_b32_e64 v8, v9, 1, vcc_lo
.LBB344_176:                            ;   in Loop: Header=BB344_177 Depth=1
	s_and_b32 vcc_lo, exec_lo, s29
	s_cbranch_vccnz .LBB344_265
.LBB344_177:                            ; =>This Loop Header: Depth=1
                                        ;     Child Loop BB344_180 Depth 2
	v_and_b32_e32 v7, 0xff, v7
	s_wait_dscnt 0x0
	v_dual_mov_b32 v48, v8 :: v_dual_mov_b32 v49, v6
	s_mov_b32 s29, -1
                                        ; implicit-def: $vgpr8
	s_delay_alu instid0(VALU_DEP_2)
	v_cmp_ne_u16_e32 vcc_lo, 2, v7
                                        ; implicit-def: $vgpr6
	s_cmp_lg_u32 vcc_lo, exec_lo
	s_cbranch_scc1 .LBB344_176
; %bb.178:                              ;   in Loop: Header=BB344_177 Depth=1
	global_load_b64 v[6:7], v4, s[36:37] scale_offset scope:SCOPE_DEV
	s_mov_b32 s29, exec_lo
	s_wait_loadcnt 0x0
	v_and_b32_e32 v8, 0xff, v7
	s_wait_xcnt 0x0
	s_delay_alu instid0(VALU_DEP_1)
	v_cmpx_eq_u16_e32 0, v8
	s_cbranch_execz .LBB344_182
; %bb.179:                              ;   in Loop: Header=BB344_177 Depth=1
	v_lshl_add_u64 v[8:9], v[4:5], 3, s[36:37]
	s_mov_b32 s30, 0
.LBB344_180:                            ;   Parent Loop BB344_177 Depth=1
                                        ; =>  This Inner Loop Header: Depth=2
	global_load_b64 v[6:7], v[8:9], off scope:SCOPE_DEV
	s_wait_loadcnt 0x0
	v_and_b32_e32 v50, 0xff, v7
	s_delay_alu instid0(VALU_DEP_1)
	v_cmp_ne_u16_e32 vcc_lo, 0, v50
	s_or_b32 s30, vcc_lo, s30
	s_wait_xcnt 0x0
	s_and_not1_b32 exec_lo, exec_lo, s30
	s_cbranch_execnz .LBB344_180
; %bb.181:                              ;   in Loop: Header=BB344_177 Depth=1
	s_or_b32 exec_lo, exec_lo, s30
.LBB344_182:                            ;   in Loop: Header=BB344_177 Depth=1
	s_delay_alu instid0(SALU_CYCLE_1)
	s_or_b32 exec_lo, exec_lo, s29
	v_and_b32_e32 v51, 0xffffff, v6
	v_and_b32_e32 v8, 0xff, v7
	v_lshrrev_b32_e32 v9, 16, v6
	v_bfe_u32 v50, v6, 16, 8
	s_mov_b32 s29, exec_lo
	ds_bpermute_b32 v52, v1, v51
	v_cmp_eq_u16_e32 vcc_lo, 2, v8
	v_and_or_b32 v8, vcc_lo, v3, 0x80000000
	s_delay_alu instid0(VALU_DEP_1) | instskip(NEXT) | instid1(VALU_DEP_1)
	v_ctz_i32_b32_e32 v8, v8
	v_cmpx_lt_u32_e64 v35, v8
	s_cbranch_execz .LBB344_184
; %bb.183:                              ;   in Loop: Header=BB344_177 Depth=1
	v_and_b32_e32 v9, 0xff0000, v6
	s_delay_alu instid0(VALU_DEP_1) | instskip(SKIP_3) | instid1(VALU_DEP_1)
	v_and_b32_e32 v51, 0x10000, v9
	v_cmp_eq_u32_e32 vcc_lo, 0, v9
	s_wait_dscnt 0x0
	v_dual_lshrrev_b32 v50, 16, v52 :: v_dual_cndmask_b32 v52, 0, v52, vcc_lo
	v_and_b32_e32 v50, 1, v50
	v_cmp_ne_u32_e32 vcc_lo, 0, v51
	s_delay_alu instid0(VALU_DEP_3) | instskip(NEXT) | instid1(VALU_DEP_3)
	v_add_nc_u16 v6, v52, v6
	v_cndmask_b32_e64 v9, v50, 1, vcc_lo
	s_delay_alu instid0(VALU_DEP_2) | instskip(NEXT) | instid1(VALU_DEP_2)
	v_and_b32_e32 v51, 0xffff, v6
	v_lshlrev_b32_e32 v50, 16, v9
	s_delay_alu instid0(VALU_DEP_1)
	v_dual_mov_b32 v50, v9 :: v_dual_bitop2_b32 v51, v50, v51 bitop3:0x54
.LBB344_184:                            ;   in Loop: Header=BB344_177 Depth=1
	s_or_b32 exec_lo, exec_lo, s29
	s_wait_dscnt 0x0
	ds_bpermute_b32 v52, v36, v51
	s_mov_b32 s29, exec_lo
	v_cmpx_le_u32_e64 v37, v8
	s_cbranch_execz .LBB344_186
; %bb.185:                              ;   in Loop: Header=BB344_177 Depth=1
	v_cmp_eq_u16_e32 vcc_lo, 0, v50
	s_wait_dscnt 0x0
	v_dual_lshrrev_b32 v9, 16, v52 :: v_dual_bitop2_b32 v50, 1, v50 bitop3:0x40
	s_delay_alu instid0(VALU_DEP_1) | instskip(NEXT) | instid1(VALU_DEP_2)
	v_dual_cndmask_b32 v51, 0, v52, vcc_lo :: v_dual_bitop2_b32 v9, 1, v9 bitop3:0x40
	v_cmp_eq_u32_e32 vcc_lo, 1, v50
	s_delay_alu instid0(VALU_DEP_2) | instskip(NEXT) | instid1(VALU_DEP_3)
	v_add_nc_u16 v6, v51, v6
	v_cndmask_b32_e64 v9, v9, 1, vcc_lo
	s_delay_alu instid0(VALU_DEP_2) | instskip(NEXT) | instid1(VALU_DEP_2)
	v_and_b32_e32 v50, 0xffff, v6
	v_lshlrev_b32_e32 v51, 16, v9
	s_delay_alu instid0(VALU_DEP_1)
	v_dual_mov_b32 v50, v9 :: v_dual_bitop2_b32 v51, v51, v50 bitop3:0x54
.LBB344_186:                            ;   in Loop: Header=BB344_177 Depth=1
	s_or_b32 exec_lo, exec_lo, s29
	s_wait_dscnt 0x0
	ds_bpermute_b32 v52, v38, v51
	s_mov_b32 s29, exec_lo
	v_cmpx_le_u32_e64 v39, v8
	s_cbranch_execz .LBB344_188
; %bb.187:                              ;   in Loop: Header=BB344_177 Depth=1
	v_cmp_eq_u16_e32 vcc_lo, 0, v50
	s_wait_dscnt 0x0
	v_dual_lshrrev_b32 v9, 16, v52 :: v_dual_bitop2_b32 v50, 1, v50 bitop3:0x40
	s_delay_alu instid0(VALU_DEP_1) | instskip(NEXT) | instid1(VALU_DEP_2)
	v_dual_cndmask_b32 v51, 0, v52, vcc_lo :: v_dual_bitop2_b32 v9, 1, v9 bitop3:0x40
	v_cmp_eq_u32_e32 vcc_lo, 1, v50
	s_delay_alu instid0(VALU_DEP_2) | instskip(NEXT) | instid1(VALU_DEP_3)
	v_add_nc_u16 v6, v51, v6
	v_cndmask_b32_e64 v9, v9, 1, vcc_lo
	s_delay_alu instid0(VALU_DEP_2) | instskip(NEXT) | instid1(VALU_DEP_2)
	v_and_b32_e32 v50, 0xffff, v6
	v_lshlrev_b32_e32 v51, 16, v9
	s_delay_alu instid0(VALU_DEP_1)
	v_dual_mov_b32 v50, v9 :: v_dual_bitop2_b32 v51, v51, v50 bitop3:0x54
.LBB344_188:                            ;   in Loop: Header=BB344_177 Depth=1
	;; [unrolled: 22-line block ×3, first 2 shown]
	s_or_b32 exec_lo, exec_lo, s29
	ds_bpermute_b32 v51, v42, v51
	s_mov_b32 s29, exec_lo
	v_cmpx_le_u32_e64 v47, v8
	s_cbranch_execz .LBB344_175
; %bb.191:                              ;   in Loop: Header=BB344_177 Depth=1
	v_cmp_eq_u16_e32 vcc_lo, 0, v50
	s_wait_dscnt 0x0
	v_dual_lshrrev_b32 v50, 16, v51 :: v_dual_bitop2_b32 v9, 1, v50 bitop3:0x40
	v_cndmask_b32_e32 v8, 0, v51, vcc_lo
	s_delay_alu instid0(VALU_DEP_2) | instskip(NEXT) | instid1(VALU_DEP_2)
	v_cmp_eq_u32_e32 vcc_lo, 1, v9
	v_add_nc_u16 v6, v8, v6
	s_delay_alu instid0(VALU_DEP_4)
	v_cndmask_b32_e64 v9, v50, 1, vcc_lo
	s_branch .LBB344_175
.LBB344_192:
                                        ; implicit-def: $vgpr47
                                        ; implicit-def: $vgpr1
                                        ; implicit-def: $vgpr4
                                        ; implicit-def: $vgpr5
                                        ; implicit-def: $vgpr6
                                        ; implicit-def: $vgpr7
                                        ; implicit-def: $vgpr8
                                        ; implicit-def: $vgpr12
                                        ; implicit-def: $vgpr9
                                        ; implicit-def: $vgpr13
                                        ; implicit-def: $vgpr14
                                        ; implicit-def: $vgpr15
                                        ; implicit-def: $vgpr35
                                        ; implicit-def: $vgpr36
                                        ; implicit-def: $vgpr37
                                        ; implicit-def: $vgpr39
                                        ; implicit-def: $vgpr38
                                        ; implicit-def: $vgpr40
                                        ; implicit-def: $vgpr41
                                        ; implicit-def: $vgpr42
	s_cbranch_execnz .LBB344_270
.LBB344_193:
	s_add_nc_u64 s[0:1], s[22:23], s[34:35]
	s_and_b32 vcc_lo, exec_lo, s33
	s_add_nc_u64 s[0:1], s[0:1], s[24:25]
	s_cbranch_vccz .LBB344_289
.LBB344_194:
	v_mul_u32_u24_e32 v2, 20, v0
	s_add_co_i32 s39, s39, s38
	s_mov_b32 s2, exec_lo
	s_delay_alu instid0(VALU_DEP_1)
	v_cmpx_gt_u32_e64 s39, v2
	s_cbranch_execz .LBB344_226
; %bb.195:
	v_or_b32_e32 v3, 1, v2
	s_mov_b32 s3, exec_lo
	s_delay_alu instid0(VALU_DEP_1)
	v_cmpx_gt_u32_e64 s39, v3
	s_cbranch_execz .LBB344_225
; %bb.196:
	v_or_b32_e32 v3, 2, v2
	;; [unrolled: 6-line block ×3, first 2 shown]
	s_mov_b32 s5, exec_lo
	s_delay_alu instid0(VALU_DEP_1)
	v_cmpx_gt_u32_e64 s39, v3
	s_cbranch_execz .LBB344_223
; %bb.198:
	v_add_nc_u32_e32 v3, 4, v2
	s_mov_b32 s6, exec_lo
	s_delay_alu instid0(VALU_DEP_1)
	v_cmpx_gt_u32_e64 s39, v3
	s_cbranch_execz .LBB344_222
; %bb.199:
	v_add_nc_u32_e32 v3, 5, v2
	;; [unrolled: 6-line block ×12, first 2 shown]
	s_mov_b32 s17, exec_lo
	s_delay_alu instid0(VALU_DEP_1)
	v_cmpx_gt_u32_e64 s39, v3
; %bb.210:
	v_add_nc_u32_e32 v3, 16, v2
	s_mov_b32 s18, exec_lo
	s_delay_alu instid0(VALU_DEP_1)
	v_cmpx_gt_u32_e64 s39, v3
	s_or_b32 exec_lo, exec_lo, s18
; %bb.211:
	s_delay_alu instid0(SALU_CYCLE_1)
	s_or_b32 exec_lo, exec_lo, s17
.LBB344_212:
	s_delay_alu instid0(SALU_CYCLE_1)
	s_or_b32 exec_lo, exec_lo, s16
.LBB344_213:
	s_delay_alu instid0(SALU_CYCLE_1)
	s_or_b32 exec_lo, exec_lo, s15
.LBB344_214:
	s_delay_alu instid0(SALU_CYCLE_1)
	s_or_b32 exec_lo, exec_lo, s14
.LBB344_215:
	s_delay_alu instid0(SALU_CYCLE_1)
	s_or_b32 exec_lo, exec_lo, s13
.LBB344_216:
	s_delay_alu instid0(SALU_CYCLE_1)
	s_or_b32 exec_lo, exec_lo, s12
.LBB344_217:
	s_delay_alu instid0(SALU_CYCLE_1)
	s_or_b32 exec_lo, exec_lo, s11
.LBB344_218:
	s_delay_alu instid0(SALU_CYCLE_1)
	s_or_b32 exec_lo, exec_lo, s10
.LBB344_219:
	s_delay_alu instid0(SALU_CYCLE_1)
	s_or_b32 exec_lo, exec_lo, s9
.LBB344_220:
	s_delay_alu instid0(SALU_CYCLE_1)
	s_or_b32 exec_lo, exec_lo, s8
.LBB344_221:
	s_delay_alu instid0(SALU_CYCLE_1)
	s_or_b32 exec_lo, exec_lo, s7
.LBB344_222:
	s_delay_alu instid0(SALU_CYCLE_1)
	s_or_b32 exec_lo, exec_lo, s6
.LBB344_223:
	s_delay_alu instid0(SALU_CYCLE_1)
	s_or_b32 exec_lo, exec_lo, s5
.LBB344_224:
	s_delay_alu instid0(SALU_CYCLE_1)
	s_or_b32 exec_lo, exec_lo, s4
.LBB344_225:
	s_delay_alu instid0(SALU_CYCLE_1)
	s_or_b32 exec_lo, exec_lo, s3
.LBB344_226:
	s_delay_alu instid0(SALU_CYCLE_1)
	s_or_b32 exec_lo, exec_lo, s2
	v_dual_mov_b32 v11, 0 :: v_dual_lshlrev_b32 v32, 1, v2
	v_perm_b32 v3, v12, v8, 0x5040100
	v_perm_b32 v2, v7, v6, 0x5040100
	;; [unrolled: 1-line block ×10, first 2 shown]
	s_wait_storecnt 0x0
	s_barrier_signal -1
	s_barrier_wait -1
	ds_store_2addr_b64 v32, v[16:17], v[2:3] offset1:1
	ds_store_2addr_b64 v32, v[20:21], v[18:19] offset0:2 offset1:3
	ds_store_b64 v32, v[22:23] offset:32
	v_mad_i32_i24 v2, 0xffffffda, v0, v32
	s_wait_dscnt 0x0
	s_barrier_signal -1
	s_barrier_wait -1
	ds_load_u16 v43, v2 offset:512
	ds_load_u16 v34, v2 offset:1024
	;; [unrolled: 1-line block ×19, first 2 shown]
	v_add_nc_u64_e32 v[2:3], s[0:1], v[10:11]
	s_mov_b32 s2, exec_lo
	v_cmpx_gt_u32_e64 s39, v0
	s_cbranch_execz .LBB344_228
; %bb.227:
	v_mul_i32_i24_e32 v10, 0xffffffda, v0
	s_delay_alu instid0(VALU_DEP_1)
	v_add_nc_u32_e32 v10, v32, v10
	ds_load_u16 v10, v10
	s_wait_dscnt 0x0
	flat_store_b16 v[2:3], v10
.LBB344_228:
	s_wait_xcnt 0x0
	s_or_b32 exec_lo, exec_lo, s2
	v_or_b32_e32 v10, 0x100, v0
	s_mov_b32 s2, exec_lo
	s_delay_alu instid0(VALU_DEP_1)
	v_cmpx_gt_u32_e64 s39, v10
	s_cbranch_execz .LBB344_230
; %bb.229:
	s_wait_dscnt 0x12
	flat_store_b16 v[2:3], v43 offset:512
.LBB344_230:
	s_wait_xcnt 0x0
	s_or_b32 exec_lo, exec_lo, s2
	v_or_b32_e32 v10, 0x200, v0
	s_mov_b32 s2, exec_lo
	s_delay_alu instid0(VALU_DEP_1)
	v_cmpx_gt_u32_e64 s39, v10
	s_cbranch_execz .LBB344_232
; %bb.231:
	s_wait_dscnt 0x11
	flat_store_b16 v[2:3], v34 offset:1024
.LBB344_232:
	;; [unrolled: 11-line block ×18, first 2 shown]
	s_wait_xcnt 0x0
	s_or_b32 exec_lo, exec_lo, s2
	v_or_b32_e32 v2, 0x1300, v0
	s_delay_alu instid0(VALU_DEP_1)
	v_cmp_gt_u32_e64 s2, s39, v2
	s_branch .LBB344_291
.LBB344_265:
	s_and_saveexec_b32 s29, s21
	s_cbranch_execz .LBB344_267
; %bb.266:
	v_and_b32_e32 v1, 0xff0000, v2
	v_and_b32_e32 v4, 0x10000, v2
	s_delay_alu instid0(VALU_DEP_2) | instskip(SKIP_1) | instid1(VALU_DEP_3)
	v_cmp_eq_u32_e32 vcc_lo, 0, v1
	v_dual_cndmask_b32 v1, 0, v49, vcc_lo :: v_dual_bitop2_b32 v3, 1, v48 bitop3:0x40
	v_cmp_eq_u32_e32 vcc_lo, 0, v4
	s_delay_alu instid0(VALU_DEP_2) | instskip(NEXT) | instid1(VALU_DEP_1)
	v_add_nc_u16 v1, v1, v2
	v_and_b32_e32 v1, 0xffff, v1
	s_delay_alu instid0(VALU_DEP_4) | instskip(NEXT) | instid1(VALU_DEP_1)
	v_lshlrev_b32_e32 v3, 16, v3
	v_dual_cndmask_b32 v2, 0x10000, v3 :: v_dual_mov_b32 v3, 2
	s_delay_alu instid0(VALU_DEP_1)
	v_or_b32_e32 v2, v2, v1
	global_store_b64 v15, v[2:3], s[36:37] scale_offset scope:SCOPE_DEV
.LBB344_267:
	s_wait_xcnt 0x0
	s_or_b32 exec_lo, exec_lo, s29
	s_delay_alu instid0(SALU_CYCLE_1)
	s_and_b32 exec_lo, exec_lo, s2
	s_cbranch_execz .LBB344_269
; %bb.268:
	v_mov_b32_e32 v1, 0
	ds_store_b16 v1, v49
	ds_store_b8 v1, v48 offset:2
.LBB344_269:
	s_or_b32 exec_lo, exec_lo, s28
	v_and_b32_e32 v2, 0x10000, v31
	s_wait_storecnt_dscnt 0x0
	s_barrier_signal -1
	s_barrier_wait -1
	s_delay_alu instid0(VALU_DEP_1)
	v_cmp_ne_u32_e32 vcc_lo, 0, v2
	v_cndmask_b32_e64 v2, v14, 1, vcc_lo
	v_cmp_gt_u32_e32 vcc_lo, 0x10000, v31
	v_dual_mov_b32 v1, 0 :: v_dual_cndmask_b32 v3, 0, v13, vcc_lo
	ds_load_b32 v1, v1
	v_cndmask_b32_e64 v2, v2, v12, s2
	v_cndmask_b32_e64 v3, v3, 0, s2
	s_delay_alu instid0(VALU_DEP_2) | instskip(NEXT) | instid1(VALU_DEP_2)
	v_and_b32_e32 v2, 0xff, v2
	v_add_nc_u16 v3, v3, v31
	s_delay_alu instid0(VALU_DEP_2) | instskip(SKIP_2) | instid1(VALU_DEP_1)
	v_cmp_eq_u16_e32 vcc_lo, 0, v2
	s_wait_dscnt 0x0
	v_cndmask_b32_e32 v1, 0, v1, vcc_lo
	v_add_nc_u16 v2, v3, v1
	s_delay_alu instid0(VALU_DEP_1) | instskip(SKIP_1) | instid1(VALU_DEP_2)
	v_cndmask_b32_e64 v1, 0, v2, s20
	v_and_b32_e32 v47, 0xffff, v2
	v_add_nc_u16 v1, v1, v34
	s_delay_alu instid0(VALU_DEP_1) | instskip(NEXT) | instid1(VALU_DEP_1)
	v_cndmask_b32_e64 v3, 0, v1, s19
	v_add_nc_u16 v4, v3, v33
	s_delay_alu instid0(VALU_DEP_1) | instskip(NEXT) | instid1(VALU_DEP_1)
	v_cndmask_b32_e64 v3, 0, v4, s18
	;; [unrolled: 3-line block ×18, first 2 shown]
	v_add_nc_u16 v42, v3, v11
	s_branch .LBB344_193
.LBB344_270:
	s_cmp_lg_u64 s[40:41], 0
	s_cselect_b32 s0, -1, 0
	s_cmp_lg_u64 s[26:27], 0
	s_cselect_b32 s1, -1, 0
	s_delay_alu instid0(SALU_CYCLE_1) | instskip(NEXT) | instid1(SALU_CYCLE_1)
	s_and_b32 s0, s0, s1
	s_and_b32 s1, s2, s0
	s_delay_alu instid0(SALU_CYCLE_1)
	s_and_saveexec_b32 s0, s1
	s_cbranch_execz .LBB344_272
; %bb.271:
	v_mov_b32_e32 v1, 0
	v_cmp_gt_u32_e32 vcc_lo, 0x10000, v31
	s_clause 0x1
	global_load_u16 v2, v1, s[26:27]
	global_load_u8 v3, v1, s[26:27] offset:2
	s_wait_loadcnt 0x0
	v_dual_cndmask_b32 v1, 0, v2, vcc_lo :: v_dual_bitop2_b32 v2, 1, v3 bitop3:0x40
	v_and_b32_e32 v3, 0x10000, v31
	s_delay_alu instid0(VALU_DEP_2) | instskip(NEXT) | instid1(VALU_DEP_3)
	v_lshlrev_b32_e32 v2, 16, v2
	v_add_nc_u16 v1, v1, v31
	s_delay_alu instid0(VALU_DEP_3) | instskip(NEXT) | instid1(VALU_DEP_2)
	v_cmp_eq_u32_e32 vcc_lo, 0, v3
	v_and_b32_e32 v1, 0xffff, v1
	s_delay_alu instid0(VALU_DEP_4) | instskip(NEXT) | instid1(VALU_DEP_1)
	v_cndmask_b32_e32 v2, 0x10000, v2, vcc_lo
	v_or_b32_e32 v31, v2, v1
.LBB344_272:
	s_or_b32 exec_lo, exec_lo, s0
	v_cmp_gt_u32_e32 vcc_lo, 0x10000, v34
	v_cmp_gt_u32_e64 s1, 0x10000, v32
	v_cmp_gt_u32_e64 s0, 0x10000, v33
	;; [unrolled: 1-line block ×4, first 2 shown]
	v_cndmask_b32_e32 v1, 0, v31, vcc_lo
	v_cmp_gt_u32_e64 s5, 0x10000, v29
	v_cmp_gt_u32_e64 s6, 0x10000, v28
	;; [unrolled: 1-line block ×4, first 2 shown]
	v_add_nc_u16 v1, v1, v34
	v_cmp_gt_u32_e64 s8, 0x10000, v26
	v_cmp_gt_u32_e64 s9, 0x10000, v25
	;; [unrolled: 1-line block ×4, first 2 shown]
	v_cndmask_b32_e64 v2, 0, v1, s0
	v_cmp_gt_u32_e64 s12, 0x10000, v22
	v_cmp_gt_u32_e64 s13, 0x10000, v21
	;; [unrolled: 1-line block ×4, first 2 shown]
	v_add_nc_u16 v4, v2, v33
	v_cmp_gt_u32_e64 s16, 0x10000, v18
	v_cmp_gt_u32_e64 s17, 0x10000, v17
	v_or3_b32 v3, v44, v30, v32
	s_mov_b32 s21, exec_lo
	v_dual_cndmask_b32 v2, 0, v4, s1 :: v_dual_bitop2_b32 v42, 28, v45 bitop3:0x40
	s_delay_alu instid0(VALU_DEP_2) | instskip(NEXT) | instid1(VALU_DEP_2)
	v_or3_b32 v3, v3, v33, v34
	v_add_nc_u16 v5, v2, v32
	s_delay_alu instid0(VALU_DEP_3) | instskip(NEXT) | instid1(VALU_DEP_2)
	v_lshl_add_u32 v44, v0, 2, v42
	v_cndmask_b32_e64 v2, 0, v5, s4
	s_delay_alu instid0(VALU_DEP_1) | instskip(NEXT) | instid1(VALU_DEP_1)
	v_add_nc_u16 v6, v2, v30
	v_cndmask_b32_e64 v2, 0, v6, s5
	s_delay_alu instid0(VALU_DEP_1) | instskip(NEXT) | instid1(VALU_DEP_1)
	v_add_nc_u16 v7, v2, v29
	;; [unrolled: 3-line block ×13, first 2 shown]
	v_cndmask_b32_e64 v2, 0, v38, s17
	s_delay_alu instid0(VALU_DEP_1) | instskip(SKIP_1) | instid1(VALU_DEP_2)
	v_add_nc_u16 v40, v2, v17
	v_or3_b32 v2, v46, v22, v23
	v_cndmask_b32_e64 v41, 0, v40, s18
	s_delay_alu instid0(VALU_DEP_2) | instskip(NEXT) | instid1(VALU_DEP_2)
	v_or3_b32 v2, v2, v24, v25
	v_add_nc_u16 v41, v41, v16
	s_delay_alu instid0(VALU_DEP_2) | instskip(NEXT) | instid1(VALU_DEP_2)
	v_or3_b32 v2, v11, v43, v2
	v_cndmask_b32_e64 v43, 0, v41, s19
	s_delay_alu instid0(VALU_DEP_2) | instskip(SKIP_1) | instid1(VALU_DEP_3)
	v_bitop3_b32 v2, v2, 0xff0000, v3 bitop3:0xc8
	v_lshrrev_b32_e32 v3, 16, v31
	v_add_nc_u16 v42, v43, v11
	s_delay_alu instid0(VALU_DEP_3) | instskip(NEXT) | instid1(VALU_DEP_1)
	v_cmp_eq_u32_e64 s20, 0, v2
	v_cndmask_b32_e64 v3, 1, v3, s20
	ds_store_b16 v44, v42
	ds_store_b8 v44, v3 offset:2
	s_wait_dscnt 0x0
	s_barrier_signal -1
	s_barrier_wait -1
	v_cmpx_gt_u32_e32 32, v0
	s_cbranch_execz .LBB344_284
; %bb.273:
	v_and_b32_e32 v2, 0xfc, v0
	v_lshlrev_b32_e32 v43, 5, v0
	s_mov_b32 s26, exec_lo
	s_delay_alu instid0(VALU_DEP_1)
	v_add_nc_u32_e32 v2, v2, v43
	ds_load_u8 v44, v2 offset:6
	ds_load_b32 v43, v2
	ds_load_u16 v45, v2 offset:4
	ds_load_u8 v46, v2 offset:10
	ds_load_u16 v47, v2 offset:8
	ds_load_u16 v48, v2 offset:12
	ds_load_u8 v49, v2 offset:14
	ds_load_u16 v50, v2 offset:16
	s_wait_dscnt 0x7
	v_cmp_eq_u16_e64 s20, 0, v44
	s_wait_dscnt 0x4
	s_delay_alu instid0(VALU_DEP_1) | instskip(SKIP_1) | instid1(VALU_DEP_2)
	v_dual_cndmask_b32 v51, 0, v43, s20 :: v_dual_bitop2_b32 v44, v46, v44 bitop3:0x54
	v_cmp_eq_u16_e64 s20, 0, v46
	v_add_nc_u16 v45, v51, v45
	ds_load_u8 v51, v2 offset:18
	v_cndmask_b32_e64 v45, 0, v45, s20
	s_wait_dscnt 0x2
	v_cmp_eq_u16_e64 s20, 0, v49
	s_delay_alu instid0(VALU_DEP_2) | instskip(SKIP_2) | instid1(VALU_DEP_1)
	v_add_nc_u16 v45, v45, v47
	ds_load_u8 v47, v2 offset:22
	v_cndmask_b32_e64 v45, 0, v45, s20
	v_add_nc_u16 v45, v45, v48
	ds_load_u16 v48, v2 offset:20
	ds_load_u16 v52, v2 offset:24
	ds_load_u8 v53, v2 offset:26
	ds_load_u16 v54, v2 offset:28
	ds_load_u8 v55, v2 offset:30
	s_wait_dscnt 0x6
	v_cmp_eq_u16_e64 s20, 0, v51
	v_bitop3_b16 v46, v44, v51, v49 bitop3:0xfe
	v_and_b32_e32 v44, 0x10000, v43
	s_delay_alu instid0(VALU_DEP_3)
	v_cndmask_b32_e64 v45, 0, v45, s20
	s_wait_dscnt 0x5
	v_cmp_eq_u16_e64 s20, 0, v47
	s_wait_dscnt 0x2
	v_bitop3_b16 v46, v46, v53, v47 bitop3:0xfe
	s_wait_dscnt 0x0
	v_and_b32_e32 v47, 1, v55
	v_add_nc_u16 v45, v45, v50
	s_delay_alu instid0(VALU_DEP_1) | instskip(SKIP_1) | instid1(VALU_DEP_2)
	v_cndmask_b32_e64 v45, 0, v45, s20
	v_cmp_eq_u16_e64 s20, 0, v53
	v_add_nc_u16 v45, v45, v48
	s_delay_alu instid0(VALU_DEP_1) | instskip(SKIP_1) | instid1(VALU_DEP_2)
	v_cndmask_b32_e64 v45, 0, v45, s20
	v_cmp_eq_u16_e64 s20, 0, v55
	;; [unrolled: 4-line block ×3, first 2 shown]
	v_add_nc_u16 v46, v45, v54
	s_delay_alu instid0(VALU_DEP_2) | instskip(SKIP_4) | instid1(VALU_DEP_4)
	v_cndmask_b32_e64 v48, 0x10000, v44, s20
	v_cmp_eq_u32_e64 s20, 1, v47
	v_and_b32_e32 v45, 0xff000000, v43
	v_mbcnt_lo_u32_b32 v47, -1, 0
	v_and_b32_e32 v49, 0xffff, v46
	v_cndmask_b32_e64 v48, v48, 0x10000, s20
	s_delay_alu instid0(VALU_DEP_1) | instskip(NEXT) | instid1(VALU_DEP_3)
	v_or_b32_e32 v50, v48, v45
	v_or3_b32 v51, v45, v49, v48
	s_delay_alu instid0(VALU_DEP_2) | instskip(NEXT) | instid1(VALU_DEP_2)
	v_dual_lshrrev_b32 v49, 16, v50 :: v_dual_bitop2_b32 v48, 15, v47 bitop3:0x40
	v_mov_b32_dpp v52, v51 row_shr:1 row_mask:0xf bank_mask:0xf
	s_delay_alu instid0(VALU_DEP_2)
	v_cmpx_ne_u32_e32 0, v48
	s_cbranch_execz .LBB344_275
; %bb.274:
	s_delay_alu instid0(VALU_DEP_2) | instskip(SKIP_1) | instid1(VALU_DEP_2)
	v_dual_lshrrev_b32 v49, 16, v50 :: v_dual_lshrrev_b32 v51, 16, v52
	v_and_b32_e32 v50, 0x10000, v50
	v_and_b32_e32 v49, 0xff, v49
	s_delay_alu instid0(VALU_DEP_1) | instskip(NEXT) | instid1(VALU_DEP_1)
	v_cmp_eq_u16_e64 s20, 0, v49
	v_dual_cndmask_b32 v52, 0, v52, s20 :: v_dual_bitop2_b32 v51, 1, v51 bitop3:0x40
	s_delay_alu instid0(VALU_DEP_4) | instskip(NEXT) | instid1(VALU_DEP_2)
	v_cmp_ne_u32_e64 s20, 0, v50
	v_add_nc_u16 v46, v52, v46
	s_delay_alu instid0(VALU_DEP_2) | instskip(NEXT) | instid1(VALU_DEP_2)
	v_cndmask_b32_e64 v49, v51, 1, s20
	v_and_b32_e32 v51, 0xffff, v46
	s_delay_alu instid0(VALU_DEP_2) | instskip(NEXT) | instid1(VALU_DEP_1)
	v_lshlrev_b32_e32 v50, 16, v49
	v_or3_b32 v51, v50, v51, v45
.LBB344_275:
	s_or_b32 exec_lo, exec_lo, s26
	s_delay_alu instid0(VALU_DEP_1)
	v_lshrrev_b32_e32 v50, 16, v51
	v_mov_b32_dpp v52, v51 row_shr:2 row_mask:0xf bank_mask:0xf
	s_mov_b32 s26, exec_lo
	v_cmpx_lt_u32_e32 1, v48
	s_cbranch_execz .LBB344_277
; %bb.276:
	v_and_b32_e32 v50, 0xff, v50
	v_and_b32_e32 v51, 0x10000, v51
	s_delay_alu instid0(VALU_DEP_2) | instskip(NEXT) | instid1(VALU_DEP_1)
	v_cmp_eq_u16_e64 s20, 0, v50
	v_dual_lshrrev_b32 v49, 16, v52 :: v_dual_cndmask_b32 v50, 0, v52, s20
	s_delay_alu instid0(VALU_DEP_1) | instskip(NEXT) | instid1(VALU_DEP_4)
	v_and_b32_e32 v49, 1, v49
	v_cmp_ne_u32_e64 s20, 0, v51
	s_delay_alu instid0(VALU_DEP_3) | instskip(NEXT) | instid1(VALU_DEP_2)
	v_add_nc_u16 v46, v50, v46
	v_cndmask_b32_e64 v49, v49, 1, s20
	s_delay_alu instid0(VALU_DEP_2) | instskip(NEXT) | instid1(VALU_DEP_2)
	v_and_b32_e32 v51, 0xffff, v46
	v_lshlrev_b32_e32 v50, 16, v49
	s_delay_alu instid0(VALU_DEP_1)
	v_or3_b32 v51, v50, v51, v45
	v_mov_b32_e32 v50, v49
.LBB344_277:
	s_or_b32 exec_lo, exec_lo, s26
	s_delay_alu instid0(VALU_DEP_2)
	v_mov_b32_dpp v52, v51 row_shr:4 row_mask:0xf bank_mask:0xf
	s_mov_b32 s26, exec_lo
	v_cmpx_lt_u32_e32 3, v48
	s_cbranch_execz .LBB344_279
; %bb.278:
	v_and_b32_e32 v51, 0xff, v50
	v_dual_lshrrev_b32 v49, 16, v52 :: v_dual_bitop2_b32 v50, 1, v50 bitop3:0x40
	s_delay_alu instid0(VALU_DEP_2) | instskip(NEXT) | instid1(VALU_DEP_1)
	v_cmp_eq_u16_e64 s20, 0, v51
	v_dual_cndmask_b32 v51, 0, v52, s20 :: v_dual_bitop2_b32 v49, 1, v49 bitop3:0x40
	s_delay_alu instid0(VALU_DEP_3) | instskip(NEXT) | instid1(VALU_DEP_2)
	v_cmp_eq_u32_e64 s20, 1, v50
	v_add_nc_u16 v46, v51, v46
	s_delay_alu instid0(VALU_DEP_2) | instskip(NEXT) | instid1(VALU_DEP_2)
	v_cndmask_b32_e64 v49, v49, 1, s20
	v_and_b32_e32 v51, 0xffff, v46
	s_delay_alu instid0(VALU_DEP_2) | instskip(NEXT) | instid1(VALU_DEP_1)
	v_lshlrev_b32_e32 v50, 16, v49
	v_or3_b32 v51, v50, v51, v45
	v_mov_b32_e32 v50, v49
.LBB344_279:
	s_or_b32 exec_lo, exec_lo, s26
	s_delay_alu instid0(VALU_DEP_2)
	v_mov_b32_dpp v52, v51 row_shr:8 row_mask:0xf bank_mask:0xf
	s_mov_b32 s26, exec_lo
	v_cmpx_lt_u32_e32 7, v48
	s_cbranch_execz .LBB344_281
; %bb.280:
	v_and_b32_e32 v49, 0xff, v50
	v_dual_lshrrev_b32 v48, 16, v52 :: v_dual_bitop2_b32 v50, 1, v50 bitop3:0x40
	s_delay_alu instid0(VALU_DEP_2) | instskip(NEXT) | instid1(VALU_DEP_2)
	v_cmp_eq_u16_e64 s20, 0, v49
	v_and_b32_e32 v48, 1, v48
	s_delay_alu instid0(VALU_DEP_2) | instskip(NEXT) | instid1(VALU_DEP_4)
	v_cndmask_b32_e64 v51, 0, v52, s20
	v_cmp_eq_u32_e64 s20, 1, v50
	s_delay_alu instid0(VALU_DEP_1) | instskip(NEXT) | instid1(VALU_DEP_1)
	v_cndmask_b32_e64 v49, v48, 1, s20
	v_lshlrev_b32_e32 v48, 16, v49
	s_delay_alu instid0(VALU_DEP_4) | instskip(NEXT) | instid1(VALU_DEP_1)
	v_add_nc_u16 v46, v51, v46
	v_and_b32_e32 v50, 0xffff, v46
	s_delay_alu instid0(VALU_DEP_1)
	v_or3_b32 v51, v48, v50, v45
	v_mov_b32_e32 v50, v49
.LBB344_281:
	s_or_b32 exec_lo, exec_lo, s26
	ds_swizzle_b32 v48, v51 offset:swizzle(BROADCAST,32,15)
	v_and_b32_e32 v51, 16, v47
	s_mov_b32 s26, exec_lo
	s_delay_alu instid0(VALU_DEP_1)
	v_cmpx_ne_u32_e32 0, v51
	s_cbranch_execz .LBB344_283
; %bb.282:
	v_and_b32_e32 v49, 0xff, v50
	s_delay_alu instid0(VALU_DEP_1) | instskip(SKIP_2) | instid1(VALU_DEP_1)
	v_cmp_eq_u16_e64 s20, 0, v49
	s_wait_dscnt 0x0
	v_dual_lshrrev_b32 v51, 16, v48 :: v_dual_bitop2_b32 v49, 1, v50 bitop3:0x40
	v_dual_cndmask_b32 v48, 0, v48, s20 :: v_dual_bitop2_b32 v50, 1, v51 bitop3:0x40
	s_delay_alu instid0(VALU_DEP_2) | instskip(NEXT) | instid1(VALU_DEP_2)
	v_cmp_eq_u32_e64 s20, 1, v49
	v_add_nc_u16 v46, v48, v46
	s_delay_alu instid0(VALU_DEP_2)
	v_cndmask_b32_e64 v49, v50, 1, s20
.LBB344_283:
	s_or_b32 exec_lo, exec_lo, s26
	s_wait_dscnt 0x0
	s_delay_alu instid0(VALU_DEP_1) | instskip(SKIP_2) | instid1(VALU_DEP_3)
	v_and_b32_e32 v48, 0xff, v49
	v_add_nc_u32_e32 v49, -1, v47
	v_and_b32_e32 v46, 0xffff, v46
	; wave barrier
	v_lshlrev_b32_e32 v48, 16, v48
	s_delay_alu instid0(VALU_DEP_3) | instskip(NEXT) | instid1(VALU_DEP_2)
	v_cmp_gt_i32_e64 s20, 0, v49
	v_or3_b32 v45, v48, v46, v45
	s_delay_alu instid0(VALU_DEP_2) | instskip(NEXT) | instid1(VALU_DEP_1)
	v_cndmask_b32_e64 v47, v49, v47, s20
	v_lshlrev_b32_e32 v46, 2, v47
	ds_bpermute_b32 v45, v46, v45
	v_and_b32_e32 v46, 0xff0000, v43
	s_delay_alu instid0(VALU_DEP_1) | instskip(SKIP_1) | instid1(VALU_DEP_1)
	v_cmp_eq_u32_e64 s20, 0, v46
	s_wait_dscnt 0x0
	v_dual_lshrrev_b32 v47, 16, v45 :: v_dual_cndmask_b32 v45, 0, v45, s20
	v_cmp_eq_u32_e64 s20, 0, v44
	s_delay_alu instid0(VALU_DEP_2) | instskip(NEXT) | instid1(VALU_DEP_1)
	v_add_nc_u16 v43, v45, v43
	v_dual_cndmask_b32 v43, v43, v42, s2 :: v_dual_bitop2_b32 v46, 1, v47 bitop3:0x40
	s_delay_alu instid0(VALU_DEP_1) | instskip(NEXT) | instid1(VALU_DEP_1)
	v_cndmask_b32_e64 v44, 1, v46, s20
	v_cndmask_b32_e64 v3, v44, v3, s2
	ds_store_b16 v2, v43
	ds_store_b8 v2, v3 offset:2
	; wave barrier
	ds_load_u8 v44, v2 offset:6
	ds_load_u16 v45, v2 offset:4
	ds_load_u8 v46, v2 offset:10
	ds_load_u16 v47, v2 offset:8
	ds_load_u16 v48, v2 offset:12
	ds_load_u8 v49, v2 offset:14
	ds_load_u16 v50, v2 offset:16
	ds_load_u8 v51, v2 offset:18
	s_wait_dscnt 0x7
	v_cmp_eq_u16_e64 s20, 0, v44
	s_delay_alu instid0(VALU_DEP_1) | instskip(SKIP_3) | instid1(VALU_DEP_3)
	v_dual_cndmask_b32 v43, 0, v43, s20 :: v_dual_bitop2_b32 v44, 1, v44 bitop3:0x40
	s_wait_dscnt 0x5
	v_cmp_eq_u16_e64 s20, 0, v46
	v_and_b32_e32 v46, 1, v46
	v_add_nc_u16 v43, v43, v45
	s_delay_alu instid0(VALU_DEP_1) | instskip(SKIP_2) | instid1(VALU_DEP_2)
	v_cndmask_b32_e64 v45, 0, v43, s20
	s_wait_dscnt 0x2
	v_cmp_eq_u16_e64 s20, 0, v49
	v_add_nc_u16 v45, v45, v47
	ds_load_u8 v47, v2 offset:22
	ds_load_u16 v53, v2 offset:20
	ds_load_u8 v54, v2 offset:26
	ds_load_u8 v55, v2 offset:30
	v_cndmask_b32_e64 v52, 0, v45, s20
	v_cmp_eq_u32_e64 s20, 1, v44
	v_and_b32_e32 v44, 1, v49
	s_delay_alu instid0(VALU_DEP_3) | instskip(NEXT) | instid1(VALU_DEP_3)
	v_add_nc_u16 v48, v52, v48
	v_cndmask_b32_e64 v3, v3, 1, s20
	s_wait_dscnt 0x4
	v_cmp_eq_u16_e64 s20, 0, v51
	ds_load_u16 v52, v2 offset:24
	ds_load_u16 v56, v2 offset:28
	v_cndmask_b32_e64 v49, 0, v48, s20
	v_cmp_eq_u32_e64 s20, 1, v46
	s_delay_alu instid0(VALU_DEP_2) | instskip(NEXT) | instid1(VALU_DEP_2)
	v_add_nc_u16 v49, v49, v50
	v_cndmask_b32_e64 v46, v3, 1, s20
	v_cmp_eq_u32_e64 s20, 1, v44
	v_and_b32_e32 v50, 1, v51
	s_wait_dscnt 0x2
	v_and_b32_e32 v57, 1, v55
	s_delay_alu instid0(VALU_DEP_3) | instskip(SKIP_1) | instid1(VALU_DEP_1)
	v_cndmask_b32_e64 v44, v46, 1, s20
	v_cmp_eq_u16_e64 s20, 0, v47
	v_dual_cndmask_b32 v51, 0, v49, s20 :: v_dual_bitop2_b32 v47, 1, v47 bitop3:0x40
	v_cmp_eq_u32_e64 s20, 1, v50
	s_delay_alu instid0(VALU_DEP_2) | instskip(NEXT) | instid1(VALU_DEP_2)
	v_add_nc_u16 v51, v51, v53
	v_cndmask_b32_e64 v50, v44, 1, s20
	s_delay_alu instid0(VALU_DEP_4)
	v_cmp_eq_u32_e64 s20, 1, v47
	v_and_b32_e32 v53, 1, v54
	ds_store_b16 v2, v43 offset:4
	ds_store_b8 v2, v3 offset:6
	ds_store_b16 v2, v45 offset:8
	ds_store_b8 v2, v46 offset:10
	;; [unrolled: 2-line block ×4, first 2 shown]
	v_cndmask_b32_e64 v47, v50, 1, s20
	v_cmp_eq_u16_e64 s20, 0, v54
	s_delay_alu instid0(VALU_DEP_1) | instskip(SKIP_2) | instid1(VALU_DEP_2)
	v_cndmask_b32_e64 v54, 0, v51, s20
	v_cmp_eq_u32_e64 s20, 1, v53
	s_wait_dscnt 0x9
	v_add_nc_u16 v52, v54, v52
	s_delay_alu instid0(VALU_DEP_2) | instskip(SKIP_1) | instid1(VALU_DEP_1)
	v_cndmask_b32_e64 v53, v47, 1, s20
	v_cmp_eq_u32_e64 s20, 1, v57
	v_cndmask_b32_e64 v54, v53, 1, s20
	v_cmp_eq_u16_e64 s20, 0, v55
	s_delay_alu instid0(VALU_DEP_1) | instskip(SKIP_1) | instid1(VALU_DEP_1)
	v_cndmask_b32_e64 v55, 0, v52, s20
	s_wait_dscnt 0x8
	v_add_nc_u16 v3, v55, v56
	ds_store_b16 v2, v51 offset:20
	ds_store_b8 v2, v47 offset:22
	ds_store_b16 v2, v52 offset:24
	ds_store_b8 v2, v53 offset:26
	;; [unrolled: 2-line block ×3, first 2 shown]
.LBB344_284:
	s_or_b32 exec_lo, exec_lo, s21
	s_wait_dscnt 0x0
	s_barrier_signal -1
	s_barrier_wait -1
	s_and_saveexec_b32 s20, s3
	s_cbranch_execz .LBB344_286
; %bb.285:
	v_add_nc_u32_e32 v1, -1, v0
	v_cmp_gt_u32_e64 s3, 0x10000, v31
	s_delay_alu instid0(VALU_DEP_2) | instskip(NEXT) | instid1(VALU_DEP_1)
	v_lshrrev_b32_e32 v2, 3, v1
	v_and_b32_e32 v2, 0x1ffffffc, v2
	s_delay_alu instid0(VALU_DEP_1) | instskip(SKIP_4) | instid1(VALU_DEP_1)
	v_lshl_add_u32 v1, v1, 2, v2
	ds_load_u16 v1, v1
	;;#ASMSTART
	;;#ASMEND
	s_wait_dscnt 0x0
	v_cndmask_b32_e64 v1, 0, v1, s3
	v_add_nc_u32_e32 v31, v1, v31
	s_delay_alu instid0(VALU_DEP_1) | instskip(NEXT) | instid1(VALU_DEP_1)
	v_cndmask_b32_e32 v1, 0, v31, vcc_lo
	v_add_nc_u16 v1, v1, v34
	s_delay_alu instid0(VALU_DEP_1) | instskip(NEXT) | instid1(VALU_DEP_1)
	v_cndmask_b32_e64 v2, 0, v1, s0
	v_add_nc_u16 v4, v2, v33
	s_delay_alu instid0(VALU_DEP_1) | instskip(NEXT) | instid1(VALU_DEP_1)
	v_cndmask_b32_e64 v2, 0, v4, s1
	;; [unrolled: 3-line block ×18, first 2 shown]
	v_add_nc_u16 v42, v2, v11
.LBB344_286:
	s_or_b32 exec_lo, exec_lo, s20
	s_and_saveexec_b32 s0, s2
	s_cbranch_execz .LBB344_288
; %bb.287:
	v_mov_b32_e32 v11, 0
	ds_load_u8 v2, v11 offset:1050
	ds_load_u16 v3, v11 offset:1048
	s_wait_dscnt 0x1
	v_lshlrev_b32_e32 v2, 16, v2
	s_wait_dscnt 0x0
	v_and_b32_e32 v3, 0xffff, v3
	s_delay_alu instid0(VALU_DEP_1)
	v_dual_mov_b32 v3, 2 :: v_dual_bitop2_b32 v2, v2, v3 bitop3:0x54
	global_store_b64 v11, v[2:3], s[36:37] offset:256 scope:SCOPE_DEV
.LBB344_288:
	s_wait_xcnt 0x0
	s_or_b32 exec_lo, exec_lo, s0
	v_mov_b32_e32 v47, v31
	s_add_nc_u64 s[0:1], s[22:23], s[34:35]
	s_and_b32 vcc_lo, exec_lo, s33
	s_add_nc_u64 s[0:1], s[0:1], s[24:25]
	s_cbranch_vccnz .LBB344_194
.LBB344_289:
	s_mov_b32 s2, 0
                                        ; implicit-def: $vgpr16
	s_cbranch_execz .LBB344_291
; %bb.290:
	v_perm_b32 v5, v5, v4, 0x5040100
	v_perm_b32 v4, v1, v47, 0x5040100
	v_mul_i32_i24_e32 v1, 0xffffffda, v0
	s_wait_dscnt 0x0
	v_mul_u32_u24_e32 v16, 40, v0
	v_perm_b32 v3, v12, v8, 0x5040100
	v_perm_b32 v2, v7, v6, 0x5040100
	;; [unrolled: 1-line block ×3, first 2 shown]
	v_mad_u32_u24 v1, v0, 40, v1
	v_perm_b32 v6, v36, v35, 0x5040100
	v_perm_b32 v11, v15, v14, 0x5040100
	;; [unrolled: 1-line block ×5, first 2 shown]
	s_wait_storecnt 0x0
	s_barrier_signal -1
	s_barrier_wait -1
	ds_store_2addr_b64 v16, v[4:5], v[2:3] offset1:1
	ds_store_2addr_b64 v16, v[10:11], v[6:7] offset0:2 offset1:3
	ds_store_b64 v16, v[8:9] offset:32
	s_wait_dscnt 0x0
	s_barrier_signal -1
	s_barrier_wait -1
	ds_load_u16 v2, v1
	ds_load_u16 v3, v1 offset:512
	ds_load_u16 v4, v1 offset:1024
	;; [unrolled: 1-line block ×19, first 2 shown]
	s_or_b32 s2, s2, exec_lo
	s_wait_dscnt 0x13
	flat_store_b16 v0, v2, s[0:1] scale_offset
	s_wait_dscnt 0x13
	flat_store_b16 v0, v3, s[0:1] offset:512 scale_offset
	s_wait_dscnt 0x13
	flat_store_b16 v0, v4, s[0:1] offset:1024 scale_offset
	;; [unrolled: 2-line block ×18, first 2 shown]
.LBB344_291:
	s_wait_xcnt 0x0
	s_delay_alu instid0(VALU_DEP_1)
	s_and_saveexec_b32 s3, s2
	s_cbranch_execnz .LBB344_293
; %bb.292:
	s_endpgm
.LBB344_293:
	s_wait_dscnt 0x0
	flat_store_b16 v0, v16, s[0:1] offset:9728 scale_offset
	s_endpgm
	.section	.rodata,"a",@progbits
	.p2align	6, 0x0
	.amdhsa_kernel _ZN7rocprim17ROCPRIM_400000_NS6detail17trampoline_kernelINS0_14default_configENS1_27scan_by_key_config_selectorIssEEZZNS1_16scan_by_key_implILNS1_25lookback_scan_determinismE0ELb0ES3_N6thrust23THRUST_200600_302600_NS6detail15normal_iteratorINS9_10device_ptrIsEEEESE_SE_sNS9_4plusIvEENS9_8equal_toIsEEsEE10hipError_tPvRmT2_T3_T4_T5_mT6_T7_P12ihipStream_tbENKUlT_T0_E_clISt17integral_constantIbLb0EESY_IbLb1EEEEDaSU_SV_EUlSU_E_NS1_11comp_targetILNS1_3genE0ELNS1_11target_archE4294967295ELNS1_3gpuE0ELNS1_3repE0EEENS1_30default_config_static_selectorELNS0_4arch9wavefront6targetE0EEEvT1_
		.amdhsa_group_segment_fixed_size 11264
		.amdhsa_private_segment_fixed_size 0
		.amdhsa_kernarg_size 112
		.amdhsa_user_sgpr_count 2
		.amdhsa_user_sgpr_dispatch_ptr 0
		.amdhsa_user_sgpr_queue_ptr 0
		.amdhsa_user_sgpr_kernarg_segment_ptr 1
		.amdhsa_user_sgpr_dispatch_id 0
		.amdhsa_user_sgpr_kernarg_preload_length 0
		.amdhsa_user_sgpr_kernarg_preload_offset 0
		.amdhsa_user_sgpr_private_segment_size 0
		.amdhsa_wavefront_size32 1
		.amdhsa_uses_dynamic_stack 0
		.amdhsa_enable_private_segment 0
		.amdhsa_system_sgpr_workgroup_id_x 1
		.amdhsa_system_sgpr_workgroup_id_y 0
		.amdhsa_system_sgpr_workgroup_id_z 0
		.amdhsa_system_sgpr_workgroup_info 0
		.amdhsa_system_vgpr_workitem_id 0
		.amdhsa_next_free_vgpr 58
		.amdhsa_next_free_sgpr 51
		.amdhsa_named_barrier_count 0
		.amdhsa_reserve_vcc 1
		.amdhsa_float_round_mode_32 0
		.amdhsa_float_round_mode_16_64 0
		.amdhsa_float_denorm_mode_32 3
		.amdhsa_float_denorm_mode_16_64 3
		.amdhsa_fp16_overflow 0
		.amdhsa_memory_ordered 1
		.amdhsa_forward_progress 1
		.amdhsa_inst_pref_size 148
		.amdhsa_round_robin_scheduling 0
		.amdhsa_exception_fp_ieee_invalid_op 0
		.amdhsa_exception_fp_denorm_src 0
		.amdhsa_exception_fp_ieee_div_zero 0
		.amdhsa_exception_fp_ieee_overflow 0
		.amdhsa_exception_fp_ieee_underflow 0
		.amdhsa_exception_fp_ieee_inexact 0
		.amdhsa_exception_int_div_zero 0
	.end_amdhsa_kernel
	.section	.text._ZN7rocprim17ROCPRIM_400000_NS6detail17trampoline_kernelINS0_14default_configENS1_27scan_by_key_config_selectorIssEEZZNS1_16scan_by_key_implILNS1_25lookback_scan_determinismE0ELb0ES3_N6thrust23THRUST_200600_302600_NS6detail15normal_iteratorINS9_10device_ptrIsEEEESE_SE_sNS9_4plusIvEENS9_8equal_toIsEEsEE10hipError_tPvRmT2_T3_T4_T5_mT6_T7_P12ihipStream_tbENKUlT_T0_E_clISt17integral_constantIbLb0EESY_IbLb1EEEEDaSU_SV_EUlSU_E_NS1_11comp_targetILNS1_3genE0ELNS1_11target_archE4294967295ELNS1_3gpuE0ELNS1_3repE0EEENS1_30default_config_static_selectorELNS0_4arch9wavefront6targetE0EEEvT1_,"axG",@progbits,_ZN7rocprim17ROCPRIM_400000_NS6detail17trampoline_kernelINS0_14default_configENS1_27scan_by_key_config_selectorIssEEZZNS1_16scan_by_key_implILNS1_25lookback_scan_determinismE0ELb0ES3_N6thrust23THRUST_200600_302600_NS6detail15normal_iteratorINS9_10device_ptrIsEEEESE_SE_sNS9_4plusIvEENS9_8equal_toIsEEsEE10hipError_tPvRmT2_T3_T4_T5_mT6_T7_P12ihipStream_tbENKUlT_T0_E_clISt17integral_constantIbLb0EESY_IbLb1EEEEDaSU_SV_EUlSU_E_NS1_11comp_targetILNS1_3genE0ELNS1_11target_archE4294967295ELNS1_3gpuE0ELNS1_3repE0EEENS1_30default_config_static_selectorELNS0_4arch9wavefront6targetE0EEEvT1_,comdat
.Lfunc_end344:
	.size	_ZN7rocprim17ROCPRIM_400000_NS6detail17trampoline_kernelINS0_14default_configENS1_27scan_by_key_config_selectorIssEEZZNS1_16scan_by_key_implILNS1_25lookback_scan_determinismE0ELb0ES3_N6thrust23THRUST_200600_302600_NS6detail15normal_iteratorINS9_10device_ptrIsEEEESE_SE_sNS9_4plusIvEENS9_8equal_toIsEEsEE10hipError_tPvRmT2_T3_T4_T5_mT6_T7_P12ihipStream_tbENKUlT_T0_E_clISt17integral_constantIbLb0EESY_IbLb1EEEEDaSU_SV_EUlSU_E_NS1_11comp_targetILNS1_3genE0ELNS1_11target_archE4294967295ELNS1_3gpuE0ELNS1_3repE0EEENS1_30default_config_static_selectorELNS0_4arch9wavefront6targetE0EEEvT1_, .Lfunc_end344-_ZN7rocprim17ROCPRIM_400000_NS6detail17trampoline_kernelINS0_14default_configENS1_27scan_by_key_config_selectorIssEEZZNS1_16scan_by_key_implILNS1_25lookback_scan_determinismE0ELb0ES3_N6thrust23THRUST_200600_302600_NS6detail15normal_iteratorINS9_10device_ptrIsEEEESE_SE_sNS9_4plusIvEENS9_8equal_toIsEEsEE10hipError_tPvRmT2_T3_T4_T5_mT6_T7_P12ihipStream_tbENKUlT_T0_E_clISt17integral_constantIbLb0EESY_IbLb1EEEEDaSU_SV_EUlSU_E_NS1_11comp_targetILNS1_3genE0ELNS1_11target_archE4294967295ELNS1_3gpuE0ELNS1_3repE0EEENS1_30default_config_static_selectorELNS0_4arch9wavefront6targetE0EEEvT1_
                                        ; -- End function
	.set _ZN7rocprim17ROCPRIM_400000_NS6detail17trampoline_kernelINS0_14default_configENS1_27scan_by_key_config_selectorIssEEZZNS1_16scan_by_key_implILNS1_25lookback_scan_determinismE0ELb0ES3_N6thrust23THRUST_200600_302600_NS6detail15normal_iteratorINS9_10device_ptrIsEEEESE_SE_sNS9_4plusIvEENS9_8equal_toIsEEsEE10hipError_tPvRmT2_T3_T4_T5_mT6_T7_P12ihipStream_tbENKUlT_T0_E_clISt17integral_constantIbLb0EESY_IbLb1EEEEDaSU_SV_EUlSU_E_NS1_11comp_targetILNS1_3genE0ELNS1_11target_archE4294967295ELNS1_3gpuE0ELNS1_3repE0EEENS1_30default_config_static_selectorELNS0_4arch9wavefront6targetE0EEEvT1_.num_vgpr, 58
	.set _ZN7rocprim17ROCPRIM_400000_NS6detail17trampoline_kernelINS0_14default_configENS1_27scan_by_key_config_selectorIssEEZZNS1_16scan_by_key_implILNS1_25lookback_scan_determinismE0ELb0ES3_N6thrust23THRUST_200600_302600_NS6detail15normal_iteratorINS9_10device_ptrIsEEEESE_SE_sNS9_4plusIvEENS9_8equal_toIsEEsEE10hipError_tPvRmT2_T3_T4_T5_mT6_T7_P12ihipStream_tbENKUlT_T0_E_clISt17integral_constantIbLb0EESY_IbLb1EEEEDaSU_SV_EUlSU_E_NS1_11comp_targetILNS1_3genE0ELNS1_11target_archE4294967295ELNS1_3gpuE0ELNS1_3repE0EEENS1_30default_config_static_selectorELNS0_4arch9wavefront6targetE0EEEvT1_.num_agpr, 0
	.set _ZN7rocprim17ROCPRIM_400000_NS6detail17trampoline_kernelINS0_14default_configENS1_27scan_by_key_config_selectorIssEEZZNS1_16scan_by_key_implILNS1_25lookback_scan_determinismE0ELb0ES3_N6thrust23THRUST_200600_302600_NS6detail15normal_iteratorINS9_10device_ptrIsEEEESE_SE_sNS9_4plusIvEENS9_8equal_toIsEEsEE10hipError_tPvRmT2_T3_T4_T5_mT6_T7_P12ihipStream_tbENKUlT_T0_E_clISt17integral_constantIbLb0EESY_IbLb1EEEEDaSU_SV_EUlSU_E_NS1_11comp_targetILNS1_3genE0ELNS1_11target_archE4294967295ELNS1_3gpuE0ELNS1_3repE0EEENS1_30default_config_static_selectorELNS0_4arch9wavefront6targetE0EEEvT1_.numbered_sgpr, 51
	.set _ZN7rocprim17ROCPRIM_400000_NS6detail17trampoline_kernelINS0_14default_configENS1_27scan_by_key_config_selectorIssEEZZNS1_16scan_by_key_implILNS1_25lookback_scan_determinismE0ELb0ES3_N6thrust23THRUST_200600_302600_NS6detail15normal_iteratorINS9_10device_ptrIsEEEESE_SE_sNS9_4plusIvEENS9_8equal_toIsEEsEE10hipError_tPvRmT2_T3_T4_T5_mT6_T7_P12ihipStream_tbENKUlT_T0_E_clISt17integral_constantIbLb0EESY_IbLb1EEEEDaSU_SV_EUlSU_E_NS1_11comp_targetILNS1_3genE0ELNS1_11target_archE4294967295ELNS1_3gpuE0ELNS1_3repE0EEENS1_30default_config_static_selectorELNS0_4arch9wavefront6targetE0EEEvT1_.num_named_barrier, 0
	.set _ZN7rocprim17ROCPRIM_400000_NS6detail17trampoline_kernelINS0_14default_configENS1_27scan_by_key_config_selectorIssEEZZNS1_16scan_by_key_implILNS1_25lookback_scan_determinismE0ELb0ES3_N6thrust23THRUST_200600_302600_NS6detail15normal_iteratorINS9_10device_ptrIsEEEESE_SE_sNS9_4plusIvEENS9_8equal_toIsEEsEE10hipError_tPvRmT2_T3_T4_T5_mT6_T7_P12ihipStream_tbENKUlT_T0_E_clISt17integral_constantIbLb0EESY_IbLb1EEEEDaSU_SV_EUlSU_E_NS1_11comp_targetILNS1_3genE0ELNS1_11target_archE4294967295ELNS1_3gpuE0ELNS1_3repE0EEENS1_30default_config_static_selectorELNS0_4arch9wavefront6targetE0EEEvT1_.private_seg_size, 0
	.set _ZN7rocprim17ROCPRIM_400000_NS6detail17trampoline_kernelINS0_14default_configENS1_27scan_by_key_config_selectorIssEEZZNS1_16scan_by_key_implILNS1_25lookback_scan_determinismE0ELb0ES3_N6thrust23THRUST_200600_302600_NS6detail15normal_iteratorINS9_10device_ptrIsEEEESE_SE_sNS9_4plusIvEENS9_8equal_toIsEEsEE10hipError_tPvRmT2_T3_T4_T5_mT6_T7_P12ihipStream_tbENKUlT_T0_E_clISt17integral_constantIbLb0EESY_IbLb1EEEEDaSU_SV_EUlSU_E_NS1_11comp_targetILNS1_3genE0ELNS1_11target_archE4294967295ELNS1_3gpuE0ELNS1_3repE0EEENS1_30default_config_static_selectorELNS0_4arch9wavefront6targetE0EEEvT1_.uses_vcc, 1
	.set _ZN7rocprim17ROCPRIM_400000_NS6detail17trampoline_kernelINS0_14default_configENS1_27scan_by_key_config_selectorIssEEZZNS1_16scan_by_key_implILNS1_25lookback_scan_determinismE0ELb0ES3_N6thrust23THRUST_200600_302600_NS6detail15normal_iteratorINS9_10device_ptrIsEEEESE_SE_sNS9_4plusIvEENS9_8equal_toIsEEsEE10hipError_tPvRmT2_T3_T4_T5_mT6_T7_P12ihipStream_tbENKUlT_T0_E_clISt17integral_constantIbLb0EESY_IbLb1EEEEDaSU_SV_EUlSU_E_NS1_11comp_targetILNS1_3genE0ELNS1_11target_archE4294967295ELNS1_3gpuE0ELNS1_3repE0EEENS1_30default_config_static_selectorELNS0_4arch9wavefront6targetE0EEEvT1_.uses_flat_scratch, 1
	.set _ZN7rocprim17ROCPRIM_400000_NS6detail17trampoline_kernelINS0_14default_configENS1_27scan_by_key_config_selectorIssEEZZNS1_16scan_by_key_implILNS1_25lookback_scan_determinismE0ELb0ES3_N6thrust23THRUST_200600_302600_NS6detail15normal_iteratorINS9_10device_ptrIsEEEESE_SE_sNS9_4plusIvEENS9_8equal_toIsEEsEE10hipError_tPvRmT2_T3_T4_T5_mT6_T7_P12ihipStream_tbENKUlT_T0_E_clISt17integral_constantIbLb0EESY_IbLb1EEEEDaSU_SV_EUlSU_E_NS1_11comp_targetILNS1_3genE0ELNS1_11target_archE4294967295ELNS1_3gpuE0ELNS1_3repE0EEENS1_30default_config_static_selectorELNS0_4arch9wavefront6targetE0EEEvT1_.has_dyn_sized_stack, 0
	.set _ZN7rocprim17ROCPRIM_400000_NS6detail17trampoline_kernelINS0_14default_configENS1_27scan_by_key_config_selectorIssEEZZNS1_16scan_by_key_implILNS1_25lookback_scan_determinismE0ELb0ES3_N6thrust23THRUST_200600_302600_NS6detail15normal_iteratorINS9_10device_ptrIsEEEESE_SE_sNS9_4plusIvEENS9_8equal_toIsEEsEE10hipError_tPvRmT2_T3_T4_T5_mT6_T7_P12ihipStream_tbENKUlT_T0_E_clISt17integral_constantIbLb0EESY_IbLb1EEEEDaSU_SV_EUlSU_E_NS1_11comp_targetILNS1_3genE0ELNS1_11target_archE4294967295ELNS1_3gpuE0ELNS1_3repE0EEENS1_30default_config_static_selectorELNS0_4arch9wavefront6targetE0EEEvT1_.has_recursion, 0
	.set _ZN7rocprim17ROCPRIM_400000_NS6detail17trampoline_kernelINS0_14default_configENS1_27scan_by_key_config_selectorIssEEZZNS1_16scan_by_key_implILNS1_25lookback_scan_determinismE0ELb0ES3_N6thrust23THRUST_200600_302600_NS6detail15normal_iteratorINS9_10device_ptrIsEEEESE_SE_sNS9_4plusIvEENS9_8equal_toIsEEsEE10hipError_tPvRmT2_T3_T4_T5_mT6_T7_P12ihipStream_tbENKUlT_T0_E_clISt17integral_constantIbLb0EESY_IbLb1EEEEDaSU_SV_EUlSU_E_NS1_11comp_targetILNS1_3genE0ELNS1_11target_archE4294967295ELNS1_3gpuE0ELNS1_3repE0EEENS1_30default_config_static_selectorELNS0_4arch9wavefront6targetE0EEEvT1_.has_indirect_call, 0
	.section	.AMDGPU.csdata,"",@progbits
; Kernel info:
; codeLenInByte = 18836
; TotalNumSgprs: 53
; NumVgprs: 58
; ScratchSize: 0
; MemoryBound: 0
; FloatMode: 240
; IeeeMode: 1
; LDSByteSize: 11264 bytes/workgroup (compile time only)
; SGPRBlocks: 0
; VGPRBlocks: 3
; NumSGPRsForWavesPerEU: 53
; NumVGPRsForWavesPerEU: 58
; NamedBarCnt: 0
; Occupancy: 16
; WaveLimiterHint : 1
; COMPUTE_PGM_RSRC2:SCRATCH_EN: 0
; COMPUTE_PGM_RSRC2:USER_SGPR: 2
; COMPUTE_PGM_RSRC2:TRAP_HANDLER: 0
; COMPUTE_PGM_RSRC2:TGID_X_EN: 1
; COMPUTE_PGM_RSRC2:TGID_Y_EN: 0
; COMPUTE_PGM_RSRC2:TGID_Z_EN: 0
; COMPUTE_PGM_RSRC2:TIDIG_COMP_CNT: 0
	.section	.text._ZN7rocprim17ROCPRIM_400000_NS6detail17trampoline_kernelINS0_14default_configENS1_27scan_by_key_config_selectorIssEEZZNS1_16scan_by_key_implILNS1_25lookback_scan_determinismE0ELb0ES3_N6thrust23THRUST_200600_302600_NS6detail15normal_iteratorINS9_10device_ptrIsEEEESE_SE_sNS9_4plusIvEENS9_8equal_toIsEEsEE10hipError_tPvRmT2_T3_T4_T5_mT6_T7_P12ihipStream_tbENKUlT_T0_E_clISt17integral_constantIbLb0EESY_IbLb1EEEEDaSU_SV_EUlSU_E_NS1_11comp_targetILNS1_3genE10ELNS1_11target_archE1201ELNS1_3gpuE5ELNS1_3repE0EEENS1_30default_config_static_selectorELNS0_4arch9wavefront6targetE0EEEvT1_,"axG",@progbits,_ZN7rocprim17ROCPRIM_400000_NS6detail17trampoline_kernelINS0_14default_configENS1_27scan_by_key_config_selectorIssEEZZNS1_16scan_by_key_implILNS1_25lookback_scan_determinismE0ELb0ES3_N6thrust23THRUST_200600_302600_NS6detail15normal_iteratorINS9_10device_ptrIsEEEESE_SE_sNS9_4plusIvEENS9_8equal_toIsEEsEE10hipError_tPvRmT2_T3_T4_T5_mT6_T7_P12ihipStream_tbENKUlT_T0_E_clISt17integral_constantIbLb0EESY_IbLb1EEEEDaSU_SV_EUlSU_E_NS1_11comp_targetILNS1_3genE10ELNS1_11target_archE1201ELNS1_3gpuE5ELNS1_3repE0EEENS1_30default_config_static_selectorELNS0_4arch9wavefront6targetE0EEEvT1_,comdat
	.protected	_ZN7rocprim17ROCPRIM_400000_NS6detail17trampoline_kernelINS0_14default_configENS1_27scan_by_key_config_selectorIssEEZZNS1_16scan_by_key_implILNS1_25lookback_scan_determinismE0ELb0ES3_N6thrust23THRUST_200600_302600_NS6detail15normal_iteratorINS9_10device_ptrIsEEEESE_SE_sNS9_4plusIvEENS9_8equal_toIsEEsEE10hipError_tPvRmT2_T3_T4_T5_mT6_T7_P12ihipStream_tbENKUlT_T0_E_clISt17integral_constantIbLb0EESY_IbLb1EEEEDaSU_SV_EUlSU_E_NS1_11comp_targetILNS1_3genE10ELNS1_11target_archE1201ELNS1_3gpuE5ELNS1_3repE0EEENS1_30default_config_static_selectorELNS0_4arch9wavefront6targetE0EEEvT1_ ; -- Begin function _ZN7rocprim17ROCPRIM_400000_NS6detail17trampoline_kernelINS0_14default_configENS1_27scan_by_key_config_selectorIssEEZZNS1_16scan_by_key_implILNS1_25lookback_scan_determinismE0ELb0ES3_N6thrust23THRUST_200600_302600_NS6detail15normal_iteratorINS9_10device_ptrIsEEEESE_SE_sNS9_4plusIvEENS9_8equal_toIsEEsEE10hipError_tPvRmT2_T3_T4_T5_mT6_T7_P12ihipStream_tbENKUlT_T0_E_clISt17integral_constantIbLb0EESY_IbLb1EEEEDaSU_SV_EUlSU_E_NS1_11comp_targetILNS1_3genE10ELNS1_11target_archE1201ELNS1_3gpuE5ELNS1_3repE0EEENS1_30default_config_static_selectorELNS0_4arch9wavefront6targetE0EEEvT1_
	.globl	_ZN7rocprim17ROCPRIM_400000_NS6detail17trampoline_kernelINS0_14default_configENS1_27scan_by_key_config_selectorIssEEZZNS1_16scan_by_key_implILNS1_25lookback_scan_determinismE0ELb0ES3_N6thrust23THRUST_200600_302600_NS6detail15normal_iteratorINS9_10device_ptrIsEEEESE_SE_sNS9_4plusIvEENS9_8equal_toIsEEsEE10hipError_tPvRmT2_T3_T4_T5_mT6_T7_P12ihipStream_tbENKUlT_T0_E_clISt17integral_constantIbLb0EESY_IbLb1EEEEDaSU_SV_EUlSU_E_NS1_11comp_targetILNS1_3genE10ELNS1_11target_archE1201ELNS1_3gpuE5ELNS1_3repE0EEENS1_30default_config_static_selectorELNS0_4arch9wavefront6targetE0EEEvT1_
	.p2align	8
	.type	_ZN7rocprim17ROCPRIM_400000_NS6detail17trampoline_kernelINS0_14default_configENS1_27scan_by_key_config_selectorIssEEZZNS1_16scan_by_key_implILNS1_25lookback_scan_determinismE0ELb0ES3_N6thrust23THRUST_200600_302600_NS6detail15normal_iteratorINS9_10device_ptrIsEEEESE_SE_sNS9_4plusIvEENS9_8equal_toIsEEsEE10hipError_tPvRmT2_T3_T4_T5_mT6_T7_P12ihipStream_tbENKUlT_T0_E_clISt17integral_constantIbLb0EESY_IbLb1EEEEDaSU_SV_EUlSU_E_NS1_11comp_targetILNS1_3genE10ELNS1_11target_archE1201ELNS1_3gpuE5ELNS1_3repE0EEENS1_30default_config_static_selectorELNS0_4arch9wavefront6targetE0EEEvT1_,@function
_ZN7rocprim17ROCPRIM_400000_NS6detail17trampoline_kernelINS0_14default_configENS1_27scan_by_key_config_selectorIssEEZZNS1_16scan_by_key_implILNS1_25lookback_scan_determinismE0ELb0ES3_N6thrust23THRUST_200600_302600_NS6detail15normal_iteratorINS9_10device_ptrIsEEEESE_SE_sNS9_4plusIvEENS9_8equal_toIsEEsEE10hipError_tPvRmT2_T3_T4_T5_mT6_T7_P12ihipStream_tbENKUlT_T0_E_clISt17integral_constantIbLb0EESY_IbLb1EEEEDaSU_SV_EUlSU_E_NS1_11comp_targetILNS1_3genE10ELNS1_11target_archE1201ELNS1_3gpuE5ELNS1_3repE0EEENS1_30default_config_static_selectorELNS0_4arch9wavefront6targetE0EEEvT1_: ; @_ZN7rocprim17ROCPRIM_400000_NS6detail17trampoline_kernelINS0_14default_configENS1_27scan_by_key_config_selectorIssEEZZNS1_16scan_by_key_implILNS1_25lookback_scan_determinismE0ELb0ES3_N6thrust23THRUST_200600_302600_NS6detail15normal_iteratorINS9_10device_ptrIsEEEESE_SE_sNS9_4plusIvEENS9_8equal_toIsEEsEE10hipError_tPvRmT2_T3_T4_T5_mT6_T7_P12ihipStream_tbENKUlT_T0_E_clISt17integral_constantIbLb0EESY_IbLb1EEEEDaSU_SV_EUlSU_E_NS1_11comp_targetILNS1_3genE10ELNS1_11target_archE1201ELNS1_3gpuE5ELNS1_3repE0EEENS1_30default_config_static_selectorELNS0_4arch9wavefront6targetE0EEEvT1_
; %bb.0:
	.section	.rodata,"a",@progbits
	.p2align	6, 0x0
	.amdhsa_kernel _ZN7rocprim17ROCPRIM_400000_NS6detail17trampoline_kernelINS0_14default_configENS1_27scan_by_key_config_selectorIssEEZZNS1_16scan_by_key_implILNS1_25lookback_scan_determinismE0ELb0ES3_N6thrust23THRUST_200600_302600_NS6detail15normal_iteratorINS9_10device_ptrIsEEEESE_SE_sNS9_4plusIvEENS9_8equal_toIsEEsEE10hipError_tPvRmT2_T3_T4_T5_mT6_T7_P12ihipStream_tbENKUlT_T0_E_clISt17integral_constantIbLb0EESY_IbLb1EEEEDaSU_SV_EUlSU_E_NS1_11comp_targetILNS1_3genE10ELNS1_11target_archE1201ELNS1_3gpuE5ELNS1_3repE0EEENS1_30default_config_static_selectorELNS0_4arch9wavefront6targetE0EEEvT1_
		.amdhsa_group_segment_fixed_size 0
		.amdhsa_private_segment_fixed_size 0
		.amdhsa_kernarg_size 112
		.amdhsa_user_sgpr_count 2
		.amdhsa_user_sgpr_dispatch_ptr 0
		.amdhsa_user_sgpr_queue_ptr 0
		.amdhsa_user_sgpr_kernarg_segment_ptr 1
		.amdhsa_user_sgpr_dispatch_id 0
		.amdhsa_user_sgpr_kernarg_preload_length 0
		.amdhsa_user_sgpr_kernarg_preload_offset 0
		.amdhsa_user_sgpr_private_segment_size 0
		.amdhsa_wavefront_size32 1
		.amdhsa_uses_dynamic_stack 0
		.amdhsa_enable_private_segment 0
		.amdhsa_system_sgpr_workgroup_id_x 1
		.amdhsa_system_sgpr_workgroup_id_y 0
		.amdhsa_system_sgpr_workgroup_id_z 0
		.amdhsa_system_sgpr_workgroup_info 0
		.amdhsa_system_vgpr_workitem_id 0
		.amdhsa_next_free_vgpr 1
		.amdhsa_next_free_sgpr 1
		.amdhsa_named_barrier_count 0
		.amdhsa_reserve_vcc 0
		.amdhsa_float_round_mode_32 0
		.amdhsa_float_round_mode_16_64 0
		.amdhsa_float_denorm_mode_32 3
		.amdhsa_float_denorm_mode_16_64 3
		.amdhsa_fp16_overflow 0
		.amdhsa_memory_ordered 1
		.amdhsa_forward_progress 1
		.amdhsa_inst_pref_size 0
		.amdhsa_round_robin_scheduling 0
		.amdhsa_exception_fp_ieee_invalid_op 0
		.amdhsa_exception_fp_denorm_src 0
		.amdhsa_exception_fp_ieee_div_zero 0
		.amdhsa_exception_fp_ieee_overflow 0
		.amdhsa_exception_fp_ieee_underflow 0
		.amdhsa_exception_fp_ieee_inexact 0
		.amdhsa_exception_int_div_zero 0
	.end_amdhsa_kernel
	.section	.text._ZN7rocprim17ROCPRIM_400000_NS6detail17trampoline_kernelINS0_14default_configENS1_27scan_by_key_config_selectorIssEEZZNS1_16scan_by_key_implILNS1_25lookback_scan_determinismE0ELb0ES3_N6thrust23THRUST_200600_302600_NS6detail15normal_iteratorINS9_10device_ptrIsEEEESE_SE_sNS9_4plusIvEENS9_8equal_toIsEEsEE10hipError_tPvRmT2_T3_T4_T5_mT6_T7_P12ihipStream_tbENKUlT_T0_E_clISt17integral_constantIbLb0EESY_IbLb1EEEEDaSU_SV_EUlSU_E_NS1_11comp_targetILNS1_3genE10ELNS1_11target_archE1201ELNS1_3gpuE5ELNS1_3repE0EEENS1_30default_config_static_selectorELNS0_4arch9wavefront6targetE0EEEvT1_,"axG",@progbits,_ZN7rocprim17ROCPRIM_400000_NS6detail17trampoline_kernelINS0_14default_configENS1_27scan_by_key_config_selectorIssEEZZNS1_16scan_by_key_implILNS1_25lookback_scan_determinismE0ELb0ES3_N6thrust23THRUST_200600_302600_NS6detail15normal_iteratorINS9_10device_ptrIsEEEESE_SE_sNS9_4plusIvEENS9_8equal_toIsEEsEE10hipError_tPvRmT2_T3_T4_T5_mT6_T7_P12ihipStream_tbENKUlT_T0_E_clISt17integral_constantIbLb0EESY_IbLb1EEEEDaSU_SV_EUlSU_E_NS1_11comp_targetILNS1_3genE10ELNS1_11target_archE1201ELNS1_3gpuE5ELNS1_3repE0EEENS1_30default_config_static_selectorELNS0_4arch9wavefront6targetE0EEEvT1_,comdat
.Lfunc_end345:
	.size	_ZN7rocprim17ROCPRIM_400000_NS6detail17trampoline_kernelINS0_14default_configENS1_27scan_by_key_config_selectorIssEEZZNS1_16scan_by_key_implILNS1_25lookback_scan_determinismE0ELb0ES3_N6thrust23THRUST_200600_302600_NS6detail15normal_iteratorINS9_10device_ptrIsEEEESE_SE_sNS9_4plusIvEENS9_8equal_toIsEEsEE10hipError_tPvRmT2_T3_T4_T5_mT6_T7_P12ihipStream_tbENKUlT_T0_E_clISt17integral_constantIbLb0EESY_IbLb1EEEEDaSU_SV_EUlSU_E_NS1_11comp_targetILNS1_3genE10ELNS1_11target_archE1201ELNS1_3gpuE5ELNS1_3repE0EEENS1_30default_config_static_selectorELNS0_4arch9wavefront6targetE0EEEvT1_, .Lfunc_end345-_ZN7rocprim17ROCPRIM_400000_NS6detail17trampoline_kernelINS0_14default_configENS1_27scan_by_key_config_selectorIssEEZZNS1_16scan_by_key_implILNS1_25lookback_scan_determinismE0ELb0ES3_N6thrust23THRUST_200600_302600_NS6detail15normal_iteratorINS9_10device_ptrIsEEEESE_SE_sNS9_4plusIvEENS9_8equal_toIsEEsEE10hipError_tPvRmT2_T3_T4_T5_mT6_T7_P12ihipStream_tbENKUlT_T0_E_clISt17integral_constantIbLb0EESY_IbLb1EEEEDaSU_SV_EUlSU_E_NS1_11comp_targetILNS1_3genE10ELNS1_11target_archE1201ELNS1_3gpuE5ELNS1_3repE0EEENS1_30default_config_static_selectorELNS0_4arch9wavefront6targetE0EEEvT1_
                                        ; -- End function
	.set _ZN7rocprim17ROCPRIM_400000_NS6detail17trampoline_kernelINS0_14default_configENS1_27scan_by_key_config_selectorIssEEZZNS1_16scan_by_key_implILNS1_25lookback_scan_determinismE0ELb0ES3_N6thrust23THRUST_200600_302600_NS6detail15normal_iteratorINS9_10device_ptrIsEEEESE_SE_sNS9_4plusIvEENS9_8equal_toIsEEsEE10hipError_tPvRmT2_T3_T4_T5_mT6_T7_P12ihipStream_tbENKUlT_T0_E_clISt17integral_constantIbLb0EESY_IbLb1EEEEDaSU_SV_EUlSU_E_NS1_11comp_targetILNS1_3genE10ELNS1_11target_archE1201ELNS1_3gpuE5ELNS1_3repE0EEENS1_30default_config_static_selectorELNS0_4arch9wavefront6targetE0EEEvT1_.num_vgpr, 0
	.set _ZN7rocprim17ROCPRIM_400000_NS6detail17trampoline_kernelINS0_14default_configENS1_27scan_by_key_config_selectorIssEEZZNS1_16scan_by_key_implILNS1_25lookback_scan_determinismE0ELb0ES3_N6thrust23THRUST_200600_302600_NS6detail15normal_iteratorINS9_10device_ptrIsEEEESE_SE_sNS9_4plusIvEENS9_8equal_toIsEEsEE10hipError_tPvRmT2_T3_T4_T5_mT6_T7_P12ihipStream_tbENKUlT_T0_E_clISt17integral_constantIbLb0EESY_IbLb1EEEEDaSU_SV_EUlSU_E_NS1_11comp_targetILNS1_3genE10ELNS1_11target_archE1201ELNS1_3gpuE5ELNS1_3repE0EEENS1_30default_config_static_selectorELNS0_4arch9wavefront6targetE0EEEvT1_.num_agpr, 0
	.set _ZN7rocprim17ROCPRIM_400000_NS6detail17trampoline_kernelINS0_14default_configENS1_27scan_by_key_config_selectorIssEEZZNS1_16scan_by_key_implILNS1_25lookback_scan_determinismE0ELb0ES3_N6thrust23THRUST_200600_302600_NS6detail15normal_iteratorINS9_10device_ptrIsEEEESE_SE_sNS9_4plusIvEENS9_8equal_toIsEEsEE10hipError_tPvRmT2_T3_T4_T5_mT6_T7_P12ihipStream_tbENKUlT_T0_E_clISt17integral_constantIbLb0EESY_IbLb1EEEEDaSU_SV_EUlSU_E_NS1_11comp_targetILNS1_3genE10ELNS1_11target_archE1201ELNS1_3gpuE5ELNS1_3repE0EEENS1_30default_config_static_selectorELNS0_4arch9wavefront6targetE0EEEvT1_.numbered_sgpr, 0
	.set _ZN7rocprim17ROCPRIM_400000_NS6detail17trampoline_kernelINS0_14default_configENS1_27scan_by_key_config_selectorIssEEZZNS1_16scan_by_key_implILNS1_25lookback_scan_determinismE0ELb0ES3_N6thrust23THRUST_200600_302600_NS6detail15normal_iteratorINS9_10device_ptrIsEEEESE_SE_sNS9_4plusIvEENS9_8equal_toIsEEsEE10hipError_tPvRmT2_T3_T4_T5_mT6_T7_P12ihipStream_tbENKUlT_T0_E_clISt17integral_constantIbLb0EESY_IbLb1EEEEDaSU_SV_EUlSU_E_NS1_11comp_targetILNS1_3genE10ELNS1_11target_archE1201ELNS1_3gpuE5ELNS1_3repE0EEENS1_30default_config_static_selectorELNS0_4arch9wavefront6targetE0EEEvT1_.num_named_barrier, 0
	.set _ZN7rocprim17ROCPRIM_400000_NS6detail17trampoline_kernelINS0_14default_configENS1_27scan_by_key_config_selectorIssEEZZNS1_16scan_by_key_implILNS1_25lookback_scan_determinismE0ELb0ES3_N6thrust23THRUST_200600_302600_NS6detail15normal_iteratorINS9_10device_ptrIsEEEESE_SE_sNS9_4plusIvEENS9_8equal_toIsEEsEE10hipError_tPvRmT2_T3_T4_T5_mT6_T7_P12ihipStream_tbENKUlT_T0_E_clISt17integral_constantIbLb0EESY_IbLb1EEEEDaSU_SV_EUlSU_E_NS1_11comp_targetILNS1_3genE10ELNS1_11target_archE1201ELNS1_3gpuE5ELNS1_3repE0EEENS1_30default_config_static_selectorELNS0_4arch9wavefront6targetE0EEEvT1_.private_seg_size, 0
	.set _ZN7rocprim17ROCPRIM_400000_NS6detail17trampoline_kernelINS0_14default_configENS1_27scan_by_key_config_selectorIssEEZZNS1_16scan_by_key_implILNS1_25lookback_scan_determinismE0ELb0ES3_N6thrust23THRUST_200600_302600_NS6detail15normal_iteratorINS9_10device_ptrIsEEEESE_SE_sNS9_4plusIvEENS9_8equal_toIsEEsEE10hipError_tPvRmT2_T3_T4_T5_mT6_T7_P12ihipStream_tbENKUlT_T0_E_clISt17integral_constantIbLb0EESY_IbLb1EEEEDaSU_SV_EUlSU_E_NS1_11comp_targetILNS1_3genE10ELNS1_11target_archE1201ELNS1_3gpuE5ELNS1_3repE0EEENS1_30default_config_static_selectorELNS0_4arch9wavefront6targetE0EEEvT1_.uses_vcc, 0
	.set _ZN7rocprim17ROCPRIM_400000_NS6detail17trampoline_kernelINS0_14default_configENS1_27scan_by_key_config_selectorIssEEZZNS1_16scan_by_key_implILNS1_25lookback_scan_determinismE0ELb0ES3_N6thrust23THRUST_200600_302600_NS6detail15normal_iteratorINS9_10device_ptrIsEEEESE_SE_sNS9_4plusIvEENS9_8equal_toIsEEsEE10hipError_tPvRmT2_T3_T4_T5_mT6_T7_P12ihipStream_tbENKUlT_T0_E_clISt17integral_constantIbLb0EESY_IbLb1EEEEDaSU_SV_EUlSU_E_NS1_11comp_targetILNS1_3genE10ELNS1_11target_archE1201ELNS1_3gpuE5ELNS1_3repE0EEENS1_30default_config_static_selectorELNS0_4arch9wavefront6targetE0EEEvT1_.uses_flat_scratch, 0
	.set _ZN7rocprim17ROCPRIM_400000_NS6detail17trampoline_kernelINS0_14default_configENS1_27scan_by_key_config_selectorIssEEZZNS1_16scan_by_key_implILNS1_25lookback_scan_determinismE0ELb0ES3_N6thrust23THRUST_200600_302600_NS6detail15normal_iteratorINS9_10device_ptrIsEEEESE_SE_sNS9_4plusIvEENS9_8equal_toIsEEsEE10hipError_tPvRmT2_T3_T4_T5_mT6_T7_P12ihipStream_tbENKUlT_T0_E_clISt17integral_constantIbLb0EESY_IbLb1EEEEDaSU_SV_EUlSU_E_NS1_11comp_targetILNS1_3genE10ELNS1_11target_archE1201ELNS1_3gpuE5ELNS1_3repE0EEENS1_30default_config_static_selectorELNS0_4arch9wavefront6targetE0EEEvT1_.has_dyn_sized_stack, 0
	.set _ZN7rocprim17ROCPRIM_400000_NS6detail17trampoline_kernelINS0_14default_configENS1_27scan_by_key_config_selectorIssEEZZNS1_16scan_by_key_implILNS1_25lookback_scan_determinismE0ELb0ES3_N6thrust23THRUST_200600_302600_NS6detail15normal_iteratorINS9_10device_ptrIsEEEESE_SE_sNS9_4plusIvEENS9_8equal_toIsEEsEE10hipError_tPvRmT2_T3_T4_T5_mT6_T7_P12ihipStream_tbENKUlT_T0_E_clISt17integral_constantIbLb0EESY_IbLb1EEEEDaSU_SV_EUlSU_E_NS1_11comp_targetILNS1_3genE10ELNS1_11target_archE1201ELNS1_3gpuE5ELNS1_3repE0EEENS1_30default_config_static_selectorELNS0_4arch9wavefront6targetE0EEEvT1_.has_recursion, 0
	.set _ZN7rocprim17ROCPRIM_400000_NS6detail17trampoline_kernelINS0_14default_configENS1_27scan_by_key_config_selectorIssEEZZNS1_16scan_by_key_implILNS1_25lookback_scan_determinismE0ELb0ES3_N6thrust23THRUST_200600_302600_NS6detail15normal_iteratorINS9_10device_ptrIsEEEESE_SE_sNS9_4plusIvEENS9_8equal_toIsEEsEE10hipError_tPvRmT2_T3_T4_T5_mT6_T7_P12ihipStream_tbENKUlT_T0_E_clISt17integral_constantIbLb0EESY_IbLb1EEEEDaSU_SV_EUlSU_E_NS1_11comp_targetILNS1_3genE10ELNS1_11target_archE1201ELNS1_3gpuE5ELNS1_3repE0EEENS1_30default_config_static_selectorELNS0_4arch9wavefront6targetE0EEEvT1_.has_indirect_call, 0
	.section	.AMDGPU.csdata,"",@progbits
; Kernel info:
; codeLenInByte = 0
; TotalNumSgprs: 0
; NumVgprs: 0
; ScratchSize: 0
; MemoryBound: 0
; FloatMode: 240
; IeeeMode: 1
; LDSByteSize: 0 bytes/workgroup (compile time only)
; SGPRBlocks: 0
; VGPRBlocks: 0
; NumSGPRsForWavesPerEU: 1
; NumVGPRsForWavesPerEU: 1
; NamedBarCnt: 0
; Occupancy: 16
; WaveLimiterHint : 0
; COMPUTE_PGM_RSRC2:SCRATCH_EN: 0
; COMPUTE_PGM_RSRC2:USER_SGPR: 2
; COMPUTE_PGM_RSRC2:TRAP_HANDLER: 0
; COMPUTE_PGM_RSRC2:TGID_X_EN: 1
; COMPUTE_PGM_RSRC2:TGID_Y_EN: 0
; COMPUTE_PGM_RSRC2:TGID_Z_EN: 0
; COMPUTE_PGM_RSRC2:TIDIG_COMP_CNT: 0
	.section	.text._ZN7rocprim17ROCPRIM_400000_NS6detail17trampoline_kernelINS0_14default_configENS1_27scan_by_key_config_selectorIssEEZZNS1_16scan_by_key_implILNS1_25lookback_scan_determinismE0ELb0ES3_N6thrust23THRUST_200600_302600_NS6detail15normal_iteratorINS9_10device_ptrIsEEEESE_SE_sNS9_4plusIvEENS9_8equal_toIsEEsEE10hipError_tPvRmT2_T3_T4_T5_mT6_T7_P12ihipStream_tbENKUlT_T0_E_clISt17integral_constantIbLb0EESY_IbLb1EEEEDaSU_SV_EUlSU_E_NS1_11comp_targetILNS1_3genE5ELNS1_11target_archE942ELNS1_3gpuE9ELNS1_3repE0EEENS1_30default_config_static_selectorELNS0_4arch9wavefront6targetE0EEEvT1_,"axG",@progbits,_ZN7rocprim17ROCPRIM_400000_NS6detail17trampoline_kernelINS0_14default_configENS1_27scan_by_key_config_selectorIssEEZZNS1_16scan_by_key_implILNS1_25lookback_scan_determinismE0ELb0ES3_N6thrust23THRUST_200600_302600_NS6detail15normal_iteratorINS9_10device_ptrIsEEEESE_SE_sNS9_4plusIvEENS9_8equal_toIsEEsEE10hipError_tPvRmT2_T3_T4_T5_mT6_T7_P12ihipStream_tbENKUlT_T0_E_clISt17integral_constantIbLb0EESY_IbLb1EEEEDaSU_SV_EUlSU_E_NS1_11comp_targetILNS1_3genE5ELNS1_11target_archE942ELNS1_3gpuE9ELNS1_3repE0EEENS1_30default_config_static_selectorELNS0_4arch9wavefront6targetE0EEEvT1_,comdat
	.protected	_ZN7rocprim17ROCPRIM_400000_NS6detail17trampoline_kernelINS0_14default_configENS1_27scan_by_key_config_selectorIssEEZZNS1_16scan_by_key_implILNS1_25lookback_scan_determinismE0ELb0ES3_N6thrust23THRUST_200600_302600_NS6detail15normal_iteratorINS9_10device_ptrIsEEEESE_SE_sNS9_4plusIvEENS9_8equal_toIsEEsEE10hipError_tPvRmT2_T3_T4_T5_mT6_T7_P12ihipStream_tbENKUlT_T0_E_clISt17integral_constantIbLb0EESY_IbLb1EEEEDaSU_SV_EUlSU_E_NS1_11comp_targetILNS1_3genE5ELNS1_11target_archE942ELNS1_3gpuE9ELNS1_3repE0EEENS1_30default_config_static_selectorELNS0_4arch9wavefront6targetE0EEEvT1_ ; -- Begin function _ZN7rocprim17ROCPRIM_400000_NS6detail17trampoline_kernelINS0_14default_configENS1_27scan_by_key_config_selectorIssEEZZNS1_16scan_by_key_implILNS1_25lookback_scan_determinismE0ELb0ES3_N6thrust23THRUST_200600_302600_NS6detail15normal_iteratorINS9_10device_ptrIsEEEESE_SE_sNS9_4plusIvEENS9_8equal_toIsEEsEE10hipError_tPvRmT2_T3_T4_T5_mT6_T7_P12ihipStream_tbENKUlT_T0_E_clISt17integral_constantIbLb0EESY_IbLb1EEEEDaSU_SV_EUlSU_E_NS1_11comp_targetILNS1_3genE5ELNS1_11target_archE942ELNS1_3gpuE9ELNS1_3repE0EEENS1_30default_config_static_selectorELNS0_4arch9wavefront6targetE0EEEvT1_
	.globl	_ZN7rocprim17ROCPRIM_400000_NS6detail17trampoline_kernelINS0_14default_configENS1_27scan_by_key_config_selectorIssEEZZNS1_16scan_by_key_implILNS1_25lookback_scan_determinismE0ELb0ES3_N6thrust23THRUST_200600_302600_NS6detail15normal_iteratorINS9_10device_ptrIsEEEESE_SE_sNS9_4plusIvEENS9_8equal_toIsEEsEE10hipError_tPvRmT2_T3_T4_T5_mT6_T7_P12ihipStream_tbENKUlT_T0_E_clISt17integral_constantIbLb0EESY_IbLb1EEEEDaSU_SV_EUlSU_E_NS1_11comp_targetILNS1_3genE5ELNS1_11target_archE942ELNS1_3gpuE9ELNS1_3repE0EEENS1_30default_config_static_selectorELNS0_4arch9wavefront6targetE0EEEvT1_
	.p2align	8
	.type	_ZN7rocprim17ROCPRIM_400000_NS6detail17trampoline_kernelINS0_14default_configENS1_27scan_by_key_config_selectorIssEEZZNS1_16scan_by_key_implILNS1_25lookback_scan_determinismE0ELb0ES3_N6thrust23THRUST_200600_302600_NS6detail15normal_iteratorINS9_10device_ptrIsEEEESE_SE_sNS9_4plusIvEENS9_8equal_toIsEEsEE10hipError_tPvRmT2_T3_T4_T5_mT6_T7_P12ihipStream_tbENKUlT_T0_E_clISt17integral_constantIbLb0EESY_IbLb1EEEEDaSU_SV_EUlSU_E_NS1_11comp_targetILNS1_3genE5ELNS1_11target_archE942ELNS1_3gpuE9ELNS1_3repE0EEENS1_30default_config_static_selectorELNS0_4arch9wavefront6targetE0EEEvT1_,@function
_ZN7rocprim17ROCPRIM_400000_NS6detail17trampoline_kernelINS0_14default_configENS1_27scan_by_key_config_selectorIssEEZZNS1_16scan_by_key_implILNS1_25lookback_scan_determinismE0ELb0ES3_N6thrust23THRUST_200600_302600_NS6detail15normal_iteratorINS9_10device_ptrIsEEEESE_SE_sNS9_4plusIvEENS9_8equal_toIsEEsEE10hipError_tPvRmT2_T3_T4_T5_mT6_T7_P12ihipStream_tbENKUlT_T0_E_clISt17integral_constantIbLb0EESY_IbLb1EEEEDaSU_SV_EUlSU_E_NS1_11comp_targetILNS1_3genE5ELNS1_11target_archE942ELNS1_3gpuE9ELNS1_3repE0EEENS1_30default_config_static_selectorELNS0_4arch9wavefront6targetE0EEEvT1_: ; @_ZN7rocprim17ROCPRIM_400000_NS6detail17trampoline_kernelINS0_14default_configENS1_27scan_by_key_config_selectorIssEEZZNS1_16scan_by_key_implILNS1_25lookback_scan_determinismE0ELb0ES3_N6thrust23THRUST_200600_302600_NS6detail15normal_iteratorINS9_10device_ptrIsEEEESE_SE_sNS9_4plusIvEENS9_8equal_toIsEEsEE10hipError_tPvRmT2_T3_T4_T5_mT6_T7_P12ihipStream_tbENKUlT_T0_E_clISt17integral_constantIbLb0EESY_IbLb1EEEEDaSU_SV_EUlSU_E_NS1_11comp_targetILNS1_3genE5ELNS1_11target_archE942ELNS1_3gpuE9ELNS1_3repE0EEENS1_30default_config_static_selectorELNS0_4arch9wavefront6targetE0EEEvT1_
; %bb.0:
	.section	.rodata,"a",@progbits
	.p2align	6, 0x0
	.amdhsa_kernel _ZN7rocprim17ROCPRIM_400000_NS6detail17trampoline_kernelINS0_14default_configENS1_27scan_by_key_config_selectorIssEEZZNS1_16scan_by_key_implILNS1_25lookback_scan_determinismE0ELb0ES3_N6thrust23THRUST_200600_302600_NS6detail15normal_iteratorINS9_10device_ptrIsEEEESE_SE_sNS9_4plusIvEENS9_8equal_toIsEEsEE10hipError_tPvRmT2_T3_T4_T5_mT6_T7_P12ihipStream_tbENKUlT_T0_E_clISt17integral_constantIbLb0EESY_IbLb1EEEEDaSU_SV_EUlSU_E_NS1_11comp_targetILNS1_3genE5ELNS1_11target_archE942ELNS1_3gpuE9ELNS1_3repE0EEENS1_30default_config_static_selectorELNS0_4arch9wavefront6targetE0EEEvT1_
		.amdhsa_group_segment_fixed_size 0
		.amdhsa_private_segment_fixed_size 0
		.amdhsa_kernarg_size 112
		.amdhsa_user_sgpr_count 2
		.amdhsa_user_sgpr_dispatch_ptr 0
		.amdhsa_user_sgpr_queue_ptr 0
		.amdhsa_user_sgpr_kernarg_segment_ptr 1
		.amdhsa_user_sgpr_dispatch_id 0
		.amdhsa_user_sgpr_kernarg_preload_length 0
		.amdhsa_user_sgpr_kernarg_preload_offset 0
		.amdhsa_user_sgpr_private_segment_size 0
		.amdhsa_wavefront_size32 1
		.amdhsa_uses_dynamic_stack 0
		.amdhsa_enable_private_segment 0
		.amdhsa_system_sgpr_workgroup_id_x 1
		.amdhsa_system_sgpr_workgroup_id_y 0
		.amdhsa_system_sgpr_workgroup_id_z 0
		.amdhsa_system_sgpr_workgroup_info 0
		.amdhsa_system_vgpr_workitem_id 0
		.amdhsa_next_free_vgpr 1
		.amdhsa_next_free_sgpr 1
		.amdhsa_named_barrier_count 0
		.amdhsa_reserve_vcc 0
		.amdhsa_float_round_mode_32 0
		.amdhsa_float_round_mode_16_64 0
		.amdhsa_float_denorm_mode_32 3
		.amdhsa_float_denorm_mode_16_64 3
		.amdhsa_fp16_overflow 0
		.amdhsa_memory_ordered 1
		.amdhsa_forward_progress 1
		.amdhsa_inst_pref_size 0
		.amdhsa_round_robin_scheduling 0
		.amdhsa_exception_fp_ieee_invalid_op 0
		.amdhsa_exception_fp_denorm_src 0
		.amdhsa_exception_fp_ieee_div_zero 0
		.amdhsa_exception_fp_ieee_overflow 0
		.amdhsa_exception_fp_ieee_underflow 0
		.amdhsa_exception_fp_ieee_inexact 0
		.amdhsa_exception_int_div_zero 0
	.end_amdhsa_kernel
	.section	.text._ZN7rocprim17ROCPRIM_400000_NS6detail17trampoline_kernelINS0_14default_configENS1_27scan_by_key_config_selectorIssEEZZNS1_16scan_by_key_implILNS1_25lookback_scan_determinismE0ELb0ES3_N6thrust23THRUST_200600_302600_NS6detail15normal_iteratorINS9_10device_ptrIsEEEESE_SE_sNS9_4plusIvEENS9_8equal_toIsEEsEE10hipError_tPvRmT2_T3_T4_T5_mT6_T7_P12ihipStream_tbENKUlT_T0_E_clISt17integral_constantIbLb0EESY_IbLb1EEEEDaSU_SV_EUlSU_E_NS1_11comp_targetILNS1_3genE5ELNS1_11target_archE942ELNS1_3gpuE9ELNS1_3repE0EEENS1_30default_config_static_selectorELNS0_4arch9wavefront6targetE0EEEvT1_,"axG",@progbits,_ZN7rocprim17ROCPRIM_400000_NS6detail17trampoline_kernelINS0_14default_configENS1_27scan_by_key_config_selectorIssEEZZNS1_16scan_by_key_implILNS1_25lookback_scan_determinismE0ELb0ES3_N6thrust23THRUST_200600_302600_NS6detail15normal_iteratorINS9_10device_ptrIsEEEESE_SE_sNS9_4plusIvEENS9_8equal_toIsEEsEE10hipError_tPvRmT2_T3_T4_T5_mT6_T7_P12ihipStream_tbENKUlT_T0_E_clISt17integral_constantIbLb0EESY_IbLb1EEEEDaSU_SV_EUlSU_E_NS1_11comp_targetILNS1_3genE5ELNS1_11target_archE942ELNS1_3gpuE9ELNS1_3repE0EEENS1_30default_config_static_selectorELNS0_4arch9wavefront6targetE0EEEvT1_,comdat
.Lfunc_end346:
	.size	_ZN7rocprim17ROCPRIM_400000_NS6detail17trampoline_kernelINS0_14default_configENS1_27scan_by_key_config_selectorIssEEZZNS1_16scan_by_key_implILNS1_25lookback_scan_determinismE0ELb0ES3_N6thrust23THRUST_200600_302600_NS6detail15normal_iteratorINS9_10device_ptrIsEEEESE_SE_sNS9_4plusIvEENS9_8equal_toIsEEsEE10hipError_tPvRmT2_T3_T4_T5_mT6_T7_P12ihipStream_tbENKUlT_T0_E_clISt17integral_constantIbLb0EESY_IbLb1EEEEDaSU_SV_EUlSU_E_NS1_11comp_targetILNS1_3genE5ELNS1_11target_archE942ELNS1_3gpuE9ELNS1_3repE0EEENS1_30default_config_static_selectorELNS0_4arch9wavefront6targetE0EEEvT1_, .Lfunc_end346-_ZN7rocprim17ROCPRIM_400000_NS6detail17trampoline_kernelINS0_14default_configENS1_27scan_by_key_config_selectorIssEEZZNS1_16scan_by_key_implILNS1_25lookback_scan_determinismE0ELb0ES3_N6thrust23THRUST_200600_302600_NS6detail15normal_iteratorINS9_10device_ptrIsEEEESE_SE_sNS9_4plusIvEENS9_8equal_toIsEEsEE10hipError_tPvRmT2_T3_T4_T5_mT6_T7_P12ihipStream_tbENKUlT_T0_E_clISt17integral_constantIbLb0EESY_IbLb1EEEEDaSU_SV_EUlSU_E_NS1_11comp_targetILNS1_3genE5ELNS1_11target_archE942ELNS1_3gpuE9ELNS1_3repE0EEENS1_30default_config_static_selectorELNS0_4arch9wavefront6targetE0EEEvT1_
                                        ; -- End function
	.set _ZN7rocprim17ROCPRIM_400000_NS6detail17trampoline_kernelINS0_14default_configENS1_27scan_by_key_config_selectorIssEEZZNS1_16scan_by_key_implILNS1_25lookback_scan_determinismE0ELb0ES3_N6thrust23THRUST_200600_302600_NS6detail15normal_iteratorINS9_10device_ptrIsEEEESE_SE_sNS9_4plusIvEENS9_8equal_toIsEEsEE10hipError_tPvRmT2_T3_T4_T5_mT6_T7_P12ihipStream_tbENKUlT_T0_E_clISt17integral_constantIbLb0EESY_IbLb1EEEEDaSU_SV_EUlSU_E_NS1_11comp_targetILNS1_3genE5ELNS1_11target_archE942ELNS1_3gpuE9ELNS1_3repE0EEENS1_30default_config_static_selectorELNS0_4arch9wavefront6targetE0EEEvT1_.num_vgpr, 0
	.set _ZN7rocprim17ROCPRIM_400000_NS6detail17trampoline_kernelINS0_14default_configENS1_27scan_by_key_config_selectorIssEEZZNS1_16scan_by_key_implILNS1_25lookback_scan_determinismE0ELb0ES3_N6thrust23THRUST_200600_302600_NS6detail15normal_iteratorINS9_10device_ptrIsEEEESE_SE_sNS9_4plusIvEENS9_8equal_toIsEEsEE10hipError_tPvRmT2_T3_T4_T5_mT6_T7_P12ihipStream_tbENKUlT_T0_E_clISt17integral_constantIbLb0EESY_IbLb1EEEEDaSU_SV_EUlSU_E_NS1_11comp_targetILNS1_3genE5ELNS1_11target_archE942ELNS1_3gpuE9ELNS1_3repE0EEENS1_30default_config_static_selectorELNS0_4arch9wavefront6targetE0EEEvT1_.num_agpr, 0
	.set _ZN7rocprim17ROCPRIM_400000_NS6detail17trampoline_kernelINS0_14default_configENS1_27scan_by_key_config_selectorIssEEZZNS1_16scan_by_key_implILNS1_25lookback_scan_determinismE0ELb0ES3_N6thrust23THRUST_200600_302600_NS6detail15normal_iteratorINS9_10device_ptrIsEEEESE_SE_sNS9_4plusIvEENS9_8equal_toIsEEsEE10hipError_tPvRmT2_T3_T4_T5_mT6_T7_P12ihipStream_tbENKUlT_T0_E_clISt17integral_constantIbLb0EESY_IbLb1EEEEDaSU_SV_EUlSU_E_NS1_11comp_targetILNS1_3genE5ELNS1_11target_archE942ELNS1_3gpuE9ELNS1_3repE0EEENS1_30default_config_static_selectorELNS0_4arch9wavefront6targetE0EEEvT1_.numbered_sgpr, 0
	.set _ZN7rocprim17ROCPRIM_400000_NS6detail17trampoline_kernelINS0_14default_configENS1_27scan_by_key_config_selectorIssEEZZNS1_16scan_by_key_implILNS1_25lookback_scan_determinismE0ELb0ES3_N6thrust23THRUST_200600_302600_NS6detail15normal_iteratorINS9_10device_ptrIsEEEESE_SE_sNS9_4plusIvEENS9_8equal_toIsEEsEE10hipError_tPvRmT2_T3_T4_T5_mT6_T7_P12ihipStream_tbENKUlT_T0_E_clISt17integral_constantIbLb0EESY_IbLb1EEEEDaSU_SV_EUlSU_E_NS1_11comp_targetILNS1_3genE5ELNS1_11target_archE942ELNS1_3gpuE9ELNS1_3repE0EEENS1_30default_config_static_selectorELNS0_4arch9wavefront6targetE0EEEvT1_.num_named_barrier, 0
	.set _ZN7rocprim17ROCPRIM_400000_NS6detail17trampoline_kernelINS0_14default_configENS1_27scan_by_key_config_selectorIssEEZZNS1_16scan_by_key_implILNS1_25lookback_scan_determinismE0ELb0ES3_N6thrust23THRUST_200600_302600_NS6detail15normal_iteratorINS9_10device_ptrIsEEEESE_SE_sNS9_4plusIvEENS9_8equal_toIsEEsEE10hipError_tPvRmT2_T3_T4_T5_mT6_T7_P12ihipStream_tbENKUlT_T0_E_clISt17integral_constantIbLb0EESY_IbLb1EEEEDaSU_SV_EUlSU_E_NS1_11comp_targetILNS1_3genE5ELNS1_11target_archE942ELNS1_3gpuE9ELNS1_3repE0EEENS1_30default_config_static_selectorELNS0_4arch9wavefront6targetE0EEEvT1_.private_seg_size, 0
	.set _ZN7rocprim17ROCPRIM_400000_NS6detail17trampoline_kernelINS0_14default_configENS1_27scan_by_key_config_selectorIssEEZZNS1_16scan_by_key_implILNS1_25lookback_scan_determinismE0ELb0ES3_N6thrust23THRUST_200600_302600_NS6detail15normal_iteratorINS9_10device_ptrIsEEEESE_SE_sNS9_4plusIvEENS9_8equal_toIsEEsEE10hipError_tPvRmT2_T3_T4_T5_mT6_T7_P12ihipStream_tbENKUlT_T0_E_clISt17integral_constantIbLb0EESY_IbLb1EEEEDaSU_SV_EUlSU_E_NS1_11comp_targetILNS1_3genE5ELNS1_11target_archE942ELNS1_3gpuE9ELNS1_3repE0EEENS1_30default_config_static_selectorELNS0_4arch9wavefront6targetE0EEEvT1_.uses_vcc, 0
	.set _ZN7rocprim17ROCPRIM_400000_NS6detail17trampoline_kernelINS0_14default_configENS1_27scan_by_key_config_selectorIssEEZZNS1_16scan_by_key_implILNS1_25lookback_scan_determinismE0ELb0ES3_N6thrust23THRUST_200600_302600_NS6detail15normal_iteratorINS9_10device_ptrIsEEEESE_SE_sNS9_4plusIvEENS9_8equal_toIsEEsEE10hipError_tPvRmT2_T3_T4_T5_mT6_T7_P12ihipStream_tbENKUlT_T0_E_clISt17integral_constantIbLb0EESY_IbLb1EEEEDaSU_SV_EUlSU_E_NS1_11comp_targetILNS1_3genE5ELNS1_11target_archE942ELNS1_3gpuE9ELNS1_3repE0EEENS1_30default_config_static_selectorELNS0_4arch9wavefront6targetE0EEEvT1_.uses_flat_scratch, 0
	.set _ZN7rocprim17ROCPRIM_400000_NS6detail17trampoline_kernelINS0_14default_configENS1_27scan_by_key_config_selectorIssEEZZNS1_16scan_by_key_implILNS1_25lookback_scan_determinismE0ELb0ES3_N6thrust23THRUST_200600_302600_NS6detail15normal_iteratorINS9_10device_ptrIsEEEESE_SE_sNS9_4plusIvEENS9_8equal_toIsEEsEE10hipError_tPvRmT2_T3_T4_T5_mT6_T7_P12ihipStream_tbENKUlT_T0_E_clISt17integral_constantIbLb0EESY_IbLb1EEEEDaSU_SV_EUlSU_E_NS1_11comp_targetILNS1_3genE5ELNS1_11target_archE942ELNS1_3gpuE9ELNS1_3repE0EEENS1_30default_config_static_selectorELNS0_4arch9wavefront6targetE0EEEvT1_.has_dyn_sized_stack, 0
	.set _ZN7rocprim17ROCPRIM_400000_NS6detail17trampoline_kernelINS0_14default_configENS1_27scan_by_key_config_selectorIssEEZZNS1_16scan_by_key_implILNS1_25lookback_scan_determinismE0ELb0ES3_N6thrust23THRUST_200600_302600_NS6detail15normal_iteratorINS9_10device_ptrIsEEEESE_SE_sNS9_4plusIvEENS9_8equal_toIsEEsEE10hipError_tPvRmT2_T3_T4_T5_mT6_T7_P12ihipStream_tbENKUlT_T0_E_clISt17integral_constantIbLb0EESY_IbLb1EEEEDaSU_SV_EUlSU_E_NS1_11comp_targetILNS1_3genE5ELNS1_11target_archE942ELNS1_3gpuE9ELNS1_3repE0EEENS1_30default_config_static_selectorELNS0_4arch9wavefront6targetE0EEEvT1_.has_recursion, 0
	.set _ZN7rocprim17ROCPRIM_400000_NS6detail17trampoline_kernelINS0_14default_configENS1_27scan_by_key_config_selectorIssEEZZNS1_16scan_by_key_implILNS1_25lookback_scan_determinismE0ELb0ES3_N6thrust23THRUST_200600_302600_NS6detail15normal_iteratorINS9_10device_ptrIsEEEESE_SE_sNS9_4plusIvEENS9_8equal_toIsEEsEE10hipError_tPvRmT2_T3_T4_T5_mT6_T7_P12ihipStream_tbENKUlT_T0_E_clISt17integral_constantIbLb0EESY_IbLb1EEEEDaSU_SV_EUlSU_E_NS1_11comp_targetILNS1_3genE5ELNS1_11target_archE942ELNS1_3gpuE9ELNS1_3repE0EEENS1_30default_config_static_selectorELNS0_4arch9wavefront6targetE0EEEvT1_.has_indirect_call, 0
	.section	.AMDGPU.csdata,"",@progbits
; Kernel info:
; codeLenInByte = 0
; TotalNumSgprs: 0
; NumVgprs: 0
; ScratchSize: 0
; MemoryBound: 0
; FloatMode: 240
; IeeeMode: 1
; LDSByteSize: 0 bytes/workgroup (compile time only)
; SGPRBlocks: 0
; VGPRBlocks: 0
; NumSGPRsForWavesPerEU: 1
; NumVGPRsForWavesPerEU: 1
; NamedBarCnt: 0
; Occupancy: 16
; WaveLimiterHint : 0
; COMPUTE_PGM_RSRC2:SCRATCH_EN: 0
; COMPUTE_PGM_RSRC2:USER_SGPR: 2
; COMPUTE_PGM_RSRC2:TRAP_HANDLER: 0
; COMPUTE_PGM_RSRC2:TGID_X_EN: 1
; COMPUTE_PGM_RSRC2:TGID_Y_EN: 0
; COMPUTE_PGM_RSRC2:TGID_Z_EN: 0
; COMPUTE_PGM_RSRC2:TIDIG_COMP_CNT: 0
	.section	.text._ZN7rocprim17ROCPRIM_400000_NS6detail17trampoline_kernelINS0_14default_configENS1_27scan_by_key_config_selectorIssEEZZNS1_16scan_by_key_implILNS1_25lookback_scan_determinismE0ELb0ES3_N6thrust23THRUST_200600_302600_NS6detail15normal_iteratorINS9_10device_ptrIsEEEESE_SE_sNS9_4plusIvEENS9_8equal_toIsEEsEE10hipError_tPvRmT2_T3_T4_T5_mT6_T7_P12ihipStream_tbENKUlT_T0_E_clISt17integral_constantIbLb0EESY_IbLb1EEEEDaSU_SV_EUlSU_E_NS1_11comp_targetILNS1_3genE4ELNS1_11target_archE910ELNS1_3gpuE8ELNS1_3repE0EEENS1_30default_config_static_selectorELNS0_4arch9wavefront6targetE0EEEvT1_,"axG",@progbits,_ZN7rocprim17ROCPRIM_400000_NS6detail17trampoline_kernelINS0_14default_configENS1_27scan_by_key_config_selectorIssEEZZNS1_16scan_by_key_implILNS1_25lookback_scan_determinismE0ELb0ES3_N6thrust23THRUST_200600_302600_NS6detail15normal_iteratorINS9_10device_ptrIsEEEESE_SE_sNS9_4plusIvEENS9_8equal_toIsEEsEE10hipError_tPvRmT2_T3_T4_T5_mT6_T7_P12ihipStream_tbENKUlT_T0_E_clISt17integral_constantIbLb0EESY_IbLb1EEEEDaSU_SV_EUlSU_E_NS1_11comp_targetILNS1_3genE4ELNS1_11target_archE910ELNS1_3gpuE8ELNS1_3repE0EEENS1_30default_config_static_selectorELNS0_4arch9wavefront6targetE0EEEvT1_,comdat
	.protected	_ZN7rocprim17ROCPRIM_400000_NS6detail17trampoline_kernelINS0_14default_configENS1_27scan_by_key_config_selectorIssEEZZNS1_16scan_by_key_implILNS1_25lookback_scan_determinismE0ELb0ES3_N6thrust23THRUST_200600_302600_NS6detail15normal_iteratorINS9_10device_ptrIsEEEESE_SE_sNS9_4plusIvEENS9_8equal_toIsEEsEE10hipError_tPvRmT2_T3_T4_T5_mT6_T7_P12ihipStream_tbENKUlT_T0_E_clISt17integral_constantIbLb0EESY_IbLb1EEEEDaSU_SV_EUlSU_E_NS1_11comp_targetILNS1_3genE4ELNS1_11target_archE910ELNS1_3gpuE8ELNS1_3repE0EEENS1_30default_config_static_selectorELNS0_4arch9wavefront6targetE0EEEvT1_ ; -- Begin function _ZN7rocprim17ROCPRIM_400000_NS6detail17trampoline_kernelINS0_14default_configENS1_27scan_by_key_config_selectorIssEEZZNS1_16scan_by_key_implILNS1_25lookback_scan_determinismE0ELb0ES3_N6thrust23THRUST_200600_302600_NS6detail15normal_iteratorINS9_10device_ptrIsEEEESE_SE_sNS9_4plusIvEENS9_8equal_toIsEEsEE10hipError_tPvRmT2_T3_T4_T5_mT6_T7_P12ihipStream_tbENKUlT_T0_E_clISt17integral_constantIbLb0EESY_IbLb1EEEEDaSU_SV_EUlSU_E_NS1_11comp_targetILNS1_3genE4ELNS1_11target_archE910ELNS1_3gpuE8ELNS1_3repE0EEENS1_30default_config_static_selectorELNS0_4arch9wavefront6targetE0EEEvT1_
	.globl	_ZN7rocprim17ROCPRIM_400000_NS6detail17trampoline_kernelINS0_14default_configENS1_27scan_by_key_config_selectorIssEEZZNS1_16scan_by_key_implILNS1_25lookback_scan_determinismE0ELb0ES3_N6thrust23THRUST_200600_302600_NS6detail15normal_iteratorINS9_10device_ptrIsEEEESE_SE_sNS9_4plusIvEENS9_8equal_toIsEEsEE10hipError_tPvRmT2_T3_T4_T5_mT6_T7_P12ihipStream_tbENKUlT_T0_E_clISt17integral_constantIbLb0EESY_IbLb1EEEEDaSU_SV_EUlSU_E_NS1_11comp_targetILNS1_3genE4ELNS1_11target_archE910ELNS1_3gpuE8ELNS1_3repE0EEENS1_30default_config_static_selectorELNS0_4arch9wavefront6targetE0EEEvT1_
	.p2align	8
	.type	_ZN7rocprim17ROCPRIM_400000_NS6detail17trampoline_kernelINS0_14default_configENS1_27scan_by_key_config_selectorIssEEZZNS1_16scan_by_key_implILNS1_25lookback_scan_determinismE0ELb0ES3_N6thrust23THRUST_200600_302600_NS6detail15normal_iteratorINS9_10device_ptrIsEEEESE_SE_sNS9_4plusIvEENS9_8equal_toIsEEsEE10hipError_tPvRmT2_T3_T4_T5_mT6_T7_P12ihipStream_tbENKUlT_T0_E_clISt17integral_constantIbLb0EESY_IbLb1EEEEDaSU_SV_EUlSU_E_NS1_11comp_targetILNS1_3genE4ELNS1_11target_archE910ELNS1_3gpuE8ELNS1_3repE0EEENS1_30default_config_static_selectorELNS0_4arch9wavefront6targetE0EEEvT1_,@function
_ZN7rocprim17ROCPRIM_400000_NS6detail17trampoline_kernelINS0_14default_configENS1_27scan_by_key_config_selectorIssEEZZNS1_16scan_by_key_implILNS1_25lookback_scan_determinismE0ELb0ES3_N6thrust23THRUST_200600_302600_NS6detail15normal_iteratorINS9_10device_ptrIsEEEESE_SE_sNS9_4plusIvEENS9_8equal_toIsEEsEE10hipError_tPvRmT2_T3_T4_T5_mT6_T7_P12ihipStream_tbENKUlT_T0_E_clISt17integral_constantIbLb0EESY_IbLb1EEEEDaSU_SV_EUlSU_E_NS1_11comp_targetILNS1_3genE4ELNS1_11target_archE910ELNS1_3gpuE8ELNS1_3repE0EEENS1_30default_config_static_selectorELNS0_4arch9wavefront6targetE0EEEvT1_: ; @_ZN7rocprim17ROCPRIM_400000_NS6detail17trampoline_kernelINS0_14default_configENS1_27scan_by_key_config_selectorIssEEZZNS1_16scan_by_key_implILNS1_25lookback_scan_determinismE0ELb0ES3_N6thrust23THRUST_200600_302600_NS6detail15normal_iteratorINS9_10device_ptrIsEEEESE_SE_sNS9_4plusIvEENS9_8equal_toIsEEsEE10hipError_tPvRmT2_T3_T4_T5_mT6_T7_P12ihipStream_tbENKUlT_T0_E_clISt17integral_constantIbLb0EESY_IbLb1EEEEDaSU_SV_EUlSU_E_NS1_11comp_targetILNS1_3genE4ELNS1_11target_archE910ELNS1_3gpuE8ELNS1_3repE0EEENS1_30default_config_static_selectorELNS0_4arch9wavefront6targetE0EEEvT1_
; %bb.0:
	.section	.rodata,"a",@progbits
	.p2align	6, 0x0
	.amdhsa_kernel _ZN7rocprim17ROCPRIM_400000_NS6detail17trampoline_kernelINS0_14default_configENS1_27scan_by_key_config_selectorIssEEZZNS1_16scan_by_key_implILNS1_25lookback_scan_determinismE0ELb0ES3_N6thrust23THRUST_200600_302600_NS6detail15normal_iteratorINS9_10device_ptrIsEEEESE_SE_sNS9_4plusIvEENS9_8equal_toIsEEsEE10hipError_tPvRmT2_T3_T4_T5_mT6_T7_P12ihipStream_tbENKUlT_T0_E_clISt17integral_constantIbLb0EESY_IbLb1EEEEDaSU_SV_EUlSU_E_NS1_11comp_targetILNS1_3genE4ELNS1_11target_archE910ELNS1_3gpuE8ELNS1_3repE0EEENS1_30default_config_static_selectorELNS0_4arch9wavefront6targetE0EEEvT1_
		.amdhsa_group_segment_fixed_size 0
		.amdhsa_private_segment_fixed_size 0
		.amdhsa_kernarg_size 112
		.amdhsa_user_sgpr_count 2
		.amdhsa_user_sgpr_dispatch_ptr 0
		.amdhsa_user_sgpr_queue_ptr 0
		.amdhsa_user_sgpr_kernarg_segment_ptr 1
		.amdhsa_user_sgpr_dispatch_id 0
		.amdhsa_user_sgpr_kernarg_preload_length 0
		.amdhsa_user_sgpr_kernarg_preload_offset 0
		.amdhsa_user_sgpr_private_segment_size 0
		.amdhsa_wavefront_size32 1
		.amdhsa_uses_dynamic_stack 0
		.amdhsa_enable_private_segment 0
		.amdhsa_system_sgpr_workgroup_id_x 1
		.amdhsa_system_sgpr_workgroup_id_y 0
		.amdhsa_system_sgpr_workgroup_id_z 0
		.amdhsa_system_sgpr_workgroup_info 0
		.amdhsa_system_vgpr_workitem_id 0
		.amdhsa_next_free_vgpr 1
		.amdhsa_next_free_sgpr 1
		.amdhsa_named_barrier_count 0
		.amdhsa_reserve_vcc 0
		.amdhsa_float_round_mode_32 0
		.amdhsa_float_round_mode_16_64 0
		.amdhsa_float_denorm_mode_32 3
		.amdhsa_float_denorm_mode_16_64 3
		.amdhsa_fp16_overflow 0
		.amdhsa_memory_ordered 1
		.amdhsa_forward_progress 1
		.amdhsa_inst_pref_size 0
		.amdhsa_round_robin_scheduling 0
		.amdhsa_exception_fp_ieee_invalid_op 0
		.amdhsa_exception_fp_denorm_src 0
		.amdhsa_exception_fp_ieee_div_zero 0
		.amdhsa_exception_fp_ieee_overflow 0
		.amdhsa_exception_fp_ieee_underflow 0
		.amdhsa_exception_fp_ieee_inexact 0
		.amdhsa_exception_int_div_zero 0
	.end_amdhsa_kernel
	.section	.text._ZN7rocprim17ROCPRIM_400000_NS6detail17trampoline_kernelINS0_14default_configENS1_27scan_by_key_config_selectorIssEEZZNS1_16scan_by_key_implILNS1_25lookback_scan_determinismE0ELb0ES3_N6thrust23THRUST_200600_302600_NS6detail15normal_iteratorINS9_10device_ptrIsEEEESE_SE_sNS9_4plusIvEENS9_8equal_toIsEEsEE10hipError_tPvRmT2_T3_T4_T5_mT6_T7_P12ihipStream_tbENKUlT_T0_E_clISt17integral_constantIbLb0EESY_IbLb1EEEEDaSU_SV_EUlSU_E_NS1_11comp_targetILNS1_3genE4ELNS1_11target_archE910ELNS1_3gpuE8ELNS1_3repE0EEENS1_30default_config_static_selectorELNS0_4arch9wavefront6targetE0EEEvT1_,"axG",@progbits,_ZN7rocprim17ROCPRIM_400000_NS6detail17trampoline_kernelINS0_14default_configENS1_27scan_by_key_config_selectorIssEEZZNS1_16scan_by_key_implILNS1_25lookback_scan_determinismE0ELb0ES3_N6thrust23THRUST_200600_302600_NS6detail15normal_iteratorINS9_10device_ptrIsEEEESE_SE_sNS9_4plusIvEENS9_8equal_toIsEEsEE10hipError_tPvRmT2_T3_T4_T5_mT6_T7_P12ihipStream_tbENKUlT_T0_E_clISt17integral_constantIbLb0EESY_IbLb1EEEEDaSU_SV_EUlSU_E_NS1_11comp_targetILNS1_3genE4ELNS1_11target_archE910ELNS1_3gpuE8ELNS1_3repE0EEENS1_30default_config_static_selectorELNS0_4arch9wavefront6targetE0EEEvT1_,comdat
.Lfunc_end347:
	.size	_ZN7rocprim17ROCPRIM_400000_NS6detail17trampoline_kernelINS0_14default_configENS1_27scan_by_key_config_selectorIssEEZZNS1_16scan_by_key_implILNS1_25lookback_scan_determinismE0ELb0ES3_N6thrust23THRUST_200600_302600_NS6detail15normal_iteratorINS9_10device_ptrIsEEEESE_SE_sNS9_4plusIvEENS9_8equal_toIsEEsEE10hipError_tPvRmT2_T3_T4_T5_mT6_T7_P12ihipStream_tbENKUlT_T0_E_clISt17integral_constantIbLb0EESY_IbLb1EEEEDaSU_SV_EUlSU_E_NS1_11comp_targetILNS1_3genE4ELNS1_11target_archE910ELNS1_3gpuE8ELNS1_3repE0EEENS1_30default_config_static_selectorELNS0_4arch9wavefront6targetE0EEEvT1_, .Lfunc_end347-_ZN7rocprim17ROCPRIM_400000_NS6detail17trampoline_kernelINS0_14default_configENS1_27scan_by_key_config_selectorIssEEZZNS1_16scan_by_key_implILNS1_25lookback_scan_determinismE0ELb0ES3_N6thrust23THRUST_200600_302600_NS6detail15normal_iteratorINS9_10device_ptrIsEEEESE_SE_sNS9_4plusIvEENS9_8equal_toIsEEsEE10hipError_tPvRmT2_T3_T4_T5_mT6_T7_P12ihipStream_tbENKUlT_T0_E_clISt17integral_constantIbLb0EESY_IbLb1EEEEDaSU_SV_EUlSU_E_NS1_11comp_targetILNS1_3genE4ELNS1_11target_archE910ELNS1_3gpuE8ELNS1_3repE0EEENS1_30default_config_static_selectorELNS0_4arch9wavefront6targetE0EEEvT1_
                                        ; -- End function
	.set _ZN7rocprim17ROCPRIM_400000_NS6detail17trampoline_kernelINS0_14default_configENS1_27scan_by_key_config_selectorIssEEZZNS1_16scan_by_key_implILNS1_25lookback_scan_determinismE0ELb0ES3_N6thrust23THRUST_200600_302600_NS6detail15normal_iteratorINS9_10device_ptrIsEEEESE_SE_sNS9_4plusIvEENS9_8equal_toIsEEsEE10hipError_tPvRmT2_T3_T4_T5_mT6_T7_P12ihipStream_tbENKUlT_T0_E_clISt17integral_constantIbLb0EESY_IbLb1EEEEDaSU_SV_EUlSU_E_NS1_11comp_targetILNS1_3genE4ELNS1_11target_archE910ELNS1_3gpuE8ELNS1_3repE0EEENS1_30default_config_static_selectorELNS0_4arch9wavefront6targetE0EEEvT1_.num_vgpr, 0
	.set _ZN7rocprim17ROCPRIM_400000_NS6detail17trampoline_kernelINS0_14default_configENS1_27scan_by_key_config_selectorIssEEZZNS1_16scan_by_key_implILNS1_25lookback_scan_determinismE0ELb0ES3_N6thrust23THRUST_200600_302600_NS6detail15normal_iteratorINS9_10device_ptrIsEEEESE_SE_sNS9_4plusIvEENS9_8equal_toIsEEsEE10hipError_tPvRmT2_T3_T4_T5_mT6_T7_P12ihipStream_tbENKUlT_T0_E_clISt17integral_constantIbLb0EESY_IbLb1EEEEDaSU_SV_EUlSU_E_NS1_11comp_targetILNS1_3genE4ELNS1_11target_archE910ELNS1_3gpuE8ELNS1_3repE0EEENS1_30default_config_static_selectorELNS0_4arch9wavefront6targetE0EEEvT1_.num_agpr, 0
	.set _ZN7rocprim17ROCPRIM_400000_NS6detail17trampoline_kernelINS0_14default_configENS1_27scan_by_key_config_selectorIssEEZZNS1_16scan_by_key_implILNS1_25lookback_scan_determinismE0ELb0ES3_N6thrust23THRUST_200600_302600_NS6detail15normal_iteratorINS9_10device_ptrIsEEEESE_SE_sNS9_4plusIvEENS9_8equal_toIsEEsEE10hipError_tPvRmT2_T3_T4_T5_mT6_T7_P12ihipStream_tbENKUlT_T0_E_clISt17integral_constantIbLb0EESY_IbLb1EEEEDaSU_SV_EUlSU_E_NS1_11comp_targetILNS1_3genE4ELNS1_11target_archE910ELNS1_3gpuE8ELNS1_3repE0EEENS1_30default_config_static_selectorELNS0_4arch9wavefront6targetE0EEEvT1_.numbered_sgpr, 0
	.set _ZN7rocprim17ROCPRIM_400000_NS6detail17trampoline_kernelINS0_14default_configENS1_27scan_by_key_config_selectorIssEEZZNS1_16scan_by_key_implILNS1_25lookback_scan_determinismE0ELb0ES3_N6thrust23THRUST_200600_302600_NS6detail15normal_iteratorINS9_10device_ptrIsEEEESE_SE_sNS9_4plusIvEENS9_8equal_toIsEEsEE10hipError_tPvRmT2_T3_T4_T5_mT6_T7_P12ihipStream_tbENKUlT_T0_E_clISt17integral_constantIbLb0EESY_IbLb1EEEEDaSU_SV_EUlSU_E_NS1_11comp_targetILNS1_3genE4ELNS1_11target_archE910ELNS1_3gpuE8ELNS1_3repE0EEENS1_30default_config_static_selectorELNS0_4arch9wavefront6targetE0EEEvT1_.num_named_barrier, 0
	.set _ZN7rocprim17ROCPRIM_400000_NS6detail17trampoline_kernelINS0_14default_configENS1_27scan_by_key_config_selectorIssEEZZNS1_16scan_by_key_implILNS1_25lookback_scan_determinismE0ELb0ES3_N6thrust23THRUST_200600_302600_NS6detail15normal_iteratorINS9_10device_ptrIsEEEESE_SE_sNS9_4plusIvEENS9_8equal_toIsEEsEE10hipError_tPvRmT2_T3_T4_T5_mT6_T7_P12ihipStream_tbENKUlT_T0_E_clISt17integral_constantIbLb0EESY_IbLb1EEEEDaSU_SV_EUlSU_E_NS1_11comp_targetILNS1_3genE4ELNS1_11target_archE910ELNS1_3gpuE8ELNS1_3repE0EEENS1_30default_config_static_selectorELNS0_4arch9wavefront6targetE0EEEvT1_.private_seg_size, 0
	.set _ZN7rocprim17ROCPRIM_400000_NS6detail17trampoline_kernelINS0_14default_configENS1_27scan_by_key_config_selectorIssEEZZNS1_16scan_by_key_implILNS1_25lookback_scan_determinismE0ELb0ES3_N6thrust23THRUST_200600_302600_NS6detail15normal_iteratorINS9_10device_ptrIsEEEESE_SE_sNS9_4plusIvEENS9_8equal_toIsEEsEE10hipError_tPvRmT2_T3_T4_T5_mT6_T7_P12ihipStream_tbENKUlT_T0_E_clISt17integral_constantIbLb0EESY_IbLb1EEEEDaSU_SV_EUlSU_E_NS1_11comp_targetILNS1_3genE4ELNS1_11target_archE910ELNS1_3gpuE8ELNS1_3repE0EEENS1_30default_config_static_selectorELNS0_4arch9wavefront6targetE0EEEvT1_.uses_vcc, 0
	.set _ZN7rocprim17ROCPRIM_400000_NS6detail17trampoline_kernelINS0_14default_configENS1_27scan_by_key_config_selectorIssEEZZNS1_16scan_by_key_implILNS1_25lookback_scan_determinismE0ELb0ES3_N6thrust23THRUST_200600_302600_NS6detail15normal_iteratorINS9_10device_ptrIsEEEESE_SE_sNS9_4plusIvEENS9_8equal_toIsEEsEE10hipError_tPvRmT2_T3_T4_T5_mT6_T7_P12ihipStream_tbENKUlT_T0_E_clISt17integral_constantIbLb0EESY_IbLb1EEEEDaSU_SV_EUlSU_E_NS1_11comp_targetILNS1_3genE4ELNS1_11target_archE910ELNS1_3gpuE8ELNS1_3repE0EEENS1_30default_config_static_selectorELNS0_4arch9wavefront6targetE0EEEvT1_.uses_flat_scratch, 0
	.set _ZN7rocprim17ROCPRIM_400000_NS6detail17trampoline_kernelINS0_14default_configENS1_27scan_by_key_config_selectorIssEEZZNS1_16scan_by_key_implILNS1_25lookback_scan_determinismE0ELb0ES3_N6thrust23THRUST_200600_302600_NS6detail15normal_iteratorINS9_10device_ptrIsEEEESE_SE_sNS9_4plusIvEENS9_8equal_toIsEEsEE10hipError_tPvRmT2_T3_T4_T5_mT6_T7_P12ihipStream_tbENKUlT_T0_E_clISt17integral_constantIbLb0EESY_IbLb1EEEEDaSU_SV_EUlSU_E_NS1_11comp_targetILNS1_3genE4ELNS1_11target_archE910ELNS1_3gpuE8ELNS1_3repE0EEENS1_30default_config_static_selectorELNS0_4arch9wavefront6targetE0EEEvT1_.has_dyn_sized_stack, 0
	.set _ZN7rocprim17ROCPRIM_400000_NS6detail17trampoline_kernelINS0_14default_configENS1_27scan_by_key_config_selectorIssEEZZNS1_16scan_by_key_implILNS1_25lookback_scan_determinismE0ELb0ES3_N6thrust23THRUST_200600_302600_NS6detail15normal_iteratorINS9_10device_ptrIsEEEESE_SE_sNS9_4plusIvEENS9_8equal_toIsEEsEE10hipError_tPvRmT2_T3_T4_T5_mT6_T7_P12ihipStream_tbENKUlT_T0_E_clISt17integral_constantIbLb0EESY_IbLb1EEEEDaSU_SV_EUlSU_E_NS1_11comp_targetILNS1_3genE4ELNS1_11target_archE910ELNS1_3gpuE8ELNS1_3repE0EEENS1_30default_config_static_selectorELNS0_4arch9wavefront6targetE0EEEvT1_.has_recursion, 0
	.set _ZN7rocprim17ROCPRIM_400000_NS6detail17trampoline_kernelINS0_14default_configENS1_27scan_by_key_config_selectorIssEEZZNS1_16scan_by_key_implILNS1_25lookback_scan_determinismE0ELb0ES3_N6thrust23THRUST_200600_302600_NS6detail15normal_iteratorINS9_10device_ptrIsEEEESE_SE_sNS9_4plusIvEENS9_8equal_toIsEEsEE10hipError_tPvRmT2_T3_T4_T5_mT6_T7_P12ihipStream_tbENKUlT_T0_E_clISt17integral_constantIbLb0EESY_IbLb1EEEEDaSU_SV_EUlSU_E_NS1_11comp_targetILNS1_3genE4ELNS1_11target_archE910ELNS1_3gpuE8ELNS1_3repE0EEENS1_30default_config_static_selectorELNS0_4arch9wavefront6targetE0EEEvT1_.has_indirect_call, 0
	.section	.AMDGPU.csdata,"",@progbits
; Kernel info:
; codeLenInByte = 0
; TotalNumSgprs: 0
; NumVgprs: 0
; ScratchSize: 0
; MemoryBound: 0
; FloatMode: 240
; IeeeMode: 1
; LDSByteSize: 0 bytes/workgroup (compile time only)
; SGPRBlocks: 0
; VGPRBlocks: 0
; NumSGPRsForWavesPerEU: 1
; NumVGPRsForWavesPerEU: 1
; NamedBarCnt: 0
; Occupancy: 16
; WaveLimiterHint : 0
; COMPUTE_PGM_RSRC2:SCRATCH_EN: 0
; COMPUTE_PGM_RSRC2:USER_SGPR: 2
; COMPUTE_PGM_RSRC2:TRAP_HANDLER: 0
; COMPUTE_PGM_RSRC2:TGID_X_EN: 1
; COMPUTE_PGM_RSRC2:TGID_Y_EN: 0
; COMPUTE_PGM_RSRC2:TGID_Z_EN: 0
; COMPUTE_PGM_RSRC2:TIDIG_COMP_CNT: 0
	.section	.text._ZN7rocprim17ROCPRIM_400000_NS6detail17trampoline_kernelINS0_14default_configENS1_27scan_by_key_config_selectorIssEEZZNS1_16scan_by_key_implILNS1_25lookback_scan_determinismE0ELb0ES3_N6thrust23THRUST_200600_302600_NS6detail15normal_iteratorINS9_10device_ptrIsEEEESE_SE_sNS9_4plusIvEENS9_8equal_toIsEEsEE10hipError_tPvRmT2_T3_T4_T5_mT6_T7_P12ihipStream_tbENKUlT_T0_E_clISt17integral_constantIbLb0EESY_IbLb1EEEEDaSU_SV_EUlSU_E_NS1_11comp_targetILNS1_3genE3ELNS1_11target_archE908ELNS1_3gpuE7ELNS1_3repE0EEENS1_30default_config_static_selectorELNS0_4arch9wavefront6targetE0EEEvT1_,"axG",@progbits,_ZN7rocprim17ROCPRIM_400000_NS6detail17trampoline_kernelINS0_14default_configENS1_27scan_by_key_config_selectorIssEEZZNS1_16scan_by_key_implILNS1_25lookback_scan_determinismE0ELb0ES3_N6thrust23THRUST_200600_302600_NS6detail15normal_iteratorINS9_10device_ptrIsEEEESE_SE_sNS9_4plusIvEENS9_8equal_toIsEEsEE10hipError_tPvRmT2_T3_T4_T5_mT6_T7_P12ihipStream_tbENKUlT_T0_E_clISt17integral_constantIbLb0EESY_IbLb1EEEEDaSU_SV_EUlSU_E_NS1_11comp_targetILNS1_3genE3ELNS1_11target_archE908ELNS1_3gpuE7ELNS1_3repE0EEENS1_30default_config_static_selectorELNS0_4arch9wavefront6targetE0EEEvT1_,comdat
	.protected	_ZN7rocprim17ROCPRIM_400000_NS6detail17trampoline_kernelINS0_14default_configENS1_27scan_by_key_config_selectorIssEEZZNS1_16scan_by_key_implILNS1_25lookback_scan_determinismE0ELb0ES3_N6thrust23THRUST_200600_302600_NS6detail15normal_iteratorINS9_10device_ptrIsEEEESE_SE_sNS9_4plusIvEENS9_8equal_toIsEEsEE10hipError_tPvRmT2_T3_T4_T5_mT6_T7_P12ihipStream_tbENKUlT_T0_E_clISt17integral_constantIbLb0EESY_IbLb1EEEEDaSU_SV_EUlSU_E_NS1_11comp_targetILNS1_3genE3ELNS1_11target_archE908ELNS1_3gpuE7ELNS1_3repE0EEENS1_30default_config_static_selectorELNS0_4arch9wavefront6targetE0EEEvT1_ ; -- Begin function _ZN7rocprim17ROCPRIM_400000_NS6detail17trampoline_kernelINS0_14default_configENS1_27scan_by_key_config_selectorIssEEZZNS1_16scan_by_key_implILNS1_25lookback_scan_determinismE0ELb0ES3_N6thrust23THRUST_200600_302600_NS6detail15normal_iteratorINS9_10device_ptrIsEEEESE_SE_sNS9_4plusIvEENS9_8equal_toIsEEsEE10hipError_tPvRmT2_T3_T4_T5_mT6_T7_P12ihipStream_tbENKUlT_T0_E_clISt17integral_constantIbLb0EESY_IbLb1EEEEDaSU_SV_EUlSU_E_NS1_11comp_targetILNS1_3genE3ELNS1_11target_archE908ELNS1_3gpuE7ELNS1_3repE0EEENS1_30default_config_static_selectorELNS0_4arch9wavefront6targetE0EEEvT1_
	.globl	_ZN7rocprim17ROCPRIM_400000_NS6detail17trampoline_kernelINS0_14default_configENS1_27scan_by_key_config_selectorIssEEZZNS1_16scan_by_key_implILNS1_25lookback_scan_determinismE0ELb0ES3_N6thrust23THRUST_200600_302600_NS6detail15normal_iteratorINS9_10device_ptrIsEEEESE_SE_sNS9_4plusIvEENS9_8equal_toIsEEsEE10hipError_tPvRmT2_T3_T4_T5_mT6_T7_P12ihipStream_tbENKUlT_T0_E_clISt17integral_constantIbLb0EESY_IbLb1EEEEDaSU_SV_EUlSU_E_NS1_11comp_targetILNS1_3genE3ELNS1_11target_archE908ELNS1_3gpuE7ELNS1_3repE0EEENS1_30default_config_static_selectorELNS0_4arch9wavefront6targetE0EEEvT1_
	.p2align	8
	.type	_ZN7rocprim17ROCPRIM_400000_NS6detail17trampoline_kernelINS0_14default_configENS1_27scan_by_key_config_selectorIssEEZZNS1_16scan_by_key_implILNS1_25lookback_scan_determinismE0ELb0ES3_N6thrust23THRUST_200600_302600_NS6detail15normal_iteratorINS9_10device_ptrIsEEEESE_SE_sNS9_4plusIvEENS9_8equal_toIsEEsEE10hipError_tPvRmT2_T3_T4_T5_mT6_T7_P12ihipStream_tbENKUlT_T0_E_clISt17integral_constantIbLb0EESY_IbLb1EEEEDaSU_SV_EUlSU_E_NS1_11comp_targetILNS1_3genE3ELNS1_11target_archE908ELNS1_3gpuE7ELNS1_3repE0EEENS1_30default_config_static_selectorELNS0_4arch9wavefront6targetE0EEEvT1_,@function
_ZN7rocprim17ROCPRIM_400000_NS6detail17trampoline_kernelINS0_14default_configENS1_27scan_by_key_config_selectorIssEEZZNS1_16scan_by_key_implILNS1_25lookback_scan_determinismE0ELb0ES3_N6thrust23THRUST_200600_302600_NS6detail15normal_iteratorINS9_10device_ptrIsEEEESE_SE_sNS9_4plusIvEENS9_8equal_toIsEEsEE10hipError_tPvRmT2_T3_T4_T5_mT6_T7_P12ihipStream_tbENKUlT_T0_E_clISt17integral_constantIbLb0EESY_IbLb1EEEEDaSU_SV_EUlSU_E_NS1_11comp_targetILNS1_3genE3ELNS1_11target_archE908ELNS1_3gpuE7ELNS1_3repE0EEENS1_30default_config_static_selectorELNS0_4arch9wavefront6targetE0EEEvT1_: ; @_ZN7rocprim17ROCPRIM_400000_NS6detail17trampoline_kernelINS0_14default_configENS1_27scan_by_key_config_selectorIssEEZZNS1_16scan_by_key_implILNS1_25lookback_scan_determinismE0ELb0ES3_N6thrust23THRUST_200600_302600_NS6detail15normal_iteratorINS9_10device_ptrIsEEEESE_SE_sNS9_4plusIvEENS9_8equal_toIsEEsEE10hipError_tPvRmT2_T3_T4_T5_mT6_T7_P12ihipStream_tbENKUlT_T0_E_clISt17integral_constantIbLb0EESY_IbLb1EEEEDaSU_SV_EUlSU_E_NS1_11comp_targetILNS1_3genE3ELNS1_11target_archE908ELNS1_3gpuE7ELNS1_3repE0EEENS1_30default_config_static_selectorELNS0_4arch9wavefront6targetE0EEEvT1_
; %bb.0:
	.section	.rodata,"a",@progbits
	.p2align	6, 0x0
	.amdhsa_kernel _ZN7rocprim17ROCPRIM_400000_NS6detail17trampoline_kernelINS0_14default_configENS1_27scan_by_key_config_selectorIssEEZZNS1_16scan_by_key_implILNS1_25lookback_scan_determinismE0ELb0ES3_N6thrust23THRUST_200600_302600_NS6detail15normal_iteratorINS9_10device_ptrIsEEEESE_SE_sNS9_4plusIvEENS9_8equal_toIsEEsEE10hipError_tPvRmT2_T3_T4_T5_mT6_T7_P12ihipStream_tbENKUlT_T0_E_clISt17integral_constantIbLb0EESY_IbLb1EEEEDaSU_SV_EUlSU_E_NS1_11comp_targetILNS1_3genE3ELNS1_11target_archE908ELNS1_3gpuE7ELNS1_3repE0EEENS1_30default_config_static_selectorELNS0_4arch9wavefront6targetE0EEEvT1_
		.amdhsa_group_segment_fixed_size 0
		.amdhsa_private_segment_fixed_size 0
		.amdhsa_kernarg_size 112
		.amdhsa_user_sgpr_count 2
		.amdhsa_user_sgpr_dispatch_ptr 0
		.amdhsa_user_sgpr_queue_ptr 0
		.amdhsa_user_sgpr_kernarg_segment_ptr 1
		.amdhsa_user_sgpr_dispatch_id 0
		.amdhsa_user_sgpr_kernarg_preload_length 0
		.amdhsa_user_sgpr_kernarg_preload_offset 0
		.amdhsa_user_sgpr_private_segment_size 0
		.amdhsa_wavefront_size32 1
		.amdhsa_uses_dynamic_stack 0
		.amdhsa_enable_private_segment 0
		.amdhsa_system_sgpr_workgroup_id_x 1
		.amdhsa_system_sgpr_workgroup_id_y 0
		.amdhsa_system_sgpr_workgroup_id_z 0
		.amdhsa_system_sgpr_workgroup_info 0
		.amdhsa_system_vgpr_workitem_id 0
		.amdhsa_next_free_vgpr 1
		.amdhsa_next_free_sgpr 1
		.amdhsa_named_barrier_count 0
		.amdhsa_reserve_vcc 0
		.amdhsa_float_round_mode_32 0
		.amdhsa_float_round_mode_16_64 0
		.amdhsa_float_denorm_mode_32 3
		.amdhsa_float_denorm_mode_16_64 3
		.amdhsa_fp16_overflow 0
		.amdhsa_memory_ordered 1
		.amdhsa_forward_progress 1
		.amdhsa_inst_pref_size 0
		.amdhsa_round_robin_scheduling 0
		.amdhsa_exception_fp_ieee_invalid_op 0
		.amdhsa_exception_fp_denorm_src 0
		.amdhsa_exception_fp_ieee_div_zero 0
		.amdhsa_exception_fp_ieee_overflow 0
		.amdhsa_exception_fp_ieee_underflow 0
		.amdhsa_exception_fp_ieee_inexact 0
		.amdhsa_exception_int_div_zero 0
	.end_amdhsa_kernel
	.section	.text._ZN7rocprim17ROCPRIM_400000_NS6detail17trampoline_kernelINS0_14default_configENS1_27scan_by_key_config_selectorIssEEZZNS1_16scan_by_key_implILNS1_25lookback_scan_determinismE0ELb0ES3_N6thrust23THRUST_200600_302600_NS6detail15normal_iteratorINS9_10device_ptrIsEEEESE_SE_sNS9_4plusIvEENS9_8equal_toIsEEsEE10hipError_tPvRmT2_T3_T4_T5_mT6_T7_P12ihipStream_tbENKUlT_T0_E_clISt17integral_constantIbLb0EESY_IbLb1EEEEDaSU_SV_EUlSU_E_NS1_11comp_targetILNS1_3genE3ELNS1_11target_archE908ELNS1_3gpuE7ELNS1_3repE0EEENS1_30default_config_static_selectorELNS0_4arch9wavefront6targetE0EEEvT1_,"axG",@progbits,_ZN7rocprim17ROCPRIM_400000_NS6detail17trampoline_kernelINS0_14default_configENS1_27scan_by_key_config_selectorIssEEZZNS1_16scan_by_key_implILNS1_25lookback_scan_determinismE0ELb0ES3_N6thrust23THRUST_200600_302600_NS6detail15normal_iteratorINS9_10device_ptrIsEEEESE_SE_sNS9_4plusIvEENS9_8equal_toIsEEsEE10hipError_tPvRmT2_T3_T4_T5_mT6_T7_P12ihipStream_tbENKUlT_T0_E_clISt17integral_constantIbLb0EESY_IbLb1EEEEDaSU_SV_EUlSU_E_NS1_11comp_targetILNS1_3genE3ELNS1_11target_archE908ELNS1_3gpuE7ELNS1_3repE0EEENS1_30default_config_static_selectorELNS0_4arch9wavefront6targetE0EEEvT1_,comdat
.Lfunc_end348:
	.size	_ZN7rocprim17ROCPRIM_400000_NS6detail17trampoline_kernelINS0_14default_configENS1_27scan_by_key_config_selectorIssEEZZNS1_16scan_by_key_implILNS1_25lookback_scan_determinismE0ELb0ES3_N6thrust23THRUST_200600_302600_NS6detail15normal_iteratorINS9_10device_ptrIsEEEESE_SE_sNS9_4plusIvEENS9_8equal_toIsEEsEE10hipError_tPvRmT2_T3_T4_T5_mT6_T7_P12ihipStream_tbENKUlT_T0_E_clISt17integral_constantIbLb0EESY_IbLb1EEEEDaSU_SV_EUlSU_E_NS1_11comp_targetILNS1_3genE3ELNS1_11target_archE908ELNS1_3gpuE7ELNS1_3repE0EEENS1_30default_config_static_selectorELNS0_4arch9wavefront6targetE0EEEvT1_, .Lfunc_end348-_ZN7rocprim17ROCPRIM_400000_NS6detail17trampoline_kernelINS0_14default_configENS1_27scan_by_key_config_selectorIssEEZZNS1_16scan_by_key_implILNS1_25lookback_scan_determinismE0ELb0ES3_N6thrust23THRUST_200600_302600_NS6detail15normal_iteratorINS9_10device_ptrIsEEEESE_SE_sNS9_4plusIvEENS9_8equal_toIsEEsEE10hipError_tPvRmT2_T3_T4_T5_mT6_T7_P12ihipStream_tbENKUlT_T0_E_clISt17integral_constantIbLb0EESY_IbLb1EEEEDaSU_SV_EUlSU_E_NS1_11comp_targetILNS1_3genE3ELNS1_11target_archE908ELNS1_3gpuE7ELNS1_3repE0EEENS1_30default_config_static_selectorELNS0_4arch9wavefront6targetE0EEEvT1_
                                        ; -- End function
	.set _ZN7rocprim17ROCPRIM_400000_NS6detail17trampoline_kernelINS0_14default_configENS1_27scan_by_key_config_selectorIssEEZZNS1_16scan_by_key_implILNS1_25lookback_scan_determinismE0ELb0ES3_N6thrust23THRUST_200600_302600_NS6detail15normal_iteratorINS9_10device_ptrIsEEEESE_SE_sNS9_4plusIvEENS9_8equal_toIsEEsEE10hipError_tPvRmT2_T3_T4_T5_mT6_T7_P12ihipStream_tbENKUlT_T0_E_clISt17integral_constantIbLb0EESY_IbLb1EEEEDaSU_SV_EUlSU_E_NS1_11comp_targetILNS1_3genE3ELNS1_11target_archE908ELNS1_3gpuE7ELNS1_3repE0EEENS1_30default_config_static_selectorELNS0_4arch9wavefront6targetE0EEEvT1_.num_vgpr, 0
	.set _ZN7rocprim17ROCPRIM_400000_NS6detail17trampoline_kernelINS0_14default_configENS1_27scan_by_key_config_selectorIssEEZZNS1_16scan_by_key_implILNS1_25lookback_scan_determinismE0ELb0ES3_N6thrust23THRUST_200600_302600_NS6detail15normal_iteratorINS9_10device_ptrIsEEEESE_SE_sNS9_4plusIvEENS9_8equal_toIsEEsEE10hipError_tPvRmT2_T3_T4_T5_mT6_T7_P12ihipStream_tbENKUlT_T0_E_clISt17integral_constantIbLb0EESY_IbLb1EEEEDaSU_SV_EUlSU_E_NS1_11comp_targetILNS1_3genE3ELNS1_11target_archE908ELNS1_3gpuE7ELNS1_3repE0EEENS1_30default_config_static_selectorELNS0_4arch9wavefront6targetE0EEEvT1_.num_agpr, 0
	.set _ZN7rocprim17ROCPRIM_400000_NS6detail17trampoline_kernelINS0_14default_configENS1_27scan_by_key_config_selectorIssEEZZNS1_16scan_by_key_implILNS1_25lookback_scan_determinismE0ELb0ES3_N6thrust23THRUST_200600_302600_NS6detail15normal_iteratorINS9_10device_ptrIsEEEESE_SE_sNS9_4plusIvEENS9_8equal_toIsEEsEE10hipError_tPvRmT2_T3_T4_T5_mT6_T7_P12ihipStream_tbENKUlT_T0_E_clISt17integral_constantIbLb0EESY_IbLb1EEEEDaSU_SV_EUlSU_E_NS1_11comp_targetILNS1_3genE3ELNS1_11target_archE908ELNS1_3gpuE7ELNS1_3repE0EEENS1_30default_config_static_selectorELNS0_4arch9wavefront6targetE0EEEvT1_.numbered_sgpr, 0
	.set _ZN7rocprim17ROCPRIM_400000_NS6detail17trampoline_kernelINS0_14default_configENS1_27scan_by_key_config_selectorIssEEZZNS1_16scan_by_key_implILNS1_25lookback_scan_determinismE0ELb0ES3_N6thrust23THRUST_200600_302600_NS6detail15normal_iteratorINS9_10device_ptrIsEEEESE_SE_sNS9_4plusIvEENS9_8equal_toIsEEsEE10hipError_tPvRmT2_T3_T4_T5_mT6_T7_P12ihipStream_tbENKUlT_T0_E_clISt17integral_constantIbLb0EESY_IbLb1EEEEDaSU_SV_EUlSU_E_NS1_11comp_targetILNS1_3genE3ELNS1_11target_archE908ELNS1_3gpuE7ELNS1_3repE0EEENS1_30default_config_static_selectorELNS0_4arch9wavefront6targetE0EEEvT1_.num_named_barrier, 0
	.set _ZN7rocprim17ROCPRIM_400000_NS6detail17trampoline_kernelINS0_14default_configENS1_27scan_by_key_config_selectorIssEEZZNS1_16scan_by_key_implILNS1_25lookback_scan_determinismE0ELb0ES3_N6thrust23THRUST_200600_302600_NS6detail15normal_iteratorINS9_10device_ptrIsEEEESE_SE_sNS9_4plusIvEENS9_8equal_toIsEEsEE10hipError_tPvRmT2_T3_T4_T5_mT6_T7_P12ihipStream_tbENKUlT_T0_E_clISt17integral_constantIbLb0EESY_IbLb1EEEEDaSU_SV_EUlSU_E_NS1_11comp_targetILNS1_3genE3ELNS1_11target_archE908ELNS1_3gpuE7ELNS1_3repE0EEENS1_30default_config_static_selectorELNS0_4arch9wavefront6targetE0EEEvT1_.private_seg_size, 0
	.set _ZN7rocprim17ROCPRIM_400000_NS6detail17trampoline_kernelINS0_14default_configENS1_27scan_by_key_config_selectorIssEEZZNS1_16scan_by_key_implILNS1_25lookback_scan_determinismE0ELb0ES3_N6thrust23THRUST_200600_302600_NS6detail15normal_iteratorINS9_10device_ptrIsEEEESE_SE_sNS9_4plusIvEENS9_8equal_toIsEEsEE10hipError_tPvRmT2_T3_T4_T5_mT6_T7_P12ihipStream_tbENKUlT_T0_E_clISt17integral_constantIbLb0EESY_IbLb1EEEEDaSU_SV_EUlSU_E_NS1_11comp_targetILNS1_3genE3ELNS1_11target_archE908ELNS1_3gpuE7ELNS1_3repE0EEENS1_30default_config_static_selectorELNS0_4arch9wavefront6targetE0EEEvT1_.uses_vcc, 0
	.set _ZN7rocprim17ROCPRIM_400000_NS6detail17trampoline_kernelINS0_14default_configENS1_27scan_by_key_config_selectorIssEEZZNS1_16scan_by_key_implILNS1_25lookback_scan_determinismE0ELb0ES3_N6thrust23THRUST_200600_302600_NS6detail15normal_iteratorINS9_10device_ptrIsEEEESE_SE_sNS9_4plusIvEENS9_8equal_toIsEEsEE10hipError_tPvRmT2_T3_T4_T5_mT6_T7_P12ihipStream_tbENKUlT_T0_E_clISt17integral_constantIbLb0EESY_IbLb1EEEEDaSU_SV_EUlSU_E_NS1_11comp_targetILNS1_3genE3ELNS1_11target_archE908ELNS1_3gpuE7ELNS1_3repE0EEENS1_30default_config_static_selectorELNS0_4arch9wavefront6targetE0EEEvT1_.uses_flat_scratch, 0
	.set _ZN7rocprim17ROCPRIM_400000_NS6detail17trampoline_kernelINS0_14default_configENS1_27scan_by_key_config_selectorIssEEZZNS1_16scan_by_key_implILNS1_25lookback_scan_determinismE0ELb0ES3_N6thrust23THRUST_200600_302600_NS6detail15normal_iteratorINS9_10device_ptrIsEEEESE_SE_sNS9_4plusIvEENS9_8equal_toIsEEsEE10hipError_tPvRmT2_T3_T4_T5_mT6_T7_P12ihipStream_tbENKUlT_T0_E_clISt17integral_constantIbLb0EESY_IbLb1EEEEDaSU_SV_EUlSU_E_NS1_11comp_targetILNS1_3genE3ELNS1_11target_archE908ELNS1_3gpuE7ELNS1_3repE0EEENS1_30default_config_static_selectorELNS0_4arch9wavefront6targetE0EEEvT1_.has_dyn_sized_stack, 0
	.set _ZN7rocprim17ROCPRIM_400000_NS6detail17trampoline_kernelINS0_14default_configENS1_27scan_by_key_config_selectorIssEEZZNS1_16scan_by_key_implILNS1_25lookback_scan_determinismE0ELb0ES3_N6thrust23THRUST_200600_302600_NS6detail15normal_iteratorINS9_10device_ptrIsEEEESE_SE_sNS9_4plusIvEENS9_8equal_toIsEEsEE10hipError_tPvRmT2_T3_T4_T5_mT6_T7_P12ihipStream_tbENKUlT_T0_E_clISt17integral_constantIbLb0EESY_IbLb1EEEEDaSU_SV_EUlSU_E_NS1_11comp_targetILNS1_3genE3ELNS1_11target_archE908ELNS1_3gpuE7ELNS1_3repE0EEENS1_30default_config_static_selectorELNS0_4arch9wavefront6targetE0EEEvT1_.has_recursion, 0
	.set _ZN7rocprim17ROCPRIM_400000_NS6detail17trampoline_kernelINS0_14default_configENS1_27scan_by_key_config_selectorIssEEZZNS1_16scan_by_key_implILNS1_25lookback_scan_determinismE0ELb0ES3_N6thrust23THRUST_200600_302600_NS6detail15normal_iteratorINS9_10device_ptrIsEEEESE_SE_sNS9_4plusIvEENS9_8equal_toIsEEsEE10hipError_tPvRmT2_T3_T4_T5_mT6_T7_P12ihipStream_tbENKUlT_T0_E_clISt17integral_constantIbLb0EESY_IbLb1EEEEDaSU_SV_EUlSU_E_NS1_11comp_targetILNS1_3genE3ELNS1_11target_archE908ELNS1_3gpuE7ELNS1_3repE0EEENS1_30default_config_static_selectorELNS0_4arch9wavefront6targetE0EEEvT1_.has_indirect_call, 0
	.section	.AMDGPU.csdata,"",@progbits
; Kernel info:
; codeLenInByte = 0
; TotalNumSgprs: 0
; NumVgprs: 0
; ScratchSize: 0
; MemoryBound: 0
; FloatMode: 240
; IeeeMode: 1
; LDSByteSize: 0 bytes/workgroup (compile time only)
; SGPRBlocks: 0
; VGPRBlocks: 0
; NumSGPRsForWavesPerEU: 1
; NumVGPRsForWavesPerEU: 1
; NamedBarCnt: 0
; Occupancy: 16
; WaveLimiterHint : 0
; COMPUTE_PGM_RSRC2:SCRATCH_EN: 0
; COMPUTE_PGM_RSRC2:USER_SGPR: 2
; COMPUTE_PGM_RSRC2:TRAP_HANDLER: 0
; COMPUTE_PGM_RSRC2:TGID_X_EN: 1
; COMPUTE_PGM_RSRC2:TGID_Y_EN: 0
; COMPUTE_PGM_RSRC2:TGID_Z_EN: 0
; COMPUTE_PGM_RSRC2:TIDIG_COMP_CNT: 0
	.section	.text._ZN7rocprim17ROCPRIM_400000_NS6detail17trampoline_kernelINS0_14default_configENS1_27scan_by_key_config_selectorIssEEZZNS1_16scan_by_key_implILNS1_25lookback_scan_determinismE0ELb0ES3_N6thrust23THRUST_200600_302600_NS6detail15normal_iteratorINS9_10device_ptrIsEEEESE_SE_sNS9_4plusIvEENS9_8equal_toIsEEsEE10hipError_tPvRmT2_T3_T4_T5_mT6_T7_P12ihipStream_tbENKUlT_T0_E_clISt17integral_constantIbLb0EESY_IbLb1EEEEDaSU_SV_EUlSU_E_NS1_11comp_targetILNS1_3genE2ELNS1_11target_archE906ELNS1_3gpuE6ELNS1_3repE0EEENS1_30default_config_static_selectorELNS0_4arch9wavefront6targetE0EEEvT1_,"axG",@progbits,_ZN7rocprim17ROCPRIM_400000_NS6detail17trampoline_kernelINS0_14default_configENS1_27scan_by_key_config_selectorIssEEZZNS1_16scan_by_key_implILNS1_25lookback_scan_determinismE0ELb0ES3_N6thrust23THRUST_200600_302600_NS6detail15normal_iteratorINS9_10device_ptrIsEEEESE_SE_sNS9_4plusIvEENS9_8equal_toIsEEsEE10hipError_tPvRmT2_T3_T4_T5_mT6_T7_P12ihipStream_tbENKUlT_T0_E_clISt17integral_constantIbLb0EESY_IbLb1EEEEDaSU_SV_EUlSU_E_NS1_11comp_targetILNS1_3genE2ELNS1_11target_archE906ELNS1_3gpuE6ELNS1_3repE0EEENS1_30default_config_static_selectorELNS0_4arch9wavefront6targetE0EEEvT1_,comdat
	.protected	_ZN7rocprim17ROCPRIM_400000_NS6detail17trampoline_kernelINS0_14default_configENS1_27scan_by_key_config_selectorIssEEZZNS1_16scan_by_key_implILNS1_25lookback_scan_determinismE0ELb0ES3_N6thrust23THRUST_200600_302600_NS6detail15normal_iteratorINS9_10device_ptrIsEEEESE_SE_sNS9_4plusIvEENS9_8equal_toIsEEsEE10hipError_tPvRmT2_T3_T4_T5_mT6_T7_P12ihipStream_tbENKUlT_T0_E_clISt17integral_constantIbLb0EESY_IbLb1EEEEDaSU_SV_EUlSU_E_NS1_11comp_targetILNS1_3genE2ELNS1_11target_archE906ELNS1_3gpuE6ELNS1_3repE0EEENS1_30default_config_static_selectorELNS0_4arch9wavefront6targetE0EEEvT1_ ; -- Begin function _ZN7rocprim17ROCPRIM_400000_NS6detail17trampoline_kernelINS0_14default_configENS1_27scan_by_key_config_selectorIssEEZZNS1_16scan_by_key_implILNS1_25lookback_scan_determinismE0ELb0ES3_N6thrust23THRUST_200600_302600_NS6detail15normal_iteratorINS9_10device_ptrIsEEEESE_SE_sNS9_4plusIvEENS9_8equal_toIsEEsEE10hipError_tPvRmT2_T3_T4_T5_mT6_T7_P12ihipStream_tbENKUlT_T0_E_clISt17integral_constantIbLb0EESY_IbLb1EEEEDaSU_SV_EUlSU_E_NS1_11comp_targetILNS1_3genE2ELNS1_11target_archE906ELNS1_3gpuE6ELNS1_3repE0EEENS1_30default_config_static_selectorELNS0_4arch9wavefront6targetE0EEEvT1_
	.globl	_ZN7rocprim17ROCPRIM_400000_NS6detail17trampoline_kernelINS0_14default_configENS1_27scan_by_key_config_selectorIssEEZZNS1_16scan_by_key_implILNS1_25lookback_scan_determinismE0ELb0ES3_N6thrust23THRUST_200600_302600_NS6detail15normal_iteratorINS9_10device_ptrIsEEEESE_SE_sNS9_4plusIvEENS9_8equal_toIsEEsEE10hipError_tPvRmT2_T3_T4_T5_mT6_T7_P12ihipStream_tbENKUlT_T0_E_clISt17integral_constantIbLb0EESY_IbLb1EEEEDaSU_SV_EUlSU_E_NS1_11comp_targetILNS1_3genE2ELNS1_11target_archE906ELNS1_3gpuE6ELNS1_3repE0EEENS1_30default_config_static_selectorELNS0_4arch9wavefront6targetE0EEEvT1_
	.p2align	8
	.type	_ZN7rocprim17ROCPRIM_400000_NS6detail17trampoline_kernelINS0_14default_configENS1_27scan_by_key_config_selectorIssEEZZNS1_16scan_by_key_implILNS1_25lookback_scan_determinismE0ELb0ES3_N6thrust23THRUST_200600_302600_NS6detail15normal_iteratorINS9_10device_ptrIsEEEESE_SE_sNS9_4plusIvEENS9_8equal_toIsEEsEE10hipError_tPvRmT2_T3_T4_T5_mT6_T7_P12ihipStream_tbENKUlT_T0_E_clISt17integral_constantIbLb0EESY_IbLb1EEEEDaSU_SV_EUlSU_E_NS1_11comp_targetILNS1_3genE2ELNS1_11target_archE906ELNS1_3gpuE6ELNS1_3repE0EEENS1_30default_config_static_selectorELNS0_4arch9wavefront6targetE0EEEvT1_,@function
_ZN7rocprim17ROCPRIM_400000_NS6detail17trampoline_kernelINS0_14default_configENS1_27scan_by_key_config_selectorIssEEZZNS1_16scan_by_key_implILNS1_25lookback_scan_determinismE0ELb0ES3_N6thrust23THRUST_200600_302600_NS6detail15normal_iteratorINS9_10device_ptrIsEEEESE_SE_sNS9_4plusIvEENS9_8equal_toIsEEsEE10hipError_tPvRmT2_T3_T4_T5_mT6_T7_P12ihipStream_tbENKUlT_T0_E_clISt17integral_constantIbLb0EESY_IbLb1EEEEDaSU_SV_EUlSU_E_NS1_11comp_targetILNS1_3genE2ELNS1_11target_archE906ELNS1_3gpuE6ELNS1_3repE0EEENS1_30default_config_static_selectorELNS0_4arch9wavefront6targetE0EEEvT1_: ; @_ZN7rocprim17ROCPRIM_400000_NS6detail17trampoline_kernelINS0_14default_configENS1_27scan_by_key_config_selectorIssEEZZNS1_16scan_by_key_implILNS1_25lookback_scan_determinismE0ELb0ES3_N6thrust23THRUST_200600_302600_NS6detail15normal_iteratorINS9_10device_ptrIsEEEESE_SE_sNS9_4plusIvEENS9_8equal_toIsEEsEE10hipError_tPvRmT2_T3_T4_T5_mT6_T7_P12ihipStream_tbENKUlT_T0_E_clISt17integral_constantIbLb0EESY_IbLb1EEEEDaSU_SV_EUlSU_E_NS1_11comp_targetILNS1_3genE2ELNS1_11target_archE906ELNS1_3gpuE6ELNS1_3repE0EEENS1_30default_config_static_selectorELNS0_4arch9wavefront6targetE0EEEvT1_
; %bb.0:
	.section	.rodata,"a",@progbits
	.p2align	6, 0x0
	.amdhsa_kernel _ZN7rocprim17ROCPRIM_400000_NS6detail17trampoline_kernelINS0_14default_configENS1_27scan_by_key_config_selectorIssEEZZNS1_16scan_by_key_implILNS1_25lookback_scan_determinismE0ELb0ES3_N6thrust23THRUST_200600_302600_NS6detail15normal_iteratorINS9_10device_ptrIsEEEESE_SE_sNS9_4plusIvEENS9_8equal_toIsEEsEE10hipError_tPvRmT2_T3_T4_T5_mT6_T7_P12ihipStream_tbENKUlT_T0_E_clISt17integral_constantIbLb0EESY_IbLb1EEEEDaSU_SV_EUlSU_E_NS1_11comp_targetILNS1_3genE2ELNS1_11target_archE906ELNS1_3gpuE6ELNS1_3repE0EEENS1_30default_config_static_selectorELNS0_4arch9wavefront6targetE0EEEvT1_
		.amdhsa_group_segment_fixed_size 0
		.amdhsa_private_segment_fixed_size 0
		.amdhsa_kernarg_size 112
		.amdhsa_user_sgpr_count 2
		.amdhsa_user_sgpr_dispatch_ptr 0
		.amdhsa_user_sgpr_queue_ptr 0
		.amdhsa_user_sgpr_kernarg_segment_ptr 1
		.amdhsa_user_sgpr_dispatch_id 0
		.amdhsa_user_sgpr_kernarg_preload_length 0
		.amdhsa_user_sgpr_kernarg_preload_offset 0
		.amdhsa_user_sgpr_private_segment_size 0
		.amdhsa_wavefront_size32 1
		.amdhsa_uses_dynamic_stack 0
		.amdhsa_enable_private_segment 0
		.amdhsa_system_sgpr_workgroup_id_x 1
		.amdhsa_system_sgpr_workgroup_id_y 0
		.amdhsa_system_sgpr_workgroup_id_z 0
		.amdhsa_system_sgpr_workgroup_info 0
		.amdhsa_system_vgpr_workitem_id 0
		.amdhsa_next_free_vgpr 1
		.amdhsa_next_free_sgpr 1
		.amdhsa_named_barrier_count 0
		.amdhsa_reserve_vcc 0
		.amdhsa_float_round_mode_32 0
		.amdhsa_float_round_mode_16_64 0
		.amdhsa_float_denorm_mode_32 3
		.amdhsa_float_denorm_mode_16_64 3
		.amdhsa_fp16_overflow 0
		.amdhsa_memory_ordered 1
		.amdhsa_forward_progress 1
		.amdhsa_inst_pref_size 0
		.amdhsa_round_robin_scheduling 0
		.amdhsa_exception_fp_ieee_invalid_op 0
		.amdhsa_exception_fp_denorm_src 0
		.amdhsa_exception_fp_ieee_div_zero 0
		.amdhsa_exception_fp_ieee_overflow 0
		.amdhsa_exception_fp_ieee_underflow 0
		.amdhsa_exception_fp_ieee_inexact 0
		.amdhsa_exception_int_div_zero 0
	.end_amdhsa_kernel
	.section	.text._ZN7rocprim17ROCPRIM_400000_NS6detail17trampoline_kernelINS0_14default_configENS1_27scan_by_key_config_selectorIssEEZZNS1_16scan_by_key_implILNS1_25lookback_scan_determinismE0ELb0ES3_N6thrust23THRUST_200600_302600_NS6detail15normal_iteratorINS9_10device_ptrIsEEEESE_SE_sNS9_4plusIvEENS9_8equal_toIsEEsEE10hipError_tPvRmT2_T3_T4_T5_mT6_T7_P12ihipStream_tbENKUlT_T0_E_clISt17integral_constantIbLb0EESY_IbLb1EEEEDaSU_SV_EUlSU_E_NS1_11comp_targetILNS1_3genE2ELNS1_11target_archE906ELNS1_3gpuE6ELNS1_3repE0EEENS1_30default_config_static_selectorELNS0_4arch9wavefront6targetE0EEEvT1_,"axG",@progbits,_ZN7rocprim17ROCPRIM_400000_NS6detail17trampoline_kernelINS0_14default_configENS1_27scan_by_key_config_selectorIssEEZZNS1_16scan_by_key_implILNS1_25lookback_scan_determinismE0ELb0ES3_N6thrust23THRUST_200600_302600_NS6detail15normal_iteratorINS9_10device_ptrIsEEEESE_SE_sNS9_4plusIvEENS9_8equal_toIsEEsEE10hipError_tPvRmT2_T3_T4_T5_mT6_T7_P12ihipStream_tbENKUlT_T0_E_clISt17integral_constantIbLb0EESY_IbLb1EEEEDaSU_SV_EUlSU_E_NS1_11comp_targetILNS1_3genE2ELNS1_11target_archE906ELNS1_3gpuE6ELNS1_3repE0EEENS1_30default_config_static_selectorELNS0_4arch9wavefront6targetE0EEEvT1_,comdat
.Lfunc_end349:
	.size	_ZN7rocprim17ROCPRIM_400000_NS6detail17trampoline_kernelINS0_14default_configENS1_27scan_by_key_config_selectorIssEEZZNS1_16scan_by_key_implILNS1_25lookback_scan_determinismE0ELb0ES3_N6thrust23THRUST_200600_302600_NS6detail15normal_iteratorINS9_10device_ptrIsEEEESE_SE_sNS9_4plusIvEENS9_8equal_toIsEEsEE10hipError_tPvRmT2_T3_T4_T5_mT6_T7_P12ihipStream_tbENKUlT_T0_E_clISt17integral_constantIbLb0EESY_IbLb1EEEEDaSU_SV_EUlSU_E_NS1_11comp_targetILNS1_3genE2ELNS1_11target_archE906ELNS1_3gpuE6ELNS1_3repE0EEENS1_30default_config_static_selectorELNS0_4arch9wavefront6targetE0EEEvT1_, .Lfunc_end349-_ZN7rocprim17ROCPRIM_400000_NS6detail17trampoline_kernelINS0_14default_configENS1_27scan_by_key_config_selectorIssEEZZNS1_16scan_by_key_implILNS1_25lookback_scan_determinismE0ELb0ES3_N6thrust23THRUST_200600_302600_NS6detail15normal_iteratorINS9_10device_ptrIsEEEESE_SE_sNS9_4plusIvEENS9_8equal_toIsEEsEE10hipError_tPvRmT2_T3_T4_T5_mT6_T7_P12ihipStream_tbENKUlT_T0_E_clISt17integral_constantIbLb0EESY_IbLb1EEEEDaSU_SV_EUlSU_E_NS1_11comp_targetILNS1_3genE2ELNS1_11target_archE906ELNS1_3gpuE6ELNS1_3repE0EEENS1_30default_config_static_selectorELNS0_4arch9wavefront6targetE0EEEvT1_
                                        ; -- End function
	.set _ZN7rocprim17ROCPRIM_400000_NS6detail17trampoline_kernelINS0_14default_configENS1_27scan_by_key_config_selectorIssEEZZNS1_16scan_by_key_implILNS1_25lookback_scan_determinismE0ELb0ES3_N6thrust23THRUST_200600_302600_NS6detail15normal_iteratorINS9_10device_ptrIsEEEESE_SE_sNS9_4plusIvEENS9_8equal_toIsEEsEE10hipError_tPvRmT2_T3_T4_T5_mT6_T7_P12ihipStream_tbENKUlT_T0_E_clISt17integral_constantIbLb0EESY_IbLb1EEEEDaSU_SV_EUlSU_E_NS1_11comp_targetILNS1_3genE2ELNS1_11target_archE906ELNS1_3gpuE6ELNS1_3repE0EEENS1_30default_config_static_selectorELNS0_4arch9wavefront6targetE0EEEvT1_.num_vgpr, 0
	.set _ZN7rocprim17ROCPRIM_400000_NS6detail17trampoline_kernelINS0_14default_configENS1_27scan_by_key_config_selectorIssEEZZNS1_16scan_by_key_implILNS1_25lookback_scan_determinismE0ELb0ES3_N6thrust23THRUST_200600_302600_NS6detail15normal_iteratorINS9_10device_ptrIsEEEESE_SE_sNS9_4plusIvEENS9_8equal_toIsEEsEE10hipError_tPvRmT2_T3_T4_T5_mT6_T7_P12ihipStream_tbENKUlT_T0_E_clISt17integral_constantIbLb0EESY_IbLb1EEEEDaSU_SV_EUlSU_E_NS1_11comp_targetILNS1_3genE2ELNS1_11target_archE906ELNS1_3gpuE6ELNS1_3repE0EEENS1_30default_config_static_selectorELNS0_4arch9wavefront6targetE0EEEvT1_.num_agpr, 0
	.set _ZN7rocprim17ROCPRIM_400000_NS6detail17trampoline_kernelINS0_14default_configENS1_27scan_by_key_config_selectorIssEEZZNS1_16scan_by_key_implILNS1_25lookback_scan_determinismE0ELb0ES3_N6thrust23THRUST_200600_302600_NS6detail15normal_iteratorINS9_10device_ptrIsEEEESE_SE_sNS9_4plusIvEENS9_8equal_toIsEEsEE10hipError_tPvRmT2_T3_T4_T5_mT6_T7_P12ihipStream_tbENKUlT_T0_E_clISt17integral_constantIbLb0EESY_IbLb1EEEEDaSU_SV_EUlSU_E_NS1_11comp_targetILNS1_3genE2ELNS1_11target_archE906ELNS1_3gpuE6ELNS1_3repE0EEENS1_30default_config_static_selectorELNS0_4arch9wavefront6targetE0EEEvT1_.numbered_sgpr, 0
	.set _ZN7rocprim17ROCPRIM_400000_NS6detail17trampoline_kernelINS0_14default_configENS1_27scan_by_key_config_selectorIssEEZZNS1_16scan_by_key_implILNS1_25lookback_scan_determinismE0ELb0ES3_N6thrust23THRUST_200600_302600_NS6detail15normal_iteratorINS9_10device_ptrIsEEEESE_SE_sNS9_4plusIvEENS9_8equal_toIsEEsEE10hipError_tPvRmT2_T3_T4_T5_mT6_T7_P12ihipStream_tbENKUlT_T0_E_clISt17integral_constantIbLb0EESY_IbLb1EEEEDaSU_SV_EUlSU_E_NS1_11comp_targetILNS1_3genE2ELNS1_11target_archE906ELNS1_3gpuE6ELNS1_3repE0EEENS1_30default_config_static_selectorELNS0_4arch9wavefront6targetE0EEEvT1_.num_named_barrier, 0
	.set _ZN7rocprim17ROCPRIM_400000_NS6detail17trampoline_kernelINS0_14default_configENS1_27scan_by_key_config_selectorIssEEZZNS1_16scan_by_key_implILNS1_25lookback_scan_determinismE0ELb0ES3_N6thrust23THRUST_200600_302600_NS6detail15normal_iteratorINS9_10device_ptrIsEEEESE_SE_sNS9_4plusIvEENS9_8equal_toIsEEsEE10hipError_tPvRmT2_T3_T4_T5_mT6_T7_P12ihipStream_tbENKUlT_T0_E_clISt17integral_constantIbLb0EESY_IbLb1EEEEDaSU_SV_EUlSU_E_NS1_11comp_targetILNS1_3genE2ELNS1_11target_archE906ELNS1_3gpuE6ELNS1_3repE0EEENS1_30default_config_static_selectorELNS0_4arch9wavefront6targetE0EEEvT1_.private_seg_size, 0
	.set _ZN7rocprim17ROCPRIM_400000_NS6detail17trampoline_kernelINS0_14default_configENS1_27scan_by_key_config_selectorIssEEZZNS1_16scan_by_key_implILNS1_25lookback_scan_determinismE0ELb0ES3_N6thrust23THRUST_200600_302600_NS6detail15normal_iteratorINS9_10device_ptrIsEEEESE_SE_sNS9_4plusIvEENS9_8equal_toIsEEsEE10hipError_tPvRmT2_T3_T4_T5_mT6_T7_P12ihipStream_tbENKUlT_T0_E_clISt17integral_constantIbLb0EESY_IbLb1EEEEDaSU_SV_EUlSU_E_NS1_11comp_targetILNS1_3genE2ELNS1_11target_archE906ELNS1_3gpuE6ELNS1_3repE0EEENS1_30default_config_static_selectorELNS0_4arch9wavefront6targetE0EEEvT1_.uses_vcc, 0
	.set _ZN7rocprim17ROCPRIM_400000_NS6detail17trampoline_kernelINS0_14default_configENS1_27scan_by_key_config_selectorIssEEZZNS1_16scan_by_key_implILNS1_25lookback_scan_determinismE0ELb0ES3_N6thrust23THRUST_200600_302600_NS6detail15normal_iteratorINS9_10device_ptrIsEEEESE_SE_sNS9_4plusIvEENS9_8equal_toIsEEsEE10hipError_tPvRmT2_T3_T4_T5_mT6_T7_P12ihipStream_tbENKUlT_T0_E_clISt17integral_constantIbLb0EESY_IbLb1EEEEDaSU_SV_EUlSU_E_NS1_11comp_targetILNS1_3genE2ELNS1_11target_archE906ELNS1_3gpuE6ELNS1_3repE0EEENS1_30default_config_static_selectorELNS0_4arch9wavefront6targetE0EEEvT1_.uses_flat_scratch, 0
	.set _ZN7rocprim17ROCPRIM_400000_NS6detail17trampoline_kernelINS0_14default_configENS1_27scan_by_key_config_selectorIssEEZZNS1_16scan_by_key_implILNS1_25lookback_scan_determinismE0ELb0ES3_N6thrust23THRUST_200600_302600_NS6detail15normal_iteratorINS9_10device_ptrIsEEEESE_SE_sNS9_4plusIvEENS9_8equal_toIsEEsEE10hipError_tPvRmT2_T3_T4_T5_mT6_T7_P12ihipStream_tbENKUlT_T0_E_clISt17integral_constantIbLb0EESY_IbLb1EEEEDaSU_SV_EUlSU_E_NS1_11comp_targetILNS1_3genE2ELNS1_11target_archE906ELNS1_3gpuE6ELNS1_3repE0EEENS1_30default_config_static_selectorELNS0_4arch9wavefront6targetE0EEEvT1_.has_dyn_sized_stack, 0
	.set _ZN7rocprim17ROCPRIM_400000_NS6detail17trampoline_kernelINS0_14default_configENS1_27scan_by_key_config_selectorIssEEZZNS1_16scan_by_key_implILNS1_25lookback_scan_determinismE0ELb0ES3_N6thrust23THRUST_200600_302600_NS6detail15normal_iteratorINS9_10device_ptrIsEEEESE_SE_sNS9_4plusIvEENS9_8equal_toIsEEsEE10hipError_tPvRmT2_T3_T4_T5_mT6_T7_P12ihipStream_tbENKUlT_T0_E_clISt17integral_constantIbLb0EESY_IbLb1EEEEDaSU_SV_EUlSU_E_NS1_11comp_targetILNS1_3genE2ELNS1_11target_archE906ELNS1_3gpuE6ELNS1_3repE0EEENS1_30default_config_static_selectorELNS0_4arch9wavefront6targetE0EEEvT1_.has_recursion, 0
	.set _ZN7rocprim17ROCPRIM_400000_NS6detail17trampoline_kernelINS0_14default_configENS1_27scan_by_key_config_selectorIssEEZZNS1_16scan_by_key_implILNS1_25lookback_scan_determinismE0ELb0ES3_N6thrust23THRUST_200600_302600_NS6detail15normal_iteratorINS9_10device_ptrIsEEEESE_SE_sNS9_4plusIvEENS9_8equal_toIsEEsEE10hipError_tPvRmT2_T3_T4_T5_mT6_T7_P12ihipStream_tbENKUlT_T0_E_clISt17integral_constantIbLb0EESY_IbLb1EEEEDaSU_SV_EUlSU_E_NS1_11comp_targetILNS1_3genE2ELNS1_11target_archE906ELNS1_3gpuE6ELNS1_3repE0EEENS1_30default_config_static_selectorELNS0_4arch9wavefront6targetE0EEEvT1_.has_indirect_call, 0
	.section	.AMDGPU.csdata,"",@progbits
; Kernel info:
; codeLenInByte = 0
; TotalNumSgprs: 0
; NumVgprs: 0
; ScratchSize: 0
; MemoryBound: 0
; FloatMode: 240
; IeeeMode: 1
; LDSByteSize: 0 bytes/workgroup (compile time only)
; SGPRBlocks: 0
; VGPRBlocks: 0
; NumSGPRsForWavesPerEU: 1
; NumVGPRsForWavesPerEU: 1
; NamedBarCnt: 0
; Occupancy: 16
; WaveLimiterHint : 0
; COMPUTE_PGM_RSRC2:SCRATCH_EN: 0
; COMPUTE_PGM_RSRC2:USER_SGPR: 2
; COMPUTE_PGM_RSRC2:TRAP_HANDLER: 0
; COMPUTE_PGM_RSRC2:TGID_X_EN: 1
; COMPUTE_PGM_RSRC2:TGID_Y_EN: 0
; COMPUTE_PGM_RSRC2:TGID_Z_EN: 0
; COMPUTE_PGM_RSRC2:TIDIG_COMP_CNT: 0
	.section	.text._ZN7rocprim17ROCPRIM_400000_NS6detail17trampoline_kernelINS0_14default_configENS1_27scan_by_key_config_selectorIssEEZZNS1_16scan_by_key_implILNS1_25lookback_scan_determinismE0ELb0ES3_N6thrust23THRUST_200600_302600_NS6detail15normal_iteratorINS9_10device_ptrIsEEEESE_SE_sNS9_4plusIvEENS9_8equal_toIsEEsEE10hipError_tPvRmT2_T3_T4_T5_mT6_T7_P12ihipStream_tbENKUlT_T0_E_clISt17integral_constantIbLb0EESY_IbLb1EEEEDaSU_SV_EUlSU_E_NS1_11comp_targetILNS1_3genE10ELNS1_11target_archE1200ELNS1_3gpuE4ELNS1_3repE0EEENS1_30default_config_static_selectorELNS0_4arch9wavefront6targetE0EEEvT1_,"axG",@progbits,_ZN7rocprim17ROCPRIM_400000_NS6detail17trampoline_kernelINS0_14default_configENS1_27scan_by_key_config_selectorIssEEZZNS1_16scan_by_key_implILNS1_25lookback_scan_determinismE0ELb0ES3_N6thrust23THRUST_200600_302600_NS6detail15normal_iteratorINS9_10device_ptrIsEEEESE_SE_sNS9_4plusIvEENS9_8equal_toIsEEsEE10hipError_tPvRmT2_T3_T4_T5_mT6_T7_P12ihipStream_tbENKUlT_T0_E_clISt17integral_constantIbLb0EESY_IbLb1EEEEDaSU_SV_EUlSU_E_NS1_11comp_targetILNS1_3genE10ELNS1_11target_archE1200ELNS1_3gpuE4ELNS1_3repE0EEENS1_30default_config_static_selectorELNS0_4arch9wavefront6targetE0EEEvT1_,comdat
	.protected	_ZN7rocprim17ROCPRIM_400000_NS6detail17trampoline_kernelINS0_14default_configENS1_27scan_by_key_config_selectorIssEEZZNS1_16scan_by_key_implILNS1_25lookback_scan_determinismE0ELb0ES3_N6thrust23THRUST_200600_302600_NS6detail15normal_iteratorINS9_10device_ptrIsEEEESE_SE_sNS9_4plusIvEENS9_8equal_toIsEEsEE10hipError_tPvRmT2_T3_T4_T5_mT6_T7_P12ihipStream_tbENKUlT_T0_E_clISt17integral_constantIbLb0EESY_IbLb1EEEEDaSU_SV_EUlSU_E_NS1_11comp_targetILNS1_3genE10ELNS1_11target_archE1200ELNS1_3gpuE4ELNS1_3repE0EEENS1_30default_config_static_selectorELNS0_4arch9wavefront6targetE0EEEvT1_ ; -- Begin function _ZN7rocprim17ROCPRIM_400000_NS6detail17trampoline_kernelINS0_14default_configENS1_27scan_by_key_config_selectorIssEEZZNS1_16scan_by_key_implILNS1_25lookback_scan_determinismE0ELb0ES3_N6thrust23THRUST_200600_302600_NS6detail15normal_iteratorINS9_10device_ptrIsEEEESE_SE_sNS9_4plusIvEENS9_8equal_toIsEEsEE10hipError_tPvRmT2_T3_T4_T5_mT6_T7_P12ihipStream_tbENKUlT_T0_E_clISt17integral_constantIbLb0EESY_IbLb1EEEEDaSU_SV_EUlSU_E_NS1_11comp_targetILNS1_3genE10ELNS1_11target_archE1200ELNS1_3gpuE4ELNS1_3repE0EEENS1_30default_config_static_selectorELNS0_4arch9wavefront6targetE0EEEvT1_
	.globl	_ZN7rocprim17ROCPRIM_400000_NS6detail17trampoline_kernelINS0_14default_configENS1_27scan_by_key_config_selectorIssEEZZNS1_16scan_by_key_implILNS1_25lookback_scan_determinismE0ELb0ES3_N6thrust23THRUST_200600_302600_NS6detail15normal_iteratorINS9_10device_ptrIsEEEESE_SE_sNS9_4plusIvEENS9_8equal_toIsEEsEE10hipError_tPvRmT2_T3_T4_T5_mT6_T7_P12ihipStream_tbENKUlT_T0_E_clISt17integral_constantIbLb0EESY_IbLb1EEEEDaSU_SV_EUlSU_E_NS1_11comp_targetILNS1_3genE10ELNS1_11target_archE1200ELNS1_3gpuE4ELNS1_3repE0EEENS1_30default_config_static_selectorELNS0_4arch9wavefront6targetE0EEEvT1_
	.p2align	8
	.type	_ZN7rocprim17ROCPRIM_400000_NS6detail17trampoline_kernelINS0_14default_configENS1_27scan_by_key_config_selectorIssEEZZNS1_16scan_by_key_implILNS1_25lookback_scan_determinismE0ELb0ES3_N6thrust23THRUST_200600_302600_NS6detail15normal_iteratorINS9_10device_ptrIsEEEESE_SE_sNS9_4plusIvEENS9_8equal_toIsEEsEE10hipError_tPvRmT2_T3_T4_T5_mT6_T7_P12ihipStream_tbENKUlT_T0_E_clISt17integral_constantIbLb0EESY_IbLb1EEEEDaSU_SV_EUlSU_E_NS1_11comp_targetILNS1_3genE10ELNS1_11target_archE1200ELNS1_3gpuE4ELNS1_3repE0EEENS1_30default_config_static_selectorELNS0_4arch9wavefront6targetE0EEEvT1_,@function
_ZN7rocprim17ROCPRIM_400000_NS6detail17trampoline_kernelINS0_14default_configENS1_27scan_by_key_config_selectorIssEEZZNS1_16scan_by_key_implILNS1_25lookback_scan_determinismE0ELb0ES3_N6thrust23THRUST_200600_302600_NS6detail15normal_iteratorINS9_10device_ptrIsEEEESE_SE_sNS9_4plusIvEENS9_8equal_toIsEEsEE10hipError_tPvRmT2_T3_T4_T5_mT6_T7_P12ihipStream_tbENKUlT_T0_E_clISt17integral_constantIbLb0EESY_IbLb1EEEEDaSU_SV_EUlSU_E_NS1_11comp_targetILNS1_3genE10ELNS1_11target_archE1200ELNS1_3gpuE4ELNS1_3repE0EEENS1_30default_config_static_selectorELNS0_4arch9wavefront6targetE0EEEvT1_: ; @_ZN7rocprim17ROCPRIM_400000_NS6detail17trampoline_kernelINS0_14default_configENS1_27scan_by_key_config_selectorIssEEZZNS1_16scan_by_key_implILNS1_25lookback_scan_determinismE0ELb0ES3_N6thrust23THRUST_200600_302600_NS6detail15normal_iteratorINS9_10device_ptrIsEEEESE_SE_sNS9_4plusIvEENS9_8equal_toIsEEsEE10hipError_tPvRmT2_T3_T4_T5_mT6_T7_P12ihipStream_tbENKUlT_T0_E_clISt17integral_constantIbLb0EESY_IbLb1EEEEDaSU_SV_EUlSU_E_NS1_11comp_targetILNS1_3genE10ELNS1_11target_archE1200ELNS1_3gpuE4ELNS1_3repE0EEENS1_30default_config_static_selectorELNS0_4arch9wavefront6targetE0EEEvT1_
; %bb.0:
	.section	.rodata,"a",@progbits
	.p2align	6, 0x0
	.amdhsa_kernel _ZN7rocprim17ROCPRIM_400000_NS6detail17trampoline_kernelINS0_14default_configENS1_27scan_by_key_config_selectorIssEEZZNS1_16scan_by_key_implILNS1_25lookback_scan_determinismE0ELb0ES3_N6thrust23THRUST_200600_302600_NS6detail15normal_iteratorINS9_10device_ptrIsEEEESE_SE_sNS9_4plusIvEENS9_8equal_toIsEEsEE10hipError_tPvRmT2_T3_T4_T5_mT6_T7_P12ihipStream_tbENKUlT_T0_E_clISt17integral_constantIbLb0EESY_IbLb1EEEEDaSU_SV_EUlSU_E_NS1_11comp_targetILNS1_3genE10ELNS1_11target_archE1200ELNS1_3gpuE4ELNS1_3repE0EEENS1_30default_config_static_selectorELNS0_4arch9wavefront6targetE0EEEvT1_
		.amdhsa_group_segment_fixed_size 0
		.amdhsa_private_segment_fixed_size 0
		.amdhsa_kernarg_size 112
		.amdhsa_user_sgpr_count 2
		.amdhsa_user_sgpr_dispatch_ptr 0
		.amdhsa_user_sgpr_queue_ptr 0
		.amdhsa_user_sgpr_kernarg_segment_ptr 1
		.amdhsa_user_sgpr_dispatch_id 0
		.amdhsa_user_sgpr_kernarg_preload_length 0
		.amdhsa_user_sgpr_kernarg_preload_offset 0
		.amdhsa_user_sgpr_private_segment_size 0
		.amdhsa_wavefront_size32 1
		.amdhsa_uses_dynamic_stack 0
		.amdhsa_enable_private_segment 0
		.amdhsa_system_sgpr_workgroup_id_x 1
		.amdhsa_system_sgpr_workgroup_id_y 0
		.amdhsa_system_sgpr_workgroup_id_z 0
		.amdhsa_system_sgpr_workgroup_info 0
		.amdhsa_system_vgpr_workitem_id 0
		.amdhsa_next_free_vgpr 1
		.amdhsa_next_free_sgpr 1
		.amdhsa_named_barrier_count 0
		.amdhsa_reserve_vcc 0
		.amdhsa_float_round_mode_32 0
		.amdhsa_float_round_mode_16_64 0
		.amdhsa_float_denorm_mode_32 3
		.amdhsa_float_denorm_mode_16_64 3
		.amdhsa_fp16_overflow 0
		.amdhsa_memory_ordered 1
		.amdhsa_forward_progress 1
		.amdhsa_inst_pref_size 0
		.amdhsa_round_robin_scheduling 0
		.amdhsa_exception_fp_ieee_invalid_op 0
		.amdhsa_exception_fp_denorm_src 0
		.amdhsa_exception_fp_ieee_div_zero 0
		.amdhsa_exception_fp_ieee_overflow 0
		.amdhsa_exception_fp_ieee_underflow 0
		.amdhsa_exception_fp_ieee_inexact 0
		.amdhsa_exception_int_div_zero 0
	.end_amdhsa_kernel
	.section	.text._ZN7rocprim17ROCPRIM_400000_NS6detail17trampoline_kernelINS0_14default_configENS1_27scan_by_key_config_selectorIssEEZZNS1_16scan_by_key_implILNS1_25lookback_scan_determinismE0ELb0ES3_N6thrust23THRUST_200600_302600_NS6detail15normal_iteratorINS9_10device_ptrIsEEEESE_SE_sNS9_4plusIvEENS9_8equal_toIsEEsEE10hipError_tPvRmT2_T3_T4_T5_mT6_T7_P12ihipStream_tbENKUlT_T0_E_clISt17integral_constantIbLb0EESY_IbLb1EEEEDaSU_SV_EUlSU_E_NS1_11comp_targetILNS1_3genE10ELNS1_11target_archE1200ELNS1_3gpuE4ELNS1_3repE0EEENS1_30default_config_static_selectorELNS0_4arch9wavefront6targetE0EEEvT1_,"axG",@progbits,_ZN7rocprim17ROCPRIM_400000_NS6detail17trampoline_kernelINS0_14default_configENS1_27scan_by_key_config_selectorIssEEZZNS1_16scan_by_key_implILNS1_25lookback_scan_determinismE0ELb0ES3_N6thrust23THRUST_200600_302600_NS6detail15normal_iteratorINS9_10device_ptrIsEEEESE_SE_sNS9_4plusIvEENS9_8equal_toIsEEsEE10hipError_tPvRmT2_T3_T4_T5_mT6_T7_P12ihipStream_tbENKUlT_T0_E_clISt17integral_constantIbLb0EESY_IbLb1EEEEDaSU_SV_EUlSU_E_NS1_11comp_targetILNS1_3genE10ELNS1_11target_archE1200ELNS1_3gpuE4ELNS1_3repE0EEENS1_30default_config_static_selectorELNS0_4arch9wavefront6targetE0EEEvT1_,comdat
.Lfunc_end350:
	.size	_ZN7rocprim17ROCPRIM_400000_NS6detail17trampoline_kernelINS0_14default_configENS1_27scan_by_key_config_selectorIssEEZZNS1_16scan_by_key_implILNS1_25lookback_scan_determinismE0ELb0ES3_N6thrust23THRUST_200600_302600_NS6detail15normal_iteratorINS9_10device_ptrIsEEEESE_SE_sNS9_4plusIvEENS9_8equal_toIsEEsEE10hipError_tPvRmT2_T3_T4_T5_mT6_T7_P12ihipStream_tbENKUlT_T0_E_clISt17integral_constantIbLb0EESY_IbLb1EEEEDaSU_SV_EUlSU_E_NS1_11comp_targetILNS1_3genE10ELNS1_11target_archE1200ELNS1_3gpuE4ELNS1_3repE0EEENS1_30default_config_static_selectorELNS0_4arch9wavefront6targetE0EEEvT1_, .Lfunc_end350-_ZN7rocprim17ROCPRIM_400000_NS6detail17trampoline_kernelINS0_14default_configENS1_27scan_by_key_config_selectorIssEEZZNS1_16scan_by_key_implILNS1_25lookback_scan_determinismE0ELb0ES3_N6thrust23THRUST_200600_302600_NS6detail15normal_iteratorINS9_10device_ptrIsEEEESE_SE_sNS9_4plusIvEENS9_8equal_toIsEEsEE10hipError_tPvRmT2_T3_T4_T5_mT6_T7_P12ihipStream_tbENKUlT_T0_E_clISt17integral_constantIbLb0EESY_IbLb1EEEEDaSU_SV_EUlSU_E_NS1_11comp_targetILNS1_3genE10ELNS1_11target_archE1200ELNS1_3gpuE4ELNS1_3repE0EEENS1_30default_config_static_selectorELNS0_4arch9wavefront6targetE0EEEvT1_
                                        ; -- End function
	.set _ZN7rocprim17ROCPRIM_400000_NS6detail17trampoline_kernelINS0_14default_configENS1_27scan_by_key_config_selectorIssEEZZNS1_16scan_by_key_implILNS1_25lookback_scan_determinismE0ELb0ES3_N6thrust23THRUST_200600_302600_NS6detail15normal_iteratorINS9_10device_ptrIsEEEESE_SE_sNS9_4plusIvEENS9_8equal_toIsEEsEE10hipError_tPvRmT2_T3_T4_T5_mT6_T7_P12ihipStream_tbENKUlT_T0_E_clISt17integral_constantIbLb0EESY_IbLb1EEEEDaSU_SV_EUlSU_E_NS1_11comp_targetILNS1_3genE10ELNS1_11target_archE1200ELNS1_3gpuE4ELNS1_3repE0EEENS1_30default_config_static_selectorELNS0_4arch9wavefront6targetE0EEEvT1_.num_vgpr, 0
	.set _ZN7rocprim17ROCPRIM_400000_NS6detail17trampoline_kernelINS0_14default_configENS1_27scan_by_key_config_selectorIssEEZZNS1_16scan_by_key_implILNS1_25lookback_scan_determinismE0ELb0ES3_N6thrust23THRUST_200600_302600_NS6detail15normal_iteratorINS9_10device_ptrIsEEEESE_SE_sNS9_4plusIvEENS9_8equal_toIsEEsEE10hipError_tPvRmT2_T3_T4_T5_mT6_T7_P12ihipStream_tbENKUlT_T0_E_clISt17integral_constantIbLb0EESY_IbLb1EEEEDaSU_SV_EUlSU_E_NS1_11comp_targetILNS1_3genE10ELNS1_11target_archE1200ELNS1_3gpuE4ELNS1_3repE0EEENS1_30default_config_static_selectorELNS0_4arch9wavefront6targetE0EEEvT1_.num_agpr, 0
	.set _ZN7rocprim17ROCPRIM_400000_NS6detail17trampoline_kernelINS0_14default_configENS1_27scan_by_key_config_selectorIssEEZZNS1_16scan_by_key_implILNS1_25lookback_scan_determinismE0ELb0ES3_N6thrust23THRUST_200600_302600_NS6detail15normal_iteratorINS9_10device_ptrIsEEEESE_SE_sNS9_4plusIvEENS9_8equal_toIsEEsEE10hipError_tPvRmT2_T3_T4_T5_mT6_T7_P12ihipStream_tbENKUlT_T0_E_clISt17integral_constantIbLb0EESY_IbLb1EEEEDaSU_SV_EUlSU_E_NS1_11comp_targetILNS1_3genE10ELNS1_11target_archE1200ELNS1_3gpuE4ELNS1_3repE0EEENS1_30default_config_static_selectorELNS0_4arch9wavefront6targetE0EEEvT1_.numbered_sgpr, 0
	.set _ZN7rocprim17ROCPRIM_400000_NS6detail17trampoline_kernelINS0_14default_configENS1_27scan_by_key_config_selectorIssEEZZNS1_16scan_by_key_implILNS1_25lookback_scan_determinismE0ELb0ES3_N6thrust23THRUST_200600_302600_NS6detail15normal_iteratorINS9_10device_ptrIsEEEESE_SE_sNS9_4plusIvEENS9_8equal_toIsEEsEE10hipError_tPvRmT2_T3_T4_T5_mT6_T7_P12ihipStream_tbENKUlT_T0_E_clISt17integral_constantIbLb0EESY_IbLb1EEEEDaSU_SV_EUlSU_E_NS1_11comp_targetILNS1_3genE10ELNS1_11target_archE1200ELNS1_3gpuE4ELNS1_3repE0EEENS1_30default_config_static_selectorELNS0_4arch9wavefront6targetE0EEEvT1_.num_named_barrier, 0
	.set _ZN7rocprim17ROCPRIM_400000_NS6detail17trampoline_kernelINS0_14default_configENS1_27scan_by_key_config_selectorIssEEZZNS1_16scan_by_key_implILNS1_25lookback_scan_determinismE0ELb0ES3_N6thrust23THRUST_200600_302600_NS6detail15normal_iteratorINS9_10device_ptrIsEEEESE_SE_sNS9_4plusIvEENS9_8equal_toIsEEsEE10hipError_tPvRmT2_T3_T4_T5_mT6_T7_P12ihipStream_tbENKUlT_T0_E_clISt17integral_constantIbLb0EESY_IbLb1EEEEDaSU_SV_EUlSU_E_NS1_11comp_targetILNS1_3genE10ELNS1_11target_archE1200ELNS1_3gpuE4ELNS1_3repE0EEENS1_30default_config_static_selectorELNS0_4arch9wavefront6targetE0EEEvT1_.private_seg_size, 0
	.set _ZN7rocprim17ROCPRIM_400000_NS6detail17trampoline_kernelINS0_14default_configENS1_27scan_by_key_config_selectorIssEEZZNS1_16scan_by_key_implILNS1_25lookback_scan_determinismE0ELb0ES3_N6thrust23THRUST_200600_302600_NS6detail15normal_iteratorINS9_10device_ptrIsEEEESE_SE_sNS9_4plusIvEENS9_8equal_toIsEEsEE10hipError_tPvRmT2_T3_T4_T5_mT6_T7_P12ihipStream_tbENKUlT_T0_E_clISt17integral_constantIbLb0EESY_IbLb1EEEEDaSU_SV_EUlSU_E_NS1_11comp_targetILNS1_3genE10ELNS1_11target_archE1200ELNS1_3gpuE4ELNS1_3repE0EEENS1_30default_config_static_selectorELNS0_4arch9wavefront6targetE0EEEvT1_.uses_vcc, 0
	.set _ZN7rocprim17ROCPRIM_400000_NS6detail17trampoline_kernelINS0_14default_configENS1_27scan_by_key_config_selectorIssEEZZNS1_16scan_by_key_implILNS1_25lookback_scan_determinismE0ELb0ES3_N6thrust23THRUST_200600_302600_NS6detail15normal_iteratorINS9_10device_ptrIsEEEESE_SE_sNS9_4plusIvEENS9_8equal_toIsEEsEE10hipError_tPvRmT2_T3_T4_T5_mT6_T7_P12ihipStream_tbENKUlT_T0_E_clISt17integral_constantIbLb0EESY_IbLb1EEEEDaSU_SV_EUlSU_E_NS1_11comp_targetILNS1_3genE10ELNS1_11target_archE1200ELNS1_3gpuE4ELNS1_3repE0EEENS1_30default_config_static_selectorELNS0_4arch9wavefront6targetE0EEEvT1_.uses_flat_scratch, 0
	.set _ZN7rocprim17ROCPRIM_400000_NS6detail17trampoline_kernelINS0_14default_configENS1_27scan_by_key_config_selectorIssEEZZNS1_16scan_by_key_implILNS1_25lookback_scan_determinismE0ELb0ES3_N6thrust23THRUST_200600_302600_NS6detail15normal_iteratorINS9_10device_ptrIsEEEESE_SE_sNS9_4plusIvEENS9_8equal_toIsEEsEE10hipError_tPvRmT2_T3_T4_T5_mT6_T7_P12ihipStream_tbENKUlT_T0_E_clISt17integral_constantIbLb0EESY_IbLb1EEEEDaSU_SV_EUlSU_E_NS1_11comp_targetILNS1_3genE10ELNS1_11target_archE1200ELNS1_3gpuE4ELNS1_3repE0EEENS1_30default_config_static_selectorELNS0_4arch9wavefront6targetE0EEEvT1_.has_dyn_sized_stack, 0
	.set _ZN7rocprim17ROCPRIM_400000_NS6detail17trampoline_kernelINS0_14default_configENS1_27scan_by_key_config_selectorIssEEZZNS1_16scan_by_key_implILNS1_25lookback_scan_determinismE0ELb0ES3_N6thrust23THRUST_200600_302600_NS6detail15normal_iteratorINS9_10device_ptrIsEEEESE_SE_sNS9_4plusIvEENS9_8equal_toIsEEsEE10hipError_tPvRmT2_T3_T4_T5_mT6_T7_P12ihipStream_tbENKUlT_T0_E_clISt17integral_constantIbLb0EESY_IbLb1EEEEDaSU_SV_EUlSU_E_NS1_11comp_targetILNS1_3genE10ELNS1_11target_archE1200ELNS1_3gpuE4ELNS1_3repE0EEENS1_30default_config_static_selectorELNS0_4arch9wavefront6targetE0EEEvT1_.has_recursion, 0
	.set _ZN7rocprim17ROCPRIM_400000_NS6detail17trampoline_kernelINS0_14default_configENS1_27scan_by_key_config_selectorIssEEZZNS1_16scan_by_key_implILNS1_25lookback_scan_determinismE0ELb0ES3_N6thrust23THRUST_200600_302600_NS6detail15normal_iteratorINS9_10device_ptrIsEEEESE_SE_sNS9_4plusIvEENS9_8equal_toIsEEsEE10hipError_tPvRmT2_T3_T4_T5_mT6_T7_P12ihipStream_tbENKUlT_T0_E_clISt17integral_constantIbLb0EESY_IbLb1EEEEDaSU_SV_EUlSU_E_NS1_11comp_targetILNS1_3genE10ELNS1_11target_archE1200ELNS1_3gpuE4ELNS1_3repE0EEENS1_30default_config_static_selectorELNS0_4arch9wavefront6targetE0EEEvT1_.has_indirect_call, 0
	.section	.AMDGPU.csdata,"",@progbits
; Kernel info:
; codeLenInByte = 0
; TotalNumSgprs: 0
; NumVgprs: 0
; ScratchSize: 0
; MemoryBound: 0
; FloatMode: 240
; IeeeMode: 1
; LDSByteSize: 0 bytes/workgroup (compile time only)
; SGPRBlocks: 0
; VGPRBlocks: 0
; NumSGPRsForWavesPerEU: 1
; NumVGPRsForWavesPerEU: 1
; NamedBarCnt: 0
; Occupancy: 16
; WaveLimiterHint : 0
; COMPUTE_PGM_RSRC2:SCRATCH_EN: 0
; COMPUTE_PGM_RSRC2:USER_SGPR: 2
; COMPUTE_PGM_RSRC2:TRAP_HANDLER: 0
; COMPUTE_PGM_RSRC2:TGID_X_EN: 1
; COMPUTE_PGM_RSRC2:TGID_Y_EN: 0
; COMPUTE_PGM_RSRC2:TGID_Z_EN: 0
; COMPUTE_PGM_RSRC2:TIDIG_COMP_CNT: 0
	.section	.text._ZN7rocprim17ROCPRIM_400000_NS6detail17trampoline_kernelINS0_14default_configENS1_27scan_by_key_config_selectorIssEEZZNS1_16scan_by_key_implILNS1_25lookback_scan_determinismE0ELb0ES3_N6thrust23THRUST_200600_302600_NS6detail15normal_iteratorINS9_10device_ptrIsEEEESE_SE_sNS9_4plusIvEENS9_8equal_toIsEEsEE10hipError_tPvRmT2_T3_T4_T5_mT6_T7_P12ihipStream_tbENKUlT_T0_E_clISt17integral_constantIbLb0EESY_IbLb1EEEEDaSU_SV_EUlSU_E_NS1_11comp_targetILNS1_3genE9ELNS1_11target_archE1100ELNS1_3gpuE3ELNS1_3repE0EEENS1_30default_config_static_selectorELNS0_4arch9wavefront6targetE0EEEvT1_,"axG",@progbits,_ZN7rocprim17ROCPRIM_400000_NS6detail17trampoline_kernelINS0_14default_configENS1_27scan_by_key_config_selectorIssEEZZNS1_16scan_by_key_implILNS1_25lookback_scan_determinismE0ELb0ES3_N6thrust23THRUST_200600_302600_NS6detail15normal_iteratorINS9_10device_ptrIsEEEESE_SE_sNS9_4plusIvEENS9_8equal_toIsEEsEE10hipError_tPvRmT2_T3_T4_T5_mT6_T7_P12ihipStream_tbENKUlT_T0_E_clISt17integral_constantIbLb0EESY_IbLb1EEEEDaSU_SV_EUlSU_E_NS1_11comp_targetILNS1_3genE9ELNS1_11target_archE1100ELNS1_3gpuE3ELNS1_3repE0EEENS1_30default_config_static_selectorELNS0_4arch9wavefront6targetE0EEEvT1_,comdat
	.protected	_ZN7rocprim17ROCPRIM_400000_NS6detail17trampoline_kernelINS0_14default_configENS1_27scan_by_key_config_selectorIssEEZZNS1_16scan_by_key_implILNS1_25lookback_scan_determinismE0ELb0ES3_N6thrust23THRUST_200600_302600_NS6detail15normal_iteratorINS9_10device_ptrIsEEEESE_SE_sNS9_4plusIvEENS9_8equal_toIsEEsEE10hipError_tPvRmT2_T3_T4_T5_mT6_T7_P12ihipStream_tbENKUlT_T0_E_clISt17integral_constantIbLb0EESY_IbLb1EEEEDaSU_SV_EUlSU_E_NS1_11comp_targetILNS1_3genE9ELNS1_11target_archE1100ELNS1_3gpuE3ELNS1_3repE0EEENS1_30default_config_static_selectorELNS0_4arch9wavefront6targetE0EEEvT1_ ; -- Begin function _ZN7rocprim17ROCPRIM_400000_NS6detail17trampoline_kernelINS0_14default_configENS1_27scan_by_key_config_selectorIssEEZZNS1_16scan_by_key_implILNS1_25lookback_scan_determinismE0ELb0ES3_N6thrust23THRUST_200600_302600_NS6detail15normal_iteratorINS9_10device_ptrIsEEEESE_SE_sNS9_4plusIvEENS9_8equal_toIsEEsEE10hipError_tPvRmT2_T3_T4_T5_mT6_T7_P12ihipStream_tbENKUlT_T0_E_clISt17integral_constantIbLb0EESY_IbLb1EEEEDaSU_SV_EUlSU_E_NS1_11comp_targetILNS1_3genE9ELNS1_11target_archE1100ELNS1_3gpuE3ELNS1_3repE0EEENS1_30default_config_static_selectorELNS0_4arch9wavefront6targetE0EEEvT1_
	.globl	_ZN7rocprim17ROCPRIM_400000_NS6detail17trampoline_kernelINS0_14default_configENS1_27scan_by_key_config_selectorIssEEZZNS1_16scan_by_key_implILNS1_25lookback_scan_determinismE0ELb0ES3_N6thrust23THRUST_200600_302600_NS6detail15normal_iteratorINS9_10device_ptrIsEEEESE_SE_sNS9_4plusIvEENS9_8equal_toIsEEsEE10hipError_tPvRmT2_T3_T4_T5_mT6_T7_P12ihipStream_tbENKUlT_T0_E_clISt17integral_constantIbLb0EESY_IbLb1EEEEDaSU_SV_EUlSU_E_NS1_11comp_targetILNS1_3genE9ELNS1_11target_archE1100ELNS1_3gpuE3ELNS1_3repE0EEENS1_30default_config_static_selectorELNS0_4arch9wavefront6targetE0EEEvT1_
	.p2align	8
	.type	_ZN7rocprim17ROCPRIM_400000_NS6detail17trampoline_kernelINS0_14default_configENS1_27scan_by_key_config_selectorIssEEZZNS1_16scan_by_key_implILNS1_25lookback_scan_determinismE0ELb0ES3_N6thrust23THRUST_200600_302600_NS6detail15normal_iteratorINS9_10device_ptrIsEEEESE_SE_sNS9_4plusIvEENS9_8equal_toIsEEsEE10hipError_tPvRmT2_T3_T4_T5_mT6_T7_P12ihipStream_tbENKUlT_T0_E_clISt17integral_constantIbLb0EESY_IbLb1EEEEDaSU_SV_EUlSU_E_NS1_11comp_targetILNS1_3genE9ELNS1_11target_archE1100ELNS1_3gpuE3ELNS1_3repE0EEENS1_30default_config_static_selectorELNS0_4arch9wavefront6targetE0EEEvT1_,@function
_ZN7rocprim17ROCPRIM_400000_NS6detail17trampoline_kernelINS0_14default_configENS1_27scan_by_key_config_selectorIssEEZZNS1_16scan_by_key_implILNS1_25lookback_scan_determinismE0ELb0ES3_N6thrust23THRUST_200600_302600_NS6detail15normal_iteratorINS9_10device_ptrIsEEEESE_SE_sNS9_4plusIvEENS9_8equal_toIsEEsEE10hipError_tPvRmT2_T3_T4_T5_mT6_T7_P12ihipStream_tbENKUlT_T0_E_clISt17integral_constantIbLb0EESY_IbLb1EEEEDaSU_SV_EUlSU_E_NS1_11comp_targetILNS1_3genE9ELNS1_11target_archE1100ELNS1_3gpuE3ELNS1_3repE0EEENS1_30default_config_static_selectorELNS0_4arch9wavefront6targetE0EEEvT1_: ; @_ZN7rocprim17ROCPRIM_400000_NS6detail17trampoline_kernelINS0_14default_configENS1_27scan_by_key_config_selectorIssEEZZNS1_16scan_by_key_implILNS1_25lookback_scan_determinismE0ELb0ES3_N6thrust23THRUST_200600_302600_NS6detail15normal_iteratorINS9_10device_ptrIsEEEESE_SE_sNS9_4plusIvEENS9_8equal_toIsEEsEE10hipError_tPvRmT2_T3_T4_T5_mT6_T7_P12ihipStream_tbENKUlT_T0_E_clISt17integral_constantIbLb0EESY_IbLb1EEEEDaSU_SV_EUlSU_E_NS1_11comp_targetILNS1_3genE9ELNS1_11target_archE1100ELNS1_3gpuE3ELNS1_3repE0EEENS1_30default_config_static_selectorELNS0_4arch9wavefront6targetE0EEEvT1_
; %bb.0:
	.section	.rodata,"a",@progbits
	.p2align	6, 0x0
	.amdhsa_kernel _ZN7rocprim17ROCPRIM_400000_NS6detail17trampoline_kernelINS0_14default_configENS1_27scan_by_key_config_selectorIssEEZZNS1_16scan_by_key_implILNS1_25lookback_scan_determinismE0ELb0ES3_N6thrust23THRUST_200600_302600_NS6detail15normal_iteratorINS9_10device_ptrIsEEEESE_SE_sNS9_4plusIvEENS9_8equal_toIsEEsEE10hipError_tPvRmT2_T3_T4_T5_mT6_T7_P12ihipStream_tbENKUlT_T0_E_clISt17integral_constantIbLb0EESY_IbLb1EEEEDaSU_SV_EUlSU_E_NS1_11comp_targetILNS1_3genE9ELNS1_11target_archE1100ELNS1_3gpuE3ELNS1_3repE0EEENS1_30default_config_static_selectorELNS0_4arch9wavefront6targetE0EEEvT1_
		.amdhsa_group_segment_fixed_size 0
		.amdhsa_private_segment_fixed_size 0
		.amdhsa_kernarg_size 112
		.amdhsa_user_sgpr_count 2
		.amdhsa_user_sgpr_dispatch_ptr 0
		.amdhsa_user_sgpr_queue_ptr 0
		.amdhsa_user_sgpr_kernarg_segment_ptr 1
		.amdhsa_user_sgpr_dispatch_id 0
		.amdhsa_user_sgpr_kernarg_preload_length 0
		.amdhsa_user_sgpr_kernarg_preload_offset 0
		.amdhsa_user_sgpr_private_segment_size 0
		.amdhsa_wavefront_size32 1
		.amdhsa_uses_dynamic_stack 0
		.amdhsa_enable_private_segment 0
		.amdhsa_system_sgpr_workgroup_id_x 1
		.amdhsa_system_sgpr_workgroup_id_y 0
		.amdhsa_system_sgpr_workgroup_id_z 0
		.amdhsa_system_sgpr_workgroup_info 0
		.amdhsa_system_vgpr_workitem_id 0
		.amdhsa_next_free_vgpr 1
		.amdhsa_next_free_sgpr 1
		.amdhsa_named_barrier_count 0
		.amdhsa_reserve_vcc 0
		.amdhsa_float_round_mode_32 0
		.amdhsa_float_round_mode_16_64 0
		.amdhsa_float_denorm_mode_32 3
		.amdhsa_float_denorm_mode_16_64 3
		.amdhsa_fp16_overflow 0
		.amdhsa_memory_ordered 1
		.amdhsa_forward_progress 1
		.amdhsa_inst_pref_size 0
		.amdhsa_round_robin_scheduling 0
		.amdhsa_exception_fp_ieee_invalid_op 0
		.amdhsa_exception_fp_denorm_src 0
		.amdhsa_exception_fp_ieee_div_zero 0
		.amdhsa_exception_fp_ieee_overflow 0
		.amdhsa_exception_fp_ieee_underflow 0
		.amdhsa_exception_fp_ieee_inexact 0
		.amdhsa_exception_int_div_zero 0
	.end_amdhsa_kernel
	.section	.text._ZN7rocprim17ROCPRIM_400000_NS6detail17trampoline_kernelINS0_14default_configENS1_27scan_by_key_config_selectorIssEEZZNS1_16scan_by_key_implILNS1_25lookback_scan_determinismE0ELb0ES3_N6thrust23THRUST_200600_302600_NS6detail15normal_iteratorINS9_10device_ptrIsEEEESE_SE_sNS9_4plusIvEENS9_8equal_toIsEEsEE10hipError_tPvRmT2_T3_T4_T5_mT6_T7_P12ihipStream_tbENKUlT_T0_E_clISt17integral_constantIbLb0EESY_IbLb1EEEEDaSU_SV_EUlSU_E_NS1_11comp_targetILNS1_3genE9ELNS1_11target_archE1100ELNS1_3gpuE3ELNS1_3repE0EEENS1_30default_config_static_selectorELNS0_4arch9wavefront6targetE0EEEvT1_,"axG",@progbits,_ZN7rocprim17ROCPRIM_400000_NS6detail17trampoline_kernelINS0_14default_configENS1_27scan_by_key_config_selectorIssEEZZNS1_16scan_by_key_implILNS1_25lookback_scan_determinismE0ELb0ES3_N6thrust23THRUST_200600_302600_NS6detail15normal_iteratorINS9_10device_ptrIsEEEESE_SE_sNS9_4plusIvEENS9_8equal_toIsEEsEE10hipError_tPvRmT2_T3_T4_T5_mT6_T7_P12ihipStream_tbENKUlT_T0_E_clISt17integral_constantIbLb0EESY_IbLb1EEEEDaSU_SV_EUlSU_E_NS1_11comp_targetILNS1_3genE9ELNS1_11target_archE1100ELNS1_3gpuE3ELNS1_3repE0EEENS1_30default_config_static_selectorELNS0_4arch9wavefront6targetE0EEEvT1_,comdat
.Lfunc_end351:
	.size	_ZN7rocprim17ROCPRIM_400000_NS6detail17trampoline_kernelINS0_14default_configENS1_27scan_by_key_config_selectorIssEEZZNS1_16scan_by_key_implILNS1_25lookback_scan_determinismE0ELb0ES3_N6thrust23THRUST_200600_302600_NS6detail15normal_iteratorINS9_10device_ptrIsEEEESE_SE_sNS9_4plusIvEENS9_8equal_toIsEEsEE10hipError_tPvRmT2_T3_T4_T5_mT6_T7_P12ihipStream_tbENKUlT_T0_E_clISt17integral_constantIbLb0EESY_IbLb1EEEEDaSU_SV_EUlSU_E_NS1_11comp_targetILNS1_3genE9ELNS1_11target_archE1100ELNS1_3gpuE3ELNS1_3repE0EEENS1_30default_config_static_selectorELNS0_4arch9wavefront6targetE0EEEvT1_, .Lfunc_end351-_ZN7rocprim17ROCPRIM_400000_NS6detail17trampoline_kernelINS0_14default_configENS1_27scan_by_key_config_selectorIssEEZZNS1_16scan_by_key_implILNS1_25lookback_scan_determinismE0ELb0ES3_N6thrust23THRUST_200600_302600_NS6detail15normal_iteratorINS9_10device_ptrIsEEEESE_SE_sNS9_4plusIvEENS9_8equal_toIsEEsEE10hipError_tPvRmT2_T3_T4_T5_mT6_T7_P12ihipStream_tbENKUlT_T0_E_clISt17integral_constantIbLb0EESY_IbLb1EEEEDaSU_SV_EUlSU_E_NS1_11comp_targetILNS1_3genE9ELNS1_11target_archE1100ELNS1_3gpuE3ELNS1_3repE0EEENS1_30default_config_static_selectorELNS0_4arch9wavefront6targetE0EEEvT1_
                                        ; -- End function
	.set _ZN7rocprim17ROCPRIM_400000_NS6detail17trampoline_kernelINS0_14default_configENS1_27scan_by_key_config_selectorIssEEZZNS1_16scan_by_key_implILNS1_25lookback_scan_determinismE0ELb0ES3_N6thrust23THRUST_200600_302600_NS6detail15normal_iteratorINS9_10device_ptrIsEEEESE_SE_sNS9_4plusIvEENS9_8equal_toIsEEsEE10hipError_tPvRmT2_T3_T4_T5_mT6_T7_P12ihipStream_tbENKUlT_T0_E_clISt17integral_constantIbLb0EESY_IbLb1EEEEDaSU_SV_EUlSU_E_NS1_11comp_targetILNS1_3genE9ELNS1_11target_archE1100ELNS1_3gpuE3ELNS1_3repE0EEENS1_30default_config_static_selectorELNS0_4arch9wavefront6targetE0EEEvT1_.num_vgpr, 0
	.set _ZN7rocprim17ROCPRIM_400000_NS6detail17trampoline_kernelINS0_14default_configENS1_27scan_by_key_config_selectorIssEEZZNS1_16scan_by_key_implILNS1_25lookback_scan_determinismE0ELb0ES3_N6thrust23THRUST_200600_302600_NS6detail15normal_iteratorINS9_10device_ptrIsEEEESE_SE_sNS9_4plusIvEENS9_8equal_toIsEEsEE10hipError_tPvRmT2_T3_T4_T5_mT6_T7_P12ihipStream_tbENKUlT_T0_E_clISt17integral_constantIbLb0EESY_IbLb1EEEEDaSU_SV_EUlSU_E_NS1_11comp_targetILNS1_3genE9ELNS1_11target_archE1100ELNS1_3gpuE3ELNS1_3repE0EEENS1_30default_config_static_selectorELNS0_4arch9wavefront6targetE0EEEvT1_.num_agpr, 0
	.set _ZN7rocprim17ROCPRIM_400000_NS6detail17trampoline_kernelINS0_14default_configENS1_27scan_by_key_config_selectorIssEEZZNS1_16scan_by_key_implILNS1_25lookback_scan_determinismE0ELb0ES3_N6thrust23THRUST_200600_302600_NS6detail15normal_iteratorINS9_10device_ptrIsEEEESE_SE_sNS9_4plusIvEENS9_8equal_toIsEEsEE10hipError_tPvRmT2_T3_T4_T5_mT6_T7_P12ihipStream_tbENKUlT_T0_E_clISt17integral_constantIbLb0EESY_IbLb1EEEEDaSU_SV_EUlSU_E_NS1_11comp_targetILNS1_3genE9ELNS1_11target_archE1100ELNS1_3gpuE3ELNS1_3repE0EEENS1_30default_config_static_selectorELNS0_4arch9wavefront6targetE0EEEvT1_.numbered_sgpr, 0
	.set _ZN7rocprim17ROCPRIM_400000_NS6detail17trampoline_kernelINS0_14default_configENS1_27scan_by_key_config_selectorIssEEZZNS1_16scan_by_key_implILNS1_25lookback_scan_determinismE0ELb0ES3_N6thrust23THRUST_200600_302600_NS6detail15normal_iteratorINS9_10device_ptrIsEEEESE_SE_sNS9_4plusIvEENS9_8equal_toIsEEsEE10hipError_tPvRmT2_T3_T4_T5_mT6_T7_P12ihipStream_tbENKUlT_T0_E_clISt17integral_constantIbLb0EESY_IbLb1EEEEDaSU_SV_EUlSU_E_NS1_11comp_targetILNS1_3genE9ELNS1_11target_archE1100ELNS1_3gpuE3ELNS1_3repE0EEENS1_30default_config_static_selectorELNS0_4arch9wavefront6targetE0EEEvT1_.num_named_barrier, 0
	.set _ZN7rocprim17ROCPRIM_400000_NS6detail17trampoline_kernelINS0_14default_configENS1_27scan_by_key_config_selectorIssEEZZNS1_16scan_by_key_implILNS1_25lookback_scan_determinismE0ELb0ES3_N6thrust23THRUST_200600_302600_NS6detail15normal_iteratorINS9_10device_ptrIsEEEESE_SE_sNS9_4plusIvEENS9_8equal_toIsEEsEE10hipError_tPvRmT2_T3_T4_T5_mT6_T7_P12ihipStream_tbENKUlT_T0_E_clISt17integral_constantIbLb0EESY_IbLb1EEEEDaSU_SV_EUlSU_E_NS1_11comp_targetILNS1_3genE9ELNS1_11target_archE1100ELNS1_3gpuE3ELNS1_3repE0EEENS1_30default_config_static_selectorELNS0_4arch9wavefront6targetE0EEEvT1_.private_seg_size, 0
	.set _ZN7rocprim17ROCPRIM_400000_NS6detail17trampoline_kernelINS0_14default_configENS1_27scan_by_key_config_selectorIssEEZZNS1_16scan_by_key_implILNS1_25lookback_scan_determinismE0ELb0ES3_N6thrust23THRUST_200600_302600_NS6detail15normal_iteratorINS9_10device_ptrIsEEEESE_SE_sNS9_4plusIvEENS9_8equal_toIsEEsEE10hipError_tPvRmT2_T3_T4_T5_mT6_T7_P12ihipStream_tbENKUlT_T0_E_clISt17integral_constantIbLb0EESY_IbLb1EEEEDaSU_SV_EUlSU_E_NS1_11comp_targetILNS1_3genE9ELNS1_11target_archE1100ELNS1_3gpuE3ELNS1_3repE0EEENS1_30default_config_static_selectorELNS0_4arch9wavefront6targetE0EEEvT1_.uses_vcc, 0
	.set _ZN7rocprim17ROCPRIM_400000_NS6detail17trampoline_kernelINS0_14default_configENS1_27scan_by_key_config_selectorIssEEZZNS1_16scan_by_key_implILNS1_25lookback_scan_determinismE0ELb0ES3_N6thrust23THRUST_200600_302600_NS6detail15normal_iteratorINS9_10device_ptrIsEEEESE_SE_sNS9_4plusIvEENS9_8equal_toIsEEsEE10hipError_tPvRmT2_T3_T4_T5_mT6_T7_P12ihipStream_tbENKUlT_T0_E_clISt17integral_constantIbLb0EESY_IbLb1EEEEDaSU_SV_EUlSU_E_NS1_11comp_targetILNS1_3genE9ELNS1_11target_archE1100ELNS1_3gpuE3ELNS1_3repE0EEENS1_30default_config_static_selectorELNS0_4arch9wavefront6targetE0EEEvT1_.uses_flat_scratch, 0
	.set _ZN7rocprim17ROCPRIM_400000_NS6detail17trampoline_kernelINS0_14default_configENS1_27scan_by_key_config_selectorIssEEZZNS1_16scan_by_key_implILNS1_25lookback_scan_determinismE0ELb0ES3_N6thrust23THRUST_200600_302600_NS6detail15normal_iteratorINS9_10device_ptrIsEEEESE_SE_sNS9_4plusIvEENS9_8equal_toIsEEsEE10hipError_tPvRmT2_T3_T4_T5_mT6_T7_P12ihipStream_tbENKUlT_T0_E_clISt17integral_constantIbLb0EESY_IbLb1EEEEDaSU_SV_EUlSU_E_NS1_11comp_targetILNS1_3genE9ELNS1_11target_archE1100ELNS1_3gpuE3ELNS1_3repE0EEENS1_30default_config_static_selectorELNS0_4arch9wavefront6targetE0EEEvT1_.has_dyn_sized_stack, 0
	.set _ZN7rocprim17ROCPRIM_400000_NS6detail17trampoline_kernelINS0_14default_configENS1_27scan_by_key_config_selectorIssEEZZNS1_16scan_by_key_implILNS1_25lookback_scan_determinismE0ELb0ES3_N6thrust23THRUST_200600_302600_NS6detail15normal_iteratorINS9_10device_ptrIsEEEESE_SE_sNS9_4plusIvEENS9_8equal_toIsEEsEE10hipError_tPvRmT2_T3_T4_T5_mT6_T7_P12ihipStream_tbENKUlT_T0_E_clISt17integral_constantIbLb0EESY_IbLb1EEEEDaSU_SV_EUlSU_E_NS1_11comp_targetILNS1_3genE9ELNS1_11target_archE1100ELNS1_3gpuE3ELNS1_3repE0EEENS1_30default_config_static_selectorELNS0_4arch9wavefront6targetE0EEEvT1_.has_recursion, 0
	.set _ZN7rocprim17ROCPRIM_400000_NS6detail17trampoline_kernelINS0_14default_configENS1_27scan_by_key_config_selectorIssEEZZNS1_16scan_by_key_implILNS1_25lookback_scan_determinismE0ELb0ES3_N6thrust23THRUST_200600_302600_NS6detail15normal_iteratorINS9_10device_ptrIsEEEESE_SE_sNS9_4plusIvEENS9_8equal_toIsEEsEE10hipError_tPvRmT2_T3_T4_T5_mT6_T7_P12ihipStream_tbENKUlT_T0_E_clISt17integral_constantIbLb0EESY_IbLb1EEEEDaSU_SV_EUlSU_E_NS1_11comp_targetILNS1_3genE9ELNS1_11target_archE1100ELNS1_3gpuE3ELNS1_3repE0EEENS1_30default_config_static_selectorELNS0_4arch9wavefront6targetE0EEEvT1_.has_indirect_call, 0
	.section	.AMDGPU.csdata,"",@progbits
; Kernel info:
; codeLenInByte = 0
; TotalNumSgprs: 0
; NumVgprs: 0
; ScratchSize: 0
; MemoryBound: 0
; FloatMode: 240
; IeeeMode: 1
; LDSByteSize: 0 bytes/workgroup (compile time only)
; SGPRBlocks: 0
; VGPRBlocks: 0
; NumSGPRsForWavesPerEU: 1
; NumVGPRsForWavesPerEU: 1
; NamedBarCnt: 0
; Occupancy: 16
; WaveLimiterHint : 0
; COMPUTE_PGM_RSRC2:SCRATCH_EN: 0
; COMPUTE_PGM_RSRC2:USER_SGPR: 2
; COMPUTE_PGM_RSRC2:TRAP_HANDLER: 0
; COMPUTE_PGM_RSRC2:TGID_X_EN: 1
; COMPUTE_PGM_RSRC2:TGID_Y_EN: 0
; COMPUTE_PGM_RSRC2:TGID_Z_EN: 0
; COMPUTE_PGM_RSRC2:TIDIG_COMP_CNT: 0
	.section	.text._ZN7rocprim17ROCPRIM_400000_NS6detail17trampoline_kernelINS0_14default_configENS1_27scan_by_key_config_selectorIssEEZZNS1_16scan_by_key_implILNS1_25lookback_scan_determinismE0ELb0ES3_N6thrust23THRUST_200600_302600_NS6detail15normal_iteratorINS9_10device_ptrIsEEEESE_SE_sNS9_4plusIvEENS9_8equal_toIsEEsEE10hipError_tPvRmT2_T3_T4_T5_mT6_T7_P12ihipStream_tbENKUlT_T0_E_clISt17integral_constantIbLb0EESY_IbLb1EEEEDaSU_SV_EUlSU_E_NS1_11comp_targetILNS1_3genE8ELNS1_11target_archE1030ELNS1_3gpuE2ELNS1_3repE0EEENS1_30default_config_static_selectorELNS0_4arch9wavefront6targetE0EEEvT1_,"axG",@progbits,_ZN7rocprim17ROCPRIM_400000_NS6detail17trampoline_kernelINS0_14default_configENS1_27scan_by_key_config_selectorIssEEZZNS1_16scan_by_key_implILNS1_25lookback_scan_determinismE0ELb0ES3_N6thrust23THRUST_200600_302600_NS6detail15normal_iteratorINS9_10device_ptrIsEEEESE_SE_sNS9_4plusIvEENS9_8equal_toIsEEsEE10hipError_tPvRmT2_T3_T4_T5_mT6_T7_P12ihipStream_tbENKUlT_T0_E_clISt17integral_constantIbLb0EESY_IbLb1EEEEDaSU_SV_EUlSU_E_NS1_11comp_targetILNS1_3genE8ELNS1_11target_archE1030ELNS1_3gpuE2ELNS1_3repE0EEENS1_30default_config_static_selectorELNS0_4arch9wavefront6targetE0EEEvT1_,comdat
	.protected	_ZN7rocprim17ROCPRIM_400000_NS6detail17trampoline_kernelINS0_14default_configENS1_27scan_by_key_config_selectorIssEEZZNS1_16scan_by_key_implILNS1_25lookback_scan_determinismE0ELb0ES3_N6thrust23THRUST_200600_302600_NS6detail15normal_iteratorINS9_10device_ptrIsEEEESE_SE_sNS9_4plusIvEENS9_8equal_toIsEEsEE10hipError_tPvRmT2_T3_T4_T5_mT6_T7_P12ihipStream_tbENKUlT_T0_E_clISt17integral_constantIbLb0EESY_IbLb1EEEEDaSU_SV_EUlSU_E_NS1_11comp_targetILNS1_3genE8ELNS1_11target_archE1030ELNS1_3gpuE2ELNS1_3repE0EEENS1_30default_config_static_selectorELNS0_4arch9wavefront6targetE0EEEvT1_ ; -- Begin function _ZN7rocprim17ROCPRIM_400000_NS6detail17trampoline_kernelINS0_14default_configENS1_27scan_by_key_config_selectorIssEEZZNS1_16scan_by_key_implILNS1_25lookback_scan_determinismE0ELb0ES3_N6thrust23THRUST_200600_302600_NS6detail15normal_iteratorINS9_10device_ptrIsEEEESE_SE_sNS9_4plusIvEENS9_8equal_toIsEEsEE10hipError_tPvRmT2_T3_T4_T5_mT6_T7_P12ihipStream_tbENKUlT_T0_E_clISt17integral_constantIbLb0EESY_IbLb1EEEEDaSU_SV_EUlSU_E_NS1_11comp_targetILNS1_3genE8ELNS1_11target_archE1030ELNS1_3gpuE2ELNS1_3repE0EEENS1_30default_config_static_selectorELNS0_4arch9wavefront6targetE0EEEvT1_
	.globl	_ZN7rocprim17ROCPRIM_400000_NS6detail17trampoline_kernelINS0_14default_configENS1_27scan_by_key_config_selectorIssEEZZNS1_16scan_by_key_implILNS1_25lookback_scan_determinismE0ELb0ES3_N6thrust23THRUST_200600_302600_NS6detail15normal_iteratorINS9_10device_ptrIsEEEESE_SE_sNS9_4plusIvEENS9_8equal_toIsEEsEE10hipError_tPvRmT2_T3_T4_T5_mT6_T7_P12ihipStream_tbENKUlT_T0_E_clISt17integral_constantIbLb0EESY_IbLb1EEEEDaSU_SV_EUlSU_E_NS1_11comp_targetILNS1_3genE8ELNS1_11target_archE1030ELNS1_3gpuE2ELNS1_3repE0EEENS1_30default_config_static_selectorELNS0_4arch9wavefront6targetE0EEEvT1_
	.p2align	8
	.type	_ZN7rocprim17ROCPRIM_400000_NS6detail17trampoline_kernelINS0_14default_configENS1_27scan_by_key_config_selectorIssEEZZNS1_16scan_by_key_implILNS1_25lookback_scan_determinismE0ELb0ES3_N6thrust23THRUST_200600_302600_NS6detail15normal_iteratorINS9_10device_ptrIsEEEESE_SE_sNS9_4plusIvEENS9_8equal_toIsEEsEE10hipError_tPvRmT2_T3_T4_T5_mT6_T7_P12ihipStream_tbENKUlT_T0_E_clISt17integral_constantIbLb0EESY_IbLb1EEEEDaSU_SV_EUlSU_E_NS1_11comp_targetILNS1_3genE8ELNS1_11target_archE1030ELNS1_3gpuE2ELNS1_3repE0EEENS1_30default_config_static_selectorELNS0_4arch9wavefront6targetE0EEEvT1_,@function
_ZN7rocprim17ROCPRIM_400000_NS6detail17trampoline_kernelINS0_14default_configENS1_27scan_by_key_config_selectorIssEEZZNS1_16scan_by_key_implILNS1_25lookback_scan_determinismE0ELb0ES3_N6thrust23THRUST_200600_302600_NS6detail15normal_iteratorINS9_10device_ptrIsEEEESE_SE_sNS9_4plusIvEENS9_8equal_toIsEEsEE10hipError_tPvRmT2_T3_T4_T5_mT6_T7_P12ihipStream_tbENKUlT_T0_E_clISt17integral_constantIbLb0EESY_IbLb1EEEEDaSU_SV_EUlSU_E_NS1_11comp_targetILNS1_3genE8ELNS1_11target_archE1030ELNS1_3gpuE2ELNS1_3repE0EEENS1_30default_config_static_selectorELNS0_4arch9wavefront6targetE0EEEvT1_: ; @_ZN7rocprim17ROCPRIM_400000_NS6detail17trampoline_kernelINS0_14default_configENS1_27scan_by_key_config_selectorIssEEZZNS1_16scan_by_key_implILNS1_25lookback_scan_determinismE0ELb0ES3_N6thrust23THRUST_200600_302600_NS6detail15normal_iteratorINS9_10device_ptrIsEEEESE_SE_sNS9_4plusIvEENS9_8equal_toIsEEsEE10hipError_tPvRmT2_T3_T4_T5_mT6_T7_P12ihipStream_tbENKUlT_T0_E_clISt17integral_constantIbLb0EESY_IbLb1EEEEDaSU_SV_EUlSU_E_NS1_11comp_targetILNS1_3genE8ELNS1_11target_archE1030ELNS1_3gpuE2ELNS1_3repE0EEENS1_30default_config_static_selectorELNS0_4arch9wavefront6targetE0EEEvT1_
; %bb.0:
	.section	.rodata,"a",@progbits
	.p2align	6, 0x0
	.amdhsa_kernel _ZN7rocprim17ROCPRIM_400000_NS6detail17trampoline_kernelINS0_14default_configENS1_27scan_by_key_config_selectorIssEEZZNS1_16scan_by_key_implILNS1_25lookback_scan_determinismE0ELb0ES3_N6thrust23THRUST_200600_302600_NS6detail15normal_iteratorINS9_10device_ptrIsEEEESE_SE_sNS9_4plusIvEENS9_8equal_toIsEEsEE10hipError_tPvRmT2_T3_T4_T5_mT6_T7_P12ihipStream_tbENKUlT_T0_E_clISt17integral_constantIbLb0EESY_IbLb1EEEEDaSU_SV_EUlSU_E_NS1_11comp_targetILNS1_3genE8ELNS1_11target_archE1030ELNS1_3gpuE2ELNS1_3repE0EEENS1_30default_config_static_selectorELNS0_4arch9wavefront6targetE0EEEvT1_
		.amdhsa_group_segment_fixed_size 0
		.amdhsa_private_segment_fixed_size 0
		.amdhsa_kernarg_size 112
		.amdhsa_user_sgpr_count 2
		.amdhsa_user_sgpr_dispatch_ptr 0
		.amdhsa_user_sgpr_queue_ptr 0
		.amdhsa_user_sgpr_kernarg_segment_ptr 1
		.amdhsa_user_sgpr_dispatch_id 0
		.amdhsa_user_sgpr_kernarg_preload_length 0
		.amdhsa_user_sgpr_kernarg_preload_offset 0
		.amdhsa_user_sgpr_private_segment_size 0
		.amdhsa_wavefront_size32 1
		.amdhsa_uses_dynamic_stack 0
		.amdhsa_enable_private_segment 0
		.amdhsa_system_sgpr_workgroup_id_x 1
		.amdhsa_system_sgpr_workgroup_id_y 0
		.amdhsa_system_sgpr_workgroup_id_z 0
		.amdhsa_system_sgpr_workgroup_info 0
		.amdhsa_system_vgpr_workitem_id 0
		.amdhsa_next_free_vgpr 1
		.amdhsa_next_free_sgpr 1
		.amdhsa_named_barrier_count 0
		.amdhsa_reserve_vcc 0
		.amdhsa_float_round_mode_32 0
		.amdhsa_float_round_mode_16_64 0
		.amdhsa_float_denorm_mode_32 3
		.amdhsa_float_denorm_mode_16_64 3
		.amdhsa_fp16_overflow 0
		.amdhsa_memory_ordered 1
		.amdhsa_forward_progress 1
		.amdhsa_inst_pref_size 0
		.amdhsa_round_robin_scheduling 0
		.amdhsa_exception_fp_ieee_invalid_op 0
		.amdhsa_exception_fp_denorm_src 0
		.amdhsa_exception_fp_ieee_div_zero 0
		.amdhsa_exception_fp_ieee_overflow 0
		.amdhsa_exception_fp_ieee_underflow 0
		.amdhsa_exception_fp_ieee_inexact 0
		.amdhsa_exception_int_div_zero 0
	.end_amdhsa_kernel
	.section	.text._ZN7rocprim17ROCPRIM_400000_NS6detail17trampoline_kernelINS0_14default_configENS1_27scan_by_key_config_selectorIssEEZZNS1_16scan_by_key_implILNS1_25lookback_scan_determinismE0ELb0ES3_N6thrust23THRUST_200600_302600_NS6detail15normal_iteratorINS9_10device_ptrIsEEEESE_SE_sNS9_4plusIvEENS9_8equal_toIsEEsEE10hipError_tPvRmT2_T3_T4_T5_mT6_T7_P12ihipStream_tbENKUlT_T0_E_clISt17integral_constantIbLb0EESY_IbLb1EEEEDaSU_SV_EUlSU_E_NS1_11comp_targetILNS1_3genE8ELNS1_11target_archE1030ELNS1_3gpuE2ELNS1_3repE0EEENS1_30default_config_static_selectorELNS0_4arch9wavefront6targetE0EEEvT1_,"axG",@progbits,_ZN7rocprim17ROCPRIM_400000_NS6detail17trampoline_kernelINS0_14default_configENS1_27scan_by_key_config_selectorIssEEZZNS1_16scan_by_key_implILNS1_25lookback_scan_determinismE0ELb0ES3_N6thrust23THRUST_200600_302600_NS6detail15normal_iteratorINS9_10device_ptrIsEEEESE_SE_sNS9_4plusIvEENS9_8equal_toIsEEsEE10hipError_tPvRmT2_T3_T4_T5_mT6_T7_P12ihipStream_tbENKUlT_T0_E_clISt17integral_constantIbLb0EESY_IbLb1EEEEDaSU_SV_EUlSU_E_NS1_11comp_targetILNS1_3genE8ELNS1_11target_archE1030ELNS1_3gpuE2ELNS1_3repE0EEENS1_30default_config_static_selectorELNS0_4arch9wavefront6targetE0EEEvT1_,comdat
.Lfunc_end352:
	.size	_ZN7rocprim17ROCPRIM_400000_NS6detail17trampoline_kernelINS0_14default_configENS1_27scan_by_key_config_selectorIssEEZZNS1_16scan_by_key_implILNS1_25lookback_scan_determinismE0ELb0ES3_N6thrust23THRUST_200600_302600_NS6detail15normal_iteratorINS9_10device_ptrIsEEEESE_SE_sNS9_4plusIvEENS9_8equal_toIsEEsEE10hipError_tPvRmT2_T3_T4_T5_mT6_T7_P12ihipStream_tbENKUlT_T0_E_clISt17integral_constantIbLb0EESY_IbLb1EEEEDaSU_SV_EUlSU_E_NS1_11comp_targetILNS1_3genE8ELNS1_11target_archE1030ELNS1_3gpuE2ELNS1_3repE0EEENS1_30default_config_static_selectorELNS0_4arch9wavefront6targetE0EEEvT1_, .Lfunc_end352-_ZN7rocprim17ROCPRIM_400000_NS6detail17trampoline_kernelINS0_14default_configENS1_27scan_by_key_config_selectorIssEEZZNS1_16scan_by_key_implILNS1_25lookback_scan_determinismE0ELb0ES3_N6thrust23THRUST_200600_302600_NS6detail15normal_iteratorINS9_10device_ptrIsEEEESE_SE_sNS9_4plusIvEENS9_8equal_toIsEEsEE10hipError_tPvRmT2_T3_T4_T5_mT6_T7_P12ihipStream_tbENKUlT_T0_E_clISt17integral_constantIbLb0EESY_IbLb1EEEEDaSU_SV_EUlSU_E_NS1_11comp_targetILNS1_3genE8ELNS1_11target_archE1030ELNS1_3gpuE2ELNS1_3repE0EEENS1_30default_config_static_selectorELNS0_4arch9wavefront6targetE0EEEvT1_
                                        ; -- End function
	.set _ZN7rocprim17ROCPRIM_400000_NS6detail17trampoline_kernelINS0_14default_configENS1_27scan_by_key_config_selectorIssEEZZNS1_16scan_by_key_implILNS1_25lookback_scan_determinismE0ELb0ES3_N6thrust23THRUST_200600_302600_NS6detail15normal_iteratorINS9_10device_ptrIsEEEESE_SE_sNS9_4plusIvEENS9_8equal_toIsEEsEE10hipError_tPvRmT2_T3_T4_T5_mT6_T7_P12ihipStream_tbENKUlT_T0_E_clISt17integral_constantIbLb0EESY_IbLb1EEEEDaSU_SV_EUlSU_E_NS1_11comp_targetILNS1_3genE8ELNS1_11target_archE1030ELNS1_3gpuE2ELNS1_3repE0EEENS1_30default_config_static_selectorELNS0_4arch9wavefront6targetE0EEEvT1_.num_vgpr, 0
	.set _ZN7rocprim17ROCPRIM_400000_NS6detail17trampoline_kernelINS0_14default_configENS1_27scan_by_key_config_selectorIssEEZZNS1_16scan_by_key_implILNS1_25lookback_scan_determinismE0ELb0ES3_N6thrust23THRUST_200600_302600_NS6detail15normal_iteratorINS9_10device_ptrIsEEEESE_SE_sNS9_4plusIvEENS9_8equal_toIsEEsEE10hipError_tPvRmT2_T3_T4_T5_mT6_T7_P12ihipStream_tbENKUlT_T0_E_clISt17integral_constantIbLb0EESY_IbLb1EEEEDaSU_SV_EUlSU_E_NS1_11comp_targetILNS1_3genE8ELNS1_11target_archE1030ELNS1_3gpuE2ELNS1_3repE0EEENS1_30default_config_static_selectorELNS0_4arch9wavefront6targetE0EEEvT1_.num_agpr, 0
	.set _ZN7rocprim17ROCPRIM_400000_NS6detail17trampoline_kernelINS0_14default_configENS1_27scan_by_key_config_selectorIssEEZZNS1_16scan_by_key_implILNS1_25lookback_scan_determinismE0ELb0ES3_N6thrust23THRUST_200600_302600_NS6detail15normal_iteratorINS9_10device_ptrIsEEEESE_SE_sNS9_4plusIvEENS9_8equal_toIsEEsEE10hipError_tPvRmT2_T3_T4_T5_mT6_T7_P12ihipStream_tbENKUlT_T0_E_clISt17integral_constantIbLb0EESY_IbLb1EEEEDaSU_SV_EUlSU_E_NS1_11comp_targetILNS1_3genE8ELNS1_11target_archE1030ELNS1_3gpuE2ELNS1_3repE0EEENS1_30default_config_static_selectorELNS0_4arch9wavefront6targetE0EEEvT1_.numbered_sgpr, 0
	.set _ZN7rocprim17ROCPRIM_400000_NS6detail17trampoline_kernelINS0_14default_configENS1_27scan_by_key_config_selectorIssEEZZNS1_16scan_by_key_implILNS1_25lookback_scan_determinismE0ELb0ES3_N6thrust23THRUST_200600_302600_NS6detail15normal_iteratorINS9_10device_ptrIsEEEESE_SE_sNS9_4plusIvEENS9_8equal_toIsEEsEE10hipError_tPvRmT2_T3_T4_T5_mT6_T7_P12ihipStream_tbENKUlT_T0_E_clISt17integral_constantIbLb0EESY_IbLb1EEEEDaSU_SV_EUlSU_E_NS1_11comp_targetILNS1_3genE8ELNS1_11target_archE1030ELNS1_3gpuE2ELNS1_3repE0EEENS1_30default_config_static_selectorELNS0_4arch9wavefront6targetE0EEEvT1_.num_named_barrier, 0
	.set _ZN7rocprim17ROCPRIM_400000_NS6detail17trampoline_kernelINS0_14default_configENS1_27scan_by_key_config_selectorIssEEZZNS1_16scan_by_key_implILNS1_25lookback_scan_determinismE0ELb0ES3_N6thrust23THRUST_200600_302600_NS6detail15normal_iteratorINS9_10device_ptrIsEEEESE_SE_sNS9_4plusIvEENS9_8equal_toIsEEsEE10hipError_tPvRmT2_T3_T4_T5_mT6_T7_P12ihipStream_tbENKUlT_T0_E_clISt17integral_constantIbLb0EESY_IbLb1EEEEDaSU_SV_EUlSU_E_NS1_11comp_targetILNS1_3genE8ELNS1_11target_archE1030ELNS1_3gpuE2ELNS1_3repE0EEENS1_30default_config_static_selectorELNS0_4arch9wavefront6targetE0EEEvT1_.private_seg_size, 0
	.set _ZN7rocprim17ROCPRIM_400000_NS6detail17trampoline_kernelINS0_14default_configENS1_27scan_by_key_config_selectorIssEEZZNS1_16scan_by_key_implILNS1_25lookback_scan_determinismE0ELb0ES3_N6thrust23THRUST_200600_302600_NS6detail15normal_iteratorINS9_10device_ptrIsEEEESE_SE_sNS9_4plusIvEENS9_8equal_toIsEEsEE10hipError_tPvRmT2_T3_T4_T5_mT6_T7_P12ihipStream_tbENKUlT_T0_E_clISt17integral_constantIbLb0EESY_IbLb1EEEEDaSU_SV_EUlSU_E_NS1_11comp_targetILNS1_3genE8ELNS1_11target_archE1030ELNS1_3gpuE2ELNS1_3repE0EEENS1_30default_config_static_selectorELNS0_4arch9wavefront6targetE0EEEvT1_.uses_vcc, 0
	.set _ZN7rocprim17ROCPRIM_400000_NS6detail17trampoline_kernelINS0_14default_configENS1_27scan_by_key_config_selectorIssEEZZNS1_16scan_by_key_implILNS1_25lookback_scan_determinismE0ELb0ES3_N6thrust23THRUST_200600_302600_NS6detail15normal_iteratorINS9_10device_ptrIsEEEESE_SE_sNS9_4plusIvEENS9_8equal_toIsEEsEE10hipError_tPvRmT2_T3_T4_T5_mT6_T7_P12ihipStream_tbENKUlT_T0_E_clISt17integral_constantIbLb0EESY_IbLb1EEEEDaSU_SV_EUlSU_E_NS1_11comp_targetILNS1_3genE8ELNS1_11target_archE1030ELNS1_3gpuE2ELNS1_3repE0EEENS1_30default_config_static_selectorELNS0_4arch9wavefront6targetE0EEEvT1_.uses_flat_scratch, 0
	.set _ZN7rocprim17ROCPRIM_400000_NS6detail17trampoline_kernelINS0_14default_configENS1_27scan_by_key_config_selectorIssEEZZNS1_16scan_by_key_implILNS1_25lookback_scan_determinismE0ELb0ES3_N6thrust23THRUST_200600_302600_NS6detail15normal_iteratorINS9_10device_ptrIsEEEESE_SE_sNS9_4plusIvEENS9_8equal_toIsEEsEE10hipError_tPvRmT2_T3_T4_T5_mT6_T7_P12ihipStream_tbENKUlT_T0_E_clISt17integral_constantIbLb0EESY_IbLb1EEEEDaSU_SV_EUlSU_E_NS1_11comp_targetILNS1_3genE8ELNS1_11target_archE1030ELNS1_3gpuE2ELNS1_3repE0EEENS1_30default_config_static_selectorELNS0_4arch9wavefront6targetE0EEEvT1_.has_dyn_sized_stack, 0
	.set _ZN7rocprim17ROCPRIM_400000_NS6detail17trampoline_kernelINS0_14default_configENS1_27scan_by_key_config_selectorIssEEZZNS1_16scan_by_key_implILNS1_25lookback_scan_determinismE0ELb0ES3_N6thrust23THRUST_200600_302600_NS6detail15normal_iteratorINS9_10device_ptrIsEEEESE_SE_sNS9_4plusIvEENS9_8equal_toIsEEsEE10hipError_tPvRmT2_T3_T4_T5_mT6_T7_P12ihipStream_tbENKUlT_T0_E_clISt17integral_constantIbLb0EESY_IbLb1EEEEDaSU_SV_EUlSU_E_NS1_11comp_targetILNS1_3genE8ELNS1_11target_archE1030ELNS1_3gpuE2ELNS1_3repE0EEENS1_30default_config_static_selectorELNS0_4arch9wavefront6targetE0EEEvT1_.has_recursion, 0
	.set _ZN7rocprim17ROCPRIM_400000_NS6detail17trampoline_kernelINS0_14default_configENS1_27scan_by_key_config_selectorIssEEZZNS1_16scan_by_key_implILNS1_25lookback_scan_determinismE0ELb0ES3_N6thrust23THRUST_200600_302600_NS6detail15normal_iteratorINS9_10device_ptrIsEEEESE_SE_sNS9_4plusIvEENS9_8equal_toIsEEsEE10hipError_tPvRmT2_T3_T4_T5_mT6_T7_P12ihipStream_tbENKUlT_T0_E_clISt17integral_constantIbLb0EESY_IbLb1EEEEDaSU_SV_EUlSU_E_NS1_11comp_targetILNS1_3genE8ELNS1_11target_archE1030ELNS1_3gpuE2ELNS1_3repE0EEENS1_30default_config_static_selectorELNS0_4arch9wavefront6targetE0EEEvT1_.has_indirect_call, 0
	.section	.AMDGPU.csdata,"",@progbits
; Kernel info:
; codeLenInByte = 0
; TotalNumSgprs: 0
; NumVgprs: 0
; ScratchSize: 0
; MemoryBound: 0
; FloatMode: 240
; IeeeMode: 1
; LDSByteSize: 0 bytes/workgroup (compile time only)
; SGPRBlocks: 0
; VGPRBlocks: 0
; NumSGPRsForWavesPerEU: 1
; NumVGPRsForWavesPerEU: 1
; NamedBarCnt: 0
; Occupancy: 16
; WaveLimiterHint : 0
; COMPUTE_PGM_RSRC2:SCRATCH_EN: 0
; COMPUTE_PGM_RSRC2:USER_SGPR: 2
; COMPUTE_PGM_RSRC2:TRAP_HANDLER: 0
; COMPUTE_PGM_RSRC2:TGID_X_EN: 1
; COMPUTE_PGM_RSRC2:TGID_Y_EN: 0
; COMPUTE_PGM_RSRC2:TGID_Z_EN: 0
; COMPUTE_PGM_RSRC2:TIDIG_COMP_CNT: 0
	.section	.text._ZN7rocprim17ROCPRIM_400000_NS6detail17trampoline_kernelINS0_14default_configENS1_27scan_by_key_config_selectorIxxEEZZNS1_16scan_by_key_implILNS1_25lookback_scan_determinismE0ELb1ES3_N6thrust23THRUST_200600_302600_NS6detail15normal_iteratorINS9_10device_ptrIxEEEESE_SE_xNS9_4plusIvEENS9_8equal_toIvEExEE10hipError_tPvRmT2_T3_T4_T5_mT6_T7_P12ihipStream_tbENKUlT_T0_E_clISt17integral_constantIbLb0EESZ_EEDaSU_SV_EUlSU_E_NS1_11comp_targetILNS1_3genE0ELNS1_11target_archE4294967295ELNS1_3gpuE0ELNS1_3repE0EEENS1_30default_config_static_selectorELNS0_4arch9wavefront6targetE0EEEvT1_,"axG",@progbits,_ZN7rocprim17ROCPRIM_400000_NS6detail17trampoline_kernelINS0_14default_configENS1_27scan_by_key_config_selectorIxxEEZZNS1_16scan_by_key_implILNS1_25lookback_scan_determinismE0ELb1ES3_N6thrust23THRUST_200600_302600_NS6detail15normal_iteratorINS9_10device_ptrIxEEEESE_SE_xNS9_4plusIvEENS9_8equal_toIvEExEE10hipError_tPvRmT2_T3_T4_T5_mT6_T7_P12ihipStream_tbENKUlT_T0_E_clISt17integral_constantIbLb0EESZ_EEDaSU_SV_EUlSU_E_NS1_11comp_targetILNS1_3genE0ELNS1_11target_archE4294967295ELNS1_3gpuE0ELNS1_3repE0EEENS1_30default_config_static_selectorELNS0_4arch9wavefront6targetE0EEEvT1_,comdat
	.protected	_ZN7rocprim17ROCPRIM_400000_NS6detail17trampoline_kernelINS0_14default_configENS1_27scan_by_key_config_selectorIxxEEZZNS1_16scan_by_key_implILNS1_25lookback_scan_determinismE0ELb1ES3_N6thrust23THRUST_200600_302600_NS6detail15normal_iteratorINS9_10device_ptrIxEEEESE_SE_xNS9_4plusIvEENS9_8equal_toIvEExEE10hipError_tPvRmT2_T3_T4_T5_mT6_T7_P12ihipStream_tbENKUlT_T0_E_clISt17integral_constantIbLb0EESZ_EEDaSU_SV_EUlSU_E_NS1_11comp_targetILNS1_3genE0ELNS1_11target_archE4294967295ELNS1_3gpuE0ELNS1_3repE0EEENS1_30default_config_static_selectorELNS0_4arch9wavefront6targetE0EEEvT1_ ; -- Begin function _ZN7rocprim17ROCPRIM_400000_NS6detail17trampoline_kernelINS0_14default_configENS1_27scan_by_key_config_selectorIxxEEZZNS1_16scan_by_key_implILNS1_25lookback_scan_determinismE0ELb1ES3_N6thrust23THRUST_200600_302600_NS6detail15normal_iteratorINS9_10device_ptrIxEEEESE_SE_xNS9_4plusIvEENS9_8equal_toIvEExEE10hipError_tPvRmT2_T3_T4_T5_mT6_T7_P12ihipStream_tbENKUlT_T0_E_clISt17integral_constantIbLb0EESZ_EEDaSU_SV_EUlSU_E_NS1_11comp_targetILNS1_3genE0ELNS1_11target_archE4294967295ELNS1_3gpuE0ELNS1_3repE0EEENS1_30default_config_static_selectorELNS0_4arch9wavefront6targetE0EEEvT1_
	.globl	_ZN7rocprim17ROCPRIM_400000_NS6detail17trampoline_kernelINS0_14default_configENS1_27scan_by_key_config_selectorIxxEEZZNS1_16scan_by_key_implILNS1_25lookback_scan_determinismE0ELb1ES3_N6thrust23THRUST_200600_302600_NS6detail15normal_iteratorINS9_10device_ptrIxEEEESE_SE_xNS9_4plusIvEENS9_8equal_toIvEExEE10hipError_tPvRmT2_T3_T4_T5_mT6_T7_P12ihipStream_tbENKUlT_T0_E_clISt17integral_constantIbLb0EESZ_EEDaSU_SV_EUlSU_E_NS1_11comp_targetILNS1_3genE0ELNS1_11target_archE4294967295ELNS1_3gpuE0ELNS1_3repE0EEENS1_30default_config_static_selectorELNS0_4arch9wavefront6targetE0EEEvT1_
	.p2align	8
	.type	_ZN7rocprim17ROCPRIM_400000_NS6detail17trampoline_kernelINS0_14default_configENS1_27scan_by_key_config_selectorIxxEEZZNS1_16scan_by_key_implILNS1_25lookback_scan_determinismE0ELb1ES3_N6thrust23THRUST_200600_302600_NS6detail15normal_iteratorINS9_10device_ptrIxEEEESE_SE_xNS9_4plusIvEENS9_8equal_toIvEExEE10hipError_tPvRmT2_T3_T4_T5_mT6_T7_P12ihipStream_tbENKUlT_T0_E_clISt17integral_constantIbLb0EESZ_EEDaSU_SV_EUlSU_E_NS1_11comp_targetILNS1_3genE0ELNS1_11target_archE4294967295ELNS1_3gpuE0ELNS1_3repE0EEENS1_30default_config_static_selectorELNS0_4arch9wavefront6targetE0EEEvT1_,@function
_ZN7rocprim17ROCPRIM_400000_NS6detail17trampoline_kernelINS0_14default_configENS1_27scan_by_key_config_selectorIxxEEZZNS1_16scan_by_key_implILNS1_25lookback_scan_determinismE0ELb1ES3_N6thrust23THRUST_200600_302600_NS6detail15normal_iteratorINS9_10device_ptrIxEEEESE_SE_xNS9_4plusIvEENS9_8equal_toIvEExEE10hipError_tPvRmT2_T3_T4_T5_mT6_T7_P12ihipStream_tbENKUlT_T0_E_clISt17integral_constantIbLb0EESZ_EEDaSU_SV_EUlSU_E_NS1_11comp_targetILNS1_3genE0ELNS1_11target_archE4294967295ELNS1_3gpuE0ELNS1_3repE0EEENS1_30default_config_static_selectorELNS0_4arch9wavefront6targetE0EEEvT1_: ; @_ZN7rocprim17ROCPRIM_400000_NS6detail17trampoline_kernelINS0_14default_configENS1_27scan_by_key_config_selectorIxxEEZZNS1_16scan_by_key_implILNS1_25lookback_scan_determinismE0ELb1ES3_N6thrust23THRUST_200600_302600_NS6detail15normal_iteratorINS9_10device_ptrIxEEEESE_SE_xNS9_4plusIvEENS9_8equal_toIvEExEE10hipError_tPvRmT2_T3_T4_T5_mT6_T7_P12ihipStream_tbENKUlT_T0_E_clISt17integral_constantIbLb0EESZ_EEDaSU_SV_EUlSU_E_NS1_11comp_targetILNS1_3genE0ELNS1_11target_archE4294967295ELNS1_3gpuE0ELNS1_3repE0EEENS1_30default_config_static_selectorELNS0_4arch9wavefront6targetE0EEEvT1_
; %bb.0:
	s_clause 0x2
	s_load_b96 s[44:46], s[0:1], 0x50
	s_load_b256 s[20:27], s[0:1], 0x0
	s_load_b128 s[28:31], s[0:1], 0x60
	s_bfe_u32 s4, ttmp6, 0x4000c
	s_load_b64 s[48:49], s[0:1], 0x20
	s_add_co_i32 s4, s4, 1
	s_load_b256 s[36:43], s[0:1], 0x30
	s_and_b32 s2, ttmp6, 15
	s_wait_xcnt 0x0
	s_mul_i32 s0, ttmp9, s4
	s_getreg_b32 s5, hwreg(HW_REG_IB_STS2, 6, 4)
	s_add_co_i32 s6, s2, s0
	s_mov_b32 s3, 0
	s_delay_alu instid0(SALU_CYCLE_1)
	s_mov_b32 s47, s3
	s_barrier_signal -1
	s_barrier_wait -1
	s_wait_kmcnt 0x0
	s_mov_b32 s2, s46
	s_lshl_b64 s[34:35], s[22:23], 3
	s_cmp_eq_u32 s5, 0
	s_mul_u64 s[4:5], s[44:45], s[2:3]
	s_cselect_b32 s46, ttmp9, s6
	s_add_nc_u64 s[8:9], s[28:29], -1
	s_add_nc_u64 s[4:5], s[4:5], s[46:47]
	s_mul_i32 s2, s46, 0xe00
	v_cmp_ge_u64_e64 s23, s[4:5], s[8:9]
	s_add_nc_u64 s[0:1], s[20:21], s[34:35]
	s_add_nc_u64 s[6:7], s[24:25], s[34:35]
	s_lshl_b64 s[24:25], s[2:3], 3
	s_mul_i32 s28, s8, 0xfffff200
	s_add_nc_u64 s[16:17], s[0:1], s[24:25]
	s_add_nc_u64 s[14:15], s[6:7], s[24:25]
	s_and_b32 vcc_lo, exec_lo, s23
	s_cbranch_vccz .LBB353_76
; %bb.1:
	v_mov_b32_e32 v1, 0
	s_add_co_i32 s22, s28, s42
	s_delay_alu instid0(SALU_CYCLE_1)
	v_cmp_gt_u32_e32 vcc_lo, s22, v0
	flat_load_b64 v[2:3], v1, s[16:17]
	s_wait_loadcnt_dscnt 0x0
	v_mov_b64_e32 v[4:5], v[2:3]
	s_and_saveexec_b32 s0, vcc_lo
	s_cbranch_execz .LBB353_3
; %bb.2:
	flat_load_b64 v[4:5], v0, s[16:17] scale_offset
.LBB353_3:
	s_wait_xcnt 0x0
	s_or_b32 exec_lo, exec_lo, s0
	v_or_b32_e32 v1, 0x100, v0
	v_mov_b64_e32 v[6:7], v[2:3]
	s_delay_alu instid0(VALU_DEP_2)
	v_cmp_gt_u32_e64 s0, s22, v1
	s_and_saveexec_b32 s1, s0
	s_cbranch_execz .LBB353_5
; %bb.4:
	flat_load_b64 v[6:7], v0, s[16:17] offset:2048 scale_offset
.LBB353_5:
	s_wait_xcnt 0x0
	s_or_b32 exec_lo, exec_lo, s1
	v_or_b32_e32 v1, 0x200, v0
	v_mov_b64_e32 v[8:9], v[2:3]
	s_delay_alu instid0(VALU_DEP_2)
	v_cmp_gt_u32_e64 s1, s22, v1
	s_and_saveexec_b32 s2, s1
	s_cbranch_execz .LBB353_7
; %bb.6:
	flat_load_b64 v[8:9], v0, s[16:17] offset:4096 scale_offset
.LBB353_7:
	;; [unrolled: 11-line block ×12, first 2 shown]
	s_wait_xcnt 0x0
	s_or_b32 exec_lo, exec_lo, s12
	v_or_b32_e32 v1, 0xd00, v0
	s_delay_alu instid0(VALU_DEP_1) | instskip(SKIP_2) | instid1(SALU_CYCLE_1)
	v_cmp_gt_u32_e64 s12, s22, v1
	v_cmp_le_u32_e64 s13, s22, v1
	s_and_saveexec_b32 s18, s13
	s_xor_b32 s13, exec_lo, s18
	s_delay_alu instid0(SALU_CYCLE_1)
	s_and_not1_saveexec_b32 s13, s13
	s_cbranch_execz .LBB353_29
; %bb.28:
	flat_load_b64 v[2:3], v0, s[16:17] offset:26624 scale_offset
.LBB353_29:
	s_wait_xcnt 0x0
	s_or_b32 exec_lo, exec_lo, s13
	v_lshlrev_b32_e32 v1, 3, v0
	s_mov_b32 s18, exec_lo
	s_wait_loadcnt_dscnt 0x0
	ds_store_2addr_stride64_b64 v1, v[4:5], v[6:7] offset1:4
	ds_store_2addr_stride64_b64 v1, v[8:9], v[10:11] offset0:8 offset1:12
	ds_store_2addr_stride64_b64 v1, v[12:13], v[14:15] offset0:16 offset1:20
	;; [unrolled: 1-line block ×6, first 2 shown]
	v_mov_b32_e32 v2, 0
	s_wait_dscnt 0x0
	s_barrier_signal -1
	s_barrier_wait -1
	flat_load_b64 v[56:57], v2, s[16:17]
	v_mad_u32_u24 v104, 0x68, v0, v1
	ds_load_b128 v[26:29], v104
	ds_load_b128 v[22:25], v104 offset:16
	ds_load_b128 v[18:21], v104 offset:32
	;; [unrolled: 1-line block ×5, first 2 shown]
	s_wait_xcnt 0x0
	ds_load_b128 v[2:5], v104 offset:96
	v_mad_i32_i24 v30, 0xffffff98, v0, v104
	s_wait_dscnt 0x6
	ds_store_b64 v30, v[26:27] offset:30720
	s_wait_loadcnt_dscnt 0x0
	s_barrier_signal -1
	s_barrier_wait -1
	v_cmpx_ne_u32_e32 0xff, v0
; %bb.30:
	v_mul_i32_i24_e32 v30, 0xffffff98, v0
	s_delay_alu instid0(VALU_DEP_1)
	v_add_nc_u32_e32 v30, v104, v30
	ds_load_b64 v[56:57], v30 offset:30728
; %bb.31:
	s_or_b32 exec_lo, exec_lo, s18
	s_wait_dscnt 0x0
	s_barrier_signal -1
	s_barrier_wait -1
                                        ; implicit-def: $vgpr30_vgpr31
	s_and_saveexec_b32 s13, vcc_lo
	s_cbranch_execz .LBB353_134
; %bb.32:
	flat_load_b64 v[30:31], v0, s[14:15] scale_offset
	s_wait_xcnt 0x0
	s_or_b32 exec_lo, exec_lo, s13
                                        ; implicit-def: $vgpr32_vgpr33
	s_and_saveexec_b32 s13, s0
	s_cbranch_execnz .LBB353_135
.LBB353_33:
	s_or_b32 exec_lo, exec_lo, s13
                                        ; implicit-def: $vgpr34_vgpr35
	s_and_saveexec_b32 s0, s1
	s_cbranch_execz .LBB353_136
.LBB353_34:
	flat_load_b64 v[34:35], v0, s[14:15] offset:4096 scale_offset
	s_wait_xcnt 0x0
	s_or_b32 exec_lo, exec_lo, s0
                                        ; implicit-def: $vgpr36_vgpr37
	s_and_saveexec_b32 s0, s2
	s_cbranch_execnz .LBB353_137
.LBB353_35:
	s_or_b32 exec_lo, exec_lo, s0
                                        ; implicit-def: $vgpr38_vgpr39
	s_and_saveexec_b32 s0, s3
	s_cbranch_execz .LBB353_138
.LBB353_36:
	flat_load_b64 v[38:39], v0, s[14:15] offset:8192 scale_offset
	s_wait_xcnt 0x0
	s_or_b32 exec_lo, exec_lo, s0
                                        ; implicit-def: $vgpr40_vgpr41
	s_and_saveexec_b32 s0, s4
	s_cbranch_execnz .LBB353_139
.LBB353_37:
	s_or_b32 exec_lo, exec_lo, s0
                                        ; implicit-def: $vgpr42_vgpr43
	s_and_saveexec_b32 s0, s5
	s_cbranch_execz .LBB353_140
.LBB353_38:
	flat_load_b64 v[42:43], v0, s[14:15] offset:12288 scale_offset
	s_wait_xcnt 0x0
	s_or_b32 exec_lo, exec_lo, s0
                                        ; implicit-def: $vgpr44_vgpr45
	s_and_saveexec_b32 s0, s6
	s_cbranch_execnz .LBB353_141
.LBB353_39:
	s_or_b32 exec_lo, exec_lo, s0
                                        ; implicit-def: $vgpr46_vgpr47
	s_and_saveexec_b32 s0, s7
	s_cbranch_execz .LBB353_142
.LBB353_40:
	flat_load_b64 v[46:47], v0, s[14:15] offset:16384 scale_offset
	s_wait_xcnt 0x0
	s_or_b32 exec_lo, exec_lo, s0
                                        ; implicit-def: $vgpr48_vgpr49
	s_and_saveexec_b32 s0, s8
	s_cbranch_execnz .LBB353_143
.LBB353_41:
	s_or_b32 exec_lo, exec_lo, s0
                                        ; implicit-def: $vgpr50_vgpr51
	s_and_saveexec_b32 s0, s9
	s_cbranch_execz .LBB353_144
.LBB353_42:
	flat_load_b64 v[50:51], v0, s[14:15] offset:20480 scale_offset
	s_wait_xcnt 0x0
	s_or_b32 exec_lo, exec_lo, s0
                                        ; implicit-def: $vgpr52_vgpr53
	s_and_saveexec_b32 s0, s10
	s_cbranch_execnz .LBB353_145
.LBB353_43:
	s_or_b32 exec_lo, exec_lo, s0
                                        ; implicit-def: $vgpr54_vgpr55
	s_and_saveexec_b32 s0, s11
	s_cbranch_execz .LBB353_45
.LBB353_44:
	flat_load_b64 v[54:55], v0, s[14:15] offset:24576 scale_offset
.LBB353_45:
	s_wait_xcnt 0x0
	s_or_b32 exec_lo, exec_lo, s0
	v_mul_u32_u24_e32 v109, 14, v0
                                        ; implicit-def: $vgpr58_vgpr59
	s_and_saveexec_b32 s0, s12
	s_cbranch_execz .LBB353_47
; %bb.46:
	flat_load_b64 v[58:59], v0, s[14:15] offset:26624 scale_offset
.LBB353_47:
	s_wait_xcnt 0x0
	s_or_b32 exec_lo, exec_lo, s0
	s_wait_loadcnt_dscnt 0x0
	ds_store_2addr_stride64_b64 v1, v[30:31], v[32:33] offset1:4
	ds_store_2addr_stride64_b64 v1, v[34:35], v[36:37] offset0:8 offset1:12
	ds_store_2addr_stride64_b64 v1, v[38:39], v[40:41] offset0:16 offset1:20
	;; [unrolled: 1-line block ×6, first 2 shown]
	v_mov_b64_e32 v[66:67], 0
	v_mov_b64_e32 v[80:81], 0
	v_mov_b64_e32 v[78:79], 0
	v_mov_b64_e32 v[84:85], 0
	v_mov_b64_e32 v[76:77], 0
	v_mov_b64_e32 v[82:83], 0
	v_mov_b64_e32 v[72:73], 0
	v_mov_b64_e32 v[74:75], 0
	v_mov_b64_e32 v[70:71], 0
	v_mov_b64_e32 v[68:69], 0
	v_mov_b64_e32 v[64:65], 0
	v_mov_b64_e32 v[62:63], 0
	v_mov_b64_e32 v[60:61], 0
	v_mov_b64_e32 v[44:45], 0
	v_mov_b64_e32 v[30:31], 0
	v_mov_b64_e32 v[34:35], 0
	v_mov_b64_e32 v[36:37], 0
	v_mov_b64_e32 v[38:39], 0
	v_mov_b64_e32 v[40:41], 0
	v_mov_b64_e32 v[42:43], 0
	v_mov_b64_e32 v[46:47], 0
	v_mov_b64_e32 v[48:49], 0
	v_mov_b64_e32 v[50:51], 0
	v_mov_b64_e32 v[52:53], 0
	v_mov_b64_e32 v[54:55], 0
	v_mov_b64_e32 v[32:33], 0
	v_mov_b64_e32 v[58:59], 0
	v_cmp_gt_u32_e32 vcc_lo, s22, v109
	v_dual_mov_b32 v86, 0 :: v_dual_mov_b32 v87, 0
	v_dual_mov_b32 v88, 0 :: v_dual_mov_b32 v89, 0
	;; [unrolled: 1-line block ×13, first 2 shown]
	s_mov_b32 s13, 0
	s_mov_b32 s3, 0
	s_wait_dscnt 0x0
	s_barrier_signal -1
	s_barrier_wait -1
                                        ; implicit-def: $sgpr19
	s_and_saveexec_b32 s18, vcc_lo
	s_cbranch_execz .LBB353_75
; %bb.48:
	ds_load_b64 v[30:31], v104
	v_cmp_ne_u64_e32 vcc_lo, v[26:27], v[28:29]
	v_dual_mov_b32 v86, 0 :: v_dual_bitop2_b32 v1, 1, v109 bitop3:0x54
	v_mov_b64_e32 v[66:67], 0
	v_mov_b64_e32 v[80:81], 0
	;; [unrolled: 1-line block ×16, first 2 shown]
	s_wait_dscnt 0x0
	v_cndmask_b32_e64 v61, v31, s49, vcc_lo
	v_cndmask_b32_e64 v60, v30, s48, vcc_lo
	v_mov_b64_e32 v[30:31], 0
	v_mov_b64_e32 v[40:41], 0
	;; [unrolled: 1-line block ×9, first 2 shown]
	v_dual_mov_b32 v87, 0 :: v_dual_mov_b32 v88, 0
	v_dual_mov_b32 v89, 0 :: v_dual_mov_b32 v90, 0
	;; [unrolled: 1-line block ×4, first 2 shown]
	v_cmp_gt_u32_e64 s0, s22, v1
	v_dual_mov_b32 v102, 0 :: v_dual_mov_b32 v105, 0
	v_dual_mov_b32 v108, 0 :: v_dual_mov_b32 v92, 0
	;; [unrolled: 1-line block ×7, first 2 shown]
	v_mov_b32_e32 v112, 0
	s_mov_b32 s1, 0
                                        ; implicit-def: $sgpr19
	s_and_saveexec_b32 s20, s0
	s_cbranch_execz .LBB353_74
; %bb.49:
	ds_load_2addr_b64 v[30:33], v104 offset0:1 offset1:2
	v_cmp_ne_u64_e64 s0, v[28:29], v[22:23]
	v_dual_mov_b32 v86, 0 :: v_dual_add_nc_u32 v1, 2, v109
	v_mov_b64_e32 v[66:67], 0
	v_mov_b64_e32 v[80:81], 0
	;; [unrolled: 1-line block ×16, first 2 shown]
	s_wait_dscnt 0x0
	v_cndmask_b32_e64 v63, v31, s49, s0
	v_cndmask_b32_e64 v62, v30, s48, s0
	v_mov_b64_e32 v[30:31], 0
	v_mov_b64_e32 v[42:43], 0
	;; [unrolled: 1-line block ×7, first 2 shown]
	v_dual_mov_b32 v87, 0 :: v_dual_mov_b32 v88, 0
	v_dual_mov_b32 v89, 0 :: v_dual_mov_b32 v90, 0
	;; [unrolled: 1-line block ×4, first 2 shown]
	v_cmp_gt_u32_e64 s1, s22, v1
	v_dual_mov_b32 v102, 0 :: v_dual_mov_b32 v105, 0
	v_dual_mov_b32 v92, 0 :: v_dual_mov_b32 v91, 0
	;; [unrolled: 1-line block ×6, first 2 shown]
	v_mov_b32_e32 v110, 0
	s_mov_b32 s2, 0
                                        ; implicit-def: $sgpr19
	s_and_saveexec_b32 s21, s1
	s_cbranch_execz .LBB353_73
; %bb.50:
	v_cmp_ne_u64_e64 s1, v[22:23], v[24:25]
	v_dual_mov_b32 v86, 0 :: v_dual_add_nc_u32 v1, 3, v109
	v_mov_b64_e32 v[66:67], 0
	v_mov_b64_e32 v[80:81], 0
	;; [unrolled: 1-line block ×21, first 2 shown]
	v_cndmask_b32_e64 v65, v33, s49, s1
	v_dual_mov_b32 v87, 0 :: v_dual_mov_b32 v88, 0
	v_cmp_gt_u32_e64 s2, s22, v1
	v_cndmask_b32_e64 v64, v32, s48, s1
	v_dual_mov_b32 v89, 0 :: v_dual_mov_b32 v90, 0
	v_dual_mov_b32 v93, 0 :: v_dual_mov_b32 v95, 0
	;; [unrolled: 1-line block ×8, first 2 shown]
	v_mov_b32_e32 v107, 0
                                        ; implicit-def: $sgpr19
	s_and_saveexec_b32 s29, s2
	s_cbranch_execz .LBB353_72
; %bb.51:
	ds_load_2addr_b64 v[26:29], v104 offset0:3 offset1:4
	v_cmp_ne_u64_e64 s2, v[24:25], v[18:19]
	v_dual_mov_b32 v86, 0 :: v_dual_add_nc_u32 v1, 4, v109
	v_mov_b64_e32 v[66:67], 0
	v_mov_b64_e32 v[80:81], 0
	;; [unrolled: 1-line block ×19, first 2 shown]
	v_dual_mov_b32 v87, 0 :: v_dual_mov_b32 v88, 0
	v_dual_mov_b32 v89, 0 :: v_dual_mov_b32 v90, 0
	;; [unrolled: 1-line block ×4, first 2 shown]
	v_cmp_gt_u32_e64 s3, s22, v1
	s_wait_dscnt 0x0
	v_cndmask_b32_e64 v69, v27, s49, s2
	v_cndmask_b32_e64 v68, v26, s48, s2
	v_dual_mov_b32 v92, 0 :: v_dual_mov_b32 v91, 0
	v_dual_mov_b32 v94, 0 :: v_dual_mov_b32 v96, 0
	;; [unrolled: 1-line block ×4, first 2 shown]
	v_mov_b32_e32 v106, 0
	s_mov_b32 s4, 0
                                        ; implicit-def: $sgpr19
	s_and_saveexec_b32 s33, s3
	s_cbranch_execz .LBB353_71
; %bb.52:
	v_cmp_ne_u64_e64 s3, v[18:19], v[20:21]
	v_dual_mov_b32 v86, 0 :: v_dual_add_nc_u32 v1, 5, v109
	v_mov_b64_e32 v[66:67], 0
	v_mov_b64_e32 v[80:81], 0
	;; [unrolled: 1-line block ×17, first 2 shown]
	v_cndmask_b32_e64 v71, v29, s49, s3
	v_dual_mov_b32 v87, 0 :: v_dual_mov_b32 v88, 0
	v_cmp_gt_u32_e64 s4, s22, v1
	v_cndmask_b32_e64 v70, v28, s48, s3
	v_dual_mov_b32 v89, 0 :: v_dual_mov_b32 v90, 0
	v_dual_mov_b32 v93, 0 :: v_dual_mov_b32 v95, 0
	;; [unrolled: 1-line block ×6, first 2 shown]
	v_mov_b32_e32 v103, 0
	s_mov_b32 s5, 0
                                        ; implicit-def: $sgpr19
	s_and_saveexec_b32 s43, s4
	s_cbranch_execz .LBB353_70
; %bb.53:
	ds_load_2addr_b64 v[22:25], v104 offset0:5 offset1:6
	v_cmp_ne_u64_e64 s4, v[20:21], v[14:15]
	v_mov_b64_e32 v[66:67], 0
	v_mov_b64_e32 v[80:81], 0
	;; [unrolled: 1-line block ×15, first 2 shown]
	v_dual_mov_b32 v86, 0 :: v_dual_add_nc_u32 v1, 6, v109
	v_dual_mov_b32 v87, 0 :: v_dual_mov_b32 v88, 0
	v_dual_mov_b32 v89, 0 :: v_dual_mov_b32 v90, 0
	;; [unrolled: 1-line block ×3, first 2 shown]
	s_wait_dscnt 0x0
	v_cndmask_b32_e64 v75, v23, s49, s4
	v_cndmask_b32_e64 v74, v22, s48, s4
	v_dual_mov_b32 v92, 0 :: v_dual_mov_b32 v91, 0
	v_dual_mov_b32 v94, 0 :: v_dual_mov_b32 v96, 0
	v_dual_mov_b32 v98, 0 :: v_dual_mov_b32 v99, 0
	v_mov_b32_e32 v101, 0
	s_mov_b32 s6, 0
	s_mov_b32 s47, exec_lo
                                        ; implicit-def: $sgpr19
	v_cmpx_gt_u32_e64 s22, v1
	s_cbranch_execz .LBB353_69
; %bb.54:
	v_cmp_ne_u64_e64 s5, v[14:15], v[16:17]
	v_dual_mov_b32 v86, 0 :: v_dual_add_nc_u32 v1, 7, v109
	v_mov_b64_e32 v[66:67], 0
	v_mov_b64_e32 v[80:81], 0
	;; [unrolled: 1-line block ×13, first 2 shown]
	v_cndmask_b32_e64 v73, v25, s49, s5
	v_dual_mov_b32 v87, 0 :: v_dual_mov_b32 v88, 0
	v_cmp_gt_u32_e64 s6, s22, v1
	v_cndmask_b32_e64 v72, v24, s48, s5
	v_dual_mov_b32 v89, 0 :: v_dual_mov_b32 v90, 0
	v_dual_mov_b32 v93, 0 :: v_dual_mov_b32 v92, 0
	;; [unrolled: 1-line block ×4, first 2 shown]
	v_mov_b32_e32 v99, 0
	s_mov_b32 s7, 0
                                        ; implicit-def: $sgpr19
	s_and_saveexec_b32 s50, s6
	s_cbranch_execz .LBB353_68
; %bb.55:
	ds_load_2addr_b64 v[18:21], v104 offset0:7 offset1:8
	v_cmp_ne_u64_e64 s6, v[16:17], v[10:11]
	v_mov_b64_e32 v[66:67], 0
	v_mov_b64_e32 v[80:81], 0
	;; [unrolled: 1-line block ×11, first 2 shown]
	v_dual_mov_b32 v86, 0 :: v_dual_add_nc_u32 v1, 8, v109
	v_dual_mov_b32 v87, 0 :: v_dual_mov_b32 v88, 0
	v_dual_mov_b32 v89, 0 :: v_dual_mov_b32 v90, 0
	;; [unrolled: 1-line block ×3, first 2 shown]
	s_wait_dscnt 0x0
	v_cndmask_b32_e64 v83, v19, s49, s6
	v_cndmask_b32_e64 v82, v18, s48, s6
	v_dual_mov_b32 v94, 0 :: v_dual_mov_b32 v96, 0
	v_mov_b32_e32 v98, 0
	s_mov_b32 s8, 0
	s_mov_b32 s51, exec_lo
                                        ; implicit-def: $sgpr19
	v_cmpx_gt_u32_e64 s22, v1
	s_cbranch_execz .LBB353_67
; %bb.56:
	v_cmp_ne_u64_e64 s7, v[10:11], v[12:13]
	v_mov_b64_e32 v[66:67], 0
	v_mov_b64_e32 v[80:81], 0
	;; [unrolled: 1-line block ×9, first 2 shown]
	v_dual_mov_b32 v86, 0 :: v_dual_add_nc_u32 v1, 9, v109
	v_cndmask_b32_e64 v77, v21, s49, s7
	v_dual_mov_b32 v87, 0 :: v_dual_mov_b32 v88, 0
	v_cndmask_b32_e64 v76, v20, s48, s7
	v_dual_mov_b32 v89, 0 :: v_dual_mov_b32 v92, 0
	v_dual_mov_b32 v91, 0 :: v_dual_mov_b32 v94, 0
	v_mov_b32_e32 v96, 0
	s_mov_b32 s9, 0
	s_mov_b32 s52, exec_lo
                                        ; implicit-def: $sgpr19
	v_cmpx_gt_u32_e64 s22, v1
	s_cbranch_execz .LBB353_66
; %bb.57:
	ds_load_2addr_b64 v[14:17], v104 offset0:9 offset1:10
	v_cmp_ne_u64_e64 s8, v[12:13], v[6:7]
	v_mov_b64_e32 v[66:67], 0
	v_mov_b64_e32 v[80:81], 0
	;; [unrolled: 1-line block ×7, first 2 shown]
	v_dual_mov_b32 v86, 0 :: v_dual_add_nc_u32 v1, 10, v109
	v_dual_mov_b32 v87, 0 :: v_dual_mov_b32 v88, 0
	v_dual_mov_b32 v92, 0 :: v_dual_mov_b32 v91, 0
	v_mov_b32_e32 v94, 0
	s_mov_b32 s10, 0
	s_mov_b32 s53, exec_lo
                                        ; implicit-def: $sgpr19
	s_wait_dscnt 0x0
	v_cndmask_b32_e64 v85, v15, s49, s8
	v_cndmask_b32_e64 v84, v14, s48, s8
	v_cmpx_gt_u32_e64 s22, v1
	s_cbranch_execz .LBB353_65
; %bb.58:
	v_cmp_ne_u64_e64 s9, v[6:7], v[8:9]
	v_mov_b64_e32 v[66:67], 0
	v_mov_b64_e32 v[80:81], 0
	;; [unrolled: 1-line block ×4, first 2 shown]
	v_dual_mov_b32 v86, 0 :: v_dual_add_nc_u32 v1, 11, v109
	v_cndmask_b32_e64 v79, v17, s49, s9
	v_cndmask_b32_e64 v78, v16, s48, s9
	v_dual_mov_b32 v87, 0 :: v_dual_mov_b32 v91, 0
	s_mov_b32 s11, 0
	s_mov_b32 s54, exec_lo
                                        ; implicit-def: $sgpr19
	v_cmpx_gt_u32_e64 s22, v1
	s_cbranch_execz .LBB353_64
; %bb.59:
	ds_load_2addr_b64 v[10:13], v104 offset0:11 offset1:12
	v_cmp_ne_u64_e64 s10, v[8:9], v[2:3]
	v_mov_b64_e32 v[66:67], 0
	v_mov_b64_e32 v[44:45], 0
	v_dual_mov_b32 v86, 0 :: v_dual_add_nc_u32 v1, 12, v109
	s_mov_b32 s12, 0
	s_mov_b32 s55, exec_lo
                                        ; implicit-def: $sgpr19
	s_wait_dscnt 0x0
	v_cndmask_b32_e64 v81, v11, s49, s10
	v_cndmask_b32_e64 v80, v10, s48, s10
	v_cmpx_gt_u32_e64 s22, v1
	s_cbranch_execz .LBB353_63
; %bb.60:
	v_cmp_ne_u64_e64 s11, v[2:3], v[4:5]
	v_add_nc_u32_e32 v1, 13, v109
	v_mov_b64_e32 v[44:45], 0
                                        ; implicit-def: $sgpr19
	s_delay_alu instid0(VALU_DEP_2) | instskip(NEXT) | instid1(VALU_DEP_4)
	v_cmp_gt_u32_e64 s12, s22, v1
	v_cndmask_b32_e64 v67, v13, s49, s11
	v_cndmask_b32_e64 v66, v12, s48, s11
	s_mov_b32 s22, 0
	s_and_saveexec_b32 s56, s12
	s_delay_alu instid0(SALU_CYCLE_1)
	s_xor_b32 s12, exec_lo, s56
	s_cbranch_execz .LBB353_62
; %bb.61:
	ds_load_b64 v[2:3], v104 offset:104
	v_cmp_ne_u64_e64 s19, v[4:5], v[56:57]
	s_mov_b32 s22, exec_lo
	s_wait_dscnt 0x0
	v_cndmask_b32_e64 v45, v3, s49, s19
	v_cndmask_b32_e64 v44, v2, s48, s19
.LBB353_62:
	s_or_b32 exec_lo, exec_lo, s12
	v_cndmask_b32_e64 v86, 0, 1, s11
	s_and_b32 s12, s22, exec_lo
.LBB353_63:
	s_or_b32 exec_lo, exec_lo, s55
	v_cndmask_b32_e64 v87, 0, 1, s10
	v_mov_b64_e32 v[34:35], v[80:81]
	s_and_b32 s11, s12, exec_lo
	s_delay_alu instid0(VALU_DEP_2)
	v_mov_b32_e32 v91, v87
.LBB353_64:
	s_or_b32 exec_lo, exec_lo, s54
	v_cndmask_b32_e64 v88, 0, 1, s9
	v_mov_b64_e32 v[30:31], v[66:67]
	v_mov_b64_e32 v[36:37], v[78:79]
	v_mov_b32_e32 v92, v86
	s_and_b32 s10, s11, exec_lo
	v_mov_b32_e32 v94, v88
.LBB353_65:
	s_or_b32 exec_lo, exec_lo, s53
	v_cndmask_b32_e64 v89, 0, 1, s8
	v_mov_b64_e32 v[38:39], v[84:85]
	s_and_b32 s9, s10, exec_lo
	s_delay_alu instid0(VALU_DEP_2)
	v_mov_b32_e32 v96, v89
.LBB353_66:
	s_or_b32 exec_lo, exec_lo, s52
	v_cndmask_b32_e64 v90, 0, 1, s7
	v_mov_b64_e32 v[40:41], v[76:77]
	s_and_b32 s8, s9, exec_lo
	s_delay_alu instid0(VALU_DEP_2)
	v_mov_b32_e32 v98, v90
.LBB353_67:
	s_or_b32 exec_lo, exec_lo, s51
	v_cndmask_b32_e64 v93, 0, 1, s6
	v_mov_b64_e32 v[42:43], v[82:83]
	s_and_b32 s7, s8, exec_lo
	s_delay_alu instid0(VALU_DEP_2)
	v_mov_b32_e32 v99, v93
.LBB353_68:
	s_or_b32 exec_lo, exec_lo, s50
	v_cndmask_b32_e64 v95, 0, 1, s5
	v_mov_b64_e32 v[46:47], v[72:73]
	s_and_b32 s6, s7, exec_lo
	s_delay_alu instid0(VALU_DEP_2)
	v_mov_b32_e32 v101, v95
.LBB353_69:
	s_or_b32 exec_lo, exec_lo, s47
	v_cndmask_b32_e64 v97, 0, 1, s4
	v_mov_b64_e32 v[48:49], v[74:75]
	s_and_b32 s5, s6, exec_lo
	s_delay_alu instid0(VALU_DEP_2)
	v_mov_b32_e32 v103, v97
.LBB353_70:
	s_or_b32 exec_lo, exec_lo, s43
	v_cndmask_b32_e64 v100, 0, 1, s3
	v_mov_b64_e32 v[50:51], v[70:71]
	s_and_b32 s4, s5, exec_lo
	s_delay_alu instid0(VALU_DEP_2)
	v_mov_b32_e32 v106, v100
.LBB353_71:
	s_or_b32 exec_lo, exec_lo, s33
	v_cndmask_b32_e64 v102, 0, 1, s2
	v_mov_b64_e32 v[52:53], v[68:69]
	s_and_b32 s3, s4, exec_lo
	s_delay_alu instid0(VALU_DEP_2)
	v_mov_b32_e32 v107, v102
.LBB353_72:
	s_or_b32 exec_lo, exec_lo, s29
	v_cndmask_b32_e64 v105, 0, 1, s1
	v_mov_b64_e32 v[54:55], v[64:65]
	s_and_b32 s2, s3, exec_lo
	s_delay_alu instid0(VALU_DEP_2)
	v_mov_b32_e32 v110, v105
.LBB353_73:
	s_or_b32 exec_lo, exec_lo, s21
	v_cndmask_b32_e64 v108, 0, 1, s0
	v_mov_b64_e32 v[32:33], v[62:63]
	s_and_b32 s1, s2, exec_lo
	s_delay_alu instid0(VALU_DEP_2)
	v_mov_b32_e32 v112, v108
.LBB353_74:
	s_or_b32 exec_lo, exec_lo, s20
	v_cndmask_b32_e64 v111, 0, 1, vcc_lo
	v_mov_b64_e32 v[58:59], v[60:61]
	s_and_b32 s3, s1, exec_lo
	s_delay_alu instid0(VALU_DEP_2)
	v_mov_b32_e32 v1, v111
.LBB353_75:
	s_or_b32 exec_lo, exec_lo, s18
	v_lshlrev_b32_e32 v56, 3, v0
	s_and_b32 vcc_lo, exec_lo, s13
	s_cbranch_vccnz .LBB353_77
	s_branch .LBB353_82
.LBB353_76:
                                        ; implicit-def: $sgpr19
                                        ; implicit-def: $vgpr86
                                        ; implicit-def: $vgpr66_vgpr67
                                        ; implicit-def: $vgpr87
                                        ; implicit-def: $vgpr80_vgpr81
                                        ; implicit-def: $vgpr88
                                        ; implicit-def: $vgpr78_vgpr79
                                        ; implicit-def: $vgpr89
                                        ; implicit-def: $vgpr84_vgpr85
                                        ; implicit-def: $vgpr90
                                        ; implicit-def: $vgpr76_vgpr77
                                        ; implicit-def: $vgpr93
                                        ; implicit-def: $vgpr82_vgpr83
                                        ; implicit-def: $vgpr95
                                        ; implicit-def: $vgpr72_vgpr73
                                        ; implicit-def: $vgpr97
                                        ; implicit-def: $vgpr74_vgpr75
                                        ; implicit-def: $vgpr100
                                        ; implicit-def: $vgpr70_vgpr71
                                        ; implicit-def: $vgpr102
                                        ; implicit-def: $vgpr68_vgpr69
                                        ; implicit-def: $vgpr105
                                        ; implicit-def: $vgpr64_vgpr65
                                        ; implicit-def: $vgpr108
                                        ; implicit-def: $vgpr62_vgpr63
                                        ; implicit-def: $vgpr111
                                        ; implicit-def: $vgpr60_vgpr61
                                        ; implicit-def: $vgpr44_vgpr45
                                        ; implicit-def: $vgpr92
                                        ; implicit-def: $vgpr30_vgpr31
                                        ; implicit-def: $vgpr91
                                        ; implicit-def: $vgpr34_vgpr35
                                        ; implicit-def: $vgpr94
                                        ; implicit-def: $vgpr36_vgpr37
                                        ; implicit-def: $vgpr96
                                        ; implicit-def: $vgpr98
                                        ; implicit-def: $vgpr99
                                        ; implicit-def: $vgpr101
                                        ; implicit-def: $vgpr103
                                        ; implicit-def: $vgpr106
                                        ; implicit-def: $vgpr107
                                        ; implicit-def: $vgpr110
                                        ; implicit-def: $vgpr112
                                        ; implicit-def: $vgpr1
                                        ; implicit-def: $vgpr38_vgpr39
                                        ; implicit-def: $vgpr40_vgpr41
                                        ; implicit-def: $vgpr42_vgpr43
                                        ; implicit-def: $vgpr46_vgpr47
                                        ; implicit-def: $vgpr48_vgpr49
                                        ; implicit-def: $vgpr50_vgpr51
                                        ; implicit-def: $vgpr52_vgpr53
                                        ; implicit-def: $vgpr54_vgpr55
                                        ; implicit-def: $vgpr32_vgpr33
                                        ; implicit-def: $vgpr58_vgpr59
	v_lshlrev_b32_e32 v56, 3, v0
	s_cbranch_execz .LBB353_82
.LBB353_77:
	s_clause 0xd
	flat_load_b64 v[2:3], v0, s[16:17] scale_offset
	flat_load_b64 v[4:5], v0, s[16:17] offset:2048 scale_offset
	flat_load_b64 v[6:7], v0, s[16:17] offset:4096 scale_offset
	;; [unrolled: 1-line block ×13, first 2 shown]
	v_mov_b32_e32 v1, 0
	s_mov_b32 s0, exec_lo
	s_wait_loadcnt_dscnt 0xc0c
	ds_store_2addr_stride64_b64 v56, v[2:3], v[4:5] offset1:4
	s_wait_loadcnt_dscnt 0xa0b
	ds_store_2addr_stride64_b64 v56, v[6:7], v[8:9] offset0:8 offset1:12
	s_wait_loadcnt_dscnt 0x80a
	ds_store_2addr_stride64_b64 v56, v[10:11], v[12:13] offset0:16 offset1:20
	;; [unrolled: 2-line block ×6, first 2 shown]
	s_wait_dscnt 0x0
	s_barrier_signal -1
	s_barrier_wait -1
	flat_load_b64 v[58:59], v1, s[16:17] offset:28672
	s_wait_xcnt 0x0
	v_mad_u32_u24 v1, 0x68, v0, v56
	ds_load_b128 v[38:41], v1
	ds_load_b128 v[34:37], v1 offset:16
	ds_load_b128 v[26:29], v1 offset:32
	;; [unrolled: 1-line block ×6, first 2 shown]
	v_mad_i32_i24 v14, 0xffffff98, v0, v1
	s_wait_dscnt 0x6
	ds_store_b64 v14, v[38:39] offset:30720
	s_wait_loadcnt_dscnt 0x0
	s_barrier_signal -1
	s_barrier_wait -1
	v_cmpx_ne_u32_e32 0xff, v0
; %bb.78:
	v_mul_i32_i24_e32 v14, 0xffffff98, v0
	s_delay_alu instid0(VALU_DEP_1)
	v_add_nc_u32_e32 v14, v1, v14
	ds_load_b64 v[58:59], v14 offset:30728
; %bb.79:
	s_or_b32 exec_lo, exec_lo, s0
	s_wait_dscnt 0x0
	s_barrier_signal -1
	s_barrier_wait -1
	s_clause 0xd
	flat_load_b64 v[14:15], v0, s[14:15] scale_offset
	flat_load_b64 v[16:17], v0, s[14:15] offset:2048 scale_offset
	flat_load_b64 v[22:23], v0, s[14:15] offset:4096 scale_offset
	;; [unrolled: 1-line block ×13, first 2 shown]
	s_mov_b32 s1, exec_lo
	v_cmp_ne_u64_e32 vcc_lo, v[38:39], v[40:41]
	s_wait_loadcnt_dscnt 0xc0c
	ds_store_2addr_stride64_b64 v56, v[14:15], v[16:17] offset1:4
	s_wait_loadcnt_dscnt 0xa0b
	ds_store_2addr_stride64_b64 v56, v[22:23], v[24:25] offset0:8 offset1:12
	s_wait_loadcnt_dscnt 0x80a
	ds_store_2addr_stride64_b64 v56, v[30:31], v[32:33] offset0:16 offset1:20
	;; [unrolled: 2-line block ×6, first 2 shown]
	s_wait_dscnt 0x0
	s_barrier_signal -1
	s_barrier_wait -1
	ds_load_2addr_b64 v[50:53], v1 offset0:1 offset1:2
	ds_load_2addr_b64 v[46:49], v1 offset0:3 offset1:4
	;; [unrolled: 1-line block ×6, first 2 shown]
	ds_load_b64 v[54:55], v1 offset:104
	v_mov_b64_e32 v[60:61], s[48:49]
	v_cmpx_eq_u64_e64 v[38:39], v[40:41]
; %bb.80:
	ds_load_b64 v[60:61], v1
; %bb.81:
	s_or_b32 exec_lo, exec_lo, s1
	v_cndmask_b32_e64 v111, 0, 1, vcc_lo
	v_cmp_ne_u64_e32 vcc_lo, v[40:41], v[34:35]
	v_cmp_ne_u64_e64 s0, v[34:35], v[36:37]
	v_cmp_ne_u64_e64 s1, v[36:37], v[26:27]
	;; [unrolled: 1-line block ×12, first 2 shown]
	s_wait_dscnt 0x6
	v_cndmask_b32_e64 v63, v51, s49, vcc_lo
	v_cndmask_b32_e64 v62, v50, s48, vcc_lo
	v_cndmask_b32_e64 v65, v53, s49, s0
	v_cndmask_b32_e64 v64, v52, s48, s0
	s_wait_dscnt 0x5
	v_cndmask_b32_e64 v69, v47, s49, s1
	v_cndmask_b32_e64 v68, v46, s48, s1
	v_cndmask_b32_e64 v71, v49, s49, s2
	v_cndmask_b32_e64 v70, v48, s48, s2
	s_wait_dscnt 0x4
	v_cndmask_b32_e64 v75, v43, s49, s3
	v_cndmask_b32_e64 v74, v42, s48, s3
	;; [unrolled: 5-line block ×5, first 2 shown]
	v_cndmask_b32_e64 v66, v16, s48, s10
	v_cndmask_b32_e64 v80, v14, s48, s9
	v_cndmask_b32_e64 v108, 0, 1, vcc_lo
	v_cndmask_b32_e64 v105, 0, 1, s0
	v_cndmask_b32_e64 v102, 0, 1, s1
	;; [unrolled: 1-line block ×11, first 2 shown]
	s_wait_dscnt 0x0
	v_cndmask_b32_e64 v45, v55, s49, s19
	v_cndmask_b32_e64 v44, v54, s48, s19
	v_mov_b64_e32 v[30:31], v[66:67]
	v_mov_b64_e32 v[34:35], v[80:81]
	;; [unrolled: 1-line block ×13, first 2 shown]
	v_dual_mov_b32 v92, v86 :: v_dual_mov_b32 v91, v87
	v_dual_mov_b32 v94, v88 :: v_dual_mov_b32 v96, v89
	;; [unrolled: 1-line block ×6, first 2 shown]
	v_mov_b32_e32 v1, v111
	s_mov_b32 s3, -1
.LBB353_82:
	v_mov_b32_e32 v57, 0
	s_and_saveexec_b32 s0, s3
	s_cbranch_execz .LBB353_84
; %bb.83:
	v_mov_b64_e32 v[58:59], v[60:61]
	v_mov_b64_e32 v[32:33], v[62:63]
	;; [unrolled: 1-line block ×13, first 2 shown]
	v_cndmask_b32_e64 v57, 0, 1, s19
	v_dual_mov_b32 v1, v111 :: v_dual_mov_b32 v112, v108
	v_dual_mov_b32 v110, v105 :: v_dual_mov_b32 v107, v102
	;; [unrolled: 1-line block ×6, first 2 shown]
	v_mov_b32_e32 v92, v86
.LBB353_84:
	s_or_b32 exec_lo, exec_lo, s0
	v_dual_lshrrev_b32 v65, 1, v0 :: v_dual_bitop2_b32 v67, 1, v1 bitop3:0x40
	v_and_b32_e32 v66, 1, v107
	v_and_b32_e32 v64, 1, v101
	;; [unrolled: 1-line block ×4, first 2 shown]
	v_cmp_eq_u32_e64 s12, 1, v67
	v_and_b32_e32 v84, 0xff, v112
	v_and_b32_e32 v83, 0xff, v110
	v_bitop3_b16 v69, v110, 0xff, v112 bitop3:0xc8
	v_and_b32_e32 v82, 0xff, v107
	v_cmp_eq_u32_e64 s13, 1, v66
	v_and_b32_e32 v81, 0xff, v106
	v_and_b32_e32 v80, 0xff, v103
	v_bitop3_b16 v70, v103, 0xff, v106 bitop3:0xc8
	v_and_b32_e32 v79, 0xff, v101
	;; [unrolled: 5-line block ×4, first 2 shown]
	v_cmp_eq_u32_e64 s17, 1, v62
	v_cmp_eq_u16_e64 s16, 0, v57
	v_and_b32_e32 v68, 1, v57
	s_cmp_lg_u32 s46, 0
	v_cmp_gt_u32_e32 vcc_lo, 32, v0
	s_barrier_signal -1
	s_barrier_wait -1
	s_cbranch_scc0 .LBB353_146
; %bb.85:
	v_cmp_eq_u16_e64 s0, 0, v84
	v_cmp_eq_u16_e64 s1, 0, v83
	;; [unrolled: 1-line block ×5, first 2 shown]
	v_dual_cndmask_b32 v3, 0, v59, s0 :: v_dual_cndmask_b32 v2, 0, v58, s0
	v_cmp_eq_u16_e64 s5, 0, v79
	v_cmp_eq_u16_e64 s6, 0, v78
	;; [unrolled: 1-line block ×4, first 2 shown]
	v_add_nc_u64_e32 v[2:3], v[2:3], v[32:33]
	v_cmp_eq_u16_e64 s9, 0, v75
	v_cmp_eq_u16_e64 s10, 0, v74
	;; [unrolled: 1-line block ×3, first 2 shown]
	v_cmp_ne_u16_e64 s20, 0, v72
	v_cmp_ne_u16_e64 s21, 0, v71
	v_cmp_eq_u32_e64 s22, 1, v68
	v_dual_cndmask_b32 v3, 0, v3, s1 :: v_dual_cndmask_b32 v2, 0, v2, s1
	v_cmp_ne_u16_e64 s19, 0, v70
	s_or_b32 s17, s20, s17
	v_cmp_ne_u16_e64 s18, 0, v69
	s_or_b32 s15, s21, s15
	v_add_nc_u64_e32 v[2:3], v[2:3], v[54:55]
	s_or_b32 s17, s22, s17
	s_or_b32 s14, s19, s14
	;; [unrolled: 1-line block ×5, first 2 shown]
	v_and_b32_e32 v4, 0x70, v65
	v_dual_cndmask_b32 v3, 0, v3, s2 :: v_dual_cndmask_b32 v2, 0, v2, s2
	s_or_b32 s13, s14, s13
	s_delay_alu instid0(SALU_CYCLE_1) | instskip(NEXT) | instid1(VALU_DEP_2)
	s_or_b32 s12, s13, s12
	v_lshl_add_u32 v4, v0, 4, v4
	s_delay_alu instid0(VALU_DEP_2) | instskip(SKIP_1) | instid1(VALU_DEP_2)
	v_add_nc_u64_e32 v[2:3], v[2:3], v[52:53]
	v_cndmask_b32_e64 v12, 0, 1, s12
	v_dual_cndmask_b32 v3, 0, v3, s3 :: v_dual_cndmask_b32 v2, 0, v2, s3
	s_delay_alu instid0(VALU_DEP_1) | instskip(NEXT) | instid1(VALU_DEP_1)
	v_add_nc_u64_e32 v[2:3], v[2:3], v[50:51]
	v_dual_cndmask_b32 v3, 0, v3, s4 :: v_dual_cndmask_b32 v2, 0, v2, s4
	s_delay_alu instid0(VALU_DEP_1) | instskip(NEXT) | instid1(VALU_DEP_1)
	v_add_nc_u64_e32 v[2:3], v[2:3], v[48:49]
	;; [unrolled: 3-line block ×9, first 2 shown]
	v_dual_cndmask_b32 v3, 0, v3, s16 :: v_dual_cndmask_b32 v2, 0, v2, s16
	s_delay_alu instid0(VALU_DEP_1)
	v_add_nc_u64_e32 v[2:3], v[2:3], v[44:45]
	ds_store_b64 v4, v[2:3]
	ds_store_b8 v4, v12 offset:8
	s_wait_dscnt 0x0
	s_barrier_signal -1
	s_barrier_wait -1
	s_and_saveexec_b32 s15, vcc_lo
	s_cbranch_execz .LBB353_97
; %bb.86:
	v_dual_lshlrev_b32 v4, 2, v0 :: v_dual_lshlrev_b32 v5, 7, v0
	s_delay_alu instid0(VALU_DEP_1) | instskip(NEXT) | instid1(VALU_DEP_1)
	v_and_b32_e32 v4, 0x3f0, v4
	v_add_nc_u32_e32 v8, v4, v5
	ds_load_u8 v10, v8 offset:24
	ds_load_b64 v[4:5], v8
	ds_load_2addr_b64 v[14:17], v8 offset0:2 offset1:4
	ds_load_u8 v11, v8 offset:40
	ds_load_b32 v9, v8 offset:8
	ds_load_u8 v13, v8 offset:56
	ds_load_u8 v22, v8 offset:72
	;; [unrolled: 1-line block ×4, first 2 shown]
	s_wait_dscnt 0x8
	v_cmp_eq_u16_e64 s12, 0, v10
	s_wait_dscnt 0x7
	s_delay_alu instid0(VALU_DEP_1)
	v_dual_cndmask_b32 v7, 0, v5, s12 :: v_dual_cndmask_b32 v6, 0, v4, s12
	s_wait_dscnt 0x5
	v_cmp_eq_u16_e64 s12, 0, v11
	ds_load_2addr_b64 v[18:21], v8 offset0:6 offset1:8
	s_wait_dscnt 0x4
	v_bitop3_b16 v10, v11, v13, v10 bitop3:0xfe
	s_wait_dscnt 0x1
	v_bitop3_b16 v11, v23, v24, v22 bitop3:0xfe
	v_add_nc_u64_e32 v[6:7], v[6:7], v[14:15]
	s_delay_alu instid0(VALU_DEP_1) | instskip(SKIP_1) | instid1(VALU_DEP_2)
	v_dual_cndmask_b32 v7, 0, v7, s12 :: v_dual_cndmask_b32 v6, 0, v6, s12
	v_cmp_eq_u16_e64 s12, 0, v13
	v_add_nc_u64_e32 v[6:7], v[6:7], v[16:17]
	s_delay_alu instid0(VALU_DEP_1) | instskip(SKIP_2) | instid1(VALU_DEP_2)
	v_dual_cndmask_b32 v7, 0, v7, s12 :: v_dual_cndmask_b32 v6, 0, v6, s12
	v_cmp_eq_u16_e64 s12, 0, v22
	s_wait_dscnt 0x0
	v_add_nc_u64_e32 v[6:7], v[6:7], v[18:19]
	ds_load_2addr_b64 v[14:17], v8 offset0:10 offset1:12
	ds_load_u8 v18, v8 offset:120
	v_dual_cndmask_b32 v7, 0, v7, s12 :: v_dual_cndmask_b32 v6, 0, v6, s12
	v_cmp_eq_u16_e64 s12, 0, v23
	s_delay_alu instid0(VALU_DEP_2) | instskip(NEXT) | instid1(VALU_DEP_1)
	v_add_nc_u64_e32 v[6:7], v[6:7], v[20:21]
	v_dual_cndmask_b32 v7, 0, v7, s12 :: v_dual_cndmask_b32 v6, 0, v6, s12
	s_wait_dscnt 0x0
	v_bitop3_b16 v10, v18, v10, v11 bitop3:0xfe
	v_and_b32_e32 v11, 1, v9
	v_cmp_eq_u16_e64 s12, 0, v24
	v_cmp_eq_u16_e64 s14, 0, v18
	v_add_nc_u64_e32 v[6:7], v[6:7], v[14:15]
	ds_load_b64 v[14:15], v8 offset:112
	v_dual_cndmask_b32 v7, 0, v7, s12 :: v_dual_bitop2_b32 v10, 1, v10 bitop3:0x40
	v_cndmask_b32_e64 v6, 0, v6, s12
	v_cmp_eq_u32_e64 s12, 1, v11
	s_delay_alu instid0(VALU_DEP_3) | instskip(SKIP_4) | instid1(SALU_CYCLE_1)
	v_cmp_eq_u32_e64 s13, 1, v10
	v_and_b32_e32 v10, 0xffffff00, v9
	v_mbcnt_lo_u32_b32 v11, -1, 0
	v_add_nc_u64_e32 v[6:7], v[6:7], v[16:17]
	s_or_b32 s13, s13, s12
	v_cndmask_b32_e64 v16, 0, 1, s13
	v_cndmask_b32_e64 v13, 0, 1, s13
	s_delay_alu instid0(VALU_DEP_3) | instskip(SKIP_2) | instid1(VALU_DEP_1)
	v_dual_cndmask_b32 v7, 0, v7, s14 :: v_dual_cndmask_b32 v6, 0, v6, s14
	s_mov_b32 s14, exec_lo
	s_wait_dscnt 0x0
	v_add_nc_u64_e32 v[6:7], v[6:7], v[14:15]
	v_or_b32_e32 v15, v10, v16
	v_and_b32_e32 v14, 15, v11
	s_delay_alu instid0(VALU_DEP_2) | instskip(NEXT) | instid1(VALU_DEP_4)
	v_mov_b32_dpp v17, v15 row_shr:1 row_mask:0xf bank_mask:0xf
	v_mov_b32_dpp v16, v6 row_shr:1 row_mask:0xf bank_mask:0xf
	v_mov_b32_dpp v18, v7 row_shr:1 row_mask:0xf bank_mask:0xf
	s_delay_alu instid0(VALU_DEP_4)
	v_cmpx_ne_u32_e32 0, v14
; %bb.87:
	s_delay_alu instid0(VALU_DEP_4) | instskip(NEXT) | instid1(VALU_DEP_3)
	v_bitop3_b16 v13, v17, v13, 1 bitop3:0xec
	v_cndmask_b32_e64 v17, v18, 0, s13
	v_cndmask_b32_e64 v16, v16, 0, s13
	s_delay_alu instid0(VALU_DEP_3) | instskip(NEXT) | instid1(VALU_DEP_2)
	v_and_b32_e32 v15, 0xffff, v13
	v_add_nc_u64_e32 v[6:7], v[16:17], v[6:7]
	s_delay_alu instid0(VALU_DEP_2)
	v_or_b32_e32 v15, v10, v15
; %bb.88:
	s_or_b32 exec_lo, exec_lo, s14
	s_delay_alu instid0(VALU_DEP_2) | instskip(NEXT) | instid1(VALU_DEP_3)
	v_mov_b32_dpp v16, v6 row_shr:2 row_mask:0xf bank_mask:0xf
	v_mov_b32_dpp v17, v7 row_shr:2 row_mask:0xf bank_mask:0xf
	s_delay_alu instid0(VALU_DEP_3)
	v_mov_b32_dpp v18, v15 row_shr:2 row_mask:0xf bank_mask:0xf
	s_mov_b32 s16, exec_lo
	v_cmpx_lt_u32_e32 1, v14
	s_cbranch_execz .LBB353_90
; %bb.89:
	v_cmp_eq_u16_e64 s12, 0, v13
	v_and_b32_e32 v15, 1, v13
	s_delay_alu instid0(VALU_DEP_2) | instskip(SKIP_1) | instid1(VALU_DEP_3)
	v_dual_cndmask_b32 v17, 0, v17, s12 :: v_dual_bitop2_b32 v18, 1, v18 bitop3:0x40
	v_cndmask_b32_e64 v16, 0, v16, s12
	v_cmp_eq_u32_e64 s13, 1, v15
	s_delay_alu instid0(VALU_DEP_3) | instskip(NEXT) | instid1(VALU_DEP_3)
	v_cmp_eq_u32_e64 s14, 1, v18
	v_add_nc_u64_e32 v[6:7], v[16:17], v[6:7]
	s_or_b32 s12, s13, s14
	s_delay_alu instid0(SALU_CYCLE_1) | instskip(SKIP_1) | instid1(VALU_DEP_2)
	v_cndmask_b32_e64 v15, 0, 1, s12
	v_cndmask_b32_e64 v13, 0, 1, s12
	v_or_b32_e32 v15, v10, v15
.LBB353_90:
	s_or_b32 exec_lo, exec_lo, s16
	s_delay_alu instid0(VALU_DEP_4) | instskip(SKIP_1) | instid1(VALU_DEP_3)
	v_mov_b32_dpp v16, v6 row_shr:4 row_mask:0xf bank_mask:0xf
	v_mov_b32_dpp v17, v7 row_shr:4 row_mask:0xf bank_mask:0xf
	;; [unrolled: 1-line block ×3, first 2 shown]
	s_mov_b32 s16, exec_lo
	v_cmpx_lt_u32_e32 3, v14
	s_cbranch_execz .LBB353_92
; %bb.91:
	v_cmp_eq_u16_e64 s12, 0, v13
	v_and_b32_e32 v15, 1, v13
	s_delay_alu instid0(VALU_DEP_2) | instskip(SKIP_1) | instid1(VALU_DEP_3)
	v_dual_cndmask_b32 v17, 0, v17, s12 :: v_dual_bitop2_b32 v18, 1, v18 bitop3:0x40
	v_cndmask_b32_e64 v16, 0, v16, s12
	v_cmp_eq_u32_e64 s13, 1, v15
	s_delay_alu instid0(VALU_DEP_3) | instskip(NEXT) | instid1(VALU_DEP_3)
	v_cmp_eq_u32_e64 s14, 1, v18
	v_add_nc_u64_e32 v[6:7], v[16:17], v[6:7]
	s_or_b32 s12, s13, s14
	s_delay_alu instid0(SALU_CYCLE_1) | instskip(SKIP_1) | instid1(VALU_DEP_2)
	v_cndmask_b32_e64 v15, 0, 1, s12
	v_cndmask_b32_e64 v13, 0, 1, s12
	v_or_b32_e32 v15, v10, v15
.LBB353_92:
	s_or_b32 exec_lo, exec_lo, s16
	s_delay_alu instid0(VALU_DEP_4) | instskip(SKIP_1) | instid1(VALU_DEP_3)
	v_mov_b32_dpp v16, v6 row_shr:8 row_mask:0xf bank_mask:0xf
	v_mov_b32_dpp v17, v7 row_shr:8 row_mask:0xf bank_mask:0xf
	;; [unrolled: 1-line block ×3, first 2 shown]
	s_mov_b32 s16, exec_lo
	v_cmpx_lt_u32_e32 7, v14
	s_cbranch_execz .LBB353_94
; %bb.93:
	v_and_b32_e32 v14, 1, v13
	v_cmp_eq_u16_e64 s12, 0, v13
	v_and_b32_e32 v15, 1, v18
	s_delay_alu instid0(VALU_DEP_3) | instskip(NEXT) | instid1(VALU_DEP_3)
	v_cmp_eq_u32_e64 s13, 1, v14
	v_cndmask_b32_e64 v14, 0, v16, s12
	s_delay_alu instid0(VALU_DEP_3) | instskip(SKIP_2) | instid1(VALU_DEP_1)
	v_cmp_eq_u32_e64 s14, 1, v15
	v_cndmask_b32_e64 v15, 0, v17, s12
	s_or_b32 s12, s13, s14
	v_add_nc_u64_e32 v[6:7], v[14:15], v[6:7]
	v_cndmask_b32_e64 v16, 0, 1, s12
	v_cndmask_b32_e64 v13, 0, 1, s12
	s_delay_alu instid0(VALU_DEP_2)
	v_or_b32_e32 v15, v10, v16
.LBB353_94:
	s_or_b32 exec_lo, exec_lo, s16
	ds_swizzle_b32 v14, v6 offset:swizzle(BROADCAST,32,15)
	ds_swizzle_b32 v16, v7 offset:swizzle(BROADCAST,32,15)
	;; [unrolled: 1-line block ×3, first 2 shown]
	v_and_b32_e32 v17, 16, v11
	s_mov_b32 s14, exec_lo
	s_delay_alu instid0(VALU_DEP_1)
	v_cmpx_ne_u32_e32 0, v17
	s_cbranch_execz .LBB353_96
; %bb.95:
	v_cmp_eq_u16_e64 s12, 0, v13
	v_and_b32_e32 v13, 1, v13
	s_wait_dscnt 0x0
	s_delay_alu instid0(VALU_DEP_2) | instskip(SKIP_1) | instid1(VALU_DEP_3)
	v_dual_cndmask_b32 v14, 0, v14, s12 :: v_dual_bitop2_b32 v17, 1, v15 bitop3:0x40
	v_cndmask_b32_e64 v15, 0, v16, s12
	v_cmp_eq_u32_e64 s12, 1, v13
	s_delay_alu instid0(VALU_DEP_3) | instskip(NEXT) | instid1(VALU_DEP_3)
	v_cmp_eq_u32_e64 s13, 1, v17
	v_add_nc_u64_e32 v[6:7], v[14:15], v[6:7]
	s_or_b32 s12, s12, s13
	s_delay_alu instid0(SALU_CYCLE_1)
	v_cndmask_b32_e64 v13, 0, 1, s12
.LBB353_96:
	s_or_b32 exec_lo, exec_lo, s14
	s_wait_dscnt 0x2
	v_add_nc_u32_e32 v14, -1, v11
	s_delay_alu instid0(VALU_DEP_2) | instskip(NEXT) | instid1(VALU_DEP_2)
	v_and_b32_e32 v13, 0xffff, v13
	; wave barrier
	v_cmp_gt_i32_e64 s12, 0, v14
	s_delay_alu instid0(VALU_DEP_1) | instskip(NEXT) | instid1(VALU_DEP_1)
	v_cndmask_b32_e64 v11, v14, v11, s12
	v_lshlrev_b32_e32 v11, 2, v11
	ds_bpermute_b32 v7, v11, v7
	ds_bpermute_b32 v6, v11, v6
	v_or_b32_e32 v10, v10, v13
	ds_bpermute_b32 v10, v11, v10
	v_and_b32_e32 v11, 0xff, v9
	s_delay_alu instid0(VALU_DEP_1) | instskip(SKIP_1) | instid1(VALU_DEP_1)
	v_cmp_eq_u32_e64 s12, 0, v11
	s_wait_dscnt 0x1
	v_dual_cndmask_b32 v7, 0, v7, s12 :: v_dual_cndmask_b32 v6, 0, v6, s12
	v_cmp_eq_u32_e64 s12, 0, v0
	s_delay_alu instid0(VALU_DEP_2) | instskip(SKIP_1) | instid1(VALU_DEP_1)
	v_add_nc_u64_e32 v[4:5], v[6:7], v[4:5]
	s_wait_dscnt 0x0
	v_dual_cndmask_b32 v11, v5, v3, s12 :: v_dual_bitop2_b32 v9, v10, v9 bitop3:0x54
	s_delay_alu instid0(VALU_DEP_1) | instskip(NEXT) | instid1(VALU_DEP_1)
	v_dual_cndmask_b32 v10, v4, v2, s12 :: v_dual_bitop2_b32 v6, 1, v9 bitop3:0x40
	v_cndmask_b32_e64 v9, v6, v12, s12
	ds_store_b64 v8, v[10:11]
	ds_store_b8 v8, v9 offset:8
	; wave barrier
	ds_load_u8 v13, v8 offset:24
	ds_load_2addr_b64 v[4:7], v8 offset0:2 offset1:4
	ds_load_u8 v24, v8 offset:40
	ds_load_u8 v25, v8 offset:56
	;; [unrolled: 1-line block ×5, first 2 shown]
	ds_load_b64 v[18:19], v8 offset:112
	ds_load_u8 v29, v8 offset:120
	s_wait_dscnt 0x8
	v_and_b32_e32 v14, 0xff, v13
	s_wait_dscnt 0x5
	v_and_b32_e32 v22, 0xff, v25
	s_delay_alu instid0(VALU_DEP_2) | instskip(SKIP_3) | instid1(VALU_DEP_3)
	v_cmp_eq_u16_e64 s12, 0, v14
	v_and_b32_e32 v14, 0xff, v24
	s_wait_dscnt 0x3
	v_and_b32_e32 v60, 0xff, v27
	v_dual_cndmask_b32 v11, 0, v11, s12 :: v_dual_cndmask_b32 v10, 0, v10, s12
	s_delay_alu instid0(VALU_DEP_3) | instskip(SKIP_3) | instid1(VALU_DEP_1)
	v_cmp_eq_u16_e64 s12, 0, v14
	ds_load_2addr_b64 v[14:17], v8 offset0:6 offset1:8
	v_bitop3_b16 v61, v13, 1, v9 bitop3:0xc8
	v_add_nc_u64_e32 v[10:11], v[10:11], v[4:5]
	v_dual_cndmask_b32 v5, 0, v11, s12 :: v_dual_cndmask_b32 v4, 0, v10, s12
	v_cmp_eq_u16_e64 s12, 0, v22
	s_delay_alu instid0(VALU_DEP_2) | instskip(SKIP_1) | instid1(VALU_DEP_2)
	v_add_nc_u64_e32 v[20:21], v[4:5], v[6:7]
	v_and_b32_e32 v6, 0xff, v26
	v_dual_cndmask_b32 v5, 0, v21, s12 :: v_dual_cndmask_b32 v4, 0, v20, s12
	s_delay_alu instid0(VALU_DEP_2) | instskip(SKIP_1) | instid1(VALU_DEP_2)
	v_cmp_eq_u16_e64 s12, 0, v6
	s_wait_dscnt 0x0
	v_add_nc_u64_e32 v[14:15], v[4:5], v[14:15]
	ds_load_2addr_b64 v[4:7], v8 offset0:10 offset1:12
	v_dual_cndmask_b32 v23, 0, v15, s12 :: v_dual_cndmask_b32 v22, 0, v14, s12
	v_cmp_eq_u16_e64 s12, 0, v60
	v_and_b32_e32 v60, 0xff, v28
	s_delay_alu instid0(VALU_DEP_3) | instskip(NEXT) | instid1(VALU_DEP_1)
	v_add_nc_u64_e32 v[16:17], v[22:23], v[16:17]
	v_dual_cndmask_b32 v23, 0, v17, s12 :: v_dual_cndmask_b32 v22, 0, v16, s12
	s_delay_alu instid0(VALU_DEP_3) | instskip(SKIP_4) | instid1(VALU_DEP_3)
	v_cmp_eq_u16_e64 s12, 0, v60
	v_or_b32_e32 v60, v13, v9
	v_bitop3_b16 v9, v24, v13, v9 bitop3:0xfe
	s_wait_dscnt 0x0
	v_add_nc_u64_e32 v[4:5], v[22:23], v[4:5]
	v_bitop3_b16 v13, v25, v24, v60 bitop3:0xfe
	v_bitop3_b16 v24, v24, 1, v60 bitop3:0xc8
	;; [unrolled: 1-line block ×4, first 2 shown]
	v_dual_cndmask_b32 v23, 0, v5, s12 :: v_dual_cndmask_b32 v22, 0, v4, s12
	v_cmp_eq_u16_e64 s12, 0, v29
	s_delay_alu instid0(VALU_DEP_3) | instskip(SKIP_1) | instid1(VALU_DEP_4)
	v_bitop3_b16 v25, v28, v27, v9 bitop3:0xfe
	v_bitop3_b16 v9, v27, 1, v9 bitop3:0xc8
	v_add_nc_u64_e32 v[6:7], v[22:23], v[6:7]
	v_bitop3_b16 v22, v27, v26, v13 bitop3:0xfe
	v_bitop3_b16 v13, v26, 1, v13 bitop3:0xc8
	ds_store_2addr_b64 v8, v[10:11], v[20:21] offset0:2 offset1:4
	ds_store_2addr_b64 v8, v[14:15], v[16:17] offset0:6 offset1:8
	;; [unrolled: 1-line block ×3, first 2 shown]
	v_bitop3_b16 v26, v28, 1, v22 bitop3:0xc8
	v_dual_cndmask_b32 v23, 0, v7, s12 :: v_dual_cndmask_b32 v22, 0, v6, s12
	v_bitop3_b16 v25, v29, 1, v25 bitop3:0xc8
	s_delay_alu instid0(VALU_DEP_2)
	v_add_nc_u64_e32 v[4:5], v[22:23], v[18:19]
	ds_store_b8 v8, v61 offset:24
	ds_store_b8 v8, v24 offset:40
	;; [unrolled: 1-line block ×6, first 2 shown]
	ds_store_b64 v8, v[4:5] offset:112
	ds_store_b8 v8, v25 offset:120
.LBB353_97:
	s_or_b32 exec_lo, exec_lo, s15
	v_cmp_eq_u32_e64 s12, 0, v0
	s_mov_b32 s14, exec_lo
	s_wait_dscnt 0x0
	s_barrier_signal -1
	s_barrier_wait -1
	v_cmpx_ne_u32_e32 0, v0
	s_cbranch_execz .LBB353_99
; %bb.98:
	v_add_nc_u32_e32 v2, -1, v0
	s_delay_alu instid0(VALU_DEP_1) | instskip(NEXT) | instid1(VALU_DEP_1)
	v_lshrrev_b32_e32 v3, 1, v2
	v_and_b32_e32 v3, 0x7ffffff0, v3
	s_delay_alu instid0(VALU_DEP_1)
	v_lshl_add_u32 v4, v2, 4, v3
	ds_load_b64 v[2:3], v4
	ds_load_u8 v12, v4 offset:8
.LBB353_99:
	s_or_b32 exec_lo, exec_lo, s14
	s_and_saveexec_b32 s16, vcc_lo
	s_cbranch_execz .LBB353_151
; %bb.100:
	v_mov_b32_e32 v9, 0
	v_mbcnt_lo_u32_b32 v14, -1, 0
	s_mov_b32 s15, 0
	ds_load_b64 v[4:5], v9 offset:4192
	ds_load_u8 v13, v9 offset:4200
	v_cmp_eq_u32_e64 s13, 0, v14
	s_and_saveexec_b32 s17, s13
	s_cbranch_execz .LBB353_102
; %bb.101:
	s_add_co_i32 s14, s46, 32
	s_delay_alu instid0(SALU_CYCLE_1) | instskip(SKIP_1) | instid1(SALU_CYCLE_1)
	v_dual_mov_b32 v6, 1 :: v_dual_mov_b32 v7, s14
	s_lshl_b64 s[18:19], s[14:15], 4
	s_add_nc_u64 s[14:15], s[36:37], s[18:19]
	s_wait_dscnt 0x1
	global_store_b64 v9, v[4:5], s[14:15]
	s_wait_dscnt 0x0
	global_store_b8 v9, v13, s[14:15] offset:8
	global_wb scope:SCOPE_DEV
	s_wait_storecnt 0x0
	global_inv scope:SCOPE_DEV
	s_wait_xcnt 0x0
	global_store_b8 v7, v6, s[40:41] scope:SCOPE_DEV
.LBB353_102:
	s_wait_xcnt 0x0
	s_or_b32 exec_lo, exec_lo, s17
	v_xad_u32 v6, v14, -1, s46
	s_mov_b32 s14, exec_lo
	s_delay_alu instid0(VALU_DEP_1)
	v_add_nc_u32_e32 v8, 32, v6
	global_load_u8 v15, v8, s[40:41] scope:SCOPE_DEV
	s_wait_loadcnt 0x0
	v_cmpx_eq_u16_e32 0, v15
	s_cbranch_execz .LBB353_106
; %bb.103:
	v_add_nc_u64_e32 v[10:11], s[40:41], v[8:9]
	s_mov_b32 s15, 0
.LBB353_104:                            ; =>This Inner Loop Header: Depth=1
	global_load_u8 v15, v[10:11], off scope:SCOPE_DEV
	s_wait_loadcnt 0x0
	v_cmp_ne_u16_e32 vcc_lo, 0, v15
	s_or_b32 s15, vcc_lo, s15
	s_wait_xcnt 0x0
	s_and_not1_b32 exec_lo, exec_lo, s15
	s_cbranch_execnz .LBB353_104
; %bb.105:
	s_or_b32 exec_lo, exec_lo, s15
.LBB353_106:
	s_delay_alu instid0(SALU_CYCLE_1)
	s_or_b32 exec_lo, exec_lo, s14
	v_dual_mov_b32 v7, s37 :: v_dual_mov_b32 v10, s36
	v_cmp_eq_u16_e32 vcc_lo, 1, v15
	global_wb scope:SCOPE_DEV
	s_wait_storecnt_dscnt 0x0
	global_inv scope:SCOPE_DEV
	v_lshlrev_b32_e64 v17, v14, -1
	s_mov_b32 s14, exec_lo
	v_cndmask_b32_e32 v11, s39, v7, vcc_lo
	v_cndmask_b32_e32 v10, s38, v10, vcc_lo
	v_cmp_ne_u32_e32 vcc_lo, 31, v14
	v_add_co_ci_u32_e64 v7, null, 0, v14, vcc_lo
	v_cmp_eq_u16_e32 vcc_lo, 2, v15
	s_delay_alu instid0(VALU_DEP_2)
	v_lshlrev_b32_e32 v16, 2, v7
	v_lshl_add_u64 v[8:9], v[8:9], 4, v[10:11]
	s_clause 0x1
	global_load_u8 v27, v[8:9], off offset:8
	global_load_b64 v[10:11], v[8:9], off
	v_and_or_b32 v7, vcc_lo, v17, 0x80000000
	s_delay_alu instid0(VALU_DEP_1)
	v_ctz_i32_b32_e32 v7, v7
	s_wait_loadcnt 0x1
	s_wait_xcnt 0x0
	v_and_b32_e32 v8, 1, v27
	s_wait_loadcnt 0x0
	ds_bpermute_b32 v18, v16, v10
	ds_bpermute_b32 v19, v16, v11
	;; [unrolled: 1-line block ×3, first 2 shown]
	v_cmpx_lt_u32_e64 v14, v7
	s_cbranch_execz .LBB353_108
; %bb.107:
	v_and_b32_e32 v8, 0xff, v27
	s_wait_dscnt 0x0
	v_bitop3_b16 v27, v9, v27, 1 bitop3:0xec
	s_delay_alu instid0(VALU_DEP_2) | instskip(NEXT) | instid1(VALU_DEP_2)
	v_cmp_eq_u16_e32 vcc_lo, 0, v8
	v_and_b32_e32 v8, 0xff, v27
	v_dual_cndmask_b32 v19, 0, v19 :: v_dual_cndmask_b32 v18, 0, v18
	s_delay_alu instid0(VALU_DEP_1)
	v_add_nc_u64_e32 v[10:11], v[18:19], v[10:11]
.LBB353_108:
	s_or_b32 exec_lo, exec_lo, s14
	v_cmp_gt_u32_e32 vcc_lo, 30, v14
	s_wait_dscnt 0x1
	v_add_nc_u32_e32 v19, 2, v14
	s_mov_b32 s15, exec_lo
	s_wait_dscnt 0x0
	v_cndmask_b32_e64 v9, 0, 2, vcc_lo
	s_delay_alu instid0(VALU_DEP_1)
	v_add_lshl_u32 v18, v9, v14, 2
	ds_bpermute_b32 v9, v18, v10
	ds_bpermute_b32 v20, v18, v11
	;; [unrolled: 1-line block ×3, first 2 shown]
	v_cmpx_le_u32_e64 v19, v7
	s_cbranch_execz .LBB353_110
; %bb.109:
	v_and_b32_e32 v8, 0xff, v27
	s_delay_alu instid0(VALU_DEP_1) | instskip(SKIP_3) | instid1(VALU_DEP_2)
	v_cmp_eq_u16_e32 vcc_lo, 0, v8
	v_and_b32_e32 v22, 1, v27
	s_wait_dscnt 0x0
	v_dual_cndmask_b32 v21, 0, v20, vcc_lo :: v_dual_bitop2_b32 v8, 1, v21 bitop3:0x40
	v_cmp_eq_u32_e64 s14, 1, v22
	v_cndmask_b32_e32 v20, 0, v9, vcc_lo
	s_delay_alu instid0(VALU_DEP_3) | instskip(NEXT) | instid1(VALU_DEP_2)
	v_cmp_eq_u32_e32 vcc_lo, 1, v8
	v_add_nc_u64_e32 v[10:11], v[20:21], v[10:11]
	s_or_b32 s14, s14, vcc_lo
	s_delay_alu instid0(SALU_CYCLE_1)
	v_cndmask_b32_e64 v27, 0, 1, s14
	v_cndmask_b32_e64 v8, 0, 1, s14
.LBB353_110:
	s_or_b32 exec_lo, exec_lo, s15
	v_cmp_gt_u32_e32 vcc_lo, 28, v14
	s_wait_dscnt 0x0
	v_add_nc_u32_e32 v21, 4, v14
	s_mov_b32 s15, exec_lo
	v_cndmask_b32_e64 v9, 0, 4, vcc_lo
	s_delay_alu instid0(VALU_DEP_1)
	v_add_lshl_u32 v20, v9, v14, 2
	ds_bpermute_b32 v9, v20, v10
	ds_bpermute_b32 v22, v20, v11
	;; [unrolled: 1-line block ×3, first 2 shown]
	v_cmpx_le_u32_e64 v21, v7
	s_cbranch_execz .LBB353_112
; %bb.111:
	v_and_b32_e32 v8, 0xff, v27
	s_delay_alu instid0(VALU_DEP_1) | instskip(SKIP_3) | instid1(VALU_DEP_2)
	v_cmp_eq_u16_e32 vcc_lo, 0, v8
	v_and_b32_e32 v24, 1, v27
	s_wait_dscnt 0x0
	v_dual_cndmask_b32 v23, 0, v22, vcc_lo :: v_dual_bitop2_b32 v8, 1, v23 bitop3:0x40
	v_cmp_eq_u32_e64 s14, 1, v24
	v_cndmask_b32_e32 v22, 0, v9, vcc_lo
	s_delay_alu instid0(VALU_DEP_3) | instskip(NEXT) | instid1(VALU_DEP_2)
	v_cmp_eq_u32_e32 vcc_lo, 1, v8
	v_add_nc_u64_e32 v[10:11], v[22:23], v[10:11]
	s_or_b32 s14, s14, vcc_lo
	s_delay_alu instid0(SALU_CYCLE_1)
	v_cndmask_b32_e64 v27, 0, 1, s14
	v_cndmask_b32_e64 v8, 0, 1, s14
.LBB353_112:
	s_or_b32 exec_lo, exec_lo, s15
	v_cmp_gt_u32_e32 vcc_lo, 24, v14
	s_wait_dscnt 0x0
	v_add_nc_u32_e32 v23, 8, v14
	s_mov_b32 s15, exec_lo
	v_cndmask_b32_e64 v9, 0, 8, vcc_lo
	s_delay_alu instid0(VALU_DEP_1)
	v_add_lshl_u32 v22, v9, v14, 2
	ds_bpermute_b32 v9, v22, v10
	ds_bpermute_b32 v24, v22, v11
	;; [unrolled: 1-line block ×3, first 2 shown]
	v_cmpx_le_u32_e64 v23, v7
	s_cbranch_execz .LBB353_114
; %bb.113:
	v_and_b32_e32 v8, 0xff, v27
	s_delay_alu instid0(VALU_DEP_1) | instskip(SKIP_3) | instid1(VALU_DEP_2)
	v_cmp_eq_u16_e32 vcc_lo, 0, v8
	v_and_b32_e32 v26, 1, v27
	s_wait_dscnt 0x0
	v_dual_cndmask_b32 v25, 0, v24, vcc_lo :: v_dual_bitop2_b32 v8, 1, v25 bitop3:0x40
	v_cmp_eq_u32_e64 s14, 1, v26
	v_cndmask_b32_e32 v24, 0, v9, vcc_lo
	s_delay_alu instid0(VALU_DEP_3) | instskip(NEXT) | instid1(VALU_DEP_2)
	v_cmp_eq_u32_e32 vcc_lo, 1, v8
	v_add_nc_u64_e32 v[10:11], v[24:25], v[10:11]
	s_or_b32 s14, s14, vcc_lo
	s_delay_alu instid0(SALU_CYCLE_1)
	v_cndmask_b32_e64 v27, 0, 1, s14
	v_cndmask_b32_e64 v8, 0, 1, s14
.LBB353_114:
	s_or_b32 exec_lo, exec_lo, s15
	s_wait_dscnt 0x1
	v_lshl_or_b32 v24, v14, 2, 64
	v_add_nc_u32_e32 v26, 16, v14
	s_mov_b32 s15, exec_lo
	ds_bpermute_b32 v9, v24, v10
	s_wait_dscnt 0x1
	ds_bpermute_b32 v25, v24, v11
	ds_bpermute_b32 v8, v24, v8
	v_cmpx_le_u32_e64 v26, v7
	s_cbranch_execz .LBB353_116
; %bb.115:
	v_and_b32_e32 v7, 0xff, v27
	s_delay_alu instid0(VALU_DEP_1) | instskip(SKIP_4) | instid1(VALU_DEP_3)
	v_cmp_eq_u16_e32 vcc_lo, 0, v7
	v_and_b32_e32 v7, 1, v27
	s_wait_dscnt 0x0
	v_dual_cndmask_b32 v28, 0, v9, vcc_lo :: v_dual_bitop2_b32 v8, 1, v8 bitop3:0x40
	v_cndmask_b32_e32 v29, 0, v25, vcc_lo
	v_cmp_eq_u32_e32 vcc_lo, 1, v7
	s_delay_alu instid0(VALU_DEP_3) | instskip(NEXT) | instid1(VALU_DEP_3)
	v_cmp_eq_u32_e64 s14, 1, v8
	v_add_nc_u64_e32 v[10:11], v[28:29], v[10:11]
	s_or_b32 s14, vcc_lo, s14
	s_delay_alu instid0(SALU_CYCLE_1)
	v_cndmask_b32_e64 v27, 0, 1, s14
.LBB353_116:
	s_or_b32 exec_lo, exec_lo, s15
	v_mov_b32_e32 v7, 0
	s_branch .LBB353_119
.LBB353_117:                            ;   in Loop: Header=BB353_119 Depth=1
	s_or_b32 exec_lo, exec_lo, s17
	v_and_b32_e32 v27, 0xff, v25
	v_subrev_nc_u32_e32 v6, 32, v6
	s_delay_alu instid0(VALU_DEP_2) | instskip(SKIP_2) | instid1(VALU_DEP_2)
	v_cmp_eq_u16_e32 vcc_lo, 0, v27
	v_dual_cndmask_b32 v11, 0, v11, vcc_lo :: v_dual_bitop2_b32 v27, 1, v25 bitop3:0x40
	v_cndmask_b32_e32 v10, 0, v10, vcc_lo
	v_cmp_eq_u32_e32 vcc_lo, 1, v27
	s_delay_alu instid0(VALU_DEP_2) | instskip(SKIP_1) | instid1(SALU_CYCLE_1)
	v_add_nc_u64_e32 v[10:11], v[10:11], v[8:9]
	s_or_b32 s14, vcc_lo, s15
	v_cndmask_b32_e64 v27, 0, 1, s14
	s_mov_b32 s14, 0
.LBB353_118:                            ;   in Loop: Header=BB353_119 Depth=1
	s_delay_alu instid0(SALU_CYCLE_1)
	s_and_b32 vcc_lo, exec_lo, s14
	s_cbranch_vccnz .LBB353_147
.LBB353_119:                            ; =>This Loop Header: Depth=1
                                        ;     Child Loop BB353_122 Depth 2
	s_wait_dscnt 0x0
	v_and_b32_e32 v8, 0xff, v15
	v_mov_b32_e32 v25, v27
	s_mov_b32 s14, -1
                                        ; implicit-def: $vgpr27
                                        ; implicit-def: $vgpr15
	s_delay_alu instid0(VALU_DEP_2)
	v_cmp_ne_u16_e32 vcc_lo, 2, v8
	v_mov_b64_e32 v[8:9], v[10:11]
                                        ; implicit-def: $vgpr10_vgpr11
	s_cmp_lg_u32 vcc_lo, exec_lo
	s_cbranch_scc1 .LBB353_118
; %bb.120:                              ;   in Loop: Header=BB353_119 Depth=1
	global_load_u8 v15, v6, s[40:41] scope:SCOPE_DEV
	s_mov_b32 s14, exec_lo
	s_wait_loadcnt 0x0
	v_cmpx_eq_u16_e32 0, v15
	s_cbranch_execz .LBB353_124
; %bb.121:                              ;   in Loop: Header=BB353_119 Depth=1
	v_add_nc_u64_e32 v[10:11], s[40:41], v[6:7]
	s_mov_b32 s15, 0
.LBB353_122:                            ;   Parent Loop BB353_119 Depth=1
                                        ; =>  This Inner Loop Header: Depth=2
	global_load_u8 v15, v[10:11], off scope:SCOPE_DEV
	s_wait_loadcnt 0x0
	v_cmp_ne_u16_e32 vcc_lo, 0, v15
	s_or_b32 s15, vcc_lo, s15
	s_delay_alu instid0(SALU_CYCLE_1)
	s_and_not1_b32 exec_lo, exec_lo, s15
	s_cbranch_execnz .LBB353_122
; %bb.123:                              ;   in Loop: Header=BB353_119 Depth=1
	s_or_b32 exec_lo, exec_lo, s15
.LBB353_124:                            ;   in Loop: Header=BB353_119 Depth=1
	s_delay_alu instid0(SALU_CYCLE_1)
	s_or_b32 exec_lo, exec_lo, s14
	v_dual_mov_b32 v10, s37 :: v_dual_mov_b32 v27, s36
	v_cmp_eq_u16_e32 vcc_lo, 1, v15
	global_wb scope:SCOPE_DEV
	s_wait_storecnt 0x0
	global_inv scope:SCOPE_DEV
	s_mov_b32 s14, exec_lo
	v_cndmask_b32_e32 v11, s39, v10, vcc_lo
	v_cndmask_b32_e32 v10, s38, v27, vcc_lo
	v_cmp_eq_u16_e32 vcc_lo, 2, v15
	s_delay_alu instid0(VALU_DEP_2)
	v_lshl_add_u64 v[60:61], v[6:7], 4, v[10:11]
	v_and_or_b32 v27, vcc_lo, v17, 0x80000000
	s_clause 0x1
	global_load_u8 v28, v[60:61], off offset:8
	global_load_b64 v[10:11], v[60:61], off
	v_ctz_i32_b32_e32 v27, v27
	s_wait_loadcnt 0x1
	v_and_b32_e32 v29, 1, v28
	s_wait_loadcnt 0x0
	ds_bpermute_b32 v61, v16, v10
	ds_bpermute_b32 v85, v16, v11
	;; [unrolled: 1-line block ×3, first 2 shown]
	v_cmpx_lt_u32_e64 v14, v27
	s_cbranch_execz .LBB353_126
; %bb.125:                              ;   in Loop: Header=BB353_119 Depth=1
	v_and_b32_e32 v29, 0xff, v28
	s_wait_dscnt 0x0
	v_bitop3_b16 v28, v60, v28, 1 bitop3:0xec
	s_delay_alu instid0(VALU_DEP_2) | instskip(NEXT) | instid1(VALU_DEP_2)
	v_cmp_eq_u16_e32 vcc_lo, 0, v29
	v_and_b32_e32 v29, 0xff, v28
	v_cndmask_b32_e32 v87, 0, v85, vcc_lo
	v_cndmask_b32_e32 v86, 0, v61, vcc_lo
	s_delay_alu instid0(VALU_DEP_1)
	v_add_nc_u64_e32 v[10:11], v[86:87], v[10:11]
.LBB353_126:                            ;   in Loop: Header=BB353_119 Depth=1
	s_or_b32 exec_lo, exec_lo, s14
	s_wait_dscnt 0x0
	ds_bpermute_b32 v60, v18, v10
	ds_bpermute_b32 v61, v18, v11
	;; [unrolled: 1-line block ×3, first 2 shown]
	v_and_b32_e32 v86, 1, v28
	s_mov_b32 s14, exec_lo
	s_delay_alu instid0(VALU_DEP_1)
	v_cmp_eq_u32_e64 s15, 1, v86
	v_cmpx_le_u32_e64 v19, v27
	s_cbranch_execz .LBB353_128
; %bb.127:                              ;   in Loop: Header=BB353_119 Depth=1
	v_and_b32_e32 v28, 0xff, v28
	s_delay_alu instid0(VALU_DEP_1) | instskip(SKIP_3) | instid1(VALU_DEP_2)
	v_cmp_eq_u16_e32 vcc_lo, 0, v28
	s_wait_dscnt 0x0
	v_dual_cndmask_b32 v28, 0, v60, vcc_lo :: v_dual_bitop2_b32 v85, 1, v85 bitop3:0x40
	v_cndmask_b32_e32 v29, 0, v61, vcc_lo
	v_cmp_eq_u32_e32 vcc_lo, 1, v85
	s_delay_alu instid0(VALU_DEP_2)
	v_add_nc_u64_e32 v[10:11], v[28:29], v[10:11]
	s_or_b32 s17, s15, vcc_lo
	s_and_not1_b32 s15, s15, exec_lo
	v_cndmask_b32_e64 v28, 0, 1, s17
	v_cndmask_b32_e64 v29, 0, 1, s17
	s_and_b32 s17, s17, exec_lo
	s_delay_alu instid0(SALU_CYCLE_1)
	s_or_b32 s15, s15, s17
.LBB353_128:                            ;   in Loop: Header=BB353_119 Depth=1
	s_or_b32 exec_lo, exec_lo, s14
	s_wait_dscnt 0x2
	ds_bpermute_b32 v60, v20, v10
	s_wait_dscnt 0x2
	ds_bpermute_b32 v61, v20, v11
	;; [unrolled: 2-line block ×3, first 2 shown]
	s_mov_b32 s17, exec_lo
	v_cmpx_le_u32_e64 v21, v27
	s_cbranch_execz .LBB353_130
; %bb.129:                              ;   in Loop: Header=BB353_119 Depth=1
	v_and_b32_e32 v29, 0xff, v28
	s_and_not1_b32 s15, s15, exec_lo
	s_delay_alu instid0(VALU_DEP_1) | instskip(SKIP_4) | instid1(VALU_DEP_3)
	v_cmp_eq_u16_e32 vcc_lo, 0, v29
	v_and_b32_e32 v28, 1, v28
	s_wait_dscnt 0x0
	v_and_b32_e32 v85, 1, v85
	v_cndmask_b32_e32 v29, 0, v61, vcc_lo
	v_cmp_eq_u32_e64 s14, 1, v28
	v_cndmask_b32_e32 v28, 0, v60, vcc_lo
	s_delay_alu instid0(VALU_DEP_4) | instskip(NEXT) | instid1(VALU_DEP_2)
	v_cmp_eq_u32_e32 vcc_lo, 1, v85
	v_add_nc_u64_e32 v[10:11], v[28:29], v[10:11]
	s_or_b32 s14, s14, vcc_lo
	s_delay_alu instid0(SALU_CYCLE_1) | instskip(SKIP_2) | instid1(SALU_CYCLE_1)
	v_cndmask_b32_e64 v28, 0, 1, s14
	v_cndmask_b32_e64 v29, 0, 1, s14
	s_and_b32 s14, s14, exec_lo
	s_or_b32 s15, s15, s14
.LBB353_130:                            ;   in Loop: Header=BB353_119 Depth=1
	s_or_b32 exec_lo, exec_lo, s17
	s_wait_dscnt 0x2
	ds_bpermute_b32 v60, v22, v10
	s_wait_dscnt 0x2
	ds_bpermute_b32 v61, v22, v11
	;; [unrolled: 2-line block ×3, first 2 shown]
	s_mov_b32 s17, exec_lo
	v_cmpx_le_u32_e64 v23, v27
	s_cbranch_execz .LBB353_132
; %bb.131:                              ;   in Loop: Header=BB353_119 Depth=1
	v_and_b32_e32 v29, 0xff, v28
	s_and_not1_b32 s15, s15, exec_lo
	s_delay_alu instid0(VALU_DEP_1) | instskip(SKIP_4) | instid1(VALU_DEP_3)
	v_cmp_eq_u16_e32 vcc_lo, 0, v29
	v_and_b32_e32 v28, 1, v28
	s_wait_dscnt 0x0
	v_and_b32_e32 v85, 1, v85
	v_cndmask_b32_e32 v29, 0, v61, vcc_lo
	v_cmp_eq_u32_e64 s14, 1, v28
	v_cndmask_b32_e32 v28, 0, v60, vcc_lo
	s_delay_alu instid0(VALU_DEP_4) | instskip(NEXT) | instid1(VALU_DEP_2)
	v_cmp_eq_u32_e32 vcc_lo, 1, v85
	v_add_nc_u64_e32 v[10:11], v[28:29], v[10:11]
	s_or_b32 s14, s14, vcc_lo
	s_delay_alu instid0(SALU_CYCLE_1) | instskip(SKIP_2) | instid1(SALU_CYCLE_1)
	v_cndmask_b32_e64 v28, 0, 1, s14
	v_cndmask_b32_e64 v29, 0, 1, s14
	s_and_b32 s14, s14, exec_lo
	s_or_b32 s15, s15, s14
.LBB353_132:                            ;   in Loop: Header=BB353_119 Depth=1
	s_or_b32 exec_lo, exec_lo, s17
	s_wait_dscnt 0x2
	ds_bpermute_b32 v60, v24, v10
	s_wait_dscnt 0x2
	ds_bpermute_b32 v61, v24, v11
	ds_bpermute_b32 v29, v24, v29
	s_mov_b32 s17, exec_lo
	v_cmpx_le_u32_e64 v26, v27
	s_cbranch_execz .LBB353_117
; %bb.133:                              ;   in Loop: Header=BB353_119 Depth=1
	v_and_b32_e32 v27, 0xff, v28
	s_and_not1_b32 s15, s15, exec_lo
	s_delay_alu instid0(VALU_DEP_1) | instskip(SKIP_4) | instid1(VALU_DEP_3)
	v_cmp_eq_u16_e32 vcc_lo, 0, v27
	v_and_b32_e32 v27, 1, v28
	s_wait_dscnt 0x0
	v_dual_cndmask_b32 v28, 0, v60, vcc_lo :: v_dual_bitop2_b32 v85, 1, v29 bitop3:0x40
	v_cndmask_b32_e32 v29, 0, v61, vcc_lo
	v_cmp_eq_u32_e32 vcc_lo, 1, v27
	s_delay_alu instid0(VALU_DEP_3) | instskip(NEXT) | instid1(VALU_DEP_3)
	v_cmp_eq_u32_e64 s14, 1, v85
	v_add_nc_u64_e32 v[10:11], v[28:29], v[10:11]
	s_or_b32 s14, vcc_lo, s14
	s_delay_alu instid0(SALU_CYCLE_1) | instskip(NEXT) | instid1(SALU_CYCLE_1)
	s_and_b32 s14, s14, exec_lo
	s_or_b32 s15, s15, s14
	s_branch .LBB353_117
.LBB353_134:
	s_or_b32 exec_lo, exec_lo, s13
                                        ; implicit-def: $vgpr32_vgpr33
	s_and_saveexec_b32 s13, s0
	s_cbranch_execz .LBB353_33
.LBB353_135:
	flat_load_b64 v[32:33], v0, s[14:15] offset:2048 scale_offset
	s_wait_xcnt 0x0
	s_or_b32 exec_lo, exec_lo, s13
                                        ; implicit-def: $vgpr34_vgpr35
	s_and_saveexec_b32 s0, s1
	s_cbranch_execnz .LBB353_34
.LBB353_136:
	s_or_b32 exec_lo, exec_lo, s0
                                        ; implicit-def: $vgpr36_vgpr37
	s_and_saveexec_b32 s0, s2
	s_cbranch_execz .LBB353_35
.LBB353_137:
	flat_load_b64 v[36:37], v0, s[14:15] offset:6144 scale_offset
	s_wait_xcnt 0x0
	s_or_b32 exec_lo, exec_lo, s0
                                        ; implicit-def: $vgpr38_vgpr39
	s_and_saveexec_b32 s0, s3
	s_cbranch_execnz .LBB353_36
.LBB353_138:
	s_or_b32 exec_lo, exec_lo, s0
                                        ; implicit-def: $vgpr40_vgpr41
	s_and_saveexec_b32 s0, s4
	s_cbranch_execz .LBB353_37
.LBB353_139:
	flat_load_b64 v[40:41], v0, s[14:15] offset:10240 scale_offset
	s_wait_xcnt 0x0
	s_or_b32 exec_lo, exec_lo, s0
                                        ; implicit-def: $vgpr42_vgpr43
	s_and_saveexec_b32 s0, s5
	s_cbranch_execnz .LBB353_38
.LBB353_140:
	s_or_b32 exec_lo, exec_lo, s0
                                        ; implicit-def: $vgpr44_vgpr45
	s_and_saveexec_b32 s0, s6
	s_cbranch_execz .LBB353_39
.LBB353_141:
	flat_load_b64 v[44:45], v0, s[14:15] offset:14336 scale_offset
	s_wait_xcnt 0x0
	s_or_b32 exec_lo, exec_lo, s0
                                        ; implicit-def: $vgpr46_vgpr47
	s_and_saveexec_b32 s0, s7
	s_cbranch_execnz .LBB353_40
.LBB353_142:
	s_or_b32 exec_lo, exec_lo, s0
                                        ; implicit-def: $vgpr48_vgpr49
	s_and_saveexec_b32 s0, s8
	s_cbranch_execz .LBB353_41
.LBB353_143:
	flat_load_b64 v[48:49], v0, s[14:15] offset:18432 scale_offset
	s_wait_xcnt 0x0
	s_or_b32 exec_lo, exec_lo, s0
                                        ; implicit-def: $vgpr50_vgpr51
	s_and_saveexec_b32 s0, s9
	s_cbranch_execnz .LBB353_42
.LBB353_144:
	s_or_b32 exec_lo, exec_lo, s0
                                        ; implicit-def: $vgpr52_vgpr53
	s_and_saveexec_b32 s0, s10
	s_cbranch_execz .LBB353_43
.LBB353_145:
	flat_load_b64 v[52:53], v0, s[14:15] offset:22528 scale_offset
	s_wait_xcnt 0x0
	s_or_b32 exec_lo, exec_lo, s0
                                        ; implicit-def: $vgpr54_vgpr55
	s_and_saveexec_b32 s0, s11
	s_cbranch_execz .LBB353_45
	s_branch .LBB353_44
.LBB353_146:
                                        ; implicit-def: $vgpr60_vgpr61
                                        ; implicit-def: $vgpr26_vgpr27
                                        ; implicit-def: $vgpr24_vgpr25
                                        ; implicit-def: $vgpr20_vgpr21
                                        ; implicit-def: $vgpr16_vgpr17
                                        ; implicit-def: $vgpr8_vgpr9
                                        ; implicit-def: $vgpr12_vgpr13
                                        ; implicit-def: $vgpr4_vgpr5
	s_cbranch_execnz .LBB353_152
	s_branch .LBB353_171
.LBB353_147:
	s_and_saveexec_b32 s14, s13
	s_cbranch_execz .LBB353_149
; %bb.148:
	v_and_b32_e32 v6, 0xff, v13
	s_add_co_i32 s18, s46, 32
	s_mov_b32 s19, 0
	v_mov_b32_e32 v11, s18
	v_bitop3_b16 v10, v13, 1, v25 bitop3:0xc8
	v_cmp_eq_u32_e32 vcc_lo, 0, v6
	s_lshl_b64 s[20:21], s[18:19], 4
	s_delay_alu instid0(SALU_CYCLE_1) | instskip(SKIP_1) | instid1(VALU_DEP_1)
	s_add_nc_u64 s[18:19], s[38:39], s[20:21]
	v_dual_cndmask_b32 v7, 0, v9 :: v_dual_cndmask_b32 v6, 0, v8
	v_add_nc_u64_e32 v[4:5], v[6:7], v[4:5]
	v_dual_mov_b32 v6, 0 :: v_dual_mov_b32 v7, 2
	s_clause 0x1
	global_store_b64 v6, v[4:5], s[18:19]
	global_store_b8 v6, v10, s[18:19] offset:8
	global_wb scope:SCOPE_DEV
	s_wait_storecnt_dscnt 0x0
	global_inv scope:SCOPE_DEV
	s_wait_xcnt 0x0
	global_store_b8 v11, v7, s[40:41] scope:SCOPE_DEV
.LBB353_149:
	s_wait_xcnt 0x0
	s_or_b32 exec_lo, exec_lo, s14
	s_delay_alu instid0(SALU_CYCLE_1)
	s_and_b32 exec_lo, exec_lo, s12
	s_cbranch_execz .LBB353_151
; %bb.150:
	v_mov_b32_e32 v4, 0
	ds_store_b64 v4, v[8:9]
	ds_store_b8 v4, v25 offset:8
.LBB353_151:
	s_or_b32 exec_lo, exec_lo, s16
	s_wait_dscnt 0x0
	v_and_b32_e32 v6, 0xff, v12
	s_wait_loadcnt 0x0
	s_wait_storecnt 0x0
	s_barrier_signal -1
	s_barrier_wait -1
	v_cmp_eq_u16_e32 vcc_lo, 0, v6
	v_mov_b32_e32 v4, 0
	ds_load_b64 v[4:5], v4
	s_wait_dscnt 0x0
	v_dual_cndmask_b32 v7, 0, v5 :: v_dual_cndmask_b32 v6, 0, v4
	s_delay_alu instid0(VALU_DEP_1) | instskip(SKIP_1) | instid1(VALU_DEP_1)
	v_add_nc_u64_e32 v[2:3], v[6:7], v[2:3]
	v_and_b32_e32 v6, 0xff, v1
	v_cmp_eq_u16_e32 vcc_lo, 0, v6
	s_delay_alu instid0(VALU_DEP_3) | instskip(NEXT) | instid1(VALU_DEP_1)
	v_dual_cndmask_b32 v3, v3, v5, s12 :: v_dual_cndmask_b32 v2, v2, v4, s12
	v_dual_cndmask_b32 v5, 0, v3 :: v_dual_cndmask_b32 v4, 0, v2
	s_delay_alu instid0(VALU_DEP_1) | instskip(NEXT) | instid1(VALU_DEP_1)
	v_add_nc_u64_e32 v[4:5], v[4:5], v[58:59]
	v_dual_cndmask_b32 v7, 0, v5, s0 :: v_dual_cndmask_b32 v6, 0, v4, s0
	s_delay_alu instid0(VALU_DEP_1) | instskip(NEXT) | instid1(VALU_DEP_1)
	v_add_nc_u64_e32 v[10:11], v[6:7], v[32:33]
	v_dual_cndmask_b32 v7, 0, v11, s1 :: v_dual_cndmask_b32 v6, 0, v10, s1
	;; [unrolled: 3-line block ×12, first 2 shown]
	s_branch .LBB353_171
.LBB353_152:
	s_cmp_eq_u64 s[44:45], 0
	v_mov_b64_e32 v[28:29], s[48:49]
	s_cselect_b32 s0, -1, 0
	s_cmp_eq_u64 s[30:31], 0
	s_cselect_b32 s1, -1, 0
	s_delay_alu instid0(SALU_CYCLE_1) | instskip(NEXT) | instid1(SALU_CYCLE_1)
	s_or_b32 s0, s0, s1
	s_and_b32 vcc_lo, exec_lo, s0
	s_cbranch_vccnz .LBB353_154
; %bb.153:
	v_mov_b32_e32 v2, 0
	global_load_b64 v[28:29], v2, s[30:31]
.LBB353_154:
	v_cmp_eq_u16_e32 vcc_lo, 0, v84
	v_cmp_eq_u16_e64 s0, 0, v83
	v_cmp_eq_u16_e64 s1, 0, v82
	;; [unrolled: 1-line block ×4, first 2 shown]
	s_wait_xcnt 0x0
	v_dual_cndmask_b32 v3, 0, v59 :: v_dual_cndmask_b32 v2, 0, v58
	v_cmp_eq_u16_e64 s4, 0, v79
	v_cmp_eq_u16_e64 s5, 0, v78
	;; [unrolled: 1-line block ×4, first 2 shown]
	v_add_nc_u64_e32 v[2:3], v[2:3], v[32:33]
	v_cmp_eq_u16_e64 s8, 0, v75
	v_cmp_eq_u16_e64 s9, 0, v74
	;; [unrolled: 1-line block ×3, first 2 shown]
	v_cmp_ne_u16_e64 s16, 0, v71
	v_cmp_eq_u32_e64 s17, 1, v63
	v_cmp_ne_u16_e64 s18, 0, v72
	v_dual_cndmask_b32 v3, 0, v3, s0 :: v_dual_cndmask_b32 v2, 0, v2, s0
	v_cmp_eq_u32_e64 s19, 1, v62
	v_cmp_eq_u32_e64 s20, 1, v68
	v_cmp_ne_u16_e64 s14, 0, v70
	v_cmp_eq_u32_e64 s15, 1, v64
	v_add_nc_u64_e32 v[2:3], v[2:3], v[54:55]
	s_or_b32 s17, s16, s17
	s_or_b32 s18, s18, s19
	v_cmp_eq_u16_e64 s16, 0, v57
	v_cmp_ne_u16_e64 s12, 0, v69
	v_cmp_eq_u32_e64 s13, 1, v66
	s_or_b32 s18, s20, s18
	v_dual_cndmask_b32 v3, 0, v3, s1 :: v_dual_cndmask_b32 v2, 0, v2, s1
	s_or_b32 s14, s14, s15
	s_or_b32 s15, s18, s17
	v_cmp_eq_u32_e64 s11, 1, v67
	s_or_b32 s12, s12, s13
	v_add_nc_u64_e32 v[2:3], v[2:3], v[52:53]
	s_or_b32 s13, s15, s14
	v_and_b32_e32 v4, 0x70, v65
	s_or_b32 s12, s13, s12
	s_mov_b32 s14, exec_lo
	s_or_b32 s11, s12, s11
	s_delay_alu instid0(VALU_DEP_2) | instskip(SKIP_2) | instid1(VALU_DEP_3)
	v_dual_cndmask_b32 v3, 0, v3, s2 :: v_dual_cndmask_b32 v2, 0, v2, s2
	v_lshl_add_u32 v4, v0, 4, v4
	v_cndmask_b32_e64 v9, 0, 1, s11
	v_add_nc_u64_e32 v[2:3], v[2:3], v[50:51]
	s_delay_alu instid0(VALU_DEP_1) | instskip(NEXT) | instid1(VALU_DEP_1)
	v_dual_cndmask_b32 v3, 0, v3, s3 :: v_dual_cndmask_b32 v2, 0, v2, s3
	v_add_nc_u64_e32 v[2:3], v[2:3], v[48:49]
	s_delay_alu instid0(VALU_DEP_1) | instskip(NEXT) | instid1(VALU_DEP_1)
	v_dual_cndmask_b32 v3, 0, v3, s4 :: v_dual_cndmask_b32 v2, 0, v2, s4
	v_add_nc_u64_e32 v[2:3], v[2:3], v[46:47]
	s_delay_alu instid0(VALU_DEP_1) | instskip(NEXT) | instid1(VALU_DEP_1)
	v_dual_cndmask_b32 v3, 0, v3, s5 :: v_dual_cndmask_b32 v2, 0, v2, s5
	v_add_nc_u64_e32 v[2:3], v[2:3], v[42:43]
	s_delay_alu instid0(VALU_DEP_1) | instskip(NEXT) | instid1(VALU_DEP_1)
	v_dual_cndmask_b32 v3, 0, v3, s6 :: v_dual_cndmask_b32 v2, 0, v2, s6
	v_add_nc_u64_e32 v[2:3], v[2:3], v[40:41]
	s_delay_alu instid0(VALU_DEP_1) | instskip(NEXT) | instid1(VALU_DEP_1)
	v_dual_cndmask_b32 v3, 0, v3, s7 :: v_dual_cndmask_b32 v2, 0, v2, s7
	v_add_nc_u64_e32 v[2:3], v[2:3], v[38:39]
	s_delay_alu instid0(VALU_DEP_1) | instskip(NEXT) | instid1(VALU_DEP_1)
	v_dual_cndmask_b32 v3, 0, v3, s8 :: v_dual_cndmask_b32 v2, 0, v2, s8
	v_add_nc_u64_e32 v[2:3], v[2:3], v[36:37]
	s_delay_alu instid0(VALU_DEP_1) | instskip(NEXT) | instid1(VALU_DEP_1)
	v_dual_cndmask_b32 v3, 0, v3, s9 :: v_dual_cndmask_b32 v2, 0, v2, s9
	v_add_nc_u64_e32 v[2:3], v[2:3], v[34:35]
	s_delay_alu instid0(VALU_DEP_1) | instskip(NEXT) | instid1(VALU_DEP_1)
	v_dual_cndmask_b32 v3, 0, v3, s10 :: v_dual_cndmask_b32 v2, 0, v2, s10
	v_add_nc_u64_e32 v[2:3], v[2:3], v[30:31]
	s_delay_alu instid0(VALU_DEP_1) | instskip(NEXT) | instid1(VALU_DEP_1)
	v_dual_cndmask_b32 v3, 0, v3, s16 :: v_dual_cndmask_b32 v2, 0, v2, s16
	v_add_nc_u64_e32 v[2:3], v[2:3], v[44:45]
	ds_store_b64 v4, v[2:3]
	ds_store_b8 v4, v9 offset:8
	s_wait_loadcnt_dscnt 0x0
	s_barrier_signal -1
	s_barrier_wait -1
	v_cmpx_gt_u32_e32 32, v0
	s_cbranch_execz .LBB353_166
; %bb.155:
	v_dual_lshlrev_b32 v4, 2, v0 :: v_dual_lshlrev_b32 v5, 7, v0
	s_delay_alu instid0(VALU_DEP_1) | instskip(NEXT) | instid1(VALU_DEP_1)
	v_and_b32_e32 v4, 0x3f0, v4
	v_add_nc_u32_e32 v8, v4, v5
	ds_load_u8 v11, v8 offset:24
	ds_load_b64 v[4:5], v8
	ds_load_2addr_b64 v[12:15], v8 offset0:2 offset1:4
	ds_load_u8 v20, v8 offset:40
	ds_load_b32 v10, v8 offset:8
	ds_load_u8 v21, v8 offset:56
	ds_load_u8 v22, v8 offset:72
	;; [unrolled: 1-line block ×4, first 2 shown]
	s_wait_dscnt 0x8
	v_cmp_eq_u16_e64 s11, 0, v11
	s_wait_dscnt 0x7
	s_delay_alu instid0(VALU_DEP_1)
	v_dual_cndmask_b32 v7, 0, v5, s11 :: v_dual_cndmask_b32 v6, 0, v4, s11
	s_wait_dscnt 0x5
	v_cmp_eq_u16_e64 s11, 0, v20
	ds_load_2addr_b64 v[16:19], v8 offset0:6 offset1:8
	s_wait_dscnt 0x4
	v_bitop3_b16 v11, v20, v21, v11 bitop3:0xfe
	v_add_nc_u64_e32 v[6:7], v[6:7], v[12:13]
	s_delay_alu instid0(VALU_DEP_1) | instskip(SKIP_1) | instid1(VALU_DEP_2)
	v_dual_cndmask_b32 v7, 0, v7, s11 :: v_dual_cndmask_b32 v6, 0, v6, s11
	v_cmp_eq_u16_e64 s11, 0, v21
	v_add_nc_u64_e32 v[6:7], v[6:7], v[14:15]
	ds_load_2addr_b64 v[12:15], v8 offset0:10 offset1:12
	ds_load_u8 v25, v8 offset:120
	v_dual_cndmask_b32 v7, 0, v7, s11 :: v_dual_cndmask_b32 v6, 0, v6, s11
	s_wait_dscnt 0x5
	v_cmp_eq_u16_e64 s11, 0, v22
	s_wait_dscnt 0x2
	s_delay_alu instid0(VALU_DEP_2) | instskip(SKIP_1) | instid1(VALU_DEP_2)
	v_add_nc_u64_e32 v[6:7], v[6:7], v[16:17]
	v_bitop3_b16 v16, v23, v24, v22 bitop3:0xfe
	v_dual_cndmask_b32 v7, 0, v7, s11 :: v_dual_cndmask_b32 v6, 0, v6, s11
	v_cmp_eq_u16_e64 s11, 0, v23
	s_wait_dscnt 0x0
	s_delay_alu instid0(VALU_DEP_3) | instskip(SKIP_3) | instid1(VALU_DEP_1)
	v_bitop3_b16 v11, v25, v11, v16 bitop3:0xfe
	ds_load_b64 v[16:17], v8 offset:112
	v_cmp_eq_u16_e64 s13, 0, v25
	v_add_nc_u64_e32 v[6:7], v[6:7], v[18:19]
	v_dual_cndmask_b32 v6, 0, v6, s11 :: v_dual_bitop2_b32 v11, 1, v11 bitop3:0x40
	s_delay_alu instid0(VALU_DEP_2) | instskip(SKIP_1) | instid1(VALU_DEP_3)
	v_cndmask_b32_e64 v7, 0, v7, s11
	v_cmp_eq_u16_e64 s11, 0, v24
	v_cmp_eq_u32_e64 s12, 1, v11
	v_and_b32_e32 v11, 0xffffff00, v10
	s_delay_alu instid0(VALU_DEP_4) | instskip(NEXT) | instid1(VALU_DEP_1)
	v_add_nc_u64_e32 v[6:7], v[6:7], v[12:13]
	v_dual_cndmask_b32 v7, 0, v7, s11 :: v_dual_bitop2_b32 v12, 1, v10 bitop3:0x40
	s_delay_alu instid0(VALU_DEP_2) | instskip(NEXT) | instid1(VALU_DEP_2)
	v_cndmask_b32_e64 v6, 0, v6, s11
	v_cmp_eq_u32_e64 s11, 1, v12
	v_mbcnt_lo_u32_b32 v12, -1, 0
	s_delay_alu instid0(VALU_DEP_3) | instskip(SKIP_1) | instid1(SALU_CYCLE_1)
	v_add_nc_u64_e32 v[6:7], v[6:7], v[14:15]
	s_or_b32 s12, s12, s11
	v_cndmask_b32_e64 v14, 0, 1, s12
	v_cndmask_b32_e64 v13, 0, 1, s12
	s_delay_alu instid0(VALU_DEP_3) | instskip(NEXT) | instid1(VALU_DEP_3)
	v_dual_cndmask_b32 v7, 0, v7, s13 :: v_dual_cndmask_b32 v6, 0, v6, s13
	v_or_b32_e32 v15, v11, v14
	v_and_b32_e32 v14, 15, v12
	s_mov_b32 s13, exec_lo
	s_wait_dscnt 0x0
	v_add_nc_u64_e32 v[6:7], v[6:7], v[16:17]
	v_mov_b32_dpp v17, v15 row_shr:1 row_mask:0xf bank_mask:0xf
	s_delay_alu instid0(VALU_DEP_2) | instskip(NEXT) | instid1(VALU_DEP_3)
	v_mov_b32_dpp v16, v6 row_shr:1 row_mask:0xf bank_mask:0xf
	v_mov_b32_dpp v18, v7 row_shr:1 row_mask:0xf bank_mask:0xf
	v_cmpx_ne_u32_e32 0, v14
; %bb.156:
	s_delay_alu instid0(VALU_DEP_4) | instskip(NEXT) | instid1(VALU_DEP_3)
	v_bitop3_b16 v13, v17, v13, 1 bitop3:0xec
	v_cndmask_b32_e64 v17, v18, 0, s12
	v_cndmask_b32_e64 v16, v16, 0, s12
	s_delay_alu instid0(VALU_DEP_3) | instskip(NEXT) | instid1(VALU_DEP_2)
	v_and_b32_e32 v15, 0xffff, v13
	v_add_nc_u64_e32 v[6:7], v[16:17], v[6:7]
	s_delay_alu instid0(VALU_DEP_2)
	v_or_b32_e32 v15, v11, v15
; %bb.157:
	s_or_b32 exec_lo, exec_lo, s13
	s_delay_alu instid0(VALU_DEP_2) | instskip(NEXT) | instid1(VALU_DEP_3)
	v_mov_b32_dpp v16, v6 row_shr:2 row_mask:0xf bank_mask:0xf
	v_mov_b32_dpp v17, v7 row_shr:2 row_mask:0xf bank_mask:0xf
	s_delay_alu instid0(VALU_DEP_3)
	v_mov_b32_dpp v18, v15 row_shr:2 row_mask:0xf bank_mask:0xf
	s_mov_b32 s15, exec_lo
	v_cmpx_lt_u32_e32 1, v14
	s_cbranch_execz .LBB353_159
; %bb.158:
	v_cmp_eq_u16_e64 s11, 0, v13
	v_and_b32_e32 v15, 1, v13
	s_delay_alu instid0(VALU_DEP_2) | instskip(SKIP_1) | instid1(VALU_DEP_3)
	v_dual_cndmask_b32 v17, 0, v17, s11 :: v_dual_bitop2_b32 v18, 1, v18 bitop3:0x40
	v_cndmask_b32_e64 v16, 0, v16, s11
	v_cmp_eq_u32_e64 s12, 1, v15
	s_delay_alu instid0(VALU_DEP_3) | instskip(NEXT) | instid1(VALU_DEP_3)
	v_cmp_eq_u32_e64 s13, 1, v18
	v_add_nc_u64_e32 v[6:7], v[16:17], v[6:7]
	s_or_b32 s11, s12, s13
	s_delay_alu instid0(SALU_CYCLE_1) | instskip(SKIP_1) | instid1(VALU_DEP_2)
	v_cndmask_b32_e64 v15, 0, 1, s11
	v_cndmask_b32_e64 v13, 0, 1, s11
	v_or_b32_e32 v15, v11, v15
.LBB353_159:
	s_or_b32 exec_lo, exec_lo, s15
	s_delay_alu instid0(VALU_DEP_4) | instskip(SKIP_1) | instid1(VALU_DEP_3)
	v_mov_b32_dpp v16, v6 row_shr:4 row_mask:0xf bank_mask:0xf
	v_mov_b32_dpp v17, v7 row_shr:4 row_mask:0xf bank_mask:0xf
	;; [unrolled: 1-line block ×3, first 2 shown]
	s_mov_b32 s15, exec_lo
	v_cmpx_lt_u32_e32 3, v14
	s_cbranch_execz .LBB353_161
; %bb.160:
	v_cmp_eq_u16_e64 s11, 0, v13
	v_and_b32_e32 v15, 1, v13
	s_delay_alu instid0(VALU_DEP_2) | instskip(SKIP_1) | instid1(VALU_DEP_3)
	v_dual_cndmask_b32 v17, 0, v17, s11 :: v_dual_bitop2_b32 v18, 1, v18 bitop3:0x40
	v_cndmask_b32_e64 v16, 0, v16, s11
	v_cmp_eq_u32_e64 s12, 1, v15
	s_delay_alu instid0(VALU_DEP_3) | instskip(NEXT) | instid1(VALU_DEP_3)
	v_cmp_eq_u32_e64 s13, 1, v18
	v_add_nc_u64_e32 v[6:7], v[16:17], v[6:7]
	s_or_b32 s11, s12, s13
	s_delay_alu instid0(SALU_CYCLE_1) | instskip(SKIP_1) | instid1(VALU_DEP_2)
	v_cndmask_b32_e64 v15, 0, 1, s11
	v_cndmask_b32_e64 v13, 0, 1, s11
	v_or_b32_e32 v15, v11, v15
.LBB353_161:
	s_or_b32 exec_lo, exec_lo, s15
	s_delay_alu instid0(VALU_DEP_4) | instskip(SKIP_1) | instid1(VALU_DEP_3)
	v_mov_b32_dpp v16, v6 row_shr:8 row_mask:0xf bank_mask:0xf
	v_mov_b32_dpp v17, v7 row_shr:8 row_mask:0xf bank_mask:0xf
	;; [unrolled: 1-line block ×3, first 2 shown]
	s_mov_b32 s15, exec_lo
	v_cmpx_lt_u32_e32 7, v14
	s_cbranch_execz .LBB353_163
; %bb.162:
	v_and_b32_e32 v14, 1, v13
	v_cmp_eq_u16_e64 s11, 0, v13
	v_and_b32_e32 v15, 1, v18
	s_delay_alu instid0(VALU_DEP_3) | instskip(NEXT) | instid1(VALU_DEP_3)
	v_cmp_eq_u32_e64 s12, 1, v14
	v_cndmask_b32_e64 v14, 0, v16, s11
	s_delay_alu instid0(VALU_DEP_3) | instskip(SKIP_2) | instid1(VALU_DEP_1)
	v_cmp_eq_u32_e64 s13, 1, v15
	v_cndmask_b32_e64 v15, 0, v17, s11
	s_or_b32 s11, s12, s13
	v_add_nc_u64_e32 v[6:7], v[14:15], v[6:7]
	v_cndmask_b32_e64 v16, 0, 1, s11
	v_cndmask_b32_e64 v13, 0, 1, s11
	s_delay_alu instid0(VALU_DEP_2)
	v_or_b32_e32 v15, v11, v16
.LBB353_163:
	s_or_b32 exec_lo, exec_lo, s15
	ds_swizzle_b32 v14, v6 offset:swizzle(BROADCAST,32,15)
	ds_swizzle_b32 v16, v7 offset:swizzle(BROADCAST,32,15)
	;; [unrolled: 1-line block ×3, first 2 shown]
	v_and_b32_e32 v17, 16, v12
	s_mov_b32 s13, exec_lo
	s_delay_alu instid0(VALU_DEP_1)
	v_cmpx_ne_u32_e32 0, v17
	s_cbranch_execz .LBB353_165
; %bb.164:
	v_cmp_eq_u16_e64 s11, 0, v13
	v_and_b32_e32 v13, 1, v13
	s_wait_dscnt 0x0
	s_delay_alu instid0(VALU_DEP_2) | instskip(SKIP_1) | instid1(VALU_DEP_3)
	v_dual_cndmask_b32 v14, 0, v14, s11 :: v_dual_bitop2_b32 v17, 1, v15 bitop3:0x40
	v_cndmask_b32_e64 v15, 0, v16, s11
	v_cmp_eq_u32_e64 s11, 1, v13
	s_delay_alu instid0(VALU_DEP_3) | instskip(NEXT) | instid1(VALU_DEP_3)
	v_cmp_eq_u32_e64 s12, 1, v17
	v_add_nc_u64_e32 v[6:7], v[14:15], v[6:7]
	s_or_b32 s11, s11, s12
	s_delay_alu instid0(SALU_CYCLE_1)
	v_cndmask_b32_e64 v13, 0, 1, s11
.LBB353_165:
	s_or_b32 exec_lo, exec_lo, s13
	s_wait_dscnt 0x2
	v_add_nc_u32_e32 v14, -1, v12
	s_delay_alu instid0(VALU_DEP_2) | instskip(NEXT) | instid1(VALU_DEP_2)
	v_and_b32_e32 v13, 0xffff, v13
	; wave barrier
	v_cmp_gt_i32_e64 s11, 0, v14
	s_delay_alu instid0(VALU_DEP_1) | instskip(NEXT) | instid1(VALU_DEP_1)
	v_dual_cndmask_b32 v12, v14, v12, s11 :: v_dual_bitop2_b32 v11, v11, v13 bitop3:0x54
	v_lshlrev_b32_e32 v12, 2, v12
	ds_bpermute_b32 v7, v12, v7
	ds_bpermute_b32 v6, v12, v6
	;; [unrolled: 1-line block ×3, first 2 shown]
	v_and_b32_e32 v12, 0xff, v10
	s_delay_alu instid0(VALU_DEP_1) | instskip(SKIP_1) | instid1(VALU_DEP_1)
	v_cmp_eq_u32_e64 s11, 0, v12
	s_wait_dscnt 0x1
	v_dual_cndmask_b32 v7, 0, v7, s11 :: v_dual_cndmask_b32 v6, 0, v6, s11
	v_cmp_eq_u32_e64 s11, 0, v0
	s_wait_dscnt 0x0
	v_or_b32_e32 v10, v11, v10
	s_delay_alu instid0(VALU_DEP_3) | instskip(NEXT) | instid1(VALU_DEP_1)
	v_add_nc_u64_e32 v[4:5], v[6:7], v[4:5]
	v_dual_cndmask_b32 v7, v5, v3, s11 :: v_dual_bitop2_b32 v6, 1, v10 bitop3:0x40
	s_delay_alu instid0(VALU_DEP_1)
	v_dual_cndmask_b32 v9, v6, v9, s11 :: v_dual_cndmask_b32 v6, v4, v2, s11
	ds_store_b64 v8, v[6:7]
	ds_store_b8 v8, v9 offset:8
	; wave barrier
	ds_load_u8 v20, v8 offset:24
	ds_load_2addr_b64 v[2:5], v8 offset0:2 offset1:4
	ds_load_u8 v21, v8 offset:40
	ds_load_u8 v22, v8 offset:56
	;; [unrolled: 1-line block ×5, first 2 shown]
	ds_load_b64 v[14:15], v8 offset:112
	ds_load_u8 v26, v8 offset:120
	s_wait_dscnt 0x8
	v_and_b32_e32 v10, 0xff, v20
	v_bitop3_b16 v44, v20, 1, v9 bitop3:0xc8
	s_wait_dscnt 0x5
	v_and_b32_e32 v18, 0xff, v22
	s_delay_alu instid0(VALU_DEP_3) | instskip(SKIP_3) | instid1(VALU_DEP_3)
	v_cmp_eq_u16_e64 s11, 0, v10
	v_and_b32_e32 v10, 0xff, v21
	s_wait_dscnt 0x3
	v_and_b32_e32 v27, 0xff, v24
	v_dual_cndmask_b32 v7, 0, v7, s11 :: v_dual_cndmask_b32 v6, 0, v6, s11
	s_delay_alu instid0(VALU_DEP_3) | instskip(SKIP_2) | instid1(VALU_DEP_1)
	v_cmp_eq_u16_e64 s11, 0, v10
	ds_load_2addr_b64 v[10:13], v8 offset0:6 offset1:8
	v_add_nc_u64_e32 v[6:7], v[6:7], v[2:3]
	v_dual_cndmask_b32 v3, 0, v7, s11 :: v_dual_cndmask_b32 v2, 0, v6, s11
	v_cmp_eq_u16_e64 s11, 0, v18
	s_delay_alu instid0(VALU_DEP_2) | instskip(SKIP_1) | instid1(VALU_DEP_2)
	v_add_nc_u64_e32 v[16:17], v[2:3], v[4:5]
	v_and_b32_e32 v4, 0xff, v23
	v_dual_cndmask_b32 v3, 0, v17, s11 :: v_dual_cndmask_b32 v2, 0, v16, s11
	s_delay_alu instid0(VALU_DEP_2) | instskip(SKIP_1) | instid1(VALU_DEP_2)
	v_cmp_eq_u16_e64 s11, 0, v4
	s_wait_dscnt 0x0
	v_add_nc_u64_e32 v[10:11], v[2:3], v[10:11]
	ds_load_2addr_b64 v[2:5], v8 offset0:10 offset1:12
	v_dual_cndmask_b32 v19, 0, v11, s11 :: v_dual_cndmask_b32 v18, 0, v10, s11
	v_cmp_eq_u16_e64 s11, 0, v27
	v_and_b32_e32 v27, 0xff, v25
	s_delay_alu instid0(VALU_DEP_3) | instskip(NEXT) | instid1(VALU_DEP_1)
	v_add_nc_u64_e32 v[12:13], v[18:19], v[12:13]
	v_dual_cndmask_b32 v19, 0, v13, s11 :: v_dual_cndmask_b32 v18, 0, v12, s11
	s_delay_alu instid0(VALU_DEP_3) | instskip(SKIP_4) | instid1(VALU_DEP_3)
	v_cmp_eq_u16_e64 s11, 0, v27
	v_or_b32_e32 v27, v20, v9
	v_bitop3_b16 v9, v21, v20, v9 bitop3:0xfe
	s_wait_dscnt 0x0
	v_add_nc_u64_e32 v[2:3], v[18:19], v[2:3]
	v_bitop3_b16 v20, v22, v21, v27 bitop3:0xfe
	v_bitop3_b16 v21, v21, 1, v27 bitop3:0xc8
	;; [unrolled: 1-line block ×4, first 2 shown]
	v_dual_cndmask_b32 v19, 0, v3, s11 :: v_dual_cndmask_b32 v18, 0, v2, s11
	v_cmp_eq_u16_e64 s11, 0, v26
	s_delay_alu instid0(VALU_DEP_3) | instskip(SKIP_1) | instid1(VALU_DEP_4)
	v_bitop3_b16 v22, v25, v24, v9 bitop3:0xfe
	v_bitop3_b16 v9, v24, 1, v9 bitop3:0xc8
	v_add_nc_u64_e32 v[4:5], v[18:19], v[4:5]
	v_bitop3_b16 v18, v24, v23, v20 bitop3:0xfe
	v_bitop3_b16 v20, v23, 1, v20 bitop3:0xc8
	ds_store_2addr_b64 v8, v[6:7], v[16:17] offset0:2 offset1:4
	ds_store_2addr_b64 v8, v[10:11], v[12:13] offset0:6 offset1:8
	;; [unrolled: 1-line block ×3, first 2 shown]
	v_bitop3_b16 v23, v25, 1, v18 bitop3:0xc8
	v_dual_cndmask_b32 v19, 0, v5, s11 :: v_dual_cndmask_b32 v18, 0, v4, s11
	v_bitop3_b16 v22, v26, 1, v22 bitop3:0xc8
	s_delay_alu instid0(VALU_DEP_2)
	v_add_nc_u64_e32 v[2:3], v[18:19], v[14:15]
	ds_store_b8 v8, v44 offset:24
	ds_store_b8 v8, v21 offset:40
	;; [unrolled: 1-line block ×6, first 2 shown]
	ds_store_b64 v8, v[2:3] offset:112
	ds_store_b8 v8, v22 offset:120
.LBB353_166:
	s_or_b32 exec_lo, exec_lo, s14
	v_mov_b64_e32 v[2:3], v[28:29]
	v_cmp_eq_u32_e64 s11, 0, v0
	s_mov_b32 s13, exec_lo
	s_wait_dscnt 0x0
	s_barrier_signal -1
	s_barrier_wait -1
	v_cmpx_ne_u32_e32 0, v0
	s_cbranch_execz .LBB353_168
; %bb.167:
	v_add_nc_u32_e32 v2, -1, v0
	s_delay_alu instid0(VALU_DEP_1) | instskip(NEXT) | instid1(VALU_DEP_1)
	v_lshrrev_b32_e32 v3, 1, v2
	v_and_b32_e32 v3, 0x7ffffff0, v3
	s_delay_alu instid0(VALU_DEP_1) | instskip(SKIP_4) | instid1(VALU_DEP_1)
	v_lshl_add_u32 v2, v2, 4, v3
	ds_load_u8 v4, v2 offset:8
	ds_load_b64 v[2:3], v2
	s_wait_dscnt 0x1
	v_cmp_eq_u16_e64 s12, 0, v4
	v_dual_cndmask_b32 v5, 0, v29, s12 :: v_dual_cndmask_b32 v4, 0, v28, s12
	s_wait_dscnt 0x0
	s_delay_alu instid0(VALU_DEP_1)
	v_add_nc_u64_e32 v[2:3], v[4:5], v[2:3]
.LBB353_168:
	s_or_b32 exec_lo, exec_lo, s13
	v_and_b32_e32 v1, 0xff, v1
	s_delay_alu instid0(VALU_DEP_1) | instskip(NEXT) | instid1(VALU_DEP_1)
	v_cmp_eq_u16_e64 s12, 0, v1
	v_dual_cndmask_b32 v5, 0, v3, s12 :: v_dual_cndmask_b32 v4, 0, v2, s12
	s_delay_alu instid0(VALU_DEP_1) | instskip(NEXT) | instid1(VALU_DEP_1)
	v_add_nc_u64_e32 v[4:5], v[4:5], v[58:59]
	v_dual_cndmask_b32 v7, 0, v5 :: v_dual_cndmask_b32 v6, 0, v4
	s_delay_alu instid0(VALU_DEP_1) | instskip(NEXT) | instid1(VALU_DEP_1)
	v_add_nc_u64_e32 v[10:11], v[6:7], v[32:33]
	v_dual_cndmask_b32 v7, 0, v11, s0 :: v_dual_cndmask_b32 v6, 0, v10, s0
	s_delay_alu instid0(VALU_DEP_1) | instskip(NEXT) | instid1(VALU_DEP_1)
	v_add_nc_u64_e32 v[12:13], v[6:7], v[54:55]
	v_dual_cndmask_b32 v7, 0, v13, s1 :: v_dual_cndmask_b32 v6, 0, v12, s1
	;; [unrolled: 3-line block ×11, first 2 shown]
	s_and_saveexec_b32 s0, s11
	s_cbranch_execz .LBB353_170
; %bb.169:
	v_mov_b32_e32 v1, 0
	ds_load_u8 v34, v1 offset:4200
	ds_load_b64 v[32:33], v1 offset:4192
	s_wait_dscnt 0x1
	v_and_b32_e32 v35, 0xffff, v34
	s_delay_alu instid0(VALU_DEP_1) | instskip(SKIP_2) | instid1(VALU_DEP_1)
	v_cmp_eq_u32_e32 vcc_lo, 0, v35
	v_dual_cndmask_b32 v29, 0, v29 :: v_dual_cndmask_b32 v28, 0, v28
	s_wait_dscnt 0x0
	v_add_nc_u64_e32 v[28:29], v[28:29], v[32:33]
	v_mov_b32_e32 v32, 2
	s_clause 0x1
	global_store_b64 v1, v[28:29], s[38:39] offset:512
	global_store_b8 v1, v34, s[38:39] offset:520
	global_wb scope:SCOPE_DEV
	s_wait_storecnt 0x0
	global_inv scope:SCOPE_DEV
	s_wait_xcnt 0x0
	global_store_b8 v1, v32, s[40:41] offset:32 scope:SCOPE_DEV
.LBB353_170:
	s_wait_xcnt 0x0
	s_or_b32 exec_lo, exec_lo, s0
.LBB353_171:
	s_delay_alu instid0(VALU_DEP_1)
	v_add_nc_u64_e32 v[28:29], v[60:61], v[30:31]
	s_add_nc_u64 s[0:1], s[26:27], s[34:35]
	s_and_b32 vcc_lo, exec_lo, s23
	s_add_nc_u64 s[0:1], s[0:1], s[24:25]
	s_cbranch_vccz .LBB353_219
; %bb.172:
	v_mul_u32_u24_e32 v1, 14, v0
	s_add_co_i32 s28, s28, s42
	s_mov_b32 s2, exec_lo
	s_delay_alu instid0(VALU_DEP_1)
	v_cmpx_gt_u32_e64 s28, v1
	s_cbranch_execz .LBB353_192
; %bb.173:
	v_or_b32_e32 v30, 1, v1
	s_mov_b32 s3, exec_lo
	s_delay_alu instid0(VALU_DEP_1)
	v_cmpx_gt_u32_e64 s28, v30
	s_cbranch_execz .LBB353_191
; %bb.174:
	v_add_nc_u32_e32 v30, 2, v1
	s_mov_b32 s4, exec_lo
	s_delay_alu instid0(VALU_DEP_1)
	v_cmpx_gt_u32_e64 s28, v30
	s_cbranch_execz .LBB353_190
; %bb.175:
	v_add_nc_u32_e32 v30, 3, v1
	;; [unrolled: 6-line block ×8, first 2 shown]
	s_mov_b32 s11, exec_lo
	s_delay_alu instid0(VALU_DEP_1)
	v_cmpx_gt_u32_e64 s28, v30
; %bb.182:
	v_add_nc_u32_e32 v30, 10, v1
	s_mov_b32 s12, exec_lo
	s_delay_alu instid0(VALU_DEP_1)
	v_cmpx_gt_u32_e64 s28, v30
	s_or_b32 exec_lo, exec_lo, s12
; %bb.183:
	s_delay_alu instid0(SALU_CYCLE_1)
	s_or_b32 exec_lo, exec_lo, s11
.LBB353_184:
	s_delay_alu instid0(SALU_CYCLE_1)
	s_or_b32 exec_lo, exec_lo, s10
.LBB353_185:
	s_delay_alu instid0(SALU_CYCLE_1)
	s_or_b32 exec_lo, exec_lo, s9
.LBB353_186:
	s_delay_alu instid0(SALU_CYCLE_1)
	s_or_b32 exec_lo, exec_lo, s8
.LBB353_187:
	s_delay_alu instid0(SALU_CYCLE_1)
	s_or_b32 exec_lo, exec_lo, s7
.LBB353_188:
	s_delay_alu instid0(SALU_CYCLE_1)
	s_or_b32 exec_lo, exec_lo, s6
.LBB353_189:
	s_delay_alu instid0(SALU_CYCLE_1)
	s_or_b32 exec_lo, exec_lo, s5
.LBB353_190:
	s_delay_alu instid0(SALU_CYCLE_1)
	s_or_b32 exec_lo, exec_lo, s4
.LBB353_191:
	s_delay_alu instid0(SALU_CYCLE_1)
	s_or_b32 exec_lo, exec_lo, s3
.LBB353_192:
	s_delay_alu instid0(SALU_CYCLE_1)
	s_or_b32 exec_lo, exec_lo, s2
	v_dual_lshlrev_b32 v1, 3, v1 :: v_dual_mov_b32 v57, 0
	s_wait_loadcnt 0x0
	s_wait_storecnt 0x0
	s_barrier_signal -1
	s_barrier_wait -1
	v_mad_i32_i24 v30, 0xffffff98, v0, v1
	ds_store_b128 v1, v[2:5]
	ds_store_b128 v1, v[10:13] offset:16
	ds_store_b128 v1, v[6:9] offset:32
	;; [unrolled: 1-line block ×6, first 2 shown]
	s_wait_dscnt 0x0
	s_barrier_signal -1
	s_barrier_wait -1
	ds_load_2addr_stride64_b64 v[52:55], v30 offset0:4 offset1:8
	ds_load_2addr_stride64_b64 v[48:51], v30 offset0:12 offset1:16
	;; [unrolled: 1-line block ×6, first 2 shown]
	ds_load_b64 v[30:31], v30 offset:26624
	v_add_nc_u64_e32 v[56:57], s[0:1], v[56:57]
	s_mov_b32 s2, exec_lo
	v_cmpx_gt_u32_e64 s28, v0
	s_cbranch_execz .LBB353_194
; %bb.193:
	v_mul_i32_i24_e32 v58, 0xffffff98, v0
	s_delay_alu instid0(VALU_DEP_1)
	v_add_nc_u32_e32 v1, v1, v58
	ds_load_b64 v[58:59], v1
	s_wait_dscnt 0x0
	flat_store_b64 v[56:57], v[58:59]
.LBB353_194:
	s_wait_xcnt 0x0
	s_or_b32 exec_lo, exec_lo, s2
	v_or_b32_e32 v1, 0x100, v0
	s_mov_b32 s2, exec_lo
	s_delay_alu instid0(VALU_DEP_1)
	v_cmpx_gt_u32_e64 s28, v1
	s_cbranch_execz .LBB353_196
; %bb.195:
	s_wait_dscnt 0x6
	flat_store_b64 v[56:57], v[52:53] offset:2048
.LBB353_196:
	s_wait_xcnt 0x0
	s_or_b32 exec_lo, exec_lo, s2
	v_or_b32_e32 v1, 0x200, v0
	s_mov_b32 s2, exec_lo
	s_delay_alu instid0(VALU_DEP_1)
	v_cmpx_gt_u32_e64 s28, v1
	s_cbranch_execz .LBB353_198
; %bb.197:
	s_wait_dscnt 0x6
	flat_store_b64 v[56:57], v[54:55] offset:4096
.LBB353_198:
	;; [unrolled: 11-line block ×12, first 2 shown]
	s_wait_xcnt 0x0
	s_or_b32 exec_lo, exec_lo, s2
	v_or_b32_e32 v1, 0xd00, v0
	s_delay_alu instid0(VALU_DEP_1)
	v_cmp_gt_u32_e64 s2, s28, v1
	s_branch .LBB353_221
.LBB353_219:
	s_mov_b32 s2, 0
                                        ; implicit-def: $vgpr30_vgpr31
	s_cbranch_execz .LBB353_221
; %bb.220:
	v_mul_u32_u24_e32 v1, 0x70, v0
	s_wait_storecnt 0x0
	s_wait_loadcnt_dscnt 0x0
	s_barrier_signal -1
	s_barrier_wait -1
	ds_store_b128 v1, v[2:5]
	ds_store_b128 v1, v[10:13] offset:16
	v_mul_i32_i24_e32 v2, 0xffffff98, v0
	ds_store_b128 v1, v[6:9] offset:32
	ds_store_b128 v1, v[14:17] offset:48
	;; [unrolled: 1-line block ×5, first 2 shown]
	s_wait_dscnt 0x0
	s_barrier_signal -1
	s_barrier_wait -1
	v_mad_u32_u24 v1, 0x70, v0, v2
	s_or_b32 s2, s2, exec_lo
	ds_load_2addr_stride64_b64 v[2:5], v1 offset1:4
	ds_load_2addr_stride64_b64 v[6:9], v1 offset0:8 offset1:12
	ds_load_2addr_stride64_b64 v[10:13], v1 offset0:16 offset1:20
	;; [unrolled: 1-line block ×6, first 2 shown]
	s_wait_dscnt 0x6
	s_clause 0x1
	flat_store_b64 v0, v[2:3], s[0:1] scale_offset
	flat_store_b64 v0, v[4:5], s[0:1] offset:2048 scale_offset
	s_wait_dscnt 0x7
	s_clause 0x1
	flat_store_b64 v0, v[6:7], s[0:1] offset:4096 scale_offset
	flat_store_b64 v0, v[8:9], s[0:1] offset:6144 scale_offset
	s_wait_dscnt 0x8
	s_clause 0x1
	flat_store_b64 v0, v[10:11], s[0:1] offset:8192 scale_offset
	;; [unrolled: 4-line block ×5, first 2 shown]
	flat_store_b64 v0, v[24:25], s[0:1] offset:22528 scale_offset
	s_wait_dscnt 0xc
	flat_store_b64 v0, v[28:29], s[0:1] offset:24576 scale_offset
.LBB353_221:
	s_wait_xcnt 0x0
	s_delay_alu instid0(VALU_DEP_1)
	s_and_saveexec_b32 s3, s2
	s_cbranch_execz .LBB353_223
; %bb.222:
	s_wait_dscnt 0x0
	flat_store_b64 v0, v[30:31], s[0:1] offset:26624 scale_offset
	s_sendmsg sendmsg(MSG_DEALLOC_VGPRS)
	s_endpgm
.LBB353_223:
	s_sendmsg sendmsg(MSG_DEALLOC_VGPRS)
	s_endpgm
	.section	.rodata,"a",@progbits
	.p2align	6, 0x0
	.amdhsa_kernel _ZN7rocprim17ROCPRIM_400000_NS6detail17trampoline_kernelINS0_14default_configENS1_27scan_by_key_config_selectorIxxEEZZNS1_16scan_by_key_implILNS1_25lookback_scan_determinismE0ELb1ES3_N6thrust23THRUST_200600_302600_NS6detail15normal_iteratorINS9_10device_ptrIxEEEESE_SE_xNS9_4plusIvEENS9_8equal_toIvEExEE10hipError_tPvRmT2_T3_T4_T5_mT6_T7_P12ihipStream_tbENKUlT_T0_E_clISt17integral_constantIbLb0EESZ_EEDaSU_SV_EUlSU_E_NS1_11comp_targetILNS1_3genE0ELNS1_11target_archE4294967295ELNS1_3gpuE0ELNS1_3repE0EEENS1_30default_config_static_selectorELNS0_4arch9wavefront6targetE0EEEvT1_
		.amdhsa_group_segment_fixed_size 32768
		.amdhsa_private_segment_fixed_size 0
		.amdhsa_kernarg_size 136
		.amdhsa_user_sgpr_count 2
		.amdhsa_user_sgpr_dispatch_ptr 0
		.amdhsa_user_sgpr_queue_ptr 0
		.amdhsa_user_sgpr_kernarg_segment_ptr 1
		.amdhsa_user_sgpr_dispatch_id 0
		.amdhsa_user_sgpr_kernarg_preload_length 0
		.amdhsa_user_sgpr_kernarg_preload_offset 0
		.amdhsa_user_sgpr_private_segment_size 0
		.amdhsa_wavefront_size32 1
		.amdhsa_uses_dynamic_stack 0
		.amdhsa_enable_private_segment 0
		.amdhsa_system_sgpr_workgroup_id_x 1
		.amdhsa_system_sgpr_workgroup_id_y 0
		.amdhsa_system_sgpr_workgroup_id_z 0
		.amdhsa_system_sgpr_workgroup_info 0
		.amdhsa_system_vgpr_workitem_id 0
		.amdhsa_next_free_vgpr 113
		.amdhsa_next_free_sgpr 57
		.amdhsa_named_barrier_count 0
		.amdhsa_reserve_vcc 1
		.amdhsa_float_round_mode_32 0
		.amdhsa_float_round_mode_16_64 0
		.amdhsa_float_denorm_mode_32 3
		.amdhsa_float_denorm_mode_16_64 3
		.amdhsa_fp16_overflow 0
		.amdhsa_memory_ordered 1
		.amdhsa_forward_progress 1
		.amdhsa_inst_pref_size 125
		.amdhsa_round_robin_scheduling 0
		.amdhsa_exception_fp_ieee_invalid_op 0
		.amdhsa_exception_fp_denorm_src 0
		.amdhsa_exception_fp_ieee_div_zero 0
		.amdhsa_exception_fp_ieee_overflow 0
		.amdhsa_exception_fp_ieee_underflow 0
		.amdhsa_exception_fp_ieee_inexact 0
		.amdhsa_exception_int_div_zero 0
	.end_amdhsa_kernel
	.section	.text._ZN7rocprim17ROCPRIM_400000_NS6detail17trampoline_kernelINS0_14default_configENS1_27scan_by_key_config_selectorIxxEEZZNS1_16scan_by_key_implILNS1_25lookback_scan_determinismE0ELb1ES3_N6thrust23THRUST_200600_302600_NS6detail15normal_iteratorINS9_10device_ptrIxEEEESE_SE_xNS9_4plusIvEENS9_8equal_toIvEExEE10hipError_tPvRmT2_T3_T4_T5_mT6_T7_P12ihipStream_tbENKUlT_T0_E_clISt17integral_constantIbLb0EESZ_EEDaSU_SV_EUlSU_E_NS1_11comp_targetILNS1_3genE0ELNS1_11target_archE4294967295ELNS1_3gpuE0ELNS1_3repE0EEENS1_30default_config_static_selectorELNS0_4arch9wavefront6targetE0EEEvT1_,"axG",@progbits,_ZN7rocprim17ROCPRIM_400000_NS6detail17trampoline_kernelINS0_14default_configENS1_27scan_by_key_config_selectorIxxEEZZNS1_16scan_by_key_implILNS1_25lookback_scan_determinismE0ELb1ES3_N6thrust23THRUST_200600_302600_NS6detail15normal_iteratorINS9_10device_ptrIxEEEESE_SE_xNS9_4plusIvEENS9_8equal_toIvEExEE10hipError_tPvRmT2_T3_T4_T5_mT6_T7_P12ihipStream_tbENKUlT_T0_E_clISt17integral_constantIbLb0EESZ_EEDaSU_SV_EUlSU_E_NS1_11comp_targetILNS1_3genE0ELNS1_11target_archE4294967295ELNS1_3gpuE0ELNS1_3repE0EEENS1_30default_config_static_selectorELNS0_4arch9wavefront6targetE0EEEvT1_,comdat
.Lfunc_end353:
	.size	_ZN7rocprim17ROCPRIM_400000_NS6detail17trampoline_kernelINS0_14default_configENS1_27scan_by_key_config_selectorIxxEEZZNS1_16scan_by_key_implILNS1_25lookback_scan_determinismE0ELb1ES3_N6thrust23THRUST_200600_302600_NS6detail15normal_iteratorINS9_10device_ptrIxEEEESE_SE_xNS9_4plusIvEENS9_8equal_toIvEExEE10hipError_tPvRmT2_T3_T4_T5_mT6_T7_P12ihipStream_tbENKUlT_T0_E_clISt17integral_constantIbLb0EESZ_EEDaSU_SV_EUlSU_E_NS1_11comp_targetILNS1_3genE0ELNS1_11target_archE4294967295ELNS1_3gpuE0ELNS1_3repE0EEENS1_30default_config_static_selectorELNS0_4arch9wavefront6targetE0EEEvT1_, .Lfunc_end353-_ZN7rocprim17ROCPRIM_400000_NS6detail17trampoline_kernelINS0_14default_configENS1_27scan_by_key_config_selectorIxxEEZZNS1_16scan_by_key_implILNS1_25lookback_scan_determinismE0ELb1ES3_N6thrust23THRUST_200600_302600_NS6detail15normal_iteratorINS9_10device_ptrIxEEEESE_SE_xNS9_4plusIvEENS9_8equal_toIvEExEE10hipError_tPvRmT2_T3_T4_T5_mT6_T7_P12ihipStream_tbENKUlT_T0_E_clISt17integral_constantIbLb0EESZ_EEDaSU_SV_EUlSU_E_NS1_11comp_targetILNS1_3genE0ELNS1_11target_archE4294967295ELNS1_3gpuE0ELNS1_3repE0EEENS1_30default_config_static_selectorELNS0_4arch9wavefront6targetE0EEEvT1_
                                        ; -- End function
	.set _ZN7rocprim17ROCPRIM_400000_NS6detail17trampoline_kernelINS0_14default_configENS1_27scan_by_key_config_selectorIxxEEZZNS1_16scan_by_key_implILNS1_25lookback_scan_determinismE0ELb1ES3_N6thrust23THRUST_200600_302600_NS6detail15normal_iteratorINS9_10device_ptrIxEEEESE_SE_xNS9_4plusIvEENS9_8equal_toIvEExEE10hipError_tPvRmT2_T3_T4_T5_mT6_T7_P12ihipStream_tbENKUlT_T0_E_clISt17integral_constantIbLb0EESZ_EEDaSU_SV_EUlSU_E_NS1_11comp_targetILNS1_3genE0ELNS1_11target_archE4294967295ELNS1_3gpuE0ELNS1_3repE0EEENS1_30default_config_static_selectorELNS0_4arch9wavefront6targetE0EEEvT1_.num_vgpr, 113
	.set _ZN7rocprim17ROCPRIM_400000_NS6detail17trampoline_kernelINS0_14default_configENS1_27scan_by_key_config_selectorIxxEEZZNS1_16scan_by_key_implILNS1_25lookback_scan_determinismE0ELb1ES3_N6thrust23THRUST_200600_302600_NS6detail15normal_iteratorINS9_10device_ptrIxEEEESE_SE_xNS9_4plusIvEENS9_8equal_toIvEExEE10hipError_tPvRmT2_T3_T4_T5_mT6_T7_P12ihipStream_tbENKUlT_T0_E_clISt17integral_constantIbLb0EESZ_EEDaSU_SV_EUlSU_E_NS1_11comp_targetILNS1_3genE0ELNS1_11target_archE4294967295ELNS1_3gpuE0ELNS1_3repE0EEENS1_30default_config_static_selectorELNS0_4arch9wavefront6targetE0EEEvT1_.num_agpr, 0
	.set _ZN7rocprim17ROCPRIM_400000_NS6detail17trampoline_kernelINS0_14default_configENS1_27scan_by_key_config_selectorIxxEEZZNS1_16scan_by_key_implILNS1_25lookback_scan_determinismE0ELb1ES3_N6thrust23THRUST_200600_302600_NS6detail15normal_iteratorINS9_10device_ptrIxEEEESE_SE_xNS9_4plusIvEENS9_8equal_toIvEExEE10hipError_tPvRmT2_T3_T4_T5_mT6_T7_P12ihipStream_tbENKUlT_T0_E_clISt17integral_constantIbLb0EESZ_EEDaSU_SV_EUlSU_E_NS1_11comp_targetILNS1_3genE0ELNS1_11target_archE4294967295ELNS1_3gpuE0ELNS1_3repE0EEENS1_30default_config_static_selectorELNS0_4arch9wavefront6targetE0EEEvT1_.numbered_sgpr, 57
	.set _ZN7rocprim17ROCPRIM_400000_NS6detail17trampoline_kernelINS0_14default_configENS1_27scan_by_key_config_selectorIxxEEZZNS1_16scan_by_key_implILNS1_25lookback_scan_determinismE0ELb1ES3_N6thrust23THRUST_200600_302600_NS6detail15normal_iteratorINS9_10device_ptrIxEEEESE_SE_xNS9_4plusIvEENS9_8equal_toIvEExEE10hipError_tPvRmT2_T3_T4_T5_mT6_T7_P12ihipStream_tbENKUlT_T0_E_clISt17integral_constantIbLb0EESZ_EEDaSU_SV_EUlSU_E_NS1_11comp_targetILNS1_3genE0ELNS1_11target_archE4294967295ELNS1_3gpuE0ELNS1_3repE0EEENS1_30default_config_static_selectorELNS0_4arch9wavefront6targetE0EEEvT1_.num_named_barrier, 0
	.set _ZN7rocprim17ROCPRIM_400000_NS6detail17trampoline_kernelINS0_14default_configENS1_27scan_by_key_config_selectorIxxEEZZNS1_16scan_by_key_implILNS1_25lookback_scan_determinismE0ELb1ES3_N6thrust23THRUST_200600_302600_NS6detail15normal_iteratorINS9_10device_ptrIxEEEESE_SE_xNS9_4plusIvEENS9_8equal_toIvEExEE10hipError_tPvRmT2_T3_T4_T5_mT6_T7_P12ihipStream_tbENKUlT_T0_E_clISt17integral_constantIbLb0EESZ_EEDaSU_SV_EUlSU_E_NS1_11comp_targetILNS1_3genE0ELNS1_11target_archE4294967295ELNS1_3gpuE0ELNS1_3repE0EEENS1_30default_config_static_selectorELNS0_4arch9wavefront6targetE0EEEvT1_.private_seg_size, 0
	.set _ZN7rocprim17ROCPRIM_400000_NS6detail17trampoline_kernelINS0_14default_configENS1_27scan_by_key_config_selectorIxxEEZZNS1_16scan_by_key_implILNS1_25lookback_scan_determinismE0ELb1ES3_N6thrust23THRUST_200600_302600_NS6detail15normal_iteratorINS9_10device_ptrIxEEEESE_SE_xNS9_4plusIvEENS9_8equal_toIvEExEE10hipError_tPvRmT2_T3_T4_T5_mT6_T7_P12ihipStream_tbENKUlT_T0_E_clISt17integral_constantIbLb0EESZ_EEDaSU_SV_EUlSU_E_NS1_11comp_targetILNS1_3genE0ELNS1_11target_archE4294967295ELNS1_3gpuE0ELNS1_3repE0EEENS1_30default_config_static_selectorELNS0_4arch9wavefront6targetE0EEEvT1_.uses_vcc, 1
	.set _ZN7rocprim17ROCPRIM_400000_NS6detail17trampoline_kernelINS0_14default_configENS1_27scan_by_key_config_selectorIxxEEZZNS1_16scan_by_key_implILNS1_25lookback_scan_determinismE0ELb1ES3_N6thrust23THRUST_200600_302600_NS6detail15normal_iteratorINS9_10device_ptrIxEEEESE_SE_xNS9_4plusIvEENS9_8equal_toIvEExEE10hipError_tPvRmT2_T3_T4_T5_mT6_T7_P12ihipStream_tbENKUlT_T0_E_clISt17integral_constantIbLb0EESZ_EEDaSU_SV_EUlSU_E_NS1_11comp_targetILNS1_3genE0ELNS1_11target_archE4294967295ELNS1_3gpuE0ELNS1_3repE0EEENS1_30default_config_static_selectorELNS0_4arch9wavefront6targetE0EEEvT1_.uses_flat_scratch, 1
	.set _ZN7rocprim17ROCPRIM_400000_NS6detail17trampoline_kernelINS0_14default_configENS1_27scan_by_key_config_selectorIxxEEZZNS1_16scan_by_key_implILNS1_25lookback_scan_determinismE0ELb1ES3_N6thrust23THRUST_200600_302600_NS6detail15normal_iteratorINS9_10device_ptrIxEEEESE_SE_xNS9_4plusIvEENS9_8equal_toIvEExEE10hipError_tPvRmT2_T3_T4_T5_mT6_T7_P12ihipStream_tbENKUlT_T0_E_clISt17integral_constantIbLb0EESZ_EEDaSU_SV_EUlSU_E_NS1_11comp_targetILNS1_3genE0ELNS1_11target_archE4294967295ELNS1_3gpuE0ELNS1_3repE0EEENS1_30default_config_static_selectorELNS0_4arch9wavefront6targetE0EEEvT1_.has_dyn_sized_stack, 0
	.set _ZN7rocprim17ROCPRIM_400000_NS6detail17trampoline_kernelINS0_14default_configENS1_27scan_by_key_config_selectorIxxEEZZNS1_16scan_by_key_implILNS1_25lookback_scan_determinismE0ELb1ES3_N6thrust23THRUST_200600_302600_NS6detail15normal_iteratorINS9_10device_ptrIxEEEESE_SE_xNS9_4plusIvEENS9_8equal_toIvEExEE10hipError_tPvRmT2_T3_T4_T5_mT6_T7_P12ihipStream_tbENKUlT_T0_E_clISt17integral_constantIbLb0EESZ_EEDaSU_SV_EUlSU_E_NS1_11comp_targetILNS1_3genE0ELNS1_11target_archE4294967295ELNS1_3gpuE0ELNS1_3repE0EEENS1_30default_config_static_selectorELNS0_4arch9wavefront6targetE0EEEvT1_.has_recursion, 0
	.set _ZN7rocprim17ROCPRIM_400000_NS6detail17trampoline_kernelINS0_14default_configENS1_27scan_by_key_config_selectorIxxEEZZNS1_16scan_by_key_implILNS1_25lookback_scan_determinismE0ELb1ES3_N6thrust23THRUST_200600_302600_NS6detail15normal_iteratorINS9_10device_ptrIxEEEESE_SE_xNS9_4plusIvEENS9_8equal_toIvEExEE10hipError_tPvRmT2_T3_T4_T5_mT6_T7_P12ihipStream_tbENKUlT_T0_E_clISt17integral_constantIbLb0EESZ_EEDaSU_SV_EUlSU_E_NS1_11comp_targetILNS1_3genE0ELNS1_11target_archE4294967295ELNS1_3gpuE0ELNS1_3repE0EEENS1_30default_config_static_selectorELNS0_4arch9wavefront6targetE0EEEvT1_.has_indirect_call, 0
	.section	.AMDGPU.csdata,"",@progbits
; Kernel info:
; codeLenInByte = 15976
; TotalNumSgprs: 59
; NumVgprs: 113
; ScratchSize: 0
; MemoryBound: 0
; FloatMode: 240
; IeeeMode: 1
; LDSByteSize: 32768 bytes/workgroup (compile time only)
; SGPRBlocks: 0
; VGPRBlocks: 7
; NumSGPRsForWavesPerEU: 59
; NumVGPRsForWavesPerEU: 113
; NamedBarCnt: 0
; Occupancy: 8
; WaveLimiterHint : 1
; COMPUTE_PGM_RSRC2:SCRATCH_EN: 0
; COMPUTE_PGM_RSRC2:USER_SGPR: 2
; COMPUTE_PGM_RSRC2:TRAP_HANDLER: 0
; COMPUTE_PGM_RSRC2:TGID_X_EN: 1
; COMPUTE_PGM_RSRC2:TGID_Y_EN: 0
; COMPUTE_PGM_RSRC2:TGID_Z_EN: 0
; COMPUTE_PGM_RSRC2:TIDIG_COMP_CNT: 0
	.section	.text._ZN7rocprim17ROCPRIM_400000_NS6detail17trampoline_kernelINS0_14default_configENS1_27scan_by_key_config_selectorIxxEEZZNS1_16scan_by_key_implILNS1_25lookback_scan_determinismE0ELb1ES3_N6thrust23THRUST_200600_302600_NS6detail15normal_iteratorINS9_10device_ptrIxEEEESE_SE_xNS9_4plusIvEENS9_8equal_toIvEExEE10hipError_tPvRmT2_T3_T4_T5_mT6_T7_P12ihipStream_tbENKUlT_T0_E_clISt17integral_constantIbLb0EESZ_EEDaSU_SV_EUlSU_E_NS1_11comp_targetILNS1_3genE10ELNS1_11target_archE1201ELNS1_3gpuE5ELNS1_3repE0EEENS1_30default_config_static_selectorELNS0_4arch9wavefront6targetE0EEEvT1_,"axG",@progbits,_ZN7rocprim17ROCPRIM_400000_NS6detail17trampoline_kernelINS0_14default_configENS1_27scan_by_key_config_selectorIxxEEZZNS1_16scan_by_key_implILNS1_25lookback_scan_determinismE0ELb1ES3_N6thrust23THRUST_200600_302600_NS6detail15normal_iteratorINS9_10device_ptrIxEEEESE_SE_xNS9_4plusIvEENS9_8equal_toIvEExEE10hipError_tPvRmT2_T3_T4_T5_mT6_T7_P12ihipStream_tbENKUlT_T0_E_clISt17integral_constantIbLb0EESZ_EEDaSU_SV_EUlSU_E_NS1_11comp_targetILNS1_3genE10ELNS1_11target_archE1201ELNS1_3gpuE5ELNS1_3repE0EEENS1_30default_config_static_selectorELNS0_4arch9wavefront6targetE0EEEvT1_,comdat
	.protected	_ZN7rocprim17ROCPRIM_400000_NS6detail17trampoline_kernelINS0_14default_configENS1_27scan_by_key_config_selectorIxxEEZZNS1_16scan_by_key_implILNS1_25lookback_scan_determinismE0ELb1ES3_N6thrust23THRUST_200600_302600_NS6detail15normal_iteratorINS9_10device_ptrIxEEEESE_SE_xNS9_4plusIvEENS9_8equal_toIvEExEE10hipError_tPvRmT2_T3_T4_T5_mT6_T7_P12ihipStream_tbENKUlT_T0_E_clISt17integral_constantIbLb0EESZ_EEDaSU_SV_EUlSU_E_NS1_11comp_targetILNS1_3genE10ELNS1_11target_archE1201ELNS1_3gpuE5ELNS1_3repE0EEENS1_30default_config_static_selectorELNS0_4arch9wavefront6targetE0EEEvT1_ ; -- Begin function _ZN7rocprim17ROCPRIM_400000_NS6detail17trampoline_kernelINS0_14default_configENS1_27scan_by_key_config_selectorIxxEEZZNS1_16scan_by_key_implILNS1_25lookback_scan_determinismE0ELb1ES3_N6thrust23THRUST_200600_302600_NS6detail15normal_iteratorINS9_10device_ptrIxEEEESE_SE_xNS9_4plusIvEENS9_8equal_toIvEExEE10hipError_tPvRmT2_T3_T4_T5_mT6_T7_P12ihipStream_tbENKUlT_T0_E_clISt17integral_constantIbLb0EESZ_EEDaSU_SV_EUlSU_E_NS1_11comp_targetILNS1_3genE10ELNS1_11target_archE1201ELNS1_3gpuE5ELNS1_3repE0EEENS1_30default_config_static_selectorELNS0_4arch9wavefront6targetE0EEEvT1_
	.globl	_ZN7rocprim17ROCPRIM_400000_NS6detail17trampoline_kernelINS0_14default_configENS1_27scan_by_key_config_selectorIxxEEZZNS1_16scan_by_key_implILNS1_25lookback_scan_determinismE0ELb1ES3_N6thrust23THRUST_200600_302600_NS6detail15normal_iteratorINS9_10device_ptrIxEEEESE_SE_xNS9_4plusIvEENS9_8equal_toIvEExEE10hipError_tPvRmT2_T3_T4_T5_mT6_T7_P12ihipStream_tbENKUlT_T0_E_clISt17integral_constantIbLb0EESZ_EEDaSU_SV_EUlSU_E_NS1_11comp_targetILNS1_3genE10ELNS1_11target_archE1201ELNS1_3gpuE5ELNS1_3repE0EEENS1_30default_config_static_selectorELNS0_4arch9wavefront6targetE0EEEvT1_
	.p2align	8
	.type	_ZN7rocprim17ROCPRIM_400000_NS6detail17trampoline_kernelINS0_14default_configENS1_27scan_by_key_config_selectorIxxEEZZNS1_16scan_by_key_implILNS1_25lookback_scan_determinismE0ELb1ES3_N6thrust23THRUST_200600_302600_NS6detail15normal_iteratorINS9_10device_ptrIxEEEESE_SE_xNS9_4plusIvEENS9_8equal_toIvEExEE10hipError_tPvRmT2_T3_T4_T5_mT6_T7_P12ihipStream_tbENKUlT_T0_E_clISt17integral_constantIbLb0EESZ_EEDaSU_SV_EUlSU_E_NS1_11comp_targetILNS1_3genE10ELNS1_11target_archE1201ELNS1_3gpuE5ELNS1_3repE0EEENS1_30default_config_static_selectorELNS0_4arch9wavefront6targetE0EEEvT1_,@function
_ZN7rocprim17ROCPRIM_400000_NS6detail17trampoline_kernelINS0_14default_configENS1_27scan_by_key_config_selectorIxxEEZZNS1_16scan_by_key_implILNS1_25lookback_scan_determinismE0ELb1ES3_N6thrust23THRUST_200600_302600_NS6detail15normal_iteratorINS9_10device_ptrIxEEEESE_SE_xNS9_4plusIvEENS9_8equal_toIvEExEE10hipError_tPvRmT2_T3_T4_T5_mT6_T7_P12ihipStream_tbENKUlT_T0_E_clISt17integral_constantIbLb0EESZ_EEDaSU_SV_EUlSU_E_NS1_11comp_targetILNS1_3genE10ELNS1_11target_archE1201ELNS1_3gpuE5ELNS1_3repE0EEENS1_30default_config_static_selectorELNS0_4arch9wavefront6targetE0EEEvT1_: ; @_ZN7rocprim17ROCPRIM_400000_NS6detail17trampoline_kernelINS0_14default_configENS1_27scan_by_key_config_selectorIxxEEZZNS1_16scan_by_key_implILNS1_25lookback_scan_determinismE0ELb1ES3_N6thrust23THRUST_200600_302600_NS6detail15normal_iteratorINS9_10device_ptrIxEEEESE_SE_xNS9_4plusIvEENS9_8equal_toIvEExEE10hipError_tPvRmT2_T3_T4_T5_mT6_T7_P12ihipStream_tbENKUlT_T0_E_clISt17integral_constantIbLb0EESZ_EEDaSU_SV_EUlSU_E_NS1_11comp_targetILNS1_3genE10ELNS1_11target_archE1201ELNS1_3gpuE5ELNS1_3repE0EEENS1_30default_config_static_selectorELNS0_4arch9wavefront6targetE0EEEvT1_
; %bb.0:
	.section	.rodata,"a",@progbits
	.p2align	6, 0x0
	.amdhsa_kernel _ZN7rocprim17ROCPRIM_400000_NS6detail17trampoline_kernelINS0_14default_configENS1_27scan_by_key_config_selectorIxxEEZZNS1_16scan_by_key_implILNS1_25lookback_scan_determinismE0ELb1ES3_N6thrust23THRUST_200600_302600_NS6detail15normal_iteratorINS9_10device_ptrIxEEEESE_SE_xNS9_4plusIvEENS9_8equal_toIvEExEE10hipError_tPvRmT2_T3_T4_T5_mT6_T7_P12ihipStream_tbENKUlT_T0_E_clISt17integral_constantIbLb0EESZ_EEDaSU_SV_EUlSU_E_NS1_11comp_targetILNS1_3genE10ELNS1_11target_archE1201ELNS1_3gpuE5ELNS1_3repE0EEENS1_30default_config_static_selectorELNS0_4arch9wavefront6targetE0EEEvT1_
		.amdhsa_group_segment_fixed_size 0
		.amdhsa_private_segment_fixed_size 0
		.amdhsa_kernarg_size 136
		.amdhsa_user_sgpr_count 2
		.amdhsa_user_sgpr_dispatch_ptr 0
		.amdhsa_user_sgpr_queue_ptr 0
		.amdhsa_user_sgpr_kernarg_segment_ptr 1
		.amdhsa_user_sgpr_dispatch_id 0
		.amdhsa_user_sgpr_kernarg_preload_length 0
		.amdhsa_user_sgpr_kernarg_preload_offset 0
		.amdhsa_user_sgpr_private_segment_size 0
		.amdhsa_wavefront_size32 1
		.amdhsa_uses_dynamic_stack 0
		.amdhsa_enable_private_segment 0
		.amdhsa_system_sgpr_workgroup_id_x 1
		.amdhsa_system_sgpr_workgroup_id_y 0
		.amdhsa_system_sgpr_workgroup_id_z 0
		.amdhsa_system_sgpr_workgroup_info 0
		.amdhsa_system_vgpr_workitem_id 0
		.amdhsa_next_free_vgpr 1
		.amdhsa_next_free_sgpr 1
		.amdhsa_named_barrier_count 0
		.amdhsa_reserve_vcc 0
		.amdhsa_float_round_mode_32 0
		.amdhsa_float_round_mode_16_64 0
		.amdhsa_float_denorm_mode_32 3
		.amdhsa_float_denorm_mode_16_64 3
		.amdhsa_fp16_overflow 0
		.amdhsa_memory_ordered 1
		.amdhsa_forward_progress 1
		.amdhsa_inst_pref_size 0
		.amdhsa_round_robin_scheduling 0
		.amdhsa_exception_fp_ieee_invalid_op 0
		.amdhsa_exception_fp_denorm_src 0
		.amdhsa_exception_fp_ieee_div_zero 0
		.amdhsa_exception_fp_ieee_overflow 0
		.amdhsa_exception_fp_ieee_underflow 0
		.amdhsa_exception_fp_ieee_inexact 0
		.amdhsa_exception_int_div_zero 0
	.end_amdhsa_kernel
	.section	.text._ZN7rocprim17ROCPRIM_400000_NS6detail17trampoline_kernelINS0_14default_configENS1_27scan_by_key_config_selectorIxxEEZZNS1_16scan_by_key_implILNS1_25lookback_scan_determinismE0ELb1ES3_N6thrust23THRUST_200600_302600_NS6detail15normal_iteratorINS9_10device_ptrIxEEEESE_SE_xNS9_4plusIvEENS9_8equal_toIvEExEE10hipError_tPvRmT2_T3_T4_T5_mT6_T7_P12ihipStream_tbENKUlT_T0_E_clISt17integral_constantIbLb0EESZ_EEDaSU_SV_EUlSU_E_NS1_11comp_targetILNS1_3genE10ELNS1_11target_archE1201ELNS1_3gpuE5ELNS1_3repE0EEENS1_30default_config_static_selectorELNS0_4arch9wavefront6targetE0EEEvT1_,"axG",@progbits,_ZN7rocprim17ROCPRIM_400000_NS6detail17trampoline_kernelINS0_14default_configENS1_27scan_by_key_config_selectorIxxEEZZNS1_16scan_by_key_implILNS1_25lookback_scan_determinismE0ELb1ES3_N6thrust23THRUST_200600_302600_NS6detail15normal_iteratorINS9_10device_ptrIxEEEESE_SE_xNS9_4plusIvEENS9_8equal_toIvEExEE10hipError_tPvRmT2_T3_T4_T5_mT6_T7_P12ihipStream_tbENKUlT_T0_E_clISt17integral_constantIbLb0EESZ_EEDaSU_SV_EUlSU_E_NS1_11comp_targetILNS1_3genE10ELNS1_11target_archE1201ELNS1_3gpuE5ELNS1_3repE0EEENS1_30default_config_static_selectorELNS0_4arch9wavefront6targetE0EEEvT1_,comdat
.Lfunc_end354:
	.size	_ZN7rocprim17ROCPRIM_400000_NS6detail17trampoline_kernelINS0_14default_configENS1_27scan_by_key_config_selectorIxxEEZZNS1_16scan_by_key_implILNS1_25lookback_scan_determinismE0ELb1ES3_N6thrust23THRUST_200600_302600_NS6detail15normal_iteratorINS9_10device_ptrIxEEEESE_SE_xNS9_4plusIvEENS9_8equal_toIvEExEE10hipError_tPvRmT2_T3_T4_T5_mT6_T7_P12ihipStream_tbENKUlT_T0_E_clISt17integral_constantIbLb0EESZ_EEDaSU_SV_EUlSU_E_NS1_11comp_targetILNS1_3genE10ELNS1_11target_archE1201ELNS1_3gpuE5ELNS1_3repE0EEENS1_30default_config_static_selectorELNS0_4arch9wavefront6targetE0EEEvT1_, .Lfunc_end354-_ZN7rocprim17ROCPRIM_400000_NS6detail17trampoline_kernelINS0_14default_configENS1_27scan_by_key_config_selectorIxxEEZZNS1_16scan_by_key_implILNS1_25lookback_scan_determinismE0ELb1ES3_N6thrust23THRUST_200600_302600_NS6detail15normal_iteratorINS9_10device_ptrIxEEEESE_SE_xNS9_4plusIvEENS9_8equal_toIvEExEE10hipError_tPvRmT2_T3_T4_T5_mT6_T7_P12ihipStream_tbENKUlT_T0_E_clISt17integral_constantIbLb0EESZ_EEDaSU_SV_EUlSU_E_NS1_11comp_targetILNS1_3genE10ELNS1_11target_archE1201ELNS1_3gpuE5ELNS1_3repE0EEENS1_30default_config_static_selectorELNS0_4arch9wavefront6targetE0EEEvT1_
                                        ; -- End function
	.set _ZN7rocprim17ROCPRIM_400000_NS6detail17trampoline_kernelINS0_14default_configENS1_27scan_by_key_config_selectorIxxEEZZNS1_16scan_by_key_implILNS1_25lookback_scan_determinismE0ELb1ES3_N6thrust23THRUST_200600_302600_NS6detail15normal_iteratorINS9_10device_ptrIxEEEESE_SE_xNS9_4plusIvEENS9_8equal_toIvEExEE10hipError_tPvRmT2_T3_T4_T5_mT6_T7_P12ihipStream_tbENKUlT_T0_E_clISt17integral_constantIbLb0EESZ_EEDaSU_SV_EUlSU_E_NS1_11comp_targetILNS1_3genE10ELNS1_11target_archE1201ELNS1_3gpuE5ELNS1_3repE0EEENS1_30default_config_static_selectorELNS0_4arch9wavefront6targetE0EEEvT1_.num_vgpr, 0
	.set _ZN7rocprim17ROCPRIM_400000_NS6detail17trampoline_kernelINS0_14default_configENS1_27scan_by_key_config_selectorIxxEEZZNS1_16scan_by_key_implILNS1_25lookback_scan_determinismE0ELb1ES3_N6thrust23THRUST_200600_302600_NS6detail15normal_iteratorINS9_10device_ptrIxEEEESE_SE_xNS9_4plusIvEENS9_8equal_toIvEExEE10hipError_tPvRmT2_T3_T4_T5_mT6_T7_P12ihipStream_tbENKUlT_T0_E_clISt17integral_constantIbLb0EESZ_EEDaSU_SV_EUlSU_E_NS1_11comp_targetILNS1_3genE10ELNS1_11target_archE1201ELNS1_3gpuE5ELNS1_3repE0EEENS1_30default_config_static_selectorELNS0_4arch9wavefront6targetE0EEEvT1_.num_agpr, 0
	.set _ZN7rocprim17ROCPRIM_400000_NS6detail17trampoline_kernelINS0_14default_configENS1_27scan_by_key_config_selectorIxxEEZZNS1_16scan_by_key_implILNS1_25lookback_scan_determinismE0ELb1ES3_N6thrust23THRUST_200600_302600_NS6detail15normal_iteratorINS9_10device_ptrIxEEEESE_SE_xNS9_4plusIvEENS9_8equal_toIvEExEE10hipError_tPvRmT2_T3_T4_T5_mT6_T7_P12ihipStream_tbENKUlT_T0_E_clISt17integral_constantIbLb0EESZ_EEDaSU_SV_EUlSU_E_NS1_11comp_targetILNS1_3genE10ELNS1_11target_archE1201ELNS1_3gpuE5ELNS1_3repE0EEENS1_30default_config_static_selectorELNS0_4arch9wavefront6targetE0EEEvT1_.numbered_sgpr, 0
	.set _ZN7rocprim17ROCPRIM_400000_NS6detail17trampoline_kernelINS0_14default_configENS1_27scan_by_key_config_selectorIxxEEZZNS1_16scan_by_key_implILNS1_25lookback_scan_determinismE0ELb1ES3_N6thrust23THRUST_200600_302600_NS6detail15normal_iteratorINS9_10device_ptrIxEEEESE_SE_xNS9_4plusIvEENS9_8equal_toIvEExEE10hipError_tPvRmT2_T3_T4_T5_mT6_T7_P12ihipStream_tbENKUlT_T0_E_clISt17integral_constantIbLb0EESZ_EEDaSU_SV_EUlSU_E_NS1_11comp_targetILNS1_3genE10ELNS1_11target_archE1201ELNS1_3gpuE5ELNS1_3repE0EEENS1_30default_config_static_selectorELNS0_4arch9wavefront6targetE0EEEvT1_.num_named_barrier, 0
	.set _ZN7rocprim17ROCPRIM_400000_NS6detail17trampoline_kernelINS0_14default_configENS1_27scan_by_key_config_selectorIxxEEZZNS1_16scan_by_key_implILNS1_25lookback_scan_determinismE0ELb1ES3_N6thrust23THRUST_200600_302600_NS6detail15normal_iteratorINS9_10device_ptrIxEEEESE_SE_xNS9_4plusIvEENS9_8equal_toIvEExEE10hipError_tPvRmT2_T3_T4_T5_mT6_T7_P12ihipStream_tbENKUlT_T0_E_clISt17integral_constantIbLb0EESZ_EEDaSU_SV_EUlSU_E_NS1_11comp_targetILNS1_3genE10ELNS1_11target_archE1201ELNS1_3gpuE5ELNS1_3repE0EEENS1_30default_config_static_selectorELNS0_4arch9wavefront6targetE0EEEvT1_.private_seg_size, 0
	.set _ZN7rocprim17ROCPRIM_400000_NS6detail17trampoline_kernelINS0_14default_configENS1_27scan_by_key_config_selectorIxxEEZZNS1_16scan_by_key_implILNS1_25lookback_scan_determinismE0ELb1ES3_N6thrust23THRUST_200600_302600_NS6detail15normal_iteratorINS9_10device_ptrIxEEEESE_SE_xNS9_4plusIvEENS9_8equal_toIvEExEE10hipError_tPvRmT2_T3_T4_T5_mT6_T7_P12ihipStream_tbENKUlT_T0_E_clISt17integral_constantIbLb0EESZ_EEDaSU_SV_EUlSU_E_NS1_11comp_targetILNS1_3genE10ELNS1_11target_archE1201ELNS1_3gpuE5ELNS1_3repE0EEENS1_30default_config_static_selectorELNS0_4arch9wavefront6targetE0EEEvT1_.uses_vcc, 0
	.set _ZN7rocprim17ROCPRIM_400000_NS6detail17trampoline_kernelINS0_14default_configENS1_27scan_by_key_config_selectorIxxEEZZNS1_16scan_by_key_implILNS1_25lookback_scan_determinismE0ELb1ES3_N6thrust23THRUST_200600_302600_NS6detail15normal_iteratorINS9_10device_ptrIxEEEESE_SE_xNS9_4plusIvEENS9_8equal_toIvEExEE10hipError_tPvRmT2_T3_T4_T5_mT6_T7_P12ihipStream_tbENKUlT_T0_E_clISt17integral_constantIbLb0EESZ_EEDaSU_SV_EUlSU_E_NS1_11comp_targetILNS1_3genE10ELNS1_11target_archE1201ELNS1_3gpuE5ELNS1_3repE0EEENS1_30default_config_static_selectorELNS0_4arch9wavefront6targetE0EEEvT1_.uses_flat_scratch, 0
	.set _ZN7rocprim17ROCPRIM_400000_NS6detail17trampoline_kernelINS0_14default_configENS1_27scan_by_key_config_selectorIxxEEZZNS1_16scan_by_key_implILNS1_25lookback_scan_determinismE0ELb1ES3_N6thrust23THRUST_200600_302600_NS6detail15normal_iteratorINS9_10device_ptrIxEEEESE_SE_xNS9_4plusIvEENS9_8equal_toIvEExEE10hipError_tPvRmT2_T3_T4_T5_mT6_T7_P12ihipStream_tbENKUlT_T0_E_clISt17integral_constantIbLb0EESZ_EEDaSU_SV_EUlSU_E_NS1_11comp_targetILNS1_3genE10ELNS1_11target_archE1201ELNS1_3gpuE5ELNS1_3repE0EEENS1_30default_config_static_selectorELNS0_4arch9wavefront6targetE0EEEvT1_.has_dyn_sized_stack, 0
	.set _ZN7rocprim17ROCPRIM_400000_NS6detail17trampoline_kernelINS0_14default_configENS1_27scan_by_key_config_selectorIxxEEZZNS1_16scan_by_key_implILNS1_25lookback_scan_determinismE0ELb1ES3_N6thrust23THRUST_200600_302600_NS6detail15normal_iteratorINS9_10device_ptrIxEEEESE_SE_xNS9_4plusIvEENS9_8equal_toIvEExEE10hipError_tPvRmT2_T3_T4_T5_mT6_T7_P12ihipStream_tbENKUlT_T0_E_clISt17integral_constantIbLb0EESZ_EEDaSU_SV_EUlSU_E_NS1_11comp_targetILNS1_3genE10ELNS1_11target_archE1201ELNS1_3gpuE5ELNS1_3repE0EEENS1_30default_config_static_selectorELNS0_4arch9wavefront6targetE0EEEvT1_.has_recursion, 0
	.set _ZN7rocprim17ROCPRIM_400000_NS6detail17trampoline_kernelINS0_14default_configENS1_27scan_by_key_config_selectorIxxEEZZNS1_16scan_by_key_implILNS1_25lookback_scan_determinismE0ELb1ES3_N6thrust23THRUST_200600_302600_NS6detail15normal_iteratorINS9_10device_ptrIxEEEESE_SE_xNS9_4plusIvEENS9_8equal_toIvEExEE10hipError_tPvRmT2_T3_T4_T5_mT6_T7_P12ihipStream_tbENKUlT_T0_E_clISt17integral_constantIbLb0EESZ_EEDaSU_SV_EUlSU_E_NS1_11comp_targetILNS1_3genE10ELNS1_11target_archE1201ELNS1_3gpuE5ELNS1_3repE0EEENS1_30default_config_static_selectorELNS0_4arch9wavefront6targetE0EEEvT1_.has_indirect_call, 0
	.section	.AMDGPU.csdata,"",@progbits
; Kernel info:
; codeLenInByte = 0
; TotalNumSgprs: 0
; NumVgprs: 0
; ScratchSize: 0
; MemoryBound: 0
; FloatMode: 240
; IeeeMode: 1
; LDSByteSize: 0 bytes/workgroup (compile time only)
; SGPRBlocks: 0
; VGPRBlocks: 0
; NumSGPRsForWavesPerEU: 1
; NumVGPRsForWavesPerEU: 1
; NamedBarCnt: 0
; Occupancy: 16
; WaveLimiterHint : 0
; COMPUTE_PGM_RSRC2:SCRATCH_EN: 0
; COMPUTE_PGM_RSRC2:USER_SGPR: 2
; COMPUTE_PGM_RSRC2:TRAP_HANDLER: 0
; COMPUTE_PGM_RSRC2:TGID_X_EN: 1
; COMPUTE_PGM_RSRC2:TGID_Y_EN: 0
; COMPUTE_PGM_RSRC2:TGID_Z_EN: 0
; COMPUTE_PGM_RSRC2:TIDIG_COMP_CNT: 0
	.section	.text._ZN7rocprim17ROCPRIM_400000_NS6detail17trampoline_kernelINS0_14default_configENS1_27scan_by_key_config_selectorIxxEEZZNS1_16scan_by_key_implILNS1_25lookback_scan_determinismE0ELb1ES3_N6thrust23THRUST_200600_302600_NS6detail15normal_iteratorINS9_10device_ptrIxEEEESE_SE_xNS9_4plusIvEENS9_8equal_toIvEExEE10hipError_tPvRmT2_T3_T4_T5_mT6_T7_P12ihipStream_tbENKUlT_T0_E_clISt17integral_constantIbLb0EESZ_EEDaSU_SV_EUlSU_E_NS1_11comp_targetILNS1_3genE5ELNS1_11target_archE942ELNS1_3gpuE9ELNS1_3repE0EEENS1_30default_config_static_selectorELNS0_4arch9wavefront6targetE0EEEvT1_,"axG",@progbits,_ZN7rocprim17ROCPRIM_400000_NS6detail17trampoline_kernelINS0_14default_configENS1_27scan_by_key_config_selectorIxxEEZZNS1_16scan_by_key_implILNS1_25lookback_scan_determinismE0ELb1ES3_N6thrust23THRUST_200600_302600_NS6detail15normal_iteratorINS9_10device_ptrIxEEEESE_SE_xNS9_4plusIvEENS9_8equal_toIvEExEE10hipError_tPvRmT2_T3_T4_T5_mT6_T7_P12ihipStream_tbENKUlT_T0_E_clISt17integral_constantIbLb0EESZ_EEDaSU_SV_EUlSU_E_NS1_11comp_targetILNS1_3genE5ELNS1_11target_archE942ELNS1_3gpuE9ELNS1_3repE0EEENS1_30default_config_static_selectorELNS0_4arch9wavefront6targetE0EEEvT1_,comdat
	.protected	_ZN7rocprim17ROCPRIM_400000_NS6detail17trampoline_kernelINS0_14default_configENS1_27scan_by_key_config_selectorIxxEEZZNS1_16scan_by_key_implILNS1_25lookback_scan_determinismE0ELb1ES3_N6thrust23THRUST_200600_302600_NS6detail15normal_iteratorINS9_10device_ptrIxEEEESE_SE_xNS9_4plusIvEENS9_8equal_toIvEExEE10hipError_tPvRmT2_T3_T4_T5_mT6_T7_P12ihipStream_tbENKUlT_T0_E_clISt17integral_constantIbLb0EESZ_EEDaSU_SV_EUlSU_E_NS1_11comp_targetILNS1_3genE5ELNS1_11target_archE942ELNS1_3gpuE9ELNS1_3repE0EEENS1_30default_config_static_selectorELNS0_4arch9wavefront6targetE0EEEvT1_ ; -- Begin function _ZN7rocprim17ROCPRIM_400000_NS6detail17trampoline_kernelINS0_14default_configENS1_27scan_by_key_config_selectorIxxEEZZNS1_16scan_by_key_implILNS1_25lookback_scan_determinismE0ELb1ES3_N6thrust23THRUST_200600_302600_NS6detail15normal_iteratorINS9_10device_ptrIxEEEESE_SE_xNS9_4plusIvEENS9_8equal_toIvEExEE10hipError_tPvRmT2_T3_T4_T5_mT6_T7_P12ihipStream_tbENKUlT_T0_E_clISt17integral_constantIbLb0EESZ_EEDaSU_SV_EUlSU_E_NS1_11comp_targetILNS1_3genE5ELNS1_11target_archE942ELNS1_3gpuE9ELNS1_3repE0EEENS1_30default_config_static_selectorELNS0_4arch9wavefront6targetE0EEEvT1_
	.globl	_ZN7rocprim17ROCPRIM_400000_NS6detail17trampoline_kernelINS0_14default_configENS1_27scan_by_key_config_selectorIxxEEZZNS1_16scan_by_key_implILNS1_25lookback_scan_determinismE0ELb1ES3_N6thrust23THRUST_200600_302600_NS6detail15normal_iteratorINS9_10device_ptrIxEEEESE_SE_xNS9_4plusIvEENS9_8equal_toIvEExEE10hipError_tPvRmT2_T3_T4_T5_mT6_T7_P12ihipStream_tbENKUlT_T0_E_clISt17integral_constantIbLb0EESZ_EEDaSU_SV_EUlSU_E_NS1_11comp_targetILNS1_3genE5ELNS1_11target_archE942ELNS1_3gpuE9ELNS1_3repE0EEENS1_30default_config_static_selectorELNS0_4arch9wavefront6targetE0EEEvT1_
	.p2align	8
	.type	_ZN7rocprim17ROCPRIM_400000_NS6detail17trampoline_kernelINS0_14default_configENS1_27scan_by_key_config_selectorIxxEEZZNS1_16scan_by_key_implILNS1_25lookback_scan_determinismE0ELb1ES3_N6thrust23THRUST_200600_302600_NS6detail15normal_iteratorINS9_10device_ptrIxEEEESE_SE_xNS9_4plusIvEENS9_8equal_toIvEExEE10hipError_tPvRmT2_T3_T4_T5_mT6_T7_P12ihipStream_tbENKUlT_T0_E_clISt17integral_constantIbLb0EESZ_EEDaSU_SV_EUlSU_E_NS1_11comp_targetILNS1_3genE5ELNS1_11target_archE942ELNS1_3gpuE9ELNS1_3repE0EEENS1_30default_config_static_selectorELNS0_4arch9wavefront6targetE0EEEvT1_,@function
_ZN7rocprim17ROCPRIM_400000_NS6detail17trampoline_kernelINS0_14default_configENS1_27scan_by_key_config_selectorIxxEEZZNS1_16scan_by_key_implILNS1_25lookback_scan_determinismE0ELb1ES3_N6thrust23THRUST_200600_302600_NS6detail15normal_iteratorINS9_10device_ptrIxEEEESE_SE_xNS9_4plusIvEENS9_8equal_toIvEExEE10hipError_tPvRmT2_T3_T4_T5_mT6_T7_P12ihipStream_tbENKUlT_T0_E_clISt17integral_constantIbLb0EESZ_EEDaSU_SV_EUlSU_E_NS1_11comp_targetILNS1_3genE5ELNS1_11target_archE942ELNS1_3gpuE9ELNS1_3repE0EEENS1_30default_config_static_selectorELNS0_4arch9wavefront6targetE0EEEvT1_: ; @_ZN7rocprim17ROCPRIM_400000_NS6detail17trampoline_kernelINS0_14default_configENS1_27scan_by_key_config_selectorIxxEEZZNS1_16scan_by_key_implILNS1_25lookback_scan_determinismE0ELb1ES3_N6thrust23THRUST_200600_302600_NS6detail15normal_iteratorINS9_10device_ptrIxEEEESE_SE_xNS9_4plusIvEENS9_8equal_toIvEExEE10hipError_tPvRmT2_T3_T4_T5_mT6_T7_P12ihipStream_tbENKUlT_T0_E_clISt17integral_constantIbLb0EESZ_EEDaSU_SV_EUlSU_E_NS1_11comp_targetILNS1_3genE5ELNS1_11target_archE942ELNS1_3gpuE9ELNS1_3repE0EEENS1_30default_config_static_selectorELNS0_4arch9wavefront6targetE0EEEvT1_
; %bb.0:
	.section	.rodata,"a",@progbits
	.p2align	6, 0x0
	.amdhsa_kernel _ZN7rocprim17ROCPRIM_400000_NS6detail17trampoline_kernelINS0_14default_configENS1_27scan_by_key_config_selectorIxxEEZZNS1_16scan_by_key_implILNS1_25lookback_scan_determinismE0ELb1ES3_N6thrust23THRUST_200600_302600_NS6detail15normal_iteratorINS9_10device_ptrIxEEEESE_SE_xNS9_4plusIvEENS9_8equal_toIvEExEE10hipError_tPvRmT2_T3_T4_T5_mT6_T7_P12ihipStream_tbENKUlT_T0_E_clISt17integral_constantIbLb0EESZ_EEDaSU_SV_EUlSU_E_NS1_11comp_targetILNS1_3genE5ELNS1_11target_archE942ELNS1_3gpuE9ELNS1_3repE0EEENS1_30default_config_static_selectorELNS0_4arch9wavefront6targetE0EEEvT1_
		.amdhsa_group_segment_fixed_size 0
		.amdhsa_private_segment_fixed_size 0
		.amdhsa_kernarg_size 136
		.amdhsa_user_sgpr_count 2
		.amdhsa_user_sgpr_dispatch_ptr 0
		.amdhsa_user_sgpr_queue_ptr 0
		.amdhsa_user_sgpr_kernarg_segment_ptr 1
		.amdhsa_user_sgpr_dispatch_id 0
		.amdhsa_user_sgpr_kernarg_preload_length 0
		.amdhsa_user_sgpr_kernarg_preload_offset 0
		.amdhsa_user_sgpr_private_segment_size 0
		.amdhsa_wavefront_size32 1
		.amdhsa_uses_dynamic_stack 0
		.amdhsa_enable_private_segment 0
		.amdhsa_system_sgpr_workgroup_id_x 1
		.amdhsa_system_sgpr_workgroup_id_y 0
		.amdhsa_system_sgpr_workgroup_id_z 0
		.amdhsa_system_sgpr_workgroup_info 0
		.amdhsa_system_vgpr_workitem_id 0
		.amdhsa_next_free_vgpr 1
		.amdhsa_next_free_sgpr 1
		.amdhsa_named_barrier_count 0
		.amdhsa_reserve_vcc 0
		.amdhsa_float_round_mode_32 0
		.amdhsa_float_round_mode_16_64 0
		.amdhsa_float_denorm_mode_32 3
		.amdhsa_float_denorm_mode_16_64 3
		.amdhsa_fp16_overflow 0
		.amdhsa_memory_ordered 1
		.amdhsa_forward_progress 1
		.amdhsa_inst_pref_size 0
		.amdhsa_round_robin_scheduling 0
		.amdhsa_exception_fp_ieee_invalid_op 0
		.amdhsa_exception_fp_denorm_src 0
		.amdhsa_exception_fp_ieee_div_zero 0
		.amdhsa_exception_fp_ieee_overflow 0
		.amdhsa_exception_fp_ieee_underflow 0
		.amdhsa_exception_fp_ieee_inexact 0
		.amdhsa_exception_int_div_zero 0
	.end_amdhsa_kernel
	.section	.text._ZN7rocprim17ROCPRIM_400000_NS6detail17trampoline_kernelINS0_14default_configENS1_27scan_by_key_config_selectorIxxEEZZNS1_16scan_by_key_implILNS1_25lookback_scan_determinismE0ELb1ES3_N6thrust23THRUST_200600_302600_NS6detail15normal_iteratorINS9_10device_ptrIxEEEESE_SE_xNS9_4plusIvEENS9_8equal_toIvEExEE10hipError_tPvRmT2_T3_T4_T5_mT6_T7_P12ihipStream_tbENKUlT_T0_E_clISt17integral_constantIbLb0EESZ_EEDaSU_SV_EUlSU_E_NS1_11comp_targetILNS1_3genE5ELNS1_11target_archE942ELNS1_3gpuE9ELNS1_3repE0EEENS1_30default_config_static_selectorELNS0_4arch9wavefront6targetE0EEEvT1_,"axG",@progbits,_ZN7rocprim17ROCPRIM_400000_NS6detail17trampoline_kernelINS0_14default_configENS1_27scan_by_key_config_selectorIxxEEZZNS1_16scan_by_key_implILNS1_25lookback_scan_determinismE0ELb1ES3_N6thrust23THRUST_200600_302600_NS6detail15normal_iteratorINS9_10device_ptrIxEEEESE_SE_xNS9_4plusIvEENS9_8equal_toIvEExEE10hipError_tPvRmT2_T3_T4_T5_mT6_T7_P12ihipStream_tbENKUlT_T0_E_clISt17integral_constantIbLb0EESZ_EEDaSU_SV_EUlSU_E_NS1_11comp_targetILNS1_3genE5ELNS1_11target_archE942ELNS1_3gpuE9ELNS1_3repE0EEENS1_30default_config_static_selectorELNS0_4arch9wavefront6targetE0EEEvT1_,comdat
.Lfunc_end355:
	.size	_ZN7rocprim17ROCPRIM_400000_NS6detail17trampoline_kernelINS0_14default_configENS1_27scan_by_key_config_selectorIxxEEZZNS1_16scan_by_key_implILNS1_25lookback_scan_determinismE0ELb1ES3_N6thrust23THRUST_200600_302600_NS6detail15normal_iteratorINS9_10device_ptrIxEEEESE_SE_xNS9_4plusIvEENS9_8equal_toIvEExEE10hipError_tPvRmT2_T3_T4_T5_mT6_T7_P12ihipStream_tbENKUlT_T0_E_clISt17integral_constantIbLb0EESZ_EEDaSU_SV_EUlSU_E_NS1_11comp_targetILNS1_3genE5ELNS1_11target_archE942ELNS1_3gpuE9ELNS1_3repE0EEENS1_30default_config_static_selectorELNS0_4arch9wavefront6targetE0EEEvT1_, .Lfunc_end355-_ZN7rocprim17ROCPRIM_400000_NS6detail17trampoline_kernelINS0_14default_configENS1_27scan_by_key_config_selectorIxxEEZZNS1_16scan_by_key_implILNS1_25lookback_scan_determinismE0ELb1ES3_N6thrust23THRUST_200600_302600_NS6detail15normal_iteratorINS9_10device_ptrIxEEEESE_SE_xNS9_4plusIvEENS9_8equal_toIvEExEE10hipError_tPvRmT2_T3_T4_T5_mT6_T7_P12ihipStream_tbENKUlT_T0_E_clISt17integral_constantIbLb0EESZ_EEDaSU_SV_EUlSU_E_NS1_11comp_targetILNS1_3genE5ELNS1_11target_archE942ELNS1_3gpuE9ELNS1_3repE0EEENS1_30default_config_static_selectorELNS0_4arch9wavefront6targetE0EEEvT1_
                                        ; -- End function
	.set _ZN7rocprim17ROCPRIM_400000_NS6detail17trampoline_kernelINS0_14default_configENS1_27scan_by_key_config_selectorIxxEEZZNS1_16scan_by_key_implILNS1_25lookback_scan_determinismE0ELb1ES3_N6thrust23THRUST_200600_302600_NS6detail15normal_iteratorINS9_10device_ptrIxEEEESE_SE_xNS9_4plusIvEENS9_8equal_toIvEExEE10hipError_tPvRmT2_T3_T4_T5_mT6_T7_P12ihipStream_tbENKUlT_T0_E_clISt17integral_constantIbLb0EESZ_EEDaSU_SV_EUlSU_E_NS1_11comp_targetILNS1_3genE5ELNS1_11target_archE942ELNS1_3gpuE9ELNS1_3repE0EEENS1_30default_config_static_selectorELNS0_4arch9wavefront6targetE0EEEvT1_.num_vgpr, 0
	.set _ZN7rocprim17ROCPRIM_400000_NS6detail17trampoline_kernelINS0_14default_configENS1_27scan_by_key_config_selectorIxxEEZZNS1_16scan_by_key_implILNS1_25lookback_scan_determinismE0ELb1ES3_N6thrust23THRUST_200600_302600_NS6detail15normal_iteratorINS9_10device_ptrIxEEEESE_SE_xNS9_4plusIvEENS9_8equal_toIvEExEE10hipError_tPvRmT2_T3_T4_T5_mT6_T7_P12ihipStream_tbENKUlT_T0_E_clISt17integral_constantIbLb0EESZ_EEDaSU_SV_EUlSU_E_NS1_11comp_targetILNS1_3genE5ELNS1_11target_archE942ELNS1_3gpuE9ELNS1_3repE0EEENS1_30default_config_static_selectorELNS0_4arch9wavefront6targetE0EEEvT1_.num_agpr, 0
	.set _ZN7rocprim17ROCPRIM_400000_NS6detail17trampoline_kernelINS0_14default_configENS1_27scan_by_key_config_selectorIxxEEZZNS1_16scan_by_key_implILNS1_25lookback_scan_determinismE0ELb1ES3_N6thrust23THRUST_200600_302600_NS6detail15normal_iteratorINS9_10device_ptrIxEEEESE_SE_xNS9_4plusIvEENS9_8equal_toIvEExEE10hipError_tPvRmT2_T3_T4_T5_mT6_T7_P12ihipStream_tbENKUlT_T0_E_clISt17integral_constantIbLb0EESZ_EEDaSU_SV_EUlSU_E_NS1_11comp_targetILNS1_3genE5ELNS1_11target_archE942ELNS1_3gpuE9ELNS1_3repE0EEENS1_30default_config_static_selectorELNS0_4arch9wavefront6targetE0EEEvT1_.numbered_sgpr, 0
	.set _ZN7rocprim17ROCPRIM_400000_NS6detail17trampoline_kernelINS0_14default_configENS1_27scan_by_key_config_selectorIxxEEZZNS1_16scan_by_key_implILNS1_25lookback_scan_determinismE0ELb1ES3_N6thrust23THRUST_200600_302600_NS6detail15normal_iteratorINS9_10device_ptrIxEEEESE_SE_xNS9_4plusIvEENS9_8equal_toIvEExEE10hipError_tPvRmT2_T3_T4_T5_mT6_T7_P12ihipStream_tbENKUlT_T0_E_clISt17integral_constantIbLb0EESZ_EEDaSU_SV_EUlSU_E_NS1_11comp_targetILNS1_3genE5ELNS1_11target_archE942ELNS1_3gpuE9ELNS1_3repE0EEENS1_30default_config_static_selectorELNS0_4arch9wavefront6targetE0EEEvT1_.num_named_barrier, 0
	.set _ZN7rocprim17ROCPRIM_400000_NS6detail17trampoline_kernelINS0_14default_configENS1_27scan_by_key_config_selectorIxxEEZZNS1_16scan_by_key_implILNS1_25lookback_scan_determinismE0ELb1ES3_N6thrust23THRUST_200600_302600_NS6detail15normal_iteratorINS9_10device_ptrIxEEEESE_SE_xNS9_4plusIvEENS9_8equal_toIvEExEE10hipError_tPvRmT2_T3_T4_T5_mT6_T7_P12ihipStream_tbENKUlT_T0_E_clISt17integral_constantIbLb0EESZ_EEDaSU_SV_EUlSU_E_NS1_11comp_targetILNS1_3genE5ELNS1_11target_archE942ELNS1_3gpuE9ELNS1_3repE0EEENS1_30default_config_static_selectorELNS0_4arch9wavefront6targetE0EEEvT1_.private_seg_size, 0
	.set _ZN7rocprim17ROCPRIM_400000_NS6detail17trampoline_kernelINS0_14default_configENS1_27scan_by_key_config_selectorIxxEEZZNS1_16scan_by_key_implILNS1_25lookback_scan_determinismE0ELb1ES3_N6thrust23THRUST_200600_302600_NS6detail15normal_iteratorINS9_10device_ptrIxEEEESE_SE_xNS9_4plusIvEENS9_8equal_toIvEExEE10hipError_tPvRmT2_T3_T4_T5_mT6_T7_P12ihipStream_tbENKUlT_T0_E_clISt17integral_constantIbLb0EESZ_EEDaSU_SV_EUlSU_E_NS1_11comp_targetILNS1_3genE5ELNS1_11target_archE942ELNS1_3gpuE9ELNS1_3repE0EEENS1_30default_config_static_selectorELNS0_4arch9wavefront6targetE0EEEvT1_.uses_vcc, 0
	.set _ZN7rocprim17ROCPRIM_400000_NS6detail17trampoline_kernelINS0_14default_configENS1_27scan_by_key_config_selectorIxxEEZZNS1_16scan_by_key_implILNS1_25lookback_scan_determinismE0ELb1ES3_N6thrust23THRUST_200600_302600_NS6detail15normal_iteratorINS9_10device_ptrIxEEEESE_SE_xNS9_4plusIvEENS9_8equal_toIvEExEE10hipError_tPvRmT2_T3_T4_T5_mT6_T7_P12ihipStream_tbENKUlT_T0_E_clISt17integral_constantIbLb0EESZ_EEDaSU_SV_EUlSU_E_NS1_11comp_targetILNS1_3genE5ELNS1_11target_archE942ELNS1_3gpuE9ELNS1_3repE0EEENS1_30default_config_static_selectorELNS0_4arch9wavefront6targetE0EEEvT1_.uses_flat_scratch, 0
	.set _ZN7rocprim17ROCPRIM_400000_NS6detail17trampoline_kernelINS0_14default_configENS1_27scan_by_key_config_selectorIxxEEZZNS1_16scan_by_key_implILNS1_25lookback_scan_determinismE0ELb1ES3_N6thrust23THRUST_200600_302600_NS6detail15normal_iteratorINS9_10device_ptrIxEEEESE_SE_xNS9_4plusIvEENS9_8equal_toIvEExEE10hipError_tPvRmT2_T3_T4_T5_mT6_T7_P12ihipStream_tbENKUlT_T0_E_clISt17integral_constantIbLb0EESZ_EEDaSU_SV_EUlSU_E_NS1_11comp_targetILNS1_3genE5ELNS1_11target_archE942ELNS1_3gpuE9ELNS1_3repE0EEENS1_30default_config_static_selectorELNS0_4arch9wavefront6targetE0EEEvT1_.has_dyn_sized_stack, 0
	.set _ZN7rocprim17ROCPRIM_400000_NS6detail17trampoline_kernelINS0_14default_configENS1_27scan_by_key_config_selectorIxxEEZZNS1_16scan_by_key_implILNS1_25lookback_scan_determinismE0ELb1ES3_N6thrust23THRUST_200600_302600_NS6detail15normal_iteratorINS9_10device_ptrIxEEEESE_SE_xNS9_4plusIvEENS9_8equal_toIvEExEE10hipError_tPvRmT2_T3_T4_T5_mT6_T7_P12ihipStream_tbENKUlT_T0_E_clISt17integral_constantIbLb0EESZ_EEDaSU_SV_EUlSU_E_NS1_11comp_targetILNS1_3genE5ELNS1_11target_archE942ELNS1_3gpuE9ELNS1_3repE0EEENS1_30default_config_static_selectorELNS0_4arch9wavefront6targetE0EEEvT1_.has_recursion, 0
	.set _ZN7rocprim17ROCPRIM_400000_NS6detail17trampoline_kernelINS0_14default_configENS1_27scan_by_key_config_selectorIxxEEZZNS1_16scan_by_key_implILNS1_25lookback_scan_determinismE0ELb1ES3_N6thrust23THRUST_200600_302600_NS6detail15normal_iteratorINS9_10device_ptrIxEEEESE_SE_xNS9_4plusIvEENS9_8equal_toIvEExEE10hipError_tPvRmT2_T3_T4_T5_mT6_T7_P12ihipStream_tbENKUlT_T0_E_clISt17integral_constantIbLb0EESZ_EEDaSU_SV_EUlSU_E_NS1_11comp_targetILNS1_3genE5ELNS1_11target_archE942ELNS1_3gpuE9ELNS1_3repE0EEENS1_30default_config_static_selectorELNS0_4arch9wavefront6targetE0EEEvT1_.has_indirect_call, 0
	.section	.AMDGPU.csdata,"",@progbits
; Kernel info:
; codeLenInByte = 0
; TotalNumSgprs: 0
; NumVgprs: 0
; ScratchSize: 0
; MemoryBound: 0
; FloatMode: 240
; IeeeMode: 1
; LDSByteSize: 0 bytes/workgroup (compile time only)
; SGPRBlocks: 0
; VGPRBlocks: 0
; NumSGPRsForWavesPerEU: 1
; NumVGPRsForWavesPerEU: 1
; NamedBarCnt: 0
; Occupancy: 16
; WaveLimiterHint : 0
; COMPUTE_PGM_RSRC2:SCRATCH_EN: 0
; COMPUTE_PGM_RSRC2:USER_SGPR: 2
; COMPUTE_PGM_RSRC2:TRAP_HANDLER: 0
; COMPUTE_PGM_RSRC2:TGID_X_EN: 1
; COMPUTE_PGM_RSRC2:TGID_Y_EN: 0
; COMPUTE_PGM_RSRC2:TGID_Z_EN: 0
; COMPUTE_PGM_RSRC2:TIDIG_COMP_CNT: 0
	.section	.text._ZN7rocprim17ROCPRIM_400000_NS6detail17trampoline_kernelINS0_14default_configENS1_27scan_by_key_config_selectorIxxEEZZNS1_16scan_by_key_implILNS1_25lookback_scan_determinismE0ELb1ES3_N6thrust23THRUST_200600_302600_NS6detail15normal_iteratorINS9_10device_ptrIxEEEESE_SE_xNS9_4plusIvEENS9_8equal_toIvEExEE10hipError_tPvRmT2_T3_T4_T5_mT6_T7_P12ihipStream_tbENKUlT_T0_E_clISt17integral_constantIbLb0EESZ_EEDaSU_SV_EUlSU_E_NS1_11comp_targetILNS1_3genE4ELNS1_11target_archE910ELNS1_3gpuE8ELNS1_3repE0EEENS1_30default_config_static_selectorELNS0_4arch9wavefront6targetE0EEEvT1_,"axG",@progbits,_ZN7rocprim17ROCPRIM_400000_NS6detail17trampoline_kernelINS0_14default_configENS1_27scan_by_key_config_selectorIxxEEZZNS1_16scan_by_key_implILNS1_25lookback_scan_determinismE0ELb1ES3_N6thrust23THRUST_200600_302600_NS6detail15normal_iteratorINS9_10device_ptrIxEEEESE_SE_xNS9_4plusIvEENS9_8equal_toIvEExEE10hipError_tPvRmT2_T3_T4_T5_mT6_T7_P12ihipStream_tbENKUlT_T0_E_clISt17integral_constantIbLb0EESZ_EEDaSU_SV_EUlSU_E_NS1_11comp_targetILNS1_3genE4ELNS1_11target_archE910ELNS1_3gpuE8ELNS1_3repE0EEENS1_30default_config_static_selectorELNS0_4arch9wavefront6targetE0EEEvT1_,comdat
	.protected	_ZN7rocprim17ROCPRIM_400000_NS6detail17trampoline_kernelINS0_14default_configENS1_27scan_by_key_config_selectorIxxEEZZNS1_16scan_by_key_implILNS1_25lookback_scan_determinismE0ELb1ES3_N6thrust23THRUST_200600_302600_NS6detail15normal_iteratorINS9_10device_ptrIxEEEESE_SE_xNS9_4plusIvEENS9_8equal_toIvEExEE10hipError_tPvRmT2_T3_T4_T5_mT6_T7_P12ihipStream_tbENKUlT_T0_E_clISt17integral_constantIbLb0EESZ_EEDaSU_SV_EUlSU_E_NS1_11comp_targetILNS1_3genE4ELNS1_11target_archE910ELNS1_3gpuE8ELNS1_3repE0EEENS1_30default_config_static_selectorELNS0_4arch9wavefront6targetE0EEEvT1_ ; -- Begin function _ZN7rocprim17ROCPRIM_400000_NS6detail17trampoline_kernelINS0_14default_configENS1_27scan_by_key_config_selectorIxxEEZZNS1_16scan_by_key_implILNS1_25lookback_scan_determinismE0ELb1ES3_N6thrust23THRUST_200600_302600_NS6detail15normal_iteratorINS9_10device_ptrIxEEEESE_SE_xNS9_4plusIvEENS9_8equal_toIvEExEE10hipError_tPvRmT2_T3_T4_T5_mT6_T7_P12ihipStream_tbENKUlT_T0_E_clISt17integral_constantIbLb0EESZ_EEDaSU_SV_EUlSU_E_NS1_11comp_targetILNS1_3genE4ELNS1_11target_archE910ELNS1_3gpuE8ELNS1_3repE0EEENS1_30default_config_static_selectorELNS0_4arch9wavefront6targetE0EEEvT1_
	.globl	_ZN7rocprim17ROCPRIM_400000_NS6detail17trampoline_kernelINS0_14default_configENS1_27scan_by_key_config_selectorIxxEEZZNS1_16scan_by_key_implILNS1_25lookback_scan_determinismE0ELb1ES3_N6thrust23THRUST_200600_302600_NS6detail15normal_iteratorINS9_10device_ptrIxEEEESE_SE_xNS9_4plusIvEENS9_8equal_toIvEExEE10hipError_tPvRmT2_T3_T4_T5_mT6_T7_P12ihipStream_tbENKUlT_T0_E_clISt17integral_constantIbLb0EESZ_EEDaSU_SV_EUlSU_E_NS1_11comp_targetILNS1_3genE4ELNS1_11target_archE910ELNS1_3gpuE8ELNS1_3repE0EEENS1_30default_config_static_selectorELNS0_4arch9wavefront6targetE0EEEvT1_
	.p2align	8
	.type	_ZN7rocprim17ROCPRIM_400000_NS6detail17trampoline_kernelINS0_14default_configENS1_27scan_by_key_config_selectorIxxEEZZNS1_16scan_by_key_implILNS1_25lookback_scan_determinismE0ELb1ES3_N6thrust23THRUST_200600_302600_NS6detail15normal_iteratorINS9_10device_ptrIxEEEESE_SE_xNS9_4plusIvEENS9_8equal_toIvEExEE10hipError_tPvRmT2_T3_T4_T5_mT6_T7_P12ihipStream_tbENKUlT_T0_E_clISt17integral_constantIbLb0EESZ_EEDaSU_SV_EUlSU_E_NS1_11comp_targetILNS1_3genE4ELNS1_11target_archE910ELNS1_3gpuE8ELNS1_3repE0EEENS1_30default_config_static_selectorELNS0_4arch9wavefront6targetE0EEEvT1_,@function
_ZN7rocprim17ROCPRIM_400000_NS6detail17trampoline_kernelINS0_14default_configENS1_27scan_by_key_config_selectorIxxEEZZNS1_16scan_by_key_implILNS1_25lookback_scan_determinismE0ELb1ES3_N6thrust23THRUST_200600_302600_NS6detail15normal_iteratorINS9_10device_ptrIxEEEESE_SE_xNS9_4plusIvEENS9_8equal_toIvEExEE10hipError_tPvRmT2_T3_T4_T5_mT6_T7_P12ihipStream_tbENKUlT_T0_E_clISt17integral_constantIbLb0EESZ_EEDaSU_SV_EUlSU_E_NS1_11comp_targetILNS1_3genE4ELNS1_11target_archE910ELNS1_3gpuE8ELNS1_3repE0EEENS1_30default_config_static_selectorELNS0_4arch9wavefront6targetE0EEEvT1_: ; @_ZN7rocprim17ROCPRIM_400000_NS6detail17trampoline_kernelINS0_14default_configENS1_27scan_by_key_config_selectorIxxEEZZNS1_16scan_by_key_implILNS1_25lookback_scan_determinismE0ELb1ES3_N6thrust23THRUST_200600_302600_NS6detail15normal_iteratorINS9_10device_ptrIxEEEESE_SE_xNS9_4plusIvEENS9_8equal_toIvEExEE10hipError_tPvRmT2_T3_T4_T5_mT6_T7_P12ihipStream_tbENKUlT_T0_E_clISt17integral_constantIbLb0EESZ_EEDaSU_SV_EUlSU_E_NS1_11comp_targetILNS1_3genE4ELNS1_11target_archE910ELNS1_3gpuE8ELNS1_3repE0EEENS1_30default_config_static_selectorELNS0_4arch9wavefront6targetE0EEEvT1_
; %bb.0:
	.section	.rodata,"a",@progbits
	.p2align	6, 0x0
	.amdhsa_kernel _ZN7rocprim17ROCPRIM_400000_NS6detail17trampoline_kernelINS0_14default_configENS1_27scan_by_key_config_selectorIxxEEZZNS1_16scan_by_key_implILNS1_25lookback_scan_determinismE0ELb1ES3_N6thrust23THRUST_200600_302600_NS6detail15normal_iteratorINS9_10device_ptrIxEEEESE_SE_xNS9_4plusIvEENS9_8equal_toIvEExEE10hipError_tPvRmT2_T3_T4_T5_mT6_T7_P12ihipStream_tbENKUlT_T0_E_clISt17integral_constantIbLb0EESZ_EEDaSU_SV_EUlSU_E_NS1_11comp_targetILNS1_3genE4ELNS1_11target_archE910ELNS1_3gpuE8ELNS1_3repE0EEENS1_30default_config_static_selectorELNS0_4arch9wavefront6targetE0EEEvT1_
		.amdhsa_group_segment_fixed_size 0
		.amdhsa_private_segment_fixed_size 0
		.amdhsa_kernarg_size 136
		.amdhsa_user_sgpr_count 2
		.amdhsa_user_sgpr_dispatch_ptr 0
		.amdhsa_user_sgpr_queue_ptr 0
		.amdhsa_user_sgpr_kernarg_segment_ptr 1
		.amdhsa_user_sgpr_dispatch_id 0
		.amdhsa_user_sgpr_kernarg_preload_length 0
		.amdhsa_user_sgpr_kernarg_preload_offset 0
		.amdhsa_user_sgpr_private_segment_size 0
		.amdhsa_wavefront_size32 1
		.amdhsa_uses_dynamic_stack 0
		.amdhsa_enable_private_segment 0
		.amdhsa_system_sgpr_workgroup_id_x 1
		.amdhsa_system_sgpr_workgroup_id_y 0
		.amdhsa_system_sgpr_workgroup_id_z 0
		.amdhsa_system_sgpr_workgroup_info 0
		.amdhsa_system_vgpr_workitem_id 0
		.amdhsa_next_free_vgpr 1
		.amdhsa_next_free_sgpr 1
		.amdhsa_named_barrier_count 0
		.amdhsa_reserve_vcc 0
		.amdhsa_float_round_mode_32 0
		.amdhsa_float_round_mode_16_64 0
		.amdhsa_float_denorm_mode_32 3
		.amdhsa_float_denorm_mode_16_64 3
		.amdhsa_fp16_overflow 0
		.amdhsa_memory_ordered 1
		.amdhsa_forward_progress 1
		.amdhsa_inst_pref_size 0
		.amdhsa_round_robin_scheduling 0
		.amdhsa_exception_fp_ieee_invalid_op 0
		.amdhsa_exception_fp_denorm_src 0
		.amdhsa_exception_fp_ieee_div_zero 0
		.amdhsa_exception_fp_ieee_overflow 0
		.amdhsa_exception_fp_ieee_underflow 0
		.amdhsa_exception_fp_ieee_inexact 0
		.amdhsa_exception_int_div_zero 0
	.end_amdhsa_kernel
	.section	.text._ZN7rocprim17ROCPRIM_400000_NS6detail17trampoline_kernelINS0_14default_configENS1_27scan_by_key_config_selectorIxxEEZZNS1_16scan_by_key_implILNS1_25lookback_scan_determinismE0ELb1ES3_N6thrust23THRUST_200600_302600_NS6detail15normal_iteratorINS9_10device_ptrIxEEEESE_SE_xNS9_4plusIvEENS9_8equal_toIvEExEE10hipError_tPvRmT2_T3_T4_T5_mT6_T7_P12ihipStream_tbENKUlT_T0_E_clISt17integral_constantIbLb0EESZ_EEDaSU_SV_EUlSU_E_NS1_11comp_targetILNS1_3genE4ELNS1_11target_archE910ELNS1_3gpuE8ELNS1_3repE0EEENS1_30default_config_static_selectorELNS0_4arch9wavefront6targetE0EEEvT1_,"axG",@progbits,_ZN7rocprim17ROCPRIM_400000_NS6detail17trampoline_kernelINS0_14default_configENS1_27scan_by_key_config_selectorIxxEEZZNS1_16scan_by_key_implILNS1_25lookback_scan_determinismE0ELb1ES3_N6thrust23THRUST_200600_302600_NS6detail15normal_iteratorINS9_10device_ptrIxEEEESE_SE_xNS9_4plusIvEENS9_8equal_toIvEExEE10hipError_tPvRmT2_T3_T4_T5_mT6_T7_P12ihipStream_tbENKUlT_T0_E_clISt17integral_constantIbLb0EESZ_EEDaSU_SV_EUlSU_E_NS1_11comp_targetILNS1_3genE4ELNS1_11target_archE910ELNS1_3gpuE8ELNS1_3repE0EEENS1_30default_config_static_selectorELNS0_4arch9wavefront6targetE0EEEvT1_,comdat
.Lfunc_end356:
	.size	_ZN7rocprim17ROCPRIM_400000_NS6detail17trampoline_kernelINS0_14default_configENS1_27scan_by_key_config_selectorIxxEEZZNS1_16scan_by_key_implILNS1_25lookback_scan_determinismE0ELb1ES3_N6thrust23THRUST_200600_302600_NS6detail15normal_iteratorINS9_10device_ptrIxEEEESE_SE_xNS9_4plusIvEENS9_8equal_toIvEExEE10hipError_tPvRmT2_T3_T4_T5_mT6_T7_P12ihipStream_tbENKUlT_T0_E_clISt17integral_constantIbLb0EESZ_EEDaSU_SV_EUlSU_E_NS1_11comp_targetILNS1_3genE4ELNS1_11target_archE910ELNS1_3gpuE8ELNS1_3repE0EEENS1_30default_config_static_selectorELNS0_4arch9wavefront6targetE0EEEvT1_, .Lfunc_end356-_ZN7rocprim17ROCPRIM_400000_NS6detail17trampoline_kernelINS0_14default_configENS1_27scan_by_key_config_selectorIxxEEZZNS1_16scan_by_key_implILNS1_25lookback_scan_determinismE0ELb1ES3_N6thrust23THRUST_200600_302600_NS6detail15normal_iteratorINS9_10device_ptrIxEEEESE_SE_xNS9_4plusIvEENS9_8equal_toIvEExEE10hipError_tPvRmT2_T3_T4_T5_mT6_T7_P12ihipStream_tbENKUlT_T0_E_clISt17integral_constantIbLb0EESZ_EEDaSU_SV_EUlSU_E_NS1_11comp_targetILNS1_3genE4ELNS1_11target_archE910ELNS1_3gpuE8ELNS1_3repE0EEENS1_30default_config_static_selectorELNS0_4arch9wavefront6targetE0EEEvT1_
                                        ; -- End function
	.set _ZN7rocprim17ROCPRIM_400000_NS6detail17trampoline_kernelINS0_14default_configENS1_27scan_by_key_config_selectorIxxEEZZNS1_16scan_by_key_implILNS1_25lookback_scan_determinismE0ELb1ES3_N6thrust23THRUST_200600_302600_NS6detail15normal_iteratorINS9_10device_ptrIxEEEESE_SE_xNS9_4plusIvEENS9_8equal_toIvEExEE10hipError_tPvRmT2_T3_T4_T5_mT6_T7_P12ihipStream_tbENKUlT_T0_E_clISt17integral_constantIbLb0EESZ_EEDaSU_SV_EUlSU_E_NS1_11comp_targetILNS1_3genE4ELNS1_11target_archE910ELNS1_3gpuE8ELNS1_3repE0EEENS1_30default_config_static_selectorELNS0_4arch9wavefront6targetE0EEEvT1_.num_vgpr, 0
	.set _ZN7rocprim17ROCPRIM_400000_NS6detail17trampoline_kernelINS0_14default_configENS1_27scan_by_key_config_selectorIxxEEZZNS1_16scan_by_key_implILNS1_25lookback_scan_determinismE0ELb1ES3_N6thrust23THRUST_200600_302600_NS6detail15normal_iteratorINS9_10device_ptrIxEEEESE_SE_xNS9_4plusIvEENS9_8equal_toIvEExEE10hipError_tPvRmT2_T3_T4_T5_mT6_T7_P12ihipStream_tbENKUlT_T0_E_clISt17integral_constantIbLb0EESZ_EEDaSU_SV_EUlSU_E_NS1_11comp_targetILNS1_3genE4ELNS1_11target_archE910ELNS1_3gpuE8ELNS1_3repE0EEENS1_30default_config_static_selectorELNS0_4arch9wavefront6targetE0EEEvT1_.num_agpr, 0
	.set _ZN7rocprim17ROCPRIM_400000_NS6detail17trampoline_kernelINS0_14default_configENS1_27scan_by_key_config_selectorIxxEEZZNS1_16scan_by_key_implILNS1_25lookback_scan_determinismE0ELb1ES3_N6thrust23THRUST_200600_302600_NS6detail15normal_iteratorINS9_10device_ptrIxEEEESE_SE_xNS9_4plusIvEENS9_8equal_toIvEExEE10hipError_tPvRmT2_T3_T4_T5_mT6_T7_P12ihipStream_tbENKUlT_T0_E_clISt17integral_constantIbLb0EESZ_EEDaSU_SV_EUlSU_E_NS1_11comp_targetILNS1_3genE4ELNS1_11target_archE910ELNS1_3gpuE8ELNS1_3repE0EEENS1_30default_config_static_selectorELNS0_4arch9wavefront6targetE0EEEvT1_.numbered_sgpr, 0
	.set _ZN7rocprim17ROCPRIM_400000_NS6detail17trampoline_kernelINS0_14default_configENS1_27scan_by_key_config_selectorIxxEEZZNS1_16scan_by_key_implILNS1_25lookback_scan_determinismE0ELb1ES3_N6thrust23THRUST_200600_302600_NS6detail15normal_iteratorINS9_10device_ptrIxEEEESE_SE_xNS9_4plusIvEENS9_8equal_toIvEExEE10hipError_tPvRmT2_T3_T4_T5_mT6_T7_P12ihipStream_tbENKUlT_T0_E_clISt17integral_constantIbLb0EESZ_EEDaSU_SV_EUlSU_E_NS1_11comp_targetILNS1_3genE4ELNS1_11target_archE910ELNS1_3gpuE8ELNS1_3repE0EEENS1_30default_config_static_selectorELNS0_4arch9wavefront6targetE0EEEvT1_.num_named_barrier, 0
	.set _ZN7rocprim17ROCPRIM_400000_NS6detail17trampoline_kernelINS0_14default_configENS1_27scan_by_key_config_selectorIxxEEZZNS1_16scan_by_key_implILNS1_25lookback_scan_determinismE0ELb1ES3_N6thrust23THRUST_200600_302600_NS6detail15normal_iteratorINS9_10device_ptrIxEEEESE_SE_xNS9_4plusIvEENS9_8equal_toIvEExEE10hipError_tPvRmT2_T3_T4_T5_mT6_T7_P12ihipStream_tbENKUlT_T0_E_clISt17integral_constantIbLb0EESZ_EEDaSU_SV_EUlSU_E_NS1_11comp_targetILNS1_3genE4ELNS1_11target_archE910ELNS1_3gpuE8ELNS1_3repE0EEENS1_30default_config_static_selectorELNS0_4arch9wavefront6targetE0EEEvT1_.private_seg_size, 0
	.set _ZN7rocprim17ROCPRIM_400000_NS6detail17trampoline_kernelINS0_14default_configENS1_27scan_by_key_config_selectorIxxEEZZNS1_16scan_by_key_implILNS1_25lookback_scan_determinismE0ELb1ES3_N6thrust23THRUST_200600_302600_NS6detail15normal_iteratorINS9_10device_ptrIxEEEESE_SE_xNS9_4plusIvEENS9_8equal_toIvEExEE10hipError_tPvRmT2_T3_T4_T5_mT6_T7_P12ihipStream_tbENKUlT_T0_E_clISt17integral_constantIbLb0EESZ_EEDaSU_SV_EUlSU_E_NS1_11comp_targetILNS1_3genE4ELNS1_11target_archE910ELNS1_3gpuE8ELNS1_3repE0EEENS1_30default_config_static_selectorELNS0_4arch9wavefront6targetE0EEEvT1_.uses_vcc, 0
	.set _ZN7rocprim17ROCPRIM_400000_NS6detail17trampoline_kernelINS0_14default_configENS1_27scan_by_key_config_selectorIxxEEZZNS1_16scan_by_key_implILNS1_25lookback_scan_determinismE0ELb1ES3_N6thrust23THRUST_200600_302600_NS6detail15normal_iteratorINS9_10device_ptrIxEEEESE_SE_xNS9_4plusIvEENS9_8equal_toIvEExEE10hipError_tPvRmT2_T3_T4_T5_mT6_T7_P12ihipStream_tbENKUlT_T0_E_clISt17integral_constantIbLb0EESZ_EEDaSU_SV_EUlSU_E_NS1_11comp_targetILNS1_3genE4ELNS1_11target_archE910ELNS1_3gpuE8ELNS1_3repE0EEENS1_30default_config_static_selectorELNS0_4arch9wavefront6targetE0EEEvT1_.uses_flat_scratch, 0
	.set _ZN7rocprim17ROCPRIM_400000_NS6detail17trampoline_kernelINS0_14default_configENS1_27scan_by_key_config_selectorIxxEEZZNS1_16scan_by_key_implILNS1_25lookback_scan_determinismE0ELb1ES3_N6thrust23THRUST_200600_302600_NS6detail15normal_iteratorINS9_10device_ptrIxEEEESE_SE_xNS9_4plusIvEENS9_8equal_toIvEExEE10hipError_tPvRmT2_T3_T4_T5_mT6_T7_P12ihipStream_tbENKUlT_T0_E_clISt17integral_constantIbLb0EESZ_EEDaSU_SV_EUlSU_E_NS1_11comp_targetILNS1_3genE4ELNS1_11target_archE910ELNS1_3gpuE8ELNS1_3repE0EEENS1_30default_config_static_selectorELNS0_4arch9wavefront6targetE0EEEvT1_.has_dyn_sized_stack, 0
	.set _ZN7rocprim17ROCPRIM_400000_NS6detail17trampoline_kernelINS0_14default_configENS1_27scan_by_key_config_selectorIxxEEZZNS1_16scan_by_key_implILNS1_25lookback_scan_determinismE0ELb1ES3_N6thrust23THRUST_200600_302600_NS6detail15normal_iteratorINS9_10device_ptrIxEEEESE_SE_xNS9_4plusIvEENS9_8equal_toIvEExEE10hipError_tPvRmT2_T3_T4_T5_mT6_T7_P12ihipStream_tbENKUlT_T0_E_clISt17integral_constantIbLb0EESZ_EEDaSU_SV_EUlSU_E_NS1_11comp_targetILNS1_3genE4ELNS1_11target_archE910ELNS1_3gpuE8ELNS1_3repE0EEENS1_30default_config_static_selectorELNS0_4arch9wavefront6targetE0EEEvT1_.has_recursion, 0
	.set _ZN7rocprim17ROCPRIM_400000_NS6detail17trampoline_kernelINS0_14default_configENS1_27scan_by_key_config_selectorIxxEEZZNS1_16scan_by_key_implILNS1_25lookback_scan_determinismE0ELb1ES3_N6thrust23THRUST_200600_302600_NS6detail15normal_iteratorINS9_10device_ptrIxEEEESE_SE_xNS9_4plusIvEENS9_8equal_toIvEExEE10hipError_tPvRmT2_T3_T4_T5_mT6_T7_P12ihipStream_tbENKUlT_T0_E_clISt17integral_constantIbLb0EESZ_EEDaSU_SV_EUlSU_E_NS1_11comp_targetILNS1_3genE4ELNS1_11target_archE910ELNS1_3gpuE8ELNS1_3repE0EEENS1_30default_config_static_selectorELNS0_4arch9wavefront6targetE0EEEvT1_.has_indirect_call, 0
	.section	.AMDGPU.csdata,"",@progbits
; Kernel info:
; codeLenInByte = 0
; TotalNumSgprs: 0
; NumVgprs: 0
; ScratchSize: 0
; MemoryBound: 0
; FloatMode: 240
; IeeeMode: 1
; LDSByteSize: 0 bytes/workgroup (compile time only)
; SGPRBlocks: 0
; VGPRBlocks: 0
; NumSGPRsForWavesPerEU: 1
; NumVGPRsForWavesPerEU: 1
; NamedBarCnt: 0
; Occupancy: 16
; WaveLimiterHint : 0
; COMPUTE_PGM_RSRC2:SCRATCH_EN: 0
; COMPUTE_PGM_RSRC2:USER_SGPR: 2
; COMPUTE_PGM_RSRC2:TRAP_HANDLER: 0
; COMPUTE_PGM_RSRC2:TGID_X_EN: 1
; COMPUTE_PGM_RSRC2:TGID_Y_EN: 0
; COMPUTE_PGM_RSRC2:TGID_Z_EN: 0
; COMPUTE_PGM_RSRC2:TIDIG_COMP_CNT: 0
	.section	.text._ZN7rocprim17ROCPRIM_400000_NS6detail17trampoline_kernelINS0_14default_configENS1_27scan_by_key_config_selectorIxxEEZZNS1_16scan_by_key_implILNS1_25lookback_scan_determinismE0ELb1ES3_N6thrust23THRUST_200600_302600_NS6detail15normal_iteratorINS9_10device_ptrIxEEEESE_SE_xNS9_4plusIvEENS9_8equal_toIvEExEE10hipError_tPvRmT2_T3_T4_T5_mT6_T7_P12ihipStream_tbENKUlT_T0_E_clISt17integral_constantIbLb0EESZ_EEDaSU_SV_EUlSU_E_NS1_11comp_targetILNS1_3genE3ELNS1_11target_archE908ELNS1_3gpuE7ELNS1_3repE0EEENS1_30default_config_static_selectorELNS0_4arch9wavefront6targetE0EEEvT1_,"axG",@progbits,_ZN7rocprim17ROCPRIM_400000_NS6detail17trampoline_kernelINS0_14default_configENS1_27scan_by_key_config_selectorIxxEEZZNS1_16scan_by_key_implILNS1_25lookback_scan_determinismE0ELb1ES3_N6thrust23THRUST_200600_302600_NS6detail15normal_iteratorINS9_10device_ptrIxEEEESE_SE_xNS9_4plusIvEENS9_8equal_toIvEExEE10hipError_tPvRmT2_T3_T4_T5_mT6_T7_P12ihipStream_tbENKUlT_T0_E_clISt17integral_constantIbLb0EESZ_EEDaSU_SV_EUlSU_E_NS1_11comp_targetILNS1_3genE3ELNS1_11target_archE908ELNS1_3gpuE7ELNS1_3repE0EEENS1_30default_config_static_selectorELNS0_4arch9wavefront6targetE0EEEvT1_,comdat
	.protected	_ZN7rocprim17ROCPRIM_400000_NS6detail17trampoline_kernelINS0_14default_configENS1_27scan_by_key_config_selectorIxxEEZZNS1_16scan_by_key_implILNS1_25lookback_scan_determinismE0ELb1ES3_N6thrust23THRUST_200600_302600_NS6detail15normal_iteratorINS9_10device_ptrIxEEEESE_SE_xNS9_4plusIvEENS9_8equal_toIvEExEE10hipError_tPvRmT2_T3_T4_T5_mT6_T7_P12ihipStream_tbENKUlT_T0_E_clISt17integral_constantIbLb0EESZ_EEDaSU_SV_EUlSU_E_NS1_11comp_targetILNS1_3genE3ELNS1_11target_archE908ELNS1_3gpuE7ELNS1_3repE0EEENS1_30default_config_static_selectorELNS0_4arch9wavefront6targetE0EEEvT1_ ; -- Begin function _ZN7rocprim17ROCPRIM_400000_NS6detail17trampoline_kernelINS0_14default_configENS1_27scan_by_key_config_selectorIxxEEZZNS1_16scan_by_key_implILNS1_25lookback_scan_determinismE0ELb1ES3_N6thrust23THRUST_200600_302600_NS6detail15normal_iteratorINS9_10device_ptrIxEEEESE_SE_xNS9_4plusIvEENS9_8equal_toIvEExEE10hipError_tPvRmT2_T3_T4_T5_mT6_T7_P12ihipStream_tbENKUlT_T0_E_clISt17integral_constantIbLb0EESZ_EEDaSU_SV_EUlSU_E_NS1_11comp_targetILNS1_3genE3ELNS1_11target_archE908ELNS1_3gpuE7ELNS1_3repE0EEENS1_30default_config_static_selectorELNS0_4arch9wavefront6targetE0EEEvT1_
	.globl	_ZN7rocprim17ROCPRIM_400000_NS6detail17trampoline_kernelINS0_14default_configENS1_27scan_by_key_config_selectorIxxEEZZNS1_16scan_by_key_implILNS1_25lookback_scan_determinismE0ELb1ES3_N6thrust23THRUST_200600_302600_NS6detail15normal_iteratorINS9_10device_ptrIxEEEESE_SE_xNS9_4plusIvEENS9_8equal_toIvEExEE10hipError_tPvRmT2_T3_T4_T5_mT6_T7_P12ihipStream_tbENKUlT_T0_E_clISt17integral_constantIbLb0EESZ_EEDaSU_SV_EUlSU_E_NS1_11comp_targetILNS1_3genE3ELNS1_11target_archE908ELNS1_3gpuE7ELNS1_3repE0EEENS1_30default_config_static_selectorELNS0_4arch9wavefront6targetE0EEEvT1_
	.p2align	8
	.type	_ZN7rocprim17ROCPRIM_400000_NS6detail17trampoline_kernelINS0_14default_configENS1_27scan_by_key_config_selectorIxxEEZZNS1_16scan_by_key_implILNS1_25lookback_scan_determinismE0ELb1ES3_N6thrust23THRUST_200600_302600_NS6detail15normal_iteratorINS9_10device_ptrIxEEEESE_SE_xNS9_4plusIvEENS9_8equal_toIvEExEE10hipError_tPvRmT2_T3_T4_T5_mT6_T7_P12ihipStream_tbENKUlT_T0_E_clISt17integral_constantIbLb0EESZ_EEDaSU_SV_EUlSU_E_NS1_11comp_targetILNS1_3genE3ELNS1_11target_archE908ELNS1_3gpuE7ELNS1_3repE0EEENS1_30default_config_static_selectorELNS0_4arch9wavefront6targetE0EEEvT1_,@function
_ZN7rocprim17ROCPRIM_400000_NS6detail17trampoline_kernelINS0_14default_configENS1_27scan_by_key_config_selectorIxxEEZZNS1_16scan_by_key_implILNS1_25lookback_scan_determinismE0ELb1ES3_N6thrust23THRUST_200600_302600_NS6detail15normal_iteratorINS9_10device_ptrIxEEEESE_SE_xNS9_4plusIvEENS9_8equal_toIvEExEE10hipError_tPvRmT2_T3_T4_T5_mT6_T7_P12ihipStream_tbENKUlT_T0_E_clISt17integral_constantIbLb0EESZ_EEDaSU_SV_EUlSU_E_NS1_11comp_targetILNS1_3genE3ELNS1_11target_archE908ELNS1_3gpuE7ELNS1_3repE0EEENS1_30default_config_static_selectorELNS0_4arch9wavefront6targetE0EEEvT1_: ; @_ZN7rocprim17ROCPRIM_400000_NS6detail17trampoline_kernelINS0_14default_configENS1_27scan_by_key_config_selectorIxxEEZZNS1_16scan_by_key_implILNS1_25lookback_scan_determinismE0ELb1ES3_N6thrust23THRUST_200600_302600_NS6detail15normal_iteratorINS9_10device_ptrIxEEEESE_SE_xNS9_4plusIvEENS9_8equal_toIvEExEE10hipError_tPvRmT2_T3_T4_T5_mT6_T7_P12ihipStream_tbENKUlT_T0_E_clISt17integral_constantIbLb0EESZ_EEDaSU_SV_EUlSU_E_NS1_11comp_targetILNS1_3genE3ELNS1_11target_archE908ELNS1_3gpuE7ELNS1_3repE0EEENS1_30default_config_static_selectorELNS0_4arch9wavefront6targetE0EEEvT1_
; %bb.0:
	.section	.rodata,"a",@progbits
	.p2align	6, 0x0
	.amdhsa_kernel _ZN7rocprim17ROCPRIM_400000_NS6detail17trampoline_kernelINS0_14default_configENS1_27scan_by_key_config_selectorIxxEEZZNS1_16scan_by_key_implILNS1_25lookback_scan_determinismE0ELb1ES3_N6thrust23THRUST_200600_302600_NS6detail15normal_iteratorINS9_10device_ptrIxEEEESE_SE_xNS9_4plusIvEENS9_8equal_toIvEExEE10hipError_tPvRmT2_T3_T4_T5_mT6_T7_P12ihipStream_tbENKUlT_T0_E_clISt17integral_constantIbLb0EESZ_EEDaSU_SV_EUlSU_E_NS1_11comp_targetILNS1_3genE3ELNS1_11target_archE908ELNS1_3gpuE7ELNS1_3repE0EEENS1_30default_config_static_selectorELNS0_4arch9wavefront6targetE0EEEvT1_
		.amdhsa_group_segment_fixed_size 0
		.amdhsa_private_segment_fixed_size 0
		.amdhsa_kernarg_size 136
		.amdhsa_user_sgpr_count 2
		.amdhsa_user_sgpr_dispatch_ptr 0
		.amdhsa_user_sgpr_queue_ptr 0
		.amdhsa_user_sgpr_kernarg_segment_ptr 1
		.amdhsa_user_sgpr_dispatch_id 0
		.amdhsa_user_sgpr_kernarg_preload_length 0
		.amdhsa_user_sgpr_kernarg_preload_offset 0
		.amdhsa_user_sgpr_private_segment_size 0
		.amdhsa_wavefront_size32 1
		.amdhsa_uses_dynamic_stack 0
		.amdhsa_enable_private_segment 0
		.amdhsa_system_sgpr_workgroup_id_x 1
		.amdhsa_system_sgpr_workgroup_id_y 0
		.amdhsa_system_sgpr_workgroup_id_z 0
		.amdhsa_system_sgpr_workgroup_info 0
		.amdhsa_system_vgpr_workitem_id 0
		.amdhsa_next_free_vgpr 1
		.amdhsa_next_free_sgpr 1
		.amdhsa_named_barrier_count 0
		.amdhsa_reserve_vcc 0
		.amdhsa_float_round_mode_32 0
		.amdhsa_float_round_mode_16_64 0
		.amdhsa_float_denorm_mode_32 3
		.amdhsa_float_denorm_mode_16_64 3
		.amdhsa_fp16_overflow 0
		.amdhsa_memory_ordered 1
		.amdhsa_forward_progress 1
		.amdhsa_inst_pref_size 0
		.amdhsa_round_robin_scheduling 0
		.amdhsa_exception_fp_ieee_invalid_op 0
		.amdhsa_exception_fp_denorm_src 0
		.amdhsa_exception_fp_ieee_div_zero 0
		.amdhsa_exception_fp_ieee_overflow 0
		.amdhsa_exception_fp_ieee_underflow 0
		.amdhsa_exception_fp_ieee_inexact 0
		.amdhsa_exception_int_div_zero 0
	.end_amdhsa_kernel
	.section	.text._ZN7rocprim17ROCPRIM_400000_NS6detail17trampoline_kernelINS0_14default_configENS1_27scan_by_key_config_selectorIxxEEZZNS1_16scan_by_key_implILNS1_25lookback_scan_determinismE0ELb1ES3_N6thrust23THRUST_200600_302600_NS6detail15normal_iteratorINS9_10device_ptrIxEEEESE_SE_xNS9_4plusIvEENS9_8equal_toIvEExEE10hipError_tPvRmT2_T3_T4_T5_mT6_T7_P12ihipStream_tbENKUlT_T0_E_clISt17integral_constantIbLb0EESZ_EEDaSU_SV_EUlSU_E_NS1_11comp_targetILNS1_3genE3ELNS1_11target_archE908ELNS1_3gpuE7ELNS1_3repE0EEENS1_30default_config_static_selectorELNS0_4arch9wavefront6targetE0EEEvT1_,"axG",@progbits,_ZN7rocprim17ROCPRIM_400000_NS6detail17trampoline_kernelINS0_14default_configENS1_27scan_by_key_config_selectorIxxEEZZNS1_16scan_by_key_implILNS1_25lookback_scan_determinismE0ELb1ES3_N6thrust23THRUST_200600_302600_NS6detail15normal_iteratorINS9_10device_ptrIxEEEESE_SE_xNS9_4plusIvEENS9_8equal_toIvEExEE10hipError_tPvRmT2_T3_T4_T5_mT6_T7_P12ihipStream_tbENKUlT_T0_E_clISt17integral_constantIbLb0EESZ_EEDaSU_SV_EUlSU_E_NS1_11comp_targetILNS1_3genE3ELNS1_11target_archE908ELNS1_3gpuE7ELNS1_3repE0EEENS1_30default_config_static_selectorELNS0_4arch9wavefront6targetE0EEEvT1_,comdat
.Lfunc_end357:
	.size	_ZN7rocprim17ROCPRIM_400000_NS6detail17trampoline_kernelINS0_14default_configENS1_27scan_by_key_config_selectorIxxEEZZNS1_16scan_by_key_implILNS1_25lookback_scan_determinismE0ELb1ES3_N6thrust23THRUST_200600_302600_NS6detail15normal_iteratorINS9_10device_ptrIxEEEESE_SE_xNS9_4plusIvEENS9_8equal_toIvEExEE10hipError_tPvRmT2_T3_T4_T5_mT6_T7_P12ihipStream_tbENKUlT_T0_E_clISt17integral_constantIbLb0EESZ_EEDaSU_SV_EUlSU_E_NS1_11comp_targetILNS1_3genE3ELNS1_11target_archE908ELNS1_3gpuE7ELNS1_3repE0EEENS1_30default_config_static_selectorELNS0_4arch9wavefront6targetE0EEEvT1_, .Lfunc_end357-_ZN7rocprim17ROCPRIM_400000_NS6detail17trampoline_kernelINS0_14default_configENS1_27scan_by_key_config_selectorIxxEEZZNS1_16scan_by_key_implILNS1_25lookback_scan_determinismE0ELb1ES3_N6thrust23THRUST_200600_302600_NS6detail15normal_iteratorINS9_10device_ptrIxEEEESE_SE_xNS9_4plusIvEENS9_8equal_toIvEExEE10hipError_tPvRmT2_T3_T4_T5_mT6_T7_P12ihipStream_tbENKUlT_T0_E_clISt17integral_constantIbLb0EESZ_EEDaSU_SV_EUlSU_E_NS1_11comp_targetILNS1_3genE3ELNS1_11target_archE908ELNS1_3gpuE7ELNS1_3repE0EEENS1_30default_config_static_selectorELNS0_4arch9wavefront6targetE0EEEvT1_
                                        ; -- End function
	.set _ZN7rocprim17ROCPRIM_400000_NS6detail17trampoline_kernelINS0_14default_configENS1_27scan_by_key_config_selectorIxxEEZZNS1_16scan_by_key_implILNS1_25lookback_scan_determinismE0ELb1ES3_N6thrust23THRUST_200600_302600_NS6detail15normal_iteratorINS9_10device_ptrIxEEEESE_SE_xNS9_4plusIvEENS9_8equal_toIvEExEE10hipError_tPvRmT2_T3_T4_T5_mT6_T7_P12ihipStream_tbENKUlT_T0_E_clISt17integral_constantIbLb0EESZ_EEDaSU_SV_EUlSU_E_NS1_11comp_targetILNS1_3genE3ELNS1_11target_archE908ELNS1_3gpuE7ELNS1_3repE0EEENS1_30default_config_static_selectorELNS0_4arch9wavefront6targetE0EEEvT1_.num_vgpr, 0
	.set _ZN7rocprim17ROCPRIM_400000_NS6detail17trampoline_kernelINS0_14default_configENS1_27scan_by_key_config_selectorIxxEEZZNS1_16scan_by_key_implILNS1_25lookback_scan_determinismE0ELb1ES3_N6thrust23THRUST_200600_302600_NS6detail15normal_iteratorINS9_10device_ptrIxEEEESE_SE_xNS9_4plusIvEENS9_8equal_toIvEExEE10hipError_tPvRmT2_T3_T4_T5_mT6_T7_P12ihipStream_tbENKUlT_T0_E_clISt17integral_constantIbLb0EESZ_EEDaSU_SV_EUlSU_E_NS1_11comp_targetILNS1_3genE3ELNS1_11target_archE908ELNS1_3gpuE7ELNS1_3repE0EEENS1_30default_config_static_selectorELNS0_4arch9wavefront6targetE0EEEvT1_.num_agpr, 0
	.set _ZN7rocprim17ROCPRIM_400000_NS6detail17trampoline_kernelINS0_14default_configENS1_27scan_by_key_config_selectorIxxEEZZNS1_16scan_by_key_implILNS1_25lookback_scan_determinismE0ELb1ES3_N6thrust23THRUST_200600_302600_NS6detail15normal_iteratorINS9_10device_ptrIxEEEESE_SE_xNS9_4plusIvEENS9_8equal_toIvEExEE10hipError_tPvRmT2_T3_T4_T5_mT6_T7_P12ihipStream_tbENKUlT_T0_E_clISt17integral_constantIbLb0EESZ_EEDaSU_SV_EUlSU_E_NS1_11comp_targetILNS1_3genE3ELNS1_11target_archE908ELNS1_3gpuE7ELNS1_3repE0EEENS1_30default_config_static_selectorELNS0_4arch9wavefront6targetE0EEEvT1_.numbered_sgpr, 0
	.set _ZN7rocprim17ROCPRIM_400000_NS6detail17trampoline_kernelINS0_14default_configENS1_27scan_by_key_config_selectorIxxEEZZNS1_16scan_by_key_implILNS1_25lookback_scan_determinismE0ELb1ES3_N6thrust23THRUST_200600_302600_NS6detail15normal_iteratorINS9_10device_ptrIxEEEESE_SE_xNS9_4plusIvEENS9_8equal_toIvEExEE10hipError_tPvRmT2_T3_T4_T5_mT6_T7_P12ihipStream_tbENKUlT_T0_E_clISt17integral_constantIbLb0EESZ_EEDaSU_SV_EUlSU_E_NS1_11comp_targetILNS1_3genE3ELNS1_11target_archE908ELNS1_3gpuE7ELNS1_3repE0EEENS1_30default_config_static_selectorELNS0_4arch9wavefront6targetE0EEEvT1_.num_named_barrier, 0
	.set _ZN7rocprim17ROCPRIM_400000_NS6detail17trampoline_kernelINS0_14default_configENS1_27scan_by_key_config_selectorIxxEEZZNS1_16scan_by_key_implILNS1_25lookback_scan_determinismE0ELb1ES3_N6thrust23THRUST_200600_302600_NS6detail15normal_iteratorINS9_10device_ptrIxEEEESE_SE_xNS9_4plusIvEENS9_8equal_toIvEExEE10hipError_tPvRmT2_T3_T4_T5_mT6_T7_P12ihipStream_tbENKUlT_T0_E_clISt17integral_constantIbLb0EESZ_EEDaSU_SV_EUlSU_E_NS1_11comp_targetILNS1_3genE3ELNS1_11target_archE908ELNS1_3gpuE7ELNS1_3repE0EEENS1_30default_config_static_selectorELNS0_4arch9wavefront6targetE0EEEvT1_.private_seg_size, 0
	.set _ZN7rocprim17ROCPRIM_400000_NS6detail17trampoline_kernelINS0_14default_configENS1_27scan_by_key_config_selectorIxxEEZZNS1_16scan_by_key_implILNS1_25lookback_scan_determinismE0ELb1ES3_N6thrust23THRUST_200600_302600_NS6detail15normal_iteratorINS9_10device_ptrIxEEEESE_SE_xNS9_4plusIvEENS9_8equal_toIvEExEE10hipError_tPvRmT2_T3_T4_T5_mT6_T7_P12ihipStream_tbENKUlT_T0_E_clISt17integral_constantIbLb0EESZ_EEDaSU_SV_EUlSU_E_NS1_11comp_targetILNS1_3genE3ELNS1_11target_archE908ELNS1_3gpuE7ELNS1_3repE0EEENS1_30default_config_static_selectorELNS0_4arch9wavefront6targetE0EEEvT1_.uses_vcc, 0
	.set _ZN7rocprim17ROCPRIM_400000_NS6detail17trampoline_kernelINS0_14default_configENS1_27scan_by_key_config_selectorIxxEEZZNS1_16scan_by_key_implILNS1_25lookback_scan_determinismE0ELb1ES3_N6thrust23THRUST_200600_302600_NS6detail15normal_iteratorINS9_10device_ptrIxEEEESE_SE_xNS9_4plusIvEENS9_8equal_toIvEExEE10hipError_tPvRmT2_T3_T4_T5_mT6_T7_P12ihipStream_tbENKUlT_T0_E_clISt17integral_constantIbLb0EESZ_EEDaSU_SV_EUlSU_E_NS1_11comp_targetILNS1_3genE3ELNS1_11target_archE908ELNS1_3gpuE7ELNS1_3repE0EEENS1_30default_config_static_selectorELNS0_4arch9wavefront6targetE0EEEvT1_.uses_flat_scratch, 0
	.set _ZN7rocprim17ROCPRIM_400000_NS6detail17trampoline_kernelINS0_14default_configENS1_27scan_by_key_config_selectorIxxEEZZNS1_16scan_by_key_implILNS1_25lookback_scan_determinismE0ELb1ES3_N6thrust23THRUST_200600_302600_NS6detail15normal_iteratorINS9_10device_ptrIxEEEESE_SE_xNS9_4plusIvEENS9_8equal_toIvEExEE10hipError_tPvRmT2_T3_T4_T5_mT6_T7_P12ihipStream_tbENKUlT_T0_E_clISt17integral_constantIbLb0EESZ_EEDaSU_SV_EUlSU_E_NS1_11comp_targetILNS1_3genE3ELNS1_11target_archE908ELNS1_3gpuE7ELNS1_3repE0EEENS1_30default_config_static_selectorELNS0_4arch9wavefront6targetE0EEEvT1_.has_dyn_sized_stack, 0
	.set _ZN7rocprim17ROCPRIM_400000_NS6detail17trampoline_kernelINS0_14default_configENS1_27scan_by_key_config_selectorIxxEEZZNS1_16scan_by_key_implILNS1_25lookback_scan_determinismE0ELb1ES3_N6thrust23THRUST_200600_302600_NS6detail15normal_iteratorINS9_10device_ptrIxEEEESE_SE_xNS9_4plusIvEENS9_8equal_toIvEExEE10hipError_tPvRmT2_T3_T4_T5_mT6_T7_P12ihipStream_tbENKUlT_T0_E_clISt17integral_constantIbLb0EESZ_EEDaSU_SV_EUlSU_E_NS1_11comp_targetILNS1_3genE3ELNS1_11target_archE908ELNS1_3gpuE7ELNS1_3repE0EEENS1_30default_config_static_selectorELNS0_4arch9wavefront6targetE0EEEvT1_.has_recursion, 0
	.set _ZN7rocprim17ROCPRIM_400000_NS6detail17trampoline_kernelINS0_14default_configENS1_27scan_by_key_config_selectorIxxEEZZNS1_16scan_by_key_implILNS1_25lookback_scan_determinismE0ELb1ES3_N6thrust23THRUST_200600_302600_NS6detail15normal_iteratorINS9_10device_ptrIxEEEESE_SE_xNS9_4plusIvEENS9_8equal_toIvEExEE10hipError_tPvRmT2_T3_T4_T5_mT6_T7_P12ihipStream_tbENKUlT_T0_E_clISt17integral_constantIbLb0EESZ_EEDaSU_SV_EUlSU_E_NS1_11comp_targetILNS1_3genE3ELNS1_11target_archE908ELNS1_3gpuE7ELNS1_3repE0EEENS1_30default_config_static_selectorELNS0_4arch9wavefront6targetE0EEEvT1_.has_indirect_call, 0
	.section	.AMDGPU.csdata,"",@progbits
; Kernel info:
; codeLenInByte = 0
; TotalNumSgprs: 0
; NumVgprs: 0
; ScratchSize: 0
; MemoryBound: 0
; FloatMode: 240
; IeeeMode: 1
; LDSByteSize: 0 bytes/workgroup (compile time only)
; SGPRBlocks: 0
; VGPRBlocks: 0
; NumSGPRsForWavesPerEU: 1
; NumVGPRsForWavesPerEU: 1
; NamedBarCnt: 0
; Occupancy: 16
; WaveLimiterHint : 0
; COMPUTE_PGM_RSRC2:SCRATCH_EN: 0
; COMPUTE_PGM_RSRC2:USER_SGPR: 2
; COMPUTE_PGM_RSRC2:TRAP_HANDLER: 0
; COMPUTE_PGM_RSRC2:TGID_X_EN: 1
; COMPUTE_PGM_RSRC2:TGID_Y_EN: 0
; COMPUTE_PGM_RSRC2:TGID_Z_EN: 0
; COMPUTE_PGM_RSRC2:TIDIG_COMP_CNT: 0
	.section	.text._ZN7rocprim17ROCPRIM_400000_NS6detail17trampoline_kernelINS0_14default_configENS1_27scan_by_key_config_selectorIxxEEZZNS1_16scan_by_key_implILNS1_25lookback_scan_determinismE0ELb1ES3_N6thrust23THRUST_200600_302600_NS6detail15normal_iteratorINS9_10device_ptrIxEEEESE_SE_xNS9_4plusIvEENS9_8equal_toIvEExEE10hipError_tPvRmT2_T3_T4_T5_mT6_T7_P12ihipStream_tbENKUlT_T0_E_clISt17integral_constantIbLb0EESZ_EEDaSU_SV_EUlSU_E_NS1_11comp_targetILNS1_3genE2ELNS1_11target_archE906ELNS1_3gpuE6ELNS1_3repE0EEENS1_30default_config_static_selectorELNS0_4arch9wavefront6targetE0EEEvT1_,"axG",@progbits,_ZN7rocprim17ROCPRIM_400000_NS6detail17trampoline_kernelINS0_14default_configENS1_27scan_by_key_config_selectorIxxEEZZNS1_16scan_by_key_implILNS1_25lookback_scan_determinismE0ELb1ES3_N6thrust23THRUST_200600_302600_NS6detail15normal_iteratorINS9_10device_ptrIxEEEESE_SE_xNS9_4plusIvEENS9_8equal_toIvEExEE10hipError_tPvRmT2_T3_T4_T5_mT6_T7_P12ihipStream_tbENKUlT_T0_E_clISt17integral_constantIbLb0EESZ_EEDaSU_SV_EUlSU_E_NS1_11comp_targetILNS1_3genE2ELNS1_11target_archE906ELNS1_3gpuE6ELNS1_3repE0EEENS1_30default_config_static_selectorELNS0_4arch9wavefront6targetE0EEEvT1_,comdat
	.protected	_ZN7rocprim17ROCPRIM_400000_NS6detail17trampoline_kernelINS0_14default_configENS1_27scan_by_key_config_selectorIxxEEZZNS1_16scan_by_key_implILNS1_25lookback_scan_determinismE0ELb1ES3_N6thrust23THRUST_200600_302600_NS6detail15normal_iteratorINS9_10device_ptrIxEEEESE_SE_xNS9_4plusIvEENS9_8equal_toIvEExEE10hipError_tPvRmT2_T3_T4_T5_mT6_T7_P12ihipStream_tbENKUlT_T0_E_clISt17integral_constantIbLb0EESZ_EEDaSU_SV_EUlSU_E_NS1_11comp_targetILNS1_3genE2ELNS1_11target_archE906ELNS1_3gpuE6ELNS1_3repE0EEENS1_30default_config_static_selectorELNS0_4arch9wavefront6targetE0EEEvT1_ ; -- Begin function _ZN7rocprim17ROCPRIM_400000_NS6detail17trampoline_kernelINS0_14default_configENS1_27scan_by_key_config_selectorIxxEEZZNS1_16scan_by_key_implILNS1_25lookback_scan_determinismE0ELb1ES3_N6thrust23THRUST_200600_302600_NS6detail15normal_iteratorINS9_10device_ptrIxEEEESE_SE_xNS9_4plusIvEENS9_8equal_toIvEExEE10hipError_tPvRmT2_T3_T4_T5_mT6_T7_P12ihipStream_tbENKUlT_T0_E_clISt17integral_constantIbLb0EESZ_EEDaSU_SV_EUlSU_E_NS1_11comp_targetILNS1_3genE2ELNS1_11target_archE906ELNS1_3gpuE6ELNS1_3repE0EEENS1_30default_config_static_selectorELNS0_4arch9wavefront6targetE0EEEvT1_
	.globl	_ZN7rocprim17ROCPRIM_400000_NS6detail17trampoline_kernelINS0_14default_configENS1_27scan_by_key_config_selectorIxxEEZZNS1_16scan_by_key_implILNS1_25lookback_scan_determinismE0ELb1ES3_N6thrust23THRUST_200600_302600_NS6detail15normal_iteratorINS9_10device_ptrIxEEEESE_SE_xNS9_4plusIvEENS9_8equal_toIvEExEE10hipError_tPvRmT2_T3_T4_T5_mT6_T7_P12ihipStream_tbENKUlT_T0_E_clISt17integral_constantIbLb0EESZ_EEDaSU_SV_EUlSU_E_NS1_11comp_targetILNS1_3genE2ELNS1_11target_archE906ELNS1_3gpuE6ELNS1_3repE0EEENS1_30default_config_static_selectorELNS0_4arch9wavefront6targetE0EEEvT1_
	.p2align	8
	.type	_ZN7rocprim17ROCPRIM_400000_NS6detail17trampoline_kernelINS0_14default_configENS1_27scan_by_key_config_selectorIxxEEZZNS1_16scan_by_key_implILNS1_25lookback_scan_determinismE0ELb1ES3_N6thrust23THRUST_200600_302600_NS6detail15normal_iteratorINS9_10device_ptrIxEEEESE_SE_xNS9_4plusIvEENS9_8equal_toIvEExEE10hipError_tPvRmT2_T3_T4_T5_mT6_T7_P12ihipStream_tbENKUlT_T0_E_clISt17integral_constantIbLb0EESZ_EEDaSU_SV_EUlSU_E_NS1_11comp_targetILNS1_3genE2ELNS1_11target_archE906ELNS1_3gpuE6ELNS1_3repE0EEENS1_30default_config_static_selectorELNS0_4arch9wavefront6targetE0EEEvT1_,@function
_ZN7rocprim17ROCPRIM_400000_NS6detail17trampoline_kernelINS0_14default_configENS1_27scan_by_key_config_selectorIxxEEZZNS1_16scan_by_key_implILNS1_25lookback_scan_determinismE0ELb1ES3_N6thrust23THRUST_200600_302600_NS6detail15normal_iteratorINS9_10device_ptrIxEEEESE_SE_xNS9_4plusIvEENS9_8equal_toIvEExEE10hipError_tPvRmT2_T3_T4_T5_mT6_T7_P12ihipStream_tbENKUlT_T0_E_clISt17integral_constantIbLb0EESZ_EEDaSU_SV_EUlSU_E_NS1_11comp_targetILNS1_3genE2ELNS1_11target_archE906ELNS1_3gpuE6ELNS1_3repE0EEENS1_30default_config_static_selectorELNS0_4arch9wavefront6targetE0EEEvT1_: ; @_ZN7rocprim17ROCPRIM_400000_NS6detail17trampoline_kernelINS0_14default_configENS1_27scan_by_key_config_selectorIxxEEZZNS1_16scan_by_key_implILNS1_25lookback_scan_determinismE0ELb1ES3_N6thrust23THRUST_200600_302600_NS6detail15normal_iteratorINS9_10device_ptrIxEEEESE_SE_xNS9_4plusIvEENS9_8equal_toIvEExEE10hipError_tPvRmT2_T3_T4_T5_mT6_T7_P12ihipStream_tbENKUlT_T0_E_clISt17integral_constantIbLb0EESZ_EEDaSU_SV_EUlSU_E_NS1_11comp_targetILNS1_3genE2ELNS1_11target_archE906ELNS1_3gpuE6ELNS1_3repE0EEENS1_30default_config_static_selectorELNS0_4arch9wavefront6targetE0EEEvT1_
; %bb.0:
	.section	.rodata,"a",@progbits
	.p2align	6, 0x0
	.amdhsa_kernel _ZN7rocprim17ROCPRIM_400000_NS6detail17trampoline_kernelINS0_14default_configENS1_27scan_by_key_config_selectorIxxEEZZNS1_16scan_by_key_implILNS1_25lookback_scan_determinismE0ELb1ES3_N6thrust23THRUST_200600_302600_NS6detail15normal_iteratorINS9_10device_ptrIxEEEESE_SE_xNS9_4plusIvEENS9_8equal_toIvEExEE10hipError_tPvRmT2_T3_T4_T5_mT6_T7_P12ihipStream_tbENKUlT_T0_E_clISt17integral_constantIbLb0EESZ_EEDaSU_SV_EUlSU_E_NS1_11comp_targetILNS1_3genE2ELNS1_11target_archE906ELNS1_3gpuE6ELNS1_3repE0EEENS1_30default_config_static_selectorELNS0_4arch9wavefront6targetE0EEEvT1_
		.amdhsa_group_segment_fixed_size 0
		.amdhsa_private_segment_fixed_size 0
		.amdhsa_kernarg_size 136
		.amdhsa_user_sgpr_count 2
		.amdhsa_user_sgpr_dispatch_ptr 0
		.amdhsa_user_sgpr_queue_ptr 0
		.amdhsa_user_sgpr_kernarg_segment_ptr 1
		.amdhsa_user_sgpr_dispatch_id 0
		.amdhsa_user_sgpr_kernarg_preload_length 0
		.amdhsa_user_sgpr_kernarg_preload_offset 0
		.amdhsa_user_sgpr_private_segment_size 0
		.amdhsa_wavefront_size32 1
		.amdhsa_uses_dynamic_stack 0
		.amdhsa_enable_private_segment 0
		.amdhsa_system_sgpr_workgroup_id_x 1
		.amdhsa_system_sgpr_workgroup_id_y 0
		.amdhsa_system_sgpr_workgroup_id_z 0
		.amdhsa_system_sgpr_workgroup_info 0
		.amdhsa_system_vgpr_workitem_id 0
		.amdhsa_next_free_vgpr 1
		.amdhsa_next_free_sgpr 1
		.amdhsa_named_barrier_count 0
		.amdhsa_reserve_vcc 0
		.amdhsa_float_round_mode_32 0
		.amdhsa_float_round_mode_16_64 0
		.amdhsa_float_denorm_mode_32 3
		.amdhsa_float_denorm_mode_16_64 3
		.amdhsa_fp16_overflow 0
		.amdhsa_memory_ordered 1
		.amdhsa_forward_progress 1
		.amdhsa_inst_pref_size 0
		.amdhsa_round_robin_scheduling 0
		.amdhsa_exception_fp_ieee_invalid_op 0
		.amdhsa_exception_fp_denorm_src 0
		.amdhsa_exception_fp_ieee_div_zero 0
		.amdhsa_exception_fp_ieee_overflow 0
		.amdhsa_exception_fp_ieee_underflow 0
		.amdhsa_exception_fp_ieee_inexact 0
		.amdhsa_exception_int_div_zero 0
	.end_amdhsa_kernel
	.section	.text._ZN7rocprim17ROCPRIM_400000_NS6detail17trampoline_kernelINS0_14default_configENS1_27scan_by_key_config_selectorIxxEEZZNS1_16scan_by_key_implILNS1_25lookback_scan_determinismE0ELb1ES3_N6thrust23THRUST_200600_302600_NS6detail15normal_iteratorINS9_10device_ptrIxEEEESE_SE_xNS9_4plusIvEENS9_8equal_toIvEExEE10hipError_tPvRmT2_T3_T4_T5_mT6_T7_P12ihipStream_tbENKUlT_T0_E_clISt17integral_constantIbLb0EESZ_EEDaSU_SV_EUlSU_E_NS1_11comp_targetILNS1_3genE2ELNS1_11target_archE906ELNS1_3gpuE6ELNS1_3repE0EEENS1_30default_config_static_selectorELNS0_4arch9wavefront6targetE0EEEvT1_,"axG",@progbits,_ZN7rocprim17ROCPRIM_400000_NS6detail17trampoline_kernelINS0_14default_configENS1_27scan_by_key_config_selectorIxxEEZZNS1_16scan_by_key_implILNS1_25lookback_scan_determinismE0ELb1ES3_N6thrust23THRUST_200600_302600_NS6detail15normal_iteratorINS9_10device_ptrIxEEEESE_SE_xNS9_4plusIvEENS9_8equal_toIvEExEE10hipError_tPvRmT2_T3_T4_T5_mT6_T7_P12ihipStream_tbENKUlT_T0_E_clISt17integral_constantIbLb0EESZ_EEDaSU_SV_EUlSU_E_NS1_11comp_targetILNS1_3genE2ELNS1_11target_archE906ELNS1_3gpuE6ELNS1_3repE0EEENS1_30default_config_static_selectorELNS0_4arch9wavefront6targetE0EEEvT1_,comdat
.Lfunc_end358:
	.size	_ZN7rocprim17ROCPRIM_400000_NS6detail17trampoline_kernelINS0_14default_configENS1_27scan_by_key_config_selectorIxxEEZZNS1_16scan_by_key_implILNS1_25lookback_scan_determinismE0ELb1ES3_N6thrust23THRUST_200600_302600_NS6detail15normal_iteratorINS9_10device_ptrIxEEEESE_SE_xNS9_4plusIvEENS9_8equal_toIvEExEE10hipError_tPvRmT2_T3_T4_T5_mT6_T7_P12ihipStream_tbENKUlT_T0_E_clISt17integral_constantIbLb0EESZ_EEDaSU_SV_EUlSU_E_NS1_11comp_targetILNS1_3genE2ELNS1_11target_archE906ELNS1_3gpuE6ELNS1_3repE0EEENS1_30default_config_static_selectorELNS0_4arch9wavefront6targetE0EEEvT1_, .Lfunc_end358-_ZN7rocprim17ROCPRIM_400000_NS6detail17trampoline_kernelINS0_14default_configENS1_27scan_by_key_config_selectorIxxEEZZNS1_16scan_by_key_implILNS1_25lookback_scan_determinismE0ELb1ES3_N6thrust23THRUST_200600_302600_NS6detail15normal_iteratorINS9_10device_ptrIxEEEESE_SE_xNS9_4plusIvEENS9_8equal_toIvEExEE10hipError_tPvRmT2_T3_T4_T5_mT6_T7_P12ihipStream_tbENKUlT_T0_E_clISt17integral_constantIbLb0EESZ_EEDaSU_SV_EUlSU_E_NS1_11comp_targetILNS1_3genE2ELNS1_11target_archE906ELNS1_3gpuE6ELNS1_3repE0EEENS1_30default_config_static_selectorELNS0_4arch9wavefront6targetE0EEEvT1_
                                        ; -- End function
	.set _ZN7rocprim17ROCPRIM_400000_NS6detail17trampoline_kernelINS0_14default_configENS1_27scan_by_key_config_selectorIxxEEZZNS1_16scan_by_key_implILNS1_25lookback_scan_determinismE0ELb1ES3_N6thrust23THRUST_200600_302600_NS6detail15normal_iteratorINS9_10device_ptrIxEEEESE_SE_xNS9_4plusIvEENS9_8equal_toIvEExEE10hipError_tPvRmT2_T3_T4_T5_mT6_T7_P12ihipStream_tbENKUlT_T0_E_clISt17integral_constantIbLb0EESZ_EEDaSU_SV_EUlSU_E_NS1_11comp_targetILNS1_3genE2ELNS1_11target_archE906ELNS1_3gpuE6ELNS1_3repE0EEENS1_30default_config_static_selectorELNS0_4arch9wavefront6targetE0EEEvT1_.num_vgpr, 0
	.set _ZN7rocprim17ROCPRIM_400000_NS6detail17trampoline_kernelINS0_14default_configENS1_27scan_by_key_config_selectorIxxEEZZNS1_16scan_by_key_implILNS1_25lookback_scan_determinismE0ELb1ES3_N6thrust23THRUST_200600_302600_NS6detail15normal_iteratorINS9_10device_ptrIxEEEESE_SE_xNS9_4plusIvEENS9_8equal_toIvEExEE10hipError_tPvRmT2_T3_T4_T5_mT6_T7_P12ihipStream_tbENKUlT_T0_E_clISt17integral_constantIbLb0EESZ_EEDaSU_SV_EUlSU_E_NS1_11comp_targetILNS1_3genE2ELNS1_11target_archE906ELNS1_3gpuE6ELNS1_3repE0EEENS1_30default_config_static_selectorELNS0_4arch9wavefront6targetE0EEEvT1_.num_agpr, 0
	.set _ZN7rocprim17ROCPRIM_400000_NS6detail17trampoline_kernelINS0_14default_configENS1_27scan_by_key_config_selectorIxxEEZZNS1_16scan_by_key_implILNS1_25lookback_scan_determinismE0ELb1ES3_N6thrust23THRUST_200600_302600_NS6detail15normal_iteratorINS9_10device_ptrIxEEEESE_SE_xNS9_4plusIvEENS9_8equal_toIvEExEE10hipError_tPvRmT2_T3_T4_T5_mT6_T7_P12ihipStream_tbENKUlT_T0_E_clISt17integral_constantIbLb0EESZ_EEDaSU_SV_EUlSU_E_NS1_11comp_targetILNS1_3genE2ELNS1_11target_archE906ELNS1_3gpuE6ELNS1_3repE0EEENS1_30default_config_static_selectorELNS0_4arch9wavefront6targetE0EEEvT1_.numbered_sgpr, 0
	.set _ZN7rocprim17ROCPRIM_400000_NS6detail17trampoline_kernelINS0_14default_configENS1_27scan_by_key_config_selectorIxxEEZZNS1_16scan_by_key_implILNS1_25lookback_scan_determinismE0ELb1ES3_N6thrust23THRUST_200600_302600_NS6detail15normal_iteratorINS9_10device_ptrIxEEEESE_SE_xNS9_4plusIvEENS9_8equal_toIvEExEE10hipError_tPvRmT2_T3_T4_T5_mT6_T7_P12ihipStream_tbENKUlT_T0_E_clISt17integral_constantIbLb0EESZ_EEDaSU_SV_EUlSU_E_NS1_11comp_targetILNS1_3genE2ELNS1_11target_archE906ELNS1_3gpuE6ELNS1_3repE0EEENS1_30default_config_static_selectorELNS0_4arch9wavefront6targetE0EEEvT1_.num_named_barrier, 0
	.set _ZN7rocprim17ROCPRIM_400000_NS6detail17trampoline_kernelINS0_14default_configENS1_27scan_by_key_config_selectorIxxEEZZNS1_16scan_by_key_implILNS1_25lookback_scan_determinismE0ELb1ES3_N6thrust23THRUST_200600_302600_NS6detail15normal_iteratorINS9_10device_ptrIxEEEESE_SE_xNS9_4plusIvEENS9_8equal_toIvEExEE10hipError_tPvRmT2_T3_T4_T5_mT6_T7_P12ihipStream_tbENKUlT_T0_E_clISt17integral_constantIbLb0EESZ_EEDaSU_SV_EUlSU_E_NS1_11comp_targetILNS1_3genE2ELNS1_11target_archE906ELNS1_3gpuE6ELNS1_3repE0EEENS1_30default_config_static_selectorELNS0_4arch9wavefront6targetE0EEEvT1_.private_seg_size, 0
	.set _ZN7rocprim17ROCPRIM_400000_NS6detail17trampoline_kernelINS0_14default_configENS1_27scan_by_key_config_selectorIxxEEZZNS1_16scan_by_key_implILNS1_25lookback_scan_determinismE0ELb1ES3_N6thrust23THRUST_200600_302600_NS6detail15normal_iteratorINS9_10device_ptrIxEEEESE_SE_xNS9_4plusIvEENS9_8equal_toIvEExEE10hipError_tPvRmT2_T3_T4_T5_mT6_T7_P12ihipStream_tbENKUlT_T0_E_clISt17integral_constantIbLb0EESZ_EEDaSU_SV_EUlSU_E_NS1_11comp_targetILNS1_3genE2ELNS1_11target_archE906ELNS1_3gpuE6ELNS1_3repE0EEENS1_30default_config_static_selectorELNS0_4arch9wavefront6targetE0EEEvT1_.uses_vcc, 0
	.set _ZN7rocprim17ROCPRIM_400000_NS6detail17trampoline_kernelINS0_14default_configENS1_27scan_by_key_config_selectorIxxEEZZNS1_16scan_by_key_implILNS1_25lookback_scan_determinismE0ELb1ES3_N6thrust23THRUST_200600_302600_NS6detail15normal_iteratorINS9_10device_ptrIxEEEESE_SE_xNS9_4plusIvEENS9_8equal_toIvEExEE10hipError_tPvRmT2_T3_T4_T5_mT6_T7_P12ihipStream_tbENKUlT_T0_E_clISt17integral_constantIbLb0EESZ_EEDaSU_SV_EUlSU_E_NS1_11comp_targetILNS1_3genE2ELNS1_11target_archE906ELNS1_3gpuE6ELNS1_3repE0EEENS1_30default_config_static_selectorELNS0_4arch9wavefront6targetE0EEEvT1_.uses_flat_scratch, 0
	.set _ZN7rocprim17ROCPRIM_400000_NS6detail17trampoline_kernelINS0_14default_configENS1_27scan_by_key_config_selectorIxxEEZZNS1_16scan_by_key_implILNS1_25lookback_scan_determinismE0ELb1ES3_N6thrust23THRUST_200600_302600_NS6detail15normal_iteratorINS9_10device_ptrIxEEEESE_SE_xNS9_4plusIvEENS9_8equal_toIvEExEE10hipError_tPvRmT2_T3_T4_T5_mT6_T7_P12ihipStream_tbENKUlT_T0_E_clISt17integral_constantIbLb0EESZ_EEDaSU_SV_EUlSU_E_NS1_11comp_targetILNS1_3genE2ELNS1_11target_archE906ELNS1_3gpuE6ELNS1_3repE0EEENS1_30default_config_static_selectorELNS0_4arch9wavefront6targetE0EEEvT1_.has_dyn_sized_stack, 0
	.set _ZN7rocprim17ROCPRIM_400000_NS6detail17trampoline_kernelINS0_14default_configENS1_27scan_by_key_config_selectorIxxEEZZNS1_16scan_by_key_implILNS1_25lookback_scan_determinismE0ELb1ES3_N6thrust23THRUST_200600_302600_NS6detail15normal_iteratorINS9_10device_ptrIxEEEESE_SE_xNS9_4plusIvEENS9_8equal_toIvEExEE10hipError_tPvRmT2_T3_T4_T5_mT6_T7_P12ihipStream_tbENKUlT_T0_E_clISt17integral_constantIbLb0EESZ_EEDaSU_SV_EUlSU_E_NS1_11comp_targetILNS1_3genE2ELNS1_11target_archE906ELNS1_3gpuE6ELNS1_3repE0EEENS1_30default_config_static_selectorELNS0_4arch9wavefront6targetE0EEEvT1_.has_recursion, 0
	.set _ZN7rocprim17ROCPRIM_400000_NS6detail17trampoline_kernelINS0_14default_configENS1_27scan_by_key_config_selectorIxxEEZZNS1_16scan_by_key_implILNS1_25lookback_scan_determinismE0ELb1ES3_N6thrust23THRUST_200600_302600_NS6detail15normal_iteratorINS9_10device_ptrIxEEEESE_SE_xNS9_4plusIvEENS9_8equal_toIvEExEE10hipError_tPvRmT2_T3_T4_T5_mT6_T7_P12ihipStream_tbENKUlT_T0_E_clISt17integral_constantIbLb0EESZ_EEDaSU_SV_EUlSU_E_NS1_11comp_targetILNS1_3genE2ELNS1_11target_archE906ELNS1_3gpuE6ELNS1_3repE0EEENS1_30default_config_static_selectorELNS0_4arch9wavefront6targetE0EEEvT1_.has_indirect_call, 0
	.section	.AMDGPU.csdata,"",@progbits
; Kernel info:
; codeLenInByte = 0
; TotalNumSgprs: 0
; NumVgprs: 0
; ScratchSize: 0
; MemoryBound: 0
; FloatMode: 240
; IeeeMode: 1
; LDSByteSize: 0 bytes/workgroup (compile time only)
; SGPRBlocks: 0
; VGPRBlocks: 0
; NumSGPRsForWavesPerEU: 1
; NumVGPRsForWavesPerEU: 1
; NamedBarCnt: 0
; Occupancy: 16
; WaveLimiterHint : 0
; COMPUTE_PGM_RSRC2:SCRATCH_EN: 0
; COMPUTE_PGM_RSRC2:USER_SGPR: 2
; COMPUTE_PGM_RSRC2:TRAP_HANDLER: 0
; COMPUTE_PGM_RSRC2:TGID_X_EN: 1
; COMPUTE_PGM_RSRC2:TGID_Y_EN: 0
; COMPUTE_PGM_RSRC2:TGID_Z_EN: 0
; COMPUTE_PGM_RSRC2:TIDIG_COMP_CNT: 0
	.section	.text._ZN7rocprim17ROCPRIM_400000_NS6detail17trampoline_kernelINS0_14default_configENS1_27scan_by_key_config_selectorIxxEEZZNS1_16scan_by_key_implILNS1_25lookback_scan_determinismE0ELb1ES3_N6thrust23THRUST_200600_302600_NS6detail15normal_iteratorINS9_10device_ptrIxEEEESE_SE_xNS9_4plusIvEENS9_8equal_toIvEExEE10hipError_tPvRmT2_T3_T4_T5_mT6_T7_P12ihipStream_tbENKUlT_T0_E_clISt17integral_constantIbLb0EESZ_EEDaSU_SV_EUlSU_E_NS1_11comp_targetILNS1_3genE10ELNS1_11target_archE1200ELNS1_3gpuE4ELNS1_3repE0EEENS1_30default_config_static_selectorELNS0_4arch9wavefront6targetE0EEEvT1_,"axG",@progbits,_ZN7rocprim17ROCPRIM_400000_NS6detail17trampoline_kernelINS0_14default_configENS1_27scan_by_key_config_selectorIxxEEZZNS1_16scan_by_key_implILNS1_25lookback_scan_determinismE0ELb1ES3_N6thrust23THRUST_200600_302600_NS6detail15normal_iteratorINS9_10device_ptrIxEEEESE_SE_xNS9_4plusIvEENS9_8equal_toIvEExEE10hipError_tPvRmT2_T3_T4_T5_mT6_T7_P12ihipStream_tbENKUlT_T0_E_clISt17integral_constantIbLb0EESZ_EEDaSU_SV_EUlSU_E_NS1_11comp_targetILNS1_3genE10ELNS1_11target_archE1200ELNS1_3gpuE4ELNS1_3repE0EEENS1_30default_config_static_selectorELNS0_4arch9wavefront6targetE0EEEvT1_,comdat
	.protected	_ZN7rocprim17ROCPRIM_400000_NS6detail17trampoline_kernelINS0_14default_configENS1_27scan_by_key_config_selectorIxxEEZZNS1_16scan_by_key_implILNS1_25lookback_scan_determinismE0ELb1ES3_N6thrust23THRUST_200600_302600_NS6detail15normal_iteratorINS9_10device_ptrIxEEEESE_SE_xNS9_4plusIvEENS9_8equal_toIvEExEE10hipError_tPvRmT2_T3_T4_T5_mT6_T7_P12ihipStream_tbENKUlT_T0_E_clISt17integral_constantIbLb0EESZ_EEDaSU_SV_EUlSU_E_NS1_11comp_targetILNS1_3genE10ELNS1_11target_archE1200ELNS1_3gpuE4ELNS1_3repE0EEENS1_30default_config_static_selectorELNS0_4arch9wavefront6targetE0EEEvT1_ ; -- Begin function _ZN7rocprim17ROCPRIM_400000_NS6detail17trampoline_kernelINS0_14default_configENS1_27scan_by_key_config_selectorIxxEEZZNS1_16scan_by_key_implILNS1_25lookback_scan_determinismE0ELb1ES3_N6thrust23THRUST_200600_302600_NS6detail15normal_iteratorINS9_10device_ptrIxEEEESE_SE_xNS9_4plusIvEENS9_8equal_toIvEExEE10hipError_tPvRmT2_T3_T4_T5_mT6_T7_P12ihipStream_tbENKUlT_T0_E_clISt17integral_constantIbLb0EESZ_EEDaSU_SV_EUlSU_E_NS1_11comp_targetILNS1_3genE10ELNS1_11target_archE1200ELNS1_3gpuE4ELNS1_3repE0EEENS1_30default_config_static_selectorELNS0_4arch9wavefront6targetE0EEEvT1_
	.globl	_ZN7rocprim17ROCPRIM_400000_NS6detail17trampoline_kernelINS0_14default_configENS1_27scan_by_key_config_selectorIxxEEZZNS1_16scan_by_key_implILNS1_25lookback_scan_determinismE0ELb1ES3_N6thrust23THRUST_200600_302600_NS6detail15normal_iteratorINS9_10device_ptrIxEEEESE_SE_xNS9_4plusIvEENS9_8equal_toIvEExEE10hipError_tPvRmT2_T3_T4_T5_mT6_T7_P12ihipStream_tbENKUlT_T0_E_clISt17integral_constantIbLb0EESZ_EEDaSU_SV_EUlSU_E_NS1_11comp_targetILNS1_3genE10ELNS1_11target_archE1200ELNS1_3gpuE4ELNS1_3repE0EEENS1_30default_config_static_selectorELNS0_4arch9wavefront6targetE0EEEvT1_
	.p2align	8
	.type	_ZN7rocprim17ROCPRIM_400000_NS6detail17trampoline_kernelINS0_14default_configENS1_27scan_by_key_config_selectorIxxEEZZNS1_16scan_by_key_implILNS1_25lookback_scan_determinismE0ELb1ES3_N6thrust23THRUST_200600_302600_NS6detail15normal_iteratorINS9_10device_ptrIxEEEESE_SE_xNS9_4plusIvEENS9_8equal_toIvEExEE10hipError_tPvRmT2_T3_T4_T5_mT6_T7_P12ihipStream_tbENKUlT_T0_E_clISt17integral_constantIbLb0EESZ_EEDaSU_SV_EUlSU_E_NS1_11comp_targetILNS1_3genE10ELNS1_11target_archE1200ELNS1_3gpuE4ELNS1_3repE0EEENS1_30default_config_static_selectorELNS0_4arch9wavefront6targetE0EEEvT1_,@function
_ZN7rocprim17ROCPRIM_400000_NS6detail17trampoline_kernelINS0_14default_configENS1_27scan_by_key_config_selectorIxxEEZZNS1_16scan_by_key_implILNS1_25lookback_scan_determinismE0ELb1ES3_N6thrust23THRUST_200600_302600_NS6detail15normal_iteratorINS9_10device_ptrIxEEEESE_SE_xNS9_4plusIvEENS9_8equal_toIvEExEE10hipError_tPvRmT2_T3_T4_T5_mT6_T7_P12ihipStream_tbENKUlT_T0_E_clISt17integral_constantIbLb0EESZ_EEDaSU_SV_EUlSU_E_NS1_11comp_targetILNS1_3genE10ELNS1_11target_archE1200ELNS1_3gpuE4ELNS1_3repE0EEENS1_30default_config_static_selectorELNS0_4arch9wavefront6targetE0EEEvT1_: ; @_ZN7rocprim17ROCPRIM_400000_NS6detail17trampoline_kernelINS0_14default_configENS1_27scan_by_key_config_selectorIxxEEZZNS1_16scan_by_key_implILNS1_25lookback_scan_determinismE0ELb1ES3_N6thrust23THRUST_200600_302600_NS6detail15normal_iteratorINS9_10device_ptrIxEEEESE_SE_xNS9_4plusIvEENS9_8equal_toIvEExEE10hipError_tPvRmT2_T3_T4_T5_mT6_T7_P12ihipStream_tbENKUlT_T0_E_clISt17integral_constantIbLb0EESZ_EEDaSU_SV_EUlSU_E_NS1_11comp_targetILNS1_3genE10ELNS1_11target_archE1200ELNS1_3gpuE4ELNS1_3repE0EEENS1_30default_config_static_selectorELNS0_4arch9wavefront6targetE0EEEvT1_
; %bb.0:
	.section	.rodata,"a",@progbits
	.p2align	6, 0x0
	.amdhsa_kernel _ZN7rocprim17ROCPRIM_400000_NS6detail17trampoline_kernelINS0_14default_configENS1_27scan_by_key_config_selectorIxxEEZZNS1_16scan_by_key_implILNS1_25lookback_scan_determinismE0ELb1ES3_N6thrust23THRUST_200600_302600_NS6detail15normal_iteratorINS9_10device_ptrIxEEEESE_SE_xNS9_4plusIvEENS9_8equal_toIvEExEE10hipError_tPvRmT2_T3_T4_T5_mT6_T7_P12ihipStream_tbENKUlT_T0_E_clISt17integral_constantIbLb0EESZ_EEDaSU_SV_EUlSU_E_NS1_11comp_targetILNS1_3genE10ELNS1_11target_archE1200ELNS1_3gpuE4ELNS1_3repE0EEENS1_30default_config_static_selectorELNS0_4arch9wavefront6targetE0EEEvT1_
		.amdhsa_group_segment_fixed_size 0
		.amdhsa_private_segment_fixed_size 0
		.amdhsa_kernarg_size 136
		.amdhsa_user_sgpr_count 2
		.amdhsa_user_sgpr_dispatch_ptr 0
		.amdhsa_user_sgpr_queue_ptr 0
		.amdhsa_user_sgpr_kernarg_segment_ptr 1
		.amdhsa_user_sgpr_dispatch_id 0
		.amdhsa_user_sgpr_kernarg_preload_length 0
		.amdhsa_user_sgpr_kernarg_preload_offset 0
		.amdhsa_user_sgpr_private_segment_size 0
		.amdhsa_wavefront_size32 1
		.amdhsa_uses_dynamic_stack 0
		.amdhsa_enable_private_segment 0
		.amdhsa_system_sgpr_workgroup_id_x 1
		.amdhsa_system_sgpr_workgroup_id_y 0
		.amdhsa_system_sgpr_workgroup_id_z 0
		.amdhsa_system_sgpr_workgroup_info 0
		.amdhsa_system_vgpr_workitem_id 0
		.amdhsa_next_free_vgpr 1
		.amdhsa_next_free_sgpr 1
		.amdhsa_named_barrier_count 0
		.amdhsa_reserve_vcc 0
		.amdhsa_float_round_mode_32 0
		.amdhsa_float_round_mode_16_64 0
		.amdhsa_float_denorm_mode_32 3
		.amdhsa_float_denorm_mode_16_64 3
		.amdhsa_fp16_overflow 0
		.amdhsa_memory_ordered 1
		.amdhsa_forward_progress 1
		.amdhsa_inst_pref_size 0
		.amdhsa_round_robin_scheduling 0
		.amdhsa_exception_fp_ieee_invalid_op 0
		.amdhsa_exception_fp_denorm_src 0
		.amdhsa_exception_fp_ieee_div_zero 0
		.amdhsa_exception_fp_ieee_overflow 0
		.amdhsa_exception_fp_ieee_underflow 0
		.amdhsa_exception_fp_ieee_inexact 0
		.amdhsa_exception_int_div_zero 0
	.end_amdhsa_kernel
	.section	.text._ZN7rocprim17ROCPRIM_400000_NS6detail17trampoline_kernelINS0_14default_configENS1_27scan_by_key_config_selectorIxxEEZZNS1_16scan_by_key_implILNS1_25lookback_scan_determinismE0ELb1ES3_N6thrust23THRUST_200600_302600_NS6detail15normal_iteratorINS9_10device_ptrIxEEEESE_SE_xNS9_4plusIvEENS9_8equal_toIvEExEE10hipError_tPvRmT2_T3_T4_T5_mT6_T7_P12ihipStream_tbENKUlT_T0_E_clISt17integral_constantIbLb0EESZ_EEDaSU_SV_EUlSU_E_NS1_11comp_targetILNS1_3genE10ELNS1_11target_archE1200ELNS1_3gpuE4ELNS1_3repE0EEENS1_30default_config_static_selectorELNS0_4arch9wavefront6targetE0EEEvT1_,"axG",@progbits,_ZN7rocprim17ROCPRIM_400000_NS6detail17trampoline_kernelINS0_14default_configENS1_27scan_by_key_config_selectorIxxEEZZNS1_16scan_by_key_implILNS1_25lookback_scan_determinismE0ELb1ES3_N6thrust23THRUST_200600_302600_NS6detail15normal_iteratorINS9_10device_ptrIxEEEESE_SE_xNS9_4plusIvEENS9_8equal_toIvEExEE10hipError_tPvRmT2_T3_T4_T5_mT6_T7_P12ihipStream_tbENKUlT_T0_E_clISt17integral_constantIbLb0EESZ_EEDaSU_SV_EUlSU_E_NS1_11comp_targetILNS1_3genE10ELNS1_11target_archE1200ELNS1_3gpuE4ELNS1_3repE0EEENS1_30default_config_static_selectorELNS0_4arch9wavefront6targetE0EEEvT1_,comdat
.Lfunc_end359:
	.size	_ZN7rocprim17ROCPRIM_400000_NS6detail17trampoline_kernelINS0_14default_configENS1_27scan_by_key_config_selectorIxxEEZZNS1_16scan_by_key_implILNS1_25lookback_scan_determinismE0ELb1ES3_N6thrust23THRUST_200600_302600_NS6detail15normal_iteratorINS9_10device_ptrIxEEEESE_SE_xNS9_4plusIvEENS9_8equal_toIvEExEE10hipError_tPvRmT2_T3_T4_T5_mT6_T7_P12ihipStream_tbENKUlT_T0_E_clISt17integral_constantIbLb0EESZ_EEDaSU_SV_EUlSU_E_NS1_11comp_targetILNS1_3genE10ELNS1_11target_archE1200ELNS1_3gpuE4ELNS1_3repE0EEENS1_30default_config_static_selectorELNS0_4arch9wavefront6targetE0EEEvT1_, .Lfunc_end359-_ZN7rocprim17ROCPRIM_400000_NS6detail17trampoline_kernelINS0_14default_configENS1_27scan_by_key_config_selectorIxxEEZZNS1_16scan_by_key_implILNS1_25lookback_scan_determinismE0ELb1ES3_N6thrust23THRUST_200600_302600_NS6detail15normal_iteratorINS9_10device_ptrIxEEEESE_SE_xNS9_4plusIvEENS9_8equal_toIvEExEE10hipError_tPvRmT2_T3_T4_T5_mT6_T7_P12ihipStream_tbENKUlT_T0_E_clISt17integral_constantIbLb0EESZ_EEDaSU_SV_EUlSU_E_NS1_11comp_targetILNS1_3genE10ELNS1_11target_archE1200ELNS1_3gpuE4ELNS1_3repE0EEENS1_30default_config_static_selectorELNS0_4arch9wavefront6targetE0EEEvT1_
                                        ; -- End function
	.set _ZN7rocprim17ROCPRIM_400000_NS6detail17trampoline_kernelINS0_14default_configENS1_27scan_by_key_config_selectorIxxEEZZNS1_16scan_by_key_implILNS1_25lookback_scan_determinismE0ELb1ES3_N6thrust23THRUST_200600_302600_NS6detail15normal_iteratorINS9_10device_ptrIxEEEESE_SE_xNS9_4plusIvEENS9_8equal_toIvEExEE10hipError_tPvRmT2_T3_T4_T5_mT6_T7_P12ihipStream_tbENKUlT_T0_E_clISt17integral_constantIbLb0EESZ_EEDaSU_SV_EUlSU_E_NS1_11comp_targetILNS1_3genE10ELNS1_11target_archE1200ELNS1_3gpuE4ELNS1_3repE0EEENS1_30default_config_static_selectorELNS0_4arch9wavefront6targetE0EEEvT1_.num_vgpr, 0
	.set _ZN7rocprim17ROCPRIM_400000_NS6detail17trampoline_kernelINS0_14default_configENS1_27scan_by_key_config_selectorIxxEEZZNS1_16scan_by_key_implILNS1_25lookback_scan_determinismE0ELb1ES3_N6thrust23THRUST_200600_302600_NS6detail15normal_iteratorINS9_10device_ptrIxEEEESE_SE_xNS9_4plusIvEENS9_8equal_toIvEExEE10hipError_tPvRmT2_T3_T4_T5_mT6_T7_P12ihipStream_tbENKUlT_T0_E_clISt17integral_constantIbLb0EESZ_EEDaSU_SV_EUlSU_E_NS1_11comp_targetILNS1_3genE10ELNS1_11target_archE1200ELNS1_3gpuE4ELNS1_3repE0EEENS1_30default_config_static_selectorELNS0_4arch9wavefront6targetE0EEEvT1_.num_agpr, 0
	.set _ZN7rocprim17ROCPRIM_400000_NS6detail17trampoline_kernelINS0_14default_configENS1_27scan_by_key_config_selectorIxxEEZZNS1_16scan_by_key_implILNS1_25lookback_scan_determinismE0ELb1ES3_N6thrust23THRUST_200600_302600_NS6detail15normal_iteratorINS9_10device_ptrIxEEEESE_SE_xNS9_4plusIvEENS9_8equal_toIvEExEE10hipError_tPvRmT2_T3_T4_T5_mT6_T7_P12ihipStream_tbENKUlT_T0_E_clISt17integral_constantIbLb0EESZ_EEDaSU_SV_EUlSU_E_NS1_11comp_targetILNS1_3genE10ELNS1_11target_archE1200ELNS1_3gpuE4ELNS1_3repE0EEENS1_30default_config_static_selectorELNS0_4arch9wavefront6targetE0EEEvT1_.numbered_sgpr, 0
	.set _ZN7rocprim17ROCPRIM_400000_NS6detail17trampoline_kernelINS0_14default_configENS1_27scan_by_key_config_selectorIxxEEZZNS1_16scan_by_key_implILNS1_25lookback_scan_determinismE0ELb1ES3_N6thrust23THRUST_200600_302600_NS6detail15normal_iteratorINS9_10device_ptrIxEEEESE_SE_xNS9_4plusIvEENS9_8equal_toIvEExEE10hipError_tPvRmT2_T3_T4_T5_mT6_T7_P12ihipStream_tbENKUlT_T0_E_clISt17integral_constantIbLb0EESZ_EEDaSU_SV_EUlSU_E_NS1_11comp_targetILNS1_3genE10ELNS1_11target_archE1200ELNS1_3gpuE4ELNS1_3repE0EEENS1_30default_config_static_selectorELNS0_4arch9wavefront6targetE0EEEvT1_.num_named_barrier, 0
	.set _ZN7rocprim17ROCPRIM_400000_NS6detail17trampoline_kernelINS0_14default_configENS1_27scan_by_key_config_selectorIxxEEZZNS1_16scan_by_key_implILNS1_25lookback_scan_determinismE0ELb1ES3_N6thrust23THRUST_200600_302600_NS6detail15normal_iteratorINS9_10device_ptrIxEEEESE_SE_xNS9_4plusIvEENS9_8equal_toIvEExEE10hipError_tPvRmT2_T3_T4_T5_mT6_T7_P12ihipStream_tbENKUlT_T0_E_clISt17integral_constantIbLb0EESZ_EEDaSU_SV_EUlSU_E_NS1_11comp_targetILNS1_3genE10ELNS1_11target_archE1200ELNS1_3gpuE4ELNS1_3repE0EEENS1_30default_config_static_selectorELNS0_4arch9wavefront6targetE0EEEvT1_.private_seg_size, 0
	.set _ZN7rocprim17ROCPRIM_400000_NS6detail17trampoline_kernelINS0_14default_configENS1_27scan_by_key_config_selectorIxxEEZZNS1_16scan_by_key_implILNS1_25lookback_scan_determinismE0ELb1ES3_N6thrust23THRUST_200600_302600_NS6detail15normal_iteratorINS9_10device_ptrIxEEEESE_SE_xNS9_4plusIvEENS9_8equal_toIvEExEE10hipError_tPvRmT2_T3_T4_T5_mT6_T7_P12ihipStream_tbENKUlT_T0_E_clISt17integral_constantIbLb0EESZ_EEDaSU_SV_EUlSU_E_NS1_11comp_targetILNS1_3genE10ELNS1_11target_archE1200ELNS1_3gpuE4ELNS1_3repE0EEENS1_30default_config_static_selectorELNS0_4arch9wavefront6targetE0EEEvT1_.uses_vcc, 0
	.set _ZN7rocprim17ROCPRIM_400000_NS6detail17trampoline_kernelINS0_14default_configENS1_27scan_by_key_config_selectorIxxEEZZNS1_16scan_by_key_implILNS1_25lookback_scan_determinismE0ELb1ES3_N6thrust23THRUST_200600_302600_NS6detail15normal_iteratorINS9_10device_ptrIxEEEESE_SE_xNS9_4plusIvEENS9_8equal_toIvEExEE10hipError_tPvRmT2_T3_T4_T5_mT6_T7_P12ihipStream_tbENKUlT_T0_E_clISt17integral_constantIbLb0EESZ_EEDaSU_SV_EUlSU_E_NS1_11comp_targetILNS1_3genE10ELNS1_11target_archE1200ELNS1_3gpuE4ELNS1_3repE0EEENS1_30default_config_static_selectorELNS0_4arch9wavefront6targetE0EEEvT1_.uses_flat_scratch, 0
	.set _ZN7rocprim17ROCPRIM_400000_NS6detail17trampoline_kernelINS0_14default_configENS1_27scan_by_key_config_selectorIxxEEZZNS1_16scan_by_key_implILNS1_25lookback_scan_determinismE0ELb1ES3_N6thrust23THRUST_200600_302600_NS6detail15normal_iteratorINS9_10device_ptrIxEEEESE_SE_xNS9_4plusIvEENS9_8equal_toIvEExEE10hipError_tPvRmT2_T3_T4_T5_mT6_T7_P12ihipStream_tbENKUlT_T0_E_clISt17integral_constantIbLb0EESZ_EEDaSU_SV_EUlSU_E_NS1_11comp_targetILNS1_3genE10ELNS1_11target_archE1200ELNS1_3gpuE4ELNS1_3repE0EEENS1_30default_config_static_selectorELNS0_4arch9wavefront6targetE0EEEvT1_.has_dyn_sized_stack, 0
	.set _ZN7rocprim17ROCPRIM_400000_NS6detail17trampoline_kernelINS0_14default_configENS1_27scan_by_key_config_selectorIxxEEZZNS1_16scan_by_key_implILNS1_25lookback_scan_determinismE0ELb1ES3_N6thrust23THRUST_200600_302600_NS6detail15normal_iteratorINS9_10device_ptrIxEEEESE_SE_xNS9_4plusIvEENS9_8equal_toIvEExEE10hipError_tPvRmT2_T3_T4_T5_mT6_T7_P12ihipStream_tbENKUlT_T0_E_clISt17integral_constantIbLb0EESZ_EEDaSU_SV_EUlSU_E_NS1_11comp_targetILNS1_3genE10ELNS1_11target_archE1200ELNS1_3gpuE4ELNS1_3repE0EEENS1_30default_config_static_selectorELNS0_4arch9wavefront6targetE0EEEvT1_.has_recursion, 0
	.set _ZN7rocprim17ROCPRIM_400000_NS6detail17trampoline_kernelINS0_14default_configENS1_27scan_by_key_config_selectorIxxEEZZNS1_16scan_by_key_implILNS1_25lookback_scan_determinismE0ELb1ES3_N6thrust23THRUST_200600_302600_NS6detail15normal_iteratorINS9_10device_ptrIxEEEESE_SE_xNS9_4plusIvEENS9_8equal_toIvEExEE10hipError_tPvRmT2_T3_T4_T5_mT6_T7_P12ihipStream_tbENKUlT_T0_E_clISt17integral_constantIbLb0EESZ_EEDaSU_SV_EUlSU_E_NS1_11comp_targetILNS1_3genE10ELNS1_11target_archE1200ELNS1_3gpuE4ELNS1_3repE0EEENS1_30default_config_static_selectorELNS0_4arch9wavefront6targetE0EEEvT1_.has_indirect_call, 0
	.section	.AMDGPU.csdata,"",@progbits
; Kernel info:
; codeLenInByte = 0
; TotalNumSgprs: 0
; NumVgprs: 0
; ScratchSize: 0
; MemoryBound: 0
; FloatMode: 240
; IeeeMode: 1
; LDSByteSize: 0 bytes/workgroup (compile time only)
; SGPRBlocks: 0
; VGPRBlocks: 0
; NumSGPRsForWavesPerEU: 1
; NumVGPRsForWavesPerEU: 1
; NamedBarCnt: 0
; Occupancy: 16
; WaveLimiterHint : 0
; COMPUTE_PGM_RSRC2:SCRATCH_EN: 0
; COMPUTE_PGM_RSRC2:USER_SGPR: 2
; COMPUTE_PGM_RSRC2:TRAP_HANDLER: 0
; COMPUTE_PGM_RSRC2:TGID_X_EN: 1
; COMPUTE_PGM_RSRC2:TGID_Y_EN: 0
; COMPUTE_PGM_RSRC2:TGID_Z_EN: 0
; COMPUTE_PGM_RSRC2:TIDIG_COMP_CNT: 0
	.section	.text._ZN7rocprim17ROCPRIM_400000_NS6detail17trampoline_kernelINS0_14default_configENS1_27scan_by_key_config_selectorIxxEEZZNS1_16scan_by_key_implILNS1_25lookback_scan_determinismE0ELb1ES3_N6thrust23THRUST_200600_302600_NS6detail15normal_iteratorINS9_10device_ptrIxEEEESE_SE_xNS9_4plusIvEENS9_8equal_toIvEExEE10hipError_tPvRmT2_T3_T4_T5_mT6_T7_P12ihipStream_tbENKUlT_T0_E_clISt17integral_constantIbLb0EESZ_EEDaSU_SV_EUlSU_E_NS1_11comp_targetILNS1_3genE9ELNS1_11target_archE1100ELNS1_3gpuE3ELNS1_3repE0EEENS1_30default_config_static_selectorELNS0_4arch9wavefront6targetE0EEEvT1_,"axG",@progbits,_ZN7rocprim17ROCPRIM_400000_NS6detail17trampoline_kernelINS0_14default_configENS1_27scan_by_key_config_selectorIxxEEZZNS1_16scan_by_key_implILNS1_25lookback_scan_determinismE0ELb1ES3_N6thrust23THRUST_200600_302600_NS6detail15normal_iteratorINS9_10device_ptrIxEEEESE_SE_xNS9_4plusIvEENS9_8equal_toIvEExEE10hipError_tPvRmT2_T3_T4_T5_mT6_T7_P12ihipStream_tbENKUlT_T0_E_clISt17integral_constantIbLb0EESZ_EEDaSU_SV_EUlSU_E_NS1_11comp_targetILNS1_3genE9ELNS1_11target_archE1100ELNS1_3gpuE3ELNS1_3repE0EEENS1_30default_config_static_selectorELNS0_4arch9wavefront6targetE0EEEvT1_,comdat
	.protected	_ZN7rocprim17ROCPRIM_400000_NS6detail17trampoline_kernelINS0_14default_configENS1_27scan_by_key_config_selectorIxxEEZZNS1_16scan_by_key_implILNS1_25lookback_scan_determinismE0ELb1ES3_N6thrust23THRUST_200600_302600_NS6detail15normal_iteratorINS9_10device_ptrIxEEEESE_SE_xNS9_4plusIvEENS9_8equal_toIvEExEE10hipError_tPvRmT2_T3_T4_T5_mT6_T7_P12ihipStream_tbENKUlT_T0_E_clISt17integral_constantIbLb0EESZ_EEDaSU_SV_EUlSU_E_NS1_11comp_targetILNS1_3genE9ELNS1_11target_archE1100ELNS1_3gpuE3ELNS1_3repE0EEENS1_30default_config_static_selectorELNS0_4arch9wavefront6targetE0EEEvT1_ ; -- Begin function _ZN7rocprim17ROCPRIM_400000_NS6detail17trampoline_kernelINS0_14default_configENS1_27scan_by_key_config_selectorIxxEEZZNS1_16scan_by_key_implILNS1_25lookback_scan_determinismE0ELb1ES3_N6thrust23THRUST_200600_302600_NS6detail15normal_iteratorINS9_10device_ptrIxEEEESE_SE_xNS9_4plusIvEENS9_8equal_toIvEExEE10hipError_tPvRmT2_T3_T4_T5_mT6_T7_P12ihipStream_tbENKUlT_T0_E_clISt17integral_constantIbLb0EESZ_EEDaSU_SV_EUlSU_E_NS1_11comp_targetILNS1_3genE9ELNS1_11target_archE1100ELNS1_3gpuE3ELNS1_3repE0EEENS1_30default_config_static_selectorELNS0_4arch9wavefront6targetE0EEEvT1_
	.globl	_ZN7rocprim17ROCPRIM_400000_NS6detail17trampoline_kernelINS0_14default_configENS1_27scan_by_key_config_selectorIxxEEZZNS1_16scan_by_key_implILNS1_25lookback_scan_determinismE0ELb1ES3_N6thrust23THRUST_200600_302600_NS6detail15normal_iteratorINS9_10device_ptrIxEEEESE_SE_xNS9_4plusIvEENS9_8equal_toIvEExEE10hipError_tPvRmT2_T3_T4_T5_mT6_T7_P12ihipStream_tbENKUlT_T0_E_clISt17integral_constantIbLb0EESZ_EEDaSU_SV_EUlSU_E_NS1_11comp_targetILNS1_3genE9ELNS1_11target_archE1100ELNS1_3gpuE3ELNS1_3repE0EEENS1_30default_config_static_selectorELNS0_4arch9wavefront6targetE0EEEvT1_
	.p2align	8
	.type	_ZN7rocprim17ROCPRIM_400000_NS6detail17trampoline_kernelINS0_14default_configENS1_27scan_by_key_config_selectorIxxEEZZNS1_16scan_by_key_implILNS1_25lookback_scan_determinismE0ELb1ES3_N6thrust23THRUST_200600_302600_NS6detail15normal_iteratorINS9_10device_ptrIxEEEESE_SE_xNS9_4plusIvEENS9_8equal_toIvEExEE10hipError_tPvRmT2_T3_T4_T5_mT6_T7_P12ihipStream_tbENKUlT_T0_E_clISt17integral_constantIbLb0EESZ_EEDaSU_SV_EUlSU_E_NS1_11comp_targetILNS1_3genE9ELNS1_11target_archE1100ELNS1_3gpuE3ELNS1_3repE0EEENS1_30default_config_static_selectorELNS0_4arch9wavefront6targetE0EEEvT1_,@function
_ZN7rocprim17ROCPRIM_400000_NS6detail17trampoline_kernelINS0_14default_configENS1_27scan_by_key_config_selectorIxxEEZZNS1_16scan_by_key_implILNS1_25lookback_scan_determinismE0ELb1ES3_N6thrust23THRUST_200600_302600_NS6detail15normal_iteratorINS9_10device_ptrIxEEEESE_SE_xNS9_4plusIvEENS9_8equal_toIvEExEE10hipError_tPvRmT2_T3_T4_T5_mT6_T7_P12ihipStream_tbENKUlT_T0_E_clISt17integral_constantIbLb0EESZ_EEDaSU_SV_EUlSU_E_NS1_11comp_targetILNS1_3genE9ELNS1_11target_archE1100ELNS1_3gpuE3ELNS1_3repE0EEENS1_30default_config_static_selectorELNS0_4arch9wavefront6targetE0EEEvT1_: ; @_ZN7rocprim17ROCPRIM_400000_NS6detail17trampoline_kernelINS0_14default_configENS1_27scan_by_key_config_selectorIxxEEZZNS1_16scan_by_key_implILNS1_25lookback_scan_determinismE0ELb1ES3_N6thrust23THRUST_200600_302600_NS6detail15normal_iteratorINS9_10device_ptrIxEEEESE_SE_xNS9_4plusIvEENS9_8equal_toIvEExEE10hipError_tPvRmT2_T3_T4_T5_mT6_T7_P12ihipStream_tbENKUlT_T0_E_clISt17integral_constantIbLb0EESZ_EEDaSU_SV_EUlSU_E_NS1_11comp_targetILNS1_3genE9ELNS1_11target_archE1100ELNS1_3gpuE3ELNS1_3repE0EEENS1_30default_config_static_selectorELNS0_4arch9wavefront6targetE0EEEvT1_
; %bb.0:
	.section	.rodata,"a",@progbits
	.p2align	6, 0x0
	.amdhsa_kernel _ZN7rocprim17ROCPRIM_400000_NS6detail17trampoline_kernelINS0_14default_configENS1_27scan_by_key_config_selectorIxxEEZZNS1_16scan_by_key_implILNS1_25lookback_scan_determinismE0ELb1ES3_N6thrust23THRUST_200600_302600_NS6detail15normal_iteratorINS9_10device_ptrIxEEEESE_SE_xNS9_4plusIvEENS9_8equal_toIvEExEE10hipError_tPvRmT2_T3_T4_T5_mT6_T7_P12ihipStream_tbENKUlT_T0_E_clISt17integral_constantIbLb0EESZ_EEDaSU_SV_EUlSU_E_NS1_11comp_targetILNS1_3genE9ELNS1_11target_archE1100ELNS1_3gpuE3ELNS1_3repE0EEENS1_30default_config_static_selectorELNS0_4arch9wavefront6targetE0EEEvT1_
		.amdhsa_group_segment_fixed_size 0
		.amdhsa_private_segment_fixed_size 0
		.amdhsa_kernarg_size 136
		.amdhsa_user_sgpr_count 2
		.amdhsa_user_sgpr_dispatch_ptr 0
		.amdhsa_user_sgpr_queue_ptr 0
		.amdhsa_user_sgpr_kernarg_segment_ptr 1
		.amdhsa_user_sgpr_dispatch_id 0
		.amdhsa_user_sgpr_kernarg_preload_length 0
		.amdhsa_user_sgpr_kernarg_preload_offset 0
		.amdhsa_user_sgpr_private_segment_size 0
		.amdhsa_wavefront_size32 1
		.amdhsa_uses_dynamic_stack 0
		.amdhsa_enable_private_segment 0
		.amdhsa_system_sgpr_workgroup_id_x 1
		.amdhsa_system_sgpr_workgroup_id_y 0
		.amdhsa_system_sgpr_workgroup_id_z 0
		.amdhsa_system_sgpr_workgroup_info 0
		.amdhsa_system_vgpr_workitem_id 0
		.amdhsa_next_free_vgpr 1
		.amdhsa_next_free_sgpr 1
		.amdhsa_named_barrier_count 0
		.amdhsa_reserve_vcc 0
		.amdhsa_float_round_mode_32 0
		.amdhsa_float_round_mode_16_64 0
		.amdhsa_float_denorm_mode_32 3
		.amdhsa_float_denorm_mode_16_64 3
		.amdhsa_fp16_overflow 0
		.amdhsa_memory_ordered 1
		.amdhsa_forward_progress 1
		.amdhsa_inst_pref_size 0
		.amdhsa_round_robin_scheduling 0
		.amdhsa_exception_fp_ieee_invalid_op 0
		.amdhsa_exception_fp_denorm_src 0
		.amdhsa_exception_fp_ieee_div_zero 0
		.amdhsa_exception_fp_ieee_overflow 0
		.amdhsa_exception_fp_ieee_underflow 0
		.amdhsa_exception_fp_ieee_inexact 0
		.amdhsa_exception_int_div_zero 0
	.end_amdhsa_kernel
	.section	.text._ZN7rocprim17ROCPRIM_400000_NS6detail17trampoline_kernelINS0_14default_configENS1_27scan_by_key_config_selectorIxxEEZZNS1_16scan_by_key_implILNS1_25lookback_scan_determinismE0ELb1ES3_N6thrust23THRUST_200600_302600_NS6detail15normal_iteratorINS9_10device_ptrIxEEEESE_SE_xNS9_4plusIvEENS9_8equal_toIvEExEE10hipError_tPvRmT2_T3_T4_T5_mT6_T7_P12ihipStream_tbENKUlT_T0_E_clISt17integral_constantIbLb0EESZ_EEDaSU_SV_EUlSU_E_NS1_11comp_targetILNS1_3genE9ELNS1_11target_archE1100ELNS1_3gpuE3ELNS1_3repE0EEENS1_30default_config_static_selectorELNS0_4arch9wavefront6targetE0EEEvT1_,"axG",@progbits,_ZN7rocprim17ROCPRIM_400000_NS6detail17trampoline_kernelINS0_14default_configENS1_27scan_by_key_config_selectorIxxEEZZNS1_16scan_by_key_implILNS1_25lookback_scan_determinismE0ELb1ES3_N6thrust23THRUST_200600_302600_NS6detail15normal_iteratorINS9_10device_ptrIxEEEESE_SE_xNS9_4plusIvEENS9_8equal_toIvEExEE10hipError_tPvRmT2_T3_T4_T5_mT6_T7_P12ihipStream_tbENKUlT_T0_E_clISt17integral_constantIbLb0EESZ_EEDaSU_SV_EUlSU_E_NS1_11comp_targetILNS1_3genE9ELNS1_11target_archE1100ELNS1_3gpuE3ELNS1_3repE0EEENS1_30default_config_static_selectorELNS0_4arch9wavefront6targetE0EEEvT1_,comdat
.Lfunc_end360:
	.size	_ZN7rocprim17ROCPRIM_400000_NS6detail17trampoline_kernelINS0_14default_configENS1_27scan_by_key_config_selectorIxxEEZZNS1_16scan_by_key_implILNS1_25lookback_scan_determinismE0ELb1ES3_N6thrust23THRUST_200600_302600_NS6detail15normal_iteratorINS9_10device_ptrIxEEEESE_SE_xNS9_4plusIvEENS9_8equal_toIvEExEE10hipError_tPvRmT2_T3_T4_T5_mT6_T7_P12ihipStream_tbENKUlT_T0_E_clISt17integral_constantIbLb0EESZ_EEDaSU_SV_EUlSU_E_NS1_11comp_targetILNS1_3genE9ELNS1_11target_archE1100ELNS1_3gpuE3ELNS1_3repE0EEENS1_30default_config_static_selectorELNS0_4arch9wavefront6targetE0EEEvT1_, .Lfunc_end360-_ZN7rocprim17ROCPRIM_400000_NS6detail17trampoline_kernelINS0_14default_configENS1_27scan_by_key_config_selectorIxxEEZZNS1_16scan_by_key_implILNS1_25lookback_scan_determinismE0ELb1ES3_N6thrust23THRUST_200600_302600_NS6detail15normal_iteratorINS9_10device_ptrIxEEEESE_SE_xNS9_4plusIvEENS9_8equal_toIvEExEE10hipError_tPvRmT2_T3_T4_T5_mT6_T7_P12ihipStream_tbENKUlT_T0_E_clISt17integral_constantIbLb0EESZ_EEDaSU_SV_EUlSU_E_NS1_11comp_targetILNS1_3genE9ELNS1_11target_archE1100ELNS1_3gpuE3ELNS1_3repE0EEENS1_30default_config_static_selectorELNS0_4arch9wavefront6targetE0EEEvT1_
                                        ; -- End function
	.set _ZN7rocprim17ROCPRIM_400000_NS6detail17trampoline_kernelINS0_14default_configENS1_27scan_by_key_config_selectorIxxEEZZNS1_16scan_by_key_implILNS1_25lookback_scan_determinismE0ELb1ES3_N6thrust23THRUST_200600_302600_NS6detail15normal_iteratorINS9_10device_ptrIxEEEESE_SE_xNS9_4plusIvEENS9_8equal_toIvEExEE10hipError_tPvRmT2_T3_T4_T5_mT6_T7_P12ihipStream_tbENKUlT_T0_E_clISt17integral_constantIbLb0EESZ_EEDaSU_SV_EUlSU_E_NS1_11comp_targetILNS1_3genE9ELNS1_11target_archE1100ELNS1_3gpuE3ELNS1_3repE0EEENS1_30default_config_static_selectorELNS0_4arch9wavefront6targetE0EEEvT1_.num_vgpr, 0
	.set _ZN7rocprim17ROCPRIM_400000_NS6detail17trampoline_kernelINS0_14default_configENS1_27scan_by_key_config_selectorIxxEEZZNS1_16scan_by_key_implILNS1_25lookback_scan_determinismE0ELb1ES3_N6thrust23THRUST_200600_302600_NS6detail15normal_iteratorINS9_10device_ptrIxEEEESE_SE_xNS9_4plusIvEENS9_8equal_toIvEExEE10hipError_tPvRmT2_T3_T4_T5_mT6_T7_P12ihipStream_tbENKUlT_T0_E_clISt17integral_constantIbLb0EESZ_EEDaSU_SV_EUlSU_E_NS1_11comp_targetILNS1_3genE9ELNS1_11target_archE1100ELNS1_3gpuE3ELNS1_3repE0EEENS1_30default_config_static_selectorELNS0_4arch9wavefront6targetE0EEEvT1_.num_agpr, 0
	.set _ZN7rocprim17ROCPRIM_400000_NS6detail17trampoline_kernelINS0_14default_configENS1_27scan_by_key_config_selectorIxxEEZZNS1_16scan_by_key_implILNS1_25lookback_scan_determinismE0ELb1ES3_N6thrust23THRUST_200600_302600_NS6detail15normal_iteratorINS9_10device_ptrIxEEEESE_SE_xNS9_4plusIvEENS9_8equal_toIvEExEE10hipError_tPvRmT2_T3_T4_T5_mT6_T7_P12ihipStream_tbENKUlT_T0_E_clISt17integral_constantIbLb0EESZ_EEDaSU_SV_EUlSU_E_NS1_11comp_targetILNS1_3genE9ELNS1_11target_archE1100ELNS1_3gpuE3ELNS1_3repE0EEENS1_30default_config_static_selectorELNS0_4arch9wavefront6targetE0EEEvT1_.numbered_sgpr, 0
	.set _ZN7rocprim17ROCPRIM_400000_NS6detail17trampoline_kernelINS0_14default_configENS1_27scan_by_key_config_selectorIxxEEZZNS1_16scan_by_key_implILNS1_25lookback_scan_determinismE0ELb1ES3_N6thrust23THRUST_200600_302600_NS6detail15normal_iteratorINS9_10device_ptrIxEEEESE_SE_xNS9_4plusIvEENS9_8equal_toIvEExEE10hipError_tPvRmT2_T3_T4_T5_mT6_T7_P12ihipStream_tbENKUlT_T0_E_clISt17integral_constantIbLb0EESZ_EEDaSU_SV_EUlSU_E_NS1_11comp_targetILNS1_3genE9ELNS1_11target_archE1100ELNS1_3gpuE3ELNS1_3repE0EEENS1_30default_config_static_selectorELNS0_4arch9wavefront6targetE0EEEvT1_.num_named_barrier, 0
	.set _ZN7rocprim17ROCPRIM_400000_NS6detail17trampoline_kernelINS0_14default_configENS1_27scan_by_key_config_selectorIxxEEZZNS1_16scan_by_key_implILNS1_25lookback_scan_determinismE0ELb1ES3_N6thrust23THRUST_200600_302600_NS6detail15normal_iteratorINS9_10device_ptrIxEEEESE_SE_xNS9_4plusIvEENS9_8equal_toIvEExEE10hipError_tPvRmT2_T3_T4_T5_mT6_T7_P12ihipStream_tbENKUlT_T0_E_clISt17integral_constantIbLb0EESZ_EEDaSU_SV_EUlSU_E_NS1_11comp_targetILNS1_3genE9ELNS1_11target_archE1100ELNS1_3gpuE3ELNS1_3repE0EEENS1_30default_config_static_selectorELNS0_4arch9wavefront6targetE0EEEvT1_.private_seg_size, 0
	.set _ZN7rocprim17ROCPRIM_400000_NS6detail17trampoline_kernelINS0_14default_configENS1_27scan_by_key_config_selectorIxxEEZZNS1_16scan_by_key_implILNS1_25lookback_scan_determinismE0ELb1ES3_N6thrust23THRUST_200600_302600_NS6detail15normal_iteratorINS9_10device_ptrIxEEEESE_SE_xNS9_4plusIvEENS9_8equal_toIvEExEE10hipError_tPvRmT2_T3_T4_T5_mT6_T7_P12ihipStream_tbENKUlT_T0_E_clISt17integral_constantIbLb0EESZ_EEDaSU_SV_EUlSU_E_NS1_11comp_targetILNS1_3genE9ELNS1_11target_archE1100ELNS1_3gpuE3ELNS1_3repE0EEENS1_30default_config_static_selectorELNS0_4arch9wavefront6targetE0EEEvT1_.uses_vcc, 0
	.set _ZN7rocprim17ROCPRIM_400000_NS6detail17trampoline_kernelINS0_14default_configENS1_27scan_by_key_config_selectorIxxEEZZNS1_16scan_by_key_implILNS1_25lookback_scan_determinismE0ELb1ES3_N6thrust23THRUST_200600_302600_NS6detail15normal_iteratorINS9_10device_ptrIxEEEESE_SE_xNS9_4plusIvEENS9_8equal_toIvEExEE10hipError_tPvRmT2_T3_T4_T5_mT6_T7_P12ihipStream_tbENKUlT_T0_E_clISt17integral_constantIbLb0EESZ_EEDaSU_SV_EUlSU_E_NS1_11comp_targetILNS1_3genE9ELNS1_11target_archE1100ELNS1_3gpuE3ELNS1_3repE0EEENS1_30default_config_static_selectorELNS0_4arch9wavefront6targetE0EEEvT1_.uses_flat_scratch, 0
	.set _ZN7rocprim17ROCPRIM_400000_NS6detail17trampoline_kernelINS0_14default_configENS1_27scan_by_key_config_selectorIxxEEZZNS1_16scan_by_key_implILNS1_25lookback_scan_determinismE0ELb1ES3_N6thrust23THRUST_200600_302600_NS6detail15normal_iteratorINS9_10device_ptrIxEEEESE_SE_xNS9_4plusIvEENS9_8equal_toIvEExEE10hipError_tPvRmT2_T3_T4_T5_mT6_T7_P12ihipStream_tbENKUlT_T0_E_clISt17integral_constantIbLb0EESZ_EEDaSU_SV_EUlSU_E_NS1_11comp_targetILNS1_3genE9ELNS1_11target_archE1100ELNS1_3gpuE3ELNS1_3repE0EEENS1_30default_config_static_selectorELNS0_4arch9wavefront6targetE0EEEvT1_.has_dyn_sized_stack, 0
	.set _ZN7rocprim17ROCPRIM_400000_NS6detail17trampoline_kernelINS0_14default_configENS1_27scan_by_key_config_selectorIxxEEZZNS1_16scan_by_key_implILNS1_25lookback_scan_determinismE0ELb1ES3_N6thrust23THRUST_200600_302600_NS6detail15normal_iteratorINS9_10device_ptrIxEEEESE_SE_xNS9_4plusIvEENS9_8equal_toIvEExEE10hipError_tPvRmT2_T3_T4_T5_mT6_T7_P12ihipStream_tbENKUlT_T0_E_clISt17integral_constantIbLb0EESZ_EEDaSU_SV_EUlSU_E_NS1_11comp_targetILNS1_3genE9ELNS1_11target_archE1100ELNS1_3gpuE3ELNS1_3repE0EEENS1_30default_config_static_selectorELNS0_4arch9wavefront6targetE0EEEvT1_.has_recursion, 0
	.set _ZN7rocprim17ROCPRIM_400000_NS6detail17trampoline_kernelINS0_14default_configENS1_27scan_by_key_config_selectorIxxEEZZNS1_16scan_by_key_implILNS1_25lookback_scan_determinismE0ELb1ES3_N6thrust23THRUST_200600_302600_NS6detail15normal_iteratorINS9_10device_ptrIxEEEESE_SE_xNS9_4plusIvEENS9_8equal_toIvEExEE10hipError_tPvRmT2_T3_T4_T5_mT6_T7_P12ihipStream_tbENKUlT_T0_E_clISt17integral_constantIbLb0EESZ_EEDaSU_SV_EUlSU_E_NS1_11comp_targetILNS1_3genE9ELNS1_11target_archE1100ELNS1_3gpuE3ELNS1_3repE0EEENS1_30default_config_static_selectorELNS0_4arch9wavefront6targetE0EEEvT1_.has_indirect_call, 0
	.section	.AMDGPU.csdata,"",@progbits
; Kernel info:
; codeLenInByte = 0
; TotalNumSgprs: 0
; NumVgprs: 0
; ScratchSize: 0
; MemoryBound: 0
; FloatMode: 240
; IeeeMode: 1
; LDSByteSize: 0 bytes/workgroup (compile time only)
; SGPRBlocks: 0
; VGPRBlocks: 0
; NumSGPRsForWavesPerEU: 1
; NumVGPRsForWavesPerEU: 1
; NamedBarCnt: 0
; Occupancy: 16
; WaveLimiterHint : 0
; COMPUTE_PGM_RSRC2:SCRATCH_EN: 0
; COMPUTE_PGM_RSRC2:USER_SGPR: 2
; COMPUTE_PGM_RSRC2:TRAP_HANDLER: 0
; COMPUTE_PGM_RSRC2:TGID_X_EN: 1
; COMPUTE_PGM_RSRC2:TGID_Y_EN: 0
; COMPUTE_PGM_RSRC2:TGID_Z_EN: 0
; COMPUTE_PGM_RSRC2:TIDIG_COMP_CNT: 0
	.section	.text._ZN7rocprim17ROCPRIM_400000_NS6detail17trampoline_kernelINS0_14default_configENS1_27scan_by_key_config_selectorIxxEEZZNS1_16scan_by_key_implILNS1_25lookback_scan_determinismE0ELb1ES3_N6thrust23THRUST_200600_302600_NS6detail15normal_iteratorINS9_10device_ptrIxEEEESE_SE_xNS9_4plusIvEENS9_8equal_toIvEExEE10hipError_tPvRmT2_T3_T4_T5_mT6_T7_P12ihipStream_tbENKUlT_T0_E_clISt17integral_constantIbLb0EESZ_EEDaSU_SV_EUlSU_E_NS1_11comp_targetILNS1_3genE8ELNS1_11target_archE1030ELNS1_3gpuE2ELNS1_3repE0EEENS1_30default_config_static_selectorELNS0_4arch9wavefront6targetE0EEEvT1_,"axG",@progbits,_ZN7rocprim17ROCPRIM_400000_NS6detail17trampoline_kernelINS0_14default_configENS1_27scan_by_key_config_selectorIxxEEZZNS1_16scan_by_key_implILNS1_25lookback_scan_determinismE0ELb1ES3_N6thrust23THRUST_200600_302600_NS6detail15normal_iteratorINS9_10device_ptrIxEEEESE_SE_xNS9_4plusIvEENS9_8equal_toIvEExEE10hipError_tPvRmT2_T3_T4_T5_mT6_T7_P12ihipStream_tbENKUlT_T0_E_clISt17integral_constantIbLb0EESZ_EEDaSU_SV_EUlSU_E_NS1_11comp_targetILNS1_3genE8ELNS1_11target_archE1030ELNS1_3gpuE2ELNS1_3repE0EEENS1_30default_config_static_selectorELNS0_4arch9wavefront6targetE0EEEvT1_,comdat
	.protected	_ZN7rocprim17ROCPRIM_400000_NS6detail17trampoline_kernelINS0_14default_configENS1_27scan_by_key_config_selectorIxxEEZZNS1_16scan_by_key_implILNS1_25lookback_scan_determinismE0ELb1ES3_N6thrust23THRUST_200600_302600_NS6detail15normal_iteratorINS9_10device_ptrIxEEEESE_SE_xNS9_4plusIvEENS9_8equal_toIvEExEE10hipError_tPvRmT2_T3_T4_T5_mT6_T7_P12ihipStream_tbENKUlT_T0_E_clISt17integral_constantIbLb0EESZ_EEDaSU_SV_EUlSU_E_NS1_11comp_targetILNS1_3genE8ELNS1_11target_archE1030ELNS1_3gpuE2ELNS1_3repE0EEENS1_30default_config_static_selectorELNS0_4arch9wavefront6targetE0EEEvT1_ ; -- Begin function _ZN7rocprim17ROCPRIM_400000_NS6detail17trampoline_kernelINS0_14default_configENS1_27scan_by_key_config_selectorIxxEEZZNS1_16scan_by_key_implILNS1_25lookback_scan_determinismE0ELb1ES3_N6thrust23THRUST_200600_302600_NS6detail15normal_iteratorINS9_10device_ptrIxEEEESE_SE_xNS9_4plusIvEENS9_8equal_toIvEExEE10hipError_tPvRmT2_T3_T4_T5_mT6_T7_P12ihipStream_tbENKUlT_T0_E_clISt17integral_constantIbLb0EESZ_EEDaSU_SV_EUlSU_E_NS1_11comp_targetILNS1_3genE8ELNS1_11target_archE1030ELNS1_3gpuE2ELNS1_3repE0EEENS1_30default_config_static_selectorELNS0_4arch9wavefront6targetE0EEEvT1_
	.globl	_ZN7rocprim17ROCPRIM_400000_NS6detail17trampoline_kernelINS0_14default_configENS1_27scan_by_key_config_selectorIxxEEZZNS1_16scan_by_key_implILNS1_25lookback_scan_determinismE0ELb1ES3_N6thrust23THRUST_200600_302600_NS6detail15normal_iteratorINS9_10device_ptrIxEEEESE_SE_xNS9_4plusIvEENS9_8equal_toIvEExEE10hipError_tPvRmT2_T3_T4_T5_mT6_T7_P12ihipStream_tbENKUlT_T0_E_clISt17integral_constantIbLb0EESZ_EEDaSU_SV_EUlSU_E_NS1_11comp_targetILNS1_3genE8ELNS1_11target_archE1030ELNS1_3gpuE2ELNS1_3repE0EEENS1_30default_config_static_selectorELNS0_4arch9wavefront6targetE0EEEvT1_
	.p2align	8
	.type	_ZN7rocprim17ROCPRIM_400000_NS6detail17trampoline_kernelINS0_14default_configENS1_27scan_by_key_config_selectorIxxEEZZNS1_16scan_by_key_implILNS1_25lookback_scan_determinismE0ELb1ES3_N6thrust23THRUST_200600_302600_NS6detail15normal_iteratorINS9_10device_ptrIxEEEESE_SE_xNS9_4plusIvEENS9_8equal_toIvEExEE10hipError_tPvRmT2_T3_T4_T5_mT6_T7_P12ihipStream_tbENKUlT_T0_E_clISt17integral_constantIbLb0EESZ_EEDaSU_SV_EUlSU_E_NS1_11comp_targetILNS1_3genE8ELNS1_11target_archE1030ELNS1_3gpuE2ELNS1_3repE0EEENS1_30default_config_static_selectorELNS0_4arch9wavefront6targetE0EEEvT1_,@function
_ZN7rocprim17ROCPRIM_400000_NS6detail17trampoline_kernelINS0_14default_configENS1_27scan_by_key_config_selectorIxxEEZZNS1_16scan_by_key_implILNS1_25lookback_scan_determinismE0ELb1ES3_N6thrust23THRUST_200600_302600_NS6detail15normal_iteratorINS9_10device_ptrIxEEEESE_SE_xNS9_4plusIvEENS9_8equal_toIvEExEE10hipError_tPvRmT2_T3_T4_T5_mT6_T7_P12ihipStream_tbENKUlT_T0_E_clISt17integral_constantIbLb0EESZ_EEDaSU_SV_EUlSU_E_NS1_11comp_targetILNS1_3genE8ELNS1_11target_archE1030ELNS1_3gpuE2ELNS1_3repE0EEENS1_30default_config_static_selectorELNS0_4arch9wavefront6targetE0EEEvT1_: ; @_ZN7rocprim17ROCPRIM_400000_NS6detail17trampoline_kernelINS0_14default_configENS1_27scan_by_key_config_selectorIxxEEZZNS1_16scan_by_key_implILNS1_25lookback_scan_determinismE0ELb1ES3_N6thrust23THRUST_200600_302600_NS6detail15normal_iteratorINS9_10device_ptrIxEEEESE_SE_xNS9_4plusIvEENS9_8equal_toIvEExEE10hipError_tPvRmT2_T3_T4_T5_mT6_T7_P12ihipStream_tbENKUlT_T0_E_clISt17integral_constantIbLb0EESZ_EEDaSU_SV_EUlSU_E_NS1_11comp_targetILNS1_3genE8ELNS1_11target_archE1030ELNS1_3gpuE2ELNS1_3repE0EEENS1_30default_config_static_selectorELNS0_4arch9wavefront6targetE0EEEvT1_
; %bb.0:
	.section	.rodata,"a",@progbits
	.p2align	6, 0x0
	.amdhsa_kernel _ZN7rocprim17ROCPRIM_400000_NS6detail17trampoline_kernelINS0_14default_configENS1_27scan_by_key_config_selectorIxxEEZZNS1_16scan_by_key_implILNS1_25lookback_scan_determinismE0ELb1ES3_N6thrust23THRUST_200600_302600_NS6detail15normal_iteratorINS9_10device_ptrIxEEEESE_SE_xNS9_4plusIvEENS9_8equal_toIvEExEE10hipError_tPvRmT2_T3_T4_T5_mT6_T7_P12ihipStream_tbENKUlT_T0_E_clISt17integral_constantIbLb0EESZ_EEDaSU_SV_EUlSU_E_NS1_11comp_targetILNS1_3genE8ELNS1_11target_archE1030ELNS1_3gpuE2ELNS1_3repE0EEENS1_30default_config_static_selectorELNS0_4arch9wavefront6targetE0EEEvT1_
		.amdhsa_group_segment_fixed_size 0
		.amdhsa_private_segment_fixed_size 0
		.amdhsa_kernarg_size 136
		.amdhsa_user_sgpr_count 2
		.amdhsa_user_sgpr_dispatch_ptr 0
		.amdhsa_user_sgpr_queue_ptr 0
		.amdhsa_user_sgpr_kernarg_segment_ptr 1
		.amdhsa_user_sgpr_dispatch_id 0
		.amdhsa_user_sgpr_kernarg_preload_length 0
		.amdhsa_user_sgpr_kernarg_preload_offset 0
		.amdhsa_user_sgpr_private_segment_size 0
		.amdhsa_wavefront_size32 1
		.amdhsa_uses_dynamic_stack 0
		.amdhsa_enable_private_segment 0
		.amdhsa_system_sgpr_workgroup_id_x 1
		.amdhsa_system_sgpr_workgroup_id_y 0
		.amdhsa_system_sgpr_workgroup_id_z 0
		.amdhsa_system_sgpr_workgroup_info 0
		.amdhsa_system_vgpr_workitem_id 0
		.amdhsa_next_free_vgpr 1
		.amdhsa_next_free_sgpr 1
		.amdhsa_named_barrier_count 0
		.amdhsa_reserve_vcc 0
		.amdhsa_float_round_mode_32 0
		.amdhsa_float_round_mode_16_64 0
		.amdhsa_float_denorm_mode_32 3
		.amdhsa_float_denorm_mode_16_64 3
		.amdhsa_fp16_overflow 0
		.amdhsa_memory_ordered 1
		.amdhsa_forward_progress 1
		.amdhsa_inst_pref_size 0
		.amdhsa_round_robin_scheduling 0
		.amdhsa_exception_fp_ieee_invalid_op 0
		.amdhsa_exception_fp_denorm_src 0
		.amdhsa_exception_fp_ieee_div_zero 0
		.amdhsa_exception_fp_ieee_overflow 0
		.amdhsa_exception_fp_ieee_underflow 0
		.amdhsa_exception_fp_ieee_inexact 0
		.amdhsa_exception_int_div_zero 0
	.end_amdhsa_kernel
	.section	.text._ZN7rocprim17ROCPRIM_400000_NS6detail17trampoline_kernelINS0_14default_configENS1_27scan_by_key_config_selectorIxxEEZZNS1_16scan_by_key_implILNS1_25lookback_scan_determinismE0ELb1ES3_N6thrust23THRUST_200600_302600_NS6detail15normal_iteratorINS9_10device_ptrIxEEEESE_SE_xNS9_4plusIvEENS9_8equal_toIvEExEE10hipError_tPvRmT2_T3_T4_T5_mT6_T7_P12ihipStream_tbENKUlT_T0_E_clISt17integral_constantIbLb0EESZ_EEDaSU_SV_EUlSU_E_NS1_11comp_targetILNS1_3genE8ELNS1_11target_archE1030ELNS1_3gpuE2ELNS1_3repE0EEENS1_30default_config_static_selectorELNS0_4arch9wavefront6targetE0EEEvT1_,"axG",@progbits,_ZN7rocprim17ROCPRIM_400000_NS6detail17trampoline_kernelINS0_14default_configENS1_27scan_by_key_config_selectorIxxEEZZNS1_16scan_by_key_implILNS1_25lookback_scan_determinismE0ELb1ES3_N6thrust23THRUST_200600_302600_NS6detail15normal_iteratorINS9_10device_ptrIxEEEESE_SE_xNS9_4plusIvEENS9_8equal_toIvEExEE10hipError_tPvRmT2_T3_T4_T5_mT6_T7_P12ihipStream_tbENKUlT_T0_E_clISt17integral_constantIbLb0EESZ_EEDaSU_SV_EUlSU_E_NS1_11comp_targetILNS1_3genE8ELNS1_11target_archE1030ELNS1_3gpuE2ELNS1_3repE0EEENS1_30default_config_static_selectorELNS0_4arch9wavefront6targetE0EEEvT1_,comdat
.Lfunc_end361:
	.size	_ZN7rocprim17ROCPRIM_400000_NS6detail17trampoline_kernelINS0_14default_configENS1_27scan_by_key_config_selectorIxxEEZZNS1_16scan_by_key_implILNS1_25lookback_scan_determinismE0ELb1ES3_N6thrust23THRUST_200600_302600_NS6detail15normal_iteratorINS9_10device_ptrIxEEEESE_SE_xNS9_4plusIvEENS9_8equal_toIvEExEE10hipError_tPvRmT2_T3_T4_T5_mT6_T7_P12ihipStream_tbENKUlT_T0_E_clISt17integral_constantIbLb0EESZ_EEDaSU_SV_EUlSU_E_NS1_11comp_targetILNS1_3genE8ELNS1_11target_archE1030ELNS1_3gpuE2ELNS1_3repE0EEENS1_30default_config_static_selectorELNS0_4arch9wavefront6targetE0EEEvT1_, .Lfunc_end361-_ZN7rocprim17ROCPRIM_400000_NS6detail17trampoline_kernelINS0_14default_configENS1_27scan_by_key_config_selectorIxxEEZZNS1_16scan_by_key_implILNS1_25lookback_scan_determinismE0ELb1ES3_N6thrust23THRUST_200600_302600_NS6detail15normal_iteratorINS9_10device_ptrIxEEEESE_SE_xNS9_4plusIvEENS9_8equal_toIvEExEE10hipError_tPvRmT2_T3_T4_T5_mT6_T7_P12ihipStream_tbENKUlT_T0_E_clISt17integral_constantIbLb0EESZ_EEDaSU_SV_EUlSU_E_NS1_11comp_targetILNS1_3genE8ELNS1_11target_archE1030ELNS1_3gpuE2ELNS1_3repE0EEENS1_30default_config_static_selectorELNS0_4arch9wavefront6targetE0EEEvT1_
                                        ; -- End function
	.set _ZN7rocprim17ROCPRIM_400000_NS6detail17trampoline_kernelINS0_14default_configENS1_27scan_by_key_config_selectorIxxEEZZNS1_16scan_by_key_implILNS1_25lookback_scan_determinismE0ELb1ES3_N6thrust23THRUST_200600_302600_NS6detail15normal_iteratorINS9_10device_ptrIxEEEESE_SE_xNS9_4plusIvEENS9_8equal_toIvEExEE10hipError_tPvRmT2_T3_T4_T5_mT6_T7_P12ihipStream_tbENKUlT_T0_E_clISt17integral_constantIbLb0EESZ_EEDaSU_SV_EUlSU_E_NS1_11comp_targetILNS1_3genE8ELNS1_11target_archE1030ELNS1_3gpuE2ELNS1_3repE0EEENS1_30default_config_static_selectorELNS0_4arch9wavefront6targetE0EEEvT1_.num_vgpr, 0
	.set _ZN7rocprim17ROCPRIM_400000_NS6detail17trampoline_kernelINS0_14default_configENS1_27scan_by_key_config_selectorIxxEEZZNS1_16scan_by_key_implILNS1_25lookback_scan_determinismE0ELb1ES3_N6thrust23THRUST_200600_302600_NS6detail15normal_iteratorINS9_10device_ptrIxEEEESE_SE_xNS9_4plusIvEENS9_8equal_toIvEExEE10hipError_tPvRmT2_T3_T4_T5_mT6_T7_P12ihipStream_tbENKUlT_T0_E_clISt17integral_constantIbLb0EESZ_EEDaSU_SV_EUlSU_E_NS1_11comp_targetILNS1_3genE8ELNS1_11target_archE1030ELNS1_3gpuE2ELNS1_3repE0EEENS1_30default_config_static_selectorELNS0_4arch9wavefront6targetE0EEEvT1_.num_agpr, 0
	.set _ZN7rocprim17ROCPRIM_400000_NS6detail17trampoline_kernelINS0_14default_configENS1_27scan_by_key_config_selectorIxxEEZZNS1_16scan_by_key_implILNS1_25lookback_scan_determinismE0ELb1ES3_N6thrust23THRUST_200600_302600_NS6detail15normal_iteratorINS9_10device_ptrIxEEEESE_SE_xNS9_4plusIvEENS9_8equal_toIvEExEE10hipError_tPvRmT2_T3_T4_T5_mT6_T7_P12ihipStream_tbENKUlT_T0_E_clISt17integral_constantIbLb0EESZ_EEDaSU_SV_EUlSU_E_NS1_11comp_targetILNS1_3genE8ELNS1_11target_archE1030ELNS1_3gpuE2ELNS1_3repE0EEENS1_30default_config_static_selectorELNS0_4arch9wavefront6targetE0EEEvT1_.numbered_sgpr, 0
	.set _ZN7rocprim17ROCPRIM_400000_NS6detail17trampoline_kernelINS0_14default_configENS1_27scan_by_key_config_selectorIxxEEZZNS1_16scan_by_key_implILNS1_25lookback_scan_determinismE0ELb1ES3_N6thrust23THRUST_200600_302600_NS6detail15normal_iteratorINS9_10device_ptrIxEEEESE_SE_xNS9_4plusIvEENS9_8equal_toIvEExEE10hipError_tPvRmT2_T3_T4_T5_mT6_T7_P12ihipStream_tbENKUlT_T0_E_clISt17integral_constantIbLb0EESZ_EEDaSU_SV_EUlSU_E_NS1_11comp_targetILNS1_3genE8ELNS1_11target_archE1030ELNS1_3gpuE2ELNS1_3repE0EEENS1_30default_config_static_selectorELNS0_4arch9wavefront6targetE0EEEvT1_.num_named_barrier, 0
	.set _ZN7rocprim17ROCPRIM_400000_NS6detail17trampoline_kernelINS0_14default_configENS1_27scan_by_key_config_selectorIxxEEZZNS1_16scan_by_key_implILNS1_25lookback_scan_determinismE0ELb1ES3_N6thrust23THRUST_200600_302600_NS6detail15normal_iteratorINS9_10device_ptrIxEEEESE_SE_xNS9_4plusIvEENS9_8equal_toIvEExEE10hipError_tPvRmT2_T3_T4_T5_mT6_T7_P12ihipStream_tbENKUlT_T0_E_clISt17integral_constantIbLb0EESZ_EEDaSU_SV_EUlSU_E_NS1_11comp_targetILNS1_3genE8ELNS1_11target_archE1030ELNS1_3gpuE2ELNS1_3repE0EEENS1_30default_config_static_selectorELNS0_4arch9wavefront6targetE0EEEvT1_.private_seg_size, 0
	.set _ZN7rocprim17ROCPRIM_400000_NS6detail17trampoline_kernelINS0_14default_configENS1_27scan_by_key_config_selectorIxxEEZZNS1_16scan_by_key_implILNS1_25lookback_scan_determinismE0ELb1ES3_N6thrust23THRUST_200600_302600_NS6detail15normal_iteratorINS9_10device_ptrIxEEEESE_SE_xNS9_4plusIvEENS9_8equal_toIvEExEE10hipError_tPvRmT2_T3_T4_T5_mT6_T7_P12ihipStream_tbENKUlT_T0_E_clISt17integral_constantIbLb0EESZ_EEDaSU_SV_EUlSU_E_NS1_11comp_targetILNS1_3genE8ELNS1_11target_archE1030ELNS1_3gpuE2ELNS1_3repE0EEENS1_30default_config_static_selectorELNS0_4arch9wavefront6targetE0EEEvT1_.uses_vcc, 0
	.set _ZN7rocprim17ROCPRIM_400000_NS6detail17trampoline_kernelINS0_14default_configENS1_27scan_by_key_config_selectorIxxEEZZNS1_16scan_by_key_implILNS1_25lookback_scan_determinismE0ELb1ES3_N6thrust23THRUST_200600_302600_NS6detail15normal_iteratorINS9_10device_ptrIxEEEESE_SE_xNS9_4plusIvEENS9_8equal_toIvEExEE10hipError_tPvRmT2_T3_T4_T5_mT6_T7_P12ihipStream_tbENKUlT_T0_E_clISt17integral_constantIbLb0EESZ_EEDaSU_SV_EUlSU_E_NS1_11comp_targetILNS1_3genE8ELNS1_11target_archE1030ELNS1_3gpuE2ELNS1_3repE0EEENS1_30default_config_static_selectorELNS0_4arch9wavefront6targetE0EEEvT1_.uses_flat_scratch, 0
	.set _ZN7rocprim17ROCPRIM_400000_NS6detail17trampoline_kernelINS0_14default_configENS1_27scan_by_key_config_selectorIxxEEZZNS1_16scan_by_key_implILNS1_25lookback_scan_determinismE0ELb1ES3_N6thrust23THRUST_200600_302600_NS6detail15normal_iteratorINS9_10device_ptrIxEEEESE_SE_xNS9_4plusIvEENS9_8equal_toIvEExEE10hipError_tPvRmT2_T3_T4_T5_mT6_T7_P12ihipStream_tbENKUlT_T0_E_clISt17integral_constantIbLb0EESZ_EEDaSU_SV_EUlSU_E_NS1_11comp_targetILNS1_3genE8ELNS1_11target_archE1030ELNS1_3gpuE2ELNS1_3repE0EEENS1_30default_config_static_selectorELNS0_4arch9wavefront6targetE0EEEvT1_.has_dyn_sized_stack, 0
	.set _ZN7rocprim17ROCPRIM_400000_NS6detail17trampoline_kernelINS0_14default_configENS1_27scan_by_key_config_selectorIxxEEZZNS1_16scan_by_key_implILNS1_25lookback_scan_determinismE0ELb1ES3_N6thrust23THRUST_200600_302600_NS6detail15normal_iteratorINS9_10device_ptrIxEEEESE_SE_xNS9_4plusIvEENS9_8equal_toIvEExEE10hipError_tPvRmT2_T3_T4_T5_mT6_T7_P12ihipStream_tbENKUlT_T0_E_clISt17integral_constantIbLb0EESZ_EEDaSU_SV_EUlSU_E_NS1_11comp_targetILNS1_3genE8ELNS1_11target_archE1030ELNS1_3gpuE2ELNS1_3repE0EEENS1_30default_config_static_selectorELNS0_4arch9wavefront6targetE0EEEvT1_.has_recursion, 0
	.set _ZN7rocprim17ROCPRIM_400000_NS6detail17trampoline_kernelINS0_14default_configENS1_27scan_by_key_config_selectorIxxEEZZNS1_16scan_by_key_implILNS1_25lookback_scan_determinismE0ELb1ES3_N6thrust23THRUST_200600_302600_NS6detail15normal_iteratorINS9_10device_ptrIxEEEESE_SE_xNS9_4plusIvEENS9_8equal_toIvEExEE10hipError_tPvRmT2_T3_T4_T5_mT6_T7_P12ihipStream_tbENKUlT_T0_E_clISt17integral_constantIbLb0EESZ_EEDaSU_SV_EUlSU_E_NS1_11comp_targetILNS1_3genE8ELNS1_11target_archE1030ELNS1_3gpuE2ELNS1_3repE0EEENS1_30default_config_static_selectorELNS0_4arch9wavefront6targetE0EEEvT1_.has_indirect_call, 0
	.section	.AMDGPU.csdata,"",@progbits
; Kernel info:
; codeLenInByte = 0
; TotalNumSgprs: 0
; NumVgprs: 0
; ScratchSize: 0
; MemoryBound: 0
; FloatMode: 240
; IeeeMode: 1
; LDSByteSize: 0 bytes/workgroup (compile time only)
; SGPRBlocks: 0
; VGPRBlocks: 0
; NumSGPRsForWavesPerEU: 1
; NumVGPRsForWavesPerEU: 1
; NamedBarCnt: 0
; Occupancy: 16
; WaveLimiterHint : 0
; COMPUTE_PGM_RSRC2:SCRATCH_EN: 0
; COMPUTE_PGM_RSRC2:USER_SGPR: 2
; COMPUTE_PGM_RSRC2:TRAP_HANDLER: 0
; COMPUTE_PGM_RSRC2:TGID_X_EN: 1
; COMPUTE_PGM_RSRC2:TGID_Y_EN: 0
; COMPUTE_PGM_RSRC2:TGID_Z_EN: 0
; COMPUTE_PGM_RSRC2:TIDIG_COMP_CNT: 0
	.section	.text._ZN7rocprim17ROCPRIM_400000_NS6detail17trampoline_kernelINS0_14default_configENS1_27scan_by_key_config_selectorIxxEEZZNS1_16scan_by_key_implILNS1_25lookback_scan_determinismE0ELb1ES3_N6thrust23THRUST_200600_302600_NS6detail15normal_iteratorINS9_10device_ptrIxEEEESE_SE_xNS9_4plusIvEENS9_8equal_toIvEExEE10hipError_tPvRmT2_T3_T4_T5_mT6_T7_P12ihipStream_tbENKUlT_T0_E_clISt17integral_constantIbLb1EESZ_EEDaSU_SV_EUlSU_E_NS1_11comp_targetILNS1_3genE0ELNS1_11target_archE4294967295ELNS1_3gpuE0ELNS1_3repE0EEENS1_30default_config_static_selectorELNS0_4arch9wavefront6targetE0EEEvT1_,"axG",@progbits,_ZN7rocprim17ROCPRIM_400000_NS6detail17trampoline_kernelINS0_14default_configENS1_27scan_by_key_config_selectorIxxEEZZNS1_16scan_by_key_implILNS1_25lookback_scan_determinismE0ELb1ES3_N6thrust23THRUST_200600_302600_NS6detail15normal_iteratorINS9_10device_ptrIxEEEESE_SE_xNS9_4plusIvEENS9_8equal_toIvEExEE10hipError_tPvRmT2_T3_T4_T5_mT6_T7_P12ihipStream_tbENKUlT_T0_E_clISt17integral_constantIbLb1EESZ_EEDaSU_SV_EUlSU_E_NS1_11comp_targetILNS1_3genE0ELNS1_11target_archE4294967295ELNS1_3gpuE0ELNS1_3repE0EEENS1_30default_config_static_selectorELNS0_4arch9wavefront6targetE0EEEvT1_,comdat
	.protected	_ZN7rocprim17ROCPRIM_400000_NS6detail17trampoline_kernelINS0_14default_configENS1_27scan_by_key_config_selectorIxxEEZZNS1_16scan_by_key_implILNS1_25lookback_scan_determinismE0ELb1ES3_N6thrust23THRUST_200600_302600_NS6detail15normal_iteratorINS9_10device_ptrIxEEEESE_SE_xNS9_4plusIvEENS9_8equal_toIvEExEE10hipError_tPvRmT2_T3_T4_T5_mT6_T7_P12ihipStream_tbENKUlT_T0_E_clISt17integral_constantIbLb1EESZ_EEDaSU_SV_EUlSU_E_NS1_11comp_targetILNS1_3genE0ELNS1_11target_archE4294967295ELNS1_3gpuE0ELNS1_3repE0EEENS1_30default_config_static_selectorELNS0_4arch9wavefront6targetE0EEEvT1_ ; -- Begin function _ZN7rocprim17ROCPRIM_400000_NS6detail17trampoline_kernelINS0_14default_configENS1_27scan_by_key_config_selectorIxxEEZZNS1_16scan_by_key_implILNS1_25lookback_scan_determinismE0ELb1ES3_N6thrust23THRUST_200600_302600_NS6detail15normal_iteratorINS9_10device_ptrIxEEEESE_SE_xNS9_4plusIvEENS9_8equal_toIvEExEE10hipError_tPvRmT2_T3_T4_T5_mT6_T7_P12ihipStream_tbENKUlT_T0_E_clISt17integral_constantIbLb1EESZ_EEDaSU_SV_EUlSU_E_NS1_11comp_targetILNS1_3genE0ELNS1_11target_archE4294967295ELNS1_3gpuE0ELNS1_3repE0EEENS1_30default_config_static_selectorELNS0_4arch9wavefront6targetE0EEEvT1_
	.globl	_ZN7rocprim17ROCPRIM_400000_NS6detail17trampoline_kernelINS0_14default_configENS1_27scan_by_key_config_selectorIxxEEZZNS1_16scan_by_key_implILNS1_25lookback_scan_determinismE0ELb1ES3_N6thrust23THRUST_200600_302600_NS6detail15normal_iteratorINS9_10device_ptrIxEEEESE_SE_xNS9_4plusIvEENS9_8equal_toIvEExEE10hipError_tPvRmT2_T3_T4_T5_mT6_T7_P12ihipStream_tbENKUlT_T0_E_clISt17integral_constantIbLb1EESZ_EEDaSU_SV_EUlSU_E_NS1_11comp_targetILNS1_3genE0ELNS1_11target_archE4294967295ELNS1_3gpuE0ELNS1_3repE0EEENS1_30default_config_static_selectorELNS0_4arch9wavefront6targetE0EEEvT1_
	.p2align	8
	.type	_ZN7rocprim17ROCPRIM_400000_NS6detail17trampoline_kernelINS0_14default_configENS1_27scan_by_key_config_selectorIxxEEZZNS1_16scan_by_key_implILNS1_25lookback_scan_determinismE0ELb1ES3_N6thrust23THRUST_200600_302600_NS6detail15normal_iteratorINS9_10device_ptrIxEEEESE_SE_xNS9_4plusIvEENS9_8equal_toIvEExEE10hipError_tPvRmT2_T3_T4_T5_mT6_T7_P12ihipStream_tbENKUlT_T0_E_clISt17integral_constantIbLb1EESZ_EEDaSU_SV_EUlSU_E_NS1_11comp_targetILNS1_3genE0ELNS1_11target_archE4294967295ELNS1_3gpuE0ELNS1_3repE0EEENS1_30default_config_static_selectorELNS0_4arch9wavefront6targetE0EEEvT1_,@function
_ZN7rocprim17ROCPRIM_400000_NS6detail17trampoline_kernelINS0_14default_configENS1_27scan_by_key_config_selectorIxxEEZZNS1_16scan_by_key_implILNS1_25lookback_scan_determinismE0ELb1ES3_N6thrust23THRUST_200600_302600_NS6detail15normal_iteratorINS9_10device_ptrIxEEEESE_SE_xNS9_4plusIvEENS9_8equal_toIvEExEE10hipError_tPvRmT2_T3_T4_T5_mT6_T7_P12ihipStream_tbENKUlT_T0_E_clISt17integral_constantIbLb1EESZ_EEDaSU_SV_EUlSU_E_NS1_11comp_targetILNS1_3genE0ELNS1_11target_archE4294967295ELNS1_3gpuE0ELNS1_3repE0EEENS1_30default_config_static_selectorELNS0_4arch9wavefront6targetE0EEEvT1_: ; @_ZN7rocprim17ROCPRIM_400000_NS6detail17trampoline_kernelINS0_14default_configENS1_27scan_by_key_config_selectorIxxEEZZNS1_16scan_by_key_implILNS1_25lookback_scan_determinismE0ELb1ES3_N6thrust23THRUST_200600_302600_NS6detail15normal_iteratorINS9_10device_ptrIxEEEESE_SE_xNS9_4plusIvEENS9_8equal_toIvEExEE10hipError_tPvRmT2_T3_T4_T5_mT6_T7_P12ihipStream_tbENKUlT_T0_E_clISt17integral_constantIbLb1EESZ_EEDaSU_SV_EUlSU_E_NS1_11comp_targetILNS1_3genE0ELNS1_11target_archE4294967295ELNS1_3gpuE0ELNS1_3repE0EEENS1_30default_config_static_selectorELNS0_4arch9wavefront6targetE0EEEvT1_
; %bb.0:
	s_endpgm
	.section	.rodata,"a",@progbits
	.p2align	6, 0x0
	.amdhsa_kernel _ZN7rocprim17ROCPRIM_400000_NS6detail17trampoline_kernelINS0_14default_configENS1_27scan_by_key_config_selectorIxxEEZZNS1_16scan_by_key_implILNS1_25lookback_scan_determinismE0ELb1ES3_N6thrust23THRUST_200600_302600_NS6detail15normal_iteratorINS9_10device_ptrIxEEEESE_SE_xNS9_4plusIvEENS9_8equal_toIvEExEE10hipError_tPvRmT2_T3_T4_T5_mT6_T7_P12ihipStream_tbENKUlT_T0_E_clISt17integral_constantIbLb1EESZ_EEDaSU_SV_EUlSU_E_NS1_11comp_targetILNS1_3genE0ELNS1_11target_archE4294967295ELNS1_3gpuE0ELNS1_3repE0EEENS1_30default_config_static_selectorELNS0_4arch9wavefront6targetE0EEEvT1_
		.amdhsa_group_segment_fixed_size 0
		.amdhsa_private_segment_fixed_size 0
		.amdhsa_kernarg_size 136
		.amdhsa_user_sgpr_count 2
		.amdhsa_user_sgpr_dispatch_ptr 0
		.amdhsa_user_sgpr_queue_ptr 0
		.amdhsa_user_sgpr_kernarg_segment_ptr 1
		.amdhsa_user_sgpr_dispatch_id 0
		.amdhsa_user_sgpr_kernarg_preload_length 0
		.amdhsa_user_sgpr_kernarg_preload_offset 0
		.amdhsa_user_sgpr_private_segment_size 0
		.amdhsa_wavefront_size32 1
		.amdhsa_uses_dynamic_stack 0
		.amdhsa_enable_private_segment 0
		.amdhsa_system_sgpr_workgroup_id_x 1
		.amdhsa_system_sgpr_workgroup_id_y 0
		.amdhsa_system_sgpr_workgroup_id_z 0
		.amdhsa_system_sgpr_workgroup_info 0
		.amdhsa_system_vgpr_workitem_id 0
		.amdhsa_next_free_vgpr 1
		.amdhsa_next_free_sgpr 1
		.amdhsa_named_barrier_count 0
		.amdhsa_reserve_vcc 0
		.amdhsa_float_round_mode_32 0
		.amdhsa_float_round_mode_16_64 0
		.amdhsa_float_denorm_mode_32 3
		.amdhsa_float_denorm_mode_16_64 3
		.amdhsa_fp16_overflow 0
		.amdhsa_memory_ordered 1
		.amdhsa_forward_progress 1
		.amdhsa_inst_pref_size 1
		.amdhsa_round_robin_scheduling 0
		.amdhsa_exception_fp_ieee_invalid_op 0
		.amdhsa_exception_fp_denorm_src 0
		.amdhsa_exception_fp_ieee_div_zero 0
		.amdhsa_exception_fp_ieee_overflow 0
		.amdhsa_exception_fp_ieee_underflow 0
		.amdhsa_exception_fp_ieee_inexact 0
		.amdhsa_exception_int_div_zero 0
	.end_amdhsa_kernel
	.section	.text._ZN7rocprim17ROCPRIM_400000_NS6detail17trampoline_kernelINS0_14default_configENS1_27scan_by_key_config_selectorIxxEEZZNS1_16scan_by_key_implILNS1_25lookback_scan_determinismE0ELb1ES3_N6thrust23THRUST_200600_302600_NS6detail15normal_iteratorINS9_10device_ptrIxEEEESE_SE_xNS9_4plusIvEENS9_8equal_toIvEExEE10hipError_tPvRmT2_T3_T4_T5_mT6_T7_P12ihipStream_tbENKUlT_T0_E_clISt17integral_constantIbLb1EESZ_EEDaSU_SV_EUlSU_E_NS1_11comp_targetILNS1_3genE0ELNS1_11target_archE4294967295ELNS1_3gpuE0ELNS1_3repE0EEENS1_30default_config_static_selectorELNS0_4arch9wavefront6targetE0EEEvT1_,"axG",@progbits,_ZN7rocprim17ROCPRIM_400000_NS6detail17trampoline_kernelINS0_14default_configENS1_27scan_by_key_config_selectorIxxEEZZNS1_16scan_by_key_implILNS1_25lookback_scan_determinismE0ELb1ES3_N6thrust23THRUST_200600_302600_NS6detail15normal_iteratorINS9_10device_ptrIxEEEESE_SE_xNS9_4plusIvEENS9_8equal_toIvEExEE10hipError_tPvRmT2_T3_T4_T5_mT6_T7_P12ihipStream_tbENKUlT_T0_E_clISt17integral_constantIbLb1EESZ_EEDaSU_SV_EUlSU_E_NS1_11comp_targetILNS1_3genE0ELNS1_11target_archE4294967295ELNS1_3gpuE0ELNS1_3repE0EEENS1_30default_config_static_selectorELNS0_4arch9wavefront6targetE0EEEvT1_,comdat
.Lfunc_end362:
	.size	_ZN7rocprim17ROCPRIM_400000_NS6detail17trampoline_kernelINS0_14default_configENS1_27scan_by_key_config_selectorIxxEEZZNS1_16scan_by_key_implILNS1_25lookback_scan_determinismE0ELb1ES3_N6thrust23THRUST_200600_302600_NS6detail15normal_iteratorINS9_10device_ptrIxEEEESE_SE_xNS9_4plusIvEENS9_8equal_toIvEExEE10hipError_tPvRmT2_T3_T4_T5_mT6_T7_P12ihipStream_tbENKUlT_T0_E_clISt17integral_constantIbLb1EESZ_EEDaSU_SV_EUlSU_E_NS1_11comp_targetILNS1_3genE0ELNS1_11target_archE4294967295ELNS1_3gpuE0ELNS1_3repE0EEENS1_30default_config_static_selectorELNS0_4arch9wavefront6targetE0EEEvT1_, .Lfunc_end362-_ZN7rocprim17ROCPRIM_400000_NS6detail17trampoline_kernelINS0_14default_configENS1_27scan_by_key_config_selectorIxxEEZZNS1_16scan_by_key_implILNS1_25lookback_scan_determinismE0ELb1ES3_N6thrust23THRUST_200600_302600_NS6detail15normal_iteratorINS9_10device_ptrIxEEEESE_SE_xNS9_4plusIvEENS9_8equal_toIvEExEE10hipError_tPvRmT2_T3_T4_T5_mT6_T7_P12ihipStream_tbENKUlT_T0_E_clISt17integral_constantIbLb1EESZ_EEDaSU_SV_EUlSU_E_NS1_11comp_targetILNS1_3genE0ELNS1_11target_archE4294967295ELNS1_3gpuE0ELNS1_3repE0EEENS1_30default_config_static_selectorELNS0_4arch9wavefront6targetE0EEEvT1_
                                        ; -- End function
	.set _ZN7rocprim17ROCPRIM_400000_NS6detail17trampoline_kernelINS0_14default_configENS1_27scan_by_key_config_selectorIxxEEZZNS1_16scan_by_key_implILNS1_25lookback_scan_determinismE0ELb1ES3_N6thrust23THRUST_200600_302600_NS6detail15normal_iteratorINS9_10device_ptrIxEEEESE_SE_xNS9_4plusIvEENS9_8equal_toIvEExEE10hipError_tPvRmT2_T3_T4_T5_mT6_T7_P12ihipStream_tbENKUlT_T0_E_clISt17integral_constantIbLb1EESZ_EEDaSU_SV_EUlSU_E_NS1_11comp_targetILNS1_3genE0ELNS1_11target_archE4294967295ELNS1_3gpuE0ELNS1_3repE0EEENS1_30default_config_static_selectorELNS0_4arch9wavefront6targetE0EEEvT1_.num_vgpr, 0
	.set _ZN7rocprim17ROCPRIM_400000_NS6detail17trampoline_kernelINS0_14default_configENS1_27scan_by_key_config_selectorIxxEEZZNS1_16scan_by_key_implILNS1_25lookback_scan_determinismE0ELb1ES3_N6thrust23THRUST_200600_302600_NS6detail15normal_iteratorINS9_10device_ptrIxEEEESE_SE_xNS9_4plusIvEENS9_8equal_toIvEExEE10hipError_tPvRmT2_T3_T4_T5_mT6_T7_P12ihipStream_tbENKUlT_T0_E_clISt17integral_constantIbLb1EESZ_EEDaSU_SV_EUlSU_E_NS1_11comp_targetILNS1_3genE0ELNS1_11target_archE4294967295ELNS1_3gpuE0ELNS1_3repE0EEENS1_30default_config_static_selectorELNS0_4arch9wavefront6targetE0EEEvT1_.num_agpr, 0
	.set _ZN7rocprim17ROCPRIM_400000_NS6detail17trampoline_kernelINS0_14default_configENS1_27scan_by_key_config_selectorIxxEEZZNS1_16scan_by_key_implILNS1_25lookback_scan_determinismE0ELb1ES3_N6thrust23THRUST_200600_302600_NS6detail15normal_iteratorINS9_10device_ptrIxEEEESE_SE_xNS9_4plusIvEENS9_8equal_toIvEExEE10hipError_tPvRmT2_T3_T4_T5_mT6_T7_P12ihipStream_tbENKUlT_T0_E_clISt17integral_constantIbLb1EESZ_EEDaSU_SV_EUlSU_E_NS1_11comp_targetILNS1_3genE0ELNS1_11target_archE4294967295ELNS1_3gpuE0ELNS1_3repE0EEENS1_30default_config_static_selectorELNS0_4arch9wavefront6targetE0EEEvT1_.numbered_sgpr, 0
	.set _ZN7rocprim17ROCPRIM_400000_NS6detail17trampoline_kernelINS0_14default_configENS1_27scan_by_key_config_selectorIxxEEZZNS1_16scan_by_key_implILNS1_25lookback_scan_determinismE0ELb1ES3_N6thrust23THRUST_200600_302600_NS6detail15normal_iteratorINS9_10device_ptrIxEEEESE_SE_xNS9_4plusIvEENS9_8equal_toIvEExEE10hipError_tPvRmT2_T3_T4_T5_mT6_T7_P12ihipStream_tbENKUlT_T0_E_clISt17integral_constantIbLb1EESZ_EEDaSU_SV_EUlSU_E_NS1_11comp_targetILNS1_3genE0ELNS1_11target_archE4294967295ELNS1_3gpuE0ELNS1_3repE0EEENS1_30default_config_static_selectorELNS0_4arch9wavefront6targetE0EEEvT1_.num_named_barrier, 0
	.set _ZN7rocprim17ROCPRIM_400000_NS6detail17trampoline_kernelINS0_14default_configENS1_27scan_by_key_config_selectorIxxEEZZNS1_16scan_by_key_implILNS1_25lookback_scan_determinismE0ELb1ES3_N6thrust23THRUST_200600_302600_NS6detail15normal_iteratorINS9_10device_ptrIxEEEESE_SE_xNS9_4plusIvEENS9_8equal_toIvEExEE10hipError_tPvRmT2_T3_T4_T5_mT6_T7_P12ihipStream_tbENKUlT_T0_E_clISt17integral_constantIbLb1EESZ_EEDaSU_SV_EUlSU_E_NS1_11comp_targetILNS1_3genE0ELNS1_11target_archE4294967295ELNS1_3gpuE0ELNS1_3repE0EEENS1_30default_config_static_selectorELNS0_4arch9wavefront6targetE0EEEvT1_.private_seg_size, 0
	.set _ZN7rocprim17ROCPRIM_400000_NS6detail17trampoline_kernelINS0_14default_configENS1_27scan_by_key_config_selectorIxxEEZZNS1_16scan_by_key_implILNS1_25lookback_scan_determinismE0ELb1ES3_N6thrust23THRUST_200600_302600_NS6detail15normal_iteratorINS9_10device_ptrIxEEEESE_SE_xNS9_4plusIvEENS9_8equal_toIvEExEE10hipError_tPvRmT2_T3_T4_T5_mT6_T7_P12ihipStream_tbENKUlT_T0_E_clISt17integral_constantIbLb1EESZ_EEDaSU_SV_EUlSU_E_NS1_11comp_targetILNS1_3genE0ELNS1_11target_archE4294967295ELNS1_3gpuE0ELNS1_3repE0EEENS1_30default_config_static_selectorELNS0_4arch9wavefront6targetE0EEEvT1_.uses_vcc, 0
	.set _ZN7rocprim17ROCPRIM_400000_NS6detail17trampoline_kernelINS0_14default_configENS1_27scan_by_key_config_selectorIxxEEZZNS1_16scan_by_key_implILNS1_25lookback_scan_determinismE0ELb1ES3_N6thrust23THRUST_200600_302600_NS6detail15normal_iteratorINS9_10device_ptrIxEEEESE_SE_xNS9_4plusIvEENS9_8equal_toIvEExEE10hipError_tPvRmT2_T3_T4_T5_mT6_T7_P12ihipStream_tbENKUlT_T0_E_clISt17integral_constantIbLb1EESZ_EEDaSU_SV_EUlSU_E_NS1_11comp_targetILNS1_3genE0ELNS1_11target_archE4294967295ELNS1_3gpuE0ELNS1_3repE0EEENS1_30default_config_static_selectorELNS0_4arch9wavefront6targetE0EEEvT1_.uses_flat_scratch, 0
	.set _ZN7rocprim17ROCPRIM_400000_NS6detail17trampoline_kernelINS0_14default_configENS1_27scan_by_key_config_selectorIxxEEZZNS1_16scan_by_key_implILNS1_25lookback_scan_determinismE0ELb1ES3_N6thrust23THRUST_200600_302600_NS6detail15normal_iteratorINS9_10device_ptrIxEEEESE_SE_xNS9_4plusIvEENS9_8equal_toIvEExEE10hipError_tPvRmT2_T3_T4_T5_mT6_T7_P12ihipStream_tbENKUlT_T0_E_clISt17integral_constantIbLb1EESZ_EEDaSU_SV_EUlSU_E_NS1_11comp_targetILNS1_3genE0ELNS1_11target_archE4294967295ELNS1_3gpuE0ELNS1_3repE0EEENS1_30default_config_static_selectorELNS0_4arch9wavefront6targetE0EEEvT1_.has_dyn_sized_stack, 0
	.set _ZN7rocprim17ROCPRIM_400000_NS6detail17trampoline_kernelINS0_14default_configENS1_27scan_by_key_config_selectorIxxEEZZNS1_16scan_by_key_implILNS1_25lookback_scan_determinismE0ELb1ES3_N6thrust23THRUST_200600_302600_NS6detail15normal_iteratorINS9_10device_ptrIxEEEESE_SE_xNS9_4plusIvEENS9_8equal_toIvEExEE10hipError_tPvRmT2_T3_T4_T5_mT6_T7_P12ihipStream_tbENKUlT_T0_E_clISt17integral_constantIbLb1EESZ_EEDaSU_SV_EUlSU_E_NS1_11comp_targetILNS1_3genE0ELNS1_11target_archE4294967295ELNS1_3gpuE0ELNS1_3repE0EEENS1_30default_config_static_selectorELNS0_4arch9wavefront6targetE0EEEvT1_.has_recursion, 0
	.set _ZN7rocprim17ROCPRIM_400000_NS6detail17trampoline_kernelINS0_14default_configENS1_27scan_by_key_config_selectorIxxEEZZNS1_16scan_by_key_implILNS1_25lookback_scan_determinismE0ELb1ES3_N6thrust23THRUST_200600_302600_NS6detail15normal_iteratorINS9_10device_ptrIxEEEESE_SE_xNS9_4plusIvEENS9_8equal_toIvEExEE10hipError_tPvRmT2_T3_T4_T5_mT6_T7_P12ihipStream_tbENKUlT_T0_E_clISt17integral_constantIbLb1EESZ_EEDaSU_SV_EUlSU_E_NS1_11comp_targetILNS1_3genE0ELNS1_11target_archE4294967295ELNS1_3gpuE0ELNS1_3repE0EEENS1_30default_config_static_selectorELNS0_4arch9wavefront6targetE0EEEvT1_.has_indirect_call, 0
	.section	.AMDGPU.csdata,"",@progbits
; Kernel info:
; codeLenInByte = 4
; TotalNumSgprs: 0
; NumVgprs: 0
; ScratchSize: 0
; MemoryBound: 0
; FloatMode: 240
; IeeeMode: 1
; LDSByteSize: 0 bytes/workgroup (compile time only)
; SGPRBlocks: 0
; VGPRBlocks: 0
; NumSGPRsForWavesPerEU: 1
; NumVGPRsForWavesPerEU: 1
; NamedBarCnt: 0
; Occupancy: 16
; WaveLimiterHint : 0
; COMPUTE_PGM_RSRC2:SCRATCH_EN: 0
; COMPUTE_PGM_RSRC2:USER_SGPR: 2
; COMPUTE_PGM_RSRC2:TRAP_HANDLER: 0
; COMPUTE_PGM_RSRC2:TGID_X_EN: 1
; COMPUTE_PGM_RSRC2:TGID_Y_EN: 0
; COMPUTE_PGM_RSRC2:TGID_Z_EN: 0
; COMPUTE_PGM_RSRC2:TIDIG_COMP_CNT: 0
	.section	.text._ZN7rocprim17ROCPRIM_400000_NS6detail17trampoline_kernelINS0_14default_configENS1_27scan_by_key_config_selectorIxxEEZZNS1_16scan_by_key_implILNS1_25lookback_scan_determinismE0ELb1ES3_N6thrust23THRUST_200600_302600_NS6detail15normal_iteratorINS9_10device_ptrIxEEEESE_SE_xNS9_4plusIvEENS9_8equal_toIvEExEE10hipError_tPvRmT2_T3_T4_T5_mT6_T7_P12ihipStream_tbENKUlT_T0_E_clISt17integral_constantIbLb1EESZ_EEDaSU_SV_EUlSU_E_NS1_11comp_targetILNS1_3genE10ELNS1_11target_archE1201ELNS1_3gpuE5ELNS1_3repE0EEENS1_30default_config_static_selectorELNS0_4arch9wavefront6targetE0EEEvT1_,"axG",@progbits,_ZN7rocprim17ROCPRIM_400000_NS6detail17trampoline_kernelINS0_14default_configENS1_27scan_by_key_config_selectorIxxEEZZNS1_16scan_by_key_implILNS1_25lookback_scan_determinismE0ELb1ES3_N6thrust23THRUST_200600_302600_NS6detail15normal_iteratorINS9_10device_ptrIxEEEESE_SE_xNS9_4plusIvEENS9_8equal_toIvEExEE10hipError_tPvRmT2_T3_T4_T5_mT6_T7_P12ihipStream_tbENKUlT_T0_E_clISt17integral_constantIbLb1EESZ_EEDaSU_SV_EUlSU_E_NS1_11comp_targetILNS1_3genE10ELNS1_11target_archE1201ELNS1_3gpuE5ELNS1_3repE0EEENS1_30default_config_static_selectorELNS0_4arch9wavefront6targetE0EEEvT1_,comdat
	.protected	_ZN7rocprim17ROCPRIM_400000_NS6detail17trampoline_kernelINS0_14default_configENS1_27scan_by_key_config_selectorIxxEEZZNS1_16scan_by_key_implILNS1_25lookback_scan_determinismE0ELb1ES3_N6thrust23THRUST_200600_302600_NS6detail15normal_iteratorINS9_10device_ptrIxEEEESE_SE_xNS9_4plusIvEENS9_8equal_toIvEExEE10hipError_tPvRmT2_T3_T4_T5_mT6_T7_P12ihipStream_tbENKUlT_T0_E_clISt17integral_constantIbLb1EESZ_EEDaSU_SV_EUlSU_E_NS1_11comp_targetILNS1_3genE10ELNS1_11target_archE1201ELNS1_3gpuE5ELNS1_3repE0EEENS1_30default_config_static_selectorELNS0_4arch9wavefront6targetE0EEEvT1_ ; -- Begin function _ZN7rocprim17ROCPRIM_400000_NS6detail17trampoline_kernelINS0_14default_configENS1_27scan_by_key_config_selectorIxxEEZZNS1_16scan_by_key_implILNS1_25lookback_scan_determinismE0ELb1ES3_N6thrust23THRUST_200600_302600_NS6detail15normal_iteratorINS9_10device_ptrIxEEEESE_SE_xNS9_4plusIvEENS9_8equal_toIvEExEE10hipError_tPvRmT2_T3_T4_T5_mT6_T7_P12ihipStream_tbENKUlT_T0_E_clISt17integral_constantIbLb1EESZ_EEDaSU_SV_EUlSU_E_NS1_11comp_targetILNS1_3genE10ELNS1_11target_archE1201ELNS1_3gpuE5ELNS1_3repE0EEENS1_30default_config_static_selectorELNS0_4arch9wavefront6targetE0EEEvT1_
	.globl	_ZN7rocprim17ROCPRIM_400000_NS6detail17trampoline_kernelINS0_14default_configENS1_27scan_by_key_config_selectorIxxEEZZNS1_16scan_by_key_implILNS1_25lookback_scan_determinismE0ELb1ES3_N6thrust23THRUST_200600_302600_NS6detail15normal_iteratorINS9_10device_ptrIxEEEESE_SE_xNS9_4plusIvEENS9_8equal_toIvEExEE10hipError_tPvRmT2_T3_T4_T5_mT6_T7_P12ihipStream_tbENKUlT_T0_E_clISt17integral_constantIbLb1EESZ_EEDaSU_SV_EUlSU_E_NS1_11comp_targetILNS1_3genE10ELNS1_11target_archE1201ELNS1_3gpuE5ELNS1_3repE0EEENS1_30default_config_static_selectorELNS0_4arch9wavefront6targetE0EEEvT1_
	.p2align	8
	.type	_ZN7rocprim17ROCPRIM_400000_NS6detail17trampoline_kernelINS0_14default_configENS1_27scan_by_key_config_selectorIxxEEZZNS1_16scan_by_key_implILNS1_25lookback_scan_determinismE0ELb1ES3_N6thrust23THRUST_200600_302600_NS6detail15normal_iteratorINS9_10device_ptrIxEEEESE_SE_xNS9_4plusIvEENS9_8equal_toIvEExEE10hipError_tPvRmT2_T3_T4_T5_mT6_T7_P12ihipStream_tbENKUlT_T0_E_clISt17integral_constantIbLb1EESZ_EEDaSU_SV_EUlSU_E_NS1_11comp_targetILNS1_3genE10ELNS1_11target_archE1201ELNS1_3gpuE5ELNS1_3repE0EEENS1_30default_config_static_selectorELNS0_4arch9wavefront6targetE0EEEvT1_,@function
_ZN7rocprim17ROCPRIM_400000_NS6detail17trampoline_kernelINS0_14default_configENS1_27scan_by_key_config_selectorIxxEEZZNS1_16scan_by_key_implILNS1_25lookback_scan_determinismE0ELb1ES3_N6thrust23THRUST_200600_302600_NS6detail15normal_iteratorINS9_10device_ptrIxEEEESE_SE_xNS9_4plusIvEENS9_8equal_toIvEExEE10hipError_tPvRmT2_T3_T4_T5_mT6_T7_P12ihipStream_tbENKUlT_T0_E_clISt17integral_constantIbLb1EESZ_EEDaSU_SV_EUlSU_E_NS1_11comp_targetILNS1_3genE10ELNS1_11target_archE1201ELNS1_3gpuE5ELNS1_3repE0EEENS1_30default_config_static_selectorELNS0_4arch9wavefront6targetE0EEEvT1_: ; @_ZN7rocprim17ROCPRIM_400000_NS6detail17trampoline_kernelINS0_14default_configENS1_27scan_by_key_config_selectorIxxEEZZNS1_16scan_by_key_implILNS1_25lookback_scan_determinismE0ELb1ES3_N6thrust23THRUST_200600_302600_NS6detail15normal_iteratorINS9_10device_ptrIxEEEESE_SE_xNS9_4plusIvEENS9_8equal_toIvEExEE10hipError_tPvRmT2_T3_T4_T5_mT6_T7_P12ihipStream_tbENKUlT_T0_E_clISt17integral_constantIbLb1EESZ_EEDaSU_SV_EUlSU_E_NS1_11comp_targetILNS1_3genE10ELNS1_11target_archE1201ELNS1_3gpuE5ELNS1_3repE0EEENS1_30default_config_static_selectorELNS0_4arch9wavefront6targetE0EEEvT1_
; %bb.0:
	.section	.rodata,"a",@progbits
	.p2align	6, 0x0
	.amdhsa_kernel _ZN7rocprim17ROCPRIM_400000_NS6detail17trampoline_kernelINS0_14default_configENS1_27scan_by_key_config_selectorIxxEEZZNS1_16scan_by_key_implILNS1_25lookback_scan_determinismE0ELb1ES3_N6thrust23THRUST_200600_302600_NS6detail15normal_iteratorINS9_10device_ptrIxEEEESE_SE_xNS9_4plusIvEENS9_8equal_toIvEExEE10hipError_tPvRmT2_T3_T4_T5_mT6_T7_P12ihipStream_tbENKUlT_T0_E_clISt17integral_constantIbLb1EESZ_EEDaSU_SV_EUlSU_E_NS1_11comp_targetILNS1_3genE10ELNS1_11target_archE1201ELNS1_3gpuE5ELNS1_3repE0EEENS1_30default_config_static_selectorELNS0_4arch9wavefront6targetE0EEEvT1_
		.amdhsa_group_segment_fixed_size 0
		.amdhsa_private_segment_fixed_size 0
		.amdhsa_kernarg_size 136
		.amdhsa_user_sgpr_count 2
		.amdhsa_user_sgpr_dispatch_ptr 0
		.amdhsa_user_sgpr_queue_ptr 0
		.amdhsa_user_sgpr_kernarg_segment_ptr 1
		.amdhsa_user_sgpr_dispatch_id 0
		.amdhsa_user_sgpr_kernarg_preload_length 0
		.amdhsa_user_sgpr_kernarg_preload_offset 0
		.amdhsa_user_sgpr_private_segment_size 0
		.amdhsa_wavefront_size32 1
		.amdhsa_uses_dynamic_stack 0
		.amdhsa_enable_private_segment 0
		.amdhsa_system_sgpr_workgroup_id_x 1
		.amdhsa_system_sgpr_workgroup_id_y 0
		.amdhsa_system_sgpr_workgroup_id_z 0
		.amdhsa_system_sgpr_workgroup_info 0
		.amdhsa_system_vgpr_workitem_id 0
		.amdhsa_next_free_vgpr 1
		.amdhsa_next_free_sgpr 1
		.amdhsa_named_barrier_count 0
		.amdhsa_reserve_vcc 0
		.amdhsa_float_round_mode_32 0
		.amdhsa_float_round_mode_16_64 0
		.amdhsa_float_denorm_mode_32 3
		.amdhsa_float_denorm_mode_16_64 3
		.amdhsa_fp16_overflow 0
		.amdhsa_memory_ordered 1
		.amdhsa_forward_progress 1
		.amdhsa_inst_pref_size 0
		.amdhsa_round_robin_scheduling 0
		.amdhsa_exception_fp_ieee_invalid_op 0
		.amdhsa_exception_fp_denorm_src 0
		.amdhsa_exception_fp_ieee_div_zero 0
		.amdhsa_exception_fp_ieee_overflow 0
		.amdhsa_exception_fp_ieee_underflow 0
		.amdhsa_exception_fp_ieee_inexact 0
		.amdhsa_exception_int_div_zero 0
	.end_amdhsa_kernel
	.section	.text._ZN7rocprim17ROCPRIM_400000_NS6detail17trampoline_kernelINS0_14default_configENS1_27scan_by_key_config_selectorIxxEEZZNS1_16scan_by_key_implILNS1_25lookback_scan_determinismE0ELb1ES3_N6thrust23THRUST_200600_302600_NS6detail15normal_iteratorINS9_10device_ptrIxEEEESE_SE_xNS9_4plusIvEENS9_8equal_toIvEExEE10hipError_tPvRmT2_T3_T4_T5_mT6_T7_P12ihipStream_tbENKUlT_T0_E_clISt17integral_constantIbLb1EESZ_EEDaSU_SV_EUlSU_E_NS1_11comp_targetILNS1_3genE10ELNS1_11target_archE1201ELNS1_3gpuE5ELNS1_3repE0EEENS1_30default_config_static_selectorELNS0_4arch9wavefront6targetE0EEEvT1_,"axG",@progbits,_ZN7rocprim17ROCPRIM_400000_NS6detail17trampoline_kernelINS0_14default_configENS1_27scan_by_key_config_selectorIxxEEZZNS1_16scan_by_key_implILNS1_25lookback_scan_determinismE0ELb1ES3_N6thrust23THRUST_200600_302600_NS6detail15normal_iteratorINS9_10device_ptrIxEEEESE_SE_xNS9_4plusIvEENS9_8equal_toIvEExEE10hipError_tPvRmT2_T3_T4_T5_mT6_T7_P12ihipStream_tbENKUlT_T0_E_clISt17integral_constantIbLb1EESZ_EEDaSU_SV_EUlSU_E_NS1_11comp_targetILNS1_3genE10ELNS1_11target_archE1201ELNS1_3gpuE5ELNS1_3repE0EEENS1_30default_config_static_selectorELNS0_4arch9wavefront6targetE0EEEvT1_,comdat
.Lfunc_end363:
	.size	_ZN7rocprim17ROCPRIM_400000_NS6detail17trampoline_kernelINS0_14default_configENS1_27scan_by_key_config_selectorIxxEEZZNS1_16scan_by_key_implILNS1_25lookback_scan_determinismE0ELb1ES3_N6thrust23THRUST_200600_302600_NS6detail15normal_iteratorINS9_10device_ptrIxEEEESE_SE_xNS9_4plusIvEENS9_8equal_toIvEExEE10hipError_tPvRmT2_T3_T4_T5_mT6_T7_P12ihipStream_tbENKUlT_T0_E_clISt17integral_constantIbLb1EESZ_EEDaSU_SV_EUlSU_E_NS1_11comp_targetILNS1_3genE10ELNS1_11target_archE1201ELNS1_3gpuE5ELNS1_3repE0EEENS1_30default_config_static_selectorELNS0_4arch9wavefront6targetE0EEEvT1_, .Lfunc_end363-_ZN7rocprim17ROCPRIM_400000_NS6detail17trampoline_kernelINS0_14default_configENS1_27scan_by_key_config_selectorIxxEEZZNS1_16scan_by_key_implILNS1_25lookback_scan_determinismE0ELb1ES3_N6thrust23THRUST_200600_302600_NS6detail15normal_iteratorINS9_10device_ptrIxEEEESE_SE_xNS9_4plusIvEENS9_8equal_toIvEExEE10hipError_tPvRmT2_T3_T4_T5_mT6_T7_P12ihipStream_tbENKUlT_T0_E_clISt17integral_constantIbLb1EESZ_EEDaSU_SV_EUlSU_E_NS1_11comp_targetILNS1_3genE10ELNS1_11target_archE1201ELNS1_3gpuE5ELNS1_3repE0EEENS1_30default_config_static_selectorELNS0_4arch9wavefront6targetE0EEEvT1_
                                        ; -- End function
	.set _ZN7rocprim17ROCPRIM_400000_NS6detail17trampoline_kernelINS0_14default_configENS1_27scan_by_key_config_selectorIxxEEZZNS1_16scan_by_key_implILNS1_25lookback_scan_determinismE0ELb1ES3_N6thrust23THRUST_200600_302600_NS6detail15normal_iteratorINS9_10device_ptrIxEEEESE_SE_xNS9_4plusIvEENS9_8equal_toIvEExEE10hipError_tPvRmT2_T3_T4_T5_mT6_T7_P12ihipStream_tbENKUlT_T0_E_clISt17integral_constantIbLb1EESZ_EEDaSU_SV_EUlSU_E_NS1_11comp_targetILNS1_3genE10ELNS1_11target_archE1201ELNS1_3gpuE5ELNS1_3repE0EEENS1_30default_config_static_selectorELNS0_4arch9wavefront6targetE0EEEvT1_.num_vgpr, 0
	.set _ZN7rocprim17ROCPRIM_400000_NS6detail17trampoline_kernelINS0_14default_configENS1_27scan_by_key_config_selectorIxxEEZZNS1_16scan_by_key_implILNS1_25lookback_scan_determinismE0ELb1ES3_N6thrust23THRUST_200600_302600_NS6detail15normal_iteratorINS9_10device_ptrIxEEEESE_SE_xNS9_4plusIvEENS9_8equal_toIvEExEE10hipError_tPvRmT2_T3_T4_T5_mT6_T7_P12ihipStream_tbENKUlT_T0_E_clISt17integral_constantIbLb1EESZ_EEDaSU_SV_EUlSU_E_NS1_11comp_targetILNS1_3genE10ELNS1_11target_archE1201ELNS1_3gpuE5ELNS1_3repE0EEENS1_30default_config_static_selectorELNS0_4arch9wavefront6targetE0EEEvT1_.num_agpr, 0
	.set _ZN7rocprim17ROCPRIM_400000_NS6detail17trampoline_kernelINS0_14default_configENS1_27scan_by_key_config_selectorIxxEEZZNS1_16scan_by_key_implILNS1_25lookback_scan_determinismE0ELb1ES3_N6thrust23THRUST_200600_302600_NS6detail15normal_iteratorINS9_10device_ptrIxEEEESE_SE_xNS9_4plusIvEENS9_8equal_toIvEExEE10hipError_tPvRmT2_T3_T4_T5_mT6_T7_P12ihipStream_tbENKUlT_T0_E_clISt17integral_constantIbLb1EESZ_EEDaSU_SV_EUlSU_E_NS1_11comp_targetILNS1_3genE10ELNS1_11target_archE1201ELNS1_3gpuE5ELNS1_3repE0EEENS1_30default_config_static_selectorELNS0_4arch9wavefront6targetE0EEEvT1_.numbered_sgpr, 0
	.set _ZN7rocprim17ROCPRIM_400000_NS6detail17trampoline_kernelINS0_14default_configENS1_27scan_by_key_config_selectorIxxEEZZNS1_16scan_by_key_implILNS1_25lookback_scan_determinismE0ELb1ES3_N6thrust23THRUST_200600_302600_NS6detail15normal_iteratorINS9_10device_ptrIxEEEESE_SE_xNS9_4plusIvEENS9_8equal_toIvEExEE10hipError_tPvRmT2_T3_T4_T5_mT6_T7_P12ihipStream_tbENKUlT_T0_E_clISt17integral_constantIbLb1EESZ_EEDaSU_SV_EUlSU_E_NS1_11comp_targetILNS1_3genE10ELNS1_11target_archE1201ELNS1_3gpuE5ELNS1_3repE0EEENS1_30default_config_static_selectorELNS0_4arch9wavefront6targetE0EEEvT1_.num_named_barrier, 0
	.set _ZN7rocprim17ROCPRIM_400000_NS6detail17trampoline_kernelINS0_14default_configENS1_27scan_by_key_config_selectorIxxEEZZNS1_16scan_by_key_implILNS1_25lookback_scan_determinismE0ELb1ES3_N6thrust23THRUST_200600_302600_NS6detail15normal_iteratorINS9_10device_ptrIxEEEESE_SE_xNS9_4plusIvEENS9_8equal_toIvEExEE10hipError_tPvRmT2_T3_T4_T5_mT6_T7_P12ihipStream_tbENKUlT_T0_E_clISt17integral_constantIbLb1EESZ_EEDaSU_SV_EUlSU_E_NS1_11comp_targetILNS1_3genE10ELNS1_11target_archE1201ELNS1_3gpuE5ELNS1_3repE0EEENS1_30default_config_static_selectorELNS0_4arch9wavefront6targetE0EEEvT1_.private_seg_size, 0
	.set _ZN7rocprim17ROCPRIM_400000_NS6detail17trampoline_kernelINS0_14default_configENS1_27scan_by_key_config_selectorIxxEEZZNS1_16scan_by_key_implILNS1_25lookback_scan_determinismE0ELb1ES3_N6thrust23THRUST_200600_302600_NS6detail15normal_iteratorINS9_10device_ptrIxEEEESE_SE_xNS9_4plusIvEENS9_8equal_toIvEExEE10hipError_tPvRmT2_T3_T4_T5_mT6_T7_P12ihipStream_tbENKUlT_T0_E_clISt17integral_constantIbLb1EESZ_EEDaSU_SV_EUlSU_E_NS1_11comp_targetILNS1_3genE10ELNS1_11target_archE1201ELNS1_3gpuE5ELNS1_3repE0EEENS1_30default_config_static_selectorELNS0_4arch9wavefront6targetE0EEEvT1_.uses_vcc, 0
	.set _ZN7rocprim17ROCPRIM_400000_NS6detail17trampoline_kernelINS0_14default_configENS1_27scan_by_key_config_selectorIxxEEZZNS1_16scan_by_key_implILNS1_25lookback_scan_determinismE0ELb1ES3_N6thrust23THRUST_200600_302600_NS6detail15normal_iteratorINS9_10device_ptrIxEEEESE_SE_xNS9_4plusIvEENS9_8equal_toIvEExEE10hipError_tPvRmT2_T3_T4_T5_mT6_T7_P12ihipStream_tbENKUlT_T0_E_clISt17integral_constantIbLb1EESZ_EEDaSU_SV_EUlSU_E_NS1_11comp_targetILNS1_3genE10ELNS1_11target_archE1201ELNS1_3gpuE5ELNS1_3repE0EEENS1_30default_config_static_selectorELNS0_4arch9wavefront6targetE0EEEvT1_.uses_flat_scratch, 0
	.set _ZN7rocprim17ROCPRIM_400000_NS6detail17trampoline_kernelINS0_14default_configENS1_27scan_by_key_config_selectorIxxEEZZNS1_16scan_by_key_implILNS1_25lookback_scan_determinismE0ELb1ES3_N6thrust23THRUST_200600_302600_NS6detail15normal_iteratorINS9_10device_ptrIxEEEESE_SE_xNS9_4plusIvEENS9_8equal_toIvEExEE10hipError_tPvRmT2_T3_T4_T5_mT6_T7_P12ihipStream_tbENKUlT_T0_E_clISt17integral_constantIbLb1EESZ_EEDaSU_SV_EUlSU_E_NS1_11comp_targetILNS1_3genE10ELNS1_11target_archE1201ELNS1_3gpuE5ELNS1_3repE0EEENS1_30default_config_static_selectorELNS0_4arch9wavefront6targetE0EEEvT1_.has_dyn_sized_stack, 0
	.set _ZN7rocprim17ROCPRIM_400000_NS6detail17trampoline_kernelINS0_14default_configENS1_27scan_by_key_config_selectorIxxEEZZNS1_16scan_by_key_implILNS1_25lookback_scan_determinismE0ELb1ES3_N6thrust23THRUST_200600_302600_NS6detail15normal_iteratorINS9_10device_ptrIxEEEESE_SE_xNS9_4plusIvEENS9_8equal_toIvEExEE10hipError_tPvRmT2_T3_T4_T5_mT6_T7_P12ihipStream_tbENKUlT_T0_E_clISt17integral_constantIbLb1EESZ_EEDaSU_SV_EUlSU_E_NS1_11comp_targetILNS1_3genE10ELNS1_11target_archE1201ELNS1_3gpuE5ELNS1_3repE0EEENS1_30default_config_static_selectorELNS0_4arch9wavefront6targetE0EEEvT1_.has_recursion, 0
	.set _ZN7rocprim17ROCPRIM_400000_NS6detail17trampoline_kernelINS0_14default_configENS1_27scan_by_key_config_selectorIxxEEZZNS1_16scan_by_key_implILNS1_25lookback_scan_determinismE0ELb1ES3_N6thrust23THRUST_200600_302600_NS6detail15normal_iteratorINS9_10device_ptrIxEEEESE_SE_xNS9_4plusIvEENS9_8equal_toIvEExEE10hipError_tPvRmT2_T3_T4_T5_mT6_T7_P12ihipStream_tbENKUlT_T0_E_clISt17integral_constantIbLb1EESZ_EEDaSU_SV_EUlSU_E_NS1_11comp_targetILNS1_3genE10ELNS1_11target_archE1201ELNS1_3gpuE5ELNS1_3repE0EEENS1_30default_config_static_selectorELNS0_4arch9wavefront6targetE0EEEvT1_.has_indirect_call, 0
	.section	.AMDGPU.csdata,"",@progbits
; Kernel info:
; codeLenInByte = 0
; TotalNumSgprs: 0
; NumVgprs: 0
; ScratchSize: 0
; MemoryBound: 0
; FloatMode: 240
; IeeeMode: 1
; LDSByteSize: 0 bytes/workgroup (compile time only)
; SGPRBlocks: 0
; VGPRBlocks: 0
; NumSGPRsForWavesPerEU: 1
; NumVGPRsForWavesPerEU: 1
; NamedBarCnt: 0
; Occupancy: 16
; WaveLimiterHint : 0
; COMPUTE_PGM_RSRC2:SCRATCH_EN: 0
; COMPUTE_PGM_RSRC2:USER_SGPR: 2
; COMPUTE_PGM_RSRC2:TRAP_HANDLER: 0
; COMPUTE_PGM_RSRC2:TGID_X_EN: 1
; COMPUTE_PGM_RSRC2:TGID_Y_EN: 0
; COMPUTE_PGM_RSRC2:TGID_Z_EN: 0
; COMPUTE_PGM_RSRC2:TIDIG_COMP_CNT: 0
	.section	.text._ZN7rocprim17ROCPRIM_400000_NS6detail17trampoline_kernelINS0_14default_configENS1_27scan_by_key_config_selectorIxxEEZZNS1_16scan_by_key_implILNS1_25lookback_scan_determinismE0ELb1ES3_N6thrust23THRUST_200600_302600_NS6detail15normal_iteratorINS9_10device_ptrIxEEEESE_SE_xNS9_4plusIvEENS9_8equal_toIvEExEE10hipError_tPvRmT2_T3_T4_T5_mT6_T7_P12ihipStream_tbENKUlT_T0_E_clISt17integral_constantIbLb1EESZ_EEDaSU_SV_EUlSU_E_NS1_11comp_targetILNS1_3genE5ELNS1_11target_archE942ELNS1_3gpuE9ELNS1_3repE0EEENS1_30default_config_static_selectorELNS0_4arch9wavefront6targetE0EEEvT1_,"axG",@progbits,_ZN7rocprim17ROCPRIM_400000_NS6detail17trampoline_kernelINS0_14default_configENS1_27scan_by_key_config_selectorIxxEEZZNS1_16scan_by_key_implILNS1_25lookback_scan_determinismE0ELb1ES3_N6thrust23THRUST_200600_302600_NS6detail15normal_iteratorINS9_10device_ptrIxEEEESE_SE_xNS9_4plusIvEENS9_8equal_toIvEExEE10hipError_tPvRmT2_T3_T4_T5_mT6_T7_P12ihipStream_tbENKUlT_T0_E_clISt17integral_constantIbLb1EESZ_EEDaSU_SV_EUlSU_E_NS1_11comp_targetILNS1_3genE5ELNS1_11target_archE942ELNS1_3gpuE9ELNS1_3repE0EEENS1_30default_config_static_selectorELNS0_4arch9wavefront6targetE0EEEvT1_,comdat
	.protected	_ZN7rocprim17ROCPRIM_400000_NS6detail17trampoline_kernelINS0_14default_configENS1_27scan_by_key_config_selectorIxxEEZZNS1_16scan_by_key_implILNS1_25lookback_scan_determinismE0ELb1ES3_N6thrust23THRUST_200600_302600_NS6detail15normal_iteratorINS9_10device_ptrIxEEEESE_SE_xNS9_4plusIvEENS9_8equal_toIvEExEE10hipError_tPvRmT2_T3_T4_T5_mT6_T7_P12ihipStream_tbENKUlT_T0_E_clISt17integral_constantIbLb1EESZ_EEDaSU_SV_EUlSU_E_NS1_11comp_targetILNS1_3genE5ELNS1_11target_archE942ELNS1_3gpuE9ELNS1_3repE0EEENS1_30default_config_static_selectorELNS0_4arch9wavefront6targetE0EEEvT1_ ; -- Begin function _ZN7rocprim17ROCPRIM_400000_NS6detail17trampoline_kernelINS0_14default_configENS1_27scan_by_key_config_selectorIxxEEZZNS1_16scan_by_key_implILNS1_25lookback_scan_determinismE0ELb1ES3_N6thrust23THRUST_200600_302600_NS6detail15normal_iteratorINS9_10device_ptrIxEEEESE_SE_xNS9_4plusIvEENS9_8equal_toIvEExEE10hipError_tPvRmT2_T3_T4_T5_mT6_T7_P12ihipStream_tbENKUlT_T0_E_clISt17integral_constantIbLb1EESZ_EEDaSU_SV_EUlSU_E_NS1_11comp_targetILNS1_3genE5ELNS1_11target_archE942ELNS1_3gpuE9ELNS1_3repE0EEENS1_30default_config_static_selectorELNS0_4arch9wavefront6targetE0EEEvT1_
	.globl	_ZN7rocprim17ROCPRIM_400000_NS6detail17trampoline_kernelINS0_14default_configENS1_27scan_by_key_config_selectorIxxEEZZNS1_16scan_by_key_implILNS1_25lookback_scan_determinismE0ELb1ES3_N6thrust23THRUST_200600_302600_NS6detail15normal_iteratorINS9_10device_ptrIxEEEESE_SE_xNS9_4plusIvEENS9_8equal_toIvEExEE10hipError_tPvRmT2_T3_T4_T5_mT6_T7_P12ihipStream_tbENKUlT_T0_E_clISt17integral_constantIbLb1EESZ_EEDaSU_SV_EUlSU_E_NS1_11comp_targetILNS1_3genE5ELNS1_11target_archE942ELNS1_3gpuE9ELNS1_3repE0EEENS1_30default_config_static_selectorELNS0_4arch9wavefront6targetE0EEEvT1_
	.p2align	8
	.type	_ZN7rocprim17ROCPRIM_400000_NS6detail17trampoline_kernelINS0_14default_configENS1_27scan_by_key_config_selectorIxxEEZZNS1_16scan_by_key_implILNS1_25lookback_scan_determinismE0ELb1ES3_N6thrust23THRUST_200600_302600_NS6detail15normal_iteratorINS9_10device_ptrIxEEEESE_SE_xNS9_4plusIvEENS9_8equal_toIvEExEE10hipError_tPvRmT2_T3_T4_T5_mT6_T7_P12ihipStream_tbENKUlT_T0_E_clISt17integral_constantIbLb1EESZ_EEDaSU_SV_EUlSU_E_NS1_11comp_targetILNS1_3genE5ELNS1_11target_archE942ELNS1_3gpuE9ELNS1_3repE0EEENS1_30default_config_static_selectorELNS0_4arch9wavefront6targetE0EEEvT1_,@function
_ZN7rocprim17ROCPRIM_400000_NS6detail17trampoline_kernelINS0_14default_configENS1_27scan_by_key_config_selectorIxxEEZZNS1_16scan_by_key_implILNS1_25lookback_scan_determinismE0ELb1ES3_N6thrust23THRUST_200600_302600_NS6detail15normal_iteratorINS9_10device_ptrIxEEEESE_SE_xNS9_4plusIvEENS9_8equal_toIvEExEE10hipError_tPvRmT2_T3_T4_T5_mT6_T7_P12ihipStream_tbENKUlT_T0_E_clISt17integral_constantIbLb1EESZ_EEDaSU_SV_EUlSU_E_NS1_11comp_targetILNS1_3genE5ELNS1_11target_archE942ELNS1_3gpuE9ELNS1_3repE0EEENS1_30default_config_static_selectorELNS0_4arch9wavefront6targetE0EEEvT1_: ; @_ZN7rocprim17ROCPRIM_400000_NS6detail17trampoline_kernelINS0_14default_configENS1_27scan_by_key_config_selectorIxxEEZZNS1_16scan_by_key_implILNS1_25lookback_scan_determinismE0ELb1ES3_N6thrust23THRUST_200600_302600_NS6detail15normal_iteratorINS9_10device_ptrIxEEEESE_SE_xNS9_4plusIvEENS9_8equal_toIvEExEE10hipError_tPvRmT2_T3_T4_T5_mT6_T7_P12ihipStream_tbENKUlT_T0_E_clISt17integral_constantIbLb1EESZ_EEDaSU_SV_EUlSU_E_NS1_11comp_targetILNS1_3genE5ELNS1_11target_archE942ELNS1_3gpuE9ELNS1_3repE0EEENS1_30default_config_static_selectorELNS0_4arch9wavefront6targetE0EEEvT1_
; %bb.0:
	.section	.rodata,"a",@progbits
	.p2align	6, 0x0
	.amdhsa_kernel _ZN7rocprim17ROCPRIM_400000_NS6detail17trampoline_kernelINS0_14default_configENS1_27scan_by_key_config_selectorIxxEEZZNS1_16scan_by_key_implILNS1_25lookback_scan_determinismE0ELb1ES3_N6thrust23THRUST_200600_302600_NS6detail15normal_iteratorINS9_10device_ptrIxEEEESE_SE_xNS9_4plusIvEENS9_8equal_toIvEExEE10hipError_tPvRmT2_T3_T4_T5_mT6_T7_P12ihipStream_tbENKUlT_T0_E_clISt17integral_constantIbLb1EESZ_EEDaSU_SV_EUlSU_E_NS1_11comp_targetILNS1_3genE5ELNS1_11target_archE942ELNS1_3gpuE9ELNS1_3repE0EEENS1_30default_config_static_selectorELNS0_4arch9wavefront6targetE0EEEvT1_
		.amdhsa_group_segment_fixed_size 0
		.amdhsa_private_segment_fixed_size 0
		.amdhsa_kernarg_size 136
		.amdhsa_user_sgpr_count 2
		.amdhsa_user_sgpr_dispatch_ptr 0
		.amdhsa_user_sgpr_queue_ptr 0
		.amdhsa_user_sgpr_kernarg_segment_ptr 1
		.amdhsa_user_sgpr_dispatch_id 0
		.amdhsa_user_sgpr_kernarg_preload_length 0
		.amdhsa_user_sgpr_kernarg_preload_offset 0
		.amdhsa_user_sgpr_private_segment_size 0
		.amdhsa_wavefront_size32 1
		.amdhsa_uses_dynamic_stack 0
		.amdhsa_enable_private_segment 0
		.amdhsa_system_sgpr_workgroup_id_x 1
		.amdhsa_system_sgpr_workgroup_id_y 0
		.amdhsa_system_sgpr_workgroup_id_z 0
		.amdhsa_system_sgpr_workgroup_info 0
		.amdhsa_system_vgpr_workitem_id 0
		.amdhsa_next_free_vgpr 1
		.amdhsa_next_free_sgpr 1
		.amdhsa_named_barrier_count 0
		.amdhsa_reserve_vcc 0
		.amdhsa_float_round_mode_32 0
		.amdhsa_float_round_mode_16_64 0
		.amdhsa_float_denorm_mode_32 3
		.amdhsa_float_denorm_mode_16_64 3
		.amdhsa_fp16_overflow 0
		.amdhsa_memory_ordered 1
		.amdhsa_forward_progress 1
		.amdhsa_inst_pref_size 0
		.amdhsa_round_robin_scheduling 0
		.amdhsa_exception_fp_ieee_invalid_op 0
		.amdhsa_exception_fp_denorm_src 0
		.amdhsa_exception_fp_ieee_div_zero 0
		.amdhsa_exception_fp_ieee_overflow 0
		.amdhsa_exception_fp_ieee_underflow 0
		.amdhsa_exception_fp_ieee_inexact 0
		.amdhsa_exception_int_div_zero 0
	.end_amdhsa_kernel
	.section	.text._ZN7rocprim17ROCPRIM_400000_NS6detail17trampoline_kernelINS0_14default_configENS1_27scan_by_key_config_selectorIxxEEZZNS1_16scan_by_key_implILNS1_25lookback_scan_determinismE0ELb1ES3_N6thrust23THRUST_200600_302600_NS6detail15normal_iteratorINS9_10device_ptrIxEEEESE_SE_xNS9_4plusIvEENS9_8equal_toIvEExEE10hipError_tPvRmT2_T3_T4_T5_mT6_T7_P12ihipStream_tbENKUlT_T0_E_clISt17integral_constantIbLb1EESZ_EEDaSU_SV_EUlSU_E_NS1_11comp_targetILNS1_3genE5ELNS1_11target_archE942ELNS1_3gpuE9ELNS1_3repE0EEENS1_30default_config_static_selectorELNS0_4arch9wavefront6targetE0EEEvT1_,"axG",@progbits,_ZN7rocprim17ROCPRIM_400000_NS6detail17trampoline_kernelINS0_14default_configENS1_27scan_by_key_config_selectorIxxEEZZNS1_16scan_by_key_implILNS1_25lookback_scan_determinismE0ELb1ES3_N6thrust23THRUST_200600_302600_NS6detail15normal_iteratorINS9_10device_ptrIxEEEESE_SE_xNS9_4plusIvEENS9_8equal_toIvEExEE10hipError_tPvRmT2_T3_T4_T5_mT6_T7_P12ihipStream_tbENKUlT_T0_E_clISt17integral_constantIbLb1EESZ_EEDaSU_SV_EUlSU_E_NS1_11comp_targetILNS1_3genE5ELNS1_11target_archE942ELNS1_3gpuE9ELNS1_3repE0EEENS1_30default_config_static_selectorELNS0_4arch9wavefront6targetE0EEEvT1_,comdat
.Lfunc_end364:
	.size	_ZN7rocprim17ROCPRIM_400000_NS6detail17trampoline_kernelINS0_14default_configENS1_27scan_by_key_config_selectorIxxEEZZNS1_16scan_by_key_implILNS1_25lookback_scan_determinismE0ELb1ES3_N6thrust23THRUST_200600_302600_NS6detail15normal_iteratorINS9_10device_ptrIxEEEESE_SE_xNS9_4plusIvEENS9_8equal_toIvEExEE10hipError_tPvRmT2_T3_T4_T5_mT6_T7_P12ihipStream_tbENKUlT_T0_E_clISt17integral_constantIbLb1EESZ_EEDaSU_SV_EUlSU_E_NS1_11comp_targetILNS1_3genE5ELNS1_11target_archE942ELNS1_3gpuE9ELNS1_3repE0EEENS1_30default_config_static_selectorELNS0_4arch9wavefront6targetE0EEEvT1_, .Lfunc_end364-_ZN7rocprim17ROCPRIM_400000_NS6detail17trampoline_kernelINS0_14default_configENS1_27scan_by_key_config_selectorIxxEEZZNS1_16scan_by_key_implILNS1_25lookback_scan_determinismE0ELb1ES3_N6thrust23THRUST_200600_302600_NS6detail15normal_iteratorINS9_10device_ptrIxEEEESE_SE_xNS9_4plusIvEENS9_8equal_toIvEExEE10hipError_tPvRmT2_T3_T4_T5_mT6_T7_P12ihipStream_tbENKUlT_T0_E_clISt17integral_constantIbLb1EESZ_EEDaSU_SV_EUlSU_E_NS1_11comp_targetILNS1_3genE5ELNS1_11target_archE942ELNS1_3gpuE9ELNS1_3repE0EEENS1_30default_config_static_selectorELNS0_4arch9wavefront6targetE0EEEvT1_
                                        ; -- End function
	.set _ZN7rocprim17ROCPRIM_400000_NS6detail17trampoline_kernelINS0_14default_configENS1_27scan_by_key_config_selectorIxxEEZZNS1_16scan_by_key_implILNS1_25lookback_scan_determinismE0ELb1ES3_N6thrust23THRUST_200600_302600_NS6detail15normal_iteratorINS9_10device_ptrIxEEEESE_SE_xNS9_4plusIvEENS9_8equal_toIvEExEE10hipError_tPvRmT2_T3_T4_T5_mT6_T7_P12ihipStream_tbENKUlT_T0_E_clISt17integral_constantIbLb1EESZ_EEDaSU_SV_EUlSU_E_NS1_11comp_targetILNS1_3genE5ELNS1_11target_archE942ELNS1_3gpuE9ELNS1_3repE0EEENS1_30default_config_static_selectorELNS0_4arch9wavefront6targetE0EEEvT1_.num_vgpr, 0
	.set _ZN7rocprim17ROCPRIM_400000_NS6detail17trampoline_kernelINS0_14default_configENS1_27scan_by_key_config_selectorIxxEEZZNS1_16scan_by_key_implILNS1_25lookback_scan_determinismE0ELb1ES3_N6thrust23THRUST_200600_302600_NS6detail15normal_iteratorINS9_10device_ptrIxEEEESE_SE_xNS9_4plusIvEENS9_8equal_toIvEExEE10hipError_tPvRmT2_T3_T4_T5_mT6_T7_P12ihipStream_tbENKUlT_T0_E_clISt17integral_constantIbLb1EESZ_EEDaSU_SV_EUlSU_E_NS1_11comp_targetILNS1_3genE5ELNS1_11target_archE942ELNS1_3gpuE9ELNS1_3repE0EEENS1_30default_config_static_selectorELNS0_4arch9wavefront6targetE0EEEvT1_.num_agpr, 0
	.set _ZN7rocprim17ROCPRIM_400000_NS6detail17trampoline_kernelINS0_14default_configENS1_27scan_by_key_config_selectorIxxEEZZNS1_16scan_by_key_implILNS1_25lookback_scan_determinismE0ELb1ES3_N6thrust23THRUST_200600_302600_NS6detail15normal_iteratorINS9_10device_ptrIxEEEESE_SE_xNS9_4plusIvEENS9_8equal_toIvEExEE10hipError_tPvRmT2_T3_T4_T5_mT6_T7_P12ihipStream_tbENKUlT_T0_E_clISt17integral_constantIbLb1EESZ_EEDaSU_SV_EUlSU_E_NS1_11comp_targetILNS1_3genE5ELNS1_11target_archE942ELNS1_3gpuE9ELNS1_3repE0EEENS1_30default_config_static_selectorELNS0_4arch9wavefront6targetE0EEEvT1_.numbered_sgpr, 0
	.set _ZN7rocprim17ROCPRIM_400000_NS6detail17trampoline_kernelINS0_14default_configENS1_27scan_by_key_config_selectorIxxEEZZNS1_16scan_by_key_implILNS1_25lookback_scan_determinismE0ELb1ES3_N6thrust23THRUST_200600_302600_NS6detail15normal_iteratorINS9_10device_ptrIxEEEESE_SE_xNS9_4plusIvEENS9_8equal_toIvEExEE10hipError_tPvRmT2_T3_T4_T5_mT6_T7_P12ihipStream_tbENKUlT_T0_E_clISt17integral_constantIbLb1EESZ_EEDaSU_SV_EUlSU_E_NS1_11comp_targetILNS1_3genE5ELNS1_11target_archE942ELNS1_3gpuE9ELNS1_3repE0EEENS1_30default_config_static_selectorELNS0_4arch9wavefront6targetE0EEEvT1_.num_named_barrier, 0
	.set _ZN7rocprim17ROCPRIM_400000_NS6detail17trampoline_kernelINS0_14default_configENS1_27scan_by_key_config_selectorIxxEEZZNS1_16scan_by_key_implILNS1_25lookback_scan_determinismE0ELb1ES3_N6thrust23THRUST_200600_302600_NS6detail15normal_iteratorINS9_10device_ptrIxEEEESE_SE_xNS9_4plusIvEENS9_8equal_toIvEExEE10hipError_tPvRmT2_T3_T4_T5_mT6_T7_P12ihipStream_tbENKUlT_T0_E_clISt17integral_constantIbLb1EESZ_EEDaSU_SV_EUlSU_E_NS1_11comp_targetILNS1_3genE5ELNS1_11target_archE942ELNS1_3gpuE9ELNS1_3repE0EEENS1_30default_config_static_selectorELNS0_4arch9wavefront6targetE0EEEvT1_.private_seg_size, 0
	.set _ZN7rocprim17ROCPRIM_400000_NS6detail17trampoline_kernelINS0_14default_configENS1_27scan_by_key_config_selectorIxxEEZZNS1_16scan_by_key_implILNS1_25lookback_scan_determinismE0ELb1ES3_N6thrust23THRUST_200600_302600_NS6detail15normal_iteratorINS9_10device_ptrIxEEEESE_SE_xNS9_4plusIvEENS9_8equal_toIvEExEE10hipError_tPvRmT2_T3_T4_T5_mT6_T7_P12ihipStream_tbENKUlT_T0_E_clISt17integral_constantIbLb1EESZ_EEDaSU_SV_EUlSU_E_NS1_11comp_targetILNS1_3genE5ELNS1_11target_archE942ELNS1_3gpuE9ELNS1_3repE0EEENS1_30default_config_static_selectorELNS0_4arch9wavefront6targetE0EEEvT1_.uses_vcc, 0
	.set _ZN7rocprim17ROCPRIM_400000_NS6detail17trampoline_kernelINS0_14default_configENS1_27scan_by_key_config_selectorIxxEEZZNS1_16scan_by_key_implILNS1_25lookback_scan_determinismE0ELb1ES3_N6thrust23THRUST_200600_302600_NS6detail15normal_iteratorINS9_10device_ptrIxEEEESE_SE_xNS9_4plusIvEENS9_8equal_toIvEExEE10hipError_tPvRmT2_T3_T4_T5_mT6_T7_P12ihipStream_tbENKUlT_T0_E_clISt17integral_constantIbLb1EESZ_EEDaSU_SV_EUlSU_E_NS1_11comp_targetILNS1_3genE5ELNS1_11target_archE942ELNS1_3gpuE9ELNS1_3repE0EEENS1_30default_config_static_selectorELNS0_4arch9wavefront6targetE0EEEvT1_.uses_flat_scratch, 0
	.set _ZN7rocprim17ROCPRIM_400000_NS6detail17trampoline_kernelINS0_14default_configENS1_27scan_by_key_config_selectorIxxEEZZNS1_16scan_by_key_implILNS1_25lookback_scan_determinismE0ELb1ES3_N6thrust23THRUST_200600_302600_NS6detail15normal_iteratorINS9_10device_ptrIxEEEESE_SE_xNS9_4plusIvEENS9_8equal_toIvEExEE10hipError_tPvRmT2_T3_T4_T5_mT6_T7_P12ihipStream_tbENKUlT_T0_E_clISt17integral_constantIbLb1EESZ_EEDaSU_SV_EUlSU_E_NS1_11comp_targetILNS1_3genE5ELNS1_11target_archE942ELNS1_3gpuE9ELNS1_3repE0EEENS1_30default_config_static_selectorELNS0_4arch9wavefront6targetE0EEEvT1_.has_dyn_sized_stack, 0
	.set _ZN7rocprim17ROCPRIM_400000_NS6detail17trampoline_kernelINS0_14default_configENS1_27scan_by_key_config_selectorIxxEEZZNS1_16scan_by_key_implILNS1_25lookback_scan_determinismE0ELb1ES3_N6thrust23THRUST_200600_302600_NS6detail15normal_iteratorINS9_10device_ptrIxEEEESE_SE_xNS9_4plusIvEENS9_8equal_toIvEExEE10hipError_tPvRmT2_T3_T4_T5_mT6_T7_P12ihipStream_tbENKUlT_T0_E_clISt17integral_constantIbLb1EESZ_EEDaSU_SV_EUlSU_E_NS1_11comp_targetILNS1_3genE5ELNS1_11target_archE942ELNS1_3gpuE9ELNS1_3repE0EEENS1_30default_config_static_selectorELNS0_4arch9wavefront6targetE0EEEvT1_.has_recursion, 0
	.set _ZN7rocprim17ROCPRIM_400000_NS6detail17trampoline_kernelINS0_14default_configENS1_27scan_by_key_config_selectorIxxEEZZNS1_16scan_by_key_implILNS1_25lookback_scan_determinismE0ELb1ES3_N6thrust23THRUST_200600_302600_NS6detail15normal_iteratorINS9_10device_ptrIxEEEESE_SE_xNS9_4plusIvEENS9_8equal_toIvEExEE10hipError_tPvRmT2_T3_T4_T5_mT6_T7_P12ihipStream_tbENKUlT_T0_E_clISt17integral_constantIbLb1EESZ_EEDaSU_SV_EUlSU_E_NS1_11comp_targetILNS1_3genE5ELNS1_11target_archE942ELNS1_3gpuE9ELNS1_3repE0EEENS1_30default_config_static_selectorELNS0_4arch9wavefront6targetE0EEEvT1_.has_indirect_call, 0
	.section	.AMDGPU.csdata,"",@progbits
; Kernel info:
; codeLenInByte = 0
; TotalNumSgprs: 0
; NumVgprs: 0
; ScratchSize: 0
; MemoryBound: 0
; FloatMode: 240
; IeeeMode: 1
; LDSByteSize: 0 bytes/workgroup (compile time only)
; SGPRBlocks: 0
; VGPRBlocks: 0
; NumSGPRsForWavesPerEU: 1
; NumVGPRsForWavesPerEU: 1
; NamedBarCnt: 0
; Occupancy: 16
; WaveLimiterHint : 0
; COMPUTE_PGM_RSRC2:SCRATCH_EN: 0
; COMPUTE_PGM_RSRC2:USER_SGPR: 2
; COMPUTE_PGM_RSRC2:TRAP_HANDLER: 0
; COMPUTE_PGM_RSRC2:TGID_X_EN: 1
; COMPUTE_PGM_RSRC2:TGID_Y_EN: 0
; COMPUTE_PGM_RSRC2:TGID_Z_EN: 0
; COMPUTE_PGM_RSRC2:TIDIG_COMP_CNT: 0
	.section	.text._ZN7rocprim17ROCPRIM_400000_NS6detail17trampoline_kernelINS0_14default_configENS1_27scan_by_key_config_selectorIxxEEZZNS1_16scan_by_key_implILNS1_25lookback_scan_determinismE0ELb1ES3_N6thrust23THRUST_200600_302600_NS6detail15normal_iteratorINS9_10device_ptrIxEEEESE_SE_xNS9_4plusIvEENS9_8equal_toIvEExEE10hipError_tPvRmT2_T3_T4_T5_mT6_T7_P12ihipStream_tbENKUlT_T0_E_clISt17integral_constantIbLb1EESZ_EEDaSU_SV_EUlSU_E_NS1_11comp_targetILNS1_3genE4ELNS1_11target_archE910ELNS1_3gpuE8ELNS1_3repE0EEENS1_30default_config_static_selectorELNS0_4arch9wavefront6targetE0EEEvT1_,"axG",@progbits,_ZN7rocprim17ROCPRIM_400000_NS6detail17trampoline_kernelINS0_14default_configENS1_27scan_by_key_config_selectorIxxEEZZNS1_16scan_by_key_implILNS1_25lookback_scan_determinismE0ELb1ES3_N6thrust23THRUST_200600_302600_NS6detail15normal_iteratorINS9_10device_ptrIxEEEESE_SE_xNS9_4plusIvEENS9_8equal_toIvEExEE10hipError_tPvRmT2_T3_T4_T5_mT6_T7_P12ihipStream_tbENKUlT_T0_E_clISt17integral_constantIbLb1EESZ_EEDaSU_SV_EUlSU_E_NS1_11comp_targetILNS1_3genE4ELNS1_11target_archE910ELNS1_3gpuE8ELNS1_3repE0EEENS1_30default_config_static_selectorELNS0_4arch9wavefront6targetE0EEEvT1_,comdat
	.protected	_ZN7rocprim17ROCPRIM_400000_NS6detail17trampoline_kernelINS0_14default_configENS1_27scan_by_key_config_selectorIxxEEZZNS1_16scan_by_key_implILNS1_25lookback_scan_determinismE0ELb1ES3_N6thrust23THRUST_200600_302600_NS6detail15normal_iteratorINS9_10device_ptrIxEEEESE_SE_xNS9_4plusIvEENS9_8equal_toIvEExEE10hipError_tPvRmT2_T3_T4_T5_mT6_T7_P12ihipStream_tbENKUlT_T0_E_clISt17integral_constantIbLb1EESZ_EEDaSU_SV_EUlSU_E_NS1_11comp_targetILNS1_3genE4ELNS1_11target_archE910ELNS1_3gpuE8ELNS1_3repE0EEENS1_30default_config_static_selectorELNS0_4arch9wavefront6targetE0EEEvT1_ ; -- Begin function _ZN7rocprim17ROCPRIM_400000_NS6detail17trampoline_kernelINS0_14default_configENS1_27scan_by_key_config_selectorIxxEEZZNS1_16scan_by_key_implILNS1_25lookback_scan_determinismE0ELb1ES3_N6thrust23THRUST_200600_302600_NS6detail15normal_iteratorINS9_10device_ptrIxEEEESE_SE_xNS9_4plusIvEENS9_8equal_toIvEExEE10hipError_tPvRmT2_T3_T4_T5_mT6_T7_P12ihipStream_tbENKUlT_T0_E_clISt17integral_constantIbLb1EESZ_EEDaSU_SV_EUlSU_E_NS1_11comp_targetILNS1_3genE4ELNS1_11target_archE910ELNS1_3gpuE8ELNS1_3repE0EEENS1_30default_config_static_selectorELNS0_4arch9wavefront6targetE0EEEvT1_
	.globl	_ZN7rocprim17ROCPRIM_400000_NS6detail17trampoline_kernelINS0_14default_configENS1_27scan_by_key_config_selectorIxxEEZZNS1_16scan_by_key_implILNS1_25lookback_scan_determinismE0ELb1ES3_N6thrust23THRUST_200600_302600_NS6detail15normal_iteratorINS9_10device_ptrIxEEEESE_SE_xNS9_4plusIvEENS9_8equal_toIvEExEE10hipError_tPvRmT2_T3_T4_T5_mT6_T7_P12ihipStream_tbENKUlT_T0_E_clISt17integral_constantIbLb1EESZ_EEDaSU_SV_EUlSU_E_NS1_11comp_targetILNS1_3genE4ELNS1_11target_archE910ELNS1_3gpuE8ELNS1_3repE0EEENS1_30default_config_static_selectorELNS0_4arch9wavefront6targetE0EEEvT1_
	.p2align	8
	.type	_ZN7rocprim17ROCPRIM_400000_NS6detail17trampoline_kernelINS0_14default_configENS1_27scan_by_key_config_selectorIxxEEZZNS1_16scan_by_key_implILNS1_25lookback_scan_determinismE0ELb1ES3_N6thrust23THRUST_200600_302600_NS6detail15normal_iteratorINS9_10device_ptrIxEEEESE_SE_xNS9_4plusIvEENS9_8equal_toIvEExEE10hipError_tPvRmT2_T3_T4_T5_mT6_T7_P12ihipStream_tbENKUlT_T0_E_clISt17integral_constantIbLb1EESZ_EEDaSU_SV_EUlSU_E_NS1_11comp_targetILNS1_3genE4ELNS1_11target_archE910ELNS1_3gpuE8ELNS1_3repE0EEENS1_30default_config_static_selectorELNS0_4arch9wavefront6targetE0EEEvT1_,@function
_ZN7rocprim17ROCPRIM_400000_NS6detail17trampoline_kernelINS0_14default_configENS1_27scan_by_key_config_selectorIxxEEZZNS1_16scan_by_key_implILNS1_25lookback_scan_determinismE0ELb1ES3_N6thrust23THRUST_200600_302600_NS6detail15normal_iteratorINS9_10device_ptrIxEEEESE_SE_xNS9_4plusIvEENS9_8equal_toIvEExEE10hipError_tPvRmT2_T3_T4_T5_mT6_T7_P12ihipStream_tbENKUlT_T0_E_clISt17integral_constantIbLb1EESZ_EEDaSU_SV_EUlSU_E_NS1_11comp_targetILNS1_3genE4ELNS1_11target_archE910ELNS1_3gpuE8ELNS1_3repE0EEENS1_30default_config_static_selectorELNS0_4arch9wavefront6targetE0EEEvT1_: ; @_ZN7rocprim17ROCPRIM_400000_NS6detail17trampoline_kernelINS0_14default_configENS1_27scan_by_key_config_selectorIxxEEZZNS1_16scan_by_key_implILNS1_25lookback_scan_determinismE0ELb1ES3_N6thrust23THRUST_200600_302600_NS6detail15normal_iteratorINS9_10device_ptrIxEEEESE_SE_xNS9_4plusIvEENS9_8equal_toIvEExEE10hipError_tPvRmT2_T3_T4_T5_mT6_T7_P12ihipStream_tbENKUlT_T0_E_clISt17integral_constantIbLb1EESZ_EEDaSU_SV_EUlSU_E_NS1_11comp_targetILNS1_3genE4ELNS1_11target_archE910ELNS1_3gpuE8ELNS1_3repE0EEENS1_30default_config_static_selectorELNS0_4arch9wavefront6targetE0EEEvT1_
; %bb.0:
	.section	.rodata,"a",@progbits
	.p2align	6, 0x0
	.amdhsa_kernel _ZN7rocprim17ROCPRIM_400000_NS6detail17trampoline_kernelINS0_14default_configENS1_27scan_by_key_config_selectorIxxEEZZNS1_16scan_by_key_implILNS1_25lookback_scan_determinismE0ELb1ES3_N6thrust23THRUST_200600_302600_NS6detail15normal_iteratorINS9_10device_ptrIxEEEESE_SE_xNS9_4plusIvEENS9_8equal_toIvEExEE10hipError_tPvRmT2_T3_T4_T5_mT6_T7_P12ihipStream_tbENKUlT_T0_E_clISt17integral_constantIbLb1EESZ_EEDaSU_SV_EUlSU_E_NS1_11comp_targetILNS1_3genE4ELNS1_11target_archE910ELNS1_3gpuE8ELNS1_3repE0EEENS1_30default_config_static_selectorELNS0_4arch9wavefront6targetE0EEEvT1_
		.amdhsa_group_segment_fixed_size 0
		.amdhsa_private_segment_fixed_size 0
		.amdhsa_kernarg_size 136
		.amdhsa_user_sgpr_count 2
		.amdhsa_user_sgpr_dispatch_ptr 0
		.amdhsa_user_sgpr_queue_ptr 0
		.amdhsa_user_sgpr_kernarg_segment_ptr 1
		.amdhsa_user_sgpr_dispatch_id 0
		.amdhsa_user_sgpr_kernarg_preload_length 0
		.amdhsa_user_sgpr_kernarg_preload_offset 0
		.amdhsa_user_sgpr_private_segment_size 0
		.amdhsa_wavefront_size32 1
		.amdhsa_uses_dynamic_stack 0
		.amdhsa_enable_private_segment 0
		.amdhsa_system_sgpr_workgroup_id_x 1
		.amdhsa_system_sgpr_workgroup_id_y 0
		.amdhsa_system_sgpr_workgroup_id_z 0
		.amdhsa_system_sgpr_workgroup_info 0
		.amdhsa_system_vgpr_workitem_id 0
		.amdhsa_next_free_vgpr 1
		.amdhsa_next_free_sgpr 1
		.amdhsa_named_barrier_count 0
		.amdhsa_reserve_vcc 0
		.amdhsa_float_round_mode_32 0
		.amdhsa_float_round_mode_16_64 0
		.amdhsa_float_denorm_mode_32 3
		.amdhsa_float_denorm_mode_16_64 3
		.amdhsa_fp16_overflow 0
		.amdhsa_memory_ordered 1
		.amdhsa_forward_progress 1
		.amdhsa_inst_pref_size 0
		.amdhsa_round_robin_scheduling 0
		.amdhsa_exception_fp_ieee_invalid_op 0
		.amdhsa_exception_fp_denorm_src 0
		.amdhsa_exception_fp_ieee_div_zero 0
		.amdhsa_exception_fp_ieee_overflow 0
		.amdhsa_exception_fp_ieee_underflow 0
		.amdhsa_exception_fp_ieee_inexact 0
		.amdhsa_exception_int_div_zero 0
	.end_amdhsa_kernel
	.section	.text._ZN7rocprim17ROCPRIM_400000_NS6detail17trampoline_kernelINS0_14default_configENS1_27scan_by_key_config_selectorIxxEEZZNS1_16scan_by_key_implILNS1_25lookback_scan_determinismE0ELb1ES3_N6thrust23THRUST_200600_302600_NS6detail15normal_iteratorINS9_10device_ptrIxEEEESE_SE_xNS9_4plusIvEENS9_8equal_toIvEExEE10hipError_tPvRmT2_T3_T4_T5_mT6_T7_P12ihipStream_tbENKUlT_T0_E_clISt17integral_constantIbLb1EESZ_EEDaSU_SV_EUlSU_E_NS1_11comp_targetILNS1_3genE4ELNS1_11target_archE910ELNS1_3gpuE8ELNS1_3repE0EEENS1_30default_config_static_selectorELNS0_4arch9wavefront6targetE0EEEvT1_,"axG",@progbits,_ZN7rocprim17ROCPRIM_400000_NS6detail17trampoline_kernelINS0_14default_configENS1_27scan_by_key_config_selectorIxxEEZZNS1_16scan_by_key_implILNS1_25lookback_scan_determinismE0ELb1ES3_N6thrust23THRUST_200600_302600_NS6detail15normal_iteratorINS9_10device_ptrIxEEEESE_SE_xNS9_4plusIvEENS9_8equal_toIvEExEE10hipError_tPvRmT2_T3_T4_T5_mT6_T7_P12ihipStream_tbENKUlT_T0_E_clISt17integral_constantIbLb1EESZ_EEDaSU_SV_EUlSU_E_NS1_11comp_targetILNS1_3genE4ELNS1_11target_archE910ELNS1_3gpuE8ELNS1_3repE0EEENS1_30default_config_static_selectorELNS0_4arch9wavefront6targetE0EEEvT1_,comdat
.Lfunc_end365:
	.size	_ZN7rocprim17ROCPRIM_400000_NS6detail17trampoline_kernelINS0_14default_configENS1_27scan_by_key_config_selectorIxxEEZZNS1_16scan_by_key_implILNS1_25lookback_scan_determinismE0ELb1ES3_N6thrust23THRUST_200600_302600_NS6detail15normal_iteratorINS9_10device_ptrIxEEEESE_SE_xNS9_4plusIvEENS9_8equal_toIvEExEE10hipError_tPvRmT2_T3_T4_T5_mT6_T7_P12ihipStream_tbENKUlT_T0_E_clISt17integral_constantIbLb1EESZ_EEDaSU_SV_EUlSU_E_NS1_11comp_targetILNS1_3genE4ELNS1_11target_archE910ELNS1_3gpuE8ELNS1_3repE0EEENS1_30default_config_static_selectorELNS0_4arch9wavefront6targetE0EEEvT1_, .Lfunc_end365-_ZN7rocprim17ROCPRIM_400000_NS6detail17trampoline_kernelINS0_14default_configENS1_27scan_by_key_config_selectorIxxEEZZNS1_16scan_by_key_implILNS1_25lookback_scan_determinismE0ELb1ES3_N6thrust23THRUST_200600_302600_NS6detail15normal_iteratorINS9_10device_ptrIxEEEESE_SE_xNS9_4plusIvEENS9_8equal_toIvEExEE10hipError_tPvRmT2_T3_T4_T5_mT6_T7_P12ihipStream_tbENKUlT_T0_E_clISt17integral_constantIbLb1EESZ_EEDaSU_SV_EUlSU_E_NS1_11comp_targetILNS1_3genE4ELNS1_11target_archE910ELNS1_3gpuE8ELNS1_3repE0EEENS1_30default_config_static_selectorELNS0_4arch9wavefront6targetE0EEEvT1_
                                        ; -- End function
	.set _ZN7rocprim17ROCPRIM_400000_NS6detail17trampoline_kernelINS0_14default_configENS1_27scan_by_key_config_selectorIxxEEZZNS1_16scan_by_key_implILNS1_25lookback_scan_determinismE0ELb1ES3_N6thrust23THRUST_200600_302600_NS6detail15normal_iteratorINS9_10device_ptrIxEEEESE_SE_xNS9_4plusIvEENS9_8equal_toIvEExEE10hipError_tPvRmT2_T3_T4_T5_mT6_T7_P12ihipStream_tbENKUlT_T0_E_clISt17integral_constantIbLb1EESZ_EEDaSU_SV_EUlSU_E_NS1_11comp_targetILNS1_3genE4ELNS1_11target_archE910ELNS1_3gpuE8ELNS1_3repE0EEENS1_30default_config_static_selectorELNS0_4arch9wavefront6targetE0EEEvT1_.num_vgpr, 0
	.set _ZN7rocprim17ROCPRIM_400000_NS6detail17trampoline_kernelINS0_14default_configENS1_27scan_by_key_config_selectorIxxEEZZNS1_16scan_by_key_implILNS1_25lookback_scan_determinismE0ELb1ES3_N6thrust23THRUST_200600_302600_NS6detail15normal_iteratorINS9_10device_ptrIxEEEESE_SE_xNS9_4plusIvEENS9_8equal_toIvEExEE10hipError_tPvRmT2_T3_T4_T5_mT6_T7_P12ihipStream_tbENKUlT_T0_E_clISt17integral_constantIbLb1EESZ_EEDaSU_SV_EUlSU_E_NS1_11comp_targetILNS1_3genE4ELNS1_11target_archE910ELNS1_3gpuE8ELNS1_3repE0EEENS1_30default_config_static_selectorELNS0_4arch9wavefront6targetE0EEEvT1_.num_agpr, 0
	.set _ZN7rocprim17ROCPRIM_400000_NS6detail17trampoline_kernelINS0_14default_configENS1_27scan_by_key_config_selectorIxxEEZZNS1_16scan_by_key_implILNS1_25lookback_scan_determinismE0ELb1ES3_N6thrust23THRUST_200600_302600_NS6detail15normal_iteratorINS9_10device_ptrIxEEEESE_SE_xNS9_4plusIvEENS9_8equal_toIvEExEE10hipError_tPvRmT2_T3_T4_T5_mT6_T7_P12ihipStream_tbENKUlT_T0_E_clISt17integral_constantIbLb1EESZ_EEDaSU_SV_EUlSU_E_NS1_11comp_targetILNS1_3genE4ELNS1_11target_archE910ELNS1_3gpuE8ELNS1_3repE0EEENS1_30default_config_static_selectorELNS0_4arch9wavefront6targetE0EEEvT1_.numbered_sgpr, 0
	.set _ZN7rocprim17ROCPRIM_400000_NS6detail17trampoline_kernelINS0_14default_configENS1_27scan_by_key_config_selectorIxxEEZZNS1_16scan_by_key_implILNS1_25lookback_scan_determinismE0ELb1ES3_N6thrust23THRUST_200600_302600_NS6detail15normal_iteratorINS9_10device_ptrIxEEEESE_SE_xNS9_4plusIvEENS9_8equal_toIvEExEE10hipError_tPvRmT2_T3_T4_T5_mT6_T7_P12ihipStream_tbENKUlT_T0_E_clISt17integral_constantIbLb1EESZ_EEDaSU_SV_EUlSU_E_NS1_11comp_targetILNS1_3genE4ELNS1_11target_archE910ELNS1_3gpuE8ELNS1_3repE0EEENS1_30default_config_static_selectorELNS0_4arch9wavefront6targetE0EEEvT1_.num_named_barrier, 0
	.set _ZN7rocprim17ROCPRIM_400000_NS6detail17trampoline_kernelINS0_14default_configENS1_27scan_by_key_config_selectorIxxEEZZNS1_16scan_by_key_implILNS1_25lookback_scan_determinismE0ELb1ES3_N6thrust23THRUST_200600_302600_NS6detail15normal_iteratorINS9_10device_ptrIxEEEESE_SE_xNS9_4plusIvEENS9_8equal_toIvEExEE10hipError_tPvRmT2_T3_T4_T5_mT6_T7_P12ihipStream_tbENKUlT_T0_E_clISt17integral_constantIbLb1EESZ_EEDaSU_SV_EUlSU_E_NS1_11comp_targetILNS1_3genE4ELNS1_11target_archE910ELNS1_3gpuE8ELNS1_3repE0EEENS1_30default_config_static_selectorELNS0_4arch9wavefront6targetE0EEEvT1_.private_seg_size, 0
	.set _ZN7rocprim17ROCPRIM_400000_NS6detail17trampoline_kernelINS0_14default_configENS1_27scan_by_key_config_selectorIxxEEZZNS1_16scan_by_key_implILNS1_25lookback_scan_determinismE0ELb1ES3_N6thrust23THRUST_200600_302600_NS6detail15normal_iteratorINS9_10device_ptrIxEEEESE_SE_xNS9_4plusIvEENS9_8equal_toIvEExEE10hipError_tPvRmT2_T3_T4_T5_mT6_T7_P12ihipStream_tbENKUlT_T0_E_clISt17integral_constantIbLb1EESZ_EEDaSU_SV_EUlSU_E_NS1_11comp_targetILNS1_3genE4ELNS1_11target_archE910ELNS1_3gpuE8ELNS1_3repE0EEENS1_30default_config_static_selectorELNS0_4arch9wavefront6targetE0EEEvT1_.uses_vcc, 0
	.set _ZN7rocprim17ROCPRIM_400000_NS6detail17trampoline_kernelINS0_14default_configENS1_27scan_by_key_config_selectorIxxEEZZNS1_16scan_by_key_implILNS1_25lookback_scan_determinismE0ELb1ES3_N6thrust23THRUST_200600_302600_NS6detail15normal_iteratorINS9_10device_ptrIxEEEESE_SE_xNS9_4plusIvEENS9_8equal_toIvEExEE10hipError_tPvRmT2_T3_T4_T5_mT6_T7_P12ihipStream_tbENKUlT_T0_E_clISt17integral_constantIbLb1EESZ_EEDaSU_SV_EUlSU_E_NS1_11comp_targetILNS1_3genE4ELNS1_11target_archE910ELNS1_3gpuE8ELNS1_3repE0EEENS1_30default_config_static_selectorELNS0_4arch9wavefront6targetE0EEEvT1_.uses_flat_scratch, 0
	.set _ZN7rocprim17ROCPRIM_400000_NS6detail17trampoline_kernelINS0_14default_configENS1_27scan_by_key_config_selectorIxxEEZZNS1_16scan_by_key_implILNS1_25lookback_scan_determinismE0ELb1ES3_N6thrust23THRUST_200600_302600_NS6detail15normal_iteratorINS9_10device_ptrIxEEEESE_SE_xNS9_4plusIvEENS9_8equal_toIvEExEE10hipError_tPvRmT2_T3_T4_T5_mT6_T7_P12ihipStream_tbENKUlT_T0_E_clISt17integral_constantIbLb1EESZ_EEDaSU_SV_EUlSU_E_NS1_11comp_targetILNS1_3genE4ELNS1_11target_archE910ELNS1_3gpuE8ELNS1_3repE0EEENS1_30default_config_static_selectorELNS0_4arch9wavefront6targetE0EEEvT1_.has_dyn_sized_stack, 0
	.set _ZN7rocprim17ROCPRIM_400000_NS6detail17trampoline_kernelINS0_14default_configENS1_27scan_by_key_config_selectorIxxEEZZNS1_16scan_by_key_implILNS1_25lookback_scan_determinismE0ELb1ES3_N6thrust23THRUST_200600_302600_NS6detail15normal_iteratorINS9_10device_ptrIxEEEESE_SE_xNS9_4plusIvEENS9_8equal_toIvEExEE10hipError_tPvRmT2_T3_T4_T5_mT6_T7_P12ihipStream_tbENKUlT_T0_E_clISt17integral_constantIbLb1EESZ_EEDaSU_SV_EUlSU_E_NS1_11comp_targetILNS1_3genE4ELNS1_11target_archE910ELNS1_3gpuE8ELNS1_3repE0EEENS1_30default_config_static_selectorELNS0_4arch9wavefront6targetE0EEEvT1_.has_recursion, 0
	.set _ZN7rocprim17ROCPRIM_400000_NS6detail17trampoline_kernelINS0_14default_configENS1_27scan_by_key_config_selectorIxxEEZZNS1_16scan_by_key_implILNS1_25lookback_scan_determinismE0ELb1ES3_N6thrust23THRUST_200600_302600_NS6detail15normal_iteratorINS9_10device_ptrIxEEEESE_SE_xNS9_4plusIvEENS9_8equal_toIvEExEE10hipError_tPvRmT2_T3_T4_T5_mT6_T7_P12ihipStream_tbENKUlT_T0_E_clISt17integral_constantIbLb1EESZ_EEDaSU_SV_EUlSU_E_NS1_11comp_targetILNS1_3genE4ELNS1_11target_archE910ELNS1_3gpuE8ELNS1_3repE0EEENS1_30default_config_static_selectorELNS0_4arch9wavefront6targetE0EEEvT1_.has_indirect_call, 0
	.section	.AMDGPU.csdata,"",@progbits
; Kernel info:
; codeLenInByte = 0
; TotalNumSgprs: 0
; NumVgprs: 0
; ScratchSize: 0
; MemoryBound: 0
; FloatMode: 240
; IeeeMode: 1
; LDSByteSize: 0 bytes/workgroup (compile time only)
; SGPRBlocks: 0
; VGPRBlocks: 0
; NumSGPRsForWavesPerEU: 1
; NumVGPRsForWavesPerEU: 1
; NamedBarCnt: 0
; Occupancy: 16
; WaveLimiterHint : 0
; COMPUTE_PGM_RSRC2:SCRATCH_EN: 0
; COMPUTE_PGM_RSRC2:USER_SGPR: 2
; COMPUTE_PGM_RSRC2:TRAP_HANDLER: 0
; COMPUTE_PGM_RSRC2:TGID_X_EN: 1
; COMPUTE_PGM_RSRC2:TGID_Y_EN: 0
; COMPUTE_PGM_RSRC2:TGID_Z_EN: 0
; COMPUTE_PGM_RSRC2:TIDIG_COMP_CNT: 0
	.section	.text._ZN7rocprim17ROCPRIM_400000_NS6detail17trampoline_kernelINS0_14default_configENS1_27scan_by_key_config_selectorIxxEEZZNS1_16scan_by_key_implILNS1_25lookback_scan_determinismE0ELb1ES3_N6thrust23THRUST_200600_302600_NS6detail15normal_iteratorINS9_10device_ptrIxEEEESE_SE_xNS9_4plusIvEENS9_8equal_toIvEExEE10hipError_tPvRmT2_T3_T4_T5_mT6_T7_P12ihipStream_tbENKUlT_T0_E_clISt17integral_constantIbLb1EESZ_EEDaSU_SV_EUlSU_E_NS1_11comp_targetILNS1_3genE3ELNS1_11target_archE908ELNS1_3gpuE7ELNS1_3repE0EEENS1_30default_config_static_selectorELNS0_4arch9wavefront6targetE0EEEvT1_,"axG",@progbits,_ZN7rocprim17ROCPRIM_400000_NS6detail17trampoline_kernelINS0_14default_configENS1_27scan_by_key_config_selectorIxxEEZZNS1_16scan_by_key_implILNS1_25lookback_scan_determinismE0ELb1ES3_N6thrust23THRUST_200600_302600_NS6detail15normal_iteratorINS9_10device_ptrIxEEEESE_SE_xNS9_4plusIvEENS9_8equal_toIvEExEE10hipError_tPvRmT2_T3_T4_T5_mT6_T7_P12ihipStream_tbENKUlT_T0_E_clISt17integral_constantIbLb1EESZ_EEDaSU_SV_EUlSU_E_NS1_11comp_targetILNS1_3genE3ELNS1_11target_archE908ELNS1_3gpuE7ELNS1_3repE0EEENS1_30default_config_static_selectorELNS0_4arch9wavefront6targetE0EEEvT1_,comdat
	.protected	_ZN7rocprim17ROCPRIM_400000_NS6detail17trampoline_kernelINS0_14default_configENS1_27scan_by_key_config_selectorIxxEEZZNS1_16scan_by_key_implILNS1_25lookback_scan_determinismE0ELb1ES3_N6thrust23THRUST_200600_302600_NS6detail15normal_iteratorINS9_10device_ptrIxEEEESE_SE_xNS9_4plusIvEENS9_8equal_toIvEExEE10hipError_tPvRmT2_T3_T4_T5_mT6_T7_P12ihipStream_tbENKUlT_T0_E_clISt17integral_constantIbLb1EESZ_EEDaSU_SV_EUlSU_E_NS1_11comp_targetILNS1_3genE3ELNS1_11target_archE908ELNS1_3gpuE7ELNS1_3repE0EEENS1_30default_config_static_selectorELNS0_4arch9wavefront6targetE0EEEvT1_ ; -- Begin function _ZN7rocprim17ROCPRIM_400000_NS6detail17trampoline_kernelINS0_14default_configENS1_27scan_by_key_config_selectorIxxEEZZNS1_16scan_by_key_implILNS1_25lookback_scan_determinismE0ELb1ES3_N6thrust23THRUST_200600_302600_NS6detail15normal_iteratorINS9_10device_ptrIxEEEESE_SE_xNS9_4plusIvEENS9_8equal_toIvEExEE10hipError_tPvRmT2_T3_T4_T5_mT6_T7_P12ihipStream_tbENKUlT_T0_E_clISt17integral_constantIbLb1EESZ_EEDaSU_SV_EUlSU_E_NS1_11comp_targetILNS1_3genE3ELNS1_11target_archE908ELNS1_3gpuE7ELNS1_3repE0EEENS1_30default_config_static_selectorELNS0_4arch9wavefront6targetE0EEEvT1_
	.globl	_ZN7rocprim17ROCPRIM_400000_NS6detail17trampoline_kernelINS0_14default_configENS1_27scan_by_key_config_selectorIxxEEZZNS1_16scan_by_key_implILNS1_25lookback_scan_determinismE0ELb1ES3_N6thrust23THRUST_200600_302600_NS6detail15normal_iteratorINS9_10device_ptrIxEEEESE_SE_xNS9_4plusIvEENS9_8equal_toIvEExEE10hipError_tPvRmT2_T3_T4_T5_mT6_T7_P12ihipStream_tbENKUlT_T0_E_clISt17integral_constantIbLb1EESZ_EEDaSU_SV_EUlSU_E_NS1_11comp_targetILNS1_3genE3ELNS1_11target_archE908ELNS1_3gpuE7ELNS1_3repE0EEENS1_30default_config_static_selectorELNS0_4arch9wavefront6targetE0EEEvT1_
	.p2align	8
	.type	_ZN7rocprim17ROCPRIM_400000_NS6detail17trampoline_kernelINS0_14default_configENS1_27scan_by_key_config_selectorIxxEEZZNS1_16scan_by_key_implILNS1_25lookback_scan_determinismE0ELb1ES3_N6thrust23THRUST_200600_302600_NS6detail15normal_iteratorINS9_10device_ptrIxEEEESE_SE_xNS9_4plusIvEENS9_8equal_toIvEExEE10hipError_tPvRmT2_T3_T4_T5_mT6_T7_P12ihipStream_tbENKUlT_T0_E_clISt17integral_constantIbLb1EESZ_EEDaSU_SV_EUlSU_E_NS1_11comp_targetILNS1_3genE3ELNS1_11target_archE908ELNS1_3gpuE7ELNS1_3repE0EEENS1_30default_config_static_selectorELNS0_4arch9wavefront6targetE0EEEvT1_,@function
_ZN7rocprim17ROCPRIM_400000_NS6detail17trampoline_kernelINS0_14default_configENS1_27scan_by_key_config_selectorIxxEEZZNS1_16scan_by_key_implILNS1_25lookback_scan_determinismE0ELb1ES3_N6thrust23THRUST_200600_302600_NS6detail15normal_iteratorINS9_10device_ptrIxEEEESE_SE_xNS9_4plusIvEENS9_8equal_toIvEExEE10hipError_tPvRmT2_T3_T4_T5_mT6_T7_P12ihipStream_tbENKUlT_T0_E_clISt17integral_constantIbLb1EESZ_EEDaSU_SV_EUlSU_E_NS1_11comp_targetILNS1_3genE3ELNS1_11target_archE908ELNS1_3gpuE7ELNS1_3repE0EEENS1_30default_config_static_selectorELNS0_4arch9wavefront6targetE0EEEvT1_: ; @_ZN7rocprim17ROCPRIM_400000_NS6detail17trampoline_kernelINS0_14default_configENS1_27scan_by_key_config_selectorIxxEEZZNS1_16scan_by_key_implILNS1_25lookback_scan_determinismE0ELb1ES3_N6thrust23THRUST_200600_302600_NS6detail15normal_iteratorINS9_10device_ptrIxEEEESE_SE_xNS9_4plusIvEENS9_8equal_toIvEExEE10hipError_tPvRmT2_T3_T4_T5_mT6_T7_P12ihipStream_tbENKUlT_T0_E_clISt17integral_constantIbLb1EESZ_EEDaSU_SV_EUlSU_E_NS1_11comp_targetILNS1_3genE3ELNS1_11target_archE908ELNS1_3gpuE7ELNS1_3repE0EEENS1_30default_config_static_selectorELNS0_4arch9wavefront6targetE0EEEvT1_
; %bb.0:
	.section	.rodata,"a",@progbits
	.p2align	6, 0x0
	.amdhsa_kernel _ZN7rocprim17ROCPRIM_400000_NS6detail17trampoline_kernelINS0_14default_configENS1_27scan_by_key_config_selectorIxxEEZZNS1_16scan_by_key_implILNS1_25lookback_scan_determinismE0ELb1ES3_N6thrust23THRUST_200600_302600_NS6detail15normal_iteratorINS9_10device_ptrIxEEEESE_SE_xNS9_4plusIvEENS9_8equal_toIvEExEE10hipError_tPvRmT2_T3_T4_T5_mT6_T7_P12ihipStream_tbENKUlT_T0_E_clISt17integral_constantIbLb1EESZ_EEDaSU_SV_EUlSU_E_NS1_11comp_targetILNS1_3genE3ELNS1_11target_archE908ELNS1_3gpuE7ELNS1_3repE0EEENS1_30default_config_static_selectorELNS0_4arch9wavefront6targetE0EEEvT1_
		.amdhsa_group_segment_fixed_size 0
		.amdhsa_private_segment_fixed_size 0
		.amdhsa_kernarg_size 136
		.amdhsa_user_sgpr_count 2
		.amdhsa_user_sgpr_dispatch_ptr 0
		.amdhsa_user_sgpr_queue_ptr 0
		.amdhsa_user_sgpr_kernarg_segment_ptr 1
		.amdhsa_user_sgpr_dispatch_id 0
		.amdhsa_user_sgpr_kernarg_preload_length 0
		.amdhsa_user_sgpr_kernarg_preload_offset 0
		.amdhsa_user_sgpr_private_segment_size 0
		.amdhsa_wavefront_size32 1
		.amdhsa_uses_dynamic_stack 0
		.amdhsa_enable_private_segment 0
		.amdhsa_system_sgpr_workgroup_id_x 1
		.amdhsa_system_sgpr_workgroup_id_y 0
		.amdhsa_system_sgpr_workgroup_id_z 0
		.amdhsa_system_sgpr_workgroup_info 0
		.amdhsa_system_vgpr_workitem_id 0
		.amdhsa_next_free_vgpr 1
		.amdhsa_next_free_sgpr 1
		.amdhsa_named_barrier_count 0
		.amdhsa_reserve_vcc 0
		.amdhsa_float_round_mode_32 0
		.amdhsa_float_round_mode_16_64 0
		.amdhsa_float_denorm_mode_32 3
		.amdhsa_float_denorm_mode_16_64 3
		.amdhsa_fp16_overflow 0
		.amdhsa_memory_ordered 1
		.amdhsa_forward_progress 1
		.amdhsa_inst_pref_size 0
		.amdhsa_round_robin_scheduling 0
		.amdhsa_exception_fp_ieee_invalid_op 0
		.amdhsa_exception_fp_denorm_src 0
		.amdhsa_exception_fp_ieee_div_zero 0
		.amdhsa_exception_fp_ieee_overflow 0
		.amdhsa_exception_fp_ieee_underflow 0
		.amdhsa_exception_fp_ieee_inexact 0
		.amdhsa_exception_int_div_zero 0
	.end_amdhsa_kernel
	.section	.text._ZN7rocprim17ROCPRIM_400000_NS6detail17trampoline_kernelINS0_14default_configENS1_27scan_by_key_config_selectorIxxEEZZNS1_16scan_by_key_implILNS1_25lookback_scan_determinismE0ELb1ES3_N6thrust23THRUST_200600_302600_NS6detail15normal_iteratorINS9_10device_ptrIxEEEESE_SE_xNS9_4plusIvEENS9_8equal_toIvEExEE10hipError_tPvRmT2_T3_T4_T5_mT6_T7_P12ihipStream_tbENKUlT_T0_E_clISt17integral_constantIbLb1EESZ_EEDaSU_SV_EUlSU_E_NS1_11comp_targetILNS1_3genE3ELNS1_11target_archE908ELNS1_3gpuE7ELNS1_3repE0EEENS1_30default_config_static_selectorELNS0_4arch9wavefront6targetE0EEEvT1_,"axG",@progbits,_ZN7rocprim17ROCPRIM_400000_NS6detail17trampoline_kernelINS0_14default_configENS1_27scan_by_key_config_selectorIxxEEZZNS1_16scan_by_key_implILNS1_25lookback_scan_determinismE0ELb1ES3_N6thrust23THRUST_200600_302600_NS6detail15normal_iteratorINS9_10device_ptrIxEEEESE_SE_xNS9_4plusIvEENS9_8equal_toIvEExEE10hipError_tPvRmT2_T3_T4_T5_mT6_T7_P12ihipStream_tbENKUlT_T0_E_clISt17integral_constantIbLb1EESZ_EEDaSU_SV_EUlSU_E_NS1_11comp_targetILNS1_3genE3ELNS1_11target_archE908ELNS1_3gpuE7ELNS1_3repE0EEENS1_30default_config_static_selectorELNS0_4arch9wavefront6targetE0EEEvT1_,comdat
.Lfunc_end366:
	.size	_ZN7rocprim17ROCPRIM_400000_NS6detail17trampoline_kernelINS0_14default_configENS1_27scan_by_key_config_selectorIxxEEZZNS1_16scan_by_key_implILNS1_25lookback_scan_determinismE0ELb1ES3_N6thrust23THRUST_200600_302600_NS6detail15normal_iteratorINS9_10device_ptrIxEEEESE_SE_xNS9_4plusIvEENS9_8equal_toIvEExEE10hipError_tPvRmT2_T3_T4_T5_mT6_T7_P12ihipStream_tbENKUlT_T0_E_clISt17integral_constantIbLb1EESZ_EEDaSU_SV_EUlSU_E_NS1_11comp_targetILNS1_3genE3ELNS1_11target_archE908ELNS1_3gpuE7ELNS1_3repE0EEENS1_30default_config_static_selectorELNS0_4arch9wavefront6targetE0EEEvT1_, .Lfunc_end366-_ZN7rocprim17ROCPRIM_400000_NS6detail17trampoline_kernelINS0_14default_configENS1_27scan_by_key_config_selectorIxxEEZZNS1_16scan_by_key_implILNS1_25lookback_scan_determinismE0ELb1ES3_N6thrust23THRUST_200600_302600_NS6detail15normal_iteratorINS9_10device_ptrIxEEEESE_SE_xNS9_4plusIvEENS9_8equal_toIvEExEE10hipError_tPvRmT2_T3_T4_T5_mT6_T7_P12ihipStream_tbENKUlT_T0_E_clISt17integral_constantIbLb1EESZ_EEDaSU_SV_EUlSU_E_NS1_11comp_targetILNS1_3genE3ELNS1_11target_archE908ELNS1_3gpuE7ELNS1_3repE0EEENS1_30default_config_static_selectorELNS0_4arch9wavefront6targetE0EEEvT1_
                                        ; -- End function
	.set _ZN7rocprim17ROCPRIM_400000_NS6detail17trampoline_kernelINS0_14default_configENS1_27scan_by_key_config_selectorIxxEEZZNS1_16scan_by_key_implILNS1_25lookback_scan_determinismE0ELb1ES3_N6thrust23THRUST_200600_302600_NS6detail15normal_iteratorINS9_10device_ptrIxEEEESE_SE_xNS9_4plusIvEENS9_8equal_toIvEExEE10hipError_tPvRmT2_T3_T4_T5_mT6_T7_P12ihipStream_tbENKUlT_T0_E_clISt17integral_constantIbLb1EESZ_EEDaSU_SV_EUlSU_E_NS1_11comp_targetILNS1_3genE3ELNS1_11target_archE908ELNS1_3gpuE7ELNS1_3repE0EEENS1_30default_config_static_selectorELNS0_4arch9wavefront6targetE0EEEvT1_.num_vgpr, 0
	.set _ZN7rocprim17ROCPRIM_400000_NS6detail17trampoline_kernelINS0_14default_configENS1_27scan_by_key_config_selectorIxxEEZZNS1_16scan_by_key_implILNS1_25lookback_scan_determinismE0ELb1ES3_N6thrust23THRUST_200600_302600_NS6detail15normal_iteratorINS9_10device_ptrIxEEEESE_SE_xNS9_4plusIvEENS9_8equal_toIvEExEE10hipError_tPvRmT2_T3_T4_T5_mT6_T7_P12ihipStream_tbENKUlT_T0_E_clISt17integral_constantIbLb1EESZ_EEDaSU_SV_EUlSU_E_NS1_11comp_targetILNS1_3genE3ELNS1_11target_archE908ELNS1_3gpuE7ELNS1_3repE0EEENS1_30default_config_static_selectorELNS0_4arch9wavefront6targetE0EEEvT1_.num_agpr, 0
	.set _ZN7rocprim17ROCPRIM_400000_NS6detail17trampoline_kernelINS0_14default_configENS1_27scan_by_key_config_selectorIxxEEZZNS1_16scan_by_key_implILNS1_25lookback_scan_determinismE0ELb1ES3_N6thrust23THRUST_200600_302600_NS6detail15normal_iteratorINS9_10device_ptrIxEEEESE_SE_xNS9_4plusIvEENS9_8equal_toIvEExEE10hipError_tPvRmT2_T3_T4_T5_mT6_T7_P12ihipStream_tbENKUlT_T0_E_clISt17integral_constantIbLb1EESZ_EEDaSU_SV_EUlSU_E_NS1_11comp_targetILNS1_3genE3ELNS1_11target_archE908ELNS1_3gpuE7ELNS1_3repE0EEENS1_30default_config_static_selectorELNS0_4arch9wavefront6targetE0EEEvT1_.numbered_sgpr, 0
	.set _ZN7rocprim17ROCPRIM_400000_NS6detail17trampoline_kernelINS0_14default_configENS1_27scan_by_key_config_selectorIxxEEZZNS1_16scan_by_key_implILNS1_25lookback_scan_determinismE0ELb1ES3_N6thrust23THRUST_200600_302600_NS6detail15normal_iteratorINS9_10device_ptrIxEEEESE_SE_xNS9_4plusIvEENS9_8equal_toIvEExEE10hipError_tPvRmT2_T3_T4_T5_mT6_T7_P12ihipStream_tbENKUlT_T0_E_clISt17integral_constantIbLb1EESZ_EEDaSU_SV_EUlSU_E_NS1_11comp_targetILNS1_3genE3ELNS1_11target_archE908ELNS1_3gpuE7ELNS1_3repE0EEENS1_30default_config_static_selectorELNS0_4arch9wavefront6targetE0EEEvT1_.num_named_barrier, 0
	.set _ZN7rocprim17ROCPRIM_400000_NS6detail17trampoline_kernelINS0_14default_configENS1_27scan_by_key_config_selectorIxxEEZZNS1_16scan_by_key_implILNS1_25lookback_scan_determinismE0ELb1ES3_N6thrust23THRUST_200600_302600_NS6detail15normal_iteratorINS9_10device_ptrIxEEEESE_SE_xNS9_4plusIvEENS9_8equal_toIvEExEE10hipError_tPvRmT2_T3_T4_T5_mT6_T7_P12ihipStream_tbENKUlT_T0_E_clISt17integral_constantIbLb1EESZ_EEDaSU_SV_EUlSU_E_NS1_11comp_targetILNS1_3genE3ELNS1_11target_archE908ELNS1_3gpuE7ELNS1_3repE0EEENS1_30default_config_static_selectorELNS0_4arch9wavefront6targetE0EEEvT1_.private_seg_size, 0
	.set _ZN7rocprim17ROCPRIM_400000_NS6detail17trampoline_kernelINS0_14default_configENS1_27scan_by_key_config_selectorIxxEEZZNS1_16scan_by_key_implILNS1_25lookback_scan_determinismE0ELb1ES3_N6thrust23THRUST_200600_302600_NS6detail15normal_iteratorINS9_10device_ptrIxEEEESE_SE_xNS9_4plusIvEENS9_8equal_toIvEExEE10hipError_tPvRmT2_T3_T4_T5_mT6_T7_P12ihipStream_tbENKUlT_T0_E_clISt17integral_constantIbLb1EESZ_EEDaSU_SV_EUlSU_E_NS1_11comp_targetILNS1_3genE3ELNS1_11target_archE908ELNS1_3gpuE7ELNS1_3repE0EEENS1_30default_config_static_selectorELNS0_4arch9wavefront6targetE0EEEvT1_.uses_vcc, 0
	.set _ZN7rocprim17ROCPRIM_400000_NS6detail17trampoline_kernelINS0_14default_configENS1_27scan_by_key_config_selectorIxxEEZZNS1_16scan_by_key_implILNS1_25lookback_scan_determinismE0ELb1ES3_N6thrust23THRUST_200600_302600_NS6detail15normal_iteratorINS9_10device_ptrIxEEEESE_SE_xNS9_4plusIvEENS9_8equal_toIvEExEE10hipError_tPvRmT2_T3_T4_T5_mT6_T7_P12ihipStream_tbENKUlT_T0_E_clISt17integral_constantIbLb1EESZ_EEDaSU_SV_EUlSU_E_NS1_11comp_targetILNS1_3genE3ELNS1_11target_archE908ELNS1_3gpuE7ELNS1_3repE0EEENS1_30default_config_static_selectorELNS0_4arch9wavefront6targetE0EEEvT1_.uses_flat_scratch, 0
	.set _ZN7rocprim17ROCPRIM_400000_NS6detail17trampoline_kernelINS0_14default_configENS1_27scan_by_key_config_selectorIxxEEZZNS1_16scan_by_key_implILNS1_25lookback_scan_determinismE0ELb1ES3_N6thrust23THRUST_200600_302600_NS6detail15normal_iteratorINS9_10device_ptrIxEEEESE_SE_xNS9_4plusIvEENS9_8equal_toIvEExEE10hipError_tPvRmT2_T3_T4_T5_mT6_T7_P12ihipStream_tbENKUlT_T0_E_clISt17integral_constantIbLb1EESZ_EEDaSU_SV_EUlSU_E_NS1_11comp_targetILNS1_3genE3ELNS1_11target_archE908ELNS1_3gpuE7ELNS1_3repE0EEENS1_30default_config_static_selectorELNS0_4arch9wavefront6targetE0EEEvT1_.has_dyn_sized_stack, 0
	.set _ZN7rocprim17ROCPRIM_400000_NS6detail17trampoline_kernelINS0_14default_configENS1_27scan_by_key_config_selectorIxxEEZZNS1_16scan_by_key_implILNS1_25lookback_scan_determinismE0ELb1ES3_N6thrust23THRUST_200600_302600_NS6detail15normal_iteratorINS9_10device_ptrIxEEEESE_SE_xNS9_4plusIvEENS9_8equal_toIvEExEE10hipError_tPvRmT2_T3_T4_T5_mT6_T7_P12ihipStream_tbENKUlT_T0_E_clISt17integral_constantIbLb1EESZ_EEDaSU_SV_EUlSU_E_NS1_11comp_targetILNS1_3genE3ELNS1_11target_archE908ELNS1_3gpuE7ELNS1_3repE0EEENS1_30default_config_static_selectorELNS0_4arch9wavefront6targetE0EEEvT1_.has_recursion, 0
	.set _ZN7rocprim17ROCPRIM_400000_NS6detail17trampoline_kernelINS0_14default_configENS1_27scan_by_key_config_selectorIxxEEZZNS1_16scan_by_key_implILNS1_25lookback_scan_determinismE0ELb1ES3_N6thrust23THRUST_200600_302600_NS6detail15normal_iteratorINS9_10device_ptrIxEEEESE_SE_xNS9_4plusIvEENS9_8equal_toIvEExEE10hipError_tPvRmT2_T3_T4_T5_mT6_T7_P12ihipStream_tbENKUlT_T0_E_clISt17integral_constantIbLb1EESZ_EEDaSU_SV_EUlSU_E_NS1_11comp_targetILNS1_3genE3ELNS1_11target_archE908ELNS1_3gpuE7ELNS1_3repE0EEENS1_30default_config_static_selectorELNS0_4arch9wavefront6targetE0EEEvT1_.has_indirect_call, 0
	.section	.AMDGPU.csdata,"",@progbits
; Kernel info:
; codeLenInByte = 0
; TotalNumSgprs: 0
; NumVgprs: 0
; ScratchSize: 0
; MemoryBound: 0
; FloatMode: 240
; IeeeMode: 1
; LDSByteSize: 0 bytes/workgroup (compile time only)
; SGPRBlocks: 0
; VGPRBlocks: 0
; NumSGPRsForWavesPerEU: 1
; NumVGPRsForWavesPerEU: 1
; NamedBarCnt: 0
; Occupancy: 16
; WaveLimiterHint : 0
; COMPUTE_PGM_RSRC2:SCRATCH_EN: 0
; COMPUTE_PGM_RSRC2:USER_SGPR: 2
; COMPUTE_PGM_RSRC2:TRAP_HANDLER: 0
; COMPUTE_PGM_RSRC2:TGID_X_EN: 1
; COMPUTE_PGM_RSRC2:TGID_Y_EN: 0
; COMPUTE_PGM_RSRC2:TGID_Z_EN: 0
; COMPUTE_PGM_RSRC2:TIDIG_COMP_CNT: 0
	.section	.text._ZN7rocprim17ROCPRIM_400000_NS6detail17trampoline_kernelINS0_14default_configENS1_27scan_by_key_config_selectorIxxEEZZNS1_16scan_by_key_implILNS1_25lookback_scan_determinismE0ELb1ES3_N6thrust23THRUST_200600_302600_NS6detail15normal_iteratorINS9_10device_ptrIxEEEESE_SE_xNS9_4plusIvEENS9_8equal_toIvEExEE10hipError_tPvRmT2_T3_T4_T5_mT6_T7_P12ihipStream_tbENKUlT_T0_E_clISt17integral_constantIbLb1EESZ_EEDaSU_SV_EUlSU_E_NS1_11comp_targetILNS1_3genE2ELNS1_11target_archE906ELNS1_3gpuE6ELNS1_3repE0EEENS1_30default_config_static_selectorELNS0_4arch9wavefront6targetE0EEEvT1_,"axG",@progbits,_ZN7rocprim17ROCPRIM_400000_NS6detail17trampoline_kernelINS0_14default_configENS1_27scan_by_key_config_selectorIxxEEZZNS1_16scan_by_key_implILNS1_25lookback_scan_determinismE0ELb1ES3_N6thrust23THRUST_200600_302600_NS6detail15normal_iteratorINS9_10device_ptrIxEEEESE_SE_xNS9_4plusIvEENS9_8equal_toIvEExEE10hipError_tPvRmT2_T3_T4_T5_mT6_T7_P12ihipStream_tbENKUlT_T0_E_clISt17integral_constantIbLb1EESZ_EEDaSU_SV_EUlSU_E_NS1_11comp_targetILNS1_3genE2ELNS1_11target_archE906ELNS1_3gpuE6ELNS1_3repE0EEENS1_30default_config_static_selectorELNS0_4arch9wavefront6targetE0EEEvT1_,comdat
	.protected	_ZN7rocprim17ROCPRIM_400000_NS6detail17trampoline_kernelINS0_14default_configENS1_27scan_by_key_config_selectorIxxEEZZNS1_16scan_by_key_implILNS1_25lookback_scan_determinismE0ELb1ES3_N6thrust23THRUST_200600_302600_NS6detail15normal_iteratorINS9_10device_ptrIxEEEESE_SE_xNS9_4plusIvEENS9_8equal_toIvEExEE10hipError_tPvRmT2_T3_T4_T5_mT6_T7_P12ihipStream_tbENKUlT_T0_E_clISt17integral_constantIbLb1EESZ_EEDaSU_SV_EUlSU_E_NS1_11comp_targetILNS1_3genE2ELNS1_11target_archE906ELNS1_3gpuE6ELNS1_3repE0EEENS1_30default_config_static_selectorELNS0_4arch9wavefront6targetE0EEEvT1_ ; -- Begin function _ZN7rocprim17ROCPRIM_400000_NS6detail17trampoline_kernelINS0_14default_configENS1_27scan_by_key_config_selectorIxxEEZZNS1_16scan_by_key_implILNS1_25lookback_scan_determinismE0ELb1ES3_N6thrust23THRUST_200600_302600_NS6detail15normal_iteratorINS9_10device_ptrIxEEEESE_SE_xNS9_4plusIvEENS9_8equal_toIvEExEE10hipError_tPvRmT2_T3_T4_T5_mT6_T7_P12ihipStream_tbENKUlT_T0_E_clISt17integral_constantIbLb1EESZ_EEDaSU_SV_EUlSU_E_NS1_11comp_targetILNS1_3genE2ELNS1_11target_archE906ELNS1_3gpuE6ELNS1_3repE0EEENS1_30default_config_static_selectorELNS0_4arch9wavefront6targetE0EEEvT1_
	.globl	_ZN7rocprim17ROCPRIM_400000_NS6detail17trampoline_kernelINS0_14default_configENS1_27scan_by_key_config_selectorIxxEEZZNS1_16scan_by_key_implILNS1_25lookback_scan_determinismE0ELb1ES3_N6thrust23THRUST_200600_302600_NS6detail15normal_iteratorINS9_10device_ptrIxEEEESE_SE_xNS9_4plusIvEENS9_8equal_toIvEExEE10hipError_tPvRmT2_T3_T4_T5_mT6_T7_P12ihipStream_tbENKUlT_T0_E_clISt17integral_constantIbLb1EESZ_EEDaSU_SV_EUlSU_E_NS1_11comp_targetILNS1_3genE2ELNS1_11target_archE906ELNS1_3gpuE6ELNS1_3repE0EEENS1_30default_config_static_selectorELNS0_4arch9wavefront6targetE0EEEvT1_
	.p2align	8
	.type	_ZN7rocprim17ROCPRIM_400000_NS6detail17trampoline_kernelINS0_14default_configENS1_27scan_by_key_config_selectorIxxEEZZNS1_16scan_by_key_implILNS1_25lookback_scan_determinismE0ELb1ES3_N6thrust23THRUST_200600_302600_NS6detail15normal_iteratorINS9_10device_ptrIxEEEESE_SE_xNS9_4plusIvEENS9_8equal_toIvEExEE10hipError_tPvRmT2_T3_T4_T5_mT6_T7_P12ihipStream_tbENKUlT_T0_E_clISt17integral_constantIbLb1EESZ_EEDaSU_SV_EUlSU_E_NS1_11comp_targetILNS1_3genE2ELNS1_11target_archE906ELNS1_3gpuE6ELNS1_3repE0EEENS1_30default_config_static_selectorELNS0_4arch9wavefront6targetE0EEEvT1_,@function
_ZN7rocprim17ROCPRIM_400000_NS6detail17trampoline_kernelINS0_14default_configENS1_27scan_by_key_config_selectorIxxEEZZNS1_16scan_by_key_implILNS1_25lookback_scan_determinismE0ELb1ES3_N6thrust23THRUST_200600_302600_NS6detail15normal_iteratorINS9_10device_ptrIxEEEESE_SE_xNS9_4plusIvEENS9_8equal_toIvEExEE10hipError_tPvRmT2_T3_T4_T5_mT6_T7_P12ihipStream_tbENKUlT_T0_E_clISt17integral_constantIbLb1EESZ_EEDaSU_SV_EUlSU_E_NS1_11comp_targetILNS1_3genE2ELNS1_11target_archE906ELNS1_3gpuE6ELNS1_3repE0EEENS1_30default_config_static_selectorELNS0_4arch9wavefront6targetE0EEEvT1_: ; @_ZN7rocprim17ROCPRIM_400000_NS6detail17trampoline_kernelINS0_14default_configENS1_27scan_by_key_config_selectorIxxEEZZNS1_16scan_by_key_implILNS1_25lookback_scan_determinismE0ELb1ES3_N6thrust23THRUST_200600_302600_NS6detail15normal_iteratorINS9_10device_ptrIxEEEESE_SE_xNS9_4plusIvEENS9_8equal_toIvEExEE10hipError_tPvRmT2_T3_T4_T5_mT6_T7_P12ihipStream_tbENKUlT_T0_E_clISt17integral_constantIbLb1EESZ_EEDaSU_SV_EUlSU_E_NS1_11comp_targetILNS1_3genE2ELNS1_11target_archE906ELNS1_3gpuE6ELNS1_3repE0EEENS1_30default_config_static_selectorELNS0_4arch9wavefront6targetE0EEEvT1_
; %bb.0:
	.section	.rodata,"a",@progbits
	.p2align	6, 0x0
	.amdhsa_kernel _ZN7rocprim17ROCPRIM_400000_NS6detail17trampoline_kernelINS0_14default_configENS1_27scan_by_key_config_selectorIxxEEZZNS1_16scan_by_key_implILNS1_25lookback_scan_determinismE0ELb1ES3_N6thrust23THRUST_200600_302600_NS6detail15normal_iteratorINS9_10device_ptrIxEEEESE_SE_xNS9_4plusIvEENS9_8equal_toIvEExEE10hipError_tPvRmT2_T3_T4_T5_mT6_T7_P12ihipStream_tbENKUlT_T0_E_clISt17integral_constantIbLb1EESZ_EEDaSU_SV_EUlSU_E_NS1_11comp_targetILNS1_3genE2ELNS1_11target_archE906ELNS1_3gpuE6ELNS1_3repE0EEENS1_30default_config_static_selectorELNS0_4arch9wavefront6targetE0EEEvT1_
		.amdhsa_group_segment_fixed_size 0
		.amdhsa_private_segment_fixed_size 0
		.amdhsa_kernarg_size 136
		.amdhsa_user_sgpr_count 2
		.amdhsa_user_sgpr_dispatch_ptr 0
		.amdhsa_user_sgpr_queue_ptr 0
		.amdhsa_user_sgpr_kernarg_segment_ptr 1
		.amdhsa_user_sgpr_dispatch_id 0
		.amdhsa_user_sgpr_kernarg_preload_length 0
		.amdhsa_user_sgpr_kernarg_preload_offset 0
		.amdhsa_user_sgpr_private_segment_size 0
		.amdhsa_wavefront_size32 1
		.amdhsa_uses_dynamic_stack 0
		.amdhsa_enable_private_segment 0
		.amdhsa_system_sgpr_workgroup_id_x 1
		.amdhsa_system_sgpr_workgroup_id_y 0
		.amdhsa_system_sgpr_workgroup_id_z 0
		.amdhsa_system_sgpr_workgroup_info 0
		.amdhsa_system_vgpr_workitem_id 0
		.amdhsa_next_free_vgpr 1
		.amdhsa_next_free_sgpr 1
		.amdhsa_named_barrier_count 0
		.amdhsa_reserve_vcc 0
		.amdhsa_float_round_mode_32 0
		.amdhsa_float_round_mode_16_64 0
		.amdhsa_float_denorm_mode_32 3
		.amdhsa_float_denorm_mode_16_64 3
		.amdhsa_fp16_overflow 0
		.amdhsa_memory_ordered 1
		.amdhsa_forward_progress 1
		.amdhsa_inst_pref_size 0
		.amdhsa_round_robin_scheduling 0
		.amdhsa_exception_fp_ieee_invalid_op 0
		.amdhsa_exception_fp_denorm_src 0
		.amdhsa_exception_fp_ieee_div_zero 0
		.amdhsa_exception_fp_ieee_overflow 0
		.amdhsa_exception_fp_ieee_underflow 0
		.amdhsa_exception_fp_ieee_inexact 0
		.amdhsa_exception_int_div_zero 0
	.end_amdhsa_kernel
	.section	.text._ZN7rocprim17ROCPRIM_400000_NS6detail17trampoline_kernelINS0_14default_configENS1_27scan_by_key_config_selectorIxxEEZZNS1_16scan_by_key_implILNS1_25lookback_scan_determinismE0ELb1ES3_N6thrust23THRUST_200600_302600_NS6detail15normal_iteratorINS9_10device_ptrIxEEEESE_SE_xNS9_4plusIvEENS9_8equal_toIvEExEE10hipError_tPvRmT2_T3_T4_T5_mT6_T7_P12ihipStream_tbENKUlT_T0_E_clISt17integral_constantIbLb1EESZ_EEDaSU_SV_EUlSU_E_NS1_11comp_targetILNS1_3genE2ELNS1_11target_archE906ELNS1_3gpuE6ELNS1_3repE0EEENS1_30default_config_static_selectorELNS0_4arch9wavefront6targetE0EEEvT1_,"axG",@progbits,_ZN7rocprim17ROCPRIM_400000_NS6detail17trampoline_kernelINS0_14default_configENS1_27scan_by_key_config_selectorIxxEEZZNS1_16scan_by_key_implILNS1_25lookback_scan_determinismE0ELb1ES3_N6thrust23THRUST_200600_302600_NS6detail15normal_iteratorINS9_10device_ptrIxEEEESE_SE_xNS9_4plusIvEENS9_8equal_toIvEExEE10hipError_tPvRmT2_T3_T4_T5_mT6_T7_P12ihipStream_tbENKUlT_T0_E_clISt17integral_constantIbLb1EESZ_EEDaSU_SV_EUlSU_E_NS1_11comp_targetILNS1_3genE2ELNS1_11target_archE906ELNS1_3gpuE6ELNS1_3repE0EEENS1_30default_config_static_selectorELNS0_4arch9wavefront6targetE0EEEvT1_,comdat
.Lfunc_end367:
	.size	_ZN7rocprim17ROCPRIM_400000_NS6detail17trampoline_kernelINS0_14default_configENS1_27scan_by_key_config_selectorIxxEEZZNS1_16scan_by_key_implILNS1_25lookback_scan_determinismE0ELb1ES3_N6thrust23THRUST_200600_302600_NS6detail15normal_iteratorINS9_10device_ptrIxEEEESE_SE_xNS9_4plusIvEENS9_8equal_toIvEExEE10hipError_tPvRmT2_T3_T4_T5_mT6_T7_P12ihipStream_tbENKUlT_T0_E_clISt17integral_constantIbLb1EESZ_EEDaSU_SV_EUlSU_E_NS1_11comp_targetILNS1_3genE2ELNS1_11target_archE906ELNS1_3gpuE6ELNS1_3repE0EEENS1_30default_config_static_selectorELNS0_4arch9wavefront6targetE0EEEvT1_, .Lfunc_end367-_ZN7rocprim17ROCPRIM_400000_NS6detail17trampoline_kernelINS0_14default_configENS1_27scan_by_key_config_selectorIxxEEZZNS1_16scan_by_key_implILNS1_25lookback_scan_determinismE0ELb1ES3_N6thrust23THRUST_200600_302600_NS6detail15normal_iteratorINS9_10device_ptrIxEEEESE_SE_xNS9_4plusIvEENS9_8equal_toIvEExEE10hipError_tPvRmT2_T3_T4_T5_mT6_T7_P12ihipStream_tbENKUlT_T0_E_clISt17integral_constantIbLb1EESZ_EEDaSU_SV_EUlSU_E_NS1_11comp_targetILNS1_3genE2ELNS1_11target_archE906ELNS1_3gpuE6ELNS1_3repE0EEENS1_30default_config_static_selectorELNS0_4arch9wavefront6targetE0EEEvT1_
                                        ; -- End function
	.set _ZN7rocprim17ROCPRIM_400000_NS6detail17trampoline_kernelINS0_14default_configENS1_27scan_by_key_config_selectorIxxEEZZNS1_16scan_by_key_implILNS1_25lookback_scan_determinismE0ELb1ES3_N6thrust23THRUST_200600_302600_NS6detail15normal_iteratorINS9_10device_ptrIxEEEESE_SE_xNS9_4plusIvEENS9_8equal_toIvEExEE10hipError_tPvRmT2_T3_T4_T5_mT6_T7_P12ihipStream_tbENKUlT_T0_E_clISt17integral_constantIbLb1EESZ_EEDaSU_SV_EUlSU_E_NS1_11comp_targetILNS1_3genE2ELNS1_11target_archE906ELNS1_3gpuE6ELNS1_3repE0EEENS1_30default_config_static_selectorELNS0_4arch9wavefront6targetE0EEEvT1_.num_vgpr, 0
	.set _ZN7rocprim17ROCPRIM_400000_NS6detail17trampoline_kernelINS0_14default_configENS1_27scan_by_key_config_selectorIxxEEZZNS1_16scan_by_key_implILNS1_25lookback_scan_determinismE0ELb1ES3_N6thrust23THRUST_200600_302600_NS6detail15normal_iteratorINS9_10device_ptrIxEEEESE_SE_xNS9_4plusIvEENS9_8equal_toIvEExEE10hipError_tPvRmT2_T3_T4_T5_mT6_T7_P12ihipStream_tbENKUlT_T0_E_clISt17integral_constantIbLb1EESZ_EEDaSU_SV_EUlSU_E_NS1_11comp_targetILNS1_3genE2ELNS1_11target_archE906ELNS1_3gpuE6ELNS1_3repE0EEENS1_30default_config_static_selectorELNS0_4arch9wavefront6targetE0EEEvT1_.num_agpr, 0
	.set _ZN7rocprim17ROCPRIM_400000_NS6detail17trampoline_kernelINS0_14default_configENS1_27scan_by_key_config_selectorIxxEEZZNS1_16scan_by_key_implILNS1_25lookback_scan_determinismE0ELb1ES3_N6thrust23THRUST_200600_302600_NS6detail15normal_iteratorINS9_10device_ptrIxEEEESE_SE_xNS9_4plusIvEENS9_8equal_toIvEExEE10hipError_tPvRmT2_T3_T4_T5_mT6_T7_P12ihipStream_tbENKUlT_T0_E_clISt17integral_constantIbLb1EESZ_EEDaSU_SV_EUlSU_E_NS1_11comp_targetILNS1_3genE2ELNS1_11target_archE906ELNS1_3gpuE6ELNS1_3repE0EEENS1_30default_config_static_selectorELNS0_4arch9wavefront6targetE0EEEvT1_.numbered_sgpr, 0
	.set _ZN7rocprim17ROCPRIM_400000_NS6detail17trampoline_kernelINS0_14default_configENS1_27scan_by_key_config_selectorIxxEEZZNS1_16scan_by_key_implILNS1_25lookback_scan_determinismE0ELb1ES3_N6thrust23THRUST_200600_302600_NS6detail15normal_iteratorINS9_10device_ptrIxEEEESE_SE_xNS9_4plusIvEENS9_8equal_toIvEExEE10hipError_tPvRmT2_T3_T4_T5_mT6_T7_P12ihipStream_tbENKUlT_T0_E_clISt17integral_constantIbLb1EESZ_EEDaSU_SV_EUlSU_E_NS1_11comp_targetILNS1_3genE2ELNS1_11target_archE906ELNS1_3gpuE6ELNS1_3repE0EEENS1_30default_config_static_selectorELNS0_4arch9wavefront6targetE0EEEvT1_.num_named_barrier, 0
	.set _ZN7rocprim17ROCPRIM_400000_NS6detail17trampoline_kernelINS0_14default_configENS1_27scan_by_key_config_selectorIxxEEZZNS1_16scan_by_key_implILNS1_25lookback_scan_determinismE0ELb1ES3_N6thrust23THRUST_200600_302600_NS6detail15normal_iteratorINS9_10device_ptrIxEEEESE_SE_xNS9_4plusIvEENS9_8equal_toIvEExEE10hipError_tPvRmT2_T3_T4_T5_mT6_T7_P12ihipStream_tbENKUlT_T0_E_clISt17integral_constantIbLb1EESZ_EEDaSU_SV_EUlSU_E_NS1_11comp_targetILNS1_3genE2ELNS1_11target_archE906ELNS1_3gpuE6ELNS1_3repE0EEENS1_30default_config_static_selectorELNS0_4arch9wavefront6targetE0EEEvT1_.private_seg_size, 0
	.set _ZN7rocprim17ROCPRIM_400000_NS6detail17trampoline_kernelINS0_14default_configENS1_27scan_by_key_config_selectorIxxEEZZNS1_16scan_by_key_implILNS1_25lookback_scan_determinismE0ELb1ES3_N6thrust23THRUST_200600_302600_NS6detail15normal_iteratorINS9_10device_ptrIxEEEESE_SE_xNS9_4plusIvEENS9_8equal_toIvEExEE10hipError_tPvRmT2_T3_T4_T5_mT6_T7_P12ihipStream_tbENKUlT_T0_E_clISt17integral_constantIbLb1EESZ_EEDaSU_SV_EUlSU_E_NS1_11comp_targetILNS1_3genE2ELNS1_11target_archE906ELNS1_3gpuE6ELNS1_3repE0EEENS1_30default_config_static_selectorELNS0_4arch9wavefront6targetE0EEEvT1_.uses_vcc, 0
	.set _ZN7rocprim17ROCPRIM_400000_NS6detail17trampoline_kernelINS0_14default_configENS1_27scan_by_key_config_selectorIxxEEZZNS1_16scan_by_key_implILNS1_25lookback_scan_determinismE0ELb1ES3_N6thrust23THRUST_200600_302600_NS6detail15normal_iteratorINS9_10device_ptrIxEEEESE_SE_xNS9_4plusIvEENS9_8equal_toIvEExEE10hipError_tPvRmT2_T3_T4_T5_mT6_T7_P12ihipStream_tbENKUlT_T0_E_clISt17integral_constantIbLb1EESZ_EEDaSU_SV_EUlSU_E_NS1_11comp_targetILNS1_3genE2ELNS1_11target_archE906ELNS1_3gpuE6ELNS1_3repE0EEENS1_30default_config_static_selectorELNS0_4arch9wavefront6targetE0EEEvT1_.uses_flat_scratch, 0
	.set _ZN7rocprim17ROCPRIM_400000_NS6detail17trampoline_kernelINS0_14default_configENS1_27scan_by_key_config_selectorIxxEEZZNS1_16scan_by_key_implILNS1_25lookback_scan_determinismE0ELb1ES3_N6thrust23THRUST_200600_302600_NS6detail15normal_iteratorINS9_10device_ptrIxEEEESE_SE_xNS9_4plusIvEENS9_8equal_toIvEExEE10hipError_tPvRmT2_T3_T4_T5_mT6_T7_P12ihipStream_tbENKUlT_T0_E_clISt17integral_constantIbLb1EESZ_EEDaSU_SV_EUlSU_E_NS1_11comp_targetILNS1_3genE2ELNS1_11target_archE906ELNS1_3gpuE6ELNS1_3repE0EEENS1_30default_config_static_selectorELNS0_4arch9wavefront6targetE0EEEvT1_.has_dyn_sized_stack, 0
	.set _ZN7rocprim17ROCPRIM_400000_NS6detail17trampoline_kernelINS0_14default_configENS1_27scan_by_key_config_selectorIxxEEZZNS1_16scan_by_key_implILNS1_25lookback_scan_determinismE0ELb1ES3_N6thrust23THRUST_200600_302600_NS6detail15normal_iteratorINS9_10device_ptrIxEEEESE_SE_xNS9_4plusIvEENS9_8equal_toIvEExEE10hipError_tPvRmT2_T3_T4_T5_mT6_T7_P12ihipStream_tbENKUlT_T0_E_clISt17integral_constantIbLb1EESZ_EEDaSU_SV_EUlSU_E_NS1_11comp_targetILNS1_3genE2ELNS1_11target_archE906ELNS1_3gpuE6ELNS1_3repE0EEENS1_30default_config_static_selectorELNS0_4arch9wavefront6targetE0EEEvT1_.has_recursion, 0
	.set _ZN7rocprim17ROCPRIM_400000_NS6detail17trampoline_kernelINS0_14default_configENS1_27scan_by_key_config_selectorIxxEEZZNS1_16scan_by_key_implILNS1_25lookback_scan_determinismE0ELb1ES3_N6thrust23THRUST_200600_302600_NS6detail15normal_iteratorINS9_10device_ptrIxEEEESE_SE_xNS9_4plusIvEENS9_8equal_toIvEExEE10hipError_tPvRmT2_T3_T4_T5_mT6_T7_P12ihipStream_tbENKUlT_T0_E_clISt17integral_constantIbLb1EESZ_EEDaSU_SV_EUlSU_E_NS1_11comp_targetILNS1_3genE2ELNS1_11target_archE906ELNS1_3gpuE6ELNS1_3repE0EEENS1_30default_config_static_selectorELNS0_4arch9wavefront6targetE0EEEvT1_.has_indirect_call, 0
	.section	.AMDGPU.csdata,"",@progbits
; Kernel info:
; codeLenInByte = 0
; TotalNumSgprs: 0
; NumVgprs: 0
; ScratchSize: 0
; MemoryBound: 0
; FloatMode: 240
; IeeeMode: 1
; LDSByteSize: 0 bytes/workgroup (compile time only)
; SGPRBlocks: 0
; VGPRBlocks: 0
; NumSGPRsForWavesPerEU: 1
; NumVGPRsForWavesPerEU: 1
; NamedBarCnt: 0
; Occupancy: 16
; WaveLimiterHint : 0
; COMPUTE_PGM_RSRC2:SCRATCH_EN: 0
; COMPUTE_PGM_RSRC2:USER_SGPR: 2
; COMPUTE_PGM_RSRC2:TRAP_HANDLER: 0
; COMPUTE_PGM_RSRC2:TGID_X_EN: 1
; COMPUTE_PGM_RSRC2:TGID_Y_EN: 0
; COMPUTE_PGM_RSRC2:TGID_Z_EN: 0
; COMPUTE_PGM_RSRC2:TIDIG_COMP_CNT: 0
	.section	.text._ZN7rocprim17ROCPRIM_400000_NS6detail17trampoline_kernelINS0_14default_configENS1_27scan_by_key_config_selectorIxxEEZZNS1_16scan_by_key_implILNS1_25lookback_scan_determinismE0ELb1ES3_N6thrust23THRUST_200600_302600_NS6detail15normal_iteratorINS9_10device_ptrIxEEEESE_SE_xNS9_4plusIvEENS9_8equal_toIvEExEE10hipError_tPvRmT2_T3_T4_T5_mT6_T7_P12ihipStream_tbENKUlT_T0_E_clISt17integral_constantIbLb1EESZ_EEDaSU_SV_EUlSU_E_NS1_11comp_targetILNS1_3genE10ELNS1_11target_archE1200ELNS1_3gpuE4ELNS1_3repE0EEENS1_30default_config_static_selectorELNS0_4arch9wavefront6targetE0EEEvT1_,"axG",@progbits,_ZN7rocprim17ROCPRIM_400000_NS6detail17trampoline_kernelINS0_14default_configENS1_27scan_by_key_config_selectorIxxEEZZNS1_16scan_by_key_implILNS1_25lookback_scan_determinismE0ELb1ES3_N6thrust23THRUST_200600_302600_NS6detail15normal_iteratorINS9_10device_ptrIxEEEESE_SE_xNS9_4plusIvEENS9_8equal_toIvEExEE10hipError_tPvRmT2_T3_T4_T5_mT6_T7_P12ihipStream_tbENKUlT_T0_E_clISt17integral_constantIbLb1EESZ_EEDaSU_SV_EUlSU_E_NS1_11comp_targetILNS1_3genE10ELNS1_11target_archE1200ELNS1_3gpuE4ELNS1_3repE0EEENS1_30default_config_static_selectorELNS0_4arch9wavefront6targetE0EEEvT1_,comdat
	.protected	_ZN7rocprim17ROCPRIM_400000_NS6detail17trampoline_kernelINS0_14default_configENS1_27scan_by_key_config_selectorIxxEEZZNS1_16scan_by_key_implILNS1_25lookback_scan_determinismE0ELb1ES3_N6thrust23THRUST_200600_302600_NS6detail15normal_iteratorINS9_10device_ptrIxEEEESE_SE_xNS9_4plusIvEENS9_8equal_toIvEExEE10hipError_tPvRmT2_T3_T4_T5_mT6_T7_P12ihipStream_tbENKUlT_T0_E_clISt17integral_constantIbLb1EESZ_EEDaSU_SV_EUlSU_E_NS1_11comp_targetILNS1_3genE10ELNS1_11target_archE1200ELNS1_3gpuE4ELNS1_3repE0EEENS1_30default_config_static_selectorELNS0_4arch9wavefront6targetE0EEEvT1_ ; -- Begin function _ZN7rocprim17ROCPRIM_400000_NS6detail17trampoline_kernelINS0_14default_configENS1_27scan_by_key_config_selectorIxxEEZZNS1_16scan_by_key_implILNS1_25lookback_scan_determinismE0ELb1ES3_N6thrust23THRUST_200600_302600_NS6detail15normal_iteratorINS9_10device_ptrIxEEEESE_SE_xNS9_4plusIvEENS9_8equal_toIvEExEE10hipError_tPvRmT2_T3_T4_T5_mT6_T7_P12ihipStream_tbENKUlT_T0_E_clISt17integral_constantIbLb1EESZ_EEDaSU_SV_EUlSU_E_NS1_11comp_targetILNS1_3genE10ELNS1_11target_archE1200ELNS1_3gpuE4ELNS1_3repE0EEENS1_30default_config_static_selectorELNS0_4arch9wavefront6targetE0EEEvT1_
	.globl	_ZN7rocprim17ROCPRIM_400000_NS6detail17trampoline_kernelINS0_14default_configENS1_27scan_by_key_config_selectorIxxEEZZNS1_16scan_by_key_implILNS1_25lookback_scan_determinismE0ELb1ES3_N6thrust23THRUST_200600_302600_NS6detail15normal_iteratorINS9_10device_ptrIxEEEESE_SE_xNS9_4plusIvEENS9_8equal_toIvEExEE10hipError_tPvRmT2_T3_T4_T5_mT6_T7_P12ihipStream_tbENKUlT_T0_E_clISt17integral_constantIbLb1EESZ_EEDaSU_SV_EUlSU_E_NS1_11comp_targetILNS1_3genE10ELNS1_11target_archE1200ELNS1_3gpuE4ELNS1_3repE0EEENS1_30default_config_static_selectorELNS0_4arch9wavefront6targetE0EEEvT1_
	.p2align	8
	.type	_ZN7rocprim17ROCPRIM_400000_NS6detail17trampoline_kernelINS0_14default_configENS1_27scan_by_key_config_selectorIxxEEZZNS1_16scan_by_key_implILNS1_25lookback_scan_determinismE0ELb1ES3_N6thrust23THRUST_200600_302600_NS6detail15normal_iteratorINS9_10device_ptrIxEEEESE_SE_xNS9_4plusIvEENS9_8equal_toIvEExEE10hipError_tPvRmT2_T3_T4_T5_mT6_T7_P12ihipStream_tbENKUlT_T0_E_clISt17integral_constantIbLb1EESZ_EEDaSU_SV_EUlSU_E_NS1_11comp_targetILNS1_3genE10ELNS1_11target_archE1200ELNS1_3gpuE4ELNS1_3repE0EEENS1_30default_config_static_selectorELNS0_4arch9wavefront6targetE0EEEvT1_,@function
_ZN7rocprim17ROCPRIM_400000_NS6detail17trampoline_kernelINS0_14default_configENS1_27scan_by_key_config_selectorIxxEEZZNS1_16scan_by_key_implILNS1_25lookback_scan_determinismE0ELb1ES3_N6thrust23THRUST_200600_302600_NS6detail15normal_iteratorINS9_10device_ptrIxEEEESE_SE_xNS9_4plusIvEENS9_8equal_toIvEExEE10hipError_tPvRmT2_T3_T4_T5_mT6_T7_P12ihipStream_tbENKUlT_T0_E_clISt17integral_constantIbLb1EESZ_EEDaSU_SV_EUlSU_E_NS1_11comp_targetILNS1_3genE10ELNS1_11target_archE1200ELNS1_3gpuE4ELNS1_3repE0EEENS1_30default_config_static_selectorELNS0_4arch9wavefront6targetE0EEEvT1_: ; @_ZN7rocprim17ROCPRIM_400000_NS6detail17trampoline_kernelINS0_14default_configENS1_27scan_by_key_config_selectorIxxEEZZNS1_16scan_by_key_implILNS1_25lookback_scan_determinismE0ELb1ES3_N6thrust23THRUST_200600_302600_NS6detail15normal_iteratorINS9_10device_ptrIxEEEESE_SE_xNS9_4plusIvEENS9_8equal_toIvEExEE10hipError_tPvRmT2_T3_T4_T5_mT6_T7_P12ihipStream_tbENKUlT_T0_E_clISt17integral_constantIbLb1EESZ_EEDaSU_SV_EUlSU_E_NS1_11comp_targetILNS1_3genE10ELNS1_11target_archE1200ELNS1_3gpuE4ELNS1_3repE0EEENS1_30default_config_static_selectorELNS0_4arch9wavefront6targetE0EEEvT1_
; %bb.0:
	.section	.rodata,"a",@progbits
	.p2align	6, 0x0
	.amdhsa_kernel _ZN7rocprim17ROCPRIM_400000_NS6detail17trampoline_kernelINS0_14default_configENS1_27scan_by_key_config_selectorIxxEEZZNS1_16scan_by_key_implILNS1_25lookback_scan_determinismE0ELb1ES3_N6thrust23THRUST_200600_302600_NS6detail15normal_iteratorINS9_10device_ptrIxEEEESE_SE_xNS9_4plusIvEENS9_8equal_toIvEExEE10hipError_tPvRmT2_T3_T4_T5_mT6_T7_P12ihipStream_tbENKUlT_T0_E_clISt17integral_constantIbLb1EESZ_EEDaSU_SV_EUlSU_E_NS1_11comp_targetILNS1_3genE10ELNS1_11target_archE1200ELNS1_3gpuE4ELNS1_3repE0EEENS1_30default_config_static_selectorELNS0_4arch9wavefront6targetE0EEEvT1_
		.amdhsa_group_segment_fixed_size 0
		.amdhsa_private_segment_fixed_size 0
		.amdhsa_kernarg_size 136
		.amdhsa_user_sgpr_count 2
		.amdhsa_user_sgpr_dispatch_ptr 0
		.amdhsa_user_sgpr_queue_ptr 0
		.amdhsa_user_sgpr_kernarg_segment_ptr 1
		.amdhsa_user_sgpr_dispatch_id 0
		.amdhsa_user_sgpr_kernarg_preload_length 0
		.amdhsa_user_sgpr_kernarg_preload_offset 0
		.amdhsa_user_sgpr_private_segment_size 0
		.amdhsa_wavefront_size32 1
		.amdhsa_uses_dynamic_stack 0
		.amdhsa_enable_private_segment 0
		.amdhsa_system_sgpr_workgroup_id_x 1
		.amdhsa_system_sgpr_workgroup_id_y 0
		.amdhsa_system_sgpr_workgroup_id_z 0
		.amdhsa_system_sgpr_workgroup_info 0
		.amdhsa_system_vgpr_workitem_id 0
		.amdhsa_next_free_vgpr 1
		.amdhsa_next_free_sgpr 1
		.amdhsa_named_barrier_count 0
		.amdhsa_reserve_vcc 0
		.amdhsa_float_round_mode_32 0
		.amdhsa_float_round_mode_16_64 0
		.amdhsa_float_denorm_mode_32 3
		.amdhsa_float_denorm_mode_16_64 3
		.amdhsa_fp16_overflow 0
		.amdhsa_memory_ordered 1
		.amdhsa_forward_progress 1
		.amdhsa_inst_pref_size 0
		.amdhsa_round_robin_scheduling 0
		.amdhsa_exception_fp_ieee_invalid_op 0
		.amdhsa_exception_fp_denorm_src 0
		.amdhsa_exception_fp_ieee_div_zero 0
		.amdhsa_exception_fp_ieee_overflow 0
		.amdhsa_exception_fp_ieee_underflow 0
		.amdhsa_exception_fp_ieee_inexact 0
		.amdhsa_exception_int_div_zero 0
	.end_amdhsa_kernel
	.section	.text._ZN7rocprim17ROCPRIM_400000_NS6detail17trampoline_kernelINS0_14default_configENS1_27scan_by_key_config_selectorIxxEEZZNS1_16scan_by_key_implILNS1_25lookback_scan_determinismE0ELb1ES3_N6thrust23THRUST_200600_302600_NS6detail15normal_iteratorINS9_10device_ptrIxEEEESE_SE_xNS9_4plusIvEENS9_8equal_toIvEExEE10hipError_tPvRmT2_T3_T4_T5_mT6_T7_P12ihipStream_tbENKUlT_T0_E_clISt17integral_constantIbLb1EESZ_EEDaSU_SV_EUlSU_E_NS1_11comp_targetILNS1_3genE10ELNS1_11target_archE1200ELNS1_3gpuE4ELNS1_3repE0EEENS1_30default_config_static_selectorELNS0_4arch9wavefront6targetE0EEEvT1_,"axG",@progbits,_ZN7rocprim17ROCPRIM_400000_NS6detail17trampoline_kernelINS0_14default_configENS1_27scan_by_key_config_selectorIxxEEZZNS1_16scan_by_key_implILNS1_25lookback_scan_determinismE0ELb1ES3_N6thrust23THRUST_200600_302600_NS6detail15normal_iteratorINS9_10device_ptrIxEEEESE_SE_xNS9_4plusIvEENS9_8equal_toIvEExEE10hipError_tPvRmT2_T3_T4_T5_mT6_T7_P12ihipStream_tbENKUlT_T0_E_clISt17integral_constantIbLb1EESZ_EEDaSU_SV_EUlSU_E_NS1_11comp_targetILNS1_3genE10ELNS1_11target_archE1200ELNS1_3gpuE4ELNS1_3repE0EEENS1_30default_config_static_selectorELNS0_4arch9wavefront6targetE0EEEvT1_,comdat
.Lfunc_end368:
	.size	_ZN7rocprim17ROCPRIM_400000_NS6detail17trampoline_kernelINS0_14default_configENS1_27scan_by_key_config_selectorIxxEEZZNS1_16scan_by_key_implILNS1_25lookback_scan_determinismE0ELb1ES3_N6thrust23THRUST_200600_302600_NS6detail15normal_iteratorINS9_10device_ptrIxEEEESE_SE_xNS9_4plusIvEENS9_8equal_toIvEExEE10hipError_tPvRmT2_T3_T4_T5_mT6_T7_P12ihipStream_tbENKUlT_T0_E_clISt17integral_constantIbLb1EESZ_EEDaSU_SV_EUlSU_E_NS1_11comp_targetILNS1_3genE10ELNS1_11target_archE1200ELNS1_3gpuE4ELNS1_3repE0EEENS1_30default_config_static_selectorELNS0_4arch9wavefront6targetE0EEEvT1_, .Lfunc_end368-_ZN7rocprim17ROCPRIM_400000_NS6detail17trampoline_kernelINS0_14default_configENS1_27scan_by_key_config_selectorIxxEEZZNS1_16scan_by_key_implILNS1_25lookback_scan_determinismE0ELb1ES3_N6thrust23THRUST_200600_302600_NS6detail15normal_iteratorINS9_10device_ptrIxEEEESE_SE_xNS9_4plusIvEENS9_8equal_toIvEExEE10hipError_tPvRmT2_T3_T4_T5_mT6_T7_P12ihipStream_tbENKUlT_T0_E_clISt17integral_constantIbLb1EESZ_EEDaSU_SV_EUlSU_E_NS1_11comp_targetILNS1_3genE10ELNS1_11target_archE1200ELNS1_3gpuE4ELNS1_3repE0EEENS1_30default_config_static_selectorELNS0_4arch9wavefront6targetE0EEEvT1_
                                        ; -- End function
	.set _ZN7rocprim17ROCPRIM_400000_NS6detail17trampoline_kernelINS0_14default_configENS1_27scan_by_key_config_selectorIxxEEZZNS1_16scan_by_key_implILNS1_25lookback_scan_determinismE0ELb1ES3_N6thrust23THRUST_200600_302600_NS6detail15normal_iteratorINS9_10device_ptrIxEEEESE_SE_xNS9_4plusIvEENS9_8equal_toIvEExEE10hipError_tPvRmT2_T3_T4_T5_mT6_T7_P12ihipStream_tbENKUlT_T0_E_clISt17integral_constantIbLb1EESZ_EEDaSU_SV_EUlSU_E_NS1_11comp_targetILNS1_3genE10ELNS1_11target_archE1200ELNS1_3gpuE4ELNS1_3repE0EEENS1_30default_config_static_selectorELNS0_4arch9wavefront6targetE0EEEvT1_.num_vgpr, 0
	.set _ZN7rocprim17ROCPRIM_400000_NS6detail17trampoline_kernelINS0_14default_configENS1_27scan_by_key_config_selectorIxxEEZZNS1_16scan_by_key_implILNS1_25lookback_scan_determinismE0ELb1ES3_N6thrust23THRUST_200600_302600_NS6detail15normal_iteratorINS9_10device_ptrIxEEEESE_SE_xNS9_4plusIvEENS9_8equal_toIvEExEE10hipError_tPvRmT2_T3_T4_T5_mT6_T7_P12ihipStream_tbENKUlT_T0_E_clISt17integral_constantIbLb1EESZ_EEDaSU_SV_EUlSU_E_NS1_11comp_targetILNS1_3genE10ELNS1_11target_archE1200ELNS1_3gpuE4ELNS1_3repE0EEENS1_30default_config_static_selectorELNS0_4arch9wavefront6targetE0EEEvT1_.num_agpr, 0
	.set _ZN7rocprim17ROCPRIM_400000_NS6detail17trampoline_kernelINS0_14default_configENS1_27scan_by_key_config_selectorIxxEEZZNS1_16scan_by_key_implILNS1_25lookback_scan_determinismE0ELb1ES3_N6thrust23THRUST_200600_302600_NS6detail15normal_iteratorINS9_10device_ptrIxEEEESE_SE_xNS9_4plusIvEENS9_8equal_toIvEExEE10hipError_tPvRmT2_T3_T4_T5_mT6_T7_P12ihipStream_tbENKUlT_T0_E_clISt17integral_constantIbLb1EESZ_EEDaSU_SV_EUlSU_E_NS1_11comp_targetILNS1_3genE10ELNS1_11target_archE1200ELNS1_3gpuE4ELNS1_3repE0EEENS1_30default_config_static_selectorELNS0_4arch9wavefront6targetE0EEEvT1_.numbered_sgpr, 0
	.set _ZN7rocprim17ROCPRIM_400000_NS6detail17trampoline_kernelINS0_14default_configENS1_27scan_by_key_config_selectorIxxEEZZNS1_16scan_by_key_implILNS1_25lookback_scan_determinismE0ELb1ES3_N6thrust23THRUST_200600_302600_NS6detail15normal_iteratorINS9_10device_ptrIxEEEESE_SE_xNS9_4plusIvEENS9_8equal_toIvEExEE10hipError_tPvRmT2_T3_T4_T5_mT6_T7_P12ihipStream_tbENKUlT_T0_E_clISt17integral_constantIbLb1EESZ_EEDaSU_SV_EUlSU_E_NS1_11comp_targetILNS1_3genE10ELNS1_11target_archE1200ELNS1_3gpuE4ELNS1_3repE0EEENS1_30default_config_static_selectorELNS0_4arch9wavefront6targetE0EEEvT1_.num_named_barrier, 0
	.set _ZN7rocprim17ROCPRIM_400000_NS6detail17trampoline_kernelINS0_14default_configENS1_27scan_by_key_config_selectorIxxEEZZNS1_16scan_by_key_implILNS1_25lookback_scan_determinismE0ELb1ES3_N6thrust23THRUST_200600_302600_NS6detail15normal_iteratorINS9_10device_ptrIxEEEESE_SE_xNS9_4plusIvEENS9_8equal_toIvEExEE10hipError_tPvRmT2_T3_T4_T5_mT6_T7_P12ihipStream_tbENKUlT_T0_E_clISt17integral_constantIbLb1EESZ_EEDaSU_SV_EUlSU_E_NS1_11comp_targetILNS1_3genE10ELNS1_11target_archE1200ELNS1_3gpuE4ELNS1_3repE0EEENS1_30default_config_static_selectorELNS0_4arch9wavefront6targetE0EEEvT1_.private_seg_size, 0
	.set _ZN7rocprim17ROCPRIM_400000_NS6detail17trampoline_kernelINS0_14default_configENS1_27scan_by_key_config_selectorIxxEEZZNS1_16scan_by_key_implILNS1_25lookback_scan_determinismE0ELb1ES3_N6thrust23THRUST_200600_302600_NS6detail15normal_iteratorINS9_10device_ptrIxEEEESE_SE_xNS9_4plusIvEENS9_8equal_toIvEExEE10hipError_tPvRmT2_T3_T4_T5_mT6_T7_P12ihipStream_tbENKUlT_T0_E_clISt17integral_constantIbLb1EESZ_EEDaSU_SV_EUlSU_E_NS1_11comp_targetILNS1_3genE10ELNS1_11target_archE1200ELNS1_3gpuE4ELNS1_3repE0EEENS1_30default_config_static_selectorELNS0_4arch9wavefront6targetE0EEEvT1_.uses_vcc, 0
	.set _ZN7rocprim17ROCPRIM_400000_NS6detail17trampoline_kernelINS0_14default_configENS1_27scan_by_key_config_selectorIxxEEZZNS1_16scan_by_key_implILNS1_25lookback_scan_determinismE0ELb1ES3_N6thrust23THRUST_200600_302600_NS6detail15normal_iteratorINS9_10device_ptrIxEEEESE_SE_xNS9_4plusIvEENS9_8equal_toIvEExEE10hipError_tPvRmT2_T3_T4_T5_mT6_T7_P12ihipStream_tbENKUlT_T0_E_clISt17integral_constantIbLb1EESZ_EEDaSU_SV_EUlSU_E_NS1_11comp_targetILNS1_3genE10ELNS1_11target_archE1200ELNS1_3gpuE4ELNS1_3repE0EEENS1_30default_config_static_selectorELNS0_4arch9wavefront6targetE0EEEvT1_.uses_flat_scratch, 0
	.set _ZN7rocprim17ROCPRIM_400000_NS6detail17trampoline_kernelINS0_14default_configENS1_27scan_by_key_config_selectorIxxEEZZNS1_16scan_by_key_implILNS1_25lookback_scan_determinismE0ELb1ES3_N6thrust23THRUST_200600_302600_NS6detail15normal_iteratorINS9_10device_ptrIxEEEESE_SE_xNS9_4plusIvEENS9_8equal_toIvEExEE10hipError_tPvRmT2_T3_T4_T5_mT6_T7_P12ihipStream_tbENKUlT_T0_E_clISt17integral_constantIbLb1EESZ_EEDaSU_SV_EUlSU_E_NS1_11comp_targetILNS1_3genE10ELNS1_11target_archE1200ELNS1_3gpuE4ELNS1_3repE0EEENS1_30default_config_static_selectorELNS0_4arch9wavefront6targetE0EEEvT1_.has_dyn_sized_stack, 0
	.set _ZN7rocprim17ROCPRIM_400000_NS6detail17trampoline_kernelINS0_14default_configENS1_27scan_by_key_config_selectorIxxEEZZNS1_16scan_by_key_implILNS1_25lookback_scan_determinismE0ELb1ES3_N6thrust23THRUST_200600_302600_NS6detail15normal_iteratorINS9_10device_ptrIxEEEESE_SE_xNS9_4plusIvEENS9_8equal_toIvEExEE10hipError_tPvRmT2_T3_T4_T5_mT6_T7_P12ihipStream_tbENKUlT_T0_E_clISt17integral_constantIbLb1EESZ_EEDaSU_SV_EUlSU_E_NS1_11comp_targetILNS1_3genE10ELNS1_11target_archE1200ELNS1_3gpuE4ELNS1_3repE0EEENS1_30default_config_static_selectorELNS0_4arch9wavefront6targetE0EEEvT1_.has_recursion, 0
	.set _ZN7rocprim17ROCPRIM_400000_NS6detail17trampoline_kernelINS0_14default_configENS1_27scan_by_key_config_selectorIxxEEZZNS1_16scan_by_key_implILNS1_25lookback_scan_determinismE0ELb1ES3_N6thrust23THRUST_200600_302600_NS6detail15normal_iteratorINS9_10device_ptrIxEEEESE_SE_xNS9_4plusIvEENS9_8equal_toIvEExEE10hipError_tPvRmT2_T3_T4_T5_mT6_T7_P12ihipStream_tbENKUlT_T0_E_clISt17integral_constantIbLb1EESZ_EEDaSU_SV_EUlSU_E_NS1_11comp_targetILNS1_3genE10ELNS1_11target_archE1200ELNS1_3gpuE4ELNS1_3repE0EEENS1_30default_config_static_selectorELNS0_4arch9wavefront6targetE0EEEvT1_.has_indirect_call, 0
	.section	.AMDGPU.csdata,"",@progbits
; Kernel info:
; codeLenInByte = 0
; TotalNumSgprs: 0
; NumVgprs: 0
; ScratchSize: 0
; MemoryBound: 0
; FloatMode: 240
; IeeeMode: 1
; LDSByteSize: 0 bytes/workgroup (compile time only)
; SGPRBlocks: 0
; VGPRBlocks: 0
; NumSGPRsForWavesPerEU: 1
; NumVGPRsForWavesPerEU: 1
; NamedBarCnt: 0
; Occupancy: 16
; WaveLimiterHint : 0
; COMPUTE_PGM_RSRC2:SCRATCH_EN: 0
; COMPUTE_PGM_RSRC2:USER_SGPR: 2
; COMPUTE_PGM_RSRC2:TRAP_HANDLER: 0
; COMPUTE_PGM_RSRC2:TGID_X_EN: 1
; COMPUTE_PGM_RSRC2:TGID_Y_EN: 0
; COMPUTE_PGM_RSRC2:TGID_Z_EN: 0
; COMPUTE_PGM_RSRC2:TIDIG_COMP_CNT: 0
	.section	.text._ZN7rocprim17ROCPRIM_400000_NS6detail17trampoline_kernelINS0_14default_configENS1_27scan_by_key_config_selectorIxxEEZZNS1_16scan_by_key_implILNS1_25lookback_scan_determinismE0ELb1ES3_N6thrust23THRUST_200600_302600_NS6detail15normal_iteratorINS9_10device_ptrIxEEEESE_SE_xNS9_4plusIvEENS9_8equal_toIvEExEE10hipError_tPvRmT2_T3_T4_T5_mT6_T7_P12ihipStream_tbENKUlT_T0_E_clISt17integral_constantIbLb1EESZ_EEDaSU_SV_EUlSU_E_NS1_11comp_targetILNS1_3genE9ELNS1_11target_archE1100ELNS1_3gpuE3ELNS1_3repE0EEENS1_30default_config_static_selectorELNS0_4arch9wavefront6targetE0EEEvT1_,"axG",@progbits,_ZN7rocprim17ROCPRIM_400000_NS6detail17trampoline_kernelINS0_14default_configENS1_27scan_by_key_config_selectorIxxEEZZNS1_16scan_by_key_implILNS1_25lookback_scan_determinismE0ELb1ES3_N6thrust23THRUST_200600_302600_NS6detail15normal_iteratorINS9_10device_ptrIxEEEESE_SE_xNS9_4plusIvEENS9_8equal_toIvEExEE10hipError_tPvRmT2_T3_T4_T5_mT6_T7_P12ihipStream_tbENKUlT_T0_E_clISt17integral_constantIbLb1EESZ_EEDaSU_SV_EUlSU_E_NS1_11comp_targetILNS1_3genE9ELNS1_11target_archE1100ELNS1_3gpuE3ELNS1_3repE0EEENS1_30default_config_static_selectorELNS0_4arch9wavefront6targetE0EEEvT1_,comdat
	.protected	_ZN7rocprim17ROCPRIM_400000_NS6detail17trampoline_kernelINS0_14default_configENS1_27scan_by_key_config_selectorIxxEEZZNS1_16scan_by_key_implILNS1_25lookback_scan_determinismE0ELb1ES3_N6thrust23THRUST_200600_302600_NS6detail15normal_iteratorINS9_10device_ptrIxEEEESE_SE_xNS9_4plusIvEENS9_8equal_toIvEExEE10hipError_tPvRmT2_T3_T4_T5_mT6_T7_P12ihipStream_tbENKUlT_T0_E_clISt17integral_constantIbLb1EESZ_EEDaSU_SV_EUlSU_E_NS1_11comp_targetILNS1_3genE9ELNS1_11target_archE1100ELNS1_3gpuE3ELNS1_3repE0EEENS1_30default_config_static_selectorELNS0_4arch9wavefront6targetE0EEEvT1_ ; -- Begin function _ZN7rocprim17ROCPRIM_400000_NS6detail17trampoline_kernelINS0_14default_configENS1_27scan_by_key_config_selectorIxxEEZZNS1_16scan_by_key_implILNS1_25lookback_scan_determinismE0ELb1ES3_N6thrust23THRUST_200600_302600_NS6detail15normal_iteratorINS9_10device_ptrIxEEEESE_SE_xNS9_4plusIvEENS9_8equal_toIvEExEE10hipError_tPvRmT2_T3_T4_T5_mT6_T7_P12ihipStream_tbENKUlT_T0_E_clISt17integral_constantIbLb1EESZ_EEDaSU_SV_EUlSU_E_NS1_11comp_targetILNS1_3genE9ELNS1_11target_archE1100ELNS1_3gpuE3ELNS1_3repE0EEENS1_30default_config_static_selectorELNS0_4arch9wavefront6targetE0EEEvT1_
	.globl	_ZN7rocprim17ROCPRIM_400000_NS6detail17trampoline_kernelINS0_14default_configENS1_27scan_by_key_config_selectorIxxEEZZNS1_16scan_by_key_implILNS1_25lookback_scan_determinismE0ELb1ES3_N6thrust23THRUST_200600_302600_NS6detail15normal_iteratorINS9_10device_ptrIxEEEESE_SE_xNS9_4plusIvEENS9_8equal_toIvEExEE10hipError_tPvRmT2_T3_T4_T5_mT6_T7_P12ihipStream_tbENKUlT_T0_E_clISt17integral_constantIbLb1EESZ_EEDaSU_SV_EUlSU_E_NS1_11comp_targetILNS1_3genE9ELNS1_11target_archE1100ELNS1_3gpuE3ELNS1_3repE0EEENS1_30default_config_static_selectorELNS0_4arch9wavefront6targetE0EEEvT1_
	.p2align	8
	.type	_ZN7rocprim17ROCPRIM_400000_NS6detail17trampoline_kernelINS0_14default_configENS1_27scan_by_key_config_selectorIxxEEZZNS1_16scan_by_key_implILNS1_25lookback_scan_determinismE0ELb1ES3_N6thrust23THRUST_200600_302600_NS6detail15normal_iteratorINS9_10device_ptrIxEEEESE_SE_xNS9_4plusIvEENS9_8equal_toIvEExEE10hipError_tPvRmT2_T3_T4_T5_mT6_T7_P12ihipStream_tbENKUlT_T0_E_clISt17integral_constantIbLb1EESZ_EEDaSU_SV_EUlSU_E_NS1_11comp_targetILNS1_3genE9ELNS1_11target_archE1100ELNS1_3gpuE3ELNS1_3repE0EEENS1_30default_config_static_selectorELNS0_4arch9wavefront6targetE0EEEvT1_,@function
_ZN7rocprim17ROCPRIM_400000_NS6detail17trampoline_kernelINS0_14default_configENS1_27scan_by_key_config_selectorIxxEEZZNS1_16scan_by_key_implILNS1_25lookback_scan_determinismE0ELb1ES3_N6thrust23THRUST_200600_302600_NS6detail15normal_iteratorINS9_10device_ptrIxEEEESE_SE_xNS9_4plusIvEENS9_8equal_toIvEExEE10hipError_tPvRmT2_T3_T4_T5_mT6_T7_P12ihipStream_tbENKUlT_T0_E_clISt17integral_constantIbLb1EESZ_EEDaSU_SV_EUlSU_E_NS1_11comp_targetILNS1_3genE9ELNS1_11target_archE1100ELNS1_3gpuE3ELNS1_3repE0EEENS1_30default_config_static_selectorELNS0_4arch9wavefront6targetE0EEEvT1_: ; @_ZN7rocprim17ROCPRIM_400000_NS6detail17trampoline_kernelINS0_14default_configENS1_27scan_by_key_config_selectorIxxEEZZNS1_16scan_by_key_implILNS1_25lookback_scan_determinismE0ELb1ES3_N6thrust23THRUST_200600_302600_NS6detail15normal_iteratorINS9_10device_ptrIxEEEESE_SE_xNS9_4plusIvEENS9_8equal_toIvEExEE10hipError_tPvRmT2_T3_T4_T5_mT6_T7_P12ihipStream_tbENKUlT_T0_E_clISt17integral_constantIbLb1EESZ_EEDaSU_SV_EUlSU_E_NS1_11comp_targetILNS1_3genE9ELNS1_11target_archE1100ELNS1_3gpuE3ELNS1_3repE0EEENS1_30default_config_static_selectorELNS0_4arch9wavefront6targetE0EEEvT1_
; %bb.0:
	.section	.rodata,"a",@progbits
	.p2align	6, 0x0
	.amdhsa_kernel _ZN7rocprim17ROCPRIM_400000_NS6detail17trampoline_kernelINS0_14default_configENS1_27scan_by_key_config_selectorIxxEEZZNS1_16scan_by_key_implILNS1_25lookback_scan_determinismE0ELb1ES3_N6thrust23THRUST_200600_302600_NS6detail15normal_iteratorINS9_10device_ptrIxEEEESE_SE_xNS9_4plusIvEENS9_8equal_toIvEExEE10hipError_tPvRmT2_T3_T4_T5_mT6_T7_P12ihipStream_tbENKUlT_T0_E_clISt17integral_constantIbLb1EESZ_EEDaSU_SV_EUlSU_E_NS1_11comp_targetILNS1_3genE9ELNS1_11target_archE1100ELNS1_3gpuE3ELNS1_3repE0EEENS1_30default_config_static_selectorELNS0_4arch9wavefront6targetE0EEEvT1_
		.amdhsa_group_segment_fixed_size 0
		.amdhsa_private_segment_fixed_size 0
		.amdhsa_kernarg_size 136
		.amdhsa_user_sgpr_count 2
		.amdhsa_user_sgpr_dispatch_ptr 0
		.amdhsa_user_sgpr_queue_ptr 0
		.amdhsa_user_sgpr_kernarg_segment_ptr 1
		.amdhsa_user_sgpr_dispatch_id 0
		.amdhsa_user_sgpr_kernarg_preload_length 0
		.amdhsa_user_sgpr_kernarg_preload_offset 0
		.amdhsa_user_sgpr_private_segment_size 0
		.amdhsa_wavefront_size32 1
		.amdhsa_uses_dynamic_stack 0
		.amdhsa_enable_private_segment 0
		.amdhsa_system_sgpr_workgroup_id_x 1
		.amdhsa_system_sgpr_workgroup_id_y 0
		.amdhsa_system_sgpr_workgroup_id_z 0
		.amdhsa_system_sgpr_workgroup_info 0
		.amdhsa_system_vgpr_workitem_id 0
		.amdhsa_next_free_vgpr 1
		.amdhsa_next_free_sgpr 1
		.amdhsa_named_barrier_count 0
		.amdhsa_reserve_vcc 0
		.amdhsa_float_round_mode_32 0
		.amdhsa_float_round_mode_16_64 0
		.amdhsa_float_denorm_mode_32 3
		.amdhsa_float_denorm_mode_16_64 3
		.amdhsa_fp16_overflow 0
		.amdhsa_memory_ordered 1
		.amdhsa_forward_progress 1
		.amdhsa_inst_pref_size 0
		.amdhsa_round_robin_scheduling 0
		.amdhsa_exception_fp_ieee_invalid_op 0
		.amdhsa_exception_fp_denorm_src 0
		.amdhsa_exception_fp_ieee_div_zero 0
		.amdhsa_exception_fp_ieee_overflow 0
		.amdhsa_exception_fp_ieee_underflow 0
		.amdhsa_exception_fp_ieee_inexact 0
		.amdhsa_exception_int_div_zero 0
	.end_amdhsa_kernel
	.section	.text._ZN7rocprim17ROCPRIM_400000_NS6detail17trampoline_kernelINS0_14default_configENS1_27scan_by_key_config_selectorIxxEEZZNS1_16scan_by_key_implILNS1_25lookback_scan_determinismE0ELb1ES3_N6thrust23THRUST_200600_302600_NS6detail15normal_iteratorINS9_10device_ptrIxEEEESE_SE_xNS9_4plusIvEENS9_8equal_toIvEExEE10hipError_tPvRmT2_T3_T4_T5_mT6_T7_P12ihipStream_tbENKUlT_T0_E_clISt17integral_constantIbLb1EESZ_EEDaSU_SV_EUlSU_E_NS1_11comp_targetILNS1_3genE9ELNS1_11target_archE1100ELNS1_3gpuE3ELNS1_3repE0EEENS1_30default_config_static_selectorELNS0_4arch9wavefront6targetE0EEEvT1_,"axG",@progbits,_ZN7rocprim17ROCPRIM_400000_NS6detail17trampoline_kernelINS0_14default_configENS1_27scan_by_key_config_selectorIxxEEZZNS1_16scan_by_key_implILNS1_25lookback_scan_determinismE0ELb1ES3_N6thrust23THRUST_200600_302600_NS6detail15normal_iteratorINS9_10device_ptrIxEEEESE_SE_xNS9_4plusIvEENS9_8equal_toIvEExEE10hipError_tPvRmT2_T3_T4_T5_mT6_T7_P12ihipStream_tbENKUlT_T0_E_clISt17integral_constantIbLb1EESZ_EEDaSU_SV_EUlSU_E_NS1_11comp_targetILNS1_3genE9ELNS1_11target_archE1100ELNS1_3gpuE3ELNS1_3repE0EEENS1_30default_config_static_selectorELNS0_4arch9wavefront6targetE0EEEvT1_,comdat
.Lfunc_end369:
	.size	_ZN7rocprim17ROCPRIM_400000_NS6detail17trampoline_kernelINS0_14default_configENS1_27scan_by_key_config_selectorIxxEEZZNS1_16scan_by_key_implILNS1_25lookback_scan_determinismE0ELb1ES3_N6thrust23THRUST_200600_302600_NS6detail15normal_iteratorINS9_10device_ptrIxEEEESE_SE_xNS9_4plusIvEENS9_8equal_toIvEExEE10hipError_tPvRmT2_T3_T4_T5_mT6_T7_P12ihipStream_tbENKUlT_T0_E_clISt17integral_constantIbLb1EESZ_EEDaSU_SV_EUlSU_E_NS1_11comp_targetILNS1_3genE9ELNS1_11target_archE1100ELNS1_3gpuE3ELNS1_3repE0EEENS1_30default_config_static_selectorELNS0_4arch9wavefront6targetE0EEEvT1_, .Lfunc_end369-_ZN7rocprim17ROCPRIM_400000_NS6detail17trampoline_kernelINS0_14default_configENS1_27scan_by_key_config_selectorIxxEEZZNS1_16scan_by_key_implILNS1_25lookback_scan_determinismE0ELb1ES3_N6thrust23THRUST_200600_302600_NS6detail15normal_iteratorINS9_10device_ptrIxEEEESE_SE_xNS9_4plusIvEENS9_8equal_toIvEExEE10hipError_tPvRmT2_T3_T4_T5_mT6_T7_P12ihipStream_tbENKUlT_T0_E_clISt17integral_constantIbLb1EESZ_EEDaSU_SV_EUlSU_E_NS1_11comp_targetILNS1_3genE9ELNS1_11target_archE1100ELNS1_3gpuE3ELNS1_3repE0EEENS1_30default_config_static_selectorELNS0_4arch9wavefront6targetE0EEEvT1_
                                        ; -- End function
	.set _ZN7rocprim17ROCPRIM_400000_NS6detail17trampoline_kernelINS0_14default_configENS1_27scan_by_key_config_selectorIxxEEZZNS1_16scan_by_key_implILNS1_25lookback_scan_determinismE0ELb1ES3_N6thrust23THRUST_200600_302600_NS6detail15normal_iteratorINS9_10device_ptrIxEEEESE_SE_xNS9_4plusIvEENS9_8equal_toIvEExEE10hipError_tPvRmT2_T3_T4_T5_mT6_T7_P12ihipStream_tbENKUlT_T0_E_clISt17integral_constantIbLb1EESZ_EEDaSU_SV_EUlSU_E_NS1_11comp_targetILNS1_3genE9ELNS1_11target_archE1100ELNS1_3gpuE3ELNS1_3repE0EEENS1_30default_config_static_selectorELNS0_4arch9wavefront6targetE0EEEvT1_.num_vgpr, 0
	.set _ZN7rocprim17ROCPRIM_400000_NS6detail17trampoline_kernelINS0_14default_configENS1_27scan_by_key_config_selectorIxxEEZZNS1_16scan_by_key_implILNS1_25lookback_scan_determinismE0ELb1ES3_N6thrust23THRUST_200600_302600_NS6detail15normal_iteratorINS9_10device_ptrIxEEEESE_SE_xNS9_4plusIvEENS9_8equal_toIvEExEE10hipError_tPvRmT2_T3_T4_T5_mT6_T7_P12ihipStream_tbENKUlT_T0_E_clISt17integral_constantIbLb1EESZ_EEDaSU_SV_EUlSU_E_NS1_11comp_targetILNS1_3genE9ELNS1_11target_archE1100ELNS1_3gpuE3ELNS1_3repE0EEENS1_30default_config_static_selectorELNS0_4arch9wavefront6targetE0EEEvT1_.num_agpr, 0
	.set _ZN7rocprim17ROCPRIM_400000_NS6detail17trampoline_kernelINS0_14default_configENS1_27scan_by_key_config_selectorIxxEEZZNS1_16scan_by_key_implILNS1_25lookback_scan_determinismE0ELb1ES3_N6thrust23THRUST_200600_302600_NS6detail15normal_iteratorINS9_10device_ptrIxEEEESE_SE_xNS9_4plusIvEENS9_8equal_toIvEExEE10hipError_tPvRmT2_T3_T4_T5_mT6_T7_P12ihipStream_tbENKUlT_T0_E_clISt17integral_constantIbLb1EESZ_EEDaSU_SV_EUlSU_E_NS1_11comp_targetILNS1_3genE9ELNS1_11target_archE1100ELNS1_3gpuE3ELNS1_3repE0EEENS1_30default_config_static_selectorELNS0_4arch9wavefront6targetE0EEEvT1_.numbered_sgpr, 0
	.set _ZN7rocprim17ROCPRIM_400000_NS6detail17trampoline_kernelINS0_14default_configENS1_27scan_by_key_config_selectorIxxEEZZNS1_16scan_by_key_implILNS1_25lookback_scan_determinismE0ELb1ES3_N6thrust23THRUST_200600_302600_NS6detail15normal_iteratorINS9_10device_ptrIxEEEESE_SE_xNS9_4plusIvEENS9_8equal_toIvEExEE10hipError_tPvRmT2_T3_T4_T5_mT6_T7_P12ihipStream_tbENKUlT_T0_E_clISt17integral_constantIbLb1EESZ_EEDaSU_SV_EUlSU_E_NS1_11comp_targetILNS1_3genE9ELNS1_11target_archE1100ELNS1_3gpuE3ELNS1_3repE0EEENS1_30default_config_static_selectorELNS0_4arch9wavefront6targetE0EEEvT1_.num_named_barrier, 0
	.set _ZN7rocprim17ROCPRIM_400000_NS6detail17trampoline_kernelINS0_14default_configENS1_27scan_by_key_config_selectorIxxEEZZNS1_16scan_by_key_implILNS1_25lookback_scan_determinismE0ELb1ES3_N6thrust23THRUST_200600_302600_NS6detail15normal_iteratorINS9_10device_ptrIxEEEESE_SE_xNS9_4plusIvEENS9_8equal_toIvEExEE10hipError_tPvRmT2_T3_T4_T5_mT6_T7_P12ihipStream_tbENKUlT_T0_E_clISt17integral_constantIbLb1EESZ_EEDaSU_SV_EUlSU_E_NS1_11comp_targetILNS1_3genE9ELNS1_11target_archE1100ELNS1_3gpuE3ELNS1_3repE0EEENS1_30default_config_static_selectorELNS0_4arch9wavefront6targetE0EEEvT1_.private_seg_size, 0
	.set _ZN7rocprim17ROCPRIM_400000_NS6detail17trampoline_kernelINS0_14default_configENS1_27scan_by_key_config_selectorIxxEEZZNS1_16scan_by_key_implILNS1_25lookback_scan_determinismE0ELb1ES3_N6thrust23THRUST_200600_302600_NS6detail15normal_iteratorINS9_10device_ptrIxEEEESE_SE_xNS9_4plusIvEENS9_8equal_toIvEExEE10hipError_tPvRmT2_T3_T4_T5_mT6_T7_P12ihipStream_tbENKUlT_T0_E_clISt17integral_constantIbLb1EESZ_EEDaSU_SV_EUlSU_E_NS1_11comp_targetILNS1_3genE9ELNS1_11target_archE1100ELNS1_3gpuE3ELNS1_3repE0EEENS1_30default_config_static_selectorELNS0_4arch9wavefront6targetE0EEEvT1_.uses_vcc, 0
	.set _ZN7rocprim17ROCPRIM_400000_NS6detail17trampoline_kernelINS0_14default_configENS1_27scan_by_key_config_selectorIxxEEZZNS1_16scan_by_key_implILNS1_25lookback_scan_determinismE0ELb1ES3_N6thrust23THRUST_200600_302600_NS6detail15normal_iteratorINS9_10device_ptrIxEEEESE_SE_xNS9_4plusIvEENS9_8equal_toIvEExEE10hipError_tPvRmT2_T3_T4_T5_mT6_T7_P12ihipStream_tbENKUlT_T0_E_clISt17integral_constantIbLb1EESZ_EEDaSU_SV_EUlSU_E_NS1_11comp_targetILNS1_3genE9ELNS1_11target_archE1100ELNS1_3gpuE3ELNS1_3repE0EEENS1_30default_config_static_selectorELNS0_4arch9wavefront6targetE0EEEvT1_.uses_flat_scratch, 0
	.set _ZN7rocprim17ROCPRIM_400000_NS6detail17trampoline_kernelINS0_14default_configENS1_27scan_by_key_config_selectorIxxEEZZNS1_16scan_by_key_implILNS1_25lookback_scan_determinismE0ELb1ES3_N6thrust23THRUST_200600_302600_NS6detail15normal_iteratorINS9_10device_ptrIxEEEESE_SE_xNS9_4plusIvEENS9_8equal_toIvEExEE10hipError_tPvRmT2_T3_T4_T5_mT6_T7_P12ihipStream_tbENKUlT_T0_E_clISt17integral_constantIbLb1EESZ_EEDaSU_SV_EUlSU_E_NS1_11comp_targetILNS1_3genE9ELNS1_11target_archE1100ELNS1_3gpuE3ELNS1_3repE0EEENS1_30default_config_static_selectorELNS0_4arch9wavefront6targetE0EEEvT1_.has_dyn_sized_stack, 0
	.set _ZN7rocprim17ROCPRIM_400000_NS6detail17trampoline_kernelINS0_14default_configENS1_27scan_by_key_config_selectorIxxEEZZNS1_16scan_by_key_implILNS1_25lookback_scan_determinismE0ELb1ES3_N6thrust23THRUST_200600_302600_NS6detail15normal_iteratorINS9_10device_ptrIxEEEESE_SE_xNS9_4plusIvEENS9_8equal_toIvEExEE10hipError_tPvRmT2_T3_T4_T5_mT6_T7_P12ihipStream_tbENKUlT_T0_E_clISt17integral_constantIbLb1EESZ_EEDaSU_SV_EUlSU_E_NS1_11comp_targetILNS1_3genE9ELNS1_11target_archE1100ELNS1_3gpuE3ELNS1_3repE0EEENS1_30default_config_static_selectorELNS0_4arch9wavefront6targetE0EEEvT1_.has_recursion, 0
	.set _ZN7rocprim17ROCPRIM_400000_NS6detail17trampoline_kernelINS0_14default_configENS1_27scan_by_key_config_selectorIxxEEZZNS1_16scan_by_key_implILNS1_25lookback_scan_determinismE0ELb1ES3_N6thrust23THRUST_200600_302600_NS6detail15normal_iteratorINS9_10device_ptrIxEEEESE_SE_xNS9_4plusIvEENS9_8equal_toIvEExEE10hipError_tPvRmT2_T3_T4_T5_mT6_T7_P12ihipStream_tbENKUlT_T0_E_clISt17integral_constantIbLb1EESZ_EEDaSU_SV_EUlSU_E_NS1_11comp_targetILNS1_3genE9ELNS1_11target_archE1100ELNS1_3gpuE3ELNS1_3repE0EEENS1_30default_config_static_selectorELNS0_4arch9wavefront6targetE0EEEvT1_.has_indirect_call, 0
	.section	.AMDGPU.csdata,"",@progbits
; Kernel info:
; codeLenInByte = 0
; TotalNumSgprs: 0
; NumVgprs: 0
; ScratchSize: 0
; MemoryBound: 0
; FloatMode: 240
; IeeeMode: 1
; LDSByteSize: 0 bytes/workgroup (compile time only)
; SGPRBlocks: 0
; VGPRBlocks: 0
; NumSGPRsForWavesPerEU: 1
; NumVGPRsForWavesPerEU: 1
; NamedBarCnt: 0
; Occupancy: 16
; WaveLimiterHint : 0
; COMPUTE_PGM_RSRC2:SCRATCH_EN: 0
; COMPUTE_PGM_RSRC2:USER_SGPR: 2
; COMPUTE_PGM_RSRC2:TRAP_HANDLER: 0
; COMPUTE_PGM_RSRC2:TGID_X_EN: 1
; COMPUTE_PGM_RSRC2:TGID_Y_EN: 0
; COMPUTE_PGM_RSRC2:TGID_Z_EN: 0
; COMPUTE_PGM_RSRC2:TIDIG_COMP_CNT: 0
	.section	.text._ZN7rocprim17ROCPRIM_400000_NS6detail17trampoline_kernelINS0_14default_configENS1_27scan_by_key_config_selectorIxxEEZZNS1_16scan_by_key_implILNS1_25lookback_scan_determinismE0ELb1ES3_N6thrust23THRUST_200600_302600_NS6detail15normal_iteratorINS9_10device_ptrIxEEEESE_SE_xNS9_4plusIvEENS9_8equal_toIvEExEE10hipError_tPvRmT2_T3_T4_T5_mT6_T7_P12ihipStream_tbENKUlT_T0_E_clISt17integral_constantIbLb1EESZ_EEDaSU_SV_EUlSU_E_NS1_11comp_targetILNS1_3genE8ELNS1_11target_archE1030ELNS1_3gpuE2ELNS1_3repE0EEENS1_30default_config_static_selectorELNS0_4arch9wavefront6targetE0EEEvT1_,"axG",@progbits,_ZN7rocprim17ROCPRIM_400000_NS6detail17trampoline_kernelINS0_14default_configENS1_27scan_by_key_config_selectorIxxEEZZNS1_16scan_by_key_implILNS1_25lookback_scan_determinismE0ELb1ES3_N6thrust23THRUST_200600_302600_NS6detail15normal_iteratorINS9_10device_ptrIxEEEESE_SE_xNS9_4plusIvEENS9_8equal_toIvEExEE10hipError_tPvRmT2_T3_T4_T5_mT6_T7_P12ihipStream_tbENKUlT_T0_E_clISt17integral_constantIbLb1EESZ_EEDaSU_SV_EUlSU_E_NS1_11comp_targetILNS1_3genE8ELNS1_11target_archE1030ELNS1_3gpuE2ELNS1_3repE0EEENS1_30default_config_static_selectorELNS0_4arch9wavefront6targetE0EEEvT1_,comdat
	.protected	_ZN7rocprim17ROCPRIM_400000_NS6detail17trampoline_kernelINS0_14default_configENS1_27scan_by_key_config_selectorIxxEEZZNS1_16scan_by_key_implILNS1_25lookback_scan_determinismE0ELb1ES3_N6thrust23THRUST_200600_302600_NS6detail15normal_iteratorINS9_10device_ptrIxEEEESE_SE_xNS9_4plusIvEENS9_8equal_toIvEExEE10hipError_tPvRmT2_T3_T4_T5_mT6_T7_P12ihipStream_tbENKUlT_T0_E_clISt17integral_constantIbLb1EESZ_EEDaSU_SV_EUlSU_E_NS1_11comp_targetILNS1_3genE8ELNS1_11target_archE1030ELNS1_3gpuE2ELNS1_3repE0EEENS1_30default_config_static_selectorELNS0_4arch9wavefront6targetE0EEEvT1_ ; -- Begin function _ZN7rocprim17ROCPRIM_400000_NS6detail17trampoline_kernelINS0_14default_configENS1_27scan_by_key_config_selectorIxxEEZZNS1_16scan_by_key_implILNS1_25lookback_scan_determinismE0ELb1ES3_N6thrust23THRUST_200600_302600_NS6detail15normal_iteratorINS9_10device_ptrIxEEEESE_SE_xNS9_4plusIvEENS9_8equal_toIvEExEE10hipError_tPvRmT2_T3_T4_T5_mT6_T7_P12ihipStream_tbENKUlT_T0_E_clISt17integral_constantIbLb1EESZ_EEDaSU_SV_EUlSU_E_NS1_11comp_targetILNS1_3genE8ELNS1_11target_archE1030ELNS1_3gpuE2ELNS1_3repE0EEENS1_30default_config_static_selectorELNS0_4arch9wavefront6targetE0EEEvT1_
	.globl	_ZN7rocprim17ROCPRIM_400000_NS6detail17trampoline_kernelINS0_14default_configENS1_27scan_by_key_config_selectorIxxEEZZNS1_16scan_by_key_implILNS1_25lookback_scan_determinismE0ELb1ES3_N6thrust23THRUST_200600_302600_NS6detail15normal_iteratorINS9_10device_ptrIxEEEESE_SE_xNS9_4plusIvEENS9_8equal_toIvEExEE10hipError_tPvRmT2_T3_T4_T5_mT6_T7_P12ihipStream_tbENKUlT_T0_E_clISt17integral_constantIbLb1EESZ_EEDaSU_SV_EUlSU_E_NS1_11comp_targetILNS1_3genE8ELNS1_11target_archE1030ELNS1_3gpuE2ELNS1_3repE0EEENS1_30default_config_static_selectorELNS0_4arch9wavefront6targetE0EEEvT1_
	.p2align	8
	.type	_ZN7rocprim17ROCPRIM_400000_NS6detail17trampoline_kernelINS0_14default_configENS1_27scan_by_key_config_selectorIxxEEZZNS1_16scan_by_key_implILNS1_25lookback_scan_determinismE0ELb1ES3_N6thrust23THRUST_200600_302600_NS6detail15normal_iteratorINS9_10device_ptrIxEEEESE_SE_xNS9_4plusIvEENS9_8equal_toIvEExEE10hipError_tPvRmT2_T3_T4_T5_mT6_T7_P12ihipStream_tbENKUlT_T0_E_clISt17integral_constantIbLb1EESZ_EEDaSU_SV_EUlSU_E_NS1_11comp_targetILNS1_3genE8ELNS1_11target_archE1030ELNS1_3gpuE2ELNS1_3repE0EEENS1_30default_config_static_selectorELNS0_4arch9wavefront6targetE0EEEvT1_,@function
_ZN7rocprim17ROCPRIM_400000_NS6detail17trampoline_kernelINS0_14default_configENS1_27scan_by_key_config_selectorIxxEEZZNS1_16scan_by_key_implILNS1_25lookback_scan_determinismE0ELb1ES3_N6thrust23THRUST_200600_302600_NS6detail15normal_iteratorINS9_10device_ptrIxEEEESE_SE_xNS9_4plusIvEENS9_8equal_toIvEExEE10hipError_tPvRmT2_T3_T4_T5_mT6_T7_P12ihipStream_tbENKUlT_T0_E_clISt17integral_constantIbLb1EESZ_EEDaSU_SV_EUlSU_E_NS1_11comp_targetILNS1_3genE8ELNS1_11target_archE1030ELNS1_3gpuE2ELNS1_3repE0EEENS1_30default_config_static_selectorELNS0_4arch9wavefront6targetE0EEEvT1_: ; @_ZN7rocprim17ROCPRIM_400000_NS6detail17trampoline_kernelINS0_14default_configENS1_27scan_by_key_config_selectorIxxEEZZNS1_16scan_by_key_implILNS1_25lookback_scan_determinismE0ELb1ES3_N6thrust23THRUST_200600_302600_NS6detail15normal_iteratorINS9_10device_ptrIxEEEESE_SE_xNS9_4plusIvEENS9_8equal_toIvEExEE10hipError_tPvRmT2_T3_T4_T5_mT6_T7_P12ihipStream_tbENKUlT_T0_E_clISt17integral_constantIbLb1EESZ_EEDaSU_SV_EUlSU_E_NS1_11comp_targetILNS1_3genE8ELNS1_11target_archE1030ELNS1_3gpuE2ELNS1_3repE0EEENS1_30default_config_static_selectorELNS0_4arch9wavefront6targetE0EEEvT1_
; %bb.0:
	.section	.rodata,"a",@progbits
	.p2align	6, 0x0
	.amdhsa_kernel _ZN7rocprim17ROCPRIM_400000_NS6detail17trampoline_kernelINS0_14default_configENS1_27scan_by_key_config_selectorIxxEEZZNS1_16scan_by_key_implILNS1_25lookback_scan_determinismE0ELb1ES3_N6thrust23THRUST_200600_302600_NS6detail15normal_iteratorINS9_10device_ptrIxEEEESE_SE_xNS9_4plusIvEENS9_8equal_toIvEExEE10hipError_tPvRmT2_T3_T4_T5_mT6_T7_P12ihipStream_tbENKUlT_T0_E_clISt17integral_constantIbLb1EESZ_EEDaSU_SV_EUlSU_E_NS1_11comp_targetILNS1_3genE8ELNS1_11target_archE1030ELNS1_3gpuE2ELNS1_3repE0EEENS1_30default_config_static_selectorELNS0_4arch9wavefront6targetE0EEEvT1_
		.amdhsa_group_segment_fixed_size 0
		.amdhsa_private_segment_fixed_size 0
		.amdhsa_kernarg_size 136
		.amdhsa_user_sgpr_count 2
		.amdhsa_user_sgpr_dispatch_ptr 0
		.amdhsa_user_sgpr_queue_ptr 0
		.amdhsa_user_sgpr_kernarg_segment_ptr 1
		.amdhsa_user_sgpr_dispatch_id 0
		.amdhsa_user_sgpr_kernarg_preload_length 0
		.amdhsa_user_sgpr_kernarg_preload_offset 0
		.amdhsa_user_sgpr_private_segment_size 0
		.amdhsa_wavefront_size32 1
		.amdhsa_uses_dynamic_stack 0
		.amdhsa_enable_private_segment 0
		.amdhsa_system_sgpr_workgroup_id_x 1
		.amdhsa_system_sgpr_workgroup_id_y 0
		.amdhsa_system_sgpr_workgroup_id_z 0
		.amdhsa_system_sgpr_workgroup_info 0
		.amdhsa_system_vgpr_workitem_id 0
		.amdhsa_next_free_vgpr 1
		.amdhsa_next_free_sgpr 1
		.amdhsa_named_barrier_count 0
		.amdhsa_reserve_vcc 0
		.amdhsa_float_round_mode_32 0
		.amdhsa_float_round_mode_16_64 0
		.amdhsa_float_denorm_mode_32 3
		.amdhsa_float_denorm_mode_16_64 3
		.amdhsa_fp16_overflow 0
		.amdhsa_memory_ordered 1
		.amdhsa_forward_progress 1
		.amdhsa_inst_pref_size 0
		.amdhsa_round_robin_scheduling 0
		.amdhsa_exception_fp_ieee_invalid_op 0
		.amdhsa_exception_fp_denorm_src 0
		.amdhsa_exception_fp_ieee_div_zero 0
		.amdhsa_exception_fp_ieee_overflow 0
		.amdhsa_exception_fp_ieee_underflow 0
		.amdhsa_exception_fp_ieee_inexact 0
		.amdhsa_exception_int_div_zero 0
	.end_amdhsa_kernel
	.section	.text._ZN7rocprim17ROCPRIM_400000_NS6detail17trampoline_kernelINS0_14default_configENS1_27scan_by_key_config_selectorIxxEEZZNS1_16scan_by_key_implILNS1_25lookback_scan_determinismE0ELb1ES3_N6thrust23THRUST_200600_302600_NS6detail15normal_iteratorINS9_10device_ptrIxEEEESE_SE_xNS9_4plusIvEENS9_8equal_toIvEExEE10hipError_tPvRmT2_T3_T4_T5_mT6_T7_P12ihipStream_tbENKUlT_T0_E_clISt17integral_constantIbLb1EESZ_EEDaSU_SV_EUlSU_E_NS1_11comp_targetILNS1_3genE8ELNS1_11target_archE1030ELNS1_3gpuE2ELNS1_3repE0EEENS1_30default_config_static_selectorELNS0_4arch9wavefront6targetE0EEEvT1_,"axG",@progbits,_ZN7rocprim17ROCPRIM_400000_NS6detail17trampoline_kernelINS0_14default_configENS1_27scan_by_key_config_selectorIxxEEZZNS1_16scan_by_key_implILNS1_25lookback_scan_determinismE0ELb1ES3_N6thrust23THRUST_200600_302600_NS6detail15normal_iteratorINS9_10device_ptrIxEEEESE_SE_xNS9_4plusIvEENS9_8equal_toIvEExEE10hipError_tPvRmT2_T3_T4_T5_mT6_T7_P12ihipStream_tbENKUlT_T0_E_clISt17integral_constantIbLb1EESZ_EEDaSU_SV_EUlSU_E_NS1_11comp_targetILNS1_3genE8ELNS1_11target_archE1030ELNS1_3gpuE2ELNS1_3repE0EEENS1_30default_config_static_selectorELNS0_4arch9wavefront6targetE0EEEvT1_,comdat
.Lfunc_end370:
	.size	_ZN7rocprim17ROCPRIM_400000_NS6detail17trampoline_kernelINS0_14default_configENS1_27scan_by_key_config_selectorIxxEEZZNS1_16scan_by_key_implILNS1_25lookback_scan_determinismE0ELb1ES3_N6thrust23THRUST_200600_302600_NS6detail15normal_iteratorINS9_10device_ptrIxEEEESE_SE_xNS9_4plusIvEENS9_8equal_toIvEExEE10hipError_tPvRmT2_T3_T4_T5_mT6_T7_P12ihipStream_tbENKUlT_T0_E_clISt17integral_constantIbLb1EESZ_EEDaSU_SV_EUlSU_E_NS1_11comp_targetILNS1_3genE8ELNS1_11target_archE1030ELNS1_3gpuE2ELNS1_3repE0EEENS1_30default_config_static_selectorELNS0_4arch9wavefront6targetE0EEEvT1_, .Lfunc_end370-_ZN7rocprim17ROCPRIM_400000_NS6detail17trampoline_kernelINS0_14default_configENS1_27scan_by_key_config_selectorIxxEEZZNS1_16scan_by_key_implILNS1_25lookback_scan_determinismE0ELb1ES3_N6thrust23THRUST_200600_302600_NS6detail15normal_iteratorINS9_10device_ptrIxEEEESE_SE_xNS9_4plusIvEENS9_8equal_toIvEExEE10hipError_tPvRmT2_T3_T4_T5_mT6_T7_P12ihipStream_tbENKUlT_T0_E_clISt17integral_constantIbLb1EESZ_EEDaSU_SV_EUlSU_E_NS1_11comp_targetILNS1_3genE8ELNS1_11target_archE1030ELNS1_3gpuE2ELNS1_3repE0EEENS1_30default_config_static_selectorELNS0_4arch9wavefront6targetE0EEEvT1_
                                        ; -- End function
	.set _ZN7rocprim17ROCPRIM_400000_NS6detail17trampoline_kernelINS0_14default_configENS1_27scan_by_key_config_selectorIxxEEZZNS1_16scan_by_key_implILNS1_25lookback_scan_determinismE0ELb1ES3_N6thrust23THRUST_200600_302600_NS6detail15normal_iteratorINS9_10device_ptrIxEEEESE_SE_xNS9_4plusIvEENS9_8equal_toIvEExEE10hipError_tPvRmT2_T3_T4_T5_mT6_T7_P12ihipStream_tbENKUlT_T0_E_clISt17integral_constantIbLb1EESZ_EEDaSU_SV_EUlSU_E_NS1_11comp_targetILNS1_3genE8ELNS1_11target_archE1030ELNS1_3gpuE2ELNS1_3repE0EEENS1_30default_config_static_selectorELNS0_4arch9wavefront6targetE0EEEvT1_.num_vgpr, 0
	.set _ZN7rocprim17ROCPRIM_400000_NS6detail17trampoline_kernelINS0_14default_configENS1_27scan_by_key_config_selectorIxxEEZZNS1_16scan_by_key_implILNS1_25lookback_scan_determinismE0ELb1ES3_N6thrust23THRUST_200600_302600_NS6detail15normal_iteratorINS9_10device_ptrIxEEEESE_SE_xNS9_4plusIvEENS9_8equal_toIvEExEE10hipError_tPvRmT2_T3_T4_T5_mT6_T7_P12ihipStream_tbENKUlT_T0_E_clISt17integral_constantIbLb1EESZ_EEDaSU_SV_EUlSU_E_NS1_11comp_targetILNS1_3genE8ELNS1_11target_archE1030ELNS1_3gpuE2ELNS1_3repE0EEENS1_30default_config_static_selectorELNS0_4arch9wavefront6targetE0EEEvT1_.num_agpr, 0
	.set _ZN7rocprim17ROCPRIM_400000_NS6detail17trampoline_kernelINS0_14default_configENS1_27scan_by_key_config_selectorIxxEEZZNS1_16scan_by_key_implILNS1_25lookback_scan_determinismE0ELb1ES3_N6thrust23THRUST_200600_302600_NS6detail15normal_iteratorINS9_10device_ptrIxEEEESE_SE_xNS9_4plusIvEENS9_8equal_toIvEExEE10hipError_tPvRmT2_T3_T4_T5_mT6_T7_P12ihipStream_tbENKUlT_T0_E_clISt17integral_constantIbLb1EESZ_EEDaSU_SV_EUlSU_E_NS1_11comp_targetILNS1_3genE8ELNS1_11target_archE1030ELNS1_3gpuE2ELNS1_3repE0EEENS1_30default_config_static_selectorELNS0_4arch9wavefront6targetE0EEEvT1_.numbered_sgpr, 0
	.set _ZN7rocprim17ROCPRIM_400000_NS6detail17trampoline_kernelINS0_14default_configENS1_27scan_by_key_config_selectorIxxEEZZNS1_16scan_by_key_implILNS1_25lookback_scan_determinismE0ELb1ES3_N6thrust23THRUST_200600_302600_NS6detail15normal_iteratorINS9_10device_ptrIxEEEESE_SE_xNS9_4plusIvEENS9_8equal_toIvEExEE10hipError_tPvRmT2_T3_T4_T5_mT6_T7_P12ihipStream_tbENKUlT_T0_E_clISt17integral_constantIbLb1EESZ_EEDaSU_SV_EUlSU_E_NS1_11comp_targetILNS1_3genE8ELNS1_11target_archE1030ELNS1_3gpuE2ELNS1_3repE0EEENS1_30default_config_static_selectorELNS0_4arch9wavefront6targetE0EEEvT1_.num_named_barrier, 0
	.set _ZN7rocprim17ROCPRIM_400000_NS6detail17trampoline_kernelINS0_14default_configENS1_27scan_by_key_config_selectorIxxEEZZNS1_16scan_by_key_implILNS1_25lookback_scan_determinismE0ELb1ES3_N6thrust23THRUST_200600_302600_NS6detail15normal_iteratorINS9_10device_ptrIxEEEESE_SE_xNS9_4plusIvEENS9_8equal_toIvEExEE10hipError_tPvRmT2_T3_T4_T5_mT6_T7_P12ihipStream_tbENKUlT_T0_E_clISt17integral_constantIbLb1EESZ_EEDaSU_SV_EUlSU_E_NS1_11comp_targetILNS1_3genE8ELNS1_11target_archE1030ELNS1_3gpuE2ELNS1_3repE0EEENS1_30default_config_static_selectorELNS0_4arch9wavefront6targetE0EEEvT1_.private_seg_size, 0
	.set _ZN7rocprim17ROCPRIM_400000_NS6detail17trampoline_kernelINS0_14default_configENS1_27scan_by_key_config_selectorIxxEEZZNS1_16scan_by_key_implILNS1_25lookback_scan_determinismE0ELb1ES3_N6thrust23THRUST_200600_302600_NS6detail15normal_iteratorINS9_10device_ptrIxEEEESE_SE_xNS9_4plusIvEENS9_8equal_toIvEExEE10hipError_tPvRmT2_T3_T4_T5_mT6_T7_P12ihipStream_tbENKUlT_T0_E_clISt17integral_constantIbLb1EESZ_EEDaSU_SV_EUlSU_E_NS1_11comp_targetILNS1_3genE8ELNS1_11target_archE1030ELNS1_3gpuE2ELNS1_3repE0EEENS1_30default_config_static_selectorELNS0_4arch9wavefront6targetE0EEEvT1_.uses_vcc, 0
	.set _ZN7rocprim17ROCPRIM_400000_NS6detail17trampoline_kernelINS0_14default_configENS1_27scan_by_key_config_selectorIxxEEZZNS1_16scan_by_key_implILNS1_25lookback_scan_determinismE0ELb1ES3_N6thrust23THRUST_200600_302600_NS6detail15normal_iteratorINS9_10device_ptrIxEEEESE_SE_xNS9_4plusIvEENS9_8equal_toIvEExEE10hipError_tPvRmT2_T3_T4_T5_mT6_T7_P12ihipStream_tbENKUlT_T0_E_clISt17integral_constantIbLb1EESZ_EEDaSU_SV_EUlSU_E_NS1_11comp_targetILNS1_3genE8ELNS1_11target_archE1030ELNS1_3gpuE2ELNS1_3repE0EEENS1_30default_config_static_selectorELNS0_4arch9wavefront6targetE0EEEvT1_.uses_flat_scratch, 0
	.set _ZN7rocprim17ROCPRIM_400000_NS6detail17trampoline_kernelINS0_14default_configENS1_27scan_by_key_config_selectorIxxEEZZNS1_16scan_by_key_implILNS1_25lookback_scan_determinismE0ELb1ES3_N6thrust23THRUST_200600_302600_NS6detail15normal_iteratorINS9_10device_ptrIxEEEESE_SE_xNS9_4plusIvEENS9_8equal_toIvEExEE10hipError_tPvRmT2_T3_T4_T5_mT6_T7_P12ihipStream_tbENKUlT_T0_E_clISt17integral_constantIbLb1EESZ_EEDaSU_SV_EUlSU_E_NS1_11comp_targetILNS1_3genE8ELNS1_11target_archE1030ELNS1_3gpuE2ELNS1_3repE0EEENS1_30default_config_static_selectorELNS0_4arch9wavefront6targetE0EEEvT1_.has_dyn_sized_stack, 0
	.set _ZN7rocprim17ROCPRIM_400000_NS6detail17trampoline_kernelINS0_14default_configENS1_27scan_by_key_config_selectorIxxEEZZNS1_16scan_by_key_implILNS1_25lookback_scan_determinismE0ELb1ES3_N6thrust23THRUST_200600_302600_NS6detail15normal_iteratorINS9_10device_ptrIxEEEESE_SE_xNS9_4plusIvEENS9_8equal_toIvEExEE10hipError_tPvRmT2_T3_T4_T5_mT6_T7_P12ihipStream_tbENKUlT_T0_E_clISt17integral_constantIbLb1EESZ_EEDaSU_SV_EUlSU_E_NS1_11comp_targetILNS1_3genE8ELNS1_11target_archE1030ELNS1_3gpuE2ELNS1_3repE0EEENS1_30default_config_static_selectorELNS0_4arch9wavefront6targetE0EEEvT1_.has_recursion, 0
	.set _ZN7rocprim17ROCPRIM_400000_NS6detail17trampoline_kernelINS0_14default_configENS1_27scan_by_key_config_selectorIxxEEZZNS1_16scan_by_key_implILNS1_25lookback_scan_determinismE0ELb1ES3_N6thrust23THRUST_200600_302600_NS6detail15normal_iteratorINS9_10device_ptrIxEEEESE_SE_xNS9_4plusIvEENS9_8equal_toIvEExEE10hipError_tPvRmT2_T3_T4_T5_mT6_T7_P12ihipStream_tbENKUlT_T0_E_clISt17integral_constantIbLb1EESZ_EEDaSU_SV_EUlSU_E_NS1_11comp_targetILNS1_3genE8ELNS1_11target_archE1030ELNS1_3gpuE2ELNS1_3repE0EEENS1_30default_config_static_selectorELNS0_4arch9wavefront6targetE0EEEvT1_.has_indirect_call, 0
	.section	.AMDGPU.csdata,"",@progbits
; Kernel info:
; codeLenInByte = 0
; TotalNumSgprs: 0
; NumVgprs: 0
; ScratchSize: 0
; MemoryBound: 0
; FloatMode: 240
; IeeeMode: 1
; LDSByteSize: 0 bytes/workgroup (compile time only)
; SGPRBlocks: 0
; VGPRBlocks: 0
; NumSGPRsForWavesPerEU: 1
; NumVGPRsForWavesPerEU: 1
; NamedBarCnt: 0
; Occupancy: 16
; WaveLimiterHint : 0
; COMPUTE_PGM_RSRC2:SCRATCH_EN: 0
; COMPUTE_PGM_RSRC2:USER_SGPR: 2
; COMPUTE_PGM_RSRC2:TRAP_HANDLER: 0
; COMPUTE_PGM_RSRC2:TGID_X_EN: 1
; COMPUTE_PGM_RSRC2:TGID_Y_EN: 0
; COMPUTE_PGM_RSRC2:TGID_Z_EN: 0
; COMPUTE_PGM_RSRC2:TIDIG_COMP_CNT: 0
	.section	.text._ZN7rocprim17ROCPRIM_400000_NS6detail17trampoline_kernelINS0_14default_configENS1_27scan_by_key_config_selectorIxxEEZZNS1_16scan_by_key_implILNS1_25lookback_scan_determinismE0ELb1ES3_N6thrust23THRUST_200600_302600_NS6detail15normal_iteratorINS9_10device_ptrIxEEEESE_SE_xNS9_4plusIvEENS9_8equal_toIvEExEE10hipError_tPvRmT2_T3_T4_T5_mT6_T7_P12ihipStream_tbENKUlT_T0_E_clISt17integral_constantIbLb1EESY_IbLb0EEEEDaSU_SV_EUlSU_E_NS1_11comp_targetILNS1_3genE0ELNS1_11target_archE4294967295ELNS1_3gpuE0ELNS1_3repE0EEENS1_30default_config_static_selectorELNS0_4arch9wavefront6targetE0EEEvT1_,"axG",@progbits,_ZN7rocprim17ROCPRIM_400000_NS6detail17trampoline_kernelINS0_14default_configENS1_27scan_by_key_config_selectorIxxEEZZNS1_16scan_by_key_implILNS1_25lookback_scan_determinismE0ELb1ES3_N6thrust23THRUST_200600_302600_NS6detail15normal_iteratorINS9_10device_ptrIxEEEESE_SE_xNS9_4plusIvEENS9_8equal_toIvEExEE10hipError_tPvRmT2_T3_T4_T5_mT6_T7_P12ihipStream_tbENKUlT_T0_E_clISt17integral_constantIbLb1EESY_IbLb0EEEEDaSU_SV_EUlSU_E_NS1_11comp_targetILNS1_3genE0ELNS1_11target_archE4294967295ELNS1_3gpuE0ELNS1_3repE0EEENS1_30default_config_static_selectorELNS0_4arch9wavefront6targetE0EEEvT1_,comdat
	.protected	_ZN7rocprim17ROCPRIM_400000_NS6detail17trampoline_kernelINS0_14default_configENS1_27scan_by_key_config_selectorIxxEEZZNS1_16scan_by_key_implILNS1_25lookback_scan_determinismE0ELb1ES3_N6thrust23THRUST_200600_302600_NS6detail15normal_iteratorINS9_10device_ptrIxEEEESE_SE_xNS9_4plusIvEENS9_8equal_toIvEExEE10hipError_tPvRmT2_T3_T4_T5_mT6_T7_P12ihipStream_tbENKUlT_T0_E_clISt17integral_constantIbLb1EESY_IbLb0EEEEDaSU_SV_EUlSU_E_NS1_11comp_targetILNS1_3genE0ELNS1_11target_archE4294967295ELNS1_3gpuE0ELNS1_3repE0EEENS1_30default_config_static_selectorELNS0_4arch9wavefront6targetE0EEEvT1_ ; -- Begin function _ZN7rocprim17ROCPRIM_400000_NS6detail17trampoline_kernelINS0_14default_configENS1_27scan_by_key_config_selectorIxxEEZZNS1_16scan_by_key_implILNS1_25lookback_scan_determinismE0ELb1ES3_N6thrust23THRUST_200600_302600_NS6detail15normal_iteratorINS9_10device_ptrIxEEEESE_SE_xNS9_4plusIvEENS9_8equal_toIvEExEE10hipError_tPvRmT2_T3_T4_T5_mT6_T7_P12ihipStream_tbENKUlT_T0_E_clISt17integral_constantIbLb1EESY_IbLb0EEEEDaSU_SV_EUlSU_E_NS1_11comp_targetILNS1_3genE0ELNS1_11target_archE4294967295ELNS1_3gpuE0ELNS1_3repE0EEENS1_30default_config_static_selectorELNS0_4arch9wavefront6targetE0EEEvT1_
	.globl	_ZN7rocprim17ROCPRIM_400000_NS6detail17trampoline_kernelINS0_14default_configENS1_27scan_by_key_config_selectorIxxEEZZNS1_16scan_by_key_implILNS1_25lookback_scan_determinismE0ELb1ES3_N6thrust23THRUST_200600_302600_NS6detail15normal_iteratorINS9_10device_ptrIxEEEESE_SE_xNS9_4plusIvEENS9_8equal_toIvEExEE10hipError_tPvRmT2_T3_T4_T5_mT6_T7_P12ihipStream_tbENKUlT_T0_E_clISt17integral_constantIbLb1EESY_IbLb0EEEEDaSU_SV_EUlSU_E_NS1_11comp_targetILNS1_3genE0ELNS1_11target_archE4294967295ELNS1_3gpuE0ELNS1_3repE0EEENS1_30default_config_static_selectorELNS0_4arch9wavefront6targetE0EEEvT1_
	.p2align	8
	.type	_ZN7rocprim17ROCPRIM_400000_NS6detail17trampoline_kernelINS0_14default_configENS1_27scan_by_key_config_selectorIxxEEZZNS1_16scan_by_key_implILNS1_25lookback_scan_determinismE0ELb1ES3_N6thrust23THRUST_200600_302600_NS6detail15normal_iteratorINS9_10device_ptrIxEEEESE_SE_xNS9_4plusIvEENS9_8equal_toIvEExEE10hipError_tPvRmT2_T3_T4_T5_mT6_T7_P12ihipStream_tbENKUlT_T0_E_clISt17integral_constantIbLb1EESY_IbLb0EEEEDaSU_SV_EUlSU_E_NS1_11comp_targetILNS1_3genE0ELNS1_11target_archE4294967295ELNS1_3gpuE0ELNS1_3repE0EEENS1_30default_config_static_selectorELNS0_4arch9wavefront6targetE0EEEvT1_,@function
_ZN7rocprim17ROCPRIM_400000_NS6detail17trampoline_kernelINS0_14default_configENS1_27scan_by_key_config_selectorIxxEEZZNS1_16scan_by_key_implILNS1_25lookback_scan_determinismE0ELb1ES3_N6thrust23THRUST_200600_302600_NS6detail15normal_iteratorINS9_10device_ptrIxEEEESE_SE_xNS9_4plusIvEENS9_8equal_toIvEExEE10hipError_tPvRmT2_T3_T4_T5_mT6_T7_P12ihipStream_tbENKUlT_T0_E_clISt17integral_constantIbLb1EESY_IbLb0EEEEDaSU_SV_EUlSU_E_NS1_11comp_targetILNS1_3genE0ELNS1_11target_archE4294967295ELNS1_3gpuE0ELNS1_3repE0EEENS1_30default_config_static_selectorELNS0_4arch9wavefront6targetE0EEEvT1_: ; @_ZN7rocprim17ROCPRIM_400000_NS6detail17trampoline_kernelINS0_14default_configENS1_27scan_by_key_config_selectorIxxEEZZNS1_16scan_by_key_implILNS1_25lookback_scan_determinismE0ELb1ES3_N6thrust23THRUST_200600_302600_NS6detail15normal_iteratorINS9_10device_ptrIxEEEESE_SE_xNS9_4plusIvEENS9_8equal_toIvEExEE10hipError_tPvRmT2_T3_T4_T5_mT6_T7_P12ihipStream_tbENKUlT_T0_E_clISt17integral_constantIbLb1EESY_IbLb0EEEEDaSU_SV_EUlSU_E_NS1_11comp_targetILNS1_3genE0ELNS1_11target_archE4294967295ELNS1_3gpuE0ELNS1_3repE0EEENS1_30default_config_static_selectorELNS0_4arch9wavefront6targetE0EEEvT1_
; %bb.0:
	s_endpgm
	.section	.rodata,"a",@progbits
	.p2align	6, 0x0
	.amdhsa_kernel _ZN7rocprim17ROCPRIM_400000_NS6detail17trampoline_kernelINS0_14default_configENS1_27scan_by_key_config_selectorIxxEEZZNS1_16scan_by_key_implILNS1_25lookback_scan_determinismE0ELb1ES3_N6thrust23THRUST_200600_302600_NS6detail15normal_iteratorINS9_10device_ptrIxEEEESE_SE_xNS9_4plusIvEENS9_8equal_toIvEExEE10hipError_tPvRmT2_T3_T4_T5_mT6_T7_P12ihipStream_tbENKUlT_T0_E_clISt17integral_constantIbLb1EESY_IbLb0EEEEDaSU_SV_EUlSU_E_NS1_11comp_targetILNS1_3genE0ELNS1_11target_archE4294967295ELNS1_3gpuE0ELNS1_3repE0EEENS1_30default_config_static_selectorELNS0_4arch9wavefront6targetE0EEEvT1_
		.amdhsa_group_segment_fixed_size 0
		.amdhsa_private_segment_fixed_size 0
		.amdhsa_kernarg_size 136
		.amdhsa_user_sgpr_count 2
		.amdhsa_user_sgpr_dispatch_ptr 0
		.amdhsa_user_sgpr_queue_ptr 0
		.amdhsa_user_sgpr_kernarg_segment_ptr 1
		.amdhsa_user_sgpr_dispatch_id 0
		.amdhsa_user_sgpr_kernarg_preload_length 0
		.amdhsa_user_sgpr_kernarg_preload_offset 0
		.amdhsa_user_sgpr_private_segment_size 0
		.amdhsa_wavefront_size32 1
		.amdhsa_uses_dynamic_stack 0
		.amdhsa_enable_private_segment 0
		.amdhsa_system_sgpr_workgroup_id_x 1
		.amdhsa_system_sgpr_workgroup_id_y 0
		.amdhsa_system_sgpr_workgroup_id_z 0
		.amdhsa_system_sgpr_workgroup_info 0
		.amdhsa_system_vgpr_workitem_id 0
		.amdhsa_next_free_vgpr 1
		.amdhsa_next_free_sgpr 1
		.amdhsa_named_barrier_count 0
		.amdhsa_reserve_vcc 0
		.amdhsa_float_round_mode_32 0
		.amdhsa_float_round_mode_16_64 0
		.amdhsa_float_denorm_mode_32 3
		.amdhsa_float_denorm_mode_16_64 3
		.amdhsa_fp16_overflow 0
		.amdhsa_memory_ordered 1
		.amdhsa_forward_progress 1
		.amdhsa_inst_pref_size 1
		.amdhsa_round_robin_scheduling 0
		.amdhsa_exception_fp_ieee_invalid_op 0
		.amdhsa_exception_fp_denorm_src 0
		.amdhsa_exception_fp_ieee_div_zero 0
		.amdhsa_exception_fp_ieee_overflow 0
		.amdhsa_exception_fp_ieee_underflow 0
		.amdhsa_exception_fp_ieee_inexact 0
		.amdhsa_exception_int_div_zero 0
	.end_amdhsa_kernel
	.section	.text._ZN7rocprim17ROCPRIM_400000_NS6detail17trampoline_kernelINS0_14default_configENS1_27scan_by_key_config_selectorIxxEEZZNS1_16scan_by_key_implILNS1_25lookback_scan_determinismE0ELb1ES3_N6thrust23THRUST_200600_302600_NS6detail15normal_iteratorINS9_10device_ptrIxEEEESE_SE_xNS9_4plusIvEENS9_8equal_toIvEExEE10hipError_tPvRmT2_T3_T4_T5_mT6_T7_P12ihipStream_tbENKUlT_T0_E_clISt17integral_constantIbLb1EESY_IbLb0EEEEDaSU_SV_EUlSU_E_NS1_11comp_targetILNS1_3genE0ELNS1_11target_archE4294967295ELNS1_3gpuE0ELNS1_3repE0EEENS1_30default_config_static_selectorELNS0_4arch9wavefront6targetE0EEEvT1_,"axG",@progbits,_ZN7rocprim17ROCPRIM_400000_NS6detail17trampoline_kernelINS0_14default_configENS1_27scan_by_key_config_selectorIxxEEZZNS1_16scan_by_key_implILNS1_25lookback_scan_determinismE0ELb1ES3_N6thrust23THRUST_200600_302600_NS6detail15normal_iteratorINS9_10device_ptrIxEEEESE_SE_xNS9_4plusIvEENS9_8equal_toIvEExEE10hipError_tPvRmT2_T3_T4_T5_mT6_T7_P12ihipStream_tbENKUlT_T0_E_clISt17integral_constantIbLb1EESY_IbLb0EEEEDaSU_SV_EUlSU_E_NS1_11comp_targetILNS1_3genE0ELNS1_11target_archE4294967295ELNS1_3gpuE0ELNS1_3repE0EEENS1_30default_config_static_selectorELNS0_4arch9wavefront6targetE0EEEvT1_,comdat
.Lfunc_end371:
	.size	_ZN7rocprim17ROCPRIM_400000_NS6detail17trampoline_kernelINS0_14default_configENS1_27scan_by_key_config_selectorIxxEEZZNS1_16scan_by_key_implILNS1_25lookback_scan_determinismE0ELb1ES3_N6thrust23THRUST_200600_302600_NS6detail15normal_iteratorINS9_10device_ptrIxEEEESE_SE_xNS9_4plusIvEENS9_8equal_toIvEExEE10hipError_tPvRmT2_T3_T4_T5_mT6_T7_P12ihipStream_tbENKUlT_T0_E_clISt17integral_constantIbLb1EESY_IbLb0EEEEDaSU_SV_EUlSU_E_NS1_11comp_targetILNS1_3genE0ELNS1_11target_archE4294967295ELNS1_3gpuE0ELNS1_3repE0EEENS1_30default_config_static_selectorELNS0_4arch9wavefront6targetE0EEEvT1_, .Lfunc_end371-_ZN7rocprim17ROCPRIM_400000_NS6detail17trampoline_kernelINS0_14default_configENS1_27scan_by_key_config_selectorIxxEEZZNS1_16scan_by_key_implILNS1_25lookback_scan_determinismE0ELb1ES3_N6thrust23THRUST_200600_302600_NS6detail15normal_iteratorINS9_10device_ptrIxEEEESE_SE_xNS9_4plusIvEENS9_8equal_toIvEExEE10hipError_tPvRmT2_T3_T4_T5_mT6_T7_P12ihipStream_tbENKUlT_T0_E_clISt17integral_constantIbLb1EESY_IbLb0EEEEDaSU_SV_EUlSU_E_NS1_11comp_targetILNS1_3genE0ELNS1_11target_archE4294967295ELNS1_3gpuE0ELNS1_3repE0EEENS1_30default_config_static_selectorELNS0_4arch9wavefront6targetE0EEEvT1_
                                        ; -- End function
	.set _ZN7rocprim17ROCPRIM_400000_NS6detail17trampoline_kernelINS0_14default_configENS1_27scan_by_key_config_selectorIxxEEZZNS1_16scan_by_key_implILNS1_25lookback_scan_determinismE0ELb1ES3_N6thrust23THRUST_200600_302600_NS6detail15normal_iteratorINS9_10device_ptrIxEEEESE_SE_xNS9_4plusIvEENS9_8equal_toIvEExEE10hipError_tPvRmT2_T3_T4_T5_mT6_T7_P12ihipStream_tbENKUlT_T0_E_clISt17integral_constantIbLb1EESY_IbLb0EEEEDaSU_SV_EUlSU_E_NS1_11comp_targetILNS1_3genE0ELNS1_11target_archE4294967295ELNS1_3gpuE0ELNS1_3repE0EEENS1_30default_config_static_selectorELNS0_4arch9wavefront6targetE0EEEvT1_.num_vgpr, 0
	.set _ZN7rocprim17ROCPRIM_400000_NS6detail17trampoline_kernelINS0_14default_configENS1_27scan_by_key_config_selectorIxxEEZZNS1_16scan_by_key_implILNS1_25lookback_scan_determinismE0ELb1ES3_N6thrust23THRUST_200600_302600_NS6detail15normal_iteratorINS9_10device_ptrIxEEEESE_SE_xNS9_4plusIvEENS9_8equal_toIvEExEE10hipError_tPvRmT2_T3_T4_T5_mT6_T7_P12ihipStream_tbENKUlT_T0_E_clISt17integral_constantIbLb1EESY_IbLb0EEEEDaSU_SV_EUlSU_E_NS1_11comp_targetILNS1_3genE0ELNS1_11target_archE4294967295ELNS1_3gpuE0ELNS1_3repE0EEENS1_30default_config_static_selectorELNS0_4arch9wavefront6targetE0EEEvT1_.num_agpr, 0
	.set _ZN7rocprim17ROCPRIM_400000_NS6detail17trampoline_kernelINS0_14default_configENS1_27scan_by_key_config_selectorIxxEEZZNS1_16scan_by_key_implILNS1_25lookback_scan_determinismE0ELb1ES3_N6thrust23THRUST_200600_302600_NS6detail15normal_iteratorINS9_10device_ptrIxEEEESE_SE_xNS9_4plusIvEENS9_8equal_toIvEExEE10hipError_tPvRmT2_T3_T4_T5_mT6_T7_P12ihipStream_tbENKUlT_T0_E_clISt17integral_constantIbLb1EESY_IbLb0EEEEDaSU_SV_EUlSU_E_NS1_11comp_targetILNS1_3genE0ELNS1_11target_archE4294967295ELNS1_3gpuE0ELNS1_3repE0EEENS1_30default_config_static_selectorELNS0_4arch9wavefront6targetE0EEEvT1_.numbered_sgpr, 0
	.set _ZN7rocprim17ROCPRIM_400000_NS6detail17trampoline_kernelINS0_14default_configENS1_27scan_by_key_config_selectorIxxEEZZNS1_16scan_by_key_implILNS1_25lookback_scan_determinismE0ELb1ES3_N6thrust23THRUST_200600_302600_NS6detail15normal_iteratorINS9_10device_ptrIxEEEESE_SE_xNS9_4plusIvEENS9_8equal_toIvEExEE10hipError_tPvRmT2_T3_T4_T5_mT6_T7_P12ihipStream_tbENKUlT_T0_E_clISt17integral_constantIbLb1EESY_IbLb0EEEEDaSU_SV_EUlSU_E_NS1_11comp_targetILNS1_3genE0ELNS1_11target_archE4294967295ELNS1_3gpuE0ELNS1_3repE0EEENS1_30default_config_static_selectorELNS0_4arch9wavefront6targetE0EEEvT1_.num_named_barrier, 0
	.set _ZN7rocprim17ROCPRIM_400000_NS6detail17trampoline_kernelINS0_14default_configENS1_27scan_by_key_config_selectorIxxEEZZNS1_16scan_by_key_implILNS1_25lookback_scan_determinismE0ELb1ES3_N6thrust23THRUST_200600_302600_NS6detail15normal_iteratorINS9_10device_ptrIxEEEESE_SE_xNS9_4plusIvEENS9_8equal_toIvEExEE10hipError_tPvRmT2_T3_T4_T5_mT6_T7_P12ihipStream_tbENKUlT_T0_E_clISt17integral_constantIbLb1EESY_IbLb0EEEEDaSU_SV_EUlSU_E_NS1_11comp_targetILNS1_3genE0ELNS1_11target_archE4294967295ELNS1_3gpuE0ELNS1_3repE0EEENS1_30default_config_static_selectorELNS0_4arch9wavefront6targetE0EEEvT1_.private_seg_size, 0
	.set _ZN7rocprim17ROCPRIM_400000_NS6detail17trampoline_kernelINS0_14default_configENS1_27scan_by_key_config_selectorIxxEEZZNS1_16scan_by_key_implILNS1_25lookback_scan_determinismE0ELb1ES3_N6thrust23THRUST_200600_302600_NS6detail15normal_iteratorINS9_10device_ptrIxEEEESE_SE_xNS9_4plusIvEENS9_8equal_toIvEExEE10hipError_tPvRmT2_T3_T4_T5_mT6_T7_P12ihipStream_tbENKUlT_T0_E_clISt17integral_constantIbLb1EESY_IbLb0EEEEDaSU_SV_EUlSU_E_NS1_11comp_targetILNS1_3genE0ELNS1_11target_archE4294967295ELNS1_3gpuE0ELNS1_3repE0EEENS1_30default_config_static_selectorELNS0_4arch9wavefront6targetE0EEEvT1_.uses_vcc, 0
	.set _ZN7rocprim17ROCPRIM_400000_NS6detail17trampoline_kernelINS0_14default_configENS1_27scan_by_key_config_selectorIxxEEZZNS1_16scan_by_key_implILNS1_25lookback_scan_determinismE0ELb1ES3_N6thrust23THRUST_200600_302600_NS6detail15normal_iteratorINS9_10device_ptrIxEEEESE_SE_xNS9_4plusIvEENS9_8equal_toIvEExEE10hipError_tPvRmT2_T3_T4_T5_mT6_T7_P12ihipStream_tbENKUlT_T0_E_clISt17integral_constantIbLb1EESY_IbLb0EEEEDaSU_SV_EUlSU_E_NS1_11comp_targetILNS1_3genE0ELNS1_11target_archE4294967295ELNS1_3gpuE0ELNS1_3repE0EEENS1_30default_config_static_selectorELNS0_4arch9wavefront6targetE0EEEvT1_.uses_flat_scratch, 0
	.set _ZN7rocprim17ROCPRIM_400000_NS6detail17trampoline_kernelINS0_14default_configENS1_27scan_by_key_config_selectorIxxEEZZNS1_16scan_by_key_implILNS1_25lookback_scan_determinismE0ELb1ES3_N6thrust23THRUST_200600_302600_NS6detail15normal_iteratorINS9_10device_ptrIxEEEESE_SE_xNS9_4plusIvEENS9_8equal_toIvEExEE10hipError_tPvRmT2_T3_T4_T5_mT6_T7_P12ihipStream_tbENKUlT_T0_E_clISt17integral_constantIbLb1EESY_IbLb0EEEEDaSU_SV_EUlSU_E_NS1_11comp_targetILNS1_3genE0ELNS1_11target_archE4294967295ELNS1_3gpuE0ELNS1_3repE0EEENS1_30default_config_static_selectorELNS0_4arch9wavefront6targetE0EEEvT1_.has_dyn_sized_stack, 0
	.set _ZN7rocprim17ROCPRIM_400000_NS6detail17trampoline_kernelINS0_14default_configENS1_27scan_by_key_config_selectorIxxEEZZNS1_16scan_by_key_implILNS1_25lookback_scan_determinismE0ELb1ES3_N6thrust23THRUST_200600_302600_NS6detail15normal_iteratorINS9_10device_ptrIxEEEESE_SE_xNS9_4plusIvEENS9_8equal_toIvEExEE10hipError_tPvRmT2_T3_T4_T5_mT6_T7_P12ihipStream_tbENKUlT_T0_E_clISt17integral_constantIbLb1EESY_IbLb0EEEEDaSU_SV_EUlSU_E_NS1_11comp_targetILNS1_3genE0ELNS1_11target_archE4294967295ELNS1_3gpuE0ELNS1_3repE0EEENS1_30default_config_static_selectorELNS0_4arch9wavefront6targetE0EEEvT1_.has_recursion, 0
	.set _ZN7rocprim17ROCPRIM_400000_NS6detail17trampoline_kernelINS0_14default_configENS1_27scan_by_key_config_selectorIxxEEZZNS1_16scan_by_key_implILNS1_25lookback_scan_determinismE0ELb1ES3_N6thrust23THRUST_200600_302600_NS6detail15normal_iteratorINS9_10device_ptrIxEEEESE_SE_xNS9_4plusIvEENS9_8equal_toIvEExEE10hipError_tPvRmT2_T3_T4_T5_mT6_T7_P12ihipStream_tbENKUlT_T0_E_clISt17integral_constantIbLb1EESY_IbLb0EEEEDaSU_SV_EUlSU_E_NS1_11comp_targetILNS1_3genE0ELNS1_11target_archE4294967295ELNS1_3gpuE0ELNS1_3repE0EEENS1_30default_config_static_selectorELNS0_4arch9wavefront6targetE0EEEvT1_.has_indirect_call, 0
	.section	.AMDGPU.csdata,"",@progbits
; Kernel info:
; codeLenInByte = 4
; TotalNumSgprs: 0
; NumVgprs: 0
; ScratchSize: 0
; MemoryBound: 0
; FloatMode: 240
; IeeeMode: 1
; LDSByteSize: 0 bytes/workgroup (compile time only)
; SGPRBlocks: 0
; VGPRBlocks: 0
; NumSGPRsForWavesPerEU: 1
; NumVGPRsForWavesPerEU: 1
; NamedBarCnt: 0
; Occupancy: 16
; WaveLimiterHint : 0
; COMPUTE_PGM_RSRC2:SCRATCH_EN: 0
; COMPUTE_PGM_RSRC2:USER_SGPR: 2
; COMPUTE_PGM_RSRC2:TRAP_HANDLER: 0
; COMPUTE_PGM_RSRC2:TGID_X_EN: 1
; COMPUTE_PGM_RSRC2:TGID_Y_EN: 0
; COMPUTE_PGM_RSRC2:TGID_Z_EN: 0
; COMPUTE_PGM_RSRC2:TIDIG_COMP_CNT: 0
	.section	.text._ZN7rocprim17ROCPRIM_400000_NS6detail17trampoline_kernelINS0_14default_configENS1_27scan_by_key_config_selectorIxxEEZZNS1_16scan_by_key_implILNS1_25lookback_scan_determinismE0ELb1ES3_N6thrust23THRUST_200600_302600_NS6detail15normal_iteratorINS9_10device_ptrIxEEEESE_SE_xNS9_4plusIvEENS9_8equal_toIvEExEE10hipError_tPvRmT2_T3_T4_T5_mT6_T7_P12ihipStream_tbENKUlT_T0_E_clISt17integral_constantIbLb1EESY_IbLb0EEEEDaSU_SV_EUlSU_E_NS1_11comp_targetILNS1_3genE10ELNS1_11target_archE1201ELNS1_3gpuE5ELNS1_3repE0EEENS1_30default_config_static_selectorELNS0_4arch9wavefront6targetE0EEEvT1_,"axG",@progbits,_ZN7rocprim17ROCPRIM_400000_NS6detail17trampoline_kernelINS0_14default_configENS1_27scan_by_key_config_selectorIxxEEZZNS1_16scan_by_key_implILNS1_25lookback_scan_determinismE0ELb1ES3_N6thrust23THRUST_200600_302600_NS6detail15normal_iteratorINS9_10device_ptrIxEEEESE_SE_xNS9_4plusIvEENS9_8equal_toIvEExEE10hipError_tPvRmT2_T3_T4_T5_mT6_T7_P12ihipStream_tbENKUlT_T0_E_clISt17integral_constantIbLb1EESY_IbLb0EEEEDaSU_SV_EUlSU_E_NS1_11comp_targetILNS1_3genE10ELNS1_11target_archE1201ELNS1_3gpuE5ELNS1_3repE0EEENS1_30default_config_static_selectorELNS0_4arch9wavefront6targetE0EEEvT1_,comdat
	.protected	_ZN7rocprim17ROCPRIM_400000_NS6detail17trampoline_kernelINS0_14default_configENS1_27scan_by_key_config_selectorIxxEEZZNS1_16scan_by_key_implILNS1_25lookback_scan_determinismE0ELb1ES3_N6thrust23THRUST_200600_302600_NS6detail15normal_iteratorINS9_10device_ptrIxEEEESE_SE_xNS9_4plusIvEENS9_8equal_toIvEExEE10hipError_tPvRmT2_T3_T4_T5_mT6_T7_P12ihipStream_tbENKUlT_T0_E_clISt17integral_constantIbLb1EESY_IbLb0EEEEDaSU_SV_EUlSU_E_NS1_11comp_targetILNS1_3genE10ELNS1_11target_archE1201ELNS1_3gpuE5ELNS1_3repE0EEENS1_30default_config_static_selectorELNS0_4arch9wavefront6targetE0EEEvT1_ ; -- Begin function _ZN7rocprim17ROCPRIM_400000_NS6detail17trampoline_kernelINS0_14default_configENS1_27scan_by_key_config_selectorIxxEEZZNS1_16scan_by_key_implILNS1_25lookback_scan_determinismE0ELb1ES3_N6thrust23THRUST_200600_302600_NS6detail15normal_iteratorINS9_10device_ptrIxEEEESE_SE_xNS9_4plusIvEENS9_8equal_toIvEExEE10hipError_tPvRmT2_T3_T4_T5_mT6_T7_P12ihipStream_tbENKUlT_T0_E_clISt17integral_constantIbLb1EESY_IbLb0EEEEDaSU_SV_EUlSU_E_NS1_11comp_targetILNS1_3genE10ELNS1_11target_archE1201ELNS1_3gpuE5ELNS1_3repE0EEENS1_30default_config_static_selectorELNS0_4arch9wavefront6targetE0EEEvT1_
	.globl	_ZN7rocprim17ROCPRIM_400000_NS6detail17trampoline_kernelINS0_14default_configENS1_27scan_by_key_config_selectorIxxEEZZNS1_16scan_by_key_implILNS1_25lookback_scan_determinismE0ELb1ES3_N6thrust23THRUST_200600_302600_NS6detail15normal_iteratorINS9_10device_ptrIxEEEESE_SE_xNS9_4plusIvEENS9_8equal_toIvEExEE10hipError_tPvRmT2_T3_T4_T5_mT6_T7_P12ihipStream_tbENKUlT_T0_E_clISt17integral_constantIbLb1EESY_IbLb0EEEEDaSU_SV_EUlSU_E_NS1_11comp_targetILNS1_3genE10ELNS1_11target_archE1201ELNS1_3gpuE5ELNS1_3repE0EEENS1_30default_config_static_selectorELNS0_4arch9wavefront6targetE0EEEvT1_
	.p2align	8
	.type	_ZN7rocprim17ROCPRIM_400000_NS6detail17trampoline_kernelINS0_14default_configENS1_27scan_by_key_config_selectorIxxEEZZNS1_16scan_by_key_implILNS1_25lookback_scan_determinismE0ELb1ES3_N6thrust23THRUST_200600_302600_NS6detail15normal_iteratorINS9_10device_ptrIxEEEESE_SE_xNS9_4plusIvEENS9_8equal_toIvEExEE10hipError_tPvRmT2_T3_T4_T5_mT6_T7_P12ihipStream_tbENKUlT_T0_E_clISt17integral_constantIbLb1EESY_IbLb0EEEEDaSU_SV_EUlSU_E_NS1_11comp_targetILNS1_3genE10ELNS1_11target_archE1201ELNS1_3gpuE5ELNS1_3repE0EEENS1_30default_config_static_selectorELNS0_4arch9wavefront6targetE0EEEvT1_,@function
_ZN7rocprim17ROCPRIM_400000_NS6detail17trampoline_kernelINS0_14default_configENS1_27scan_by_key_config_selectorIxxEEZZNS1_16scan_by_key_implILNS1_25lookback_scan_determinismE0ELb1ES3_N6thrust23THRUST_200600_302600_NS6detail15normal_iteratorINS9_10device_ptrIxEEEESE_SE_xNS9_4plusIvEENS9_8equal_toIvEExEE10hipError_tPvRmT2_T3_T4_T5_mT6_T7_P12ihipStream_tbENKUlT_T0_E_clISt17integral_constantIbLb1EESY_IbLb0EEEEDaSU_SV_EUlSU_E_NS1_11comp_targetILNS1_3genE10ELNS1_11target_archE1201ELNS1_3gpuE5ELNS1_3repE0EEENS1_30default_config_static_selectorELNS0_4arch9wavefront6targetE0EEEvT1_: ; @_ZN7rocprim17ROCPRIM_400000_NS6detail17trampoline_kernelINS0_14default_configENS1_27scan_by_key_config_selectorIxxEEZZNS1_16scan_by_key_implILNS1_25lookback_scan_determinismE0ELb1ES3_N6thrust23THRUST_200600_302600_NS6detail15normal_iteratorINS9_10device_ptrIxEEEESE_SE_xNS9_4plusIvEENS9_8equal_toIvEExEE10hipError_tPvRmT2_T3_T4_T5_mT6_T7_P12ihipStream_tbENKUlT_T0_E_clISt17integral_constantIbLb1EESY_IbLb0EEEEDaSU_SV_EUlSU_E_NS1_11comp_targetILNS1_3genE10ELNS1_11target_archE1201ELNS1_3gpuE5ELNS1_3repE0EEENS1_30default_config_static_selectorELNS0_4arch9wavefront6targetE0EEEvT1_
; %bb.0:
	.section	.rodata,"a",@progbits
	.p2align	6, 0x0
	.amdhsa_kernel _ZN7rocprim17ROCPRIM_400000_NS6detail17trampoline_kernelINS0_14default_configENS1_27scan_by_key_config_selectorIxxEEZZNS1_16scan_by_key_implILNS1_25lookback_scan_determinismE0ELb1ES3_N6thrust23THRUST_200600_302600_NS6detail15normal_iteratorINS9_10device_ptrIxEEEESE_SE_xNS9_4plusIvEENS9_8equal_toIvEExEE10hipError_tPvRmT2_T3_T4_T5_mT6_T7_P12ihipStream_tbENKUlT_T0_E_clISt17integral_constantIbLb1EESY_IbLb0EEEEDaSU_SV_EUlSU_E_NS1_11comp_targetILNS1_3genE10ELNS1_11target_archE1201ELNS1_3gpuE5ELNS1_3repE0EEENS1_30default_config_static_selectorELNS0_4arch9wavefront6targetE0EEEvT1_
		.amdhsa_group_segment_fixed_size 0
		.amdhsa_private_segment_fixed_size 0
		.amdhsa_kernarg_size 136
		.amdhsa_user_sgpr_count 2
		.amdhsa_user_sgpr_dispatch_ptr 0
		.amdhsa_user_sgpr_queue_ptr 0
		.amdhsa_user_sgpr_kernarg_segment_ptr 1
		.amdhsa_user_sgpr_dispatch_id 0
		.amdhsa_user_sgpr_kernarg_preload_length 0
		.amdhsa_user_sgpr_kernarg_preload_offset 0
		.amdhsa_user_sgpr_private_segment_size 0
		.amdhsa_wavefront_size32 1
		.amdhsa_uses_dynamic_stack 0
		.amdhsa_enable_private_segment 0
		.amdhsa_system_sgpr_workgroup_id_x 1
		.amdhsa_system_sgpr_workgroup_id_y 0
		.amdhsa_system_sgpr_workgroup_id_z 0
		.amdhsa_system_sgpr_workgroup_info 0
		.amdhsa_system_vgpr_workitem_id 0
		.amdhsa_next_free_vgpr 1
		.amdhsa_next_free_sgpr 1
		.amdhsa_named_barrier_count 0
		.amdhsa_reserve_vcc 0
		.amdhsa_float_round_mode_32 0
		.amdhsa_float_round_mode_16_64 0
		.amdhsa_float_denorm_mode_32 3
		.amdhsa_float_denorm_mode_16_64 3
		.amdhsa_fp16_overflow 0
		.amdhsa_memory_ordered 1
		.amdhsa_forward_progress 1
		.amdhsa_inst_pref_size 0
		.amdhsa_round_robin_scheduling 0
		.amdhsa_exception_fp_ieee_invalid_op 0
		.amdhsa_exception_fp_denorm_src 0
		.amdhsa_exception_fp_ieee_div_zero 0
		.amdhsa_exception_fp_ieee_overflow 0
		.amdhsa_exception_fp_ieee_underflow 0
		.amdhsa_exception_fp_ieee_inexact 0
		.amdhsa_exception_int_div_zero 0
	.end_amdhsa_kernel
	.section	.text._ZN7rocprim17ROCPRIM_400000_NS6detail17trampoline_kernelINS0_14default_configENS1_27scan_by_key_config_selectorIxxEEZZNS1_16scan_by_key_implILNS1_25lookback_scan_determinismE0ELb1ES3_N6thrust23THRUST_200600_302600_NS6detail15normal_iteratorINS9_10device_ptrIxEEEESE_SE_xNS9_4plusIvEENS9_8equal_toIvEExEE10hipError_tPvRmT2_T3_T4_T5_mT6_T7_P12ihipStream_tbENKUlT_T0_E_clISt17integral_constantIbLb1EESY_IbLb0EEEEDaSU_SV_EUlSU_E_NS1_11comp_targetILNS1_3genE10ELNS1_11target_archE1201ELNS1_3gpuE5ELNS1_3repE0EEENS1_30default_config_static_selectorELNS0_4arch9wavefront6targetE0EEEvT1_,"axG",@progbits,_ZN7rocprim17ROCPRIM_400000_NS6detail17trampoline_kernelINS0_14default_configENS1_27scan_by_key_config_selectorIxxEEZZNS1_16scan_by_key_implILNS1_25lookback_scan_determinismE0ELb1ES3_N6thrust23THRUST_200600_302600_NS6detail15normal_iteratorINS9_10device_ptrIxEEEESE_SE_xNS9_4plusIvEENS9_8equal_toIvEExEE10hipError_tPvRmT2_T3_T4_T5_mT6_T7_P12ihipStream_tbENKUlT_T0_E_clISt17integral_constantIbLb1EESY_IbLb0EEEEDaSU_SV_EUlSU_E_NS1_11comp_targetILNS1_3genE10ELNS1_11target_archE1201ELNS1_3gpuE5ELNS1_3repE0EEENS1_30default_config_static_selectorELNS0_4arch9wavefront6targetE0EEEvT1_,comdat
.Lfunc_end372:
	.size	_ZN7rocprim17ROCPRIM_400000_NS6detail17trampoline_kernelINS0_14default_configENS1_27scan_by_key_config_selectorIxxEEZZNS1_16scan_by_key_implILNS1_25lookback_scan_determinismE0ELb1ES3_N6thrust23THRUST_200600_302600_NS6detail15normal_iteratorINS9_10device_ptrIxEEEESE_SE_xNS9_4plusIvEENS9_8equal_toIvEExEE10hipError_tPvRmT2_T3_T4_T5_mT6_T7_P12ihipStream_tbENKUlT_T0_E_clISt17integral_constantIbLb1EESY_IbLb0EEEEDaSU_SV_EUlSU_E_NS1_11comp_targetILNS1_3genE10ELNS1_11target_archE1201ELNS1_3gpuE5ELNS1_3repE0EEENS1_30default_config_static_selectorELNS0_4arch9wavefront6targetE0EEEvT1_, .Lfunc_end372-_ZN7rocprim17ROCPRIM_400000_NS6detail17trampoline_kernelINS0_14default_configENS1_27scan_by_key_config_selectorIxxEEZZNS1_16scan_by_key_implILNS1_25lookback_scan_determinismE0ELb1ES3_N6thrust23THRUST_200600_302600_NS6detail15normal_iteratorINS9_10device_ptrIxEEEESE_SE_xNS9_4plusIvEENS9_8equal_toIvEExEE10hipError_tPvRmT2_T3_T4_T5_mT6_T7_P12ihipStream_tbENKUlT_T0_E_clISt17integral_constantIbLb1EESY_IbLb0EEEEDaSU_SV_EUlSU_E_NS1_11comp_targetILNS1_3genE10ELNS1_11target_archE1201ELNS1_3gpuE5ELNS1_3repE0EEENS1_30default_config_static_selectorELNS0_4arch9wavefront6targetE0EEEvT1_
                                        ; -- End function
	.set _ZN7rocprim17ROCPRIM_400000_NS6detail17trampoline_kernelINS0_14default_configENS1_27scan_by_key_config_selectorIxxEEZZNS1_16scan_by_key_implILNS1_25lookback_scan_determinismE0ELb1ES3_N6thrust23THRUST_200600_302600_NS6detail15normal_iteratorINS9_10device_ptrIxEEEESE_SE_xNS9_4plusIvEENS9_8equal_toIvEExEE10hipError_tPvRmT2_T3_T4_T5_mT6_T7_P12ihipStream_tbENKUlT_T0_E_clISt17integral_constantIbLb1EESY_IbLb0EEEEDaSU_SV_EUlSU_E_NS1_11comp_targetILNS1_3genE10ELNS1_11target_archE1201ELNS1_3gpuE5ELNS1_3repE0EEENS1_30default_config_static_selectorELNS0_4arch9wavefront6targetE0EEEvT1_.num_vgpr, 0
	.set _ZN7rocprim17ROCPRIM_400000_NS6detail17trampoline_kernelINS0_14default_configENS1_27scan_by_key_config_selectorIxxEEZZNS1_16scan_by_key_implILNS1_25lookback_scan_determinismE0ELb1ES3_N6thrust23THRUST_200600_302600_NS6detail15normal_iteratorINS9_10device_ptrIxEEEESE_SE_xNS9_4plusIvEENS9_8equal_toIvEExEE10hipError_tPvRmT2_T3_T4_T5_mT6_T7_P12ihipStream_tbENKUlT_T0_E_clISt17integral_constantIbLb1EESY_IbLb0EEEEDaSU_SV_EUlSU_E_NS1_11comp_targetILNS1_3genE10ELNS1_11target_archE1201ELNS1_3gpuE5ELNS1_3repE0EEENS1_30default_config_static_selectorELNS0_4arch9wavefront6targetE0EEEvT1_.num_agpr, 0
	.set _ZN7rocprim17ROCPRIM_400000_NS6detail17trampoline_kernelINS0_14default_configENS1_27scan_by_key_config_selectorIxxEEZZNS1_16scan_by_key_implILNS1_25lookback_scan_determinismE0ELb1ES3_N6thrust23THRUST_200600_302600_NS6detail15normal_iteratorINS9_10device_ptrIxEEEESE_SE_xNS9_4plusIvEENS9_8equal_toIvEExEE10hipError_tPvRmT2_T3_T4_T5_mT6_T7_P12ihipStream_tbENKUlT_T0_E_clISt17integral_constantIbLb1EESY_IbLb0EEEEDaSU_SV_EUlSU_E_NS1_11comp_targetILNS1_3genE10ELNS1_11target_archE1201ELNS1_3gpuE5ELNS1_3repE0EEENS1_30default_config_static_selectorELNS0_4arch9wavefront6targetE0EEEvT1_.numbered_sgpr, 0
	.set _ZN7rocprim17ROCPRIM_400000_NS6detail17trampoline_kernelINS0_14default_configENS1_27scan_by_key_config_selectorIxxEEZZNS1_16scan_by_key_implILNS1_25lookback_scan_determinismE0ELb1ES3_N6thrust23THRUST_200600_302600_NS6detail15normal_iteratorINS9_10device_ptrIxEEEESE_SE_xNS9_4plusIvEENS9_8equal_toIvEExEE10hipError_tPvRmT2_T3_T4_T5_mT6_T7_P12ihipStream_tbENKUlT_T0_E_clISt17integral_constantIbLb1EESY_IbLb0EEEEDaSU_SV_EUlSU_E_NS1_11comp_targetILNS1_3genE10ELNS1_11target_archE1201ELNS1_3gpuE5ELNS1_3repE0EEENS1_30default_config_static_selectorELNS0_4arch9wavefront6targetE0EEEvT1_.num_named_barrier, 0
	.set _ZN7rocprim17ROCPRIM_400000_NS6detail17trampoline_kernelINS0_14default_configENS1_27scan_by_key_config_selectorIxxEEZZNS1_16scan_by_key_implILNS1_25lookback_scan_determinismE0ELb1ES3_N6thrust23THRUST_200600_302600_NS6detail15normal_iteratorINS9_10device_ptrIxEEEESE_SE_xNS9_4plusIvEENS9_8equal_toIvEExEE10hipError_tPvRmT2_T3_T4_T5_mT6_T7_P12ihipStream_tbENKUlT_T0_E_clISt17integral_constantIbLb1EESY_IbLb0EEEEDaSU_SV_EUlSU_E_NS1_11comp_targetILNS1_3genE10ELNS1_11target_archE1201ELNS1_3gpuE5ELNS1_3repE0EEENS1_30default_config_static_selectorELNS0_4arch9wavefront6targetE0EEEvT1_.private_seg_size, 0
	.set _ZN7rocprim17ROCPRIM_400000_NS6detail17trampoline_kernelINS0_14default_configENS1_27scan_by_key_config_selectorIxxEEZZNS1_16scan_by_key_implILNS1_25lookback_scan_determinismE0ELb1ES3_N6thrust23THRUST_200600_302600_NS6detail15normal_iteratorINS9_10device_ptrIxEEEESE_SE_xNS9_4plusIvEENS9_8equal_toIvEExEE10hipError_tPvRmT2_T3_T4_T5_mT6_T7_P12ihipStream_tbENKUlT_T0_E_clISt17integral_constantIbLb1EESY_IbLb0EEEEDaSU_SV_EUlSU_E_NS1_11comp_targetILNS1_3genE10ELNS1_11target_archE1201ELNS1_3gpuE5ELNS1_3repE0EEENS1_30default_config_static_selectorELNS0_4arch9wavefront6targetE0EEEvT1_.uses_vcc, 0
	.set _ZN7rocprim17ROCPRIM_400000_NS6detail17trampoline_kernelINS0_14default_configENS1_27scan_by_key_config_selectorIxxEEZZNS1_16scan_by_key_implILNS1_25lookback_scan_determinismE0ELb1ES3_N6thrust23THRUST_200600_302600_NS6detail15normal_iteratorINS9_10device_ptrIxEEEESE_SE_xNS9_4plusIvEENS9_8equal_toIvEExEE10hipError_tPvRmT2_T3_T4_T5_mT6_T7_P12ihipStream_tbENKUlT_T0_E_clISt17integral_constantIbLb1EESY_IbLb0EEEEDaSU_SV_EUlSU_E_NS1_11comp_targetILNS1_3genE10ELNS1_11target_archE1201ELNS1_3gpuE5ELNS1_3repE0EEENS1_30default_config_static_selectorELNS0_4arch9wavefront6targetE0EEEvT1_.uses_flat_scratch, 0
	.set _ZN7rocprim17ROCPRIM_400000_NS6detail17trampoline_kernelINS0_14default_configENS1_27scan_by_key_config_selectorIxxEEZZNS1_16scan_by_key_implILNS1_25lookback_scan_determinismE0ELb1ES3_N6thrust23THRUST_200600_302600_NS6detail15normal_iteratorINS9_10device_ptrIxEEEESE_SE_xNS9_4plusIvEENS9_8equal_toIvEExEE10hipError_tPvRmT2_T3_T4_T5_mT6_T7_P12ihipStream_tbENKUlT_T0_E_clISt17integral_constantIbLb1EESY_IbLb0EEEEDaSU_SV_EUlSU_E_NS1_11comp_targetILNS1_3genE10ELNS1_11target_archE1201ELNS1_3gpuE5ELNS1_3repE0EEENS1_30default_config_static_selectorELNS0_4arch9wavefront6targetE0EEEvT1_.has_dyn_sized_stack, 0
	.set _ZN7rocprim17ROCPRIM_400000_NS6detail17trampoline_kernelINS0_14default_configENS1_27scan_by_key_config_selectorIxxEEZZNS1_16scan_by_key_implILNS1_25lookback_scan_determinismE0ELb1ES3_N6thrust23THRUST_200600_302600_NS6detail15normal_iteratorINS9_10device_ptrIxEEEESE_SE_xNS9_4plusIvEENS9_8equal_toIvEExEE10hipError_tPvRmT2_T3_T4_T5_mT6_T7_P12ihipStream_tbENKUlT_T0_E_clISt17integral_constantIbLb1EESY_IbLb0EEEEDaSU_SV_EUlSU_E_NS1_11comp_targetILNS1_3genE10ELNS1_11target_archE1201ELNS1_3gpuE5ELNS1_3repE0EEENS1_30default_config_static_selectorELNS0_4arch9wavefront6targetE0EEEvT1_.has_recursion, 0
	.set _ZN7rocprim17ROCPRIM_400000_NS6detail17trampoline_kernelINS0_14default_configENS1_27scan_by_key_config_selectorIxxEEZZNS1_16scan_by_key_implILNS1_25lookback_scan_determinismE0ELb1ES3_N6thrust23THRUST_200600_302600_NS6detail15normal_iteratorINS9_10device_ptrIxEEEESE_SE_xNS9_4plusIvEENS9_8equal_toIvEExEE10hipError_tPvRmT2_T3_T4_T5_mT6_T7_P12ihipStream_tbENKUlT_T0_E_clISt17integral_constantIbLb1EESY_IbLb0EEEEDaSU_SV_EUlSU_E_NS1_11comp_targetILNS1_3genE10ELNS1_11target_archE1201ELNS1_3gpuE5ELNS1_3repE0EEENS1_30default_config_static_selectorELNS0_4arch9wavefront6targetE0EEEvT1_.has_indirect_call, 0
	.section	.AMDGPU.csdata,"",@progbits
; Kernel info:
; codeLenInByte = 0
; TotalNumSgprs: 0
; NumVgprs: 0
; ScratchSize: 0
; MemoryBound: 0
; FloatMode: 240
; IeeeMode: 1
; LDSByteSize: 0 bytes/workgroup (compile time only)
; SGPRBlocks: 0
; VGPRBlocks: 0
; NumSGPRsForWavesPerEU: 1
; NumVGPRsForWavesPerEU: 1
; NamedBarCnt: 0
; Occupancy: 16
; WaveLimiterHint : 0
; COMPUTE_PGM_RSRC2:SCRATCH_EN: 0
; COMPUTE_PGM_RSRC2:USER_SGPR: 2
; COMPUTE_PGM_RSRC2:TRAP_HANDLER: 0
; COMPUTE_PGM_RSRC2:TGID_X_EN: 1
; COMPUTE_PGM_RSRC2:TGID_Y_EN: 0
; COMPUTE_PGM_RSRC2:TGID_Z_EN: 0
; COMPUTE_PGM_RSRC2:TIDIG_COMP_CNT: 0
	.section	.text._ZN7rocprim17ROCPRIM_400000_NS6detail17trampoline_kernelINS0_14default_configENS1_27scan_by_key_config_selectorIxxEEZZNS1_16scan_by_key_implILNS1_25lookback_scan_determinismE0ELb1ES3_N6thrust23THRUST_200600_302600_NS6detail15normal_iteratorINS9_10device_ptrIxEEEESE_SE_xNS9_4plusIvEENS9_8equal_toIvEExEE10hipError_tPvRmT2_T3_T4_T5_mT6_T7_P12ihipStream_tbENKUlT_T0_E_clISt17integral_constantIbLb1EESY_IbLb0EEEEDaSU_SV_EUlSU_E_NS1_11comp_targetILNS1_3genE5ELNS1_11target_archE942ELNS1_3gpuE9ELNS1_3repE0EEENS1_30default_config_static_selectorELNS0_4arch9wavefront6targetE0EEEvT1_,"axG",@progbits,_ZN7rocprim17ROCPRIM_400000_NS6detail17trampoline_kernelINS0_14default_configENS1_27scan_by_key_config_selectorIxxEEZZNS1_16scan_by_key_implILNS1_25lookback_scan_determinismE0ELb1ES3_N6thrust23THRUST_200600_302600_NS6detail15normal_iteratorINS9_10device_ptrIxEEEESE_SE_xNS9_4plusIvEENS9_8equal_toIvEExEE10hipError_tPvRmT2_T3_T4_T5_mT6_T7_P12ihipStream_tbENKUlT_T0_E_clISt17integral_constantIbLb1EESY_IbLb0EEEEDaSU_SV_EUlSU_E_NS1_11comp_targetILNS1_3genE5ELNS1_11target_archE942ELNS1_3gpuE9ELNS1_3repE0EEENS1_30default_config_static_selectorELNS0_4arch9wavefront6targetE0EEEvT1_,comdat
	.protected	_ZN7rocprim17ROCPRIM_400000_NS6detail17trampoline_kernelINS0_14default_configENS1_27scan_by_key_config_selectorIxxEEZZNS1_16scan_by_key_implILNS1_25lookback_scan_determinismE0ELb1ES3_N6thrust23THRUST_200600_302600_NS6detail15normal_iteratorINS9_10device_ptrIxEEEESE_SE_xNS9_4plusIvEENS9_8equal_toIvEExEE10hipError_tPvRmT2_T3_T4_T5_mT6_T7_P12ihipStream_tbENKUlT_T0_E_clISt17integral_constantIbLb1EESY_IbLb0EEEEDaSU_SV_EUlSU_E_NS1_11comp_targetILNS1_3genE5ELNS1_11target_archE942ELNS1_3gpuE9ELNS1_3repE0EEENS1_30default_config_static_selectorELNS0_4arch9wavefront6targetE0EEEvT1_ ; -- Begin function _ZN7rocprim17ROCPRIM_400000_NS6detail17trampoline_kernelINS0_14default_configENS1_27scan_by_key_config_selectorIxxEEZZNS1_16scan_by_key_implILNS1_25lookback_scan_determinismE0ELb1ES3_N6thrust23THRUST_200600_302600_NS6detail15normal_iteratorINS9_10device_ptrIxEEEESE_SE_xNS9_4plusIvEENS9_8equal_toIvEExEE10hipError_tPvRmT2_T3_T4_T5_mT6_T7_P12ihipStream_tbENKUlT_T0_E_clISt17integral_constantIbLb1EESY_IbLb0EEEEDaSU_SV_EUlSU_E_NS1_11comp_targetILNS1_3genE5ELNS1_11target_archE942ELNS1_3gpuE9ELNS1_3repE0EEENS1_30default_config_static_selectorELNS0_4arch9wavefront6targetE0EEEvT1_
	.globl	_ZN7rocprim17ROCPRIM_400000_NS6detail17trampoline_kernelINS0_14default_configENS1_27scan_by_key_config_selectorIxxEEZZNS1_16scan_by_key_implILNS1_25lookback_scan_determinismE0ELb1ES3_N6thrust23THRUST_200600_302600_NS6detail15normal_iteratorINS9_10device_ptrIxEEEESE_SE_xNS9_4plusIvEENS9_8equal_toIvEExEE10hipError_tPvRmT2_T3_T4_T5_mT6_T7_P12ihipStream_tbENKUlT_T0_E_clISt17integral_constantIbLb1EESY_IbLb0EEEEDaSU_SV_EUlSU_E_NS1_11comp_targetILNS1_3genE5ELNS1_11target_archE942ELNS1_3gpuE9ELNS1_3repE0EEENS1_30default_config_static_selectorELNS0_4arch9wavefront6targetE0EEEvT1_
	.p2align	8
	.type	_ZN7rocprim17ROCPRIM_400000_NS6detail17trampoline_kernelINS0_14default_configENS1_27scan_by_key_config_selectorIxxEEZZNS1_16scan_by_key_implILNS1_25lookback_scan_determinismE0ELb1ES3_N6thrust23THRUST_200600_302600_NS6detail15normal_iteratorINS9_10device_ptrIxEEEESE_SE_xNS9_4plusIvEENS9_8equal_toIvEExEE10hipError_tPvRmT2_T3_T4_T5_mT6_T7_P12ihipStream_tbENKUlT_T0_E_clISt17integral_constantIbLb1EESY_IbLb0EEEEDaSU_SV_EUlSU_E_NS1_11comp_targetILNS1_3genE5ELNS1_11target_archE942ELNS1_3gpuE9ELNS1_3repE0EEENS1_30default_config_static_selectorELNS0_4arch9wavefront6targetE0EEEvT1_,@function
_ZN7rocprim17ROCPRIM_400000_NS6detail17trampoline_kernelINS0_14default_configENS1_27scan_by_key_config_selectorIxxEEZZNS1_16scan_by_key_implILNS1_25lookback_scan_determinismE0ELb1ES3_N6thrust23THRUST_200600_302600_NS6detail15normal_iteratorINS9_10device_ptrIxEEEESE_SE_xNS9_4plusIvEENS9_8equal_toIvEExEE10hipError_tPvRmT2_T3_T4_T5_mT6_T7_P12ihipStream_tbENKUlT_T0_E_clISt17integral_constantIbLb1EESY_IbLb0EEEEDaSU_SV_EUlSU_E_NS1_11comp_targetILNS1_3genE5ELNS1_11target_archE942ELNS1_3gpuE9ELNS1_3repE0EEENS1_30default_config_static_selectorELNS0_4arch9wavefront6targetE0EEEvT1_: ; @_ZN7rocprim17ROCPRIM_400000_NS6detail17trampoline_kernelINS0_14default_configENS1_27scan_by_key_config_selectorIxxEEZZNS1_16scan_by_key_implILNS1_25lookback_scan_determinismE0ELb1ES3_N6thrust23THRUST_200600_302600_NS6detail15normal_iteratorINS9_10device_ptrIxEEEESE_SE_xNS9_4plusIvEENS9_8equal_toIvEExEE10hipError_tPvRmT2_T3_T4_T5_mT6_T7_P12ihipStream_tbENKUlT_T0_E_clISt17integral_constantIbLb1EESY_IbLb0EEEEDaSU_SV_EUlSU_E_NS1_11comp_targetILNS1_3genE5ELNS1_11target_archE942ELNS1_3gpuE9ELNS1_3repE0EEENS1_30default_config_static_selectorELNS0_4arch9wavefront6targetE0EEEvT1_
; %bb.0:
	.section	.rodata,"a",@progbits
	.p2align	6, 0x0
	.amdhsa_kernel _ZN7rocprim17ROCPRIM_400000_NS6detail17trampoline_kernelINS0_14default_configENS1_27scan_by_key_config_selectorIxxEEZZNS1_16scan_by_key_implILNS1_25lookback_scan_determinismE0ELb1ES3_N6thrust23THRUST_200600_302600_NS6detail15normal_iteratorINS9_10device_ptrIxEEEESE_SE_xNS9_4plusIvEENS9_8equal_toIvEExEE10hipError_tPvRmT2_T3_T4_T5_mT6_T7_P12ihipStream_tbENKUlT_T0_E_clISt17integral_constantIbLb1EESY_IbLb0EEEEDaSU_SV_EUlSU_E_NS1_11comp_targetILNS1_3genE5ELNS1_11target_archE942ELNS1_3gpuE9ELNS1_3repE0EEENS1_30default_config_static_selectorELNS0_4arch9wavefront6targetE0EEEvT1_
		.amdhsa_group_segment_fixed_size 0
		.amdhsa_private_segment_fixed_size 0
		.amdhsa_kernarg_size 136
		.amdhsa_user_sgpr_count 2
		.amdhsa_user_sgpr_dispatch_ptr 0
		.amdhsa_user_sgpr_queue_ptr 0
		.amdhsa_user_sgpr_kernarg_segment_ptr 1
		.amdhsa_user_sgpr_dispatch_id 0
		.amdhsa_user_sgpr_kernarg_preload_length 0
		.amdhsa_user_sgpr_kernarg_preload_offset 0
		.amdhsa_user_sgpr_private_segment_size 0
		.amdhsa_wavefront_size32 1
		.amdhsa_uses_dynamic_stack 0
		.amdhsa_enable_private_segment 0
		.amdhsa_system_sgpr_workgroup_id_x 1
		.amdhsa_system_sgpr_workgroup_id_y 0
		.amdhsa_system_sgpr_workgroup_id_z 0
		.amdhsa_system_sgpr_workgroup_info 0
		.amdhsa_system_vgpr_workitem_id 0
		.amdhsa_next_free_vgpr 1
		.amdhsa_next_free_sgpr 1
		.amdhsa_named_barrier_count 0
		.amdhsa_reserve_vcc 0
		.amdhsa_float_round_mode_32 0
		.amdhsa_float_round_mode_16_64 0
		.amdhsa_float_denorm_mode_32 3
		.amdhsa_float_denorm_mode_16_64 3
		.amdhsa_fp16_overflow 0
		.amdhsa_memory_ordered 1
		.amdhsa_forward_progress 1
		.amdhsa_inst_pref_size 0
		.amdhsa_round_robin_scheduling 0
		.amdhsa_exception_fp_ieee_invalid_op 0
		.amdhsa_exception_fp_denorm_src 0
		.amdhsa_exception_fp_ieee_div_zero 0
		.amdhsa_exception_fp_ieee_overflow 0
		.amdhsa_exception_fp_ieee_underflow 0
		.amdhsa_exception_fp_ieee_inexact 0
		.amdhsa_exception_int_div_zero 0
	.end_amdhsa_kernel
	.section	.text._ZN7rocprim17ROCPRIM_400000_NS6detail17trampoline_kernelINS0_14default_configENS1_27scan_by_key_config_selectorIxxEEZZNS1_16scan_by_key_implILNS1_25lookback_scan_determinismE0ELb1ES3_N6thrust23THRUST_200600_302600_NS6detail15normal_iteratorINS9_10device_ptrIxEEEESE_SE_xNS9_4plusIvEENS9_8equal_toIvEExEE10hipError_tPvRmT2_T3_T4_T5_mT6_T7_P12ihipStream_tbENKUlT_T0_E_clISt17integral_constantIbLb1EESY_IbLb0EEEEDaSU_SV_EUlSU_E_NS1_11comp_targetILNS1_3genE5ELNS1_11target_archE942ELNS1_3gpuE9ELNS1_3repE0EEENS1_30default_config_static_selectorELNS0_4arch9wavefront6targetE0EEEvT1_,"axG",@progbits,_ZN7rocprim17ROCPRIM_400000_NS6detail17trampoline_kernelINS0_14default_configENS1_27scan_by_key_config_selectorIxxEEZZNS1_16scan_by_key_implILNS1_25lookback_scan_determinismE0ELb1ES3_N6thrust23THRUST_200600_302600_NS6detail15normal_iteratorINS9_10device_ptrIxEEEESE_SE_xNS9_4plusIvEENS9_8equal_toIvEExEE10hipError_tPvRmT2_T3_T4_T5_mT6_T7_P12ihipStream_tbENKUlT_T0_E_clISt17integral_constantIbLb1EESY_IbLb0EEEEDaSU_SV_EUlSU_E_NS1_11comp_targetILNS1_3genE5ELNS1_11target_archE942ELNS1_3gpuE9ELNS1_3repE0EEENS1_30default_config_static_selectorELNS0_4arch9wavefront6targetE0EEEvT1_,comdat
.Lfunc_end373:
	.size	_ZN7rocprim17ROCPRIM_400000_NS6detail17trampoline_kernelINS0_14default_configENS1_27scan_by_key_config_selectorIxxEEZZNS1_16scan_by_key_implILNS1_25lookback_scan_determinismE0ELb1ES3_N6thrust23THRUST_200600_302600_NS6detail15normal_iteratorINS9_10device_ptrIxEEEESE_SE_xNS9_4plusIvEENS9_8equal_toIvEExEE10hipError_tPvRmT2_T3_T4_T5_mT6_T7_P12ihipStream_tbENKUlT_T0_E_clISt17integral_constantIbLb1EESY_IbLb0EEEEDaSU_SV_EUlSU_E_NS1_11comp_targetILNS1_3genE5ELNS1_11target_archE942ELNS1_3gpuE9ELNS1_3repE0EEENS1_30default_config_static_selectorELNS0_4arch9wavefront6targetE0EEEvT1_, .Lfunc_end373-_ZN7rocprim17ROCPRIM_400000_NS6detail17trampoline_kernelINS0_14default_configENS1_27scan_by_key_config_selectorIxxEEZZNS1_16scan_by_key_implILNS1_25lookback_scan_determinismE0ELb1ES3_N6thrust23THRUST_200600_302600_NS6detail15normal_iteratorINS9_10device_ptrIxEEEESE_SE_xNS9_4plusIvEENS9_8equal_toIvEExEE10hipError_tPvRmT2_T3_T4_T5_mT6_T7_P12ihipStream_tbENKUlT_T0_E_clISt17integral_constantIbLb1EESY_IbLb0EEEEDaSU_SV_EUlSU_E_NS1_11comp_targetILNS1_3genE5ELNS1_11target_archE942ELNS1_3gpuE9ELNS1_3repE0EEENS1_30default_config_static_selectorELNS0_4arch9wavefront6targetE0EEEvT1_
                                        ; -- End function
	.set _ZN7rocprim17ROCPRIM_400000_NS6detail17trampoline_kernelINS0_14default_configENS1_27scan_by_key_config_selectorIxxEEZZNS1_16scan_by_key_implILNS1_25lookback_scan_determinismE0ELb1ES3_N6thrust23THRUST_200600_302600_NS6detail15normal_iteratorINS9_10device_ptrIxEEEESE_SE_xNS9_4plusIvEENS9_8equal_toIvEExEE10hipError_tPvRmT2_T3_T4_T5_mT6_T7_P12ihipStream_tbENKUlT_T0_E_clISt17integral_constantIbLb1EESY_IbLb0EEEEDaSU_SV_EUlSU_E_NS1_11comp_targetILNS1_3genE5ELNS1_11target_archE942ELNS1_3gpuE9ELNS1_3repE0EEENS1_30default_config_static_selectorELNS0_4arch9wavefront6targetE0EEEvT1_.num_vgpr, 0
	.set _ZN7rocprim17ROCPRIM_400000_NS6detail17trampoline_kernelINS0_14default_configENS1_27scan_by_key_config_selectorIxxEEZZNS1_16scan_by_key_implILNS1_25lookback_scan_determinismE0ELb1ES3_N6thrust23THRUST_200600_302600_NS6detail15normal_iteratorINS9_10device_ptrIxEEEESE_SE_xNS9_4plusIvEENS9_8equal_toIvEExEE10hipError_tPvRmT2_T3_T4_T5_mT6_T7_P12ihipStream_tbENKUlT_T0_E_clISt17integral_constantIbLb1EESY_IbLb0EEEEDaSU_SV_EUlSU_E_NS1_11comp_targetILNS1_3genE5ELNS1_11target_archE942ELNS1_3gpuE9ELNS1_3repE0EEENS1_30default_config_static_selectorELNS0_4arch9wavefront6targetE0EEEvT1_.num_agpr, 0
	.set _ZN7rocprim17ROCPRIM_400000_NS6detail17trampoline_kernelINS0_14default_configENS1_27scan_by_key_config_selectorIxxEEZZNS1_16scan_by_key_implILNS1_25lookback_scan_determinismE0ELb1ES3_N6thrust23THRUST_200600_302600_NS6detail15normal_iteratorINS9_10device_ptrIxEEEESE_SE_xNS9_4plusIvEENS9_8equal_toIvEExEE10hipError_tPvRmT2_T3_T4_T5_mT6_T7_P12ihipStream_tbENKUlT_T0_E_clISt17integral_constantIbLb1EESY_IbLb0EEEEDaSU_SV_EUlSU_E_NS1_11comp_targetILNS1_3genE5ELNS1_11target_archE942ELNS1_3gpuE9ELNS1_3repE0EEENS1_30default_config_static_selectorELNS0_4arch9wavefront6targetE0EEEvT1_.numbered_sgpr, 0
	.set _ZN7rocprim17ROCPRIM_400000_NS6detail17trampoline_kernelINS0_14default_configENS1_27scan_by_key_config_selectorIxxEEZZNS1_16scan_by_key_implILNS1_25lookback_scan_determinismE0ELb1ES3_N6thrust23THRUST_200600_302600_NS6detail15normal_iteratorINS9_10device_ptrIxEEEESE_SE_xNS9_4plusIvEENS9_8equal_toIvEExEE10hipError_tPvRmT2_T3_T4_T5_mT6_T7_P12ihipStream_tbENKUlT_T0_E_clISt17integral_constantIbLb1EESY_IbLb0EEEEDaSU_SV_EUlSU_E_NS1_11comp_targetILNS1_3genE5ELNS1_11target_archE942ELNS1_3gpuE9ELNS1_3repE0EEENS1_30default_config_static_selectorELNS0_4arch9wavefront6targetE0EEEvT1_.num_named_barrier, 0
	.set _ZN7rocprim17ROCPRIM_400000_NS6detail17trampoline_kernelINS0_14default_configENS1_27scan_by_key_config_selectorIxxEEZZNS1_16scan_by_key_implILNS1_25lookback_scan_determinismE0ELb1ES3_N6thrust23THRUST_200600_302600_NS6detail15normal_iteratorINS9_10device_ptrIxEEEESE_SE_xNS9_4plusIvEENS9_8equal_toIvEExEE10hipError_tPvRmT2_T3_T4_T5_mT6_T7_P12ihipStream_tbENKUlT_T0_E_clISt17integral_constantIbLb1EESY_IbLb0EEEEDaSU_SV_EUlSU_E_NS1_11comp_targetILNS1_3genE5ELNS1_11target_archE942ELNS1_3gpuE9ELNS1_3repE0EEENS1_30default_config_static_selectorELNS0_4arch9wavefront6targetE0EEEvT1_.private_seg_size, 0
	.set _ZN7rocprim17ROCPRIM_400000_NS6detail17trampoline_kernelINS0_14default_configENS1_27scan_by_key_config_selectorIxxEEZZNS1_16scan_by_key_implILNS1_25lookback_scan_determinismE0ELb1ES3_N6thrust23THRUST_200600_302600_NS6detail15normal_iteratorINS9_10device_ptrIxEEEESE_SE_xNS9_4plusIvEENS9_8equal_toIvEExEE10hipError_tPvRmT2_T3_T4_T5_mT6_T7_P12ihipStream_tbENKUlT_T0_E_clISt17integral_constantIbLb1EESY_IbLb0EEEEDaSU_SV_EUlSU_E_NS1_11comp_targetILNS1_3genE5ELNS1_11target_archE942ELNS1_3gpuE9ELNS1_3repE0EEENS1_30default_config_static_selectorELNS0_4arch9wavefront6targetE0EEEvT1_.uses_vcc, 0
	.set _ZN7rocprim17ROCPRIM_400000_NS6detail17trampoline_kernelINS0_14default_configENS1_27scan_by_key_config_selectorIxxEEZZNS1_16scan_by_key_implILNS1_25lookback_scan_determinismE0ELb1ES3_N6thrust23THRUST_200600_302600_NS6detail15normal_iteratorINS9_10device_ptrIxEEEESE_SE_xNS9_4plusIvEENS9_8equal_toIvEExEE10hipError_tPvRmT2_T3_T4_T5_mT6_T7_P12ihipStream_tbENKUlT_T0_E_clISt17integral_constantIbLb1EESY_IbLb0EEEEDaSU_SV_EUlSU_E_NS1_11comp_targetILNS1_3genE5ELNS1_11target_archE942ELNS1_3gpuE9ELNS1_3repE0EEENS1_30default_config_static_selectorELNS0_4arch9wavefront6targetE0EEEvT1_.uses_flat_scratch, 0
	.set _ZN7rocprim17ROCPRIM_400000_NS6detail17trampoline_kernelINS0_14default_configENS1_27scan_by_key_config_selectorIxxEEZZNS1_16scan_by_key_implILNS1_25lookback_scan_determinismE0ELb1ES3_N6thrust23THRUST_200600_302600_NS6detail15normal_iteratorINS9_10device_ptrIxEEEESE_SE_xNS9_4plusIvEENS9_8equal_toIvEExEE10hipError_tPvRmT2_T3_T4_T5_mT6_T7_P12ihipStream_tbENKUlT_T0_E_clISt17integral_constantIbLb1EESY_IbLb0EEEEDaSU_SV_EUlSU_E_NS1_11comp_targetILNS1_3genE5ELNS1_11target_archE942ELNS1_3gpuE9ELNS1_3repE0EEENS1_30default_config_static_selectorELNS0_4arch9wavefront6targetE0EEEvT1_.has_dyn_sized_stack, 0
	.set _ZN7rocprim17ROCPRIM_400000_NS6detail17trampoline_kernelINS0_14default_configENS1_27scan_by_key_config_selectorIxxEEZZNS1_16scan_by_key_implILNS1_25lookback_scan_determinismE0ELb1ES3_N6thrust23THRUST_200600_302600_NS6detail15normal_iteratorINS9_10device_ptrIxEEEESE_SE_xNS9_4plusIvEENS9_8equal_toIvEExEE10hipError_tPvRmT2_T3_T4_T5_mT6_T7_P12ihipStream_tbENKUlT_T0_E_clISt17integral_constantIbLb1EESY_IbLb0EEEEDaSU_SV_EUlSU_E_NS1_11comp_targetILNS1_3genE5ELNS1_11target_archE942ELNS1_3gpuE9ELNS1_3repE0EEENS1_30default_config_static_selectorELNS0_4arch9wavefront6targetE0EEEvT1_.has_recursion, 0
	.set _ZN7rocprim17ROCPRIM_400000_NS6detail17trampoline_kernelINS0_14default_configENS1_27scan_by_key_config_selectorIxxEEZZNS1_16scan_by_key_implILNS1_25lookback_scan_determinismE0ELb1ES3_N6thrust23THRUST_200600_302600_NS6detail15normal_iteratorINS9_10device_ptrIxEEEESE_SE_xNS9_4plusIvEENS9_8equal_toIvEExEE10hipError_tPvRmT2_T3_T4_T5_mT6_T7_P12ihipStream_tbENKUlT_T0_E_clISt17integral_constantIbLb1EESY_IbLb0EEEEDaSU_SV_EUlSU_E_NS1_11comp_targetILNS1_3genE5ELNS1_11target_archE942ELNS1_3gpuE9ELNS1_3repE0EEENS1_30default_config_static_selectorELNS0_4arch9wavefront6targetE0EEEvT1_.has_indirect_call, 0
	.section	.AMDGPU.csdata,"",@progbits
; Kernel info:
; codeLenInByte = 0
; TotalNumSgprs: 0
; NumVgprs: 0
; ScratchSize: 0
; MemoryBound: 0
; FloatMode: 240
; IeeeMode: 1
; LDSByteSize: 0 bytes/workgroup (compile time only)
; SGPRBlocks: 0
; VGPRBlocks: 0
; NumSGPRsForWavesPerEU: 1
; NumVGPRsForWavesPerEU: 1
; NamedBarCnt: 0
; Occupancy: 16
; WaveLimiterHint : 0
; COMPUTE_PGM_RSRC2:SCRATCH_EN: 0
; COMPUTE_PGM_RSRC2:USER_SGPR: 2
; COMPUTE_PGM_RSRC2:TRAP_HANDLER: 0
; COMPUTE_PGM_RSRC2:TGID_X_EN: 1
; COMPUTE_PGM_RSRC2:TGID_Y_EN: 0
; COMPUTE_PGM_RSRC2:TGID_Z_EN: 0
; COMPUTE_PGM_RSRC2:TIDIG_COMP_CNT: 0
	.section	.text._ZN7rocprim17ROCPRIM_400000_NS6detail17trampoline_kernelINS0_14default_configENS1_27scan_by_key_config_selectorIxxEEZZNS1_16scan_by_key_implILNS1_25lookback_scan_determinismE0ELb1ES3_N6thrust23THRUST_200600_302600_NS6detail15normal_iteratorINS9_10device_ptrIxEEEESE_SE_xNS9_4plusIvEENS9_8equal_toIvEExEE10hipError_tPvRmT2_T3_T4_T5_mT6_T7_P12ihipStream_tbENKUlT_T0_E_clISt17integral_constantIbLb1EESY_IbLb0EEEEDaSU_SV_EUlSU_E_NS1_11comp_targetILNS1_3genE4ELNS1_11target_archE910ELNS1_3gpuE8ELNS1_3repE0EEENS1_30default_config_static_selectorELNS0_4arch9wavefront6targetE0EEEvT1_,"axG",@progbits,_ZN7rocprim17ROCPRIM_400000_NS6detail17trampoline_kernelINS0_14default_configENS1_27scan_by_key_config_selectorIxxEEZZNS1_16scan_by_key_implILNS1_25lookback_scan_determinismE0ELb1ES3_N6thrust23THRUST_200600_302600_NS6detail15normal_iteratorINS9_10device_ptrIxEEEESE_SE_xNS9_4plusIvEENS9_8equal_toIvEExEE10hipError_tPvRmT2_T3_T4_T5_mT6_T7_P12ihipStream_tbENKUlT_T0_E_clISt17integral_constantIbLb1EESY_IbLb0EEEEDaSU_SV_EUlSU_E_NS1_11comp_targetILNS1_3genE4ELNS1_11target_archE910ELNS1_3gpuE8ELNS1_3repE0EEENS1_30default_config_static_selectorELNS0_4arch9wavefront6targetE0EEEvT1_,comdat
	.protected	_ZN7rocprim17ROCPRIM_400000_NS6detail17trampoline_kernelINS0_14default_configENS1_27scan_by_key_config_selectorIxxEEZZNS1_16scan_by_key_implILNS1_25lookback_scan_determinismE0ELb1ES3_N6thrust23THRUST_200600_302600_NS6detail15normal_iteratorINS9_10device_ptrIxEEEESE_SE_xNS9_4plusIvEENS9_8equal_toIvEExEE10hipError_tPvRmT2_T3_T4_T5_mT6_T7_P12ihipStream_tbENKUlT_T0_E_clISt17integral_constantIbLb1EESY_IbLb0EEEEDaSU_SV_EUlSU_E_NS1_11comp_targetILNS1_3genE4ELNS1_11target_archE910ELNS1_3gpuE8ELNS1_3repE0EEENS1_30default_config_static_selectorELNS0_4arch9wavefront6targetE0EEEvT1_ ; -- Begin function _ZN7rocprim17ROCPRIM_400000_NS6detail17trampoline_kernelINS0_14default_configENS1_27scan_by_key_config_selectorIxxEEZZNS1_16scan_by_key_implILNS1_25lookback_scan_determinismE0ELb1ES3_N6thrust23THRUST_200600_302600_NS6detail15normal_iteratorINS9_10device_ptrIxEEEESE_SE_xNS9_4plusIvEENS9_8equal_toIvEExEE10hipError_tPvRmT2_T3_T4_T5_mT6_T7_P12ihipStream_tbENKUlT_T0_E_clISt17integral_constantIbLb1EESY_IbLb0EEEEDaSU_SV_EUlSU_E_NS1_11comp_targetILNS1_3genE4ELNS1_11target_archE910ELNS1_3gpuE8ELNS1_3repE0EEENS1_30default_config_static_selectorELNS0_4arch9wavefront6targetE0EEEvT1_
	.globl	_ZN7rocprim17ROCPRIM_400000_NS6detail17trampoline_kernelINS0_14default_configENS1_27scan_by_key_config_selectorIxxEEZZNS1_16scan_by_key_implILNS1_25lookback_scan_determinismE0ELb1ES3_N6thrust23THRUST_200600_302600_NS6detail15normal_iteratorINS9_10device_ptrIxEEEESE_SE_xNS9_4plusIvEENS9_8equal_toIvEExEE10hipError_tPvRmT2_T3_T4_T5_mT6_T7_P12ihipStream_tbENKUlT_T0_E_clISt17integral_constantIbLb1EESY_IbLb0EEEEDaSU_SV_EUlSU_E_NS1_11comp_targetILNS1_3genE4ELNS1_11target_archE910ELNS1_3gpuE8ELNS1_3repE0EEENS1_30default_config_static_selectorELNS0_4arch9wavefront6targetE0EEEvT1_
	.p2align	8
	.type	_ZN7rocprim17ROCPRIM_400000_NS6detail17trampoline_kernelINS0_14default_configENS1_27scan_by_key_config_selectorIxxEEZZNS1_16scan_by_key_implILNS1_25lookback_scan_determinismE0ELb1ES3_N6thrust23THRUST_200600_302600_NS6detail15normal_iteratorINS9_10device_ptrIxEEEESE_SE_xNS9_4plusIvEENS9_8equal_toIvEExEE10hipError_tPvRmT2_T3_T4_T5_mT6_T7_P12ihipStream_tbENKUlT_T0_E_clISt17integral_constantIbLb1EESY_IbLb0EEEEDaSU_SV_EUlSU_E_NS1_11comp_targetILNS1_3genE4ELNS1_11target_archE910ELNS1_3gpuE8ELNS1_3repE0EEENS1_30default_config_static_selectorELNS0_4arch9wavefront6targetE0EEEvT1_,@function
_ZN7rocprim17ROCPRIM_400000_NS6detail17trampoline_kernelINS0_14default_configENS1_27scan_by_key_config_selectorIxxEEZZNS1_16scan_by_key_implILNS1_25lookback_scan_determinismE0ELb1ES3_N6thrust23THRUST_200600_302600_NS6detail15normal_iteratorINS9_10device_ptrIxEEEESE_SE_xNS9_4plusIvEENS9_8equal_toIvEExEE10hipError_tPvRmT2_T3_T4_T5_mT6_T7_P12ihipStream_tbENKUlT_T0_E_clISt17integral_constantIbLb1EESY_IbLb0EEEEDaSU_SV_EUlSU_E_NS1_11comp_targetILNS1_3genE4ELNS1_11target_archE910ELNS1_3gpuE8ELNS1_3repE0EEENS1_30default_config_static_selectorELNS0_4arch9wavefront6targetE0EEEvT1_: ; @_ZN7rocprim17ROCPRIM_400000_NS6detail17trampoline_kernelINS0_14default_configENS1_27scan_by_key_config_selectorIxxEEZZNS1_16scan_by_key_implILNS1_25lookback_scan_determinismE0ELb1ES3_N6thrust23THRUST_200600_302600_NS6detail15normal_iteratorINS9_10device_ptrIxEEEESE_SE_xNS9_4plusIvEENS9_8equal_toIvEExEE10hipError_tPvRmT2_T3_T4_T5_mT6_T7_P12ihipStream_tbENKUlT_T0_E_clISt17integral_constantIbLb1EESY_IbLb0EEEEDaSU_SV_EUlSU_E_NS1_11comp_targetILNS1_3genE4ELNS1_11target_archE910ELNS1_3gpuE8ELNS1_3repE0EEENS1_30default_config_static_selectorELNS0_4arch9wavefront6targetE0EEEvT1_
; %bb.0:
	.section	.rodata,"a",@progbits
	.p2align	6, 0x0
	.amdhsa_kernel _ZN7rocprim17ROCPRIM_400000_NS6detail17trampoline_kernelINS0_14default_configENS1_27scan_by_key_config_selectorIxxEEZZNS1_16scan_by_key_implILNS1_25lookback_scan_determinismE0ELb1ES3_N6thrust23THRUST_200600_302600_NS6detail15normal_iteratorINS9_10device_ptrIxEEEESE_SE_xNS9_4plusIvEENS9_8equal_toIvEExEE10hipError_tPvRmT2_T3_T4_T5_mT6_T7_P12ihipStream_tbENKUlT_T0_E_clISt17integral_constantIbLb1EESY_IbLb0EEEEDaSU_SV_EUlSU_E_NS1_11comp_targetILNS1_3genE4ELNS1_11target_archE910ELNS1_3gpuE8ELNS1_3repE0EEENS1_30default_config_static_selectorELNS0_4arch9wavefront6targetE0EEEvT1_
		.amdhsa_group_segment_fixed_size 0
		.amdhsa_private_segment_fixed_size 0
		.amdhsa_kernarg_size 136
		.amdhsa_user_sgpr_count 2
		.amdhsa_user_sgpr_dispatch_ptr 0
		.amdhsa_user_sgpr_queue_ptr 0
		.amdhsa_user_sgpr_kernarg_segment_ptr 1
		.amdhsa_user_sgpr_dispatch_id 0
		.amdhsa_user_sgpr_kernarg_preload_length 0
		.amdhsa_user_sgpr_kernarg_preload_offset 0
		.amdhsa_user_sgpr_private_segment_size 0
		.amdhsa_wavefront_size32 1
		.amdhsa_uses_dynamic_stack 0
		.amdhsa_enable_private_segment 0
		.amdhsa_system_sgpr_workgroup_id_x 1
		.amdhsa_system_sgpr_workgroup_id_y 0
		.amdhsa_system_sgpr_workgroup_id_z 0
		.amdhsa_system_sgpr_workgroup_info 0
		.amdhsa_system_vgpr_workitem_id 0
		.amdhsa_next_free_vgpr 1
		.amdhsa_next_free_sgpr 1
		.amdhsa_named_barrier_count 0
		.amdhsa_reserve_vcc 0
		.amdhsa_float_round_mode_32 0
		.amdhsa_float_round_mode_16_64 0
		.amdhsa_float_denorm_mode_32 3
		.amdhsa_float_denorm_mode_16_64 3
		.amdhsa_fp16_overflow 0
		.amdhsa_memory_ordered 1
		.amdhsa_forward_progress 1
		.amdhsa_inst_pref_size 0
		.amdhsa_round_robin_scheduling 0
		.amdhsa_exception_fp_ieee_invalid_op 0
		.amdhsa_exception_fp_denorm_src 0
		.amdhsa_exception_fp_ieee_div_zero 0
		.amdhsa_exception_fp_ieee_overflow 0
		.amdhsa_exception_fp_ieee_underflow 0
		.amdhsa_exception_fp_ieee_inexact 0
		.amdhsa_exception_int_div_zero 0
	.end_amdhsa_kernel
	.section	.text._ZN7rocprim17ROCPRIM_400000_NS6detail17trampoline_kernelINS0_14default_configENS1_27scan_by_key_config_selectorIxxEEZZNS1_16scan_by_key_implILNS1_25lookback_scan_determinismE0ELb1ES3_N6thrust23THRUST_200600_302600_NS6detail15normal_iteratorINS9_10device_ptrIxEEEESE_SE_xNS9_4plusIvEENS9_8equal_toIvEExEE10hipError_tPvRmT2_T3_T4_T5_mT6_T7_P12ihipStream_tbENKUlT_T0_E_clISt17integral_constantIbLb1EESY_IbLb0EEEEDaSU_SV_EUlSU_E_NS1_11comp_targetILNS1_3genE4ELNS1_11target_archE910ELNS1_3gpuE8ELNS1_3repE0EEENS1_30default_config_static_selectorELNS0_4arch9wavefront6targetE0EEEvT1_,"axG",@progbits,_ZN7rocprim17ROCPRIM_400000_NS6detail17trampoline_kernelINS0_14default_configENS1_27scan_by_key_config_selectorIxxEEZZNS1_16scan_by_key_implILNS1_25lookback_scan_determinismE0ELb1ES3_N6thrust23THRUST_200600_302600_NS6detail15normal_iteratorINS9_10device_ptrIxEEEESE_SE_xNS9_4plusIvEENS9_8equal_toIvEExEE10hipError_tPvRmT2_T3_T4_T5_mT6_T7_P12ihipStream_tbENKUlT_T0_E_clISt17integral_constantIbLb1EESY_IbLb0EEEEDaSU_SV_EUlSU_E_NS1_11comp_targetILNS1_3genE4ELNS1_11target_archE910ELNS1_3gpuE8ELNS1_3repE0EEENS1_30default_config_static_selectorELNS0_4arch9wavefront6targetE0EEEvT1_,comdat
.Lfunc_end374:
	.size	_ZN7rocprim17ROCPRIM_400000_NS6detail17trampoline_kernelINS0_14default_configENS1_27scan_by_key_config_selectorIxxEEZZNS1_16scan_by_key_implILNS1_25lookback_scan_determinismE0ELb1ES3_N6thrust23THRUST_200600_302600_NS6detail15normal_iteratorINS9_10device_ptrIxEEEESE_SE_xNS9_4plusIvEENS9_8equal_toIvEExEE10hipError_tPvRmT2_T3_T4_T5_mT6_T7_P12ihipStream_tbENKUlT_T0_E_clISt17integral_constantIbLb1EESY_IbLb0EEEEDaSU_SV_EUlSU_E_NS1_11comp_targetILNS1_3genE4ELNS1_11target_archE910ELNS1_3gpuE8ELNS1_3repE0EEENS1_30default_config_static_selectorELNS0_4arch9wavefront6targetE0EEEvT1_, .Lfunc_end374-_ZN7rocprim17ROCPRIM_400000_NS6detail17trampoline_kernelINS0_14default_configENS1_27scan_by_key_config_selectorIxxEEZZNS1_16scan_by_key_implILNS1_25lookback_scan_determinismE0ELb1ES3_N6thrust23THRUST_200600_302600_NS6detail15normal_iteratorINS9_10device_ptrIxEEEESE_SE_xNS9_4plusIvEENS9_8equal_toIvEExEE10hipError_tPvRmT2_T3_T4_T5_mT6_T7_P12ihipStream_tbENKUlT_T0_E_clISt17integral_constantIbLb1EESY_IbLb0EEEEDaSU_SV_EUlSU_E_NS1_11comp_targetILNS1_3genE4ELNS1_11target_archE910ELNS1_3gpuE8ELNS1_3repE0EEENS1_30default_config_static_selectorELNS0_4arch9wavefront6targetE0EEEvT1_
                                        ; -- End function
	.set _ZN7rocprim17ROCPRIM_400000_NS6detail17trampoline_kernelINS0_14default_configENS1_27scan_by_key_config_selectorIxxEEZZNS1_16scan_by_key_implILNS1_25lookback_scan_determinismE0ELb1ES3_N6thrust23THRUST_200600_302600_NS6detail15normal_iteratorINS9_10device_ptrIxEEEESE_SE_xNS9_4plusIvEENS9_8equal_toIvEExEE10hipError_tPvRmT2_T3_T4_T5_mT6_T7_P12ihipStream_tbENKUlT_T0_E_clISt17integral_constantIbLb1EESY_IbLb0EEEEDaSU_SV_EUlSU_E_NS1_11comp_targetILNS1_3genE4ELNS1_11target_archE910ELNS1_3gpuE8ELNS1_3repE0EEENS1_30default_config_static_selectorELNS0_4arch9wavefront6targetE0EEEvT1_.num_vgpr, 0
	.set _ZN7rocprim17ROCPRIM_400000_NS6detail17trampoline_kernelINS0_14default_configENS1_27scan_by_key_config_selectorIxxEEZZNS1_16scan_by_key_implILNS1_25lookback_scan_determinismE0ELb1ES3_N6thrust23THRUST_200600_302600_NS6detail15normal_iteratorINS9_10device_ptrIxEEEESE_SE_xNS9_4plusIvEENS9_8equal_toIvEExEE10hipError_tPvRmT2_T3_T4_T5_mT6_T7_P12ihipStream_tbENKUlT_T0_E_clISt17integral_constantIbLb1EESY_IbLb0EEEEDaSU_SV_EUlSU_E_NS1_11comp_targetILNS1_3genE4ELNS1_11target_archE910ELNS1_3gpuE8ELNS1_3repE0EEENS1_30default_config_static_selectorELNS0_4arch9wavefront6targetE0EEEvT1_.num_agpr, 0
	.set _ZN7rocprim17ROCPRIM_400000_NS6detail17trampoline_kernelINS0_14default_configENS1_27scan_by_key_config_selectorIxxEEZZNS1_16scan_by_key_implILNS1_25lookback_scan_determinismE0ELb1ES3_N6thrust23THRUST_200600_302600_NS6detail15normal_iteratorINS9_10device_ptrIxEEEESE_SE_xNS9_4plusIvEENS9_8equal_toIvEExEE10hipError_tPvRmT2_T3_T4_T5_mT6_T7_P12ihipStream_tbENKUlT_T0_E_clISt17integral_constantIbLb1EESY_IbLb0EEEEDaSU_SV_EUlSU_E_NS1_11comp_targetILNS1_3genE4ELNS1_11target_archE910ELNS1_3gpuE8ELNS1_3repE0EEENS1_30default_config_static_selectorELNS0_4arch9wavefront6targetE0EEEvT1_.numbered_sgpr, 0
	.set _ZN7rocprim17ROCPRIM_400000_NS6detail17trampoline_kernelINS0_14default_configENS1_27scan_by_key_config_selectorIxxEEZZNS1_16scan_by_key_implILNS1_25lookback_scan_determinismE0ELb1ES3_N6thrust23THRUST_200600_302600_NS6detail15normal_iteratorINS9_10device_ptrIxEEEESE_SE_xNS9_4plusIvEENS9_8equal_toIvEExEE10hipError_tPvRmT2_T3_T4_T5_mT6_T7_P12ihipStream_tbENKUlT_T0_E_clISt17integral_constantIbLb1EESY_IbLb0EEEEDaSU_SV_EUlSU_E_NS1_11comp_targetILNS1_3genE4ELNS1_11target_archE910ELNS1_3gpuE8ELNS1_3repE0EEENS1_30default_config_static_selectorELNS0_4arch9wavefront6targetE0EEEvT1_.num_named_barrier, 0
	.set _ZN7rocprim17ROCPRIM_400000_NS6detail17trampoline_kernelINS0_14default_configENS1_27scan_by_key_config_selectorIxxEEZZNS1_16scan_by_key_implILNS1_25lookback_scan_determinismE0ELb1ES3_N6thrust23THRUST_200600_302600_NS6detail15normal_iteratorINS9_10device_ptrIxEEEESE_SE_xNS9_4plusIvEENS9_8equal_toIvEExEE10hipError_tPvRmT2_T3_T4_T5_mT6_T7_P12ihipStream_tbENKUlT_T0_E_clISt17integral_constantIbLb1EESY_IbLb0EEEEDaSU_SV_EUlSU_E_NS1_11comp_targetILNS1_3genE4ELNS1_11target_archE910ELNS1_3gpuE8ELNS1_3repE0EEENS1_30default_config_static_selectorELNS0_4arch9wavefront6targetE0EEEvT1_.private_seg_size, 0
	.set _ZN7rocprim17ROCPRIM_400000_NS6detail17trampoline_kernelINS0_14default_configENS1_27scan_by_key_config_selectorIxxEEZZNS1_16scan_by_key_implILNS1_25lookback_scan_determinismE0ELb1ES3_N6thrust23THRUST_200600_302600_NS6detail15normal_iteratorINS9_10device_ptrIxEEEESE_SE_xNS9_4plusIvEENS9_8equal_toIvEExEE10hipError_tPvRmT2_T3_T4_T5_mT6_T7_P12ihipStream_tbENKUlT_T0_E_clISt17integral_constantIbLb1EESY_IbLb0EEEEDaSU_SV_EUlSU_E_NS1_11comp_targetILNS1_3genE4ELNS1_11target_archE910ELNS1_3gpuE8ELNS1_3repE0EEENS1_30default_config_static_selectorELNS0_4arch9wavefront6targetE0EEEvT1_.uses_vcc, 0
	.set _ZN7rocprim17ROCPRIM_400000_NS6detail17trampoline_kernelINS0_14default_configENS1_27scan_by_key_config_selectorIxxEEZZNS1_16scan_by_key_implILNS1_25lookback_scan_determinismE0ELb1ES3_N6thrust23THRUST_200600_302600_NS6detail15normal_iteratorINS9_10device_ptrIxEEEESE_SE_xNS9_4plusIvEENS9_8equal_toIvEExEE10hipError_tPvRmT2_T3_T4_T5_mT6_T7_P12ihipStream_tbENKUlT_T0_E_clISt17integral_constantIbLb1EESY_IbLb0EEEEDaSU_SV_EUlSU_E_NS1_11comp_targetILNS1_3genE4ELNS1_11target_archE910ELNS1_3gpuE8ELNS1_3repE0EEENS1_30default_config_static_selectorELNS0_4arch9wavefront6targetE0EEEvT1_.uses_flat_scratch, 0
	.set _ZN7rocprim17ROCPRIM_400000_NS6detail17trampoline_kernelINS0_14default_configENS1_27scan_by_key_config_selectorIxxEEZZNS1_16scan_by_key_implILNS1_25lookback_scan_determinismE0ELb1ES3_N6thrust23THRUST_200600_302600_NS6detail15normal_iteratorINS9_10device_ptrIxEEEESE_SE_xNS9_4plusIvEENS9_8equal_toIvEExEE10hipError_tPvRmT2_T3_T4_T5_mT6_T7_P12ihipStream_tbENKUlT_T0_E_clISt17integral_constantIbLb1EESY_IbLb0EEEEDaSU_SV_EUlSU_E_NS1_11comp_targetILNS1_3genE4ELNS1_11target_archE910ELNS1_3gpuE8ELNS1_3repE0EEENS1_30default_config_static_selectorELNS0_4arch9wavefront6targetE0EEEvT1_.has_dyn_sized_stack, 0
	.set _ZN7rocprim17ROCPRIM_400000_NS6detail17trampoline_kernelINS0_14default_configENS1_27scan_by_key_config_selectorIxxEEZZNS1_16scan_by_key_implILNS1_25lookback_scan_determinismE0ELb1ES3_N6thrust23THRUST_200600_302600_NS6detail15normal_iteratorINS9_10device_ptrIxEEEESE_SE_xNS9_4plusIvEENS9_8equal_toIvEExEE10hipError_tPvRmT2_T3_T4_T5_mT6_T7_P12ihipStream_tbENKUlT_T0_E_clISt17integral_constantIbLb1EESY_IbLb0EEEEDaSU_SV_EUlSU_E_NS1_11comp_targetILNS1_3genE4ELNS1_11target_archE910ELNS1_3gpuE8ELNS1_3repE0EEENS1_30default_config_static_selectorELNS0_4arch9wavefront6targetE0EEEvT1_.has_recursion, 0
	.set _ZN7rocprim17ROCPRIM_400000_NS6detail17trampoline_kernelINS0_14default_configENS1_27scan_by_key_config_selectorIxxEEZZNS1_16scan_by_key_implILNS1_25lookback_scan_determinismE0ELb1ES3_N6thrust23THRUST_200600_302600_NS6detail15normal_iteratorINS9_10device_ptrIxEEEESE_SE_xNS9_4plusIvEENS9_8equal_toIvEExEE10hipError_tPvRmT2_T3_T4_T5_mT6_T7_P12ihipStream_tbENKUlT_T0_E_clISt17integral_constantIbLb1EESY_IbLb0EEEEDaSU_SV_EUlSU_E_NS1_11comp_targetILNS1_3genE4ELNS1_11target_archE910ELNS1_3gpuE8ELNS1_3repE0EEENS1_30default_config_static_selectorELNS0_4arch9wavefront6targetE0EEEvT1_.has_indirect_call, 0
	.section	.AMDGPU.csdata,"",@progbits
; Kernel info:
; codeLenInByte = 0
; TotalNumSgprs: 0
; NumVgprs: 0
; ScratchSize: 0
; MemoryBound: 0
; FloatMode: 240
; IeeeMode: 1
; LDSByteSize: 0 bytes/workgroup (compile time only)
; SGPRBlocks: 0
; VGPRBlocks: 0
; NumSGPRsForWavesPerEU: 1
; NumVGPRsForWavesPerEU: 1
; NamedBarCnt: 0
; Occupancy: 16
; WaveLimiterHint : 0
; COMPUTE_PGM_RSRC2:SCRATCH_EN: 0
; COMPUTE_PGM_RSRC2:USER_SGPR: 2
; COMPUTE_PGM_RSRC2:TRAP_HANDLER: 0
; COMPUTE_PGM_RSRC2:TGID_X_EN: 1
; COMPUTE_PGM_RSRC2:TGID_Y_EN: 0
; COMPUTE_PGM_RSRC2:TGID_Z_EN: 0
; COMPUTE_PGM_RSRC2:TIDIG_COMP_CNT: 0
	.section	.text._ZN7rocprim17ROCPRIM_400000_NS6detail17trampoline_kernelINS0_14default_configENS1_27scan_by_key_config_selectorIxxEEZZNS1_16scan_by_key_implILNS1_25lookback_scan_determinismE0ELb1ES3_N6thrust23THRUST_200600_302600_NS6detail15normal_iteratorINS9_10device_ptrIxEEEESE_SE_xNS9_4plusIvEENS9_8equal_toIvEExEE10hipError_tPvRmT2_T3_T4_T5_mT6_T7_P12ihipStream_tbENKUlT_T0_E_clISt17integral_constantIbLb1EESY_IbLb0EEEEDaSU_SV_EUlSU_E_NS1_11comp_targetILNS1_3genE3ELNS1_11target_archE908ELNS1_3gpuE7ELNS1_3repE0EEENS1_30default_config_static_selectorELNS0_4arch9wavefront6targetE0EEEvT1_,"axG",@progbits,_ZN7rocprim17ROCPRIM_400000_NS6detail17trampoline_kernelINS0_14default_configENS1_27scan_by_key_config_selectorIxxEEZZNS1_16scan_by_key_implILNS1_25lookback_scan_determinismE0ELb1ES3_N6thrust23THRUST_200600_302600_NS6detail15normal_iteratorINS9_10device_ptrIxEEEESE_SE_xNS9_4plusIvEENS9_8equal_toIvEExEE10hipError_tPvRmT2_T3_T4_T5_mT6_T7_P12ihipStream_tbENKUlT_T0_E_clISt17integral_constantIbLb1EESY_IbLb0EEEEDaSU_SV_EUlSU_E_NS1_11comp_targetILNS1_3genE3ELNS1_11target_archE908ELNS1_3gpuE7ELNS1_3repE0EEENS1_30default_config_static_selectorELNS0_4arch9wavefront6targetE0EEEvT1_,comdat
	.protected	_ZN7rocprim17ROCPRIM_400000_NS6detail17trampoline_kernelINS0_14default_configENS1_27scan_by_key_config_selectorIxxEEZZNS1_16scan_by_key_implILNS1_25lookback_scan_determinismE0ELb1ES3_N6thrust23THRUST_200600_302600_NS6detail15normal_iteratorINS9_10device_ptrIxEEEESE_SE_xNS9_4plusIvEENS9_8equal_toIvEExEE10hipError_tPvRmT2_T3_T4_T5_mT6_T7_P12ihipStream_tbENKUlT_T0_E_clISt17integral_constantIbLb1EESY_IbLb0EEEEDaSU_SV_EUlSU_E_NS1_11comp_targetILNS1_3genE3ELNS1_11target_archE908ELNS1_3gpuE7ELNS1_3repE0EEENS1_30default_config_static_selectorELNS0_4arch9wavefront6targetE0EEEvT1_ ; -- Begin function _ZN7rocprim17ROCPRIM_400000_NS6detail17trampoline_kernelINS0_14default_configENS1_27scan_by_key_config_selectorIxxEEZZNS1_16scan_by_key_implILNS1_25lookback_scan_determinismE0ELb1ES3_N6thrust23THRUST_200600_302600_NS6detail15normal_iteratorINS9_10device_ptrIxEEEESE_SE_xNS9_4plusIvEENS9_8equal_toIvEExEE10hipError_tPvRmT2_T3_T4_T5_mT6_T7_P12ihipStream_tbENKUlT_T0_E_clISt17integral_constantIbLb1EESY_IbLb0EEEEDaSU_SV_EUlSU_E_NS1_11comp_targetILNS1_3genE3ELNS1_11target_archE908ELNS1_3gpuE7ELNS1_3repE0EEENS1_30default_config_static_selectorELNS0_4arch9wavefront6targetE0EEEvT1_
	.globl	_ZN7rocprim17ROCPRIM_400000_NS6detail17trampoline_kernelINS0_14default_configENS1_27scan_by_key_config_selectorIxxEEZZNS1_16scan_by_key_implILNS1_25lookback_scan_determinismE0ELb1ES3_N6thrust23THRUST_200600_302600_NS6detail15normal_iteratorINS9_10device_ptrIxEEEESE_SE_xNS9_4plusIvEENS9_8equal_toIvEExEE10hipError_tPvRmT2_T3_T4_T5_mT6_T7_P12ihipStream_tbENKUlT_T0_E_clISt17integral_constantIbLb1EESY_IbLb0EEEEDaSU_SV_EUlSU_E_NS1_11comp_targetILNS1_3genE3ELNS1_11target_archE908ELNS1_3gpuE7ELNS1_3repE0EEENS1_30default_config_static_selectorELNS0_4arch9wavefront6targetE0EEEvT1_
	.p2align	8
	.type	_ZN7rocprim17ROCPRIM_400000_NS6detail17trampoline_kernelINS0_14default_configENS1_27scan_by_key_config_selectorIxxEEZZNS1_16scan_by_key_implILNS1_25lookback_scan_determinismE0ELb1ES3_N6thrust23THRUST_200600_302600_NS6detail15normal_iteratorINS9_10device_ptrIxEEEESE_SE_xNS9_4plusIvEENS9_8equal_toIvEExEE10hipError_tPvRmT2_T3_T4_T5_mT6_T7_P12ihipStream_tbENKUlT_T0_E_clISt17integral_constantIbLb1EESY_IbLb0EEEEDaSU_SV_EUlSU_E_NS1_11comp_targetILNS1_3genE3ELNS1_11target_archE908ELNS1_3gpuE7ELNS1_3repE0EEENS1_30default_config_static_selectorELNS0_4arch9wavefront6targetE0EEEvT1_,@function
_ZN7rocprim17ROCPRIM_400000_NS6detail17trampoline_kernelINS0_14default_configENS1_27scan_by_key_config_selectorIxxEEZZNS1_16scan_by_key_implILNS1_25lookback_scan_determinismE0ELb1ES3_N6thrust23THRUST_200600_302600_NS6detail15normal_iteratorINS9_10device_ptrIxEEEESE_SE_xNS9_4plusIvEENS9_8equal_toIvEExEE10hipError_tPvRmT2_T3_T4_T5_mT6_T7_P12ihipStream_tbENKUlT_T0_E_clISt17integral_constantIbLb1EESY_IbLb0EEEEDaSU_SV_EUlSU_E_NS1_11comp_targetILNS1_3genE3ELNS1_11target_archE908ELNS1_3gpuE7ELNS1_3repE0EEENS1_30default_config_static_selectorELNS0_4arch9wavefront6targetE0EEEvT1_: ; @_ZN7rocprim17ROCPRIM_400000_NS6detail17trampoline_kernelINS0_14default_configENS1_27scan_by_key_config_selectorIxxEEZZNS1_16scan_by_key_implILNS1_25lookback_scan_determinismE0ELb1ES3_N6thrust23THRUST_200600_302600_NS6detail15normal_iteratorINS9_10device_ptrIxEEEESE_SE_xNS9_4plusIvEENS9_8equal_toIvEExEE10hipError_tPvRmT2_T3_T4_T5_mT6_T7_P12ihipStream_tbENKUlT_T0_E_clISt17integral_constantIbLb1EESY_IbLb0EEEEDaSU_SV_EUlSU_E_NS1_11comp_targetILNS1_3genE3ELNS1_11target_archE908ELNS1_3gpuE7ELNS1_3repE0EEENS1_30default_config_static_selectorELNS0_4arch9wavefront6targetE0EEEvT1_
; %bb.0:
	.section	.rodata,"a",@progbits
	.p2align	6, 0x0
	.amdhsa_kernel _ZN7rocprim17ROCPRIM_400000_NS6detail17trampoline_kernelINS0_14default_configENS1_27scan_by_key_config_selectorIxxEEZZNS1_16scan_by_key_implILNS1_25lookback_scan_determinismE0ELb1ES3_N6thrust23THRUST_200600_302600_NS6detail15normal_iteratorINS9_10device_ptrIxEEEESE_SE_xNS9_4plusIvEENS9_8equal_toIvEExEE10hipError_tPvRmT2_T3_T4_T5_mT6_T7_P12ihipStream_tbENKUlT_T0_E_clISt17integral_constantIbLb1EESY_IbLb0EEEEDaSU_SV_EUlSU_E_NS1_11comp_targetILNS1_3genE3ELNS1_11target_archE908ELNS1_3gpuE7ELNS1_3repE0EEENS1_30default_config_static_selectorELNS0_4arch9wavefront6targetE0EEEvT1_
		.amdhsa_group_segment_fixed_size 0
		.amdhsa_private_segment_fixed_size 0
		.amdhsa_kernarg_size 136
		.amdhsa_user_sgpr_count 2
		.amdhsa_user_sgpr_dispatch_ptr 0
		.amdhsa_user_sgpr_queue_ptr 0
		.amdhsa_user_sgpr_kernarg_segment_ptr 1
		.amdhsa_user_sgpr_dispatch_id 0
		.amdhsa_user_sgpr_kernarg_preload_length 0
		.amdhsa_user_sgpr_kernarg_preload_offset 0
		.amdhsa_user_sgpr_private_segment_size 0
		.amdhsa_wavefront_size32 1
		.amdhsa_uses_dynamic_stack 0
		.amdhsa_enable_private_segment 0
		.amdhsa_system_sgpr_workgroup_id_x 1
		.amdhsa_system_sgpr_workgroup_id_y 0
		.amdhsa_system_sgpr_workgroup_id_z 0
		.amdhsa_system_sgpr_workgroup_info 0
		.amdhsa_system_vgpr_workitem_id 0
		.amdhsa_next_free_vgpr 1
		.amdhsa_next_free_sgpr 1
		.amdhsa_named_barrier_count 0
		.amdhsa_reserve_vcc 0
		.amdhsa_float_round_mode_32 0
		.amdhsa_float_round_mode_16_64 0
		.amdhsa_float_denorm_mode_32 3
		.amdhsa_float_denorm_mode_16_64 3
		.amdhsa_fp16_overflow 0
		.amdhsa_memory_ordered 1
		.amdhsa_forward_progress 1
		.amdhsa_inst_pref_size 0
		.amdhsa_round_robin_scheduling 0
		.amdhsa_exception_fp_ieee_invalid_op 0
		.amdhsa_exception_fp_denorm_src 0
		.amdhsa_exception_fp_ieee_div_zero 0
		.amdhsa_exception_fp_ieee_overflow 0
		.amdhsa_exception_fp_ieee_underflow 0
		.amdhsa_exception_fp_ieee_inexact 0
		.amdhsa_exception_int_div_zero 0
	.end_amdhsa_kernel
	.section	.text._ZN7rocprim17ROCPRIM_400000_NS6detail17trampoline_kernelINS0_14default_configENS1_27scan_by_key_config_selectorIxxEEZZNS1_16scan_by_key_implILNS1_25lookback_scan_determinismE0ELb1ES3_N6thrust23THRUST_200600_302600_NS6detail15normal_iteratorINS9_10device_ptrIxEEEESE_SE_xNS9_4plusIvEENS9_8equal_toIvEExEE10hipError_tPvRmT2_T3_T4_T5_mT6_T7_P12ihipStream_tbENKUlT_T0_E_clISt17integral_constantIbLb1EESY_IbLb0EEEEDaSU_SV_EUlSU_E_NS1_11comp_targetILNS1_3genE3ELNS1_11target_archE908ELNS1_3gpuE7ELNS1_3repE0EEENS1_30default_config_static_selectorELNS0_4arch9wavefront6targetE0EEEvT1_,"axG",@progbits,_ZN7rocprim17ROCPRIM_400000_NS6detail17trampoline_kernelINS0_14default_configENS1_27scan_by_key_config_selectorIxxEEZZNS1_16scan_by_key_implILNS1_25lookback_scan_determinismE0ELb1ES3_N6thrust23THRUST_200600_302600_NS6detail15normal_iteratorINS9_10device_ptrIxEEEESE_SE_xNS9_4plusIvEENS9_8equal_toIvEExEE10hipError_tPvRmT2_T3_T4_T5_mT6_T7_P12ihipStream_tbENKUlT_T0_E_clISt17integral_constantIbLb1EESY_IbLb0EEEEDaSU_SV_EUlSU_E_NS1_11comp_targetILNS1_3genE3ELNS1_11target_archE908ELNS1_3gpuE7ELNS1_3repE0EEENS1_30default_config_static_selectorELNS0_4arch9wavefront6targetE0EEEvT1_,comdat
.Lfunc_end375:
	.size	_ZN7rocprim17ROCPRIM_400000_NS6detail17trampoline_kernelINS0_14default_configENS1_27scan_by_key_config_selectorIxxEEZZNS1_16scan_by_key_implILNS1_25lookback_scan_determinismE0ELb1ES3_N6thrust23THRUST_200600_302600_NS6detail15normal_iteratorINS9_10device_ptrIxEEEESE_SE_xNS9_4plusIvEENS9_8equal_toIvEExEE10hipError_tPvRmT2_T3_T4_T5_mT6_T7_P12ihipStream_tbENKUlT_T0_E_clISt17integral_constantIbLb1EESY_IbLb0EEEEDaSU_SV_EUlSU_E_NS1_11comp_targetILNS1_3genE3ELNS1_11target_archE908ELNS1_3gpuE7ELNS1_3repE0EEENS1_30default_config_static_selectorELNS0_4arch9wavefront6targetE0EEEvT1_, .Lfunc_end375-_ZN7rocprim17ROCPRIM_400000_NS6detail17trampoline_kernelINS0_14default_configENS1_27scan_by_key_config_selectorIxxEEZZNS1_16scan_by_key_implILNS1_25lookback_scan_determinismE0ELb1ES3_N6thrust23THRUST_200600_302600_NS6detail15normal_iteratorINS9_10device_ptrIxEEEESE_SE_xNS9_4plusIvEENS9_8equal_toIvEExEE10hipError_tPvRmT2_T3_T4_T5_mT6_T7_P12ihipStream_tbENKUlT_T0_E_clISt17integral_constantIbLb1EESY_IbLb0EEEEDaSU_SV_EUlSU_E_NS1_11comp_targetILNS1_3genE3ELNS1_11target_archE908ELNS1_3gpuE7ELNS1_3repE0EEENS1_30default_config_static_selectorELNS0_4arch9wavefront6targetE0EEEvT1_
                                        ; -- End function
	.set _ZN7rocprim17ROCPRIM_400000_NS6detail17trampoline_kernelINS0_14default_configENS1_27scan_by_key_config_selectorIxxEEZZNS1_16scan_by_key_implILNS1_25lookback_scan_determinismE0ELb1ES3_N6thrust23THRUST_200600_302600_NS6detail15normal_iteratorINS9_10device_ptrIxEEEESE_SE_xNS9_4plusIvEENS9_8equal_toIvEExEE10hipError_tPvRmT2_T3_T4_T5_mT6_T7_P12ihipStream_tbENKUlT_T0_E_clISt17integral_constantIbLb1EESY_IbLb0EEEEDaSU_SV_EUlSU_E_NS1_11comp_targetILNS1_3genE3ELNS1_11target_archE908ELNS1_3gpuE7ELNS1_3repE0EEENS1_30default_config_static_selectorELNS0_4arch9wavefront6targetE0EEEvT1_.num_vgpr, 0
	.set _ZN7rocprim17ROCPRIM_400000_NS6detail17trampoline_kernelINS0_14default_configENS1_27scan_by_key_config_selectorIxxEEZZNS1_16scan_by_key_implILNS1_25lookback_scan_determinismE0ELb1ES3_N6thrust23THRUST_200600_302600_NS6detail15normal_iteratorINS9_10device_ptrIxEEEESE_SE_xNS9_4plusIvEENS9_8equal_toIvEExEE10hipError_tPvRmT2_T3_T4_T5_mT6_T7_P12ihipStream_tbENKUlT_T0_E_clISt17integral_constantIbLb1EESY_IbLb0EEEEDaSU_SV_EUlSU_E_NS1_11comp_targetILNS1_3genE3ELNS1_11target_archE908ELNS1_3gpuE7ELNS1_3repE0EEENS1_30default_config_static_selectorELNS0_4arch9wavefront6targetE0EEEvT1_.num_agpr, 0
	.set _ZN7rocprim17ROCPRIM_400000_NS6detail17trampoline_kernelINS0_14default_configENS1_27scan_by_key_config_selectorIxxEEZZNS1_16scan_by_key_implILNS1_25lookback_scan_determinismE0ELb1ES3_N6thrust23THRUST_200600_302600_NS6detail15normal_iteratorINS9_10device_ptrIxEEEESE_SE_xNS9_4plusIvEENS9_8equal_toIvEExEE10hipError_tPvRmT2_T3_T4_T5_mT6_T7_P12ihipStream_tbENKUlT_T0_E_clISt17integral_constantIbLb1EESY_IbLb0EEEEDaSU_SV_EUlSU_E_NS1_11comp_targetILNS1_3genE3ELNS1_11target_archE908ELNS1_3gpuE7ELNS1_3repE0EEENS1_30default_config_static_selectorELNS0_4arch9wavefront6targetE0EEEvT1_.numbered_sgpr, 0
	.set _ZN7rocprim17ROCPRIM_400000_NS6detail17trampoline_kernelINS0_14default_configENS1_27scan_by_key_config_selectorIxxEEZZNS1_16scan_by_key_implILNS1_25lookback_scan_determinismE0ELb1ES3_N6thrust23THRUST_200600_302600_NS6detail15normal_iteratorINS9_10device_ptrIxEEEESE_SE_xNS9_4plusIvEENS9_8equal_toIvEExEE10hipError_tPvRmT2_T3_T4_T5_mT6_T7_P12ihipStream_tbENKUlT_T0_E_clISt17integral_constantIbLb1EESY_IbLb0EEEEDaSU_SV_EUlSU_E_NS1_11comp_targetILNS1_3genE3ELNS1_11target_archE908ELNS1_3gpuE7ELNS1_3repE0EEENS1_30default_config_static_selectorELNS0_4arch9wavefront6targetE0EEEvT1_.num_named_barrier, 0
	.set _ZN7rocprim17ROCPRIM_400000_NS6detail17trampoline_kernelINS0_14default_configENS1_27scan_by_key_config_selectorIxxEEZZNS1_16scan_by_key_implILNS1_25lookback_scan_determinismE0ELb1ES3_N6thrust23THRUST_200600_302600_NS6detail15normal_iteratorINS9_10device_ptrIxEEEESE_SE_xNS9_4plusIvEENS9_8equal_toIvEExEE10hipError_tPvRmT2_T3_T4_T5_mT6_T7_P12ihipStream_tbENKUlT_T0_E_clISt17integral_constantIbLb1EESY_IbLb0EEEEDaSU_SV_EUlSU_E_NS1_11comp_targetILNS1_3genE3ELNS1_11target_archE908ELNS1_3gpuE7ELNS1_3repE0EEENS1_30default_config_static_selectorELNS0_4arch9wavefront6targetE0EEEvT1_.private_seg_size, 0
	.set _ZN7rocprim17ROCPRIM_400000_NS6detail17trampoline_kernelINS0_14default_configENS1_27scan_by_key_config_selectorIxxEEZZNS1_16scan_by_key_implILNS1_25lookback_scan_determinismE0ELb1ES3_N6thrust23THRUST_200600_302600_NS6detail15normal_iteratorINS9_10device_ptrIxEEEESE_SE_xNS9_4plusIvEENS9_8equal_toIvEExEE10hipError_tPvRmT2_T3_T4_T5_mT6_T7_P12ihipStream_tbENKUlT_T0_E_clISt17integral_constantIbLb1EESY_IbLb0EEEEDaSU_SV_EUlSU_E_NS1_11comp_targetILNS1_3genE3ELNS1_11target_archE908ELNS1_3gpuE7ELNS1_3repE0EEENS1_30default_config_static_selectorELNS0_4arch9wavefront6targetE0EEEvT1_.uses_vcc, 0
	.set _ZN7rocprim17ROCPRIM_400000_NS6detail17trampoline_kernelINS0_14default_configENS1_27scan_by_key_config_selectorIxxEEZZNS1_16scan_by_key_implILNS1_25lookback_scan_determinismE0ELb1ES3_N6thrust23THRUST_200600_302600_NS6detail15normal_iteratorINS9_10device_ptrIxEEEESE_SE_xNS9_4plusIvEENS9_8equal_toIvEExEE10hipError_tPvRmT2_T3_T4_T5_mT6_T7_P12ihipStream_tbENKUlT_T0_E_clISt17integral_constantIbLb1EESY_IbLb0EEEEDaSU_SV_EUlSU_E_NS1_11comp_targetILNS1_3genE3ELNS1_11target_archE908ELNS1_3gpuE7ELNS1_3repE0EEENS1_30default_config_static_selectorELNS0_4arch9wavefront6targetE0EEEvT1_.uses_flat_scratch, 0
	.set _ZN7rocprim17ROCPRIM_400000_NS6detail17trampoline_kernelINS0_14default_configENS1_27scan_by_key_config_selectorIxxEEZZNS1_16scan_by_key_implILNS1_25lookback_scan_determinismE0ELb1ES3_N6thrust23THRUST_200600_302600_NS6detail15normal_iteratorINS9_10device_ptrIxEEEESE_SE_xNS9_4plusIvEENS9_8equal_toIvEExEE10hipError_tPvRmT2_T3_T4_T5_mT6_T7_P12ihipStream_tbENKUlT_T0_E_clISt17integral_constantIbLb1EESY_IbLb0EEEEDaSU_SV_EUlSU_E_NS1_11comp_targetILNS1_3genE3ELNS1_11target_archE908ELNS1_3gpuE7ELNS1_3repE0EEENS1_30default_config_static_selectorELNS0_4arch9wavefront6targetE0EEEvT1_.has_dyn_sized_stack, 0
	.set _ZN7rocprim17ROCPRIM_400000_NS6detail17trampoline_kernelINS0_14default_configENS1_27scan_by_key_config_selectorIxxEEZZNS1_16scan_by_key_implILNS1_25lookback_scan_determinismE0ELb1ES3_N6thrust23THRUST_200600_302600_NS6detail15normal_iteratorINS9_10device_ptrIxEEEESE_SE_xNS9_4plusIvEENS9_8equal_toIvEExEE10hipError_tPvRmT2_T3_T4_T5_mT6_T7_P12ihipStream_tbENKUlT_T0_E_clISt17integral_constantIbLb1EESY_IbLb0EEEEDaSU_SV_EUlSU_E_NS1_11comp_targetILNS1_3genE3ELNS1_11target_archE908ELNS1_3gpuE7ELNS1_3repE0EEENS1_30default_config_static_selectorELNS0_4arch9wavefront6targetE0EEEvT1_.has_recursion, 0
	.set _ZN7rocprim17ROCPRIM_400000_NS6detail17trampoline_kernelINS0_14default_configENS1_27scan_by_key_config_selectorIxxEEZZNS1_16scan_by_key_implILNS1_25lookback_scan_determinismE0ELb1ES3_N6thrust23THRUST_200600_302600_NS6detail15normal_iteratorINS9_10device_ptrIxEEEESE_SE_xNS9_4plusIvEENS9_8equal_toIvEExEE10hipError_tPvRmT2_T3_T4_T5_mT6_T7_P12ihipStream_tbENKUlT_T0_E_clISt17integral_constantIbLb1EESY_IbLb0EEEEDaSU_SV_EUlSU_E_NS1_11comp_targetILNS1_3genE3ELNS1_11target_archE908ELNS1_3gpuE7ELNS1_3repE0EEENS1_30default_config_static_selectorELNS0_4arch9wavefront6targetE0EEEvT1_.has_indirect_call, 0
	.section	.AMDGPU.csdata,"",@progbits
; Kernel info:
; codeLenInByte = 0
; TotalNumSgprs: 0
; NumVgprs: 0
; ScratchSize: 0
; MemoryBound: 0
; FloatMode: 240
; IeeeMode: 1
; LDSByteSize: 0 bytes/workgroup (compile time only)
; SGPRBlocks: 0
; VGPRBlocks: 0
; NumSGPRsForWavesPerEU: 1
; NumVGPRsForWavesPerEU: 1
; NamedBarCnt: 0
; Occupancy: 16
; WaveLimiterHint : 0
; COMPUTE_PGM_RSRC2:SCRATCH_EN: 0
; COMPUTE_PGM_RSRC2:USER_SGPR: 2
; COMPUTE_PGM_RSRC2:TRAP_HANDLER: 0
; COMPUTE_PGM_RSRC2:TGID_X_EN: 1
; COMPUTE_PGM_RSRC2:TGID_Y_EN: 0
; COMPUTE_PGM_RSRC2:TGID_Z_EN: 0
; COMPUTE_PGM_RSRC2:TIDIG_COMP_CNT: 0
	.section	.text._ZN7rocprim17ROCPRIM_400000_NS6detail17trampoline_kernelINS0_14default_configENS1_27scan_by_key_config_selectorIxxEEZZNS1_16scan_by_key_implILNS1_25lookback_scan_determinismE0ELb1ES3_N6thrust23THRUST_200600_302600_NS6detail15normal_iteratorINS9_10device_ptrIxEEEESE_SE_xNS9_4plusIvEENS9_8equal_toIvEExEE10hipError_tPvRmT2_T3_T4_T5_mT6_T7_P12ihipStream_tbENKUlT_T0_E_clISt17integral_constantIbLb1EESY_IbLb0EEEEDaSU_SV_EUlSU_E_NS1_11comp_targetILNS1_3genE2ELNS1_11target_archE906ELNS1_3gpuE6ELNS1_3repE0EEENS1_30default_config_static_selectorELNS0_4arch9wavefront6targetE0EEEvT1_,"axG",@progbits,_ZN7rocprim17ROCPRIM_400000_NS6detail17trampoline_kernelINS0_14default_configENS1_27scan_by_key_config_selectorIxxEEZZNS1_16scan_by_key_implILNS1_25lookback_scan_determinismE0ELb1ES3_N6thrust23THRUST_200600_302600_NS6detail15normal_iteratorINS9_10device_ptrIxEEEESE_SE_xNS9_4plusIvEENS9_8equal_toIvEExEE10hipError_tPvRmT2_T3_T4_T5_mT6_T7_P12ihipStream_tbENKUlT_T0_E_clISt17integral_constantIbLb1EESY_IbLb0EEEEDaSU_SV_EUlSU_E_NS1_11comp_targetILNS1_3genE2ELNS1_11target_archE906ELNS1_3gpuE6ELNS1_3repE0EEENS1_30default_config_static_selectorELNS0_4arch9wavefront6targetE0EEEvT1_,comdat
	.protected	_ZN7rocprim17ROCPRIM_400000_NS6detail17trampoline_kernelINS0_14default_configENS1_27scan_by_key_config_selectorIxxEEZZNS1_16scan_by_key_implILNS1_25lookback_scan_determinismE0ELb1ES3_N6thrust23THRUST_200600_302600_NS6detail15normal_iteratorINS9_10device_ptrIxEEEESE_SE_xNS9_4plusIvEENS9_8equal_toIvEExEE10hipError_tPvRmT2_T3_T4_T5_mT6_T7_P12ihipStream_tbENKUlT_T0_E_clISt17integral_constantIbLb1EESY_IbLb0EEEEDaSU_SV_EUlSU_E_NS1_11comp_targetILNS1_3genE2ELNS1_11target_archE906ELNS1_3gpuE6ELNS1_3repE0EEENS1_30default_config_static_selectorELNS0_4arch9wavefront6targetE0EEEvT1_ ; -- Begin function _ZN7rocprim17ROCPRIM_400000_NS6detail17trampoline_kernelINS0_14default_configENS1_27scan_by_key_config_selectorIxxEEZZNS1_16scan_by_key_implILNS1_25lookback_scan_determinismE0ELb1ES3_N6thrust23THRUST_200600_302600_NS6detail15normal_iteratorINS9_10device_ptrIxEEEESE_SE_xNS9_4plusIvEENS9_8equal_toIvEExEE10hipError_tPvRmT2_T3_T4_T5_mT6_T7_P12ihipStream_tbENKUlT_T0_E_clISt17integral_constantIbLb1EESY_IbLb0EEEEDaSU_SV_EUlSU_E_NS1_11comp_targetILNS1_3genE2ELNS1_11target_archE906ELNS1_3gpuE6ELNS1_3repE0EEENS1_30default_config_static_selectorELNS0_4arch9wavefront6targetE0EEEvT1_
	.globl	_ZN7rocprim17ROCPRIM_400000_NS6detail17trampoline_kernelINS0_14default_configENS1_27scan_by_key_config_selectorIxxEEZZNS1_16scan_by_key_implILNS1_25lookback_scan_determinismE0ELb1ES3_N6thrust23THRUST_200600_302600_NS6detail15normal_iteratorINS9_10device_ptrIxEEEESE_SE_xNS9_4plusIvEENS9_8equal_toIvEExEE10hipError_tPvRmT2_T3_T4_T5_mT6_T7_P12ihipStream_tbENKUlT_T0_E_clISt17integral_constantIbLb1EESY_IbLb0EEEEDaSU_SV_EUlSU_E_NS1_11comp_targetILNS1_3genE2ELNS1_11target_archE906ELNS1_3gpuE6ELNS1_3repE0EEENS1_30default_config_static_selectorELNS0_4arch9wavefront6targetE0EEEvT1_
	.p2align	8
	.type	_ZN7rocprim17ROCPRIM_400000_NS6detail17trampoline_kernelINS0_14default_configENS1_27scan_by_key_config_selectorIxxEEZZNS1_16scan_by_key_implILNS1_25lookback_scan_determinismE0ELb1ES3_N6thrust23THRUST_200600_302600_NS6detail15normal_iteratorINS9_10device_ptrIxEEEESE_SE_xNS9_4plusIvEENS9_8equal_toIvEExEE10hipError_tPvRmT2_T3_T4_T5_mT6_T7_P12ihipStream_tbENKUlT_T0_E_clISt17integral_constantIbLb1EESY_IbLb0EEEEDaSU_SV_EUlSU_E_NS1_11comp_targetILNS1_3genE2ELNS1_11target_archE906ELNS1_3gpuE6ELNS1_3repE0EEENS1_30default_config_static_selectorELNS0_4arch9wavefront6targetE0EEEvT1_,@function
_ZN7rocprim17ROCPRIM_400000_NS6detail17trampoline_kernelINS0_14default_configENS1_27scan_by_key_config_selectorIxxEEZZNS1_16scan_by_key_implILNS1_25lookback_scan_determinismE0ELb1ES3_N6thrust23THRUST_200600_302600_NS6detail15normal_iteratorINS9_10device_ptrIxEEEESE_SE_xNS9_4plusIvEENS9_8equal_toIvEExEE10hipError_tPvRmT2_T3_T4_T5_mT6_T7_P12ihipStream_tbENKUlT_T0_E_clISt17integral_constantIbLb1EESY_IbLb0EEEEDaSU_SV_EUlSU_E_NS1_11comp_targetILNS1_3genE2ELNS1_11target_archE906ELNS1_3gpuE6ELNS1_3repE0EEENS1_30default_config_static_selectorELNS0_4arch9wavefront6targetE0EEEvT1_: ; @_ZN7rocprim17ROCPRIM_400000_NS6detail17trampoline_kernelINS0_14default_configENS1_27scan_by_key_config_selectorIxxEEZZNS1_16scan_by_key_implILNS1_25lookback_scan_determinismE0ELb1ES3_N6thrust23THRUST_200600_302600_NS6detail15normal_iteratorINS9_10device_ptrIxEEEESE_SE_xNS9_4plusIvEENS9_8equal_toIvEExEE10hipError_tPvRmT2_T3_T4_T5_mT6_T7_P12ihipStream_tbENKUlT_T0_E_clISt17integral_constantIbLb1EESY_IbLb0EEEEDaSU_SV_EUlSU_E_NS1_11comp_targetILNS1_3genE2ELNS1_11target_archE906ELNS1_3gpuE6ELNS1_3repE0EEENS1_30default_config_static_selectorELNS0_4arch9wavefront6targetE0EEEvT1_
; %bb.0:
	.section	.rodata,"a",@progbits
	.p2align	6, 0x0
	.amdhsa_kernel _ZN7rocprim17ROCPRIM_400000_NS6detail17trampoline_kernelINS0_14default_configENS1_27scan_by_key_config_selectorIxxEEZZNS1_16scan_by_key_implILNS1_25lookback_scan_determinismE0ELb1ES3_N6thrust23THRUST_200600_302600_NS6detail15normal_iteratorINS9_10device_ptrIxEEEESE_SE_xNS9_4plusIvEENS9_8equal_toIvEExEE10hipError_tPvRmT2_T3_T4_T5_mT6_T7_P12ihipStream_tbENKUlT_T0_E_clISt17integral_constantIbLb1EESY_IbLb0EEEEDaSU_SV_EUlSU_E_NS1_11comp_targetILNS1_3genE2ELNS1_11target_archE906ELNS1_3gpuE6ELNS1_3repE0EEENS1_30default_config_static_selectorELNS0_4arch9wavefront6targetE0EEEvT1_
		.amdhsa_group_segment_fixed_size 0
		.amdhsa_private_segment_fixed_size 0
		.amdhsa_kernarg_size 136
		.amdhsa_user_sgpr_count 2
		.amdhsa_user_sgpr_dispatch_ptr 0
		.amdhsa_user_sgpr_queue_ptr 0
		.amdhsa_user_sgpr_kernarg_segment_ptr 1
		.amdhsa_user_sgpr_dispatch_id 0
		.amdhsa_user_sgpr_kernarg_preload_length 0
		.amdhsa_user_sgpr_kernarg_preload_offset 0
		.amdhsa_user_sgpr_private_segment_size 0
		.amdhsa_wavefront_size32 1
		.amdhsa_uses_dynamic_stack 0
		.amdhsa_enable_private_segment 0
		.amdhsa_system_sgpr_workgroup_id_x 1
		.amdhsa_system_sgpr_workgroup_id_y 0
		.amdhsa_system_sgpr_workgroup_id_z 0
		.amdhsa_system_sgpr_workgroup_info 0
		.amdhsa_system_vgpr_workitem_id 0
		.amdhsa_next_free_vgpr 1
		.amdhsa_next_free_sgpr 1
		.amdhsa_named_barrier_count 0
		.amdhsa_reserve_vcc 0
		.amdhsa_float_round_mode_32 0
		.amdhsa_float_round_mode_16_64 0
		.amdhsa_float_denorm_mode_32 3
		.amdhsa_float_denorm_mode_16_64 3
		.amdhsa_fp16_overflow 0
		.amdhsa_memory_ordered 1
		.amdhsa_forward_progress 1
		.amdhsa_inst_pref_size 0
		.amdhsa_round_robin_scheduling 0
		.amdhsa_exception_fp_ieee_invalid_op 0
		.amdhsa_exception_fp_denorm_src 0
		.amdhsa_exception_fp_ieee_div_zero 0
		.amdhsa_exception_fp_ieee_overflow 0
		.amdhsa_exception_fp_ieee_underflow 0
		.amdhsa_exception_fp_ieee_inexact 0
		.amdhsa_exception_int_div_zero 0
	.end_amdhsa_kernel
	.section	.text._ZN7rocprim17ROCPRIM_400000_NS6detail17trampoline_kernelINS0_14default_configENS1_27scan_by_key_config_selectorIxxEEZZNS1_16scan_by_key_implILNS1_25lookback_scan_determinismE0ELb1ES3_N6thrust23THRUST_200600_302600_NS6detail15normal_iteratorINS9_10device_ptrIxEEEESE_SE_xNS9_4plusIvEENS9_8equal_toIvEExEE10hipError_tPvRmT2_T3_T4_T5_mT6_T7_P12ihipStream_tbENKUlT_T0_E_clISt17integral_constantIbLb1EESY_IbLb0EEEEDaSU_SV_EUlSU_E_NS1_11comp_targetILNS1_3genE2ELNS1_11target_archE906ELNS1_3gpuE6ELNS1_3repE0EEENS1_30default_config_static_selectorELNS0_4arch9wavefront6targetE0EEEvT1_,"axG",@progbits,_ZN7rocprim17ROCPRIM_400000_NS6detail17trampoline_kernelINS0_14default_configENS1_27scan_by_key_config_selectorIxxEEZZNS1_16scan_by_key_implILNS1_25lookback_scan_determinismE0ELb1ES3_N6thrust23THRUST_200600_302600_NS6detail15normal_iteratorINS9_10device_ptrIxEEEESE_SE_xNS9_4plusIvEENS9_8equal_toIvEExEE10hipError_tPvRmT2_T3_T4_T5_mT6_T7_P12ihipStream_tbENKUlT_T0_E_clISt17integral_constantIbLb1EESY_IbLb0EEEEDaSU_SV_EUlSU_E_NS1_11comp_targetILNS1_3genE2ELNS1_11target_archE906ELNS1_3gpuE6ELNS1_3repE0EEENS1_30default_config_static_selectorELNS0_4arch9wavefront6targetE0EEEvT1_,comdat
.Lfunc_end376:
	.size	_ZN7rocprim17ROCPRIM_400000_NS6detail17trampoline_kernelINS0_14default_configENS1_27scan_by_key_config_selectorIxxEEZZNS1_16scan_by_key_implILNS1_25lookback_scan_determinismE0ELb1ES3_N6thrust23THRUST_200600_302600_NS6detail15normal_iteratorINS9_10device_ptrIxEEEESE_SE_xNS9_4plusIvEENS9_8equal_toIvEExEE10hipError_tPvRmT2_T3_T4_T5_mT6_T7_P12ihipStream_tbENKUlT_T0_E_clISt17integral_constantIbLb1EESY_IbLb0EEEEDaSU_SV_EUlSU_E_NS1_11comp_targetILNS1_3genE2ELNS1_11target_archE906ELNS1_3gpuE6ELNS1_3repE0EEENS1_30default_config_static_selectorELNS0_4arch9wavefront6targetE0EEEvT1_, .Lfunc_end376-_ZN7rocprim17ROCPRIM_400000_NS6detail17trampoline_kernelINS0_14default_configENS1_27scan_by_key_config_selectorIxxEEZZNS1_16scan_by_key_implILNS1_25lookback_scan_determinismE0ELb1ES3_N6thrust23THRUST_200600_302600_NS6detail15normal_iteratorINS9_10device_ptrIxEEEESE_SE_xNS9_4plusIvEENS9_8equal_toIvEExEE10hipError_tPvRmT2_T3_T4_T5_mT6_T7_P12ihipStream_tbENKUlT_T0_E_clISt17integral_constantIbLb1EESY_IbLb0EEEEDaSU_SV_EUlSU_E_NS1_11comp_targetILNS1_3genE2ELNS1_11target_archE906ELNS1_3gpuE6ELNS1_3repE0EEENS1_30default_config_static_selectorELNS0_4arch9wavefront6targetE0EEEvT1_
                                        ; -- End function
	.set _ZN7rocprim17ROCPRIM_400000_NS6detail17trampoline_kernelINS0_14default_configENS1_27scan_by_key_config_selectorIxxEEZZNS1_16scan_by_key_implILNS1_25lookback_scan_determinismE0ELb1ES3_N6thrust23THRUST_200600_302600_NS6detail15normal_iteratorINS9_10device_ptrIxEEEESE_SE_xNS9_4plusIvEENS9_8equal_toIvEExEE10hipError_tPvRmT2_T3_T4_T5_mT6_T7_P12ihipStream_tbENKUlT_T0_E_clISt17integral_constantIbLb1EESY_IbLb0EEEEDaSU_SV_EUlSU_E_NS1_11comp_targetILNS1_3genE2ELNS1_11target_archE906ELNS1_3gpuE6ELNS1_3repE0EEENS1_30default_config_static_selectorELNS0_4arch9wavefront6targetE0EEEvT1_.num_vgpr, 0
	.set _ZN7rocprim17ROCPRIM_400000_NS6detail17trampoline_kernelINS0_14default_configENS1_27scan_by_key_config_selectorIxxEEZZNS1_16scan_by_key_implILNS1_25lookback_scan_determinismE0ELb1ES3_N6thrust23THRUST_200600_302600_NS6detail15normal_iteratorINS9_10device_ptrIxEEEESE_SE_xNS9_4plusIvEENS9_8equal_toIvEExEE10hipError_tPvRmT2_T3_T4_T5_mT6_T7_P12ihipStream_tbENKUlT_T0_E_clISt17integral_constantIbLb1EESY_IbLb0EEEEDaSU_SV_EUlSU_E_NS1_11comp_targetILNS1_3genE2ELNS1_11target_archE906ELNS1_3gpuE6ELNS1_3repE0EEENS1_30default_config_static_selectorELNS0_4arch9wavefront6targetE0EEEvT1_.num_agpr, 0
	.set _ZN7rocprim17ROCPRIM_400000_NS6detail17trampoline_kernelINS0_14default_configENS1_27scan_by_key_config_selectorIxxEEZZNS1_16scan_by_key_implILNS1_25lookback_scan_determinismE0ELb1ES3_N6thrust23THRUST_200600_302600_NS6detail15normal_iteratorINS9_10device_ptrIxEEEESE_SE_xNS9_4plusIvEENS9_8equal_toIvEExEE10hipError_tPvRmT2_T3_T4_T5_mT6_T7_P12ihipStream_tbENKUlT_T0_E_clISt17integral_constantIbLb1EESY_IbLb0EEEEDaSU_SV_EUlSU_E_NS1_11comp_targetILNS1_3genE2ELNS1_11target_archE906ELNS1_3gpuE6ELNS1_3repE0EEENS1_30default_config_static_selectorELNS0_4arch9wavefront6targetE0EEEvT1_.numbered_sgpr, 0
	.set _ZN7rocprim17ROCPRIM_400000_NS6detail17trampoline_kernelINS0_14default_configENS1_27scan_by_key_config_selectorIxxEEZZNS1_16scan_by_key_implILNS1_25lookback_scan_determinismE0ELb1ES3_N6thrust23THRUST_200600_302600_NS6detail15normal_iteratorINS9_10device_ptrIxEEEESE_SE_xNS9_4plusIvEENS9_8equal_toIvEExEE10hipError_tPvRmT2_T3_T4_T5_mT6_T7_P12ihipStream_tbENKUlT_T0_E_clISt17integral_constantIbLb1EESY_IbLb0EEEEDaSU_SV_EUlSU_E_NS1_11comp_targetILNS1_3genE2ELNS1_11target_archE906ELNS1_3gpuE6ELNS1_3repE0EEENS1_30default_config_static_selectorELNS0_4arch9wavefront6targetE0EEEvT1_.num_named_barrier, 0
	.set _ZN7rocprim17ROCPRIM_400000_NS6detail17trampoline_kernelINS0_14default_configENS1_27scan_by_key_config_selectorIxxEEZZNS1_16scan_by_key_implILNS1_25lookback_scan_determinismE0ELb1ES3_N6thrust23THRUST_200600_302600_NS6detail15normal_iteratorINS9_10device_ptrIxEEEESE_SE_xNS9_4plusIvEENS9_8equal_toIvEExEE10hipError_tPvRmT2_T3_T4_T5_mT6_T7_P12ihipStream_tbENKUlT_T0_E_clISt17integral_constantIbLb1EESY_IbLb0EEEEDaSU_SV_EUlSU_E_NS1_11comp_targetILNS1_3genE2ELNS1_11target_archE906ELNS1_3gpuE6ELNS1_3repE0EEENS1_30default_config_static_selectorELNS0_4arch9wavefront6targetE0EEEvT1_.private_seg_size, 0
	.set _ZN7rocprim17ROCPRIM_400000_NS6detail17trampoline_kernelINS0_14default_configENS1_27scan_by_key_config_selectorIxxEEZZNS1_16scan_by_key_implILNS1_25lookback_scan_determinismE0ELb1ES3_N6thrust23THRUST_200600_302600_NS6detail15normal_iteratorINS9_10device_ptrIxEEEESE_SE_xNS9_4plusIvEENS9_8equal_toIvEExEE10hipError_tPvRmT2_T3_T4_T5_mT6_T7_P12ihipStream_tbENKUlT_T0_E_clISt17integral_constantIbLb1EESY_IbLb0EEEEDaSU_SV_EUlSU_E_NS1_11comp_targetILNS1_3genE2ELNS1_11target_archE906ELNS1_3gpuE6ELNS1_3repE0EEENS1_30default_config_static_selectorELNS0_4arch9wavefront6targetE0EEEvT1_.uses_vcc, 0
	.set _ZN7rocprim17ROCPRIM_400000_NS6detail17trampoline_kernelINS0_14default_configENS1_27scan_by_key_config_selectorIxxEEZZNS1_16scan_by_key_implILNS1_25lookback_scan_determinismE0ELb1ES3_N6thrust23THRUST_200600_302600_NS6detail15normal_iteratorINS9_10device_ptrIxEEEESE_SE_xNS9_4plusIvEENS9_8equal_toIvEExEE10hipError_tPvRmT2_T3_T4_T5_mT6_T7_P12ihipStream_tbENKUlT_T0_E_clISt17integral_constantIbLb1EESY_IbLb0EEEEDaSU_SV_EUlSU_E_NS1_11comp_targetILNS1_3genE2ELNS1_11target_archE906ELNS1_3gpuE6ELNS1_3repE0EEENS1_30default_config_static_selectorELNS0_4arch9wavefront6targetE0EEEvT1_.uses_flat_scratch, 0
	.set _ZN7rocprim17ROCPRIM_400000_NS6detail17trampoline_kernelINS0_14default_configENS1_27scan_by_key_config_selectorIxxEEZZNS1_16scan_by_key_implILNS1_25lookback_scan_determinismE0ELb1ES3_N6thrust23THRUST_200600_302600_NS6detail15normal_iteratorINS9_10device_ptrIxEEEESE_SE_xNS9_4plusIvEENS9_8equal_toIvEExEE10hipError_tPvRmT2_T3_T4_T5_mT6_T7_P12ihipStream_tbENKUlT_T0_E_clISt17integral_constantIbLb1EESY_IbLb0EEEEDaSU_SV_EUlSU_E_NS1_11comp_targetILNS1_3genE2ELNS1_11target_archE906ELNS1_3gpuE6ELNS1_3repE0EEENS1_30default_config_static_selectorELNS0_4arch9wavefront6targetE0EEEvT1_.has_dyn_sized_stack, 0
	.set _ZN7rocprim17ROCPRIM_400000_NS6detail17trampoline_kernelINS0_14default_configENS1_27scan_by_key_config_selectorIxxEEZZNS1_16scan_by_key_implILNS1_25lookback_scan_determinismE0ELb1ES3_N6thrust23THRUST_200600_302600_NS6detail15normal_iteratorINS9_10device_ptrIxEEEESE_SE_xNS9_4plusIvEENS9_8equal_toIvEExEE10hipError_tPvRmT2_T3_T4_T5_mT6_T7_P12ihipStream_tbENKUlT_T0_E_clISt17integral_constantIbLb1EESY_IbLb0EEEEDaSU_SV_EUlSU_E_NS1_11comp_targetILNS1_3genE2ELNS1_11target_archE906ELNS1_3gpuE6ELNS1_3repE0EEENS1_30default_config_static_selectorELNS0_4arch9wavefront6targetE0EEEvT1_.has_recursion, 0
	.set _ZN7rocprim17ROCPRIM_400000_NS6detail17trampoline_kernelINS0_14default_configENS1_27scan_by_key_config_selectorIxxEEZZNS1_16scan_by_key_implILNS1_25lookback_scan_determinismE0ELb1ES3_N6thrust23THRUST_200600_302600_NS6detail15normal_iteratorINS9_10device_ptrIxEEEESE_SE_xNS9_4plusIvEENS9_8equal_toIvEExEE10hipError_tPvRmT2_T3_T4_T5_mT6_T7_P12ihipStream_tbENKUlT_T0_E_clISt17integral_constantIbLb1EESY_IbLb0EEEEDaSU_SV_EUlSU_E_NS1_11comp_targetILNS1_3genE2ELNS1_11target_archE906ELNS1_3gpuE6ELNS1_3repE0EEENS1_30default_config_static_selectorELNS0_4arch9wavefront6targetE0EEEvT1_.has_indirect_call, 0
	.section	.AMDGPU.csdata,"",@progbits
; Kernel info:
; codeLenInByte = 0
; TotalNumSgprs: 0
; NumVgprs: 0
; ScratchSize: 0
; MemoryBound: 0
; FloatMode: 240
; IeeeMode: 1
; LDSByteSize: 0 bytes/workgroup (compile time only)
; SGPRBlocks: 0
; VGPRBlocks: 0
; NumSGPRsForWavesPerEU: 1
; NumVGPRsForWavesPerEU: 1
; NamedBarCnt: 0
; Occupancy: 16
; WaveLimiterHint : 0
; COMPUTE_PGM_RSRC2:SCRATCH_EN: 0
; COMPUTE_PGM_RSRC2:USER_SGPR: 2
; COMPUTE_PGM_RSRC2:TRAP_HANDLER: 0
; COMPUTE_PGM_RSRC2:TGID_X_EN: 1
; COMPUTE_PGM_RSRC2:TGID_Y_EN: 0
; COMPUTE_PGM_RSRC2:TGID_Z_EN: 0
; COMPUTE_PGM_RSRC2:TIDIG_COMP_CNT: 0
	.section	.text._ZN7rocprim17ROCPRIM_400000_NS6detail17trampoline_kernelINS0_14default_configENS1_27scan_by_key_config_selectorIxxEEZZNS1_16scan_by_key_implILNS1_25lookback_scan_determinismE0ELb1ES3_N6thrust23THRUST_200600_302600_NS6detail15normal_iteratorINS9_10device_ptrIxEEEESE_SE_xNS9_4plusIvEENS9_8equal_toIvEExEE10hipError_tPvRmT2_T3_T4_T5_mT6_T7_P12ihipStream_tbENKUlT_T0_E_clISt17integral_constantIbLb1EESY_IbLb0EEEEDaSU_SV_EUlSU_E_NS1_11comp_targetILNS1_3genE10ELNS1_11target_archE1200ELNS1_3gpuE4ELNS1_3repE0EEENS1_30default_config_static_selectorELNS0_4arch9wavefront6targetE0EEEvT1_,"axG",@progbits,_ZN7rocprim17ROCPRIM_400000_NS6detail17trampoline_kernelINS0_14default_configENS1_27scan_by_key_config_selectorIxxEEZZNS1_16scan_by_key_implILNS1_25lookback_scan_determinismE0ELb1ES3_N6thrust23THRUST_200600_302600_NS6detail15normal_iteratorINS9_10device_ptrIxEEEESE_SE_xNS9_4plusIvEENS9_8equal_toIvEExEE10hipError_tPvRmT2_T3_T4_T5_mT6_T7_P12ihipStream_tbENKUlT_T0_E_clISt17integral_constantIbLb1EESY_IbLb0EEEEDaSU_SV_EUlSU_E_NS1_11comp_targetILNS1_3genE10ELNS1_11target_archE1200ELNS1_3gpuE4ELNS1_3repE0EEENS1_30default_config_static_selectorELNS0_4arch9wavefront6targetE0EEEvT1_,comdat
	.protected	_ZN7rocprim17ROCPRIM_400000_NS6detail17trampoline_kernelINS0_14default_configENS1_27scan_by_key_config_selectorIxxEEZZNS1_16scan_by_key_implILNS1_25lookback_scan_determinismE0ELb1ES3_N6thrust23THRUST_200600_302600_NS6detail15normal_iteratorINS9_10device_ptrIxEEEESE_SE_xNS9_4plusIvEENS9_8equal_toIvEExEE10hipError_tPvRmT2_T3_T4_T5_mT6_T7_P12ihipStream_tbENKUlT_T0_E_clISt17integral_constantIbLb1EESY_IbLb0EEEEDaSU_SV_EUlSU_E_NS1_11comp_targetILNS1_3genE10ELNS1_11target_archE1200ELNS1_3gpuE4ELNS1_3repE0EEENS1_30default_config_static_selectorELNS0_4arch9wavefront6targetE0EEEvT1_ ; -- Begin function _ZN7rocprim17ROCPRIM_400000_NS6detail17trampoline_kernelINS0_14default_configENS1_27scan_by_key_config_selectorIxxEEZZNS1_16scan_by_key_implILNS1_25lookback_scan_determinismE0ELb1ES3_N6thrust23THRUST_200600_302600_NS6detail15normal_iteratorINS9_10device_ptrIxEEEESE_SE_xNS9_4plusIvEENS9_8equal_toIvEExEE10hipError_tPvRmT2_T3_T4_T5_mT6_T7_P12ihipStream_tbENKUlT_T0_E_clISt17integral_constantIbLb1EESY_IbLb0EEEEDaSU_SV_EUlSU_E_NS1_11comp_targetILNS1_3genE10ELNS1_11target_archE1200ELNS1_3gpuE4ELNS1_3repE0EEENS1_30default_config_static_selectorELNS0_4arch9wavefront6targetE0EEEvT1_
	.globl	_ZN7rocprim17ROCPRIM_400000_NS6detail17trampoline_kernelINS0_14default_configENS1_27scan_by_key_config_selectorIxxEEZZNS1_16scan_by_key_implILNS1_25lookback_scan_determinismE0ELb1ES3_N6thrust23THRUST_200600_302600_NS6detail15normal_iteratorINS9_10device_ptrIxEEEESE_SE_xNS9_4plusIvEENS9_8equal_toIvEExEE10hipError_tPvRmT2_T3_T4_T5_mT6_T7_P12ihipStream_tbENKUlT_T0_E_clISt17integral_constantIbLb1EESY_IbLb0EEEEDaSU_SV_EUlSU_E_NS1_11comp_targetILNS1_3genE10ELNS1_11target_archE1200ELNS1_3gpuE4ELNS1_3repE0EEENS1_30default_config_static_selectorELNS0_4arch9wavefront6targetE0EEEvT1_
	.p2align	8
	.type	_ZN7rocprim17ROCPRIM_400000_NS6detail17trampoline_kernelINS0_14default_configENS1_27scan_by_key_config_selectorIxxEEZZNS1_16scan_by_key_implILNS1_25lookback_scan_determinismE0ELb1ES3_N6thrust23THRUST_200600_302600_NS6detail15normal_iteratorINS9_10device_ptrIxEEEESE_SE_xNS9_4plusIvEENS9_8equal_toIvEExEE10hipError_tPvRmT2_T3_T4_T5_mT6_T7_P12ihipStream_tbENKUlT_T0_E_clISt17integral_constantIbLb1EESY_IbLb0EEEEDaSU_SV_EUlSU_E_NS1_11comp_targetILNS1_3genE10ELNS1_11target_archE1200ELNS1_3gpuE4ELNS1_3repE0EEENS1_30default_config_static_selectorELNS0_4arch9wavefront6targetE0EEEvT1_,@function
_ZN7rocprim17ROCPRIM_400000_NS6detail17trampoline_kernelINS0_14default_configENS1_27scan_by_key_config_selectorIxxEEZZNS1_16scan_by_key_implILNS1_25lookback_scan_determinismE0ELb1ES3_N6thrust23THRUST_200600_302600_NS6detail15normal_iteratorINS9_10device_ptrIxEEEESE_SE_xNS9_4plusIvEENS9_8equal_toIvEExEE10hipError_tPvRmT2_T3_T4_T5_mT6_T7_P12ihipStream_tbENKUlT_T0_E_clISt17integral_constantIbLb1EESY_IbLb0EEEEDaSU_SV_EUlSU_E_NS1_11comp_targetILNS1_3genE10ELNS1_11target_archE1200ELNS1_3gpuE4ELNS1_3repE0EEENS1_30default_config_static_selectorELNS0_4arch9wavefront6targetE0EEEvT1_: ; @_ZN7rocprim17ROCPRIM_400000_NS6detail17trampoline_kernelINS0_14default_configENS1_27scan_by_key_config_selectorIxxEEZZNS1_16scan_by_key_implILNS1_25lookback_scan_determinismE0ELb1ES3_N6thrust23THRUST_200600_302600_NS6detail15normal_iteratorINS9_10device_ptrIxEEEESE_SE_xNS9_4plusIvEENS9_8equal_toIvEExEE10hipError_tPvRmT2_T3_T4_T5_mT6_T7_P12ihipStream_tbENKUlT_T0_E_clISt17integral_constantIbLb1EESY_IbLb0EEEEDaSU_SV_EUlSU_E_NS1_11comp_targetILNS1_3genE10ELNS1_11target_archE1200ELNS1_3gpuE4ELNS1_3repE0EEENS1_30default_config_static_selectorELNS0_4arch9wavefront6targetE0EEEvT1_
; %bb.0:
	.section	.rodata,"a",@progbits
	.p2align	6, 0x0
	.amdhsa_kernel _ZN7rocprim17ROCPRIM_400000_NS6detail17trampoline_kernelINS0_14default_configENS1_27scan_by_key_config_selectorIxxEEZZNS1_16scan_by_key_implILNS1_25lookback_scan_determinismE0ELb1ES3_N6thrust23THRUST_200600_302600_NS6detail15normal_iteratorINS9_10device_ptrIxEEEESE_SE_xNS9_4plusIvEENS9_8equal_toIvEExEE10hipError_tPvRmT2_T3_T4_T5_mT6_T7_P12ihipStream_tbENKUlT_T0_E_clISt17integral_constantIbLb1EESY_IbLb0EEEEDaSU_SV_EUlSU_E_NS1_11comp_targetILNS1_3genE10ELNS1_11target_archE1200ELNS1_3gpuE4ELNS1_3repE0EEENS1_30default_config_static_selectorELNS0_4arch9wavefront6targetE0EEEvT1_
		.amdhsa_group_segment_fixed_size 0
		.amdhsa_private_segment_fixed_size 0
		.amdhsa_kernarg_size 136
		.amdhsa_user_sgpr_count 2
		.amdhsa_user_sgpr_dispatch_ptr 0
		.amdhsa_user_sgpr_queue_ptr 0
		.amdhsa_user_sgpr_kernarg_segment_ptr 1
		.amdhsa_user_sgpr_dispatch_id 0
		.amdhsa_user_sgpr_kernarg_preload_length 0
		.amdhsa_user_sgpr_kernarg_preload_offset 0
		.amdhsa_user_sgpr_private_segment_size 0
		.amdhsa_wavefront_size32 1
		.amdhsa_uses_dynamic_stack 0
		.amdhsa_enable_private_segment 0
		.amdhsa_system_sgpr_workgroup_id_x 1
		.amdhsa_system_sgpr_workgroup_id_y 0
		.amdhsa_system_sgpr_workgroup_id_z 0
		.amdhsa_system_sgpr_workgroup_info 0
		.amdhsa_system_vgpr_workitem_id 0
		.amdhsa_next_free_vgpr 1
		.amdhsa_next_free_sgpr 1
		.amdhsa_named_barrier_count 0
		.amdhsa_reserve_vcc 0
		.amdhsa_float_round_mode_32 0
		.amdhsa_float_round_mode_16_64 0
		.amdhsa_float_denorm_mode_32 3
		.amdhsa_float_denorm_mode_16_64 3
		.amdhsa_fp16_overflow 0
		.amdhsa_memory_ordered 1
		.amdhsa_forward_progress 1
		.amdhsa_inst_pref_size 0
		.amdhsa_round_robin_scheduling 0
		.amdhsa_exception_fp_ieee_invalid_op 0
		.amdhsa_exception_fp_denorm_src 0
		.amdhsa_exception_fp_ieee_div_zero 0
		.amdhsa_exception_fp_ieee_overflow 0
		.amdhsa_exception_fp_ieee_underflow 0
		.amdhsa_exception_fp_ieee_inexact 0
		.amdhsa_exception_int_div_zero 0
	.end_amdhsa_kernel
	.section	.text._ZN7rocprim17ROCPRIM_400000_NS6detail17trampoline_kernelINS0_14default_configENS1_27scan_by_key_config_selectorIxxEEZZNS1_16scan_by_key_implILNS1_25lookback_scan_determinismE0ELb1ES3_N6thrust23THRUST_200600_302600_NS6detail15normal_iteratorINS9_10device_ptrIxEEEESE_SE_xNS9_4plusIvEENS9_8equal_toIvEExEE10hipError_tPvRmT2_T3_T4_T5_mT6_T7_P12ihipStream_tbENKUlT_T0_E_clISt17integral_constantIbLb1EESY_IbLb0EEEEDaSU_SV_EUlSU_E_NS1_11comp_targetILNS1_3genE10ELNS1_11target_archE1200ELNS1_3gpuE4ELNS1_3repE0EEENS1_30default_config_static_selectorELNS0_4arch9wavefront6targetE0EEEvT1_,"axG",@progbits,_ZN7rocprim17ROCPRIM_400000_NS6detail17trampoline_kernelINS0_14default_configENS1_27scan_by_key_config_selectorIxxEEZZNS1_16scan_by_key_implILNS1_25lookback_scan_determinismE0ELb1ES3_N6thrust23THRUST_200600_302600_NS6detail15normal_iteratorINS9_10device_ptrIxEEEESE_SE_xNS9_4plusIvEENS9_8equal_toIvEExEE10hipError_tPvRmT2_T3_T4_T5_mT6_T7_P12ihipStream_tbENKUlT_T0_E_clISt17integral_constantIbLb1EESY_IbLb0EEEEDaSU_SV_EUlSU_E_NS1_11comp_targetILNS1_3genE10ELNS1_11target_archE1200ELNS1_3gpuE4ELNS1_3repE0EEENS1_30default_config_static_selectorELNS0_4arch9wavefront6targetE0EEEvT1_,comdat
.Lfunc_end377:
	.size	_ZN7rocprim17ROCPRIM_400000_NS6detail17trampoline_kernelINS0_14default_configENS1_27scan_by_key_config_selectorIxxEEZZNS1_16scan_by_key_implILNS1_25lookback_scan_determinismE0ELb1ES3_N6thrust23THRUST_200600_302600_NS6detail15normal_iteratorINS9_10device_ptrIxEEEESE_SE_xNS9_4plusIvEENS9_8equal_toIvEExEE10hipError_tPvRmT2_T3_T4_T5_mT6_T7_P12ihipStream_tbENKUlT_T0_E_clISt17integral_constantIbLb1EESY_IbLb0EEEEDaSU_SV_EUlSU_E_NS1_11comp_targetILNS1_3genE10ELNS1_11target_archE1200ELNS1_3gpuE4ELNS1_3repE0EEENS1_30default_config_static_selectorELNS0_4arch9wavefront6targetE0EEEvT1_, .Lfunc_end377-_ZN7rocprim17ROCPRIM_400000_NS6detail17trampoline_kernelINS0_14default_configENS1_27scan_by_key_config_selectorIxxEEZZNS1_16scan_by_key_implILNS1_25lookback_scan_determinismE0ELb1ES3_N6thrust23THRUST_200600_302600_NS6detail15normal_iteratorINS9_10device_ptrIxEEEESE_SE_xNS9_4plusIvEENS9_8equal_toIvEExEE10hipError_tPvRmT2_T3_T4_T5_mT6_T7_P12ihipStream_tbENKUlT_T0_E_clISt17integral_constantIbLb1EESY_IbLb0EEEEDaSU_SV_EUlSU_E_NS1_11comp_targetILNS1_3genE10ELNS1_11target_archE1200ELNS1_3gpuE4ELNS1_3repE0EEENS1_30default_config_static_selectorELNS0_4arch9wavefront6targetE0EEEvT1_
                                        ; -- End function
	.set _ZN7rocprim17ROCPRIM_400000_NS6detail17trampoline_kernelINS0_14default_configENS1_27scan_by_key_config_selectorIxxEEZZNS1_16scan_by_key_implILNS1_25lookback_scan_determinismE0ELb1ES3_N6thrust23THRUST_200600_302600_NS6detail15normal_iteratorINS9_10device_ptrIxEEEESE_SE_xNS9_4plusIvEENS9_8equal_toIvEExEE10hipError_tPvRmT2_T3_T4_T5_mT6_T7_P12ihipStream_tbENKUlT_T0_E_clISt17integral_constantIbLb1EESY_IbLb0EEEEDaSU_SV_EUlSU_E_NS1_11comp_targetILNS1_3genE10ELNS1_11target_archE1200ELNS1_3gpuE4ELNS1_3repE0EEENS1_30default_config_static_selectorELNS0_4arch9wavefront6targetE0EEEvT1_.num_vgpr, 0
	.set _ZN7rocprim17ROCPRIM_400000_NS6detail17trampoline_kernelINS0_14default_configENS1_27scan_by_key_config_selectorIxxEEZZNS1_16scan_by_key_implILNS1_25lookback_scan_determinismE0ELb1ES3_N6thrust23THRUST_200600_302600_NS6detail15normal_iteratorINS9_10device_ptrIxEEEESE_SE_xNS9_4plusIvEENS9_8equal_toIvEExEE10hipError_tPvRmT2_T3_T4_T5_mT6_T7_P12ihipStream_tbENKUlT_T0_E_clISt17integral_constantIbLb1EESY_IbLb0EEEEDaSU_SV_EUlSU_E_NS1_11comp_targetILNS1_3genE10ELNS1_11target_archE1200ELNS1_3gpuE4ELNS1_3repE0EEENS1_30default_config_static_selectorELNS0_4arch9wavefront6targetE0EEEvT1_.num_agpr, 0
	.set _ZN7rocprim17ROCPRIM_400000_NS6detail17trampoline_kernelINS0_14default_configENS1_27scan_by_key_config_selectorIxxEEZZNS1_16scan_by_key_implILNS1_25lookback_scan_determinismE0ELb1ES3_N6thrust23THRUST_200600_302600_NS6detail15normal_iteratorINS9_10device_ptrIxEEEESE_SE_xNS9_4plusIvEENS9_8equal_toIvEExEE10hipError_tPvRmT2_T3_T4_T5_mT6_T7_P12ihipStream_tbENKUlT_T0_E_clISt17integral_constantIbLb1EESY_IbLb0EEEEDaSU_SV_EUlSU_E_NS1_11comp_targetILNS1_3genE10ELNS1_11target_archE1200ELNS1_3gpuE4ELNS1_3repE0EEENS1_30default_config_static_selectorELNS0_4arch9wavefront6targetE0EEEvT1_.numbered_sgpr, 0
	.set _ZN7rocprim17ROCPRIM_400000_NS6detail17trampoline_kernelINS0_14default_configENS1_27scan_by_key_config_selectorIxxEEZZNS1_16scan_by_key_implILNS1_25lookback_scan_determinismE0ELb1ES3_N6thrust23THRUST_200600_302600_NS6detail15normal_iteratorINS9_10device_ptrIxEEEESE_SE_xNS9_4plusIvEENS9_8equal_toIvEExEE10hipError_tPvRmT2_T3_T4_T5_mT6_T7_P12ihipStream_tbENKUlT_T0_E_clISt17integral_constantIbLb1EESY_IbLb0EEEEDaSU_SV_EUlSU_E_NS1_11comp_targetILNS1_3genE10ELNS1_11target_archE1200ELNS1_3gpuE4ELNS1_3repE0EEENS1_30default_config_static_selectorELNS0_4arch9wavefront6targetE0EEEvT1_.num_named_barrier, 0
	.set _ZN7rocprim17ROCPRIM_400000_NS6detail17trampoline_kernelINS0_14default_configENS1_27scan_by_key_config_selectorIxxEEZZNS1_16scan_by_key_implILNS1_25lookback_scan_determinismE0ELb1ES3_N6thrust23THRUST_200600_302600_NS6detail15normal_iteratorINS9_10device_ptrIxEEEESE_SE_xNS9_4plusIvEENS9_8equal_toIvEExEE10hipError_tPvRmT2_T3_T4_T5_mT6_T7_P12ihipStream_tbENKUlT_T0_E_clISt17integral_constantIbLb1EESY_IbLb0EEEEDaSU_SV_EUlSU_E_NS1_11comp_targetILNS1_3genE10ELNS1_11target_archE1200ELNS1_3gpuE4ELNS1_3repE0EEENS1_30default_config_static_selectorELNS0_4arch9wavefront6targetE0EEEvT1_.private_seg_size, 0
	.set _ZN7rocprim17ROCPRIM_400000_NS6detail17trampoline_kernelINS0_14default_configENS1_27scan_by_key_config_selectorIxxEEZZNS1_16scan_by_key_implILNS1_25lookback_scan_determinismE0ELb1ES3_N6thrust23THRUST_200600_302600_NS6detail15normal_iteratorINS9_10device_ptrIxEEEESE_SE_xNS9_4plusIvEENS9_8equal_toIvEExEE10hipError_tPvRmT2_T3_T4_T5_mT6_T7_P12ihipStream_tbENKUlT_T0_E_clISt17integral_constantIbLb1EESY_IbLb0EEEEDaSU_SV_EUlSU_E_NS1_11comp_targetILNS1_3genE10ELNS1_11target_archE1200ELNS1_3gpuE4ELNS1_3repE0EEENS1_30default_config_static_selectorELNS0_4arch9wavefront6targetE0EEEvT1_.uses_vcc, 0
	.set _ZN7rocprim17ROCPRIM_400000_NS6detail17trampoline_kernelINS0_14default_configENS1_27scan_by_key_config_selectorIxxEEZZNS1_16scan_by_key_implILNS1_25lookback_scan_determinismE0ELb1ES3_N6thrust23THRUST_200600_302600_NS6detail15normal_iteratorINS9_10device_ptrIxEEEESE_SE_xNS9_4plusIvEENS9_8equal_toIvEExEE10hipError_tPvRmT2_T3_T4_T5_mT6_T7_P12ihipStream_tbENKUlT_T0_E_clISt17integral_constantIbLb1EESY_IbLb0EEEEDaSU_SV_EUlSU_E_NS1_11comp_targetILNS1_3genE10ELNS1_11target_archE1200ELNS1_3gpuE4ELNS1_3repE0EEENS1_30default_config_static_selectorELNS0_4arch9wavefront6targetE0EEEvT1_.uses_flat_scratch, 0
	.set _ZN7rocprim17ROCPRIM_400000_NS6detail17trampoline_kernelINS0_14default_configENS1_27scan_by_key_config_selectorIxxEEZZNS1_16scan_by_key_implILNS1_25lookback_scan_determinismE0ELb1ES3_N6thrust23THRUST_200600_302600_NS6detail15normal_iteratorINS9_10device_ptrIxEEEESE_SE_xNS9_4plusIvEENS9_8equal_toIvEExEE10hipError_tPvRmT2_T3_T4_T5_mT6_T7_P12ihipStream_tbENKUlT_T0_E_clISt17integral_constantIbLb1EESY_IbLb0EEEEDaSU_SV_EUlSU_E_NS1_11comp_targetILNS1_3genE10ELNS1_11target_archE1200ELNS1_3gpuE4ELNS1_3repE0EEENS1_30default_config_static_selectorELNS0_4arch9wavefront6targetE0EEEvT1_.has_dyn_sized_stack, 0
	.set _ZN7rocprim17ROCPRIM_400000_NS6detail17trampoline_kernelINS0_14default_configENS1_27scan_by_key_config_selectorIxxEEZZNS1_16scan_by_key_implILNS1_25lookback_scan_determinismE0ELb1ES3_N6thrust23THRUST_200600_302600_NS6detail15normal_iteratorINS9_10device_ptrIxEEEESE_SE_xNS9_4plusIvEENS9_8equal_toIvEExEE10hipError_tPvRmT2_T3_T4_T5_mT6_T7_P12ihipStream_tbENKUlT_T0_E_clISt17integral_constantIbLb1EESY_IbLb0EEEEDaSU_SV_EUlSU_E_NS1_11comp_targetILNS1_3genE10ELNS1_11target_archE1200ELNS1_3gpuE4ELNS1_3repE0EEENS1_30default_config_static_selectorELNS0_4arch9wavefront6targetE0EEEvT1_.has_recursion, 0
	.set _ZN7rocprim17ROCPRIM_400000_NS6detail17trampoline_kernelINS0_14default_configENS1_27scan_by_key_config_selectorIxxEEZZNS1_16scan_by_key_implILNS1_25lookback_scan_determinismE0ELb1ES3_N6thrust23THRUST_200600_302600_NS6detail15normal_iteratorINS9_10device_ptrIxEEEESE_SE_xNS9_4plusIvEENS9_8equal_toIvEExEE10hipError_tPvRmT2_T3_T4_T5_mT6_T7_P12ihipStream_tbENKUlT_T0_E_clISt17integral_constantIbLb1EESY_IbLb0EEEEDaSU_SV_EUlSU_E_NS1_11comp_targetILNS1_3genE10ELNS1_11target_archE1200ELNS1_3gpuE4ELNS1_3repE0EEENS1_30default_config_static_selectorELNS0_4arch9wavefront6targetE0EEEvT1_.has_indirect_call, 0
	.section	.AMDGPU.csdata,"",@progbits
; Kernel info:
; codeLenInByte = 0
; TotalNumSgprs: 0
; NumVgprs: 0
; ScratchSize: 0
; MemoryBound: 0
; FloatMode: 240
; IeeeMode: 1
; LDSByteSize: 0 bytes/workgroup (compile time only)
; SGPRBlocks: 0
; VGPRBlocks: 0
; NumSGPRsForWavesPerEU: 1
; NumVGPRsForWavesPerEU: 1
; NamedBarCnt: 0
; Occupancy: 16
; WaveLimiterHint : 0
; COMPUTE_PGM_RSRC2:SCRATCH_EN: 0
; COMPUTE_PGM_RSRC2:USER_SGPR: 2
; COMPUTE_PGM_RSRC2:TRAP_HANDLER: 0
; COMPUTE_PGM_RSRC2:TGID_X_EN: 1
; COMPUTE_PGM_RSRC2:TGID_Y_EN: 0
; COMPUTE_PGM_RSRC2:TGID_Z_EN: 0
; COMPUTE_PGM_RSRC2:TIDIG_COMP_CNT: 0
	.section	.text._ZN7rocprim17ROCPRIM_400000_NS6detail17trampoline_kernelINS0_14default_configENS1_27scan_by_key_config_selectorIxxEEZZNS1_16scan_by_key_implILNS1_25lookback_scan_determinismE0ELb1ES3_N6thrust23THRUST_200600_302600_NS6detail15normal_iteratorINS9_10device_ptrIxEEEESE_SE_xNS9_4plusIvEENS9_8equal_toIvEExEE10hipError_tPvRmT2_T3_T4_T5_mT6_T7_P12ihipStream_tbENKUlT_T0_E_clISt17integral_constantIbLb1EESY_IbLb0EEEEDaSU_SV_EUlSU_E_NS1_11comp_targetILNS1_3genE9ELNS1_11target_archE1100ELNS1_3gpuE3ELNS1_3repE0EEENS1_30default_config_static_selectorELNS0_4arch9wavefront6targetE0EEEvT1_,"axG",@progbits,_ZN7rocprim17ROCPRIM_400000_NS6detail17trampoline_kernelINS0_14default_configENS1_27scan_by_key_config_selectorIxxEEZZNS1_16scan_by_key_implILNS1_25lookback_scan_determinismE0ELb1ES3_N6thrust23THRUST_200600_302600_NS6detail15normal_iteratorINS9_10device_ptrIxEEEESE_SE_xNS9_4plusIvEENS9_8equal_toIvEExEE10hipError_tPvRmT2_T3_T4_T5_mT6_T7_P12ihipStream_tbENKUlT_T0_E_clISt17integral_constantIbLb1EESY_IbLb0EEEEDaSU_SV_EUlSU_E_NS1_11comp_targetILNS1_3genE9ELNS1_11target_archE1100ELNS1_3gpuE3ELNS1_3repE0EEENS1_30default_config_static_selectorELNS0_4arch9wavefront6targetE0EEEvT1_,comdat
	.protected	_ZN7rocprim17ROCPRIM_400000_NS6detail17trampoline_kernelINS0_14default_configENS1_27scan_by_key_config_selectorIxxEEZZNS1_16scan_by_key_implILNS1_25lookback_scan_determinismE0ELb1ES3_N6thrust23THRUST_200600_302600_NS6detail15normal_iteratorINS9_10device_ptrIxEEEESE_SE_xNS9_4plusIvEENS9_8equal_toIvEExEE10hipError_tPvRmT2_T3_T4_T5_mT6_T7_P12ihipStream_tbENKUlT_T0_E_clISt17integral_constantIbLb1EESY_IbLb0EEEEDaSU_SV_EUlSU_E_NS1_11comp_targetILNS1_3genE9ELNS1_11target_archE1100ELNS1_3gpuE3ELNS1_3repE0EEENS1_30default_config_static_selectorELNS0_4arch9wavefront6targetE0EEEvT1_ ; -- Begin function _ZN7rocprim17ROCPRIM_400000_NS6detail17trampoline_kernelINS0_14default_configENS1_27scan_by_key_config_selectorIxxEEZZNS1_16scan_by_key_implILNS1_25lookback_scan_determinismE0ELb1ES3_N6thrust23THRUST_200600_302600_NS6detail15normal_iteratorINS9_10device_ptrIxEEEESE_SE_xNS9_4plusIvEENS9_8equal_toIvEExEE10hipError_tPvRmT2_T3_T4_T5_mT6_T7_P12ihipStream_tbENKUlT_T0_E_clISt17integral_constantIbLb1EESY_IbLb0EEEEDaSU_SV_EUlSU_E_NS1_11comp_targetILNS1_3genE9ELNS1_11target_archE1100ELNS1_3gpuE3ELNS1_3repE0EEENS1_30default_config_static_selectorELNS0_4arch9wavefront6targetE0EEEvT1_
	.globl	_ZN7rocprim17ROCPRIM_400000_NS6detail17trampoline_kernelINS0_14default_configENS1_27scan_by_key_config_selectorIxxEEZZNS1_16scan_by_key_implILNS1_25lookback_scan_determinismE0ELb1ES3_N6thrust23THRUST_200600_302600_NS6detail15normal_iteratorINS9_10device_ptrIxEEEESE_SE_xNS9_4plusIvEENS9_8equal_toIvEExEE10hipError_tPvRmT2_T3_T4_T5_mT6_T7_P12ihipStream_tbENKUlT_T0_E_clISt17integral_constantIbLb1EESY_IbLb0EEEEDaSU_SV_EUlSU_E_NS1_11comp_targetILNS1_3genE9ELNS1_11target_archE1100ELNS1_3gpuE3ELNS1_3repE0EEENS1_30default_config_static_selectorELNS0_4arch9wavefront6targetE0EEEvT1_
	.p2align	8
	.type	_ZN7rocprim17ROCPRIM_400000_NS6detail17trampoline_kernelINS0_14default_configENS1_27scan_by_key_config_selectorIxxEEZZNS1_16scan_by_key_implILNS1_25lookback_scan_determinismE0ELb1ES3_N6thrust23THRUST_200600_302600_NS6detail15normal_iteratorINS9_10device_ptrIxEEEESE_SE_xNS9_4plusIvEENS9_8equal_toIvEExEE10hipError_tPvRmT2_T3_T4_T5_mT6_T7_P12ihipStream_tbENKUlT_T0_E_clISt17integral_constantIbLb1EESY_IbLb0EEEEDaSU_SV_EUlSU_E_NS1_11comp_targetILNS1_3genE9ELNS1_11target_archE1100ELNS1_3gpuE3ELNS1_3repE0EEENS1_30default_config_static_selectorELNS0_4arch9wavefront6targetE0EEEvT1_,@function
_ZN7rocprim17ROCPRIM_400000_NS6detail17trampoline_kernelINS0_14default_configENS1_27scan_by_key_config_selectorIxxEEZZNS1_16scan_by_key_implILNS1_25lookback_scan_determinismE0ELb1ES3_N6thrust23THRUST_200600_302600_NS6detail15normal_iteratorINS9_10device_ptrIxEEEESE_SE_xNS9_4plusIvEENS9_8equal_toIvEExEE10hipError_tPvRmT2_T3_T4_T5_mT6_T7_P12ihipStream_tbENKUlT_T0_E_clISt17integral_constantIbLb1EESY_IbLb0EEEEDaSU_SV_EUlSU_E_NS1_11comp_targetILNS1_3genE9ELNS1_11target_archE1100ELNS1_3gpuE3ELNS1_3repE0EEENS1_30default_config_static_selectorELNS0_4arch9wavefront6targetE0EEEvT1_: ; @_ZN7rocprim17ROCPRIM_400000_NS6detail17trampoline_kernelINS0_14default_configENS1_27scan_by_key_config_selectorIxxEEZZNS1_16scan_by_key_implILNS1_25lookback_scan_determinismE0ELb1ES3_N6thrust23THRUST_200600_302600_NS6detail15normal_iteratorINS9_10device_ptrIxEEEESE_SE_xNS9_4plusIvEENS9_8equal_toIvEExEE10hipError_tPvRmT2_T3_T4_T5_mT6_T7_P12ihipStream_tbENKUlT_T0_E_clISt17integral_constantIbLb1EESY_IbLb0EEEEDaSU_SV_EUlSU_E_NS1_11comp_targetILNS1_3genE9ELNS1_11target_archE1100ELNS1_3gpuE3ELNS1_3repE0EEENS1_30default_config_static_selectorELNS0_4arch9wavefront6targetE0EEEvT1_
; %bb.0:
	.section	.rodata,"a",@progbits
	.p2align	6, 0x0
	.amdhsa_kernel _ZN7rocprim17ROCPRIM_400000_NS6detail17trampoline_kernelINS0_14default_configENS1_27scan_by_key_config_selectorIxxEEZZNS1_16scan_by_key_implILNS1_25lookback_scan_determinismE0ELb1ES3_N6thrust23THRUST_200600_302600_NS6detail15normal_iteratorINS9_10device_ptrIxEEEESE_SE_xNS9_4plusIvEENS9_8equal_toIvEExEE10hipError_tPvRmT2_T3_T4_T5_mT6_T7_P12ihipStream_tbENKUlT_T0_E_clISt17integral_constantIbLb1EESY_IbLb0EEEEDaSU_SV_EUlSU_E_NS1_11comp_targetILNS1_3genE9ELNS1_11target_archE1100ELNS1_3gpuE3ELNS1_3repE0EEENS1_30default_config_static_selectorELNS0_4arch9wavefront6targetE0EEEvT1_
		.amdhsa_group_segment_fixed_size 0
		.amdhsa_private_segment_fixed_size 0
		.amdhsa_kernarg_size 136
		.amdhsa_user_sgpr_count 2
		.amdhsa_user_sgpr_dispatch_ptr 0
		.amdhsa_user_sgpr_queue_ptr 0
		.amdhsa_user_sgpr_kernarg_segment_ptr 1
		.amdhsa_user_sgpr_dispatch_id 0
		.amdhsa_user_sgpr_kernarg_preload_length 0
		.amdhsa_user_sgpr_kernarg_preload_offset 0
		.amdhsa_user_sgpr_private_segment_size 0
		.amdhsa_wavefront_size32 1
		.amdhsa_uses_dynamic_stack 0
		.amdhsa_enable_private_segment 0
		.amdhsa_system_sgpr_workgroup_id_x 1
		.amdhsa_system_sgpr_workgroup_id_y 0
		.amdhsa_system_sgpr_workgroup_id_z 0
		.amdhsa_system_sgpr_workgroup_info 0
		.amdhsa_system_vgpr_workitem_id 0
		.amdhsa_next_free_vgpr 1
		.amdhsa_next_free_sgpr 1
		.amdhsa_named_barrier_count 0
		.amdhsa_reserve_vcc 0
		.amdhsa_float_round_mode_32 0
		.amdhsa_float_round_mode_16_64 0
		.amdhsa_float_denorm_mode_32 3
		.amdhsa_float_denorm_mode_16_64 3
		.amdhsa_fp16_overflow 0
		.amdhsa_memory_ordered 1
		.amdhsa_forward_progress 1
		.amdhsa_inst_pref_size 0
		.amdhsa_round_robin_scheduling 0
		.amdhsa_exception_fp_ieee_invalid_op 0
		.amdhsa_exception_fp_denorm_src 0
		.amdhsa_exception_fp_ieee_div_zero 0
		.amdhsa_exception_fp_ieee_overflow 0
		.amdhsa_exception_fp_ieee_underflow 0
		.amdhsa_exception_fp_ieee_inexact 0
		.amdhsa_exception_int_div_zero 0
	.end_amdhsa_kernel
	.section	.text._ZN7rocprim17ROCPRIM_400000_NS6detail17trampoline_kernelINS0_14default_configENS1_27scan_by_key_config_selectorIxxEEZZNS1_16scan_by_key_implILNS1_25lookback_scan_determinismE0ELb1ES3_N6thrust23THRUST_200600_302600_NS6detail15normal_iteratorINS9_10device_ptrIxEEEESE_SE_xNS9_4plusIvEENS9_8equal_toIvEExEE10hipError_tPvRmT2_T3_T4_T5_mT6_T7_P12ihipStream_tbENKUlT_T0_E_clISt17integral_constantIbLb1EESY_IbLb0EEEEDaSU_SV_EUlSU_E_NS1_11comp_targetILNS1_3genE9ELNS1_11target_archE1100ELNS1_3gpuE3ELNS1_3repE0EEENS1_30default_config_static_selectorELNS0_4arch9wavefront6targetE0EEEvT1_,"axG",@progbits,_ZN7rocprim17ROCPRIM_400000_NS6detail17trampoline_kernelINS0_14default_configENS1_27scan_by_key_config_selectorIxxEEZZNS1_16scan_by_key_implILNS1_25lookback_scan_determinismE0ELb1ES3_N6thrust23THRUST_200600_302600_NS6detail15normal_iteratorINS9_10device_ptrIxEEEESE_SE_xNS9_4plusIvEENS9_8equal_toIvEExEE10hipError_tPvRmT2_T3_T4_T5_mT6_T7_P12ihipStream_tbENKUlT_T0_E_clISt17integral_constantIbLb1EESY_IbLb0EEEEDaSU_SV_EUlSU_E_NS1_11comp_targetILNS1_3genE9ELNS1_11target_archE1100ELNS1_3gpuE3ELNS1_3repE0EEENS1_30default_config_static_selectorELNS0_4arch9wavefront6targetE0EEEvT1_,comdat
.Lfunc_end378:
	.size	_ZN7rocprim17ROCPRIM_400000_NS6detail17trampoline_kernelINS0_14default_configENS1_27scan_by_key_config_selectorIxxEEZZNS1_16scan_by_key_implILNS1_25lookback_scan_determinismE0ELb1ES3_N6thrust23THRUST_200600_302600_NS6detail15normal_iteratorINS9_10device_ptrIxEEEESE_SE_xNS9_4plusIvEENS9_8equal_toIvEExEE10hipError_tPvRmT2_T3_T4_T5_mT6_T7_P12ihipStream_tbENKUlT_T0_E_clISt17integral_constantIbLb1EESY_IbLb0EEEEDaSU_SV_EUlSU_E_NS1_11comp_targetILNS1_3genE9ELNS1_11target_archE1100ELNS1_3gpuE3ELNS1_3repE0EEENS1_30default_config_static_selectorELNS0_4arch9wavefront6targetE0EEEvT1_, .Lfunc_end378-_ZN7rocprim17ROCPRIM_400000_NS6detail17trampoline_kernelINS0_14default_configENS1_27scan_by_key_config_selectorIxxEEZZNS1_16scan_by_key_implILNS1_25lookback_scan_determinismE0ELb1ES3_N6thrust23THRUST_200600_302600_NS6detail15normal_iteratorINS9_10device_ptrIxEEEESE_SE_xNS9_4plusIvEENS9_8equal_toIvEExEE10hipError_tPvRmT2_T3_T4_T5_mT6_T7_P12ihipStream_tbENKUlT_T0_E_clISt17integral_constantIbLb1EESY_IbLb0EEEEDaSU_SV_EUlSU_E_NS1_11comp_targetILNS1_3genE9ELNS1_11target_archE1100ELNS1_3gpuE3ELNS1_3repE0EEENS1_30default_config_static_selectorELNS0_4arch9wavefront6targetE0EEEvT1_
                                        ; -- End function
	.set _ZN7rocprim17ROCPRIM_400000_NS6detail17trampoline_kernelINS0_14default_configENS1_27scan_by_key_config_selectorIxxEEZZNS1_16scan_by_key_implILNS1_25lookback_scan_determinismE0ELb1ES3_N6thrust23THRUST_200600_302600_NS6detail15normal_iteratorINS9_10device_ptrIxEEEESE_SE_xNS9_4plusIvEENS9_8equal_toIvEExEE10hipError_tPvRmT2_T3_T4_T5_mT6_T7_P12ihipStream_tbENKUlT_T0_E_clISt17integral_constantIbLb1EESY_IbLb0EEEEDaSU_SV_EUlSU_E_NS1_11comp_targetILNS1_3genE9ELNS1_11target_archE1100ELNS1_3gpuE3ELNS1_3repE0EEENS1_30default_config_static_selectorELNS0_4arch9wavefront6targetE0EEEvT1_.num_vgpr, 0
	.set _ZN7rocprim17ROCPRIM_400000_NS6detail17trampoline_kernelINS0_14default_configENS1_27scan_by_key_config_selectorIxxEEZZNS1_16scan_by_key_implILNS1_25lookback_scan_determinismE0ELb1ES3_N6thrust23THRUST_200600_302600_NS6detail15normal_iteratorINS9_10device_ptrIxEEEESE_SE_xNS9_4plusIvEENS9_8equal_toIvEExEE10hipError_tPvRmT2_T3_T4_T5_mT6_T7_P12ihipStream_tbENKUlT_T0_E_clISt17integral_constantIbLb1EESY_IbLb0EEEEDaSU_SV_EUlSU_E_NS1_11comp_targetILNS1_3genE9ELNS1_11target_archE1100ELNS1_3gpuE3ELNS1_3repE0EEENS1_30default_config_static_selectorELNS0_4arch9wavefront6targetE0EEEvT1_.num_agpr, 0
	.set _ZN7rocprim17ROCPRIM_400000_NS6detail17trampoline_kernelINS0_14default_configENS1_27scan_by_key_config_selectorIxxEEZZNS1_16scan_by_key_implILNS1_25lookback_scan_determinismE0ELb1ES3_N6thrust23THRUST_200600_302600_NS6detail15normal_iteratorINS9_10device_ptrIxEEEESE_SE_xNS9_4plusIvEENS9_8equal_toIvEExEE10hipError_tPvRmT2_T3_T4_T5_mT6_T7_P12ihipStream_tbENKUlT_T0_E_clISt17integral_constantIbLb1EESY_IbLb0EEEEDaSU_SV_EUlSU_E_NS1_11comp_targetILNS1_3genE9ELNS1_11target_archE1100ELNS1_3gpuE3ELNS1_3repE0EEENS1_30default_config_static_selectorELNS0_4arch9wavefront6targetE0EEEvT1_.numbered_sgpr, 0
	.set _ZN7rocprim17ROCPRIM_400000_NS6detail17trampoline_kernelINS0_14default_configENS1_27scan_by_key_config_selectorIxxEEZZNS1_16scan_by_key_implILNS1_25lookback_scan_determinismE0ELb1ES3_N6thrust23THRUST_200600_302600_NS6detail15normal_iteratorINS9_10device_ptrIxEEEESE_SE_xNS9_4plusIvEENS9_8equal_toIvEExEE10hipError_tPvRmT2_T3_T4_T5_mT6_T7_P12ihipStream_tbENKUlT_T0_E_clISt17integral_constantIbLb1EESY_IbLb0EEEEDaSU_SV_EUlSU_E_NS1_11comp_targetILNS1_3genE9ELNS1_11target_archE1100ELNS1_3gpuE3ELNS1_3repE0EEENS1_30default_config_static_selectorELNS0_4arch9wavefront6targetE0EEEvT1_.num_named_barrier, 0
	.set _ZN7rocprim17ROCPRIM_400000_NS6detail17trampoline_kernelINS0_14default_configENS1_27scan_by_key_config_selectorIxxEEZZNS1_16scan_by_key_implILNS1_25lookback_scan_determinismE0ELb1ES3_N6thrust23THRUST_200600_302600_NS6detail15normal_iteratorINS9_10device_ptrIxEEEESE_SE_xNS9_4plusIvEENS9_8equal_toIvEExEE10hipError_tPvRmT2_T3_T4_T5_mT6_T7_P12ihipStream_tbENKUlT_T0_E_clISt17integral_constantIbLb1EESY_IbLb0EEEEDaSU_SV_EUlSU_E_NS1_11comp_targetILNS1_3genE9ELNS1_11target_archE1100ELNS1_3gpuE3ELNS1_3repE0EEENS1_30default_config_static_selectorELNS0_4arch9wavefront6targetE0EEEvT1_.private_seg_size, 0
	.set _ZN7rocprim17ROCPRIM_400000_NS6detail17trampoline_kernelINS0_14default_configENS1_27scan_by_key_config_selectorIxxEEZZNS1_16scan_by_key_implILNS1_25lookback_scan_determinismE0ELb1ES3_N6thrust23THRUST_200600_302600_NS6detail15normal_iteratorINS9_10device_ptrIxEEEESE_SE_xNS9_4plusIvEENS9_8equal_toIvEExEE10hipError_tPvRmT2_T3_T4_T5_mT6_T7_P12ihipStream_tbENKUlT_T0_E_clISt17integral_constantIbLb1EESY_IbLb0EEEEDaSU_SV_EUlSU_E_NS1_11comp_targetILNS1_3genE9ELNS1_11target_archE1100ELNS1_3gpuE3ELNS1_3repE0EEENS1_30default_config_static_selectorELNS0_4arch9wavefront6targetE0EEEvT1_.uses_vcc, 0
	.set _ZN7rocprim17ROCPRIM_400000_NS6detail17trampoline_kernelINS0_14default_configENS1_27scan_by_key_config_selectorIxxEEZZNS1_16scan_by_key_implILNS1_25lookback_scan_determinismE0ELb1ES3_N6thrust23THRUST_200600_302600_NS6detail15normal_iteratorINS9_10device_ptrIxEEEESE_SE_xNS9_4plusIvEENS9_8equal_toIvEExEE10hipError_tPvRmT2_T3_T4_T5_mT6_T7_P12ihipStream_tbENKUlT_T0_E_clISt17integral_constantIbLb1EESY_IbLb0EEEEDaSU_SV_EUlSU_E_NS1_11comp_targetILNS1_3genE9ELNS1_11target_archE1100ELNS1_3gpuE3ELNS1_3repE0EEENS1_30default_config_static_selectorELNS0_4arch9wavefront6targetE0EEEvT1_.uses_flat_scratch, 0
	.set _ZN7rocprim17ROCPRIM_400000_NS6detail17trampoline_kernelINS0_14default_configENS1_27scan_by_key_config_selectorIxxEEZZNS1_16scan_by_key_implILNS1_25lookback_scan_determinismE0ELb1ES3_N6thrust23THRUST_200600_302600_NS6detail15normal_iteratorINS9_10device_ptrIxEEEESE_SE_xNS9_4plusIvEENS9_8equal_toIvEExEE10hipError_tPvRmT2_T3_T4_T5_mT6_T7_P12ihipStream_tbENKUlT_T0_E_clISt17integral_constantIbLb1EESY_IbLb0EEEEDaSU_SV_EUlSU_E_NS1_11comp_targetILNS1_3genE9ELNS1_11target_archE1100ELNS1_3gpuE3ELNS1_3repE0EEENS1_30default_config_static_selectorELNS0_4arch9wavefront6targetE0EEEvT1_.has_dyn_sized_stack, 0
	.set _ZN7rocprim17ROCPRIM_400000_NS6detail17trampoline_kernelINS0_14default_configENS1_27scan_by_key_config_selectorIxxEEZZNS1_16scan_by_key_implILNS1_25lookback_scan_determinismE0ELb1ES3_N6thrust23THRUST_200600_302600_NS6detail15normal_iteratorINS9_10device_ptrIxEEEESE_SE_xNS9_4plusIvEENS9_8equal_toIvEExEE10hipError_tPvRmT2_T3_T4_T5_mT6_T7_P12ihipStream_tbENKUlT_T0_E_clISt17integral_constantIbLb1EESY_IbLb0EEEEDaSU_SV_EUlSU_E_NS1_11comp_targetILNS1_3genE9ELNS1_11target_archE1100ELNS1_3gpuE3ELNS1_3repE0EEENS1_30default_config_static_selectorELNS0_4arch9wavefront6targetE0EEEvT1_.has_recursion, 0
	.set _ZN7rocprim17ROCPRIM_400000_NS6detail17trampoline_kernelINS0_14default_configENS1_27scan_by_key_config_selectorIxxEEZZNS1_16scan_by_key_implILNS1_25lookback_scan_determinismE0ELb1ES3_N6thrust23THRUST_200600_302600_NS6detail15normal_iteratorINS9_10device_ptrIxEEEESE_SE_xNS9_4plusIvEENS9_8equal_toIvEExEE10hipError_tPvRmT2_T3_T4_T5_mT6_T7_P12ihipStream_tbENKUlT_T0_E_clISt17integral_constantIbLb1EESY_IbLb0EEEEDaSU_SV_EUlSU_E_NS1_11comp_targetILNS1_3genE9ELNS1_11target_archE1100ELNS1_3gpuE3ELNS1_3repE0EEENS1_30default_config_static_selectorELNS0_4arch9wavefront6targetE0EEEvT1_.has_indirect_call, 0
	.section	.AMDGPU.csdata,"",@progbits
; Kernel info:
; codeLenInByte = 0
; TotalNumSgprs: 0
; NumVgprs: 0
; ScratchSize: 0
; MemoryBound: 0
; FloatMode: 240
; IeeeMode: 1
; LDSByteSize: 0 bytes/workgroup (compile time only)
; SGPRBlocks: 0
; VGPRBlocks: 0
; NumSGPRsForWavesPerEU: 1
; NumVGPRsForWavesPerEU: 1
; NamedBarCnt: 0
; Occupancy: 16
; WaveLimiterHint : 0
; COMPUTE_PGM_RSRC2:SCRATCH_EN: 0
; COMPUTE_PGM_RSRC2:USER_SGPR: 2
; COMPUTE_PGM_RSRC2:TRAP_HANDLER: 0
; COMPUTE_PGM_RSRC2:TGID_X_EN: 1
; COMPUTE_PGM_RSRC2:TGID_Y_EN: 0
; COMPUTE_PGM_RSRC2:TGID_Z_EN: 0
; COMPUTE_PGM_RSRC2:TIDIG_COMP_CNT: 0
	.section	.text._ZN7rocprim17ROCPRIM_400000_NS6detail17trampoline_kernelINS0_14default_configENS1_27scan_by_key_config_selectorIxxEEZZNS1_16scan_by_key_implILNS1_25lookback_scan_determinismE0ELb1ES3_N6thrust23THRUST_200600_302600_NS6detail15normal_iteratorINS9_10device_ptrIxEEEESE_SE_xNS9_4plusIvEENS9_8equal_toIvEExEE10hipError_tPvRmT2_T3_T4_T5_mT6_T7_P12ihipStream_tbENKUlT_T0_E_clISt17integral_constantIbLb1EESY_IbLb0EEEEDaSU_SV_EUlSU_E_NS1_11comp_targetILNS1_3genE8ELNS1_11target_archE1030ELNS1_3gpuE2ELNS1_3repE0EEENS1_30default_config_static_selectorELNS0_4arch9wavefront6targetE0EEEvT1_,"axG",@progbits,_ZN7rocprim17ROCPRIM_400000_NS6detail17trampoline_kernelINS0_14default_configENS1_27scan_by_key_config_selectorIxxEEZZNS1_16scan_by_key_implILNS1_25lookback_scan_determinismE0ELb1ES3_N6thrust23THRUST_200600_302600_NS6detail15normal_iteratorINS9_10device_ptrIxEEEESE_SE_xNS9_4plusIvEENS9_8equal_toIvEExEE10hipError_tPvRmT2_T3_T4_T5_mT6_T7_P12ihipStream_tbENKUlT_T0_E_clISt17integral_constantIbLb1EESY_IbLb0EEEEDaSU_SV_EUlSU_E_NS1_11comp_targetILNS1_3genE8ELNS1_11target_archE1030ELNS1_3gpuE2ELNS1_3repE0EEENS1_30default_config_static_selectorELNS0_4arch9wavefront6targetE0EEEvT1_,comdat
	.protected	_ZN7rocprim17ROCPRIM_400000_NS6detail17trampoline_kernelINS0_14default_configENS1_27scan_by_key_config_selectorIxxEEZZNS1_16scan_by_key_implILNS1_25lookback_scan_determinismE0ELb1ES3_N6thrust23THRUST_200600_302600_NS6detail15normal_iteratorINS9_10device_ptrIxEEEESE_SE_xNS9_4plusIvEENS9_8equal_toIvEExEE10hipError_tPvRmT2_T3_T4_T5_mT6_T7_P12ihipStream_tbENKUlT_T0_E_clISt17integral_constantIbLb1EESY_IbLb0EEEEDaSU_SV_EUlSU_E_NS1_11comp_targetILNS1_3genE8ELNS1_11target_archE1030ELNS1_3gpuE2ELNS1_3repE0EEENS1_30default_config_static_selectorELNS0_4arch9wavefront6targetE0EEEvT1_ ; -- Begin function _ZN7rocprim17ROCPRIM_400000_NS6detail17trampoline_kernelINS0_14default_configENS1_27scan_by_key_config_selectorIxxEEZZNS1_16scan_by_key_implILNS1_25lookback_scan_determinismE0ELb1ES3_N6thrust23THRUST_200600_302600_NS6detail15normal_iteratorINS9_10device_ptrIxEEEESE_SE_xNS9_4plusIvEENS9_8equal_toIvEExEE10hipError_tPvRmT2_T3_T4_T5_mT6_T7_P12ihipStream_tbENKUlT_T0_E_clISt17integral_constantIbLb1EESY_IbLb0EEEEDaSU_SV_EUlSU_E_NS1_11comp_targetILNS1_3genE8ELNS1_11target_archE1030ELNS1_3gpuE2ELNS1_3repE0EEENS1_30default_config_static_selectorELNS0_4arch9wavefront6targetE0EEEvT1_
	.globl	_ZN7rocprim17ROCPRIM_400000_NS6detail17trampoline_kernelINS0_14default_configENS1_27scan_by_key_config_selectorIxxEEZZNS1_16scan_by_key_implILNS1_25lookback_scan_determinismE0ELb1ES3_N6thrust23THRUST_200600_302600_NS6detail15normal_iteratorINS9_10device_ptrIxEEEESE_SE_xNS9_4plusIvEENS9_8equal_toIvEExEE10hipError_tPvRmT2_T3_T4_T5_mT6_T7_P12ihipStream_tbENKUlT_T0_E_clISt17integral_constantIbLb1EESY_IbLb0EEEEDaSU_SV_EUlSU_E_NS1_11comp_targetILNS1_3genE8ELNS1_11target_archE1030ELNS1_3gpuE2ELNS1_3repE0EEENS1_30default_config_static_selectorELNS0_4arch9wavefront6targetE0EEEvT1_
	.p2align	8
	.type	_ZN7rocprim17ROCPRIM_400000_NS6detail17trampoline_kernelINS0_14default_configENS1_27scan_by_key_config_selectorIxxEEZZNS1_16scan_by_key_implILNS1_25lookback_scan_determinismE0ELb1ES3_N6thrust23THRUST_200600_302600_NS6detail15normal_iteratorINS9_10device_ptrIxEEEESE_SE_xNS9_4plusIvEENS9_8equal_toIvEExEE10hipError_tPvRmT2_T3_T4_T5_mT6_T7_P12ihipStream_tbENKUlT_T0_E_clISt17integral_constantIbLb1EESY_IbLb0EEEEDaSU_SV_EUlSU_E_NS1_11comp_targetILNS1_3genE8ELNS1_11target_archE1030ELNS1_3gpuE2ELNS1_3repE0EEENS1_30default_config_static_selectorELNS0_4arch9wavefront6targetE0EEEvT1_,@function
_ZN7rocprim17ROCPRIM_400000_NS6detail17trampoline_kernelINS0_14default_configENS1_27scan_by_key_config_selectorIxxEEZZNS1_16scan_by_key_implILNS1_25lookback_scan_determinismE0ELb1ES3_N6thrust23THRUST_200600_302600_NS6detail15normal_iteratorINS9_10device_ptrIxEEEESE_SE_xNS9_4plusIvEENS9_8equal_toIvEExEE10hipError_tPvRmT2_T3_T4_T5_mT6_T7_P12ihipStream_tbENKUlT_T0_E_clISt17integral_constantIbLb1EESY_IbLb0EEEEDaSU_SV_EUlSU_E_NS1_11comp_targetILNS1_3genE8ELNS1_11target_archE1030ELNS1_3gpuE2ELNS1_3repE0EEENS1_30default_config_static_selectorELNS0_4arch9wavefront6targetE0EEEvT1_: ; @_ZN7rocprim17ROCPRIM_400000_NS6detail17trampoline_kernelINS0_14default_configENS1_27scan_by_key_config_selectorIxxEEZZNS1_16scan_by_key_implILNS1_25lookback_scan_determinismE0ELb1ES3_N6thrust23THRUST_200600_302600_NS6detail15normal_iteratorINS9_10device_ptrIxEEEESE_SE_xNS9_4plusIvEENS9_8equal_toIvEExEE10hipError_tPvRmT2_T3_T4_T5_mT6_T7_P12ihipStream_tbENKUlT_T0_E_clISt17integral_constantIbLb1EESY_IbLb0EEEEDaSU_SV_EUlSU_E_NS1_11comp_targetILNS1_3genE8ELNS1_11target_archE1030ELNS1_3gpuE2ELNS1_3repE0EEENS1_30default_config_static_selectorELNS0_4arch9wavefront6targetE0EEEvT1_
; %bb.0:
	.section	.rodata,"a",@progbits
	.p2align	6, 0x0
	.amdhsa_kernel _ZN7rocprim17ROCPRIM_400000_NS6detail17trampoline_kernelINS0_14default_configENS1_27scan_by_key_config_selectorIxxEEZZNS1_16scan_by_key_implILNS1_25lookback_scan_determinismE0ELb1ES3_N6thrust23THRUST_200600_302600_NS6detail15normal_iteratorINS9_10device_ptrIxEEEESE_SE_xNS9_4plusIvEENS9_8equal_toIvEExEE10hipError_tPvRmT2_T3_T4_T5_mT6_T7_P12ihipStream_tbENKUlT_T0_E_clISt17integral_constantIbLb1EESY_IbLb0EEEEDaSU_SV_EUlSU_E_NS1_11comp_targetILNS1_3genE8ELNS1_11target_archE1030ELNS1_3gpuE2ELNS1_3repE0EEENS1_30default_config_static_selectorELNS0_4arch9wavefront6targetE0EEEvT1_
		.amdhsa_group_segment_fixed_size 0
		.amdhsa_private_segment_fixed_size 0
		.amdhsa_kernarg_size 136
		.amdhsa_user_sgpr_count 2
		.amdhsa_user_sgpr_dispatch_ptr 0
		.amdhsa_user_sgpr_queue_ptr 0
		.amdhsa_user_sgpr_kernarg_segment_ptr 1
		.amdhsa_user_sgpr_dispatch_id 0
		.amdhsa_user_sgpr_kernarg_preload_length 0
		.amdhsa_user_sgpr_kernarg_preload_offset 0
		.amdhsa_user_sgpr_private_segment_size 0
		.amdhsa_wavefront_size32 1
		.amdhsa_uses_dynamic_stack 0
		.amdhsa_enable_private_segment 0
		.amdhsa_system_sgpr_workgroup_id_x 1
		.amdhsa_system_sgpr_workgroup_id_y 0
		.amdhsa_system_sgpr_workgroup_id_z 0
		.amdhsa_system_sgpr_workgroup_info 0
		.amdhsa_system_vgpr_workitem_id 0
		.amdhsa_next_free_vgpr 1
		.amdhsa_next_free_sgpr 1
		.amdhsa_named_barrier_count 0
		.amdhsa_reserve_vcc 0
		.amdhsa_float_round_mode_32 0
		.amdhsa_float_round_mode_16_64 0
		.amdhsa_float_denorm_mode_32 3
		.amdhsa_float_denorm_mode_16_64 3
		.amdhsa_fp16_overflow 0
		.amdhsa_memory_ordered 1
		.amdhsa_forward_progress 1
		.amdhsa_inst_pref_size 0
		.amdhsa_round_robin_scheduling 0
		.amdhsa_exception_fp_ieee_invalid_op 0
		.amdhsa_exception_fp_denorm_src 0
		.amdhsa_exception_fp_ieee_div_zero 0
		.amdhsa_exception_fp_ieee_overflow 0
		.amdhsa_exception_fp_ieee_underflow 0
		.amdhsa_exception_fp_ieee_inexact 0
		.amdhsa_exception_int_div_zero 0
	.end_amdhsa_kernel
	.section	.text._ZN7rocprim17ROCPRIM_400000_NS6detail17trampoline_kernelINS0_14default_configENS1_27scan_by_key_config_selectorIxxEEZZNS1_16scan_by_key_implILNS1_25lookback_scan_determinismE0ELb1ES3_N6thrust23THRUST_200600_302600_NS6detail15normal_iteratorINS9_10device_ptrIxEEEESE_SE_xNS9_4plusIvEENS9_8equal_toIvEExEE10hipError_tPvRmT2_T3_T4_T5_mT6_T7_P12ihipStream_tbENKUlT_T0_E_clISt17integral_constantIbLb1EESY_IbLb0EEEEDaSU_SV_EUlSU_E_NS1_11comp_targetILNS1_3genE8ELNS1_11target_archE1030ELNS1_3gpuE2ELNS1_3repE0EEENS1_30default_config_static_selectorELNS0_4arch9wavefront6targetE0EEEvT1_,"axG",@progbits,_ZN7rocprim17ROCPRIM_400000_NS6detail17trampoline_kernelINS0_14default_configENS1_27scan_by_key_config_selectorIxxEEZZNS1_16scan_by_key_implILNS1_25lookback_scan_determinismE0ELb1ES3_N6thrust23THRUST_200600_302600_NS6detail15normal_iteratorINS9_10device_ptrIxEEEESE_SE_xNS9_4plusIvEENS9_8equal_toIvEExEE10hipError_tPvRmT2_T3_T4_T5_mT6_T7_P12ihipStream_tbENKUlT_T0_E_clISt17integral_constantIbLb1EESY_IbLb0EEEEDaSU_SV_EUlSU_E_NS1_11comp_targetILNS1_3genE8ELNS1_11target_archE1030ELNS1_3gpuE2ELNS1_3repE0EEENS1_30default_config_static_selectorELNS0_4arch9wavefront6targetE0EEEvT1_,comdat
.Lfunc_end379:
	.size	_ZN7rocprim17ROCPRIM_400000_NS6detail17trampoline_kernelINS0_14default_configENS1_27scan_by_key_config_selectorIxxEEZZNS1_16scan_by_key_implILNS1_25lookback_scan_determinismE0ELb1ES3_N6thrust23THRUST_200600_302600_NS6detail15normal_iteratorINS9_10device_ptrIxEEEESE_SE_xNS9_4plusIvEENS9_8equal_toIvEExEE10hipError_tPvRmT2_T3_T4_T5_mT6_T7_P12ihipStream_tbENKUlT_T0_E_clISt17integral_constantIbLb1EESY_IbLb0EEEEDaSU_SV_EUlSU_E_NS1_11comp_targetILNS1_3genE8ELNS1_11target_archE1030ELNS1_3gpuE2ELNS1_3repE0EEENS1_30default_config_static_selectorELNS0_4arch9wavefront6targetE0EEEvT1_, .Lfunc_end379-_ZN7rocprim17ROCPRIM_400000_NS6detail17trampoline_kernelINS0_14default_configENS1_27scan_by_key_config_selectorIxxEEZZNS1_16scan_by_key_implILNS1_25lookback_scan_determinismE0ELb1ES3_N6thrust23THRUST_200600_302600_NS6detail15normal_iteratorINS9_10device_ptrIxEEEESE_SE_xNS9_4plusIvEENS9_8equal_toIvEExEE10hipError_tPvRmT2_T3_T4_T5_mT6_T7_P12ihipStream_tbENKUlT_T0_E_clISt17integral_constantIbLb1EESY_IbLb0EEEEDaSU_SV_EUlSU_E_NS1_11comp_targetILNS1_3genE8ELNS1_11target_archE1030ELNS1_3gpuE2ELNS1_3repE0EEENS1_30default_config_static_selectorELNS0_4arch9wavefront6targetE0EEEvT1_
                                        ; -- End function
	.set _ZN7rocprim17ROCPRIM_400000_NS6detail17trampoline_kernelINS0_14default_configENS1_27scan_by_key_config_selectorIxxEEZZNS1_16scan_by_key_implILNS1_25lookback_scan_determinismE0ELb1ES3_N6thrust23THRUST_200600_302600_NS6detail15normal_iteratorINS9_10device_ptrIxEEEESE_SE_xNS9_4plusIvEENS9_8equal_toIvEExEE10hipError_tPvRmT2_T3_T4_T5_mT6_T7_P12ihipStream_tbENKUlT_T0_E_clISt17integral_constantIbLb1EESY_IbLb0EEEEDaSU_SV_EUlSU_E_NS1_11comp_targetILNS1_3genE8ELNS1_11target_archE1030ELNS1_3gpuE2ELNS1_3repE0EEENS1_30default_config_static_selectorELNS0_4arch9wavefront6targetE0EEEvT1_.num_vgpr, 0
	.set _ZN7rocprim17ROCPRIM_400000_NS6detail17trampoline_kernelINS0_14default_configENS1_27scan_by_key_config_selectorIxxEEZZNS1_16scan_by_key_implILNS1_25lookback_scan_determinismE0ELb1ES3_N6thrust23THRUST_200600_302600_NS6detail15normal_iteratorINS9_10device_ptrIxEEEESE_SE_xNS9_4plusIvEENS9_8equal_toIvEExEE10hipError_tPvRmT2_T3_T4_T5_mT6_T7_P12ihipStream_tbENKUlT_T0_E_clISt17integral_constantIbLb1EESY_IbLb0EEEEDaSU_SV_EUlSU_E_NS1_11comp_targetILNS1_3genE8ELNS1_11target_archE1030ELNS1_3gpuE2ELNS1_3repE0EEENS1_30default_config_static_selectorELNS0_4arch9wavefront6targetE0EEEvT1_.num_agpr, 0
	.set _ZN7rocprim17ROCPRIM_400000_NS6detail17trampoline_kernelINS0_14default_configENS1_27scan_by_key_config_selectorIxxEEZZNS1_16scan_by_key_implILNS1_25lookback_scan_determinismE0ELb1ES3_N6thrust23THRUST_200600_302600_NS6detail15normal_iteratorINS9_10device_ptrIxEEEESE_SE_xNS9_4plusIvEENS9_8equal_toIvEExEE10hipError_tPvRmT2_T3_T4_T5_mT6_T7_P12ihipStream_tbENKUlT_T0_E_clISt17integral_constantIbLb1EESY_IbLb0EEEEDaSU_SV_EUlSU_E_NS1_11comp_targetILNS1_3genE8ELNS1_11target_archE1030ELNS1_3gpuE2ELNS1_3repE0EEENS1_30default_config_static_selectorELNS0_4arch9wavefront6targetE0EEEvT1_.numbered_sgpr, 0
	.set _ZN7rocprim17ROCPRIM_400000_NS6detail17trampoline_kernelINS0_14default_configENS1_27scan_by_key_config_selectorIxxEEZZNS1_16scan_by_key_implILNS1_25lookback_scan_determinismE0ELb1ES3_N6thrust23THRUST_200600_302600_NS6detail15normal_iteratorINS9_10device_ptrIxEEEESE_SE_xNS9_4plusIvEENS9_8equal_toIvEExEE10hipError_tPvRmT2_T3_T4_T5_mT6_T7_P12ihipStream_tbENKUlT_T0_E_clISt17integral_constantIbLb1EESY_IbLb0EEEEDaSU_SV_EUlSU_E_NS1_11comp_targetILNS1_3genE8ELNS1_11target_archE1030ELNS1_3gpuE2ELNS1_3repE0EEENS1_30default_config_static_selectorELNS0_4arch9wavefront6targetE0EEEvT1_.num_named_barrier, 0
	.set _ZN7rocprim17ROCPRIM_400000_NS6detail17trampoline_kernelINS0_14default_configENS1_27scan_by_key_config_selectorIxxEEZZNS1_16scan_by_key_implILNS1_25lookback_scan_determinismE0ELb1ES3_N6thrust23THRUST_200600_302600_NS6detail15normal_iteratorINS9_10device_ptrIxEEEESE_SE_xNS9_4plusIvEENS9_8equal_toIvEExEE10hipError_tPvRmT2_T3_T4_T5_mT6_T7_P12ihipStream_tbENKUlT_T0_E_clISt17integral_constantIbLb1EESY_IbLb0EEEEDaSU_SV_EUlSU_E_NS1_11comp_targetILNS1_3genE8ELNS1_11target_archE1030ELNS1_3gpuE2ELNS1_3repE0EEENS1_30default_config_static_selectorELNS0_4arch9wavefront6targetE0EEEvT1_.private_seg_size, 0
	.set _ZN7rocprim17ROCPRIM_400000_NS6detail17trampoline_kernelINS0_14default_configENS1_27scan_by_key_config_selectorIxxEEZZNS1_16scan_by_key_implILNS1_25lookback_scan_determinismE0ELb1ES3_N6thrust23THRUST_200600_302600_NS6detail15normal_iteratorINS9_10device_ptrIxEEEESE_SE_xNS9_4plusIvEENS9_8equal_toIvEExEE10hipError_tPvRmT2_T3_T4_T5_mT6_T7_P12ihipStream_tbENKUlT_T0_E_clISt17integral_constantIbLb1EESY_IbLb0EEEEDaSU_SV_EUlSU_E_NS1_11comp_targetILNS1_3genE8ELNS1_11target_archE1030ELNS1_3gpuE2ELNS1_3repE0EEENS1_30default_config_static_selectorELNS0_4arch9wavefront6targetE0EEEvT1_.uses_vcc, 0
	.set _ZN7rocprim17ROCPRIM_400000_NS6detail17trampoline_kernelINS0_14default_configENS1_27scan_by_key_config_selectorIxxEEZZNS1_16scan_by_key_implILNS1_25lookback_scan_determinismE0ELb1ES3_N6thrust23THRUST_200600_302600_NS6detail15normal_iteratorINS9_10device_ptrIxEEEESE_SE_xNS9_4plusIvEENS9_8equal_toIvEExEE10hipError_tPvRmT2_T3_T4_T5_mT6_T7_P12ihipStream_tbENKUlT_T0_E_clISt17integral_constantIbLb1EESY_IbLb0EEEEDaSU_SV_EUlSU_E_NS1_11comp_targetILNS1_3genE8ELNS1_11target_archE1030ELNS1_3gpuE2ELNS1_3repE0EEENS1_30default_config_static_selectorELNS0_4arch9wavefront6targetE0EEEvT1_.uses_flat_scratch, 0
	.set _ZN7rocprim17ROCPRIM_400000_NS6detail17trampoline_kernelINS0_14default_configENS1_27scan_by_key_config_selectorIxxEEZZNS1_16scan_by_key_implILNS1_25lookback_scan_determinismE0ELb1ES3_N6thrust23THRUST_200600_302600_NS6detail15normal_iteratorINS9_10device_ptrIxEEEESE_SE_xNS9_4plusIvEENS9_8equal_toIvEExEE10hipError_tPvRmT2_T3_T4_T5_mT6_T7_P12ihipStream_tbENKUlT_T0_E_clISt17integral_constantIbLb1EESY_IbLb0EEEEDaSU_SV_EUlSU_E_NS1_11comp_targetILNS1_3genE8ELNS1_11target_archE1030ELNS1_3gpuE2ELNS1_3repE0EEENS1_30default_config_static_selectorELNS0_4arch9wavefront6targetE0EEEvT1_.has_dyn_sized_stack, 0
	.set _ZN7rocprim17ROCPRIM_400000_NS6detail17trampoline_kernelINS0_14default_configENS1_27scan_by_key_config_selectorIxxEEZZNS1_16scan_by_key_implILNS1_25lookback_scan_determinismE0ELb1ES3_N6thrust23THRUST_200600_302600_NS6detail15normal_iteratorINS9_10device_ptrIxEEEESE_SE_xNS9_4plusIvEENS9_8equal_toIvEExEE10hipError_tPvRmT2_T3_T4_T5_mT6_T7_P12ihipStream_tbENKUlT_T0_E_clISt17integral_constantIbLb1EESY_IbLb0EEEEDaSU_SV_EUlSU_E_NS1_11comp_targetILNS1_3genE8ELNS1_11target_archE1030ELNS1_3gpuE2ELNS1_3repE0EEENS1_30default_config_static_selectorELNS0_4arch9wavefront6targetE0EEEvT1_.has_recursion, 0
	.set _ZN7rocprim17ROCPRIM_400000_NS6detail17trampoline_kernelINS0_14default_configENS1_27scan_by_key_config_selectorIxxEEZZNS1_16scan_by_key_implILNS1_25lookback_scan_determinismE0ELb1ES3_N6thrust23THRUST_200600_302600_NS6detail15normal_iteratorINS9_10device_ptrIxEEEESE_SE_xNS9_4plusIvEENS9_8equal_toIvEExEE10hipError_tPvRmT2_T3_T4_T5_mT6_T7_P12ihipStream_tbENKUlT_T0_E_clISt17integral_constantIbLb1EESY_IbLb0EEEEDaSU_SV_EUlSU_E_NS1_11comp_targetILNS1_3genE8ELNS1_11target_archE1030ELNS1_3gpuE2ELNS1_3repE0EEENS1_30default_config_static_selectorELNS0_4arch9wavefront6targetE0EEEvT1_.has_indirect_call, 0
	.section	.AMDGPU.csdata,"",@progbits
; Kernel info:
; codeLenInByte = 0
; TotalNumSgprs: 0
; NumVgprs: 0
; ScratchSize: 0
; MemoryBound: 0
; FloatMode: 240
; IeeeMode: 1
; LDSByteSize: 0 bytes/workgroup (compile time only)
; SGPRBlocks: 0
; VGPRBlocks: 0
; NumSGPRsForWavesPerEU: 1
; NumVGPRsForWavesPerEU: 1
; NamedBarCnt: 0
; Occupancy: 16
; WaveLimiterHint : 0
; COMPUTE_PGM_RSRC2:SCRATCH_EN: 0
; COMPUTE_PGM_RSRC2:USER_SGPR: 2
; COMPUTE_PGM_RSRC2:TRAP_HANDLER: 0
; COMPUTE_PGM_RSRC2:TGID_X_EN: 1
; COMPUTE_PGM_RSRC2:TGID_Y_EN: 0
; COMPUTE_PGM_RSRC2:TGID_Z_EN: 0
; COMPUTE_PGM_RSRC2:TIDIG_COMP_CNT: 0
	.section	.text._ZN7rocprim17ROCPRIM_400000_NS6detail17trampoline_kernelINS0_14default_configENS1_27scan_by_key_config_selectorIxxEEZZNS1_16scan_by_key_implILNS1_25lookback_scan_determinismE0ELb1ES3_N6thrust23THRUST_200600_302600_NS6detail15normal_iteratorINS9_10device_ptrIxEEEESE_SE_xNS9_4plusIvEENS9_8equal_toIvEExEE10hipError_tPvRmT2_T3_T4_T5_mT6_T7_P12ihipStream_tbENKUlT_T0_E_clISt17integral_constantIbLb0EESY_IbLb1EEEEDaSU_SV_EUlSU_E_NS1_11comp_targetILNS1_3genE0ELNS1_11target_archE4294967295ELNS1_3gpuE0ELNS1_3repE0EEENS1_30default_config_static_selectorELNS0_4arch9wavefront6targetE0EEEvT1_,"axG",@progbits,_ZN7rocprim17ROCPRIM_400000_NS6detail17trampoline_kernelINS0_14default_configENS1_27scan_by_key_config_selectorIxxEEZZNS1_16scan_by_key_implILNS1_25lookback_scan_determinismE0ELb1ES3_N6thrust23THRUST_200600_302600_NS6detail15normal_iteratorINS9_10device_ptrIxEEEESE_SE_xNS9_4plusIvEENS9_8equal_toIvEExEE10hipError_tPvRmT2_T3_T4_T5_mT6_T7_P12ihipStream_tbENKUlT_T0_E_clISt17integral_constantIbLb0EESY_IbLb1EEEEDaSU_SV_EUlSU_E_NS1_11comp_targetILNS1_3genE0ELNS1_11target_archE4294967295ELNS1_3gpuE0ELNS1_3repE0EEENS1_30default_config_static_selectorELNS0_4arch9wavefront6targetE0EEEvT1_,comdat
	.protected	_ZN7rocprim17ROCPRIM_400000_NS6detail17trampoline_kernelINS0_14default_configENS1_27scan_by_key_config_selectorIxxEEZZNS1_16scan_by_key_implILNS1_25lookback_scan_determinismE0ELb1ES3_N6thrust23THRUST_200600_302600_NS6detail15normal_iteratorINS9_10device_ptrIxEEEESE_SE_xNS9_4plusIvEENS9_8equal_toIvEExEE10hipError_tPvRmT2_T3_T4_T5_mT6_T7_P12ihipStream_tbENKUlT_T0_E_clISt17integral_constantIbLb0EESY_IbLb1EEEEDaSU_SV_EUlSU_E_NS1_11comp_targetILNS1_3genE0ELNS1_11target_archE4294967295ELNS1_3gpuE0ELNS1_3repE0EEENS1_30default_config_static_selectorELNS0_4arch9wavefront6targetE0EEEvT1_ ; -- Begin function _ZN7rocprim17ROCPRIM_400000_NS6detail17trampoline_kernelINS0_14default_configENS1_27scan_by_key_config_selectorIxxEEZZNS1_16scan_by_key_implILNS1_25lookback_scan_determinismE0ELb1ES3_N6thrust23THRUST_200600_302600_NS6detail15normal_iteratorINS9_10device_ptrIxEEEESE_SE_xNS9_4plusIvEENS9_8equal_toIvEExEE10hipError_tPvRmT2_T3_T4_T5_mT6_T7_P12ihipStream_tbENKUlT_T0_E_clISt17integral_constantIbLb0EESY_IbLb1EEEEDaSU_SV_EUlSU_E_NS1_11comp_targetILNS1_3genE0ELNS1_11target_archE4294967295ELNS1_3gpuE0ELNS1_3repE0EEENS1_30default_config_static_selectorELNS0_4arch9wavefront6targetE0EEEvT1_
	.globl	_ZN7rocprim17ROCPRIM_400000_NS6detail17trampoline_kernelINS0_14default_configENS1_27scan_by_key_config_selectorIxxEEZZNS1_16scan_by_key_implILNS1_25lookback_scan_determinismE0ELb1ES3_N6thrust23THRUST_200600_302600_NS6detail15normal_iteratorINS9_10device_ptrIxEEEESE_SE_xNS9_4plusIvEENS9_8equal_toIvEExEE10hipError_tPvRmT2_T3_T4_T5_mT6_T7_P12ihipStream_tbENKUlT_T0_E_clISt17integral_constantIbLb0EESY_IbLb1EEEEDaSU_SV_EUlSU_E_NS1_11comp_targetILNS1_3genE0ELNS1_11target_archE4294967295ELNS1_3gpuE0ELNS1_3repE0EEENS1_30default_config_static_selectorELNS0_4arch9wavefront6targetE0EEEvT1_
	.p2align	8
	.type	_ZN7rocprim17ROCPRIM_400000_NS6detail17trampoline_kernelINS0_14default_configENS1_27scan_by_key_config_selectorIxxEEZZNS1_16scan_by_key_implILNS1_25lookback_scan_determinismE0ELb1ES3_N6thrust23THRUST_200600_302600_NS6detail15normal_iteratorINS9_10device_ptrIxEEEESE_SE_xNS9_4plusIvEENS9_8equal_toIvEExEE10hipError_tPvRmT2_T3_T4_T5_mT6_T7_P12ihipStream_tbENKUlT_T0_E_clISt17integral_constantIbLb0EESY_IbLb1EEEEDaSU_SV_EUlSU_E_NS1_11comp_targetILNS1_3genE0ELNS1_11target_archE4294967295ELNS1_3gpuE0ELNS1_3repE0EEENS1_30default_config_static_selectorELNS0_4arch9wavefront6targetE0EEEvT1_,@function
_ZN7rocprim17ROCPRIM_400000_NS6detail17trampoline_kernelINS0_14default_configENS1_27scan_by_key_config_selectorIxxEEZZNS1_16scan_by_key_implILNS1_25lookback_scan_determinismE0ELb1ES3_N6thrust23THRUST_200600_302600_NS6detail15normal_iteratorINS9_10device_ptrIxEEEESE_SE_xNS9_4plusIvEENS9_8equal_toIvEExEE10hipError_tPvRmT2_T3_T4_T5_mT6_T7_P12ihipStream_tbENKUlT_T0_E_clISt17integral_constantIbLb0EESY_IbLb1EEEEDaSU_SV_EUlSU_E_NS1_11comp_targetILNS1_3genE0ELNS1_11target_archE4294967295ELNS1_3gpuE0ELNS1_3repE0EEENS1_30default_config_static_selectorELNS0_4arch9wavefront6targetE0EEEvT1_: ; @_ZN7rocprim17ROCPRIM_400000_NS6detail17trampoline_kernelINS0_14default_configENS1_27scan_by_key_config_selectorIxxEEZZNS1_16scan_by_key_implILNS1_25lookback_scan_determinismE0ELb1ES3_N6thrust23THRUST_200600_302600_NS6detail15normal_iteratorINS9_10device_ptrIxEEEESE_SE_xNS9_4plusIvEENS9_8equal_toIvEExEE10hipError_tPvRmT2_T3_T4_T5_mT6_T7_P12ihipStream_tbENKUlT_T0_E_clISt17integral_constantIbLb0EESY_IbLb1EEEEDaSU_SV_EUlSU_E_NS1_11comp_targetILNS1_3genE0ELNS1_11target_archE4294967295ELNS1_3gpuE0ELNS1_3repE0EEENS1_30default_config_static_selectorELNS0_4arch9wavefront6targetE0EEEvT1_
; %bb.0:
	s_clause 0x3
	s_load_b256 s[20:27], s[0:1], 0x0
	s_load_b64 s[44:45], s[0:1], 0x20
	s_load_b256 s[36:43], s[0:1], 0x30
	s_load_b64 s[46:47], s[0:1], 0x50
	v_cmp_ne_u32_e64 s3, 0, v0
	v_cmp_eq_u32_e64 s2, 0, v0
	s_and_saveexec_b32 s4, s2
	s_cbranch_execz .LBB380_4
; %bb.1:
	s_mov_b32 s6, exec_lo
	s_mov_b32 s5, exec_lo
	v_mbcnt_lo_u32_b32 v1, s6, 0
                                        ; implicit-def: $vgpr2
	s_delay_alu instid0(VALU_DEP_1)
	v_cmpx_eq_u32_e32 0, v1
	s_cbranch_execz .LBB380_3
; %bb.2:
	s_load_b64 s[8:9], s[0:1], 0x80
	s_bcnt1_i32_b32 s6, s6
	s_delay_alu instid0(SALU_CYCLE_1)
	v_dual_mov_b32 v2, 0 :: v_dual_mov_b32 v3, s6
	s_wait_xcnt 0x0
	s_wait_kmcnt 0x0
	global_atomic_add_u32 v2, v2, v3, s[8:9] th:TH_ATOMIC_RETURN scope:SCOPE_DEV
.LBB380_3:
	s_wait_xcnt 0x0
	s_or_b32 exec_lo, exec_lo, s5
	s_wait_loadcnt 0x0
	v_readfirstlane_b32 s5, v2
	s_delay_alu instid0(VALU_DEP_1)
	v_dual_mov_b32 v2, 0 :: v_dual_add_nc_u32 v1, s5, v1
	ds_store_b32 v2, v1
.LBB380_4:
	s_or_b32 exec_lo, exec_lo, s4
	v_mov_b32_e32 v3, 0
	s_clause 0x1
	s_load_b32 s4, s[0:1], 0x58
	s_load_b128 s[28:31], s[0:1], 0x60
	s_wait_dscnt 0x0
	s_barrier_signal -1
	s_barrier_wait -1
	ds_load_b32 v2, v3
	s_mov_b32 s5, 0
	s_wait_kmcnt 0x0
	s_lshl_b64 s[34:35], s[22:23], 3
	s_wait_dscnt 0x0
	s_add_nc_u64 s[6:7], s[20:21], s[34:35]
	s_add_nc_u64 s[8:9], s[24:25], s[34:35]
	s_barrier_signal -1
	s_barrier_wait -1
	s_barrier_signal -1
	s_barrier_wait -1
	s_mul_u64 s[0:1], s[46:47], s[4:5]
	s_add_nc_u64 s[10:11], s[28:29], -1
	s_delay_alu instid0(SALU_CYCLE_1)
	s_mul_i32 s33, s10, 0xfffff200
	v_add_nc_u64_e32 v[4:5], s[0:1], v[2:3]
	v_readfirstlane_b32 s43, v2
	s_mul_i32 s4, s43, 0xe00
	v_cmp_le_u64_e64 s0, s[10:11], v[4:5]
	s_lshl_b64 s[28:29], s[4:5], 3
	s_delay_alu instid0(SALU_CYCLE_1)
	s_add_nc_u64 s[20:21], s[6:7], s[28:29]
	s_add_nc_u64 s[18:19], s[8:9], s[28:29]
	s_and_b32 vcc_lo, exec_lo, s0
	s_cbranch_vccz .LBB380_80
; %bb.5:
	flat_load_b64 v[2:3], v3, s[20:21]
	s_add_co_i32 s25, s33, s42
	s_delay_alu instid0(SALU_CYCLE_1)
	v_cmp_gt_u32_e32 vcc_lo, s25, v0
	s_wait_loadcnt_dscnt 0x0
	v_mov_b64_e32 v[4:5], v[2:3]
	s_and_saveexec_b32 s1, vcc_lo
	s_cbranch_execz .LBB380_7
; %bb.6:
	flat_load_b64 v[4:5], v0, s[20:21] scale_offset
.LBB380_7:
	s_wait_xcnt 0x0
	s_or_b32 exec_lo, exec_lo, s1
	v_or_b32_e32 v1, 0x100, v0
	v_mov_b64_e32 v[6:7], v[2:3]
	s_delay_alu instid0(VALU_DEP_2)
	v_cmp_gt_u32_e64 s1, s25, v1
	s_and_saveexec_b32 s4, s1
	s_cbranch_execz .LBB380_9
; %bb.8:
	flat_load_b64 v[6:7], v0, s[20:21] offset:2048 scale_offset
.LBB380_9:
	s_wait_xcnt 0x0
	s_or_b32 exec_lo, exec_lo, s4
	v_or_b32_e32 v1, 0x200, v0
	v_mov_b64_e32 v[8:9], v[2:3]
	s_delay_alu instid0(VALU_DEP_2)
	v_cmp_gt_u32_e64 s4, s25, v1
	s_and_saveexec_b32 s5, s4
	s_cbranch_execz .LBB380_11
; %bb.10:
	flat_load_b64 v[8:9], v0, s[20:21] offset:4096 scale_offset
.LBB380_11:
	;; [unrolled: 11-line block ×12, first 2 shown]
	s_wait_xcnt 0x0
	s_or_b32 exec_lo, exec_lo, s15
	v_or_b32_e32 v1, 0xd00, v0
	s_delay_alu instid0(VALU_DEP_1) | instskip(SKIP_2) | instid1(SALU_CYCLE_1)
	v_cmp_gt_u32_e64 s15, s25, v1
	v_cmp_le_u32_e64 s16, s25, v1
	s_and_saveexec_b32 s17, s16
	s_xor_b32 s16, exec_lo, s17
	s_delay_alu instid0(SALU_CYCLE_1)
	s_and_not1_saveexec_b32 s16, s16
	s_cbranch_execz .LBB380_33
; %bb.32:
	flat_load_b64 v[2:3], v0, s[20:21] offset:26624 scale_offset
.LBB380_33:
	s_wait_xcnt 0x0
	s_or_b32 exec_lo, exec_lo, s16
	v_lshlrev_b32_e32 v1, 3, v0
	s_mov_b32 s17, exec_lo
	s_wait_loadcnt_dscnt 0x0
	ds_store_2addr_stride64_b64 v1, v[4:5], v[6:7] offset1:4
	ds_store_2addr_stride64_b64 v1, v[8:9], v[10:11] offset0:8 offset1:12
	ds_store_2addr_stride64_b64 v1, v[12:13], v[14:15] offset0:16 offset1:20
	;; [unrolled: 1-line block ×6, first 2 shown]
	v_mov_b32_e32 v2, 0
	s_wait_dscnt 0x0
	s_barrier_signal -1
	s_barrier_wait -1
	flat_load_b64 v[56:57], v2, s[20:21]
	v_mad_u32_u24 v104, 0x68, v0, v1
	ds_load_b128 v[26:29], v104
	ds_load_b128 v[22:25], v104 offset:16
	ds_load_b128 v[18:21], v104 offset:32
	;; [unrolled: 1-line block ×5, first 2 shown]
	s_wait_xcnt 0x0
	ds_load_b128 v[2:5], v104 offset:96
	v_mad_i32_i24 v30, 0xffffff98, v0, v104
	s_wait_dscnt 0x6
	ds_store_b64 v30, v[26:27] offset:30720
	s_wait_loadcnt_dscnt 0x0
	s_barrier_signal -1
	s_barrier_wait -1
	v_cmpx_ne_u32_e32 0xff, v0
; %bb.34:
	v_mul_i32_i24_e32 v30, 0xffffff98, v0
	s_delay_alu instid0(VALU_DEP_1)
	v_add_nc_u32_e32 v30, v104, v30
	ds_load_b64 v[56:57], v30 offset:30728
; %bb.35:
	s_or_b32 exec_lo, exec_lo, s17
	s_wait_dscnt 0x0
	s_barrier_signal -1
	s_barrier_wait -1
                                        ; implicit-def: $vgpr30_vgpr31
	s_and_saveexec_b32 s16, vcc_lo
	s_cbranch_execz .LBB380_138
; %bb.36:
	flat_load_b64 v[30:31], v0, s[18:19] scale_offset
	s_wait_xcnt 0x0
	s_or_b32 exec_lo, exec_lo, s16
                                        ; implicit-def: $vgpr32_vgpr33
	s_and_saveexec_b32 s16, s1
	s_cbranch_execnz .LBB380_139
.LBB380_37:
	s_or_b32 exec_lo, exec_lo, s16
                                        ; implicit-def: $vgpr34_vgpr35
	s_and_saveexec_b32 s1, s4
	s_cbranch_execz .LBB380_140
.LBB380_38:
	flat_load_b64 v[34:35], v0, s[18:19] offset:4096 scale_offset
	s_wait_xcnt 0x0
	s_or_b32 exec_lo, exec_lo, s1
                                        ; implicit-def: $vgpr36_vgpr37
	s_and_saveexec_b32 s1, s5
	s_cbranch_execnz .LBB380_141
.LBB380_39:
	s_or_b32 exec_lo, exec_lo, s1
                                        ; implicit-def: $vgpr38_vgpr39
	s_and_saveexec_b32 s1, s6
	s_cbranch_execz .LBB380_142
.LBB380_40:
	flat_load_b64 v[38:39], v0, s[18:19] offset:8192 scale_offset
	s_wait_xcnt 0x0
	s_or_b32 exec_lo, exec_lo, s1
                                        ; implicit-def: $vgpr40_vgpr41
	s_and_saveexec_b32 s1, s7
	s_cbranch_execnz .LBB380_143
.LBB380_41:
	s_or_b32 exec_lo, exec_lo, s1
                                        ; implicit-def: $vgpr42_vgpr43
	s_and_saveexec_b32 s1, s8
	s_cbranch_execz .LBB380_144
.LBB380_42:
	flat_load_b64 v[42:43], v0, s[18:19] offset:12288 scale_offset
	s_wait_xcnt 0x0
	s_or_b32 exec_lo, exec_lo, s1
                                        ; implicit-def: $vgpr44_vgpr45
	s_and_saveexec_b32 s1, s9
	s_cbranch_execnz .LBB380_145
.LBB380_43:
	s_or_b32 exec_lo, exec_lo, s1
                                        ; implicit-def: $vgpr46_vgpr47
	s_and_saveexec_b32 s1, s10
	s_cbranch_execz .LBB380_146
.LBB380_44:
	flat_load_b64 v[46:47], v0, s[18:19] offset:16384 scale_offset
	s_wait_xcnt 0x0
	s_or_b32 exec_lo, exec_lo, s1
                                        ; implicit-def: $vgpr48_vgpr49
	s_and_saveexec_b32 s1, s11
	s_cbranch_execnz .LBB380_147
.LBB380_45:
	s_or_b32 exec_lo, exec_lo, s1
                                        ; implicit-def: $vgpr50_vgpr51
	s_and_saveexec_b32 s1, s12
	s_cbranch_execz .LBB380_148
.LBB380_46:
	flat_load_b64 v[50:51], v0, s[18:19] offset:20480 scale_offset
	s_wait_xcnt 0x0
	s_or_b32 exec_lo, exec_lo, s1
                                        ; implicit-def: $vgpr52_vgpr53
	s_and_saveexec_b32 s1, s13
	s_cbranch_execnz .LBB380_149
.LBB380_47:
	s_or_b32 exec_lo, exec_lo, s1
                                        ; implicit-def: $vgpr54_vgpr55
	s_and_saveexec_b32 s1, s14
	s_cbranch_execz .LBB380_49
.LBB380_48:
	flat_load_b64 v[54:55], v0, s[18:19] offset:24576 scale_offset
.LBB380_49:
	s_wait_xcnt 0x0
	s_or_b32 exec_lo, exec_lo, s1
	v_mul_u32_u24_e32 v109, 14, v0
                                        ; implicit-def: $vgpr58_vgpr59
	s_and_saveexec_b32 s1, s15
	s_cbranch_execz .LBB380_51
; %bb.50:
	flat_load_b64 v[58:59], v0, s[18:19] offset:26624 scale_offset
.LBB380_51:
	s_wait_xcnt 0x0
	s_or_b32 exec_lo, exec_lo, s1
	s_wait_loadcnt_dscnt 0x0
	ds_store_2addr_stride64_b64 v1, v[30:31], v[32:33] offset1:4
	ds_store_2addr_stride64_b64 v1, v[34:35], v[36:37] offset0:8 offset1:12
	ds_store_2addr_stride64_b64 v1, v[38:39], v[40:41] offset0:16 offset1:20
	;; [unrolled: 1-line block ×6, first 2 shown]
	v_mov_b64_e32 v[66:67], 0
	v_mov_b64_e32 v[80:81], 0
	;; [unrolled: 1-line block ×27, first 2 shown]
	v_cmp_gt_u32_e32 vcc_lo, s25, v109
	v_dual_mov_b32 v86, 0 :: v_dual_mov_b32 v87, 0
	v_dual_mov_b32 v88, 0 :: v_dual_mov_b32 v89, 0
	;; [unrolled: 1-line block ×13, first 2 shown]
	s_mov_b32 s16, 0
	s_mov_b32 s5, 0
	s_wait_dscnt 0x0
	s_barrier_signal -1
	s_barrier_wait -1
                                        ; implicit-def: $sgpr22
	s_and_saveexec_b32 s17, vcc_lo
	s_cbranch_execz .LBB380_79
; %bb.52:
	ds_load_b64 v[30:31], v104
	v_cmp_ne_u64_e32 vcc_lo, v[26:27], v[28:29]
	v_dual_mov_b32 v86, 0 :: v_dual_bitop2_b32 v1, 1, v109 bitop3:0x54
	v_mov_b64_e32 v[66:67], 0
	v_mov_b64_e32 v[80:81], 0
	;; [unrolled: 1-line block ×16, first 2 shown]
	s_wait_dscnt 0x0
	v_cndmask_b32_e64 v61, v31, s45, vcc_lo
	v_cndmask_b32_e64 v60, v30, s44, vcc_lo
	v_mov_b64_e32 v[30:31], 0
	v_mov_b64_e32 v[40:41], 0
	;; [unrolled: 1-line block ×9, first 2 shown]
	v_dual_mov_b32 v87, 0 :: v_dual_mov_b32 v88, 0
	v_dual_mov_b32 v89, 0 :: v_dual_mov_b32 v90, 0
	;; [unrolled: 1-line block ×4, first 2 shown]
	v_cmp_gt_u32_e64 s1, s25, v1
	v_dual_mov_b32 v102, 0 :: v_dual_mov_b32 v105, 0
	v_dual_mov_b32 v108, 0 :: v_dual_mov_b32 v92, 0
	;; [unrolled: 1-line block ×7, first 2 shown]
	v_mov_b32_e32 v112, 0
	s_mov_b32 s4, 0
                                        ; implicit-def: $sgpr22
	s_and_saveexec_b32 s23, s1
	s_cbranch_execz .LBB380_78
; %bb.53:
	ds_load_2addr_b64 v[30:33], v104 offset0:1 offset1:2
	v_cmp_ne_u64_e64 s1, v[28:29], v[22:23]
	v_dual_mov_b32 v86, 0 :: v_dual_add_nc_u32 v1, 2, v109
	v_mov_b64_e32 v[66:67], 0
	v_mov_b64_e32 v[80:81], 0
	;; [unrolled: 1-line block ×16, first 2 shown]
	s_wait_dscnt 0x0
	v_cndmask_b32_e64 v63, v31, s45, s1
	v_cndmask_b32_e64 v62, v30, s44, s1
	v_mov_b64_e32 v[30:31], 0
	v_mov_b64_e32 v[42:43], 0
	;; [unrolled: 1-line block ×7, first 2 shown]
	v_dual_mov_b32 v87, 0 :: v_dual_mov_b32 v88, 0
	v_dual_mov_b32 v89, 0 :: v_dual_mov_b32 v90, 0
	;; [unrolled: 1-line block ×4, first 2 shown]
	v_cmp_gt_u32_e64 s4, s25, v1
	v_dual_mov_b32 v102, 0 :: v_dual_mov_b32 v105, 0
	v_dual_mov_b32 v92, 0 :: v_dual_mov_b32 v91, 0
	;; [unrolled: 1-line block ×6, first 2 shown]
	v_mov_b32_e32 v110, 0
                                        ; implicit-def: $sgpr22
	s_and_saveexec_b32 s24, s4
	s_cbranch_execz .LBB380_77
; %bb.54:
	v_cmp_ne_u64_e64 s4, v[22:23], v[24:25]
	v_dual_mov_b32 v86, 0 :: v_dual_add_nc_u32 v1, 3, v109
	v_mov_b64_e32 v[66:67], 0
	v_mov_b64_e32 v[80:81], 0
	;; [unrolled: 1-line block ×21, first 2 shown]
	v_cndmask_b32_e64 v65, v33, s45, s4
	v_dual_mov_b32 v87, 0 :: v_dual_mov_b32 v88, 0
	v_cmp_gt_u32_e64 s5, s25, v1
	v_cndmask_b32_e64 v64, v32, s44, s4
	v_dual_mov_b32 v89, 0 :: v_dual_mov_b32 v90, 0
	v_dual_mov_b32 v93, 0 :: v_dual_mov_b32 v95, 0
	;; [unrolled: 1-line block ×8, first 2 shown]
	v_mov_b32_e32 v107, 0
	s_mov_b32 s6, 0
                                        ; implicit-def: $sgpr22
	s_and_saveexec_b32 s48, s5
	s_cbranch_execz .LBB380_76
; %bb.55:
	ds_load_2addr_b64 v[26:29], v104 offset0:3 offset1:4
	v_cmp_ne_u64_e64 s5, v[24:25], v[18:19]
	v_dual_mov_b32 v86, 0 :: v_dual_add_nc_u32 v1, 4, v109
	v_mov_b64_e32 v[66:67], 0
	v_mov_b64_e32 v[80:81], 0
	;; [unrolled: 1-line block ×19, first 2 shown]
	v_dual_mov_b32 v87, 0 :: v_dual_mov_b32 v88, 0
	v_dual_mov_b32 v89, 0 :: v_dual_mov_b32 v90, 0
	;; [unrolled: 1-line block ×4, first 2 shown]
	v_cmp_gt_u32_e64 s6, s25, v1
	s_wait_dscnt 0x0
	v_cndmask_b32_e64 v69, v27, s45, s5
	v_cndmask_b32_e64 v68, v26, s44, s5
	v_dual_mov_b32 v92, 0 :: v_dual_mov_b32 v91, 0
	v_dual_mov_b32 v94, 0 :: v_dual_mov_b32 v96, 0
	;; [unrolled: 1-line block ×4, first 2 shown]
	v_mov_b32_e32 v106, 0
	s_mov_b32 s7, 0
                                        ; implicit-def: $sgpr22
	s_and_saveexec_b32 s49, s6
	s_cbranch_execz .LBB380_75
; %bb.56:
	v_cmp_ne_u64_e64 s6, v[18:19], v[20:21]
	v_dual_mov_b32 v86, 0 :: v_dual_add_nc_u32 v1, 5, v109
	v_mov_b64_e32 v[66:67], 0
	v_mov_b64_e32 v[80:81], 0
	;; [unrolled: 1-line block ×17, first 2 shown]
	v_cndmask_b32_e64 v71, v29, s45, s6
	v_dual_mov_b32 v87, 0 :: v_dual_mov_b32 v88, 0
	v_cmp_gt_u32_e64 s7, s25, v1
	v_cndmask_b32_e64 v70, v28, s44, s6
	v_dual_mov_b32 v89, 0 :: v_dual_mov_b32 v90, 0
	v_dual_mov_b32 v93, 0 :: v_dual_mov_b32 v95, 0
	;; [unrolled: 1-line block ×6, first 2 shown]
	v_mov_b32_e32 v103, 0
	s_mov_b32 s8, 0
                                        ; implicit-def: $sgpr22
	s_and_saveexec_b32 s50, s7
	s_cbranch_execz .LBB380_74
; %bb.57:
	ds_load_2addr_b64 v[22:25], v104 offset0:5 offset1:6
	v_cmp_ne_u64_e64 s7, v[20:21], v[14:15]
	v_mov_b64_e32 v[66:67], 0
	v_mov_b64_e32 v[80:81], 0
	;; [unrolled: 1-line block ×15, first 2 shown]
	v_dual_mov_b32 v86, 0 :: v_dual_add_nc_u32 v1, 6, v109
	v_dual_mov_b32 v87, 0 :: v_dual_mov_b32 v88, 0
	v_dual_mov_b32 v89, 0 :: v_dual_mov_b32 v90, 0
	;; [unrolled: 1-line block ×3, first 2 shown]
	s_wait_dscnt 0x0
	v_cndmask_b32_e64 v75, v23, s45, s7
	v_cndmask_b32_e64 v74, v22, s44, s7
	v_dual_mov_b32 v92, 0 :: v_dual_mov_b32 v91, 0
	v_dual_mov_b32 v94, 0 :: v_dual_mov_b32 v96, 0
	;; [unrolled: 1-line block ×3, first 2 shown]
	v_mov_b32_e32 v101, 0
	s_mov_b32 s9, 0
	s_mov_b32 s51, exec_lo
                                        ; implicit-def: $sgpr22
	v_cmpx_gt_u32_e64 s25, v1
	s_cbranch_execz .LBB380_73
; %bb.58:
	v_cmp_ne_u64_e64 s8, v[14:15], v[16:17]
	v_dual_mov_b32 v86, 0 :: v_dual_add_nc_u32 v1, 7, v109
	v_mov_b64_e32 v[66:67], 0
	v_mov_b64_e32 v[80:81], 0
	;; [unrolled: 1-line block ×13, first 2 shown]
	v_cndmask_b32_e64 v73, v25, s45, s8
	v_dual_mov_b32 v87, 0 :: v_dual_mov_b32 v88, 0
	v_cmp_gt_u32_e64 s9, s25, v1
	v_cndmask_b32_e64 v72, v24, s44, s8
	v_dual_mov_b32 v89, 0 :: v_dual_mov_b32 v90, 0
	v_dual_mov_b32 v93, 0 :: v_dual_mov_b32 v92, 0
	;; [unrolled: 1-line block ×4, first 2 shown]
	v_mov_b32_e32 v99, 0
	s_mov_b32 s10, 0
                                        ; implicit-def: $sgpr22
	s_and_saveexec_b32 s52, s9
	s_cbranch_execz .LBB380_72
; %bb.59:
	ds_load_2addr_b64 v[18:21], v104 offset0:7 offset1:8
	v_cmp_ne_u64_e64 s9, v[16:17], v[10:11]
	v_mov_b64_e32 v[66:67], 0
	v_mov_b64_e32 v[80:81], 0
	;; [unrolled: 1-line block ×11, first 2 shown]
	v_dual_mov_b32 v86, 0 :: v_dual_add_nc_u32 v1, 8, v109
	v_dual_mov_b32 v87, 0 :: v_dual_mov_b32 v88, 0
	v_dual_mov_b32 v89, 0 :: v_dual_mov_b32 v90, 0
	;; [unrolled: 1-line block ×3, first 2 shown]
	s_wait_dscnt 0x0
	v_cndmask_b32_e64 v83, v19, s45, s9
	v_cndmask_b32_e64 v82, v18, s44, s9
	v_dual_mov_b32 v94, 0 :: v_dual_mov_b32 v96, 0
	v_mov_b32_e32 v98, 0
	s_mov_b32 s11, 0
	s_mov_b32 s53, exec_lo
                                        ; implicit-def: $sgpr22
	v_cmpx_gt_u32_e64 s25, v1
	s_cbranch_execz .LBB380_71
; %bb.60:
	v_cmp_ne_u64_e64 s10, v[10:11], v[12:13]
	v_mov_b64_e32 v[66:67], 0
	v_mov_b64_e32 v[80:81], 0
	;; [unrolled: 1-line block ×9, first 2 shown]
	v_dual_mov_b32 v86, 0 :: v_dual_add_nc_u32 v1, 9, v109
	v_cndmask_b32_e64 v77, v21, s45, s10
	v_dual_mov_b32 v87, 0 :: v_dual_mov_b32 v88, 0
	v_cndmask_b32_e64 v76, v20, s44, s10
	v_dual_mov_b32 v89, 0 :: v_dual_mov_b32 v92, 0
	v_dual_mov_b32 v91, 0 :: v_dual_mov_b32 v94, 0
	v_mov_b32_e32 v96, 0
	s_mov_b32 s12, 0
	s_mov_b32 s54, exec_lo
                                        ; implicit-def: $sgpr22
	v_cmpx_gt_u32_e64 s25, v1
	s_cbranch_execz .LBB380_70
; %bb.61:
	ds_load_2addr_b64 v[14:17], v104 offset0:9 offset1:10
	v_cmp_ne_u64_e64 s11, v[12:13], v[6:7]
	v_mov_b64_e32 v[66:67], 0
	v_mov_b64_e32 v[80:81], 0
	;; [unrolled: 1-line block ×7, first 2 shown]
	v_dual_mov_b32 v86, 0 :: v_dual_add_nc_u32 v1, 10, v109
	v_dual_mov_b32 v87, 0 :: v_dual_mov_b32 v88, 0
	v_dual_mov_b32 v92, 0 :: v_dual_mov_b32 v91, 0
	v_mov_b32_e32 v94, 0
	s_mov_b32 s13, 0
	s_mov_b32 s55, exec_lo
                                        ; implicit-def: $sgpr22
	s_wait_dscnt 0x0
	v_cndmask_b32_e64 v85, v15, s45, s11
	v_cndmask_b32_e64 v84, v14, s44, s11
	v_cmpx_gt_u32_e64 s25, v1
	s_cbranch_execz .LBB380_69
; %bb.62:
	v_cmp_ne_u64_e64 s12, v[6:7], v[8:9]
	v_mov_b64_e32 v[66:67], 0
	v_mov_b64_e32 v[80:81], 0
	;; [unrolled: 1-line block ×4, first 2 shown]
	v_dual_mov_b32 v86, 0 :: v_dual_add_nc_u32 v1, 11, v109
	v_cndmask_b32_e64 v79, v17, s45, s12
	v_cndmask_b32_e64 v78, v16, s44, s12
	v_dual_mov_b32 v87, 0 :: v_dual_mov_b32 v91, 0
	s_mov_b32 s14, 0
	s_mov_b32 s56, exec_lo
                                        ; implicit-def: $sgpr22
	v_cmpx_gt_u32_e64 s25, v1
	s_cbranch_execz .LBB380_68
; %bb.63:
	ds_load_2addr_b64 v[10:13], v104 offset0:11 offset1:12
	v_cmp_ne_u64_e64 s13, v[8:9], v[2:3]
	v_mov_b64_e32 v[66:67], 0
	v_mov_b64_e32 v[44:45], 0
	v_dual_mov_b32 v86, 0 :: v_dual_add_nc_u32 v1, 12, v109
	s_mov_b32 s15, 0
	s_mov_b32 s57, exec_lo
                                        ; implicit-def: $sgpr22
	s_wait_dscnt 0x0
	v_cndmask_b32_e64 v81, v11, s45, s13
	v_cndmask_b32_e64 v80, v10, s44, s13
	v_cmpx_gt_u32_e64 s25, v1
	s_cbranch_execz .LBB380_67
; %bb.64:
	v_cmp_ne_u64_e64 s14, v[2:3], v[4:5]
	v_add_nc_u32_e32 v1, 13, v109
	v_mov_b64_e32 v[44:45], 0
                                        ; implicit-def: $sgpr22
	s_delay_alu instid0(VALU_DEP_2) | instskip(NEXT) | instid1(VALU_DEP_4)
	v_cmp_gt_u32_e64 s15, s25, v1
	v_cndmask_b32_e64 v67, v13, s45, s14
	v_cndmask_b32_e64 v66, v12, s44, s14
	s_mov_b32 s25, 0
	s_and_saveexec_b32 s58, s15
	s_delay_alu instid0(SALU_CYCLE_1)
	s_xor_b32 s15, exec_lo, s58
	s_cbranch_execz .LBB380_66
; %bb.65:
	ds_load_b64 v[2:3], v104 offset:104
	v_cmp_ne_u64_e64 s22, v[4:5], v[56:57]
	s_mov_b32 s25, exec_lo
	s_wait_dscnt 0x0
	v_cndmask_b32_e64 v45, v3, s45, s22
	v_cndmask_b32_e64 v44, v2, s44, s22
.LBB380_66:
	s_or_b32 exec_lo, exec_lo, s15
	v_cndmask_b32_e64 v86, 0, 1, s14
	s_and_b32 s15, s25, exec_lo
.LBB380_67:
	s_or_b32 exec_lo, exec_lo, s57
	v_cndmask_b32_e64 v87, 0, 1, s13
	v_mov_b64_e32 v[34:35], v[80:81]
	s_and_b32 s14, s15, exec_lo
	s_delay_alu instid0(VALU_DEP_2)
	v_mov_b32_e32 v91, v87
.LBB380_68:
	s_or_b32 exec_lo, exec_lo, s56
	v_cndmask_b32_e64 v88, 0, 1, s12
	v_mov_b64_e32 v[30:31], v[66:67]
	v_mov_b64_e32 v[36:37], v[78:79]
	v_mov_b32_e32 v92, v86
	s_and_b32 s13, s14, exec_lo
	v_mov_b32_e32 v94, v88
.LBB380_69:
	s_or_b32 exec_lo, exec_lo, s55
	v_cndmask_b32_e64 v89, 0, 1, s11
	v_mov_b64_e32 v[38:39], v[84:85]
	s_and_b32 s12, s13, exec_lo
	s_delay_alu instid0(VALU_DEP_2)
	v_mov_b32_e32 v96, v89
.LBB380_70:
	s_or_b32 exec_lo, exec_lo, s54
	v_cndmask_b32_e64 v90, 0, 1, s10
	v_mov_b64_e32 v[40:41], v[76:77]
	s_and_b32 s11, s12, exec_lo
	s_delay_alu instid0(VALU_DEP_2)
	v_mov_b32_e32 v98, v90
.LBB380_71:
	s_or_b32 exec_lo, exec_lo, s53
	v_cndmask_b32_e64 v93, 0, 1, s9
	v_mov_b64_e32 v[42:43], v[82:83]
	s_and_b32 s10, s11, exec_lo
	s_delay_alu instid0(VALU_DEP_2)
	v_mov_b32_e32 v99, v93
.LBB380_72:
	s_or_b32 exec_lo, exec_lo, s52
	v_cndmask_b32_e64 v95, 0, 1, s8
	v_mov_b64_e32 v[46:47], v[72:73]
	s_and_b32 s9, s10, exec_lo
	s_delay_alu instid0(VALU_DEP_2)
	v_mov_b32_e32 v101, v95
.LBB380_73:
	s_or_b32 exec_lo, exec_lo, s51
	v_cndmask_b32_e64 v97, 0, 1, s7
	v_mov_b64_e32 v[48:49], v[74:75]
	s_and_b32 s8, s9, exec_lo
	s_delay_alu instid0(VALU_DEP_2)
	v_mov_b32_e32 v103, v97
.LBB380_74:
	s_or_b32 exec_lo, exec_lo, s50
	v_cndmask_b32_e64 v100, 0, 1, s6
	v_mov_b64_e32 v[50:51], v[70:71]
	s_and_b32 s7, s8, exec_lo
	s_delay_alu instid0(VALU_DEP_2)
	v_mov_b32_e32 v106, v100
.LBB380_75:
	s_or_b32 exec_lo, exec_lo, s49
	v_cndmask_b32_e64 v102, 0, 1, s5
	v_mov_b64_e32 v[52:53], v[68:69]
	s_and_b32 s6, s7, exec_lo
	s_delay_alu instid0(VALU_DEP_2)
	v_mov_b32_e32 v107, v102
.LBB380_76:
	s_or_b32 exec_lo, exec_lo, s48
	v_cndmask_b32_e64 v105, 0, 1, s4
	v_mov_b64_e32 v[54:55], v[64:65]
	s_and_b32 s5, s6, exec_lo
	s_delay_alu instid0(VALU_DEP_2)
	v_mov_b32_e32 v110, v105
.LBB380_77:
	s_or_b32 exec_lo, exec_lo, s24
	v_cndmask_b32_e64 v108, 0, 1, s1
	v_mov_b64_e32 v[32:33], v[62:63]
	s_and_b32 s4, s5, exec_lo
	s_delay_alu instid0(VALU_DEP_2)
	v_mov_b32_e32 v112, v108
.LBB380_78:
	s_or_b32 exec_lo, exec_lo, s23
	v_cndmask_b32_e64 v111, 0, 1, vcc_lo
	v_mov_b64_e32 v[58:59], v[60:61]
	s_and_b32 s5, s4, exec_lo
	s_delay_alu instid0(VALU_DEP_2)
	v_mov_b32_e32 v1, v111
.LBB380_79:
	s_or_b32 exec_lo, exec_lo, s17
	v_lshlrev_b32_e32 v56, 3, v0
	s_and_b32 vcc_lo, exec_lo, s16
	s_cbranch_vccnz .LBB380_81
	s_branch .LBB380_86
.LBB380_80:
                                        ; implicit-def: $sgpr22
                                        ; implicit-def: $vgpr86
                                        ; implicit-def: $vgpr66_vgpr67
                                        ; implicit-def: $vgpr87
                                        ; implicit-def: $vgpr80_vgpr81
                                        ; implicit-def: $vgpr88
                                        ; implicit-def: $vgpr78_vgpr79
                                        ; implicit-def: $vgpr89
                                        ; implicit-def: $vgpr84_vgpr85
                                        ; implicit-def: $vgpr90
                                        ; implicit-def: $vgpr76_vgpr77
                                        ; implicit-def: $vgpr93
                                        ; implicit-def: $vgpr82_vgpr83
                                        ; implicit-def: $vgpr95
                                        ; implicit-def: $vgpr72_vgpr73
                                        ; implicit-def: $vgpr97
                                        ; implicit-def: $vgpr74_vgpr75
                                        ; implicit-def: $vgpr100
                                        ; implicit-def: $vgpr70_vgpr71
                                        ; implicit-def: $vgpr102
                                        ; implicit-def: $vgpr68_vgpr69
                                        ; implicit-def: $vgpr105
                                        ; implicit-def: $vgpr64_vgpr65
                                        ; implicit-def: $vgpr108
                                        ; implicit-def: $vgpr62_vgpr63
                                        ; implicit-def: $vgpr111
                                        ; implicit-def: $vgpr60_vgpr61
                                        ; implicit-def: $vgpr44_vgpr45
                                        ; implicit-def: $vgpr92
                                        ; implicit-def: $vgpr30_vgpr31
                                        ; implicit-def: $vgpr91
                                        ; implicit-def: $vgpr34_vgpr35
                                        ; implicit-def: $vgpr94
                                        ; implicit-def: $vgpr36_vgpr37
                                        ; implicit-def: $vgpr96
                                        ; implicit-def: $vgpr98
                                        ; implicit-def: $vgpr99
                                        ; implicit-def: $vgpr101
                                        ; implicit-def: $vgpr103
                                        ; implicit-def: $vgpr106
                                        ; implicit-def: $vgpr107
                                        ; implicit-def: $vgpr110
                                        ; implicit-def: $vgpr112
                                        ; implicit-def: $vgpr1
                                        ; implicit-def: $vgpr38_vgpr39
                                        ; implicit-def: $vgpr40_vgpr41
                                        ; implicit-def: $vgpr42_vgpr43
                                        ; implicit-def: $vgpr46_vgpr47
                                        ; implicit-def: $vgpr48_vgpr49
                                        ; implicit-def: $vgpr50_vgpr51
                                        ; implicit-def: $vgpr52_vgpr53
                                        ; implicit-def: $vgpr54_vgpr55
                                        ; implicit-def: $vgpr32_vgpr33
                                        ; implicit-def: $vgpr58_vgpr59
	v_lshlrev_b32_e32 v56, 3, v0
	s_cbranch_execz .LBB380_86
.LBB380_81:
	s_clause 0xd
	flat_load_b64 v[2:3], v0, s[20:21] scale_offset
	flat_load_b64 v[4:5], v0, s[20:21] offset:2048 scale_offset
	flat_load_b64 v[6:7], v0, s[20:21] offset:4096 scale_offset
	;; [unrolled: 1-line block ×13, first 2 shown]
	v_mov_b32_e32 v1, 0
	s_mov_b32 s1, exec_lo
	s_wait_loadcnt_dscnt 0xc0c
	ds_store_2addr_stride64_b64 v56, v[2:3], v[4:5] offset1:4
	s_wait_loadcnt_dscnt 0xa0b
	ds_store_2addr_stride64_b64 v56, v[6:7], v[8:9] offset0:8 offset1:12
	s_wait_loadcnt_dscnt 0x80a
	ds_store_2addr_stride64_b64 v56, v[10:11], v[12:13] offset0:16 offset1:20
	;; [unrolled: 2-line block ×6, first 2 shown]
	s_wait_dscnt 0x0
	s_barrier_signal -1
	s_barrier_wait -1
	flat_load_b64 v[58:59], v1, s[20:21] offset:28672
	s_wait_xcnt 0x0
	v_mad_u32_u24 v1, 0x68, v0, v56
	ds_load_b128 v[38:41], v1
	ds_load_b128 v[34:37], v1 offset:16
	ds_load_b128 v[26:29], v1 offset:32
	;; [unrolled: 1-line block ×6, first 2 shown]
	v_mad_i32_i24 v14, 0xffffff98, v0, v1
	s_wait_dscnt 0x6
	ds_store_b64 v14, v[38:39] offset:30720
	s_wait_loadcnt_dscnt 0x0
	s_barrier_signal -1
	s_barrier_wait -1
	v_cmpx_ne_u32_e32 0xff, v0
; %bb.82:
	v_mul_i32_i24_e32 v14, 0xffffff98, v0
	s_delay_alu instid0(VALU_DEP_1)
	v_add_nc_u32_e32 v14, v1, v14
	ds_load_b64 v[58:59], v14 offset:30728
; %bb.83:
	s_or_b32 exec_lo, exec_lo, s1
	s_wait_dscnt 0x0
	s_barrier_signal -1
	s_barrier_wait -1
	s_clause 0xd
	flat_load_b64 v[14:15], v0, s[18:19] scale_offset
	flat_load_b64 v[16:17], v0, s[18:19] offset:2048 scale_offset
	flat_load_b64 v[22:23], v0, s[18:19] offset:4096 scale_offset
	;; [unrolled: 1-line block ×13, first 2 shown]
	s_mov_b32 s4, exec_lo
	v_cmp_ne_u64_e32 vcc_lo, v[38:39], v[40:41]
	s_wait_loadcnt_dscnt 0xc0c
	ds_store_2addr_stride64_b64 v56, v[14:15], v[16:17] offset1:4
	s_wait_loadcnt_dscnt 0xa0b
	ds_store_2addr_stride64_b64 v56, v[22:23], v[24:25] offset0:8 offset1:12
	s_wait_loadcnt_dscnt 0x80a
	ds_store_2addr_stride64_b64 v56, v[30:31], v[32:33] offset0:16 offset1:20
	;; [unrolled: 2-line block ×6, first 2 shown]
	s_wait_dscnt 0x0
	s_barrier_signal -1
	s_barrier_wait -1
	ds_load_2addr_b64 v[50:53], v1 offset0:1 offset1:2
	ds_load_2addr_b64 v[46:49], v1 offset0:3 offset1:4
	;; [unrolled: 1-line block ×6, first 2 shown]
	ds_load_b64 v[54:55], v1 offset:104
	v_mov_b64_e32 v[60:61], s[44:45]
	v_cmpx_eq_u64_e64 v[38:39], v[40:41]
; %bb.84:
	ds_load_b64 v[60:61], v1
; %bb.85:
	s_or_b32 exec_lo, exec_lo, s4
	v_cndmask_b32_e64 v111, 0, 1, vcc_lo
	v_cmp_ne_u64_e32 vcc_lo, v[40:41], v[34:35]
	v_cmp_ne_u64_e64 s1, v[34:35], v[36:37]
	v_cmp_ne_u64_e64 s4, v[36:37], v[26:27]
	;; [unrolled: 1-line block ×12, first 2 shown]
	s_wait_dscnt 0x6
	v_cndmask_b32_e64 v63, v51, s45, vcc_lo
	v_cndmask_b32_e64 v62, v50, s44, vcc_lo
	v_cndmask_b32_e64 v65, v53, s45, s1
	v_cndmask_b32_e64 v64, v52, s44, s1
	s_wait_dscnt 0x5
	v_cndmask_b32_e64 v69, v47, s45, s4
	v_cndmask_b32_e64 v68, v46, s44, s4
	v_cndmask_b32_e64 v71, v49, s45, s5
	v_cndmask_b32_e64 v70, v48, s44, s5
	s_wait_dscnt 0x4
	v_cndmask_b32_e64 v75, v43, s45, s6
	v_cndmask_b32_e64 v74, v42, s44, s6
	;; [unrolled: 5-line block ×5, first 2 shown]
	v_cndmask_b32_e64 v66, v16, s44, s13
	v_cndmask_b32_e64 v80, v14, s44, s12
	v_cndmask_b32_e64 v108, 0, 1, vcc_lo
	v_cndmask_b32_e64 v105, 0, 1, s1
	v_cndmask_b32_e64 v102, 0, 1, s4
	;; [unrolled: 1-line block ×11, first 2 shown]
	s_wait_dscnt 0x0
	v_cndmask_b32_e64 v45, v55, s45, s22
	v_cndmask_b32_e64 v44, v54, s44, s22
	v_mov_b64_e32 v[30:31], v[66:67]
	v_mov_b64_e32 v[34:35], v[80:81]
	;; [unrolled: 1-line block ×13, first 2 shown]
	v_dual_mov_b32 v92, v86 :: v_dual_mov_b32 v91, v87
	v_dual_mov_b32 v94, v88 :: v_dual_mov_b32 v96, v89
	;; [unrolled: 1-line block ×6, first 2 shown]
	v_mov_b32_e32 v1, v111
	s_mov_b32 s5, -1
.LBB380_86:
	v_mov_b32_e32 v57, 0
	s_and_saveexec_b32 s1, s5
	s_cbranch_execz .LBB380_88
; %bb.87:
	v_mov_b64_e32 v[58:59], v[60:61]
	v_mov_b64_e32 v[32:33], v[62:63]
	;; [unrolled: 1-line block ×13, first 2 shown]
	v_cndmask_b32_e64 v57, 0, 1, s22
	v_dual_mov_b32 v1, v111 :: v_dual_mov_b32 v112, v108
	v_dual_mov_b32 v110, v105 :: v_dual_mov_b32 v107, v102
	;; [unrolled: 1-line block ×6, first 2 shown]
	v_mov_b32_e32 v92, v86
.LBB380_88:
	s_or_b32 exec_lo, exec_lo, s1
	v_dual_lshrrev_b32 v65, 1, v0 :: v_dual_bitop2_b32 v67, 1, v1 bitop3:0x40
	v_and_b32_e32 v66, 1, v107
	v_and_b32_e32 v64, 1, v101
	;; [unrolled: 1-line block ×4, first 2 shown]
	v_cmp_eq_u32_e64 s15, 1, v67
	v_and_b32_e32 v84, 0xff, v112
	v_and_b32_e32 v83, 0xff, v110
	v_bitop3_b16 v69, v110, 0xff, v112 bitop3:0xc8
	v_and_b32_e32 v82, 0xff, v107
	v_cmp_eq_u32_e64 s16, 1, v66
	v_and_b32_e32 v81, 0xff, v106
	v_and_b32_e32 v80, 0xff, v103
	v_bitop3_b16 v70, v103, 0xff, v106 bitop3:0xc8
	v_and_b32_e32 v79, 0xff, v101
	;; [unrolled: 5-line block ×4, first 2 shown]
	v_cmp_eq_u32_e64 s20, 1, v62
	v_cmp_eq_u16_e64 s19, 0, v57
	v_and_b32_e32 v68, 1, v57
	s_cmp_lg_u32 s43, 0
	v_cmp_gt_u32_e32 vcc_lo, 32, v0
	s_barrier_signal -1
	s_barrier_wait -1
	s_cbranch_scc0 .LBB380_150
; %bb.89:
	v_cmp_eq_u16_e64 s1, 0, v84
	v_cmp_eq_u16_e64 s4, 0, v83
	;; [unrolled: 1-line block ×5, first 2 shown]
	v_dual_cndmask_b32 v3, 0, v59, s1 :: v_dual_cndmask_b32 v2, 0, v58, s1
	v_cmp_eq_u16_e64 s8, 0, v79
	v_cmp_eq_u16_e64 s9, 0, v78
	v_cmp_eq_u16_e64 s10, 0, v77
	v_cmp_eq_u16_e64 s11, 0, v76
	v_add_nc_u64_e32 v[2:3], v[2:3], v[32:33]
	v_cmp_eq_u16_e64 s12, 0, v75
	v_cmp_eq_u16_e64 s13, 0, v74
	;; [unrolled: 1-line block ×3, first 2 shown]
	v_cmp_ne_u16_e64 s23, 0, v72
	v_cmp_ne_u16_e64 s24, 0, v71
	v_cmp_eq_u32_e64 s25, 1, v68
	v_dual_cndmask_b32 v3, 0, v3, s4 :: v_dual_cndmask_b32 v2, 0, v2, s4
	v_cmp_ne_u16_e64 s22, 0, v70
	s_or_b32 s20, s23, s20
	v_cmp_ne_u16_e64 s21, 0, v69
	s_or_b32 s18, s24, s18
	v_add_nc_u64_e32 v[2:3], v[2:3], v[54:55]
	s_or_b32 s20, s25, s20
	s_or_b32 s17, s22, s17
	;; [unrolled: 1-line block ×5, first 2 shown]
	v_and_b32_e32 v4, 0x70, v65
	v_dual_cndmask_b32 v3, 0, v3, s5 :: v_dual_cndmask_b32 v2, 0, v2, s5
	s_or_b32 s16, s17, s16
	s_delay_alu instid0(SALU_CYCLE_1) | instskip(NEXT) | instid1(VALU_DEP_2)
	s_or_b32 s15, s16, s15
	v_lshl_add_u32 v4, v0, 4, v4
	s_delay_alu instid0(VALU_DEP_2) | instskip(SKIP_1) | instid1(VALU_DEP_2)
	v_add_nc_u64_e32 v[2:3], v[2:3], v[52:53]
	v_cndmask_b32_e64 v12, 0, 1, s15
	v_dual_cndmask_b32 v3, 0, v3, s6 :: v_dual_cndmask_b32 v2, 0, v2, s6
	s_delay_alu instid0(VALU_DEP_1) | instskip(NEXT) | instid1(VALU_DEP_1)
	v_add_nc_u64_e32 v[2:3], v[2:3], v[50:51]
	v_dual_cndmask_b32 v3, 0, v3, s7 :: v_dual_cndmask_b32 v2, 0, v2, s7
	s_delay_alu instid0(VALU_DEP_1) | instskip(NEXT) | instid1(VALU_DEP_1)
	v_add_nc_u64_e32 v[2:3], v[2:3], v[48:49]
	;; [unrolled: 3-line block ×9, first 2 shown]
	v_dual_cndmask_b32 v3, 0, v3, s19 :: v_dual_cndmask_b32 v2, 0, v2, s19
	s_delay_alu instid0(VALU_DEP_1)
	v_add_nc_u64_e32 v[2:3], v[2:3], v[44:45]
	ds_store_b64 v4, v[2:3]
	ds_store_b8 v4, v12 offset:8
	s_wait_dscnt 0x0
	s_barrier_signal -1
	s_barrier_wait -1
	s_and_saveexec_b32 s18, vcc_lo
	s_cbranch_execz .LBB380_101
; %bb.90:
	v_dual_lshlrev_b32 v4, 2, v0 :: v_dual_lshlrev_b32 v5, 7, v0
	s_delay_alu instid0(VALU_DEP_1) | instskip(NEXT) | instid1(VALU_DEP_1)
	v_and_b32_e32 v4, 0x3f0, v4
	v_add_nc_u32_e32 v8, v4, v5
	ds_load_u8 v10, v8 offset:24
	ds_load_b64 v[4:5], v8
	ds_load_2addr_b64 v[14:17], v8 offset0:2 offset1:4
	ds_load_u8 v11, v8 offset:40
	ds_load_b32 v9, v8 offset:8
	ds_load_u8 v13, v8 offset:56
	ds_load_u8 v22, v8 offset:72
	;; [unrolled: 1-line block ×4, first 2 shown]
	s_wait_dscnt 0x8
	v_cmp_eq_u16_e64 s15, 0, v10
	s_wait_dscnt 0x7
	s_delay_alu instid0(VALU_DEP_1)
	v_dual_cndmask_b32 v7, 0, v5, s15 :: v_dual_cndmask_b32 v6, 0, v4, s15
	s_wait_dscnt 0x5
	v_cmp_eq_u16_e64 s15, 0, v11
	ds_load_2addr_b64 v[18:21], v8 offset0:6 offset1:8
	s_wait_dscnt 0x4
	v_bitop3_b16 v10, v11, v13, v10 bitop3:0xfe
	s_wait_dscnt 0x1
	v_bitop3_b16 v11, v23, v24, v22 bitop3:0xfe
	v_add_nc_u64_e32 v[6:7], v[6:7], v[14:15]
	s_delay_alu instid0(VALU_DEP_1) | instskip(SKIP_1) | instid1(VALU_DEP_2)
	v_dual_cndmask_b32 v7, 0, v7, s15 :: v_dual_cndmask_b32 v6, 0, v6, s15
	v_cmp_eq_u16_e64 s15, 0, v13
	v_add_nc_u64_e32 v[6:7], v[6:7], v[16:17]
	s_delay_alu instid0(VALU_DEP_1) | instskip(SKIP_2) | instid1(VALU_DEP_2)
	v_dual_cndmask_b32 v7, 0, v7, s15 :: v_dual_cndmask_b32 v6, 0, v6, s15
	v_cmp_eq_u16_e64 s15, 0, v22
	s_wait_dscnt 0x0
	v_add_nc_u64_e32 v[6:7], v[6:7], v[18:19]
	ds_load_2addr_b64 v[14:17], v8 offset0:10 offset1:12
	ds_load_u8 v18, v8 offset:120
	v_dual_cndmask_b32 v7, 0, v7, s15 :: v_dual_cndmask_b32 v6, 0, v6, s15
	v_cmp_eq_u16_e64 s15, 0, v23
	s_delay_alu instid0(VALU_DEP_2) | instskip(NEXT) | instid1(VALU_DEP_1)
	v_add_nc_u64_e32 v[6:7], v[6:7], v[20:21]
	v_dual_cndmask_b32 v7, 0, v7, s15 :: v_dual_cndmask_b32 v6, 0, v6, s15
	s_wait_dscnt 0x0
	v_bitop3_b16 v10, v18, v10, v11 bitop3:0xfe
	v_and_b32_e32 v11, 1, v9
	v_cmp_eq_u16_e64 s15, 0, v24
	v_cmp_eq_u16_e64 s17, 0, v18
	v_add_nc_u64_e32 v[6:7], v[6:7], v[14:15]
	ds_load_b64 v[14:15], v8 offset:112
	v_dual_cndmask_b32 v7, 0, v7, s15 :: v_dual_bitop2_b32 v10, 1, v10 bitop3:0x40
	v_cndmask_b32_e64 v6, 0, v6, s15
	v_cmp_eq_u32_e64 s15, 1, v11
	s_delay_alu instid0(VALU_DEP_3) | instskip(SKIP_4) | instid1(SALU_CYCLE_1)
	v_cmp_eq_u32_e64 s16, 1, v10
	v_and_b32_e32 v10, 0xffffff00, v9
	v_mbcnt_lo_u32_b32 v11, -1, 0
	v_add_nc_u64_e32 v[6:7], v[6:7], v[16:17]
	s_or_b32 s16, s16, s15
	v_cndmask_b32_e64 v16, 0, 1, s16
	v_cndmask_b32_e64 v13, 0, 1, s16
	s_delay_alu instid0(VALU_DEP_3) | instskip(SKIP_2) | instid1(VALU_DEP_1)
	v_dual_cndmask_b32 v7, 0, v7, s17 :: v_dual_cndmask_b32 v6, 0, v6, s17
	s_mov_b32 s17, exec_lo
	s_wait_dscnt 0x0
	v_add_nc_u64_e32 v[6:7], v[6:7], v[14:15]
	v_or_b32_e32 v15, v10, v16
	v_and_b32_e32 v14, 15, v11
	s_delay_alu instid0(VALU_DEP_2) | instskip(NEXT) | instid1(VALU_DEP_4)
	v_mov_b32_dpp v17, v15 row_shr:1 row_mask:0xf bank_mask:0xf
	v_mov_b32_dpp v16, v6 row_shr:1 row_mask:0xf bank_mask:0xf
	;; [unrolled: 1-line block ×3, first 2 shown]
	s_delay_alu instid0(VALU_DEP_4)
	v_cmpx_ne_u32_e32 0, v14
; %bb.91:
	s_delay_alu instid0(VALU_DEP_4) | instskip(NEXT) | instid1(VALU_DEP_3)
	v_bitop3_b16 v13, v17, v13, 1 bitop3:0xec
	v_cndmask_b32_e64 v17, v18, 0, s16
	v_cndmask_b32_e64 v16, v16, 0, s16
	s_delay_alu instid0(VALU_DEP_3) | instskip(NEXT) | instid1(VALU_DEP_2)
	v_and_b32_e32 v15, 0xffff, v13
	v_add_nc_u64_e32 v[6:7], v[16:17], v[6:7]
	s_delay_alu instid0(VALU_DEP_2)
	v_or_b32_e32 v15, v10, v15
; %bb.92:
	s_or_b32 exec_lo, exec_lo, s17
	s_delay_alu instid0(VALU_DEP_2) | instskip(NEXT) | instid1(VALU_DEP_3)
	v_mov_b32_dpp v16, v6 row_shr:2 row_mask:0xf bank_mask:0xf
	v_mov_b32_dpp v17, v7 row_shr:2 row_mask:0xf bank_mask:0xf
	s_delay_alu instid0(VALU_DEP_3)
	v_mov_b32_dpp v18, v15 row_shr:2 row_mask:0xf bank_mask:0xf
	s_mov_b32 s19, exec_lo
	v_cmpx_lt_u32_e32 1, v14
	s_cbranch_execz .LBB380_94
; %bb.93:
	v_cmp_eq_u16_e64 s15, 0, v13
	v_and_b32_e32 v15, 1, v13
	s_delay_alu instid0(VALU_DEP_2) | instskip(SKIP_1) | instid1(VALU_DEP_3)
	v_dual_cndmask_b32 v17, 0, v17, s15 :: v_dual_bitop2_b32 v18, 1, v18 bitop3:0x40
	v_cndmask_b32_e64 v16, 0, v16, s15
	v_cmp_eq_u32_e64 s16, 1, v15
	s_delay_alu instid0(VALU_DEP_3) | instskip(NEXT) | instid1(VALU_DEP_3)
	v_cmp_eq_u32_e64 s17, 1, v18
	v_add_nc_u64_e32 v[6:7], v[16:17], v[6:7]
	s_or_b32 s15, s16, s17
	s_delay_alu instid0(SALU_CYCLE_1) | instskip(SKIP_1) | instid1(VALU_DEP_2)
	v_cndmask_b32_e64 v15, 0, 1, s15
	v_cndmask_b32_e64 v13, 0, 1, s15
	v_or_b32_e32 v15, v10, v15
.LBB380_94:
	s_or_b32 exec_lo, exec_lo, s19
	s_delay_alu instid0(VALU_DEP_4) | instskip(SKIP_1) | instid1(VALU_DEP_3)
	v_mov_b32_dpp v16, v6 row_shr:4 row_mask:0xf bank_mask:0xf
	v_mov_b32_dpp v17, v7 row_shr:4 row_mask:0xf bank_mask:0xf
	;; [unrolled: 1-line block ×3, first 2 shown]
	s_mov_b32 s19, exec_lo
	v_cmpx_lt_u32_e32 3, v14
	s_cbranch_execz .LBB380_96
; %bb.95:
	v_cmp_eq_u16_e64 s15, 0, v13
	v_and_b32_e32 v15, 1, v13
	s_delay_alu instid0(VALU_DEP_2) | instskip(SKIP_1) | instid1(VALU_DEP_3)
	v_dual_cndmask_b32 v17, 0, v17, s15 :: v_dual_bitop2_b32 v18, 1, v18 bitop3:0x40
	v_cndmask_b32_e64 v16, 0, v16, s15
	v_cmp_eq_u32_e64 s16, 1, v15
	s_delay_alu instid0(VALU_DEP_3) | instskip(NEXT) | instid1(VALU_DEP_3)
	v_cmp_eq_u32_e64 s17, 1, v18
	v_add_nc_u64_e32 v[6:7], v[16:17], v[6:7]
	s_or_b32 s15, s16, s17
	s_delay_alu instid0(SALU_CYCLE_1) | instskip(SKIP_1) | instid1(VALU_DEP_2)
	v_cndmask_b32_e64 v15, 0, 1, s15
	v_cndmask_b32_e64 v13, 0, 1, s15
	v_or_b32_e32 v15, v10, v15
.LBB380_96:
	s_or_b32 exec_lo, exec_lo, s19
	s_delay_alu instid0(VALU_DEP_4) | instskip(SKIP_1) | instid1(VALU_DEP_3)
	v_mov_b32_dpp v16, v6 row_shr:8 row_mask:0xf bank_mask:0xf
	v_mov_b32_dpp v17, v7 row_shr:8 row_mask:0xf bank_mask:0xf
	;; [unrolled: 1-line block ×3, first 2 shown]
	s_mov_b32 s19, exec_lo
	v_cmpx_lt_u32_e32 7, v14
	s_cbranch_execz .LBB380_98
; %bb.97:
	v_and_b32_e32 v14, 1, v13
	v_cmp_eq_u16_e64 s15, 0, v13
	v_and_b32_e32 v15, 1, v18
	s_delay_alu instid0(VALU_DEP_3) | instskip(NEXT) | instid1(VALU_DEP_3)
	v_cmp_eq_u32_e64 s16, 1, v14
	v_cndmask_b32_e64 v14, 0, v16, s15
	s_delay_alu instid0(VALU_DEP_3) | instskip(SKIP_2) | instid1(VALU_DEP_1)
	v_cmp_eq_u32_e64 s17, 1, v15
	v_cndmask_b32_e64 v15, 0, v17, s15
	s_or_b32 s15, s16, s17
	v_add_nc_u64_e32 v[6:7], v[14:15], v[6:7]
	v_cndmask_b32_e64 v16, 0, 1, s15
	v_cndmask_b32_e64 v13, 0, 1, s15
	s_delay_alu instid0(VALU_DEP_2)
	v_or_b32_e32 v15, v10, v16
.LBB380_98:
	s_or_b32 exec_lo, exec_lo, s19
	ds_swizzle_b32 v14, v6 offset:swizzle(BROADCAST,32,15)
	ds_swizzle_b32 v16, v7 offset:swizzle(BROADCAST,32,15)
	;; [unrolled: 1-line block ×3, first 2 shown]
	v_and_b32_e32 v17, 16, v11
	s_mov_b32 s17, exec_lo
	s_delay_alu instid0(VALU_DEP_1)
	v_cmpx_ne_u32_e32 0, v17
	s_cbranch_execz .LBB380_100
; %bb.99:
	v_cmp_eq_u16_e64 s15, 0, v13
	v_and_b32_e32 v13, 1, v13
	s_wait_dscnt 0x0
	s_delay_alu instid0(VALU_DEP_2) | instskip(SKIP_1) | instid1(VALU_DEP_3)
	v_dual_cndmask_b32 v14, 0, v14, s15 :: v_dual_bitop2_b32 v17, 1, v15 bitop3:0x40
	v_cndmask_b32_e64 v15, 0, v16, s15
	v_cmp_eq_u32_e64 s15, 1, v13
	s_delay_alu instid0(VALU_DEP_3) | instskip(NEXT) | instid1(VALU_DEP_3)
	v_cmp_eq_u32_e64 s16, 1, v17
	v_add_nc_u64_e32 v[6:7], v[14:15], v[6:7]
	s_or_b32 s15, s15, s16
	s_delay_alu instid0(SALU_CYCLE_1)
	v_cndmask_b32_e64 v13, 0, 1, s15
.LBB380_100:
	s_or_b32 exec_lo, exec_lo, s17
	s_wait_dscnt 0x2
	v_add_nc_u32_e32 v14, -1, v11
	s_delay_alu instid0(VALU_DEP_2) | instskip(NEXT) | instid1(VALU_DEP_2)
	v_and_b32_e32 v13, 0xffff, v13
	; wave barrier
	v_cmp_gt_i32_e64 s15, 0, v14
	s_delay_alu instid0(VALU_DEP_1) | instskip(NEXT) | instid1(VALU_DEP_1)
	v_cndmask_b32_e64 v11, v14, v11, s15
	v_lshlrev_b32_e32 v11, 2, v11
	ds_bpermute_b32 v7, v11, v7
	ds_bpermute_b32 v6, v11, v6
	v_or_b32_e32 v10, v10, v13
	ds_bpermute_b32 v10, v11, v10
	v_and_b32_e32 v11, 0xff, v9
	s_delay_alu instid0(VALU_DEP_1) | instskip(SKIP_1) | instid1(VALU_DEP_1)
	v_cmp_eq_u32_e64 s15, 0, v11
	s_wait_dscnt 0x1
	v_dual_cndmask_b32 v7, 0, v7, s15 :: v_dual_cndmask_b32 v6, 0, v6, s15
	s_delay_alu instid0(VALU_DEP_1) | instskip(SKIP_1) | instid1(VALU_DEP_1)
	v_add_nc_u64_e32 v[4:5], v[6:7], v[4:5]
	s_wait_dscnt 0x0
	v_dual_cndmask_b32 v11, v5, v3, s2 :: v_dual_bitop2_b32 v9, v10, v9 bitop3:0x54
	s_delay_alu instid0(VALU_DEP_1) | instskip(NEXT) | instid1(VALU_DEP_1)
	v_dual_cndmask_b32 v10, v4, v2, s2 :: v_dual_bitop2_b32 v6, 1, v9 bitop3:0x40
	v_cndmask_b32_e64 v9, v6, v12, s2
	ds_store_b64 v8, v[10:11]
	ds_store_b8 v8, v9 offset:8
	; wave barrier
	ds_load_u8 v13, v8 offset:24
	ds_load_2addr_b64 v[4:7], v8 offset0:2 offset1:4
	ds_load_u8 v24, v8 offset:40
	ds_load_u8 v25, v8 offset:56
	;; [unrolled: 1-line block ×5, first 2 shown]
	ds_load_b64 v[18:19], v8 offset:112
	ds_load_u8 v29, v8 offset:120
	s_wait_dscnt 0x8
	v_and_b32_e32 v14, 0xff, v13
	s_wait_dscnt 0x5
	v_and_b32_e32 v22, 0xff, v25
	s_delay_alu instid0(VALU_DEP_2) | instskip(SKIP_3) | instid1(VALU_DEP_3)
	v_cmp_eq_u16_e64 s15, 0, v14
	v_and_b32_e32 v14, 0xff, v24
	s_wait_dscnt 0x3
	v_and_b32_e32 v60, 0xff, v27
	v_dual_cndmask_b32 v11, 0, v11, s15 :: v_dual_cndmask_b32 v10, 0, v10, s15
	s_delay_alu instid0(VALU_DEP_3) | instskip(SKIP_3) | instid1(VALU_DEP_1)
	v_cmp_eq_u16_e64 s15, 0, v14
	ds_load_2addr_b64 v[14:17], v8 offset0:6 offset1:8
	v_bitop3_b16 v61, v13, 1, v9 bitop3:0xc8
	v_add_nc_u64_e32 v[10:11], v[10:11], v[4:5]
	v_dual_cndmask_b32 v5, 0, v11, s15 :: v_dual_cndmask_b32 v4, 0, v10, s15
	v_cmp_eq_u16_e64 s15, 0, v22
	s_delay_alu instid0(VALU_DEP_2) | instskip(SKIP_1) | instid1(VALU_DEP_2)
	v_add_nc_u64_e32 v[20:21], v[4:5], v[6:7]
	v_and_b32_e32 v6, 0xff, v26
	v_dual_cndmask_b32 v5, 0, v21, s15 :: v_dual_cndmask_b32 v4, 0, v20, s15
	s_delay_alu instid0(VALU_DEP_2) | instskip(SKIP_1) | instid1(VALU_DEP_2)
	v_cmp_eq_u16_e64 s15, 0, v6
	s_wait_dscnt 0x0
	v_add_nc_u64_e32 v[14:15], v[4:5], v[14:15]
	ds_load_2addr_b64 v[4:7], v8 offset0:10 offset1:12
	v_dual_cndmask_b32 v23, 0, v15, s15 :: v_dual_cndmask_b32 v22, 0, v14, s15
	v_cmp_eq_u16_e64 s15, 0, v60
	v_and_b32_e32 v60, 0xff, v28
	s_delay_alu instid0(VALU_DEP_3) | instskip(NEXT) | instid1(VALU_DEP_1)
	v_add_nc_u64_e32 v[16:17], v[22:23], v[16:17]
	v_dual_cndmask_b32 v23, 0, v17, s15 :: v_dual_cndmask_b32 v22, 0, v16, s15
	s_delay_alu instid0(VALU_DEP_3) | instskip(SKIP_4) | instid1(VALU_DEP_3)
	v_cmp_eq_u16_e64 s15, 0, v60
	v_or_b32_e32 v60, v13, v9
	v_bitop3_b16 v9, v24, v13, v9 bitop3:0xfe
	s_wait_dscnt 0x0
	v_add_nc_u64_e32 v[4:5], v[22:23], v[4:5]
	v_bitop3_b16 v13, v25, v24, v60 bitop3:0xfe
	v_bitop3_b16 v24, v24, 1, v60 bitop3:0xc8
	;; [unrolled: 1-line block ×4, first 2 shown]
	v_dual_cndmask_b32 v23, 0, v5, s15 :: v_dual_cndmask_b32 v22, 0, v4, s15
	v_cmp_eq_u16_e64 s15, 0, v29
	s_delay_alu instid0(VALU_DEP_3) | instskip(SKIP_1) | instid1(VALU_DEP_4)
	v_bitop3_b16 v25, v28, v27, v9 bitop3:0xfe
	v_bitop3_b16 v9, v27, 1, v9 bitop3:0xc8
	v_add_nc_u64_e32 v[6:7], v[22:23], v[6:7]
	v_bitop3_b16 v22, v27, v26, v13 bitop3:0xfe
	v_bitop3_b16 v13, v26, 1, v13 bitop3:0xc8
	ds_store_2addr_b64 v8, v[10:11], v[20:21] offset0:2 offset1:4
	ds_store_2addr_b64 v8, v[14:15], v[16:17] offset0:6 offset1:8
	;; [unrolled: 1-line block ×3, first 2 shown]
	v_bitop3_b16 v26, v28, 1, v22 bitop3:0xc8
	v_dual_cndmask_b32 v23, 0, v7, s15 :: v_dual_cndmask_b32 v22, 0, v6, s15
	v_bitop3_b16 v25, v29, 1, v25 bitop3:0xc8
	s_delay_alu instid0(VALU_DEP_2)
	v_add_nc_u64_e32 v[4:5], v[22:23], v[18:19]
	ds_store_b8 v8, v61 offset:24
	ds_store_b8 v8, v24 offset:40
	;; [unrolled: 1-line block ×6, first 2 shown]
	ds_store_b64 v8, v[4:5] offset:112
	ds_store_b8 v8, v25 offset:120
.LBB380_101:
	s_or_b32 exec_lo, exec_lo, s18
	s_wait_dscnt 0x0
	s_barrier_signal -1
	s_barrier_wait -1
	s_and_saveexec_b32 s15, s3
	s_cbranch_execz .LBB380_103
; %bb.102:
	v_add_nc_u32_e32 v2, -1, v0
	s_delay_alu instid0(VALU_DEP_1) | instskip(NEXT) | instid1(VALU_DEP_1)
	v_lshrrev_b32_e32 v3, 1, v2
	v_and_b32_e32 v3, 0x7ffffff0, v3
	s_delay_alu instid0(VALU_DEP_1)
	v_lshl_add_u32 v4, v2, 4, v3
	ds_load_b64 v[2:3], v4
	ds_load_u8 v12, v4 offset:8
.LBB380_103:
	s_or_b32 exec_lo, exec_lo, s15
	s_and_saveexec_b32 s18, vcc_lo
	s_cbranch_execz .LBB380_155
; %bb.104:
	v_mov_b32_e32 v9, 0
	v_mbcnt_lo_u32_b32 v14, -1, 0
	s_mov_b32 s17, 0
	ds_load_b64 v[4:5], v9 offset:4192
	ds_load_u8 v13, v9 offset:4200
	v_cmp_eq_u32_e64 s15, 0, v14
	s_and_saveexec_b32 s19, s15
	s_cbranch_execz .LBB380_106
; %bb.105:
	s_add_co_i32 s16, s43, 32
	s_delay_alu instid0(SALU_CYCLE_1) | instskip(SKIP_1) | instid1(SALU_CYCLE_1)
	v_dual_mov_b32 v6, 1 :: v_dual_mov_b32 v7, s16
	s_lshl_b64 s[20:21], s[16:17], 4
	s_add_nc_u64 s[16:17], s[36:37], s[20:21]
	s_wait_dscnt 0x1
	global_store_b64 v9, v[4:5], s[16:17]
	s_wait_dscnt 0x0
	global_store_b8 v9, v13, s[16:17] offset:8
	global_wb scope:SCOPE_DEV
	s_wait_storecnt 0x0
	global_inv scope:SCOPE_DEV
	s_wait_xcnt 0x0
	global_store_b8 v7, v6, s[40:41] scope:SCOPE_DEV
.LBB380_106:
	s_wait_xcnt 0x0
	s_or_b32 exec_lo, exec_lo, s19
	v_xad_u32 v6, v14, -1, s43
	s_mov_b32 s16, exec_lo
	s_delay_alu instid0(VALU_DEP_1)
	v_add_nc_u32_e32 v8, 32, v6
	global_load_u8 v15, v8, s[40:41] scope:SCOPE_DEV
	s_wait_loadcnt 0x0
	v_cmpx_eq_u16_e32 0, v15
	s_cbranch_execz .LBB380_110
; %bb.107:
	v_add_nc_u64_e32 v[10:11], s[40:41], v[8:9]
	s_mov_b32 s17, 0
.LBB380_108:                            ; =>This Inner Loop Header: Depth=1
	global_load_u8 v15, v[10:11], off scope:SCOPE_DEV
	s_wait_loadcnt 0x0
	v_cmp_ne_u16_e32 vcc_lo, 0, v15
	s_or_b32 s17, vcc_lo, s17
	s_wait_xcnt 0x0
	s_and_not1_b32 exec_lo, exec_lo, s17
	s_cbranch_execnz .LBB380_108
; %bb.109:
	s_or_b32 exec_lo, exec_lo, s17
.LBB380_110:
	s_delay_alu instid0(SALU_CYCLE_1)
	s_or_b32 exec_lo, exec_lo, s16
	v_dual_mov_b32 v7, s37 :: v_dual_mov_b32 v10, s36
	v_cmp_eq_u16_e32 vcc_lo, 1, v15
	global_wb scope:SCOPE_DEV
	s_wait_storecnt_dscnt 0x0
	global_inv scope:SCOPE_DEV
	v_lshlrev_b32_e64 v17, v14, -1
	s_mov_b32 s16, exec_lo
	v_cndmask_b32_e32 v11, s39, v7, vcc_lo
	v_cndmask_b32_e32 v10, s38, v10, vcc_lo
	v_cmp_ne_u32_e32 vcc_lo, 31, v14
	v_add_co_ci_u32_e64 v7, null, 0, v14, vcc_lo
	v_cmp_eq_u16_e32 vcc_lo, 2, v15
	s_delay_alu instid0(VALU_DEP_2)
	v_lshlrev_b32_e32 v16, 2, v7
	v_lshl_add_u64 v[8:9], v[8:9], 4, v[10:11]
	s_clause 0x1
	global_load_u8 v27, v[8:9], off offset:8
	global_load_b64 v[10:11], v[8:9], off
	v_and_or_b32 v7, vcc_lo, v17, 0x80000000
	s_delay_alu instid0(VALU_DEP_1)
	v_ctz_i32_b32_e32 v7, v7
	s_wait_loadcnt 0x1
	s_wait_xcnt 0x0
	v_and_b32_e32 v8, 1, v27
	s_wait_loadcnt 0x0
	ds_bpermute_b32 v18, v16, v10
	ds_bpermute_b32 v19, v16, v11
	ds_bpermute_b32 v9, v16, v8
	v_cmpx_lt_u32_e64 v14, v7
	s_cbranch_execz .LBB380_112
; %bb.111:
	v_and_b32_e32 v8, 0xff, v27
	s_wait_dscnt 0x0
	v_bitop3_b16 v27, v9, v27, 1 bitop3:0xec
	s_delay_alu instid0(VALU_DEP_2) | instskip(NEXT) | instid1(VALU_DEP_2)
	v_cmp_eq_u16_e32 vcc_lo, 0, v8
	v_and_b32_e32 v8, 0xff, v27
	v_dual_cndmask_b32 v19, 0, v19 :: v_dual_cndmask_b32 v18, 0, v18
	s_delay_alu instid0(VALU_DEP_1)
	v_add_nc_u64_e32 v[10:11], v[18:19], v[10:11]
.LBB380_112:
	s_or_b32 exec_lo, exec_lo, s16
	v_cmp_gt_u32_e32 vcc_lo, 30, v14
	s_wait_dscnt 0x1
	v_add_nc_u32_e32 v19, 2, v14
	s_mov_b32 s17, exec_lo
	s_wait_dscnt 0x0
	v_cndmask_b32_e64 v9, 0, 2, vcc_lo
	s_delay_alu instid0(VALU_DEP_1)
	v_add_lshl_u32 v18, v9, v14, 2
	ds_bpermute_b32 v9, v18, v10
	ds_bpermute_b32 v20, v18, v11
	;; [unrolled: 1-line block ×3, first 2 shown]
	v_cmpx_le_u32_e64 v19, v7
	s_cbranch_execz .LBB380_114
; %bb.113:
	v_and_b32_e32 v8, 0xff, v27
	s_delay_alu instid0(VALU_DEP_1) | instskip(SKIP_3) | instid1(VALU_DEP_2)
	v_cmp_eq_u16_e32 vcc_lo, 0, v8
	v_and_b32_e32 v22, 1, v27
	s_wait_dscnt 0x0
	v_dual_cndmask_b32 v21, 0, v20, vcc_lo :: v_dual_bitop2_b32 v8, 1, v21 bitop3:0x40
	v_cmp_eq_u32_e64 s16, 1, v22
	v_cndmask_b32_e32 v20, 0, v9, vcc_lo
	s_delay_alu instid0(VALU_DEP_3) | instskip(NEXT) | instid1(VALU_DEP_2)
	v_cmp_eq_u32_e32 vcc_lo, 1, v8
	v_add_nc_u64_e32 v[10:11], v[20:21], v[10:11]
	s_or_b32 s16, s16, vcc_lo
	s_delay_alu instid0(SALU_CYCLE_1)
	v_cndmask_b32_e64 v27, 0, 1, s16
	v_cndmask_b32_e64 v8, 0, 1, s16
.LBB380_114:
	s_or_b32 exec_lo, exec_lo, s17
	v_cmp_gt_u32_e32 vcc_lo, 28, v14
	s_wait_dscnt 0x0
	v_add_nc_u32_e32 v21, 4, v14
	s_mov_b32 s17, exec_lo
	v_cndmask_b32_e64 v9, 0, 4, vcc_lo
	s_delay_alu instid0(VALU_DEP_1)
	v_add_lshl_u32 v20, v9, v14, 2
	ds_bpermute_b32 v9, v20, v10
	ds_bpermute_b32 v22, v20, v11
	;; [unrolled: 1-line block ×3, first 2 shown]
	v_cmpx_le_u32_e64 v21, v7
	s_cbranch_execz .LBB380_116
; %bb.115:
	v_and_b32_e32 v8, 0xff, v27
	s_delay_alu instid0(VALU_DEP_1) | instskip(SKIP_3) | instid1(VALU_DEP_2)
	v_cmp_eq_u16_e32 vcc_lo, 0, v8
	v_and_b32_e32 v24, 1, v27
	s_wait_dscnt 0x0
	v_dual_cndmask_b32 v23, 0, v22, vcc_lo :: v_dual_bitop2_b32 v8, 1, v23 bitop3:0x40
	v_cmp_eq_u32_e64 s16, 1, v24
	v_cndmask_b32_e32 v22, 0, v9, vcc_lo
	s_delay_alu instid0(VALU_DEP_3) | instskip(NEXT) | instid1(VALU_DEP_2)
	v_cmp_eq_u32_e32 vcc_lo, 1, v8
	v_add_nc_u64_e32 v[10:11], v[22:23], v[10:11]
	s_or_b32 s16, s16, vcc_lo
	s_delay_alu instid0(SALU_CYCLE_1)
	v_cndmask_b32_e64 v27, 0, 1, s16
	v_cndmask_b32_e64 v8, 0, 1, s16
.LBB380_116:
	s_or_b32 exec_lo, exec_lo, s17
	v_cmp_gt_u32_e32 vcc_lo, 24, v14
	s_wait_dscnt 0x0
	v_add_nc_u32_e32 v23, 8, v14
	s_mov_b32 s17, exec_lo
	v_cndmask_b32_e64 v9, 0, 8, vcc_lo
	s_delay_alu instid0(VALU_DEP_1)
	v_add_lshl_u32 v22, v9, v14, 2
	ds_bpermute_b32 v9, v22, v10
	ds_bpermute_b32 v24, v22, v11
	;; [unrolled: 1-line block ×3, first 2 shown]
	v_cmpx_le_u32_e64 v23, v7
	s_cbranch_execz .LBB380_118
; %bb.117:
	v_and_b32_e32 v8, 0xff, v27
	s_delay_alu instid0(VALU_DEP_1) | instskip(SKIP_3) | instid1(VALU_DEP_2)
	v_cmp_eq_u16_e32 vcc_lo, 0, v8
	v_and_b32_e32 v26, 1, v27
	s_wait_dscnt 0x0
	v_dual_cndmask_b32 v25, 0, v24, vcc_lo :: v_dual_bitop2_b32 v8, 1, v25 bitop3:0x40
	v_cmp_eq_u32_e64 s16, 1, v26
	v_cndmask_b32_e32 v24, 0, v9, vcc_lo
	s_delay_alu instid0(VALU_DEP_3) | instskip(NEXT) | instid1(VALU_DEP_2)
	v_cmp_eq_u32_e32 vcc_lo, 1, v8
	v_add_nc_u64_e32 v[10:11], v[24:25], v[10:11]
	s_or_b32 s16, s16, vcc_lo
	s_delay_alu instid0(SALU_CYCLE_1)
	v_cndmask_b32_e64 v27, 0, 1, s16
	v_cndmask_b32_e64 v8, 0, 1, s16
.LBB380_118:
	s_or_b32 exec_lo, exec_lo, s17
	s_wait_dscnt 0x1
	v_lshl_or_b32 v24, v14, 2, 64
	v_add_nc_u32_e32 v26, 16, v14
	s_mov_b32 s17, exec_lo
	ds_bpermute_b32 v9, v24, v10
	s_wait_dscnt 0x1
	ds_bpermute_b32 v25, v24, v11
	ds_bpermute_b32 v8, v24, v8
	v_cmpx_le_u32_e64 v26, v7
	s_cbranch_execz .LBB380_120
; %bb.119:
	v_and_b32_e32 v7, 0xff, v27
	s_delay_alu instid0(VALU_DEP_1) | instskip(SKIP_4) | instid1(VALU_DEP_3)
	v_cmp_eq_u16_e32 vcc_lo, 0, v7
	v_and_b32_e32 v7, 1, v27
	s_wait_dscnt 0x0
	v_dual_cndmask_b32 v28, 0, v9, vcc_lo :: v_dual_bitop2_b32 v8, 1, v8 bitop3:0x40
	v_cndmask_b32_e32 v29, 0, v25, vcc_lo
	v_cmp_eq_u32_e32 vcc_lo, 1, v7
	s_delay_alu instid0(VALU_DEP_3) | instskip(NEXT) | instid1(VALU_DEP_3)
	v_cmp_eq_u32_e64 s16, 1, v8
	v_add_nc_u64_e32 v[10:11], v[28:29], v[10:11]
	s_or_b32 s16, vcc_lo, s16
	s_delay_alu instid0(SALU_CYCLE_1)
	v_cndmask_b32_e64 v27, 0, 1, s16
.LBB380_120:
	s_or_b32 exec_lo, exec_lo, s17
	v_mov_b32_e32 v7, 0
	s_branch .LBB380_123
.LBB380_121:                            ;   in Loop: Header=BB380_123 Depth=1
	s_or_b32 exec_lo, exec_lo, s19
	v_and_b32_e32 v27, 0xff, v25
	v_subrev_nc_u32_e32 v6, 32, v6
	s_delay_alu instid0(VALU_DEP_2) | instskip(SKIP_2) | instid1(VALU_DEP_2)
	v_cmp_eq_u16_e32 vcc_lo, 0, v27
	v_dual_cndmask_b32 v11, 0, v11, vcc_lo :: v_dual_bitop2_b32 v27, 1, v25 bitop3:0x40
	v_cndmask_b32_e32 v10, 0, v10, vcc_lo
	v_cmp_eq_u32_e32 vcc_lo, 1, v27
	s_delay_alu instid0(VALU_DEP_2) | instskip(SKIP_1) | instid1(SALU_CYCLE_1)
	v_add_nc_u64_e32 v[10:11], v[10:11], v[8:9]
	s_or_b32 s16, vcc_lo, s17
	v_cndmask_b32_e64 v27, 0, 1, s16
	s_mov_b32 s16, 0
.LBB380_122:                            ;   in Loop: Header=BB380_123 Depth=1
	s_delay_alu instid0(SALU_CYCLE_1)
	s_and_b32 vcc_lo, exec_lo, s16
	s_cbranch_vccnz .LBB380_151
.LBB380_123:                            ; =>This Loop Header: Depth=1
                                        ;     Child Loop BB380_126 Depth 2
	s_wait_dscnt 0x0
	v_and_b32_e32 v8, 0xff, v15
	v_mov_b32_e32 v25, v27
	s_mov_b32 s16, -1
                                        ; implicit-def: $vgpr27
                                        ; implicit-def: $vgpr15
	s_delay_alu instid0(VALU_DEP_2)
	v_cmp_ne_u16_e32 vcc_lo, 2, v8
	v_mov_b64_e32 v[8:9], v[10:11]
                                        ; implicit-def: $vgpr10_vgpr11
	s_cmp_lg_u32 vcc_lo, exec_lo
	s_cbranch_scc1 .LBB380_122
; %bb.124:                              ;   in Loop: Header=BB380_123 Depth=1
	global_load_u8 v15, v6, s[40:41] scope:SCOPE_DEV
	s_mov_b32 s16, exec_lo
	s_wait_loadcnt 0x0
	v_cmpx_eq_u16_e32 0, v15
	s_cbranch_execz .LBB380_128
; %bb.125:                              ;   in Loop: Header=BB380_123 Depth=1
	v_add_nc_u64_e32 v[10:11], s[40:41], v[6:7]
	s_mov_b32 s17, 0
.LBB380_126:                            ;   Parent Loop BB380_123 Depth=1
                                        ; =>  This Inner Loop Header: Depth=2
	global_load_u8 v15, v[10:11], off scope:SCOPE_DEV
	s_wait_loadcnt 0x0
	v_cmp_ne_u16_e32 vcc_lo, 0, v15
	s_or_b32 s17, vcc_lo, s17
	s_delay_alu instid0(SALU_CYCLE_1)
	s_and_not1_b32 exec_lo, exec_lo, s17
	s_cbranch_execnz .LBB380_126
; %bb.127:                              ;   in Loop: Header=BB380_123 Depth=1
	s_or_b32 exec_lo, exec_lo, s17
.LBB380_128:                            ;   in Loop: Header=BB380_123 Depth=1
	s_delay_alu instid0(SALU_CYCLE_1)
	s_or_b32 exec_lo, exec_lo, s16
	v_dual_mov_b32 v10, s37 :: v_dual_mov_b32 v27, s36
	v_cmp_eq_u16_e32 vcc_lo, 1, v15
	global_wb scope:SCOPE_DEV
	s_wait_storecnt 0x0
	global_inv scope:SCOPE_DEV
	s_mov_b32 s16, exec_lo
	v_cndmask_b32_e32 v11, s39, v10, vcc_lo
	v_cndmask_b32_e32 v10, s38, v27, vcc_lo
	v_cmp_eq_u16_e32 vcc_lo, 2, v15
	s_delay_alu instid0(VALU_DEP_2)
	v_lshl_add_u64 v[60:61], v[6:7], 4, v[10:11]
	v_and_or_b32 v27, vcc_lo, v17, 0x80000000
	s_clause 0x1
	global_load_u8 v28, v[60:61], off offset:8
	global_load_b64 v[10:11], v[60:61], off
	v_ctz_i32_b32_e32 v27, v27
	s_wait_loadcnt 0x1
	v_and_b32_e32 v29, 1, v28
	s_wait_loadcnt 0x0
	ds_bpermute_b32 v61, v16, v10
	ds_bpermute_b32 v85, v16, v11
	;; [unrolled: 1-line block ×3, first 2 shown]
	v_cmpx_lt_u32_e64 v14, v27
	s_cbranch_execz .LBB380_130
; %bb.129:                              ;   in Loop: Header=BB380_123 Depth=1
	v_and_b32_e32 v29, 0xff, v28
	s_wait_dscnt 0x0
	v_bitop3_b16 v28, v60, v28, 1 bitop3:0xec
	s_delay_alu instid0(VALU_DEP_2) | instskip(NEXT) | instid1(VALU_DEP_2)
	v_cmp_eq_u16_e32 vcc_lo, 0, v29
	v_and_b32_e32 v29, 0xff, v28
	v_cndmask_b32_e32 v87, 0, v85, vcc_lo
	v_cndmask_b32_e32 v86, 0, v61, vcc_lo
	s_delay_alu instid0(VALU_DEP_1)
	v_add_nc_u64_e32 v[10:11], v[86:87], v[10:11]
.LBB380_130:                            ;   in Loop: Header=BB380_123 Depth=1
	s_or_b32 exec_lo, exec_lo, s16
	s_wait_dscnt 0x0
	ds_bpermute_b32 v60, v18, v10
	ds_bpermute_b32 v61, v18, v11
	ds_bpermute_b32 v85, v18, v29
	v_and_b32_e32 v86, 1, v28
	s_mov_b32 s16, exec_lo
	s_delay_alu instid0(VALU_DEP_1)
	v_cmp_eq_u32_e64 s17, 1, v86
	v_cmpx_le_u32_e64 v19, v27
	s_cbranch_execz .LBB380_132
; %bb.131:                              ;   in Loop: Header=BB380_123 Depth=1
	v_and_b32_e32 v28, 0xff, v28
	s_delay_alu instid0(VALU_DEP_1) | instskip(SKIP_3) | instid1(VALU_DEP_2)
	v_cmp_eq_u16_e32 vcc_lo, 0, v28
	s_wait_dscnt 0x0
	v_dual_cndmask_b32 v28, 0, v60, vcc_lo :: v_dual_bitop2_b32 v85, 1, v85 bitop3:0x40
	v_cndmask_b32_e32 v29, 0, v61, vcc_lo
	v_cmp_eq_u32_e32 vcc_lo, 1, v85
	s_delay_alu instid0(VALU_DEP_2)
	v_add_nc_u64_e32 v[10:11], v[28:29], v[10:11]
	s_or_b32 s19, s17, vcc_lo
	s_and_not1_b32 s17, s17, exec_lo
	v_cndmask_b32_e64 v28, 0, 1, s19
	v_cndmask_b32_e64 v29, 0, 1, s19
	s_and_b32 s19, s19, exec_lo
	s_delay_alu instid0(SALU_CYCLE_1)
	s_or_b32 s17, s17, s19
.LBB380_132:                            ;   in Loop: Header=BB380_123 Depth=1
	s_or_b32 exec_lo, exec_lo, s16
	s_wait_dscnt 0x2
	ds_bpermute_b32 v60, v20, v10
	s_wait_dscnt 0x2
	ds_bpermute_b32 v61, v20, v11
	;; [unrolled: 2-line block ×3, first 2 shown]
	s_mov_b32 s19, exec_lo
	v_cmpx_le_u32_e64 v21, v27
	s_cbranch_execz .LBB380_134
; %bb.133:                              ;   in Loop: Header=BB380_123 Depth=1
	v_and_b32_e32 v29, 0xff, v28
	s_and_not1_b32 s17, s17, exec_lo
	s_delay_alu instid0(VALU_DEP_1) | instskip(SKIP_4) | instid1(VALU_DEP_3)
	v_cmp_eq_u16_e32 vcc_lo, 0, v29
	v_and_b32_e32 v28, 1, v28
	s_wait_dscnt 0x0
	v_and_b32_e32 v85, 1, v85
	v_cndmask_b32_e32 v29, 0, v61, vcc_lo
	v_cmp_eq_u32_e64 s16, 1, v28
	v_cndmask_b32_e32 v28, 0, v60, vcc_lo
	s_delay_alu instid0(VALU_DEP_4) | instskip(NEXT) | instid1(VALU_DEP_2)
	v_cmp_eq_u32_e32 vcc_lo, 1, v85
	v_add_nc_u64_e32 v[10:11], v[28:29], v[10:11]
	s_or_b32 s16, s16, vcc_lo
	s_delay_alu instid0(SALU_CYCLE_1) | instskip(SKIP_2) | instid1(SALU_CYCLE_1)
	v_cndmask_b32_e64 v28, 0, 1, s16
	v_cndmask_b32_e64 v29, 0, 1, s16
	s_and_b32 s16, s16, exec_lo
	s_or_b32 s17, s17, s16
.LBB380_134:                            ;   in Loop: Header=BB380_123 Depth=1
	s_or_b32 exec_lo, exec_lo, s19
	s_wait_dscnt 0x2
	ds_bpermute_b32 v60, v22, v10
	s_wait_dscnt 0x2
	ds_bpermute_b32 v61, v22, v11
	;; [unrolled: 2-line block ×3, first 2 shown]
	s_mov_b32 s19, exec_lo
	v_cmpx_le_u32_e64 v23, v27
	s_cbranch_execz .LBB380_136
; %bb.135:                              ;   in Loop: Header=BB380_123 Depth=1
	v_and_b32_e32 v29, 0xff, v28
	s_and_not1_b32 s17, s17, exec_lo
	s_delay_alu instid0(VALU_DEP_1) | instskip(SKIP_4) | instid1(VALU_DEP_3)
	v_cmp_eq_u16_e32 vcc_lo, 0, v29
	v_and_b32_e32 v28, 1, v28
	s_wait_dscnt 0x0
	v_and_b32_e32 v85, 1, v85
	v_cndmask_b32_e32 v29, 0, v61, vcc_lo
	v_cmp_eq_u32_e64 s16, 1, v28
	v_cndmask_b32_e32 v28, 0, v60, vcc_lo
	s_delay_alu instid0(VALU_DEP_4) | instskip(NEXT) | instid1(VALU_DEP_2)
	v_cmp_eq_u32_e32 vcc_lo, 1, v85
	v_add_nc_u64_e32 v[10:11], v[28:29], v[10:11]
	s_or_b32 s16, s16, vcc_lo
	s_delay_alu instid0(SALU_CYCLE_1) | instskip(SKIP_2) | instid1(SALU_CYCLE_1)
	v_cndmask_b32_e64 v28, 0, 1, s16
	v_cndmask_b32_e64 v29, 0, 1, s16
	s_and_b32 s16, s16, exec_lo
	s_or_b32 s17, s17, s16
.LBB380_136:                            ;   in Loop: Header=BB380_123 Depth=1
	s_or_b32 exec_lo, exec_lo, s19
	s_wait_dscnt 0x2
	ds_bpermute_b32 v60, v24, v10
	s_wait_dscnt 0x2
	ds_bpermute_b32 v61, v24, v11
	ds_bpermute_b32 v29, v24, v29
	s_mov_b32 s19, exec_lo
	v_cmpx_le_u32_e64 v26, v27
	s_cbranch_execz .LBB380_121
; %bb.137:                              ;   in Loop: Header=BB380_123 Depth=1
	v_and_b32_e32 v27, 0xff, v28
	s_and_not1_b32 s17, s17, exec_lo
	s_delay_alu instid0(VALU_DEP_1) | instskip(SKIP_4) | instid1(VALU_DEP_3)
	v_cmp_eq_u16_e32 vcc_lo, 0, v27
	v_and_b32_e32 v27, 1, v28
	s_wait_dscnt 0x0
	v_dual_cndmask_b32 v28, 0, v60, vcc_lo :: v_dual_bitop2_b32 v85, 1, v29 bitop3:0x40
	v_cndmask_b32_e32 v29, 0, v61, vcc_lo
	v_cmp_eq_u32_e32 vcc_lo, 1, v27
	s_delay_alu instid0(VALU_DEP_3) | instskip(NEXT) | instid1(VALU_DEP_3)
	v_cmp_eq_u32_e64 s16, 1, v85
	v_add_nc_u64_e32 v[10:11], v[28:29], v[10:11]
	s_or_b32 s16, vcc_lo, s16
	s_delay_alu instid0(SALU_CYCLE_1) | instskip(NEXT) | instid1(SALU_CYCLE_1)
	s_and_b32 s16, s16, exec_lo
	s_or_b32 s17, s17, s16
	s_branch .LBB380_121
.LBB380_138:
	s_or_b32 exec_lo, exec_lo, s16
                                        ; implicit-def: $vgpr32_vgpr33
	s_and_saveexec_b32 s16, s1
	s_cbranch_execz .LBB380_37
.LBB380_139:
	flat_load_b64 v[32:33], v0, s[18:19] offset:2048 scale_offset
	s_wait_xcnt 0x0
	s_or_b32 exec_lo, exec_lo, s16
                                        ; implicit-def: $vgpr34_vgpr35
	s_and_saveexec_b32 s1, s4
	s_cbranch_execnz .LBB380_38
.LBB380_140:
	s_or_b32 exec_lo, exec_lo, s1
                                        ; implicit-def: $vgpr36_vgpr37
	s_and_saveexec_b32 s1, s5
	s_cbranch_execz .LBB380_39
.LBB380_141:
	flat_load_b64 v[36:37], v0, s[18:19] offset:6144 scale_offset
	s_wait_xcnt 0x0
	s_or_b32 exec_lo, exec_lo, s1
                                        ; implicit-def: $vgpr38_vgpr39
	s_and_saveexec_b32 s1, s6
	s_cbranch_execnz .LBB380_40
.LBB380_142:
	s_or_b32 exec_lo, exec_lo, s1
                                        ; implicit-def: $vgpr40_vgpr41
	s_and_saveexec_b32 s1, s7
	s_cbranch_execz .LBB380_41
.LBB380_143:
	flat_load_b64 v[40:41], v0, s[18:19] offset:10240 scale_offset
	s_wait_xcnt 0x0
	s_or_b32 exec_lo, exec_lo, s1
                                        ; implicit-def: $vgpr42_vgpr43
	s_and_saveexec_b32 s1, s8
	s_cbranch_execnz .LBB380_42
.LBB380_144:
	s_or_b32 exec_lo, exec_lo, s1
                                        ; implicit-def: $vgpr44_vgpr45
	s_and_saveexec_b32 s1, s9
	s_cbranch_execz .LBB380_43
.LBB380_145:
	flat_load_b64 v[44:45], v0, s[18:19] offset:14336 scale_offset
	s_wait_xcnt 0x0
	s_or_b32 exec_lo, exec_lo, s1
                                        ; implicit-def: $vgpr46_vgpr47
	s_and_saveexec_b32 s1, s10
	s_cbranch_execnz .LBB380_44
.LBB380_146:
	s_or_b32 exec_lo, exec_lo, s1
                                        ; implicit-def: $vgpr48_vgpr49
	s_and_saveexec_b32 s1, s11
	s_cbranch_execz .LBB380_45
.LBB380_147:
	flat_load_b64 v[48:49], v0, s[18:19] offset:18432 scale_offset
	s_wait_xcnt 0x0
	s_or_b32 exec_lo, exec_lo, s1
                                        ; implicit-def: $vgpr50_vgpr51
	s_and_saveexec_b32 s1, s12
	s_cbranch_execnz .LBB380_46
.LBB380_148:
	s_or_b32 exec_lo, exec_lo, s1
                                        ; implicit-def: $vgpr52_vgpr53
	s_and_saveexec_b32 s1, s13
	s_cbranch_execz .LBB380_47
.LBB380_149:
	flat_load_b64 v[52:53], v0, s[18:19] offset:22528 scale_offset
	s_wait_xcnt 0x0
	s_or_b32 exec_lo, exec_lo, s1
                                        ; implicit-def: $vgpr54_vgpr55
	s_and_saveexec_b32 s1, s14
	s_cbranch_execz .LBB380_49
	s_branch .LBB380_48
.LBB380_150:
                                        ; implicit-def: $vgpr60_vgpr61
                                        ; implicit-def: $vgpr26_vgpr27
                                        ; implicit-def: $vgpr24_vgpr25
                                        ; implicit-def: $vgpr20_vgpr21
                                        ; implicit-def: $vgpr16_vgpr17
                                        ; implicit-def: $vgpr8_vgpr9
                                        ; implicit-def: $vgpr12_vgpr13
                                        ; implicit-def: $vgpr4_vgpr5
	s_cbranch_execnz .LBB380_156
	s_branch .LBB380_175
.LBB380_151:
	s_and_saveexec_b32 s16, s15
	s_cbranch_execz .LBB380_153
; %bb.152:
	v_and_b32_e32 v6, 0xff, v13
	s_add_co_i32 s20, s43, 32
	s_mov_b32 s21, 0
	v_mov_b32_e32 v11, s20
	v_bitop3_b16 v10, v13, 1, v25 bitop3:0xc8
	v_cmp_eq_u32_e32 vcc_lo, 0, v6
	s_lshl_b64 s[22:23], s[20:21], 4
	s_delay_alu instid0(SALU_CYCLE_1) | instskip(SKIP_1) | instid1(VALU_DEP_1)
	s_add_nc_u64 s[20:21], s[38:39], s[22:23]
	v_dual_cndmask_b32 v7, 0, v9 :: v_dual_cndmask_b32 v6, 0, v8
	v_add_nc_u64_e32 v[4:5], v[6:7], v[4:5]
	v_dual_mov_b32 v6, 0 :: v_dual_mov_b32 v7, 2
	s_clause 0x1
	global_store_b64 v6, v[4:5], s[20:21]
	global_store_b8 v6, v10, s[20:21] offset:8
	global_wb scope:SCOPE_DEV
	s_wait_storecnt_dscnt 0x0
	global_inv scope:SCOPE_DEV
	s_wait_xcnt 0x0
	global_store_b8 v11, v7, s[40:41] scope:SCOPE_DEV
.LBB380_153:
	s_wait_xcnt 0x0
	s_or_b32 exec_lo, exec_lo, s16
	s_delay_alu instid0(SALU_CYCLE_1)
	s_and_b32 exec_lo, exec_lo, s2
	s_cbranch_execz .LBB380_155
; %bb.154:
	v_mov_b32_e32 v4, 0
	ds_store_b64 v4, v[8:9]
	ds_store_b8 v4, v25 offset:8
.LBB380_155:
	s_or_b32 exec_lo, exec_lo, s18
	s_wait_dscnt 0x0
	v_and_b32_e32 v6, 0xff, v12
	s_wait_loadcnt 0x0
	s_wait_storecnt 0x0
	s_barrier_signal -1
	s_barrier_wait -1
	v_cmp_eq_u16_e32 vcc_lo, 0, v6
	v_mov_b32_e32 v4, 0
	ds_load_b64 v[4:5], v4
	s_wait_dscnt 0x0
	v_dual_cndmask_b32 v7, 0, v5 :: v_dual_cndmask_b32 v6, 0, v4
	s_delay_alu instid0(VALU_DEP_1) | instskip(SKIP_1) | instid1(VALU_DEP_1)
	v_add_nc_u64_e32 v[2:3], v[6:7], v[2:3]
	v_and_b32_e32 v6, 0xff, v1
	v_cmp_eq_u16_e32 vcc_lo, 0, v6
	s_delay_alu instid0(VALU_DEP_3) | instskip(NEXT) | instid1(VALU_DEP_1)
	v_dual_cndmask_b32 v3, v3, v5, s2 :: v_dual_cndmask_b32 v2, v2, v4, s2
	v_dual_cndmask_b32 v5, 0, v3 :: v_dual_cndmask_b32 v4, 0, v2
	s_delay_alu instid0(VALU_DEP_1) | instskip(NEXT) | instid1(VALU_DEP_1)
	v_add_nc_u64_e32 v[4:5], v[4:5], v[58:59]
	v_dual_cndmask_b32 v7, 0, v5, s1 :: v_dual_cndmask_b32 v6, 0, v4, s1
	s_delay_alu instid0(VALU_DEP_1) | instskip(NEXT) | instid1(VALU_DEP_1)
	v_add_nc_u64_e32 v[10:11], v[6:7], v[32:33]
	v_dual_cndmask_b32 v7, 0, v11, s4 :: v_dual_cndmask_b32 v6, 0, v10, s4
	;; [unrolled: 3-line block ×12, first 2 shown]
	s_branch .LBB380_175
.LBB380_156:
	s_cmp_eq_u64 s[46:47], 0
	v_mov_b64_e32 v[28:29], s[44:45]
	s_cselect_b32 s1, -1, 0
	s_cmp_eq_u64 s[30:31], 0
	s_cselect_b32 s4, -1, 0
	s_delay_alu instid0(SALU_CYCLE_1) | instskip(NEXT) | instid1(SALU_CYCLE_1)
	s_or_b32 s1, s1, s4
	s_and_b32 vcc_lo, exec_lo, s1
	s_cbranch_vccnz .LBB380_158
; %bb.157:
	v_mov_b32_e32 v2, 0
	global_load_b64 v[28:29], v2, s[30:31]
.LBB380_158:
	v_cmp_eq_u16_e32 vcc_lo, 0, v84
	v_cmp_eq_u16_e64 s1, 0, v83
	v_cmp_eq_u16_e64 s4, 0, v82
	;; [unrolled: 1-line block ×4, first 2 shown]
	s_wait_xcnt 0x0
	v_dual_cndmask_b32 v3, 0, v59 :: v_dual_cndmask_b32 v2, 0, v58
	v_cmp_eq_u16_e64 s7, 0, v79
	v_cmp_eq_u16_e64 s8, 0, v78
	;; [unrolled: 1-line block ×4, first 2 shown]
	v_add_nc_u64_e32 v[2:3], v[2:3], v[32:33]
	v_cmp_eq_u16_e64 s11, 0, v75
	v_cmp_eq_u16_e64 s12, 0, v74
	;; [unrolled: 1-line block ×3, first 2 shown]
	v_cmp_ne_u16_e64 s19, 0, v71
	v_cmp_eq_u32_e64 s20, 1, v63
	v_cmp_ne_u16_e64 s21, 0, v72
	v_dual_cndmask_b32 v3, 0, v3, s1 :: v_dual_cndmask_b32 v2, 0, v2, s1
	v_cmp_eq_u32_e64 s22, 1, v62
	v_cmp_eq_u32_e64 s23, 1, v68
	v_cmp_ne_u16_e64 s17, 0, v70
	v_cmp_eq_u32_e64 s18, 1, v64
	v_add_nc_u64_e32 v[2:3], v[2:3], v[54:55]
	s_or_b32 s20, s19, s20
	s_or_b32 s21, s21, s22
	v_cmp_eq_u16_e64 s19, 0, v57
	v_cmp_ne_u16_e64 s15, 0, v69
	v_cmp_eq_u32_e64 s16, 1, v66
	s_or_b32 s21, s23, s21
	v_dual_cndmask_b32 v3, 0, v3, s4 :: v_dual_cndmask_b32 v2, 0, v2, s4
	s_or_b32 s17, s17, s18
	s_or_b32 s18, s21, s20
	v_cmp_eq_u32_e64 s14, 1, v67
	s_or_b32 s15, s15, s16
	v_add_nc_u64_e32 v[2:3], v[2:3], v[52:53]
	s_or_b32 s16, s18, s17
	v_and_b32_e32 v4, 0x70, v65
	s_or_b32 s15, s16, s15
	s_mov_b32 s17, exec_lo
	s_or_b32 s14, s15, s14
	s_delay_alu instid0(VALU_DEP_2) | instskip(SKIP_2) | instid1(VALU_DEP_3)
	v_dual_cndmask_b32 v3, 0, v3, s5 :: v_dual_cndmask_b32 v2, 0, v2, s5
	v_lshl_add_u32 v4, v0, 4, v4
	v_cndmask_b32_e64 v9, 0, 1, s14
	v_add_nc_u64_e32 v[2:3], v[2:3], v[50:51]
	s_delay_alu instid0(VALU_DEP_1) | instskip(NEXT) | instid1(VALU_DEP_1)
	v_dual_cndmask_b32 v3, 0, v3, s6 :: v_dual_cndmask_b32 v2, 0, v2, s6
	v_add_nc_u64_e32 v[2:3], v[2:3], v[48:49]
	s_delay_alu instid0(VALU_DEP_1) | instskip(NEXT) | instid1(VALU_DEP_1)
	v_dual_cndmask_b32 v3, 0, v3, s7 :: v_dual_cndmask_b32 v2, 0, v2, s7
	;; [unrolled: 3-line block ×9, first 2 shown]
	v_add_nc_u64_e32 v[2:3], v[2:3], v[44:45]
	ds_store_b64 v4, v[2:3]
	ds_store_b8 v4, v9 offset:8
	s_wait_loadcnt_dscnt 0x0
	s_barrier_signal -1
	s_barrier_wait -1
	v_cmpx_gt_u32_e32 32, v0
	s_cbranch_execz .LBB380_170
; %bb.159:
	v_dual_lshlrev_b32 v4, 2, v0 :: v_dual_lshlrev_b32 v5, 7, v0
	s_delay_alu instid0(VALU_DEP_1) | instskip(NEXT) | instid1(VALU_DEP_1)
	v_and_b32_e32 v4, 0x3f0, v4
	v_add_nc_u32_e32 v8, v4, v5
	ds_load_u8 v11, v8 offset:24
	ds_load_b64 v[4:5], v8
	ds_load_2addr_b64 v[12:15], v8 offset0:2 offset1:4
	ds_load_u8 v20, v8 offset:40
	ds_load_b32 v10, v8 offset:8
	ds_load_u8 v21, v8 offset:56
	ds_load_u8 v22, v8 offset:72
	;; [unrolled: 1-line block ×4, first 2 shown]
	s_wait_dscnt 0x8
	v_cmp_eq_u16_e64 s14, 0, v11
	s_wait_dscnt 0x7
	s_delay_alu instid0(VALU_DEP_1)
	v_dual_cndmask_b32 v7, 0, v5, s14 :: v_dual_cndmask_b32 v6, 0, v4, s14
	s_wait_dscnt 0x5
	v_cmp_eq_u16_e64 s14, 0, v20
	ds_load_2addr_b64 v[16:19], v8 offset0:6 offset1:8
	s_wait_dscnt 0x4
	v_bitop3_b16 v11, v20, v21, v11 bitop3:0xfe
	v_add_nc_u64_e32 v[6:7], v[6:7], v[12:13]
	s_delay_alu instid0(VALU_DEP_1) | instskip(SKIP_1) | instid1(VALU_DEP_2)
	v_dual_cndmask_b32 v7, 0, v7, s14 :: v_dual_cndmask_b32 v6, 0, v6, s14
	v_cmp_eq_u16_e64 s14, 0, v21
	v_add_nc_u64_e32 v[6:7], v[6:7], v[14:15]
	ds_load_2addr_b64 v[12:15], v8 offset0:10 offset1:12
	ds_load_u8 v25, v8 offset:120
	v_dual_cndmask_b32 v7, 0, v7, s14 :: v_dual_cndmask_b32 v6, 0, v6, s14
	s_wait_dscnt 0x5
	v_cmp_eq_u16_e64 s14, 0, v22
	s_wait_dscnt 0x2
	s_delay_alu instid0(VALU_DEP_2) | instskip(SKIP_1) | instid1(VALU_DEP_2)
	v_add_nc_u64_e32 v[6:7], v[6:7], v[16:17]
	v_bitop3_b16 v16, v23, v24, v22 bitop3:0xfe
	v_dual_cndmask_b32 v7, 0, v7, s14 :: v_dual_cndmask_b32 v6, 0, v6, s14
	v_cmp_eq_u16_e64 s14, 0, v23
	s_wait_dscnt 0x0
	s_delay_alu instid0(VALU_DEP_3) | instskip(SKIP_3) | instid1(VALU_DEP_1)
	v_bitop3_b16 v11, v25, v11, v16 bitop3:0xfe
	ds_load_b64 v[16:17], v8 offset:112
	v_cmp_eq_u16_e64 s16, 0, v25
	v_add_nc_u64_e32 v[6:7], v[6:7], v[18:19]
	v_dual_cndmask_b32 v6, 0, v6, s14 :: v_dual_bitop2_b32 v11, 1, v11 bitop3:0x40
	s_delay_alu instid0(VALU_DEP_2) | instskip(SKIP_1) | instid1(VALU_DEP_3)
	v_cndmask_b32_e64 v7, 0, v7, s14
	v_cmp_eq_u16_e64 s14, 0, v24
	v_cmp_eq_u32_e64 s15, 1, v11
	v_and_b32_e32 v11, 0xffffff00, v10
	s_delay_alu instid0(VALU_DEP_4) | instskip(NEXT) | instid1(VALU_DEP_1)
	v_add_nc_u64_e32 v[6:7], v[6:7], v[12:13]
	v_dual_cndmask_b32 v7, 0, v7, s14 :: v_dual_bitop2_b32 v12, 1, v10 bitop3:0x40
	s_delay_alu instid0(VALU_DEP_2) | instskip(NEXT) | instid1(VALU_DEP_2)
	v_cndmask_b32_e64 v6, 0, v6, s14
	v_cmp_eq_u32_e64 s14, 1, v12
	v_mbcnt_lo_u32_b32 v12, -1, 0
	s_delay_alu instid0(VALU_DEP_3) | instskip(SKIP_1) | instid1(SALU_CYCLE_1)
	v_add_nc_u64_e32 v[6:7], v[6:7], v[14:15]
	s_or_b32 s15, s15, s14
	v_cndmask_b32_e64 v14, 0, 1, s15
	v_cndmask_b32_e64 v13, 0, 1, s15
	s_delay_alu instid0(VALU_DEP_3) | instskip(NEXT) | instid1(VALU_DEP_3)
	v_dual_cndmask_b32 v7, 0, v7, s16 :: v_dual_cndmask_b32 v6, 0, v6, s16
	v_or_b32_e32 v15, v11, v14
	v_and_b32_e32 v14, 15, v12
	s_mov_b32 s16, exec_lo
	s_wait_dscnt 0x0
	v_add_nc_u64_e32 v[6:7], v[6:7], v[16:17]
	v_mov_b32_dpp v17, v15 row_shr:1 row_mask:0xf bank_mask:0xf
	s_delay_alu instid0(VALU_DEP_2) | instskip(NEXT) | instid1(VALU_DEP_3)
	v_mov_b32_dpp v16, v6 row_shr:1 row_mask:0xf bank_mask:0xf
	v_mov_b32_dpp v18, v7 row_shr:1 row_mask:0xf bank_mask:0xf
	v_cmpx_ne_u32_e32 0, v14
; %bb.160:
	s_delay_alu instid0(VALU_DEP_4) | instskip(NEXT) | instid1(VALU_DEP_3)
	v_bitop3_b16 v13, v17, v13, 1 bitop3:0xec
	v_cndmask_b32_e64 v17, v18, 0, s15
	v_cndmask_b32_e64 v16, v16, 0, s15
	s_delay_alu instid0(VALU_DEP_3) | instskip(NEXT) | instid1(VALU_DEP_2)
	v_and_b32_e32 v15, 0xffff, v13
	v_add_nc_u64_e32 v[6:7], v[16:17], v[6:7]
	s_delay_alu instid0(VALU_DEP_2)
	v_or_b32_e32 v15, v11, v15
; %bb.161:
	s_or_b32 exec_lo, exec_lo, s16
	s_delay_alu instid0(VALU_DEP_2) | instskip(NEXT) | instid1(VALU_DEP_3)
	v_mov_b32_dpp v16, v6 row_shr:2 row_mask:0xf bank_mask:0xf
	v_mov_b32_dpp v17, v7 row_shr:2 row_mask:0xf bank_mask:0xf
	s_delay_alu instid0(VALU_DEP_3)
	v_mov_b32_dpp v18, v15 row_shr:2 row_mask:0xf bank_mask:0xf
	s_mov_b32 s18, exec_lo
	v_cmpx_lt_u32_e32 1, v14
	s_cbranch_execz .LBB380_163
; %bb.162:
	v_cmp_eq_u16_e64 s14, 0, v13
	v_and_b32_e32 v15, 1, v13
	s_delay_alu instid0(VALU_DEP_2) | instskip(SKIP_1) | instid1(VALU_DEP_3)
	v_dual_cndmask_b32 v17, 0, v17, s14 :: v_dual_bitop2_b32 v18, 1, v18 bitop3:0x40
	v_cndmask_b32_e64 v16, 0, v16, s14
	v_cmp_eq_u32_e64 s15, 1, v15
	s_delay_alu instid0(VALU_DEP_3) | instskip(NEXT) | instid1(VALU_DEP_3)
	v_cmp_eq_u32_e64 s16, 1, v18
	v_add_nc_u64_e32 v[6:7], v[16:17], v[6:7]
	s_or_b32 s14, s15, s16
	s_delay_alu instid0(SALU_CYCLE_1) | instskip(SKIP_1) | instid1(VALU_DEP_2)
	v_cndmask_b32_e64 v15, 0, 1, s14
	v_cndmask_b32_e64 v13, 0, 1, s14
	v_or_b32_e32 v15, v11, v15
.LBB380_163:
	s_or_b32 exec_lo, exec_lo, s18
	s_delay_alu instid0(VALU_DEP_4) | instskip(SKIP_1) | instid1(VALU_DEP_3)
	v_mov_b32_dpp v16, v6 row_shr:4 row_mask:0xf bank_mask:0xf
	v_mov_b32_dpp v17, v7 row_shr:4 row_mask:0xf bank_mask:0xf
	;; [unrolled: 1-line block ×3, first 2 shown]
	s_mov_b32 s18, exec_lo
	v_cmpx_lt_u32_e32 3, v14
	s_cbranch_execz .LBB380_165
; %bb.164:
	v_cmp_eq_u16_e64 s14, 0, v13
	v_and_b32_e32 v15, 1, v13
	s_delay_alu instid0(VALU_DEP_2) | instskip(SKIP_1) | instid1(VALU_DEP_3)
	v_dual_cndmask_b32 v17, 0, v17, s14 :: v_dual_bitop2_b32 v18, 1, v18 bitop3:0x40
	v_cndmask_b32_e64 v16, 0, v16, s14
	v_cmp_eq_u32_e64 s15, 1, v15
	s_delay_alu instid0(VALU_DEP_3) | instskip(NEXT) | instid1(VALU_DEP_3)
	v_cmp_eq_u32_e64 s16, 1, v18
	v_add_nc_u64_e32 v[6:7], v[16:17], v[6:7]
	s_or_b32 s14, s15, s16
	s_delay_alu instid0(SALU_CYCLE_1) | instskip(SKIP_1) | instid1(VALU_DEP_2)
	v_cndmask_b32_e64 v15, 0, 1, s14
	v_cndmask_b32_e64 v13, 0, 1, s14
	v_or_b32_e32 v15, v11, v15
.LBB380_165:
	s_or_b32 exec_lo, exec_lo, s18
	s_delay_alu instid0(VALU_DEP_4) | instskip(SKIP_1) | instid1(VALU_DEP_3)
	v_mov_b32_dpp v16, v6 row_shr:8 row_mask:0xf bank_mask:0xf
	v_mov_b32_dpp v17, v7 row_shr:8 row_mask:0xf bank_mask:0xf
	v_mov_b32_dpp v18, v15 row_shr:8 row_mask:0xf bank_mask:0xf
	s_mov_b32 s18, exec_lo
	v_cmpx_lt_u32_e32 7, v14
	s_cbranch_execz .LBB380_167
; %bb.166:
	v_and_b32_e32 v14, 1, v13
	v_cmp_eq_u16_e64 s14, 0, v13
	v_and_b32_e32 v15, 1, v18
	s_delay_alu instid0(VALU_DEP_3) | instskip(NEXT) | instid1(VALU_DEP_3)
	v_cmp_eq_u32_e64 s15, 1, v14
	v_cndmask_b32_e64 v14, 0, v16, s14
	s_delay_alu instid0(VALU_DEP_3) | instskip(SKIP_2) | instid1(VALU_DEP_1)
	v_cmp_eq_u32_e64 s16, 1, v15
	v_cndmask_b32_e64 v15, 0, v17, s14
	s_or_b32 s14, s15, s16
	v_add_nc_u64_e32 v[6:7], v[14:15], v[6:7]
	v_cndmask_b32_e64 v16, 0, 1, s14
	v_cndmask_b32_e64 v13, 0, 1, s14
	s_delay_alu instid0(VALU_DEP_2)
	v_or_b32_e32 v15, v11, v16
.LBB380_167:
	s_or_b32 exec_lo, exec_lo, s18
	ds_swizzle_b32 v14, v6 offset:swizzle(BROADCAST,32,15)
	ds_swizzle_b32 v16, v7 offset:swizzle(BROADCAST,32,15)
	;; [unrolled: 1-line block ×3, first 2 shown]
	v_and_b32_e32 v17, 16, v12
	s_mov_b32 s16, exec_lo
	s_delay_alu instid0(VALU_DEP_1)
	v_cmpx_ne_u32_e32 0, v17
	s_cbranch_execz .LBB380_169
; %bb.168:
	v_cmp_eq_u16_e64 s14, 0, v13
	v_and_b32_e32 v13, 1, v13
	s_wait_dscnt 0x0
	s_delay_alu instid0(VALU_DEP_2) | instskip(SKIP_1) | instid1(VALU_DEP_3)
	v_dual_cndmask_b32 v14, 0, v14, s14 :: v_dual_bitop2_b32 v17, 1, v15 bitop3:0x40
	v_cndmask_b32_e64 v15, 0, v16, s14
	v_cmp_eq_u32_e64 s14, 1, v13
	s_delay_alu instid0(VALU_DEP_3) | instskip(NEXT) | instid1(VALU_DEP_3)
	v_cmp_eq_u32_e64 s15, 1, v17
	v_add_nc_u64_e32 v[6:7], v[14:15], v[6:7]
	s_or_b32 s14, s14, s15
	s_delay_alu instid0(SALU_CYCLE_1)
	v_cndmask_b32_e64 v13, 0, 1, s14
.LBB380_169:
	s_or_b32 exec_lo, exec_lo, s16
	s_wait_dscnt 0x2
	v_add_nc_u32_e32 v14, -1, v12
	s_delay_alu instid0(VALU_DEP_2) | instskip(NEXT) | instid1(VALU_DEP_2)
	v_and_b32_e32 v13, 0xffff, v13
	; wave barrier
	v_cmp_gt_i32_e64 s14, 0, v14
	s_delay_alu instid0(VALU_DEP_1) | instskip(NEXT) | instid1(VALU_DEP_1)
	v_dual_cndmask_b32 v12, v14, v12, s14 :: v_dual_bitop2_b32 v11, v11, v13 bitop3:0x54
	v_lshlrev_b32_e32 v12, 2, v12
	ds_bpermute_b32 v7, v12, v7
	ds_bpermute_b32 v6, v12, v6
	;; [unrolled: 1-line block ×3, first 2 shown]
	v_and_b32_e32 v12, 0xff, v10
	s_delay_alu instid0(VALU_DEP_1) | instskip(SKIP_1) | instid1(VALU_DEP_1)
	v_cmp_eq_u32_e64 s14, 0, v12
	s_wait_dscnt 0x1
	v_dual_cndmask_b32 v7, 0, v7, s14 :: v_dual_cndmask_b32 v6, 0, v6, s14
	s_delay_alu instid0(VALU_DEP_1) | instskip(SKIP_1) | instid1(VALU_DEP_1)
	v_add_nc_u64_e32 v[4:5], v[6:7], v[4:5]
	s_wait_dscnt 0x0
	v_dual_cndmask_b32 v7, v5, v3, s2 :: v_dual_bitop2_b32 v10, v11, v10 bitop3:0x54
	s_delay_alu instid0(VALU_DEP_1) | instskip(NEXT) | instid1(VALU_DEP_1)
	v_and_b32_e32 v10, 1, v10
	v_dual_cndmask_b32 v6, v4, v2, s2 :: v_dual_cndmask_b32 v9, v10, v9, s2
	ds_store_b64 v8, v[6:7]
	ds_store_b8 v8, v9 offset:8
	; wave barrier
	ds_load_u8 v20, v8 offset:24
	ds_load_2addr_b64 v[2:5], v8 offset0:2 offset1:4
	ds_load_u8 v21, v8 offset:40
	ds_load_u8 v22, v8 offset:56
	;; [unrolled: 1-line block ×5, first 2 shown]
	ds_load_b64 v[14:15], v8 offset:112
	ds_load_u8 v26, v8 offset:120
	s_wait_dscnt 0x8
	v_and_b32_e32 v10, 0xff, v20
	v_bitop3_b16 v44, v20, 1, v9 bitop3:0xc8
	s_wait_dscnt 0x5
	v_and_b32_e32 v18, 0xff, v22
	s_delay_alu instid0(VALU_DEP_3) | instskip(SKIP_3) | instid1(VALU_DEP_3)
	v_cmp_eq_u16_e64 s14, 0, v10
	v_and_b32_e32 v10, 0xff, v21
	s_wait_dscnt 0x3
	v_and_b32_e32 v27, 0xff, v24
	v_dual_cndmask_b32 v7, 0, v7, s14 :: v_dual_cndmask_b32 v6, 0, v6, s14
	s_delay_alu instid0(VALU_DEP_3) | instskip(SKIP_2) | instid1(VALU_DEP_1)
	v_cmp_eq_u16_e64 s14, 0, v10
	ds_load_2addr_b64 v[10:13], v8 offset0:6 offset1:8
	v_add_nc_u64_e32 v[6:7], v[6:7], v[2:3]
	v_dual_cndmask_b32 v3, 0, v7, s14 :: v_dual_cndmask_b32 v2, 0, v6, s14
	v_cmp_eq_u16_e64 s14, 0, v18
	s_delay_alu instid0(VALU_DEP_2) | instskip(SKIP_1) | instid1(VALU_DEP_2)
	v_add_nc_u64_e32 v[16:17], v[2:3], v[4:5]
	v_and_b32_e32 v4, 0xff, v23
	v_dual_cndmask_b32 v3, 0, v17, s14 :: v_dual_cndmask_b32 v2, 0, v16, s14
	s_delay_alu instid0(VALU_DEP_2) | instskip(SKIP_1) | instid1(VALU_DEP_2)
	v_cmp_eq_u16_e64 s14, 0, v4
	s_wait_dscnt 0x0
	v_add_nc_u64_e32 v[10:11], v[2:3], v[10:11]
	ds_load_2addr_b64 v[2:5], v8 offset0:10 offset1:12
	v_dual_cndmask_b32 v19, 0, v11, s14 :: v_dual_cndmask_b32 v18, 0, v10, s14
	v_cmp_eq_u16_e64 s14, 0, v27
	v_and_b32_e32 v27, 0xff, v25
	s_delay_alu instid0(VALU_DEP_3) | instskip(NEXT) | instid1(VALU_DEP_1)
	v_add_nc_u64_e32 v[12:13], v[18:19], v[12:13]
	v_dual_cndmask_b32 v19, 0, v13, s14 :: v_dual_cndmask_b32 v18, 0, v12, s14
	s_delay_alu instid0(VALU_DEP_3) | instskip(SKIP_4) | instid1(VALU_DEP_3)
	v_cmp_eq_u16_e64 s14, 0, v27
	v_or_b32_e32 v27, v20, v9
	v_bitop3_b16 v9, v21, v20, v9 bitop3:0xfe
	s_wait_dscnt 0x0
	v_add_nc_u64_e32 v[2:3], v[18:19], v[2:3]
	v_bitop3_b16 v20, v22, v21, v27 bitop3:0xfe
	v_bitop3_b16 v21, v21, 1, v27 bitop3:0xc8
	;; [unrolled: 1-line block ×4, first 2 shown]
	v_dual_cndmask_b32 v19, 0, v3, s14 :: v_dual_cndmask_b32 v18, 0, v2, s14
	v_cmp_eq_u16_e64 s14, 0, v26
	s_delay_alu instid0(VALU_DEP_3) | instskip(SKIP_1) | instid1(VALU_DEP_4)
	v_bitop3_b16 v22, v25, v24, v9 bitop3:0xfe
	v_bitop3_b16 v9, v24, 1, v9 bitop3:0xc8
	v_add_nc_u64_e32 v[4:5], v[18:19], v[4:5]
	v_bitop3_b16 v18, v24, v23, v20 bitop3:0xfe
	v_bitop3_b16 v20, v23, 1, v20 bitop3:0xc8
	ds_store_2addr_b64 v8, v[6:7], v[16:17] offset0:2 offset1:4
	ds_store_2addr_b64 v8, v[10:11], v[12:13] offset0:6 offset1:8
	;; [unrolled: 1-line block ×3, first 2 shown]
	v_bitop3_b16 v23, v25, 1, v18 bitop3:0xc8
	v_dual_cndmask_b32 v19, 0, v5, s14 :: v_dual_cndmask_b32 v18, 0, v4, s14
	v_bitop3_b16 v22, v26, 1, v22 bitop3:0xc8
	s_delay_alu instid0(VALU_DEP_2)
	v_add_nc_u64_e32 v[2:3], v[18:19], v[14:15]
	ds_store_b8 v8, v44 offset:24
	ds_store_b8 v8, v21 offset:40
	;; [unrolled: 1-line block ×6, first 2 shown]
	ds_store_b64 v8, v[2:3] offset:112
	ds_store_b8 v8, v22 offset:120
.LBB380_170:
	s_or_b32 exec_lo, exec_lo, s17
	v_mov_b64_e32 v[2:3], v[28:29]
	s_wait_dscnt 0x0
	s_barrier_signal -1
	s_barrier_wait -1
	s_and_saveexec_b32 s14, s3
	s_cbranch_execz .LBB380_172
; %bb.171:
	v_add_nc_u32_e32 v2, -1, v0
	s_delay_alu instid0(VALU_DEP_1) | instskip(NEXT) | instid1(VALU_DEP_1)
	v_lshrrev_b32_e32 v3, 1, v2
	v_and_b32_e32 v3, 0x7ffffff0, v3
	s_delay_alu instid0(VALU_DEP_1) | instskip(SKIP_4) | instid1(VALU_DEP_1)
	v_lshl_add_u32 v2, v2, 4, v3
	ds_load_u8 v4, v2 offset:8
	ds_load_b64 v[2:3], v2
	s_wait_dscnt 0x1
	v_cmp_eq_u16_e64 s3, 0, v4
	v_dual_cndmask_b32 v5, 0, v29, s3 :: v_dual_cndmask_b32 v4, 0, v28, s3
	s_wait_dscnt 0x0
	s_delay_alu instid0(VALU_DEP_1)
	v_add_nc_u64_e32 v[2:3], v[4:5], v[2:3]
.LBB380_172:
	s_or_b32 exec_lo, exec_lo, s14
	v_and_b32_e32 v1, 0xff, v1
	s_delay_alu instid0(VALU_DEP_1) | instskip(NEXT) | instid1(VALU_DEP_1)
	v_cmp_eq_u16_e64 s3, 0, v1
	v_dual_cndmask_b32 v5, 0, v3, s3 :: v_dual_cndmask_b32 v4, 0, v2, s3
	s_delay_alu instid0(VALU_DEP_1) | instskip(NEXT) | instid1(VALU_DEP_1)
	v_add_nc_u64_e32 v[4:5], v[4:5], v[58:59]
	v_dual_cndmask_b32 v7, 0, v5 :: v_dual_cndmask_b32 v6, 0, v4
	s_delay_alu instid0(VALU_DEP_1) | instskip(NEXT) | instid1(VALU_DEP_1)
	v_add_nc_u64_e32 v[10:11], v[6:7], v[32:33]
	v_dual_cndmask_b32 v7, 0, v11, s1 :: v_dual_cndmask_b32 v6, 0, v10, s1
	s_delay_alu instid0(VALU_DEP_1) | instskip(NEXT) | instid1(VALU_DEP_1)
	v_add_nc_u64_e32 v[12:13], v[6:7], v[54:55]
	v_dual_cndmask_b32 v7, 0, v13, s4 :: v_dual_cndmask_b32 v6, 0, v12, s4
	;; [unrolled: 3-line block ×11, first 2 shown]
	s_and_saveexec_b32 s1, s2
	s_cbranch_execz .LBB380_174
; %bb.173:
	v_mov_b32_e32 v1, 0
	ds_load_u8 v34, v1 offset:4200
	ds_load_b64 v[32:33], v1 offset:4192
	s_wait_dscnt 0x1
	v_and_b32_e32 v35, 0xffff, v34
	s_delay_alu instid0(VALU_DEP_1) | instskip(SKIP_2) | instid1(VALU_DEP_1)
	v_cmp_eq_u32_e32 vcc_lo, 0, v35
	v_dual_cndmask_b32 v29, 0, v29 :: v_dual_cndmask_b32 v28, 0, v28
	s_wait_dscnt 0x0
	v_add_nc_u64_e32 v[28:29], v[28:29], v[32:33]
	v_mov_b32_e32 v32, 2
	s_clause 0x1
	global_store_b64 v1, v[28:29], s[38:39] offset:512
	global_store_b8 v1, v34, s[38:39] offset:520
	global_wb scope:SCOPE_DEV
	s_wait_storecnt 0x0
	global_inv scope:SCOPE_DEV
	s_wait_xcnt 0x0
	global_store_b8 v1, v32, s[40:41] offset:32 scope:SCOPE_DEV
.LBB380_174:
	s_wait_xcnt 0x0
	s_or_b32 exec_lo, exec_lo, s1
.LBB380_175:
	s_delay_alu instid0(VALU_DEP_1)
	v_add_nc_u64_e32 v[28:29], v[60:61], v[30:31]
	s_add_nc_u64 s[2:3], s[26:27], s[34:35]
	s_and_b32 vcc_lo, exec_lo, s0
	s_add_nc_u64 s[0:1], s[2:3], s[28:29]
	s_cbranch_vccz .LBB380_223
; %bb.176:
	v_mul_u32_u24_e32 v1, 14, v0
	s_add_co_i32 s33, s33, s42
	s_mov_b32 s2, exec_lo
	s_delay_alu instid0(VALU_DEP_1)
	v_cmpx_gt_u32_e64 s33, v1
	s_cbranch_execz .LBB380_196
; %bb.177:
	v_or_b32_e32 v30, 1, v1
	s_mov_b32 s3, exec_lo
	s_delay_alu instid0(VALU_DEP_1)
	v_cmpx_gt_u32_e64 s33, v30
	s_cbranch_execz .LBB380_195
; %bb.178:
	v_add_nc_u32_e32 v30, 2, v1
	s_mov_b32 s4, exec_lo
	s_delay_alu instid0(VALU_DEP_1)
	v_cmpx_gt_u32_e64 s33, v30
	s_cbranch_execz .LBB380_194
; %bb.179:
	v_add_nc_u32_e32 v30, 3, v1
	;; [unrolled: 6-line block ×8, first 2 shown]
	s_mov_b32 s11, exec_lo
	s_delay_alu instid0(VALU_DEP_1)
	v_cmpx_gt_u32_e64 s33, v30
; %bb.186:
	v_add_nc_u32_e32 v30, 10, v1
	s_mov_b32 s12, exec_lo
	s_delay_alu instid0(VALU_DEP_1)
	v_cmpx_gt_u32_e64 s33, v30
	s_or_b32 exec_lo, exec_lo, s12
; %bb.187:
	s_delay_alu instid0(SALU_CYCLE_1)
	s_or_b32 exec_lo, exec_lo, s11
.LBB380_188:
	s_delay_alu instid0(SALU_CYCLE_1)
	s_or_b32 exec_lo, exec_lo, s10
.LBB380_189:
	s_delay_alu instid0(SALU_CYCLE_1)
	s_or_b32 exec_lo, exec_lo, s9
.LBB380_190:
	s_delay_alu instid0(SALU_CYCLE_1)
	s_or_b32 exec_lo, exec_lo, s8
.LBB380_191:
	s_delay_alu instid0(SALU_CYCLE_1)
	s_or_b32 exec_lo, exec_lo, s7
.LBB380_192:
	s_delay_alu instid0(SALU_CYCLE_1)
	s_or_b32 exec_lo, exec_lo, s6
.LBB380_193:
	s_delay_alu instid0(SALU_CYCLE_1)
	s_or_b32 exec_lo, exec_lo, s5
.LBB380_194:
	s_delay_alu instid0(SALU_CYCLE_1)
	s_or_b32 exec_lo, exec_lo, s4
.LBB380_195:
	s_delay_alu instid0(SALU_CYCLE_1)
	s_or_b32 exec_lo, exec_lo, s3
.LBB380_196:
	s_delay_alu instid0(SALU_CYCLE_1)
	s_or_b32 exec_lo, exec_lo, s2
	v_dual_lshlrev_b32 v1, 3, v1 :: v_dual_mov_b32 v57, 0
	s_wait_loadcnt 0x0
	s_wait_storecnt 0x0
	s_barrier_signal -1
	s_barrier_wait -1
	v_mad_i32_i24 v30, 0xffffff98, v0, v1
	ds_store_b128 v1, v[2:5]
	ds_store_b128 v1, v[10:13] offset:16
	ds_store_b128 v1, v[6:9] offset:32
	;; [unrolled: 1-line block ×6, first 2 shown]
	s_wait_dscnt 0x0
	s_barrier_signal -1
	s_barrier_wait -1
	ds_load_2addr_stride64_b64 v[52:55], v30 offset0:4 offset1:8
	ds_load_2addr_stride64_b64 v[48:51], v30 offset0:12 offset1:16
	;; [unrolled: 1-line block ×6, first 2 shown]
	ds_load_b64 v[30:31], v30 offset:26624
	v_add_nc_u64_e32 v[56:57], s[0:1], v[56:57]
	s_mov_b32 s2, exec_lo
	v_cmpx_gt_u32_e64 s33, v0
	s_cbranch_execz .LBB380_198
; %bb.197:
	v_mul_i32_i24_e32 v58, 0xffffff98, v0
	s_delay_alu instid0(VALU_DEP_1)
	v_add_nc_u32_e32 v1, v1, v58
	ds_load_b64 v[58:59], v1
	s_wait_dscnt 0x0
	flat_store_b64 v[56:57], v[58:59]
.LBB380_198:
	s_wait_xcnt 0x0
	s_or_b32 exec_lo, exec_lo, s2
	v_or_b32_e32 v1, 0x100, v0
	s_mov_b32 s2, exec_lo
	s_delay_alu instid0(VALU_DEP_1)
	v_cmpx_gt_u32_e64 s33, v1
	s_cbranch_execz .LBB380_200
; %bb.199:
	s_wait_dscnt 0x6
	flat_store_b64 v[56:57], v[52:53] offset:2048
.LBB380_200:
	s_wait_xcnt 0x0
	s_or_b32 exec_lo, exec_lo, s2
	v_or_b32_e32 v1, 0x200, v0
	s_mov_b32 s2, exec_lo
	s_delay_alu instid0(VALU_DEP_1)
	v_cmpx_gt_u32_e64 s33, v1
	s_cbranch_execz .LBB380_202
; %bb.201:
	s_wait_dscnt 0x6
	flat_store_b64 v[56:57], v[54:55] offset:4096
.LBB380_202:
	s_wait_xcnt 0x0
	s_or_b32 exec_lo, exec_lo, s2
	v_or_b32_e32 v1, 0x300, v0
	s_mov_b32 s2, exec_lo
	s_delay_alu instid0(VALU_DEP_1)
	v_cmpx_gt_u32_e64 s33, v1
	s_cbranch_execz .LBB380_204
; %bb.203:
	s_wait_dscnt 0x5
	flat_store_b64 v[56:57], v[48:49] offset:6144
.LBB380_204:
	s_wait_xcnt 0x0
	s_or_b32 exec_lo, exec_lo, s2
	v_or_b32_e32 v1, 0x400, v0
	s_mov_b32 s2, exec_lo
	s_delay_alu instid0(VALU_DEP_1)
	v_cmpx_gt_u32_e64 s33, v1
	s_cbranch_execz .LBB380_206
; %bb.205:
	s_wait_dscnt 0x5
	flat_store_b64 v[56:57], v[50:51] offset:8192
.LBB380_206:
	s_wait_xcnt 0x0
	s_or_b32 exec_lo, exec_lo, s2
	v_or_b32_e32 v1, 0x500, v0
	s_mov_b32 s2, exec_lo
	s_delay_alu instid0(VALU_DEP_1)
	v_cmpx_gt_u32_e64 s33, v1
	s_cbranch_execz .LBB380_208
; %bb.207:
	s_wait_dscnt 0x4
	flat_store_b64 v[56:57], v[44:45] offset:10240
.LBB380_208:
	s_wait_xcnt 0x0
	s_or_b32 exec_lo, exec_lo, s2
	v_or_b32_e32 v1, 0x600, v0
	s_mov_b32 s2, exec_lo
	s_delay_alu instid0(VALU_DEP_1)
	v_cmpx_gt_u32_e64 s33, v1
	s_cbranch_execz .LBB380_210
; %bb.209:
	s_wait_dscnt 0x4
	flat_store_b64 v[56:57], v[46:47] offset:12288
.LBB380_210:
	s_wait_xcnt 0x0
	s_or_b32 exec_lo, exec_lo, s2
	v_or_b32_e32 v1, 0x700, v0
	s_mov_b32 s2, exec_lo
	s_delay_alu instid0(VALU_DEP_1)
	v_cmpx_gt_u32_e64 s33, v1
	s_cbranch_execz .LBB380_212
; %bb.211:
	s_wait_dscnt 0x3
	flat_store_b64 v[56:57], v[40:41] offset:14336
.LBB380_212:
	s_wait_xcnt 0x0
	s_or_b32 exec_lo, exec_lo, s2
	v_or_b32_e32 v1, 0x800, v0
	s_mov_b32 s2, exec_lo
	s_delay_alu instid0(VALU_DEP_1)
	v_cmpx_gt_u32_e64 s33, v1
	s_cbranch_execz .LBB380_214
; %bb.213:
	s_wait_dscnt 0x3
	flat_store_b64 v[56:57], v[42:43] offset:16384
.LBB380_214:
	s_wait_xcnt 0x0
	s_or_b32 exec_lo, exec_lo, s2
	v_or_b32_e32 v1, 0x900, v0
	s_mov_b32 s2, exec_lo
	s_delay_alu instid0(VALU_DEP_1)
	v_cmpx_gt_u32_e64 s33, v1
	s_cbranch_execz .LBB380_216
; %bb.215:
	s_wait_dscnt 0x2
	flat_store_b64 v[56:57], v[36:37] offset:18432
.LBB380_216:
	s_wait_xcnt 0x0
	s_or_b32 exec_lo, exec_lo, s2
	v_or_b32_e32 v1, 0xa00, v0
	s_mov_b32 s2, exec_lo
	s_delay_alu instid0(VALU_DEP_1)
	v_cmpx_gt_u32_e64 s33, v1
	s_cbranch_execz .LBB380_218
; %bb.217:
	s_wait_dscnt 0x2
	flat_store_b64 v[56:57], v[38:39] offset:20480
.LBB380_218:
	s_wait_xcnt 0x0
	s_or_b32 exec_lo, exec_lo, s2
	v_or_b32_e32 v1, 0xb00, v0
	s_mov_b32 s2, exec_lo
	s_delay_alu instid0(VALU_DEP_1)
	v_cmpx_gt_u32_e64 s33, v1
	s_cbranch_execz .LBB380_220
; %bb.219:
	s_wait_dscnt 0x1
	flat_store_b64 v[56:57], v[32:33] offset:22528
.LBB380_220:
	s_wait_xcnt 0x0
	s_or_b32 exec_lo, exec_lo, s2
	v_or_b32_e32 v1, 0xc00, v0
	s_mov_b32 s2, exec_lo
	s_delay_alu instid0(VALU_DEP_1)
	v_cmpx_gt_u32_e64 s33, v1
	s_cbranch_execz .LBB380_222
; %bb.221:
	s_wait_dscnt 0x1
	flat_store_b64 v[56:57], v[34:35] offset:24576
.LBB380_222:
	s_wait_xcnt 0x0
	s_or_b32 exec_lo, exec_lo, s2
	v_or_b32_e32 v1, 0xd00, v0
	s_delay_alu instid0(VALU_DEP_1)
	v_cmp_gt_u32_e64 s2, s33, v1
	s_branch .LBB380_225
.LBB380_223:
	s_mov_b32 s2, 0
                                        ; implicit-def: $vgpr30_vgpr31
	s_cbranch_execz .LBB380_225
; %bb.224:
	v_mul_u32_u24_e32 v1, 0x70, v0
	s_wait_storecnt 0x0
	s_wait_loadcnt_dscnt 0x0
	s_barrier_signal -1
	s_barrier_wait -1
	ds_store_b128 v1, v[2:5]
	ds_store_b128 v1, v[10:13] offset:16
	v_mul_i32_i24_e32 v2, 0xffffff98, v0
	ds_store_b128 v1, v[6:9] offset:32
	ds_store_b128 v1, v[14:17] offset:48
	;; [unrolled: 1-line block ×5, first 2 shown]
	s_wait_dscnt 0x0
	s_barrier_signal -1
	s_barrier_wait -1
	v_mad_u32_u24 v1, 0x70, v0, v2
	s_or_b32 s2, s2, exec_lo
	ds_load_2addr_stride64_b64 v[2:5], v1 offset1:4
	ds_load_2addr_stride64_b64 v[6:9], v1 offset0:8 offset1:12
	ds_load_2addr_stride64_b64 v[10:13], v1 offset0:16 offset1:20
	;; [unrolled: 1-line block ×6, first 2 shown]
	s_wait_dscnt 0x6
	s_clause 0x1
	flat_store_b64 v0, v[2:3], s[0:1] scale_offset
	flat_store_b64 v0, v[4:5], s[0:1] offset:2048 scale_offset
	s_wait_dscnt 0x7
	s_clause 0x1
	flat_store_b64 v0, v[6:7], s[0:1] offset:4096 scale_offset
	flat_store_b64 v0, v[8:9], s[0:1] offset:6144 scale_offset
	s_wait_dscnt 0x8
	s_clause 0x1
	flat_store_b64 v0, v[10:11], s[0:1] offset:8192 scale_offset
	;; [unrolled: 4-line block ×5, first 2 shown]
	flat_store_b64 v0, v[24:25], s[0:1] offset:22528 scale_offset
	s_wait_dscnt 0xc
	flat_store_b64 v0, v[28:29], s[0:1] offset:24576 scale_offset
.LBB380_225:
	s_wait_xcnt 0x0
	s_delay_alu instid0(VALU_DEP_1)
	s_and_saveexec_b32 s3, s2
	s_cbranch_execz .LBB380_227
; %bb.226:
	s_wait_dscnt 0x0
	flat_store_b64 v0, v[30:31], s[0:1] offset:26624 scale_offset
	s_sendmsg sendmsg(MSG_DEALLOC_VGPRS)
	s_endpgm
.LBB380_227:
	s_sendmsg sendmsg(MSG_DEALLOC_VGPRS)
	s_endpgm
	.section	.rodata,"a",@progbits
	.p2align	6, 0x0
	.amdhsa_kernel _ZN7rocprim17ROCPRIM_400000_NS6detail17trampoline_kernelINS0_14default_configENS1_27scan_by_key_config_selectorIxxEEZZNS1_16scan_by_key_implILNS1_25lookback_scan_determinismE0ELb1ES3_N6thrust23THRUST_200600_302600_NS6detail15normal_iteratorINS9_10device_ptrIxEEEESE_SE_xNS9_4plusIvEENS9_8equal_toIvEExEE10hipError_tPvRmT2_T3_T4_T5_mT6_T7_P12ihipStream_tbENKUlT_T0_E_clISt17integral_constantIbLb0EESY_IbLb1EEEEDaSU_SV_EUlSU_E_NS1_11comp_targetILNS1_3genE0ELNS1_11target_archE4294967295ELNS1_3gpuE0ELNS1_3repE0EEENS1_30default_config_static_selectorELNS0_4arch9wavefront6targetE0EEEvT1_
		.amdhsa_group_segment_fixed_size 32768
		.amdhsa_private_segment_fixed_size 0
		.amdhsa_kernarg_size 136
		.amdhsa_user_sgpr_count 2
		.amdhsa_user_sgpr_dispatch_ptr 0
		.amdhsa_user_sgpr_queue_ptr 0
		.amdhsa_user_sgpr_kernarg_segment_ptr 1
		.amdhsa_user_sgpr_dispatch_id 0
		.amdhsa_user_sgpr_kernarg_preload_length 0
		.amdhsa_user_sgpr_kernarg_preload_offset 0
		.amdhsa_user_sgpr_private_segment_size 0
		.amdhsa_wavefront_size32 1
		.amdhsa_uses_dynamic_stack 0
		.amdhsa_enable_private_segment 0
		.amdhsa_system_sgpr_workgroup_id_x 1
		.amdhsa_system_sgpr_workgroup_id_y 0
		.amdhsa_system_sgpr_workgroup_id_z 0
		.amdhsa_system_sgpr_workgroup_info 0
		.amdhsa_system_vgpr_workitem_id 0
		.amdhsa_next_free_vgpr 113
		.amdhsa_next_free_sgpr 59
		.amdhsa_named_barrier_count 0
		.amdhsa_reserve_vcc 1
		.amdhsa_float_round_mode_32 0
		.amdhsa_float_round_mode_16_64 0
		.amdhsa_float_denorm_mode_32 3
		.amdhsa_float_denorm_mode_16_64 3
		.amdhsa_fp16_overflow 0
		.amdhsa_memory_ordered 1
		.amdhsa_forward_progress 1
		.amdhsa_inst_pref_size 126
		.amdhsa_round_robin_scheduling 0
		.amdhsa_exception_fp_ieee_invalid_op 0
		.amdhsa_exception_fp_denorm_src 0
		.amdhsa_exception_fp_ieee_div_zero 0
		.amdhsa_exception_fp_ieee_overflow 0
		.amdhsa_exception_fp_ieee_underflow 0
		.amdhsa_exception_fp_ieee_inexact 0
		.amdhsa_exception_int_div_zero 0
	.end_amdhsa_kernel
	.section	.text._ZN7rocprim17ROCPRIM_400000_NS6detail17trampoline_kernelINS0_14default_configENS1_27scan_by_key_config_selectorIxxEEZZNS1_16scan_by_key_implILNS1_25lookback_scan_determinismE0ELb1ES3_N6thrust23THRUST_200600_302600_NS6detail15normal_iteratorINS9_10device_ptrIxEEEESE_SE_xNS9_4plusIvEENS9_8equal_toIvEExEE10hipError_tPvRmT2_T3_T4_T5_mT6_T7_P12ihipStream_tbENKUlT_T0_E_clISt17integral_constantIbLb0EESY_IbLb1EEEEDaSU_SV_EUlSU_E_NS1_11comp_targetILNS1_3genE0ELNS1_11target_archE4294967295ELNS1_3gpuE0ELNS1_3repE0EEENS1_30default_config_static_selectorELNS0_4arch9wavefront6targetE0EEEvT1_,"axG",@progbits,_ZN7rocprim17ROCPRIM_400000_NS6detail17trampoline_kernelINS0_14default_configENS1_27scan_by_key_config_selectorIxxEEZZNS1_16scan_by_key_implILNS1_25lookback_scan_determinismE0ELb1ES3_N6thrust23THRUST_200600_302600_NS6detail15normal_iteratorINS9_10device_ptrIxEEEESE_SE_xNS9_4plusIvEENS9_8equal_toIvEExEE10hipError_tPvRmT2_T3_T4_T5_mT6_T7_P12ihipStream_tbENKUlT_T0_E_clISt17integral_constantIbLb0EESY_IbLb1EEEEDaSU_SV_EUlSU_E_NS1_11comp_targetILNS1_3genE0ELNS1_11target_archE4294967295ELNS1_3gpuE0ELNS1_3repE0EEENS1_30default_config_static_selectorELNS0_4arch9wavefront6targetE0EEEvT1_,comdat
.Lfunc_end380:
	.size	_ZN7rocprim17ROCPRIM_400000_NS6detail17trampoline_kernelINS0_14default_configENS1_27scan_by_key_config_selectorIxxEEZZNS1_16scan_by_key_implILNS1_25lookback_scan_determinismE0ELb1ES3_N6thrust23THRUST_200600_302600_NS6detail15normal_iteratorINS9_10device_ptrIxEEEESE_SE_xNS9_4plusIvEENS9_8equal_toIvEExEE10hipError_tPvRmT2_T3_T4_T5_mT6_T7_P12ihipStream_tbENKUlT_T0_E_clISt17integral_constantIbLb0EESY_IbLb1EEEEDaSU_SV_EUlSU_E_NS1_11comp_targetILNS1_3genE0ELNS1_11target_archE4294967295ELNS1_3gpuE0ELNS1_3repE0EEENS1_30default_config_static_selectorELNS0_4arch9wavefront6targetE0EEEvT1_, .Lfunc_end380-_ZN7rocprim17ROCPRIM_400000_NS6detail17trampoline_kernelINS0_14default_configENS1_27scan_by_key_config_selectorIxxEEZZNS1_16scan_by_key_implILNS1_25lookback_scan_determinismE0ELb1ES3_N6thrust23THRUST_200600_302600_NS6detail15normal_iteratorINS9_10device_ptrIxEEEESE_SE_xNS9_4plusIvEENS9_8equal_toIvEExEE10hipError_tPvRmT2_T3_T4_T5_mT6_T7_P12ihipStream_tbENKUlT_T0_E_clISt17integral_constantIbLb0EESY_IbLb1EEEEDaSU_SV_EUlSU_E_NS1_11comp_targetILNS1_3genE0ELNS1_11target_archE4294967295ELNS1_3gpuE0ELNS1_3repE0EEENS1_30default_config_static_selectorELNS0_4arch9wavefront6targetE0EEEvT1_
                                        ; -- End function
	.set _ZN7rocprim17ROCPRIM_400000_NS6detail17trampoline_kernelINS0_14default_configENS1_27scan_by_key_config_selectorIxxEEZZNS1_16scan_by_key_implILNS1_25lookback_scan_determinismE0ELb1ES3_N6thrust23THRUST_200600_302600_NS6detail15normal_iteratorINS9_10device_ptrIxEEEESE_SE_xNS9_4plusIvEENS9_8equal_toIvEExEE10hipError_tPvRmT2_T3_T4_T5_mT6_T7_P12ihipStream_tbENKUlT_T0_E_clISt17integral_constantIbLb0EESY_IbLb1EEEEDaSU_SV_EUlSU_E_NS1_11comp_targetILNS1_3genE0ELNS1_11target_archE4294967295ELNS1_3gpuE0ELNS1_3repE0EEENS1_30default_config_static_selectorELNS0_4arch9wavefront6targetE0EEEvT1_.num_vgpr, 113
	.set _ZN7rocprim17ROCPRIM_400000_NS6detail17trampoline_kernelINS0_14default_configENS1_27scan_by_key_config_selectorIxxEEZZNS1_16scan_by_key_implILNS1_25lookback_scan_determinismE0ELb1ES3_N6thrust23THRUST_200600_302600_NS6detail15normal_iteratorINS9_10device_ptrIxEEEESE_SE_xNS9_4plusIvEENS9_8equal_toIvEExEE10hipError_tPvRmT2_T3_T4_T5_mT6_T7_P12ihipStream_tbENKUlT_T0_E_clISt17integral_constantIbLb0EESY_IbLb1EEEEDaSU_SV_EUlSU_E_NS1_11comp_targetILNS1_3genE0ELNS1_11target_archE4294967295ELNS1_3gpuE0ELNS1_3repE0EEENS1_30default_config_static_selectorELNS0_4arch9wavefront6targetE0EEEvT1_.num_agpr, 0
	.set _ZN7rocprim17ROCPRIM_400000_NS6detail17trampoline_kernelINS0_14default_configENS1_27scan_by_key_config_selectorIxxEEZZNS1_16scan_by_key_implILNS1_25lookback_scan_determinismE0ELb1ES3_N6thrust23THRUST_200600_302600_NS6detail15normal_iteratorINS9_10device_ptrIxEEEESE_SE_xNS9_4plusIvEENS9_8equal_toIvEExEE10hipError_tPvRmT2_T3_T4_T5_mT6_T7_P12ihipStream_tbENKUlT_T0_E_clISt17integral_constantIbLb0EESY_IbLb1EEEEDaSU_SV_EUlSU_E_NS1_11comp_targetILNS1_3genE0ELNS1_11target_archE4294967295ELNS1_3gpuE0ELNS1_3repE0EEENS1_30default_config_static_selectorELNS0_4arch9wavefront6targetE0EEEvT1_.numbered_sgpr, 59
	.set _ZN7rocprim17ROCPRIM_400000_NS6detail17trampoline_kernelINS0_14default_configENS1_27scan_by_key_config_selectorIxxEEZZNS1_16scan_by_key_implILNS1_25lookback_scan_determinismE0ELb1ES3_N6thrust23THRUST_200600_302600_NS6detail15normal_iteratorINS9_10device_ptrIxEEEESE_SE_xNS9_4plusIvEENS9_8equal_toIvEExEE10hipError_tPvRmT2_T3_T4_T5_mT6_T7_P12ihipStream_tbENKUlT_T0_E_clISt17integral_constantIbLb0EESY_IbLb1EEEEDaSU_SV_EUlSU_E_NS1_11comp_targetILNS1_3genE0ELNS1_11target_archE4294967295ELNS1_3gpuE0ELNS1_3repE0EEENS1_30default_config_static_selectorELNS0_4arch9wavefront6targetE0EEEvT1_.num_named_barrier, 0
	.set _ZN7rocprim17ROCPRIM_400000_NS6detail17trampoline_kernelINS0_14default_configENS1_27scan_by_key_config_selectorIxxEEZZNS1_16scan_by_key_implILNS1_25lookback_scan_determinismE0ELb1ES3_N6thrust23THRUST_200600_302600_NS6detail15normal_iteratorINS9_10device_ptrIxEEEESE_SE_xNS9_4plusIvEENS9_8equal_toIvEExEE10hipError_tPvRmT2_T3_T4_T5_mT6_T7_P12ihipStream_tbENKUlT_T0_E_clISt17integral_constantIbLb0EESY_IbLb1EEEEDaSU_SV_EUlSU_E_NS1_11comp_targetILNS1_3genE0ELNS1_11target_archE4294967295ELNS1_3gpuE0ELNS1_3repE0EEENS1_30default_config_static_selectorELNS0_4arch9wavefront6targetE0EEEvT1_.private_seg_size, 0
	.set _ZN7rocprim17ROCPRIM_400000_NS6detail17trampoline_kernelINS0_14default_configENS1_27scan_by_key_config_selectorIxxEEZZNS1_16scan_by_key_implILNS1_25lookback_scan_determinismE0ELb1ES3_N6thrust23THRUST_200600_302600_NS6detail15normal_iteratorINS9_10device_ptrIxEEEESE_SE_xNS9_4plusIvEENS9_8equal_toIvEExEE10hipError_tPvRmT2_T3_T4_T5_mT6_T7_P12ihipStream_tbENKUlT_T0_E_clISt17integral_constantIbLb0EESY_IbLb1EEEEDaSU_SV_EUlSU_E_NS1_11comp_targetILNS1_3genE0ELNS1_11target_archE4294967295ELNS1_3gpuE0ELNS1_3repE0EEENS1_30default_config_static_selectorELNS0_4arch9wavefront6targetE0EEEvT1_.uses_vcc, 1
	.set _ZN7rocprim17ROCPRIM_400000_NS6detail17trampoline_kernelINS0_14default_configENS1_27scan_by_key_config_selectorIxxEEZZNS1_16scan_by_key_implILNS1_25lookback_scan_determinismE0ELb1ES3_N6thrust23THRUST_200600_302600_NS6detail15normal_iteratorINS9_10device_ptrIxEEEESE_SE_xNS9_4plusIvEENS9_8equal_toIvEExEE10hipError_tPvRmT2_T3_T4_T5_mT6_T7_P12ihipStream_tbENKUlT_T0_E_clISt17integral_constantIbLb0EESY_IbLb1EEEEDaSU_SV_EUlSU_E_NS1_11comp_targetILNS1_3genE0ELNS1_11target_archE4294967295ELNS1_3gpuE0ELNS1_3repE0EEENS1_30default_config_static_selectorELNS0_4arch9wavefront6targetE0EEEvT1_.uses_flat_scratch, 1
	.set _ZN7rocprim17ROCPRIM_400000_NS6detail17trampoline_kernelINS0_14default_configENS1_27scan_by_key_config_selectorIxxEEZZNS1_16scan_by_key_implILNS1_25lookback_scan_determinismE0ELb1ES3_N6thrust23THRUST_200600_302600_NS6detail15normal_iteratorINS9_10device_ptrIxEEEESE_SE_xNS9_4plusIvEENS9_8equal_toIvEExEE10hipError_tPvRmT2_T3_T4_T5_mT6_T7_P12ihipStream_tbENKUlT_T0_E_clISt17integral_constantIbLb0EESY_IbLb1EEEEDaSU_SV_EUlSU_E_NS1_11comp_targetILNS1_3genE0ELNS1_11target_archE4294967295ELNS1_3gpuE0ELNS1_3repE0EEENS1_30default_config_static_selectorELNS0_4arch9wavefront6targetE0EEEvT1_.has_dyn_sized_stack, 0
	.set _ZN7rocprim17ROCPRIM_400000_NS6detail17trampoline_kernelINS0_14default_configENS1_27scan_by_key_config_selectorIxxEEZZNS1_16scan_by_key_implILNS1_25lookback_scan_determinismE0ELb1ES3_N6thrust23THRUST_200600_302600_NS6detail15normal_iteratorINS9_10device_ptrIxEEEESE_SE_xNS9_4plusIvEENS9_8equal_toIvEExEE10hipError_tPvRmT2_T3_T4_T5_mT6_T7_P12ihipStream_tbENKUlT_T0_E_clISt17integral_constantIbLb0EESY_IbLb1EEEEDaSU_SV_EUlSU_E_NS1_11comp_targetILNS1_3genE0ELNS1_11target_archE4294967295ELNS1_3gpuE0ELNS1_3repE0EEENS1_30default_config_static_selectorELNS0_4arch9wavefront6targetE0EEEvT1_.has_recursion, 0
	.set _ZN7rocprim17ROCPRIM_400000_NS6detail17trampoline_kernelINS0_14default_configENS1_27scan_by_key_config_selectorIxxEEZZNS1_16scan_by_key_implILNS1_25lookback_scan_determinismE0ELb1ES3_N6thrust23THRUST_200600_302600_NS6detail15normal_iteratorINS9_10device_ptrIxEEEESE_SE_xNS9_4plusIvEENS9_8equal_toIvEExEE10hipError_tPvRmT2_T3_T4_T5_mT6_T7_P12ihipStream_tbENKUlT_T0_E_clISt17integral_constantIbLb0EESY_IbLb1EEEEDaSU_SV_EUlSU_E_NS1_11comp_targetILNS1_3genE0ELNS1_11target_archE4294967295ELNS1_3gpuE0ELNS1_3repE0EEENS1_30default_config_static_selectorELNS0_4arch9wavefront6targetE0EEEvT1_.has_indirect_call, 0
	.section	.AMDGPU.csdata,"",@progbits
; Kernel info:
; codeLenInByte = 16076
; TotalNumSgprs: 61
; NumVgprs: 113
; ScratchSize: 0
; MemoryBound: 0
; FloatMode: 240
; IeeeMode: 1
; LDSByteSize: 32768 bytes/workgroup (compile time only)
; SGPRBlocks: 0
; VGPRBlocks: 7
; NumSGPRsForWavesPerEU: 61
; NumVGPRsForWavesPerEU: 113
; NamedBarCnt: 0
; Occupancy: 8
; WaveLimiterHint : 1
; COMPUTE_PGM_RSRC2:SCRATCH_EN: 0
; COMPUTE_PGM_RSRC2:USER_SGPR: 2
; COMPUTE_PGM_RSRC2:TRAP_HANDLER: 0
; COMPUTE_PGM_RSRC2:TGID_X_EN: 1
; COMPUTE_PGM_RSRC2:TGID_Y_EN: 0
; COMPUTE_PGM_RSRC2:TGID_Z_EN: 0
; COMPUTE_PGM_RSRC2:TIDIG_COMP_CNT: 0
	.section	.text._ZN7rocprim17ROCPRIM_400000_NS6detail17trampoline_kernelINS0_14default_configENS1_27scan_by_key_config_selectorIxxEEZZNS1_16scan_by_key_implILNS1_25lookback_scan_determinismE0ELb1ES3_N6thrust23THRUST_200600_302600_NS6detail15normal_iteratorINS9_10device_ptrIxEEEESE_SE_xNS9_4plusIvEENS9_8equal_toIvEExEE10hipError_tPvRmT2_T3_T4_T5_mT6_T7_P12ihipStream_tbENKUlT_T0_E_clISt17integral_constantIbLb0EESY_IbLb1EEEEDaSU_SV_EUlSU_E_NS1_11comp_targetILNS1_3genE10ELNS1_11target_archE1201ELNS1_3gpuE5ELNS1_3repE0EEENS1_30default_config_static_selectorELNS0_4arch9wavefront6targetE0EEEvT1_,"axG",@progbits,_ZN7rocprim17ROCPRIM_400000_NS6detail17trampoline_kernelINS0_14default_configENS1_27scan_by_key_config_selectorIxxEEZZNS1_16scan_by_key_implILNS1_25lookback_scan_determinismE0ELb1ES3_N6thrust23THRUST_200600_302600_NS6detail15normal_iteratorINS9_10device_ptrIxEEEESE_SE_xNS9_4plusIvEENS9_8equal_toIvEExEE10hipError_tPvRmT2_T3_T4_T5_mT6_T7_P12ihipStream_tbENKUlT_T0_E_clISt17integral_constantIbLb0EESY_IbLb1EEEEDaSU_SV_EUlSU_E_NS1_11comp_targetILNS1_3genE10ELNS1_11target_archE1201ELNS1_3gpuE5ELNS1_3repE0EEENS1_30default_config_static_selectorELNS0_4arch9wavefront6targetE0EEEvT1_,comdat
	.protected	_ZN7rocprim17ROCPRIM_400000_NS6detail17trampoline_kernelINS0_14default_configENS1_27scan_by_key_config_selectorIxxEEZZNS1_16scan_by_key_implILNS1_25lookback_scan_determinismE0ELb1ES3_N6thrust23THRUST_200600_302600_NS6detail15normal_iteratorINS9_10device_ptrIxEEEESE_SE_xNS9_4plusIvEENS9_8equal_toIvEExEE10hipError_tPvRmT2_T3_T4_T5_mT6_T7_P12ihipStream_tbENKUlT_T0_E_clISt17integral_constantIbLb0EESY_IbLb1EEEEDaSU_SV_EUlSU_E_NS1_11comp_targetILNS1_3genE10ELNS1_11target_archE1201ELNS1_3gpuE5ELNS1_3repE0EEENS1_30default_config_static_selectorELNS0_4arch9wavefront6targetE0EEEvT1_ ; -- Begin function _ZN7rocprim17ROCPRIM_400000_NS6detail17trampoline_kernelINS0_14default_configENS1_27scan_by_key_config_selectorIxxEEZZNS1_16scan_by_key_implILNS1_25lookback_scan_determinismE0ELb1ES3_N6thrust23THRUST_200600_302600_NS6detail15normal_iteratorINS9_10device_ptrIxEEEESE_SE_xNS9_4plusIvEENS9_8equal_toIvEExEE10hipError_tPvRmT2_T3_T4_T5_mT6_T7_P12ihipStream_tbENKUlT_T0_E_clISt17integral_constantIbLb0EESY_IbLb1EEEEDaSU_SV_EUlSU_E_NS1_11comp_targetILNS1_3genE10ELNS1_11target_archE1201ELNS1_3gpuE5ELNS1_3repE0EEENS1_30default_config_static_selectorELNS0_4arch9wavefront6targetE0EEEvT1_
	.globl	_ZN7rocprim17ROCPRIM_400000_NS6detail17trampoline_kernelINS0_14default_configENS1_27scan_by_key_config_selectorIxxEEZZNS1_16scan_by_key_implILNS1_25lookback_scan_determinismE0ELb1ES3_N6thrust23THRUST_200600_302600_NS6detail15normal_iteratorINS9_10device_ptrIxEEEESE_SE_xNS9_4plusIvEENS9_8equal_toIvEExEE10hipError_tPvRmT2_T3_T4_T5_mT6_T7_P12ihipStream_tbENKUlT_T0_E_clISt17integral_constantIbLb0EESY_IbLb1EEEEDaSU_SV_EUlSU_E_NS1_11comp_targetILNS1_3genE10ELNS1_11target_archE1201ELNS1_3gpuE5ELNS1_3repE0EEENS1_30default_config_static_selectorELNS0_4arch9wavefront6targetE0EEEvT1_
	.p2align	8
	.type	_ZN7rocprim17ROCPRIM_400000_NS6detail17trampoline_kernelINS0_14default_configENS1_27scan_by_key_config_selectorIxxEEZZNS1_16scan_by_key_implILNS1_25lookback_scan_determinismE0ELb1ES3_N6thrust23THRUST_200600_302600_NS6detail15normal_iteratorINS9_10device_ptrIxEEEESE_SE_xNS9_4plusIvEENS9_8equal_toIvEExEE10hipError_tPvRmT2_T3_T4_T5_mT6_T7_P12ihipStream_tbENKUlT_T0_E_clISt17integral_constantIbLb0EESY_IbLb1EEEEDaSU_SV_EUlSU_E_NS1_11comp_targetILNS1_3genE10ELNS1_11target_archE1201ELNS1_3gpuE5ELNS1_3repE0EEENS1_30default_config_static_selectorELNS0_4arch9wavefront6targetE0EEEvT1_,@function
_ZN7rocprim17ROCPRIM_400000_NS6detail17trampoline_kernelINS0_14default_configENS1_27scan_by_key_config_selectorIxxEEZZNS1_16scan_by_key_implILNS1_25lookback_scan_determinismE0ELb1ES3_N6thrust23THRUST_200600_302600_NS6detail15normal_iteratorINS9_10device_ptrIxEEEESE_SE_xNS9_4plusIvEENS9_8equal_toIvEExEE10hipError_tPvRmT2_T3_T4_T5_mT6_T7_P12ihipStream_tbENKUlT_T0_E_clISt17integral_constantIbLb0EESY_IbLb1EEEEDaSU_SV_EUlSU_E_NS1_11comp_targetILNS1_3genE10ELNS1_11target_archE1201ELNS1_3gpuE5ELNS1_3repE0EEENS1_30default_config_static_selectorELNS0_4arch9wavefront6targetE0EEEvT1_: ; @_ZN7rocprim17ROCPRIM_400000_NS6detail17trampoline_kernelINS0_14default_configENS1_27scan_by_key_config_selectorIxxEEZZNS1_16scan_by_key_implILNS1_25lookback_scan_determinismE0ELb1ES3_N6thrust23THRUST_200600_302600_NS6detail15normal_iteratorINS9_10device_ptrIxEEEESE_SE_xNS9_4plusIvEENS9_8equal_toIvEExEE10hipError_tPvRmT2_T3_T4_T5_mT6_T7_P12ihipStream_tbENKUlT_T0_E_clISt17integral_constantIbLb0EESY_IbLb1EEEEDaSU_SV_EUlSU_E_NS1_11comp_targetILNS1_3genE10ELNS1_11target_archE1201ELNS1_3gpuE5ELNS1_3repE0EEENS1_30default_config_static_selectorELNS0_4arch9wavefront6targetE0EEEvT1_
; %bb.0:
	.section	.rodata,"a",@progbits
	.p2align	6, 0x0
	.amdhsa_kernel _ZN7rocprim17ROCPRIM_400000_NS6detail17trampoline_kernelINS0_14default_configENS1_27scan_by_key_config_selectorIxxEEZZNS1_16scan_by_key_implILNS1_25lookback_scan_determinismE0ELb1ES3_N6thrust23THRUST_200600_302600_NS6detail15normal_iteratorINS9_10device_ptrIxEEEESE_SE_xNS9_4plusIvEENS9_8equal_toIvEExEE10hipError_tPvRmT2_T3_T4_T5_mT6_T7_P12ihipStream_tbENKUlT_T0_E_clISt17integral_constantIbLb0EESY_IbLb1EEEEDaSU_SV_EUlSU_E_NS1_11comp_targetILNS1_3genE10ELNS1_11target_archE1201ELNS1_3gpuE5ELNS1_3repE0EEENS1_30default_config_static_selectorELNS0_4arch9wavefront6targetE0EEEvT1_
		.amdhsa_group_segment_fixed_size 0
		.amdhsa_private_segment_fixed_size 0
		.amdhsa_kernarg_size 136
		.amdhsa_user_sgpr_count 2
		.amdhsa_user_sgpr_dispatch_ptr 0
		.amdhsa_user_sgpr_queue_ptr 0
		.amdhsa_user_sgpr_kernarg_segment_ptr 1
		.amdhsa_user_sgpr_dispatch_id 0
		.amdhsa_user_sgpr_kernarg_preload_length 0
		.amdhsa_user_sgpr_kernarg_preload_offset 0
		.amdhsa_user_sgpr_private_segment_size 0
		.amdhsa_wavefront_size32 1
		.amdhsa_uses_dynamic_stack 0
		.amdhsa_enable_private_segment 0
		.amdhsa_system_sgpr_workgroup_id_x 1
		.amdhsa_system_sgpr_workgroup_id_y 0
		.amdhsa_system_sgpr_workgroup_id_z 0
		.amdhsa_system_sgpr_workgroup_info 0
		.amdhsa_system_vgpr_workitem_id 0
		.amdhsa_next_free_vgpr 1
		.amdhsa_next_free_sgpr 1
		.amdhsa_named_barrier_count 0
		.amdhsa_reserve_vcc 0
		.amdhsa_float_round_mode_32 0
		.amdhsa_float_round_mode_16_64 0
		.amdhsa_float_denorm_mode_32 3
		.amdhsa_float_denorm_mode_16_64 3
		.amdhsa_fp16_overflow 0
		.amdhsa_memory_ordered 1
		.amdhsa_forward_progress 1
		.amdhsa_inst_pref_size 0
		.amdhsa_round_robin_scheduling 0
		.amdhsa_exception_fp_ieee_invalid_op 0
		.amdhsa_exception_fp_denorm_src 0
		.amdhsa_exception_fp_ieee_div_zero 0
		.amdhsa_exception_fp_ieee_overflow 0
		.amdhsa_exception_fp_ieee_underflow 0
		.amdhsa_exception_fp_ieee_inexact 0
		.amdhsa_exception_int_div_zero 0
	.end_amdhsa_kernel
	.section	.text._ZN7rocprim17ROCPRIM_400000_NS6detail17trampoline_kernelINS0_14default_configENS1_27scan_by_key_config_selectorIxxEEZZNS1_16scan_by_key_implILNS1_25lookback_scan_determinismE0ELb1ES3_N6thrust23THRUST_200600_302600_NS6detail15normal_iteratorINS9_10device_ptrIxEEEESE_SE_xNS9_4plusIvEENS9_8equal_toIvEExEE10hipError_tPvRmT2_T3_T4_T5_mT6_T7_P12ihipStream_tbENKUlT_T0_E_clISt17integral_constantIbLb0EESY_IbLb1EEEEDaSU_SV_EUlSU_E_NS1_11comp_targetILNS1_3genE10ELNS1_11target_archE1201ELNS1_3gpuE5ELNS1_3repE0EEENS1_30default_config_static_selectorELNS0_4arch9wavefront6targetE0EEEvT1_,"axG",@progbits,_ZN7rocprim17ROCPRIM_400000_NS6detail17trampoline_kernelINS0_14default_configENS1_27scan_by_key_config_selectorIxxEEZZNS1_16scan_by_key_implILNS1_25lookback_scan_determinismE0ELb1ES3_N6thrust23THRUST_200600_302600_NS6detail15normal_iteratorINS9_10device_ptrIxEEEESE_SE_xNS9_4plusIvEENS9_8equal_toIvEExEE10hipError_tPvRmT2_T3_T4_T5_mT6_T7_P12ihipStream_tbENKUlT_T0_E_clISt17integral_constantIbLb0EESY_IbLb1EEEEDaSU_SV_EUlSU_E_NS1_11comp_targetILNS1_3genE10ELNS1_11target_archE1201ELNS1_3gpuE5ELNS1_3repE0EEENS1_30default_config_static_selectorELNS0_4arch9wavefront6targetE0EEEvT1_,comdat
.Lfunc_end381:
	.size	_ZN7rocprim17ROCPRIM_400000_NS6detail17trampoline_kernelINS0_14default_configENS1_27scan_by_key_config_selectorIxxEEZZNS1_16scan_by_key_implILNS1_25lookback_scan_determinismE0ELb1ES3_N6thrust23THRUST_200600_302600_NS6detail15normal_iteratorINS9_10device_ptrIxEEEESE_SE_xNS9_4plusIvEENS9_8equal_toIvEExEE10hipError_tPvRmT2_T3_T4_T5_mT6_T7_P12ihipStream_tbENKUlT_T0_E_clISt17integral_constantIbLb0EESY_IbLb1EEEEDaSU_SV_EUlSU_E_NS1_11comp_targetILNS1_3genE10ELNS1_11target_archE1201ELNS1_3gpuE5ELNS1_3repE0EEENS1_30default_config_static_selectorELNS0_4arch9wavefront6targetE0EEEvT1_, .Lfunc_end381-_ZN7rocprim17ROCPRIM_400000_NS6detail17trampoline_kernelINS0_14default_configENS1_27scan_by_key_config_selectorIxxEEZZNS1_16scan_by_key_implILNS1_25lookback_scan_determinismE0ELb1ES3_N6thrust23THRUST_200600_302600_NS6detail15normal_iteratorINS9_10device_ptrIxEEEESE_SE_xNS9_4plusIvEENS9_8equal_toIvEExEE10hipError_tPvRmT2_T3_T4_T5_mT6_T7_P12ihipStream_tbENKUlT_T0_E_clISt17integral_constantIbLb0EESY_IbLb1EEEEDaSU_SV_EUlSU_E_NS1_11comp_targetILNS1_3genE10ELNS1_11target_archE1201ELNS1_3gpuE5ELNS1_3repE0EEENS1_30default_config_static_selectorELNS0_4arch9wavefront6targetE0EEEvT1_
                                        ; -- End function
	.set _ZN7rocprim17ROCPRIM_400000_NS6detail17trampoline_kernelINS0_14default_configENS1_27scan_by_key_config_selectorIxxEEZZNS1_16scan_by_key_implILNS1_25lookback_scan_determinismE0ELb1ES3_N6thrust23THRUST_200600_302600_NS6detail15normal_iteratorINS9_10device_ptrIxEEEESE_SE_xNS9_4plusIvEENS9_8equal_toIvEExEE10hipError_tPvRmT2_T3_T4_T5_mT6_T7_P12ihipStream_tbENKUlT_T0_E_clISt17integral_constantIbLb0EESY_IbLb1EEEEDaSU_SV_EUlSU_E_NS1_11comp_targetILNS1_3genE10ELNS1_11target_archE1201ELNS1_3gpuE5ELNS1_3repE0EEENS1_30default_config_static_selectorELNS0_4arch9wavefront6targetE0EEEvT1_.num_vgpr, 0
	.set _ZN7rocprim17ROCPRIM_400000_NS6detail17trampoline_kernelINS0_14default_configENS1_27scan_by_key_config_selectorIxxEEZZNS1_16scan_by_key_implILNS1_25lookback_scan_determinismE0ELb1ES3_N6thrust23THRUST_200600_302600_NS6detail15normal_iteratorINS9_10device_ptrIxEEEESE_SE_xNS9_4plusIvEENS9_8equal_toIvEExEE10hipError_tPvRmT2_T3_T4_T5_mT6_T7_P12ihipStream_tbENKUlT_T0_E_clISt17integral_constantIbLb0EESY_IbLb1EEEEDaSU_SV_EUlSU_E_NS1_11comp_targetILNS1_3genE10ELNS1_11target_archE1201ELNS1_3gpuE5ELNS1_3repE0EEENS1_30default_config_static_selectorELNS0_4arch9wavefront6targetE0EEEvT1_.num_agpr, 0
	.set _ZN7rocprim17ROCPRIM_400000_NS6detail17trampoline_kernelINS0_14default_configENS1_27scan_by_key_config_selectorIxxEEZZNS1_16scan_by_key_implILNS1_25lookback_scan_determinismE0ELb1ES3_N6thrust23THRUST_200600_302600_NS6detail15normal_iteratorINS9_10device_ptrIxEEEESE_SE_xNS9_4plusIvEENS9_8equal_toIvEExEE10hipError_tPvRmT2_T3_T4_T5_mT6_T7_P12ihipStream_tbENKUlT_T0_E_clISt17integral_constantIbLb0EESY_IbLb1EEEEDaSU_SV_EUlSU_E_NS1_11comp_targetILNS1_3genE10ELNS1_11target_archE1201ELNS1_3gpuE5ELNS1_3repE0EEENS1_30default_config_static_selectorELNS0_4arch9wavefront6targetE0EEEvT1_.numbered_sgpr, 0
	.set _ZN7rocprim17ROCPRIM_400000_NS6detail17trampoline_kernelINS0_14default_configENS1_27scan_by_key_config_selectorIxxEEZZNS1_16scan_by_key_implILNS1_25lookback_scan_determinismE0ELb1ES3_N6thrust23THRUST_200600_302600_NS6detail15normal_iteratorINS9_10device_ptrIxEEEESE_SE_xNS9_4plusIvEENS9_8equal_toIvEExEE10hipError_tPvRmT2_T3_T4_T5_mT6_T7_P12ihipStream_tbENKUlT_T0_E_clISt17integral_constantIbLb0EESY_IbLb1EEEEDaSU_SV_EUlSU_E_NS1_11comp_targetILNS1_3genE10ELNS1_11target_archE1201ELNS1_3gpuE5ELNS1_3repE0EEENS1_30default_config_static_selectorELNS0_4arch9wavefront6targetE0EEEvT1_.num_named_barrier, 0
	.set _ZN7rocprim17ROCPRIM_400000_NS6detail17trampoline_kernelINS0_14default_configENS1_27scan_by_key_config_selectorIxxEEZZNS1_16scan_by_key_implILNS1_25lookback_scan_determinismE0ELb1ES3_N6thrust23THRUST_200600_302600_NS6detail15normal_iteratorINS9_10device_ptrIxEEEESE_SE_xNS9_4plusIvEENS9_8equal_toIvEExEE10hipError_tPvRmT2_T3_T4_T5_mT6_T7_P12ihipStream_tbENKUlT_T0_E_clISt17integral_constantIbLb0EESY_IbLb1EEEEDaSU_SV_EUlSU_E_NS1_11comp_targetILNS1_3genE10ELNS1_11target_archE1201ELNS1_3gpuE5ELNS1_3repE0EEENS1_30default_config_static_selectorELNS0_4arch9wavefront6targetE0EEEvT1_.private_seg_size, 0
	.set _ZN7rocprim17ROCPRIM_400000_NS6detail17trampoline_kernelINS0_14default_configENS1_27scan_by_key_config_selectorIxxEEZZNS1_16scan_by_key_implILNS1_25lookback_scan_determinismE0ELb1ES3_N6thrust23THRUST_200600_302600_NS6detail15normal_iteratorINS9_10device_ptrIxEEEESE_SE_xNS9_4plusIvEENS9_8equal_toIvEExEE10hipError_tPvRmT2_T3_T4_T5_mT6_T7_P12ihipStream_tbENKUlT_T0_E_clISt17integral_constantIbLb0EESY_IbLb1EEEEDaSU_SV_EUlSU_E_NS1_11comp_targetILNS1_3genE10ELNS1_11target_archE1201ELNS1_3gpuE5ELNS1_3repE0EEENS1_30default_config_static_selectorELNS0_4arch9wavefront6targetE0EEEvT1_.uses_vcc, 0
	.set _ZN7rocprim17ROCPRIM_400000_NS6detail17trampoline_kernelINS0_14default_configENS1_27scan_by_key_config_selectorIxxEEZZNS1_16scan_by_key_implILNS1_25lookback_scan_determinismE0ELb1ES3_N6thrust23THRUST_200600_302600_NS6detail15normal_iteratorINS9_10device_ptrIxEEEESE_SE_xNS9_4plusIvEENS9_8equal_toIvEExEE10hipError_tPvRmT2_T3_T4_T5_mT6_T7_P12ihipStream_tbENKUlT_T0_E_clISt17integral_constantIbLb0EESY_IbLb1EEEEDaSU_SV_EUlSU_E_NS1_11comp_targetILNS1_3genE10ELNS1_11target_archE1201ELNS1_3gpuE5ELNS1_3repE0EEENS1_30default_config_static_selectorELNS0_4arch9wavefront6targetE0EEEvT1_.uses_flat_scratch, 0
	.set _ZN7rocprim17ROCPRIM_400000_NS6detail17trampoline_kernelINS0_14default_configENS1_27scan_by_key_config_selectorIxxEEZZNS1_16scan_by_key_implILNS1_25lookback_scan_determinismE0ELb1ES3_N6thrust23THRUST_200600_302600_NS6detail15normal_iteratorINS9_10device_ptrIxEEEESE_SE_xNS9_4plusIvEENS9_8equal_toIvEExEE10hipError_tPvRmT2_T3_T4_T5_mT6_T7_P12ihipStream_tbENKUlT_T0_E_clISt17integral_constantIbLb0EESY_IbLb1EEEEDaSU_SV_EUlSU_E_NS1_11comp_targetILNS1_3genE10ELNS1_11target_archE1201ELNS1_3gpuE5ELNS1_3repE0EEENS1_30default_config_static_selectorELNS0_4arch9wavefront6targetE0EEEvT1_.has_dyn_sized_stack, 0
	.set _ZN7rocprim17ROCPRIM_400000_NS6detail17trampoline_kernelINS0_14default_configENS1_27scan_by_key_config_selectorIxxEEZZNS1_16scan_by_key_implILNS1_25lookback_scan_determinismE0ELb1ES3_N6thrust23THRUST_200600_302600_NS6detail15normal_iteratorINS9_10device_ptrIxEEEESE_SE_xNS9_4plusIvEENS9_8equal_toIvEExEE10hipError_tPvRmT2_T3_T4_T5_mT6_T7_P12ihipStream_tbENKUlT_T0_E_clISt17integral_constantIbLb0EESY_IbLb1EEEEDaSU_SV_EUlSU_E_NS1_11comp_targetILNS1_3genE10ELNS1_11target_archE1201ELNS1_3gpuE5ELNS1_3repE0EEENS1_30default_config_static_selectorELNS0_4arch9wavefront6targetE0EEEvT1_.has_recursion, 0
	.set _ZN7rocprim17ROCPRIM_400000_NS6detail17trampoline_kernelINS0_14default_configENS1_27scan_by_key_config_selectorIxxEEZZNS1_16scan_by_key_implILNS1_25lookback_scan_determinismE0ELb1ES3_N6thrust23THRUST_200600_302600_NS6detail15normal_iteratorINS9_10device_ptrIxEEEESE_SE_xNS9_4plusIvEENS9_8equal_toIvEExEE10hipError_tPvRmT2_T3_T4_T5_mT6_T7_P12ihipStream_tbENKUlT_T0_E_clISt17integral_constantIbLb0EESY_IbLb1EEEEDaSU_SV_EUlSU_E_NS1_11comp_targetILNS1_3genE10ELNS1_11target_archE1201ELNS1_3gpuE5ELNS1_3repE0EEENS1_30default_config_static_selectorELNS0_4arch9wavefront6targetE0EEEvT1_.has_indirect_call, 0
	.section	.AMDGPU.csdata,"",@progbits
; Kernel info:
; codeLenInByte = 0
; TotalNumSgprs: 0
; NumVgprs: 0
; ScratchSize: 0
; MemoryBound: 0
; FloatMode: 240
; IeeeMode: 1
; LDSByteSize: 0 bytes/workgroup (compile time only)
; SGPRBlocks: 0
; VGPRBlocks: 0
; NumSGPRsForWavesPerEU: 1
; NumVGPRsForWavesPerEU: 1
; NamedBarCnt: 0
; Occupancy: 16
; WaveLimiterHint : 0
; COMPUTE_PGM_RSRC2:SCRATCH_EN: 0
; COMPUTE_PGM_RSRC2:USER_SGPR: 2
; COMPUTE_PGM_RSRC2:TRAP_HANDLER: 0
; COMPUTE_PGM_RSRC2:TGID_X_EN: 1
; COMPUTE_PGM_RSRC2:TGID_Y_EN: 0
; COMPUTE_PGM_RSRC2:TGID_Z_EN: 0
; COMPUTE_PGM_RSRC2:TIDIG_COMP_CNT: 0
	.section	.text._ZN7rocprim17ROCPRIM_400000_NS6detail17trampoline_kernelINS0_14default_configENS1_27scan_by_key_config_selectorIxxEEZZNS1_16scan_by_key_implILNS1_25lookback_scan_determinismE0ELb1ES3_N6thrust23THRUST_200600_302600_NS6detail15normal_iteratorINS9_10device_ptrIxEEEESE_SE_xNS9_4plusIvEENS9_8equal_toIvEExEE10hipError_tPvRmT2_T3_T4_T5_mT6_T7_P12ihipStream_tbENKUlT_T0_E_clISt17integral_constantIbLb0EESY_IbLb1EEEEDaSU_SV_EUlSU_E_NS1_11comp_targetILNS1_3genE5ELNS1_11target_archE942ELNS1_3gpuE9ELNS1_3repE0EEENS1_30default_config_static_selectorELNS0_4arch9wavefront6targetE0EEEvT1_,"axG",@progbits,_ZN7rocprim17ROCPRIM_400000_NS6detail17trampoline_kernelINS0_14default_configENS1_27scan_by_key_config_selectorIxxEEZZNS1_16scan_by_key_implILNS1_25lookback_scan_determinismE0ELb1ES3_N6thrust23THRUST_200600_302600_NS6detail15normal_iteratorINS9_10device_ptrIxEEEESE_SE_xNS9_4plusIvEENS9_8equal_toIvEExEE10hipError_tPvRmT2_T3_T4_T5_mT6_T7_P12ihipStream_tbENKUlT_T0_E_clISt17integral_constantIbLb0EESY_IbLb1EEEEDaSU_SV_EUlSU_E_NS1_11comp_targetILNS1_3genE5ELNS1_11target_archE942ELNS1_3gpuE9ELNS1_3repE0EEENS1_30default_config_static_selectorELNS0_4arch9wavefront6targetE0EEEvT1_,comdat
	.protected	_ZN7rocprim17ROCPRIM_400000_NS6detail17trampoline_kernelINS0_14default_configENS1_27scan_by_key_config_selectorIxxEEZZNS1_16scan_by_key_implILNS1_25lookback_scan_determinismE0ELb1ES3_N6thrust23THRUST_200600_302600_NS6detail15normal_iteratorINS9_10device_ptrIxEEEESE_SE_xNS9_4plusIvEENS9_8equal_toIvEExEE10hipError_tPvRmT2_T3_T4_T5_mT6_T7_P12ihipStream_tbENKUlT_T0_E_clISt17integral_constantIbLb0EESY_IbLb1EEEEDaSU_SV_EUlSU_E_NS1_11comp_targetILNS1_3genE5ELNS1_11target_archE942ELNS1_3gpuE9ELNS1_3repE0EEENS1_30default_config_static_selectorELNS0_4arch9wavefront6targetE0EEEvT1_ ; -- Begin function _ZN7rocprim17ROCPRIM_400000_NS6detail17trampoline_kernelINS0_14default_configENS1_27scan_by_key_config_selectorIxxEEZZNS1_16scan_by_key_implILNS1_25lookback_scan_determinismE0ELb1ES3_N6thrust23THRUST_200600_302600_NS6detail15normal_iteratorINS9_10device_ptrIxEEEESE_SE_xNS9_4plusIvEENS9_8equal_toIvEExEE10hipError_tPvRmT2_T3_T4_T5_mT6_T7_P12ihipStream_tbENKUlT_T0_E_clISt17integral_constantIbLb0EESY_IbLb1EEEEDaSU_SV_EUlSU_E_NS1_11comp_targetILNS1_3genE5ELNS1_11target_archE942ELNS1_3gpuE9ELNS1_3repE0EEENS1_30default_config_static_selectorELNS0_4arch9wavefront6targetE0EEEvT1_
	.globl	_ZN7rocprim17ROCPRIM_400000_NS6detail17trampoline_kernelINS0_14default_configENS1_27scan_by_key_config_selectorIxxEEZZNS1_16scan_by_key_implILNS1_25lookback_scan_determinismE0ELb1ES3_N6thrust23THRUST_200600_302600_NS6detail15normal_iteratorINS9_10device_ptrIxEEEESE_SE_xNS9_4plusIvEENS9_8equal_toIvEExEE10hipError_tPvRmT2_T3_T4_T5_mT6_T7_P12ihipStream_tbENKUlT_T0_E_clISt17integral_constantIbLb0EESY_IbLb1EEEEDaSU_SV_EUlSU_E_NS1_11comp_targetILNS1_3genE5ELNS1_11target_archE942ELNS1_3gpuE9ELNS1_3repE0EEENS1_30default_config_static_selectorELNS0_4arch9wavefront6targetE0EEEvT1_
	.p2align	8
	.type	_ZN7rocprim17ROCPRIM_400000_NS6detail17trampoline_kernelINS0_14default_configENS1_27scan_by_key_config_selectorIxxEEZZNS1_16scan_by_key_implILNS1_25lookback_scan_determinismE0ELb1ES3_N6thrust23THRUST_200600_302600_NS6detail15normal_iteratorINS9_10device_ptrIxEEEESE_SE_xNS9_4plusIvEENS9_8equal_toIvEExEE10hipError_tPvRmT2_T3_T4_T5_mT6_T7_P12ihipStream_tbENKUlT_T0_E_clISt17integral_constantIbLb0EESY_IbLb1EEEEDaSU_SV_EUlSU_E_NS1_11comp_targetILNS1_3genE5ELNS1_11target_archE942ELNS1_3gpuE9ELNS1_3repE0EEENS1_30default_config_static_selectorELNS0_4arch9wavefront6targetE0EEEvT1_,@function
_ZN7rocprim17ROCPRIM_400000_NS6detail17trampoline_kernelINS0_14default_configENS1_27scan_by_key_config_selectorIxxEEZZNS1_16scan_by_key_implILNS1_25lookback_scan_determinismE0ELb1ES3_N6thrust23THRUST_200600_302600_NS6detail15normal_iteratorINS9_10device_ptrIxEEEESE_SE_xNS9_4plusIvEENS9_8equal_toIvEExEE10hipError_tPvRmT2_T3_T4_T5_mT6_T7_P12ihipStream_tbENKUlT_T0_E_clISt17integral_constantIbLb0EESY_IbLb1EEEEDaSU_SV_EUlSU_E_NS1_11comp_targetILNS1_3genE5ELNS1_11target_archE942ELNS1_3gpuE9ELNS1_3repE0EEENS1_30default_config_static_selectorELNS0_4arch9wavefront6targetE0EEEvT1_: ; @_ZN7rocprim17ROCPRIM_400000_NS6detail17trampoline_kernelINS0_14default_configENS1_27scan_by_key_config_selectorIxxEEZZNS1_16scan_by_key_implILNS1_25lookback_scan_determinismE0ELb1ES3_N6thrust23THRUST_200600_302600_NS6detail15normal_iteratorINS9_10device_ptrIxEEEESE_SE_xNS9_4plusIvEENS9_8equal_toIvEExEE10hipError_tPvRmT2_T3_T4_T5_mT6_T7_P12ihipStream_tbENKUlT_T0_E_clISt17integral_constantIbLb0EESY_IbLb1EEEEDaSU_SV_EUlSU_E_NS1_11comp_targetILNS1_3genE5ELNS1_11target_archE942ELNS1_3gpuE9ELNS1_3repE0EEENS1_30default_config_static_selectorELNS0_4arch9wavefront6targetE0EEEvT1_
; %bb.0:
	.section	.rodata,"a",@progbits
	.p2align	6, 0x0
	.amdhsa_kernel _ZN7rocprim17ROCPRIM_400000_NS6detail17trampoline_kernelINS0_14default_configENS1_27scan_by_key_config_selectorIxxEEZZNS1_16scan_by_key_implILNS1_25lookback_scan_determinismE0ELb1ES3_N6thrust23THRUST_200600_302600_NS6detail15normal_iteratorINS9_10device_ptrIxEEEESE_SE_xNS9_4plusIvEENS9_8equal_toIvEExEE10hipError_tPvRmT2_T3_T4_T5_mT6_T7_P12ihipStream_tbENKUlT_T0_E_clISt17integral_constantIbLb0EESY_IbLb1EEEEDaSU_SV_EUlSU_E_NS1_11comp_targetILNS1_3genE5ELNS1_11target_archE942ELNS1_3gpuE9ELNS1_3repE0EEENS1_30default_config_static_selectorELNS0_4arch9wavefront6targetE0EEEvT1_
		.amdhsa_group_segment_fixed_size 0
		.amdhsa_private_segment_fixed_size 0
		.amdhsa_kernarg_size 136
		.amdhsa_user_sgpr_count 2
		.amdhsa_user_sgpr_dispatch_ptr 0
		.amdhsa_user_sgpr_queue_ptr 0
		.amdhsa_user_sgpr_kernarg_segment_ptr 1
		.amdhsa_user_sgpr_dispatch_id 0
		.amdhsa_user_sgpr_kernarg_preload_length 0
		.amdhsa_user_sgpr_kernarg_preload_offset 0
		.amdhsa_user_sgpr_private_segment_size 0
		.amdhsa_wavefront_size32 1
		.amdhsa_uses_dynamic_stack 0
		.amdhsa_enable_private_segment 0
		.amdhsa_system_sgpr_workgroup_id_x 1
		.amdhsa_system_sgpr_workgroup_id_y 0
		.amdhsa_system_sgpr_workgroup_id_z 0
		.amdhsa_system_sgpr_workgroup_info 0
		.amdhsa_system_vgpr_workitem_id 0
		.amdhsa_next_free_vgpr 1
		.amdhsa_next_free_sgpr 1
		.amdhsa_named_barrier_count 0
		.amdhsa_reserve_vcc 0
		.amdhsa_float_round_mode_32 0
		.amdhsa_float_round_mode_16_64 0
		.amdhsa_float_denorm_mode_32 3
		.amdhsa_float_denorm_mode_16_64 3
		.amdhsa_fp16_overflow 0
		.amdhsa_memory_ordered 1
		.amdhsa_forward_progress 1
		.amdhsa_inst_pref_size 0
		.amdhsa_round_robin_scheduling 0
		.amdhsa_exception_fp_ieee_invalid_op 0
		.amdhsa_exception_fp_denorm_src 0
		.amdhsa_exception_fp_ieee_div_zero 0
		.amdhsa_exception_fp_ieee_overflow 0
		.amdhsa_exception_fp_ieee_underflow 0
		.amdhsa_exception_fp_ieee_inexact 0
		.amdhsa_exception_int_div_zero 0
	.end_amdhsa_kernel
	.section	.text._ZN7rocprim17ROCPRIM_400000_NS6detail17trampoline_kernelINS0_14default_configENS1_27scan_by_key_config_selectorIxxEEZZNS1_16scan_by_key_implILNS1_25lookback_scan_determinismE0ELb1ES3_N6thrust23THRUST_200600_302600_NS6detail15normal_iteratorINS9_10device_ptrIxEEEESE_SE_xNS9_4plusIvEENS9_8equal_toIvEExEE10hipError_tPvRmT2_T3_T4_T5_mT6_T7_P12ihipStream_tbENKUlT_T0_E_clISt17integral_constantIbLb0EESY_IbLb1EEEEDaSU_SV_EUlSU_E_NS1_11comp_targetILNS1_3genE5ELNS1_11target_archE942ELNS1_3gpuE9ELNS1_3repE0EEENS1_30default_config_static_selectorELNS0_4arch9wavefront6targetE0EEEvT1_,"axG",@progbits,_ZN7rocprim17ROCPRIM_400000_NS6detail17trampoline_kernelINS0_14default_configENS1_27scan_by_key_config_selectorIxxEEZZNS1_16scan_by_key_implILNS1_25lookback_scan_determinismE0ELb1ES3_N6thrust23THRUST_200600_302600_NS6detail15normal_iteratorINS9_10device_ptrIxEEEESE_SE_xNS9_4plusIvEENS9_8equal_toIvEExEE10hipError_tPvRmT2_T3_T4_T5_mT6_T7_P12ihipStream_tbENKUlT_T0_E_clISt17integral_constantIbLb0EESY_IbLb1EEEEDaSU_SV_EUlSU_E_NS1_11comp_targetILNS1_3genE5ELNS1_11target_archE942ELNS1_3gpuE9ELNS1_3repE0EEENS1_30default_config_static_selectorELNS0_4arch9wavefront6targetE0EEEvT1_,comdat
.Lfunc_end382:
	.size	_ZN7rocprim17ROCPRIM_400000_NS6detail17trampoline_kernelINS0_14default_configENS1_27scan_by_key_config_selectorIxxEEZZNS1_16scan_by_key_implILNS1_25lookback_scan_determinismE0ELb1ES3_N6thrust23THRUST_200600_302600_NS6detail15normal_iteratorINS9_10device_ptrIxEEEESE_SE_xNS9_4plusIvEENS9_8equal_toIvEExEE10hipError_tPvRmT2_T3_T4_T5_mT6_T7_P12ihipStream_tbENKUlT_T0_E_clISt17integral_constantIbLb0EESY_IbLb1EEEEDaSU_SV_EUlSU_E_NS1_11comp_targetILNS1_3genE5ELNS1_11target_archE942ELNS1_3gpuE9ELNS1_3repE0EEENS1_30default_config_static_selectorELNS0_4arch9wavefront6targetE0EEEvT1_, .Lfunc_end382-_ZN7rocprim17ROCPRIM_400000_NS6detail17trampoline_kernelINS0_14default_configENS1_27scan_by_key_config_selectorIxxEEZZNS1_16scan_by_key_implILNS1_25lookback_scan_determinismE0ELb1ES3_N6thrust23THRUST_200600_302600_NS6detail15normal_iteratorINS9_10device_ptrIxEEEESE_SE_xNS9_4plusIvEENS9_8equal_toIvEExEE10hipError_tPvRmT2_T3_T4_T5_mT6_T7_P12ihipStream_tbENKUlT_T0_E_clISt17integral_constantIbLb0EESY_IbLb1EEEEDaSU_SV_EUlSU_E_NS1_11comp_targetILNS1_3genE5ELNS1_11target_archE942ELNS1_3gpuE9ELNS1_3repE0EEENS1_30default_config_static_selectorELNS0_4arch9wavefront6targetE0EEEvT1_
                                        ; -- End function
	.set _ZN7rocprim17ROCPRIM_400000_NS6detail17trampoline_kernelINS0_14default_configENS1_27scan_by_key_config_selectorIxxEEZZNS1_16scan_by_key_implILNS1_25lookback_scan_determinismE0ELb1ES3_N6thrust23THRUST_200600_302600_NS6detail15normal_iteratorINS9_10device_ptrIxEEEESE_SE_xNS9_4plusIvEENS9_8equal_toIvEExEE10hipError_tPvRmT2_T3_T4_T5_mT6_T7_P12ihipStream_tbENKUlT_T0_E_clISt17integral_constantIbLb0EESY_IbLb1EEEEDaSU_SV_EUlSU_E_NS1_11comp_targetILNS1_3genE5ELNS1_11target_archE942ELNS1_3gpuE9ELNS1_3repE0EEENS1_30default_config_static_selectorELNS0_4arch9wavefront6targetE0EEEvT1_.num_vgpr, 0
	.set _ZN7rocprim17ROCPRIM_400000_NS6detail17trampoline_kernelINS0_14default_configENS1_27scan_by_key_config_selectorIxxEEZZNS1_16scan_by_key_implILNS1_25lookback_scan_determinismE0ELb1ES3_N6thrust23THRUST_200600_302600_NS6detail15normal_iteratorINS9_10device_ptrIxEEEESE_SE_xNS9_4plusIvEENS9_8equal_toIvEExEE10hipError_tPvRmT2_T3_T4_T5_mT6_T7_P12ihipStream_tbENKUlT_T0_E_clISt17integral_constantIbLb0EESY_IbLb1EEEEDaSU_SV_EUlSU_E_NS1_11comp_targetILNS1_3genE5ELNS1_11target_archE942ELNS1_3gpuE9ELNS1_3repE0EEENS1_30default_config_static_selectorELNS0_4arch9wavefront6targetE0EEEvT1_.num_agpr, 0
	.set _ZN7rocprim17ROCPRIM_400000_NS6detail17trampoline_kernelINS0_14default_configENS1_27scan_by_key_config_selectorIxxEEZZNS1_16scan_by_key_implILNS1_25lookback_scan_determinismE0ELb1ES3_N6thrust23THRUST_200600_302600_NS6detail15normal_iteratorINS9_10device_ptrIxEEEESE_SE_xNS9_4plusIvEENS9_8equal_toIvEExEE10hipError_tPvRmT2_T3_T4_T5_mT6_T7_P12ihipStream_tbENKUlT_T0_E_clISt17integral_constantIbLb0EESY_IbLb1EEEEDaSU_SV_EUlSU_E_NS1_11comp_targetILNS1_3genE5ELNS1_11target_archE942ELNS1_3gpuE9ELNS1_3repE0EEENS1_30default_config_static_selectorELNS0_4arch9wavefront6targetE0EEEvT1_.numbered_sgpr, 0
	.set _ZN7rocprim17ROCPRIM_400000_NS6detail17trampoline_kernelINS0_14default_configENS1_27scan_by_key_config_selectorIxxEEZZNS1_16scan_by_key_implILNS1_25lookback_scan_determinismE0ELb1ES3_N6thrust23THRUST_200600_302600_NS6detail15normal_iteratorINS9_10device_ptrIxEEEESE_SE_xNS9_4plusIvEENS9_8equal_toIvEExEE10hipError_tPvRmT2_T3_T4_T5_mT6_T7_P12ihipStream_tbENKUlT_T0_E_clISt17integral_constantIbLb0EESY_IbLb1EEEEDaSU_SV_EUlSU_E_NS1_11comp_targetILNS1_3genE5ELNS1_11target_archE942ELNS1_3gpuE9ELNS1_3repE0EEENS1_30default_config_static_selectorELNS0_4arch9wavefront6targetE0EEEvT1_.num_named_barrier, 0
	.set _ZN7rocprim17ROCPRIM_400000_NS6detail17trampoline_kernelINS0_14default_configENS1_27scan_by_key_config_selectorIxxEEZZNS1_16scan_by_key_implILNS1_25lookback_scan_determinismE0ELb1ES3_N6thrust23THRUST_200600_302600_NS6detail15normal_iteratorINS9_10device_ptrIxEEEESE_SE_xNS9_4plusIvEENS9_8equal_toIvEExEE10hipError_tPvRmT2_T3_T4_T5_mT6_T7_P12ihipStream_tbENKUlT_T0_E_clISt17integral_constantIbLb0EESY_IbLb1EEEEDaSU_SV_EUlSU_E_NS1_11comp_targetILNS1_3genE5ELNS1_11target_archE942ELNS1_3gpuE9ELNS1_3repE0EEENS1_30default_config_static_selectorELNS0_4arch9wavefront6targetE0EEEvT1_.private_seg_size, 0
	.set _ZN7rocprim17ROCPRIM_400000_NS6detail17trampoline_kernelINS0_14default_configENS1_27scan_by_key_config_selectorIxxEEZZNS1_16scan_by_key_implILNS1_25lookback_scan_determinismE0ELb1ES3_N6thrust23THRUST_200600_302600_NS6detail15normal_iteratorINS9_10device_ptrIxEEEESE_SE_xNS9_4plusIvEENS9_8equal_toIvEExEE10hipError_tPvRmT2_T3_T4_T5_mT6_T7_P12ihipStream_tbENKUlT_T0_E_clISt17integral_constantIbLb0EESY_IbLb1EEEEDaSU_SV_EUlSU_E_NS1_11comp_targetILNS1_3genE5ELNS1_11target_archE942ELNS1_3gpuE9ELNS1_3repE0EEENS1_30default_config_static_selectorELNS0_4arch9wavefront6targetE0EEEvT1_.uses_vcc, 0
	.set _ZN7rocprim17ROCPRIM_400000_NS6detail17trampoline_kernelINS0_14default_configENS1_27scan_by_key_config_selectorIxxEEZZNS1_16scan_by_key_implILNS1_25lookback_scan_determinismE0ELb1ES3_N6thrust23THRUST_200600_302600_NS6detail15normal_iteratorINS9_10device_ptrIxEEEESE_SE_xNS9_4plusIvEENS9_8equal_toIvEExEE10hipError_tPvRmT2_T3_T4_T5_mT6_T7_P12ihipStream_tbENKUlT_T0_E_clISt17integral_constantIbLb0EESY_IbLb1EEEEDaSU_SV_EUlSU_E_NS1_11comp_targetILNS1_3genE5ELNS1_11target_archE942ELNS1_3gpuE9ELNS1_3repE0EEENS1_30default_config_static_selectorELNS0_4arch9wavefront6targetE0EEEvT1_.uses_flat_scratch, 0
	.set _ZN7rocprim17ROCPRIM_400000_NS6detail17trampoline_kernelINS0_14default_configENS1_27scan_by_key_config_selectorIxxEEZZNS1_16scan_by_key_implILNS1_25lookback_scan_determinismE0ELb1ES3_N6thrust23THRUST_200600_302600_NS6detail15normal_iteratorINS9_10device_ptrIxEEEESE_SE_xNS9_4plusIvEENS9_8equal_toIvEExEE10hipError_tPvRmT2_T3_T4_T5_mT6_T7_P12ihipStream_tbENKUlT_T0_E_clISt17integral_constantIbLb0EESY_IbLb1EEEEDaSU_SV_EUlSU_E_NS1_11comp_targetILNS1_3genE5ELNS1_11target_archE942ELNS1_3gpuE9ELNS1_3repE0EEENS1_30default_config_static_selectorELNS0_4arch9wavefront6targetE0EEEvT1_.has_dyn_sized_stack, 0
	.set _ZN7rocprim17ROCPRIM_400000_NS6detail17trampoline_kernelINS0_14default_configENS1_27scan_by_key_config_selectorIxxEEZZNS1_16scan_by_key_implILNS1_25lookback_scan_determinismE0ELb1ES3_N6thrust23THRUST_200600_302600_NS6detail15normal_iteratorINS9_10device_ptrIxEEEESE_SE_xNS9_4plusIvEENS9_8equal_toIvEExEE10hipError_tPvRmT2_T3_T4_T5_mT6_T7_P12ihipStream_tbENKUlT_T0_E_clISt17integral_constantIbLb0EESY_IbLb1EEEEDaSU_SV_EUlSU_E_NS1_11comp_targetILNS1_3genE5ELNS1_11target_archE942ELNS1_3gpuE9ELNS1_3repE0EEENS1_30default_config_static_selectorELNS0_4arch9wavefront6targetE0EEEvT1_.has_recursion, 0
	.set _ZN7rocprim17ROCPRIM_400000_NS6detail17trampoline_kernelINS0_14default_configENS1_27scan_by_key_config_selectorIxxEEZZNS1_16scan_by_key_implILNS1_25lookback_scan_determinismE0ELb1ES3_N6thrust23THRUST_200600_302600_NS6detail15normal_iteratorINS9_10device_ptrIxEEEESE_SE_xNS9_4plusIvEENS9_8equal_toIvEExEE10hipError_tPvRmT2_T3_T4_T5_mT6_T7_P12ihipStream_tbENKUlT_T0_E_clISt17integral_constantIbLb0EESY_IbLb1EEEEDaSU_SV_EUlSU_E_NS1_11comp_targetILNS1_3genE5ELNS1_11target_archE942ELNS1_3gpuE9ELNS1_3repE0EEENS1_30default_config_static_selectorELNS0_4arch9wavefront6targetE0EEEvT1_.has_indirect_call, 0
	.section	.AMDGPU.csdata,"",@progbits
; Kernel info:
; codeLenInByte = 0
; TotalNumSgprs: 0
; NumVgprs: 0
; ScratchSize: 0
; MemoryBound: 0
; FloatMode: 240
; IeeeMode: 1
; LDSByteSize: 0 bytes/workgroup (compile time only)
; SGPRBlocks: 0
; VGPRBlocks: 0
; NumSGPRsForWavesPerEU: 1
; NumVGPRsForWavesPerEU: 1
; NamedBarCnt: 0
; Occupancy: 16
; WaveLimiterHint : 0
; COMPUTE_PGM_RSRC2:SCRATCH_EN: 0
; COMPUTE_PGM_RSRC2:USER_SGPR: 2
; COMPUTE_PGM_RSRC2:TRAP_HANDLER: 0
; COMPUTE_PGM_RSRC2:TGID_X_EN: 1
; COMPUTE_PGM_RSRC2:TGID_Y_EN: 0
; COMPUTE_PGM_RSRC2:TGID_Z_EN: 0
; COMPUTE_PGM_RSRC2:TIDIG_COMP_CNT: 0
	.section	.text._ZN7rocprim17ROCPRIM_400000_NS6detail17trampoline_kernelINS0_14default_configENS1_27scan_by_key_config_selectorIxxEEZZNS1_16scan_by_key_implILNS1_25lookback_scan_determinismE0ELb1ES3_N6thrust23THRUST_200600_302600_NS6detail15normal_iteratorINS9_10device_ptrIxEEEESE_SE_xNS9_4plusIvEENS9_8equal_toIvEExEE10hipError_tPvRmT2_T3_T4_T5_mT6_T7_P12ihipStream_tbENKUlT_T0_E_clISt17integral_constantIbLb0EESY_IbLb1EEEEDaSU_SV_EUlSU_E_NS1_11comp_targetILNS1_3genE4ELNS1_11target_archE910ELNS1_3gpuE8ELNS1_3repE0EEENS1_30default_config_static_selectorELNS0_4arch9wavefront6targetE0EEEvT1_,"axG",@progbits,_ZN7rocprim17ROCPRIM_400000_NS6detail17trampoline_kernelINS0_14default_configENS1_27scan_by_key_config_selectorIxxEEZZNS1_16scan_by_key_implILNS1_25lookback_scan_determinismE0ELb1ES3_N6thrust23THRUST_200600_302600_NS6detail15normal_iteratorINS9_10device_ptrIxEEEESE_SE_xNS9_4plusIvEENS9_8equal_toIvEExEE10hipError_tPvRmT2_T3_T4_T5_mT6_T7_P12ihipStream_tbENKUlT_T0_E_clISt17integral_constantIbLb0EESY_IbLb1EEEEDaSU_SV_EUlSU_E_NS1_11comp_targetILNS1_3genE4ELNS1_11target_archE910ELNS1_3gpuE8ELNS1_3repE0EEENS1_30default_config_static_selectorELNS0_4arch9wavefront6targetE0EEEvT1_,comdat
	.protected	_ZN7rocprim17ROCPRIM_400000_NS6detail17trampoline_kernelINS0_14default_configENS1_27scan_by_key_config_selectorIxxEEZZNS1_16scan_by_key_implILNS1_25lookback_scan_determinismE0ELb1ES3_N6thrust23THRUST_200600_302600_NS6detail15normal_iteratorINS9_10device_ptrIxEEEESE_SE_xNS9_4plusIvEENS9_8equal_toIvEExEE10hipError_tPvRmT2_T3_T4_T5_mT6_T7_P12ihipStream_tbENKUlT_T0_E_clISt17integral_constantIbLb0EESY_IbLb1EEEEDaSU_SV_EUlSU_E_NS1_11comp_targetILNS1_3genE4ELNS1_11target_archE910ELNS1_3gpuE8ELNS1_3repE0EEENS1_30default_config_static_selectorELNS0_4arch9wavefront6targetE0EEEvT1_ ; -- Begin function _ZN7rocprim17ROCPRIM_400000_NS6detail17trampoline_kernelINS0_14default_configENS1_27scan_by_key_config_selectorIxxEEZZNS1_16scan_by_key_implILNS1_25lookback_scan_determinismE0ELb1ES3_N6thrust23THRUST_200600_302600_NS6detail15normal_iteratorINS9_10device_ptrIxEEEESE_SE_xNS9_4plusIvEENS9_8equal_toIvEExEE10hipError_tPvRmT2_T3_T4_T5_mT6_T7_P12ihipStream_tbENKUlT_T0_E_clISt17integral_constantIbLb0EESY_IbLb1EEEEDaSU_SV_EUlSU_E_NS1_11comp_targetILNS1_3genE4ELNS1_11target_archE910ELNS1_3gpuE8ELNS1_3repE0EEENS1_30default_config_static_selectorELNS0_4arch9wavefront6targetE0EEEvT1_
	.globl	_ZN7rocprim17ROCPRIM_400000_NS6detail17trampoline_kernelINS0_14default_configENS1_27scan_by_key_config_selectorIxxEEZZNS1_16scan_by_key_implILNS1_25lookback_scan_determinismE0ELb1ES3_N6thrust23THRUST_200600_302600_NS6detail15normal_iteratorINS9_10device_ptrIxEEEESE_SE_xNS9_4plusIvEENS9_8equal_toIvEExEE10hipError_tPvRmT2_T3_T4_T5_mT6_T7_P12ihipStream_tbENKUlT_T0_E_clISt17integral_constantIbLb0EESY_IbLb1EEEEDaSU_SV_EUlSU_E_NS1_11comp_targetILNS1_3genE4ELNS1_11target_archE910ELNS1_3gpuE8ELNS1_3repE0EEENS1_30default_config_static_selectorELNS0_4arch9wavefront6targetE0EEEvT1_
	.p2align	8
	.type	_ZN7rocprim17ROCPRIM_400000_NS6detail17trampoline_kernelINS0_14default_configENS1_27scan_by_key_config_selectorIxxEEZZNS1_16scan_by_key_implILNS1_25lookback_scan_determinismE0ELb1ES3_N6thrust23THRUST_200600_302600_NS6detail15normal_iteratorINS9_10device_ptrIxEEEESE_SE_xNS9_4plusIvEENS9_8equal_toIvEExEE10hipError_tPvRmT2_T3_T4_T5_mT6_T7_P12ihipStream_tbENKUlT_T0_E_clISt17integral_constantIbLb0EESY_IbLb1EEEEDaSU_SV_EUlSU_E_NS1_11comp_targetILNS1_3genE4ELNS1_11target_archE910ELNS1_3gpuE8ELNS1_3repE0EEENS1_30default_config_static_selectorELNS0_4arch9wavefront6targetE0EEEvT1_,@function
_ZN7rocprim17ROCPRIM_400000_NS6detail17trampoline_kernelINS0_14default_configENS1_27scan_by_key_config_selectorIxxEEZZNS1_16scan_by_key_implILNS1_25lookback_scan_determinismE0ELb1ES3_N6thrust23THRUST_200600_302600_NS6detail15normal_iteratorINS9_10device_ptrIxEEEESE_SE_xNS9_4plusIvEENS9_8equal_toIvEExEE10hipError_tPvRmT2_T3_T4_T5_mT6_T7_P12ihipStream_tbENKUlT_T0_E_clISt17integral_constantIbLb0EESY_IbLb1EEEEDaSU_SV_EUlSU_E_NS1_11comp_targetILNS1_3genE4ELNS1_11target_archE910ELNS1_3gpuE8ELNS1_3repE0EEENS1_30default_config_static_selectorELNS0_4arch9wavefront6targetE0EEEvT1_: ; @_ZN7rocprim17ROCPRIM_400000_NS6detail17trampoline_kernelINS0_14default_configENS1_27scan_by_key_config_selectorIxxEEZZNS1_16scan_by_key_implILNS1_25lookback_scan_determinismE0ELb1ES3_N6thrust23THRUST_200600_302600_NS6detail15normal_iteratorINS9_10device_ptrIxEEEESE_SE_xNS9_4plusIvEENS9_8equal_toIvEExEE10hipError_tPvRmT2_T3_T4_T5_mT6_T7_P12ihipStream_tbENKUlT_T0_E_clISt17integral_constantIbLb0EESY_IbLb1EEEEDaSU_SV_EUlSU_E_NS1_11comp_targetILNS1_3genE4ELNS1_11target_archE910ELNS1_3gpuE8ELNS1_3repE0EEENS1_30default_config_static_selectorELNS0_4arch9wavefront6targetE0EEEvT1_
; %bb.0:
	.section	.rodata,"a",@progbits
	.p2align	6, 0x0
	.amdhsa_kernel _ZN7rocprim17ROCPRIM_400000_NS6detail17trampoline_kernelINS0_14default_configENS1_27scan_by_key_config_selectorIxxEEZZNS1_16scan_by_key_implILNS1_25lookback_scan_determinismE0ELb1ES3_N6thrust23THRUST_200600_302600_NS6detail15normal_iteratorINS9_10device_ptrIxEEEESE_SE_xNS9_4plusIvEENS9_8equal_toIvEExEE10hipError_tPvRmT2_T3_T4_T5_mT6_T7_P12ihipStream_tbENKUlT_T0_E_clISt17integral_constantIbLb0EESY_IbLb1EEEEDaSU_SV_EUlSU_E_NS1_11comp_targetILNS1_3genE4ELNS1_11target_archE910ELNS1_3gpuE8ELNS1_3repE0EEENS1_30default_config_static_selectorELNS0_4arch9wavefront6targetE0EEEvT1_
		.amdhsa_group_segment_fixed_size 0
		.amdhsa_private_segment_fixed_size 0
		.amdhsa_kernarg_size 136
		.amdhsa_user_sgpr_count 2
		.amdhsa_user_sgpr_dispatch_ptr 0
		.amdhsa_user_sgpr_queue_ptr 0
		.amdhsa_user_sgpr_kernarg_segment_ptr 1
		.amdhsa_user_sgpr_dispatch_id 0
		.amdhsa_user_sgpr_kernarg_preload_length 0
		.amdhsa_user_sgpr_kernarg_preload_offset 0
		.amdhsa_user_sgpr_private_segment_size 0
		.amdhsa_wavefront_size32 1
		.amdhsa_uses_dynamic_stack 0
		.amdhsa_enable_private_segment 0
		.amdhsa_system_sgpr_workgroup_id_x 1
		.amdhsa_system_sgpr_workgroup_id_y 0
		.amdhsa_system_sgpr_workgroup_id_z 0
		.amdhsa_system_sgpr_workgroup_info 0
		.amdhsa_system_vgpr_workitem_id 0
		.amdhsa_next_free_vgpr 1
		.amdhsa_next_free_sgpr 1
		.amdhsa_named_barrier_count 0
		.amdhsa_reserve_vcc 0
		.amdhsa_float_round_mode_32 0
		.amdhsa_float_round_mode_16_64 0
		.amdhsa_float_denorm_mode_32 3
		.amdhsa_float_denorm_mode_16_64 3
		.amdhsa_fp16_overflow 0
		.amdhsa_memory_ordered 1
		.amdhsa_forward_progress 1
		.amdhsa_inst_pref_size 0
		.amdhsa_round_robin_scheduling 0
		.amdhsa_exception_fp_ieee_invalid_op 0
		.amdhsa_exception_fp_denorm_src 0
		.amdhsa_exception_fp_ieee_div_zero 0
		.amdhsa_exception_fp_ieee_overflow 0
		.amdhsa_exception_fp_ieee_underflow 0
		.amdhsa_exception_fp_ieee_inexact 0
		.amdhsa_exception_int_div_zero 0
	.end_amdhsa_kernel
	.section	.text._ZN7rocprim17ROCPRIM_400000_NS6detail17trampoline_kernelINS0_14default_configENS1_27scan_by_key_config_selectorIxxEEZZNS1_16scan_by_key_implILNS1_25lookback_scan_determinismE0ELb1ES3_N6thrust23THRUST_200600_302600_NS6detail15normal_iteratorINS9_10device_ptrIxEEEESE_SE_xNS9_4plusIvEENS9_8equal_toIvEExEE10hipError_tPvRmT2_T3_T4_T5_mT6_T7_P12ihipStream_tbENKUlT_T0_E_clISt17integral_constantIbLb0EESY_IbLb1EEEEDaSU_SV_EUlSU_E_NS1_11comp_targetILNS1_3genE4ELNS1_11target_archE910ELNS1_3gpuE8ELNS1_3repE0EEENS1_30default_config_static_selectorELNS0_4arch9wavefront6targetE0EEEvT1_,"axG",@progbits,_ZN7rocprim17ROCPRIM_400000_NS6detail17trampoline_kernelINS0_14default_configENS1_27scan_by_key_config_selectorIxxEEZZNS1_16scan_by_key_implILNS1_25lookback_scan_determinismE0ELb1ES3_N6thrust23THRUST_200600_302600_NS6detail15normal_iteratorINS9_10device_ptrIxEEEESE_SE_xNS9_4plusIvEENS9_8equal_toIvEExEE10hipError_tPvRmT2_T3_T4_T5_mT6_T7_P12ihipStream_tbENKUlT_T0_E_clISt17integral_constantIbLb0EESY_IbLb1EEEEDaSU_SV_EUlSU_E_NS1_11comp_targetILNS1_3genE4ELNS1_11target_archE910ELNS1_3gpuE8ELNS1_3repE0EEENS1_30default_config_static_selectorELNS0_4arch9wavefront6targetE0EEEvT1_,comdat
.Lfunc_end383:
	.size	_ZN7rocprim17ROCPRIM_400000_NS6detail17trampoline_kernelINS0_14default_configENS1_27scan_by_key_config_selectorIxxEEZZNS1_16scan_by_key_implILNS1_25lookback_scan_determinismE0ELb1ES3_N6thrust23THRUST_200600_302600_NS6detail15normal_iteratorINS9_10device_ptrIxEEEESE_SE_xNS9_4plusIvEENS9_8equal_toIvEExEE10hipError_tPvRmT2_T3_T4_T5_mT6_T7_P12ihipStream_tbENKUlT_T0_E_clISt17integral_constantIbLb0EESY_IbLb1EEEEDaSU_SV_EUlSU_E_NS1_11comp_targetILNS1_3genE4ELNS1_11target_archE910ELNS1_3gpuE8ELNS1_3repE0EEENS1_30default_config_static_selectorELNS0_4arch9wavefront6targetE0EEEvT1_, .Lfunc_end383-_ZN7rocprim17ROCPRIM_400000_NS6detail17trampoline_kernelINS0_14default_configENS1_27scan_by_key_config_selectorIxxEEZZNS1_16scan_by_key_implILNS1_25lookback_scan_determinismE0ELb1ES3_N6thrust23THRUST_200600_302600_NS6detail15normal_iteratorINS9_10device_ptrIxEEEESE_SE_xNS9_4plusIvEENS9_8equal_toIvEExEE10hipError_tPvRmT2_T3_T4_T5_mT6_T7_P12ihipStream_tbENKUlT_T0_E_clISt17integral_constantIbLb0EESY_IbLb1EEEEDaSU_SV_EUlSU_E_NS1_11comp_targetILNS1_3genE4ELNS1_11target_archE910ELNS1_3gpuE8ELNS1_3repE0EEENS1_30default_config_static_selectorELNS0_4arch9wavefront6targetE0EEEvT1_
                                        ; -- End function
	.set _ZN7rocprim17ROCPRIM_400000_NS6detail17trampoline_kernelINS0_14default_configENS1_27scan_by_key_config_selectorIxxEEZZNS1_16scan_by_key_implILNS1_25lookback_scan_determinismE0ELb1ES3_N6thrust23THRUST_200600_302600_NS6detail15normal_iteratorINS9_10device_ptrIxEEEESE_SE_xNS9_4plusIvEENS9_8equal_toIvEExEE10hipError_tPvRmT2_T3_T4_T5_mT6_T7_P12ihipStream_tbENKUlT_T0_E_clISt17integral_constantIbLb0EESY_IbLb1EEEEDaSU_SV_EUlSU_E_NS1_11comp_targetILNS1_3genE4ELNS1_11target_archE910ELNS1_3gpuE8ELNS1_3repE0EEENS1_30default_config_static_selectorELNS0_4arch9wavefront6targetE0EEEvT1_.num_vgpr, 0
	.set _ZN7rocprim17ROCPRIM_400000_NS6detail17trampoline_kernelINS0_14default_configENS1_27scan_by_key_config_selectorIxxEEZZNS1_16scan_by_key_implILNS1_25lookback_scan_determinismE0ELb1ES3_N6thrust23THRUST_200600_302600_NS6detail15normal_iteratorINS9_10device_ptrIxEEEESE_SE_xNS9_4plusIvEENS9_8equal_toIvEExEE10hipError_tPvRmT2_T3_T4_T5_mT6_T7_P12ihipStream_tbENKUlT_T0_E_clISt17integral_constantIbLb0EESY_IbLb1EEEEDaSU_SV_EUlSU_E_NS1_11comp_targetILNS1_3genE4ELNS1_11target_archE910ELNS1_3gpuE8ELNS1_3repE0EEENS1_30default_config_static_selectorELNS0_4arch9wavefront6targetE0EEEvT1_.num_agpr, 0
	.set _ZN7rocprim17ROCPRIM_400000_NS6detail17trampoline_kernelINS0_14default_configENS1_27scan_by_key_config_selectorIxxEEZZNS1_16scan_by_key_implILNS1_25lookback_scan_determinismE0ELb1ES3_N6thrust23THRUST_200600_302600_NS6detail15normal_iteratorINS9_10device_ptrIxEEEESE_SE_xNS9_4plusIvEENS9_8equal_toIvEExEE10hipError_tPvRmT2_T3_T4_T5_mT6_T7_P12ihipStream_tbENKUlT_T0_E_clISt17integral_constantIbLb0EESY_IbLb1EEEEDaSU_SV_EUlSU_E_NS1_11comp_targetILNS1_3genE4ELNS1_11target_archE910ELNS1_3gpuE8ELNS1_3repE0EEENS1_30default_config_static_selectorELNS0_4arch9wavefront6targetE0EEEvT1_.numbered_sgpr, 0
	.set _ZN7rocprim17ROCPRIM_400000_NS6detail17trampoline_kernelINS0_14default_configENS1_27scan_by_key_config_selectorIxxEEZZNS1_16scan_by_key_implILNS1_25lookback_scan_determinismE0ELb1ES3_N6thrust23THRUST_200600_302600_NS6detail15normal_iteratorINS9_10device_ptrIxEEEESE_SE_xNS9_4plusIvEENS9_8equal_toIvEExEE10hipError_tPvRmT2_T3_T4_T5_mT6_T7_P12ihipStream_tbENKUlT_T0_E_clISt17integral_constantIbLb0EESY_IbLb1EEEEDaSU_SV_EUlSU_E_NS1_11comp_targetILNS1_3genE4ELNS1_11target_archE910ELNS1_3gpuE8ELNS1_3repE0EEENS1_30default_config_static_selectorELNS0_4arch9wavefront6targetE0EEEvT1_.num_named_barrier, 0
	.set _ZN7rocprim17ROCPRIM_400000_NS6detail17trampoline_kernelINS0_14default_configENS1_27scan_by_key_config_selectorIxxEEZZNS1_16scan_by_key_implILNS1_25lookback_scan_determinismE0ELb1ES3_N6thrust23THRUST_200600_302600_NS6detail15normal_iteratorINS9_10device_ptrIxEEEESE_SE_xNS9_4plusIvEENS9_8equal_toIvEExEE10hipError_tPvRmT2_T3_T4_T5_mT6_T7_P12ihipStream_tbENKUlT_T0_E_clISt17integral_constantIbLb0EESY_IbLb1EEEEDaSU_SV_EUlSU_E_NS1_11comp_targetILNS1_3genE4ELNS1_11target_archE910ELNS1_3gpuE8ELNS1_3repE0EEENS1_30default_config_static_selectorELNS0_4arch9wavefront6targetE0EEEvT1_.private_seg_size, 0
	.set _ZN7rocprim17ROCPRIM_400000_NS6detail17trampoline_kernelINS0_14default_configENS1_27scan_by_key_config_selectorIxxEEZZNS1_16scan_by_key_implILNS1_25lookback_scan_determinismE0ELb1ES3_N6thrust23THRUST_200600_302600_NS6detail15normal_iteratorINS9_10device_ptrIxEEEESE_SE_xNS9_4plusIvEENS9_8equal_toIvEExEE10hipError_tPvRmT2_T3_T4_T5_mT6_T7_P12ihipStream_tbENKUlT_T0_E_clISt17integral_constantIbLb0EESY_IbLb1EEEEDaSU_SV_EUlSU_E_NS1_11comp_targetILNS1_3genE4ELNS1_11target_archE910ELNS1_3gpuE8ELNS1_3repE0EEENS1_30default_config_static_selectorELNS0_4arch9wavefront6targetE0EEEvT1_.uses_vcc, 0
	.set _ZN7rocprim17ROCPRIM_400000_NS6detail17trampoline_kernelINS0_14default_configENS1_27scan_by_key_config_selectorIxxEEZZNS1_16scan_by_key_implILNS1_25lookback_scan_determinismE0ELb1ES3_N6thrust23THRUST_200600_302600_NS6detail15normal_iteratorINS9_10device_ptrIxEEEESE_SE_xNS9_4plusIvEENS9_8equal_toIvEExEE10hipError_tPvRmT2_T3_T4_T5_mT6_T7_P12ihipStream_tbENKUlT_T0_E_clISt17integral_constantIbLb0EESY_IbLb1EEEEDaSU_SV_EUlSU_E_NS1_11comp_targetILNS1_3genE4ELNS1_11target_archE910ELNS1_3gpuE8ELNS1_3repE0EEENS1_30default_config_static_selectorELNS0_4arch9wavefront6targetE0EEEvT1_.uses_flat_scratch, 0
	.set _ZN7rocprim17ROCPRIM_400000_NS6detail17trampoline_kernelINS0_14default_configENS1_27scan_by_key_config_selectorIxxEEZZNS1_16scan_by_key_implILNS1_25lookback_scan_determinismE0ELb1ES3_N6thrust23THRUST_200600_302600_NS6detail15normal_iteratorINS9_10device_ptrIxEEEESE_SE_xNS9_4plusIvEENS9_8equal_toIvEExEE10hipError_tPvRmT2_T3_T4_T5_mT6_T7_P12ihipStream_tbENKUlT_T0_E_clISt17integral_constantIbLb0EESY_IbLb1EEEEDaSU_SV_EUlSU_E_NS1_11comp_targetILNS1_3genE4ELNS1_11target_archE910ELNS1_3gpuE8ELNS1_3repE0EEENS1_30default_config_static_selectorELNS0_4arch9wavefront6targetE0EEEvT1_.has_dyn_sized_stack, 0
	.set _ZN7rocprim17ROCPRIM_400000_NS6detail17trampoline_kernelINS0_14default_configENS1_27scan_by_key_config_selectorIxxEEZZNS1_16scan_by_key_implILNS1_25lookback_scan_determinismE0ELb1ES3_N6thrust23THRUST_200600_302600_NS6detail15normal_iteratorINS9_10device_ptrIxEEEESE_SE_xNS9_4plusIvEENS9_8equal_toIvEExEE10hipError_tPvRmT2_T3_T4_T5_mT6_T7_P12ihipStream_tbENKUlT_T0_E_clISt17integral_constantIbLb0EESY_IbLb1EEEEDaSU_SV_EUlSU_E_NS1_11comp_targetILNS1_3genE4ELNS1_11target_archE910ELNS1_3gpuE8ELNS1_3repE0EEENS1_30default_config_static_selectorELNS0_4arch9wavefront6targetE0EEEvT1_.has_recursion, 0
	.set _ZN7rocprim17ROCPRIM_400000_NS6detail17trampoline_kernelINS0_14default_configENS1_27scan_by_key_config_selectorIxxEEZZNS1_16scan_by_key_implILNS1_25lookback_scan_determinismE0ELb1ES3_N6thrust23THRUST_200600_302600_NS6detail15normal_iteratorINS9_10device_ptrIxEEEESE_SE_xNS9_4plusIvEENS9_8equal_toIvEExEE10hipError_tPvRmT2_T3_T4_T5_mT6_T7_P12ihipStream_tbENKUlT_T0_E_clISt17integral_constantIbLb0EESY_IbLb1EEEEDaSU_SV_EUlSU_E_NS1_11comp_targetILNS1_3genE4ELNS1_11target_archE910ELNS1_3gpuE8ELNS1_3repE0EEENS1_30default_config_static_selectorELNS0_4arch9wavefront6targetE0EEEvT1_.has_indirect_call, 0
	.section	.AMDGPU.csdata,"",@progbits
; Kernel info:
; codeLenInByte = 0
; TotalNumSgprs: 0
; NumVgprs: 0
; ScratchSize: 0
; MemoryBound: 0
; FloatMode: 240
; IeeeMode: 1
; LDSByteSize: 0 bytes/workgroup (compile time only)
; SGPRBlocks: 0
; VGPRBlocks: 0
; NumSGPRsForWavesPerEU: 1
; NumVGPRsForWavesPerEU: 1
; NamedBarCnt: 0
; Occupancy: 16
; WaveLimiterHint : 0
; COMPUTE_PGM_RSRC2:SCRATCH_EN: 0
; COMPUTE_PGM_RSRC2:USER_SGPR: 2
; COMPUTE_PGM_RSRC2:TRAP_HANDLER: 0
; COMPUTE_PGM_RSRC2:TGID_X_EN: 1
; COMPUTE_PGM_RSRC2:TGID_Y_EN: 0
; COMPUTE_PGM_RSRC2:TGID_Z_EN: 0
; COMPUTE_PGM_RSRC2:TIDIG_COMP_CNT: 0
	.section	.text._ZN7rocprim17ROCPRIM_400000_NS6detail17trampoline_kernelINS0_14default_configENS1_27scan_by_key_config_selectorIxxEEZZNS1_16scan_by_key_implILNS1_25lookback_scan_determinismE0ELb1ES3_N6thrust23THRUST_200600_302600_NS6detail15normal_iteratorINS9_10device_ptrIxEEEESE_SE_xNS9_4plusIvEENS9_8equal_toIvEExEE10hipError_tPvRmT2_T3_T4_T5_mT6_T7_P12ihipStream_tbENKUlT_T0_E_clISt17integral_constantIbLb0EESY_IbLb1EEEEDaSU_SV_EUlSU_E_NS1_11comp_targetILNS1_3genE3ELNS1_11target_archE908ELNS1_3gpuE7ELNS1_3repE0EEENS1_30default_config_static_selectorELNS0_4arch9wavefront6targetE0EEEvT1_,"axG",@progbits,_ZN7rocprim17ROCPRIM_400000_NS6detail17trampoline_kernelINS0_14default_configENS1_27scan_by_key_config_selectorIxxEEZZNS1_16scan_by_key_implILNS1_25lookback_scan_determinismE0ELb1ES3_N6thrust23THRUST_200600_302600_NS6detail15normal_iteratorINS9_10device_ptrIxEEEESE_SE_xNS9_4plusIvEENS9_8equal_toIvEExEE10hipError_tPvRmT2_T3_T4_T5_mT6_T7_P12ihipStream_tbENKUlT_T0_E_clISt17integral_constantIbLb0EESY_IbLb1EEEEDaSU_SV_EUlSU_E_NS1_11comp_targetILNS1_3genE3ELNS1_11target_archE908ELNS1_3gpuE7ELNS1_3repE0EEENS1_30default_config_static_selectorELNS0_4arch9wavefront6targetE0EEEvT1_,comdat
	.protected	_ZN7rocprim17ROCPRIM_400000_NS6detail17trampoline_kernelINS0_14default_configENS1_27scan_by_key_config_selectorIxxEEZZNS1_16scan_by_key_implILNS1_25lookback_scan_determinismE0ELb1ES3_N6thrust23THRUST_200600_302600_NS6detail15normal_iteratorINS9_10device_ptrIxEEEESE_SE_xNS9_4plusIvEENS9_8equal_toIvEExEE10hipError_tPvRmT2_T3_T4_T5_mT6_T7_P12ihipStream_tbENKUlT_T0_E_clISt17integral_constantIbLb0EESY_IbLb1EEEEDaSU_SV_EUlSU_E_NS1_11comp_targetILNS1_3genE3ELNS1_11target_archE908ELNS1_3gpuE7ELNS1_3repE0EEENS1_30default_config_static_selectorELNS0_4arch9wavefront6targetE0EEEvT1_ ; -- Begin function _ZN7rocprim17ROCPRIM_400000_NS6detail17trampoline_kernelINS0_14default_configENS1_27scan_by_key_config_selectorIxxEEZZNS1_16scan_by_key_implILNS1_25lookback_scan_determinismE0ELb1ES3_N6thrust23THRUST_200600_302600_NS6detail15normal_iteratorINS9_10device_ptrIxEEEESE_SE_xNS9_4plusIvEENS9_8equal_toIvEExEE10hipError_tPvRmT2_T3_T4_T5_mT6_T7_P12ihipStream_tbENKUlT_T0_E_clISt17integral_constantIbLb0EESY_IbLb1EEEEDaSU_SV_EUlSU_E_NS1_11comp_targetILNS1_3genE3ELNS1_11target_archE908ELNS1_3gpuE7ELNS1_3repE0EEENS1_30default_config_static_selectorELNS0_4arch9wavefront6targetE0EEEvT1_
	.globl	_ZN7rocprim17ROCPRIM_400000_NS6detail17trampoline_kernelINS0_14default_configENS1_27scan_by_key_config_selectorIxxEEZZNS1_16scan_by_key_implILNS1_25lookback_scan_determinismE0ELb1ES3_N6thrust23THRUST_200600_302600_NS6detail15normal_iteratorINS9_10device_ptrIxEEEESE_SE_xNS9_4plusIvEENS9_8equal_toIvEExEE10hipError_tPvRmT2_T3_T4_T5_mT6_T7_P12ihipStream_tbENKUlT_T0_E_clISt17integral_constantIbLb0EESY_IbLb1EEEEDaSU_SV_EUlSU_E_NS1_11comp_targetILNS1_3genE3ELNS1_11target_archE908ELNS1_3gpuE7ELNS1_3repE0EEENS1_30default_config_static_selectorELNS0_4arch9wavefront6targetE0EEEvT1_
	.p2align	8
	.type	_ZN7rocprim17ROCPRIM_400000_NS6detail17trampoline_kernelINS0_14default_configENS1_27scan_by_key_config_selectorIxxEEZZNS1_16scan_by_key_implILNS1_25lookback_scan_determinismE0ELb1ES3_N6thrust23THRUST_200600_302600_NS6detail15normal_iteratorINS9_10device_ptrIxEEEESE_SE_xNS9_4plusIvEENS9_8equal_toIvEExEE10hipError_tPvRmT2_T3_T4_T5_mT6_T7_P12ihipStream_tbENKUlT_T0_E_clISt17integral_constantIbLb0EESY_IbLb1EEEEDaSU_SV_EUlSU_E_NS1_11comp_targetILNS1_3genE3ELNS1_11target_archE908ELNS1_3gpuE7ELNS1_3repE0EEENS1_30default_config_static_selectorELNS0_4arch9wavefront6targetE0EEEvT1_,@function
_ZN7rocprim17ROCPRIM_400000_NS6detail17trampoline_kernelINS0_14default_configENS1_27scan_by_key_config_selectorIxxEEZZNS1_16scan_by_key_implILNS1_25lookback_scan_determinismE0ELb1ES3_N6thrust23THRUST_200600_302600_NS6detail15normal_iteratorINS9_10device_ptrIxEEEESE_SE_xNS9_4plusIvEENS9_8equal_toIvEExEE10hipError_tPvRmT2_T3_T4_T5_mT6_T7_P12ihipStream_tbENKUlT_T0_E_clISt17integral_constantIbLb0EESY_IbLb1EEEEDaSU_SV_EUlSU_E_NS1_11comp_targetILNS1_3genE3ELNS1_11target_archE908ELNS1_3gpuE7ELNS1_3repE0EEENS1_30default_config_static_selectorELNS0_4arch9wavefront6targetE0EEEvT1_: ; @_ZN7rocprim17ROCPRIM_400000_NS6detail17trampoline_kernelINS0_14default_configENS1_27scan_by_key_config_selectorIxxEEZZNS1_16scan_by_key_implILNS1_25lookback_scan_determinismE0ELb1ES3_N6thrust23THRUST_200600_302600_NS6detail15normal_iteratorINS9_10device_ptrIxEEEESE_SE_xNS9_4plusIvEENS9_8equal_toIvEExEE10hipError_tPvRmT2_T3_T4_T5_mT6_T7_P12ihipStream_tbENKUlT_T0_E_clISt17integral_constantIbLb0EESY_IbLb1EEEEDaSU_SV_EUlSU_E_NS1_11comp_targetILNS1_3genE3ELNS1_11target_archE908ELNS1_3gpuE7ELNS1_3repE0EEENS1_30default_config_static_selectorELNS0_4arch9wavefront6targetE0EEEvT1_
; %bb.0:
	.section	.rodata,"a",@progbits
	.p2align	6, 0x0
	.amdhsa_kernel _ZN7rocprim17ROCPRIM_400000_NS6detail17trampoline_kernelINS0_14default_configENS1_27scan_by_key_config_selectorIxxEEZZNS1_16scan_by_key_implILNS1_25lookback_scan_determinismE0ELb1ES3_N6thrust23THRUST_200600_302600_NS6detail15normal_iteratorINS9_10device_ptrIxEEEESE_SE_xNS9_4plusIvEENS9_8equal_toIvEExEE10hipError_tPvRmT2_T3_T4_T5_mT6_T7_P12ihipStream_tbENKUlT_T0_E_clISt17integral_constantIbLb0EESY_IbLb1EEEEDaSU_SV_EUlSU_E_NS1_11comp_targetILNS1_3genE3ELNS1_11target_archE908ELNS1_3gpuE7ELNS1_3repE0EEENS1_30default_config_static_selectorELNS0_4arch9wavefront6targetE0EEEvT1_
		.amdhsa_group_segment_fixed_size 0
		.amdhsa_private_segment_fixed_size 0
		.amdhsa_kernarg_size 136
		.amdhsa_user_sgpr_count 2
		.amdhsa_user_sgpr_dispatch_ptr 0
		.amdhsa_user_sgpr_queue_ptr 0
		.amdhsa_user_sgpr_kernarg_segment_ptr 1
		.amdhsa_user_sgpr_dispatch_id 0
		.amdhsa_user_sgpr_kernarg_preload_length 0
		.amdhsa_user_sgpr_kernarg_preload_offset 0
		.amdhsa_user_sgpr_private_segment_size 0
		.amdhsa_wavefront_size32 1
		.amdhsa_uses_dynamic_stack 0
		.amdhsa_enable_private_segment 0
		.amdhsa_system_sgpr_workgroup_id_x 1
		.amdhsa_system_sgpr_workgroup_id_y 0
		.amdhsa_system_sgpr_workgroup_id_z 0
		.amdhsa_system_sgpr_workgroup_info 0
		.amdhsa_system_vgpr_workitem_id 0
		.amdhsa_next_free_vgpr 1
		.amdhsa_next_free_sgpr 1
		.amdhsa_named_barrier_count 0
		.amdhsa_reserve_vcc 0
		.amdhsa_float_round_mode_32 0
		.amdhsa_float_round_mode_16_64 0
		.amdhsa_float_denorm_mode_32 3
		.amdhsa_float_denorm_mode_16_64 3
		.amdhsa_fp16_overflow 0
		.amdhsa_memory_ordered 1
		.amdhsa_forward_progress 1
		.amdhsa_inst_pref_size 0
		.amdhsa_round_robin_scheduling 0
		.amdhsa_exception_fp_ieee_invalid_op 0
		.amdhsa_exception_fp_denorm_src 0
		.amdhsa_exception_fp_ieee_div_zero 0
		.amdhsa_exception_fp_ieee_overflow 0
		.amdhsa_exception_fp_ieee_underflow 0
		.amdhsa_exception_fp_ieee_inexact 0
		.amdhsa_exception_int_div_zero 0
	.end_amdhsa_kernel
	.section	.text._ZN7rocprim17ROCPRIM_400000_NS6detail17trampoline_kernelINS0_14default_configENS1_27scan_by_key_config_selectorIxxEEZZNS1_16scan_by_key_implILNS1_25lookback_scan_determinismE0ELb1ES3_N6thrust23THRUST_200600_302600_NS6detail15normal_iteratorINS9_10device_ptrIxEEEESE_SE_xNS9_4plusIvEENS9_8equal_toIvEExEE10hipError_tPvRmT2_T3_T4_T5_mT6_T7_P12ihipStream_tbENKUlT_T0_E_clISt17integral_constantIbLb0EESY_IbLb1EEEEDaSU_SV_EUlSU_E_NS1_11comp_targetILNS1_3genE3ELNS1_11target_archE908ELNS1_3gpuE7ELNS1_3repE0EEENS1_30default_config_static_selectorELNS0_4arch9wavefront6targetE0EEEvT1_,"axG",@progbits,_ZN7rocprim17ROCPRIM_400000_NS6detail17trampoline_kernelINS0_14default_configENS1_27scan_by_key_config_selectorIxxEEZZNS1_16scan_by_key_implILNS1_25lookback_scan_determinismE0ELb1ES3_N6thrust23THRUST_200600_302600_NS6detail15normal_iteratorINS9_10device_ptrIxEEEESE_SE_xNS9_4plusIvEENS9_8equal_toIvEExEE10hipError_tPvRmT2_T3_T4_T5_mT6_T7_P12ihipStream_tbENKUlT_T0_E_clISt17integral_constantIbLb0EESY_IbLb1EEEEDaSU_SV_EUlSU_E_NS1_11comp_targetILNS1_3genE3ELNS1_11target_archE908ELNS1_3gpuE7ELNS1_3repE0EEENS1_30default_config_static_selectorELNS0_4arch9wavefront6targetE0EEEvT1_,comdat
.Lfunc_end384:
	.size	_ZN7rocprim17ROCPRIM_400000_NS6detail17trampoline_kernelINS0_14default_configENS1_27scan_by_key_config_selectorIxxEEZZNS1_16scan_by_key_implILNS1_25lookback_scan_determinismE0ELb1ES3_N6thrust23THRUST_200600_302600_NS6detail15normal_iteratorINS9_10device_ptrIxEEEESE_SE_xNS9_4plusIvEENS9_8equal_toIvEExEE10hipError_tPvRmT2_T3_T4_T5_mT6_T7_P12ihipStream_tbENKUlT_T0_E_clISt17integral_constantIbLb0EESY_IbLb1EEEEDaSU_SV_EUlSU_E_NS1_11comp_targetILNS1_3genE3ELNS1_11target_archE908ELNS1_3gpuE7ELNS1_3repE0EEENS1_30default_config_static_selectorELNS0_4arch9wavefront6targetE0EEEvT1_, .Lfunc_end384-_ZN7rocprim17ROCPRIM_400000_NS6detail17trampoline_kernelINS0_14default_configENS1_27scan_by_key_config_selectorIxxEEZZNS1_16scan_by_key_implILNS1_25lookback_scan_determinismE0ELb1ES3_N6thrust23THRUST_200600_302600_NS6detail15normal_iteratorINS9_10device_ptrIxEEEESE_SE_xNS9_4plusIvEENS9_8equal_toIvEExEE10hipError_tPvRmT2_T3_T4_T5_mT6_T7_P12ihipStream_tbENKUlT_T0_E_clISt17integral_constantIbLb0EESY_IbLb1EEEEDaSU_SV_EUlSU_E_NS1_11comp_targetILNS1_3genE3ELNS1_11target_archE908ELNS1_3gpuE7ELNS1_3repE0EEENS1_30default_config_static_selectorELNS0_4arch9wavefront6targetE0EEEvT1_
                                        ; -- End function
	.set _ZN7rocprim17ROCPRIM_400000_NS6detail17trampoline_kernelINS0_14default_configENS1_27scan_by_key_config_selectorIxxEEZZNS1_16scan_by_key_implILNS1_25lookback_scan_determinismE0ELb1ES3_N6thrust23THRUST_200600_302600_NS6detail15normal_iteratorINS9_10device_ptrIxEEEESE_SE_xNS9_4plusIvEENS9_8equal_toIvEExEE10hipError_tPvRmT2_T3_T4_T5_mT6_T7_P12ihipStream_tbENKUlT_T0_E_clISt17integral_constantIbLb0EESY_IbLb1EEEEDaSU_SV_EUlSU_E_NS1_11comp_targetILNS1_3genE3ELNS1_11target_archE908ELNS1_3gpuE7ELNS1_3repE0EEENS1_30default_config_static_selectorELNS0_4arch9wavefront6targetE0EEEvT1_.num_vgpr, 0
	.set _ZN7rocprim17ROCPRIM_400000_NS6detail17trampoline_kernelINS0_14default_configENS1_27scan_by_key_config_selectorIxxEEZZNS1_16scan_by_key_implILNS1_25lookback_scan_determinismE0ELb1ES3_N6thrust23THRUST_200600_302600_NS6detail15normal_iteratorINS9_10device_ptrIxEEEESE_SE_xNS9_4plusIvEENS9_8equal_toIvEExEE10hipError_tPvRmT2_T3_T4_T5_mT6_T7_P12ihipStream_tbENKUlT_T0_E_clISt17integral_constantIbLb0EESY_IbLb1EEEEDaSU_SV_EUlSU_E_NS1_11comp_targetILNS1_3genE3ELNS1_11target_archE908ELNS1_3gpuE7ELNS1_3repE0EEENS1_30default_config_static_selectorELNS0_4arch9wavefront6targetE0EEEvT1_.num_agpr, 0
	.set _ZN7rocprim17ROCPRIM_400000_NS6detail17trampoline_kernelINS0_14default_configENS1_27scan_by_key_config_selectorIxxEEZZNS1_16scan_by_key_implILNS1_25lookback_scan_determinismE0ELb1ES3_N6thrust23THRUST_200600_302600_NS6detail15normal_iteratorINS9_10device_ptrIxEEEESE_SE_xNS9_4plusIvEENS9_8equal_toIvEExEE10hipError_tPvRmT2_T3_T4_T5_mT6_T7_P12ihipStream_tbENKUlT_T0_E_clISt17integral_constantIbLb0EESY_IbLb1EEEEDaSU_SV_EUlSU_E_NS1_11comp_targetILNS1_3genE3ELNS1_11target_archE908ELNS1_3gpuE7ELNS1_3repE0EEENS1_30default_config_static_selectorELNS0_4arch9wavefront6targetE0EEEvT1_.numbered_sgpr, 0
	.set _ZN7rocprim17ROCPRIM_400000_NS6detail17trampoline_kernelINS0_14default_configENS1_27scan_by_key_config_selectorIxxEEZZNS1_16scan_by_key_implILNS1_25lookback_scan_determinismE0ELb1ES3_N6thrust23THRUST_200600_302600_NS6detail15normal_iteratorINS9_10device_ptrIxEEEESE_SE_xNS9_4plusIvEENS9_8equal_toIvEExEE10hipError_tPvRmT2_T3_T4_T5_mT6_T7_P12ihipStream_tbENKUlT_T0_E_clISt17integral_constantIbLb0EESY_IbLb1EEEEDaSU_SV_EUlSU_E_NS1_11comp_targetILNS1_3genE3ELNS1_11target_archE908ELNS1_3gpuE7ELNS1_3repE0EEENS1_30default_config_static_selectorELNS0_4arch9wavefront6targetE0EEEvT1_.num_named_barrier, 0
	.set _ZN7rocprim17ROCPRIM_400000_NS6detail17trampoline_kernelINS0_14default_configENS1_27scan_by_key_config_selectorIxxEEZZNS1_16scan_by_key_implILNS1_25lookback_scan_determinismE0ELb1ES3_N6thrust23THRUST_200600_302600_NS6detail15normal_iteratorINS9_10device_ptrIxEEEESE_SE_xNS9_4plusIvEENS9_8equal_toIvEExEE10hipError_tPvRmT2_T3_T4_T5_mT6_T7_P12ihipStream_tbENKUlT_T0_E_clISt17integral_constantIbLb0EESY_IbLb1EEEEDaSU_SV_EUlSU_E_NS1_11comp_targetILNS1_3genE3ELNS1_11target_archE908ELNS1_3gpuE7ELNS1_3repE0EEENS1_30default_config_static_selectorELNS0_4arch9wavefront6targetE0EEEvT1_.private_seg_size, 0
	.set _ZN7rocprim17ROCPRIM_400000_NS6detail17trampoline_kernelINS0_14default_configENS1_27scan_by_key_config_selectorIxxEEZZNS1_16scan_by_key_implILNS1_25lookback_scan_determinismE0ELb1ES3_N6thrust23THRUST_200600_302600_NS6detail15normal_iteratorINS9_10device_ptrIxEEEESE_SE_xNS9_4plusIvEENS9_8equal_toIvEExEE10hipError_tPvRmT2_T3_T4_T5_mT6_T7_P12ihipStream_tbENKUlT_T0_E_clISt17integral_constantIbLb0EESY_IbLb1EEEEDaSU_SV_EUlSU_E_NS1_11comp_targetILNS1_3genE3ELNS1_11target_archE908ELNS1_3gpuE7ELNS1_3repE0EEENS1_30default_config_static_selectorELNS0_4arch9wavefront6targetE0EEEvT1_.uses_vcc, 0
	.set _ZN7rocprim17ROCPRIM_400000_NS6detail17trampoline_kernelINS0_14default_configENS1_27scan_by_key_config_selectorIxxEEZZNS1_16scan_by_key_implILNS1_25lookback_scan_determinismE0ELb1ES3_N6thrust23THRUST_200600_302600_NS6detail15normal_iteratorINS9_10device_ptrIxEEEESE_SE_xNS9_4plusIvEENS9_8equal_toIvEExEE10hipError_tPvRmT2_T3_T4_T5_mT6_T7_P12ihipStream_tbENKUlT_T0_E_clISt17integral_constantIbLb0EESY_IbLb1EEEEDaSU_SV_EUlSU_E_NS1_11comp_targetILNS1_3genE3ELNS1_11target_archE908ELNS1_3gpuE7ELNS1_3repE0EEENS1_30default_config_static_selectorELNS0_4arch9wavefront6targetE0EEEvT1_.uses_flat_scratch, 0
	.set _ZN7rocprim17ROCPRIM_400000_NS6detail17trampoline_kernelINS0_14default_configENS1_27scan_by_key_config_selectorIxxEEZZNS1_16scan_by_key_implILNS1_25lookback_scan_determinismE0ELb1ES3_N6thrust23THRUST_200600_302600_NS6detail15normal_iteratorINS9_10device_ptrIxEEEESE_SE_xNS9_4plusIvEENS9_8equal_toIvEExEE10hipError_tPvRmT2_T3_T4_T5_mT6_T7_P12ihipStream_tbENKUlT_T0_E_clISt17integral_constantIbLb0EESY_IbLb1EEEEDaSU_SV_EUlSU_E_NS1_11comp_targetILNS1_3genE3ELNS1_11target_archE908ELNS1_3gpuE7ELNS1_3repE0EEENS1_30default_config_static_selectorELNS0_4arch9wavefront6targetE0EEEvT1_.has_dyn_sized_stack, 0
	.set _ZN7rocprim17ROCPRIM_400000_NS6detail17trampoline_kernelINS0_14default_configENS1_27scan_by_key_config_selectorIxxEEZZNS1_16scan_by_key_implILNS1_25lookback_scan_determinismE0ELb1ES3_N6thrust23THRUST_200600_302600_NS6detail15normal_iteratorINS9_10device_ptrIxEEEESE_SE_xNS9_4plusIvEENS9_8equal_toIvEExEE10hipError_tPvRmT2_T3_T4_T5_mT6_T7_P12ihipStream_tbENKUlT_T0_E_clISt17integral_constantIbLb0EESY_IbLb1EEEEDaSU_SV_EUlSU_E_NS1_11comp_targetILNS1_3genE3ELNS1_11target_archE908ELNS1_3gpuE7ELNS1_3repE0EEENS1_30default_config_static_selectorELNS0_4arch9wavefront6targetE0EEEvT1_.has_recursion, 0
	.set _ZN7rocprim17ROCPRIM_400000_NS6detail17trampoline_kernelINS0_14default_configENS1_27scan_by_key_config_selectorIxxEEZZNS1_16scan_by_key_implILNS1_25lookback_scan_determinismE0ELb1ES3_N6thrust23THRUST_200600_302600_NS6detail15normal_iteratorINS9_10device_ptrIxEEEESE_SE_xNS9_4plusIvEENS9_8equal_toIvEExEE10hipError_tPvRmT2_T3_T4_T5_mT6_T7_P12ihipStream_tbENKUlT_T0_E_clISt17integral_constantIbLb0EESY_IbLb1EEEEDaSU_SV_EUlSU_E_NS1_11comp_targetILNS1_3genE3ELNS1_11target_archE908ELNS1_3gpuE7ELNS1_3repE0EEENS1_30default_config_static_selectorELNS0_4arch9wavefront6targetE0EEEvT1_.has_indirect_call, 0
	.section	.AMDGPU.csdata,"",@progbits
; Kernel info:
; codeLenInByte = 0
; TotalNumSgprs: 0
; NumVgprs: 0
; ScratchSize: 0
; MemoryBound: 0
; FloatMode: 240
; IeeeMode: 1
; LDSByteSize: 0 bytes/workgroup (compile time only)
; SGPRBlocks: 0
; VGPRBlocks: 0
; NumSGPRsForWavesPerEU: 1
; NumVGPRsForWavesPerEU: 1
; NamedBarCnt: 0
; Occupancy: 16
; WaveLimiterHint : 0
; COMPUTE_PGM_RSRC2:SCRATCH_EN: 0
; COMPUTE_PGM_RSRC2:USER_SGPR: 2
; COMPUTE_PGM_RSRC2:TRAP_HANDLER: 0
; COMPUTE_PGM_RSRC2:TGID_X_EN: 1
; COMPUTE_PGM_RSRC2:TGID_Y_EN: 0
; COMPUTE_PGM_RSRC2:TGID_Z_EN: 0
; COMPUTE_PGM_RSRC2:TIDIG_COMP_CNT: 0
	.section	.text._ZN7rocprim17ROCPRIM_400000_NS6detail17trampoline_kernelINS0_14default_configENS1_27scan_by_key_config_selectorIxxEEZZNS1_16scan_by_key_implILNS1_25lookback_scan_determinismE0ELb1ES3_N6thrust23THRUST_200600_302600_NS6detail15normal_iteratorINS9_10device_ptrIxEEEESE_SE_xNS9_4plusIvEENS9_8equal_toIvEExEE10hipError_tPvRmT2_T3_T4_T5_mT6_T7_P12ihipStream_tbENKUlT_T0_E_clISt17integral_constantIbLb0EESY_IbLb1EEEEDaSU_SV_EUlSU_E_NS1_11comp_targetILNS1_3genE2ELNS1_11target_archE906ELNS1_3gpuE6ELNS1_3repE0EEENS1_30default_config_static_selectorELNS0_4arch9wavefront6targetE0EEEvT1_,"axG",@progbits,_ZN7rocprim17ROCPRIM_400000_NS6detail17trampoline_kernelINS0_14default_configENS1_27scan_by_key_config_selectorIxxEEZZNS1_16scan_by_key_implILNS1_25lookback_scan_determinismE0ELb1ES3_N6thrust23THRUST_200600_302600_NS6detail15normal_iteratorINS9_10device_ptrIxEEEESE_SE_xNS9_4plusIvEENS9_8equal_toIvEExEE10hipError_tPvRmT2_T3_T4_T5_mT6_T7_P12ihipStream_tbENKUlT_T0_E_clISt17integral_constantIbLb0EESY_IbLb1EEEEDaSU_SV_EUlSU_E_NS1_11comp_targetILNS1_3genE2ELNS1_11target_archE906ELNS1_3gpuE6ELNS1_3repE0EEENS1_30default_config_static_selectorELNS0_4arch9wavefront6targetE0EEEvT1_,comdat
	.protected	_ZN7rocprim17ROCPRIM_400000_NS6detail17trampoline_kernelINS0_14default_configENS1_27scan_by_key_config_selectorIxxEEZZNS1_16scan_by_key_implILNS1_25lookback_scan_determinismE0ELb1ES3_N6thrust23THRUST_200600_302600_NS6detail15normal_iteratorINS9_10device_ptrIxEEEESE_SE_xNS9_4plusIvEENS9_8equal_toIvEExEE10hipError_tPvRmT2_T3_T4_T5_mT6_T7_P12ihipStream_tbENKUlT_T0_E_clISt17integral_constantIbLb0EESY_IbLb1EEEEDaSU_SV_EUlSU_E_NS1_11comp_targetILNS1_3genE2ELNS1_11target_archE906ELNS1_3gpuE6ELNS1_3repE0EEENS1_30default_config_static_selectorELNS0_4arch9wavefront6targetE0EEEvT1_ ; -- Begin function _ZN7rocprim17ROCPRIM_400000_NS6detail17trampoline_kernelINS0_14default_configENS1_27scan_by_key_config_selectorIxxEEZZNS1_16scan_by_key_implILNS1_25lookback_scan_determinismE0ELb1ES3_N6thrust23THRUST_200600_302600_NS6detail15normal_iteratorINS9_10device_ptrIxEEEESE_SE_xNS9_4plusIvEENS9_8equal_toIvEExEE10hipError_tPvRmT2_T3_T4_T5_mT6_T7_P12ihipStream_tbENKUlT_T0_E_clISt17integral_constantIbLb0EESY_IbLb1EEEEDaSU_SV_EUlSU_E_NS1_11comp_targetILNS1_3genE2ELNS1_11target_archE906ELNS1_3gpuE6ELNS1_3repE0EEENS1_30default_config_static_selectorELNS0_4arch9wavefront6targetE0EEEvT1_
	.globl	_ZN7rocprim17ROCPRIM_400000_NS6detail17trampoline_kernelINS0_14default_configENS1_27scan_by_key_config_selectorIxxEEZZNS1_16scan_by_key_implILNS1_25lookback_scan_determinismE0ELb1ES3_N6thrust23THRUST_200600_302600_NS6detail15normal_iteratorINS9_10device_ptrIxEEEESE_SE_xNS9_4plusIvEENS9_8equal_toIvEExEE10hipError_tPvRmT2_T3_T4_T5_mT6_T7_P12ihipStream_tbENKUlT_T0_E_clISt17integral_constantIbLb0EESY_IbLb1EEEEDaSU_SV_EUlSU_E_NS1_11comp_targetILNS1_3genE2ELNS1_11target_archE906ELNS1_3gpuE6ELNS1_3repE0EEENS1_30default_config_static_selectorELNS0_4arch9wavefront6targetE0EEEvT1_
	.p2align	8
	.type	_ZN7rocprim17ROCPRIM_400000_NS6detail17trampoline_kernelINS0_14default_configENS1_27scan_by_key_config_selectorIxxEEZZNS1_16scan_by_key_implILNS1_25lookback_scan_determinismE0ELb1ES3_N6thrust23THRUST_200600_302600_NS6detail15normal_iteratorINS9_10device_ptrIxEEEESE_SE_xNS9_4plusIvEENS9_8equal_toIvEExEE10hipError_tPvRmT2_T3_T4_T5_mT6_T7_P12ihipStream_tbENKUlT_T0_E_clISt17integral_constantIbLb0EESY_IbLb1EEEEDaSU_SV_EUlSU_E_NS1_11comp_targetILNS1_3genE2ELNS1_11target_archE906ELNS1_3gpuE6ELNS1_3repE0EEENS1_30default_config_static_selectorELNS0_4arch9wavefront6targetE0EEEvT1_,@function
_ZN7rocprim17ROCPRIM_400000_NS6detail17trampoline_kernelINS0_14default_configENS1_27scan_by_key_config_selectorIxxEEZZNS1_16scan_by_key_implILNS1_25lookback_scan_determinismE0ELb1ES3_N6thrust23THRUST_200600_302600_NS6detail15normal_iteratorINS9_10device_ptrIxEEEESE_SE_xNS9_4plusIvEENS9_8equal_toIvEExEE10hipError_tPvRmT2_T3_T4_T5_mT6_T7_P12ihipStream_tbENKUlT_T0_E_clISt17integral_constantIbLb0EESY_IbLb1EEEEDaSU_SV_EUlSU_E_NS1_11comp_targetILNS1_3genE2ELNS1_11target_archE906ELNS1_3gpuE6ELNS1_3repE0EEENS1_30default_config_static_selectorELNS0_4arch9wavefront6targetE0EEEvT1_: ; @_ZN7rocprim17ROCPRIM_400000_NS6detail17trampoline_kernelINS0_14default_configENS1_27scan_by_key_config_selectorIxxEEZZNS1_16scan_by_key_implILNS1_25lookback_scan_determinismE0ELb1ES3_N6thrust23THRUST_200600_302600_NS6detail15normal_iteratorINS9_10device_ptrIxEEEESE_SE_xNS9_4plusIvEENS9_8equal_toIvEExEE10hipError_tPvRmT2_T3_T4_T5_mT6_T7_P12ihipStream_tbENKUlT_T0_E_clISt17integral_constantIbLb0EESY_IbLb1EEEEDaSU_SV_EUlSU_E_NS1_11comp_targetILNS1_3genE2ELNS1_11target_archE906ELNS1_3gpuE6ELNS1_3repE0EEENS1_30default_config_static_selectorELNS0_4arch9wavefront6targetE0EEEvT1_
; %bb.0:
	.section	.rodata,"a",@progbits
	.p2align	6, 0x0
	.amdhsa_kernel _ZN7rocprim17ROCPRIM_400000_NS6detail17trampoline_kernelINS0_14default_configENS1_27scan_by_key_config_selectorIxxEEZZNS1_16scan_by_key_implILNS1_25lookback_scan_determinismE0ELb1ES3_N6thrust23THRUST_200600_302600_NS6detail15normal_iteratorINS9_10device_ptrIxEEEESE_SE_xNS9_4plusIvEENS9_8equal_toIvEExEE10hipError_tPvRmT2_T3_T4_T5_mT6_T7_P12ihipStream_tbENKUlT_T0_E_clISt17integral_constantIbLb0EESY_IbLb1EEEEDaSU_SV_EUlSU_E_NS1_11comp_targetILNS1_3genE2ELNS1_11target_archE906ELNS1_3gpuE6ELNS1_3repE0EEENS1_30default_config_static_selectorELNS0_4arch9wavefront6targetE0EEEvT1_
		.amdhsa_group_segment_fixed_size 0
		.amdhsa_private_segment_fixed_size 0
		.amdhsa_kernarg_size 136
		.amdhsa_user_sgpr_count 2
		.amdhsa_user_sgpr_dispatch_ptr 0
		.amdhsa_user_sgpr_queue_ptr 0
		.amdhsa_user_sgpr_kernarg_segment_ptr 1
		.amdhsa_user_sgpr_dispatch_id 0
		.amdhsa_user_sgpr_kernarg_preload_length 0
		.amdhsa_user_sgpr_kernarg_preload_offset 0
		.amdhsa_user_sgpr_private_segment_size 0
		.amdhsa_wavefront_size32 1
		.amdhsa_uses_dynamic_stack 0
		.amdhsa_enable_private_segment 0
		.amdhsa_system_sgpr_workgroup_id_x 1
		.amdhsa_system_sgpr_workgroup_id_y 0
		.amdhsa_system_sgpr_workgroup_id_z 0
		.amdhsa_system_sgpr_workgroup_info 0
		.amdhsa_system_vgpr_workitem_id 0
		.amdhsa_next_free_vgpr 1
		.amdhsa_next_free_sgpr 1
		.amdhsa_named_barrier_count 0
		.amdhsa_reserve_vcc 0
		.amdhsa_float_round_mode_32 0
		.amdhsa_float_round_mode_16_64 0
		.amdhsa_float_denorm_mode_32 3
		.amdhsa_float_denorm_mode_16_64 3
		.amdhsa_fp16_overflow 0
		.amdhsa_memory_ordered 1
		.amdhsa_forward_progress 1
		.amdhsa_inst_pref_size 0
		.amdhsa_round_robin_scheduling 0
		.amdhsa_exception_fp_ieee_invalid_op 0
		.amdhsa_exception_fp_denorm_src 0
		.amdhsa_exception_fp_ieee_div_zero 0
		.amdhsa_exception_fp_ieee_overflow 0
		.amdhsa_exception_fp_ieee_underflow 0
		.amdhsa_exception_fp_ieee_inexact 0
		.amdhsa_exception_int_div_zero 0
	.end_amdhsa_kernel
	.section	.text._ZN7rocprim17ROCPRIM_400000_NS6detail17trampoline_kernelINS0_14default_configENS1_27scan_by_key_config_selectorIxxEEZZNS1_16scan_by_key_implILNS1_25lookback_scan_determinismE0ELb1ES3_N6thrust23THRUST_200600_302600_NS6detail15normal_iteratorINS9_10device_ptrIxEEEESE_SE_xNS9_4plusIvEENS9_8equal_toIvEExEE10hipError_tPvRmT2_T3_T4_T5_mT6_T7_P12ihipStream_tbENKUlT_T0_E_clISt17integral_constantIbLb0EESY_IbLb1EEEEDaSU_SV_EUlSU_E_NS1_11comp_targetILNS1_3genE2ELNS1_11target_archE906ELNS1_3gpuE6ELNS1_3repE0EEENS1_30default_config_static_selectorELNS0_4arch9wavefront6targetE0EEEvT1_,"axG",@progbits,_ZN7rocprim17ROCPRIM_400000_NS6detail17trampoline_kernelINS0_14default_configENS1_27scan_by_key_config_selectorIxxEEZZNS1_16scan_by_key_implILNS1_25lookback_scan_determinismE0ELb1ES3_N6thrust23THRUST_200600_302600_NS6detail15normal_iteratorINS9_10device_ptrIxEEEESE_SE_xNS9_4plusIvEENS9_8equal_toIvEExEE10hipError_tPvRmT2_T3_T4_T5_mT6_T7_P12ihipStream_tbENKUlT_T0_E_clISt17integral_constantIbLb0EESY_IbLb1EEEEDaSU_SV_EUlSU_E_NS1_11comp_targetILNS1_3genE2ELNS1_11target_archE906ELNS1_3gpuE6ELNS1_3repE0EEENS1_30default_config_static_selectorELNS0_4arch9wavefront6targetE0EEEvT1_,comdat
.Lfunc_end385:
	.size	_ZN7rocprim17ROCPRIM_400000_NS6detail17trampoline_kernelINS0_14default_configENS1_27scan_by_key_config_selectorIxxEEZZNS1_16scan_by_key_implILNS1_25lookback_scan_determinismE0ELb1ES3_N6thrust23THRUST_200600_302600_NS6detail15normal_iteratorINS9_10device_ptrIxEEEESE_SE_xNS9_4plusIvEENS9_8equal_toIvEExEE10hipError_tPvRmT2_T3_T4_T5_mT6_T7_P12ihipStream_tbENKUlT_T0_E_clISt17integral_constantIbLb0EESY_IbLb1EEEEDaSU_SV_EUlSU_E_NS1_11comp_targetILNS1_3genE2ELNS1_11target_archE906ELNS1_3gpuE6ELNS1_3repE0EEENS1_30default_config_static_selectorELNS0_4arch9wavefront6targetE0EEEvT1_, .Lfunc_end385-_ZN7rocprim17ROCPRIM_400000_NS6detail17trampoline_kernelINS0_14default_configENS1_27scan_by_key_config_selectorIxxEEZZNS1_16scan_by_key_implILNS1_25lookback_scan_determinismE0ELb1ES3_N6thrust23THRUST_200600_302600_NS6detail15normal_iteratorINS9_10device_ptrIxEEEESE_SE_xNS9_4plusIvEENS9_8equal_toIvEExEE10hipError_tPvRmT2_T3_T4_T5_mT6_T7_P12ihipStream_tbENKUlT_T0_E_clISt17integral_constantIbLb0EESY_IbLb1EEEEDaSU_SV_EUlSU_E_NS1_11comp_targetILNS1_3genE2ELNS1_11target_archE906ELNS1_3gpuE6ELNS1_3repE0EEENS1_30default_config_static_selectorELNS0_4arch9wavefront6targetE0EEEvT1_
                                        ; -- End function
	.set _ZN7rocprim17ROCPRIM_400000_NS6detail17trampoline_kernelINS0_14default_configENS1_27scan_by_key_config_selectorIxxEEZZNS1_16scan_by_key_implILNS1_25lookback_scan_determinismE0ELb1ES3_N6thrust23THRUST_200600_302600_NS6detail15normal_iteratorINS9_10device_ptrIxEEEESE_SE_xNS9_4plusIvEENS9_8equal_toIvEExEE10hipError_tPvRmT2_T3_T4_T5_mT6_T7_P12ihipStream_tbENKUlT_T0_E_clISt17integral_constantIbLb0EESY_IbLb1EEEEDaSU_SV_EUlSU_E_NS1_11comp_targetILNS1_3genE2ELNS1_11target_archE906ELNS1_3gpuE6ELNS1_3repE0EEENS1_30default_config_static_selectorELNS0_4arch9wavefront6targetE0EEEvT1_.num_vgpr, 0
	.set _ZN7rocprim17ROCPRIM_400000_NS6detail17trampoline_kernelINS0_14default_configENS1_27scan_by_key_config_selectorIxxEEZZNS1_16scan_by_key_implILNS1_25lookback_scan_determinismE0ELb1ES3_N6thrust23THRUST_200600_302600_NS6detail15normal_iteratorINS9_10device_ptrIxEEEESE_SE_xNS9_4plusIvEENS9_8equal_toIvEExEE10hipError_tPvRmT2_T3_T4_T5_mT6_T7_P12ihipStream_tbENKUlT_T0_E_clISt17integral_constantIbLb0EESY_IbLb1EEEEDaSU_SV_EUlSU_E_NS1_11comp_targetILNS1_3genE2ELNS1_11target_archE906ELNS1_3gpuE6ELNS1_3repE0EEENS1_30default_config_static_selectorELNS0_4arch9wavefront6targetE0EEEvT1_.num_agpr, 0
	.set _ZN7rocprim17ROCPRIM_400000_NS6detail17trampoline_kernelINS0_14default_configENS1_27scan_by_key_config_selectorIxxEEZZNS1_16scan_by_key_implILNS1_25lookback_scan_determinismE0ELb1ES3_N6thrust23THRUST_200600_302600_NS6detail15normal_iteratorINS9_10device_ptrIxEEEESE_SE_xNS9_4plusIvEENS9_8equal_toIvEExEE10hipError_tPvRmT2_T3_T4_T5_mT6_T7_P12ihipStream_tbENKUlT_T0_E_clISt17integral_constantIbLb0EESY_IbLb1EEEEDaSU_SV_EUlSU_E_NS1_11comp_targetILNS1_3genE2ELNS1_11target_archE906ELNS1_3gpuE6ELNS1_3repE0EEENS1_30default_config_static_selectorELNS0_4arch9wavefront6targetE0EEEvT1_.numbered_sgpr, 0
	.set _ZN7rocprim17ROCPRIM_400000_NS6detail17trampoline_kernelINS0_14default_configENS1_27scan_by_key_config_selectorIxxEEZZNS1_16scan_by_key_implILNS1_25lookback_scan_determinismE0ELb1ES3_N6thrust23THRUST_200600_302600_NS6detail15normal_iteratorINS9_10device_ptrIxEEEESE_SE_xNS9_4plusIvEENS9_8equal_toIvEExEE10hipError_tPvRmT2_T3_T4_T5_mT6_T7_P12ihipStream_tbENKUlT_T0_E_clISt17integral_constantIbLb0EESY_IbLb1EEEEDaSU_SV_EUlSU_E_NS1_11comp_targetILNS1_3genE2ELNS1_11target_archE906ELNS1_3gpuE6ELNS1_3repE0EEENS1_30default_config_static_selectorELNS0_4arch9wavefront6targetE0EEEvT1_.num_named_barrier, 0
	.set _ZN7rocprim17ROCPRIM_400000_NS6detail17trampoline_kernelINS0_14default_configENS1_27scan_by_key_config_selectorIxxEEZZNS1_16scan_by_key_implILNS1_25lookback_scan_determinismE0ELb1ES3_N6thrust23THRUST_200600_302600_NS6detail15normal_iteratorINS9_10device_ptrIxEEEESE_SE_xNS9_4plusIvEENS9_8equal_toIvEExEE10hipError_tPvRmT2_T3_T4_T5_mT6_T7_P12ihipStream_tbENKUlT_T0_E_clISt17integral_constantIbLb0EESY_IbLb1EEEEDaSU_SV_EUlSU_E_NS1_11comp_targetILNS1_3genE2ELNS1_11target_archE906ELNS1_3gpuE6ELNS1_3repE0EEENS1_30default_config_static_selectorELNS0_4arch9wavefront6targetE0EEEvT1_.private_seg_size, 0
	.set _ZN7rocprim17ROCPRIM_400000_NS6detail17trampoline_kernelINS0_14default_configENS1_27scan_by_key_config_selectorIxxEEZZNS1_16scan_by_key_implILNS1_25lookback_scan_determinismE0ELb1ES3_N6thrust23THRUST_200600_302600_NS6detail15normal_iteratorINS9_10device_ptrIxEEEESE_SE_xNS9_4plusIvEENS9_8equal_toIvEExEE10hipError_tPvRmT2_T3_T4_T5_mT6_T7_P12ihipStream_tbENKUlT_T0_E_clISt17integral_constantIbLb0EESY_IbLb1EEEEDaSU_SV_EUlSU_E_NS1_11comp_targetILNS1_3genE2ELNS1_11target_archE906ELNS1_3gpuE6ELNS1_3repE0EEENS1_30default_config_static_selectorELNS0_4arch9wavefront6targetE0EEEvT1_.uses_vcc, 0
	.set _ZN7rocprim17ROCPRIM_400000_NS6detail17trampoline_kernelINS0_14default_configENS1_27scan_by_key_config_selectorIxxEEZZNS1_16scan_by_key_implILNS1_25lookback_scan_determinismE0ELb1ES3_N6thrust23THRUST_200600_302600_NS6detail15normal_iteratorINS9_10device_ptrIxEEEESE_SE_xNS9_4plusIvEENS9_8equal_toIvEExEE10hipError_tPvRmT2_T3_T4_T5_mT6_T7_P12ihipStream_tbENKUlT_T0_E_clISt17integral_constantIbLb0EESY_IbLb1EEEEDaSU_SV_EUlSU_E_NS1_11comp_targetILNS1_3genE2ELNS1_11target_archE906ELNS1_3gpuE6ELNS1_3repE0EEENS1_30default_config_static_selectorELNS0_4arch9wavefront6targetE0EEEvT1_.uses_flat_scratch, 0
	.set _ZN7rocprim17ROCPRIM_400000_NS6detail17trampoline_kernelINS0_14default_configENS1_27scan_by_key_config_selectorIxxEEZZNS1_16scan_by_key_implILNS1_25lookback_scan_determinismE0ELb1ES3_N6thrust23THRUST_200600_302600_NS6detail15normal_iteratorINS9_10device_ptrIxEEEESE_SE_xNS9_4plusIvEENS9_8equal_toIvEExEE10hipError_tPvRmT2_T3_T4_T5_mT6_T7_P12ihipStream_tbENKUlT_T0_E_clISt17integral_constantIbLb0EESY_IbLb1EEEEDaSU_SV_EUlSU_E_NS1_11comp_targetILNS1_3genE2ELNS1_11target_archE906ELNS1_3gpuE6ELNS1_3repE0EEENS1_30default_config_static_selectorELNS0_4arch9wavefront6targetE0EEEvT1_.has_dyn_sized_stack, 0
	.set _ZN7rocprim17ROCPRIM_400000_NS6detail17trampoline_kernelINS0_14default_configENS1_27scan_by_key_config_selectorIxxEEZZNS1_16scan_by_key_implILNS1_25lookback_scan_determinismE0ELb1ES3_N6thrust23THRUST_200600_302600_NS6detail15normal_iteratorINS9_10device_ptrIxEEEESE_SE_xNS9_4plusIvEENS9_8equal_toIvEExEE10hipError_tPvRmT2_T3_T4_T5_mT6_T7_P12ihipStream_tbENKUlT_T0_E_clISt17integral_constantIbLb0EESY_IbLb1EEEEDaSU_SV_EUlSU_E_NS1_11comp_targetILNS1_3genE2ELNS1_11target_archE906ELNS1_3gpuE6ELNS1_3repE0EEENS1_30default_config_static_selectorELNS0_4arch9wavefront6targetE0EEEvT1_.has_recursion, 0
	.set _ZN7rocprim17ROCPRIM_400000_NS6detail17trampoline_kernelINS0_14default_configENS1_27scan_by_key_config_selectorIxxEEZZNS1_16scan_by_key_implILNS1_25lookback_scan_determinismE0ELb1ES3_N6thrust23THRUST_200600_302600_NS6detail15normal_iteratorINS9_10device_ptrIxEEEESE_SE_xNS9_4plusIvEENS9_8equal_toIvEExEE10hipError_tPvRmT2_T3_T4_T5_mT6_T7_P12ihipStream_tbENKUlT_T0_E_clISt17integral_constantIbLb0EESY_IbLb1EEEEDaSU_SV_EUlSU_E_NS1_11comp_targetILNS1_3genE2ELNS1_11target_archE906ELNS1_3gpuE6ELNS1_3repE0EEENS1_30default_config_static_selectorELNS0_4arch9wavefront6targetE0EEEvT1_.has_indirect_call, 0
	.section	.AMDGPU.csdata,"",@progbits
; Kernel info:
; codeLenInByte = 0
; TotalNumSgprs: 0
; NumVgprs: 0
; ScratchSize: 0
; MemoryBound: 0
; FloatMode: 240
; IeeeMode: 1
; LDSByteSize: 0 bytes/workgroup (compile time only)
; SGPRBlocks: 0
; VGPRBlocks: 0
; NumSGPRsForWavesPerEU: 1
; NumVGPRsForWavesPerEU: 1
; NamedBarCnt: 0
; Occupancy: 16
; WaveLimiterHint : 0
; COMPUTE_PGM_RSRC2:SCRATCH_EN: 0
; COMPUTE_PGM_RSRC2:USER_SGPR: 2
; COMPUTE_PGM_RSRC2:TRAP_HANDLER: 0
; COMPUTE_PGM_RSRC2:TGID_X_EN: 1
; COMPUTE_PGM_RSRC2:TGID_Y_EN: 0
; COMPUTE_PGM_RSRC2:TGID_Z_EN: 0
; COMPUTE_PGM_RSRC2:TIDIG_COMP_CNT: 0
	.section	.text._ZN7rocprim17ROCPRIM_400000_NS6detail17trampoline_kernelINS0_14default_configENS1_27scan_by_key_config_selectorIxxEEZZNS1_16scan_by_key_implILNS1_25lookback_scan_determinismE0ELb1ES3_N6thrust23THRUST_200600_302600_NS6detail15normal_iteratorINS9_10device_ptrIxEEEESE_SE_xNS9_4plusIvEENS9_8equal_toIvEExEE10hipError_tPvRmT2_T3_T4_T5_mT6_T7_P12ihipStream_tbENKUlT_T0_E_clISt17integral_constantIbLb0EESY_IbLb1EEEEDaSU_SV_EUlSU_E_NS1_11comp_targetILNS1_3genE10ELNS1_11target_archE1200ELNS1_3gpuE4ELNS1_3repE0EEENS1_30default_config_static_selectorELNS0_4arch9wavefront6targetE0EEEvT1_,"axG",@progbits,_ZN7rocprim17ROCPRIM_400000_NS6detail17trampoline_kernelINS0_14default_configENS1_27scan_by_key_config_selectorIxxEEZZNS1_16scan_by_key_implILNS1_25lookback_scan_determinismE0ELb1ES3_N6thrust23THRUST_200600_302600_NS6detail15normal_iteratorINS9_10device_ptrIxEEEESE_SE_xNS9_4plusIvEENS9_8equal_toIvEExEE10hipError_tPvRmT2_T3_T4_T5_mT6_T7_P12ihipStream_tbENKUlT_T0_E_clISt17integral_constantIbLb0EESY_IbLb1EEEEDaSU_SV_EUlSU_E_NS1_11comp_targetILNS1_3genE10ELNS1_11target_archE1200ELNS1_3gpuE4ELNS1_3repE0EEENS1_30default_config_static_selectorELNS0_4arch9wavefront6targetE0EEEvT1_,comdat
	.protected	_ZN7rocprim17ROCPRIM_400000_NS6detail17trampoline_kernelINS0_14default_configENS1_27scan_by_key_config_selectorIxxEEZZNS1_16scan_by_key_implILNS1_25lookback_scan_determinismE0ELb1ES3_N6thrust23THRUST_200600_302600_NS6detail15normal_iteratorINS9_10device_ptrIxEEEESE_SE_xNS9_4plusIvEENS9_8equal_toIvEExEE10hipError_tPvRmT2_T3_T4_T5_mT6_T7_P12ihipStream_tbENKUlT_T0_E_clISt17integral_constantIbLb0EESY_IbLb1EEEEDaSU_SV_EUlSU_E_NS1_11comp_targetILNS1_3genE10ELNS1_11target_archE1200ELNS1_3gpuE4ELNS1_3repE0EEENS1_30default_config_static_selectorELNS0_4arch9wavefront6targetE0EEEvT1_ ; -- Begin function _ZN7rocprim17ROCPRIM_400000_NS6detail17trampoline_kernelINS0_14default_configENS1_27scan_by_key_config_selectorIxxEEZZNS1_16scan_by_key_implILNS1_25lookback_scan_determinismE0ELb1ES3_N6thrust23THRUST_200600_302600_NS6detail15normal_iteratorINS9_10device_ptrIxEEEESE_SE_xNS9_4plusIvEENS9_8equal_toIvEExEE10hipError_tPvRmT2_T3_T4_T5_mT6_T7_P12ihipStream_tbENKUlT_T0_E_clISt17integral_constantIbLb0EESY_IbLb1EEEEDaSU_SV_EUlSU_E_NS1_11comp_targetILNS1_3genE10ELNS1_11target_archE1200ELNS1_3gpuE4ELNS1_3repE0EEENS1_30default_config_static_selectorELNS0_4arch9wavefront6targetE0EEEvT1_
	.globl	_ZN7rocprim17ROCPRIM_400000_NS6detail17trampoline_kernelINS0_14default_configENS1_27scan_by_key_config_selectorIxxEEZZNS1_16scan_by_key_implILNS1_25lookback_scan_determinismE0ELb1ES3_N6thrust23THRUST_200600_302600_NS6detail15normal_iteratorINS9_10device_ptrIxEEEESE_SE_xNS9_4plusIvEENS9_8equal_toIvEExEE10hipError_tPvRmT2_T3_T4_T5_mT6_T7_P12ihipStream_tbENKUlT_T0_E_clISt17integral_constantIbLb0EESY_IbLb1EEEEDaSU_SV_EUlSU_E_NS1_11comp_targetILNS1_3genE10ELNS1_11target_archE1200ELNS1_3gpuE4ELNS1_3repE0EEENS1_30default_config_static_selectorELNS0_4arch9wavefront6targetE0EEEvT1_
	.p2align	8
	.type	_ZN7rocprim17ROCPRIM_400000_NS6detail17trampoline_kernelINS0_14default_configENS1_27scan_by_key_config_selectorIxxEEZZNS1_16scan_by_key_implILNS1_25lookback_scan_determinismE0ELb1ES3_N6thrust23THRUST_200600_302600_NS6detail15normal_iteratorINS9_10device_ptrIxEEEESE_SE_xNS9_4plusIvEENS9_8equal_toIvEExEE10hipError_tPvRmT2_T3_T4_T5_mT6_T7_P12ihipStream_tbENKUlT_T0_E_clISt17integral_constantIbLb0EESY_IbLb1EEEEDaSU_SV_EUlSU_E_NS1_11comp_targetILNS1_3genE10ELNS1_11target_archE1200ELNS1_3gpuE4ELNS1_3repE0EEENS1_30default_config_static_selectorELNS0_4arch9wavefront6targetE0EEEvT1_,@function
_ZN7rocprim17ROCPRIM_400000_NS6detail17trampoline_kernelINS0_14default_configENS1_27scan_by_key_config_selectorIxxEEZZNS1_16scan_by_key_implILNS1_25lookback_scan_determinismE0ELb1ES3_N6thrust23THRUST_200600_302600_NS6detail15normal_iteratorINS9_10device_ptrIxEEEESE_SE_xNS9_4plusIvEENS9_8equal_toIvEExEE10hipError_tPvRmT2_T3_T4_T5_mT6_T7_P12ihipStream_tbENKUlT_T0_E_clISt17integral_constantIbLb0EESY_IbLb1EEEEDaSU_SV_EUlSU_E_NS1_11comp_targetILNS1_3genE10ELNS1_11target_archE1200ELNS1_3gpuE4ELNS1_3repE0EEENS1_30default_config_static_selectorELNS0_4arch9wavefront6targetE0EEEvT1_: ; @_ZN7rocprim17ROCPRIM_400000_NS6detail17trampoline_kernelINS0_14default_configENS1_27scan_by_key_config_selectorIxxEEZZNS1_16scan_by_key_implILNS1_25lookback_scan_determinismE0ELb1ES3_N6thrust23THRUST_200600_302600_NS6detail15normal_iteratorINS9_10device_ptrIxEEEESE_SE_xNS9_4plusIvEENS9_8equal_toIvEExEE10hipError_tPvRmT2_T3_T4_T5_mT6_T7_P12ihipStream_tbENKUlT_T0_E_clISt17integral_constantIbLb0EESY_IbLb1EEEEDaSU_SV_EUlSU_E_NS1_11comp_targetILNS1_3genE10ELNS1_11target_archE1200ELNS1_3gpuE4ELNS1_3repE0EEENS1_30default_config_static_selectorELNS0_4arch9wavefront6targetE0EEEvT1_
; %bb.0:
	.section	.rodata,"a",@progbits
	.p2align	6, 0x0
	.amdhsa_kernel _ZN7rocprim17ROCPRIM_400000_NS6detail17trampoline_kernelINS0_14default_configENS1_27scan_by_key_config_selectorIxxEEZZNS1_16scan_by_key_implILNS1_25lookback_scan_determinismE0ELb1ES3_N6thrust23THRUST_200600_302600_NS6detail15normal_iteratorINS9_10device_ptrIxEEEESE_SE_xNS9_4plusIvEENS9_8equal_toIvEExEE10hipError_tPvRmT2_T3_T4_T5_mT6_T7_P12ihipStream_tbENKUlT_T0_E_clISt17integral_constantIbLb0EESY_IbLb1EEEEDaSU_SV_EUlSU_E_NS1_11comp_targetILNS1_3genE10ELNS1_11target_archE1200ELNS1_3gpuE4ELNS1_3repE0EEENS1_30default_config_static_selectorELNS0_4arch9wavefront6targetE0EEEvT1_
		.amdhsa_group_segment_fixed_size 0
		.amdhsa_private_segment_fixed_size 0
		.amdhsa_kernarg_size 136
		.amdhsa_user_sgpr_count 2
		.amdhsa_user_sgpr_dispatch_ptr 0
		.amdhsa_user_sgpr_queue_ptr 0
		.amdhsa_user_sgpr_kernarg_segment_ptr 1
		.amdhsa_user_sgpr_dispatch_id 0
		.amdhsa_user_sgpr_kernarg_preload_length 0
		.amdhsa_user_sgpr_kernarg_preload_offset 0
		.amdhsa_user_sgpr_private_segment_size 0
		.amdhsa_wavefront_size32 1
		.amdhsa_uses_dynamic_stack 0
		.amdhsa_enable_private_segment 0
		.amdhsa_system_sgpr_workgroup_id_x 1
		.amdhsa_system_sgpr_workgroup_id_y 0
		.amdhsa_system_sgpr_workgroup_id_z 0
		.amdhsa_system_sgpr_workgroup_info 0
		.amdhsa_system_vgpr_workitem_id 0
		.amdhsa_next_free_vgpr 1
		.amdhsa_next_free_sgpr 1
		.amdhsa_named_barrier_count 0
		.amdhsa_reserve_vcc 0
		.amdhsa_float_round_mode_32 0
		.amdhsa_float_round_mode_16_64 0
		.amdhsa_float_denorm_mode_32 3
		.amdhsa_float_denorm_mode_16_64 3
		.amdhsa_fp16_overflow 0
		.amdhsa_memory_ordered 1
		.amdhsa_forward_progress 1
		.amdhsa_inst_pref_size 0
		.amdhsa_round_robin_scheduling 0
		.amdhsa_exception_fp_ieee_invalid_op 0
		.amdhsa_exception_fp_denorm_src 0
		.amdhsa_exception_fp_ieee_div_zero 0
		.amdhsa_exception_fp_ieee_overflow 0
		.amdhsa_exception_fp_ieee_underflow 0
		.amdhsa_exception_fp_ieee_inexact 0
		.amdhsa_exception_int_div_zero 0
	.end_amdhsa_kernel
	.section	.text._ZN7rocprim17ROCPRIM_400000_NS6detail17trampoline_kernelINS0_14default_configENS1_27scan_by_key_config_selectorIxxEEZZNS1_16scan_by_key_implILNS1_25lookback_scan_determinismE0ELb1ES3_N6thrust23THRUST_200600_302600_NS6detail15normal_iteratorINS9_10device_ptrIxEEEESE_SE_xNS9_4plusIvEENS9_8equal_toIvEExEE10hipError_tPvRmT2_T3_T4_T5_mT6_T7_P12ihipStream_tbENKUlT_T0_E_clISt17integral_constantIbLb0EESY_IbLb1EEEEDaSU_SV_EUlSU_E_NS1_11comp_targetILNS1_3genE10ELNS1_11target_archE1200ELNS1_3gpuE4ELNS1_3repE0EEENS1_30default_config_static_selectorELNS0_4arch9wavefront6targetE0EEEvT1_,"axG",@progbits,_ZN7rocprim17ROCPRIM_400000_NS6detail17trampoline_kernelINS0_14default_configENS1_27scan_by_key_config_selectorIxxEEZZNS1_16scan_by_key_implILNS1_25lookback_scan_determinismE0ELb1ES3_N6thrust23THRUST_200600_302600_NS6detail15normal_iteratorINS9_10device_ptrIxEEEESE_SE_xNS9_4plusIvEENS9_8equal_toIvEExEE10hipError_tPvRmT2_T3_T4_T5_mT6_T7_P12ihipStream_tbENKUlT_T0_E_clISt17integral_constantIbLb0EESY_IbLb1EEEEDaSU_SV_EUlSU_E_NS1_11comp_targetILNS1_3genE10ELNS1_11target_archE1200ELNS1_3gpuE4ELNS1_3repE0EEENS1_30default_config_static_selectorELNS0_4arch9wavefront6targetE0EEEvT1_,comdat
.Lfunc_end386:
	.size	_ZN7rocprim17ROCPRIM_400000_NS6detail17trampoline_kernelINS0_14default_configENS1_27scan_by_key_config_selectorIxxEEZZNS1_16scan_by_key_implILNS1_25lookback_scan_determinismE0ELb1ES3_N6thrust23THRUST_200600_302600_NS6detail15normal_iteratorINS9_10device_ptrIxEEEESE_SE_xNS9_4plusIvEENS9_8equal_toIvEExEE10hipError_tPvRmT2_T3_T4_T5_mT6_T7_P12ihipStream_tbENKUlT_T0_E_clISt17integral_constantIbLb0EESY_IbLb1EEEEDaSU_SV_EUlSU_E_NS1_11comp_targetILNS1_3genE10ELNS1_11target_archE1200ELNS1_3gpuE4ELNS1_3repE0EEENS1_30default_config_static_selectorELNS0_4arch9wavefront6targetE0EEEvT1_, .Lfunc_end386-_ZN7rocprim17ROCPRIM_400000_NS6detail17trampoline_kernelINS0_14default_configENS1_27scan_by_key_config_selectorIxxEEZZNS1_16scan_by_key_implILNS1_25lookback_scan_determinismE0ELb1ES3_N6thrust23THRUST_200600_302600_NS6detail15normal_iteratorINS9_10device_ptrIxEEEESE_SE_xNS9_4plusIvEENS9_8equal_toIvEExEE10hipError_tPvRmT2_T3_T4_T5_mT6_T7_P12ihipStream_tbENKUlT_T0_E_clISt17integral_constantIbLb0EESY_IbLb1EEEEDaSU_SV_EUlSU_E_NS1_11comp_targetILNS1_3genE10ELNS1_11target_archE1200ELNS1_3gpuE4ELNS1_3repE0EEENS1_30default_config_static_selectorELNS0_4arch9wavefront6targetE0EEEvT1_
                                        ; -- End function
	.set _ZN7rocprim17ROCPRIM_400000_NS6detail17trampoline_kernelINS0_14default_configENS1_27scan_by_key_config_selectorIxxEEZZNS1_16scan_by_key_implILNS1_25lookback_scan_determinismE0ELb1ES3_N6thrust23THRUST_200600_302600_NS6detail15normal_iteratorINS9_10device_ptrIxEEEESE_SE_xNS9_4plusIvEENS9_8equal_toIvEExEE10hipError_tPvRmT2_T3_T4_T5_mT6_T7_P12ihipStream_tbENKUlT_T0_E_clISt17integral_constantIbLb0EESY_IbLb1EEEEDaSU_SV_EUlSU_E_NS1_11comp_targetILNS1_3genE10ELNS1_11target_archE1200ELNS1_3gpuE4ELNS1_3repE0EEENS1_30default_config_static_selectorELNS0_4arch9wavefront6targetE0EEEvT1_.num_vgpr, 0
	.set _ZN7rocprim17ROCPRIM_400000_NS6detail17trampoline_kernelINS0_14default_configENS1_27scan_by_key_config_selectorIxxEEZZNS1_16scan_by_key_implILNS1_25lookback_scan_determinismE0ELb1ES3_N6thrust23THRUST_200600_302600_NS6detail15normal_iteratorINS9_10device_ptrIxEEEESE_SE_xNS9_4plusIvEENS9_8equal_toIvEExEE10hipError_tPvRmT2_T3_T4_T5_mT6_T7_P12ihipStream_tbENKUlT_T0_E_clISt17integral_constantIbLb0EESY_IbLb1EEEEDaSU_SV_EUlSU_E_NS1_11comp_targetILNS1_3genE10ELNS1_11target_archE1200ELNS1_3gpuE4ELNS1_3repE0EEENS1_30default_config_static_selectorELNS0_4arch9wavefront6targetE0EEEvT1_.num_agpr, 0
	.set _ZN7rocprim17ROCPRIM_400000_NS6detail17trampoline_kernelINS0_14default_configENS1_27scan_by_key_config_selectorIxxEEZZNS1_16scan_by_key_implILNS1_25lookback_scan_determinismE0ELb1ES3_N6thrust23THRUST_200600_302600_NS6detail15normal_iteratorINS9_10device_ptrIxEEEESE_SE_xNS9_4plusIvEENS9_8equal_toIvEExEE10hipError_tPvRmT2_T3_T4_T5_mT6_T7_P12ihipStream_tbENKUlT_T0_E_clISt17integral_constantIbLb0EESY_IbLb1EEEEDaSU_SV_EUlSU_E_NS1_11comp_targetILNS1_3genE10ELNS1_11target_archE1200ELNS1_3gpuE4ELNS1_3repE0EEENS1_30default_config_static_selectorELNS0_4arch9wavefront6targetE0EEEvT1_.numbered_sgpr, 0
	.set _ZN7rocprim17ROCPRIM_400000_NS6detail17trampoline_kernelINS0_14default_configENS1_27scan_by_key_config_selectorIxxEEZZNS1_16scan_by_key_implILNS1_25lookback_scan_determinismE0ELb1ES3_N6thrust23THRUST_200600_302600_NS6detail15normal_iteratorINS9_10device_ptrIxEEEESE_SE_xNS9_4plusIvEENS9_8equal_toIvEExEE10hipError_tPvRmT2_T3_T4_T5_mT6_T7_P12ihipStream_tbENKUlT_T0_E_clISt17integral_constantIbLb0EESY_IbLb1EEEEDaSU_SV_EUlSU_E_NS1_11comp_targetILNS1_3genE10ELNS1_11target_archE1200ELNS1_3gpuE4ELNS1_3repE0EEENS1_30default_config_static_selectorELNS0_4arch9wavefront6targetE0EEEvT1_.num_named_barrier, 0
	.set _ZN7rocprim17ROCPRIM_400000_NS6detail17trampoline_kernelINS0_14default_configENS1_27scan_by_key_config_selectorIxxEEZZNS1_16scan_by_key_implILNS1_25lookback_scan_determinismE0ELb1ES3_N6thrust23THRUST_200600_302600_NS6detail15normal_iteratorINS9_10device_ptrIxEEEESE_SE_xNS9_4plusIvEENS9_8equal_toIvEExEE10hipError_tPvRmT2_T3_T4_T5_mT6_T7_P12ihipStream_tbENKUlT_T0_E_clISt17integral_constantIbLb0EESY_IbLb1EEEEDaSU_SV_EUlSU_E_NS1_11comp_targetILNS1_3genE10ELNS1_11target_archE1200ELNS1_3gpuE4ELNS1_3repE0EEENS1_30default_config_static_selectorELNS0_4arch9wavefront6targetE0EEEvT1_.private_seg_size, 0
	.set _ZN7rocprim17ROCPRIM_400000_NS6detail17trampoline_kernelINS0_14default_configENS1_27scan_by_key_config_selectorIxxEEZZNS1_16scan_by_key_implILNS1_25lookback_scan_determinismE0ELb1ES3_N6thrust23THRUST_200600_302600_NS6detail15normal_iteratorINS9_10device_ptrIxEEEESE_SE_xNS9_4plusIvEENS9_8equal_toIvEExEE10hipError_tPvRmT2_T3_T4_T5_mT6_T7_P12ihipStream_tbENKUlT_T0_E_clISt17integral_constantIbLb0EESY_IbLb1EEEEDaSU_SV_EUlSU_E_NS1_11comp_targetILNS1_3genE10ELNS1_11target_archE1200ELNS1_3gpuE4ELNS1_3repE0EEENS1_30default_config_static_selectorELNS0_4arch9wavefront6targetE0EEEvT1_.uses_vcc, 0
	.set _ZN7rocprim17ROCPRIM_400000_NS6detail17trampoline_kernelINS0_14default_configENS1_27scan_by_key_config_selectorIxxEEZZNS1_16scan_by_key_implILNS1_25lookback_scan_determinismE0ELb1ES3_N6thrust23THRUST_200600_302600_NS6detail15normal_iteratorINS9_10device_ptrIxEEEESE_SE_xNS9_4plusIvEENS9_8equal_toIvEExEE10hipError_tPvRmT2_T3_T4_T5_mT6_T7_P12ihipStream_tbENKUlT_T0_E_clISt17integral_constantIbLb0EESY_IbLb1EEEEDaSU_SV_EUlSU_E_NS1_11comp_targetILNS1_3genE10ELNS1_11target_archE1200ELNS1_3gpuE4ELNS1_3repE0EEENS1_30default_config_static_selectorELNS0_4arch9wavefront6targetE0EEEvT1_.uses_flat_scratch, 0
	.set _ZN7rocprim17ROCPRIM_400000_NS6detail17trampoline_kernelINS0_14default_configENS1_27scan_by_key_config_selectorIxxEEZZNS1_16scan_by_key_implILNS1_25lookback_scan_determinismE0ELb1ES3_N6thrust23THRUST_200600_302600_NS6detail15normal_iteratorINS9_10device_ptrIxEEEESE_SE_xNS9_4plusIvEENS9_8equal_toIvEExEE10hipError_tPvRmT2_T3_T4_T5_mT6_T7_P12ihipStream_tbENKUlT_T0_E_clISt17integral_constantIbLb0EESY_IbLb1EEEEDaSU_SV_EUlSU_E_NS1_11comp_targetILNS1_3genE10ELNS1_11target_archE1200ELNS1_3gpuE4ELNS1_3repE0EEENS1_30default_config_static_selectorELNS0_4arch9wavefront6targetE0EEEvT1_.has_dyn_sized_stack, 0
	.set _ZN7rocprim17ROCPRIM_400000_NS6detail17trampoline_kernelINS0_14default_configENS1_27scan_by_key_config_selectorIxxEEZZNS1_16scan_by_key_implILNS1_25lookback_scan_determinismE0ELb1ES3_N6thrust23THRUST_200600_302600_NS6detail15normal_iteratorINS9_10device_ptrIxEEEESE_SE_xNS9_4plusIvEENS9_8equal_toIvEExEE10hipError_tPvRmT2_T3_T4_T5_mT6_T7_P12ihipStream_tbENKUlT_T0_E_clISt17integral_constantIbLb0EESY_IbLb1EEEEDaSU_SV_EUlSU_E_NS1_11comp_targetILNS1_3genE10ELNS1_11target_archE1200ELNS1_3gpuE4ELNS1_3repE0EEENS1_30default_config_static_selectorELNS0_4arch9wavefront6targetE0EEEvT1_.has_recursion, 0
	.set _ZN7rocprim17ROCPRIM_400000_NS6detail17trampoline_kernelINS0_14default_configENS1_27scan_by_key_config_selectorIxxEEZZNS1_16scan_by_key_implILNS1_25lookback_scan_determinismE0ELb1ES3_N6thrust23THRUST_200600_302600_NS6detail15normal_iteratorINS9_10device_ptrIxEEEESE_SE_xNS9_4plusIvEENS9_8equal_toIvEExEE10hipError_tPvRmT2_T3_T4_T5_mT6_T7_P12ihipStream_tbENKUlT_T0_E_clISt17integral_constantIbLb0EESY_IbLb1EEEEDaSU_SV_EUlSU_E_NS1_11comp_targetILNS1_3genE10ELNS1_11target_archE1200ELNS1_3gpuE4ELNS1_3repE0EEENS1_30default_config_static_selectorELNS0_4arch9wavefront6targetE0EEEvT1_.has_indirect_call, 0
	.section	.AMDGPU.csdata,"",@progbits
; Kernel info:
; codeLenInByte = 0
; TotalNumSgprs: 0
; NumVgprs: 0
; ScratchSize: 0
; MemoryBound: 0
; FloatMode: 240
; IeeeMode: 1
; LDSByteSize: 0 bytes/workgroup (compile time only)
; SGPRBlocks: 0
; VGPRBlocks: 0
; NumSGPRsForWavesPerEU: 1
; NumVGPRsForWavesPerEU: 1
; NamedBarCnt: 0
; Occupancy: 16
; WaveLimiterHint : 0
; COMPUTE_PGM_RSRC2:SCRATCH_EN: 0
; COMPUTE_PGM_RSRC2:USER_SGPR: 2
; COMPUTE_PGM_RSRC2:TRAP_HANDLER: 0
; COMPUTE_PGM_RSRC2:TGID_X_EN: 1
; COMPUTE_PGM_RSRC2:TGID_Y_EN: 0
; COMPUTE_PGM_RSRC2:TGID_Z_EN: 0
; COMPUTE_PGM_RSRC2:TIDIG_COMP_CNT: 0
	.section	.text._ZN7rocprim17ROCPRIM_400000_NS6detail17trampoline_kernelINS0_14default_configENS1_27scan_by_key_config_selectorIxxEEZZNS1_16scan_by_key_implILNS1_25lookback_scan_determinismE0ELb1ES3_N6thrust23THRUST_200600_302600_NS6detail15normal_iteratorINS9_10device_ptrIxEEEESE_SE_xNS9_4plusIvEENS9_8equal_toIvEExEE10hipError_tPvRmT2_T3_T4_T5_mT6_T7_P12ihipStream_tbENKUlT_T0_E_clISt17integral_constantIbLb0EESY_IbLb1EEEEDaSU_SV_EUlSU_E_NS1_11comp_targetILNS1_3genE9ELNS1_11target_archE1100ELNS1_3gpuE3ELNS1_3repE0EEENS1_30default_config_static_selectorELNS0_4arch9wavefront6targetE0EEEvT1_,"axG",@progbits,_ZN7rocprim17ROCPRIM_400000_NS6detail17trampoline_kernelINS0_14default_configENS1_27scan_by_key_config_selectorIxxEEZZNS1_16scan_by_key_implILNS1_25lookback_scan_determinismE0ELb1ES3_N6thrust23THRUST_200600_302600_NS6detail15normal_iteratorINS9_10device_ptrIxEEEESE_SE_xNS9_4plusIvEENS9_8equal_toIvEExEE10hipError_tPvRmT2_T3_T4_T5_mT6_T7_P12ihipStream_tbENKUlT_T0_E_clISt17integral_constantIbLb0EESY_IbLb1EEEEDaSU_SV_EUlSU_E_NS1_11comp_targetILNS1_3genE9ELNS1_11target_archE1100ELNS1_3gpuE3ELNS1_3repE0EEENS1_30default_config_static_selectorELNS0_4arch9wavefront6targetE0EEEvT1_,comdat
	.protected	_ZN7rocprim17ROCPRIM_400000_NS6detail17trampoline_kernelINS0_14default_configENS1_27scan_by_key_config_selectorIxxEEZZNS1_16scan_by_key_implILNS1_25lookback_scan_determinismE0ELb1ES3_N6thrust23THRUST_200600_302600_NS6detail15normal_iteratorINS9_10device_ptrIxEEEESE_SE_xNS9_4plusIvEENS9_8equal_toIvEExEE10hipError_tPvRmT2_T3_T4_T5_mT6_T7_P12ihipStream_tbENKUlT_T0_E_clISt17integral_constantIbLb0EESY_IbLb1EEEEDaSU_SV_EUlSU_E_NS1_11comp_targetILNS1_3genE9ELNS1_11target_archE1100ELNS1_3gpuE3ELNS1_3repE0EEENS1_30default_config_static_selectorELNS0_4arch9wavefront6targetE0EEEvT1_ ; -- Begin function _ZN7rocprim17ROCPRIM_400000_NS6detail17trampoline_kernelINS0_14default_configENS1_27scan_by_key_config_selectorIxxEEZZNS1_16scan_by_key_implILNS1_25lookback_scan_determinismE0ELb1ES3_N6thrust23THRUST_200600_302600_NS6detail15normal_iteratorINS9_10device_ptrIxEEEESE_SE_xNS9_4plusIvEENS9_8equal_toIvEExEE10hipError_tPvRmT2_T3_T4_T5_mT6_T7_P12ihipStream_tbENKUlT_T0_E_clISt17integral_constantIbLb0EESY_IbLb1EEEEDaSU_SV_EUlSU_E_NS1_11comp_targetILNS1_3genE9ELNS1_11target_archE1100ELNS1_3gpuE3ELNS1_3repE0EEENS1_30default_config_static_selectorELNS0_4arch9wavefront6targetE0EEEvT1_
	.globl	_ZN7rocprim17ROCPRIM_400000_NS6detail17trampoline_kernelINS0_14default_configENS1_27scan_by_key_config_selectorIxxEEZZNS1_16scan_by_key_implILNS1_25lookback_scan_determinismE0ELb1ES3_N6thrust23THRUST_200600_302600_NS6detail15normal_iteratorINS9_10device_ptrIxEEEESE_SE_xNS9_4plusIvEENS9_8equal_toIvEExEE10hipError_tPvRmT2_T3_T4_T5_mT6_T7_P12ihipStream_tbENKUlT_T0_E_clISt17integral_constantIbLb0EESY_IbLb1EEEEDaSU_SV_EUlSU_E_NS1_11comp_targetILNS1_3genE9ELNS1_11target_archE1100ELNS1_3gpuE3ELNS1_3repE0EEENS1_30default_config_static_selectorELNS0_4arch9wavefront6targetE0EEEvT1_
	.p2align	8
	.type	_ZN7rocprim17ROCPRIM_400000_NS6detail17trampoline_kernelINS0_14default_configENS1_27scan_by_key_config_selectorIxxEEZZNS1_16scan_by_key_implILNS1_25lookback_scan_determinismE0ELb1ES3_N6thrust23THRUST_200600_302600_NS6detail15normal_iteratorINS9_10device_ptrIxEEEESE_SE_xNS9_4plusIvEENS9_8equal_toIvEExEE10hipError_tPvRmT2_T3_T4_T5_mT6_T7_P12ihipStream_tbENKUlT_T0_E_clISt17integral_constantIbLb0EESY_IbLb1EEEEDaSU_SV_EUlSU_E_NS1_11comp_targetILNS1_3genE9ELNS1_11target_archE1100ELNS1_3gpuE3ELNS1_3repE0EEENS1_30default_config_static_selectorELNS0_4arch9wavefront6targetE0EEEvT1_,@function
_ZN7rocprim17ROCPRIM_400000_NS6detail17trampoline_kernelINS0_14default_configENS1_27scan_by_key_config_selectorIxxEEZZNS1_16scan_by_key_implILNS1_25lookback_scan_determinismE0ELb1ES3_N6thrust23THRUST_200600_302600_NS6detail15normal_iteratorINS9_10device_ptrIxEEEESE_SE_xNS9_4plusIvEENS9_8equal_toIvEExEE10hipError_tPvRmT2_T3_T4_T5_mT6_T7_P12ihipStream_tbENKUlT_T0_E_clISt17integral_constantIbLb0EESY_IbLb1EEEEDaSU_SV_EUlSU_E_NS1_11comp_targetILNS1_3genE9ELNS1_11target_archE1100ELNS1_3gpuE3ELNS1_3repE0EEENS1_30default_config_static_selectorELNS0_4arch9wavefront6targetE0EEEvT1_: ; @_ZN7rocprim17ROCPRIM_400000_NS6detail17trampoline_kernelINS0_14default_configENS1_27scan_by_key_config_selectorIxxEEZZNS1_16scan_by_key_implILNS1_25lookback_scan_determinismE0ELb1ES3_N6thrust23THRUST_200600_302600_NS6detail15normal_iteratorINS9_10device_ptrIxEEEESE_SE_xNS9_4plusIvEENS9_8equal_toIvEExEE10hipError_tPvRmT2_T3_T4_T5_mT6_T7_P12ihipStream_tbENKUlT_T0_E_clISt17integral_constantIbLb0EESY_IbLb1EEEEDaSU_SV_EUlSU_E_NS1_11comp_targetILNS1_3genE9ELNS1_11target_archE1100ELNS1_3gpuE3ELNS1_3repE0EEENS1_30default_config_static_selectorELNS0_4arch9wavefront6targetE0EEEvT1_
; %bb.0:
	.section	.rodata,"a",@progbits
	.p2align	6, 0x0
	.amdhsa_kernel _ZN7rocprim17ROCPRIM_400000_NS6detail17trampoline_kernelINS0_14default_configENS1_27scan_by_key_config_selectorIxxEEZZNS1_16scan_by_key_implILNS1_25lookback_scan_determinismE0ELb1ES3_N6thrust23THRUST_200600_302600_NS6detail15normal_iteratorINS9_10device_ptrIxEEEESE_SE_xNS9_4plusIvEENS9_8equal_toIvEExEE10hipError_tPvRmT2_T3_T4_T5_mT6_T7_P12ihipStream_tbENKUlT_T0_E_clISt17integral_constantIbLb0EESY_IbLb1EEEEDaSU_SV_EUlSU_E_NS1_11comp_targetILNS1_3genE9ELNS1_11target_archE1100ELNS1_3gpuE3ELNS1_3repE0EEENS1_30default_config_static_selectorELNS0_4arch9wavefront6targetE0EEEvT1_
		.amdhsa_group_segment_fixed_size 0
		.amdhsa_private_segment_fixed_size 0
		.amdhsa_kernarg_size 136
		.amdhsa_user_sgpr_count 2
		.amdhsa_user_sgpr_dispatch_ptr 0
		.amdhsa_user_sgpr_queue_ptr 0
		.amdhsa_user_sgpr_kernarg_segment_ptr 1
		.amdhsa_user_sgpr_dispatch_id 0
		.amdhsa_user_sgpr_kernarg_preload_length 0
		.amdhsa_user_sgpr_kernarg_preload_offset 0
		.amdhsa_user_sgpr_private_segment_size 0
		.amdhsa_wavefront_size32 1
		.amdhsa_uses_dynamic_stack 0
		.amdhsa_enable_private_segment 0
		.amdhsa_system_sgpr_workgroup_id_x 1
		.amdhsa_system_sgpr_workgroup_id_y 0
		.amdhsa_system_sgpr_workgroup_id_z 0
		.amdhsa_system_sgpr_workgroup_info 0
		.amdhsa_system_vgpr_workitem_id 0
		.amdhsa_next_free_vgpr 1
		.amdhsa_next_free_sgpr 1
		.amdhsa_named_barrier_count 0
		.amdhsa_reserve_vcc 0
		.amdhsa_float_round_mode_32 0
		.amdhsa_float_round_mode_16_64 0
		.amdhsa_float_denorm_mode_32 3
		.amdhsa_float_denorm_mode_16_64 3
		.amdhsa_fp16_overflow 0
		.amdhsa_memory_ordered 1
		.amdhsa_forward_progress 1
		.amdhsa_inst_pref_size 0
		.amdhsa_round_robin_scheduling 0
		.amdhsa_exception_fp_ieee_invalid_op 0
		.amdhsa_exception_fp_denorm_src 0
		.amdhsa_exception_fp_ieee_div_zero 0
		.amdhsa_exception_fp_ieee_overflow 0
		.amdhsa_exception_fp_ieee_underflow 0
		.amdhsa_exception_fp_ieee_inexact 0
		.amdhsa_exception_int_div_zero 0
	.end_amdhsa_kernel
	.section	.text._ZN7rocprim17ROCPRIM_400000_NS6detail17trampoline_kernelINS0_14default_configENS1_27scan_by_key_config_selectorIxxEEZZNS1_16scan_by_key_implILNS1_25lookback_scan_determinismE0ELb1ES3_N6thrust23THRUST_200600_302600_NS6detail15normal_iteratorINS9_10device_ptrIxEEEESE_SE_xNS9_4plusIvEENS9_8equal_toIvEExEE10hipError_tPvRmT2_T3_T4_T5_mT6_T7_P12ihipStream_tbENKUlT_T0_E_clISt17integral_constantIbLb0EESY_IbLb1EEEEDaSU_SV_EUlSU_E_NS1_11comp_targetILNS1_3genE9ELNS1_11target_archE1100ELNS1_3gpuE3ELNS1_3repE0EEENS1_30default_config_static_selectorELNS0_4arch9wavefront6targetE0EEEvT1_,"axG",@progbits,_ZN7rocprim17ROCPRIM_400000_NS6detail17trampoline_kernelINS0_14default_configENS1_27scan_by_key_config_selectorIxxEEZZNS1_16scan_by_key_implILNS1_25lookback_scan_determinismE0ELb1ES3_N6thrust23THRUST_200600_302600_NS6detail15normal_iteratorINS9_10device_ptrIxEEEESE_SE_xNS9_4plusIvEENS9_8equal_toIvEExEE10hipError_tPvRmT2_T3_T4_T5_mT6_T7_P12ihipStream_tbENKUlT_T0_E_clISt17integral_constantIbLb0EESY_IbLb1EEEEDaSU_SV_EUlSU_E_NS1_11comp_targetILNS1_3genE9ELNS1_11target_archE1100ELNS1_3gpuE3ELNS1_3repE0EEENS1_30default_config_static_selectorELNS0_4arch9wavefront6targetE0EEEvT1_,comdat
.Lfunc_end387:
	.size	_ZN7rocprim17ROCPRIM_400000_NS6detail17trampoline_kernelINS0_14default_configENS1_27scan_by_key_config_selectorIxxEEZZNS1_16scan_by_key_implILNS1_25lookback_scan_determinismE0ELb1ES3_N6thrust23THRUST_200600_302600_NS6detail15normal_iteratorINS9_10device_ptrIxEEEESE_SE_xNS9_4plusIvEENS9_8equal_toIvEExEE10hipError_tPvRmT2_T3_T4_T5_mT6_T7_P12ihipStream_tbENKUlT_T0_E_clISt17integral_constantIbLb0EESY_IbLb1EEEEDaSU_SV_EUlSU_E_NS1_11comp_targetILNS1_3genE9ELNS1_11target_archE1100ELNS1_3gpuE3ELNS1_3repE0EEENS1_30default_config_static_selectorELNS0_4arch9wavefront6targetE0EEEvT1_, .Lfunc_end387-_ZN7rocprim17ROCPRIM_400000_NS6detail17trampoline_kernelINS0_14default_configENS1_27scan_by_key_config_selectorIxxEEZZNS1_16scan_by_key_implILNS1_25lookback_scan_determinismE0ELb1ES3_N6thrust23THRUST_200600_302600_NS6detail15normal_iteratorINS9_10device_ptrIxEEEESE_SE_xNS9_4plusIvEENS9_8equal_toIvEExEE10hipError_tPvRmT2_T3_T4_T5_mT6_T7_P12ihipStream_tbENKUlT_T0_E_clISt17integral_constantIbLb0EESY_IbLb1EEEEDaSU_SV_EUlSU_E_NS1_11comp_targetILNS1_3genE9ELNS1_11target_archE1100ELNS1_3gpuE3ELNS1_3repE0EEENS1_30default_config_static_selectorELNS0_4arch9wavefront6targetE0EEEvT1_
                                        ; -- End function
	.set _ZN7rocprim17ROCPRIM_400000_NS6detail17trampoline_kernelINS0_14default_configENS1_27scan_by_key_config_selectorIxxEEZZNS1_16scan_by_key_implILNS1_25lookback_scan_determinismE0ELb1ES3_N6thrust23THRUST_200600_302600_NS6detail15normal_iteratorINS9_10device_ptrIxEEEESE_SE_xNS9_4plusIvEENS9_8equal_toIvEExEE10hipError_tPvRmT2_T3_T4_T5_mT6_T7_P12ihipStream_tbENKUlT_T0_E_clISt17integral_constantIbLb0EESY_IbLb1EEEEDaSU_SV_EUlSU_E_NS1_11comp_targetILNS1_3genE9ELNS1_11target_archE1100ELNS1_3gpuE3ELNS1_3repE0EEENS1_30default_config_static_selectorELNS0_4arch9wavefront6targetE0EEEvT1_.num_vgpr, 0
	.set _ZN7rocprim17ROCPRIM_400000_NS6detail17trampoline_kernelINS0_14default_configENS1_27scan_by_key_config_selectorIxxEEZZNS1_16scan_by_key_implILNS1_25lookback_scan_determinismE0ELb1ES3_N6thrust23THRUST_200600_302600_NS6detail15normal_iteratorINS9_10device_ptrIxEEEESE_SE_xNS9_4plusIvEENS9_8equal_toIvEExEE10hipError_tPvRmT2_T3_T4_T5_mT6_T7_P12ihipStream_tbENKUlT_T0_E_clISt17integral_constantIbLb0EESY_IbLb1EEEEDaSU_SV_EUlSU_E_NS1_11comp_targetILNS1_3genE9ELNS1_11target_archE1100ELNS1_3gpuE3ELNS1_3repE0EEENS1_30default_config_static_selectorELNS0_4arch9wavefront6targetE0EEEvT1_.num_agpr, 0
	.set _ZN7rocprim17ROCPRIM_400000_NS6detail17trampoline_kernelINS0_14default_configENS1_27scan_by_key_config_selectorIxxEEZZNS1_16scan_by_key_implILNS1_25lookback_scan_determinismE0ELb1ES3_N6thrust23THRUST_200600_302600_NS6detail15normal_iteratorINS9_10device_ptrIxEEEESE_SE_xNS9_4plusIvEENS9_8equal_toIvEExEE10hipError_tPvRmT2_T3_T4_T5_mT6_T7_P12ihipStream_tbENKUlT_T0_E_clISt17integral_constantIbLb0EESY_IbLb1EEEEDaSU_SV_EUlSU_E_NS1_11comp_targetILNS1_3genE9ELNS1_11target_archE1100ELNS1_3gpuE3ELNS1_3repE0EEENS1_30default_config_static_selectorELNS0_4arch9wavefront6targetE0EEEvT1_.numbered_sgpr, 0
	.set _ZN7rocprim17ROCPRIM_400000_NS6detail17trampoline_kernelINS0_14default_configENS1_27scan_by_key_config_selectorIxxEEZZNS1_16scan_by_key_implILNS1_25lookback_scan_determinismE0ELb1ES3_N6thrust23THRUST_200600_302600_NS6detail15normal_iteratorINS9_10device_ptrIxEEEESE_SE_xNS9_4plusIvEENS9_8equal_toIvEExEE10hipError_tPvRmT2_T3_T4_T5_mT6_T7_P12ihipStream_tbENKUlT_T0_E_clISt17integral_constantIbLb0EESY_IbLb1EEEEDaSU_SV_EUlSU_E_NS1_11comp_targetILNS1_3genE9ELNS1_11target_archE1100ELNS1_3gpuE3ELNS1_3repE0EEENS1_30default_config_static_selectorELNS0_4arch9wavefront6targetE0EEEvT1_.num_named_barrier, 0
	.set _ZN7rocprim17ROCPRIM_400000_NS6detail17trampoline_kernelINS0_14default_configENS1_27scan_by_key_config_selectorIxxEEZZNS1_16scan_by_key_implILNS1_25lookback_scan_determinismE0ELb1ES3_N6thrust23THRUST_200600_302600_NS6detail15normal_iteratorINS9_10device_ptrIxEEEESE_SE_xNS9_4plusIvEENS9_8equal_toIvEExEE10hipError_tPvRmT2_T3_T4_T5_mT6_T7_P12ihipStream_tbENKUlT_T0_E_clISt17integral_constantIbLb0EESY_IbLb1EEEEDaSU_SV_EUlSU_E_NS1_11comp_targetILNS1_3genE9ELNS1_11target_archE1100ELNS1_3gpuE3ELNS1_3repE0EEENS1_30default_config_static_selectorELNS0_4arch9wavefront6targetE0EEEvT1_.private_seg_size, 0
	.set _ZN7rocprim17ROCPRIM_400000_NS6detail17trampoline_kernelINS0_14default_configENS1_27scan_by_key_config_selectorIxxEEZZNS1_16scan_by_key_implILNS1_25lookback_scan_determinismE0ELb1ES3_N6thrust23THRUST_200600_302600_NS6detail15normal_iteratorINS9_10device_ptrIxEEEESE_SE_xNS9_4plusIvEENS9_8equal_toIvEExEE10hipError_tPvRmT2_T3_T4_T5_mT6_T7_P12ihipStream_tbENKUlT_T0_E_clISt17integral_constantIbLb0EESY_IbLb1EEEEDaSU_SV_EUlSU_E_NS1_11comp_targetILNS1_3genE9ELNS1_11target_archE1100ELNS1_3gpuE3ELNS1_3repE0EEENS1_30default_config_static_selectorELNS0_4arch9wavefront6targetE0EEEvT1_.uses_vcc, 0
	.set _ZN7rocprim17ROCPRIM_400000_NS6detail17trampoline_kernelINS0_14default_configENS1_27scan_by_key_config_selectorIxxEEZZNS1_16scan_by_key_implILNS1_25lookback_scan_determinismE0ELb1ES3_N6thrust23THRUST_200600_302600_NS6detail15normal_iteratorINS9_10device_ptrIxEEEESE_SE_xNS9_4plusIvEENS9_8equal_toIvEExEE10hipError_tPvRmT2_T3_T4_T5_mT6_T7_P12ihipStream_tbENKUlT_T0_E_clISt17integral_constantIbLb0EESY_IbLb1EEEEDaSU_SV_EUlSU_E_NS1_11comp_targetILNS1_3genE9ELNS1_11target_archE1100ELNS1_3gpuE3ELNS1_3repE0EEENS1_30default_config_static_selectorELNS0_4arch9wavefront6targetE0EEEvT1_.uses_flat_scratch, 0
	.set _ZN7rocprim17ROCPRIM_400000_NS6detail17trampoline_kernelINS0_14default_configENS1_27scan_by_key_config_selectorIxxEEZZNS1_16scan_by_key_implILNS1_25lookback_scan_determinismE0ELb1ES3_N6thrust23THRUST_200600_302600_NS6detail15normal_iteratorINS9_10device_ptrIxEEEESE_SE_xNS9_4plusIvEENS9_8equal_toIvEExEE10hipError_tPvRmT2_T3_T4_T5_mT6_T7_P12ihipStream_tbENKUlT_T0_E_clISt17integral_constantIbLb0EESY_IbLb1EEEEDaSU_SV_EUlSU_E_NS1_11comp_targetILNS1_3genE9ELNS1_11target_archE1100ELNS1_3gpuE3ELNS1_3repE0EEENS1_30default_config_static_selectorELNS0_4arch9wavefront6targetE0EEEvT1_.has_dyn_sized_stack, 0
	.set _ZN7rocprim17ROCPRIM_400000_NS6detail17trampoline_kernelINS0_14default_configENS1_27scan_by_key_config_selectorIxxEEZZNS1_16scan_by_key_implILNS1_25lookback_scan_determinismE0ELb1ES3_N6thrust23THRUST_200600_302600_NS6detail15normal_iteratorINS9_10device_ptrIxEEEESE_SE_xNS9_4plusIvEENS9_8equal_toIvEExEE10hipError_tPvRmT2_T3_T4_T5_mT6_T7_P12ihipStream_tbENKUlT_T0_E_clISt17integral_constantIbLb0EESY_IbLb1EEEEDaSU_SV_EUlSU_E_NS1_11comp_targetILNS1_3genE9ELNS1_11target_archE1100ELNS1_3gpuE3ELNS1_3repE0EEENS1_30default_config_static_selectorELNS0_4arch9wavefront6targetE0EEEvT1_.has_recursion, 0
	.set _ZN7rocprim17ROCPRIM_400000_NS6detail17trampoline_kernelINS0_14default_configENS1_27scan_by_key_config_selectorIxxEEZZNS1_16scan_by_key_implILNS1_25lookback_scan_determinismE0ELb1ES3_N6thrust23THRUST_200600_302600_NS6detail15normal_iteratorINS9_10device_ptrIxEEEESE_SE_xNS9_4plusIvEENS9_8equal_toIvEExEE10hipError_tPvRmT2_T3_T4_T5_mT6_T7_P12ihipStream_tbENKUlT_T0_E_clISt17integral_constantIbLb0EESY_IbLb1EEEEDaSU_SV_EUlSU_E_NS1_11comp_targetILNS1_3genE9ELNS1_11target_archE1100ELNS1_3gpuE3ELNS1_3repE0EEENS1_30default_config_static_selectorELNS0_4arch9wavefront6targetE0EEEvT1_.has_indirect_call, 0
	.section	.AMDGPU.csdata,"",@progbits
; Kernel info:
; codeLenInByte = 0
; TotalNumSgprs: 0
; NumVgprs: 0
; ScratchSize: 0
; MemoryBound: 0
; FloatMode: 240
; IeeeMode: 1
; LDSByteSize: 0 bytes/workgroup (compile time only)
; SGPRBlocks: 0
; VGPRBlocks: 0
; NumSGPRsForWavesPerEU: 1
; NumVGPRsForWavesPerEU: 1
; NamedBarCnt: 0
; Occupancy: 16
; WaveLimiterHint : 0
; COMPUTE_PGM_RSRC2:SCRATCH_EN: 0
; COMPUTE_PGM_RSRC2:USER_SGPR: 2
; COMPUTE_PGM_RSRC2:TRAP_HANDLER: 0
; COMPUTE_PGM_RSRC2:TGID_X_EN: 1
; COMPUTE_PGM_RSRC2:TGID_Y_EN: 0
; COMPUTE_PGM_RSRC2:TGID_Z_EN: 0
; COMPUTE_PGM_RSRC2:TIDIG_COMP_CNT: 0
	.section	.text._ZN7rocprim17ROCPRIM_400000_NS6detail17trampoline_kernelINS0_14default_configENS1_27scan_by_key_config_selectorIxxEEZZNS1_16scan_by_key_implILNS1_25lookback_scan_determinismE0ELb1ES3_N6thrust23THRUST_200600_302600_NS6detail15normal_iteratorINS9_10device_ptrIxEEEESE_SE_xNS9_4plusIvEENS9_8equal_toIvEExEE10hipError_tPvRmT2_T3_T4_T5_mT6_T7_P12ihipStream_tbENKUlT_T0_E_clISt17integral_constantIbLb0EESY_IbLb1EEEEDaSU_SV_EUlSU_E_NS1_11comp_targetILNS1_3genE8ELNS1_11target_archE1030ELNS1_3gpuE2ELNS1_3repE0EEENS1_30default_config_static_selectorELNS0_4arch9wavefront6targetE0EEEvT1_,"axG",@progbits,_ZN7rocprim17ROCPRIM_400000_NS6detail17trampoline_kernelINS0_14default_configENS1_27scan_by_key_config_selectorIxxEEZZNS1_16scan_by_key_implILNS1_25lookback_scan_determinismE0ELb1ES3_N6thrust23THRUST_200600_302600_NS6detail15normal_iteratorINS9_10device_ptrIxEEEESE_SE_xNS9_4plusIvEENS9_8equal_toIvEExEE10hipError_tPvRmT2_T3_T4_T5_mT6_T7_P12ihipStream_tbENKUlT_T0_E_clISt17integral_constantIbLb0EESY_IbLb1EEEEDaSU_SV_EUlSU_E_NS1_11comp_targetILNS1_3genE8ELNS1_11target_archE1030ELNS1_3gpuE2ELNS1_3repE0EEENS1_30default_config_static_selectorELNS0_4arch9wavefront6targetE0EEEvT1_,comdat
	.protected	_ZN7rocprim17ROCPRIM_400000_NS6detail17trampoline_kernelINS0_14default_configENS1_27scan_by_key_config_selectorIxxEEZZNS1_16scan_by_key_implILNS1_25lookback_scan_determinismE0ELb1ES3_N6thrust23THRUST_200600_302600_NS6detail15normal_iteratorINS9_10device_ptrIxEEEESE_SE_xNS9_4plusIvEENS9_8equal_toIvEExEE10hipError_tPvRmT2_T3_T4_T5_mT6_T7_P12ihipStream_tbENKUlT_T0_E_clISt17integral_constantIbLb0EESY_IbLb1EEEEDaSU_SV_EUlSU_E_NS1_11comp_targetILNS1_3genE8ELNS1_11target_archE1030ELNS1_3gpuE2ELNS1_3repE0EEENS1_30default_config_static_selectorELNS0_4arch9wavefront6targetE0EEEvT1_ ; -- Begin function _ZN7rocprim17ROCPRIM_400000_NS6detail17trampoline_kernelINS0_14default_configENS1_27scan_by_key_config_selectorIxxEEZZNS1_16scan_by_key_implILNS1_25lookback_scan_determinismE0ELb1ES3_N6thrust23THRUST_200600_302600_NS6detail15normal_iteratorINS9_10device_ptrIxEEEESE_SE_xNS9_4plusIvEENS9_8equal_toIvEExEE10hipError_tPvRmT2_T3_T4_T5_mT6_T7_P12ihipStream_tbENKUlT_T0_E_clISt17integral_constantIbLb0EESY_IbLb1EEEEDaSU_SV_EUlSU_E_NS1_11comp_targetILNS1_3genE8ELNS1_11target_archE1030ELNS1_3gpuE2ELNS1_3repE0EEENS1_30default_config_static_selectorELNS0_4arch9wavefront6targetE0EEEvT1_
	.globl	_ZN7rocprim17ROCPRIM_400000_NS6detail17trampoline_kernelINS0_14default_configENS1_27scan_by_key_config_selectorIxxEEZZNS1_16scan_by_key_implILNS1_25lookback_scan_determinismE0ELb1ES3_N6thrust23THRUST_200600_302600_NS6detail15normal_iteratorINS9_10device_ptrIxEEEESE_SE_xNS9_4plusIvEENS9_8equal_toIvEExEE10hipError_tPvRmT2_T3_T4_T5_mT6_T7_P12ihipStream_tbENKUlT_T0_E_clISt17integral_constantIbLb0EESY_IbLb1EEEEDaSU_SV_EUlSU_E_NS1_11comp_targetILNS1_3genE8ELNS1_11target_archE1030ELNS1_3gpuE2ELNS1_3repE0EEENS1_30default_config_static_selectorELNS0_4arch9wavefront6targetE0EEEvT1_
	.p2align	8
	.type	_ZN7rocprim17ROCPRIM_400000_NS6detail17trampoline_kernelINS0_14default_configENS1_27scan_by_key_config_selectorIxxEEZZNS1_16scan_by_key_implILNS1_25lookback_scan_determinismE0ELb1ES3_N6thrust23THRUST_200600_302600_NS6detail15normal_iteratorINS9_10device_ptrIxEEEESE_SE_xNS9_4plusIvEENS9_8equal_toIvEExEE10hipError_tPvRmT2_T3_T4_T5_mT6_T7_P12ihipStream_tbENKUlT_T0_E_clISt17integral_constantIbLb0EESY_IbLb1EEEEDaSU_SV_EUlSU_E_NS1_11comp_targetILNS1_3genE8ELNS1_11target_archE1030ELNS1_3gpuE2ELNS1_3repE0EEENS1_30default_config_static_selectorELNS0_4arch9wavefront6targetE0EEEvT1_,@function
_ZN7rocprim17ROCPRIM_400000_NS6detail17trampoline_kernelINS0_14default_configENS1_27scan_by_key_config_selectorIxxEEZZNS1_16scan_by_key_implILNS1_25lookback_scan_determinismE0ELb1ES3_N6thrust23THRUST_200600_302600_NS6detail15normal_iteratorINS9_10device_ptrIxEEEESE_SE_xNS9_4plusIvEENS9_8equal_toIvEExEE10hipError_tPvRmT2_T3_T4_T5_mT6_T7_P12ihipStream_tbENKUlT_T0_E_clISt17integral_constantIbLb0EESY_IbLb1EEEEDaSU_SV_EUlSU_E_NS1_11comp_targetILNS1_3genE8ELNS1_11target_archE1030ELNS1_3gpuE2ELNS1_3repE0EEENS1_30default_config_static_selectorELNS0_4arch9wavefront6targetE0EEEvT1_: ; @_ZN7rocprim17ROCPRIM_400000_NS6detail17trampoline_kernelINS0_14default_configENS1_27scan_by_key_config_selectorIxxEEZZNS1_16scan_by_key_implILNS1_25lookback_scan_determinismE0ELb1ES3_N6thrust23THRUST_200600_302600_NS6detail15normal_iteratorINS9_10device_ptrIxEEEESE_SE_xNS9_4plusIvEENS9_8equal_toIvEExEE10hipError_tPvRmT2_T3_T4_T5_mT6_T7_P12ihipStream_tbENKUlT_T0_E_clISt17integral_constantIbLb0EESY_IbLb1EEEEDaSU_SV_EUlSU_E_NS1_11comp_targetILNS1_3genE8ELNS1_11target_archE1030ELNS1_3gpuE2ELNS1_3repE0EEENS1_30default_config_static_selectorELNS0_4arch9wavefront6targetE0EEEvT1_
; %bb.0:
	.section	.rodata,"a",@progbits
	.p2align	6, 0x0
	.amdhsa_kernel _ZN7rocprim17ROCPRIM_400000_NS6detail17trampoline_kernelINS0_14default_configENS1_27scan_by_key_config_selectorIxxEEZZNS1_16scan_by_key_implILNS1_25lookback_scan_determinismE0ELb1ES3_N6thrust23THRUST_200600_302600_NS6detail15normal_iteratorINS9_10device_ptrIxEEEESE_SE_xNS9_4plusIvEENS9_8equal_toIvEExEE10hipError_tPvRmT2_T3_T4_T5_mT6_T7_P12ihipStream_tbENKUlT_T0_E_clISt17integral_constantIbLb0EESY_IbLb1EEEEDaSU_SV_EUlSU_E_NS1_11comp_targetILNS1_3genE8ELNS1_11target_archE1030ELNS1_3gpuE2ELNS1_3repE0EEENS1_30default_config_static_selectorELNS0_4arch9wavefront6targetE0EEEvT1_
		.amdhsa_group_segment_fixed_size 0
		.amdhsa_private_segment_fixed_size 0
		.amdhsa_kernarg_size 136
		.amdhsa_user_sgpr_count 2
		.amdhsa_user_sgpr_dispatch_ptr 0
		.amdhsa_user_sgpr_queue_ptr 0
		.amdhsa_user_sgpr_kernarg_segment_ptr 1
		.amdhsa_user_sgpr_dispatch_id 0
		.amdhsa_user_sgpr_kernarg_preload_length 0
		.amdhsa_user_sgpr_kernarg_preload_offset 0
		.amdhsa_user_sgpr_private_segment_size 0
		.amdhsa_wavefront_size32 1
		.amdhsa_uses_dynamic_stack 0
		.amdhsa_enable_private_segment 0
		.amdhsa_system_sgpr_workgroup_id_x 1
		.amdhsa_system_sgpr_workgroup_id_y 0
		.amdhsa_system_sgpr_workgroup_id_z 0
		.amdhsa_system_sgpr_workgroup_info 0
		.amdhsa_system_vgpr_workitem_id 0
		.amdhsa_next_free_vgpr 1
		.amdhsa_next_free_sgpr 1
		.amdhsa_named_barrier_count 0
		.amdhsa_reserve_vcc 0
		.amdhsa_float_round_mode_32 0
		.amdhsa_float_round_mode_16_64 0
		.amdhsa_float_denorm_mode_32 3
		.amdhsa_float_denorm_mode_16_64 3
		.amdhsa_fp16_overflow 0
		.amdhsa_memory_ordered 1
		.amdhsa_forward_progress 1
		.amdhsa_inst_pref_size 0
		.amdhsa_round_robin_scheduling 0
		.amdhsa_exception_fp_ieee_invalid_op 0
		.amdhsa_exception_fp_denorm_src 0
		.amdhsa_exception_fp_ieee_div_zero 0
		.amdhsa_exception_fp_ieee_overflow 0
		.amdhsa_exception_fp_ieee_underflow 0
		.amdhsa_exception_fp_ieee_inexact 0
		.amdhsa_exception_int_div_zero 0
	.end_amdhsa_kernel
	.section	.text._ZN7rocprim17ROCPRIM_400000_NS6detail17trampoline_kernelINS0_14default_configENS1_27scan_by_key_config_selectorIxxEEZZNS1_16scan_by_key_implILNS1_25lookback_scan_determinismE0ELb1ES3_N6thrust23THRUST_200600_302600_NS6detail15normal_iteratorINS9_10device_ptrIxEEEESE_SE_xNS9_4plusIvEENS9_8equal_toIvEExEE10hipError_tPvRmT2_T3_T4_T5_mT6_T7_P12ihipStream_tbENKUlT_T0_E_clISt17integral_constantIbLb0EESY_IbLb1EEEEDaSU_SV_EUlSU_E_NS1_11comp_targetILNS1_3genE8ELNS1_11target_archE1030ELNS1_3gpuE2ELNS1_3repE0EEENS1_30default_config_static_selectorELNS0_4arch9wavefront6targetE0EEEvT1_,"axG",@progbits,_ZN7rocprim17ROCPRIM_400000_NS6detail17trampoline_kernelINS0_14default_configENS1_27scan_by_key_config_selectorIxxEEZZNS1_16scan_by_key_implILNS1_25lookback_scan_determinismE0ELb1ES3_N6thrust23THRUST_200600_302600_NS6detail15normal_iteratorINS9_10device_ptrIxEEEESE_SE_xNS9_4plusIvEENS9_8equal_toIvEExEE10hipError_tPvRmT2_T3_T4_T5_mT6_T7_P12ihipStream_tbENKUlT_T0_E_clISt17integral_constantIbLb0EESY_IbLb1EEEEDaSU_SV_EUlSU_E_NS1_11comp_targetILNS1_3genE8ELNS1_11target_archE1030ELNS1_3gpuE2ELNS1_3repE0EEENS1_30default_config_static_selectorELNS0_4arch9wavefront6targetE0EEEvT1_,comdat
.Lfunc_end388:
	.size	_ZN7rocprim17ROCPRIM_400000_NS6detail17trampoline_kernelINS0_14default_configENS1_27scan_by_key_config_selectorIxxEEZZNS1_16scan_by_key_implILNS1_25lookback_scan_determinismE0ELb1ES3_N6thrust23THRUST_200600_302600_NS6detail15normal_iteratorINS9_10device_ptrIxEEEESE_SE_xNS9_4plusIvEENS9_8equal_toIvEExEE10hipError_tPvRmT2_T3_T4_T5_mT6_T7_P12ihipStream_tbENKUlT_T0_E_clISt17integral_constantIbLb0EESY_IbLb1EEEEDaSU_SV_EUlSU_E_NS1_11comp_targetILNS1_3genE8ELNS1_11target_archE1030ELNS1_3gpuE2ELNS1_3repE0EEENS1_30default_config_static_selectorELNS0_4arch9wavefront6targetE0EEEvT1_, .Lfunc_end388-_ZN7rocprim17ROCPRIM_400000_NS6detail17trampoline_kernelINS0_14default_configENS1_27scan_by_key_config_selectorIxxEEZZNS1_16scan_by_key_implILNS1_25lookback_scan_determinismE0ELb1ES3_N6thrust23THRUST_200600_302600_NS6detail15normal_iteratorINS9_10device_ptrIxEEEESE_SE_xNS9_4plusIvEENS9_8equal_toIvEExEE10hipError_tPvRmT2_T3_T4_T5_mT6_T7_P12ihipStream_tbENKUlT_T0_E_clISt17integral_constantIbLb0EESY_IbLb1EEEEDaSU_SV_EUlSU_E_NS1_11comp_targetILNS1_3genE8ELNS1_11target_archE1030ELNS1_3gpuE2ELNS1_3repE0EEENS1_30default_config_static_selectorELNS0_4arch9wavefront6targetE0EEEvT1_
                                        ; -- End function
	.set _ZN7rocprim17ROCPRIM_400000_NS6detail17trampoline_kernelINS0_14default_configENS1_27scan_by_key_config_selectorIxxEEZZNS1_16scan_by_key_implILNS1_25lookback_scan_determinismE0ELb1ES3_N6thrust23THRUST_200600_302600_NS6detail15normal_iteratorINS9_10device_ptrIxEEEESE_SE_xNS9_4plusIvEENS9_8equal_toIvEExEE10hipError_tPvRmT2_T3_T4_T5_mT6_T7_P12ihipStream_tbENKUlT_T0_E_clISt17integral_constantIbLb0EESY_IbLb1EEEEDaSU_SV_EUlSU_E_NS1_11comp_targetILNS1_3genE8ELNS1_11target_archE1030ELNS1_3gpuE2ELNS1_3repE0EEENS1_30default_config_static_selectorELNS0_4arch9wavefront6targetE0EEEvT1_.num_vgpr, 0
	.set _ZN7rocprim17ROCPRIM_400000_NS6detail17trampoline_kernelINS0_14default_configENS1_27scan_by_key_config_selectorIxxEEZZNS1_16scan_by_key_implILNS1_25lookback_scan_determinismE0ELb1ES3_N6thrust23THRUST_200600_302600_NS6detail15normal_iteratorINS9_10device_ptrIxEEEESE_SE_xNS9_4plusIvEENS9_8equal_toIvEExEE10hipError_tPvRmT2_T3_T4_T5_mT6_T7_P12ihipStream_tbENKUlT_T0_E_clISt17integral_constantIbLb0EESY_IbLb1EEEEDaSU_SV_EUlSU_E_NS1_11comp_targetILNS1_3genE8ELNS1_11target_archE1030ELNS1_3gpuE2ELNS1_3repE0EEENS1_30default_config_static_selectorELNS0_4arch9wavefront6targetE0EEEvT1_.num_agpr, 0
	.set _ZN7rocprim17ROCPRIM_400000_NS6detail17trampoline_kernelINS0_14default_configENS1_27scan_by_key_config_selectorIxxEEZZNS1_16scan_by_key_implILNS1_25lookback_scan_determinismE0ELb1ES3_N6thrust23THRUST_200600_302600_NS6detail15normal_iteratorINS9_10device_ptrIxEEEESE_SE_xNS9_4plusIvEENS9_8equal_toIvEExEE10hipError_tPvRmT2_T3_T4_T5_mT6_T7_P12ihipStream_tbENKUlT_T0_E_clISt17integral_constantIbLb0EESY_IbLb1EEEEDaSU_SV_EUlSU_E_NS1_11comp_targetILNS1_3genE8ELNS1_11target_archE1030ELNS1_3gpuE2ELNS1_3repE0EEENS1_30default_config_static_selectorELNS0_4arch9wavefront6targetE0EEEvT1_.numbered_sgpr, 0
	.set _ZN7rocprim17ROCPRIM_400000_NS6detail17trampoline_kernelINS0_14default_configENS1_27scan_by_key_config_selectorIxxEEZZNS1_16scan_by_key_implILNS1_25lookback_scan_determinismE0ELb1ES3_N6thrust23THRUST_200600_302600_NS6detail15normal_iteratorINS9_10device_ptrIxEEEESE_SE_xNS9_4plusIvEENS9_8equal_toIvEExEE10hipError_tPvRmT2_T3_T4_T5_mT6_T7_P12ihipStream_tbENKUlT_T0_E_clISt17integral_constantIbLb0EESY_IbLb1EEEEDaSU_SV_EUlSU_E_NS1_11comp_targetILNS1_3genE8ELNS1_11target_archE1030ELNS1_3gpuE2ELNS1_3repE0EEENS1_30default_config_static_selectorELNS0_4arch9wavefront6targetE0EEEvT1_.num_named_barrier, 0
	.set _ZN7rocprim17ROCPRIM_400000_NS6detail17trampoline_kernelINS0_14default_configENS1_27scan_by_key_config_selectorIxxEEZZNS1_16scan_by_key_implILNS1_25lookback_scan_determinismE0ELb1ES3_N6thrust23THRUST_200600_302600_NS6detail15normal_iteratorINS9_10device_ptrIxEEEESE_SE_xNS9_4plusIvEENS9_8equal_toIvEExEE10hipError_tPvRmT2_T3_T4_T5_mT6_T7_P12ihipStream_tbENKUlT_T0_E_clISt17integral_constantIbLb0EESY_IbLb1EEEEDaSU_SV_EUlSU_E_NS1_11comp_targetILNS1_3genE8ELNS1_11target_archE1030ELNS1_3gpuE2ELNS1_3repE0EEENS1_30default_config_static_selectorELNS0_4arch9wavefront6targetE0EEEvT1_.private_seg_size, 0
	.set _ZN7rocprim17ROCPRIM_400000_NS6detail17trampoline_kernelINS0_14default_configENS1_27scan_by_key_config_selectorIxxEEZZNS1_16scan_by_key_implILNS1_25lookback_scan_determinismE0ELb1ES3_N6thrust23THRUST_200600_302600_NS6detail15normal_iteratorINS9_10device_ptrIxEEEESE_SE_xNS9_4plusIvEENS9_8equal_toIvEExEE10hipError_tPvRmT2_T3_T4_T5_mT6_T7_P12ihipStream_tbENKUlT_T0_E_clISt17integral_constantIbLb0EESY_IbLb1EEEEDaSU_SV_EUlSU_E_NS1_11comp_targetILNS1_3genE8ELNS1_11target_archE1030ELNS1_3gpuE2ELNS1_3repE0EEENS1_30default_config_static_selectorELNS0_4arch9wavefront6targetE0EEEvT1_.uses_vcc, 0
	.set _ZN7rocprim17ROCPRIM_400000_NS6detail17trampoline_kernelINS0_14default_configENS1_27scan_by_key_config_selectorIxxEEZZNS1_16scan_by_key_implILNS1_25lookback_scan_determinismE0ELb1ES3_N6thrust23THRUST_200600_302600_NS6detail15normal_iteratorINS9_10device_ptrIxEEEESE_SE_xNS9_4plusIvEENS9_8equal_toIvEExEE10hipError_tPvRmT2_T3_T4_T5_mT6_T7_P12ihipStream_tbENKUlT_T0_E_clISt17integral_constantIbLb0EESY_IbLb1EEEEDaSU_SV_EUlSU_E_NS1_11comp_targetILNS1_3genE8ELNS1_11target_archE1030ELNS1_3gpuE2ELNS1_3repE0EEENS1_30default_config_static_selectorELNS0_4arch9wavefront6targetE0EEEvT1_.uses_flat_scratch, 0
	.set _ZN7rocprim17ROCPRIM_400000_NS6detail17trampoline_kernelINS0_14default_configENS1_27scan_by_key_config_selectorIxxEEZZNS1_16scan_by_key_implILNS1_25lookback_scan_determinismE0ELb1ES3_N6thrust23THRUST_200600_302600_NS6detail15normal_iteratorINS9_10device_ptrIxEEEESE_SE_xNS9_4plusIvEENS9_8equal_toIvEExEE10hipError_tPvRmT2_T3_T4_T5_mT6_T7_P12ihipStream_tbENKUlT_T0_E_clISt17integral_constantIbLb0EESY_IbLb1EEEEDaSU_SV_EUlSU_E_NS1_11comp_targetILNS1_3genE8ELNS1_11target_archE1030ELNS1_3gpuE2ELNS1_3repE0EEENS1_30default_config_static_selectorELNS0_4arch9wavefront6targetE0EEEvT1_.has_dyn_sized_stack, 0
	.set _ZN7rocprim17ROCPRIM_400000_NS6detail17trampoline_kernelINS0_14default_configENS1_27scan_by_key_config_selectorIxxEEZZNS1_16scan_by_key_implILNS1_25lookback_scan_determinismE0ELb1ES3_N6thrust23THRUST_200600_302600_NS6detail15normal_iteratorINS9_10device_ptrIxEEEESE_SE_xNS9_4plusIvEENS9_8equal_toIvEExEE10hipError_tPvRmT2_T3_T4_T5_mT6_T7_P12ihipStream_tbENKUlT_T0_E_clISt17integral_constantIbLb0EESY_IbLb1EEEEDaSU_SV_EUlSU_E_NS1_11comp_targetILNS1_3genE8ELNS1_11target_archE1030ELNS1_3gpuE2ELNS1_3repE0EEENS1_30default_config_static_selectorELNS0_4arch9wavefront6targetE0EEEvT1_.has_recursion, 0
	.set _ZN7rocprim17ROCPRIM_400000_NS6detail17trampoline_kernelINS0_14default_configENS1_27scan_by_key_config_selectorIxxEEZZNS1_16scan_by_key_implILNS1_25lookback_scan_determinismE0ELb1ES3_N6thrust23THRUST_200600_302600_NS6detail15normal_iteratorINS9_10device_ptrIxEEEESE_SE_xNS9_4plusIvEENS9_8equal_toIvEExEE10hipError_tPvRmT2_T3_T4_T5_mT6_T7_P12ihipStream_tbENKUlT_T0_E_clISt17integral_constantIbLb0EESY_IbLb1EEEEDaSU_SV_EUlSU_E_NS1_11comp_targetILNS1_3genE8ELNS1_11target_archE1030ELNS1_3gpuE2ELNS1_3repE0EEENS1_30default_config_static_selectorELNS0_4arch9wavefront6targetE0EEEvT1_.has_indirect_call, 0
	.section	.AMDGPU.csdata,"",@progbits
; Kernel info:
; codeLenInByte = 0
; TotalNumSgprs: 0
; NumVgprs: 0
; ScratchSize: 0
; MemoryBound: 0
; FloatMode: 240
; IeeeMode: 1
; LDSByteSize: 0 bytes/workgroup (compile time only)
; SGPRBlocks: 0
; VGPRBlocks: 0
; NumSGPRsForWavesPerEU: 1
; NumVGPRsForWavesPerEU: 1
; NamedBarCnt: 0
; Occupancy: 16
; WaveLimiterHint : 0
; COMPUTE_PGM_RSRC2:SCRATCH_EN: 0
; COMPUTE_PGM_RSRC2:USER_SGPR: 2
; COMPUTE_PGM_RSRC2:TRAP_HANDLER: 0
; COMPUTE_PGM_RSRC2:TGID_X_EN: 1
; COMPUTE_PGM_RSRC2:TGID_Y_EN: 0
; COMPUTE_PGM_RSRC2:TGID_Z_EN: 0
; COMPUTE_PGM_RSRC2:TIDIG_COMP_CNT: 0
	.section	.text._ZN7rocprim17ROCPRIM_400000_NS6detail17trampoline_kernelINS0_14default_configENS1_27scan_by_key_config_selectorIxxEEZZNS1_16scan_by_key_implILNS1_25lookback_scan_determinismE0ELb1ES3_N6thrust23THRUST_200600_302600_NS6detail15normal_iteratorINS9_10device_ptrIxEEEESE_SE_xNS9_10multipliesIxEENS9_8equal_toIxEExEE10hipError_tPvRmT2_T3_T4_T5_mT6_T7_P12ihipStream_tbENKUlT_T0_E_clISt17integral_constantIbLb0EESZ_EEDaSU_SV_EUlSU_E_NS1_11comp_targetILNS1_3genE0ELNS1_11target_archE4294967295ELNS1_3gpuE0ELNS1_3repE0EEENS1_30default_config_static_selectorELNS0_4arch9wavefront6targetE0EEEvT1_,"axG",@progbits,_ZN7rocprim17ROCPRIM_400000_NS6detail17trampoline_kernelINS0_14default_configENS1_27scan_by_key_config_selectorIxxEEZZNS1_16scan_by_key_implILNS1_25lookback_scan_determinismE0ELb1ES3_N6thrust23THRUST_200600_302600_NS6detail15normal_iteratorINS9_10device_ptrIxEEEESE_SE_xNS9_10multipliesIxEENS9_8equal_toIxEExEE10hipError_tPvRmT2_T3_T4_T5_mT6_T7_P12ihipStream_tbENKUlT_T0_E_clISt17integral_constantIbLb0EESZ_EEDaSU_SV_EUlSU_E_NS1_11comp_targetILNS1_3genE0ELNS1_11target_archE4294967295ELNS1_3gpuE0ELNS1_3repE0EEENS1_30default_config_static_selectorELNS0_4arch9wavefront6targetE0EEEvT1_,comdat
	.protected	_ZN7rocprim17ROCPRIM_400000_NS6detail17trampoline_kernelINS0_14default_configENS1_27scan_by_key_config_selectorIxxEEZZNS1_16scan_by_key_implILNS1_25lookback_scan_determinismE0ELb1ES3_N6thrust23THRUST_200600_302600_NS6detail15normal_iteratorINS9_10device_ptrIxEEEESE_SE_xNS9_10multipliesIxEENS9_8equal_toIxEExEE10hipError_tPvRmT2_T3_T4_T5_mT6_T7_P12ihipStream_tbENKUlT_T0_E_clISt17integral_constantIbLb0EESZ_EEDaSU_SV_EUlSU_E_NS1_11comp_targetILNS1_3genE0ELNS1_11target_archE4294967295ELNS1_3gpuE0ELNS1_3repE0EEENS1_30default_config_static_selectorELNS0_4arch9wavefront6targetE0EEEvT1_ ; -- Begin function _ZN7rocprim17ROCPRIM_400000_NS6detail17trampoline_kernelINS0_14default_configENS1_27scan_by_key_config_selectorIxxEEZZNS1_16scan_by_key_implILNS1_25lookback_scan_determinismE0ELb1ES3_N6thrust23THRUST_200600_302600_NS6detail15normal_iteratorINS9_10device_ptrIxEEEESE_SE_xNS9_10multipliesIxEENS9_8equal_toIxEExEE10hipError_tPvRmT2_T3_T4_T5_mT6_T7_P12ihipStream_tbENKUlT_T0_E_clISt17integral_constantIbLb0EESZ_EEDaSU_SV_EUlSU_E_NS1_11comp_targetILNS1_3genE0ELNS1_11target_archE4294967295ELNS1_3gpuE0ELNS1_3repE0EEENS1_30default_config_static_selectorELNS0_4arch9wavefront6targetE0EEEvT1_
	.globl	_ZN7rocprim17ROCPRIM_400000_NS6detail17trampoline_kernelINS0_14default_configENS1_27scan_by_key_config_selectorIxxEEZZNS1_16scan_by_key_implILNS1_25lookback_scan_determinismE0ELb1ES3_N6thrust23THRUST_200600_302600_NS6detail15normal_iteratorINS9_10device_ptrIxEEEESE_SE_xNS9_10multipliesIxEENS9_8equal_toIxEExEE10hipError_tPvRmT2_T3_T4_T5_mT6_T7_P12ihipStream_tbENKUlT_T0_E_clISt17integral_constantIbLb0EESZ_EEDaSU_SV_EUlSU_E_NS1_11comp_targetILNS1_3genE0ELNS1_11target_archE4294967295ELNS1_3gpuE0ELNS1_3repE0EEENS1_30default_config_static_selectorELNS0_4arch9wavefront6targetE0EEEvT1_
	.p2align	8
	.type	_ZN7rocprim17ROCPRIM_400000_NS6detail17trampoline_kernelINS0_14default_configENS1_27scan_by_key_config_selectorIxxEEZZNS1_16scan_by_key_implILNS1_25lookback_scan_determinismE0ELb1ES3_N6thrust23THRUST_200600_302600_NS6detail15normal_iteratorINS9_10device_ptrIxEEEESE_SE_xNS9_10multipliesIxEENS9_8equal_toIxEExEE10hipError_tPvRmT2_T3_T4_T5_mT6_T7_P12ihipStream_tbENKUlT_T0_E_clISt17integral_constantIbLb0EESZ_EEDaSU_SV_EUlSU_E_NS1_11comp_targetILNS1_3genE0ELNS1_11target_archE4294967295ELNS1_3gpuE0ELNS1_3repE0EEENS1_30default_config_static_selectorELNS0_4arch9wavefront6targetE0EEEvT1_,@function
_ZN7rocprim17ROCPRIM_400000_NS6detail17trampoline_kernelINS0_14default_configENS1_27scan_by_key_config_selectorIxxEEZZNS1_16scan_by_key_implILNS1_25lookback_scan_determinismE0ELb1ES3_N6thrust23THRUST_200600_302600_NS6detail15normal_iteratorINS9_10device_ptrIxEEEESE_SE_xNS9_10multipliesIxEENS9_8equal_toIxEExEE10hipError_tPvRmT2_T3_T4_T5_mT6_T7_P12ihipStream_tbENKUlT_T0_E_clISt17integral_constantIbLb0EESZ_EEDaSU_SV_EUlSU_E_NS1_11comp_targetILNS1_3genE0ELNS1_11target_archE4294967295ELNS1_3gpuE0ELNS1_3repE0EEENS1_30default_config_static_selectorELNS0_4arch9wavefront6targetE0EEEvT1_: ; @_ZN7rocprim17ROCPRIM_400000_NS6detail17trampoline_kernelINS0_14default_configENS1_27scan_by_key_config_selectorIxxEEZZNS1_16scan_by_key_implILNS1_25lookback_scan_determinismE0ELb1ES3_N6thrust23THRUST_200600_302600_NS6detail15normal_iteratorINS9_10device_ptrIxEEEESE_SE_xNS9_10multipliesIxEENS9_8equal_toIxEExEE10hipError_tPvRmT2_T3_T4_T5_mT6_T7_P12ihipStream_tbENKUlT_T0_E_clISt17integral_constantIbLb0EESZ_EEDaSU_SV_EUlSU_E_NS1_11comp_targetILNS1_3genE0ELNS1_11target_archE4294967295ELNS1_3gpuE0ELNS1_3repE0EEENS1_30default_config_static_selectorELNS0_4arch9wavefront6targetE0EEEvT1_
; %bb.0:
	s_clause 0x2
	s_load_b96 s[40:42], s[0:1], 0x50
	s_load_b256 s[16:23], s[0:1], 0x0
	s_load_b128 s[36:39], s[0:1], 0x60
	s_bfe_u32 s4, ttmp6, 0x4000c
	s_load_b64 s[44:45], s[0:1], 0x20
	s_add_co_i32 s4, s4, 1
	s_load_b256 s[24:31], s[0:1], 0x30
	s_and_b32 s2, ttmp6, 15
	s_wait_xcnt 0x0
	s_mul_i32 s0, ttmp9, s4
	s_getreg_b32 s5, hwreg(HW_REG_IB_STS2, 6, 4)
	s_add_co_i32 s6, s2, s0
	s_mov_b32 s3, 0
	s_delay_alu instid0(SALU_CYCLE_1)
	s_mov_b32 s43, s3
	s_barrier_signal -1
	s_barrier_wait -1
	s_wait_kmcnt 0x0
	s_mov_b32 s2, s42
	s_lshl_b64 s[34:35], s[18:19], 3
	s_cmp_eq_u32 s5, 0
	s_mul_u64 s[4:5], s[40:41], s[2:3]
	s_cselect_b32 s42, ttmp9, s6
	s_add_nc_u64 s[8:9], s[36:37], -1
	s_add_nc_u64 s[4:5], s[4:5], s[42:43]
	s_mul_i32 s2, s42, 0xe00
	v_cmp_ge_u64_e64 s31, s[4:5], s[8:9]
	s_add_nc_u64 s[0:1], s[16:17], s[34:35]
	s_add_nc_u64 s[6:7], s[20:21], s[34:35]
	s_lshl_b64 s[36:37], s[2:3], 3
	s_mul_i32 s33, s8, 0xfffff200
	s_add_nc_u64 s[16:17], s[0:1], s[36:37]
	s_add_nc_u64 s[14:15], s[6:7], s[36:37]
	s_and_b32 vcc_lo, exec_lo, s31
	s_cbranch_vccz .LBB389_76
; %bb.1:
	v_mov_b32_e32 v1, 0
	s_add_co_i32 s43, s33, s30
	s_delay_alu instid0(SALU_CYCLE_1)
	v_cmp_gt_u32_e32 vcc_lo, s43, v0
	flat_load_b64 v[2:3], v1, s[16:17]
	s_wait_loadcnt_dscnt 0x0
	v_mov_b64_e32 v[4:5], v[2:3]
	s_and_saveexec_b32 s0, vcc_lo
	s_cbranch_execz .LBB389_3
; %bb.2:
	flat_load_b64 v[4:5], v0, s[16:17] scale_offset
.LBB389_3:
	s_wait_xcnt 0x0
	s_or_b32 exec_lo, exec_lo, s0
	v_or_b32_e32 v1, 0x100, v0
	v_mov_b64_e32 v[6:7], v[2:3]
	s_delay_alu instid0(VALU_DEP_2)
	v_cmp_gt_u32_e64 s0, s43, v1
	s_and_saveexec_b32 s1, s0
	s_cbranch_execz .LBB389_5
; %bb.4:
	flat_load_b64 v[6:7], v0, s[16:17] offset:2048 scale_offset
.LBB389_5:
	s_wait_xcnt 0x0
	s_or_b32 exec_lo, exec_lo, s1
	v_or_b32_e32 v1, 0x200, v0
	v_mov_b64_e32 v[8:9], v[2:3]
	s_delay_alu instid0(VALU_DEP_2)
	v_cmp_gt_u32_e64 s1, s43, v1
	s_and_saveexec_b32 s2, s1
	s_cbranch_execz .LBB389_7
; %bb.6:
	flat_load_b64 v[8:9], v0, s[16:17] offset:4096 scale_offset
.LBB389_7:
	;; [unrolled: 11-line block ×12, first 2 shown]
	s_wait_xcnt 0x0
	s_or_b32 exec_lo, exec_lo, s12
	v_or_b32_e32 v1, 0xd00, v0
	s_delay_alu instid0(VALU_DEP_1) | instskip(SKIP_2) | instid1(SALU_CYCLE_1)
	v_cmp_gt_u32_e64 s12, s43, v1
	v_cmp_le_u32_e64 s13, s43, v1
	s_and_saveexec_b32 s18, s13
	s_xor_b32 s13, exec_lo, s18
	s_delay_alu instid0(SALU_CYCLE_1)
	s_and_not1_saveexec_b32 s13, s13
	s_cbranch_execz .LBB389_29
; %bb.28:
	flat_load_b64 v[2:3], v0, s[16:17] offset:26624 scale_offset
.LBB389_29:
	s_wait_xcnt 0x0
	s_or_b32 exec_lo, exec_lo, s13
	v_lshlrev_b32_e32 v1, 3, v0
	s_mov_b32 s18, exec_lo
	s_wait_loadcnt_dscnt 0x0
	ds_store_2addr_stride64_b64 v1, v[4:5], v[6:7] offset1:4
	ds_store_2addr_stride64_b64 v1, v[8:9], v[10:11] offset0:8 offset1:12
	ds_store_2addr_stride64_b64 v1, v[12:13], v[14:15] offset0:16 offset1:20
	;; [unrolled: 1-line block ×6, first 2 shown]
	v_mov_b32_e32 v2, 0
	s_wait_dscnt 0x0
	s_barrier_signal -1
	s_barrier_wait -1
	flat_load_b64 v[56:57], v2, s[16:17]
	v_mad_u32_u24 v104, 0x68, v0, v1
	ds_load_b128 v[26:29], v104
	ds_load_b128 v[22:25], v104 offset:16
	ds_load_b128 v[18:21], v104 offset:32
	;; [unrolled: 1-line block ×5, first 2 shown]
	s_wait_xcnt 0x0
	ds_load_b128 v[2:5], v104 offset:96
	v_mad_i32_i24 v30, 0xffffff98, v0, v104
	s_wait_dscnt 0x6
	ds_store_b64 v30, v[26:27] offset:30720
	s_wait_loadcnt_dscnt 0x0
	s_barrier_signal -1
	s_barrier_wait -1
	v_cmpx_ne_u32_e32 0xff, v0
; %bb.30:
	v_mul_i32_i24_e32 v30, 0xffffff98, v0
	s_delay_alu instid0(VALU_DEP_1)
	v_add_nc_u32_e32 v30, v104, v30
	ds_load_b64 v[56:57], v30 offset:30728
; %bb.31:
	s_or_b32 exec_lo, exec_lo, s18
	s_wait_dscnt 0x0
	s_barrier_signal -1
	s_barrier_wait -1
                                        ; implicit-def: $vgpr30_vgpr31
	s_and_saveexec_b32 s13, vcc_lo
	s_cbranch_execz .LBB389_134
; %bb.32:
	flat_load_b64 v[30:31], v0, s[14:15] scale_offset
	s_wait_xcnt 0x0
	s_or_b32 exec_lo, exec_lo, s13
                                        ; implicit-def: $vgpr32_vgpr33
	s_and_saveexec_b32 s13, s0
	s_cbranch_execnz .LBB389_135
.LBB389_33:
	s_or_b32 exec_lo, exec_lo, s13
                                        ; implicit-def: $vgpr34_vgpr35
	s_and_saveexec_b32 s0, s1
	s_cbranch_execz .LBB389_136
.LBB389_34:
	flat_load_b64 v[34:35], v0, s[14:15] offset:4096 scale_offset
	s_wait_xcnt 0x0
	s_or_b32 exec_lo, exec_lo, s0
                                        ; implicit-def: $vgpr36_vgpr37
	s_and_saveexec_b32 s0, s2
	s_cbranch_execnz .LBB389_137
.LBB389_35:
	s_or_b32 exec_lo, exec_lo, s0
                                        ; implicit-def: $vgpr38_vgpr39
	s_and_saveexec_b32 s0, s3
	s_cbranch_execz .LBB389_138
.LBB389_36:
	flat_load_b64 v[38:39], v0, s[14:15] offset:8192 scale_offset
	s_wait_xcnt 0x0
	s_or_b32 exec_lo, exec_lo, s0
                                        ; implicit-def: $vgpr40_vgpr41
	s_and_saveexec_b32 s0, s4
	s_cbranch_execnz .LBB389_139
.LBB389_37:
	s_or_b32 exec_lo, exec_lo, s0
                                        ; implicit-def: $vgpr42_vgpr43
	s_and_saveexec_b32 s0, s5
	s_cbranch_execz .LBB389_140
.LBB389_38:
	flat_load_b64 v[42:43], v0, s[14:15] offset:12288 scale_offset
	s_wait_xcnt 0x0
	s_or_b32 exec_lo, exec_lo, s0
                                        ; implicit-def: $vgpr44_vgpr45
	s_and_saveexec_b32 s0, s6
	s_cbranch_execnz .LBB389_141
.LBB389_39:
	s_or_b32 exec_lo, exec_lo, s0
                                        ; implicit-def: $vgpr46_vgpr47
	s_and_saveexec_b32 s0, s7
	s_cbranch_execz .LBB389_142
.LBB389_40:
	flat_load_b64 v[46:47], v0, s[14:15] offset:16384 scale_offset
	s_wait_xcnt 0x0
	s_or_b32 exec_lo, exec_lo, s0
                                        ; implicit-def: $vgpr48_vgpr49
	s_and_saveexec_b32 s0, s8
	s_cbranch_execnz .LBB389_143
.LBB389_41:
	s_or_b32 exec_lo, exec_lo, s0
                                        ; implicit-def: $vgpr50_vgpr51
	s_and_saveexec_b32 s0, s9
	s_cbranch_execz .LBB389_144
.LBB389_42:
	flat_load_b64 v[50:51], v0, s[14:15] offset:20480 scale_offset
	s_wait_xcnt 0x0
	s_or_b32 exec_lo, exec_lo, s0
                                        ; implicit-def: $vgpr52_vgpr53
	s_and_saveexec_b32 s0, s10
	s_cbranch_execnz .LBB389_145
.LBB389_43:
	s_or_b32 exec_lo, exec_lo, s0
                                        ; implicit-def: $vgpr54_vgpr55
	s_and_saveexec_b32 s0, s11
	s_cbranch_execz .LBB389_45
.LBB389_44:
	flat_load_b64 v[54:55], v0, s[14:15] offset:24576 scale_offset
.LBB389_45:
	s_wait_xcnt 0x0
	s_or_b32 exec_lo, exec_lo, s0
	v_mul_u32_u24_e32 v109, 14, v0
                                        ; implicit-def: $vgpr58_vgpr59
	s_and_saveexec_b32 s0, s12
	s_cbranch_execz .LBB389_47
; %bb.46:
	flat_load_b64 v[58:59], v0, s[14:15] offset:26624 scale_offset
.LBB389_47:
	s_wait_xcnt 0x0
	s_or_b32 exec_lo, exec_lo, s0
	s_wait_loadcnt_dscnt 0x0
	ds_store_2addr_stride64_b64 v1, v[30:31], v[32:33] offset1:4
	ds_store_2addr_stride64_b64 v1, v[34:35], v[36:37] offset0:8 offset1:12
	ds_store_2addr_stride64_b64 v1, v[38:39], v[40:41] offset0:16 offset1:20
	;; [unrolled: 1-line block ×6, first 2 shown]
	v_mov_b64_e32 v[66:67], 0
	v_mov_b64_e32 v[80:81], 0
	;; [unrolled: 1-line block ×27, first 2 shown]
	v_cmp_gt_u32_e32 vcc_lo, s43, v109
	v_dual_mov_b32 v86, 0 :: v_dual_mov_b32 v87, 0
	v_dual_mov_b32 v88, 0 :: v_dual_mov_b32 v89, 0
	;; [unrolled: 1-line block ×13, first 2 shown]
	s_mov_b32 s13, 0
	s_mov_b32 s3, 0
	s_wait_dscnt 0x0
	s_barrier_signal -1
	s_barrier_wait -1
                                        ; implicit-def: $sgpr19
	s_and_saveexec_b32 s18, vcc_lo
	s_cbranch_execz .LBB389_75
; %bb.48:
	ds_load_b64 v[30:31], v104
	v_cmp_ne_u64_e32 vcc_lo, v[26:27], v[28:29]
	v_dual_mov_b32 v86, 0 :: v_dual_bitop2_b32 v1, 1, v109 bitop3:0x54
	v_mov_b64_e32 v[66:67], 0
	v_mov_b64_e32 v[80:81], 0
	;; [unrolled: 1-line block ×16, first 2 shown]
	s_wait_dscnt 0x0
	v_cndmask_b32_e64 v61, v31, s45, vcc_lo
	v_cndmask_b32_e64 v60, v30, s44, vcc_lo
	v_mov_b64_e32 v[30:31], 0
	v_mov_b64_e32 v[40:41], 0
	;; [unrolled: 1-line block ×9, first 2 shown]
	v_dual_mov_b32 v87, 0 :: v_dual_mov_b32 v88, 0
	v_dual_mov_b32 v89, 0 :: v_dual_mov_b32 v90, 0
	;; [unrolled: 1-line block ×4, first 2 shown]
	v_cmp_gt_u32_e64 s0, s43, v1
	v_dual_mov_b32 v102, 0 :: v_dual_mov_b32 v105, 0
	v_dual_mov_b32 v108, 0 :: v_dual_mov_b32 v92, 0
	;; [unrolled: 1-line block ×7, first 2 shown]
	v_mov_b32_e32 v112, 0
	s_mov_b32 s1, 0
                                        ; implicit-def: $sgpr19
	s_and_saveexec_b32 s20, s0
	s_cbranch_execz .LBB389_74
; %bb.49:
	ds_load_2addr_b64 v[30:33], v104 offset0:1 offset1:2
	v_cmp_ne_u64_e64 s0, v[28:29], v[22:23]
	v_dual_mov_b32 v86, 0 :: v_dual_add_nc_u32 v1, 2, v109
	v_mov_b64_e32 v[66:67], 0
	v_mov_b64_e32 v[80:81], 0
	;; [unrolled: 1-line block ×16, first 2 shown]
	s_wait_dscnt 0x0
	v_cndmask_b32_e64 v63, v31, s45, s0
	v_cndmask_b32_e64 v62, v30, s44, s0
	v_mov_b64_e32 v[30:31], 0
	v_mov_b64_e32 v[42:43], 0
	;; [unrolled: 1-line block ×7, first 2 shown]
	v_dual_mov_b32 v87, 0 :: v_dual_mov_b32 v88, 0
	v_dual_mov_b32 v89, 0 :: v_dual_mov_b32 v90, 0
	;; [unrolled: 1-line block ×4, first 2 shown]
	v_cmp_gt_u32_e64 s1, s43, v1
	v_dual_mov_b32 v102, 0 :: v_dual_mov_b32 v105, 0
	v_dual_mov_b32 v92, 0 :: v_dual_mov_b32 v91, 0
	;; [unrolled: 1-line block ×6, first 2 shown]
	v_mov_b32_e32 v110, 0
	s_mov_b32 s2, 0
                                        ; implicit-def: $sgpr19
	s_and_saveexec_b32 s21, s1
	s_cbranch_execz .LBB389_73
; %bb.50:
	v_cmp_ne_u64_e64 s1, v[22:23], v[24:25]
	v_dual_mov_b32 v86, 0 :: v_dual_add_nc_u32 v1, 3, v109
	v_mov_b64_e32 v[66:67], 0
	v_mov_b64_e32 v[80:81], 0
	;; [unrolled: 1-line block ×21, first 2 shown]
	v_cndmask_b32_e64 v65, v33, s45, s1
	v_dual_mov_b32 v87, 0 :: v_dual_mov_b32 v88, 0
	v_cmp_gt_u32_e64 s2, s43, v1
	v_cndmask_b32_e64 v64, v32, s44, s1
	v_dual_mov_b32 v89, 0 :: v_dual_mov_b32 v90, 0
	v_dual_mov_b32 v93, 0 :: v_dual_mov_b32 v95, 0
	;; [unrolled: 1-line block ×8, first 2 shown]
	v_mov_b32_e32 v107, 0
                                        ; implicit-def: $sgpr19
	s_and_saveexec_b32 s46, s2
	s_cbranch_execz .LBB389_72
; %bb.51:
	ds_load_2addr_b64 v[26:29], v104 offset0:3 offset1:4
	v_cmp_ne_u64_e64 s2, v[24:25], v[18:19]
	v_dual_mov_b32 v86, 0 :: v_dual_add_nc_u32 v1, 4, v109
	v_mov_b64_e32 v[66:67], 0
	v_mov_b64_e32 v[80:81], 0
	;; [unrolled: 1-line block ×19, first 2 shown]
	v_dual_mov_b32 v87, 0 :: v_dual_mov_b32 v88, 0
	v_dual_mov_b32 v89, 0 :: v_dual_mov_b32 v90, 0
	;; [unrolled: 1-line block ×4, first 2 shown]
	v_cmp_gt_u32_e64 s3, s43, v1
	s_wait_dscnt 0x0
	v_cndmask_b32_e64 v69, v27, s45, s2
	v_cndmask_b32_e64 v68, v26, s44, s2
	v_dual_mov_b32 v92, 0 :: v_dual_mov_b32 v91, 0
	v_dual_mov_b32 v94, 0 :: v_dual_mov_b32 v96, 0
	;; [unrolled: 1-line block ×4, first 2 shown]
	v_mov_b32_e32 v106, 0
	s_mov_b32 s4, 0
                                        ; implicit-def: $sgpr19
	s_and_saveexec_b32 s47, s3
	s_cbranch_execz .LBB389_71
; %bb.52:
	v_cmp_ne_u64_e64 s3, v[18:19], v[20:21]
	v_dual_mov_b32 v86, 0 :: v_dual_add_nc_u32 v1, 5, v109
	v_mov_b64_e32 v[66:67], 0
	v_mov_b64_e32 v[80:81], 0
	v_mov_b64_e32 v[78:79], 0
	v_mov_b64_e32 v[84:85], 0
	v_mov_b64_e32 v[76:77], 0
	v_mov_b64_e32 v[82:83], 0
	v_mov_b64_e32 v[72:73], 0
	v_mov_b64_e32 v[74:75], 0
	v_mov_b64_e32 v[44:45], 0
	v_mov_b64_e32 v[30:31], 0
	v_mov_b64_e32 v[34:35], 0
	v_mov_b64_e32 v[36:37], 0
	v_mov_b64_e32 v[38:39], 0
	v_mov_b64_e32 v[40:41], 0
	v_mov_b64_e32 v[42:43], 0
	v_mov_b64_e32 v[46:47], 0
	v_mov_b64_e32 v[48:49], 0
	v_cndmask_b32_e64 v71, v29, s45, s3
	v_dual_mov_b32 v87, 0 :: v_dual_mov_b32 v88, 0
	v_cmp_gt_u32_e64 s4, s43, v1
	v_cndmask_b32_e64 v70, v28, s44, s3
	v_dual_mov_b32 v89, 0 :: v_dual_mov_b32 v90, 0
	v_dual_mov_b32 v93, 0 :: v_dual_mov_b32 v95, 0
	;; [unrolled: 1-line block ×6, first 2 shown]
	v_mov_b32_e32 v103, 0
	s_mov_b32 s5, 0
                                        ; implicit-def: $sgpr19
	s_and_saveexec_b32 s48, s4
	s_cbranch_execz .LBB389_70
; %bb.53:
	ds_load_2addr_b64 v[22:25], v104 offset0:5 offset1:6
	v_cmp_ne_u64_e64 s4, v[20:21], v[14:15]
	v_mov_b64_e32 v[66:67], 0
	v_mov_b64_e32 v[80:81], 0
	;; [unrolled: 1-line block ×15, first 2 shown]
	v_dual_mov_b32 v86, 0 :: v_dual_add_nc_u32 v1, 6, v109
	v_dual_mov_b32 v87, 0 :: v_dual_mov_b32 v88, 0
	v_dual_mov_b32 v89, 0 :: v_dual_mov_b32 v90, 0
	;; [unrolled: 1-line block ×3, first 2 shown]
	s_wait_dscnt 0x0
	v_cndmask_b32_e64 v75, v23, s45, s4
	v_cndmask_b32_e64 v74, v22, s44, s4
	v_dual_mov_b32 v92, 0 :: v_dual_mov_b32 v91, 0
	v_dual_mov_b32 v94, 0 :: v_dual_mov_b32 v96, 0
	;; [unrolled: 1-line block ×3, first 2 shown]
	v_mov_b32_e32 v101, 0
	s_mov_b32 s6, 0
	s_mov_b32 s49, exec_lo
                                        ; implicit-def: $sgpr19
	v_cmpx_gt_u32_e64 s43, v1
	s_cbranch_execz .LBB389_69
; %bb.54:
	v_cmp_ne_u64_e64 s5, v[14:15], v[16:17]
	v_dual_mov_b32 v86, 0 :: v_dual_add_nc_u32 v1, 7, v109
	v_mov_b64_e32 v[66:67], 0
	v_mov_b64_e32 v[80:81], 0
	v_mov_b64_e32 v[78:79], 0
	v_mov_b64_e32 v[84:85], 0
	v_mov_b64_e32 v[76:77], 0
	v_mov_b64_e32 v[82:83], 0
	v_mov_b64_e32 v[44:45], 0
	v_mov_b64_e32 v[30:31], 0
	v_mov_b64_e32 v[34:35], 0
	v_mov_b64_e32 v[36:37], 0
	v_mov_b64_e32 v[38:39], 0
	v_mov_b64_e32 v[40:41], 0
	v_mov_b64_e32 v[42:43], 0
	v_cndmask_b32_e64 v73, v25, s45, s5
	v_dual_mov_b32 v87, 0 :: v_dual_mov_b32 v88, 0
	v_cmp_gt_u32_e64 s6, s43, v1
	v_cndmask_b32_e64 v72, v24, s44, s5
	v_dual_mov_b32 v89, 0 :: v_dual_mov_b32 v90, 0
	v_dual_mov_b32 v93, 0 :: v_dual_mov_b32 v92, 0
	;; [unrolled: 1-line block ×4, first 2 shown]
	v_mov_b32_e32 v99, 0
	s_mov_b32 s7, 0
                                        ; implicit-def: $sgpr19
	s_and_saveexec_b32 s50, s6
	s_cbranch_execz .LBB389_68
; %bb.55:
	ds_load_2addr_b64 v[18:21], v104 offset0:7 offset1:8
	v_cmp_ne_u64_e64 s6, v[16:17], v[10:11]
	v_mov_b64_e32 v[66:67], 0
	v_mov_b64_e32 v[80:81], 0
	;; [unrolled: 1-line block ×11, first 2 shown]
	v_dual_mov_b32 v86, 0 :: v_dual_add_nc_u32 v1, 8, v109
	v_dual_mov_b32 v87, 0 :: v_dual_mov_b32 v88, 0
	v_dual_mov_b32 v89, 0 :: v_dual_mov_b32 v90, 0
	;; [unrolled: 1-line block ×3, first 2 shown]
	s_wait_dscnt 0x0
	v_cndmask_b32_e64 v83, v19, s45, s6
	v_cndmask_b32_e64 v82, v18, s44, s6
	v_dual_mov_b32 v94, 0 :: v_dual_mov_b32 v96, 0
	v_mov_b32_e32 v98, 0
	s_mov_b32 s8, 0
	s_mov_b32 s51, exec_lo
                                        ; implicit-def: $sgpr19
	v_cmpx_gt_u32_e64 s43, v1
	s_cbranch_execz .LBB389_67
; %bb.56:
	v_cmp_ne_u64_e64 s7, v[10:11], v[12:13]
	v_mov_b64_e32 v[66:67], 0
	v_mov_b64_e32 v[80:81], 0
	;; [unrolled: 1-line block ×9, first 2 shown]
	v_dual_mov_b32 v86, 0 :: v_dual_add_nc_u32 v1, 9, v109
	v_cndmask_b32_e64 v77, v21, s45, s7
	v_dual_mov_b32 v87, 0 :: v_dual_mov_b32 v88, 0
	v_cndmask_b32_e64 v76, v20, s44, s7
	v_dual_mov_b32 v89, 0 :: v_dual_mov_b32 v92, 0
	v_dual_mov_b32 v91, 0 :: v_dual_mov_b32 v94, 0
	v_mov_b32_e32 v96, 0
	s_mov_b32 s9, 0
	s_mov_b32 s52, exec_lo
                                        ; implicit-def: $sgpr19
	v_cmpx_gt_u32_e64 s43, v1
	s_cbranch_execz .LBB389_66
; %bb.57:
	ds_load_2addr_b64 v[14:17], v104 offset0:9 offset1:10
	v_cmp_ne_u64_e64 s8, v[12:13], v[6:7]
	v_mov_b64_e32 v[66:67], 0
	v_mov_b64_e32 v[80:81], 0
	;; [unrolled: 1-line block ×7, first 2 shown]
	v_dual_mov_b32 v86, 0 :: v_dual_add_nc_u32 v1, 10, v109
	v_dual_mov_b32 v87, 0 :: v_dual_mov_b32 v88, 0
	v_dual_mov_b32 v92, 0 :: v_dual_mov_b32 v91, 0
	v_mov_b32_e32 v94, 0
	s_mov_b32 s10, 0
	s_mov_b32 s53, exec_lo
                                        ; implicit-def: $sgpr19
	s_wait_dscnt 0x0
	v_cndmask_b32_e64 v85, v15, s45, s8
	v_cndmask_b32_e64 v84, v14, s44, s8
	v_cmpx_gt_u32_e64 s43, v1
	s_cbranch_execz .LBB389_65
; %bb.58:
	v_cmp_ne_u64_e64 s9, v[6:7], v[8:9]
	v_mov_b64_e32 v[66:67], 0
	v_mov_b64_e32 v[80:81], 0
	v_mov_b64_e32 v[44:45], 0
	v_mov_b64_e32 v[34:35], 0
	v_dual_mov_b32 v86, 0 :: v_dual_add_nc_u32 v1, 11, v109
	v_cndmask_b32_e64 v79, v17, s45, s9
	v_cndmask_b32_e64 v78, v16, s44, s9
	v_dual_mov_b32 v87, 0 :: v_dual_mov_b32 v91, 0
	s_mov_b32 s11, 0
	s_mov_b32 s54, exec_lo
                                        ; implicit-def: $sgpr19
	v_cmpx_gt_u32_e64 s43, v1
	s_cbranch_execz .LBB389_64
; %bb.59:
	ds_load_2addr_b64 v[10:13], v104 offset0:11 offset1:12
	v_cmp_ne_u64_e64 s10, v[8:9], v[2:3]
	v_mov_b64_e32 v[66:67], 0
	v_mov_b64_e32 v[44:45], 0
	v_dual_mov_b32 v86, 0 :: v_dual_add_nc_u32 v1, 12, v109
	s_mov_b32 s12, 0
	s_mov_b32 s55, exec_lo
                                        ; implicit-def: $sgpr19
	s_wait_dscnt 0x0
	v_cndmask_b32_e64 v81, v11, s45, s10
	v_cndmask_b32_e64 v80, v10, s44, s10
	v_cmpx_gt_u32_e64 s43, v1
	s_cbranch_execz .LBB389_63
; %bb.60:
	v_cmp_ne_u64_e64 s11, v[2:3], v[4:5]
	v_add_nc_u32_e32 v1, 13, v109
	v_mov_b64_e32 v[44:45], 0
                                        ; implicit-def: $sgpr19
	s_delay_alu instid0(VALU_DEP_2) | instskip(NEXT) | instid1(VALU_DEP_4)
	v_cmp_gt_u32_e64 s12, s43, v1
	v_cndmask_b32_e64 v67, v13, s45, s11
	v_cndmask_b32_e64 v66, v12, s44, s11
	s_mov_b32 s43, 0
	s_and_saveexec_b32 s56, s12
	s_delay_alu instid0(SALU_CYCLE_1)
	s_xor_b32 s12, exec_lo, s56
	s_cbranch_execz .LBB389_62
; %bb.61:
	ds_load_b64 v[2:3], v104 offset:104
	v_cmp_ne_u64_e64 s19, v[4:5], v[56:57]
	s_mov_b32 s43, exec_lo
	s_wait_dscnt 0x0
	v_cndmask_b32_e64 v45, v3, s45, s19
	v_cndmask_b32_e64 v44, v2, s44, s19
.LBB389_62:
	s_or_b32 exec_lo, exec_lo, s12
	v_cndmask_b32_e64 v86, 0, 1, s11
	s_and_b32 s12, s43, exec_lo
.LBB389_63:
	s_or_b32 exec_lo, exec_lo, s55
	v_cndmask_b32_e64 v87, 0, 1, s10
	v_mov_b64_e32 v[34:35], v[80:81]
	s_and_b32 s11, s12, exec_lo
	s_delay_alu instid0(VALU_DEP_2)
	v_mov_b32_e32 v91, v87
.LBB389_64:
	s_or_b32 exec_lo, exec_lo, s54
	v_cndmask_b32_e64 v88, 0, 1, s9
	v_mov_b64_e32 v[30:31], v[66:67]
	v_mov_b64_e32 v[36:37], v[78:79]
	v_mov_b32_e32 v92, v86
	s_and_b32 s10, s11, exec_lo
	v_mov_b32_e32 v94, v88
.LBB389_65:
	s_or_b32 exec_lo, exec_lo, s53
	v_cndmask_b32_e64 v89, 0, 1, s8
	v_mov_b64_e32 v[38:39], v[84:85]
	s_and_b32 s9, s10, exec_lo
	s_delay_alu instid0(VALU_DEP_2)
	v_mov_b32_e32 v96, v89
.LBB389_66:
	s_or_b32 exec_lo, exec_lo, s52
	v_cndmask_b32_e64 v90, 0, 1, s7
	v_mov_b64_e32 v[40:41], v[76:77]
	s_and_b32 s8, s9, exec_lo
	s_delay_alu instid0(VALU_DEP_2)
	v_mov_b32_e32 v98, v90
.LBB389_67:
	s_or_b32 exec_lo, exec_lo, s51
	v_cndmask_b32_e64 v93, 0, 1, s6
	v_mov_b64_e32 v[42:43], v[82:83]
	s_and_b32 s7, s8, exec_lo
	s_delay_alu instid0(VALU_DEP_2)
	v_mov_b32_e32 v99, v93
.LBB389_68:
	s_or_b32 exec_lo, exec_lo, s50
	v_cndmask_b32_e64 v95, 0, 1, s5
	v_mov_b64_e32 v[46:47], v[72:73]
	s_and_b32 s6, s7, exec_lo
	s_delay_alu instid0(VALU_DEP_2)
	v_mov_b32_e32 v101, v95
.LBB389_69:
	s_or_b32 exec_lo, exec_lo, s49
	v_cndmask_b32_e64 v97, 0, 1, s4
	v_mov_b64_e32 v[48:49], v[74:75]
	s_and_b32 s5, s6, exec_lo
	s_delay_alu instid0(VALU_DEP_2)
	v_mov_b32_e32 v103, v97
.LBB389_70:
	s_or_b32 exec_lo, exec_lo, s48
	v_cndmask_b32_e64 v100, 0, 1, s3
	v_mov_b64_e32 v[50:51], v[70:71]
	s_and_b32 s4, s5, exec_lo
	s_delay_alu instid0(VALU_DEP_2)
	v_mov_b32_e32 v106, v100
.LBB389_71:
	s_or_b32 exec_lo, exec_lo, s47
	v_cndmask_b32_e64 v102, 0, 1, s2
	v_mov_b64_e32 v[52:53], v[68:69]
	s_and_b32 s3, s4, exec_lo
	s_delay_alu instid0(VALU_DEP_2)
	v_mov_b32_e32 v107, v102
.LBB389_72:
	s_or_b32 exec_lo, exec_lo, s46
	v_cndmask_b32_e64 v105, 0, 1, s1
	v_mov_b64_e32 v[54:55], v[64:65]
	s_and_b32 s2, s3, exec_lo
	s_delay_alu instid0(VALU_DEP_2)
	v_mov_b32_e32 v110, v105
.LBB389_73:
	s_or_b32 exec_lo, exec_lo, s21
	v_cndmask_b32_e64 v108, 0, 1, s0
	v_mov_b64_e32 v[32:33], v[62:63]
	s_and_b32 s1, s2, exec_lo
	s_delay_alu instid0(VALU_DEP_2)
	v_mov_b32_e32 v112, v108
.LBB389_74:
	s_or_b32 exec_lo, exec_lo, s20
	v_cndmask_b32_e64 v111, 0, 1, vcc_lo
	v_mov_b64_e32 v[58:59], v[60:61]
	s_and_b32 s3, s1, exec_lo
	s_delay_alu instid0(VALU_DEP_2)
	v_mov_b32_e32 v1, v111
.LBB389_75:
	s_or_b32 exec_lo, exec_lo, s18
	v_lshlrev_b32_e32 v56, 3, v0
	s_and_b32 vcc_lo, exec_lo, s13
	s_cbranch_vccnz .LBB389_77
	s_branch .LBB389_82
.LBB389_76:
                                        ; implicit-def: $sgpr19
                                        ; implicit-def: $vgpr86
                                        ; implicit-def: $vgpr66_vgpr67
                                        ; implicit-def: $vgpr87
                                        ; implicit-def: $vgpr80_vgpr81
                                        ; implicit-def: $vgpr88
                                        ; implicit-def: $vgpr78_vgpr79
                                        ; implicit-def: $vgpr89
                                        ; implicit-def: $vgpr84_vgpr85
                                        ; implicit-def: $vgpr90
                                        ; implicit-def: $vgpr76_vgpr77
                                        ; implicit-def: $vgpr93
                                        ; implicit-def: $vgpr82_vgpr83
                                        ; implicit-def: $vgpr95
                                        ; implicit-def: $vgpr72_vgpr73
                                        ; implicit-def: $vgpr97
                                        ; implicit-def: $vgpr74_vgpr75
                                        ; implicit-def: $vgpr100
                                        ; implicit-def: $vgpr70_vgpr71
                                        ; implicit-def: $vgpr102
                                        ; implicit-def: $vgpr68_vgpr69
                                        ; implicit-def: $vgpr105
                                        ; implicit-def: $vgpr64_vgpr65
                                        ; implicit-def: $vgpr108
                                        ; implicit-def: $vgpr62_vgpr63
                                        ; implicit-def: $vgpr111
                                        ; implicit-def: $vgpr60_vgpr61
                                        ; implicit-def: $vgpr44_vgpr45
                                        ; implicit-def: $vgpr92
                                        ; implicit-def: $vgpr30_vgpr31
                                        ; implicit-def: $vgpr91
                                        ; implicit-def: $vgpr34_vgpr35
                                        ; implicit-def: $vgpr94
                                        ; implicit-def: $vgpr36_vgpr37
                                        ; implicit-def: $vgpr96
                                        ; implicit-def: $vgpr98
                                        ; implicit-def: $vgpr99
                                        ; implicit-def: $vgpr101
                                        ; implicit-def: $vgpr103
                                        ; implicit-def: $vgpr106
                                        ; implicit-def: $vgpr107
                                        ; implicit-def: $vgpr110
                                        ; implicit-def: $vgpr112
                                        ; implicit-def: $vgpr1
                                        ; implicit-def: $vgpr38_vgpr39
                                        ; implicit-def: $vgpr40_vgpr41
                                        ; implicit-def: $vgpr42_vgpr43
                                        ; implicit-def: $vgpr46_vgpr47
                                        ; implicit-def: $vgpr48_vgpr49
                                        ; implicit-def: $vgpr50_vgpr51
                                        ; implicit-def: $vgpr52_vgpr53
                                        ; implicit-def: $vgpr54_vgpr55
                                        ; implicit-def: $vgpr32_vgpr33
                                        ; implicit-def: $vgpr58_vgpr59
	v_lshlrev_b32_e32 v56, 3, v0
	s_cbranch_execz .LBB389_82
.LBB389_77:
	s_clause 0xd
	flat_load_b64 v[2:3], v0, s[16:17] scale_offset
	flat_load_b64 v[4:5], v0, s[16:17] offset:2048 scale_offset
	flat_load_b64 v[6:7], v0, s[16:17] offset:4096 scale_offset
	;; [unrolled: 1-line block ×13, first 2 shown]
	v_mov_b32_e32 v1, 0
	s_mov_b32 s0, exec_lo
	s_wait_loadcnt_dscnt 0xc0c
	ds_store_2addr_stride64_b64 v56, v[2:3], v[4:5] offset1:4
	s_wait_loadcnt_dscnt 0xa0b
	ds_store_2addr_stride64_b64 v56, v[6:7], v[8:9] offset0:8 offset1:12
	s_wait_loadcnt_dscnt 0x80a
	ds_store_2addr_stride64_b64 v56, v[10:11], v[12:13] offset0:16 offset1:20
	;; [unrolled: 2-line block ×6, first 2 shown]
	s_wait_dscnt 0x0
	s_barrier_signal -1
	s_barrier_wait -1
	flat_load_b64 v[58:59], v1, s[16:17] offset:28672
	s_wait_xcnt 0x0
	v_mad_u32_u24 v1, 0x68, v0, v56
	ds_load_b128 v[38:41], v1
	ds_load_b128 v[34:37], v1 offset:16
	ds_load_b128 v[26:29], v1 offset:32
	;; [unrolled: 1-line block ×6, first 2 shown]
	v_mad_i32_i24 v14, 0xffffff98, v0, v1
	s_wait_dscnt 0x6
	ds_store_b64 v14, v[38:39] offset:30720
	s_wait_loadcnt_dscnt 0x0
	s_barrier_signal -1
	s_barrier_wait -1
	v_cmpx_ne_u32_e32 0xff, v0
; %bb.78:
	v_mul_i32_i24_e32 v14, 0xffffff98, v0
	s_delay_alu instid0(VALU_DEP_1)
	v_add_nc_u32_e32 v14, v1, v14
	ds_load_b64 v[58:59], v14 offset:30728
; %bb.79:
	s_or_b32 exec_lo, exec_lo, s0
	s_wait_dscnt 0x0
	s_barrier_signal -1
	s_barrier_wait -1
	s_clause 0xd
	flat_load_b64 v[14:15], v0, s[14:15] scale_offset
	flat_load_b64 v[16:17], v0, s[14:15] offset:2048 scale_offset
	flat_load_b64 v[22:23], v0, s[14:15] offset:4096 scale_offset
	;; [unrolled: 1-line block ×13, first 2 shown]
	s_mov_b32 s1, exec_lo
	v_cmp_ne_u64_e32 vcc_lo, v[38:39], v[40:41]
	s_wait_loadcnt_dscnt 0xc0c
	ds_store_2addr_stride64_b64 v56, v[14:15], v[16:17] offset1:4
	s_wait_loadcnt_dscnt 0xa0b
	ds_store_2addr_stride64_b64 v56, v[22:23], v[24:25] offset0:8 offset1:12
	s_wait_loadcnt_dscnt 0x80a
	ds_store_2addr_stride64_b64 v56, v[30:31], v[32:33] offset0:16 offset1:20
	;; [unrolled: 2-line block ×6, first 2 shown]
	s_wait_dscnt 0x0
	s_barrier_signal -1
	s_barrier_wait -1
	ds_load_2addr_b64 v[50:53], v1 offset0:1 offset1:2
	ds_load_2addr_b64 v[46:49], v1 offset0:3 offset1:4
	;; [unrolled: 1-line block ×6, first 2 shown]
	ds_load_b64 v[54:55], v1 offset:104
	v_mov_b64_e32 v[60:61], s[44:45]
	v_cmpx_eq_u64_e64 v[38:39], v[40:41]
; %bb.80:
	ds_load_b64 v[60:61], v1
; %bb.81:
	s_or_b32 exec_lo, exec_lo, s1
	v_cndmask_b32_e64 v111, 0, 1, vcc_lo
	v_cmp_ne_u64_e32 vcc_lo, v[40:41], v[34:35]
	v_cmp_ne_u64_e64 s0, v[34:35], v[36:37]
	v_cmp_ne_u64_e64 s1, v[36:37], v[26:27]
	;; [unrolled: 1-line block ×12, first 2 shown]
	s_wait_dscnt 0x6
	v_cndmask_b32_e64 v63, v51, s45, vcc_lo
	v_cndmask_b32_e64 v62, v50, s44, vcc_lo
	v_cndmask_b32_e64 v65, v53, s45, s0
	v_cndmask_b32_e64 v64, v52, s44, s0
	s_wait_dscnt 0x5
	v_cndmask_b32_e64 v69, v47, s45, s1
	v_cndmask_b32_e64 v68, v46, s44, s1
	v_cndmask_b32_e64 v71, v49, s45, s2
	v_cndmask_b32_e64 v70, v48, s44, s2
	s_wait_dscnt 0x4
	v_cndmask_b32_e64 v75, v43, s45, s3
	v_cndmask_b32_e64 v74, v42, s44, s3
	v_cndmask_b32_e64 v73, v45, s45, s4
	v_cndmask_b32_e64 v72, v44, s44, s4
	s_wait_dscnt 0x3
	v_cndmask_b32_e64 v83, v31, s45, s5
	v_cndmask_b32_e64 v82, v30, s44, s5
	v_cndmask_b32_e64 v77, v33, s45, s6
	v_cndmask_b32_e64 v76, v32, s44, s6
	s_wait_dscnt 0x2
	v_cndmask_b32_e64 v85, v23, s45, s7
	v_cndmask_b32_e64 v84, v22, s44, s7
	v_cndmask_b32_e64 v79, v25, s45, s8
	v_cndmask_b32_e64 v78, v24, s44, s8
	s_wait_dscnt 0x1
	v_cndmask_b32_e64 v81, v15, s45, s9
	v_cndmask_b32_e64 v67, v17, s45, s10
	v_cndmask_b32_e64 v66, v16, s44, s10
	v_cndmask_b32_e64 v80, v14, s44, s9
	v_cndmask_b32_e64 v108, 0, 1, vcc_lo
	v_cndmask_b32_e64 v105, 0, 1, s0
	v_cndmask_b32_e64 v102, 0, 1, s1
	v_cndmask_b32_e64 v100, 0, 1, s2
	v_cndmask_b32_e64 v97, 0, 1, s3
	v_cndmask_b32_e64 v95, 0, 1, s4
	v_cndmask_b32_e64 v93, 0, 1, s5
	v_cndmask_b32_e64 v90, 0, 1, s6
	v_cndmask_b32_e64 v89, 0, 1, s7
	v_cndmask_b32_e64 v88, 0, 1, s8
	v_cndmask_b32_e64 v87, 0, 1, s9
	v_cndmask_b32_e64 v86, 0, 1, s10
	s_wait_dscnt 0x0
	v_cndmask_b32_e64 v45, v55, s45, s19
	v_cndmask_b32_e64 v44, v54, s44, s19
	v_mov_b64_e32 v[30:31], v[66:67]
	v_mov_b64_e32 v[34:35], v[80:81]
	;; [unrolled: 1-line block ×13, first 2 shown]
	v_dual_mov_b32 v92, v86 :: v_dual_mov_b32 v91, v87
	v_dual_mov_b32 v94, v88 :: v_dual_mov_b32 v96, v89
	;; [unrolled: 1-line block ×6, first 2 shown]
	v_mov_b32_e32 v1, v111
	s_mov_b32 s3, -1
.LBB389_82:
	v_mov_b32_e32 v57, 0
	s_and_saveexec_b32 s0, s3
	s_cbranch_execz .LBB389_84
; %bb.83:
	v_mov_b64_e32 v[58:59], v[60:61]
	v_mov_b64_e32 v[32:33], v[62:63]
	;; [unrolled: 1-line block ×13, first 2 shown]
	v_cndmask_b32_e64 v57, 0, 1, s19
	v_dual_mov_b32 v1, v111 :: v_dual_mov_b32 v112, v108
	v_dual_mov_b32 v110, v105 :: v_dual_mov_b32 v107, v102
	;; [unrolled: 1-line block ×6, first 2 shown]
	v_mov_b32_e32 v92, v86
.LBB389_84:
	s_or_b32 exec_lo, exec_lo, s0
	v_dual_lshrrev_b32 v69, 1, v0 :: v_dual_bitop2_b32 v66, 1, v1 bitop3:0x40
	v_and_b32_e32 v65, 1, v107
	v_and_b32_e32 v62, 1, v101
	;; [unrolled: 1-line block ×4, first 2 shown]
	v_cmp_eq_u32_e64 s12, 1, v66
	v_and_b32_e32 v84, 0xff, v112
	v_and_b32_e32 v83, 0xff, v110
	v_bitop3_b16 v67, v110, 0xff, v112 bitop3:0xc8
	v_and_b32_e32 v82, 0xff, v107
	v_cmp_eq_u32_e64 s13, 1, v65
	v_and_b32_e32 v81, 0xff, v106
	v_and_b32_e32 v80, 0xff, v103
	v_bitop3_b16 v68, v103, 0xff, v106 bitop3:0xc8
	v_and_b32_e32 v79, 0xff, v101
	v_cmp_eq_u32_e64 s14, 1, v62
	v_and_b32_e32 v78, 0xff, v99
	v_and_b32_e32 v77, 0xff, v98
	v_bitop3_b16 v70, v98, 0xff, v99 bitop3:0xc8
	v_and_b32_e32 v76, 0xff, v96
	v_cmp_eq_u32_e64 s15, 1, v63
	v_and_b32_e32 v75, 0xff, v94
	v_and_b32_e32 v74, 0xff, v91
	v_bitop3_b16 v71, v91, 0xff, v94 bitop3:0xc8
	v_and_b32_e32 v73, 0xff, v92
	v_cmp_eq_u32_e64 s16, 1, v64
	v_cmp_eq_u16_e64 s17, 0, v57
	v_and_b32_e32 v72, 1, v57
	s_cmp_lg_u32 s42, 0
	v_cmp_gt_u32_e32 vcc_lo, 32, v0
	s_barrier_signal -1
	s_barrier_wait -1
	s_cbranch_scc0 .LBB389_146
; %bb.85:
	v_cmp_eq_u16_e64 s0, 0, v84
	v_cmp_eq_u16_e64 s1, 0, v83
	;; [unrolled: 1-line block ×5, first 2 shown]
	v_dual_cndmask_b32 v3, 0, v59, s0 :: v_dual_cndmask_b32 v2, 1, v58, s0
	v_cmp_eq_u16_e64 s5, 0, v79
	v_cmp_eq_u16_e64 s6, 0, v78
	;; [unrolled: 1-line block ×4, first 2 shown]
	v_mul_u64_e32 v[2:3], v[2:3], v[32:33]
	v_cmp_eq_u16_e64 s9, 0, v75
	v_cmp_eq_u16_e64 s10, 0, v74
	;; [unrolled: 1-line block ×3, first 2 shown]
	v_cmp_ne_u16_e64 s18, 0, v71
	v_cmp_ne_u16_e64 s19, 0, v70
	v_cmp_eq_u32_e64 s20, 1, v72
	v_cmp_ne_u16_e64 s21, 0, v68
	s_or_b32 s16, s18, s16
	s_or_b32 s15, s19, s15
	;; [unrolled: 1-line block ×5, first 2 shown]
	s_delay_alu instid0(SALU_CYCLE_1) | instskip(SKIP_1) | instid1(VALU_DEP_1)
	s_or_b32 s14, s15, s14
	v_dual_cndmask_b32 v3, 0, v3, s1 :: v_dual_cndmask_b32 v2, 1, v2, s1
	v_mul_u64_e32 v[2:3], v[2:3], v[54:55]
	s_delay_alu instid0(VALU_DEP_1) | instskip(NEXT) | instid1(VALU_DEP_1)
	v_dual_cndmask_b32 v3, 0, v3, s2 :: v_dual_cndmask_b32 v2, 1, v2, s2
	v_mul_u64_e32 v[2:3], v[2:3], v[52:53]
	s_delay_alu instid0(VALU_DEP_1) | instskip(NEXT) | instid1(VALU_DEP_1)
	;; [unrolled: 3-line block ×10, first 2 shown]
	v_dual_cndmask_b32 v3, 0, v3, s11 :: v_dual_cndmask_b32 v2, 1, v2, s11
	v_mul_u64_e32 v[2:3], v[2:3], v[30:31]
	s_delay_alu instid0(VALU_DEP_1) | instskip(SKIP_1) | instid1(VALU_DEP_2)
	v_dual_cndmask_b32 v3, 0, v3, s17 :: v_dual_cndmask_b32 v2, 1, v2, s17
	v_cmp_ne_u16_e64 s17, 0, v67
	v_mul_u64_e32 v[4:5], v[2:3], v[44:45]
	s_or_b32 s13, s17, s13
	v_and_b32_e32 v2, 0x70, v69
	s_or_b32 s13, s14, s13
	s_delay_alu instid0(SALU_CYCLE_1) | instskip(NEXT) | instid1(VALU_DEP_1)
	s_or_b32 s12, s13, s12
	v_lshl_add_u32 v2, v0, 4, v2
	v_cndmask_b32_e64 v12, 0, 1, s12
	ds_store_b64 v2, v[4:5]
	ds_store_b8 v2, v12 offset:8
	s_wait_dscnt 0x0
	s_barrier_signal -1
	s_barrier_wait -1
	s_and_saveexec_b32 s14, vcc_lo
	s_cbranch_execz .LBB389_97
; %bb.86:
	v_dual_lshlrev_b32 v2, 2, v0 :: v_dual_lshlrev_b32 v3, 7, v0
	s_delay_alu instid0(VALU_DEP_1) | instskip(NEXT) | instid1(VALU_DEP_1)
	v_and_b32_e32 v2, 0x3f0, v2
	v_add_nc_u32_e32 v8, v2, v3
	ds_load_u8 v13, v8 offset:24
	ds_load_b64 v[2:3], v8
	ds_load_2addr_b64 v[14:17], v8 offset0:2 offset1:4
	ds_load_b32 v9, v8 offset:8
	ds_load_u8 v18, v8 offset:40
	ds_load_u8 v19, v8 offset:56
	;; [unrolled: 1-line block ×5, first 2 shown]
	s_wait_dscnt 0x8
	v_cmp_eq_u16_e64 s12, 0, v13
	s_wait_dscnt 0x7
	s_delay_alu instid0(VALU_DEP_1)
	v_dual_cndmask_b32 v7, 0, v3, s12 :: v_dual_cndmask_b32 v6, 1, v2, s12
	s_wait_dscnt 0x4
	v_cmp_eq_u16_e64 s12, 0, v18
	s_wait_dscnt 0x3
	v_bitop3_b16 v13, v18, v19, v13 bitop3:0xfe
	v_mul_u64_e32 v[6:7], v[6:7], v[14:15]
	s_delay_alu instid0(VALU_DEP_1) | instskip(SKIP_1) | instid1(VALU_DEP_2)
	v_dual_cndmask_b32 v7, 0, v7, s12 :: v_dual_cndmask_b32 v6, 1, v6, s12
	v_cmp_eq_u16_e64 s12, 0, v19
	v_mul_u64_e32 v[6:7], v[6:7], v[16:17]
	ds_load_2addr_b64 v[14:17], v8 offset0:6 offset1:8
	v_dual_cndmask_b32 v7, 0, v7, s12 :: v_dual_cndmask_b32 v6, 1, v6, s12
	s_wait_dscnt 0x3
	v_cmp_eq_u16_e64 s12, 0, v20
	s_wait_dscnt 0x0
	s_delay_alu instid0(VALU_DEP_2) | instskip(NEXT) | instid1(VALU_DEP_1)
	v_mul_u64_e32 v[6:7], v[6:7], v[14:15]
	v_dual_cndmask_b32 v7, 0, v7, s12 :: v_dual_cndmask_b32 v6, 1, v6, s12
	v_cmp_eq_u16_e64 s12, 0, v21
	s_delay_alu instid0(VALU_DEP_2) | instskip(SKIP_4) | instid1(VALU_DEP_2)
	v_mul_u64_e32 v[6:7], v[6:7], v[16:17]
	ds_load_2addr_b64 v[14:17], v8 offset0:10 offset1:12
	v_dual_cndmask_b32 v7, 0, v7, s12 :: v_dual_cndmask_b32 v6, 1, v6, s12
	v_cmp_eq_u16_e64 s12, 0, v22
	s_wait_dscnt 0x0
	v_mul_u64_e32 v[6:7], v[6:7], v[14:15]
	ds_load_u8 v14, v8 offset:120
	ds_load_b64 v[10:11], v8 offset:112
	v_bitop3_b16 v15, v21, v22, v20 bitop3:0xfe
	v_dual_cndmask_b32 v7, 0, v7, s12 :: v_dual_cndmask_b32 v6, 1, v6, s12
	s_wait_dscnt 0x1
	v_cmp_eq_u16_e64 s12, 0, v14
	s_delay_alu instid0(VALU_DEP_2) | instskip(NEXT) | instid1(VALU_DEP_1)
	v_mul_u64_e32 v[6:7], v[6:7], v[16:17]
	v_dual_cndmask_b32 v7, 0, v7, s12 :: v_dual_cndmask_b32 v6, 1, v6, s12
	s_wait_dscnt 0x0
	s_delay_alu instid0(VALU_DEP_1) | instskip(SKIP_2) | instid1(VALU_DEP_2)
	v_mul_u64_e32 v[6:7], v[6:7], v[10:11]
	v_bitop3_b16 v10, v14, v13, v15 bitop3:0xfe
	v_and_b32_e32 v11, 1, v9
	v_and_b32_e32 v10, 1, v10
	s_delay_alu instid0(VALU_DEP_2) | instskip(SKIP_1) | instid1(VALU_DEP_3)
	v_cmp_eq_u32_e64 s12, 1, v11
	v_mbcnt_lo_u32_b32 v11, -1, 0
	v_cmp_eq_u32_e64 s13, 1, v10
	v_and_b32_e32 v10, 0xffffff00, v9
	s_or_b32 s15, s13, s12
	s_mov_b32 s13, exec_lo
	v_cndmask_b32_e64 v14, 0, 1, s15
	v_cndmask_b32_e64 v13, 0, 1, s15
	s_delay_alu instid0(VALU_DEP_2) | instskip(SKIP_1) | instid1(VALU_DEP_2)
	v_or_b32_e32 v15, v10, v14
	v_and_b32_e32 v14, 15, v11
	v_mov_b32_dpp v16, v15 row_shr:1 row_mask:0xf bank_mask:0xf
	v_mov_b32_dpp v17, v6 row_shr:1 row_mask:0xf bank_mask:0xf
	;; [unrolled: 1-line block ×3, first 2 shown]
	s_delay_alu instid0(VALU_DEP_4)
	v_cmpx_ne_u32_e32 0, v14
	s_cbranch_execz .LBB389_88
; %bb.87:
	s_delay_alu instid0(VALU_DEP_2) | instskip(SKIP_2) | instid1(VALU_DEP_2)
	v_cndmask_b32_e64 v19, v18, 0, s15
	v_cndmask_b32_e64 v18, v17, 1, s15
	v_bitop3_b16 v13, v16, v13, 1 bitop3:0xec
	v_mul_u64_e32 v[6:7], v[18:19], v[6:7]
	s_delay_alu instid0(VALU_DEP_2) | instskip(NEXT) | instid1(VALU_DEP_1)
	v_and_b32_e32 v15, 0xffff, v13
	v_or_b32_e32 v15, v10, v15
.LBB389_88:
	s_or_b32 exec_lo, exec_lo, s13
	s_delay_alu instid0(VALU_DEP_3) | instskip(NEXT) | instid1(VALU_DEP_4)
	v_mov_b32_dpp v17, v6 row_shr:2 row_mask:0xf bank_mask:0xf
	v_mov_b32_dpp v18, v7 row_shr:2 row_mask:0xf bank_mask:0xf
	s_delay_alu instid0(VALU_DEP_3)
	v_mov_b32_dpp v16, v15 row_shr:2 row_mask:0xf bank_mask:0xf
	s_mov_b32 s15, exec_lo
	v_cmpx_lt_u32_e32 1, v14
	s_cbranch_execz .LBB389_90
; %bb.89:
	v_cmp_eq_u16_e64 s12, 0, v13
	v_and_b32_e32 v13, 1, v13
	s_delay_alu instid0(VALU_DEP_2) | instskip(SKIP_1) | instid1(VALU_DEP_3)
	v_dual_cndmask_b32 v19, 0, v18, s12 :: v_dual_bitop2_b32 v15, 1, v16 bitop3:0x40
	v_cndmask_b32_e64 v18, 1, v17, s12
	v_cmp_eq_u32_e64 s12, 1, v13
	s_delay_alu instid0(VALU_DEP_3) | instskip(NEXT) | instid1(VALU_DEP_3)
	v_cmp_eq_u32_e64 s13, 1, v15
	v_mul_u64_e32 v[6:7], v[18:19], v[6:7]
	s_or_b32 s12, s12, s13
	s_delay_alu instid0(SALU_CYCLE_1) | instskip(SKIP_1) | instid1(VALU_DEP_2)
	v_cndmask_b32_e64 v15, 0, 1, s12
	v_cndmask_b32_e64 v13, 0, 1, s12
	v_or_b32_e32 v15, v10, v15
.LBB389_90:
	s_or_b32 exec_lo, exec_lo, s15
	s_delay_alu instid0(VALU_DEP_4) | instskip(SKIP_1) | instid1(VALU_DEP_3)
	v_mov_b32_dpp v17, v6 row_shr:4 row_mask:0xf bank_mask:0xf
	v_mov_b32_dpp v18, v7 row_shr:4 row_mask:0xf bank_mask:0xf
	;; [unrolled: 1-line block ×3, first 2 shown]
	s_mov_b32 s15, exec_lo
	v_cmpx_lt_u32_e32 3, v14
	s_cbranch_execz .LBB389_92
; %bb.91:
	v_cmp_eq_u16_e64 s12, 0, v13
	v_and_b32_e32 v13, 1, v13
	s_delay_alu instid0(VALU_DEP_2) | instskip(SKIP_1) | instid1(VALU_DEP_3)
	v_dual_cndmask_b32 v19, 0, v18, s12 :: v_dual_bitop2_b32 v15, 1, v16 bitop3:0x40
	v_cndmask_b32_e64 v18, 1, v17, s12
	v_cmp_eq_u32_e64 s12, 1, v13
	s_delay_alu instid0(VALU_DEP_3) | instskip(NEXT) | instid1(VALU_DEP_3)
	v_cmp_eq_u32_e64 s13, 1, v15
	v_mul_u64_e32 v[6:7], v[18:19], v[6:7]
	s_or_b32 s12, s12, s13
	s_delay_alu instid0(SALU_CYCLE_1) | instskip(SKIP_1) | instid1(VALU_DEP_2)
	v_cndmask_b32_e64 v15, 0, 1, s12
	v_cndmask_b32_e64 v13, 0, 1, s12
	v_or_b32_e32 v15, v10, v15
.LBB389_92:
	s_or_b32 exec_lo, exec_lo, s15
	s_delay_alu instid0(VALU_DEP_4) | instskip(SKIP_1) | instid1(VALU_DEP_3)
	v_mov_b32_dpp v17, v6 row_shr:8 row_mask:0xf bank_mask:0xf
	v_mov_b32_dpp v18, v7 row_shr:8 row_mask:0xf bank_mask:0xf
	;; [unrolled: 1-line block ×3, first 2 shown]
	s_mov_b32 s15, exec_lo
	v_cmpx_lt_u32_e32 7, v14
	s_cbranch_execz .LBB389_94
; %bb.93:
	v_cmp_eq_u16_e64 s12, 0, v13
	s_delay_alu instid0(VALU_DEP_1) | instskip(SKIP_1) | instid1(VALU_DEP_2)
	v_dual_cndmask_b32 v15, 0, v18, s12 :: v_dual_bitop2_b32 v13, 1, v13 bitop3:0x40
	v_cndmask_b32_e64 v14, 1, v17, s12
	v_cmp_eq_u32_e64 s12, 1, v13
	s_delay_alu instid0(VALU_DEP_2) | instskip(SKIP_1) | instid1(VALU_DEP_1)
	v_mul_u64_e32 v[6:7], v[14:15], v[6:7]
	v_and_b32_e32 v14, 1, v16
	v_cmp_eq_u32_e64 s13, 1, v14
	s_or_b32 s12, s12, s13
	s_delay_alu instid0(SALU_CYCLE_1) | instskip(SKIP_1) | instid1(VALU_DEP_2)
	v_cndmask_b32_e64 v14, 0, 1, s12
	v_cndmask_b32_e64 v13, 0, 1, s12
	v_or_b32_e32 v15, v10, v14
.LBB389_94:
	s_or_b32 exec_lo, exec_lo, s15
	ds_swizzle_b32 v16, v6 offset:swizzle(BROADCAST,32,15)
	ds_swizzle_b32 v17, v7 offset:swizzle(BROADCAST,32,15)
	;; [unrolled: 1-line block ×3, first 2 shown]
	v_and_b32_e32 v15, 16, v11
	s_mov_b32 s15, exec_lo
	s_delay_alu instid0(VALU_DEP_1)
	v_cmpx_ne_u32_e32 0, v15
	s_cbranch_execz .LBB389_96
; %bb.95:
	v_cmp_eq_u16_e64 s12, 0, v13
	v_and_b32_e32 v13, 1, v13
	s_wait_dscnt 0x0
	s_delay_alu instid0(VALU_DEP_2) | instskip(SKIP_1) | instid1(VALU_DEP_3)
	v_dual_cndmask_b32 v17, 0, v17, s12 :: v_dual_bitop2_b32 v14, 1, v14 bitop3:0x40
	v_cndmask_b32_e64 v16, 1, v16, s12
	v_cmp_eq_u32_e64 s12, 1, v13
	s_delay_alu instid0(VALU_DEP_3) | instskip(NEXT) | instid1(VALU_DEP_3)
	v_cmp_eq_u32_e64 s13, 1, v14
	v_mul_u64_e32 v[6:7], v[16:17], v[6:7]
	s_or_b32 s12, s12, s13
	s_delay_alu instid0(SALU_CYCLE_1)
	v_cndmask_b32_e64 v13, 0, 1, s12
.LBB389_96:
	s_or_b32 exec_lo, exec_lo, s15
	s_wait_dscnt 0x0
	v_add_nc_u32_e32 v14, -1, v11
	s_delay_alu instid0(VALU_DEP_2) | instskip(NEXT) | instid1(VALU_DEP_2)
	v_and_b32_e32 v13, 0xffff, v13
	; wave barrier
	v_cmp_gt_i32_e64 s12, 0, v14
	s_delay_alu instid0(VALU_DEP_2) | instskip(NEXT) | instid1(VALU_DEP_2)
	v_or_b32_e32 v10, v10, v13
	v_cndmask_b32_e64 v11, v14, v11, s12
	v_and_b32_e32 v14, 0xff, v9
	s_delay_alu instid0(VALU_DEP_2) | instskip(NEXT) | instid1(VALU_DEP_2)
	v_lshlrev_b32_e32 v11, 2, v11
	v_cmp_eq_u32_e64 s12, 0, v14
	ds_bpermute_b32 v7, v11, v7
	ds_bpermute_b32 v6, v11, v6
	s_wait_dscnt 0x0
	v_dual_cndmask_b32 v7, 0, v7, s12 :: v_dual_cndmask_b32 v6, 1, v6, s12
	v_cmp_eq_u32_e64 s12, 0, v0
	s_delay_alu instid0(VALU_DEP_2) | instskip(SKIP_4) | instid1(VALU_DEP_1)
	v_mul_u64_e32 v[2:3], v[6:7], v[2:3]
	ds_bpermute_b32 v6, v11, v10
	v_cndmask_b32_e64 v3, v3, v5, s12
	s_wait_dscnt 0x0
	v_or_b32_e32 v6, v6, v9
	v_dual_cndmask_b32 v2, v2, v4, s12 :: v_dual_bitop2_b32 v6, 1, v6 bitop3:0x40
	s_delay_alu instid0(VALU_DEP_1)
	v_cndmask_b32_e64 v9, v6, v12, s12
	ds_store_b64 v8, v[2:3]
	ds_store_b8 v8, v9 offset:8
	; wave barrier
	ds_load_u8 v13, v8 offset:24
	ds_load_2addr_b64 v[14:17], v8 offset0:2 offset1:4
	ds_load_u8 v24, v8 offset:40
	ds_load_u8 v25, v8 offset:56
	;; [unrolled: 1-line block ×5, first 2 shown]
	ds_load_b64 v[6:7], v8 offset:112
	ds_load_u8 v29, v8 offset:120
	s_wait_dscnt 0x8
	v_and_b32_e32 v10, 0xff, v13
	s_wait_dscnt 0x5
	v_and_b32_e32 v18, 0xff, v25
	s_delay_alu instid0(VALU_DEP_2) | instskip(SKIP_3) | instid1(VALU_DEP_3)
	v_cmp_eq_u16_e64 s12, 0, v10
	v_and_b32_e32 v10, 0xff, v24
	s_wait_dscnt 0x3
	v_and_b32_e32 v22, 0xff, v27
	v_dual_cndmask_b32 v3, 0, v3, s12 :: v_dual_cndmask_b32 v2, 1, v2, s12
	s_delay_alu instid0(VALU_DEP_3) | instskip(NEXT) | instid1(VALU_DEP_2)
	v_cmp_eq_u16_e64 s12, 0, v10
	v_mul_u64_e32 v[2:3], v[2:3], v[14:15]
	s_delay_alu instid0(VALU_DEP_1) | instskip(SKIP_1) | instid1(VALU_DEP_2)
	v_dual_cndmask_b32 v11, 0, v3, s12 :: v_dual_cndmask_b32 v10, 1, v2, s12
	v_cmp_eq_u16_e64 s12, 0, v18
	v_mul_u64_e32 v[10:11], v[10:11], v[16:17]
	ds_load_2addr_b64 v[14:17], v8 offset0:6 offset1:8
	v_dual_cndmask_b32 v19, 0, v11, s12 :: v_dual_cndmask_b32 v18, 1, v10, s12
	s_wait_dscnt 0x0
	s_delay_alu instid0(VALU_DEP_1) | instskip(SKIP_1) | instid1(VALU_DEP_1)
	v_mul_u64_e32 v[18:19], v[18:19], v[14:15]
	v_and_b32_e32 v14, 0xff, v26
	v_cmp_eq_u16_e64 s12, 0, v14
	s_delay_alu instid0(VALU_DEP_1) | instskip(SKIP_1) | instid1(VALU_DEP_2)
	v_dual_cndmask_b32 v15, 0, v19, s12 :: v_dual_cndmask_b32 v14, 1, v18, s12
	v_cmp_eq_u16_e64 s12, 0, v22
	v_mul_u64_e32 v[20:21], v[14:15], v[16:17]
	ds_load_2addr_b64 v[14:17], v8 offset0:10 offset1:12
	v_dual_cndmask_b32 v23, 0, v21, s12 :: v_dual_cndmask_b32 v22, 1, v20, s12
	s_wait_dscnt 0x0
	s_delay_alu instid0(VALU_DEP_1) | instskip(SKIP_1) | instid1(VALU_DEP_1)
	v_mul_u64_e32 v[14:15], v[22:23], v[14:15]
	v_and_b32_e32 v22, 0xff, v28
	v_cmp_eq_u16_e64 s12, 0, v22
	s_delay_alu instid0(VALU_DEP_1) | instskip(SKIP_1) | instid1(VALU_DEP_2)
	v_dual_cndmask_b32 v23, 0, v15, s12 :: v_dual_cndmask_b32 v22, 1, v14, s12
	v_cmp_eq_u16_e64 s12, 0, v29
	v_mul_u64_e32 v[16:17], v[22:23], v[16:17]
	s_delay_alu instid0(VALU_DEP_1) | instskip(NEXT) | instid1(VALU_DEP_1)
	v_dual_cndmask_b32 v23, 0, v17, s12 :: v_dual_cndmask_b32 v22, 1, v16, s12
	v_mul_u64_e32 v[6:7], v[22:23], v[6:7]
	v_or_b32_e32 v22, v13, v9
	v_bitop3_b16 v23, v24, v13, v9 bitop3:0xfe
	v_bitop3_b16 v9, v13, 1, v9 bitop3:0xc8
	s_delay_alu instid0(VALU_DEP_3) | instskip(NEXT) | instid1(VALU_DEP_3)
	v_bitop3_b16 v60, v25, v24, v22 bitop3:0xfe
	v_bitop3_b16 v61, v26, v25, v23 bitop3:0xfe
	;; [unrolled: 1-line block ×4, first 2 shown]
	s_delay_alu instid0(VALU_DEP_4) | instskip(NEXT) | instid1(VALU_DEP_4)
	v_bitop3_b16 v22, v27, v26, v60 bitop3:0xfe
	v_bitop3_b16 v24, v28, v27, v61 bitop3:0xfe
	;; [unrolled: 1-line block ×4, first 2 shown]
	s_delay_alu instid0(VALU_DEP_4) | instskip(NEXT) | instid1(VALU_DEP_4)
	v_bitop3_b16 v22, v28, 1, v22 bitop3:0xc8
	v_bitop3_b16 v24, v29, 1, v24 bitop3:0xc8
	ds_store_2addr_b64 v8, v[2:3], v[10:11] offset0:2 offset1:4
	ds_store_2addr_b64 v8, v[18:19], v[20:21] offset0:6 offset1:8
	;; [unrolled: 1-line block ×3, first 2 shown]
	ds_store_b8 v8, v9 offset:24
	ds_store_b8 v8, v13 offset:40
	;; [unrolled: 1-line block ×6, first 2 shown]
	ds_store_b64 v8, v[6:7] offset:112
	ds_store_b8 v8, v24 offset:120
.LBB389_97:
	s_or_b32 exec_lo, exec_lo, s14
	v_cmp_eq_u32_e64 s13, 0, v0
	v_cmp_ne_u32_e64 s12, 0, v0
	s_wait_dscnt 0x0
	s_barrier_signal -1
	s_barrier_wait -1
	s_and_saveexec_b32 s14, s12
	s_cbranch_execz .LBB389_99
; %bb.98:
	v_add_nc_u32_e32 v2, -1, v0
	s_delay_alu instid0(VALU_DEP_1) | instskip(NEXT) | instid1(VALU_DEP_1)
	v_lshrrev_b32_e32 v3, 1, v2
	v_and_b32_e32 v3, 0x7ffffff0, v3
	s_delay_alu instid0(VALU_DEP_1)
	v_lshl_add_u32 v2, v2, 4, v3
	ds_load_b64 v[4:5], v2
	ds_load_u8 v12, v2 offset:8
.LBB389_99:
	s_or_b32 exec_lo, exec_lo, s14
	s_and_saveexec_b32 s18, vcc_lo
	s_cbranch_execz .LBB389_151
; %bb.100:
	v_mov_b32_e32 v9, 0
	v_mbcnt_lo_u32_b32 v14, -1, 0
	s_mov_b32 s17, 0
	ds_load_b64 v[2:3], v9 offset:4192
	ds_load_u8 v13, v9 offset:4200
	v_cmp_eq_u32_e64 s14, 0, v14
	s_and_saveexec_b32 s15, s14
	s_cbranch_execz .LBB389_102
; %bb.101:
	s_add_co_i32 s16, s42, 32
	s_delay_alu instid0(SALU_CYCLE_1) | instskip(SKIP_1) | instid1(SALU_CYCLE_1)
	v_dual_mov_b32 v6, 1 :: v_dual_mov_b32 v7, s16
	s_lshl_b64 s[20:21], s[16:17], 4
	s_add_nc_u64 s[16:17], s[24:25], s[20:21]
	s_wait_dscnt 0x1
	global_store_b64 v9, v[2:3], s[16:17]
	s_wait_dscnt 0x0
	global_store_b8 v9, v13, s[16:17] offset:8
	global_wb scope:SCOPE_DEV
	s_wait_storecnt 0x0
	global_inv scope:SCOPE_DEV
	s_wait_xcnt 0x0
	global_store_b8 v7, v6, s[28:29] scope:SCOPE_DEV
.LBB389_102:
	s_wait_xcnt 0x0
	s_or_b32 exec_lo, exec_lo, s15
	v_xad_u32 v6, v14, -1, s42
	s_mov_b32 s15, exec_lo
	s_delay_alu instid0(VALU_DEP_1)
	v_add_nc_u32_e32 v8, 32, v6
	global_load_u8 v15, v8, s[28:29] scope:SCOPE_DEV
	s_wait_loadcnt 0x0
	v_cmpx_eq_u16_e32 0, v15
	s_cbranch_execz .LBB389_106
; %bb.103:
	v_add_nc_u64_e32 v[10:11], s[28:29], v[8:9]
	s_mov_b32 s16, 0
.LBB389_104:                            ; =>This Inner Loop Header: Depth=1
	global_load_u8 v15, v[10:11], off scope:SCOPE_DEV
	s_wait_loadcnt 0x0
	v_cmp_ne_u16_e32 vcc_lo, 0, v15
	s_or_b32 s16, vcc_lo, s16
	s_wait_xcnt 0x0
	s_and_not1_b32 exec_lo, exec_lo, s16
	s_cbranch_execnz .LBB389_104
; %bb.105:
	s_or_b32 exec_lo, exec_lo, s16
.LBB389_106:
	s_delay_alu instid0(SALU_CYCLE_1)
	s_or_b32 exec_lo, exec_lo, s15
	v_dual_mov_b32 v7, s25 :: v_dual_mov_b32 v10, s24
	v_cmp_eq_u16_e32 vcc_lo, 1, v15
	global_wb scope:SCOPE_DEV
	s_wait_storecnt_dscnt 0x0
	global_inv scope:SCOPE_DEV
	v_lshlrev_b32_e64 v17, v14, -1
	s_mov_b32 s15, exec_lo
	v_cndmask_b32_e32 v11, s27, v7, vcc_lo
	v_cndmask_b32_e32 v10, s26, v10, vcc_lo
	v_cmp_ne_u32_e32 vcc_lo, 31, v14
	v_add_co_ci_u32_e64 v7, null, 0, v14, vcc_lo
	v_cmp_eq_u16_e32 vcc_lo, 2, v15
	s_delay_alu instid0(VALU_DEP_2)
	v_lshlrev_b32_e32 v16, 2, v7
	v_lshl_add_u64 v[8:9], v[8:9], 4, v[10:11]
	s_clause 0x1
	global_load_u8 v27, v[8:9], off offset:8
	global_load_b64 v[10:11], v[8:9], off
	v_and_or_b32 v7, vcc_lo, v17, 0x80000000
	s_delay_alu instid0(VALU_DEP_1)
	v_ctz_i32_b32_e32 v7, v7
	s_wait_loadcnt 0x1
	s_wait_xcnt 0x0
	v_and_b32_e32 v8, 1, v27
	s_wait_loadcnt 0x0
	ds_bpermute_b32 v18, v16, v10
	ds_bpermute_b32 v19, v16, v11
	;; [unrolled: 1-line block ×3, first 2 shown]
	v_cmpx_lt_u32_e64 v14, v7
	s_cbranch_execz .LBB389_108
; %bb.107:
	v_and_b32_e32 v8, 0xff, v27
	s_wait_dscnt 0x0
	v_bitop3_b16 v27, v9, v27, 1 bitop3:0xec
	s_delay_alu instid0(VALU_DEP_2) | instskip(NEXT) | instid1(VALU_DEP_2)
	v_cmp_eq_u16_e32 vcc_lo, 0, v8
	v_and_b32_e32 v8, 0xff, v27
	v_dual_cndmask_b32 v19, 0, v19 :: v_dual_cndmask_b32 v18, 1, v18
	s_delay_alu instid0(VALU_DEP_1)
	v_mul_u64_e32 v[10:11], v[18:19], v[10:11]
.LBB389_108:
	s_or_b32 exec_lo, exec_lo, s15
	v_cmp_gt_u32_e32 vcc_lo, 30, v14
	s_wait_dscnt 0x1
	v_add_nc_u32_e32 v19, 2, v14
	s_mov_b32 s16, exec_lo
	s_wait_dscnt 0x0
	v_cndmask_b32_e64 v9, 0, 2, vcc_lo
	s_delay_alu instid0(VALU_DEP_1)
	v_add_lshl_u32 v18, v9, v14, 2
	ds_bpermute_b32 v20, v18, v10
	ds_bpermute_b32 v21, v18, v11
	ds_bpermute_b32 v9, v18, v8
	v_cmpx_le_u32_e64 v19, v7
	s_cbranch_execz .LBB389_110
; %bb.109:
	v_and_b32_e32 v8, 0xff, v27
	s_wait_dscnt 0x0
	v_and_b32_e32 v9, 1, v9
	s_delay_alu instid0(VALU_DEP_2) | instskip(SKIP_1) | instid1(VALU_DEP_3)
	v_cmp_eq_u16_e32 vcc_lo, 0, v8
	v_and_b32_e32 v8, 1, v27
	v_cmp_eq_u32_e64 s15, 1, v9
	v_dual_cndmask_b32 v21, 0, v21 :: v_dual_cndmask_b32 v20, 1, v20
	s_delay_alu instid0(VALU_DEP_3) | instskip(NEXT) | instid1(VALU_DEP_2)
	v_cmp_eq_u32_e32 vcc_lo, 1, v8
	v_mul_u64_e32 v[10:11], v[20:21], v[10:11]
	s_or_b32 s15, vcc_lo, s15
	s_delay_alu instid0(SALU_CYCLE_1)
	v_cndmask_b32_e64 v27, 0, 1, s15
	v_cndmask_b32_e64 v8, 0, 1, s15
.LBB389_110:
	s_or_b32 exec_lo, exec_lo, s16
	v_cmp_gt_u32_e32 vcc_lo, 28, v14
	s_wait_dscnt 0x1
	v_add_nc_u32_e32 v21, 4, v14
	s_mov_b32 s16, exec_lo
	s_wait_dscnt 0x0
	v_cndmask_b32_e64 v9, 0, 4, vcc_lo
	s_delay_alu instid0(VALU_DEP_1)
	v_add_lshl_u32 v20, v9, v14, 2
	ds_bpermute_b32 v22, v20, v10
	ds_bpermute_b32 v23, v20, v11
	ds_bpermute_b32 v9, v20, v8
	v_cmpx_le_u32_e64 v21, v7
	s_cbranch_execz .LBB389_112
; %bb.111:
	v_and_b32_e32 v8, 0xff, v27
	s_wait_dscnt 0x0
	v_and_b32_e32 v9, 1, v9
	s_delay_alu instid0(VALU_DEP_2) | instskip(SKIP_1) | instid1(VALU_DEP_3)
	v_cmp_eq_u16_e32 vcc_lo, 0, v8
	v_and_b32_e32 v8, 1, v27
	v_cmp_eq_u32_e64 s15, 1, v9
	v_dual_cndmask_b32 v23, 0, v23 :: v_dual_cndmask_b32 v22, 1, v22
	s_delay_alu instid0(VALU_DEP_3) | instskip(NEXT) | instid1(VALU_DEP_2)
	v_cmp_eq_u32_e32 vcc_lo, 1, v8
	v_mul_u64_e32 v[10:11], v[22:23], v[10:11]
	s_or_b32 s15, vcc_lo, s15
	s_delay_alu instid0(SALU_CYCLE_1)
	v_cndmask_b32_e64 v27, 0, 1, s15
	v_cndmask_b32_e64 v8, 0, 1, s15
.LBB389_112:
	;; [unrolled: 31-line block ×3, first 2 shown]
	s_or_b32 exec_lo, exec_lo, s16
	s_wait_dscnt 0x2
	v_lshl_or_b32 v24, v14, 2, 64
	v_add_nc_u32_e32 v26, 16, v14
	s_mov_b32 s16, exec_lo
	s_wait_dscnt 0x0
	ds_bpermute_b32 v9, v24, v10
	ds_bpermute_b32 v25, v24, v11
	;; [unrolled: 1-line block ×3, first 2 shown]
	v_cmpx_le_u32_e64 v26, v7
	s_cbranch_execz .LBB389_116
; %bb.115:
	v_and_b32_e32 v7, 0xff, v27
	s_wait_dscnt 0x0
	v_and_b32_e32 v8, 1, v8
	s_delay_alu instid0(VALU_DEP_2) | instskip(SKIP_1) | instid1(VALU_DEP_3)
	v_cmp_eq_u16_e32 vcc_lo, 0, v7
	v_and_b32_e32 v7, 1, v27
	v_cmp_eq_u32_e64 s15, 1, v8
	v_cndmask_b32_e32 v29, 0, v25, vcc_lo
	v_cndmask_b32_e32 v28, 1, v9, vcc_lo
	s_delay_alu instid0(VALU_DEP_4) | instskip(NEXT) | instid1(VALU_DEP_2)
	v_cmp_eq_u32_e32 vcc_lo, 1, v7
	v_mul_u64_e32 v[10:11], v[28:29], v[10:11]
	s_or_b32 s15, vcc_lo, s15
	s_delay_alu instid0(SALU_CYCLE_1)
	v_cndmask_b32_e64 v27, 0, 1, s15
.LBB389_116:
	s_or_b32 exec_lo, exec_lo, s16
	v_mov_b32_e32 v7, 0
	s_branch .LBB389_119
.LBB389_117:                            ;   in Loop: Header=BB389_119 Depth=1
	s_or_b32 exec_lo, exec_lo, s17
	v_and_b32_e32 v27, 0xff, v25
	v_subrev_nc_u32_e32 v6, 32, v6
	s_delay_alu instid0(VALU_DEP_2) | instskip(NEXT) | instid1(VALU_DEP_4)
	v_cmp_eq_u16_e32 vcc_lo, 0, v27
	v_dual_cndmask_b32 v11, 0, v11, vcc_lo :: v_dual_bitop2_b32 v27, 1, v25 bitop3:0x40
	v_cndmask_b32_e32 v10, 1, v10, vcc_lo
	s_delay_alu instid0(VALU_DEP_2) | instskip(NEXT) | instid1(VALU_DEP_2)
	v_cmp_eq_u32_e32 vcc_lo, 1, v27
	v_mul_u64_e32 v[10:11], v[10:11], v[8:9]
	s_or_b32 s15, vcc_lo, s16
	s_delay_alu instid0(SALU_CYCLE_1)
	v_cndmask_b32_e64 v27, 0, 1, s15
	s_mov_b32 s15, 0
.LBB389_118:                            ;   in Loop: Header=BB389_119 Depth=1
	s_delay_alu instid0(SALU_CYCLE_1)
	s_and_b32 vcc_lo, exec_lo, s15
	s_cbranch_vccnz .LBB389_147
.LBB389_119:                            ; =>This Loop Header: Depth=1
                                        ;     Child Loop BB389_122 Depth 2
	s_wait_dscnt 0x0
	v_and_b32_e32 v8, 0xff, v15
	v_mov_b32_e32 v25, v27
	s_mov_b32 s15, -1
                                        ; implicit-def: $vgpr27
                                        ; implicit-def: $vgpr15
	s_delay_alu instid0(VALU_DEP_2)
	v_cmp_ne_u16_e32 vcc_lo, 2, v8
	v_mov_b64_e32 v[8:9], v[10:11]
                                        ; implicit-def: $vgpr10_vgpr11
	s_cmp_lg_u32 vcc_lo, exec_lo
	s_cbranch_scc1 .LBB389_118
; %bb.120:                              ;   in Loop: Header=BB389_119 Depth=1
	global_load_u8 v15, v6, s[28:29] scope:SCOPE_DEV
	s_mov_b32 s15, exec_lo
	s_wait_loadcnt 0x0
	v_cmpx_eq_u16_e32 0, v15
	s_cbranch_execz .LBB389_124
; %bb.121:                              ;   in Loop: Header=BB389_119 Depth=1
	v_add_nc_u64_e32 v[10:11], s[28:29], v[6:7]
	s_mov_b32 s16, 0
.LBB389_122:                            ;   Parent Loop BB389_119 Depth=1
                                        ; =>  This Inner Loop Header: Depth=2
	global_load_u8 v15, v[10:11], off scope:SCOPE_DEV
	s_wait_loadcnt 0x0
	v_cmp_ne_u16_e32 vcc_lo, 0, v15
	s_or_b32 s16, vcc_lo, s16
	s_delay_alu instid0(SALU_CYCLE_1)
	s_and_not1_b32 exec_lo, exec_lo, s16
	s_cbranch_execnz .LBB389_122
; %bb.123:                              ;   in Loop: Header=BB389_119 Depth=1
	s_or_b32 exec_lo, exec_lo, s16
.LBB389_124:                            ;   in Loop: Header=BB389_119 Depth=1
	s_delay_alu instid0(SALU_CYCLE_1)
	s_or_b32 exec_lo, exec_lo, s15
	v_dual_mov_b32 v10, s25 :: v_dual_mov_b32 v27, s24
	v_cmp_eq_u16_e32 vcc_lo, 1, v15
	global_wb scope:SCOPE_DEV
	s_wait_storecnt 0x0
	global_inv scope:SCOPE_DEV
	s_mov_b32 s15, exec_lo
	v_cndmask_b32_e32 v11, s27, v10, vcc_lo
	v_cndmask_b32_e32 v10, s26, v27, vcc_lo
	v_cmp_eq_u16_e32 vcc_lo, 2, v15
	s_delay_alu instid0(VALU_DEP_2)
	v_lshl_add_u64 v[28:29], v[6:7], 4, v[10:11]
	s_clause 0x1
	global_load_u8 v27, v[28:29], off offset:8
	global_load_b64 v[10:11], v[28:29], off
	s_wait_xcnt 0x0
	v_and_or_b32 v28, vcc_lo, v17, 0x80000000
	s_delay_alu instid0(VALU_DEP_1)
	v_ctz_i32_b32_e32 v28, v28
	s_wait_loadcnt 0x1
	v_and_b32_e32 v29, 1, v27
	s_wait_loadcnt 0x0
	ds_bpermute_b32 v61, v16, v10
	ds_bpermute_b32 v85, v16, v11
	;; [unrolled: 1-line block ×3, first 2 shown]
	v_cmpx_lt_u32_e64 v14, v28
	s_cbranch_execz .LBB389_126
; %bb.125:                              ;   in Loop: Header=BB389_119 Depth=1
	v_and_b32_e32 v29, 0xff, v27
	s_wait_dscnt 0x0
	v_bitop3_b16 v27, v60, v27, 1 bitop3:0xec
	s_delay_alu instid0(VALU_DEP_2) | instskip(NEXT) | instid1(VALU_DEP_2)
	v_cmp_eq_u16_e32 vcc_lo, 0, v29
	v_and_b32_e32 v29, 0xff, v27
	v_cndmask_b32_e32 v87, 0, v85, vcc_lo
	v_cndmask_b32_e32 v86, 1, v61, vcc_lo
	s_delay_alu instid0(VALU_DEP_1)
	v_mul_u64_e32 v[10:11], v[86:87], v[10:11]
.LBB389_126:                            ;   in Loop: Header=BB389_119 Depth=1
	s_or_b32 exec_lo, exec_lo, s15
	s_wait_dscnt 0x2
	ds_bpermute_b32 v61, v18, v10
	s_wait_dscnt 0x2
	ds_bpermute_b32 v85, v18, v11
	;; [unrolled: 2-line block ×3, first 2 shown]
	v_and_b32_e32 v86, 1, v27
	s_mov_b32 s15, exec_lo
	s_delay_alu instid0(VALU_DEP_1)
	v_cmp_eq_u32_e64 s16, 1, v86
	v_cmpx_le_u32_e64 v19, v28
	s_cbranch_execz .LBB389_128
; %bb.127:                              ;   in Loop: Header=BB389_119 Depth=1
	v_and_b32_e32 v27, 0xff, v27
	s_delay_alu instid0(VALU_DEP_1) | instskip(SKIP_3) | instid1(VALU_DEP_2)
	v_cmp_eq_u16_e32 vcc_lo, 0, v27
	s_wait_dscnt 0x0
	v_dual_cndmask_b32 v87, 0, v85, vcc_lo :: v_dual_bitop2_b32 v27, 1, v60 bitop3:0x40
	v_cndmask_b32_e32 v86, 1, v61, vcc_lo
	v_cmp_eq_u32_e32 vcc_lo, 1, v27
	s_delay_alu instid0(VALU_DEP_2)
	v_mul_u64_e32 v[10:11], v[86:87], v[10:11]
	s_or_b32 s17, s16, vcc_lo
	s_and_not1_b32 s16, s16, exec_lo
	v_cndmask_b32_e64 v27, 0, 1, s17
	v_cndmask_b32_e64 v29, 0, 1, s17
	s_and_b32 s17, s17, exec_lo
	s_delay_alu instid0(SALU_CYCLE_1)
	s_or_b32 s16, s16, s17
.LBB389_128:                            ;   in Loop: Header=BB389_119 Depth=1
	s_or_b32 exec_lo, exec_lo, s15
	s_wait_dscnt 0x2
	ds_bpermute_b32 v61, v20, v10
	s_wait_dscnt 0x2
	ds_bpermute_b32 v85, v20, v11
	;; [unrolled: 2-line block ×3, first 2 shown]
	s_mov_b32 s17, exec_lo
	v_cmpx_le_u32_e64 v21, v28
	s_cbranch_execz .LBB389_130
; %bb.129:                              ;   in Loop: Header=BB389_119 Depth=1
	v_and_b32_e32 v29, 0xff, v27
	s_and_not1_b32 s16, s16, exec_lo
	v_and_b32_e32 v27, 1, v27
	s_delay_alu instid0(VALU_DEP_2) | instskip(SKIP_4) | instid1(VALU_DEP_3)
	v_cmp_eq_u16_e32 vcc_lo, 0, v29
	s_wait_dscnt 0x0
	v_dual_cndmask_b32 v86, 1, v61, vcc_lo :: v_dual_bitop2_b32 v29, 1, v60 bitop3:0x40
	v_cndmask_b32_e32 v87, 0, v85, vcc_lo
	v_cmp_eq_u32_e32 vcc_lo, 1, v27
	v_cmp_eq_u32_e64 s15, 1, v29
	s_delay_alu instid0(VALU_DEP_3) | instskip(SKIP_1) | instid1(SALU_CYCLE_1)
	v_mul_u64_e32 v[10:11], v[86:87], v[10:11]
	s_or_b32 s15, vcc_lo, s15
	v_cndmask_b32_e64 v27, 0, 1, s15
	v_cndmask_b32_e64 v29, 0, 1, s15
	s_and_b32 s15, s15, exec_lo
	s_delay_alu instid0(SALU_CYCLE_1)
	s_or_b32 s16, s16, s15
.LBB389_130:                            ;   in Loop: Header=BB389_119 Depth=1
	s_or_b32 exec_lo, exec_lo, s17
	s_wait_dscnt 0x2
	ds_bpermute_b32 v61, v22, v10
	s_wait_dscnt 0x2
	ds_bpermute_b32 v85, v22, v11
	;; [unrolled: 2-line block ×3, first 2 shown]
	s_mov_b32 s17, exec_lo
	v_cmpx_le_u32_e64 v23, v28
	s_cbranch_execz .LBB389_132
; %bb.131:                              ;   in Loop: Header=BB389_119 Depth=1
	v_and_b32_e32 v29, 0xff, v27
	s_and_not1_b32 s16, s16, exec_lo
	v_and_b32_e32 v27, 1, v27
	s_delay_alu instid0(VALU_DEP_2) | instskip(SKIP_4) | instid1(VALU_DEP_3)
	v_cmp_eq_u16_e32 vcc_lo, 0, v29
	s_wait_dscnt 0x0
	v_dual_cndmask_b32 v86, 1, v61, vcc_lo :: v_dual_bitop2_b32 v29, 1, v60 bitop3:0x40
	v_cndmask_b32_e32 v87, 0, v85, vcc_lo
	v_cmp_eq_u32_e32 vcc_lo, 1, v27
	v_cmp_eq_u32_e64 s15, 1, v29
	s_delay_alu instid0(VALU_DEP_3) | instskip(SKIP_1) | instid1(SALU_CYCLE_1)
	v_mul_u64_e32 v[10:11], v[86:87], v[10:11]
	s_or_b32 s15, vcc_lo, s15
	v_cndmask_b32_e64 v27, 0, 1, s15
	v_cndmask_b32_e64 v29, 0, 1, s15
	s_and_b32 s15, s15, exec_lo
	s_delay_alu instid0(SALU_CYCLE_1)
	s_or_b32 s16, s16, s15
.LBB389_132:                            ;   in Loop: Header=BB389_119 Depth=1
	s_or_b32 exec_lo, exec_lo, s17
	s_wait_dscnt 0x0
	ds_bpermute_b32 v60, v24, v10
	ds_bpermute_b32 v61, v24, v11
	;; [unrolled: 1-line block ×3, first 2 shown]
	s_mov_b32 s17, exec_lo
	v_cmpx_le_u32_e64 v26, v28
	s_cbranch_execz .LBB389_117
; %bb.133:                              ;   in Loop: Header=BB389_119 Depth=1
	v_and_b32_e32 v28, 0xff, v27
	v_and_b32_e32 v27, 1, v27
	s_and_not1_b32 s16, s16, exec_lo
	s_delay_alu instid0(VALU_DEP_2) | instskip(SKIP_4) | instid1(VALU_DEP_3)
	v_cmp_eq_u16_e32 vcc_lo, 0, v28
	s_wait_dscnt 0x0
	v_and_b32_e32 v28, 1, v29
	v_dual_cndmask_b32 v61, 0, v61 :: v_dual_cndmask_b32 v60, 1, v60
	v_cmp_eq_u32_e32 vcc_lo, 1, v27
	v_cmp_eq_u32_e64 s15, 1, v28
	s_delay_alu instid0(VALU_DEP_3) | instskip(SKIP_1) | instid1(SALU_CYCLE_1)
	v_mul_u64_e32 v[10:11], v[60:61], v[10:11]
	s_or_b32 s15, vcc_lo, s15
	s_and_b32 s15, s15, exec_lo
	s_delay_alu instid0(SALU_CYCLE_1)
	s_or_b32 s16, s16, s15
	s_branch .LBB389_117
.LBB389_134:
	s_or_b32 exec_lo, exec_lo, s13
                                        ; implicit-def: $vgpr32_vgpr33
	s_and_saveexec_b32 s13, s0
	s_cbranch_execz .LBB389_33
.LBB389_135:
	flat_load_b64 v[32:33], v0, s[14:15] offset:2048 scale_offset
	s_wait_xcnt 0x0
	s_or_b32 exec_lo, exec_lo, s13
                                        ; implicit-def: $vgpr34_vgpr35
	s_and_saveexec_b32 s0, s1
	s_cbranch_execnz .LBB389_34
.LBB389_136:
	s_or_b32 exec_lo, exec_lo, s0
                                        ; implicit-def: $vgpr36_vgpr37
	s_and_saveexec_b32 s0, s2
	s_cbranch_execz .LBB389_35
.LBB389_137:
	flat_load_b64 v[36:37], v0, s[14:15] offset:6144 scale_offset
	s_wait_xcnt 0x0
	s_or_b32 exec_lo, exec_lo, s0
                                        ; implicit-def: $vgpr38_vgpr39
	s_and_saveexec_b32 s0, s3
	s_cbranch_execnz .LBB389_36
.LBB389_138:
	s_or_b32 exec_lo, exec_lo, s0
                                        ; implicit-def: $vgpr40_vgpr41
	s_and_saveexec_b32 s0, s4
	s_cbranch_execz .LBB389_37
.LBB389_139:
	flat_load_b64 v[40:41], v0, s[14:15] offset:10240 scale_offset
	s_wait_xcnt 0x0
	s_or_b32 exec_lo, exec_lo, s0
                                        ; implicit-def: $vgpr42_vgpr43
	s_and_saveexec_b32 s0, s5
	s_cbranch_execnz .LBB389_38
.LBB389_140:
	s_or_b32 exec_lo, exec_lo, s0
                                        ; implicit-def: $vgpr44_vgpr45
	s_and_saveexec_b32 s0, s6
	s_cbranch_execz .LBB389_39
.LBB389_141:
	flat_load_b64 v[44:45], v0, s[14:15] offset:14336 scale_offset
	s_wait_xcnt 0x0
	s_or_b32 exec_lo, exec_lo, s0
                                        ; implicit-def: $vgpr46_vgpr47
	s_and_saveexec_b32 s0, s7
	s_cbranch_execnz .LBB389_40
.LBB389_142:
	s_or_b32 exec_lo, exec_lo, s0
                                        ; implicit-def: $vgpr48_vgpr49
	s_and_saveexec_b32 s0, s8
	s_cbranch_execz .LBB389_41
.LBB389_143:
	flat_load_b64 v[48:49], v0, s[14:15] offset:18432 scale_offset
	s_wait_xcnt 0x0
	s_or_b32 exec_lo, exec_lo, s0
                                        ; implicit-def: $vgpr50_vgpr51
	s_and_saveexec_b32 s0, s9
	s_cbranch_execnz .LBB389_42
.LBB389_144:
	s_or_b32 exec_lo, exec_lo, s0
                                        ; implicit-def: $vgpr52_vgpr53
	s_and_saveexec_b32 s0, s10
	s_cbranch_execz .LBB389_43
.LBB389_145:
	flat_load_b64 v[52:53], v0, s[14:15] offset:22528 scale_offset
	s_wait_xcnt 0x0
	s_or_b32 exec_lo, exec_lo, s0
                                        ; implicit-def: $vgpr54_vgpr55
	s_and_saveexec_b32 s0, s11
	s_cbranch_execz .LBB389_45
	s_branch .LBB389_44
.LBB389_146:
                                        ; implicit-def: $vgpr60_vgpr61
                                        ; implicit-def: $vgpr26_vgpr27
                                        ; implicit-def: $vgpr24_vgpr25
                                        ; implicit-def: $vgpr20_vgpr21
                                        ; implicit-def: $vgpr16_vgpr17
                                        ; implicit-def: $vgpr8_vgpr9
                                        ; implicit-def: $vgpr12_vgpr13
                                        ; implicit-def: $vgpr4_vgpr5
	s_cbranch_execnz .LBB389_154
	s_branch .LBB389_173
.LBB389_147:
	s_and_saveexec_b32 s15, s14
	s_cbranch_execz .LBB389_149
; %bb.148:
	v_and_b32_e32 v6, 0xff, v13
	s_add_co_i32 s16, s42, 32
	s_mov_b32 s17, 0
	v_mov_b32_e32 v11, s16
	s_lshl_b64 s[20:21], s[16:17], 4
	v_cmp_eq_u32_e32 vcc_lo, 0, v6
	s_add_nc_u64 s[16:17], s[26:27], s[20:21]
	v_dual_mov_b32 v10, 2 :: v_dual_cndmask_b32 v7, 0, v9
	v_cndmask_b32_e32 v6, 1, v8, vcc_lo
	s_delay_alu instid0(VALU_DEP_1)
	v_mul_u64_e32 v[2:3], v[6:7], v[2:3]
	v_mov_b32_e32 v7, 0
	v_bitop3_b16 v6, v13, 1, v25 bitop3:0xc8
	s_clause 0x1
	global_store_b64 v7, v[2:3], s[16:17]
	global_store_b8 v7, v6, s[16:17] offset:8
	global_wb scope:SCOPE_DEV
	s_wait_storecnt_dscnt 0x0
	global_inv scope:SCOPE_DEV
	s_wait_xcnt 0x0
	global_store_b8 v11, v10, s[28:29] scope:SCOPE_DEV
.LBB389_149:
	s_wait_xcnt 0x0
	s_or_b32 exec_lo, exec_lo, s15
	s_delay_alu instid0(SALU_CYCLE_1)
	s_and_b32 exec_lo, exec_lo, s13
	s_cbranch_execz .LBB389_151
; %bb.150:
	v_mov_b32_e32 v2, 0
	ds_store_b64 v2, v[8:9]
	ds_store_b8 v2, v25 offset:8
.LBB389_151:
	s_or_b32 exec_lo, exec_lo, s18
	v_mov_b32_e32 v2, 0
	s_wait_storecnt 0x0
	s_wait_loadcnt_dscnt 0x0
	s_barrier_signal -1
	s_barrier_wait -1
	ds_load_b64 v[2:3], v2
	s_and_saveexec_b32 s13, s12
	s_cbranch_execz .LBB389_153
; %bb.152:
	v_and_b32_e32 v6, 0xff, v12
	s_delay_alu instid0(VALU_DEP_1) | instskip(SKIP_2) | instid1(VALU_DEP_1)
	v_cmp_eq_u16_e32 vcc_lo, 0, v6
	s_wait_dscnt 0x0
	v_dual_cndmask_b32 v3, 0, v3 :: v_dual_cndmask_b32 v2, 1, v2
	v_mul_u64_e32 v[2:3], v[2:3], v[4:5]
.LBB389_153:
	s_or_b32 exec_lo, exec_lo, s13
	v_and_b32_e32 v4, 0xff, v1
	s_delay_alu instid0(VALU_DEP_1) | instskip(SKIP_1) | instid1(VALU_DEP_3)
	v_cmp_eq_u16_e32 vcc_lo, 0, v4
	s_wait_dscnt 0x0
	v_dual_cndmask_b32 v5, 0, v3 :: v_dual_cndmask_b32 v4, 1, v2
	s_delay_alu instid0(VALU_DEP_1) | instskip(NEXT) | instid1(VALU_DEP_1)
	v_mul_u64_e32 v[4:5], v[4:5], v[58:59]
	v_dual_cndmask_b32 v7, 0, v5, s0 :: v_dual_cndmask_b32 v6, 1, v4, s0
	s_delay_alu instid0(VALU_DEP_1) | instskip(NEXT) | instid1(VALU_DEP_1)
	v_mul_u64_e32 v[10:11], v[6:7], v[32:33]
	v_dual_cndmask_b32 v7, 0, v11, s1 :: v_dual_cndmask_b32 v6, 1, v10, s1
	;; [unrolled: 3-line block ×12, first 2 shown]
	s_branch .LBB389_173
.LBB389_154:
	s_cmp_eq_u64 s[40:41], 0
	v_mov_b64_e32 v[28:29], s[44:45]
	s_cselect_b32 s0, -1, 0
	s_cmp_eq_u64 s[38:39], 0
	s_cselect_b32 s1, -1, 0
	s_delay_alu instid0(SALU_CYCLE_1) | instskip(NEXT) | instid1(SALU_CYCLE_1)
	s_or_b32 s0, s0, s1
	s_and_b32 vcc_lo, exec_lo, s0
	s_cbranch_vccnz .LBB389_156
; %bb.155:
	v_mov_b32_e32 v2, 0
	global_load_b64 v[28:29], v2, s[38:39]
.LBB389_156:
	v_cmp_eq_u16_e32 vcc_lo, 0, v84
	v_cmp_eq_u16_e64 s0, 0, v83
	v_cmp_eq_u16_e64 s1, 0, v82
	;; [unrolled: 1-line block ×4, first 2 shown]
	s_wait_xcnt 0x0
	v_dual_cndmask_b32 v3, 0, v59 :: v_dual_cndmask_b32 v2, 1, v58
	v_cmp_eq_u16_e64 s4, 0, v79
	v_cmp_eq_u16_e64 s5, 0, v78
	;; [unrolled: 1-line block ×4, first 2 shown]
	v_mul_u64_e32 v[2:3], v[2:3], v[32:33]
	v_cmp_eq_u16_e64 s8, 0, v75
	v_cmp_eq_u16_e64 s9, 0, v74
	;; [unrolled: 1-line block ×4, first 2 shown]
	v_cmp_ne_u16_e64 s16, 0, v71
	v_cmp_eq_u32_e64 s17, 1, v64
	v_cmp_ne_u16_e64 s15, 0, v70
	v_cmp_eq_u32_e64 s18, 1, v63
	v_cmp_eq_u32_e64 s19, 1, v72
	v_cmp_ne_u16_e64 s14, 0, v68
	v_cmp_eq_u32_e64 s20, 1, v62
	s_or_b32 s16, s16, s17
	v_cmp_ne_u16_e64 s12, 0, v67
	v_cmp_eq_u32_e64 s13, 1, v65
	s_or_b32 s15, s15, s18
	s_or_b32 s16, s19, s16
	;; [unrolled: 1-line block ×6, first 2 shown]
	v_and_b32_e32 v4, 0x70, v69
	s_or_b32 s12, s13, s12
	s_mov_b32 s13, exec_lo
	s_delay_alu instid0(VALU_DEP_1) | instskip(SKIP_1) | instid1(VALU_DEP_1)
	v_lshl_add_u32 v4, v0, 4, v4
	v_dual_cndmask_b32 v3, 0, v3, s0 :: v_dual_cndmask_b32 v2, 1, v2, s0
	v_mul_u64_e32 v[2:3], v[2:3], v[54:55]
	s_delay_alu instid0(VALU_DEP_1) | instskip(NEXT) | instid1(VALU_DEP_1)
	v_dual_cndmask_b32 v3, 0, v3, s1 :: v_dual_cndmask_b32 v2, 1, v2, s1
	v_mul_u64_e32 v[2:3], v[2:3], v[52:53]
	s_delay_alu instid0(VALU_DEP_1) | instskip(NEXT) | instid1(VALU_DEP_1)
	;; [unrolled: 3-line block ×10, first 2 shown]
	v_dual_cndmask_b32 v3, 0, v3, s10 :: v_dual_cndmask_b32 v2, 1, v2, s10
	v_mul_u64_e32 v[2:3], v[2:3], v[30:31]
	s_delay_alu instid0(VALU_DEP_1) | instskip(SKIP_1) | instid1(VALU_DEP_2)
	v_dual_cndmask_b32 v3, 0, v3, s11 :: v_dual_cndmask_b32 v2, 1, v2, s11
	v_cmp_eq_u32_e64 s11, 1, v66
	v_mul_u64_e32 v[2:3], v[2:3], v[44:45]
	s_or_b32 s11, s12, s11
	s_delay_alu instid0(SALU_CYCLE_1)
	v_cndmask_b32_e64 v9, 0, 1, s11
	ds_store_b64 v4, v[2:3]
	ds_store_b8 v4, v9 offset:8
	s_wait_loadcnt_dscnt 0x0
	s_barrier_signal -1
	s_barrier_wait -1
	v_cmpx_gt_u32_e32 32, v0
	s_cbranch_execz .LBB389_168
; %bb.157:
	v_dual_lshlrev_b32 v4, 2, v0 :: v_dual_lshlrev_b32 v5, 7, v0
	s_delay_alu instid0(VALU_DEP_1) | instskip(NEXT) | instid1(VALU_DEP_1)
	v_and_b32_e32 v4, 0x3f0, v4
	v_add_nc_u32_e32 v8, v4, v5
	ds_load_u8 v11, v8 offset:24
	ds_load_b64 v[4:5], v8
	ds_load_2addr_b64 v[12:15], v8 offset0:2 offset1:4
	ds_load_b32 v10, v8 offset:8
	ds_load_u8 v16, v8 offset:40
	ds_load_u8 v17, v8 offset:56
	ds_load_u8 v18, v8 offset:72
	ds_load_u8 v19, v8 offset:88
	ds_load_u8 v20, v8 offset:104
	s_wait_dscnt 0x8
	v_cmp_eq_u16_e64 s11, 0, v11
	s_wait_dscnt 0x7
	s_delay_alu instid0(VALU_DEP_1)
	v_dual_cndmask_b32 v7, 0, v5, s11 :: v_dual_cndmask_b32 v6, 1, v4, s11
	s_wait_dscnt 0x4
	v_cmp_eq_u16_e64 s11, 0, v16
	s_wait_dscnt 0x3
	v_bitop3_b16 v11, v16, v17, v11 bitop3:0xfe
	v_mul_u64_e32 v[6:7], v[6:7], v[12:13]
	s_delay_alu instid0(VALU_DEP_1) | instskip(SKIP_1) | instid1(VALU_DEP_2)
	v_dual_cndmask_b32 v7, 0, v7, s11 :: v_dual_cndmask_b32 v6, 1, v6, s11
	v_cmp_eq_u16_e64 s11, 0, v17
	v_mul_u64_e32 v[6:7], v[6:7], v[14:15]
	ds_load_2addr_b64 v[12:15], v8 offset0:6 offset1:8
	v_dual_cndmask_b32 v7, 0, v7, s11 :: v_dual_cndmask_b32 v6, 1, v6, s11
	s_wait_dscnt 0x3
	v_cmp_eq_u16_e64 s11, 0, v18
	s_wait_dscnt 0x0
	s_delay_alu instid0(VALU_DEP_2) | instskip(NEXT) | instid1(VALU_DEP_1)
	v_mul_u64_e32 v[6:7], v[6:7], v[12:13]
	v_dual_cndmask_b32 v7, 0, v7, s11 :: v_dual_cndmask_b32 v6, 1, v6, s11
	v_cmp_eq_u16_e64 s11, 0, v19
	s_delay_alu instid0(VALU_DEP_2) | instskip(SKIP_4) | instid1(VALU_DEP_2)
	v_mul_u64_e32 v[6:7], v[6:7], v[14:15]
	ds_load_2addr_b64 v[12:15], v8 offset0:10 offset1:12
	v_dual_cndmask_b32 v7, 0, v7, s11 :: v_dual_cndmask_b32 v6, 1, v6, s11
	v_cmp_eq_u16_e64 s11, 0, v20
	s_wait_dscnt 0x0
	v_mul_u64_e32 v[6:7], v[6:7], v[12:13]
	s_delay_alu instid0(VALU_DEP_1) | instskip(NEXT) | instid1(VALU_DEP_1)
	v_dual_cndmask_b32 v7, 0, v7, s11 :: v_dual_cndmask_b32 v6, 1, v6, s11
	v_mul_u64_e32 v[6:7], v[6:7], v[14:15]
	ds_load_u8 v14, v8 offset:120
	ds_load_b64 v[12:13], v8 offset:112
	v_bitop3_b16 v15, v19, v20, v18 bitop3:0xfe
	s_wait_dscnt 0x1
	v_cmp_eq_u16_e64 s11, 0, v14
	s_delay_alu instid0(VALU_DEP_2) | instskip(NEXT) | instid1(VALU_DEP_1)
	v_bitop3_b16 v11, v14, v11, v15 bitop3:0xfe
	v_and_b32_e32 v11, 1, v11
	s_delay_alu instid0(VALU_DEP_1) | instskip(NEXT) | instid1(VALU_DEP_4)
	v_cmp_eq_u32_e64 s12, 1, v11
	v_dual_cndmask_b32 v7, 0, v7, s11 :: v_dual_cndmask_b32 v6, 1, v6, s11
	v_and_b32_e32 v11, 0xffffff00, v10
	s_wait_dscnt 0x0
	s_delay_alu instid0(VALU_DEP_2) | instskip(SKIP_1) | instid1(VALU_DEP_1)
	v_mul_u64_e32 v[6:7], v[6:7], v[12:13]
	v_and_b32_e32 v12, 1, v10
	v_cmp_eq_u32_e64 s11, 1, v12
	v_mbcnt_lo_u32_b32 v12, -1, 0
	s_or_b32 s14, s12, s11
	s_mov_b32 s12, exec_lo
	v_cndmask_b32_e64 v14, 0, 1, s14
	v_cndmask_b32_e64 v13, 0, 1, s14
	s_delay_alu instid0(VALU_DEP_2) | instskip(SKIP_1) | instid1(VALU_DEP_2)
	v_or_b32_e32 v15, v11, v14
	v_and_b32_e32 v14, 15, v12
	v_mov_b32_dpp v16, v15 row_shr:1 row_mask:0xf bank_mask:0xf
	v_mov_b32_dpp v17, v6 row_shr:1 row_mask:0xf bank_mask:0xf
	;; [unrolled: 1-line block ×3, first 2 shown]
	s_delay_alu instid0(VALU_DEP_4)
	v_cmpx_ne_u32_e32 0, v14
	s_cbranch_execz .LBB389_159
; %bb.158:
	s_delay_alu instid0(VALU_DEP_2) | instskip(SKIP_2) | instid1(VALU_DEP_2)
	v_cndmask_b32_e64 v19, v18, 0, s14
	v_cndmask_b32_e64 v18, v17, 1, s14
	v_bitop3_b16 v13, v16, v13, 1 bitop3:0xec
	v_mul_u64_e32 v[6:7], v[18:19], v[6:7]
	s_delay_alu instid0(VALU_DEP_2) | instskip(NEXT) | instid1(VALU_DEP_1)
	v_and_b32_e32 v15, 0xffff, v13
	v_or_b32_e32 v15, v11, v15
.LBB389_159:
	s_or_b32 exec_lo, exec_lo, s12
	s_delay_alu instid0(VALU_DEP_3) | instskip(NEXT) | instid1(VALU_DEP_4)
	v_mov_b32_dpp v17, v6 row_shr:2 row_mask:0xf bank_mask:0xf
	v_mov_b32_dpp v18, v7 row_shr:2 row_mask:0xf bank_mask:0xf
	s_delay_alu instid0(VALU_DEP_3)
	v_mov_b32_dpp v16, v15 row_shr:2 row_mask:0xf bank_mask:0xf
	s_mov_b32 s14, exec_lo
	v_cmpx_lt_u32_e32 1, v14
	s_cbranch_execz .LBB389_161
; %bb.160:
	v_cmp_eq_u16_e64 s11, 0, v13
	v_and_b32_e32 v13, 1, v13
	s_delay_alu instid0(VALU_DEP_2) | instskip(SKIP_1) | instid1(VALU_DEP_3)
	v_dual_cndmask_b32 v19, 0, v18, s11 :: v_dual_bitop2_b32 v15, 1, v16 bitop3:0x40
	v_cndmask_b32_e64 v18, 1, v17, s11
	v_cmp_eq_u32_e64 s11, 1, v13
	s_delay_alu instid0(VALU_DEP_3) | instskip(NEXT) | instid1(VALU_DEP_3)
	v_cmp_eq_u32_e64 s12, 1, v15
	v_mul_u64_e32 v[6:7], v[18:19], v[6:7]
	s_or_b32 s11, s11, s12
	s_delay_alu instid0(SALU_CYCLE_1) | instskip(SKIP_1) | instid1(VALU_DEP_2)
	v_cndmask_b32_e64 v15, 0, 1, s11
	v_cndmask_b32_e64 v13, 0, 1, s11
	v_or_b32_e32 v15, v11, v15
.LBB389_161:
	s_or_b32 exec_lo, exec_lo, s14
	s_delay_alu instid0(VALU_DEP_4) | instskip(SKIP_1) | instid1(VALU_DEP_3)
	v_mov_b32_dpp v17, v6 row_shr:4 row_mask:0xf bank_mask:0xf
	v_mov_b32_dpp v18, v7 row_shr:4 row_mask:0xf bank_mask:0xf
	;; [unrolled: 1-line block ×3, first 2 shown]
	s_mov_b32 s14, exec_lo
	v_cmpx_lt_u32_e32 3, v14
	s_cbranch_execz .LBB389_163
; %bb.162:
	v_cmp_eq_u16_e64 s11, 0, v13
	v_and_b32_e32 v13, 1, v13
	s_delay_alu instid0(VALU_DEP_2) | instskip(SKIP_1) | instid1(VALU_DEP_3)
	v_dual_cndmask_b32 v19, 0, v18, s11 :: v_dual_bitop2_b32 v15, 1, v16 bitop3:0x40
	v_cndmask_b32_e64 v18, 1, v17, s11
	v_cmp_eq_u32_e64 s11, 1, v13
	s_delay_alu instid0(VALU_DEP_3) | instskip(NEXT) | instid1(VALU_DEP_3)
	v_cmp_eq_u32_e64 s12, 1, v15
	v_mul_u64_e32 v[6:7], v[18:19], v[6:7]
	s_or_b32 s11, s11, s12
	s_delay_alu instid0(SALU_CYCLE_1) | instskip(SKIP_1) | instid1(VALU_DEP_2)
	v_cndmask_b32_e64 v15, 0, 1, s11
	v_cndmask_b32_e64 v13, 0, 1, s11
	v_or_b32_e32 v15, v11, v15
.LBB389_163:
	s_or_b32 exec_lo, exec_lo, s14
	s_delay_alu instid0(VALU_DEP_4) | instskip(SKIP_1) | instid1(VALU_DEP_3)
	v_mov_b32_dpp v17, v6 row_shr:8 row_mask:0xf bank_mask:0xf
	v_mov_b32_dpp v18, v7 row_shr:8 row_mask:0xf bank_mask:0xf
	;; [unrolled: 1-line block ×3, first 2 shown]
	s_mov_b32 s14, exec_lo
	v_cmpx_lt_u32_e32 7, v14
	s_cbranch_execz .LBB389_165
; %bb.164:
	v_cmp_eq_u16_e64 s11, 0, v13
	s_delay_alu instid0(VALU_DEP_1) | instskip(SKIP_1) | instid1(VALU_DEP_2)
	v_dual_cndmask_b32 v15, 0, v18, s11 :: v_dual_bitop2_b32 v13, 1, v13 bitop3:0x40
	v_cndmask_b32_e64 v14, 1, v17, s11
	v_cmp_eq_u32_e64 s11, 1, v13
	s_delay_alu instid0(VALU_DEP_2) | instskip(SKIP_1) | instid1(VALU_DEP_1)
	v_mul_u64_e32 v[6:7], v[14:15], v[6:7]
	v_and_b32_e32 v14, 1, v16
	v_cmp_eq_u32_e64 s12, 1, v14
	s_or_b32 s11, s11, s12
	s_delay_alu instid0(SALU_CYCLE_1) | instskip(SKIP_1) | instid1(VALU_DEP_2)
	v_cndmask_b32_e64 v14, 0, 1, s11
	v_cndmask_b32_e64 v13, 0, 1, s11
	v_or_b32_e32 v15, v11, v14
.LBB389_165:
	s_or_b32 exec_lo, exec_lo, s14
	ds_swizzle_b32 v16, v6 offset:swizzle(BROADCAST,32,15)
	ds_swizzle_b32 v17, v7 offset:swizzle(BROADCAST,32,15)
	;; [unrolled: 1-line block ×3, first 2 shown]
	v_and_b32_e32 v15, 16, v12
	s_mov_b32 s14, exec_lo
	s_delay_alu instid0(VALU_DEP_1)
	v_cmpx_ne_u32_e32 0, v15
	s_cbranch_execz .LBB389_167
; %bb.166:
	v_cmp_eq_u16_e64 s11, 0, v13
	v_and_b32_e32 v13, 1, v13
	s_wait_dscnt 0x0
	s_delay_alu instid0(VALU_DEP_2) | instskip(SKIP_1) | instid1(VALU_DEP_3)
	v_dual_cndmask_b32 v17, 0, v17, s11 :: v_dual_bitop2_b32 v14, 1, v14 bitop3:0x40
	v_cndmask_b32_e64 v16, 1, v16, s11
	v_cmp_eq_u32_e64 s11, 1, v13
	s_delay_alu instid0(VALU_DEP_3) | instskip(NEXT) | instid1(VALU_DEP_3)
	v_cmp_eq_u32_e64 s12, 1, v14
	v_mul_u64_e32 v[6:7], v[16:17], v[6:7]
	s_or_b32 s11, s11, s12
	s_delay_alu instid0(SALU_CYCLE_1)
	v_cndmask_b32_e64 v13, 0, 1, s11
.LBB389_167:
	s_or_b32 exec_lo, exec_lo, s14
	s_wait_dscnt 0x0
	v_add_nc_u32_e32 v14, -1, v12
	s_delay_alu instid0(VALU_DEP_2) | instskip(NEXT) | instid1(VALU_DEP_2)
	v_and_b32_e32 v13, 0xffff, v13
	; wave barrier
	v_cmp_gt_i32_e64 s11, 0, v14
	s_delay_alu instid0(VALU_DEP_1) | instskip(SKIP_1) | instid1(VALU_DEP_2)
	v_dual_cndmask_b32 v12, v14, v12, s11 :: v_dual_bitop2_b32 v11, v11, v13 bitop3:0x54
	v_and_b32_e32 v14, 0xff, v10
	v_lshlrev_b32_e32 v12, 2, v12
	s_delay_alu instid0(VALU_DEP_2)
	v_cmp_eq_u32_e64 s11, 0, v14
	ds_bpermute_b32 v7, v12, v7
	ds_bpermute_b32 v6, v12, v6
	s_wait_dscnt 0x0
	v_dual_cndmask_b32 v7, 0, v7, s11 :: v_dual_cndmask_b32 v6, 1, v6, s11
	v_cmp_eq_u32_e64 s11, 0, v0
	s_delay_alu instid0(VALU_DEP_2) | instskip(SKIP_3) | instid1(VALU_DEP_1)
	v_mul_u64_e32 v[4:5], v[6:7], v[4:5]
	ds_bpermute_b32 v6, v12, v11
	s_wait_dscnt 0x0
	v_dual_cndmask_b32 v7, v5, v3, s11 :: v_dual_bitop2_b32 v6, v6, v10 bitop3:0x54
	v_and_b32_e32 v6, 1, v6
	s_delay_alu instid0(VALU_DEP_1)
	v_dual_cndmask_b32 v9, v6, v9, s11 :: v_dual_cndmask_b32 v6, v4, v2, s11
	ds_store_b64 v8, v[6:7]
	ds_store_b8 v8, v9 offset:8
	; wave barrier
	ds_load_u8 v20, v8 offset:24
	ds_load_2addr_b64 v[2:5], v8 offset0:2 offset1:4
	ds_load_u8 v21, v8 offset:40
	ds_load_u8 v22, v8 offset:56
	;; [unrolled: 1-line block ×5, first 2 shown]
	ds_load_b64 v[10:11], v8 offset:112
	ds_load_u8 v26, v8 offset:120
	s_wait_dscnt 0x8
	v_and_b32_e32 v12, 0xff, v20
	s_wait_dscnt 0x5
	v_and_b32_e32 v14, 0xff, v22
	s_delay_alu instid0(VALU_DEP_2) | instskip(SKIP_2) | instid1(VALU_DEP_2)
	v_cmp_eq_u16_e64 s11, 0, v12
	s_wait_dscnt 0x3
	v_and_b32_e32 v18, 0xff, v24
	v_dual_cndmask_b32 v7, 0, v7, s11 :: v_dual_cndmask_b32 v6, 1, v6, s11
	s_delay_alu instid0(VALU_DEP_1) | instskip(SKIP_1) | instid1(VALU_DEP_1)
	v_mul_u64_e32 v[6:7], v[6:7], v[2:3]
	v_and_b32_e32 v2, 0xff, v21
	v_cmp_eq_u16_e64 s11, 0, v2
	s_delay_alu instid0(VALU_DEP_1) | instskip(SKIP_1) | instid1(VALU_DEP_2)
	v_dual_cndmask_b32 v3, 0, v7, s11 :: v_dual_cndmask_b32 v2, 1, v6, s11
	v_cmp_eq_u16_e64 s11, 0, v14
	v_mul_u64_e32 v[12:13], v[2:3], v[4:5]
	ds_load_2addr_b64 v[2:5], v8 offset0:6 offset1:8
	v_dual_cndmask_b32 v15, 0, v13, s11 :: v_dual_cndmask_b32 v14, 1, v12, s11
	s_wait_dscnt 0x0
	s_delay_alu instid0(VALU_DEP_1) | instskip(SKIP_1) | instid1(VALU_DEP_1)
	v_mul_u64_e32 v[14:15], v[14:15], v[2:3]
	v_and_b32_e32 v2, 0xff, v23
	v_cmp_eq_u16_e64 s11, 0, v2
	s_delay_alu instid0(VALU_DEP_1) | instskip(SKIP_1) | instid1(VALU_DEP_2)
	v_dual_cndmask_b32 v3, 0, v15, s11 :: v_dual_cndmask_b32 v2, 1, v14, s11
	v_cmp_eq_u16_e64 s11, 0, v18
	v_mul_u64_e32 v[16:17], v[2:3], v[4:5]
	ds_load_2addr_b64 v[2:5], v8 offset0:10 offset1:12
	v_dual_cndmask_b32 v19, 0, v17, s11 :: v_dual_cndmask_b32 v18, 1, v16, s11
	s_wait_dscnt 0x0
	s_delay_alu instid0(VALU_DEP_1) | instskip(SKIP_1) | instid1(VALU_DEP_1)
	v_mul_u64_e32 v[2:3], v[18:19], v[2:3]
	v_and_b32_e32 v18, 0xff, v25
	v_cmp_eq_u16_e64 s11, 0, v18
	s_delay_alu instid0(VALU_DEP_1) | instskip(SKIP_1) | instid1(VALU_DEP_2)
	v_dual_cndmask_b32 v19, 0, v3, s11 :: v_dual_cndmask_b32 v18, 1, v2, s11
	v_cmp_eq_u16_e64 s11, 0, v26
	v_mul_u64_e32 v[4:5], v[18:19], v[4:5]
	s_delay_alu instid0(VALU_DEP_1) | instskip(NEXT) | instid1(VALU_DEP_1)
	v_dual_cndmask_b32 v19, 0, v5, s11 :: v_dual_cndmask_b32 v18, 1, v4, s11
	v_mul_u64_e32 v[10:11], v[18:19], v[10:11]
	v_or_b32_e32 v18, v20, v9
	v_bitop3_b16 v19, v21, v20, v9 bitop3:0xfe
	v_bitop3_b16 v9, v20, 1, v9 bitop3:0xc8
	s_delay_alu instid0(VALU_DEP_3) | instskip(NEXT) | instid1(VALU_DEP_3)
	v_bitop3_b16 v27, v22, v21, v18 bitop3:0xfe
	v_bitop3_b16 v44, v23, v22, v19 bitop3:0xfe
	;; [unrolled: 1-line block ×4, first 2 shown]
	s_delay_alu instid0(VALU_DEP_4) | instskip(NEXT) | instid1(VALU_DEP_4)
	v_bitop3_b16 v20, v24, v23, v27 bitop3:0xfe
	v_bitop3_b16 v21, v25, v24, v44 bitop3:0xfe
	;; [unrolled: 1-line block ×4, first 2 shown]
	s_delay_alu instid0(VALU_DEP_4) | instskip(NEXT) | instid1(VALU_DEP_4)
	v_bitop3_b16 v20, v25, 1, v20 bitop3:0xc8
	v_bitop3_b16 v21, v26, 1, v21 bitop3:0xc8
	ds_store_2addr_b64 v8, v[6:7], v[12:13] offset0:2 offset1:4
	ds_store_2addr_b64 v8, v[14:15], v[16:17] offset0:6 offset1:8
	ds_store_2addr_b64 v8, v[2:3], v[4:5] offset0:10 offset1:12
	ds_store_b8 v8, v9 offset:24
	ds_store_b8 v8, v18 offset:40
	;; [unrolled: 1-line block ×6, first 2 shown]
	ds_store_b64 v8, v[10:11] offset:112
	ds_store_b8 v8, v21 offset:120
.LBB389_168:
	s_or_b32 exec_lo, exec_lo, s13
	v_mov_b64_e32 v[2:3], v[28:29]
	v_cmp_eq_u32_e64 s11, 0, v0
	s_mov_b32 s13, exec_lo
	s_wait_dscnt 0x0
	s_barrier_signal -1
	s_barrier_wait -1
	v_cmpx_ne_u32_e32 0, v0
	s_cbranch_execz .LBB389_170
; %bb.169:
	v_add_nc_u32_e32 v2, -1, v0
	s_delay_alu instid0(VALU_DEP_1) | instskip(NEXT) | instid1(VALU_DEP_1)
	v_lshrrev_b32_e32 v3, 1, v2
	v_and_b32_e32 v3, 0x7ffffff0, v3
	s_delay_alu instid0(VALU_DEP_1) | instskip(SKIP_4) | instid1(VALU_DEP_1)
	v_lshl_add_u32 v2, v2, 4, v3
	ds_load_u8 v4, v2 offset:8
	ds_load_b64 v[2:3], v2
	s_wait_dscnt 0x1
	v_cmp_eq_u16_e64 s12, 0, v4
	v_dual_cndmask_b32 v5, 0, v29, s12 :: v_dual_cndmask_b32 v4, 1, v28, s12
	s_wait_dscnt 0x0
	s_delay_alu instid0(VALU_DEP_1)
	v_mul_u64_e32 v[2:3], v[4:5], v[2:3]
.LBB389_170:
	s_or_b32 exec_lo, exec_lo, s13
	v_and_b32_e32 v1, 0xff, v1
	s_delay_alu instid0(VALU_DEP_1) | instskip(NEXT) | instid1(VALU_DEP_1)
	v_cmp_eq_u16_e64 s12, 0, v1
	v_dual_cndmask_b32 v5, 0, v3, s12 :: v_dual_cndmask_b32 v4, 1, v2, s12
	s_delay_alu instid0(VALU_DEP_1) | instskip(NEXT) | instid1(VALU_DEP_1)
	v_mul_u64_e32 v[4:5], v[4:5], v[58:59]
	v_dual_cndmask_b32 v7, 0, v5 :: v_dual_cndmask_b32 v6, 1, v4
	s_delay_alu instid0(VALU_DEP_1) | instskip(NEXT) | instid1(VALU_DEP_1)
	v_mul_u64_e32 v[10:11], v[6:7], v[32:33]
	v_dual_cndmask_b32 v7, 0, v11, s0 :: v_dual_cndmask_b32 v6, 1, v10, s0
	s_delay_alu instid0(VALU_DEP_1) | instskip(NEXT) | instid1(VALU_DEP_1)
	v_mul_u64_e32 v[12:13], v[6:7], v[54:55]
	v_dual_cndmask_b32 v7, 0, v13, s1 :: v_dual_cndmask_b32 v6, 1, v12, s1
	;; [unrolled: 3-line block ×11, first 2 shown]
	s_and_saveexec_b32 s0, s11
	s_cbranch_execz .LBB389_172
; %bb.171:
	v_mov_b32_e32 v1, 0
	ds_load_u8 v34, v1 offset:4200
	ds_load_b64 v[32:33], v1 offset:4192
	s_wait_dscnt 0x1
	v_and_b32_e32 v35, 0xffff, v34
	s_delay_alu instid0(VALU_DEP_1) | instskip(SKIP_2) | instid1(VALU_DEP_1)
	v_cmp_eq_u32_e32 vcc_lo, 0, v35
	v_dual_cndmask_b32 v29, 0, v29 :: v_dual_cndmask_b32 v28, 1, v28
	s_wait_dscnt 0x0
	v_mul_u64_e32 v[28:29], v[28:29], v[32:33]
	v_mov_b32_e32 v32, 2
	s_clause 0x1
	global_store_b64 v1, v[28:29], s[26:27] offset:512
	global_store_b8 v1, v34, s[26:27] offset:520
	global_wb scope:SCOPE_DEV
	s_wait_storecnt 0x0
	global_inv scope:SCOPE_DEV
	s_wait_xcnt 0x0
	global_store_b8 v1, v32, s[28:29] offset:32 scope:SCOPE_DEV
.LBB389_172:
	s_wait_xcnt 0x0
	s_or_b32 exec_lo, exec_lo, s0
.LBB389_173:
	s_delay_alu instid0(VALU_DEP_1)
	v_mul_u64_e32 v[28:29], v[60:61], v[30:31]
	s_add_nc_u64 s[0:1], s[22:23], s[34:35]
	s_and_b32 vcc_lo, exec_lo, s31
	s_add_nc_u64 s[0:1], s[0:1], s[36:37]
	s_cbranch_vccz .LBB389_221
; %bb.174:
	v_mul_u32_u24_e32 v1, 14, v0
	s_add_co_i32 s33, s33, s30
	s_mov_b32 s2, exec_lo
	s_delay_alu instid0(VALU_DEP_1)
	v_cmpx_gt_u32_e64 s33, v1
	s_cbranch_execz .LBB389_194
; %bb.175:
	v_or_b32_e32 v30, 1, v1
	s_mov_b32 s3, exec_lo
	s_delay_alu instid0(VALU_DEP_1)
	v_cmpx_gt_u32_e64 s33, v30
	s_cbranch_execz .LBB389_193
; %bb.176:
	v_add_nc_u32_e32 v30, 2, v1
	s_mov_b32 s4, exec_lo
	s_delay_alu instid0(VALU_DEP_1)
	v_cmpx_gt_u32_e64 s33, v30
	s_cbranch_execz .LBB389_192
; %bb.177:
	v_add_nc_u32_e32 v30, 3, v1
	;; [unrolled: 6-line block ×8, first 2 shown]
	s_mov_b32 s11, exec_lo
	s_delay_alu instid0(VALU_DEP_1)
	v_cmpx_gt_u32_e64 s33, v30
; %bb.184:
	v_add_nc_u32_e32 v30, 10, v1
	s_mov_b32 s12, exec_lo
	s_delay_alu instid0(VALU_DEP_1)
	v_cmpx_gt_u32_e64 s33, v30
	s_or_b32 exec_lo, exec_lo, s12
; %bb.185:
	s_delay_alu instid0(SALU_CYCLE_1)
	s_or_b32 exec_lo, exec_lo, s11
.LBB389_186:
	s_delay_alu instid0(SALU_CYCLE_1)
	s_or_b32 exec_lo, exec_lo, s10
.LBB389_187:
	s_delay_alu instid0(SALU_CYCLE_1)
	s_or_b32 exec_lo, exec_lo, s9
.LBB389_188:
	s_delay_alu instid0(SALU_CYCLE_1)
	s_or_b32 exec_lo, exec_lo, s8
.LBB389_189:
	s_delay_alu instid0(SALU_CYCLE_1)
	s_or_b32 exec_lo, exec_lo, s7
.LBB389_190:
	s_delay_alu instid0(SALU_CYCLE_1)
	s_or_b32 exec_lo, exec_lo, s6
.LBB389_191:
	s_delay_alu instid0(SALU_CYCLE_1)
	s_or_b32 exec_lo, exec_lo, s5
.LBB389_192:
	s_delay_alu instid0(SALU_CYCLE_1)
	s_or_b32 exec_lo, exec_lo, s4
.LBB389_193:
	s_delay_alu instid0(SALU_CYCLE_1)
	s_or_b32 exec_lo, exec_lo, s3
.LBB389_194:
	s_delay_alu instid0(SALU_CYCLE_1)
	s_or_b32 exec_lo, exec_lo, s2
	v_dual_lshlrev_b32 v1, 3, v1 :: v_dual_mov_b32 v57, 0
	s_wait_loadcnt 0x0
	s_wait_storecnt 0x0
	s_barrier_signal -1
	s_barrier_wait -1
	v_mad_i32_i24 v30, 0xffffff98, v0, v1
	ds_store_b128 v1, v[2:5]
	ds_store_b128 v1, v[10:13] offset:16
	ds_store_b128 v1, v[6:9] offset:32
	;; [unrolled: 1-line block ×6, first 2 shown]
	s_wait_dscnt 0x0
	s_barrier_signal -1
	s_barrier_wait -1
	ds_load_2addr_stride64_b64 v[52:55], v30 offset0:4 offset1:8
	ds_load_2addr_stride64_b64 v[48:51], v30 offset0:12 offset1:16
	ds_load_2addr_stride64_b64 v[44:47], v30 offset0:20 offset1:24
	ds_load_2addr_stride64_b64 v[40:43], v30 offset0:28 offset1:32
	ds_load_2addr_stride64_b64 v[36:39], v30 offset0:36 offset1:40
	ds_load_2addr_stride64_b64 v[32:35], v30 offset0:44 offset1:48
	ds_load_b64 v[30:31], v30 offset:26624
	v_add_nc_u64_e32 v[56:57], s[0:1], v[56:57]
	s_mov_b32 s2, exec_lo
	v_cmpx_gt_u32_e64 s33, v0
	s_cbranch_execz .LBB389_196
; %bb.195:
	v_mul_i32_i24_e32 v58, 0xffffff98, v0
	s_delay_alu instid0(VALU_DEP_1)
	v_add_nc_u32_e32 v1, v1, v58
	ds_load_b64 v[58:59], v1
	s_wait_dscnt 0x0
	flat_store_b64 v[56:57], v[58:59]
.LBB389_196:
	s_wait_xcnt 0x0
	s_or_b32 exec_lo, exec_lo, s2
	v_or_b32_e32 v1, 0x100, v0
	s_mov_b32 s2, exec_lo
	s_delay_alu instid0(VALU_DEP_1)
	v_cmpx_gt_u32_e64 s33, v1
	s_cbranch_execz .LBB389_198
; %bb.197:
	s_wait_dscnt 0x6
	flat_store_b64 v[56:57], v[52:53] offset:2048
.LBB389_198:
	s_wait_xcnt 0x0
	s_or_b32 exec_lo, exec_lo, s2
	v_or_b32_e32 v1, 0x200, v0
	s_mov_b32 s2, exec_lo
	s_delay_alu instid0(VALU_DEP_1)
	v_cmpx_gt_u32_e64 s33, v1
	s_cbranch_execz .LBB389_200
; %bb.199:
	s_wait_dscnt 0x6
	flat_store_b64 v[56:57], v[54:55] offset:4096
.LBB389_200:
	;; [unrolled: 11-line block ×12, first 2 shown]
	s_wait_xcnt 0x0
	s_or_b32 exec_lo, exec_lo, s2
	v_or_b32_e32 v1, 0xd00, v0
	s_delay_alu instid0(VALU_DEP_1)
	v_cmp_gt_u32_e64 s2, s33, v1
	s_branch .LBB389_223
.LBB389_221:
	s_mov_b32 s2, 0
                                        ; implicit-def: $vgpr30_vgpr31
	s_cbranch_execz .LBB389_223
; %bb.222:
	v_mul_u32_u24_e32 v1, 0x70, v0
	s_wait_storecnt 0x0
	s_wait_loadcnt_dscnt 0x0
	s_barrier_signal -1
	s_barrier_wait -1
	ds_store_b128 v1, v[2:5]
	ds_store_b128 v1, v[10:13] offset:16
	v_mul_i32_i24_e32 v2, 0xffffff98, v0
	ds_store_b128 v1, v[6:9] offset:32
	ds_store_b128 v1, v[14:17] offset:48
	ds_store_b128 v1, v[18:21] offset:64
	ds_store_b128 v1, v[22:25] offset:80
	ds_store_b128 v1, v[26:29] offset:96
	s_wait_dscnt 0x0
	s_barrier_signal -1
	s_barrier_wait -1
	v_mad_u32_u24 v1, 0x70, v0, v2
	s_or_b32 s2, s2, exec_lo
	ds_load_2addr_stride64_b64 v[2:5], v1 offset1:4
	ds_load_2addr_stride64_b64 v[6:9], v1 offset0:8 offset1:12
	ds_load_2addr_stride64_b64 v[10:13], v1 offset0:16 offset1:20
	;; [unrolled: 1-line block ×6, first 2 shown]
	s_wait_dscnt 0x6
	s_clause 0x1
	flat_store_b64 v0, v[2:3], s[0:1] scale_offset
	flat_store_b64 v0, v[4:5], s[0:1] offset:2048 scale_offset
	s_wait_dscnt 0x7
	s_clause 0x1
	flat_store_b64 v0, v[6:7], s[0:1] offset:4096 scale_offset
	flat_store_b64 v0, v[8:9], s[0:1] offset:6144 scale_offset
	s_wait_dscnt 0x8
	s_clause 0x1
	flat_store_b64 v0, v[10:11], s[0:1] offset:8192 scale_offset
	;; [unrolled: 4-line block ×5, first 2 shown]
	flat_store_b64 v0, v[24:25], s[0:1] offset:22528 scale_offset
	s_wait_dscnt 0xc
	flat_store_b64 v0, v[28:29], s[0:1] offset:24576 scale_offset
.LBB389_223:
	s_wait_xcnt 0x0
	s_delay_alu instid0(VALU_DEP_1)
	s_and_saveexec_b32 s3, s2
	s_cbranch_execz .LBB389_225
; %bb.224:
	s_wait_dscnt 0x0
	flat_store_b64 v0, v[30:31], s[0:1] offset:26624 scale_offset
	s_sendmsg sendmsg(MSG_DEALLOC_VGPRS)
	s_endpgm
.LBB389_225:
	s_sendmsg sendmsg(MSG_DEALLOC_VGPRS)
	s_endpgm
	.section	.rodata,"a",@progbits
	.p2align	6, 0x0
	.amdhsa_kernel _ZN7rocprim17ROCPRIM_400000_NS6detail17trampoline_kernelINS0_14default_configENS1_27scan_by_key_config_selectorIxxEEZZNS1_16scan_by_key_implILNS1_25lookback_scan_determinismE0ELb1ES3_N6thrust23THRUST_200600_302600_NS6detail15normal_iteratorINS9_10device_ptrIxEEEESE_SE_xNS9_10multipliesIxEENS9_8equal_toIxEExEE10hipError_tPvRmT2_T3_T4_T5_mT6_T7_P12ihipStream_tbENKUlT_T0_E_clISt17integral_constantIbLb0EESZ_EEDaSU_SV_EUlSU_E_NS1_11comp_targetILNS1_3genE0ELNS1_11target_archE4294967295ELNS1_3gpuE0ELNS1_3repE0EEENS1_30default_config_static_selectorELNS0_4arch9wavefront6targetE0EEEvT1_
		.amdhsa_group_segment_fixed_size 32768
		.amdhsa_private_segment_fixed_size 0
		.amdhsa_kernarg_size 136
		.amdhsa_user_sgpr_count 2
		.amdhsa_user_sgpr_dispatch_ptr 0
		.amdhsa_user_sgpr_queue_ptr 0
		.amdhsa_user_sgpr_kernarg_segment_ptr 1
		.amdhsa_user_sgpr_dispatch_id 0
		.amdhsa_user_sgpr_kernarg_preload_length 0
		.amdhsa_user_sgpr_kernarg_preload_offset 0
		.amdhsa_user_sgpr_private_segment_size 0
		.amdhsa_wavefront_size32 1
		.amdhsa_uses_dynamic_stack 0
		.amdhsa_enable_private_segment 0
		.amdhsa_system_sgpr_workgroup_id_x 1
		.amdhsa_system_sgpr_workgroup_id_y 0
		.amdhsa_system_sgpr_workgroup_id_z 0
		.amdhsa_system_sgpr_workgroup_info 0
		.amdhsa_system_vgpr_workitem_id 0
		.amdhsa_next_free_vgpr 113
		.amdhsa_next_free_sgpr 57
		.amdhsa_named_barrier_count 0
		.amdhsa_reserve_vcc 1
		.amdhsa_float_round_mode_32 0
		.amdhsa_float_round_mode_16_64 0
		.amdhsa_float_denorm_mode_32 3
		.amdhsa_float_denorm_mode_16_64 3
		.amdhsa_fp16_overflow 0
		.amdhsa_memory_ordered 1
		.amdhsa_forward_progress 1
		.amdhsa_inst_pref_size 126
		.amdhsa_round_robin_scheduling 0
		.amdhsa_exception_fp_ieee_invalid_op 0
		.amdhsa_exception_fp_denorm_src 0
		.amdhsa_exception_fp_ieee_div_zero 0
		.amdhsa_exception_fp_ieee_overflow 0
		.amdhsa_exception_fp_ieee_underflow 0
		.amdhsa_exception_fp_ieee_inexact 0
		.amdhsa_exception_int_div_zero 0
	.end_amdhsa_kernel
	.section	.text._ZN7rocprim17ROCPRIM_400000_NS6detail17trampoline_kernelINS0_14default_configENS1_27scan_by_key_config_selectorIxxEEZZNS1_16scan_by_key_implILNS1_25lookback_scan_determinismE0ELb1ES3_N6thrust23THRUST_200600_302600_NS6detail15normal_iteratorINS9_10device_ptrIxEEEESE_SE_xNS9_10multipliesIxEENS9_8equal_toIxEExEE10hipError_tPvRmT2_T3_T4_T5_mT6_T7_P12ihipStream_tbENKUlT_T0_E_clISt17integral_constantIbLb0EESZ_EEDaSU_SV_EUlSU_E_NS1_11comp_targetILNS1_3genE0ELNS1_11target_archE4294967295ELNS1_3gpuE0ELNS1_3repE0EEENS1_30default_config_static_selectorELNS0_4arch9wavefront6targetE0EEEvT1_,"axG",@progbits,_ZN7rocprim17ROCPRIM_400000_NS6detail17trampoline_kernelINS0_14default_configENS1_27scan_by_key_config_selectorIxxEEZZNS1_16scan_by_key_implILNS1_25lookback_scan_determinismE0ELb1ES3_N6thrust23THRUST_200600_302600_NS6detail15normal_iteratorINS9_10device_ptrIxEEEESE_SE_xNS9_10multipliesIxEENS9_8equal_toIxEExEE10hipError_tPvRmT2_T3_T4_T5_mT6_T7_P12ihipStream_tbENKUlT_T0_E_clISt17integral_constantIbLb0EESZ_EEDaSU_SV_EUlSU_E_NS1_11comp_targetILNS1_3genE0ELNS1_11target_archE4294967295ELNS1_3gpuE0ELNS1_3repE0EEENS1_30default_config_static_selectorELNS0_4arch9wavefront6targetE0EEEvT1_,comdat
.Lfunc_end389:
	.size	_ZN7rocprim17ROCPRIM_400000_NS6detail17trampoline_kernelINS0_14default_configENS1_27scan_by_key_config_selectorIxxEEZZNS1_16scan_by_key_implILNS1_25lookback_scan_determinismE0ELb1ES3_N6thrust23THRUST_200600_302600_NS6detail15normal_iteratorINS9_10device_ptrIxEEEESE_SE_xNS9_10multipliesIxEENS9_8equal_toIxEExEE10hipError_tPvRmT2_T3_T4_T5_mT6_T7_P12ihipStream_tbENKUlT_T0_E_clISt17integral_constantIbLb0EESZ_EEDaSU_SV_EUlSU_E_NS1_11comp_targetILNS1_3genE0ELNS1_11target_archE4294967295ELNS1_3gpuE0ELNS1_3repE0EEENS1_30default_config_static_selectorELNS0_4arch9wavefront6targetE0EEEvT1_, .Lfunc_end389-_ZN7rocprim17ROCPRIM_400000_NS6detail17trampoline_kernelINS0_14default_configENS1_27scan_by_key_config_selectorIxxEEZZNS1_16scan_by_key_implILNS1_25lookback_scan_determinismE0ELb1ES3_N6thrust23THRUST_200600_302600_NS6detail15normal_iteratorINS9_10device_ptrIxEEEESE_SE_xNS9_10multipliesIxEENS9_8equal_toIxEExEE10hipError_tPvRmT2_T3_T4_T5_mT6_T7_P12ihipStream_tbENKUlT_T0_E_clISt17integral_constantIbLb0EESZ_EEDaSU_SV_EUlSU_E_NS1_11comp_targetILNS1_3genE0ELNS1_11target_archE4294967295ELNS1_3gpuE0ELNS1_3repE0EEENS1_30default_config_static_selectorELNS0_4arch9wavefront6targetE0EEEvT1_
                                        ; -- End function
	.set _ZN7rocprim17ROCPRIM_400000_NS6detail17trampoline_kernelINS0_14default_configENS1_27scan_by_key_config_selectorIxxEEZZNS1_16scan_by_key_implILNS1_25lookback_scan_determinismE0ELb1ES3_N6thrust23THRUST_200600_302600_NS6detail15normal_iteratorINS9_10device_ptrIxEEEESE_SE_xNS9_10multipliesIxEENS9_8equal_toIxEExEE10hipError_tPvRmT2_T3_T4_T5_mT6_T7_P12ihipStream_tbENKUlT_T0_E_clISt17integral_constantIbLb0EESZ_EEDaSU_SV_EUlSU_E_NS1_11comp_targetILNS1_3genE0ELNS1_11target_archE4294967295ELNS1_3gpuE0ELNS1_3repE0EEENS1_30default_config_static_selectorELNS0_4arch9wavefront6targetE0EEEvT1_.num_vgpr, 113
	.set _ZN7rocprim17ROCPRIM_400000_NS6detail17trampoline_kernelINS0_14default_configENS1_27scan_by_key_config_selectorIxxEEZZNS1_16scan_by_key_implILNS1_25lookback_scan_determinismE0ELb1ES3_N6thrust23THRUST_200600_302600_NS6detail15normal_iteratorINS9_10device_ptrIxEEEESE_SE_xNS9_10multipliesIxEENS9_8equal_toIxEExEE10hipError_tPvRmT2_T3_T4_T5_mT6_T7_P12ihipStream_tbENKUlT_T0_E_clISt17integral_constantIbLb0EESZ_EEDaSU_SV_EUlSU_E_NS1_11comp_targetILNS1_3genE0ELNS1_11target_archE4294967295ELNS1_3gpuE0ELNS1_3repE0EEENS1_30default_config_static_selectorELNS0_4arch9wavefront6targetE0EEEvT1_.num_agpr, 0
	.set _ZN7rocprim17ROCPRIM_400000_NS6detail17trampoline_kernelINS0_14default_configENS1_27scan_by_key_config_selectorIxxEEZZNS1_16scan_by_key_implILNS1_25lookback_scan_determinismE0ELb1ES3_N6thrust23THRUST_200600_302600_NS6detail15normal_iteratorINS9_10device_ptrIxEEEESE_SE_xNS9_10multipliesIxEENS9_8equal_toIxEExEE10hipError_tPvRmT2_T3_T4_T5_mT6_T7_P12ihipStream_tbENKUlT_T0_E_clISt17integral_constantIbLb0EESZ_EEDaSU_SV_EUlSU_E_NS1_11comp_targetILNS1_3genE0ELNS1_11target_archE4294967295ELNS1_3gpuE0ELNS1_3repE0EEENS1_30default_config_static_selectorELNS0_4arch9wavefront6targetE0EEEvT1_.numbered_sgpr, 57
	.set _ZN7rocprim17ROCPRIM_400000_NS6detail17trampoline_kernelINS0_14default_configENS1_27scan_by_key_config_selectorIxxEEZZNS1_16scan_by_key_implILNS1_25lookback_scan_determinismE0ELb1ES3_N6thrust23THRUST_200600_302600_NS6detail15normal_iteratorINS9_10device_ptrIxEEEESE_SE_xNS9_10multipliesIxEENS9_8equal_toIxEExEE10hipError_tPvRmT2_T3_T4_T5_mT6_T7_P12ihipStream_tbENKUlT_T0_E_clISt17integral_constantIbLb0EESZ_EEDaSU_SV_EUlSU_E_NS1_11comp_targetILNS1_3genE0ELNS1_11target_archE4294967295ELNS1_3gpuE0ELNS1_3repE0EEENS1_30default_config_static_selectorELNS0_4arch9wavefront6targetE0EEEvT1_.num_named_barrier, 0
	.set _ZN7rocprim17ROCPRIM_400000_NS6detail17trampoline_kernelINS0_14default_configENS1_27scan_by_key_config_selectorIxxEEZZNS1_16scan_by_key_implILNS1_25lookback_scan_determinismE0ELb1ES3_N6thrust23THRUST_200600_302600_NS6detail15normal_iteratorINS9_10device_ptrIxEEEESE_SE_xNS9_10multipliesIxEENS9_8equal_toIxEExEE10hipError_tPvRmT2_T3_T4_T5_mT6_T7_P12ihipStream_tbENKUlT_T0_E_clISt17integral_constantIbLb0EESZ_EEDaSU_SV_EUlSU_E_NS1_11comp_targetILNS1_3genE0ELNS1_11target_archE4294967295ELNS1_3gpuE0ELNS1_3repE0EEENS1_30default_config_static_selectorELNS0_4arch9wavefront6targetE0EEEvT1_.private_seg_size, 0
	.set _ZN7rocprim17ROCPRIM_400000_NS6detail17trampoline_kernelINS0_14default_configENS1_27scan_by_key_config_selectorIxxEEZZNS1_16scan_by_key_implILNS1_25lookback_scan_determinismE0ELb1ES3_N6thrust23THRUST_200600_302600_NS6detail15normal_iteratorINS9_10device_ptrIxEEEESE_SE_xNS9_10multipliesIxEENS9_8equal_toIxEExEE10hipError_tPvRmT2_T3_T4_T5_mT6_T7_P12ihipStream_tbENKUlT_T0_E_clISt17integral_constantIbLb0EESZ_EEDaSU_SV_EUlSU_E_NS1_11comp_targetILNS1_3genE0ELNS1_11target_archE4294967295ELNS1_3gpuE0ELNS1_3repE0EEENS1_30default_config_static_selectorELNS0_4arch9wavefront6targetE0EEEvT1_.uses_vcc, 1
	.set _ZN7rocprim17ROCPRIM_400000_NS6detail17trampoline_kernelINS0_14default_configENS1_27scan_by_key_config_selectorIxxEEZZNS1_16scan_by_key_implILNS1_25lookback_scan_determinismE0ELb1ES3_N6thrust23THRUST_200600_302600_NS6detail15normal_iteratorINS9_10device_ptrIxEEEESE_SE_xNS9_10multipliesIxEENS9_8equal_toIxEExEE10hipError_tPvRmT2_T3_T4_T5_mT6_T7_P12ihipStream_tbENKUlT_T0_E_clISt17integral_constantIbLb0EESZ_EEDaSU_SV_EUlSU_E_NS1_11comp_targetILNS1_3genE0ELNS1_11target_archE4294967295ELNS1_3gpuE0ELNS1_3repE0EEENS1_30default_config_static_selectorELNS0_4arch9wavefront6targetE0EEEvT1_.uses_flat_scratch, 1
	.set _ZN7rocprim17ROCPRIM_400000_NS6detail17trampoline_kernelINS0_14default_configENS1_27scan_by_key_config_selectorIxxEEZZNS1_16scan_by_key_implILNS1_25lookback_scan_determinismE0ELb1ES3_N6thrust23THRUST_200600_302600_NS6detail15normal_iteratorINS9_10device_ptrIxEEEESE_SE_xNS9_10multipliesIxEENS9_8equal_toIxEExEE10hipError_tPvRmT2_T3_T4_T5_mT6_T7_P12ihipStream_tbENKUlT_T0_E_clISt17integral_constantIbLb0EESZ_EEDaSU_SV_EUlSU_E_NS1_11comp_targetILNS1_3genE0ELNS1_11target_archE4294967295ELNS1_3gpuE0ELNS1_3repE0EEENS1_30default_config_static_selectorELNS0_4arch9wavefront6targetE0EEEvT1_.has_dyn_sized_stack, 0
	.set _ZN7rocprim17ROCPRIM_400000_NS6detail17trampoline_kernelINS0_14default_configENS1_27scan_by_key_config_selectorIxxEEZZNS1_16scan_by_key_implILNS1_25lookback_scan_determinismE0ELb1ES3_N6thrust23THRUST_200600_302600_NS6detail15normal_iteratorINS9_10device_ptrIxEEEESE_SE_xNS9_10multipliesIxEENS9_8equal_toIxEExEE10hipError_tPvRmT2_T3_T4_T5_mT6_T7_P12ihipStream_tbENKUlT_T0_E_clISt17integral_constantIbLb0EESZ_EEDaSU_SV_EUlSU_E_NS1_11comp_targetILNS1_3genE0ELNS1_11target_archE4294967295ELNS1_3gpuE0ELNS1_3repE0EEENS1_30default_config_static_selectorELNS0_4arch9wavefront6targetE0EEEvT1_.has_recursion, 0
	.set _ZN7rocprim17ROCPRIM_400000_NS6detail17trampoline_kernelINS0_14default_configENS1_27scan_by_key_config_selectorIxxEEZZNS1_16scan_by_key_implILNS1_25lookback_scan_determinismE0ELb1ES3_N6thrust23THRUST_200600_302600_NS6detail15normal_iteratorINS9_10device_ptrIxEEEESE_SE_xNS9_10multipliesIxEENS9_8equal_toIxEExEE10hipError_tPvRmT2_T3_T4_T5_mT6_T7_P12ihipStream_tbENKUlT_T0_E_clISt17integral_constantIbLb0EESZ_EEDaSU_SV_EUlSU_E_NS1_11comp_targetILNS1_3genE0ELNS1_11target_archE4294967295ELNS1_3gpuE0ELNS1_3repE0EEENS1_30default_config_static_selectorELNS0_4arch9wavefront6targetE0EEEvT1_.has_indirect_call, 0
	.section	.AMDGPU.csdata,"",@progbits
; Kernel info:
; codeLenInByte = 16032
; TotalNumSgprs: 59
; NumVgprs: 113
; ScratchSize: 0
; MemoryBound: 0
; FloatMode: 240
; IeeeMode: 1
; LDSByteSize: 32768 bytes/workgroup (compile time only)
; SGPRBlocks: 0
; VGPRBlocks: 7
; NumSGPRsForWavesPerEU: 59
; NumVGPRsForWavesPerEU: 113
; NamedBarCnt: 0
; Occupancy: 8
; WaveLimiterHint : 1
; COMPUTE_PGM_RSRC2:SCRATCH_EN: 0
; COMPUTE_PGM_RSRC2:USER_SGPR: 2
; COMPUTE_PGM_RSRC2:TRAP_HANDLER: 0
; COMPUTE_PGM_RSRC2:TGID_X_EN: 1
; COMPUTE_PGM_RSRC2:TGID_Y_EN: 0
; COMPUTE_PGM_RSRC2:TGID_Z_EN: 0
; COMPUTE_PGM_RSRC2:TIDIG_COMP_CNT: 0
	.section	.text._ZN7rocprim17ROCPRIM_400000_NS6detail17trampoline_kernelINS0_14default_configENS1_27scan_by_key_config_selectorIxxEEZZNS1_16scan_by_key_implILNS1_25lookback_scan_determinismE0ELb1ES3_N6thrust23THRUST_200600_302600_NS6detail15normal_iteratorINS9_10device_ptrIxEEEESE_SE_xNS9_10multipliesIxEENS9_8equal_toIxEExEE10hipError_tPvRmT2_T3_T4_T5_mT6_T7_P12ihipStream_tbENKUlT_T0_E_clISt17integral_constantIbLb0EESZ_EEDaSU_SV_EUlSU_E_NS1_11comp_targetILNS1_3genE10ELNS1_11target_archE1201ELNS1_3gpuE5ELNS1_3repE0EEENS1_30default_config_static_selectorELNS0_4arch9wavefront6targetE0EEEvT1_,"axG",@progbits,_ZN7rocprim17ROCPRIM_400000_NS6detail17trampoline_kernelINS0_14default_configENS1_27scan_by_key_config_selectorIxxEEZZNS1_16scan_by_key_implILNS1_25lookback_scan_determinismE0ELb1ES3_N6thrust23THRUST_200600_302600_NS6detail15normal_iteratorINS9_10device_ptrIxEEEESE_SE_xNS9_10multipliesIxEENS9_8equal_toIxEExEE10hipError_tPvRmT2_T3_T4_T5_mT6_T7_P12ihipStream_tbENKUlT_T0_E_clISt17integral_constantIbLb0EESZ_EEDaSU_SV_EUlSU_E_NS1_11comp_targetILNS1_3genE10ELNS1_11target_archE1201ELNS1_3gpuE5ELNS1_3repE0EEENS1_30default_config_static_selectorELNS0_4arch9wavefront6targetE0EEEvT1_,comdat
	.protected	_ZN7rocprim17ROCPRIM_400000_NS6detail17trampoline_kernelINS0_14default_configENS1_27scan_by_key_config_selectorIxxEEZZNS1_16scan_by_key_implILNS1_25lookback_scan_determinismE0ELb1ES3_N6thrust23THRUST_200600_302600_NS6detail15normal_iteratorINS9_10device_ptrIxEEEESE_SE_xNS9_10multipliesIxEENS9_8equal_toIxEExEE10hipError_tPvRmT2_T3_T4_T5_mT6_T7_P12ihipStream_tbENKUlT_T0_E_clISt17integral_constantIbLb0EESZ_EEDaSU_SV_EUlSU_E_NS1_11comp_targetILNS1_3genE10ELNS1_11target_archE1201ELNS1_3gpuE5ELNS1_3repE0EEENS1_30default_config_static_selectorELNS0_4arch9wavefront6targetE0EEEvT1_ ; -- Begin function _ZN7rocprim17ROCPRIM_400000_NS6detail17trampoline_kernelINS0_14default_configENS1_27scan_by_key_config_selectorIxxEEZZNS1_16scan_by_key_implILNS1_25lookback_scan_determinismE0ELb1ES3_N6thrust23THRUST_200600_302600_NS6detail15normal_iteratorINS9_10device_ptrIxEEEESE_SE_xNS9_10multipliesIxEENS9_8equal_toIxEExEE10hipError_tPvRmT2_T3_T4_T5_mT6_T7_P12ihipStream_tbENKUlT_T0_E_clISt17integral_constantIbLb0EESZ_EEDaSU_SV_EUlSU_E_NS1_11comp_targetILNS1_3genE10ELNS1_11target_archE1201ELNS1_3gpuE5ELNS1_3repE0EEENS1_30default_config_static_selectorELNS0_4arch9wavefront6targetE0EEEvT1_
	.globl	_ZN7rocprim17ROCPRIM_400000_NS6detail17trampoline_kernelINS0_14default_configENS1_27scan_by_key_config_selectorIxxEEZZNS1_16scan_by_key_implILNS1_25lookback_scan_determinismE0ELb1ES3_N6thrust23THRUST_200600_302600_NS6detail15normal_iteratorINS9_10device_ptrIxEEEESE_SE_xNS9_10multipliesIxEENS9_8equal_toIxEExEE10hipError_tPvRmT2_T3_T4_T5_mT6_T7_P12ihipStream_tbENKUlT_T0_E_clISt17integral_constantIbLb0EESZ_EEDaSU_SV_EUlSU_E_NS1_11comp_targetILNS1_3genE10ELNS1_11target_archE1201ELNS1_3gpuE5ELNS1_3repE0EEENS1_30default_config_static_selectorELNS0_4arch9wavefront6targetE0EEEvT1_
	.p2align	8
	.type	_ZN7rocprim17ROCPRIM_400000_NS6detail17trampoline_kernelINS0_14default_configENS1_27scan_by_key_config_selectorIxxEEZZNS1_16scan_by_key_implILNS1_25lookback_scan_determinismE0ELb1ES3_N6thrust23THRUST_200600_302600_NS6detail15normal_iteratorINS9_10device_ptrIxEEEESE_SE_xNS9_10multipliesIxEENS9_8equal_toIxEExEE10hipError_tPvRmT2_T3_T4_T5_mT6_T7_P12ihipStream_tbENKUlT_T0_E_clISt17integral_constantIbLb0EESZ_EEDaSU_SV_EUlSU_E_NS1_11comp_targetILNS1_3genE10ELNS1_11target_archE1201ELNS1_3gpuE5ELNS1_3repE0EEENS1_30default_config_static_selectorELNS0_4arch9wavefront6targetE0EEEvT1_,@function
_ZN7rocprim17ROCPRIM_400000_NS6detail17trampoline_kernelINS0_14default_configENS1_27scan_by_key_config_selectorIxxEEZZNS1_16scan_by_key_implILNS1_25lookback_scan_determinismE0ELb1ES3_N6thrust23THRUST_200600_302600_NS6detail15normal_iteratorINS9_10device_ptrIxEEEESE_SE_xNS9_10multipliesIxEENS9_8equal_toIxEExEE10hipError_tPvRmT2_T3_T4_T5_mT6_T7_P12ihipStream_tbENKUlT_T0_E_clISt17integral_constantIbLb0EESZ_EEDaSU_SV_EUlSU_E_NS1_11comp_targetILNS1_3genE10ELNS1_11target_archE1201ELNS1_3gpuE5ELNS1_3repE0EEENS1_30default_config_static_selectorELNS0_4arch9wavefront6targetE0EEEvT1_: ; @_ZN7rocprim17ROCPRIM_400000_NS6detail17trampoline_kernelINS0_14default_configENS1_27scan_by_key_config_selectorIxxEEZZNS1_16scan_by_key_implILNS1_25lookback_scan_determinismE0ELb1ES3_N6thrust23THRUST_200600_302600_NS6detail15normal_iteratorINS9_10device_ptrIxEEEESE_SE_xNS9_10multipliesIxEENS9_8equal_toIxEExEE10hipError_tPvRmT2_T3_T4_T5_mT6_T7_P12ihipStream_tbENKUlT_T0_E_clISt17integral_constantIbLb0EESZ_EEDaSU_SV_EUlSU_E_NS1_11comp_targetILNS1_3genE10ELNS1_11target_archE1201ELNS1_3gpuE5ELNS1_3repE0EEENS1_30default_config_static_selectorELNS0_4arch9wavefront6targetE0EEEvT1_
; %bb.0:
	.section	.rodata,"a",@progbits
	.p2align	6, 0x0
	.amdhsa_kernel _ZN7rocprim17ROCPRIM_400000_NS6detail17trampoline_kernelINS0_14default_configENS1_27scan_by_key_config_selectorIxxEEZZNS1_16scan_by_key_implILNS1_25lookback_scan_determinismE0ELb1ES3_N6thrust23THRUST_200600_302600_NS6detail15normal_iteratorINS9_10device_ptrIxEEEESE_SE_xNS9_10multipliesIxEENS9_8equal_toIxEExEE10hipError_tPvRmT2_T3_T4_T5_mT6_T7_P12ihipStream_tbENKUlT_T0_E_clISt17integral_constantIbLb0EESZ_EEDaSU_SV_EUlSU_E_NS1_11comp_targetILNS1_3genE10ELNS1_11target_archE1201ELNS1_3gpuE5ELNS1_3repE0EEENS1_30default_config_static_selectorELNS0_4arch9wavefront6targetE0EEEvT1_
		.amdhsa_group_segment_fixed_size 0
		.amdhsa_private_segment_fixed_size 0
		.amdhsa_kernarg_size 136
		.amdhsa_user_sgpr_count 2
		.amdhsa_user_sgpr_dispatch_ptr 0
		.amdhsa_user_sgpr_queue_ptr 0
		.amdhsa_user_sgpr_kernarg_segment_ptr 1
		.amdhsa_user_sgpr_dispatch_id 0
		.amdhsa_user_sgpr_kernarg_preload_length 0
		.amdhsa_user_sgpr_kernarg_preload_offset 0
		.amdhsa_user_sgpr_private_segment_size 0
		.amdhsa_wavefront_size32 1
		.amdhsa_uses_dynamic_stack 0
		.amdhsa_enable_private_segment 0
		.amdhsa_system_sgpr_workgroup_id_x 1
		.amdhsa_system_sgpr_workgroup_id_y 0
		.amdhsa_system_sgpr_workgroup_id_z 0
		.amdhsa_system_sgpr_workgroup_info 0
		.amdhsa_system_vgpr_workitem_id 0
		.amdhsa_next_free_vgpr 1
		.amdhsa_next_free_sgpr 1
		.amdhsa_named_barrier_count 0
		.amdhsa_reserve_vcc 0
		.amdhsa_float_round_mode_32 0
		.amdhsa_float_round_mode_16_64 0
		.amdhsa_float_denorm_mode_32 3
		.amdhsa_float_denorm_mode_16_64 3
		.amdhsa_fp16_overflow 0
		.amdhsa_memory_ordered 1
		.amdhsa_forward_progress 1
		.amdhsa_inst_pref_size 0
		.amdhsa_round_robin_scheduling 0
		.amdhsa_exception_fp_ieee_invalid_op 0
		.amdhsa_exception_fp_denorm_src 0
		.amdhsa_exception_fp_ieee_div_zero 0
		.amdhsa_exception_fp_ieee_overflow 0
		.amdhsa_exception_fp_ieee_underflow 0
		.amdhsa_exception_fp_ieee_inexact 0
		.amdhsa_exception_int_div_zero 0
	.end_amdhsa_kernel
	.section	.text._ZN7rocprim17ROCPRIM_400000_NS6detail17trampoline_kernelINS0_14default_configENS1_27scan_by_key_config_selectorIxxEEZZNS1_16scan_by_key_implILNS1_25lookback_scan_determinismE0ELb1ES3_N6thrust23THRUST_200600_302600_NS6detail15normal_iteratorINS9_10device_ptrIxEEEESE_SE_xNS9_10multipliesIxEENS9_8equal_toIxEExEE10hipError_tPvRmT2_T3_T4_T5_mT6_T7_P12ihipStream_tbENKUlT_T0_E_clISt17integral_constantIbLb0EESZ_EEDaSU_SV_EUlSU_E_NS1_11comp_targetILNS1_3genE10ELNS1_11target_archE1201ELNS1_3gpuE5ELNS1_3repE0EEENS1_30default_config_static_selectorELNS0_4arch9wavefront6targetE0EEEvT1_,"axG",@progbits,_ZN7rocprim17ROCPRIM_400000_NS6detail17trampoline_kernelINS0_14default_configENS1_27scan_by_key_config_selectorIxxEEZZNS1_16scan_by_key_implILNS1_25lookback_scan_determinismE0ELb1ES3_N6thrust23THRUST_200600_302600_NS6detail15normal_iteratorINS9_10device_ptrIxEEEESE_SE_xNS9_10multipliesIxEENS9_8equal_toIxEExEE10hipError_tPvRmT2_T3_T4_T5_mT6_T7_P12ihipStream_tbENKUlT_T0_E_clISt17integral_constantIbLb0EESZ_EEDaSU_SV_EUlSU_E_NS1_11comp_targetILNS1_3genE10ELNS1_11target_archE1201ELNS1_3gpuE5ELNS1_3repE0EEENS1_30default_config_static_selectorELNS0_4arch9wavefront6targetE0EEEvT1_,comdat
.Lfunc_end390:
	.size	_ZN7rocprim17ROCPRIM_400000_NS6detail17trampoline_kernelINS0_14default_configENS1_27scan_by_key_config_selectorIxxEEZZNS1_16scan_by_key_implILNS1_25lookback_scan_determinismE0ELb1ES3_N6thrust23THRUST_200600_302600_NS6detail15normal_iteratorINS9_10device_ptrIxEEEESE_SE_xNS9_10multipliesIxEENS9_8equal_toIxEExEE10hipError_tPvRmT2_T3_T4_T5_mT6_T7_P12ihipStream_tbENKUlT_T0_E_clISt17integral_constantIbLb0EESZ_EEDaSU_SV_EUlSU_E_NS1_11comp_targetILNS1_3genE10ELNS1_11target_archE1201ELNS1_3gpuE5ELNS1_3repE0EEENS1_30default_config_static_selectorELNS0_4arch9wavefront6targetE0EEEvT1_, .Lfunc_end390-_ZN7rocprim17ROCPRIM_400000_NS6detail17trampoline_kernelINS0_14default_configENS1_27scan_by_key_config_selectorIxxEEZZNS1_16scan_by_key_implILNS1_25lookback_scan_determinismE0ELb1ES3_N6thrust23THRUST_200600_302600_NS6detail15normal_iteratorINS9_10device_ptrIxEEEESE_SE_xNS9_10multipliesIxEENS9_8equal_toIxEExEE10hipError_tPvRmT2_T3_T4_T5_mT6_T7_P12ihipStream_tbENKUlT_T0_E_clISt17integral_constantIbLb0EESZ_EEDaSU_SV_EUlSU_E_NS1_11comp_targetILNS1_3genE10ELNS1_11target_archE1201ELNS1_3gpuE5ELNS1_3repE0EEENS1_30default_config_static_selectorELNS0_4arch9wavefront6targetE0EEEvT1_
                                        ; -- End function
	.set _ZN7rocprim17ROCPRIM_400000_NS6detail17trampoline_kernelINS0_14default_configENS1_27scan_by_key_config_selectorIxxEEZZNS1_16scan_by_key_implILNS1_25lookback_scan_determinismE0ELb1ES3_N6thrust23THRUST_200600_302600_NS6detail15normal_iteratorINS9_10device_ptrIxEEEESE_SE_xNS9_10multipliesIxEENS9_8equal_toIxEExEE10hipError_tPvRmT2_T3_T4_T5_mT6_T7_P12ihipStream_tbENKUlT_T0_E_clISt17integral_constantIbLb0EESZ_EEDaSU_SV_EUlSU_E_NS1_11comp_targetILNS1_3genE10ELNS1_11target_archE1201ELNS1_3gpuE5ELNS1_3repE0EEENS1_30default_config_static_selectorELNS0_4arch9wavefront6targetE0EEEvT1_.num_vgpr, 0
	.set _ZN7rocprim17ROCPRIM_400000_NS6detail17trampoline_kernelINS0_14default_configENS1_27scan_by_key_config_selectorIxxEEZZNS1_16scan_by_key_implILNS1_25lookback_scan_determinismE0ELb1ES3_N6thrust23THRUST_200600_302600_NS6detail15normal_iteratorINS9_10device_ptrIxEEEESE_SE_xNS9_10multipliesIxEENS9_8equal_toIxEExEE10hipError_tPvRmT2_T3_T4_T5_mT6_T7_P12ihipStream_tbENKUlT_T0_E_clISt17integral_constantIbLb0EESZ_EEDaSU_SV_EUlSU_E_NS1_11comp_targetILNS1_3genE10ELNS1_11target_archE1201ELNS1_3gpuE5ELNS1_3repE0EEENS1_30default_config_static_selectorELNS0_4arch9wavefront6targetE0EEEvT1_.num_agpr, 0
	.set _ZN7rocprim17ROCPRIM_400000_NS6detail17trampoline_kernelINS0_14default_configENS1_27scan_by_key_config_selectorIxxEEZZNS1_16scan_by_key_implILNS1_25lookback_scan_determinismE0ELb1ES3_N6thrust23THRUST_200600_302600_NS6detail15normal_iteratorINS9_10device_ptrIxEEEESE_SE_xNS9_10multipliesIxEENS9_8equal_toIxEExEE10hipError_tPvRmT2_T3_T4_T5_mT6_T7_P12ihipStream_tbENKUlT_T0_E_clISt17integral_constantIbLb0EESZ_EEDaSU_SV_EUlSU_E_NS1_11comp_targetILNS1_3genE10ELNS1_11target_archE1201ELNS1_3gpuE5ELNS1_3repE0EEENS1_30default_config_static_selectorELNS0_4arch9wavefront6targetE0EEEvT1_.numbered_sgpr, 0
	.set _ZN7rocprim17ROCPRIM_400000_NS6detail17trampoline_kernelINS0_14default_configENS1_27scan_by_key_config_selectorIxxEEZZNS1_16scan_by_key_implILNS1_25lookback_scan_determinismE0ELb1ES3_N6thrust23THRUST_200600_302600_NS6detail15normal_iteratorINS9_10device_ptrIxEEEESE_SE_xNS9_10multipliesIxEENS9_8equal_toIxEExEE10hipError_tPvRmT2_T3_T4_T5_mT6_T7_P12ihipStream_tbENKUlT_T0_E_clISt17integral_constantIbLb0EESZ_EEDaSU_SV_EUlSU_E_NS1_11comp_targetILNS1_3genE10ELNS1_11target_archE1201ELNS1_3gpuE5ELNS1_3repE0EEENS1_30default_config_static_selectorELNS0_4arch9wavefront6targetE0EEEvT1_.num_named_barrier, 0
	.set _ZN7rocprim17ROCPRIM_400000_NS6detail17trampoline_kernelINS0_14default_configENS1_27scan_by_key_config_selectorIxxEEZZNS1_16scan_by_key_implILNS1_25lookback_scan_determinismE0ELb1ES3_N6thrust23THRUST_200600_302600_NS6detail15normal_iteratorINS9_10device_ptrIxEEEESE_SE_xNS9_10multipliesIxEENS9_8equal_toIxEExEE10hipError_tPvRmT2_T3_T4_T5_mT6_T7_P12ihipStream_tbENKUlT_T0_E_clISt17integral_constantIbLb0EESZ_EEDaSU_SV_EUlSU_E_NS1_11comp_targetILNS1_3genE10ELNS1_11target_archE1201ELNS1_3gpuE5ELNS1_3repE0EEENS1_30default_config_static_selectorELNS0_4arch9wavefront6targetE0EEEvT1_.private_seg_size, 0
	.set _ZN7rocprim17ROCPRIM_400000_NS6detail17trampoline_kernelINS0_14default_configENS1_27scan_by_key_config_selectorIxxEEZZNS1_16scan_by_key_implILNS1_25lookback_scan_determinismE0ELb1ES3_N6thrust23THRUST_200600_302600_NS6detail15normal_iteratorINS9_10device_ptrIxEEEESE_SE_xNS9_10multipliesIxEENS9_8equal_toIxEExEE10hipError_tPvRmT2_T3_T4_T5_mT6_T7_P12ihipStream_tbENKUlT_T0_E_clISt17integral_constantIbLb0EESZ_EEDaSU_SV_EUlSU_E_NS1_11comp_targetILNS1_3genE10ELNS1_11target_archE1201ELNS1_3gpuE5ELNS1_3repE0EEENS1_30default_config_static_selectorELNS0_4arch9wavefront6targetE0EEEvT1_.uses_vcc, 0
	.set _ZN7rocprim17ROCPRIM_400000_NS6detail17trampoline_kernelINS0_14default_configENS1_27scan_by_key_config_selectorIxxEEZZNS1_16scan_by_key_implILNS1_25lookback_scan_determinismE0ELb1ES3_N6thrust23THRUST_200600_302600_NS6detail15normal_iteratorINS9_10device_ptrIxEEEESE_SE_xNS9_10multipliesIxEENS9_8equal_toIxEExEE10hipError_tPvRmT2_T3_T4_T5_mT6_T7_P12ihipStream_tbENKUlT_T0_E_clISt17integral_constantIbLb0EESZ_EEDaSU_SV_EUlSU_E_NS1_11comp_targetILNS1_3genE10ELNS1_11target_archE1201ELNS1_3gpuE5ELNS1_3repE0EEENS1_30default_config_static_selectorELNS0_4arch9wavefront6targetE0EEEvT1_.uses_flat_scratch, 0
	.set _ZN7rocprim17ROCPRIM_400000_NS6detail17trampoline_kernelINS0_14default_configENS1_27scan_by_key_config_selectorIxxEEZZNS1_16scan_by_key_implILNS1_25lookback_scan_determinismE0ELb1ES3_N6thrust23THRUST_200600_302600_NS6detail15normal_iteratorINS9_10device_ptrIxEEEESE_SE_xNS9_10multipliesIxEENS9_8equal_toIxEExEE10hipError_tPvRmT2_T3_T4_T5_mT6_T7_P12ihipStream_tbENKUlT_T0_E_clISt17integral_constantIbLb0EESZ_EEDaSU_SV_EUlSU_E_NS1_11comp_targetILNS1_3genE10ELNS1_11target_archE1201ELNS1_3gpuE5ELNS1_3repE0EEENS1_30default_config_static_selectorELNS0_4arch9wavefront6targetE0EEEvT1_.has_dyn_sized_stack, 0
	.set _ZN7rocprim17ROCPRIM_400000_NS6detail17trampoline_kernelINS0_14default_configENS1_27scan_by_key_config_selectorIxxEEZZNS1_16scan_by_key_implILNS1_25lookback_scan_determinismE0ELb1ES3_N6thrust23THRUST_200600_302600_NS6detail15normal_iteratorINS9_10device_ptrIxEEEESE_SE_xNS9_10multipliesIxEENS9_8equal_toIxEExEE10hipError_tPvRmT2_T3_T4_T5_mT6_T7_P12ihipStream_tbENKUlT_T0_E_clISt17integral_constantIbLb0EESZ_EEDaSU_SV_EUlSU_E_NS1_11comp_targetILNS1_3genE10ELNS1_11target_archE1201ELNS1_3gpuE5ELNS1_3repE0EEENS1_30default_config_static_selectorELNS0_4arch9wavefront6targetE0EEEvT1_.has_recursion, 0
	.set _ZN7rocprim17ROCPRIM_400000_NS6detail17trampoline_kernelINS0_14default_configENS1_27scan_by_key_config_selectorIxxEEZZNS1_16scan_by_key_implILNS1_25lookback_scan_determinismE0ELb1ES3_N6thrust23THRUST_200600_302600_NS6detail15normal_iteratorINS9_10device_ptrIxEEEESE_SE_xNS9_10multipliesIxEENS9_8equal_toIxEExEE10hipError_tPvRmT2_T3_T4_T5_mT6_T7_P12ihipStream_tbENKUlT_T0_E_clISt17integral_constantIbLb0EESZ_EEDaSU_SV_EUlSU_E_NS1_11comp_targetILNS1_3genE10ELNS1_11target_archE1201ELNS1_3gpuE5ELNS1_3repE0EEENS1_30default_config_static_selectorELNS0_4arch9wavefront6targetE0EEEvT1_.has_indirect_call, 0
	.section	.AMDGPU.csdata,"",@progbits
; Kernel info:
; codeLenInByte = 0
; TotalNumSgprs: 0
; NumVgprs: 0
; ScratchSize: 0
; MemoryBound: 0
; FloatMode: 240
; IeeeMode: 1
; LDSByteSize: 0 bytes/workgroup (compile time only)
; SGPRBlocks: 0
; VGPRBlocks: 0
; NumSGPRsForWavesPerEU: 1
; NumVGPRsForWavesPerEU: 1
; NamedBarCnt: 0
; Occupancy: 16
; WaveLimiterHint : 0
; COMPUTE_PGM_RSRC2:SCRATCH_EN: 0
; COMPUTE_PGM_RSRC2:USER_SGPR: 2
; COMPUTE_PGM_RSRC2:TRAP_HANDLER: 0
; COMPUTE_PGM_RSRC2:TGID_X_EN: 1
; COMPUTE_PGM_RSRC2:TGID_Y_EN: 0
; COMPUTE_PGM_RSRC2:TGID_Z_EN: 0
; COMPUTE_PGM_RSRC2:TIDIG_COMP_CNT: 0
	.section	.text._ZN7rocprim17ROCPRIM_400000_NS6detail17trampoline_kernelINS0_14default_configENS1_27scan_by_key_config_selectorIxxEEZZNS1_16scan_by_key_implILNS1_25lookback_scan_determinismE0ELb1ES3_N6thrust23THRUST_200600_302600_NS6detail15normal_iteratorINS9_10device_ptrIxEEEESE_SE_xNS9_10multipliesIxEENS9_8equal_toIxEExEE10hipError_tPvRmT2_T3_T4_T5_mT6_T7_P12ihipStream_tbENKUlT_T0_E_clISt17integral_constantIbLb0EESZ_EEDaSU_SV_EUlSU_E_NS1_11comp_targetILNS1_3genE5ELNS1_11target_archE942ELNS1_3gpuE9ELNS1_3repE0EEENS1_30default_config_static_selectorELNS0_4arch9wavefront6targetE0EEEvT1_,"axG",@progbits,_ZN7rocprim17ROCPRIM_400000_NS6detail17trampoline_kernelINS0_14default_configENS1_27scan_by_key_config_selectorIxxEEZZNS1_16scan_by_key_implILNS1_25lookback_scan_determinismE0ELb1ES3_N6thrust23THRUST_200600_302600_NS6detail15normal_iteratorINS9_10device_ptrIxEEEESE_SE_xNS9_10multipliesIxEENS9_8equal_toIxEExEE10hipError_tPvRmT2_T3_T4_T5_mT6_T7_P12ihipStream_tbENKUlT_T0_E_clISt17integral_constantIbLb0EESZ_EEDaSU_SV_EUlSU_E_NS1_11comp_targetILNS1_3genE5ELNS1_11target_archE942ELNS1_3gpuE9ELNS1_3repE0EEENS1_30default_config_static_selectorELNS0_4arch9wavefront6targetE0EEEvT1_,comdat
	.protected	_ZN7rocprim17ROCPRIM_400000_NS6detail17trampoline_kernelINS0_14default_configENS1_27scan_by_key_config_selectorIxxEEZZNS1_16scan_by_key_implILNS1_25lookback_scan_determinismE0ELb1ES3_N6thrust23THRUST_200600_302600_NS6detail15normal_iteratorINS9_10device_ptrIxEEEESE_SE_xNS9_10multipliesIxEENS9_8equal_toIxEExEE10hipError_tPvRmT2_T3_T4_T5_mT6_T7_P12ihipStream_tbENKUlT_T0_E_clISt17integral_constantIbLb0EESZ_EEDaSU_SV_EUlSU_E_NS1_11comp_targetILNS1_3genE5ELNS1_11target_archE942ELNS1_3gpuE9ELNS1_3repE0EEENS1_30default_config_static_selectorELNS0_4arch9wavefront6targetE0EEEvT1_ ; -- Begin function _ZN7rocprim17ROCPRIM_400000_NS6detail17trampoline_kernelINS0_14default_configENS1_27scan_by_key_config_selectorIxxEEZZNS1_16scan_by_key_implILNS1_25lookback_scan_determinismE0ELb1ES3_N6thrust23THRUST_200600_302600_NS6detail15normal_iteratorINS9_10device_ptrIxEEEESE_SE_xNS9_10multipliesIxEENS9_8equal_toIxEExEE10hipError_tPvRmT2_T3_T4_T5_mT6_T7_P12ihipStream_tbENKUlT_T0_E_clISt17integral_constantIbLb0EESZ_EEDaSU_SV_EUlSU_E_NS1_11comp_targetILNS1_3genE5ELNS1_11target_archE942ELNS1_3gpuE9ELNS1_3repE0EEENS1_30default_config_static_selectorELNS0_4arch9wavefront6targetE0EEEvT1_
	.globl	_ZN7rocprim17ROCPRIM_400000_NS6detail17trampoline_kernelINS0_14default_configENS1_27scan_by_key_config_selectorIxxEEZZNS1_16scan_by_key_implILNS1_25lookback_scan_determinismE0ELb1ES3_N6thrust23THRUST_200600_302600_NS6detail15normal_iteratorINS9_10device_ptrIxEEEESE_SE_xNS9_10multipliesIxEENS9_8equal_toIxEExEE10hipError_tPvRmT2_T3_T4_T5_mT6_T7_P12ihipStream_tbENKUlT_T0_E_clISt17integral_constantIbLb0EESZ_EEDaSU_SV_EUlSU_E_NS1_11comp_targetILNS1_3genE5ELNS1_11target_archE942ELNS1_3gpuE9ELNS1_3repE0EEENS1_30default_config_static_selectorELNS0_4arch9wavefront6targetE0EEEvT1_
	.p2align	8
	.type	_ZN7rocprim17ROCPRIM_400000_NS6detail17trampoline_kernelINS0_14default_configENS1_27scan_by_key_config_selectorIxxEEZZNS1_16scan_by_key_implILNS1_25lookback_scan_determinismE0ELb1ES3_N6thrust23THRUST_200600_302600_NS6detail15normal_iteratorINS9_10device_ptrIxEEEESE_SE_xNS9_10multipliesIxEENS9_8equal_toIxEExEE10hipError_tPvRmT2_T3_T4_T5_mT6_T7_P12ihipStream_tbENKUlT_T0_E_clISt17integral_constantIbLb0EESZ_EEDaSU_SV_EUlSU_E_NS1_11comp_targetILNS1_3genE5ELNS1_11target_archE942ELNS1_3gpuE9ELNS1_3repE0EEENS1_30default_config_static_selectorELNS0_4arch9wavefront6targetE0EEEvT1_,@function
_ZN7rocprim17ROCPRIM_400000_NS6detail17trampoline_kernelINS0_14default_configENS1_27scan_by_key_config_selectorIxxEEZZNS1_16scan_by_key_implILNS1_25lookback_scan_determinismE0ELb1ES3_N6thrust23THRUST_200600_302600_NS6detail15normal_iteratorINS9_10device_ptrIxEEEESE_SE_xNS9_10multipliesIxEENS9_8equal_toIxEExEE10hipError_tPvRmT2_T3_T4_T5_mT6_T7_P12ihipStream_tbENKUlT_T0_E_clISt17integral_constantIbLb0EESZ_EEDaSU_SV_EUlSU_E_NS1_11comp_targetILNS1_3genE5ELNS1_11target_archE942ELNS1_3gpuE9ELNS1_3repE0EEENS1_30default_config_static_selectorELNS0_4arch9wavefront6targetE0EEEvT1_: ; @_ZN7rocprim17ROCPRIM_400000_NS6detail17trampoline_kernelINS0_14default_configENS1_27scan_by_key_config_selectorIxxEEZZNS1_16scan_by_key_implILNS1_25lookback_scan_determinismE0ELb1ES3_N6thrust23THRUST_200600_302600_NS6detail15normal_iteratorINS9_10device_ptrIxEEEESE_SE_xNS9_10multipliesIxEENS9_8equal_toIxEExEE10hipError_tPvRmT2_T3_T4_T5_mT6_T7_P12ihipStream_tbENKUlT_T0_E_clISt17integral_constantIbLb0EESZ_EEDaSU_SV_EUlSU_E_NS1_11comp_targetILNS1_3genE5ELNS1_11target_archE942ELNS1_3gpuE9ELNS1_3repE0EEENS1_30default_config_static_selectorELNS0_4arch9wavefront6targetE0EEEvT1_
; %bb.0:
	.section	.rodata,"a",@progbits
	.p2align	6, 0x0
	.amdhsa_kernel _ZN7rocprim17ROCPRIM_400000_NS6detail17trampoline_kernelINS0_14default_configENS1_27scan_by_key_config_selectorIxxEEZZNS1_16scan_by_key_implILNS1_25lookback_scan_determinismE0ELb1ES3_N6thrust23THRUST_200600_302600_NS6detail15normal_iteratorINS9_10device_ptrIxEEEESE_SE_xNS9_10multipliesIxEENS9_8equal_toIxEExEE10hipError_tPvRmT2_T3_T4_T5_mT6_T7_P12ihipStream_tbENKUlT_T0_E_clISt17integral_constantIbLb0EESZ_EEDaSU_SV_EUlSU_E_NS1_11comp_targetILNS1_3genE5ELNS1_11target_archE942ELNS1_3gpuE9ELNS1_3repE0EEENS1_30default_config_static_selectorELNS0_4arch9wavefront6targetE0EEEvT1_
		.amdhsa_group_segment_fixed_size 0
		.amdhsa_private_segment_fixed_size 0
		.amdhsa_kernarg_size 136
		.amdhsa_user_sgpr_count 2
		.amdhsa_user_sgpr_dispatch_ptr 0
		.amdhsa_user_sgpr_queue_ptr 0
		.amdhsa_user_sgpr_kernarg_segment_ptr 1
		.amdhsa_user_sgpr_dispatch_id 0
		.amdhsa_user_sgpr_kernarg_preload_length 0
		.amdhsa_user_sgpr_kernarg_preload_offset 0
		.amdhsa_user_sgpr_private_segment_size 0
		.amdhsa_wavefront_size32 1
		.amdhsa_uses_dynamic_stack 0
		.amdhsa_enable_private_segment 0
		.amdhsa_system_sgpr_workgroup_id_x 1
		.amdhsa_system_sgpr_workgroup_id_y 0
		.amdhsa_system_sgpr_workgroup_id_z 0
		.amdhsa_system_sgpr_workgroup_info 0
		.amdhsa_system_vgpr_workitem_id 0
		.amdhsa_next_free_vgpr 1
		.amdhsa_next_free_sgpr 1
		.amdhsa_named_barrier_count 0
		.amdhsa_reserve_vcc 0
		.amdhsa_float_round_mode_32 0
		.amdhsa_float_round_mode_16_64 0
		.amdhsa_float_denorm_mode_32 3
		.amdhsa_float_denorm_mode_16_64 3
		.amdhsa_fp16_overflow 0
		.amdhsa_memory_ordered 1
		.amdhsa_forward_progress 1
		.amdhsa_inst_pref_size 0
		.amdhsa_round_robin_scheduling 0
		.amdhsa_exception_fp_ieee_invalid_op 0
		.amdhsa_exception_fp_denorm_src 0
		.amdhsa_exception_fp_ieee_div_zero 0
		.amdhsa_exception_fp_ieee_overflow 0
		.amdhsa_exception_fp_ieee_underflow 0
		.amdhsa_exception_fp_ieee_inexact 0
		.amdhsa_exception_int_div_zero 0
	.end_amdhsa_kernel
	.section	.text._ZN7rocprim17ROCPRIM_400000_NS6detail17trampoline_kernelINS0_14default_configENS1_27scan_by_key_config_selectorIxxEEZZNS1_16scan_by_key_implILNS1_25lookback_scan_determinismE0ELb1ES3_N6thrust23THRUST_200600_302600_NS6detail15normal_iteratorINS9_10device_ptrIxEEEESE_SE_xNS9_10multipliesIxEENS9_8equal_toIxEExEE10hipError_tPvRmT2_T3_T4_T5_mT6_T7_P12ihipStream_tbENKUlT_T0_E_clISt17integral_constantIbLb0EESZ_EEDaSU_SV_EUlSU_E_NS1_11comp_targetILNS1_3genE5ELNS1_11target_archE942ELNS1_3gpuE9ELNS1_3repE0EEENS1_30default_config_static_selectorELNS0_4arch9wavefront6targetE0EEEvT1_,"axG",@progbits,_ZN7rocprim17ROCPRIM_400000_NS6detail17trampoline_kernelINS0_14default_configENS1_27scan_by_key_config_selectorIxxEEZZNS1_16scan_by_key_implILNS1_25lookback_scan_determinismE0ELb1ES3_N6thrust23THRUST_200600_302600_NS6detail15normal_iteratorINS9_10device_ptrIxEEEESE_SE_xNS9_10multipliesIxEENS9_8equal_toIxEExEE10hipError_tPvRmT2_T3_T4_T5_mT6_T7_P12ihipStream_tbENKUlT_T0_E_clISt17integral_constantIbLb0EESZ_EEDaSU_SV_EUlSU_E_NS1_11comp_targetILNS1_3genE5ELNS1_11target_archE942ELNS1_3gpuE9ELNS1_3repE0EEENS1_30default_config_static_selectorELNS0_4arch9wavefront6targetE0EEEvT1_,comdat
.Lfunc_end391:
	.size	_ZN7rocprim17ROCPRIM_400000_NS6detail17trampoline_kernelINS0_14default_configENS1_27scan_by_key_config_selectorIxxEEZZNS1_16scan_by_key_implILNS1_25lookback_scan_determinismE0ELb1ES3_N6thrust23THRUST_200600_302600_NS6detail15normal_iteratorINS9_10device_ptrIxEEEESE_SE_xNS9_10multipliesIxEENS9_8equal_toIxEExEE10hipError_tPvRmT2_T3_T4_T5_mT6_T7_P12ihipStream_tbENKUlT_T0_E_clISt17integral_constantIbLb0EESZ_EEDaSU_SV_EUlSU_E_NS1_11comp_targetILNS1_3genE5ELNS1_11target_archE942ELNS1_3gpuE9ELNS1_3repE0EEENS1_30default_config_static_selectorELNS0_4arch9wavefront6targetE0EEEvT1_, .Lfunc_end391-_ZN7rocprim17ROCPRIM_400000_NS6detail17trampoline_kernelINS0_14default_configENS1_27scan_by_key_config_selectorIxxEEZZNS1_16scan_by_key_implILNS1_25lookback_scan_determinismE0ELb1ES3_N6thrust23THRUST_200600_302600_NS6detail15normal_iteratorINS9_10device_ptrIxEEEESE_SE_xNS9_10multipliesIxEENS9_8equal_toIxEExEE10hipError_tPvRmT2_T3_T4_T5_mT6_T7_P12ihipStream_tbENKUlT_T0_E_clISt17integral_constantIbLb0EESZ_EEDaSU_SV_EUlSU_E_NS1_11comp_targetILNS1_3genE5ELNS1_11target_archE942ELNS1_3gpuE9ELNS1_3repE0EEENS1_30default_config_static_selectorELNS0_4arch9wavefront6targetE0EEEvT1_
                                        ; -- End function
	.set _ZN7rocprim17ROCPRIM_400000_NS6detail17trampoline_kernelINS0_14default_configENS1_27scan_by_key_config_selectorIxxEEZZNS1_16scan_by_key_implILNS1_25lookback_scan_determinismE0ELb1ES3_N6thrust23THRUST_200600_302600_NS6detail15normal_iteratorINS9_10device_ptrIxEEEESE_SE_xNS9_10multipliesIxEENS9_8equal_toIxEExEE10hipError_tPvRmT2_T3_T4_T5_mT6_T7_P12ihipStream_tbENKUlT_T0_E_clISt17integral_constantIbLb0EESZ_EEDaSU_SV_EUlSU_E_NS1_11comp_targetILNS1_3genE5ELNS1_11target_archE942ELNS1_3gpuE9ELNS1_3repE0EEENS1_30default_config_static_selectorELNS0_4arch9wavefront6targetE0EEEvT1_.num_vgpr, 0
	.set _ZN7rocprim17ROCPRIM_400000_NS6detail17trampoline_kernelINS0_14default_configENS1_27scan_by_key_config_selectorIxxEEZZNS1_16scan_by_key_implILNS1_25lookback_scan_determinismE0ELb1ES3_N6thrust23THRUST_200600_302600_NS6detail15normal_iteratorINS9_10device_ptrIxEEEESE_SE_xNS9_10multipliesIxEENS9_8equal_toIxEExEE10hipError_tPvRmT2_T3_T4_T5_mT6_T7_P12ihipStream_tbENKUlT_T0_E_clISt17integral_constantIbLb0EESZ_EEDaSU_SV_EUlSU_E_NS1_11comp_targetILNS1_3genE5ELNS1_11target_archE942ELNS1_3gpuE9ELNS1_3repE0EEENS1_30default_config_static_selectorELNS0_4arch9wavefront6targetE0EEEvT1_.num_agpr, 0
	.set _ZN7rocprim17ROCPRIM_400000_NS6detail17trampoline_kernelINS0_14default_configENS1_27scan_by_key_config_selectorIxxEEZZNS1_16scan_by_key_implILNS1_25lookback_scan_determinismE0ELb1ES3_N6thrust23THRUST_200600_302600_NS6detail15normal_iteratorINS9_10device_ptrIxEEEESE_SE_xNS9_10multipliesIxEENS9_8equal_toIxEExEE10hipError_tPvRmT2_T3_T4_T5_mT6_T7_P12ihipStream_tbENKUlT_T0_E_clISt17integral_constantIbLb0EESZ_EEDaSU_SV_EUlSU_E_NS1_11comp_targetILNS1_3genE5ELNS1_11target_archE942ELNS1_3gpuE9ELNS1_3repE0EEENS1_30default_config_static_selectorELNS0_4arch9wavefront6targetE0EEEvT1_.numbered_sgpr, 0
	.set _ZN7rocprim17ROCPRIM_400000_NS6detail17trampoline_kernelINS0_14default_configENS1_27scan_by_key_config_selectorIxxEEZZNS1_16scan_by_key_implILNS1_25lookback_scan_determinismE0ELb1ES3_N6thrust23THRUST_200600_302600_NS6detail15normal_iteratorINS9_10device_ptrIxEEEESE_SE_xNS9_10multipliesIxEENS9_8equal_toIxEExEE10hipError_tPvRmT2_T3_T4_T5_mT6_T7_P12ihipStream_tbENKUlT_T0_E_clISt17integral_constantIbLb0EESZ_EEDaSU_SV_EUlSU_E_NS1_11comp_targetILNS1_3genE5ELNS1_11target_archE942ELNS1_3gpuE9ELNS1_3repE0EEENS1_30default_config_static_selectorELNS0_4arch9wavefront6targetE0EEEvT1_.num_named_barrier, 0
	.set _ZN7rocprim17ROCPRIM_400000_NS6detail17trampoline_kernelINS0_14default_configENS1_27scan_by_key_config_selectorIxxEEZZNS1_16scan_by_key_implILNS1_25lookback_scan_determinismE0ELb1ES3_N6thrust23THRUST_200600_302600_NS6detail15normal_iteratorINS9_10device_ptrIxEEEESE_SE_xNS9_10multipliesIxEENS9_8equal_toIxEExEE10hipError_tPvRmT2_T3_T4_T5_mT6_T7_P12ihipStream_tbENKUlT_T0_E_clISt17integral_constantIbLb0EESZ_EEDaSU_SV_EUlSU_E_NS1_11comp_targetILNS1_3genE5ELNS1_11target_archE942ELNS1_3gpuE9ELNS1_3repE0EEENS1_30default_config_static_selectorELNS0_4arch9wavefront6targetE0EEEvT1_.private_seg_size, 0
	.set _ZN7rocprim17ROCPRIM_400000_NS6detail17trampoline_kernelINS0_14default_configENS1_27scan_by_key_config_selectorIxxEEZZNS1_16scan_by_key_implILNS1_25lookback_scan_determinismE0ELb1ES3_N6thrust23THRUST_200600_302600_NS6detail15normal_iteratorINS9_10device_ptrIxEEEESE_SE_xNS9_10multipliesIxEENS9_8equal_toIxEExEE10hipError_tPvRmT2_T3_T4_T5_mT6_T7_P12ihipStream_tbENKUlT_T0_E_clISt17integral_constantIbLb0EESZ_EEDaSU_SV_EUlSU_E_NS1_11comp_targetILNS1_3genE5ELNS1_11target_archE942ELNS1_3gpuE9ELNS1_3repE0EEENS1_30default_config_static_selectorELNS0_4arch9wavefront6targetE0EEEvT1_.uses_vcc, 0
	.set _ZN7rocprim17ROCPRIM_400000_NS6detail17trampoline_kernelINS0_14default_configENS1_27scan_by_key_config_selectorIxxEEZZNS1_16scan_by_key_implILNS1_25lookback_scan_determinismE0ELb1ES3_N6thrust23THRUST_200600_302600_NS6detail15normal_iteratorINS9_10device_ptrIxEEEESE_SE_xNS9_10multipliesIxEENS9_8equal_toIxEExEE10hipError_tPvRmT2_T3_T4_T5_mT6_T7_P12ihipStream_tbENKUlT_T0_E_clISt17integral_constantIbLb0EESZ_EEDaSU_SV_EUlSU_E_NS1_11comp_targetILNS1_3genE5ELNS1_11target_archE942ELNS1_3gpuE9ELNS1_3repE0EEENS1_30default_config_static_selectorELNS0_4arch9wavefront6targetE0EEEvT1_.uses_flat_scratch, 0
	.set _ZN7rocprim17ROCPRIM_400000_NS6detail17trampoline_kernelINS0_14default_configENS1_27scan_by_key_config_selectorIxxEEZZNS1_16scan_by_key_implILNS1_25lookback_scan_determinismE0ELb1ES3_N6thrust23THRUST_200600_302600_NS6detail15normal_iteratorINS9_10device_ptrIxEEEESE_SE_xNS9_10multipliesIxEENS9_8equal_toIxEExEE10hipError_tPvRmT2_T3_T4_T5_mT6_T7_P12ihipStream_tbENKUlT_T0_E_clISt17integral_constantIbLb0EESZ_EEDaSU_SV_EUlSU_E_NS1_11comp_targetILNS1_3genE5ELNS1_11target_archE942ELNS1_3gpuE9ELNS1_3repE0EEENS1_30default_config_static_selectorELNS0_4arch9wavefront6targetE0EEEvT1_.has_dyn_sized_stack, 0
	.set _ZN7rocprim17ROCPRIM_400000_NS6detail17trampoline_kernelINS0_14default_configENS1_27scan_by_key_config_selectorIxxEEZZNS1_16scan_by_key_implILNS1_25lookback_scan_determinismE0ELb1ES3_N6thrust23THRUST_200600_302600_NS6detail15normal_iteratorINS9_10device_ptrIxEEEESE_SE_xNS9_10multipliesIxEENS9_8equal_toIxEExEE10hipError_tPvRmT2_T3_T4_T5_mT6_T7_P12ihipStream_tbENKUlT_T0_E_clISt17integral_constantIbLb0EESZ_EEDaSU_SV_EUlSU_E_NS1_11comp_targetILNS1_3genE5ELNS1_11target_archE942ELNS1_3gpuE9ELNS1_3repE0EEENS1_30default_config_static_selectorELNS0_4arch9wavefront6targetE0EEEvT1_.has_recursion, 0
	.set _ZN7rocprim17ROCPRIM_400000_NS6detail17trampoline_kernelINS0_14default_configENS1_27scan_by_key_config_selectorIxxEEZZNS1_16scan_by_key_implILNS1_25lookback_scan_determinismE0ELb1ES3_N6thrust23THRUST_200600_302600_NS6detail15normal_iteratorINS9_10device_ptrIxEEEESE_SE_xNS9_10multipliesIxEENS9_8equal_toIxEExEE10hipError_tPvRmT2_T3_T4_T5_mT6_T7_P12ihipStream_tbENKUlT_T0_E_clISt17integral_constantIbLb0EESZ_EEDaSU_SV_EUlSU_E_NS1_11comp_targetILNS1_3genE5ELNS1_11target_archE942ELNS1_3gpuE9ELNS1_3repE0EEENS1_30default_config_static_selectorELNS0_4arch9wavefront6targetE0EEEvT1_.has_indirect_call, 0
	.section	.AMDGPU.csdata,"",@progbits
; Kernel info:
; codeLenInByte = 0
; TotalNumSgprs: 0
; NumVgprs: 0
; ScratchSize: 0
; MemoryBound: 0
; FloatMode: 240
; IeeeMode: 1
; LDSByteSize: 0 bytes/workgroup (compile time only)
; SGPRBlocks: 0
; VGPRBlocks: 0
; NumSGPRsForWavesPerEU: 1
; NumVGPRsForWavesPerEU: 1
; NamedBarCnt: 0
; Occupancy: 16
; WaveLimiterHint : 0
; COMPUTE_PGM_RSRC2:SCRATCH_EN: 0
; COMPUTE_PGM_RSRC2:USER_SGPR: 2
; COMPUTE_PGM_RSRC2:TRAP_HANDLER: 0
; COMPUTE_PGM_RSRC2:TGID_X_EN: 1
; COMPUTE_PGM_RSRC2:TGID_Y_EN: 0
; COMPUTE_PGM_RSRC2:TGID_Z_EN: 0
; COMPUTE_PGM_RSRC2:TIDIG_COMP_CNT: 0
	.section	.text._ZN7rocprim17ROCPRIM_400000_NS6detail17trampoline_kernelINS0_14default_configENS1_27scan_by_key_config_selectorIxxEEZZNS1_16scan_by_key_implILNS1_25lookback_scan_determinismE0ELb1ES3_N6thrust23THRUST_200600_302600_NS6detail15normal_iteratorINS9_10device_ptrIxEEEESE_SE_xNS9_10multipliesIxEENS9_8equal_toIxEExEE10hipError_tPvRmT2_T3_T4_T5_mT6_T7_P12ihipStream_tbENKUlT_T0_E_clISt17integral_constantIbLb0EESZ_EEDaSU_SV_EUlSU_E_NS1_11comp_targetILNS1_3genE4ELNS1_11target_archE910ELNS1_3gpuE8ELNS1_3repE0EEENS1_30default_config_static_selectorELNS0_4arch9wavefront6targetE0EEEvT1_,"axG",@progbits,_ZN7rocprim17ROCPRIM_400000_NS6detail17trampoline_kernelINS0_14default_configENS1_27scan_by_key_config_selectorIxxEEZZNS1_16scan_by_key_implILNS1_25lookback_scan_determinismE0ELb1ES3_N6thrust23THRUST_200600_302600_NS6detail15normal_iteratorINS9_10device_ptrIxEEEESE_SE_xNS9_10multipliesIxEENS9_8equal_toIxEExEE10hipError_tPvRmT2_T3_T4_T5_mT6_T7_P12ihipStream_tbENKUlT_T0_E_clISt17integral_constantIbLb0EESZ_EEDaSU_SV_EUlSU_E_NS1_11comp_targetILNS1_3genE4ELNS1_11target_archE910ELNS1_3gpuE8ELNS1_3repE0EEENS1_30default_config_static_selectorELNS0_4arch9wavefront6targetE0EEEvT1_,comdat
	.protected	_ZN7rocprim17ROCPRIM_400000_NS6detail17trampoline_kernelINS0_14default_configENS1_27scan_by_key_config_selectorIxxEEZZNS1_16scan_by_key_implILNS1_25lookback_scan_determinismE0ELb1ES3_N6thrust23THRUST_200600_302600_NS6detail15normal_iteratorINS9_10device_ptrIxEEEESE_SE_xNS9_10multipliesIxEENS9_8equal_toIxEExEE10hipError_tPvRmT2_T3_T4_T5_mT6_T7_P12ihipStream_tbENKUlT_T0_E_clISt17integral_constantIbLb0EESZ_EEDaSU_SV_EUlSU_E_NS1_11comp_targetILNS1_3genE4ELNS1_11target_archE910ELNS1_3gpuE8ELNS1_3repE0EEENS1_30default_config_static_selectorELNS0_4arch9wavefront6targetE0EEEvT1_ ; -- Begin function _ZN7rocprim17ROCPRIM_400000_NS6detail17trampoline_kernelINS0_14default_configENS1_27scan_by_key_config_selectorIxxEEZZNS1_16scan_by_key_implILNS1_25lookback_scan_determinismE0ELb1ES3_N6thrust23THRUST_200600_302600_NS6detail15normal_iteratorINS9_10device_ptrIxEEEESE_SE_xNS9_10multipliesIxEENS9_8equal_toIxEExEE10hipError_tPvRmT2_T3_T4_T5_mT6_T7_P12ihipStream_tbENKUlT_T0_E_clISt17integral_constantIbLb0EESZ_EEDaSU_SV_EUlSU_E_NS1_11comp_targetILNS1_3genE4ELNS1_11target_archE910ELNS1_3gpuE8ELNS1_3repE0EEENS1_30default_config_static_selectorELNS0_4arch9wavefront6targetE0EEEvT1_
	.globl	_ZN7rocprim17ROCPRIM_400000_NS6detail17trampoline_kernelINS0_14default_configENS1_27scan_by_key_config_selectorIxxEEZZNS1_16scan_by_key_implILNS1_25lookback_scan_determinismE0ELb1ES3_N6thrust23THRUST_200600_302600_NS6detail15normal_iteratorINS9_10device_ptrIxEEEESE_SE_xNS9_10multipliesIxEENS9_8equal_toIxEExEE10hipError_tPvRmT2_T3_T4_T5_mT6_T7_P12ihipStream_tbENKUlT_T0_E_clISt17integral_constantIbLb0EESZ_EEDaSU_SV_EUlSU_E_NS1_11comp_targetILNS1_3genE4ELNS1_11target_archE910ELNS1_3gpuE8ELNS1_3repE0EEENS1_30default_config_static_selectorELNS0_4arch9wavefront6targetE0EEEvT1_
	.p2align	8
	.type	_ZN7rocprim17ROCPRIM_400000_NS6detail17trampoline_kernelINS0_14default_configENS1_27scan_by_key_config_selectorIxxEEZZNS1_16scan_by_key_implILNS1_25lookback_scan_determinismE0ELb1ES3_N6thrust23THRUST_200600_302600_NS6detail15normal_iteratorINS9_10device_ptrIxEEEESE_SE_xNS9_10multipliesIxEENS9_8equal_toIxEExEE10hipError_tPvRmT2_T3_T4_T5_mT6_T7_P12ihipStream_tbENKUlT_T0_E_clISt17integral_constantIbLb0EESZ_EEDaSU_SV_EUlSU_E_NS1_11comp_targetILNS1_3genE4ELNS1_11target_archE910ELNS1_3gpuE8ELNS1_3repE0EEENS1_30default_config_static_selectorELNS0_4arch9wavefront6targetE0EEEvT1_,@function
_ZN7rocprim17ROCPRIM_400000_NS6detail17trampoline_kernelINS0_14default_configENS1_27scan_by_key_config_selectorIxxEEZZNS1_16scan_by_key_implILNS1_25lookback_scan_determinismE0ELb1ES3_N6thrust23THRUST_200600_302600_NS6detail15normal_iteratorINS9_10device_ptrIxEEEESE_SE_xNS9_10multipliesIxEENS9_8equal_toIxEExEE10hipError_tPvRmT2_T3_T4_T5_mT6_T7_P12ihipStream_tbENKUlT_T0_E_clISt17integral_constantIbLb0EESZ_EEDaSU_SV_EUlSU_E_NS1_11comp_targetILNS1_3genE4ELNS1_11target_archE910ELNS1_3gpuE8ELNS1_3repE0EEENS1_30default_config_static_selectorELNS0_4arch9wavefront6targetE0EEEvT1_: ; @_ZN7rocprim17ROCPRIM_400000_NS6detail17trampoline_kernelINS0_14default_configENS1_27scan_by_key_config_selectorIxxEEZZNS1_16scan_by_key_implILNS1_25lookback_scan_determinismE0ELb1ES3_N6thrust23THRUST_200600_302600_NS6detail15normal_iteratorINS9_10device_ptrIxEEEESE_SE_xNS9_10multipliesIxEENS9_8equal_toIxEExEE10hipError_tPvRmT2_T3_T4_T5_mT6_T7_P12ihipStream_tbENKUlT_T0_E_clISt17integral_constantIbLb0EESZ_EEDaSU_SV_EUlSU_E_NS1_11comp_targetILNS1_3genE4ELNS1_11target_archE910ELNS1_3gpuE8ELNS1_3repE0EEENS1_30default_config_static_selectorELNS0_4arch9wavefront6targetE0EEEvT1_
; %bb.0:
	.section	.rodata,"a",@progbits
	.p2align	6, 0x0
	.amdhsa_kernel _ZN7rocprim17ROCPRIM_400000_NS6detail17trampoline_kernelINS0_14default_configENS1_27scan_by_key_config_selectorIxxEEZZNS1_16scan_by_key_implILNS1_25lookback_scan_determinismE0ELb1ES3_N6thrust23THRUST_200600_302600_NS6detail15normal_iteratorINS9_10device_ptrIxEEEESE_SE_xNS9_10multipliesIxEENS9_8equal_toIxEExEE10hipError_tPvRmT2_T3_T4_T5_mT6_T7_P12ihipStream_tbENKUlT_T0_E_clISt17integral_constantIbLb0EESZ_EEDaSU_SV_EUlSU_E_NS1_11comp_targetILNS1_3genE4ELNS1_11target_archE910ELNS1_3gpuE8ELNS1_3repE0EEENS1_30default_config_static_selectorELNS0_4arch9wavefront6targetE0EEEvT1_
		.amdhsa_group_segment_fixed_size 0
		.amdhsa_private_segment_fixed_size 0
		.amdhsa_kernarg_size 136
		.amdhsa_user_sgpr_count 2
		.amdhsa_user_sgpr_dispatch_ptr 0
		.amdhsa_user_sgpr_queue_ptr 0
		.amdhsa_user_sgpr_kernarg_segment_ptr 1
		.amdhsa_user_sgpr_dispatch_id 0
		.amdhsa_user_sgpr_kernarg_preload_length 0
		.amdhsa_user_sgpr_kernarg_preload_offset 0
		.amdhsa_user_sgpr_private_segment_size 0
		.amdhsa_wavefront_size32 1
		.amdhsa_uses_dynamic_stack 0
		.amdhsa_enable_private_segment 0
		.amdhsa_system_sgpr_workgroup_id_x 1
		.amdhsa_system_sgpr_workgroup_id_y 0
		.amdhsa_system_sgpr_workgroup_id_z 0
		.amdhsa_system_sgpr_workgroup_info 0
		.amdhsa_system_vgpr_workitem_id 0
		.amdhsa_next_free_vgpr 1
		.amdhsa_next_free_sgpr 1
		.amdhsa_named_barrier_count 0
		.amdhsa_reserve_vcc 0
		.amdhsa_float_round_mode_32 0
		.amdhsa_float_round_mode_16_64 0
		.amdhsa_float_denorm_mode_32 3
		.amdhsa_float_denorm_mode_16_64 3
		.amdhsa_fp16_overflow 0
		.amdhsa_memory_ordered 1
		.amdhsa_forward_progress 1
		.amdhsa_inst_pref_size 0
		.amdhsa_round_robin_scheduling 0
		.amdhsa_exception_fp_ieee_invalid_op 0
		.amdhsa_exception_fp_denorm_src 0
		.amdhsa_exception_fp_ieee_div_zero 0
		.amdhsa_exception_fp_ieee_overflow 0
		.amdhsa_exception_fp_ieee_underflow 0
		.amdhsa_exception_fp_ieee_inexact 0
		.amdhsa_exception_int_div_zero 0
	.end_amdhsa_kernel
	.section	.text._ZN7rocprim17ROCPRIM_400000_NS6detail17trampoline_kernelINS0_14default_configENS1_27scan_by_key_config_selectorIxxEEZZNS1_16scan_by_key_implILNS1_25lookback_scan_determinismE0ELb1ES3_N6thrust23THRUST_200600_302600_NS6detail15normal_iteratorINS9_10device_ptrIxEEEESE_SE_xNS9_10multipliesIxEENS9_8equal_toIxEExEE10hipError_tPvRmT2_T3_T4_T5_mT6_T7_P12ihipStream_tbENKUlT_T0_E_clISt17integral_constantIbLb0EESZ_EEDaSU_SV_EUlSU_E_NS1_11comp_targetILNS1_3genE4ELNS1_11target_archE910ELNS1_3gpuE8ELNS1_3repE0EEENS1_30default_config_static_selectorELNS0_4arch9wavefront6targetE0EEEvT1_,"axG",@progbits,_ZN7rocprim17ROCPRIM_400000_NS6detail17trampoline_kernelINS0_14default_configENS1_27scan_by_key_config_selectorIxxEEZZNS1_16scan_by_key_implILNS1_25lookback_scan_determinismE0ELb1ES3_N6thrust23THRUST_200600_302600_NS6detail15normal_iteratorINS9_10device_ptrIxEEEESE_SE_xNS9_10multipliesIxEENS9_8equal_toIxEExEE10hipError_tPvRmT2_T3_T4_T5_mT6_T7_P12ihipStream_tbENKUlT_T0_E_clISt17integral_constantIbLb0EESZ_EEDaSU_SV_EUlSU_E_NS1_11comp_targetILNS1_3genE4ELNS1_11target_archE910ELNS1_3gpuE8ELNS1_3repE0EEENS1_30default_config_static_selectorELNS0_4arch9wavefront6targetE0EEEvT1_,comdat
.Lfunc_end392:
	.size	_ZN7rocprim17ROCPRIM_400000_NS6detail17trampoline_kernelINS0_14default_configENS1_27scan_by_key_config_selectorIxxEEZZNS1_16scan_by_key_implILNS1_25lookback_scan_determinismE0ELb1ES3_N6thrust23THRUST_200600_302600_NS6detail15normal_iteratorINS9_10device_ptrIxEEEESE_SE_xNS9_10multipliesIxEENS9_8equal_toIxEExEE10hipError_tPvRmT2_T3_T4_T5_mT6_T7_P12ihipStream_tbENKUlT_T0_E_clISt17integral_constantIbLb0EESZ_EEDaSU_SV_EUlSU_E_NS1_11comp_targetILNS1_3genE4ELNS1_11target_archE910ELNS1_3gpuE8ELNS1_3repE0EEENS1_30default_config_static_selectorELNS0_4arch9wavefront6targetE0EEEvT1_, .Lfunc_end392-_ZN7rocprim17ROCPRIM_400000_NS6detail17trampoline_kernelINS0_14default_configENS1_27scan_by_key_config_selectorIxxEEZZNS1_16scan_by_key_implILNS1_25lookback_scan_determinismE0ELb1ES3_N6thrust23THRUST_200600_302600_NS6detail15normal_iteratorINS9_10device_ptrIxEEEESE_SE_xNS9_10multipliesIxEENS9_8equal_toIxEExEE10hipError_tPvRmT2_T3_T4_T5_mT6_T7_P12ihipStream_tbENKUlT_T0_E_clISt17integral_constantIbLb0EESZ_EEDaSU_SV_EUlSU_E_NS1_11comp_targetILNS1_3genE4ELNS1_11target_archE910ELNS1_3gpuE8ELNS1_3repE0EEENS1_30default_config_static_selectorELNS0_4arch9wavefront6targetE0EEEvT1_
                                        ; -- End function
	.set _ZN7rocprim17ROCPRIM_400000_NS6detail17trampoline_kernelINS0_14default_configENS1_27scan_by_key_config_selectorIxxEEZZNS1_16scan_by_key_implILNS1_25lookback_scan_determinismE0ELb1ES3_N6thrust23THRUST_200600_302600_NS6detail15normal_iteratorINS9_10device_ptrIxEEEESE_SE_xNS9_10multipliesIxEENS9_8equal_toIxEExEE10hipError_tPvRmT2_T3_T4_T5_mT6_T7_P12ihipStream_tbENKUlT_T0_E_clISt17integral_constantIbLb0EESZ_EEDaSU_SV_EUlSU_E_NS1_11comp_targetILNS1_3genE4ELNS1_11target_archE910ELNS1_3gpuE8ELNS1_3repE0EEENS1_30default_config_static_selectorELNS0_4arch9wavefront6targetE0EEEvT1_.num_vgpr, 0
	.set _ZN7rocprim17ROCPRIM_400000_NS6detail17trampoline_kernelINS0_14default_configENS1_27scan_by_key_config_selectorIxxEEZZNS1_16scan_by_key_implILNS1_25lookback_scan_determinismE0ELb1ES3_N6thrust23THRUST_200600_302600_NS6detail15normal_iteratorINS9_10device_ptrIxEEEESE_SE_xNS9_10multipliesIxEENS9_8equal_toIxEExEE10hipError_tPvRmT2_T3_T4_T5_mT6_T7_P12ihipStream_tbENKUlT_T0_E_clISt17integral_constantIbLb0EESZ_EEDaSU_SV_EUlSU_E_NS1_11comp_targetILNS1_3genE4ELNS1_11target_archE910ELNS1_3gpuE8ELNS1_3repE0EEENS1_30default_config_static_selectorELNS0_4arch9wavefront6targetE0EEEvT1_.num_agpr, 0
	.set _ZN7rocprim17ROCPRIM_400000_NS6detail17trampoline_kernelINS0_14default_configENS1_27scan_by_key_config_selectorIxxEEZZNS1_16scan_by_key_implILNS1_25lookback_scan_determinismE0ELb1ES3_N6thrust23THRUST_200600_302600_NS6detail15normal_iteratorINS9_10device_ptrIxEEEESE_SE_xNS9_10multipliesIxEENS9_8equal_toIxEExEE10hipError_tPvRmT2_T3_T4_T5_mT6_T7_P12ihipStream_tbENKUlT_T0_E_clISt17integral_constantIbLb0EESZ_EEDaSU_SV_EUlSU_E_NS1_11comp_targetILNS1_3genE4ELNS1_11target_archE910ELNS1_3gpuE8ELNS1_3repE0EEENS1_30default_config_static_selectorELNS0_4arch9wavefront6targetE0EEEvT1_.numbered_sgpr, 0
	.set _ZN7rocprim17ROCPRIM_400000_NS6detail17trampoline_kernelINS0_14default_configENS1_27scan_by_key_config_selectorIxxEEZZNS1_16scan_by_key_implILNS1_25lookback_scan_determinismE0ELb1ES3_N6thrust23THRUST_200600_302600_NS6detail15normal_iteratorINS9_10device_ptrIxEEEESE_SE_xNS9_10multipliesIxEENS9_8equal_toIxEExEE10hipError_tPvRmT2_T3_T4_T5_mT6_T7_P12ihipStream_tbENKUlT_T0_E_clISt17integral_constantIbLb0EESZ_EEDaSU_SV_EUlSU_E_NS1_11comp_targetILNS1_3genE4ELNS1_11target_archE910ELNS1_3gpuE8ELNS1_3repE0EEENS1_30default_config_static_selectorELNS0_4arch9wavefront6targetE0EEEvT1_.num_named_barrier, 0
	.set _ZN7rocprim17ROCPRIM_400000_NS6detail17trampoline_kernelINS0_14default_configENS1_27scan_by_key_config_selectorIxxEEZZNS1_16scan_by_key_implILNS1_25lookback_scan_determinismE0ELb1ES3_N6thrust23THRUST_200600_302600_NS6detail15normal_iteratorINS9_10device_ptrIxEEEESE_SE_xNS9_10multipliesIxEENS9_8equal_toIxEExEE10hipError_tPvRmT2_T3_T4_T5_mT6_T7_P12ihipStream_tbENKUlT_T0_E_clISt17integral_constantIbLb0EESZ_EEDaSU_SV_EUlSU_E_NS1_11comp_targetILNS1_3genE4ELNS1_11target_archE910ELNS1_3gpuE8ELNS1_3repE0EEENS1_30default_config_static_selectorELNS0_4arch9wavefront6targetE0EEEvT1_.private_seg_size, 0
	.set _ZN7rocprim17ROCPRIM_400000_NS6detail17trampoline_kernelINS0_14default_configENS1_27scan_by_key_config_selectorIxxEEZZNS1_16scan_by_key_implILNS1_25lookback_scan_determinismE0ELb1ES3_N6thrust23THRUST_200600_302600_NS6detail15normal_iteratorINS9_10device_ptrIxEEEESE_SE_xNS9_10multipliesIxEENS9_8equal_toIxEExEE10hipError_tPvRmT2_T3_T4_T5_mT6_T7_P12ihipStream_tbENKUlT_T0_E_clISt17integral_constantIbLb0EESZ_EEDaSU_SV_EUlSU_E_NS1_11comp_targetILNS1_3genE4ELNS1_11target_archE910ELNS1_3gpuE8ELNS1_3repE0EEENS1_30default_config_static_selectorELNS0_4arch9wavefront6targetE0EEEvT1_.uses_vcc, 0
	.set _ZN7rocprim17ROCPRIM_400000_NS6detail17trampoline_kernelINS0_14default_configENS1_27scan_by_key_config_selectorIxxEEZZNS1_16scan_by_key_implILNS1_25lookback_scan_determinismE0ELb1ES3_N6thrust23THRUST_200600_302600_NS6detail15normal_iteratorINS9_10device_ptrIxEEEESE_SE_xNS9_10multipliesIxEENS9_8equal_toIxEExEE10hipError_tPvRmT2_T3_T4_T5_mT6_T7_P12ihipStream_tbENKUlT_T0_E_clISt17integral_constantIbLb0EESZ_EEDaSU_SV_EUlSU_E_NS1_11comp_targetILNS1_3genE4ELNS1_11target_archE910ELNS1_3gpuE8ELNS1_3repE0EEENS1_30default_config_static_selectorELNS0_4arch9wavefront6targetE0EEEvT1_.uses_flat_scratch, 0
	.set _ZN7rocprim17ROCPRIM_400000_NS6detail17trampoline_kernelINS0_14default_configENS1_27scan_by_key_config_selectorIxxEEZZNS1_16scan_by_key_implILNS1_25lookback_scan_determinismE0ELb1ES3_N6thrust23THRUST_200600_302600_NS6detail15normal_iteratorINS9_10device_ptrIxEEEESE_SE_xNS9_10multipliesIxEENS9_8equal_toIxEExEE10hipError_tPvRmT2_T3_T4_T5_mT6_T7_P12ihipStream_tbENKUlT_T0_E_clISt17integral_constantIbLb0EESZ_EEDaSU_SV_EUlSU_E_NS1_11comp_targetILNS1_3genE4ELNS1_11target_archE910ELNS1_3gpuE8ELNS1_3repE0EEENS1_30default_config_static_selectorELNS0_4arch9wavefront6targetE0EEEvT1_.has_dyn_sized_stack, 0
	.set _ZN7rocprim17ROCPRIM_400000_NS6detail17trampoline_kernelINS0_14default_configENS1_27scan_by_key_config_selectorIxxEEZZNS1_16scan_by_key_implILNS1_25lookback_scan_determinismE0ELb1ES3_N6thrust23THRUST_200600_302600_NS6detail15normal_iteratorINS9_10device_ptrIxEEEESE_SE_xNS9_10multipliesIxEENS9_8equal_toIxEExEE10hipError_tPvRmT2_T3_T4_T5_mT6_T7_P12ihipStream_tbENKUlT_T0_E_clISt17integral_constantIbLb0EESZ_EEDaSU_SV_EUlSU_E_NS1_11comp_targetILNS1_3genE4ELNS1_11target_archE910ELNS1_3gpuE8ELNS1_3repE0EEENS1_30default_config_static_selectorELNS0_4arch9wavefront6targetE0EEEvT1_.has_recursion, 0
	.set _ZN7rocprim17ROCPRIM_400000_NS6detail17trampoline_kernelINS0_14default_configENS1_27scan_by_key_config_selectorIxxEEZZNS1_16scan_by_key_implILNS1_25lookback_scan_determinismE0ELb1ES3_N6thrust23THRUST_200600_302600_NS6detail15normal_iteratorINS9_10device_ptrIxEEEESE_SE_xNS9_10multipliesIxEENS9_8equal_toIxEExEE10hipError_tPvRmT2_T3_T4_T5_mT6_T7_P12ihipStream_tbENKUlT_T0_E_clISt17integral_constantIbLb0EESZ_EEDaSU_SV_EUlSU_E_NS1_11comp_targetILNS1_3genE4ELNS1_11target_archE910ELNS1_3gpuE8ELNS1_3repE0EEENS1_30default_config_static_selectorELNS0_4arch9wavefront6targetE0EEEvT1_.has_indirect_call, 0
	.section	.AMDGPU.csdata,"",@progbits
; Kernel info:
; codeLenInByte = 0
; TotalNumSgprs: 0
; NumVgprs: 0
; ScratchSize: 0
; MemoryBound: 0
; FloatMode: 240
; IeeeMode: 1
; LDSByteSize: 0 bytes/workgroup (compile time only)
; SGPRBlocks: 0
; VGPRBlocks: 0
; NumSGPRsForWavesPerEU: 1
; NumVGPRsForWavesPerEU: 1
; NamedBarCnt: 0
; Occupancy: 16
; WaveLimiterHint : 0
; COMPUTE_PGM_RSRC2:SCRATCH_EN: 0
; COMPUTE_PGM_RSRC2:USER_SGPR: 2
; COMPUTE_PGM_RSRC2:TRAP_HANDLER: 0
; COMPUTE_PGM_RSRC2:TGID_X_EN: 1
; COMPUTE_PGM_RSRC2:TGID_Y_EN: 0
; COMPUTE_PGM_RSRC2:TGID_Z_EN: 0
; COMPUTE_PGM_RSRC2:TIDIG_COMP_CNT: 0
	.section	.text._ZN7rocprim17ROCPRIM_400000_NS6detail17trampoline_kernelINS0_14default_configENS1_27scan_by_key_config_selectorIxxEEZZNS1_16scan_by_key_implILNS1_25lookback_scan_determinismE0ELb1ES3_N6thrust23THRUST_200600_302600_NS6detail15normal_iteratorINS9_10device_ptrIxEEEESE_SE_xNS9_10multipliesIxEENS9_8equal_toIxEExEE10hipError_tPvRmT2_T3_T4_T5_mT6_T7_P12ihipStream_tbENKUlT_T0_E_clISt17integral_constantIbLb0EESZ_EEDaSU_SV_EUlSU_E_NS1_11comp_targetILNS1_3genE3ELNS1_11target_archE908ELNS1_3gpuE7ELNS1_3repE0EEENS1_30default_config_static_selectorELNS0_4arch9wavefront6targetE0EEEvT1_,"axG",@progbits,_ZN7rocprim17ROCPRIM_400000_NS6detail17trampoline_kernelINS0_14default_configENS1_27scan_by_key_config_selectorIxxEEZZNS1_16scan_by_key_implILNS1_25lookback_scan_determinismE0ELb1ES3_N6thrust23THRUST_200600_302600_NS6detail15normal_iteratorINS9_10device_ptrIxEEEESE_SE_xNS9_10multipliesIxEENS9_8equal_toIxEExEE10hipError_tPvRmT2_T3_T4_T5_mT6_T7_P12ihipStream_tbENKUlT_T0_E_clISt17integral_constantIbLb0EESZ_EEDaSU_SV_EUlSU_E_NS1_11comp_targetILNS1_3genE3ELNS1_11target_archE908ELNS1_3gpuE7ELNS1_3repE0EEENS1_30default_config_static_selectorELNS0_4arch9wavefront6targetE0EEEvT1_,comdat
	.protected	_ZN7rocprim17ROCPRIM_400000_NS6detail17trampoline_kernelINS0_14default_configENS1_27scan_by_key_config_selectorIxxEEZZNS1_16scan_by_key_implILNS1_25lookback_scan_determinismE0ELb1ES3_N6thrust23THRUST_200600_302600_NS6detail15normal_iteratorINS9_10device_ptrIxEEEESE_SE_xNS9_10multipliesIxEENS9_8equal_toIxEExEE10hipError_tPvRmT2_T3_T4_T5_mT6_T7_P12ihipStream_tbENKUlT_T0_E_clISt17integral_constantIbLb0EESZ_EEDaSU_SV_EUlSU_E_NS1_11comp_targetILNS1_3genE3ELNS1_11target_archE908ELNS1_3gpuE7ELNS1_3repE0EEENS1_30default_config_static_selectorELNS0_4arch9wavefront6targetE0EEEvT1_ ; -- Begin function _ZN7rocprim17ROCPRIM_400000_NS6detail17trampoline_kernelINS0_14default_configENS1_27scan_by_key_config_selectorIxxEEZZNS1_16scan_by_key_implILNS1_25lookback_scan_determinismE0ELb1ES3_N6thrust23THRUST_200600_302600_NS6detail15normal_iteratorINS9_10device_ptrIxEEEESE_SE_xNS9_10multipliesIxEENS9_8equal_toIxEExEE10hipError_tPvRmT2_T3_T4_T5_mT6_T7_P12ihipStream_tbENKUlT_T0_E_clISt17integral_constantIbLb0EESZ_EEDaSU_SV_EUlSU_E_NS1_11comp_targetILNS1_3genE3ELNS1_11target_archE908ELNS1_3gpuE7ELNS1_3repE0EEENS1_30default_config_static_selectorELNS0_4arch9wavefront6targetE0EEEvT1_
	.globl	_ZN7rocprim17ROCPRIM_400000_NS6detail17trampoline_kernelINS0_14default_configENS1_27scan_by_key_config_selectorIxxEEZZNS1_16scan_by_key_implILNS1_25lookback_scan_determinismE0ELb1ES3_N6thrust23THRUST_200600_302600_NS6detail15normal_iteratorINS9_10device_ptrIxEEEESE_SE_xNS9_10multipliesIxEENS9_8equal_toIxEExEE10hipError_tPvRmT2_T3_T4_T5_mT6_T7_P12ihipStream_tbENKUlT_T0_E_clISt17integral_constantIbLb0EESZ_EEDaSU_SV_EUlSU_E_NS1_11comp_targetILNS1_3genE3ELNS1_11target_archE908ELNS1_3gpuE7ELNS1_3repE0EEENS1_30default_config_static_selectorELNS0_4arch9wavefront6targetE0EEEvT1_
	.p2align	8
	.type	_ZN7rocprim17ROCPRIM_400000_NS6detail17trampoline_kernelINS0_14default_configENS1_27scan_by_key_config_selectorIxxEEZZNS1_16scan_by_key_implILNS1_25lookback_scan_determinismE0ELb1ES3_N6thrust23THRUST_200600_302600_NS6detail15normal_iteratorINS9_10device_ptrIxEEEESE_SE_xNS9_10multipliesIxEENS9_8equal_toIxEExEE10hipError_tPvRmT2_T3_T4_T5_mT6_T7_P12ihipStream_tbENKUlT_T0_E_clISt17integral_constantIbLb0EESZ_EEDaSU_SV_EUlSU_E_NS1_11comp_targetILNS1_3genE3ELNS1_11target_archE908ELNS1_3gpuE7ELNS1_3repE0EEENS1_30default_config_static_selectorELNS0_4arch9wavefront6targetE0EEEvT1_,@function
_ZN7rocprim17ROCPRIM_400000_NS6detail17trampoline_kernelINS0_14default_configENS1_27scan_by_key_config_selectorIxxEEZZNS1_16scan_by_key_implILNS1_25lookback_scan_determinismE0ELb1ES3_N6thrust23THRUST_200600_302600_NS6detail15normal_iteratorINS9_10device_ptrIxEEEESE_SE_xNS9_10multipliesIxEENS9_8equal_toIxEExEE10hipError_tPvRmT2_T3_T4_T5_mT6_T7_P12ihipStream_tbENKUlT_T0_E_clISt17integral_constantIbLb0EESZ_EEDaSU_SV_EUlSU_E_NS1_11comp_targetILNS1_3genE3ELNS1_11target_archE908ELNS1_3gpuE7ELNS1_3repE0EEENS1_30default_config_static_selectorELNS0_4arch9wavefront6targetE0EEEvT1_: ; @_ZN7rocprim17ROCPRIM_400000_NS6detail17trampoline_kernelINS0_14default_configENS1_27scan_by_key_config_selectorIxxEEZZNS1_16scan_by_key_implILNS1_25lookback_scan_determinismE0ELb1ES3_N6thrust23THRUST_200600_302600_NS6detail15normal_iteratorINS9_10device_ptrIxEEEESE_SE_xNS9_10multipliesIxEENS9_8equal_toIxEExEE10hipError_tPvRmT2_T3_T4_T5_mT6_T7_P12ihipStream_tbENKUlT_T0_E_clISt17integral_constantIbLb0EESZ_EEDaSU_SV_EUlSU_E_NS1_11comp_targetILNS1_3genE3ELNS1_11target_archE908ELNS1_3gpuE7ELNS1_3repE0EEENS1_30default_config_static_selectorELNS0_4arch9wavefront6targetE0EEEvT1_
; %bb.0:
	.section	.rodata,"a",@progbits
	.p2align	6, 0x0
	.amdhsa_kernel _ZN7rocprim17ROCPRIM_400000_NS6detail17trampoline_kernelINS0_14default_configENS1_27scan_by_key_config_selectorIxxEEZZNS1_16scan_by_key_implILNS1_25lookback_scan_determinismE0ELb1ES3_N6thrust23THRUST_200600_302600_NS6detail15normal_iteratorINS9_10device_ptrIxEEEESE_SE_xNS9_10multipliesIxEENS9_8equal_toIxEExEE10hipError_tPvRmT2_T3_T4_T5_mT6_T7_P12ihipStream_tbENKUlT_T0_E_clISt17integral_constantIbLb0EESZ_EEDaSU_SV_EUlSU_E_NS1_11comp_targetILNS1_3genE3ELNS1_11target_archE908ELNS1_3gpuE7ELNS1_3repE0EEENS1_30default_config_static_selectorELNS0_4arch9wavefront6targetE0EEEvT1_
		.amdhsa_group_segment_fixed_size 0
		.amdhsa_private_segment_fixed_size 0
		.amdhsa_kernarg_size 136
		.amdhsa_user_sgpr_count 2
		.amdhsa_user_sgpr_dispatch_ptr 0
		.amdhsa_user_sgpr_queue_ptr 0
		.amdhsa_user_sgpr_kernarg_segment_ptr 1
		.amdhsa_user_sgpr_dispatch_id 0
		.amdhsa_user_sgpr_kernarg_preload_length 0
		.amdhsa_user_sgpr_kernarg_preload_offset 0
		.amdhsa_user_sgpr_private_segment_size 0
		.amdhsa_wavefront_size32 1
		.amdhsa_uses_dynamic_stack 0
		.amdhsa_enable_private_segment 0
		.amdhsa_system_sgpr_workgroup_id_x 1
		.amdhsa_system_sgpr_workgroup_id_y 0
		.amdhsa_system_sgpr_workgroup_id_z 0
		.amdhsa_system_sgpr_workgroup_info 0
		.amdhsa_system_vgpr_workitem_id 0
		.amdhsa_next_free_vgpr 1
		.amdhsa_next_free_sgpr 1
		.amdhsa_named_barrier_count 0
		.amdhsa_reserve_vcc 0
		.amdhsa_float_round_mode_32 0
		.amdhsa_float_round_mode_16_64 0
		.amdhsa_float_denorm_mode_32 3
		.amdhsa_float_denorm_mode_16_64 3
		.amdhsa_fp16_overflow 0
		.amdhsa_memory_ordered 1
		.amdhsa_forward_progress 1
		.amdhsa_inst_pref_size 0
		.amdhsa_round_robin_scheduling 0
		.amdhsa_exception_fp_ieee_invalid_op 0
		.amdhsa_exception_fp_denorm_src 0
		.amdhsa_exception_fp_ieee_div_zero 0
		.amdhsa_exception_fp_ieee_overflow 0
		.amdhsa_exception_fp_ieee_underflow 0
		.amdhsa_exception_fp_ieee_inexact 0
		.amdhsa_exception_int_div_zero 0
	.end_amdhsa_kernel
	.section	.text._ZN7rocprim17ROCPRIM_400000_NS6detail17trampoline_kernelINS0_14default_configENS1_27scan_by_key_config_selectorIxxEEZZNS1_16scan_by_key_implILNS1_25lookback_scan_determinismE0ELb1ES3_N6thrust23THRUST_200600_302600_NS6detail15normal_iteratorINS9_10device_ptrIxEEEESE_SE_xNS9_10multipliesIxEENS9_8equal_toIxEExEE10hipError_tPvRmT2_T3_T4_T5_mT6_T7_P12ihipStream_tbENKUlT_T0_E_clISt17integral_constantIbLb0EESZ_EEDaSU_SV_EUlSU_E_NS1_11comp_targetILNS1_3genE3ELNS1_11target_archE908ELNS1_3gpuE7ELNS1_3repE0EEENS1_30default_config_static_selectorELNS0_4arch9wavefront6targetE0EEEvT1_,"axG",@progbits,_ZN7rocprim17ROCPRIM_400000_NS6detail17trampoline_kernelINS0_14default_configENS1_27scan_by_key_config_selectorIxxEEZZNS1_16scan_by_key_implILNS1_25lookback_scan_determinismE0ELb1ES3_N6thrust23THRUST_200600_302600_NS6detail15normal_iteratorINS9_10device_ptrIxEEEESE_SE_xNS9_10multipliesIxEENS9_8equal_toIxEExEE10hipError_tPvRmT2_T3_T4_T5_mT6_T7_P12ihipStream_tbENKUlT_T0_E_clISt17integral_constantIbLb0EESZ_EEDaSU_SV_EUlSU_E_NS1_11comp_targetILNS1_3genE3ELNS1_11target_archE908ELNS1_3gpuE7ELNS1_3repE0EEENS1_30default_config_static_selectorELNS0_4arch9wavefront6targetE0EEEvT1_,comdat
.Lfunc_end393:
	.size	_ZN7rocprim17ROCPRIM_400000_NS6detail17trampoline_kernelINS0_14default_configENS1_27scan_by_key_config_selectorIxxEEZZNS1_16scan_by_key_implILNS1_25lookback_scan_determinismE0ELb1ES3_N6thrust23THRUST_200600_302600_NS6detail15normal_iteratorINS9_10device_ptrIxEEEESE_SE_xNS9_10multipliesIxEENS9_8equal_toIxEExEE10hipError_tPvRmT2_T3_T4_T5_mT6_T7_P12ihipStream_tbENKUlT_T0_E_clISt17integral_constantIbLb0EESZ_EEDaSU_SV_EUlSU_E_NS1_11comp_targetILNS1_3genE3ELNS1_11target_archE908ELNS1_3gpuE7ELNS1_3repE0EEENS1_30default_config_static_selectorELNS0_4arch9wavefront6targetE0EEEvT1_, .Lfunc_end393-_ZN7rocprim17ROCPRIM_400000_NS6detail17trampoline_kernelINS0_14default_configENS1_27scan_by_key_config_selectorIxxEEZZNS1_16scan_by_key_implILNS1_25lookback_scan_determinismE0ELb1ES3_N6thrust23THRUST_200600_302600_NS6detail15normal_iteratorINS9_10device_ptrIxEEEESE_SE_xNS9_10multipliesIxEENS9_8equal_toIxEExEE10hipError_tPvRmT2_T3_T4_T5_mT6_T7_P12ihipStream_tbENKUlT_T0_E_clISt17integral_constantIbLb0EESZ_EEDaSU_SV_EUlSU_E_NS1_11comp_targetILNS1_3genE3ELNS1_11target_archE908ELNS1_3gpuE7ELNS1_3repE0EEENS1_30default_config_static_selectorELNS0_4arch9wavefront6targetE0EEEvT1_
                                        ; -- End function
	.set _ZN7rocprim17ROCPRIM_400000_NS6detail17trampoline_kernelINS0_14default_configENS1_27scan_by_key_config_selectorIxxEEZZNS1_16scan_by_key_implILNS1_25lookback_scan_determinismE0ELb1ES3_N6thrust23THRUST_200600_302600_NS6detail15normal_iteratorINS9_10device_ptrIxEEEESE_SE_xNS9_10multipliesIxEENS9_8equal_toIxEExEE10hipError_tPvRmT2_T3_T4_T5_mT6_T7_P12ihipStream_tbENKUlT_T0_E_clISt17integral_constantIbLb0EESZ_EEDaSU_SV_EUlSU_E_NS1_11comp_targetILNS1_3genE3ELNS1_11target_archE908ELNS1_3gpuE7ELNS1_3repE0EEENS1_30default_config_static_selectorELNS0_4arch9wavefront6targetE0EEEvT1_.num_vgpr, 0
	.set _ZN7rocprim17ROCPRIM_400000_NS6detail17trampoline_kernelINS0_14default_configENS1_27scan_by_key_config_selectorIxxEEZZNS1_16scan_by_key_implILNS1_25lookback_scan_determinismE0ELb1ES3_N6thrust23THRUST_200600_302600_NS6detail15normal_iteratorINS9_10device_ptrIxEEEESE_SE_xNS9_10multipliesIxEENS9_8equal_toIxEExEE10hipError_tPvRmT2_T3_T4_T5_mT6_T7_P12ihipStream_tbENKUlT_T0_E_clISt17integral_constantIbLb0EESZ_EEDaSU_SV_EUlSU_E_NS1_11comp_targetILNS1_3genE3ELNS1_11target_archE908ELNS1_3gpuE7ELNS1_3repE0EEENS1_30default_config_static_selectorELNS0_4arch9wavefront6targetE0EEEvT1_.num_agpr, 0
	.set _ZN7rocprim17ROCPRIM_400000_NS6detail17trampoline_kernelINS0_14default_configENS1_27scan_by_key_config_selectorIxxEEZZNS1_16scan_by_key_implILNS1_25lookback_scan_determinismE0ELb1ES3_N6thrust23THRUST_200600_302600_NS6detail15normal_iteratorINS9_10device_ptrIxEEEESE_SE_xNS9_10multipliesIxEENS9_8equal_toIxEExEE10hipError_tPvRmT2_T3_T4_T5_mT6_T7_P12ihipStream_tbENKUlT_T0_E_clISt17integral_constantIbLb0EESZ_EEDaSU_SV_EUlSU_E_NS1_11comp_targetILNS1_3genE3ELNS1_11target_archE908ELNS1_3gpuE7ELNS1_3repE0EEENS1_30default_config_static_selectorELNS0_4arch9wavefront6targetE0EEEvT1_.numbered_sgpr, 0
	.set _ZN7rocprim17ROCPRIM_400000_NS6detail17trampoline_kernelINS0_14default_configENS1_27scan_by_key_config_selectorIxxEEZZNS1_16scan_by_key_implILNS1_25lookback_scan_determinismE0ELb1ES3_N6thrust23THRUST_200600_302600_NS6detail15normal_iteratorINS9_10device_ptrIxEEEESE_SE_xNS9_10multipliesIxEENS9_8equal_toIxEExEE10hipError_tPvRmT2_T3_T4_T5_mT6_T7_P12ihipStream_tbENKUlT_T0_E_clISt17integral_constantIbLb0EESZ_EEDaSU_SV_EUlSU_E_NS1_11comp_targetILNS1_3genE3ELNS1_11target_archE908ELNS1_3gpuE7ELNS1_3repE0EEENS1_30default_config_static_selectorELNS0_4arch9wavefront6targetE0EEEvT1_.num_named_barrier, 0
	.set _ZN7rocprim17ROCPRIM_400000_NS6detail17trampoline_kernelINS0_14default_configENS1_27scan_by_key_config_selectorIxxEEZZNS1_16scan_by_key_implILNS1_25lookback_scan_determinismE0ELb1ES3_N6thrust23THRUST_200600_302600_NS6detail15normal_iteratorINS9_10device_ptrIxEEEESE_SE_xNS9_10multipliesIxEENS9_8equal_toIxEExEE10hipError_tPvRmT2_T3_T4_T5_mT6_T7_P12ihipStream_tbENKUlT_T0_E_clISt17integral_constantIbLb0EESZ_EEDaSU_SV_EUlSU_E_NS1_11comp_targetILNS1_3genE3ELNS1_11target_archE908ELNS1_3gpuE7ELNS1_3repE0EEENS1_30default_config_static_selectorELNS0_4arch9wavefront6targetE0EEEvT1_.private_seg_size, 0
	.set _ZN7rocprim17ROCPRIM_400000_NS6detail17trampoline_kernelINS0_14default_configENS1_27scan_by_key_config_selectorIxxEEZZNS1_16scan_by_key_implILNS1_25lookback_scan_determinismE0ELb1ES3_N6thrust23THRUST_200600_302600_NS6detail15normal_iteratorINS9_10device_ptrIxEEEESE_SE_xNS9_10multipliesIxEENS9_8equal_toIxEExEE10hipError_tPvRmT2_T3_T4_T5_mT6_T7_P12ihipStream_tbENKUlT_T0_E_clISt17integral_constantIbLb0EESZ_EEDaSU_SV_EUlSU_E_NS1_11comp_targetILNS1_3genE3ELNS1_11target_archE908ELNS1_3gpuE7ELNS1_3repE0EEENS1_30default_config_static_selectorELNS0_4arch9wavefront6targetE0EEEvT1_.uses_vcc, 0
	.set _ZN7rocprim17ROCPRIM_400000_NS6detail17trampoline_kernelINS0_14default_configENS1_27scan_by_key_config_selectorIxxEEZZNS1_16scan_by_key_implILNS1_25lookback_scan_determinismE0ELb1ES3_N6thrust23THRUST_200600_302600_NS6detail15normal_iteratorINS9_10device_ptrIxEEEESE_SE_xNS9_10multipliesIxEENS9_8equal_toIxEExEE10hipError_tPvRmT2_T3_T4_T5_mT6_T7_P12ihipStream_tbENKUlT_T0_E_clISt17integral_constantIbLb0EESZ_EEDaSU_SV_EUlSU_E_NS1_11comp_targetILNS1_3genE3ELNS1_11target_archE908ELNS1_3gpuE7ELNS1_3repE0EEENS1_30default_config_static_selectorELNS0_4arch9wavefront6targetE0EEEvT1_.uses_flat_scratch, 0
	.set _ZN7rocprim17ROCPRIM_400000_NS6detail17trampoline_kernelINS0_14default_configENS1_27scan_by_key_config_selectorIxxEEZZNS1_16scan_by_key_implILNS1_25lookback_scan_determinismE0ELb1ES3_N6thrust23THRUST_200600_302600_NS6detail15normal_iteratorINS9_10device_ptrIxEEEESE_SE_xNS9_10multipliesIxEENS9_8equal_toIxEExEE10hipError_tPvRmT2_T3_T4_T5_mT6_T7_P12ihipStream_tbENKUlT_T0_E_clISt17integral_constantIbLb0EESZ_EEDaSU_SV_EUlSU_E_NS1_11comp_targetILNS1_3genE3ELNS1_11target_archE908ELNS1_3gpuE7ELNS1_3repE0EEENS1_30default_config_static_selectorELNS0_4arch9wavefront6targetE0EEEvT1_.has_dyn_sized_stack, 0
	.set _ZN7rocprim17ROCPRIM_400000_NS6detail17trampoline_kernelINS0_14default_configENS1_27scan_by_key_config_selectorIxxEEZZNS1_16scan_by_key_implILNS1_25lookback_scan_determinismE0ELb1ES3_N6thrust23THRUST_200600_302600_NS6detail15normal_iteratorINS9_10device_ptrIxEEEESE_SE_xNS9_10multipliesIxEENS9_8equal_toIxEExEE10hipError_tPvRmT2_T3_T4_T5_mT6_T7_P12ihipStream_tbENKUlT_T0_E_clISt17integral_constantIbLb0EESZ_EEDaSU_SV_EUlSU_E_NS1_11comp_targetILNS1_3genE3ELNS1_11target_archE908ELNS1_3gpuE7ELNS1_3repE0EEENS1_30default_config_static_selectorELNS0_4arch9wavefront6targetE0EEEvT1_.has_recursion, 0
	.set _ZN7rocprim17ROCPRIM_400000_NS6detail17trampoline_kernelINS0_14default_configENS1_27scan_by_key_config_selectorIxxEEZZNS1_16scan_by_key_implILNS1_25lookback_scan_determinismE0ELb1ES3_N6thrust23THRUST_200600_302600_NS6detail15normal_iteratorINS9_10device_ptrIxEEEESE_SE_xNS9_10multipliesIxEENS9_8equal_toIxEExEE10hipError_tPvRmT2_T3_T4_T5_mT6_T7_P12ihipStream_tbENKUlT_T0_E_clISt17integral_constantIbLb0EESZ_EEDaSU_SV_EUlSU_E_NS1_11comp_targetILNS1_3genE3ELNS1_11target_archE908ELNS1_3gpuE7ELNS1_3repE0EEENS1_30default_config_static_selectorELNS0_4arch9wavefront6targetE0EEEvT1_.has_indirect_call, 0
	.section	.AMDGPU.csdata,"",@progbits
; Kernel info:
; codeLenInByte = 0
; TotalNumSgprs: 0
; NumVgprs: 0
; ScratchSize: 0
; MemoryBound: 0
; FloatMode: 240
; IeeeMode: 1
; LDSByteSize: 0 bytes/workgroup (compile time only)
; SGPRBlocks: 0
; VGPRBlocks: 0
; NumSGPRsForWavesPerEU: 1
; NumVGPRsForWavesPerEU: 1
; NamedBarCnt: 0
; Occupancy: 16
; WaveLimiterHint : 0
; COMPUTE_PGM_RSRC2:SCRATCH_EN: 0
; COMPUTE_PGM_RSRC2:USER_SGPR: 2
; COMPUTE_PGM_RSRC2:TRAP_HANDLER: 0
; COMPUTE_PGM_RSRC2:TGID_X_EN: 1
; COMPUTE_PGM_RSRC2:TGID_Y_EN: 0
; COMPUTE_PGM_RSRC2:TGID_Z_EN: 0
; COMPUTE_PGM_RSRC2:TIDIG_COMP_CNT: 0
	.section	.text._ZN7rocprim17ROCPRIM_400000_NS6detail17trampoline_kernelINS0_14default_configENS1_27scan_by_key_config_selectorIxxEEZZNS1_16scan_by_key_implILNS1_25lookback_scan_determinismE0ELb1ES3_N6thrust23THRUST_200600_302600_NS6detail15normal_iteratorINS9_10device_ptrIxEEEESE_SE_xNS9_10multipliesIxEENS9_8equal_toIxEExEE10hipError_tPvRmT2_T3_T4_T5_mT6_T7_P12ihipStream_tbENKUlT_T0_E_clISt17integral_constantIbLb0EESZ_EEDaSU_SV_EUlSU_E_NS1_11comp_targetILNS1_3genE2ELNS1_11target_archE906ELNS1_3gpuE6ELNS1_3repE0EEENS1_30default_config_static_selectorELNS0_4arch9wavefront6targetE0EEEvT1_,"axG",@progbits,_ZN7rocprim17ROCPRIM_400000_NS6detail17trampoline_kernelINS0_14default_configENS1_27scan_by_key_config_selectorIxxEEZZNS1_16scan_by_key_implILNS1_25lookback_scan_determinismE0ELb1ES3_N6thrust23THRUST_200600_302600_NS6detail15normal_iteratorINS9_10device_ptrIxEEEESE_SE_xNS9_10multipliesIxEENS9_8equal_toIxEExEE10hipError_tPvRmT2_T3_T4_T5_mT6_T7_P12ihipStream_tbENKUlT_T0_E_clISt17integral_constantIbLb0EESZ_EEDaSU_SV_EUlSU_E_NS1_11comp_targetILNS1_3genE2ELNS1_11target_archE906ELNS1_3gpuE6ELNS1_3repE0EEENS1_30default_config_static_selectorELNS0_4arch9wavefront6targetE0EEEvT1_,comdat
	.protected	_ZN7rocprim17ROCPRIM_400000_NS6detail17trampoline_kernelINS0_14default_configENS1_27scan_by_key_config_selectorIxxEEZZNS1_16scan_by_key_implILNS1_25lookback_scan_determinismE0ELb1ES3_N6thrust23THRUST_200600_302600_NS6detail15normal_iteratorINS9_10device_ptrIxEEEESE_SE_xNS9_10multipliesIxEENS9_8equal_toIxEExEE10hipError_tPvRmT2_T3_T4_T5_mT6_T7_P12ihipStream_tbENKUlT_T0_E_clISt17integral_constantIbLb0EESZ_EEDaSU_SV_EUlSU_E_NS1_11comp_targetILNS1_3genE2ELNS1_11target_archE906ELNS1_3gpuE6ELNS1_3repE0EEENS1_30default_config_static_selectorELNS0_4arch9wavefront6targetE0EEEvT1_ ; -- Begin function _ZN7rocprim17ROCPRIM_400000_NS6detail17trampoline_kernelINS0_14default_configENS1_27scan_by_key_config_selectorIxxEEZZNS1_16scan_by_key_implILNS1_25lookback_scan_determinismE0ELb1ES3_N6thrust23THRUST_200600_302600_NS6detail15normal_iteratorINS9_10device_ptrIxEEEESE_SE_xNS9_10multipliesIxEENS9_8equal_toIxEExEE10hipError_tPvRmT2_T3_T4_T5_mT6_T7_P12ihipStream_tbENKUlT_T0_E_clISt17integral_constantIbLb0EESZ_EEDaSU_SV_EUlSU_E_NS1_11comp_targetILNS1_3genE2ELNS1_11target_archE906ELNS1_3gpuE6ELNS1_3repE0EEENS1_30default_config_static_selectorELNS0_4arch9wavefront6targetE0EEEvT1_
	.globl	_ZN7rocprim17ROCPRIM_400000_NS6detail17trampoline_kernelINS0_14default_configENS1_27scan_by_key_config_selectorIxxEEZZNS1_16scan_by_key_implILNS1_25lookback_scan_determinismE0ELb1ES3_N6thrust23THRUST_200600_302600_NS6detail15normal_iteratorINS9_10device_ptrIxEEEESE_SE_xNS9_10multipliesIxEENS9_8equal_toIxEExEE10hipError_tPvRmT2_T3_T4_T5_mT6_T7_P12ihipStream_tbENKUlT_T0_E_clISt17integral_constantIbLb0EESZ_EEDaSU_SV_EUlSU_E_NS1_11comp_targetILNS1_3genE2ELNS1_11target_archE906ELNS1_3gpuE6ELNS1_3repE0EEENS1_30default_config_static_selectorELNS0_4arch9wavefront6targetE0EEEvT1_
	.p2align	8
	.type	_ZN7rocprim17ROCPRIM_400000_NS6detail17trampoline_kernelINS0_14default_configENS1_27scan_by_key_config_selectorIxxEEZZNS1_16scan_by_key_implILNS1_25lookback_scan_determinismE0ELb1ES3_N6thrust23THRUST_200600_302600_NS6detail15normal_iteratorINS9_10device_ptrIxEEEESE_SE_xNS9_10multipliesIxEENS9_8equal_toIxEExEE10hipError_tPvRmT2_T3_T4_T5_mT6_T7_P12ihipStream_tbENKUlT_T0_E_clISt17integral_constantIbLb0EESZ_EEDaSU_SV_EUlSU_E_NS1_11comp_targetILNS1_3genE2ELNS1_11target_archE906ELNS1_3gpuE6ELNS1_3repE0EEENS1_30default_config_static_selectorELNS0_4arch9wavefront6targetE0EEEvT1_,@function
_ZN7rocprim17ROCPRIM_400000_NS6detail17trampoline_kernelINS0_14default_configENS1_27scan_by_key_config_selectorIxxEEZZNS1_16scan_by_key_implILNS1_25lookback_scan_determinismE0ELb1ES3_N6thrust23THRUST_200600_302600_NS6detail15normal_iteratorINS9_10device_ptrIxEEEESE_SE_xNS9_10multipliesIxEENS9_8equal_toIxEExEE10hipError_tPvRmT2_T3_T4_T5_mT6_T7_P12ihipStream_tbENKUlT_T0_E_clISt17integral_constantIbLb0EESZ_EEDaSU_SV_EUlSU_E_NS1_11comp_targetILNS1_3genE2ELNS1_11target_archE906ELNS1_3gpuE6ELNS1_3repE0EEENS1_30default_config_static_selectorELNS0_4arch9wavefront6targetE0EEEvT1_: ; @_ZN7rocprim17ROCPRIM_400000_NS6detail17trampoline_kernelINS0_14default_configENS1_27scan_by_key_config_selectorIxxEEZZNS1_16scan_by_key_implILNS1_25lookback_scan_determinismE0ELb1ES3_N6thrust23THRUST_200600_302600_NS6detail15normal_iteratorINS9_10device_ptrIxEEEESE_SE_xNS9_10multipliesIxEENS9_8equal_toIxEExEE10hipError_tPvRmT2_T3_T4_T5_mT6_T7_P12ihipStream_tbENKUlT_T0_E_clISt17integral_constantIbLb0EESZ_EEDaSU_SV_EUlSU_E_NS1_11comp_targetILNS1_3genE2ELNS1_11target_archE906ELNS1_3gpuE6ELNS1_3repE0EEENS1_30default_config_static_selectorELNS0_4arch9wavefront6targetE0EEEvT1_
; %bb.0:
	.section	.rodata,"a",@progbits
	.p2align	6, 0x0
	.amdhsa_kernel _ZN7rocprim17ROCPRIM_400000_NS6detail17trampoline_kernelINS0_14default_configENS1_27scan_by_key_config_selectorIxxEEZZNS1_16scan_by_key_implILNS1_25lookback_scan_determinismE0ELb1ES3_N6thrust23THRUST_200600_302600_NS6detail15normal_iteratorINS9_10device_ptrIxEEEESE_SE_xNS9_10multipliesIxEENS9_8equal_toIxEExEE10hipError_tPvRmT2_T3_T4_T5_mT6_T7_P12ihipStream_tbENKUlT_T0_E_clISt17integral_constantIbLb0EESZ_EEDaSU_SV_EUlSU_E_NS1_11comp_targetILNS1_3genE2ELNS1_11target_archE906ELNS1_3gpuE6ELNS1_3repE0EEENS1_30default_config_static_selectorELNS0_4arch9wavefront6targetE0EEEvT1_
		.amdhsa_group_segment_fixed_size 0
		.amdhsa_private_segment_fixed_size 0
		.amdhsa_kernarg_size 136
		.amdhsa_user_sgpr_count 2
		.amdhsa_user_sgpr_dispatch_ptr 0
		.amdhsa_user_sgpr_queue_ptr 0
		.amdhsa_user_sgpr_kernarg_segment_ptr 1
		.amdhsa_user_sgpr_dispatch_id 0
		.amdhsa_user_sgpr_kernarg_preload_length 0
		.amdhsa_user_sgpr_kernarg_preload_offset 0
		.amdhsa_user_sgpr_private_segment_size 0
		.amdhsa_wavefront_size32 1
		.amdhsa_uses_dynamic_stack 0
		.amdhsa_enable_private_segment 0
		.amdhsa_system_sgpr_workgroup_id_x 1
		.amdhsa_system_sgpr_workgroup_id_y 0
		.amdhsa_system_sgpr_workgroup_id_z 0
		.amdhsa_system_sgpr_workgroup_info 0
		.amdhsa_system_vgpr_workitem_id 0
		.amdhsa_next_free_vgpr 1
		.amdhsa_next_free_sgpr 1
		.amdhsa_named_barrier_count 0
		.amdhsa_reserve_vcc 0
		.amdhsa_float_round_mode_32 0
		.amdhsa_float_round_mode_16_64 0
		.amdhsa_float_denorm_mode_32 3
		.amdhsa_float_denorm_mode_16_64 3
		.amdhsa_fp16_overflow 0
		.amdhsa_memory_ordered 1
		.amdhsa_forward_progress 1
		.amdhsa_inst_pref_size 0
		.amdhsa_round_robin_scheduling 0
		.amdhsa_exception_fp_ieee_invalid_op 0
		.amdhsa_exception_fp_denorm_src 0
		.amdhsa_exception_fp_ieee_div_zero 0
		.amdhsa_exception_fp_ieee_overflow 0
		.amdhsa_exception_fp_ieee_underflow 0
		.amdhsa_exception_fp_ieee_inexact 0
		.amdhsa_exception_int_div_zero 0
	.end_amdhsa_kernel
	.section	.text._ZN7rocprim17ROCPRIM_400000_NS6detail17trampoline_kernelINS0_14default_configENS1_27scan_by_key_config_selectorIxxEEZZNS1_16scan_by_key_implILNS1_25lookback_scan_determinismE0ELb1ES3_N6thrust23THRUST_200600_302600_NS6detail15normal_iteratorINS9_10device_ptrIxEEEESE_SE_xNS9_10multipliesIxEENS9_8equal_toIxEExEE10hipError_tPvRmT2_T3_T4_T5_mT6_T7_P12ihipStream_tbENKUlT_T0_E_clISt17integral_constantIbLb0EESZ_EEDaSU_SV_EUlSU_E_NS1_11comp_targetILNS1_3genE2ELNS1_11target_archE906ELNS1_3gpuE6ELNS1_3repE0EEENS1_30default_config_static_selectorELNS0_4arch9wavefront6targetE0EEEvT1_,"axG",@progbits,_ZN7rocprim17ROCPRIM_400000_NS6detail17trampoline_kernelINS0_14default_configENS1_27scan_by_key_config_selectorIxxEEZZNS1_16scan_by_key_implILNS1_25lookback_scan_determinismE0ELb1ES3_N6thrust23THRUST_200600_302600_NS6detail15normal_iteratorINS9_10device_ptrIxEEEESE_SE_xNS9_10multipliesIxEENS9_8equal_toIxEExEE10hipError_tPvRmT2_T3_T4_T5_mT6_T7_P12ihipStream_tbENKUlT_T0_E_clISt17integral_constantIbLb0EESZ_EEDaSU_SV_EUlSU_E_NS1_11comp_targetILNS1_3genE2ELNS1_11target_archE906ELNS1_3gpuE6ELNS1_3repE0EEENS1_30default_config_static_selectorELNS0_4arch9wavefront6targetE0EEEvT1_,comdat
.Lfunc_end394:
	.size	_ZN7rocprim17ROCPRIM_400000_NS6detail17trampoline_kernelINS0_14default_configENS1_27scan_by_key_config_selectorIxxEEZZNS1_16scan_by_key_implILNS1_25lookback_scan_determinismE0ELb1ES3_N6thrust23THRUST_200600_302600_NS6detail15normal_iteratorINS9_10device_ptrIxEEEESE_SE_xNS9_10multipliesIxEENS9_8equal_toIxEExEE10hipError_tPvRmT2_T3_T4_T5_mT6_T7_P12ihipStream_tbENKUlT_T0_E_clISt17integral_constantIbLb0EESZ_EEDaSU_SV_EUlSU_E_NS1_11comp_targetILNS1_3genE2ELNS1_11target_archE906ELNS1_3gpuE6ELNS1_3repE0EEENS1_30default_config_static_selectorELNS0_4arch9wavefront6targetE0EEEvT1_, .Lfunc_end394-_ZN7rocprim17ROCPRIM_400000_NS6detail17trampoline_kernelINS0_14default_configENS1_27scan_by_key_config_selectorIxxEEZZNS1_16scan_by_key_implILNS1_25lookback_scan_determinismE0ELb1ES3_N6thrust23THRUST_200600_302600_NS6detail15normal_iteratorINS9_10device_ptrIxEEEESE_SE_xNS9_10multipliesIxEENS9_8equal_toIxEExEE10hipError_tPvRmT2_T3_T4_T5_mT6_T7_P12ihipStream_tbENKUlT_T0_E_clISt17integral_constantIbLb0EESZ_EEDaSU_SV_EUlSU_E_NS1_11comp_targetILNS1_3genE2ELNS1_11target_archE906ELNS1_3gpuE6ELNS1_3repE0EEENS1_30default_config_static_selectorELNS0_4arch9wavefront6targetE0EEEvT1_
                                        ; -- End function
	.set _ZN7rocprim17ROCPRIM_400000_NS6detail17trampoline_kernelINS0_14default_configENS1_27scan_by_key_config_selectorIxxEEZZNS1_16scan_by_key_implILNS1_25lookback_scan_determinismE0ELb1ES3_N6thrust23THRUST_200600_302600_NS6detail15normal_iteratorINS9_10device_ptrIxEEEESE_SE_xNS9_10multipliesIxEENS9_8equal_toIxEExEE10hipError_tPvRmT2_T3_T4_T5_mT6_T7_P12ihipStream_tbENKUlT_T0_E_clISt17integral_constantIbLb0EESZ_EEDaSU_SV_EUlSU_E_NS1_11comp_targetILNS1_3genE2ELNS1_11target_archE906ELNS1_3gpuE6ELNS1_3repE0EEENS1_30default_config_static_selectorELNS0_4arch9wavefront6targetE0EEEvT1_.num_vgpr, 0
	.set _ZN7rocprim17ROCPRIM_400000_NS6detail17trampoline_kernelINS0_14default_configENS1_27scan_by_key_config_selectorIxxEEZZNS1_16scan_by_key_implILNS1_25lookback_scan_determinismE0ELb1ES3_N6thrust23THRUST_200600_302600_NS6detail15normal_iteratorINS9_10device_ptrIxEEEESE_SE_xNS9_10multipliesIxEENS9_8equal_toIxEExEE10hipError_tPvRmT2_T3_T4_T5_mT6_T7_P12ihipStream_tbENKUlT_T0_E_clISt17integral_constantIbLb0EESZ_EEDaSU_SV_EUlSU_E_NS1_11comp_targetILNS1_3genE2ELNS1_11target_archE906ELNS1_3gpuE6ELNS1_3repE0EEENS1_30default_config_static_selectorELNS0_4arch9wavefront6targetE0EEEvT1_.num_agpr, 0
	.set _ZN7rocprim17ROCPRIM_400000_NS6detail17trampoline_kernelINS0_14default_configENS1_27scan_by_key_config_selectorIxxEEZZNS1_16scan_by_key_implILNS1_25lookback_scan_determinismE0ELb1ES3_N6thrust23THRUST_200600_302600_NS6detail15normal_iteratorINS9_10device_ptrIxEEEESE_SE_xNS9_10multipliesIxEENS9_8equal_toIxEExEE10hipError_tPvRmT2_T3_T4_T5_mT6_T7_P12ihipStream_tbENKUlT_T0_E_clISt17integral_constantIbLb0EESZ_EEDaSU_SV_EUlSU_E_NS1_11comp_targetILNS1_3genE2ELNS1_11target_archE906ELNS1_3gpuE6ELNS1_3repE0EEENS1_30default_config_static_selectorELNS0_4arch9wavefront6targetE0EEEvT1_.numbered_sgpr, 0
	.set _ZN7rocprim17ROCPRIM_400000_NS6detail17trampoline_kernelINS0_14default_configENS1_27scan_by_key_config_selectorIxxEEZZNS1_16scan_by_key_implILNS1_25lookback_scan_determinismE0ELb1ES3_N6thrust23THRUST_200600_302600_NS6detail15normal_iteratorINS9_10device_ptrIxEEEESE_SE_xNS9_10multipliesIxEENS9_8equal_toIxEExEE10hipError_tPvRmT2_T3_T4_T5_mT6_T7_P12ihipStream_tbENKUlT_T0_E_clISt17integral_constantIbLb0EESZ_EEDaSU_SV_EUlSU_E_NS1_11comp_targetILNS1_3genE2ELNS1_11target_archE906ELNS1_3gpuE6ELNS1_3repE0EEENS1_30default_config_static_selectorELNS0_4arch9wavefront6targetE0EEEvT1_.num_named_barrier, 0
	.set _ZN7rocprim17ROCPRIM_400000_NS6detail17trampoline_kernelINS0_14default_configENS1_27scan_by_key_config_selectorIxxEEZZNS1_16scan_by_key_implILNS1_25lookback_scan_determinismE0ELb1ES3_N6thrust23THRUST_200600_302600_NS6detail15normal_iteratorINS9_10device_ptrIxEEEESE_SE_xNS9_10multipliesIxEENS9_8equal_toIxEExEE10hipError_tPvRmT2_T3_T4_T5_mT6_T7_P12ihipStream_tbENKUlT_T0_E_clISt17integral_constantIbLb0EESZ_EEDaSU_SV_EUlSU_E_NS1_11comp_targetILNS1_3genE2ELNS1_11target_archE906ELNS1_3gpuE6ELNS1_3repE0EEENS1_30default_config_static_selectorELNS0_4arch9wavefront6targetE0EEEvT1_.private_seg_size, 0
	.set _ZN7rocprim17ROCPRIM_400000_NS6detail17trampoline_kernelINS0_14default_configENS1_27scan_by_key_config_selectorIxxEEZZNS1_16scan_by_key_implILNS1_25lookback_scan_determinismE0ELb1ES3_N6thrust23THRUST_200600_302600_NS6detail15normal_iteratorINS9_10device_ptrIxEEEESE_SE_xNS9_10multipliesIxEENS9_8equal_toIxEExEE10hipError_tPvRmT2_T3_T4_T5_mT6_T7_P12ihipStream_tbENKUlT_T0_E_clISt17integral_constantIbLb0EESZ_EEDaSU_SV_EUlSU_E_NS1_11comp_targetILNS1_3genE2ELNS1_11target_archE906ELNS1_3gpuE6ELNS1_3repE0EEENS1_30default_config_static_selectorELNS0_4arch9wavefront6targetE0EEEvT1_.uses_vcc, 0
	.set _ZN7rocprim17ROCPRIM_400000_NS6detail17trampoline_kernelINS0_14default_configENS1_27scan_by_key_config_selectorIxxEEZZNS1_16scan_by_key_implILNS1_25lookback_scan_determinismE0ELb1ES3_N6thrust23THRUST_200600_302600_NS6detail15normal_iteratorINS9_10device_ptrIxEEEESE_SE_xNS9_10multipliesIxEENS9_8equal_toIxEExEE10hipError_tPvRmT2_T3_T4_T5_mT6_T7_P12ihipStream_tbENKUlT_T0_E_clISt17integral_constantIbLb0EESZ_EEDaSU_SV_EUlSU_E_NS1_11comp_targetILNS1_3genE2ELNS1_11target_archE906ELNS1_3gpuE6ELNS1_3repE0EEENS1_30default_config_static_selectorELNS0_4arch9wavefront6targetE0EEEvT1_.uses_flat_scratch, 0
	.set _ZN7rocprim17ROCPRIM_400000_NS6detail17trampoline_kernelINS0_14default_configENS1_27scan_by_key_config_selectorIxxEEZZNS1_16scan_by_key_implILNS1_25lookback_scan_determinismE0ELb1ES3_N6thrust23THRUST_200600_302600_NS6detail15normal_iteratorINS9_10device_ptrIxEEEESE_SE_xNS9_10multipliesIxEENS9_8equal_toIxEExEE10hipError_tPvRmT2_T3_T4_T5_mT6_T7_P12ihipStream_tbENKUlT_T0_E_clISt17integral_constantIbLb0EESZ_EEDaSU_SV_EUlSU_E_NS1_11comp_targetILNS1_3genE2ELNS1_11target_archE906ELNS1_3gpuE6ELNS1_3repE0EEENS1_30default_config_static_selectorELNS0_4arch9wavefront6targetE0EEEvT1_.has_dyn_sized_stack, 0
	.set _ZN7rocprim17ROCPRIM_400000_NS6detail17trampoline_kernelINS0_14default_configENS1_27scan_by_key_config_selectorIxxEEZZNS1_16scan_by_key_implILNS1_25lookback_scan_determinismE0ELb1ES3_N6thrust23THRUST_200600_302600_NS6detail15normal_iteratorINS9_10device_ptrIxEEEESE_SE_xNS9_10multipliesIxEENS9_8equal_toIxEExEE10hipError_tPvRmT2_T3_T4_T5_mT6_T7_P12ihipStream_tbENKUlT_T0_E_clISt17integral_constantIbLb0EESZ_EEDaSU_SV_EUlSU_E_NS1_11comp_targetILNS1_3genE2ELNS1_11target_archE906ELNS1_3gpuE6ELNS1_3repE0EEENS1_30default_config_static_selectorELNS0_4arch9wavefront6targetE0EEEvT1_.has_recursion, 0
	.set _ZN7rocprim17ROCPRIM_400000_NS6detail17trampoline_kernelINS0_14default_configENS1_27scan_by_key_config_selectorIxxEEZZNS1_16scan_by_key_implILNS1_25lookback_scan_determinismE0ELb1ES3_N6thrust23THRUST_200600_302600_NS6detail15normal_iteratorINS9_10device_ptrIxEEEESE_SE_xNS9_10multipliesIxEENS9_8equal_toIxEExEE10hipError_tPvRmT2_T3_T4_T5_mT6_T7_P12ihipStream_tbENKUlT_T0_E_clISt17integral_constantIbLb0EESZ_EEDaSU_SV_EUlSU_E_NS1_11comp_targetILNS1_3genE2ELNS1_11target_archE906ELNS1_3gpuE6ELNS1_3repE0EEENS1_30default_config_static_selectorELNS0_4arch9wavefront6targetE0EEEvT1_.has_indirect_call, 0
	.section	.AMDGPU.csdata,"",@progbits
; Kernel info:
; codeLenInByte = 0
; TotalNumSgprs: 0
; NumVgprs: 0
; ScratchSize: 0
; MemoryBound: 0
; FloatMode: 240
; IeeeMode: 1
; LDSByteSize: 0 bytes/workgroup (compile time only)
; SGPRBlocks: 0
; VGPRBlocks: 0
; NumSGPRsForWavesPerEU: 1
; NumVGPRsForWavesPerEU: 1
; NamedBarCnt: 0
; Occupancy: 16
; WaveLimiterHint : 0
; COMPUTE_PGM_RSRC2:SCRATCH_EN: 0
; COMPUTE_PGM_RSRC2:USER_SGPR: 2
; COMPUTE_PGM_RSRC2:TRAP_HANDLER: 0
; COMPUTE_PGM_RSRC2:TGID_X_EN: 1
; COMPUTE_PGM_RSRC2:TGID_Y_EN: 0
; COMPUTE_PGM_RSRC2:TGID_Z_EN: 0
; COMPUTE_PGM_RSRC2:TIDIG_COMP_CNT: 0
	.section	.text._ZN7rocprim17ROCPRIM_400000_NS6detail17trampoline_kernelINS0_14default_configENS1_27scan_by_key_config_selectorIxxEEZZNS1_16scan_by_key_implILNS1_25lookback_scan_determinismE0ELb1ES3_N6thrust23THRUST_200600_302600_NS6detail15normal_iteratorINS9_10device_ptrIxEEEESE_SE_xNS9_10multipliesIxEENS9_8equal_toIxEExEE10hipError_tPvRmT2_T3_T4_T5_mT6_T7_P12ihipStream_tbENKUlT_T0_E_clISt17integral_constantIbLb0EESZ_EEDaSU_SV_EUlSU_E_NS1_11comp_targetILNS1_3genE10ELNS1_11target_archE1200ELNS1_3gpuE4ELNS1_3repE0EEENS1_30default_config_static_selectorELNS0_4arch9wavefront6targetE0EEEvT1_,"axG",@progbits,_ZN7rocprim17ROCPRIM_400000_NS6detail17trampoline_kernelINS0_14default_configENS1_27scan_by_key_config_selectorIxxEEZZNS1_16scan_by_key_implILNS1_25lookback_scan_determinismE0ELb1ES3_N6thrust23THRUST_200600_302600_NS6detail15normal_iteratorINS9_10device_ptrIxEEEESE_SE_xNS9_10multipliesIxEENS9_8equal_toIxEExEE10hipError_tPvRmT2_T3_T4_T5_mT6_T7_P12ihipStream_tbENKUlT_T0_E_clISt17integral_constantIbLb0EESZ_EEDaSU_SV_EUlSU_E_NS1_11comp_targetILNS1_3genE10ELNS1_11target_archE1200ELNS1_3gpuE4ELNS1_3repE0EEENS1_30default_config_static_selectorELNS0_4arch9wavefront6targetE0EEEvT1_,comdat
	.protected	_ZN7rocprim17ROCPRIM_400000_NS6detail17trampoline_kernelINS0_14default_configENS1_27scan_by_key_config_selectorIxxEEZZNS1_16scan_by_key_implILNS1_25lookback_scan_determinismE0ELb1ES3_N6thrust23THRUST_200600_302600_NS6detail15normal_iteratorINS9_10device_ptrIxEEEESE_SE_xNS9_10multipliesIxEENS9_8equal_toIxEExEE10hipError_tPvRmT2_T3_T4_T5_mT6_T7_P12ihipStream_tbENKUlT_T0_E_clISt17integral_constantIbLb0EESZ_EEDaSU_SV_EUlSU_E_NS1_11comp_targetILNS1_3genE10ELNS1_11target_archE1200ELNS1_3gpuE4ELNS1_3repE0EEENS1_30default_config_static_selectorELNS0_4arch9wavefront6targetE0EEEvT1_ ; -- Begin function _ZN7rocprim17ROCPRIM_400000_NS6detail17trampoline_kernelINS0_14default_configENS1_27scan_by_key_config_selectorIxxEEZZNS1_16scan_by_key_implILNS1_25lookback_scan_determinismE0ELb1ES3_N6thrust23THRUST_200600_302600_NS6detail15normal_iteratorINS9_10device_ptrIxEEEESE_SE_xNS9_10multipliesIxEENS9_8equal_toIxEExEE10hipError_tPvRmT2_T3_T4_T5_mT6_T7_P12ihipStream_tbENKUlT_T0_E_clISt17integral_constantIbLb0EESZ_EEDaSU_SV_EUlSU_E_NS1_11comp_targetILNS1_3genE10ELNS1_11target_archE1200ELNS1_3gpuE4ELNS1_3repE0EEENS1_30default_config_static_selectorELNS0_4arch9wavefront6targetE0EEEvT1_
	.globl	_ZN7rocprim17ROCPRIM_400000_NS6detail17trampoline_kernelINS0_14default_configENS1_27scan_by_key_config_selectorIxxEEZZNS1_16scan_by_key_implILNS1_25lookback_scan_determinismE0ELb1ES3_N6thrust23THRUST_200600_302600_NS6detail15normal_iteratorINS9_10device_ptrIxEEEESE_SE_xNS9_10multipliesIxEENS9_8equal_toIxEExEE10hipError_tPvRmT2_T3_T4_T5_mT6_T7_P12ihipStream_tbENKUlT_T0_E_clISt17integral_constantIbLb0EESZ_EEDaSU_SV_EUlSU_E_NS1_11comp_targetILNS1_3genE10ELNS1_11target_archE1200ELNS1_3gpuE4ELNS1_3repE0EEENS1_30default_config_static_selectorELNS0_4arch9wavefront6targetE0EEEvT1_
	.p2align	8
	.type	_ZN7rocprim17ROCPRIM_400000_NS6detail17trampoline_kernelINS0_14default_configENS1_27scan_by_key_config_selectorIxxEEZZNS1_16scan_by_key_implILNS1_25lookback_scan_determinismE0ELb1ES3_N6thrust23THRUST_200600_302600_NS6detail15normal_iteratorINS9_10device_ptrIxEEEESE_SE_xNS9_10multipliesIxEENS9_8equal_toIxEExEE10hipError_tPvRmT2_T3_T4_T5_mT6_T7_P12ihipStream_tbENKUlT_T0_E_clISt17integral_constantIbLb0EESZ_EEDaSU_SV_EUlSU_E_NS1_11comp_targetILNS1_3genE10ELNS1_11target_archE1200ELNS1_3gpuE4ELNS1_3repE0EEENS1_30default_config_static_selectorELNS0_4arch9wavefront6targetE0EEEvT1_,@function
_ZN7rocprim17ROCPRIM_400000_NS6detail17trampoline_kernelINS0_14default_configENS1_27scan_by_key_config_selectorIxxEEZZNS1_16scan_by_key_implILNS1_25lookback_scan_determinismE0ELb1ES3_N6thrust23THRUST_200600_302600_NS6detail15normal_iteratorINS9_10device_ptrIxEEEESE_SE_xNS9_10multipliesIxEENS9_8equal_toIxEExEE10hipError_tPvRmT2_T3_T4_T5_mT6_T7_P12ihipStream_tbENKUlT_T0_E_clISt17integral_constantIbLb0EESZ_EEDaSU_SV_EUlSU_E_NS1_11comp_targetILNS1_3genE10ELNS1_11target_archE1200ELNS1_3gpuE4ELNS1_3repE0EEENS1_30default_config_static_selectorELNS0_4arch9wavefront6targetE0EEEvT1_: ; @_ZN7rocprim17ROCPRIM_400000_NS6detail17trampoline_kernelINS0_14default_configENS1_27scan_by_key_config_selectorIxxEEZZNS1_16scan_by_key_implILNS1_25lookback_scan_determinismE0ELb1ES3_N6thrust23THRUST_200600_302600_NS6detail15normal_iteratorINS9_10device_ptrIxEEEESE_SE_xNS9_10multipliesIxEENS9_8equal_toIxEExEE10hipError_tPvRmT2_T3_T4_T5_mT6_T7_P12ihipStream_tbENKUlT_T0_E_clISt17integral_constantIbLb0EESZ_EEDaSU_SV_EUlSU_E_NS1_11comp_targetILNS1_3genE10ELNS1_11target_archE1200ELNS1_3gpuE4ELNS1_3repE0EEENS1_30default_config_static_selectorELNS0_4arch9wavefront6targetE0EEEvT1_
; %bb.0:
	.section	.rodata,"a",@progbits
	.p2align	6, 0x0
	.amdhsa_kernel _ZN7rocprim17ROCPRIM_400000_NS6detail17trampoline_kernelINS0_14default_configENS1_27scan_by_key_config_selectorIxxEEZZNS1_16scan_by_key_implILNS1_25lookback_scan_determinismE0ELb1ES3_N6thrust23THRUST_200600_302600_NS6detail15normal_iteratorINS9_10device_ptrIxEEEESE_SE_xNS9_10multipliesIxEENS9_8equal_toIxEExEE10hipError_tPvRmT2_T3_T4_T5_mT6_T7_P12ihipStream_tbENKUlT_T0_E_clISt17integral_constantIbLb0EESZ_EEDaSU_SV_EUlSU_E_NS1_11comp_targetILNS1_3genE10ELNS1_11target_archE1200ELNS1_3gpuE4ELNS1_3repE0EEENS1_30default_config_static_selectorELNS0_4arch9wavefront6targetE0EEEvT1_
		.amdhsa_group_segment_fixed_size 0
		.amdhsa_private_segment_fixed_size 0
		.amdhsa_kernarg_size 136
		.amdhsa_user_sgpr_count 2
		.amdhsa_user_sgpr_dispatch_ptr 0
		.amdhsa_user_sgpr_queue_ptr 0
		.amdhsa_user_sgpr_kernarg_segment_ptr 1
		.amdhsa_user_sgpr_dispatch_id 0
		.amdhsa_user_sgpr_kernarg_preload_length 0
		.amdhsa_user_sgpr_kernarg_preload_offset 0
		.amdhsa_user_sgpr_private_segment_size 0
		.amdhsa_wavefront_size32 1
		.amdhsa_uses_dynamic_stack 0
		.amdhsa_enable_private_segment 0
		.amdhsa_system_sgpr_workgroup_id_x 1
		.amdhsa_system_sgpr_workgroup_id_y 0
		.amdhsa_system_sgpr_workgroup_id_z 0
		.amdhsa_system_sgpr_workgroup_info 0
		.amdhsa_system_vgpr_workitem_id 0
		.amdhsa_next_free_vgpr 1
		.amdhsa_next_free_sgpr 1
		.amdhsa_named_barrier_count 0
		.amdhsa_reserve_vcc 0
		.amdhsa_float_round_mode_32 0
		.amdhsa_float_round_mode_16_64 0
		.amdhsa_float_denorm_mode_32 3
		.amdhsa_float_denorm_mode_16_64 3
		.amdhsa_fp16_overflow 0
		.amdhsa_memory_ordered 1
		.amdhsa_forward_progress 1
		.amdhsa_inst_pref_size 0
		.amdhsa_round_robin_scheduling 0
		.amdhsa_exception_fp_ieee_invalid_op 0
		.amdhsa_exception_fp_denorm_src 0
		.amdhsa_exception_fp_ieee_div_zero 0
		.amdhsa_exception_fp_ieee_overflow 0
		.amdhsa_exception_fp_ieee_underflow 0
		.amdhsa_exception_fp_ieee_inexact 0
		.amdhsa_exception_int_div_zero 0
	.end_amdhsa_kernel
	.section	.text._ZN7rocprim17ROCPRIM_400000_NS6detail17trampoline_kernelINS0_14default_configENS1_27scan_by_key_config_selectorIxxEEZZNS1_16scan_by_key_implILNS1_25lookback_scan_determinismE0ELb1ES3_N6thrust23THRUST_200600_302600_NS6detail15normal_iteratorINS9_10device_ptrIxEEEESE_SE_xNS9_10multipliesIxEENS9_8equal_toIxEExEE10hipError_tPvRmT2_T3_T4_T5_mT6_T7_P12ihipStream_tbENKUlT_T0_E_clISt17integral_constantIbLb0EESZ_EEDaSU_SV_EUlSU_E_NS1_11comp_targetILNS1_3genE10ELNS1_11target_archE1200ELNS1_3gpuE4ELNS1_3repE0EEENS1_30default_config_static_selectorELNS0_4arch9wavefront6targetE0EEEvT1_,"axG",@progbits,_ZN7rocprim17ROCPRIM_400000_NS6detail17trampoline_kernelINS0_14default_configENS1_27scan_by_key_config_selectorIxxEEZZNS1_16scan_by_key_implILNS1_25lookback_scan_determinismE0ELb1ES3_N6thrust23THRUST_200600_302600_NS6detail15normal_iteratorINS9_10device_ptrIxEEEESE_SE_xNS9_10multipliesIxEENS9_8equal_toIxEExEE10hipError_tPvRmT2_T3_T4_T5_mT6_T7_P12ihipStream_tbENKUlT_T0_E_clISt17integral_constantIbLb0EESZ_EEDaSU_SV_EUlSU_E_NS1_11comp_targetILNS1_3genE10ELNS1_11target_archE1200ELNS1_3gpuE4ELNS1_3repE0EEENS1_30default_config_static_selectorELNS0_4arch9wavefront6targetE0EEEvT1_,comdat
.Lfunc_end395:
	.size	_ZN7rocprim17ROCPRIM_400000_NS6detail17trampoline_kernelINS0_14default_configENS1_27scan_by_key_config_selectorIxxEEZZNS1_16scan_by_key_implILNS1_25lookback_scan_determinismE0ELb1ES3_N6thrust23THRUST_200600_302600_NS6detail15normal_iteratorINS9_10device_ptrIxEEEESE_SE_xNS9_10multipliesIxEENS9_8equal_toIxEExEE10hipError_tPvRmT2_T3_T4_T5_mT6_T7_P12ihipStream_tbENKUlT_T0_E_clISt17integral_constantIbLb0EESZ_EEDaSU_SV_EUlSU_E_NS1_11comp_targetILNS1_3genE10ELNS1_11target_archE1200ELNS1_3gpuE4ELNS1_3repE0EEENS1_30default_config_static_selectorELNS0_4arch9wavefront6targetE0EEEvT1_, .Lfunc_end395-_ZN7rocprim17ROCPRIM_400000_NS6detail17trampoline_kernelINS0_14default_configENS1_27scan_by_key_config_selectorIxxEEZZNS1_16scan_by_key_implILNS1_25lookback_scan_determinismE0ELb1ES3_N6thrust23THRUST_200600_302600_NS6detail15normal_iteratorINS9_10device_ptrIxEEEESE_SE_xNS9_10multipliesIxEENS9_8equal_toIxEExEE10hipError_tPvRmT2_T3_T4_T5_mT6_T7_P12ihipStream_tbENKUlT_T0_E_clISt17integral_constantIbLb0EESZ_EEDaSU_SV_EUlSU_E_NS1_11comp_targetILNS1_3genE10ELNS1_11target_archE1200ELNS1_3gpuE4ELNS1_3repE0EEENS1_30default_config_static_selectorELNS0_4arch9wavefront6targetE0EEEvT1_
                                        ; -- End function
	.set _ZN7rocprim17ROCPRIM_400000_NS6detail17trampoline_kernelINS0_14default_configENS1_27scan_by_key_config_selectorIxxEEZZNS1_16scan_by_key_implILNS1_25lookback_scan_determinismE0ELb1ES3_N6thrust23THRUST_200600_302600_NS6detail15normal_iteratorINS9_10device_ptrIxEEEESE_SE_xNS9_10multipliesIxEENS9_8equal_toIxEExEE10hipError_tPvRmT2_T3_T4_T5_mT6_T7_P12ihipStream_tbENKUlT_T0_E_clISt17integral_constantIbLb0EESZ_EEDaSU_SV_EUlSU_E_NS1_11comp_targetILNS1_3genE10ELNS1_11target_archE1200ELNS1_3gpuE4ELNS1_3repE0EEENS1_30default_config_static_selectorELNS0_4arch9wavefront6targetE0EEEvT1_.num_vgpr, 0
	.set _ZN7rocprim17ROCPRIM_400000_NS6detail17trampoline_kernelINS0_14default_configENS1_27scan_by_key_config_selectorIxxEEZZNS1_16scan_by_key_implILNS1_25lookback_scan_determinismE0ELb1ES3_N6thrust23THRUST_200600_302600_NS6detail15normal_iteratorINS9_10device_ptrIxEEEESE_SE_xNS9_10multipliesIxEENS9_8equal_toIxEExEE10hipError_tPvRmT2_T3_T4_T5_mT6_T7_P12ihipStream_tbENKUlT_T0_E_clISt17integral_constantIbLb0EESZ_EEDaSU_SV_EUlSU_E_NS1_11comp_targetILNS1_3genE10ELNS1_11target_archE1200ELNS1_3gpuE4ELNS1_3repE0EEENS1_30default_config_static_selectorELNS0_4arch9wavefront6targetE0EEEvT1_.num_agpr, 0
	.set _ZN7rocprim17ROCPRIM_400000_NS6detail17trampoline_kernelINS0_14default_configENS1_27scan_by_key_config_selectorIxxEEZZNS1_16scan_by_key_implILNS1_25lookback_scan_determinismE0ELb1ES3_N6thrust23THRUST_200600_302600_NS6detail15normal_iteratorINS9_10device_ptrIxEEEESE_SE_xNS9_10multipliesIxEENS9_8equal_toIxEExEE10hipError_tPvRmT2_T3_T4_T5_mT6_T7_P12ihipStream_tbENKUlT_T0_E_clISt17integral_constantIbLb0EESZ_EEDaSU_SV_EUlSU_E_NS1_11comp_targetILNS1_3genE10ELNS1_11target_archE1200ELNS1_3gpuE4ELNS1_3repE0EEENS1_30default_config_static_selectorELNS0_4arch9wavefront6targetE0EEEvT1_.numbered_sgpr, 0
	.set _ZN7rocprim17ROCPRIM_400000_NS6detail17trampoline_kernelINS0_14default_configENS1_27scan_by_key_config_selectorIxxEEZZNS1_16scan_by_key_implILNS1_25lookback_scan_determinismE0ELb1ES3_N6thrust23THRUST_200600_302600_NS6detail15normal_iteratorINS9_10device_ptrIxEEEESE_SE_xNS9_10multipliesIxEENS9_8equal_toIxEExEE10hipError_tPvRmT2_T3_T4_T5_mT6_T7_P12ihipStream_tbENKUlT_T0_E_clISt17integral_constantIbLb0EESZ_EEDaSU_SV_EUlSU_E_NS1_11comp_targetILNS1_3genE10ELNS1_11target_archE1200ELNS1_3gpuE4ELNS1_3repE0EEENS1_30default_config_static_selectorELNS0_4arch9wavefront6targetE0EEEvT1_.num_named_barrier, 0
	.set _ZN7rocprim17ROCPRIM_400000_NS6detail17trampoline_kernelINS0_14default_configENS1_27scan_by_key_config_selectorIxxEEZZNS1_16scan_by_key_implILNS1_25lookback_scan_determinismE0ELb1ES3_N6thrust23THRUST_200600_302600_NS6detail15normal_iteratorINS9_10device_ptrIxEEEESE_SE_xNS9_10multipliesIxEENS9_8equal_toIxEExEE10hipError_tPvRmT2_T3_T4_T5_mT6_T7_P12ihipStream_tbENKUlT_T0_E_clISt17integral_constantIbLb0EESZ_EEDaSU_SV_EUlSU_E_NS1_11comp_targetILNS1_3genE10ELNS1_11target_archE1200ELNS1_3gpuE4ELNS1_3repE0EEENS1_30default_config_static_selectorELNS0_4arch9wavefront6targetE0EEEvT1_.private_seg_size, 0
	.set _ZN7rocprim17ROCPRIM_400000_NS6detail17trampoline_kernelINS0_14default_configENS1_27scan_by_key_config_selectorIxxEEZZNS1_16scan_by_key_implILNS1_25lookback_scan_determinismE0ELb1ES3_N6thrust23THRUST_200600_302600_NS6detail15normal_iteratorINS9_10device_ptrIxEEEESE_SE_xNS9_10multipliesIxEENS9_8equal_toIxEExEE10hipError_tPvRmT2_T3_T4_T5_mT6_T7_P12ihipStream_tbENKUlT_T0_E_clISt17integral_constantIbLb0EESZ_EEDaSU_SV_EUlSU_E_NS1_11comp_targetILNS1_3genE10ELNS1_11target_archE1200ELNS1_3gpuE4ELNS1_3repE0EEENS1_30default_config_static_selectorELNS0_4arch9wavefront6targetE0EEEvT1_.uses_vcc, 0
	.set _ZN7rocprim17ROCPRIM_400000_NS6detail17trampoline_kernelINS0_14default_configENS1_27scan_by_key_config_selectorIxxEEZZNS1_16scan_by_key_implILNS1_25lookback_scan_determinismE0ELb1ES3_N6thrust23THRUST_200600_302600_NS6detail15normal_iteratorINS9_10device_ptrIxEEEESE_SE_xNS9_10multipliesIxEENS9_8equal_toIxEExEE10hipError_tPvRmT2_T3_T4_T5_mT6_T7_P12ihipStream_tbENKUlT_T0_E_clISt17integral_constantIbLb0EESZ_EEDaSU_SV_EUlSU_E_NS1_11comp_targetILNS1_3genE10ELNS1_11target_archE1200ELNS1_3gpuE4ELNS1_3repE0EEENS1_30default_config_static_selectorELNS0_4arch9wavefront6targetE0EEEvT1_.uses_flat_scratch, 0
	.set _ZN7rocprim17ROCPRIM_400000_NS6detail17trampoline_kernelINS0_14default_configENS1_27scan_by_key_config_selectorIxxEEZZNS1_16scan_by_key_implILNS1_25lookback_scan_determinismE0ELb1ES3_N6thrust23THRUST_200600_302600_NS6detail15normal_iteratorINS9_10device_ptrIxEEEESE_SE_xNS9_10multipliesIxEENS9_8equal_toIxEExEE10hipError_tPvRmT2_T3_T4_T5_mT6_T7_P12ihipStream_tbENKUlT_T0_E_clISt17integral_constantIbLb0EESZ_EEDaSU_SV_EUlSU_E_NS1_11comp_targetILNS1_3genE10ELNS1_11target_archE1200ELNS1_3gpuE4ELNS1_3repE0EEENS1_30default_config_static_selectorELNS0_4arch9wavefront6targetE0EEEvT1_.has_dyn_sized_stack, 0
	.set _ZN7rocprim17ROCPRIM_400000_NS6detail17trampoline_kernelINS0_14default_configENS1_27scan_by_key_config_selectorIxxEEZZNS1_16scan_by_key_implILNS1_25lookback_scan_determinismE0ELb1ES3_N6thrust23THRUST_200600_302600_NS6detail15normal_iteratorINS9_10device_ptrIxEEEESE_SE_xNS9_10multipliesIxEENS9_8equal_toIxEExEE10hipError_tPvRmT2_T3_T4_T5_mT6_T7_P12ihipStream_tbENKUlT_T0_E_clISt17integral_constantIbLb0EESZ_EEDaSU_SV_EUlSU_E_NS1_11comp_targetILNS1_3genE10ELNS1_11target_archE1200ELNS1_3gpuE4ELNS1_3repE0EEENS1_30default_config_static_selectorELNS0_4arch9wavefront6targetE0EEEvT1_.has_recursion, 0
	.set _ZN7rocprim17ROCPRIM_400000_NS6detail17trampoline_kernelINS0_14default_configENS1_27scan_by_key_config_selectorIxxEEZZNS1_16scan_by_key_implILNS1_25lookback_scan_determinismE0ELb1ES3_N6thrust23THRUST_200600_302600_NS6detail15normal_iteratorINS9_10device_ptrIxEEEESE_SE_xNS9_10multipliesIxEENS9_8equal_toIxEExEE10hipError_tPvRmT2_T3_T4_T5_mT6_T7_P12ihipStream_tbENKUlT_T0_E_clISt17integral_constantIbLb0EESZ_EEDaSU_SV_EUlSU_E_NS1_11comp_targetILNS1_3genE10ELNS1_11target_archE1200ELNS1_3gpuE4ELNS1_3repE0EEENS1_30default_config_static_selectorELNS0_4arch9wavefront6targetE0EEEvT1_.has_indirect_call, 0
	.section	.AMDGPU.csdata,"",@progbits
; Kernel info:
; codeLenInByte = 0
; TotalNumSgprs: 0
; NumVgprs: 0
; ScratchSize: 0
; MemoryBound: 0
; FloatMode: 240
; IeeeMode: 1
; LDSByteSize: 0 bytes/workgroup (compile time only)
; SGPRBlocks: 0
; VGPRBlocks: 0
; NumSGPRsForWavesPerEU: 1
; NumVGPRsForWavesPerEU: 1
; NamedBarCnt: 0
; Occupancy: 16
; WaveLimiterHint : 0
; COMPUTE_PGM_RSRC2:SCRATCH_EN: 0
; COMPUTE_PGM_RSRC2:USER_SGPR: 2
; COMPUTE_PGM_RSRC2:TRAP_HANDLER: 0
; COMPUTE_PGM_RSRC2:TGID_X_EN: 1
; COMPUTE_PGM_RSRC2:TGID_Y_EN: 0
; COMPUTE_PGM_RSRC2:TGID_Z_EN: 0
; COMPUTE_PGM_RSRC2:TIDIG_COMP_CNT: 0
	.section	.text._ZN7rocprim17ROCPRIM_400000_NS6detail17trampoline_kernelINS0_14default_configENS1_27scan_by_key_config_selectorIxxEEZZNS1_16scan_by_key_implILNS1_25lookback_scan_determinismE0ELb1ES3_N6thrust23THRUST_200600_302600_NS6detail15normal_iteratorINS9_10device_ptrIxEEEESE_SE_xNS9_10multipliesIxEENS9_8equal_toIxEExEE10hipError_tPvRmT2_T3_T4_T5_mT6_T7_P12ihipStream_tbENKUlT_T0_E_clISt17integral_constantIbLb0EESZ_EEDaSU_SV_EUlSU_E_NS1_11comp_targetILNS1_3genE9ELNS1_11target_archE1100ELNS1_3gpuE3ELNS1_3repE0EEENS1_30default_config_static_selectorELNS0_4arch9wavefront6targetE0EEEvT1_,"axG",@progbits,_ZN7rocprim17ROCPRIM_400000_NS6detail17trampoline_kernelINS0_14default_configENS1_27scan_by_key_config_selectorIxxEEZZNS1_16scan_by_key_implILNS1_25lookback_scan_determinismE0ELb1ES3_N6thrust23THRUST_200600_302600_NS6detail15normal_iteratorINS9_10device_ptrIxEEEESE_SE_xNS9_10multipliesIxEENS9_8equal_toIxEExEE10hipError_tPvRmT2_T3_T4_T5_mT6_T7_P12ihipStream_tbENKUlT_T0_E_clISt17integral_constantIbLb0EESZ_EEDaSU_SV_EUlSU_E_NS1_11comp_targetILNS1_3genE9ELNS1_11target_archE1100ELNS1_3gpuE3ELNS1_3repE0EEENS1_30default_config_static_selectorELNS0_4arch9wavefront6targetE0EEEvT1_,comdat
	.protected	_ZN7rocprim17ROCPRIM_400000_NS6detail17trampoline_kernelINS0_14default_configENS1_27scan_by_key_config_selectorIxxEEZZNS1_16scan_by_key_implILNS1_25lookback_scan_determinismE0ELb1ES3_N6thrust23THRUST_200600_302600_NS6detail15normal_iteratorINS9_10device_ptrIxEEEESE_SE_xNS9_10multipliesIxEENS9_8equal_toIxEExEE10hipError_tPvRmT2_T3_T4_T5_mT6_T7_P12ihipStream_tbENKUlT_T0_E_clISt17integral_constantIbLb0EESZ_EEDaSU_SV_EUlSU_E_NS1_11comp_targetILNS1_3genE9ELNS1_11target_archE1100ELNS1_3gpuE3ELNS1_3repE0EEENS1_30default_config_static_selectorELNS0_4arch9wavefront6targetE0EEEvT1_ ; -- Begin function _ZN7rocprim17ROCPRIM_400000_NS6detail17trampoline_kernelINS0_14default_configENS1_27scan_by_key_config_selectorIxxEEZZNS1_16scan_by_key_implILNS1_25lookback_scan_determinismE0ELb1ES3_N6thrust23THRUST_200600_302600_NS6detail15normal_iteratorINS9_10device_ptrIxEEEESE_SE_xNS9_10multipliesIxEENS9_8equal_toIxEExEE10hipError_tPvRmT2_T3_T4_T5_mT6_T7_P12ihipStream_tbENKUlT_T0_E_clISt17integral_constantIbLb0EESZ_EEDaSU_SV_EUlSU_E_NS1_11comp_targetILNS1_3genE9ELNS1_11target_archE1100ELNS1_3gpuE3ELNS1_3repE0EEENS1_30default_config_static_selectorELNS0_4arch9wavefront6targetE0EEEvT1_
	.globl	_ZN7rocprim17ROCPRIM_400000_NS6detail17trampoline_kernelINS0_14default_configENS1_27scan_by_key_config_selectorIxxEEZZNS1_16scan_by_key_implILNS1_25lookback_scan_determinismE0ELb1ES3_N6thrust23THRUST_200600_302600_NS6detail15normal_iteratorINS9_10device_ptrIxEEEESE_SE_xNS9_10multipliesIxEENS9_8equal_toIxEExEE10hipError_tPvRmT2_T3_T4_T5_mT6_T7_P12ihipStream_tbENKUlT_T0_E_clISt17integral_constantIbLb0EESZ_EEDaSU_SV_EUlSU_E_NS1_11comp_targetILNS1_3genE9ELNS1_11target_archE1100ELNS1_3gpuE3ELNS1_3repE0EEENS1_30default_config_static_selectorELNS0_4arch9wavefront6targetE0EEEvT1_
	.p2align	8
	.type	_ZN7rocprim17ROCPRIM_400000_NS6detail17trampoline_kernelINS0_14default_configENS1_27scan_by_key_config_selectorIxxEEZZNS1_16scan_by_key_implILNS1_25lookback_scan_determinismE0ELb1ES3_N6thrust23THRUST_200600_302600_NS6detail15normal_iteratorINS9_10device_ptrIxEEEESE_SE_xNS9_10multipliesIxEENS9_8equal_toIxEExEE10hipError_tPvRmT2_T3_T4_T5_mT6_T7_P12ihipStream_tbENKUlT_T0_E_clISt17integral_constantIbLb0EESZ_EEDaSU_SV_EUlSU_E_NS1_11comp_targetILNS1_3genE9ELNS1_11target_archE1100ELNS1_3gpuE3ELNS1_3repE0EEENS1_30default_config_static_selectorELNS0_4arch9wavefront6targetE0EEEvT1_,@function
_ZN7rocprim17ROCPRIM_400000_NS6detail17trampoline_kernelINS0_14default_configENS1_27scan_by_key_config_selectorIxxEEZZNS1_16scan_by_key_implILNS1_25lookback_scan_determinismE0ELb1ES3_N6thrust23THRUST_200600_302600_NS6detail15normal_iteratorINS9_10device_ptrIxEEEESE_SE_xNS9_10multipliesIxEENS9_8equal_toIxEExEE10hipError_tPvRmT2_T3_T4_T5_mT6_T7_P12ihipStream_tbENKUlT_T0_E_clISt17integral_constantIbLb0EESZ_EEDaSU_SV_EUlSU_E_NS1_11comp_targetILNS1_3genE9ELNS1_11target_archE1100ELNS1_3gpuE3ELNS1_3repE0EEENS1_30default_config_static_selectorELNS0_4arch9wavefront6targetE0EEEvT1_: ; @_ZN7rocprim17ROCPRIM_400000_NS6detail17trampoline_kernelINS0_14default_configENS1_27scan_by_key_config_selectorIxxEEZZNS1_16scan_by_key_implILNS1_25lookback_scan_determinismE0ELb1ES3_N6thrust23THRUST_200600_302600_NS6detail15normal_iteratorINS9_10device_ptrIxEEEESE_SE_xNS9_10multipliesIxEENS9_8equal_toIxEExEE10hipError_tPvRmT2_T3_T4_T5_mT6_T7_P12ihipStream_tbENKUlT_T0_E_clISt17integral_constantIbLb0EESZ_EEDaSU_SV_EUlSU_E_NS1_11comp_targetILNS1_3genE9ELNS1_11target_archE1100ELNS1_3gpuE3ELNS1_3repE0EEENS1_30default_config_static_selectorELNS0_4arch9wavefront6targetE0EEEvT1_
; %bb.0:
	.section	.rodata,"a",@progbits
	.p2align	6, 0x0
	.amdhsa_kernel _ZN7rocprim17ROCPRIM_400000_NS6detail17trampoline_kernelINS0_14default_configENS1_27scan_by_key_config_selectorIxxEEZZNS1_16scan_by_key_implILNS1_25lookback_scan_determinismE0ELb1ES3_N6thrust23THRUST_200600_302600_NS6detail15normal_iteratorINS9_10device_ptrIxEEEESE_SE_xNS9_10multipliesIxEENS9_8equal_toIxEExEE10hipError_tPvRmT2_T3_T4_T5_mT6_T7_P12ihipStream_tbENKUlT_T0_E_clISt17integral_constantIbLb0EESZ_EEDaSU_SV_EUlSU_E_NS1_11comp_targetILNS1_3genE9ELNS1_11target_archE1100ELNS1_3gpuE3ELNS1_3repE0EEENS1_30default_config_static_selectorELNS0_4arch9wavefront6targetE0EEEvT1_
		.amdhsa_group_segment_fixed_size 0
		.amdhsa_private_segment_fixed_size 0
		.amdhsa_kernarg_size 136
		.amdhsa_user_sgpr_count 2
		.amdhsa_user_sgpr_dispatch_ptr 0
		.amdhsa_user_sgpr_queue_ptr 0
		.amdhsa_user_sgpr_kernarg_segment_ptr 1
		.amdhsa_user_sgpr_dispatch_id 0
		.amdhsa_user_sgpr_kernarg_preload_length 0
		.amdhsa_user_sgpr_kernarg_preload_offset 0
		.amdhsa_user_sgpr_private_segment_size 0
		.amdhsa_wavefront_size32 1
		.amdhsa_uses_dynamic_stack 0
		.amdhsa_enable_private_segment 0
		.amdhsa_system_sgpr_workgroup_id_x 1
		.amdhsa_system_sgpr_workgroup_id_y 0
		.amdhsa_system_sgpr_workgroup_id_z 0
		.amdhsa_system_sgpr_workgroup_info 0
		.amdhsa_system_vgpr_workitem_id 0
		.amdhsa_next_free_vgpr 1
		.amdhsa_next_free_sgpr 1
		.amdhsa_named_barrier_count 0
		.amdhsa_reserve_vcc 0
		.amdhsa_float_round_mode_32 0
		.amdhsa_float_round_mode_16_64 0
		.amdhsa_float_denorm_mode_32 3
		.amdhsa_float_denorm_mode_16_64 3
		.amdhsa_fp16_overflow 0
		.amdhsa_memory_ordered 1
		.amdhsa_forward_progress 1
		.amdhsa_inst_pref_size 0
		.amdhsa_round_robin_scheduling 0
		.amdhsa_exception_fp_ieee_invalid_op 0
		.amdhsa_exception_fp_denorm_src 0
		.amdhsa_exception_fp_ieee_div_zero 0
		.amdhsa_exception_fp_ieee_overflow 0
		.amdhsa_exception_fp_ieee_underflow 0
		.amdhsa_exception_fp_ieee_inexact 0
		.amdhsa_exception_int_div_zero 0
	.end_amdhsa_kernel
	.section	.text._ZN7rocprim17ROCPRIM_400000_NS6detail17trampoline_kernelINS0_14default_configENS1_27scan_by_key_config_selectorIxxEEZZNS1_16scan_by_key_implILNS1_25lookback_scan_determinismE0ELb1ES3_N6thrust23THRUST_200600_302600_NS6detail15normal_iteratorINS9_10device_ptrIxEEEESE_SE_xNS9_10multipliesIxEENS9_8equal_toIxEExEE10hipError_tPvRmT2_T3_T4_T5_mT6_T7_P12ihipStream_tbENKUlT_T0_E_clISt17integral_constantIbLb0EESZ_EEDaSU_SV_EUlSU_E_NS1_11comp_targetILNS1_3genE9ELNS1_11target_archE1100ELNS1_3gpuE3ELNS1_3repE0EEENS1_30default_config_static_selectorELNS0_4arch9wavefront6targetE0EEEvT1_,"axG",@progbits,_ZN7rocprim17ROCPRIM_400000_NS6detail17trampoline_kernelINS0_14default_configENS1_27scan_by_key_config_selectorIxxEEZZNS1_16scan_by_key_implILNS1_25lookback_scan_determinismE0ELb1ES3_N6thrust23THRUST_200600_302600_NS6detail15normal_iteratorINS9_10device_ptrIxEEEESE_SE_xNS9_10multipliesIxEENS9_8equal_toIxEExEE10hipError_tPvRmT2_T3_T4_T5_mT6_T7_P12ihipStream_tbENKUlT_T0_E_clISt17integral_constantIbLb0EESZ_EEDaSU_SV_EUlSU_E_NS1_11comp_targetILNS1_3genE9ELNS1_11target_archE1100ELNS1_3gpuE3ELNS1_3repE0EEENS1_30default_config_static_selectorELNS0_4arch9wavefront6targetE0EEEvT1_,comdat
.Lfunc_end396:
	.size	_ZN7rocprim17ROCPRIM_400000_NS6detail17trampoline_kernelINS0_14default_configENS1_27scan_by_key_config_selectorIxxEEZZNS1_16scan_by_key_implILNS1_25lookback_scan_determinismE0ELb1ES3_N6thrust23THRUST_200600_302600_NS6detail15normal_iteratorINS9_10device_ptrIxEEEESE_SE_xNS9_10multipliesIxEENS9_8equal_toIxEExEE10hipError_tPvRmT2_T3_T4_T5_mT6_T7_P12ihipStream_tbENKUlT_T0_E_clISt17integral_constantIbLb0EESZ_EEDaSU_SV_EUlSU_E_NS1_11comp_targetILNS1_3genE9ELNS1_11target_archE1100ELNS1_3gpuE3ELNS1_3repE0EEENS1_30default_config_static_selectorELNS0_4arch9wavefront6targetE0EEEvT1_, .Lfunc_end396-_ZN7rocprim17ROCPRIM_400000_NS6detail17trampoline_kernelINS0_14default_configENS1_27scan_by_key_config_selectorIxxEEZZNS1_16scan_by_key_implILNS1_25lookback_scan_determinismE0ELb1ES3_N6thrust23THRUST_200600_302600_NS6detail15normal_iteratorINS9_10device_ptrIxEEEESE_SE_xNS9_10multipliesIxEENS9_8equal_toIxEExEE10hipError_tPvRmT2_T3_T4_T5_mT6_T7_P12ihipStream_tbENKUlT_T0_E_clISt17integral_constantIbLb0EESZ_EEDaSU_SV_EUlSU_E_NS1_11comp_targetILNS1_3genE9ELNS1_11target_archE1100ELNS1_3gpuE3ELNS1_3repE0EEENS1_30default_config_static_selectorELNS0_4arch9wavefront6targetE0EEEvT1_
                                        ; -- End function
	.set _ZN7rocprim17ROCPRIM_400000_NS6detail17trampoline_kernelINS0_14default_configENS1_27scan_by_key_config_selectorIxxEEZZNS1_16scan_by_key_implILNS1_25lookback_scan_determinismE0ELb1ES3_N6thrust23THRUST_200600_302600_NS6detail15normal_iteratorINS9_10device_ptrIxEEEESE_SE_xNS9_10multipliesIxEENS9_8equal_toIxEExEE10hipError_tPvRmT2_T3_T4_T5_mT6_T7_P12ihipStream_tbENKUlT_T0_E_clISt17integral_constantIbLb0EESZ_EEDaSU_SV_EUlSU_E_NS1_11comp_targetILNS1_3genE9ELNS1_11target_archE1100ELNS1_3gpuE3ELNS1_3repE0EEENS1_30default_config_static_selectorELNS0_4arch9wavefront6targetE0EEEvT1_.num_vgpr, 0
	.set _ZN7rocprim17ROCPRIM_400000_NS6detail17trampoline_kernelINS0_14default_configENS1_27scan_by_key_config_selectorIxxEEZZNS1_16scan_by_key_implILNS1_25lookback_scan_determinismE0ELb1ES3_N6thrust23THRUST_200600_302600_NS6detail15normal_iteratorINS9_10device_ptrIxEEEESE_SE_xNS9_10multipliesIxEENS9_8equal_toIxEExEE10hipError_tPvRmT2_T3_T4_T5_mT6_T7_P12ihipStream_tbENKUlT_T0_E_clISt17integral_constantIbLb0EESZ_EEDaSU_SV_EUlSU_E_NS1_11comp_targetILNS1_3genE9ELNS1_11target_archE1100ELNS1_3gpuE3ELNS1_3repE0EEENS1_30default_config_static_selectorELNS0_4arch9wavefront6targetE0EEEvT1_.num_agpr, 0
	.set _ZN7rocprim17ROCPRIM_400000_NS6detail17trampoline_kernelINS0_14default_configENS1_27scan_by_key_config_selectorIxxEEZZNS1_16scan_by_key_implILNS1_25lookback_scan_determinismE0ELb1ES3_N6thrust23THRUST_200600_302600_NS6detail15normal_iteratorINS9_10device_ptrIxEEEESE_SE_xNS9_10multipliesIxEENS9_8equal_toIxEExEE10hipError_tPvRmT2_T3_T4_T5_mT6_T7_P12ihipStream_tbENKUlT_T0_E_clISt17integral_constantIbLb0EESZ_EEDaSU_SV_EUlSU_E_NS1_11comp_targetILNS1_3genE9ELNS1_11target_archE1100ELNS1_3gpuE3ELNS1_3repE0EEENS1_30default_config_static_selectorELNS0_4arch9wavefront6targetE0EEEvT1_.numbered_sgpr, 0
	.set _ZN7rocprim17ROCPRIM_400000_NS6detail17trampoline_kernelINS0_14default_configENS1_27scan_by_key_config_selectorIxxEEZZNS1_16scan_by_key_implILNS1_25lookback_scan_determinismE0ELb1ES3_N6thrust23THRUST_200600_302600_NS6detail15normal_iteratorINS9_10device_ptrIxEEEESE_SE_xNS9_10multipliesIxEENS9_8equal_toIxEExEE10hipError_tPvRmT2_T3_T4_T5_mT6_T7_P12ihipStream_tbENKUlT_T0_E_clISt17integral_constantIbLb0EESZ_EEDaSU_SV_EUlSU_E_NS1_11comp_targetILNS1_3genE9ELNS1_11target_archE1100ELNS1_3gpuE3ELNS1_3repE0EEENS1_30default_config_static_selectorELNS0_4arch9wavefront6targetE0EEEvT1_.num_named_barrier, 0
	.set _ZN7rocprim17ROCPRIM_400000_NS6detail17trampoline_kernelINS0_14default_configENS1_27scan_by_key_config_selectorIxxEEZZNS1_16scan_by_key_implILNS1_25lookback_scan_determinismE0ELb1ES3_N6thrust23THRUST_200600_302600_NS6detail15normal_iteratorINS9_10device_ptrIxEEEESE_SE_xNS9_10multipliesIxEENS9_8equal_toIxEExEE10hipError_tPvRmT2_T3_T4_T5_mT6_T7_P12ihipStream_tbENKUlT_T0_E_clISt17integral_constantIbLb0EESZ_EEDaSU_SV_EUlSU_E_NS1_11comp_targetILNS1_3genE9ELNS1_11target_archE1100ELNS1_3gpuE3ELNS1_3repE0EEENS1_30default_config_static_selectorELNS0_4arch9wavefront6targetE0EEEvT1_.private_seg_size, 0
	.set _ZN7rocprim17ROCPRIM_400000_NS6detail17trampoline_kernelINS0_14default_configENS1_27scan_by_key_config_selectorIxxEEZZNS1_16scan_by_key_implILNS1_25lookback_scan_determinismE0ELb1ES3_N6thrust23THRUST_200600_302600_NS6detail15normal_iteratorINS9_10device_ptrIxEEEESE_SE_xNS9_10multipliesIxEENS9_8equal_toIxEExEE10hipError_tPvRmT2_T3_T4_T5_mT6_T7_P12ihipStream_tbENKUlT_T0_E_clISt17integral_constantIbLb0EESZ_EEDaSU_SV_EUlSU_E_NS1_11comp_targetILNS1_3genE9ELNS1_11target_archE1100ELNS1_3gpuE3ELNS1_3repE0EEENS1_30default_config_static_selectorELNS0_4arch9wavefront6targetE0EEEvT1_.uses_vcc, 0
	.set _ZN7rocprim17ROCPRIM_400000_NS6detail17trampoline_kernelINS0_14default_configENS1_27scan_by_key_config_selectorIxxEEZZNS1_16scan_by_key_implILNS1_25lookback_scan_determinismE0ELb1ES3_N6thrust23THRUST_200600_302600_NS6detail15normal_iteratorINS9_10device_ptrIxEEEESE_SE_xNS9_10multipliesIxEENS9_8equal_toIxEExEE10hipError_tPvRmT2_T3_T4_T5_mT6_T7_P12ihipStream_tbENKUlT_T0_E_clISt17integral_constantIbLb0EESZ_EEDaSU_SV_EUlSU_E_NS1_11comp_targetILNS1_3genE9ELNS1_11target_archE1100ELNS1_3gpuE3ELNS1_3repE0EEENS1_30default_config_static_selectorELNS0_4arch9wavefront6targetE0EEEvT1_.uses_flat_scratch, 0
	.set _ZN7rocprim17ROCPRIM_400000_NS6detail17trampoline_kernelINS0_14default_configENS1_27scan_by_key_config_selectorIxxEEZZNS1_16scan_by_key_implILNS1_25lookback_scan_determinismE0ELb1ES3_N6thrust23THRUST_200600_302600_NS6detail15normal_iteratorINS9_10device_ptrIxEEEESE_SE_xNS9_10multipliesIxEENS9_8equal_toIxEExEE10hipError_tPvRmT2_T3_T4_T5_mT6_T7_P12ihipStream_tbENKUlT_T0_E_clISt17integral_constantIbLb0EESZ_EEDaSU_SV_EUlSU_E_NS1_11comp_targetILNS1_3genE9ELNS1_11target_archE1100ELNS1_3gpuE3ELNS1_3repE0EEENS1_30default_config_static_selectorELNS0_4arch9wavefront6targetE0EEEvT1_.has_dyn_sized_stack, 0
	.set _ZN7rocprim17ROCPRIM_400000_NS6detail17trampoline_kernelINS0_14default_configENS1_27scan_by_key_config_selectorIxxEEZZNS1_16scan_by_key_implILNS1_25lookback_scan_determinismE0ELb1ES3_N6thrust23THRUST_200600_302600_NS6detail15normal_iteratorINS9_10device_ptrIxEEEESE_SE_xNS9_10multipliesIxEENS9_8equal_toIxEExEE10hipError_tPvRmT2_T3_T4_T5_mT6_T7_P12ihipStream_tbENKUlT_T0_E_clISt17integral_constantIbLb0EESZ_EEDaSU_SV_EUlSU_E_NS1_11comp_targetILNS1_3genE9ELNS1_11target_archE1100ELNS1_3gpuE3ELNS1_3repE0EEENS1_30default_config_static_selectorELNS0_4arch9wavefront6targetE0EEEvT1_.has_recursion, 0
	.set _ZN7rocprim17ROCPRIM_400000_NS6detail17trampoline_kernelINS0_14default_configENS1_27scan_by_key_config_selectorIxxEEZZNS1_16scan_by_key_implILNS1_25lookback_scan_determinismE0ELb1ES3_N6thrust23THRUST_200600_302600_NS6detail15normal_iteratorINS9_10device_ptrIxEEEESE_SE_xNS9_10multipliesIxEENS9_8equal_toIxEExEE10hipError_tPvRmT2_T3_T4_T5_mT6_T7_P12ihipStream_tbENKUlT_T0_E_clISt17integral_constantIbLb0EESZ_EEDaSU_SV_EUlSU_E_NS1_11comp_targetILNS1_3genE9ELNS1_11target_archE1100ELNS1_3gpuE3ELNS1_3repE0EEENS1_30default_config_static_selectorELNS0_4arch9wavefront6targetE0EEEvT1_.has_indirect_call, 0
	.section	.AMDGPU.csdata,"",@progbits
; Kernel info:
; codeLenInByte = 0
; TotalNumSgprs: 0
; NumVgprs: 0
; ScratchSize: 0
; MemoryBound: 0
; FloatMode: 240
; IeeeMode: 1
; LDSByteSize: 0 bytes/workgroup (compile time only)
; SGPRBlocks: 0
; VGPRBlocks: 0
; NumSGPRsForWavesPerEU: 1
; NumVGPRsForWavesPerEU: 1
; NamedBarCnt: 0
; Occupancy: 16
; WaveLimiterHint : 0
; COMPUTE_PGM_RSRC2:SCRATCH_EN: 0
; COMPUTE_PGM_RSRC2:USER_SGPR: 2
; COMPUTE_PGM_RSRC2:TRAP_HANDLER: 0
; COMPUTE_PGM_RSRC2:TGID_X_EN: 1
; COMPUTE_PGM_RSRC2:TGID_Y_EN: 0
; COMPUTE_PGM_RSRC2:TGID_Z_EN: 0
; COMPUTE_PGM_RSRC2:TIDIG_COMP_CNT: 0
	.section	.text._ZN7rocprim17ROCPRIM_400000_NS6detail17trampoline_kernelINS0_14default_configENS1_27scan_by_key_config_selectorIxxEEZZNS1_16scan_by_key_implILNS1_25lookback_scan_determinismE0ELb1ES3_N6thrust23THRUST_200600_302600_NS6detail15normal_iteratorINS9_10device_ptrIxEEEESE_SE_xNS9_10multipliesIxEENS9_8equal_toIxEExEE10hipError_tPvRmT2_T3_T4_T5_mT6_T7_P12ihipStream_tbENKUlT_T0_E_clISt17integral_constantIbLb0EESZ_EEDaSU_SV_EUlSU_E_NS1_11comp_targetILNS1_3genE8ELNS1_11target_archE1030ELNS1_3gpuE2ELNS1_3repE0EEENS1_30default_config_static_selectorELNS0_4arch9wavefront6targetE0EEEvT1_,"axG",@progbits,_ZN7rocprim17ROCPRIM_400000_NS6detail17trampoline_kernelINS0_14default_configENS1_27scan_by_key_config_selectorIxxEEZZNS1_16scan_by_key_implILNS1_25lookback_scan_determinismE0ELb1ES3_N6thrust23THRUST_200600_302600_NS6detail15normal_iteratorINS9_10device_ptrIxEEEESE_SE_xNS9_10multipliesIxEENS9_8equal_toIxEExEE10hipError_tPvRmT2_T3_T4_T5_mT6_T7_P12ihipStream_tbENKUlT_T0_E_clISt17integral_constantIbLb0EESZ_EEDaSU_SV_EUlSU_E_NS1_11comp_targetILNS1_3genE8ELNS1_11target_archE1030ELNS1_3gpuE2ELNS1_3repE0EEENS1_30default_config_static_selectorELNS0_4arch9wavefront6targetE0EEEvT1_,comdat
	.protected	_ZN7rocprim17ROCPRIM_400000_NS6detail17trampoline_kernelINS0_14default_configENS1_27scan_by_key_config_selectorIxxEEZZNS1_16scan_by_key_implILNS1_25lookback_scan_determinismE0ELb1ES3_N6thrust23THRUST_200600_302600_NS6detail15normal_iteratorINS9_10device_ptrIxEEEESE_SE_xNS9_10multipliesIxEENS9_8equal_toIxEExEE10hipError_tPvRmT2_T3_T4_T5_mT6_T7_P12ihipStream_tbENKUlT_T0_E_clISt17integral_constantIbLb0EESZ_EEDaSU_SV_EUlSU_E_NS1_11comp_targetILNS1_3genE8ELNS1_11target_archE1030ELNS1_3gpuE2ELNS1_3repE0EEENS1_30default_config_static_selectorELNS0_4arch9wavefront6targetE0EEEvT1_ ; -- Begin function _ZN7rocprim17ROCPRIM_400000_NS6detail17trampoline_kernelINS0_14default_configENS1_27scan_by_key_config_selectorIxxEEZZNS1_16scan_by_key_implILNS1_25lookback_scan_determinismE0ELb1ES3_N6thrust23THRUST_200600_302600_NS6detail15normal_iteratorINS9_10device_ptrIxEEEESE_SE_xNS9_10multipliesIxEENS9_8equal_toIxEExEE10hipError_tPvRmT2_T3_T4_T5_mT6_T7_P12ihipStream_tbENKUlT_T0_E_clISt17integral_constantIbLb0EESZ_EEDaSU_SV_EUlSU_E_NS1_11comp_targetILNS1_3genE8ELNS1_11target_archE1030ELNS1_3gpuE2ELNS1_3repE0EEENS1_30default_config_static_selectorELNS0_4arch9wavefront6targetE0EEEvT1_
	.globl	_ZN7rocprim17ROCPRIM_400000_NS6detail17trampoline_kernelINS0_14default_configENS1_27scan_by_key_config_selectorIxxEEZZNS1_16scan_by_key_implILNS1_25lookback_scan_determinismE0ELb1ES3_N6thrust23THRUST_200600_302600_NS6detail15normal_iteratorINS9_10device_ptrIxEEEESE_SE_xNS9_10multipliesIxEENS9_8equal_toIxEExEE10hipError_tPvRmT2_T3_T4_T5_mT6_T7_P12ihipStream_tbENKUlT_T0_E_clISt17integral_constantIbLb0EESZ_EEDaSU_SV_EUlSU_E_NS1_11comp_targetILNS1_3genE8ELNS1_11target_archE1030ELNS1_3gpuE2ELNS1_3repE0EEENS1_30default_config_static_selectorELNS0_4arch9wavefront6targetE0EEEvT1_
	.p2align	8
	.type	_ZN7rocprim17ROCPRIM_400000_NS6detail17trampoline_kernelINS0_14default_configENS1_27scan_by_key_config_selectorIxxEEZZNS1_16scan_by_key_implILNS1_25lookback_scan_determinismE0ELb1ES3_N6thrust23THRUST_200600_302600_NS6detail15normal_iteratorINS9_10device_ptrIxEEEESE_SE_xNS9_10multipliesIxEENS9_8equal_toIxEExEE10hipError_tPvRmT2_T3_T4_T5_mT6_T7_P12ihipStream_tbENKUlT_T0_E_clISt17integral_constantIbLb0EESZ_EEDaSU_SV_EUlSU_E_NS1_11comp_targetILNS1_3genE8ELNS1_11target_archE1030ELNS1_3gpuE2ELNS1_3repE0EEENS1_30default_config_static_selectorELNS0_4arch9wavefront6targetE0EEEvT1_,@function
_ZN7rocprim17ROCPRIM_400000_NS6detail17trampoline_kernelINS0_14default_configENS1_27scan_by_key_config_selectorIxxEEZZNS1_16scan_by_key_implILNS1_25lookback_scan_determinismE0ELb1ES3_N6thrust23THRUST_200600_302600_NS6detail15normal_iteratorINS9_10device_ptrIxEEEESE_SE_xNS9_10multipliesIxEENS9_8equal_toIxEExEE10hipError_tPvRmT2_T3_T4_T5_mT6_T7_P12ihipStream_tbENKUlT_T0_E_clISt17integral_constantIbLb0EESZ_EEDaSU_SV_EUlSU_E_NS1_11comp_targetILNS1_3genE8ELNS1_11target_archE1030ELNS1_3gpuE2ELNS1_3repE0EEENS1_30default_config_static_selectorELNS0_4arch9wavefront6targetE0EEEvT1_: ; @_ZN7rocprim17ROCPRIM_400000_NS6detail17trampoline_kernelINS0_14default_configENS1_27scan_by_key_config_selectorIxxEEZZNS1_16scan_by_key_implILNS1_25lookback_scan_determinismE0ELb1ES3_N6thrust23THRUST_200600_302600_NS6detail15normal_iteratorINS9_10device_ptrIxEEEESE_SE_xNS9_10multipliesIxEENS9_8equal_toIxEExEE10hipError_tPvRmT2_T3_T4_T5_mT6_T7_P12ihipStream_tbENKUlT_T0_E_clISt17integral_constantIbLb0EESZ_EEDaSU_SV_EUlSU_E_NS1_11comp_targetILNS1_3genE8ELNS1_11target_archE1030ELNS1_3gpuE2ELNS1_3repE0EEENS1_30default_config_static_selectorELNS0_4arch9wavefront6targetE0EEEvT1_
; %bb.0:
	.section	.rodata,"a",@progbits
	.p2align	6, 0x0
	.amdhsa_kernel _ZN7rocprim17ROCPRIM_400000_NS6detail17trampoline_kernelINS0_14default_configENS1_27scan_by_key_config_selectorIxxEEZZNS1_16scan_by_key_implILNS1_25lookback_scan_determinismE0ELb1ES3_N6thrust23THRUST_200600_302600_NS6detail15normal_iteratorINS9_10device_ptrIxEEEESE_SE_xNS9_10multipliesIxEENS9_8equal_toIxEExEE10hipError_tPvRmT2_T3_T4_T5_mT6_T7_P12ihipStream_tbENKUlT_T0_E_clISt17integral_constantIbLb0EESZ_EEDaSU_SV_EUlSU_E_NS1_11comp_targetILNS1_3genE8ELNS1_11target_archE1030ELNS1_3gpuE2ELNS1_3repE0EEENS1_30default_config_static_selectorELNS0_4arch9wavefront6targetE0EEEvT1_
		.amdhsa_group_segment_fixed_size 0
		.amdhsa_private_segment_fixed_size 0
		.amdhsa_kernarg_size 136
		.amdhsa_user_sgpr_count 2
		.amdhsa_user_sgpr_dispatch_ptr 0
		.amdhsa_user_sgpr_queue_ptr 0
		.amdhsa_user_sgpr_kernarg_segment_ptr 1
		.amdhsa_user_sgpr_dispatch_id 0
		.amdhsa_user_sgpr_kernarg_preload_length 0
		.amdhsa_user_sgpr_kernarg_preload_offset 0
		.amdhsa_user_sgpr_private_segment_size 0
		.amdhsa_wavefront_size32 1
		.amdhsa_uses_dynamic_stack 0
		.amdhsa_enable_private_segment 0
		.amdhsa_system_sgpr_workgroup_id_x 1
		.amdhsa_system_sgpr_workgroup_id_y 0
		.amdhsa_system_sgpr_workgroup_id_z 0
		.amdhsa_system_sgpr_workgroup_info 0
		.amdhsa_system_vgpr_workitem_id 0
		.amdhsa_next_free_vgpr 1
		.amdhsa_next_free_sgpr 1
		.amdhsa_named_barrier_count 0
		.amdhsa_reserve_vcc 0
		.amdhsa_float_round_mode_32 0
		.amdhsa_float_round_mode_16_64 0
		.amdhsa_float_denorm_mode_32 3
		.amdhsa_float_denorm_mode_16_64 3
		.amdhsa_fp16_overflow 0
		.amdhsa_memory_ordered 1
		.amdhsa_forward_progress 1
		.amdhsa_inst_pref_size 0
		.amdhsa_round_robin_scheduling 0
		.amdhsa_exception_fp_ieee_invalid_op 0
		.amdhsa_exception_fp_denorm_src 0
		.amdhsa_exception_fp_ieee_div_zero 0
		.amdhsa_exception_fp_ieee_overflow 0
		.amdhsa_exception_fp_ieee_underflow 0
		.amdhsa_exception_fp_ieee_inexact 0
		.amdhsa_exception_int_div_zero 0
	.end_amdhsa_kernel
	.section	.text._ZN7rocprim17ROCPRIM_400000_NS6detail17trampoline_kernelINS0_14default_configENS1_27scan_by_key_config_selectorIxxEEZZNS1_16scan_by_key_implILNS1_25lookback_scan_determinismE0ELb1ES3_N6thrust23THRUST_200600_302600_NS6detail15normal_iteratorINS9_10device_ptrIxEEEESE_SE_xNS9_10multipliesIxEENS9_8equal_toIxEExEE10hipError_tPvRmT2_T3_T4_T5_mT6_T7_P12ihipStream_tbENKUlT_T0_E_clISt17integral_constantIbLb0EESZ_EEDaSU_SV_EUlSU_E_NS1_11comp_targetILNS1_3genE8ELNS1_11target_archE1030ELNS1_3gpuE2ELNS1_3repE0EEENS1_30default_config_static_selectorELNS0_4arch9wavefront6targetE0EEEvT1_,"axG",@progbits,_ZN7rocprim17ROCPRIM_400000_NS6detail17trampoline_kernelINS0_14default_configENS1_27scan_by_key_config_selectorIxxEEZZNS1_16scan_by_key_implILNS1_25lookback_scan_determinismE0ELb1ES3_N6thrust23THRUST_200600_302600_NS6detail15normal_iteratorINS9_10device_ptrIxEEEESE_SE_xNS9_10multipliesIxEENS9_8equal_toIxEExEE10hipError_tPvRmT2_T3_T4_T5_mT6_T7_P12ihipStream_tbENKUlT_T0_E_clISt17integral_constantIbLb0EESZ_EEDaSU_SV_EUlSU_E_NS1_11comp_targetILNS1_3genE8ELNS1_11target_archE1030ELNS1_3gpuE2ELNS1_3repE0EEENS1_30default_config_static_selectorELNS0_4arch9wavefront6targetE0EEEvT1_,comdat
.Lfunc_end397:
	.size	_ZN7rocprim17ROCPRIM_400000_NS6detail17trampoline_kernelINS0_14default_configENS1_27scan_by_key_config_selectorIxxEEZZNS1_16scan_by_key_implILNS1_25lookback_scan_determinismE0ELb1ES3_N6thrust23THRUST_200600_302600_NS6detail15normal_iteratorINS9_10device_ptrIxEEEESE_SE_xNS9_10multipliesIxEENS9_8equal_toIxEExEE10hipError_tPvRmT2_T3_T4_T5_mT6_T7_P12ihipStream_tbENKUlT_T0_E_clISt17integral_constantIbLb0EESZ_EEDaSU_SV_EUlSU_E_NS1_11comp_targetILNS1_3genE8ELNS1_11target_archE1030ELNS1_3gpuE2ELNS1_3repE0EEENS1_30default_config_static_selectorELNS0_4arch9wavefront6targetE0EEEvT1_, .Lfunc_end397-_ZN7rocprim17ROCPRIM_400000_NS6detail17trampoline_kernelINS0_14default_configENS1_27scan_by_key_config_selectorIxxEEZZNS1_16scan_by_key_implILNS1_25lookback_scan_determinismE0ELb1ES3_N6thrust23THRUST_200600_302600_NS6detail15normal_iteratorINS9_10device_ptrIxEEEESE_SE_xNS9_10multipliesIxEENS9_8equal_toIxEExEE10hipError_tPvRmT2_T3_T4_T5_mT6_T7_P12ihipStream_tbENKUlT_T0_E_clISt17integral_constantIbLb0EESZ_EEDaSU_SV_EUlSU_E_NS1_11comp_targetILNS1_3genE8ELNS1_11target_archE1030ELNS1_3gpuE2ELNS1_3repE0EEENS1_30default_config_static_selectorELNS0_4arch9wavefront6targetE0EEEvT1_
                                        ; -- End function
	.set _ZN7rocprim17ROCPRIM_400000_NS6detail17trampoline_kernelINS0_14default_configENS1_27scan_by_key_config_selectorIxxEEZZNS1_16scan_by_key_implILNS1_25lookback_scan_determinismE0ELb1ES3_N6thrust23THRUST_200600_302600_NS6detail15normal_iteratorINS9_10device_ptrIxEEEESE_SE_xNS9_10multipliesIxEENS9_8equal_toIxEExEE10hipError_tPvRmT2_T3_T4_T5_mT6_T7_P12ihipStream_tbENKUlT_T0_E_clISt17integral_constantIbLb0EESZ_EEDaSU_SV_EUlSU_E_NS1_11comp_targetILNS1_3genE8ELNS1_11target_archE1030ELNS1_3gpuE2ELNS1_3repE0EEENS1_30default_config_static_selectorELNS0_4arch9wavefront6targetE0EEEvT1_.num_vgpr, 0
	.set _ZN7rocprim17ROCPRIM_400000_NS6detail17trampoline_kernelINS0_14default_configENS1_27scan_by_key_config_selectorIxxEEZZNS1_16scan_by_key_implILNS1_25lookback_scan_determinismE0ELb1ES3_N6thrust23THRUST_200600_302600_NS6detail15normal_iteratorINS9_10device_ptrIxEEEESE_SE_xNS9_10multipliesIxEENS9_8equal_toIxEExEE10hipError_tPvRmT2_T3_T4_T5_mT6_T7_P12ihipStream_tbENKUlT_T0_E_clISt17integral_constantIbLb0EESZ_EEDaSU_SV_EUlSU_E_NS1_11comp_targetILNS1_3genE8ELNS1_11target_archE1030ELNS1_3gpuE2ELNS1_3repE0EEENS1_30default_config_static_selectorELNS0_4arch9wavefront6targetE0EEEvT1_.num_agpr, 0
	.set _ZN7rocprim17ROCPRIM_400000_NS6detail17trampoline_kernelINS0_14default_configENS1_27scan_by_key_config_selectorIxxEEZZNS1_16scan_by_key_implILNS1_25lookback_scan_determinismE0ELb1ES3_N6thrust23THRUST_200600_302600_NS6detail15normal_iteratorINS9_10device_ptrIxEEEESE_SE_xNS9_10multipliesIxEENS9_8equal_toIxEExEE10hipError_tPvRmT2_T3_T4_T5_mT6_T7_P12ihipStream_tbENKUlT_T0_E_clISt17integral_constantIbLb0EESZ_EEDaSU_SV_EUlSU_E_NS1_11comp_targetILNS1_3genE8ELNS1_11target_archE1030ELNS1_3gpuE2ELNS1_3repE0EEENS1_30default_config_static_selectorELNS0_4arch9wavefront6targetE0EEEvT1_.numbered_sgpr, 0
	.set _ZN7rocprim17ROCPRIM_400000_NS6detail17trampoline_kernelINS0_14default_configENS1_27scan_by_key_config_selectorIxxEEZZNS1_16scan_by_key_implILNS1_25lookback_scan_determinismE0ELb1ES3_N6thrust23THRUST_200600_302600_NS6detail15normal_iteratorINS9_10device_ptrIxEEEESE_SE_xNS9_10multipliesIxEENS9_8equal_toIxEExEE10hipError_tPvRmT2_T3_T4_T5_mT6_T7_P12ihipStream_tbENKUlT_T0_E_clISt17integral_constantIbLb0EESZ_EEDaSU_SV_EUlSU_E_NS1_11comp_targetILNS1_3genE8ELNS1_11target_archE1030ELNS1_3gpuE2ELNS1_3repE0EEENS1_30default_config_static_selectorELNS0_4arch9wavefront6targetE0EEEvT1_.num_named_barrier, 0
	.set _ZN7rocprim17ROCPRIM_400000_NS6detail17trampoline_kernelINS0_14default_configENS1_27scan_by_key_config_selectorIxxEEZZNS1_16scan_by_key_implILNS1_25lookback_scan_determinismE0ELb1ES3_N6thrust23THRUST_200600_302600_NS6detail15normal_iteratorINS9_10device_ptrIxEEEESE_SE_xNS9_10multipliesIxEENS9_8equal_toIxEExEE10hipError_tPvRmT2_T3_T4_T5_mT6_T7_P12ihipStream_tbENKUlT_T0_E_clISt17integral_constantIbLb0EESZ_EEDaSU_SV_EUlSU_E_NS1_11comp_targetILNS1_3genE8ELNS1_11target_archE1030ELNS1_3gpuE2ELNS1_3repE0EEENS1_30default_config_static_selectorELNS0_4arch9wavefront6targetE0EEEvT1_.private_seg_size, 0
	.set _ZN7rocprim17ROCPRIM_400000_NS6detail17trampoline_kernelINS0_14default_configENS1_27scan_by_key_config_selectorIxxEEZZNS1_16scan_by_key_implILNS1_25lookback_scan_determinismE0ELb1ES3_N6thrust23THRUST_200600_302600_NS6detail15normal_iteratorINS9_10device_ptrIxEEEESE_SE_xNS9_10multipliesIxEENS9_8equal_toIxEExEE10hipError_tPvRmT2_T3_T4_T5_mT6_T7_P12ihipStream_tbENKUlT_T0_E_clISt17integral_constantIbLb0EESZ_EEDaSU_SV_EUlSU_E_NS1_11comp_targetILNS1_3genE8ELNS1_11target_archE1030ELNS1_3gpuE2ELNS1_3repE0EEENS1_30default_config_static_selectorELNS0_4arch9wavefront6targetE0EEEvT1_.uses_vcc, 0
	.set _ZN7rocprim17ROCPRIM_400000_NS6detail17trampoline_kernelINS0_14default_configENS1_27scan_by_key_config_selectorIxxEEZZNS1_16scan_by_key_implILNS1_25lookback_scan_determinismE0ELb1ES3_N6thrust23THRUST_200600_302600_NS6detail15normal_iteratorINS9_10device_ptrIxEEEESE_SE_xNS9_10multipliesIxEENS9_8equal_toIxEExEE10hipError_tPvRmT2_T3_T4_T5_mT6_T7_P12ihipStream_tbENKUlT_T0_E_clISt17integral_constantIbLb0EESZ_EEDaSU_SV_EUlSU_E_NS1_11comp_targetILNS1_3genE8ELNS1_11target_archE1030ELNS1_3gpuE2ELNS1_3repE0EEENS1_30default_config_static_selectorELNS0_4arch9wavefront6targetE0EEEvT1_.uses_flat_scratch, 0
	.set _ZN7rocprim17ROCPRIM_400000_NS6detail17trampoline_kernelINS0_14default_configENS1_27scan_by_key_config_selectorIxxEEZZNS1_16scan_by_key_implILNS1_25lookback_scan_determinismE0ELb1ES3_N6thrust23THRUST_200600_302600_NS6detail15normal_iteratorINS9_10device_ptrIxEEEESE_SE_xNS9_10multipliesIxEENS9_8equal_toIxEExEE10hipError_tPvRmT2_T3_T4_T5_mT6_T7_P12ihipStream_tbENKUlT_T0_E_clISt17integral_constantIbLb0EESZ_EEDaSU_SV_EUlSU_E_NS1_11comp_targetILNS1_3genE8ELNS1_11target_archE1030ELNS1_3gpuE2ELNS1_3repE0EEENS1_30default_config_static_selectorELNS0_4arch9wavefront6targetE0EEEvT1_.has_dyn_sized_stack, 0
	.set _ZN7rocprim17ROCPRIM_400000_NS6detail17trampoline_kernelINS0_14default_configENS1_27scan_by_key_config_selectorIxxEEZZNS1_16scan_by_key_implILNS1_25lookback_scan_determinismE0ELb1ES3_N6thrust23THRUST_200600_302600_NS6detail15normal_iteratorINS9_10device_ptrIxEEEESE_SE_xNS9_10multipliesIxEENS9_8equal_toIxEExEE10hipError_tPvRmT2_T3_T4_T5_mT6_T7_P12ihipStream_tbENKUlT_T0_E_clISt17integral_constantIbLb0EESZ_EEDaSU_SV_EUlSU_E_NS1_11comp_targetILNS1_3genE8ELNS1_11target_archE1030ELNS1_3gpuE2ELNS1_3repE0EEENS1_30default_config_static_selectorELNS0_4arch9wavefront6targetE0EEEvT1_.has_recursion, 0
	.set _ZN7rocprim17ROCPRIM_400000_NS6detail17trampoline_kernelINS0_14default_configENS1_27scan_by_key_config_selectorIxxEEZZNS1_16scan_by_key_implILNS1_25lookback_scan_determinismE0ELb1ES3_N6thrust23THRUST_200600_302600_NS6detail15normal_iteratorINS9_10device_ptrIxEEEESE_SE_xNS9_10multipliesIxEENS9_8equal_toIxEExEE10hipError_tPvRmT2_T3_T4_T5_mT6_T7_P12ihipStream_tbENKUlT_T0_E_clISt17integral_constantIbLb0EESZ_EEDaSU_SV_EUlSU_E_NS1_11comp_targetILNS1_3genE8ELNS1_11target_archE1030ELNS1_3gpuE2ELNS1_3repE0EEENS1_30default_config_static_selectorELNS0_4arch9wavefront6targetE0EEEvT1_.has_indirect_call, 0
	.section	.AMDGPU.csdata,"",@progbits
; Kernel info:
; codeLenInByte = 0
; TotalNumSgprs: 0
; NumVgprs: 0
; ScratchSize: 0
; MemoryBound: 0
; FloatMode: 240
; IeeeMode: 1
; LDSByteSize: 0 bytes/workgroup (compile time only)
; SGPRBlocks: 0
; VGPRBlocks: 0
; NumSGPRsForWavesPerEU: 1
; NumVGPRsForWavesPerEU: 1
; NamedBarCnt: 0
; Occupancy: 16
; WaveLimiterHint : 0
; COMPUTE_PGM_RSRC2:SCRATCH_EN: 0
; COMPUTE_PGM_RSRC2:USER_SGPR: 2
; COMPUTE_PGM_RSRC2:TRAP_HANDLER: 0
; COMPUTE_PGM_RSRC2:TGID_X_EN: 1
; COMPUTE_PGM_RSRC2:TGID_Y_EN: 0
; COMPUTE_PGM_RSRC2:TGID_Z_EN: 0
; COMPUTE_PGM_RSRC2:TIDIG_COMP_CNT: 0
	.section	.text._ZN7rocprim17ROCPRIM_400000_NS6detail17trampoline_kernelINS0_14default_configENS1_27scan_by_key_config_selectorIxxEEZZNS1_16scan_by_key_implILNS1_25lookback_scan_determinismE0ELb1ES3_N6thrust23THRUST_200600_302600_NS6detail15normal_iteratorINS9_10device_ptrIxEEEESE_SE_xNS9_10multipliesIxEENS9_8equal_toIxEExEE10hipError_tPvRmT2_T3_T4_T5_mT6_T7_P12ihipStream_tbENKUlT_T0_E_clISt17integral_constantIbLb1EESZ_EEDaSU_SV_EUlSU_E_NS1_11comp_targetILNS1_3genE0ELNS1_11target_archE4294967295ELNS1_3gpuE0ELNS1_3repE0EEENS1_30default_config_static_selectorELNS0_4arch9wavefront6targetE0EEEvT1_,"axG",@progbits,_ZN7rocprim17ROCPRIM_400000_NS6detail17trampoline_kernelINS0_14default_configENS1_27scan_by_key_config_selectorIxxEEZZNS1_16scan_by_key_implILNS1_25lookback_scan_determinismE0ELb1ES3_N6thrust23THRUST_200600_302600_NS6detail15normal_iteratorINS9_10device_ptrIxEEEESE_SE_xNS9_10multipliesIxEENS9_8equal_toIxEExEE10hipError_tPvRmT2_T3_T4_T5_mT6_T7_P12ihipStream_tbENKUlT_T0_E_clISt17integral_constantIbLb1EESZ_EEDaSU_SV_EUlSU_E_NS1_11comp_targetILNS1_3genE0ELNS1_11target_archE4294967295ELNS1_3gpuE0ELNS1_3repE0EEENS1_30default_config_static_selectorELNS0_4arch9wavefront6targetE0EEEvT1_,comdat
	.protected	_ZN7rocprim17ROCPRIM_400000_NS6detail17trampoline_kernelINS0_14default_configENS1_27scan_by_key_config_selectorIxxEEZZNS1_16scan_by_key_implILNS1_25lookback_scan_determinismE0ELb1ES3_N6thrust23THRUST_200600_302600_NS6detail15normal_iteratorINS9_10device_ptrIxEEEESE_SE_xNS9_10multipliesIxEENS9_8equal_toIxEExEE10hipError_tPvRmT2_T3_T4_T5_mT6_T7_P12ihipStream_tbENKUlT_T0_E_clISt17integral_constantIbLb1EESZ_EEDaSU_SV_EUlSU_E_NS1_11comp_targetILNS1_3genE0ELNS1_11target_archE4294967295ELNS1_3gpuE0ELNS1_3repE0EEENS1_30default_config_static_selectorELNS0_4arch9wavefront6targetE0EEEvT1_ ; -- Begin function _ZN7rocprim17ROCPRIM_400000_NS6detail17trampoline_kernelINS0_14default_configENS1_27scan_by_key_config_selectorIxxEEZZNS1_16scan_by_key_implILNS1_25lookback_scan_determinismE0ELb1ES3_N6thrust23THRUST_200600_302600_NS6detail15normal_iteratorINS9_10device_ptrIxEEEESE_SE_xNS9_10multipliesIxEENS9_8equal_toIxEExEE10hipError_tPvRmT2_T3_T4_T5_mT6_T7_P12ihipStream_tbENKUlT_T0_E_clISt17integral_constantIbLb1EESZ_EEDaSU_SV_EUlSU_E_NS1_11comp_targetILNS1_3genE0ELNS1_11target_archE4294967295ELNS1_3gpuE0ELNS1_3repE0EEENS1_30default_config_static_selectorELNS0_4arch9wavefront6targetE0EEEvT1_
	.globl	_ZN7rocprim17ROCPRIM_400000_NS6detail17trampoline_kernelINS0_14default_configENS1_27scan_by_key_config_selectorIxxEEZZNS1_16scan_by_key_implILNS1_25lookback_scan_determinismE0ELb1ES3_N6thrust23THRUST_200600_302600_NS6detail15normal_iteratorINS9_10device_ptrIxEEEESE_SE_xNS9_10multipliesIxEENS9_8equal_toIxEExEE10hipError_tPvRmT2_T3_T4_T5_mT6_T7_P12ihipStream_tbENKUlT_T0_E_clISt17integral_constantIbLb1EESZ_EEDaSU_SV_EUlSU_E_NS1_11comp_targetILNS1_3genE0ELNS1_11target_archE4294967295ELNS1_3gpuE0ELNS1_3repE0EEENS1_30default_config_static_selectorELNS0_4arch9wavefront6targetE0EEEvT1_
	.p2align	8
	.type	_ZN7rocprim17ROCPRIM_400000_NS6detail17trampoline_kernelINS0_14default_configENS1_27scan_by_key_config_selectorIxxEEZZNS1_16scan_by_key_implILNS1_25lookback_scan_determinismE0ELb1ES3_N6thrust23THRUST_200600_302600_NS6detail15normal_iteratorINS9_10device_ptrIxEEEESE_SE_xNS9_10multipliesIxEENS9_8equal_toIxEExEE10hipError_tPvRmT2_T3_T4_T5_mT6_T7_P12ihipStream_tbENKUlT_T0_E_clISt17integral_constantIbLb1EESZ_EEDaSU_SV_EUlSU_E_NS1_11comp_targetILNS1_3genE0ELNS1_11target_archE4294967295ELNS1_3gpuE0ELNS1_3repE0EEENS1_30default_config_static_selectorELNS0_4arch9wavefront6targetE0EEEvT1_,@function
_ZN7rocprim17ROCPRIM_400000_NS6detail17trampoline_kernelINS0_14default_configENS1_27scan_by_key_config_selectorIxxEEZZNS1_16scan_by_key_implILNS1_25lookback_scan_determinismE0ELb1ES3_N6thrust23THRUST_200600_302600_NS6detail15normal_iteratorINS9_10device_ptrIxEEEESE_SE_xNS9_10multipliesIxEENS9_8equal_toIxEExEE10hipError_tPvRmT2_T3_T4_T5_mT6_T7_P12ihipStream_tbENKUlT_T0_E_clISt17integral_constantIbLb1EESZ_EEDaSU_SV_EUlSU_E_NS1_11comp_targetILNS1_3genE0ELNS1_11target_archE4294967295ELNS1_3gpuE0ELNS1_3repE0EEENS1_30default_config_static_selectorELNS0_4arch9wavefront6targetE0EEEvT1_: ; @_ZN7rocprim17ROCPRIM_400000_NS6detail17trampoline_kernelINS0_14default_configENS1_27scan_by_key_config_selectorIxxEEZZNS1_16scan_by_key_implILNS1_25lookback_scan_determinismE0ELb1ES3_N6thrust23THRUST_200600_302600_NS6detail15normal_iteratorINS9_10device_ptrIxEEEESE_SE_xNS9_10multipliesIxEENS9_8equal_toIxEExEE10hipError_tPvRmT2_T3_T4_T5_mT6_T7_P12ihipStream_tbENKUlT_T0_E_clISt17integral_constantIbLb1EESZ_EEDaSU_SV_EUlSU_E_NS1_11comp_targetILNS1_3genE0ELNS1_11target_archE4294967295ELNS1_3gpuE0ELNS1_3repE0EEENS1_30default_config_static_selectorELNS0_4arch9wavefront6targetE0EEEvT1_
; %bb.0:
	s_endpgm
	.section	.rodata,"a",@progbits
	.p2align	6, 0x0
	.amdhsa_kernel _ZN7rocprim17ROCPRIM_400000_NS6detail17trampoline_kernelINS0_14default_configENS1_27scan_by_key_config_selectorIxxEEZZNS1_16scan_by_key_implILNS1_25lookback_scan_determinismE0ELb1ES3_N6thrust23THRUST_200600_302600_NS6detail15normal_iteratorINS9_10device_ptrIxEEEESE_SE_xNS9_10multipliesIxEENS9_8equal_toIxEExEE10hipError_tPvRmT2_T3_T4_T5_mT6_T7_P12ihipStream_tbENKUlT_T0_E_clISt17integral_constantIbLb1EESZ_EEDaSU_SV_EUlSU_E_NS1_11comp_targetILNS1_3genE0ELNS1_11target_archE4294967295ELNS1_3gpuE0ELNS1_3repE0EEENS1_30default_config_static_selectorELNS0_4arch9wavefront6targetE0EEEvT1_
		.amdhsa_group_segment_fixed_size 0
		.amdhsa_private_segment_fixed_size 0
		.amdhsa_kernarg_size 136
		.amdhsa_user_sgpr_count 2
		.amdhsa_user_sgpr_dispatch_ptr 0
		.amdhsa_user_sgpr_queue_ptr 0
		.amdhsa_user_sgpr_kernarg_segment_ptr 1
		.amdhsa_user_sgpr_dispatch_id 0
		.amdhsa_user_sgpr_kernarg_preload_length 0
		.amdhsa_user_sgpr_kernarg_preload_offset 0
		.amdhsa_user_sgpr_private_segment_size 0
		.amdhsa_wavefront_size32 1
		.amdhsa_uses_dynamic_stack 0
		.amdhsa_enable_private_segment 0
		.amdhsa_system_sgpr_workgroup_id_x 1
		.amdhsa_system_sgpr_workgroup_id_y 0
		.amdhsa_system_sgpr_workgroup_id_z 0
		.amdhsa_system_sgpr_workgroup_info 0
		.amdhsa_system_vgpr_workitem_id 0
		.amdhsa_next_free_vgpr 1
		.amdhsa_next_free_sgpr 1
		.amdhsa_named_barrier_count 0
		.amdhsa_reserve_vcc 0
		.amdhsa_float_round_mode_32 0
		.amdhsa_float_round_mode_16_64 0
		.amdhsa_float_denorm_mode_32 3
		.amdhsa_float_denorm_mode_16_64 3
		.amdhsa_fp16_overflow 0
		.amdhsa_memory_ordered 1
		.amdhsa_forward_progress 1
		.amdhsa_inst_pref_size 1
		.amdhsa_round_robin_scheduling 0
		.amdhsa_exception_fp_ieee_invalid_op 0
		.amdhsa_exception_fp_denorm_src 0
		.amdhsa_exception_fp_ieee_div_zero 0
		.amdhsa_exception_fp_ieee_overflow 0
		.amdhsa_exception_fp_ieee_underflow 0
		.amdhsa_exception_fp_ieee_inexact 0
		.amdhsa_exception_int_div_zero 0
	.end_amdhsa_kernel
	.section	.text._ZN7rocprim17ROCPRIM_400000_NS6detail17trampoline_kernelINS0_14default_configENS1_27scan_by_key_config_selectorIxxEEZZNS1_16scan_by_key_implILNS1_25lookback_scan_determinismE0ELb1ES3_N6thrust23THRUST_200600_302600_NS6detail15normal_iteratorINS9_10device_ptrIxEEEESE_SE_xNS9_10multipliesIxEENS9_8equal_toIxEExEE10hipError_tPvRmT2_T3_T4_T5_mT6_T7_P12ihipStream_tbENKUlT_T0_E_clISt17integral_constantIbLb1EESZ_EEDaSU_SV_EUlSU_E_NS1_11comp_targetILNS1_3genE0ELNS1_11target_archE4294967295ELNS1_3gpuE0ELNS1_3repE0EEENS1_30default_config_static_selectorELNS0_4arch9wavefront6targetE0EEEvT1_,"axG",@progbits,_ZN7rocprim17ROCPRIM_400000_NS6detail17trampoline_kernelINS0_14default_configENS1_27scan_by_key_config_selectorIxxEEZZNS1_16scan_by_key_implILNS1_25lookback_scan_determinismE0ELb1ES3_N6thrust23THRUST_200600_302600_NS6detail15normal_iteratorINS9_10device_ptrIxEEEESE_SE_xNS9_10multipliesIxEENS9_8equal_toIxEExEE10hipError_tPvRmT2_T3_T4_T5_mT6_T7_P12ihipStream_tbENKUlT_T0_E_clISt17integral_constantIbLb1EESZ_EEDaSU_SV_EUlSU_E_NS1_11comp_targetILNS1_3genE0ELNS1_11target_archE4294967295ELNS1_3gpuE0ELNS1_3repE0EEENS1_30default_config_static_selectorELNS0_4arch9wavefront6targetE0EEEvT1_,comdat
.Lfunc_end398:
	.size	_ZN7rocprim17ROCPRIM_400000_NS6detail17trampoline_kernelINS0_14default_configENS1_27scan_by_key_config_selectorIxxEEZZNS1_16scan_by_key_implILNS1_25lookback_scan_determinismE0ELb1ES3_N6thrust23THRUST_200600_302600_NS6detail15normal_iteratorINS9_10device_ptrIxEEEESE_SE_xNS9_10multipliesIxEENS9_8equal_toIxEExEE10hipError_tPvRmT2_T3_T4_T5_mT6_T7_P12ihipStream_tbENKUlT_T0_E_clISt17integral_constantIbLb1EESZ_EEDaSU_SV_EUlSU_E_NS1_11comp_targetILNS1_3genE0ELNS1_11target_archE4294967295ELNS1_3gpuE0ELNS1_3repE0EEENS1_30default_config_static_selectorELNS0_4arch9wavefront6targetE0EEEvT1_, .Lfunc_end398-_ZN7rocprim17ROCPRIM_400000_NS6detail17trampoline_kernelINS0_14default_configENS1_27scan_by_key_config_selectorIxxEEZZNS1_16scan_by_key_implILNS1_25lookback_scan_determinismE0ELb1ES3_N6thrust23THRUST_200600_302600_NS6detail15normal_iteratorINS9_10device_ptrIxEEEESE_SE_xNS9_10multipliesIxEENS9_8equal_toIxEExEE10hipError_tPvRmT2_T3_T4_T5_mT6_T7_P12ihipStream_tbENKUlT_T0_E_clISt17integral_constantIbLb1EESZ_EEDaSU_SV_EUlSU_E_NS1_11comp_targetILNS1_3genE0ELNS1_11target_archE4294967295ELNS1_3gpuE0ELNS1_3repE0EEENS1_30default_config_static_selectorELNS0_4arch9wavefront6targetE0EEEvT1_
                                        ; -- End function
	.set _ZN7rocprim17ROCPRIM_400000_NS6detail17trampoline_kernelINS0_14default_configENS1_27scan_by_key_config_selectorIxxEEZZNS1_16scan_by_key_implILNS1_25lookback_scan_determinismE0ELb1ES3_N6thrust23THRUST_200600_302600_NS6detail15normal_iteratorINS9_10device_ptrIxEEEESE_SE_xNS9_10multipliesIxEENS9_8equal_toIxEExEE10hipError_tPvRmT2_T3_T4_T5_mT6_T7_P12ihipStream_tbENKUlT_T0_E_clISt17integral_constantIbLb1EESZ_EEDaSU_SV_EUlSU_E_NS1_11comp_targetILNS1_3genE0ELNS1_11target_archE4294967295ELNS1_3gpuE0ELNS1_3repE0EEENS1_30default_config_static_selectorELNS0_4arch9wavefront6targetE0EEEvT1_.num_vgpr, 0
	.set _ZN7rocprim17ROCPRIM_400000_NS6detail17trampoline_kernelINS0_14default_configENS1_27scan_by_key_config_selectorIxxEEZZNS1_16scan_by_key_implILNS1_25lookback_scan_determinismE0ELb1ES3_N6thrust23THRUST_200600_302600_NS6detail15normal_iteratorINS9_10device_ptrIxEEEESE_SE_xNS9_10multipliesIxEENS9_8equal_toIxEExEE10hipError_tPvRmT2_T3_T4_T5_mT6_T7_P12ihipStream_tbENKUlT_T0_E_clISt17integral_constantIbLb1EESZ_EEDaSU_SV_EUlSU_E_NS1_11comp_targetILNS1_3genE0ELNS1_11target_archE4294967295ELNS1_3gpuE0ELNS1_3repE0EEENS1_30default_config_static_selectorELNS0_4arch9wavefront6targetE0EEEvT1_.num_agpr, 0
	.set _ZN7rocprim17ROCPRIM_400000_NS6detail17trampoline_kernelINS0_14default_configENS1_27scan_by_key_config_selectorIxxEEZZNS1_16scan_by_key_implILNS1_25lookback_scan_determinismE0ELb1ES3_N6thrust23THRUST_200600_302600_NS6detail15normal_iteratorINS9_10device_ptrIxEEEESE_SE_xNS9_10multipliesIxEENS9_8equal_toIxEExEE10hipError_tPvRmT2_T3_T4_T5_mT6_T7_P12ihipStream_tbENKUlT_T0_E_clISt17integral_constantIbLb1EESZ_EEDaSU_SV_EUlSU_E_NS1_11comp_targetILNS1_3genE0ELNS1_11target_archE4294967295ELNS1_3gpuE0ELNS1_3repE0EEENS1_30default_config_static_selectorELNS0_4arch9wavefront6targetE0EEEvT1_.numbered_sgpr, 0
	.set _ZN7rocprim17ROCPRIM_400000_NS6detail17trampoline_kernelINS0_14default_configENS1_27scan_by_key_config_selectorIxxEEZZNS1_16scan_by_key_implILNS1_25lookback_scan_determinismE0ELb1ES3_N6thrust23THRUST_200600_302600_NS6detail15normal_iteratorINS9_10device_ptrIxEEEESE_SE_xNS9_10multipliesIxEENS9_8equal_toIxEExEE10hipError_tPvRmT2_T3_T4_T5_mT6_T7_P12ihipStream_tbENKUlT_T0_E_clISt17integral_constantIbLb1EESZ_EEDaSU_SV_EUlSU_E_NS1_11comp_targetILNS1_3genE0ELNS1_11target_archE4294967295ELNS1_3gpuE0ELNS1_3repE0EEENS1_30default_config_static_selectorELNS0_4arch9wavefront6targetE0EEEvT1_.num_named_barrier, 0
	.set _ZN7rocprim17ROCPRIM_400000_NS6detail17trampoline_kernelINS0_14default_configENS1_27scan_by_key_config_selectorIxxEEZZNS1_16scan_by_key_implILNS1_25lookback_scan_determinismE0ELb1ES3_N6thrust23THRUST_200600_302600_NS6detail15normal_iteratorINS9_10device_ptrIxEEEESE_SE_xNS9_10multipliesIxEENS9_8equal_toIxEExEE10hipError_tPvRmT2_T3_T4_T5_mT6_T7_P12ihipStream_tbENKUlT_T0_E_clISt17integral_constantIbLb1EESZ_EEDaSU_SV_EUlSU_E_NS1_11comp_targetILNS1_3genE0ELNS1_11target_archE4294967295ELNS1_3gpuE0ELNS1_3repE0EEENS1_30default_config_static_selectorELNS0_4arch9wavefront6targetE0EEEvT1_.private_seg_size, 0
	.set _ZN7rocprim17ROCPRIM_400000_NS6detail17trampoline_kernelINS0_14default_configENS1_27scan_by_key_config_selectorIxxEEZZNS1_16scan_by_key_implILNS1_25lookback_scan_determinismE0ELb1ES3_N6thrust23THRUST_200600_302600_NS6detail15normal_iteratorINS9_10device_ptrIxEEEESE_SE_xNS9_10multipliesIxEENS9_8equal_toIxEExEE10hipError_tPvRmT2_T3_T4_T5_mT6_T7_P12ihipStream_tbENKUlT_T0_E_clISt17integral_constantIbLb1EESZ_EEDaSU_SV_EUlSU_E_NS1_11comp_targetILNS1_3genE0ELNS1_11target_archE4294967295ELNS1_3gpuE0ELNS1_3repE0EEENS1_30default_config_static_selectorELNS0_4arch9wavefront6targetE0EEEvT1_.uses_vcc, 0
	.set _ZN7rocprim17ROCPRIM_400000_NS6detail17trampoline_kernelINS0_14default_configENS1_27scan_by_key_config_selectorIxxEEZZNS1_16scan_by_key_implILNS1_25lookback_scan_determinismE0ELb1ES3_N6thrust23THRUST_200600_302600_NS6detail15normal_iteratorINS9_10device_ptrIxEEEESE_SE_xNS9_10multipliesIxEENS9_8equal_toIxEExEE10hipError_tPvRmT2_T3_T4_T5_mT6_T7_P12ihipStream_tbENKUlT_T0_E_clISt17integral_constantIbLb1EESZ_EEDaSU_SV_EUlSU_E_NS1_11comp_targetILNS1_3genE0ELNS1_11target_archE4294967295ELNS1_3gpuE0ELNS1_3repE0EEENS1_30default_config_static_selectorELNS0_4arch9wavefront6targetE0EEEvT1_.uses_flat_scratch, 0
	.set _ZN7rocprim17ROCPRIM_400000_NS6detail17trampoline_kernelINS0_14default_configENS1_27scan_by_key_config_selectorIxxEEZZNS1_16scan_by_key_implILNS1_25lookback_scan_determinismE0ELb1ES3_N6thrust23THRUST_200600_302600_NS6detail15normal_iteratorINS9_10device_ptrIxEEEESE_SE_xNS9_10multipliesIxEENS9_8equal_toIxEExEE10hipError_tPvRmT2_T3_T4_T5_mT6_T7_P12ihipStream_tbENKUlT_T0_E_clISt17integral_constantIbLb1EESZ_EEDaSU_SV_EUlSU_E_NS1_11comp_targetILNS1_3genE0ELNS1_11target_archE4294967295ELNS1_3gpuE0ELNS1_3repE0EEENS1_30default_config_static_selectorELNS0_4arch9wavefront6targetE0EEEvT1_.has_dyn_sized_stack, 0
	.set _ZN7rocprim17ROCPRIM_400000_NS6detail17trampoline_kernelINS0_14default_configENS1_27scan_by_key_config_selectorIxxEEZZNS1_16scan_by_key_implILNS1_25lookback_scan_determinismE0ELb1ES3_N6thrust23THRUST_200600_302600_NS6detail15normal_iteratorINS9_10device_ptrIxEEEESE_SE_xNS9_10multipliesIxEENS9_8equal_toIxEExEE10hipError_tPvRmT2_T3_T4_T5_mT6_T7_P12ihipStream_tbENKUlT_T0_E_clISt17integral_constantIbLb1EESZ_EEDaSU_SV_EUlSU_E_NS1_11comp_targetILNS1_3genE0ELNS1_11target_archE4294967295ELNS1_3gpuE0ELNS1_3repE0EEENS1_30default_config_static_selectorELNS0_4arch9wavefront6targetE0EEEvT1_.has_recursion, 0
	.set _ZN7rocprim17ROCPRIM_400000_NS6detail17trampoline_kernelINS0_14default_configENS1_27scan_by_key_config_selectorIxxEEZZNS1_16scan_by_key_implILNS1_25lookback_scan_determinismE0ELb1ES3_N6thrust23THRUST_200600_302600_NS6detail15normal_iteratorINS9_10device_ptrIxEEEESE_SE_xNS9_10multipliesIxEENS9_8equal_toIxEExEE10hipError_tPvRmT2_T3_T4_T5_mT6_T7_P12ihipStream_tbENKUlT_T0_E_clISt17integral_constantIbLb1EESZ_EEDaSU_SV_EUlSU_E_NS1_11comp_targetILNS1_3genE0ELNS1_11target_archE4294967295ELNS1_3gpuE0ELNS1_3repE0EEENS1_30default_config_static_selectorELNS0_4arch9wavefront6targetE0EEEvT1_.has_indirect_call, 0
	.section	.AMDGPU.csdata,"",@progbits
; Kernel info:
; codeLenInByte = 4
; TotalNumSgprs: 0
; NumVgprs: 0
; ScratchSize: 0
; MemoryBound: 0
; FloatMode: 240
; IeeeMode: 1
; LDSByteSize: 0 bytes/workgroup (compile time only)
; SGPRBlocks: 0
; VGPRBlocks: 0
; NumSGPRsForWavesPerEU: 1
; NumVGPRsForWavesPerEU: 1
; NamedBarCnt: 0
; Occupancy: 16
; WaveLimiterHint : 0
; COMPUTE_PGM_RSRC2:SCRATCH_EN: 0
; COMPUTE_PGM_RSRC2:USER_SGPR: 2
; COMPUTE_PGM_RSRC2:TRAP_HANDLER: 0
; COMPUTE_PGM_RSRC2:TGID_X_EN: 1
; COMPUTE_PGM_RSRC2:TGID_Y_EN: 0
; COMPUTE_PGM_RSRC2:TGID_Z_EN: 0
; COMPUTE_PGM_RSRC2:TIDIG_COMP_CNT: 0
	.section	.text._ZN7rocprim17ROCPRIM_400000_NS6detail17trampoline_kernelINS0_14default_configENS1_27scan_by_key_config_selectorIxxEEZZNS1_16scan_by_key_implILNS1_25lookback_scan_determinismE0ELb1ES3_N6thrust23THRUST_200600_302600_NS6detail15normal_iteratorINS9_10device_ptrIxEEEESE_SE_xNS9_10multipliesIxEENS9_8equal_toIxEExEE10hipError_tPvRmT2_T3_T4_T5_mT6_T7_P12ihipStream_tbENKUlT_T0_E_clISt17integral_constantIbLb1EESZ_EEDaSU_SV_EUlSU_E_NS1_11comp_targetILNS1_3genE10ELNS1_11target_archE1201ELNS1_3gpuE5ELNS1_3repE0EEENS1_30default_config_static_selectorELNS0_4arch9wavefront6targetE0EEEvT1_,"axG",@progbits,_ZN7rocprim17ROCPRIM_400000_NS6detail17trampoline_kernelINS0_14default_configENS1_27scan_by_key_config_selectorIxxEEZZNS1_16scan_by_key_implILNS1_25lookback_scan_determinismE0ELb1ES3_N6thrust23THRUST_200600_302600_NS6detail15normal_iteratorINS9_10device_ptrIxEEEESE_SE_xNS9_10multipliesIxEENS9_8equal_toIxEExEE10hipError_tPvRmT2_T3_T4_T5_mT6_T7_P12ihipStream_tbENKUlT_T0_E_clISt17integral_constantIbLb1EESZ_EEDaSU_SV_EUlSU_E_NS1_11comp_targetILNS1_3genE10ELNS1_11target_archE1201ELNS1_3gpuE5ELNS1_3repE0EEENS1_30default_config_static_selectorELNS0_4arch9wavefront6targetE0EEEvT1_,comdat
	.protected	_ZN7rocprim17ROCPRIM_400000_NS6detail17trampoline_kernelINS0_14default_configENS1_27scan_by_key_config_selectorIxxEEZZNS1_16scan_by_key_implILNS1_25lookback_scan_determinismE0ELb1ES3_N6thrust23THRUST_200600_302600_NS6detail15normal_iteratorINS9_10device_ptrIxEEEESE_SE_xNS9_10multipliesIxEENS9_8equal_toIxEExEE10hipError_tPvRmT2_T3_T4_T5_mT6_T7_P12ihipStream_tbENKUlT_T0_E_clISt17integral_constantIbLb1EESZ_EEDaSU_SV_EUlSU_E_NS1_11comp_targetILNS1_3genE10ELNS1_11target_archE1201ELNS1_3gpuE5ELNS1_3repE0EEENS1_30default_config_static_selectorELNS0_4arch9wavefront6targetE0EEEvT1_ ; -- Begin function _ZN7rocprim17ROCPRIM_400000_NS6detail17trampoline_kernelINS0_14default_configENS1_27scan_by_key_config_selectorIxxEEZZNS1_16scan_by_key_implILNS1_25lookback_scan_determinismE0ELb1ES3_N6thrust23THRUST_200600_302600_NS6detail15normal_iteratorINS9_10device_ptrIxEEEESE_SE_xNS9_10multipliesIxEENS9_8equal_toIxEExEE10hipError_tPvRmT2_T3_T4_T5_mT6_T7_P12ihipStream_tbENKUlT_T0_E_clISt17integral_constantIbLb1EESZ_EEDaSU_SV_EUlSU_E_NS1_11comp_targetILNS1_3genE10ELNS1_11target_archE1201ELNS1_3gpuE5ELNS1_3repE0EEENS1_30default_config_static_selectorELNS0_4arch9wavefront6targetE0EEEvT1_
	.globl	_ZN7rocprim17ROCPRIM_400000_NS6detail17trampoline_kernelINS0_14default_configENS1_27scan_by_key_config_selectorIxxEEZZNS1_16scan_by_key_implILNS1_25lookback_scan_determinismE0ELb1ES3_N6thrust23THRUST_200600_302600_NS6detail15normal_iteratorINS9_10device_ptrIxEEEESE_SE_xNS9_10multipliesIxEENS9_8equal_toIxEExEE10hipError_tPvRmT2_T3_T4_T5_mT6_T7_P12ihipStream_tbENKUlT_T0_E_clISt17integral_constantIbLb1EESZ_EEDaSU_SV_EUlSU_E_NS1_11comp_targetILNS1_3genE10ELNS1_11target_archE1201ELNS1_3gpuE5ELNS1_3repE0EEENS1_30default_config_static_selectorELNS0_4arch9wavefront6targetE0EEEvT1_
	.p2align	8
	.type	_ZN7rocprim17ROCPRIM_400000_NS6detail17trampoline_kernelINS0_14default_configENS1_27scan_by_key_config_selectorIxxEEZZNS1_16scan_by_key_implILNS1_25lookback_scan_determinismE0ELb1ES3_N6thrust23THRUST_200600_302600_NS6detail15normal_iteratorINS9_10device_ptrIxEEEESE_SE_xNS9_10multipliesIxEENS9_8equal_toIxEExEE10hipError_tPvRmT2_T3_T4_T5_mT6_T7_P12ihipStream_tbENKUlT_T0_E_clISt17integral_constantIbLb1EESZ_EEDaSU_SV_EUlSU_E_NS1_11comp_targetILNS1_3genE10ELNS1_11target_archE1201ELNS1_3gpuE5ELNS1_3repE0EEENS1_30default_config_static_selectorELNS0_4arch9wavefront6targetE0EEEvT1_,@function
_ZN7rocprim17ROCPRIM_400000_NS6detail17trampoline_kernelINS0_14default_configENS1_27scan_by_key_config_selectorIxxEEZZNS1_16scan_by_key_implILNS1_25lookback_scan_determinismE0ELb1ES3_N6thrust23THRUST_200600_302600_NS6detail15normal_iteratorINS9_10device_ptrIxEEEESE_SE_xNS9_10multipliesIxEENS9_8equal_toIxEExEE10hipError_tPvRmT2_T3_T4_T5_mT6_T7_P12ihipStream_tbENKUlT_T0_E_clISt17integral_constantIbLb1EESZ_EEDaSU_SV_EUlSU_E_NS1_11comp_targetILNS1_3genE10ELNS1_11target_archE1201ELNS1_3gpuE5ELNS1_3repE0EEENS1_30default_config_static_selectorELNS0_4arch9wavefront6targetE0EEEvT1_: ; @_ZN7rocprim17ROCPRIM_400000_NS6detail17trampoline_kernelINS0_14default_configENS1_27scan_by_key_config_selectorIxxEEZZNS1_16scan_by_key_implILNS1_25lookback_scan_determinismE0ELb1ES3_N6thrust23THRUST_200600_302600_NS6detail15normal_iteratorINS9_10device_ptrIxEEEESE_SE_xNS9_10multipliesIxEENS9_8equal_toIxEExEE10hipError_tPvRmT2_T3_T4_T5_mT6_T7_P12ihipStream_tbENKUlT_T0_E_clISt17integral_constantIbLb1EESZ_EEDaSU_SV_EUlSU_E_NS1_11comp_targetILNS1_3genE10ELNS1_11target_archE1201ELNS1_3gpuE5ELNS1_3repE0EEENS1_30default_config_static_selectorELNS0_4arch9wavefront6targetE0EEEvT1_
; %bb.0:
	.section	.rodata,"a",@progbits
	.p2align	6, 0x0
	.amdhsa_kernel _ZN7rocprim17ROCPRIM_400000_NS6detail17trampoline_kernelINS0_14default_configENS1_27scan_by_key_config_selectorIxxEEZZNS1_16scan_by_key_implILNS1_25lookback_scan_determinismE0ELb1ES3_N6thrust23THRUST_200600_302600_NS6detail15normal_iteratorINS9_10device_ptrIxEEEESE_SE_xNS9_10multipliesIxEENS9_8equal_toIxEExEE10hipError_tPvRmT2_T3_T4_T5_mT6_T7_P12ihipStream_tbENKUlT_T0_E_clISt17integral_constantIbLb1EESZ_EEDaSU_SV_EUlSU_E_NS1_11comp_targetILNS1_3genE10ELNS1_11target_archE1201ELNS1_3gpuE5ELNS1_3repE0EEENS1_30default_config_static_selectorELNS0_4arch9wavefront6targetE0EEEvT1_
		.amdhsa_group_segment_fixed_size 0
		.amdhsa_private_segment_fixed_size 0
		.amdhsa_kernarg_size 136
		.amdhsa_user_sgpr_count 2
		.amdhsa_user_sgpr_dispatch_ptr 0
		.amdhsa_user_sgpr_queue_ptr 0
		.amdhsa_user_sgpr_kernarg_segment_ptr 1
		.amdhsa_user_sgpr_dispatch_id 0
		.amdhsa_user_sgpr_kernarg_preload_length 0
		.amdhsa_user_sgpr_kernarg_preload_offset 0
		.amdhsa_user_sgpr_private_segment_size 0
		.amdhsa_wavefront_size32 1
		.amdhsa_uses_dynamic_stack 0
		.amdhsa_enable_private_segment 0
		.amdhsa_system_sgpr_workgroup_id_x 1
		.amdhsa_system_sgpr_workgroup_id_y 0
		.amdhsa_system_sgpr_workgroup_id_z 0
		.amdhsa_system_sgpr_workgroup_info 0
		.amdhsa_system_vgpr_workitem_id 0
		.amdhsa_next_free_vgpr 1
		.amdhsa_next_free_sgpr 1
		.amdhsa_named_barrier_count 0
		.amdhsa_reserve_vcc 0
		.amdhsa_float_round_mode_32 0
		.amdhsa_float_round_mode_16_64 0
		.amdhsa_float_denorm_mode_32 3
		.amdhsa_float_denorm_mode_16_64 3
		.amdhsa_fp16_overflow 0
		.amdhsa_memory_ordered 1
		.amdhsa_forward_progress 1
		.amdhsa_inst_pref_size 0
		.amdhsa_round_robin_scheduling 0
		.amdhsa_exception_fp_ieee_invalid_op 0
		.amdhsa_exception_fp_denorm_src 0
		.amdhsa_exception_fp_ieee_div_zero 0
		.amdhsa_exception_fp_ieee_overflow 0
		.amdhsa_exception_fp_ieee_underflow 0
		.amdhsa_exception_fp_ieee_inexact 0
		.amdhsa_exception_int_div_zero 0
	.end_amdhsa_kernel
	.section	.text._ZN7rocprim17ROCPRIM_400000_NS6detail17trampoline_kernelINS0_14default_configENS1_27scan_by_key_config_selectorIxxEEZZNS1_16scan_by_key_implILNS1_25lookback_scan_determinismE0ELb1ES3_N6thrust23THRUST_200600_302600_NS6detail15normal_iteratorINS9_10device_ptrIxEEEESE_SE_xNS9_10multipliesIxEENS9_8equal_toIxEExEE10hipError_tPvRmT2_T3_T4_T5_mT6_T7_P12ihipStream_tbENKUlT_T0_E_clISt17integral_constantIbLb1EESZ_EEDaSU_SV_EUlSU_E_NS1_11comp_targetILNS1_3genE10ELNS1_11target_archE1201ELNS1_3gpuE5ELNS1_3repE0EEENS1_30default_config_static_selectorELNS0_4arch9wavefront6targetE0EEEvT1_,"axG",@progbits,_ZN7rocprim17ROCPRIM_400000_NS6detail17trampoline_kernelINS0_14default_configENS1_27scan_by_key_config_selectorIxxEEZZNS1_16scan_by_key_implILNS1_25lookback_scan_determinismE0ELb1ES3_N6thrust23THRUST_200600_302600_NS6detail15normal_iteratorINS9_10device_ptrIxEEEESE_SE_xNS9_10multipliesIxEENS9_8equal_toIxEExEE10hipError_tPvRmT2_T3_T4_T5_mT6_T7_P12ihipStream_tbENKUlT_T0_E_clISt17integral_constantIbLb1EESZ_EEDaSU_SV_EUlSU_E_NS1_11comp_targetILNS1_3genE10ELNS1_11target_archE1201ELNS1_3gpuE5ELNS1_3repE0EEENS1_30default_config_static_selectorELNS0_4arch9wavefront6targetE0EEEvT1_,comdat
.Lfunc_end399:
	.size	_ZN7rocprim17ROCPRIM_400000_NS6detail17trampoline_kernelINS0_14default_configENS1_27scan_by_key_config_selectorIxxEEZZNS1_16scan_by_key_implILNS1_25lookback_scan_determinismE0ELb1ES3_N6thrust23THRUST_200600_302600_NS6detail15normal_iteratorINS9_10device_ptrIxEEEESE_SE_xNS9_10multipliesIxEENS9_8equal_toIxEExEE10hipError_tPvRmT2_T3_T4_T5_mT6_T7_P12ihipStream_tbENKUlT_T0_E_clISt17integral_constantIbLb1EESZ_EEDaSU_SV_EUlSU_E_NS1_11comp_targetILNS1_3genE10ELNS1_11target_archE1201ELNS1_3gpuE5ELNS1_3repE0EEENS1_30default_config_static_selectorELNS0_4arch9wavefront6targetE0EEEvT1_, .Lfunc_end399-_ZN7rocprim17ROCPRIM_400000_NS6detail17trampoline_kernelINS0_14default_configENS1_27scan_by_key_config_selectorIxxEEZZNS1_16scan_by_key_implILNS1_25lookback_scan_determinismE0ELb1ES3_N6thrust23THRUST_200600_302600_NS6detail15normal_iteratorINS9_10device_ptrIxEEEESE_SE_xNS9_10multipliesIxEENS9_8equal_toIxEExEE10hipError_tPvRmT2_T3_T4_T5_mT6_T7_P12ihipStream_tbENKUlT_T0_E_clISt17integral_constantIbLb1EESZ_EEDaSU_SV_EUlSU_E_NS1_11comp_targetILNS1_3genE10ELNS1_11target_archE1201ELNS1_3gpuE5ELNS1_3repE0EEENS1_30default_config_static_selectorELNS0_4arch9wavefront6targetE0EEEvT1_
                                        ; -- End function
	.set _ZN7rocprim17ROCPRIM_400000_NS6detail17trampoline_kernelINS0_14default_configENS1_27scan_by_key_config_selectorIxxEEZZNS1_16scan_by_key_implILNS1_25lookback_scan_determinismE0ELb1ES3_N6thrust23THRUST_200600_302600_NS6detail15normal_iteratorINS9_10device_ptrIxEEEESE_SE_xNS9_10multipliesIxEENS9_8equal_toIxEExEE10hipError_tPvRmT2_T3_T4_T5_mT6_T7_P12ihipStream_tbENKUlT_T0_E_clISt17integral_constantIbLb1EESZ_EEDaSU_SV_EUlSU_E_NS1_11comp_targetILNS1_3genE10ELNS1_11target_archE1201ELNS1_3gpuE5ELNS1_3repE0EEENS1_30default_config_static_selectorELNS0_4arch9wavefront6targetE0EEEvT1_.num_vgpr, 0
	.set _ZN7rocprim17ROCPRIM_400000_NS6detail17trampoline_kernelINS0_14default_configENS1_27scan_by_key_config_selectorIxxEEZZNS1_16scan_by_key_implILNS1_25lookback_scan_determinismE0ELb1ES3_N6thrust23THRUST_200600_302600_NS6detail15normal_iteratorINS9_10device_ptrIxEEEESE_SE_xNS9_10multipliesIxEENS9_8equal_toIxEExEE10hipError_tPvRmT2_T3_T4_T5_mT6_T7_P12ihipStream_tbENKUlT_T0_E_clISt17integral_constantIbLb1EESZ_EEDaSU_SV_EUlSU_E_NS1_11comp_targetILNS1_3genE10ELNS1_11target_archE1201ELNS1_3gpuE5ELNS1_3repE0EEENS1_30default_config_static_selectorELNS0_4arch9wavefront6targetE0EEEvT1_.num_agpr, 0
	.set _ZN7rocprim17ROCPRIM_400000_NS6detail17trampoline_kernelINS0_14default_configENS1_27scan_by_key_config_selectorIxxEEZZNS1_16scan_by_key_implILNS1_25lookback_scan_determinismE0ELb1ES3_N6thrust23THRUST_200600_302600_NS6detail15normal_iteratorINS9_10device_ptrIxEEEESE_SE_xNS9_10multipliesIxEENS9_8equal_toIxEExEE10hipError_tPvRmT2_T3_T4_T5_mT6_T7_P12ihipStream_tbENKUlT_T0_E_clISt17integral_constantIbLb1EESZ_EEDaSU_SV_EUlSU_E_NS1_11comp_targetILNS1_3genE10ELNS1_11target_archE1201ELNS1_3gpuE5ELNS1_3repE0EEENS1_30default_config_static_selectorELNS0_4arch9wavefront6targetE0EEEvT1_.numbered_sgpr, 0
	.set _ZN7rocprim17ROCPRIM_400000_NS6detail17trampoline_kernelINS0_14default_configENS1_27scan_by_key_config_selectorIxxEEZZNS1_16scan_by_key_implILNS1_25lookback_scan_determinismE0ELb1ES3_N6thrust23THRUST_200600_302600_NS6detail15normal_iteratorINS9_10device_ptrIxEEEESE_SE_xNS9_10multipliesIxEENS9_8equal_toIxEExEE10hipError_tPvRmT2_T3_T4_T5_mT6_T7_P12ihipStream_tbENKUlT_T0_E_clISt17integral_constantIbLb1EESZ_EEDaSU_SV_EUlSU_E_NS1_11comp_targetILNS1_3genE10ELNS1_11target_archE1201ELNS1_3gpuE5ELNS1_3repE0EEENS1_30default_config_static_selectorELNS0_4arch9wavefront6targetE0EEEvT1_.num_named_barrier, 0
	.set _ZN7rocprim17ROCPRIM_400000_NS6detail17trampoline_kernelINS0_14default_configENS1_27scan_by_key_config_selectorIxxEEZZNS1_16scan_by_key_implILNS1_25lookback_scan_determinismE0ELb1ES3_N6thrust23THRUST_200600_302600_NS6detail15normal_iteratorINS9_10device_ptrIxEEEESE_SE_xNS9_10multipliesIxEENS9_8equal_toIxEExEE10hipError_tPvRmT2_T3_T4_T5_mT6_T7_P12ihipStream_tbENKUlT_T0_E_clISt17integral_constantIbLb1EESZ_EEDaSU_SV_EUlSU_E_NS1_11comp_targetILNS1_3genE10ELNS1_11target_archE1201ELNS1_3gpuE5ELNS1_3repE0EEENS1_30default_config_static_selectorELNS0_4arch9wavefront6targetE0EEEvT1_.private_seg_size, 0
	.set _ZN7rocprim17ROCPRIM_400000_NS6detail17trampoline_kernelINS0_14default_configENS1_27scan_by_key_config_selectorIxxEEZZNS1_16scan_by_key_implILNS1_25lookback_scan_determinismE0ELb1ES3_N6thrust23THRUST_200600_302600_NS6detail15normal_iteratorINS9_10device_ptrIxEEEESE_SE_xNS9_10multipliesIxEENS9_8equal_toIxEExEE10hipError_tPvRmT2_T3_T4_T5_mT6_T7_P12ihipStream_tbENKUlT_T0_E_clISt17integral_constantIbLb1EESZ_EEDaSU_SV_EUlSU_E_NS1_11comp_targetILNS1_3genE10ELNS1_11target_archE1201ELNS1_3gpuE5ELNS1_3repE0EEENS1_30default_config_static_selectorELNS0_4arch9wavefront6targetE0EEEvT1_.uses_vcc, 0
	.set _ZN7rocprim17ROCPRIM_400000_NS6detail17trampoline_kernelINS0_14default_configENS1_27scan_by_key_config_selectorIxxEEZZNS1_16scan_by_key_implILNS1_25lookback_scan_determinismE0ELb1ES3_N6thrust23THRUST_200600_302600_NS6detail15normal_iteratorINS9_10device_ptrIxEEEESE_SE_xNS9_10multipliesIxEENS9_8equal_toIxEExEE10hipError_tPvRmT2_T3_T4_T5_mT6_T7_P12ihipStream_tbENKUlT_T0_E_clISt17integral_constantIbLb1EESZ_EEDaSU_SV_EUlSU_E_NS1_11comp_targetILNS1_3genE10ELNS1_11target_archE1201ELNS1_3gpuE5ELNS1_3repE0EEENS1_30default_config_static_selectorELNS0_4arch9wavefront6targetE0EEEvT1_.uses_flat_scratch, 0
	.set _ZN7rocprim17ROCPRIM_400000_NS6detail17trampoline_kernelINS0_14default_configENS1_27scan_by_key_config_selectorIxxEEZZNS1_16scan_by_key_implILNS1_25lookback_scan_determinismE0ELb1ES3_N6thrust23THRUST_200600_302600_NS6detail15normal_iteratorINS9_10device_ptrIxEEEESE_SE_xNS9_10multipliesIxEENS9_8equal_toIxEExEE10hipError_tPvRmT2_T3_T4_T5_mT6_T7_P12ihipStream_tbENKUlT_T0_E_clISt17integral_constantIbLb1EESZ_EEDaSU_SV_EUlSU_E_NS1_11comp_targetILNS1_3genE10ELNS1_11target_archE1201ELNS1_3gpuE5ELNS1_3repE0EEENS1_30default_config_static_selectorELNS0_4arch9wavefront6targetE0EEEvT1_.has_dyn_sized_stack, 0
	.set _ZN7rocprim17ROCPRIM_400000_NS6detail17trampoline_kernelINS0_14default_configENS1_27scan_by_key_config_selectorIxxEEZZNS1_16scan_by_key_implILNS1_25lookback_scan_determinismE0ELb1ES3_N6thrust23THRUST_200600_302600_NS6detail15normal_iteratorINS9_10device_ptrIxEEEESE_SE_xNS9_10multipliesIxEENS9_8equal_toIxEExEE10hipError_tPvRmT2_T3_T4_T5_mT6_T7_P12ihipStream_tbENKUlT_T0_E_clISt17integral_constantIbLb1EESZ_EEDaSU_SV_EUlSU_E_NS1_11comp_targetILNS1_3genE10ELNS1_11target_archE1201ELNS1_3gpuE5ELNS1_3repE0EEENS1_30default_config_static_selectorELNS0_4arch9wavefront6targetE0EEEvT1_.has_recursion, 0
	.set _ZN7rocprim17ROCPRIM_400000_NS6detail17trampoline_kernelINS0_14default_configENS1_27scan_by_key_config_selectorIxxEEZZNS1_16scan_by_key_implILNS1_25lookback_scan_determinismE0ELb1ES3_N6thrust23THRUST_200600_302600_NS6detail15normal_iteratorINS9_10device_ptrIxEEEESE_SE_xNS9_10multipliesIxEENS9_8equal_toIxEExEE10hipError_tPvRmT2_T3_T4_T5_mT6_T7_P12ihipStream_tbENKUlT_T0_E_clISt17integral_constantIbLb1EESZ_EEDaSU_SV_EUlSU_E_NS1_11comp_targetILNS1_3genE10ELNS1_11target_archE1201ELNS1_3gpuE5ELNS1_3repE0EEENS1_30default_config_static_selectorELNS0_4arch9wavefront6targetE0EEEvT1_.has_indirect_call, 0
	.section	.AMDGPU.csdata,"",@progbits
; Kernel info:
; codeLenInByte = 0
; TotalNumSgprs: 0
; NumVgprs: 0
; ScratchSize: 0
; MemoryBound: 0
; FloatMode: 240
; IeeeMode: 1
; LDSByteSize: 0 bytes/workgroup (compile time only)
; SGPRBlocks: 0
; VGPRBlocks: 0
; NumSGPRsForWavesPerEU: 1
; NumVGPRsForWavesPerEU: 1
; NamedBarCnt: 0
; Occupancy: 16
; WaveLimiterHint : 0
; COMPUTE_PGM_RSRC2:SCRATCH_EN: 0
; COMPUTE_PGM_RSRC2:USER_SGPR: 2
; COMPUTE_PGM_RSRC2:TRAP_HANDLER: 0
; COMPUTE_PGM_RSRC2:TGID_X_EN: 1
; COMPUTE_PGM_RSRC2:TGID_Y_EN: 0
; COMPUTE_PGM_RSRC2:TGID_Z_EN: 0
; COMPUTE_PGM_RSRC2:TIDIG_COMP_CNT: 0
	.section	.text._ZN7rocprim17ROCPRIM_400000_NS6detail17trampoline_kernelINS0_14default_configENS1_27scan_by_key_config_selectorIxxEEZZNS1_16scan_by_key_implILNS1_25lookback_scan_determinismE0ELb1ES3_N6thrust23THRUST_200600_302600_NS6detail15normal_iteratorINS9_10device_ptrIxEEEESE_SE_xNS9_10multipliesIxEENS9_8equal_toIxEExEE10hipError_tPvRmT2_T3_T4_T5_mT6_T7_P12ihipStream_tbENKUlT_T0_E_clISt17integral_constantIbLb1EESZ_EEDaSU_SV_EUlSU_E_NS1_11comp_targetILNS1_3genE5ELNS1_11target_archE942ELNS1_3gpuE9ELNS1_3repE0EEENS1_30default_config_static_selectorELNS0_4arch9wavefront6targetE0EEEvT1_,"axG",@progbits,_ZN7rocprim17ROCPRIM_400000_NS6detail17trampoline_kernelINS0_14default_configENS1_27scan_by_key_config_selectorIxxEEZZNS1_16scan_by_key_implILNS1_25lookback_scan_determinismE0ELb1ES3_N6thrust23THRUST_200600_302600_NS6detail15normal_iteratorINS9_10device_ptrIxEEEESE_SE_xNS9_10multipliesIxEENS9_8equal_toIxEExEE10hipError_tPvRmT2_T3_T4_T5_mT6_T7_P12ihipStream_tbENKUlT_T0_E_clISt17integral_constantIbLb1EESZ_EEDaSU_SV_EUlSU_E_NS1_11comp_targetILNS1_3genE5ELNS1_11target_archE942ELNS1_3gpuE9ELNS1_3repE0EEENS1_30default_config_static_selectorELNS0_4arch9wavefront6targetE0EEEvT1_,comdat
	.protected	_ZN7rocprim17ROCPRIM_400000_NS6detail17trampoline_kernelINS0_14default_configENS1_27scan_by_key_config_selectorIxxEEZZNS1_16scan_by_key_implILNS1_25lookback_scan_determinismE0ELb1ES3_N6thrust23THRUST_200600_302600_NS6detail15normal_iteratorINS9_10device_ptrIxEEEESE_SE_xNS9_10multipliesIxEENS9_8equal_toIxEExEE10hipError_tPvRmT2_T3_T4_T5_mT6_T7_P12ihipStream_tbENKUlT_T0_E_clISt17integral_constantIbLb1EESZ_EEDaSU_SV_EUlSU_E_NS1_11comp_targetILNS1_3genE5ELNS1_11target_archE942ELNS1_3gpuE9ELNS1_3repE0EEENS1_30default_config_static_selectorELNS0_4arch9wavefront6targetE0EEEvT1_ ; -- Begin function _ZN7rocprim17ROCPRIM_400000_NS6detail17trampoline_kernelINS0_14default_configENS1_27scan_by_key_config_selectorIxxEEZZNS1_16scan_by_key_implILNS1_25lookback_scan_determinismE0ELb1ES3_N6thrust23THRUST_200600_302600_NS6detail15normal_iteratorINS9_10device_ptrIxEEEESE_SE_xNS9_10multipliesIxEENS9_8equal_toIxEExEE10hipError_tPvRmT2_T3_T4_T5_mT6_T7_P12ihipStream_tbENKUlT_T0_E_clISt17integral_constantIbLb1EESZ_EEDaSU_SV_EUlSU_E_NS1_11comp_targetILNS1_3genE5ELNS1_11target_archE942ELNS1_3gpuE9ELNS1_3repE0EEENS1_30default_config_static_selectorELNS0_4arch9wavefront6targetE0EEEvT1_
	.globl	_ZN7rocprim17ROCPRIM_400000_NS6detail17trampoline_kernelINS0_14default_configENS1_27scan_by_key_config_selectorIxxEEZZNS1_16scan_by_key_implILNS1_25lookback_scan_determinismE0ELb1ES3_N6thrust23THRUST_200600_302600_NS6detail15normal_iteratorINS9_10device_ptrIxEEEESE_SE_xNS9_10multipliesIxEENS9_8equal_toIxEExEE10hipError_tPvRmT2_T3_T4_T5_mT6_T7_P12ihipStream_tbENKUlT_T0_E_clISt17integral_constantIbLb1EESZ_EEDaSU_SV_EUlSU_E_NS1_11comp_targetILNS1_3genE5ELNS1_11target_archE942ELNS1_3gpuE9ELNS1_3repE0EEENS1_30default_config_static_selectorELNS0_4arch9wavefront6targetE0EEEvT1_
	.p2align	8
	.type	_ZN7rocprim17ROCPRIM_400000_NS6detail17trampoline_kernelINS0_14default_configENS1_27scan_by_key_config_selectorIxxEEZZNS1_16scan_by_key_implILNS1_25lookback_scan_determinismE0ELb1ES3_N6thrust23THRUST_200600_302600_NS6detail15normal_iteratorINS9_10device_ptrIxEEEESE_SE_xNS9_10multipliesIxEENS9_8equal_toIxEExEE10hipError_tPvRmT2_T3_T4_T5_mT6_T7_P12ihipStream_tbENKUlT_T0_E_clISt17integral_constantIbLb1EESZ_EEDaSU_SV_EUlSU_E_NS1_11comp_targetILNS1_3genE5ELNS1_11target_archE942ELNS1_3gpuE9ELNS1_3repE0EEENS1_30default_config_static_selectorELNS0_4arch9wavefront6targetE0EEEvT1_,@function
_ZN7rocprim17ROCPRIM_400000_NS6detail17trampoline_kernelINS0_14default_configENS1_27scan_by_key_config_selectorIxxEEZZNS1_16scan_by_key_implILNS1_25lookback_scan_determinismE0ELb1ES3_N6thrust23THRUST_200600_302600_NS6detail15normal_iteratorINS9_10device_ptrIxEEEESE_SE_xNS9_10multipliesIxEENS9_8equal_toIxEExEE10hipError_tPvRmT2_T3_T4_T5_mT6_T7_P12ihipStream_tbENKUlT_T0_E_clISt17integral_constantIbLb1EESZ_EEDaSU_SV_EUlSU_E_NS1_11comp_targetILNS1_3genE5ELNS1_11target_archE942ELNS1_3gpuE9ELNS1_3repE0EEENS1_30default_config_static_selectorELNS0_4arch9wavefront6targetE0EEEvT1_: ; @_ZN7rocprim17ROCPRIM_400000_NS6detail17trampoline_kernelINS0_14default_configENS1_27scan_by_key_config_selectorIxxEEZZNS1_16scan_by_key_implILNS1_25lookback_scan_determinismE0ELb1ES3_N6thrust23THRUST_200600_302600_NS6detail15normal_iteratorINS9_10device_ptrIxEEEESE_SE_xNS9_10multipliesIxEENS9_8equal_toIxEExEE10hipError_tPvRmT2_T3_T4_T5_mT6_T7_P12ihipStream_tbENKUlT_T0_E_clISt17integral_constantIbLb1EESZ_EEDaSU_SV_EUlSU_E_NS1_11comp_targetILNS1_3genE5ELNS1_11target_archE942ELNS1_3gpuE9ELNS1_3repE0EEENS1_30default_config_static_selectorELNS0_4arch9wavefront6targetE0EEEvT1_
; %bb.0:
	.section	.rodata,"a",@progbits
	.p2align	6, 0x0
	.amdhsa_kernel _ZN7rocprim17ROCPRIM_400000_NS6detail17trampoline_kernelINS0_14default_configENS1_27scan_by_key_config_selectorIxxEEZZNS1_16scan_by_key_implILNS1_25lookback_scan_determinismE0ELb1ES3_N6thrust23THRUST_200600_302600_NS6detail15normal_iteratorINS9_10device_ptrIxEEEESE_SE_xNS9_10multipliesIxEENS9_8equal_toIxEExEE10hipError_tPvRmT2_T3_T4_T5_mT6_T7_P12ihipStream_tbENKUlT_T0_E_clISt17integral_constantIbLb1EESZ_EEDaSU_SV_EUlSU_E_NS1_11comp_targetILNS1_3genE5ELNS1_11target_archE942ELNS1_3gpuE9ELNS1_3repE0EEENS1_30default_config_static_selectorELNS0_4arch9wavefront6targetE0EEEvT1_
		.amdhsa_group_segment_fixed_size 0
		.amdhsa_private_segment_fixed_size 0
		.amdhsa_kernarg_size 136
		.amdhsa_user_sgpr_count 2
		.amdhsa_user_sgpr_dispatch_ptr 0
		.amdhsa_user_sgpr_queue_ptr 0
		.amdhsa_user_sgpr_kernarg_segment_ptr 1
		.amdhsa_user_sgpr_dispatch_id 0
		.amdhsa_user_sgpr_kernarg_preload_length 0
		.amdhsa_user_sgpr_kernarg_preload_offset 0
		.amdhsa_user_sgpr_private_segment_size 0
		.amdhsa_wavefront_size32 1
		.amdhsa_uses_dynamic_stack 0
		.amdhsa_enable_private_segment 0
		.amdhsa_system_sgpr_workgroup_id_x 1
		.amdhsa_system_sgpr_workgroup_id_y 0
		.amdhsa_system_sgpr_workgroup_id_z 0
		.amdhsa_system_sgpr_workgroup_info 0
		.amdhsa_system_vgpr_workitem_id 0
		.amdhsa_next_free_vgpr 1
		.amdhsa_next_free_sgpr 1
		.amdhsa_named_barrier_count 0
		.amdhsa_reserve_vcc 0
		.amdhsa_float_round_mode_32 0
		.amdhsa_float_round_mode_16_64 0
		.amdhsa_float_denorm_mode_32 3
		.amdhsa_float_denorm_mode_16_64 3
		.amdhsa_fp16_overflow 0
		.amdhsa_memory_ordered 1
		.amdhsa_forward_progress 1
		.amdhsa_inst_pref_size 0
		.amdhsa_round_robin_scheduling 0
		.amdhsa_exception_fp_ieee_invalid_op 0
		.amdhsa_exception_fp_denorm_src 0
		.amdhsa_exception_fp_ieee_div_zero 0
		.amdhsa_exception_fp_ieee_overflow 0
		.amdhsa_exception_fp_ieee_underflow 0
		.amdhsa_exception_fp_ieee_inexact 0
		.amdhsa_exception_int_div_zero 0
	.end_amdhsa_kernel
	.section	.text._ZN7rocprim17ROCPRIM_400000_NS6detail17trampoline_kernelINS0_14default_configENS1_27scan_by_key_config_selectorIxxEEZZNS1_16scan_by_key_implILNS1_25lookback_scan_determinismE0ELb1ES3_N6thrust23THRUST_200600_302600_NS6detail15normal_iteratorINS9_10device_ptrIxEEEESE_SE_xNS9_10multipliesIxEENS9_8equal_toIxEExEE10hipError_tPvRmT2_T3_T4_T5_mT6_T7_P12ihipStream_tbENKUlT_T0_E_clISt17integral_constantIbLb1EESZ_EEDaSU_SV_EUlSU_E_NS1_11comp_targetILNS1_3genE5ELNS1_11target_archE942ELNS1_3gpuE9ELNS1_3repE0EEENS1_30default_config_static_selectorELNS0_4arch9wavefront6targetE0EEEvT1_,"axG",@progbits,_ZN7rocprim17ROCPRIM_400000_NS6detail17trampoline_kernelINS0_14default_configENS1_27scan_by_key_config_selectorIxxEEZZNS1_16scan_by_key_implILNS1_25lookback_scan_determinismE0ELb1ES3_N6thrust23THRUST_200600_302600_NS6detail15normal_iteratorINS9_10device_ptrIxEEEESE_SE_xNS9_10multipliesIxEENS9_8equal_toIxEExEE10hipError_tPvRmT2_T3_T4_T5_mT6_T7_P12ihipStream_tbENKUlT_T0_E_clISt17integral_constantIbLb1EESZ_EEDaSU_SV_EUlSU_E_NS1_11comp_targetILNS1_3genE5ELNS1_11target_archE942ELNS1_3gpuE9ELNS1_3repE0EEENS1_30default_config_static_selectorELNS0_4arch9wavefront6targetE0EEEvT1_,comdat
.Lfunc_end400:
	.size	_ZN7rocprim17ROCPRIM_400000_NS6detail17trampoline_kernelINS0_14default_configENS1_27scan_by_key_config_selectorIxxEEZZNS1_16scan_by_key_implILNS1_25lookback_scan_determinismE0ELb1ES3_N6thrust23THRUST_200600_302600_NS6detail15normal_iteratorINS9_10device_ptrIxEEEESE_SE_xNS9_10multipliesIxEENS9_8equal_toIxEExEE10hipError_tPvRmT2_T3_T4_T5_mT6_T7_P12ihipStream_tbENKUlT_T0_E_clISt17integral_constantIbLb1EESZ_EEDaSU_SV_EUlSU_E_NS1_11comp_targetILNS1_3genE5ELNS1_11target_archE942ELNS1_3gpuE9ELNS1_3repE0EEENS1_30default_config_static_selectorELNS0_4arch9wavefront6targetE0EEEvT1_, .Lfunc_end400-_ZN7rocprim17ROCPRIM_400000_NS6detail17trampoline_kernelINS0_14default_configENS1_27scan_by_key_config_selectorIxxEEZZNS1_16scan_by_key_implILNS1_25lookback_scan_determinismE0ELb1ES3_N6thrust23THRUST_200600_302600_NS6detail15normal_iteratorINS9_10device_ptrIxEEEESE_SE_xNS9_10multipliesIxEENS9_8equal_toIxEExEE10hipError_tPvRmT2_T3_T4_T5_mT6_T7_P12ihipStream_tbENKUlT_T0_E_clISt17integral_constantIbLb1EESZ_EEDaSU_SV_EUlSU_E_NS1_11comp_targetILNS1_3genE5ELNS1_11target_archE942ELNS1_3gpuE9ELNS1_3repE0EEENS1_30default_config_static_selectorELNS0_4arch9wavefront6targetE0EEEvT1_
                                        ; -- End function
	.set _ZN7rocprim17ROCPRIM_400000_NS6detail17trampoline_kernelINS0_14default_configENS1_27scan_by_key_config_selectorIxxEEZZNS1_16scan_by_key_implILNS1_25lookback_scan_determinismE0ELb1ES3_N6thrust23THRUST_200600_302600_NS6detail15normal_iteratorINS9_10device_ptrIxEEEESE_SE_xNS9_10multipliesIxEENS9_8equal_toIxEExEE10hipError_tPvRmT2_T3_T4_T5_mT6_T7_P12ihipStream_tbENKUlT_T0_E_clISt17integral_constantIbLb1EESZ_EEDaSU_SV_EUlSU_E_NS1_11comp_targetILNS1_3genE5ELNS1_11target_archE942ELNS1_3gpuE9ELNS1_3repE0EEENS1_30default_config_static_selectorELNS0_4arch9wavefront6targetE0EEEvT1_.num_vgpr, 0
	.set _ZN7rocprim17ROCPRIM_400000_NS6detail17trampoline_kernelINS0_14default_configENS1_27scan_by_key_config_selectorIxxEEZZNS1_16scan_by_key_implILNS1_25lookback_scan_determinismE0ELb1ES3_N6thrust23THRUST_200600_302600_NS6detail15normal_iteratorINS9_10device_ptrIxEEEESE_SE_xNS9_10multipliesIxEENS9_8equal_toIxEExEE10hipError_tPvRmT2_T3_T4_T5_mT6_T7_P12ihipStream_tbENKUlT_T0_E_clISt17integral_constantIbLb1EESZ_EEDaSU_SV_EUlSU_E_NS1_11comp_targetILNS1_3genE5ELNS1_11target_archE942ELNS1_3gpuE9ELNS1_3repE0EEENS1_30default_config_static_selectorELNS0_4arch9wavefront6targetE0EEEvT1_.num_agpr, 0
	.set _ZN7rocprim17ROCPRIM_400000_NS6detail17trampoline_kernelINS0_14default_configENS1_27scan_by_key_config_selectorIxxEEZZNS1_16scan_by_key_implILNS1_25lookback_scan_determinismE0ELb1ES3_N6thrust23THRUST_200600_302600_NS6detail15normal_iteratorINS9_10device_ptrIxEEEESE_SE_xNS9_10multipliesIxEENS9_8equal_toIxEExEE10hipError_tPvRmT2_T3_T4_T5_mT6_T7_P12ihipStream_tbENKUlT_T0_E_clISt17integral_constantIbLb1EESZ_EEDaSU_SV_EUlSU_E_NS1_11comp_targetILNS1_3genE5ELNS1_11target_archE942ELNS1_3gpuE9ELNS1_3repE0EEENS1_30default_config_static_selectorELNS0_4arch9wavefront6targetE0EEEvT1_.numbered_sgpr, 0
	.set _ZN7rocprim17ROCPRIM_400000_NS6detail17trampoline_kernelINS0_14default_configENS1_27scan_by_key_config_selectorIxxEEZZNS1_16scan_by_key_implILNS1_25lookback_scan_determinismE0ELb1ES3_N6thrust23THRUST_200600_302600_NS6detail15normal_iteratorINS9_10device_ptrIxEEEESE_SE_xNS9_10multipliesIxEENS9_8equal_toIxEExEE10hipError_tPvRmT2_T3_T4_T5_mT6_T7_P12ihipStream_tbENKUlT_T0_E_clISt17integral_constantIbLb1EESZ_EEDaSU_SV_EUlSU_E_NS1_11comp_targetILNS1_3genE5ELNS1_11target_archE942ELNS1_3gpuE9ELNS1_3repE0EEENS1_30default_config_static_selectorELNS0_4arch9wavefront6targetE0EEEvT1_.num_named_barrier, 0
	.set _ZN7rocprim17ROCPRIM_400000_NS6detail17trampoline_kernelINS0_14default_configENS1_27scan_by_key_config_selectorIxxEEZZNS1_16scan_by_key_implILNS1_25lookback_scan_determinismE0ELb1ES3_N6thrust23THRUST_200600_302600_NS6detail15normal_iteratorINS9_10device_ptrIxEEEESE_SE_xNS9_10multipliesIxEENS9_8equal_toIxEExEE10hipError_tPvRmT2_T3_T4_T5_mT6_T7_P12ihipStream_tbENKUlT_T0_E_clISt17integral_constantIbLb1EESZ_EEDaSU_SV_EUlSU_E_NS1_11comp_targetILNS1_3genE5ELNS1_11target_archE942ELNS1_3gpuE9ELNS1_3repE0EEENS1_30default_config_static_selectorELNS0_4arch9wavefront6targetE0EEEvT1_.private_seg_size, 0
	.set _ZN7rocprim17ROCPRIM_400000_NS6detail17trampoline_kernelINS0_14default_configENS1_27scan_by_key_config_selectorIxxEEZZNS1_16scan_by_key_implILNS1_25lookback_scan_determinismE0ELb1ES3_N6thrust23THRUST_200600_302600_NS6detail15normal_iteratorINS9_10device_ptrIxEEEESE_SE_xNS9_10multipliesIxEENS9_8equal_toIxEExEE10hipError_tPvRmT2_T3_T4_T5_mT6_T7_P12ihipStream_tbENKUlT_T0_E_clISt17integral_constantIbLb1EESZ_EEDaSU_SV_EUlSU_E_NS1_11comp_targetILNS1_3genE5ELNS1_11target_archE942ELNS1_3gpuE9ELNS1_3repE0EEENS1_30default_config_static_selectorELNS0_4arch9wavefront6targetE0EEEvT1_.uses_vcc, 0
	.set _ZN7rocprim17ROCPRIM_400000_NS6detail17trampoline_kernelINS0_14default_configENS1_27scan_by_key_config_selectorIxxEEZZNS1_16scan_by_key_implILNS1_25lookback_scan_determinismE0ELb1ES3_N6thrust23THRUST_200600_302600_NS6detail15normal_iteratorINS9_10device_ptrIxEEEESE_SE_xNS9_10multipliesIxEENS9_8equal_toIxEExEE10hipError_tPvRmT2_T3_T4_T5_mT6_T7_P12ihipStream_tbENKUlT_T0_E_clISt17integral_constantIbLb1EESZ_EEDaSU_SV_EUlSU_E_NS1_11comp_targetILNS1_3genE5ELNS1_11target_archE942ELNS1_3gpuE9ELNS1_3repE0EEENS1_30default_config_static_selectorELNS0_4arch9wavefront6targetE0EEEvT1_.uses_flat_scratch, 0
	.set _ZN7rocprim17ROCPRIM_400000_NS6detail17trampoline_kernelINS0_14default_configENS1_27scan_by_key_config_selectorIxxEEZZNS1_16scan_by_key_implILNS1_25lookback_scan_determinismE0ELb1ES3_N6thrust23THRUST_200600_302600_NS6detail15normal_iteratorINS9_10device_ptrIxEEEESE_SE_xNS9_10multipliesIxEENS9_8equal_toIxEExEE10hipError_tPvRmT2_T3_T4_T5_mT6_T7_P12ihipStream_tbENKUlT_T0_E_clISt17integral_constantIbLb1EESZ_EEDaSU_SV_EUlSU_E_NS1_11comp_targetILNS1_3genE5ELNS1_11target_archE942ELNS1_3gpuE9ELNS1_3repE0EEENS1_30default_config_static_selectorELNS0_4arch9wavefront6targetE0EEEvT1_.has_dyn_sized_stack, 0
	.set _ZN7rocprim17ROCPRIM_400000_NS6detail17trampoline_kernelINS0_14default_configENS1_27scan_by_key_config_selectorIxxEEZZNS1_16scan_by_key_implILNS1_25lookback_scan_determinismE0ELb1ES3_N6thrust23THRUST_200600_302600_NS6detail15normal_iteratorINS9_10device_ptrIxEEEESE_SE_xNS9_10multipliesIxEENS9_8equal_toIxEExEE10hipError_tPvRmT2_T3_T4_T5_mT6_T7_P12ihipStream_tbENKUlT_T0_E_clISt17integral_constantIbLb1EESZ_EEDaSU_SV_EUlSU_E_NS1_11comp_targetILNS1_3genE5ELNS1_11target_archE942ELNS1_3gpuE9ELNS1_3repE0EEENS1_30default_config_static_selectorELNS0_4arch9wavefront6targetE0EEEvT1_.has_recursion, 0
	.set _ZN7rocprim17ROCPRIM_400000_NS6detail17trampoline_kernelINS0_14default_configENS1_27scan_by_key_config_selectorIxxEEZZNS1_16scan_by_key_implILNS1_25lookback_scan_determinismE0ELb1ES3_N6thrust23THRUST_200600_302600_NS6detail15normal_iteratorINS9_10device_ptrIxEEEESE_SE_xNS9_10multipliesIxEENS9_8equal_toIxEExEE10hipError_tPvRmT2_T3_T4_T5_mT6_T7_P12ihipStream_tbENKUlT_T0_E_clISt17integral_constantIbLb1EESZ_EEDaSU_SV_EUlSU_E_NS1_11comp_targetILNS1_3genE5ELNS1_11target_archE942ELNS1_3gpuE9ELNS1_3repE0EEENS1_30default_config_static_selectorELNS0_4arch9wavefront6targetE0EEEvT1_.has_indirect_call, 0
	.section	.AMDGPU.csdata,"",@progbits
; Kernel info:
; codeLenInByte = 0
; TotalNumSgprs: 0
; NumVgprs: 0
; ScratchSize: 0
; MemoryBound: 0
; FloatMode: 240
; IeeeMode: 1
; LDSByteSize: 0 bytes/workgroup (compile time only)
; SGPRBlocks: 0
; VGPRBlocks: 0
; NumSGPRsForWavesPerEU: 1
; NumVGPRsForWavesPerEU: 1
; NamedBarCnt: 0
; Occupancy: 16
; WaveLimiterHint : 0
; COMPUTE_PGM_RSRC2:SCRATCH_EN: 0
; COMPUTE_PGM_RSRC2:USER_SGPR: 2
; COMPUTE_PGM_RSRC2:TRAP_HANDLER: 0
; COMPUTE_PGM_RSRC2:TGID_X_EN: 1
; COMPUTE_PGM_RSRC2:TGID_Y_EN: 0
; COMPUTE_PGM_RSRC2:TGID_Z_EN: 0
; COMPUTE_PGM_RSRC2:TIDIG_COMP_CNT: 0
	.section	.text._ZN7rocprim17ROCPRIM_400000_NS6detail17trampoline_kernelINS0_14default_configENS1_27scan_by_key_config_selectorIxxEEZZNS1_16scan_by_key_implILNS1_25lookback_scan_determinismE0ELb1ES3_N6thrust23THRUST_200600_302600_NS6detail15normal_iteratorINS9_10device_ptrIxEEEESE_SE_xNS9_10multipliesIxEENS9_8equal_toIxEExEE10hipError_tPvRmT2_T3_T4_T5_mT6_T7_P12ihipStream_tbENKUlT_T0_E_clISt17integral_constantIbLb1EESZ_EEDaSU_SV_EUlSU_E_NS1_11comp_targetILNS1_3genE4ELNS1_11target_archE910ELNS1_3gpuE8ELNS1_3repE0EEENS1_30default_config_static_selectorELNS0_4arch9wavefront6targetE0EEEvT1_,"axG",@progbits,_ZN7rocprim17ROCPRIM_400000_NS6detail17trampoline_kernelINS0_14default_configENS1_27scan_by_key_config_selectorIxxEEZZNS1_16scan_by_key_implILNS1_25lookback_scan_determinismE0ELb1ES3_N6thrust23THRUST_200600_302600_NS6detail15normal_iteratorINS9_10device_ptrIxEEEESE_SE_xNS9_10multipliesIxEENS9_8equal_toIxEExEE10hipError_tPvRmT2_T3_T4_T5_mT6_T7_P12ihipStream_tbENKUlT_T0_E_clISt17integral_constantIbLb1EESZ_EEDaSU_SV_EUlSU_E_NS1_11comp_targetILNS1_3genE4ELNS1_11target_archE910ELNS1_3gpuE8ELNS1_3repE0EEENS1_30default_config_static_selectorELNS0_4arch9wavefront6targetE0EEEvT1_,comdat
	.protected	_ZN7rocprim17ROCPRIM_400000_NS6detail17trampoline_kernelINS0_14default_configENS1_27scan_by_key_config_selectorIxxEEZZNS1_16scan_by_key_implILNS1_25lookback_scan_determinismE0ELb1ES3_N6thrust23THRUST_200600_302600_NS6detail15normal_iteratorINS9_10device_ptrIxEEEESE_SE_xNS9_10multipliesIxEENS9_8equal_toIxEExEE10hipError_tPvRmT2_T3_T4_T5_mT6_T7_P12ihipStream_tbENKUlT_T0_E_clISt17integral_constantIbLb1EESZ_EEDaSU_SV_EUlSU_E_NS1_11comp_targetILNS1_3genE4ELNS1_11target_archE910ELNS1_3gpuE8ELNS1_3repE0EEENS1_30default_config_static_selectorELNS0_4arch9wavefront6targetE0EEEvT1_ ; -- Begin function _ZN7rocprim17ROCPRIM_400000_NS6detail17trampoline_kernelINS0_14default_configENS1_27scan_by_key_config_selectorIxxEEZZNS1_16scan_by_key_implILNS1_25lookback_scan_determinismE0ELb1ES3_N6thrust23THRUST_200600_302600_NS6detail15normal_iteratorINS9_10device_ptrIxEEEESE_SE_xNS9_10multipliesIxEENS9_8equal_toIxEExEE10hipError_tPvRmT2_T3_T4_T5_mT6_T7_P12ihipStream_tbENKUlT_T0_E_clISt17integral_constantIbLb1EESZ_EEDaSU_SV_EUlSU_E_NS1_11comp_targetILNS1_3genE4ELNS1_11target_archE910ELNS1_3gpuE8ELNS1_3repE0EEENS1_30default_config_static_selectorELNS0_4arch9wavefront6targetE0EEEvT1_
	.globl	_ZN7rocprim17ROCPRIM_400000_NS6detail17trampoline_kernelINS0_14default_configENS1_27scan_by_key_config_selectorIxxEEZZNS1_16scan_by_key_implILNS1_25lookback_scan_determinismE0ELb1ES3_N6thrust23THRUST_200600_302600_NS6detail15normal_iteratorINS9_10device_ptrIxEEEESE_SE_xNS9_10multipliesIxEENS9_8equal_toIxEExEE10hipError_tPvRmT2_T3_T4_T5_mT6_T7_P12ihipStream_tbENKUlT_T0_E_clISt17integral_constantIbLb1EESZ_EEDaSU_SV_EUlSU_E_NS1_11comp_targetILNS1_3genE4ELNS1_11target_archE910ELNS1_3gpuE8ELNS1_3repE0EEENS1_30default_config_static_selectorELNS0_4arch9wavefront6targetE0EEEvT1_
	.p2align	8
	.type	_ZN7rocprim17ROCPRIM_400000_NS6detail17trampoline_kernelINS0_14default_configENS1_27scan_by_key_config_selectorIxxEEZZNS1_16scan_by_key_implILNS1_25lookback_scan_determinismE0ELb1ES3_N6thrust23THRUST_200600_302600_NS6detail15normal_iteratorINS9_10device_ptrIxEEEESE_SE_xNS9_10multipliesIxEENS9_8equal_toIxEExEE10hipError_tPvRmT2_T3_T4_T5_mT6_T7_P12ihipStream_tbENKUlT_T0_E_clISt17integral_constantIbLb1EESZ_EEDaSU_SV_EUlSU_E_NS1_11comp_targetILNS1_3genE4ELNS1_11target_archE910ELNS1_3gpuE8ELNS1_3repE0EEENS1_30default_config_static_selectorELNS0_4arch9wavefront6targetE0EEEvT1_,@function
_ZN7rocprim17ROCPRIM_400000_NS6detail17trampoline_kernelINS0_14default_configENS1_27scan_by_key_config_selectorIxxEEZZNS1_16scan_by_key_implILNS1_25lookback_scan_determinismE0ELb1ES3_N6thrust23THRUST_200600_302600_NS6detail15normal_iteratorINS9_10device_ptrIxEEEESE_SE_xNS9_10multipliesIxEENS9_8equal_toIxEExEE10hipError_tPvRmT2_T3_T4_T5_mT6_T7_P12ihipStream_tbENKUlT_T0_E_clISt17integral_constantIbLb1EESZ_EEDaSU_SV_EUlSU_E_NS1_11comp_targetILNS1_3genE4ELNS1_11target_archE910ELNS1_3gpuE8ELNS1_3repE0EEENS1_30default_config_static_selectorELNS0_4arch9wavefront6targetE0EEEvT1_: ; @_ZN7rocprim17ROCPRIM_400000_NS6detail17trampoline_kernelINS0_14default_configENS1_27scan_by_key_config_selectorIxxEEZZNS1_16scan_by_key_implILNS1_25lookback_scan_determinismE0ELb1ES3_N6thrust23THRUST_200600_302600_NS6detail15normal_iteratorINS9_10device_ptrIxEEEESE_SE_xNS9_10multipliesIxEENS9_8equal_toIxEExEE10hipError_tPvRmT2_T3_T4_T5_mT6_T7_P12ihipStream_tbENKUlT_T0_E_clISt17integral_constantIbLb1EESZ_EEDaSU_SV_EUlSU_E_NS1_11comp_targetILNS1_3genE4ELNS1_11target_archE910ELNS1_3gpuE8ELNS1_3repE0EEENS1_30default_config_static_selectorELNS0_4arch9wavefront6targetE0EEEvT1_
; %bb.0:
	.section	.rodata,"a",@progbits
	.p2align	6, 0x0
	.amdhsa_kernel _ZN7rocprim17ROCPRIM_400000_NS6detail17trampoline_kernelINS0_14default_configENS1_27scan_by_key_config_selectorIxxEEZZNS1_16scan_by_key_implILNS1_25lookback_scan_determinismE0ELb1ES3_N6thrust23THRUST_200600_302600_NS6detail15normal_iteratorINS9_10device_ptrIxEEEESE_SE_xNS9_10multipliesIxEENS9_8equal_toIxEExEE10hipError_tPvRmT2_T3_T4_T5_mT6_T7_P12ihipStream_tbENKUlT_T0_E_clISt17integral_constantIbLb1EESZ_EEDaSU_SV_EUlSU_E_NS1_11comp_targetILNS1_3genE4ELNS1_11target_archE910ELNS1_3gpuE8ELNS1_3repE0EEENS1_30default_config_static_selectorELNS0_4arch9wavefront6targetE0EEEvT1_
		.amdhsa_group_segment_fixed_size 0
		.amdhsa_private_segment_fixed_size 0
		.amdhsa_kernarg_size 136
		.amdhsa_user_sgpr_count 2
		.amdhsa_user_sgpr_dispatch_ptr 0
		.amdhsa_user_sgpr_queue_ptr 0
		.amdhsa_user_sgpr_kernarg_segment_ptr 1
		.amdhsa_user_sgpr_dispatch_id 0
		.amdhsa_user_sgpr_kernarg_preload_length 0
		.amdhsa_user_sgpr_kernarg_preload_offset 0
		.amdhsa_user_sgpr_private_segment_size 0
		.amdhsa_wavefront_size32 1
		.amdhsa_uses_dynamic_stack 0
		.amdhsa_enable_private_segment 0
		.amdhsa_system_sgpr_workgroup_id_x 1
		.amdhsa_system_sgpr_workgroup_id_y 0
		.amdhsa_system_sgpr_workgroup_id_z 0
		.amdhsa_system_sgpr_workgroup_info 0
		.amdhsa_system_vgpr_workitem_id 0
		.amdhsa_next_free_vgpr 1
		.amdhsa_next_free_sgpr 1
		.amdhsa_named_barrier_count 0
		.amdhsa_reserve_vcc 0
		.amdhsa_float_round_mode_32 0
		.amdhsa_float_round_mode_16_64 0
		.amdhsa_float_denorm_mode_32 3
		.amdhsa_float_denorm_mode_16_64 3
		.amdhsa_fp16_overflow 0
		.amdhsa_memory_ordered 1
		.amdhsa_forward_progress 1
		.amdhsa_inst_pref_size 0
		.amdhsa_round_robin_scheduling 0
		.amdhsa_exception_fp_ieee_invalid_op 0
		.amdhsa_exception_fp_denorm_src 0
		.amdhsa_exception_fp_ieee_div_zero 0
		.amdhsa_exception_fp_ieee_overflow 0
		.amdhsa_exception_fp_ieee_underflow 0
		.amdhsa_exception_fp_ieee_inexact 0
		.amdhsa_exception_int_div_zero 0
	.end_amdhsa_kernel
	.section	.text._ZN7rocprim17ROCPRIM_400000_NS6detail17trampoline_kernelINS0_14default_configENS1_27scan_by_key_config_selectorIxxEEZZNS1_16scan_by_key_implILNS1_25lookback_scan_determinismE0ELb1ES3_N6thrust23THRUST_200600_302600_NS6detail15normal_iteratorINS9_10device_ptrIxEEEESE_SE_xNS9_10multipliesIxEENS9_8equal_toIxEExEE10hipError_tPvRmT2_T3_T4_T5_mT6_T7_P12ihipStream_tbENKUlT_T0_E_clISt17integral_constantIbLb1EESZ_EEDaSU_SV_EUlSU_E_NS1_11comp_targetILNS1_3genE4ELNS1_11target_archE910ELNS1_3gpuE8ELNS1_3repE0EEENS1_30default_config_static_selectorELNS0_4arch9wavefront6targetE0EEEvT1_,"axG",@progbits,_ZN7rocprim17ROCPRIM_400000_NS6detail17trampoline_kernelINS0_14default_configENS1_27scan_by_key_config_selectorIxxEEZZNS1_16scan_by_key_implILNS1_25lookback_scan_determinismE0ELb1ES3_N6thrust23THRUST_200600_302600_NS6detail15normal_iteratorINS9_10device_ptrIxEEEESE_SE_xNS9_10multipliesIxEENS9_8equal_toIxEExEE10hipError_tPvRmT2_T3_T4_T5_mT6_T7_P12ihipStream_tbENKUlT_T0_E_clISt17integral_constantIbLb1EESZ_EEDaSU_SV_EUlSU_E_NS1_11comp_targetILNS1_3genE4ELNS1_11target_archE910ELNS1_3gpuE8ELNS1_3repE0EEENS1_30default_config_static_selectorELNS0_4arch9wavefront6targetE0EEEvT1_,comdat
.Lfunc_end401:
	.size	_ZN7rocprim17ROCPRIM_400000_NS6detail17trampoline_kernelINS0_14default_configENS1_27scan_by_key_config_selectorIxxEEZZNS1_16scan_by_key_implILNS1_25lookback_scan_determinismE0ELb1ES3_N6thrust23THRUST_200600_302600_NS6detail15normal_iteratorINS9_10device_ptrIxEEEESE_SE_xNS9_10multipliesIxEENS9_8equal_toIxEExEE10hipError_tPvRmT2_T3_T4_T5_mT6_T7_P12ihipStream_tbENKUlT_T0_E_clISt17integral_constantIbLb1EESZ_EEDaSU_SV_EUlSU_E_NS1_11comp_targetILNS1_3genE4ELNS1_11target_archE910ELNS1_3gpuE8ELNS1_3repE0EEENS1_30default_config_static_selectorELNS0_4arch9wavefront6targetE0EEEvT1_, .Lfunc_end401-_ZN7rocprim17ROCPRIM_400000_NS6detail17trampoline_kernelINS0_14default_configENS1_27scan_by_key_config_selectorIxxEEZZNS1_16scan_by_key_implILNS1_25lookback_scan_determinismE0ELb1ES3_N6thrust23THRUST_200600_302600_NS6detail15normal_iteratorINS9_10device_ptrIxEEEESE_SE_xNS9_10multipliesIxEENS9_8equal_toIxEExEE10hipError_tPvRmT2_T3_T4_T5_mT6_T7_P12ihipStream_tbENKUlT_T0_E_clISt17integral_constantIbLb1EESZ_EEDaSU_SV_EUlSU_E_NS1_11comp_targetILNS1_3genE4ELNS1_11target_archE910ELNS1_3gpuE8ELNS1_3repE0EEENS1_30default_config_static_selectorELNS0_4arch9wavefront6targetE0EEEvT1_
                                        ; -- End function
	.set _ZN7rocprim17ROCPRIM_400000_NS6detail17trampoline_kernelINS0_14default_configENS1_27scan_by_key_config_selectorIxxEEZZNS1_16scan_by_key_implILNS1_25lookback_scan_determinismE0ELb1ES3_N6thrust23THRUST_200600_302600_NS6detail15normal_iteratorINS9_10device_ptrIxEEEESE_SE_xNS9_10multipliesIxEENS9_8equal_toIxEExEE10hipError_tPvRmT2_T3_T4_T5_mT6_T7_P12ihipStream_tbENKUlT_T0_E_clISt17integral_constantIbLb1EESZ_EEDaSU_SV_EUlSU_E_NS1_11comp_targetILNS1_3genE4ELNS1_11target_archE910ELNS1_3gpuE8ELNS1_3repE0EEENS1_30default_config_static_selectorELNS0_4arch9wavefront6targetE0EEEvT1_.num_vgpr, 0
	.set _ZN7rocprim17ROCPRIM_400000_NS6detail17trampoline_kernelINS0_14default_configENS1_27scan_by_key_config_selectorIxxEEZZNS1_16scan_by_key_implILNS1_25lookback_scan_determinismE0ELb1ES3_N6thrust23THRUST_200600_302600_NS6detail15normal_iteratorINS9_10device_ptrIxEEEESE_SE_xNS9_10multipliesIxEENS9_8equal_toIxEExEE10hipError_tPvRmT2_T3_T4_T5_mT6_T7_P12ihipStream_tbENKUlT_T0_E_clISt17integral_constantIbLb1EESZ_EEDaSU_SV_EUlSU_E_NS1_11comp_targetILNS1_3genE4ELNS1_11target_archE910ELNS1_3gpuE8ELNS1_3repE0EEENS1_30default_config_static_selectorELNS0_4arch9wavefront6targetE0EEEvT1_.num_agpr, 0
	.set _ZN7rocprim17ROCPRIM_400000_NS6detail17trampoline_kernelINS0_14default_configENS1_27scan_by_key_config_selectorIxxEEZZNS1_16scan_by_key_implILNS1_25lookback_scan_determinismE0ELb1ES3_N6thrust23THRUST_200600_302600_NS6detail15normal_iteratorINS9_10device_ptrIxEEEESE_SE_xNS9_10multipliesIxEENS9_8equal_toIxEExEE10hipError_tPvRmT2_T3_T4_T5_mT6_T7_P12ihipStream_tbENKUlT_T0_E_clISt17integral_constantIbLb1EESZ_EEDaSU_SV_EUlSU_E_NS1_11comp_targetILNS1_3genE4ELNS1_11target_archE910ELNS1_3gpuE8ELNS1_3repE0EEENS1_30default_config_static_selectorELNS0_4arch9wavefront6targetE0EEEvT1_.numbered_sgpr, 0
	.set _ZN7rocprim17ROCPRIM_400000_NS6detail17trampoline_kernelINS0_14default_configENS1_27scan_by_key_config_selectorIxxEEZZNS1_16scan_by_key_implILNS1_25lookback_scan_determinismE0ELb1ES3_N6thrust23THRUST_200600_302600_NS6detail15normal_iteratorINS9_10device_ptrIxEEEESE_SE_xNS9_10multipliesIxEENS9_8equal_toIxEExEE10hipError_tPvRmT2_T3_T4_T5_mT6_T7_P12ihipStream_tbENKUlT_T0_E_clISt17integral_constantIbLb1EESZ_EEDaSU_SV_EUlSU_E_NS1_11comp_targetILNS1_3genE4ELNS1_11target_archE910ELNS1_3gpuE8ELNS1_3repE0EEENS1_30default_config_static_selectorELNS0_4arch9wavefront6targetE0EEEvT1_.num_named_barrier, 0
	.set _ZN7rocprim17ROCPRIM_400000_NS6detail17trampoline_kernelINS0_14default_configENS1_27scan_by_key_config_selectorIxxEEZZNS1_16scan_by_key_implILNS1_25lookback_scan_determinismE0ELb1ES3_N6thrust23THRUST_200600_302600_NS6detail15normal_iteratorINS9_10device_ptrIxEEEESE_SE_xNS9_10multipliesIxEENS9_8equal_toIxEExEE10hipError_tPvRmT2_T3_T4_T5_mT6_T7_P12ihipStream_tbENKUlT_T0_E_clISt17integral_constantIbLb1EESZ_EEDaSU_SV_EUlSU_E_NS1_11comp_targetILNS1_3genE4ELNS1_11target_archE910ELNS1_3gpuE8ELNS1_3repE0EEENS1_30default_config_static_selectorELNS0_4arch9wavefront6targetE0EEEvT1_.private_seg_size, 0
	.set _ZN7rocprim17ROCPRIM_400000_NS6detail17trampoline_kernelINS0_14default_configENS1_27scan_by_key_config_selectorIxxEEZZNS1_16scan_by_key_implILNS1_25lookback_scan_determinismE0ELb1ES3_N6thrust23THRUST_200600_302600_NS6detail15normal_iteratorINS9_10device_ptrIxEEEESE_SE_xNS9_10multipliesIxEENS9_8equal_toIxEExEE10hipError_tPvRmT2_T3_T4_T5_mT6_T7_P12ihipStream_tbENKUlT_T0_E_clISt17integral_constantIbLb1EESZ_EEDaSU_SV_EUlSU_E_NS1_11comp_targetILNS1_3genE4ELNS1_11target_archE910ELNS1_3gpuE8ELNS1_3repE0EEENS1_30default_config_static_selectorELNS0_4arch9wavefront6targetE0EEEvT1_.uses_vcc, 0
	.set _ZN7rocprim17ROCPRIM_400000_NS6detail17trampoline_kernelINS0_14default_configENS1_27scan_by_key_config_selectorIxxEEZZNS1_16scan_by_key_implILNS1_25lookback_scan_determinismE0ELb1ES3_N6thrust23THRUST_200600_302600_NS6detail15normal_iteratorINS9_10device_ptrIxEEEESE_SE_xNS9_10multipliesIxEENS9_8equal_toIxEExEE10hipError_tPvRmT2_T3_T4_T5_mT6_T7_P12ihipStream_tbENKUlT_T0_E_clISt17integral_constantIbLb1EESZ_EEDaSU_SV_EUlSU_E_NS1_11comp_targetILNS1_3genE4ELNS1_11target_archE910ELNS1_3gpuE8ELNS1_3repE0EEENS1_30default_config_static_selectorELNS0_4arch9wavefront6targetE0EEEvT1_.uses_flat_scratch, 0
	.set _ZN7rocprim17ROCPRIM_400000_NS6detail17trampoline_kernelINS0_14default_configENS1_27scan_by_key_config_selectorIxxEEZZNS1_16scan_by_key_implILNS1_25lookback_scan_determinismE0ELb1ES3_N6thrust23THRUST_200600_302600_NS6detail15normal_iteratorINS9_10device_ptrIxEEEESE_SE_xNS9_10multipliesIxEENS9_8equal_toIxEExEE10hipError_tPvRmT2_T3_T4_T5_mT6_T7_P12ihipStream_tbENKUlT_T0_E_clISt17integral_constantIbLb1EESZ_EEDaSU_SV_EUlSU_E_NS1_11comp_targetILNS1_3genE4ELNS1_11target_archE910ELNS1_3gpuE8ELNS1_3repE0EEENS1_30default_config_static_selectorELNS0_4arch9wavefront6targetE0EEEvT1_.has_dyn_sized_stack, 0
	.set _ZN7rocprim17ROCPRIM_400000_NS6detail17trampoline_kernelINS0_14default_configENS1_27scan_by_key_config_selectorIxxEEZZNS1_16scan_by_key_implILNS1_25lookback_scan_determinismE0ELb1ES3_N6thrust23THRUST_200600_302600_NS6detail15normal_iteratorINS9_10device_ptrIxEEEESE_SE_xNS9_10multipliesIxEENS9_8equal_toIxEExEE10hipError_tPvRmT2_T3_T4_T5_mT6_T7_P12ihipStream_tbENKUlT_T0_E_clISt17integral_constantIbLb1EESZ_EEDaSU_SV_EUlSU_E_NS1_11comp_targetILNS1_3genE4ELNS1_11target_archE910ELNS1_3gpuE8ELNS1_3repE0EEENS1_30default_config_static_selectorELNS0_4arch9wavefront6targetE0EEEvT1_.has_recursion, 0
	.set _ZN7rocprim17ROCPRIM_400000_NS6detail17trampoline_kernelINS0_14default_configENS1_27scan_by_key_config_selectorIxxEEZZNS1_16scan_by_key_implILNS1_25lookback_scan_determinismE0ELb1ES3_N6thrust23THRUST_200600_302600_NS6detail15normal_iteratorINS9_10device_ptrIxEEEESE_SE_xNS9_10multipliesIxEENS9_8equal_toIxEExEE10hipError_tPvRmT2_T3_T4_T5_mT6_T7_P12ihipStream_tbENKUlT_T0_E_clISt17integral_constantIbLb1EESZ_EEDaSU_SV_EUlSU_E_NS1_11comp_targetILNS1_3genE4ELNS1_11target_archE910ELNS1_3gpuE8ELNS1_3repE0EEENS1_30default_config_static_selectorELNS0_4arch9wavefront6targetE0EEEvT1_.has_indirect_call, 0
	.section	.AMDGPU.csdata,"",@progbits
; Kernel info:
; codeLenInByte = 0
; TotalNumSgprs: 0
; NumVgprs: 0
; ScratchSize: 0
; MemoryBound: 0
; FloatMode: 240
; IeeeMode: 1
; LDSByteSize: 0 bytes/workgroup (compile time only)
; SGPRBlocks: 0
; VGPRBlocks: 0
; NumSGPRsForWavesPerEU: 1
; NumVGPRsForWavesPerEU: 1
; NamedBarCnt: 0
; Occupancy: 16
; WaveLimiterHint : 0
; COMPUTE_PGM_RSRC2:SCRATCH_EN: 0
; COMPUTE_PGM_RSRC2:USER_SGPR: 2
; COMPUTE_PGM_RSRC2:TRAP_HANDLER: 0
; COMPUTE_PGM_RSRC2:TGID_X_EN: 1
; COMPUTE_PGM_RSRC2:TGID_Y_EN: 0
; COMPUTE_PGM_RSRC2:TGID_Z_EN: 0
; COMPUTE_PGM_RSRC2:TIDIG_COMP_CNT: 0
	.section	.text._ZN7rocprim17ROCPRIM_400000_NS6detail17trampoline_kernelINS0_14default_configENS1_27scan_by_key_config_selectorIxxEEZZNS1_16scan_by_key_implILNS1_25lookback_scan_determinismE0ELb1ES3_N6thrust23THRUST_200600_302600_NS6detail15normal_iteratorINS9_10device_ptrIxEEEESE_SE_xNS9_10multipliesIxEENS9_8equal_toIxEExEE10hipError_tPvRmT2_T3_T4_T5_mT6_T7_P12ihipStream_tbENKUlT_T0_E_clISt17integral_constantIbLb1EESZ_EEDaSU_SV_EUlSU_E_NS1_11comp_targetILNS1_3genE3ELNS1_11target_archE908ELNS1_3gpuE7ELNS1_3repE0EEENS1_30default_config_static_selectorELNS0_4arch9wavefront6targetE0EEEvT1_,"axG",@progbits,_ZN7rocprim17ROCPRIM_400000_NS6detail17trampoline_kernelINS0_14default_configENS1_27scan_by_key_config_selectorIxxEEZZNS1_16scan_by_key_implILNS1_25lookback_scan_determinismE0ELb1ES3_N6thrust23THRUST_200600_302600_NS6detail15normal_iteratorINS9_10device_ptrIxEEEESE_SE_xNS9_10multipliesIxEENS9_8equal_toIxEExEE10hipError_tPvRmT2_T3_T4_T5_mT6_T7_P12ihipStream_tbENKUlT_T0_E_clISt17integral_constantIbLb1EESZ_EEDaSU_SV_EUlSU_E_NS1_11comp_targetILNS1_3genE3ELNS1_11target_archE908ELNS1_3gpuE7ELNS1_3repE0EEENS1_30default_config_static_selectorELNS0_4arch9wavefront6targetE0EEEvT1_,comdat
	.protected	_ZN7rocprim17ROCPRIM_400000_NS6detail17trampoline_kernelINS0_14default_configENS1_27scan_by_key_config_selectorIxxEEZZNS1_16scan_by_key_implILNS1_25lookback_scan_determinismE0ELb1ES3_N6thrust23THRUST_200600_302600_NS6detail15normal_iteratorINS9_10device_ptrIxEEEESE_SE_xNS9_10multipliesIxEENS9_8equal_toIxEExEE10hipError_tPvRmT2_T3_T4_T5_mT6_T7_P12ihipStream_tbENKUlT_T0_E_clISt17integral_constantIbLb1EESZ_EEDaSU_SV_EUlSU_E_NS1_11comp_targetILNS1_3genE3ELNS1_11target_archE908ELNS1_3gpuE7ELNS1_3repE0EEENS1_30default_config_static_selectorELNS0_4arch9wavefront6targetE0EEEvT1_ ; -- Begin function _ZN7rocprim17ROCPRIM_400000_NS6detail17trampoline_kernelINS0_14default_configENS1_27scan_by_key_config_selectorIxxEEZZNS1_16scan_by_key_implILNS1_25lookback_scan_determinismE0ELb1ES3_N6thrust23THRUST_200600_302600_NS6detail15normal_iteratorINS9_10device_ptrIxEEEESE_SE_xNS9_10multipliesIxEENS9_8equal_toIxEExEE10hipError_tPvRmT2_T3_T4_T5_mT6_T7_P12ihipStream_tbENKUlT_T0_E_clISt17integral_constantIbLb1EESZ_EEDaSU_SV_EUlSU_E_NS1_11comp_targetILNS1_3genE3ELNS1_11target_archE908ELNS1_3gpuE7ELNS1_3repE0EEENS1_30default_config_static_selectorELNS0_4arch9wavefront6targetE0EEEvT1_
	.globl	_ZN7rocprim17ROCPRIM_400000_NS6detail17trampoline_kernelINS0_14default_configENS1_27scan_by_key_config_selectorIxxEEZZNS1_16scan_by_key_implILNS1_25lookback_scan_determinismE0ELb1ES3_N6thrust23THRUST_200600_302600_NS6detail15normal_iteratorINS9_10device_ptrIxEEEESE_SE_xNS9_10multipliesIxEENS9_8equal_toIxEExEE10hipError_tPvRmT2_T3_T4_T5_mT6_T7_P12ihipStream_tbENKUlT_T0_E_clISt17integral_constantIbLb1EESZ_EEDaSU_SV_EUlSU_E_NS1_11comp_targetILNS1_3genE3ELNS1_11target_archE908ELNS1_3gpuE7ELNS1_3repE0EEENS1_30default_config_static_selectorELNS0_4arch9wavefront6targetE0EEEvT1_
	.p2align	8
	.type	_ZN7rocprim17ROCPRIM_400000_NS6detail17trampoline_kernelINS0_14default_configENS1_27scan_by_key_config_selectorIxxEEZZNS1_16scan_by_key_implILNS1_25lookback_scan_determinismE0ELb1ES3_N6thrust23THRUST_200600_302600_NS6detail15normal_iteratorINS9_10device_ptrIxEEEESE_SE_xNS9_10multipliesIxEENS9_8equal_toIxEExEE10hipError_tPvRmT2_T3_T4_T5_mT6_T7_P12ihipStream_tbENKUlT_T0_E_clISt17integral_constantIbLb1EESZ_EEDaSU_SV_EUlSU_E_NS1_11comp_targetILNS1_3genE3ELNS1_11target_archE908ELNS1_3gpuE7ELNS1_3repE0EEENS1_30default_config_static_selectorELNS0_4arch9wavefront6targetE0EEEvT1_,@function
_ZN7rocprim17ROCPRIM_400000_NS6detail17trampoline_kernelINS0_14default_configENS1_27scan_by_key_config_selectorIxxEEZZNS1_16scan_by_key_implILNS1_25lookback_scan_determinismE0ELb1ES3_N6thrust23THRUST_200600_302600_NS6detail15normal_iteratorINS9_10device_ptrIxEEEESE_SE_xNS9_10multipliesIxEENS9_8equal_toIxEExEE10hipError_tPvRmT2_T3_T4_T5_mT6_T7_P12ihipStream_tbENKUlT_T0_E_clISt17integral_constantIbLb1EESZ_EEDaSU_SV_EUlSU_E_NS1_11comp_targetILNS1_3genE3ELNS1_11target_archE908ELNS1_3gpuE7ELNS1_3repE0EEENS1_30default_config_static_selectorELNS0_4arch9wavefront6targetE0EEEvT1_: ; @_ZN7rocprim17ROCPRIM_400000_NS6detail17trampoline_kernelINS0_14default_configENS1_27scan_by_key_config_selectorIxxEEZZNS1_16scan_by_key_implILNS1_25lookback_scan_determinismE0ELb1ES3_N6thrust23THRUST_200600_302600_NS6detail15normal_iteratorINS9_10device_ptrIxEEEESE_SE_xNS9_10multipliesIxEENS9_8equal_toIxEExEE10hipError_tPvRmT2_T3_T4_T5_mT6_T7_P12ihipStream_tbENKUlT_T0_E_clISt17integral_constantIbLb1EESZ_EEDaSU_SV_EUlSU_E_NS1_11comp_targetILNS1_3genE3ELNS1_11target_archE908ELNS1_3gpuE7ELNS1_3repE0EEENS1_30default_config_static_selectorELNS0_4arch9wavefront6targetE0EEEvT1_
; %bb.0:
	.section	.rodata,"a",@progbits
	.p2align	6, 0x0
	.amdhsa_kernel _ZN7rocprim17ROCPRIM_400000_NS6detail17trampoline_kernelINS0_14default_configENS1_27scan_by_key_config_selectorIxxEEZZNS1_16scan_by_key_implILNS1_25lookback_scan_determinismE0ELb1ES3_N6thrust23THRUST_200600_302600_NS6detail15normal_iteratorINS9_10device_ptrIxEEEESE_SE_xNS9_10multipliesIxEENS9_8equal_toIxEExEE10hipError_tPvRmT2_T3_T4_T5_mT6_T7_P12ihipStream_tbENKUlT_T0_E_clISt17integral_constantIbLb1EESZ_EEDaSU_SV_EUlSU_E_NS1_11comp_targetILNS1_3genE3ELNS1_11target_archE908ELNS1_3gpuE7ELNS1_3repE0EEENS1_30default_config_static_selectorELNS0_4arch9wavefront6targetE0EEEvT1_
		.amdhsa_group_segment_fixed_size 0
		.amdhsa_private_segment_fixed_size 0
		.amdhsa_kernarg_size 136
		.amdhsa_user_sgpr_count 2
		.amdhsa_user_sgpr_dispatch_ptr 0
		.amdhsa_user_sgpr_queue_ptr 0
		.amdhsa_user_sgpr_kernarg_segment_ptr 1
		.amdhsa_user_sgpr_dispatch_id 0
		.amdhsa_user_sgpr_kernarg_preload_length 0
		.amdhsa_user_sgpr_kernarg_preload_offset 0
		.amdhsa_user_sgpr_private_segment_size 0
		.amdhsa_wavefront_size32 1
		.amdhsa_uses_dynamic_stack 0
		.amdhsa_enable_private_segment 0
		.amdhsa_system_sgpr_workgroup_id_x 1
		.amdhsa_system_sgpr_workgroup_id_y 0
		.amdhsa_system_sgpr_workgroup_id_z 0
		.amdhsa_system_sgpr_workgroup_info 0
		.amdhsa_system_vgpr_workitem_id 0
		.amdhsa_next_free_vgpr 1
		.amdhsa_next_free_sgpr 1
		.amdhsa_named_barrier_count 0
		.amdhsa_reserve_vcc 0
		.amdhsa_float_round_mode_32 0
		.amdhsa_float_round_mode_16_64 0
		.amdhsa_float_denorm_mode_32 3
		.amdhsa_float_denorm_mode_16_64 3
		.amdhsa_fp16_overflow 0
		.amdhsa_memory_ordered 1
		.amdhsa_forward_progress 1
		.amdhsa_inst_pref_size 0
		.amdhsa_round_robin_scheduling 0
		.amdhsa_exception_fp_ieee_invalid_op 0
		.amdhsa_exception_fp_denorm_src 0
		.amdhsa_exception_fp_ieee_div_zero 0
		.amdhsa_exception_fp_ieee_overflow 0
		.amdhsa_exception_fp_ieee_underflow 0
		.amdhsa_exception_fp_ieee_inexact 0
		.amdhsa_exception_int_div_zero 0
	.end_amdhsa_kernel
	.section	.text._ZN7rocprim17ROCPRIM_400000_NS6detail17trampoline_kernelINS0_14default_configENS1_27scan_by_key_config_selectorIxxEEZZNS1_16scan_by_key_implILNS1_25lookback_scan_determinismE0ELb1ES3_N6thrust23THRUST_200600_302600_NS6detail15normal_iteratorINS9_10device_ptrIxEEEESE_SE_xNS9_10multipliesIxEENS9_8equal_toIxEExEE10hipError_tPvRmT2_T3_T4_T5_mT6_T7_P12ihipStream_tbENKUlT_T0_E_clISt17integral_constantIbLb1EESZ_EEDaSU_SV_EUlSU_E_NS1_11comp_targetILNS1_3genE3ELNS1_11target_archE908ELNS1_3gpuE7ELNS1_3repE0EEENS1_30default_config_static_selectorELNS0_4arch9wavefront6targetE0EEEvT1_,"axG",@progbits,_ZN7rocprim17ROCPRIM_400000_NS6detail17trampoline_kernelINS0_14default_configENS1_27scan_by_key_config_selectorIxxEEZZNS1_16scan_by_key_implILNS1_25lookback_scan_determinismE0ELb1ES3_N6thrust23THRUST_200600_302600_NS6detail15normal_iteratorINS9_10device_ptrIxEEEESE_SE_xNS9_10multipliesIxEENS9_8equal_toIxEExEE10hipError_tPvRmT2_T3_T4_T5_mT6_T7_P12ihipStream_tbENKUlT_T0_E_clISt17integral_constantIbLb1EESZ_EEDaSU_SV_EUlSU_E_NS1_11comp_targetILNS1_3genE3ELNS1_11target_archE908ELNS1_3gpuE7ELNS1_3repE0EEENS1_30default_config_static_selectorELNS0_4arch9wavefront6targetE0EEEvT1_,comdat
.Lfunc_end402:
	.size	_ZN7rocprim17ROCPRIM_400000_NS6detail17trampoline_kernelINS0_14default_configENS1_27scan_by_key_config_selectorIxxEEZZNS1_16scan_by_key_implILNS1_25lookback_scan_determinismE0ELb1ES3_N6thrust23THRUST_200600_302600_NS6detail15normal_iteratorINS9_10device_ptrIxEEEESE_SE_xNS9_10multipliesIxEENS9_8equal_toIxEExEE10hipError_tPvRmT2_T3_T4_T5_mT6_T7_P12ihipStream_tbENKUlT_T0_E_clISt17integral_constantIbLb1EESZ_EEDaSU_SV_EUlSU_E_NS1_11comp_targetILNS1_3genE3ELNS1_11target_archE908ELNS1_3gpuE7ELNS1_3repE0EEENS1_30default_config_static_selectorELNS0_4arch9wavefront6targetE0EEEvT1_, .Lfunc_end402-_ZN7rocprim17ROCPRIM_400000_NS6detail17trampoline_kernelINS0_14default_configENS1_27scan_by_key_config_selectorIxxEEZZNS1_16scan_by_key_implILNS1_25lookback_scan_determinismE0ELb1ES3_N6thrust23THRUST_200600_302600_NS6detail15normal_iteratorINS9_10device_ptrIxEEEESE_SE_xNS9_10multipliesIxEENS9_8equal_toIxEExEE10hipError_tPvRmT2_T3_T4_T5_mT6_T7_P12ihipStream_tbENKUlT_T0_E_clISt17integral_constantIbLb1EESZ_EEDaSU_SV_EUlSU_E_NS1_11comp_targetILNS1_3genE3ELNS1_11target_archE908ELNS1_3gpuE7ELNS1_3repE0EEENS1_30default_config_static_selectorELNS0_4arch9wavefront6targetE0EEEvT1_
                                        ; -- End function
	.set _ZN7rocprim17ROCPRIM_400000_NS6detail17trampoline_kernelINS0_14default_configENS1_27scan_by_key_config_selectorIxxEEZZNS1_16scan_by_key_implILNS1_25lookback_scan_determinismE0ELb1ES3_N6thrust23THRUST_200600_302600_NS6detail15normal_iteratorINS9_10device_ptrIxEEEESE_SE_xNS9_10multipliesIxEENS9_8equal_toIxEExEE10hipError_tPvRmT2_T3_T4_T5_mT6_T7_P12ihipStream_tbENKUlT_T0_E_clISt17integral_constantIbLb1EESZ_EEDaSU_SV_EUlSU_E_NS1_11comp_targetILNS1_3genE3ELNS1_11target_archE908ELNS1_3gpuE7ELNS1_3repE0EEENS1_30default_config_static_selectorELNS0_4arch9wavefront6targetE0EEEvT1_.num_vgpr, 0
	.set _ZN7rocprim17ROCPRIM_400000_NS6detail17trampoline_kernelINS0_14default_configENS1_27scan_by_key_config_selectorIxxEEZZNS1_16scan_by_key_implILNS1_25lookback_scan_determinismE0ELb1ES3_N6thrust23THRUST_200600_302600_NS6detail15normal_iteratorINS9_10device_ptrIxEEEESE_SE_xNS9_10multipliesIxEENS9_8equal_toIxEExEE10hipError_tPvRmT2_T3_T4_T5_mT6_T7_P12ihipStream_tbENKUlT_T0_E_clISt17integral_constantIbLb1EESZ_EEDaSU_SV_EUlSU_E_NS1_11comp_targetILNS1_3genE3ELNS1_11target_archE908ELNS1_3gpuE7ELNS1_3repE0EEENS1_30default_config_static_selectorELNS0_4arch9wavefront6targetE0EEEvT1_.num_agpr, 0
	.set _ZN7rocprim17ROCPRIM_400000_NS6detail17trampoline_kernelINS0_14default_configENS1_27scan_by_key_config_selectorIxxEEZZNS1_16scan_by_key_implILNS1_25lookback_scan_determinismE0ELb1ES3_N6thrust23THRUST_200600_302600_NS6detail15normal_iteratorINS9_10device_ptrIxEEEESE_SE_xNS9_10multipliesIxEENS9_8equal_toIxEExEE10hipError_tPvRmT2_T3_T4_T5_mT6_T7_P12ihipStream_tbENKUlT_T0_E_clISt17integral_constantIbLb1EESZ_EEDaSU_SV_EUlSU_E_NS1_11comp_targetILNS1_3genE3ELNS1_11target_archE908ELNS1_3gpuE7ELNS1_3repE0EEENS1_30default_config_static_selectorELNS0_4arch9wavefront6targetE0EEEvT1_.numbered_sgpr, 0
	.set _ZN7rocprim17ROCPRIM_400000_NS6detail17trampoline_kernelINS0_14default_configENS1_27scan_by_key_config_selectorIxxEEZZNS1_16scan_by_key_implILNS1_25lookback_scan_determinismE0ELb1ES3_N6thrust23THRUST_200600_302600_NS6detail15normal_iteratorINS9_10device_ptrIxEEEESE_SE_xNS9_10multipliesIxEENS9_8equal_toIxEExEE10hipError_tPvRmT2_T3_T4_T5_mT6_T7_P12ihipStream_tbENKUlT_T0_E_clISt17integral_constantIbLb1EESZ_EEDaSU_SV_EUlSU_E_NS1_11comp_targetILNS1_3genE3ELNS1_11target_archE908ELNS1_3gpuE7ELNS1_3repE0EEENS1_30default_config_static_selectorELNS0_4arch9wavefront6targetE0EEEvT1_.num_named_barrier, 0
	.set _ZN7rocprim17ROCPRIM_400000_NS6detail17trampoline_kernelINS0_14default_configENS1_27scan_by_key_config_selectorIxxEEZZNS1_16scan_by_key_implILNS1_25lookback_scan_determinismE0ELb1ES3_N6thrust23THRUST_200600_302600_NS6detail15normal_iteratorINS9_10device_ptrIxEEEESE_SE_xNS9_10multipliesIxEENS9_8equal_toIxEExEE10hipError_tPvRmT2_T3_T4_T5_mT6_T7_P12ihipStream_tbENKUlT_T0_E_clISt17integral_constantIbLb1EESZ_EEDaSU_SV_EUlSU_E_NS1_11comp_targetILNS1_3genE3ELNS1_11target_archE908ELNS1_3gpuE7ELNS1_3repE0EEENS1_30default_config_static_selectorELNS0_4arch9wavefront6targetE0EEEvT1_.private_seg_size, 0
	.set _ZN7rocprim17ROCPRIM_400000_NS6detail17trampoline_kernelINS0_14default_configENS1_27scan_by_key_config_selectorIxxEEZZNS1_16scan_by_key_implILNS1_25lookback_scan_determinismE0ELb1ES3_N6thrust23THRUST_200600_302600_NS6detail15normal_iteratorINS9_10device_ptrIxEEEESE_SE_xNS9_10multipliesIxEENS9_8equal_toIxEExEE10hipError_tPvRmT2_T3_T4_T5_mT6_T7_P12ihipStream_tbENKUlT_T0_E_clISt17integral_constantIbLb1EESZ_EEDaSU_SV_EUlSU_E_NS1_11comp_targetILNS1_3genE3ELNS1_11target_archE908ELNS1_3gpuE7ELNS1_3repE0EEENS1_30default_config_static_selectorELNS0_4arch9wavefront6targetE0EEEvT1_.uses_vcc, 0
	.set _ZN7rocprim17ROCPRIM_400000_NS6detail17trampoline_kernelINS0_14default_configENS1_27scan_by_key_config_selectorIxxEEZZNS1_16scan_by_key_implILNS1_25lookback_scan_determinismE0ELb1ES3_N6thrust23THRUST_200600_302600_NS6detail15normal_iteratorINS9_10device_ptrIxEEEESE_SE_xNS9_10multipliesIxEENS9_8equal_toIxEExEE10hipError_tPvRmT2_T3_T4_T5_mT6_T7_P12ihipStream_tbENKUlT_T0_E_clISt17integral_constantIbLb1EESZ_EEDaSU_SV_EUlSU_E_NS1_11comp_targetILNS1_3genE3ELNS1_11target_archE908ELNS1_3gpuE7ELNS1_3repE0EEENS1_30default_config_static_selectorELNS0_4arch9wavefront6targetE0EEEvT1_.uses_flat_scratch, 0
	.set _ZN7rocprim17ROCPRIM_400000_NS6detail17trampoline_kernelINS0_14default_configENS1_27scan_by_key_config_selectorIxxEEZZNS1_16scan_by_key_implILNS1_25lookback_scan_determinismE0ELb1ES3_N6thrust23THRUST_200600_302600_NS6detail15normal_iteratorINS9_10device_ptrIxEEEESE_SE_xNS9_10multipliesIxEENS9_8equal_toIxEExEE10hipError_tPvRmT2_T3_T4_T5_mT6_T7_P12ihipStream_tbENKUlT_T0_E_clISt17integral_constantIbLb1EESZ_EEDaSU_SV_EUlSU_E_NS1_11comp_targetILNS1_3genE3ELNS1_11target_archE908ELNS1_3gpuE7ELNS1_3repE0EEENS1_30default_config_static_selectorELNS0_4arch9wavefront6targetE0EEEvT1_.has_dyn_sized_stack, 0
	.set _ZN7rocprim17ROCPRIM_400000_NS6detail17trampoline_kernelINS0_14default_configENS1_27scan_by_key_config_selectorIxxEEZZNS1_16scan_by_key_implILNS1_25lookback_scan_determinismE0ELb1ES3_N6thrust23THRUST_200600_302600_NS6detail15normal_iteratorINS9_10device_ptrIxEEEESE_SE_xNS9_10multipliesIxEENS9_8equal_toIxEExEE10hipError_tPvRmT2_T3_T4_T5_mT6_T7_P12ihipStream_tbENKUlT_T0_E_clISt17integral_constantIbLb1EESZ_EEDaSU_SV_EUlSU_E_NS1_11comp_targetILNS1_3genE3ELNS1_11target_archE908ELNS1_3gpuE7ELNS1_3repE0EEENS1_30default_config_static_selectorELNS0_4arch9wavefront6targetE0EEEvT1_.has_recursion, 0
	.set _ZN7rocprim17ROCPRIM_400000_NS6detail17trampoline_kernelINS0_14default_configENS1_27scan_by_key_config_selectorIxxEEZZNS1_16scan_by_key_implILNS1_25lookback_scan_determinismE0ELb1ES3_N6thrust23THRUST_200600_302600_NS6detail15normal_iteratorINS9_10device_ptrIxEEEESE_SE_xNS9_10multipliesIxEENS9_8equal_toIxEExEE10hipError_tPvRmT2_T3_T4_T5_mT6_T7_P12ihipStream_tbENKUlT_T0_E_clISt17integral_constantIbLb1EESZ_EEDaSU_SV_EUlSU_E_NS1_11comp_targetILNS1_3genE3ELNS1_11target_archE908ELNS1_3gpuE7ELNS1_3repE0EEENS1_30default_config_static_selectorELNS0_4arch9wavefront6targetE0EEEvT1_.has_indirect_call, 0
	.section	.AMDGPU.csdata,"",@progbits
; Kernel info:
; codeLenInByte = 0
; TotalNumSgprs: 0
; NumVgprs: 0
; ScratchSize: 0
; MemoryBound: 0
; FloatMode: 240
; IeeeMode: 1
; LDSByteSize: 0 bytes/workgroup (compile time only)
; SGPRBlocks: 0
; VGPRBlocks: 0
; NumSGPRsForWavesPerEU: 1
; NumVGPRsForWavesPerEU: 1
; NamedBarCnt: 0
; Occupancy: 16
; WaveLimiterHint : 0
; COMPUTE_PGM_RSRC2:SCRATCH_EN: 0
; COMPUTE_PGM_RSRC2:USER_SGPR: 2
; COMPUTE_PGM_RSRC2:TRAP_HANDLER: 0
; COMPUTE_PGM_RSRC2:TGID_X_EN: 1
; COMPUTE_PGM_RSRC2:TGID_Y_EN: 0
; COMPUTE_PGM_RSRC2:TGID_Z_EN: 0
; COMPUTE_PGM_RSRC2:TIDIG_COMP_CNT: 0
	.section	.text._ZN7rocprim17ROCPRIM_400000_NS6detail17trampoline_kernelINS0_14default_configENS1_27scan_by_key_config_selectorIxxEEZZNS1_16scan_by_key_implILNS1_25lookback_scan_determinismE0ELb1ES3_N6thrust23THRUST_200600_302600_NS6detail15normal_iteratorINS9_10device_ptrIxEEEESE_SE_xNS9_10multipliesIxEENS9_8equal_toIxEExEE10hipError_tPvRmT2_T3_T4_T5_mT6_T7_P12ihipStream_tbENKUlT_T0_E_clISt17integral_constantIbLb1EESZ_EEDaSU_SV_EUlSU_E_NS1_11comp_targetILNS1_3genE2ELNS1_11target_archE906ELNS1_3gpuE6ELNS1_3repE0EEENS1_30default_config_static_selectorELNS0_4arch9wavefront6targetE0EEEvT1_,"axG",@progbits,_ZN7rocprim17ROCPRIM_400000_NS6detail17trampoline_kernelINS0_14default_configENS1_27scan_by_key_config_selectorIxxEEZZNS1_16scan_by_key_implILNS1_25lookback_scan_determinismE0ELb1ES3_N6thrust23THRUST_200600_302600_NS6detail15normal_iteratorINS9_10device_ptrIxEEEESE_SE_xNS9_10multipliesIxEENS9_8equal_toIxEExEE10hipError_tPvRmT2_T3_T4_T5_mT6_T7_P12ihipStream_tbENKUlT_T0_E_clISt17integral_constantIbLb1EESZ_EEDaSU_SV_EUlSU_E_NS1_11comp_targetILNS1_3genE2ELNS1_11target_archE906ELNS1_3gpuE6ELNS1_3repE0EEENS1_30default_config_static_selectorELNS0_4arch9wavefront6targetE0EEEvT1_,comdat
	.protected	_ZN7rocprim17ROCPRIM_400000_NS6detail17trampoline_kernelINS0_14default_configENS1_27scan_by_key_config_selectorIxxEEZZNS1_16scan_by_key_implILNS1_25lookback_scan_determinismE0ELb1ES3_N6thrust23THRUST_200600_302600_NS6detail15normal_iteratorINS9_10device_ptrIxEEEESE_SE_xNS9_10multipliesIxEENS9_8equal_toIxEExEE10hipError_tPvRmT2_T3_T4_T5_mT6_T7_P12ihipStream_tbENKUlT_T0_E_clISt17integral_constantIbLb1EESZ_EEDaSU_SV_EUlSU_E_NS1_11comp_targetILNS1_3genE2ELNS1_11target_archE906ELNS1_3gpuE6ELNS1_3repE0EEENS1_30default_config_static_selectorELNS0_4arch9wavefront6targetE0EEEvT1_ ; -- Begin function _ZN7rocprim17ROCPRIM_400000_NS6detail17trampoline_kernelINS0_14default_configENS1_27scan_by_key_config_selectorIxxEEZZNS1_16scan_by_key_implILNS1_25lookback_scan_determinismE0ELb1ES3_N6thrust23THRUST_200600_302600_NS6detail15normal_iteratorINS9_10device_ptrIxEEEESE_SE_xNS9_10multipliesIxEENS9_8equal_toIxEExEE10hipError_tPvRmT2_T3_T4_T5_mT6_T7_P12ihipStream_tbENKUlT_T0_E_clISt17integral_constantIbLb1EESZ_EEDaSU_SV_EUlSU_E_NS1_11comp_targetILNS1_3genE2ELNS1_11target_archE906ELNS1_3gpuE6ELNS1_3repE0EEENS1_30default_config_static_selectorELNS0_4arch9wavefront6targetE0EEEvT1_
	.globl	_ZN7rocprim17ROCPRIM_400000_NS6detail17trampoline_kernelINS0_14default_configENS1_27scan_by_key_config_selectorIxxEEZZNS1_16scan_by_key_implILNS1_25lookback_scan_determinismE0ELb1ES3_N6thrust23THRUST_200600_302600_NS6detail15normal_iteratorINS9_10device_ptrIxEEEESE_SE_xNS9_10multipliesIxEENS9_8equal_toIxEExEE10hipError_tPvRmT2_T3_T4_T5_mT6_T7_P12ihipStream_tbENKUlT_T0_E_clISt17integral_constantIbLb1EESZ_EEDaSU_SV_EUlSU_E_NS1_11comp_targetILNS1_3genE2ELNS1_11target_archE906ELNS1_3gpuE6ELNS1_3repE0EEENS1_30default_config_static_selectorELNS0_4arch9wavefront6targetE0EEEvT1_
	.p2align	8
	.type	_ZN7rocprim17ROCPRIM_400000_NS6detail17trampoline_kernelINS0_14default_configENS1_27scan_by_key_config_selectorIxxEEZZNS1_16scan_by_key_implILNS1_25lookback_scan_determinismE0ELb1ES3_N6thrust23THRUST_200600_302600_NS6detail15normal_iteratorINS9_10device_ptrIxEEEESE_SE_xNS9_10multipliesIxEENS9_8equal_toIxEExEE10hipError_tPvRmT2_T3_T4_T5_mT6_T7_P12ihipStream_tbENKUlT_T0_E_clISt17integral_constantIbLb1EESZ_EEDaSU_SV_EUlSU_E_NS1_11comp_targetILNS1_3genE2ELNS1_11target_archE906ELNS1_3gpuE6ELNS1_3repE0EEENS1_30default_config_static_selectorELNS0_4arch9wavefront6targetE0EEEvT1_,@function
_ZN7rocprim17ROCPRIM_400000_NS6detail17trampoline_kernelINS0_14default_configENS1_27scan_by_key_config_selectorIxxEEZZNS1_16scan_by_key_implILNS1_25lookback_scan_determinismE0ELb1ES3_N6thrust23THRUST_200600_302600_NS6detail15normal_iteratorINS9_10device_ptrIxEEEESE_SE_xNS9_10multipliesIxEENS9_8equal_toIxEExEE10hipError_tPvRmT2_T3_T4_T5_mT6_T7_P12ihipStream_tbENKUlT_T0_E_clISt17integral_constantIbLb1EESZ_EEDaSU_SV_EUlSU_E_NS1_11comp_targetILNS1_3genE2ELNS1_11target_archE906ELNS1_3gpuE6ELNS1_3repE0EEENS1_30default_config_static_selectorELNS0_4arch9wavefront6targetE0EEEvT1_: ; @_ZN7rocprim17ROCPRIM_400000_NS6detail17trampoline_kernelINS0_14default_configENS1_27scan_by_key_config_selectorIxxEEZZNS1_16scan_by_key_implILNS1_25lookback_scan_determinismE0ELb1ES3_N6thrust23THRUST_200600_302600_NS6detail15normal_iteratorINS9_10device_ptrIxEEEESE_SE_xNS9_10multipliesIxEENS9_8equal_toIxEExEE10hipError_tPvRmT2_T3_T4_T5_mT6_T7_P12ihipStream_tbENKUlT_T0_E_clISt17integral_constantIbLb1EESZ_EEDaSU_SV_EUlSU_E_NS1_11comp_targetILNS1_3genE2ELNS1_11target_archE906ELNS1_3gpuE6ELNS1_3repE0EEENS1_30default_config_static_selectorELNS0_4arch9wavefront6targetE0EEEvT1_
; %bb.0:
	.section	.rodata,"a",@progbits
	.p2align	6, 0x0
	.amdhsa_kernel _ZN7rocprim17ROCPRIM_400000_NS6detail17trampoline_kernelINS0_14default_configENS1_27scan_by_key_config_selectorIxxEEZZNS1_16scan_by_key_implILNS1_25lookback_scan_determinismE0ELb1ES3_N6thrust23THRUST_200600_302600_NS6detail15normal_iteratorINS9_10device_ptrIxEEEESE_SE_xNS9_10multipliesIxEENS9_8equal_toIxEExEE10hipError_tPvRmT2_T3_T4_T5_mT6_T7_P12ihipStream_tbENKUlT_T0_E_clISt17integral_constantIbLb1EESZ_EEDaSU_SV_EUlSU_E_NS1_11comp_targetILNS1_3genE2ELNS1_11target_archE906ELNS1_3gpuE6ELNS1_3repE0EEENS1_30default_config_static_selectorELNS0_4arch9wavefront6targetE0EEEvT1_
		.amdhsa_group_segment_fixed_size 0
		.amdhsa_private_segment_fixed_size 0
		.amdhsa_kernarg_size 136
		.amdhsa_user_sgpr_count 2
		.amdhsa_user_sgpr_dispatch_ptr 0
		.amdhsa_user_sgpr_queue_ptr 0
		.amdhsa_user_sgpr_kernarg_segment_ptr 1
		.amdhsa_user_sgpr_dispatch_id 0
		.amdhsa_user_sgpr_kernarg_preload_length 0
		.amdhsa_user_sgpr_kernarg_preload_offset 0
		.amdhsa_user_sgpr_private_segment_size 0
		.amdhsa_wavefront_size32 1
		.amdhsa_uses_dynamic_stack 0
		.amdhsa_enable_private_segment 0
		.amdhsa_system_sgpr_workgroup_id_x 1
		.amdhsa_system_sgpr_workgroup_id_y 0
		.amdhsa_system_sgpr_workgroup_id_z 0
		.amdhsa_system_sgpr_workgroup_info 0
		.amdhsa_system_vgpr_workitem_id 0
		.amdhsa_next_free_vgpr 1
		.amdhsa_next_free_sgpr 1
		.amdhsa_named_barrier_count 0
		.amdhsa_reserve_vcc 0
		.amdhsa_float_round_mode_32 0
		.amdhsa_float_round_mode_16_64 0
		.amdhsa_float_denorm_mode_32 3
		.amdhsa_float_denorm_mode_16_64 3
		.amdhsa_fp16_overflow 0
		.amdhsa_memory_ordered 1
		.amdhsa_forward_progress 1
		.amdhsa_inst_pref_size 0
		.amdhsa_round_robin_scheduling 0
		.amdhsa_exception_fp_ieee_invalid_op 0
		.amdhsa_exception_fp_denorm_src 0
		.amdhsa_exception_fp_ieee_div_zero 0
		.amdhsa_exception_fp_ieee_overflow 0
		.amdhsa_exception_fp_ieee_underflow 0
		.amdhsa_exception_fp_ieee_inexact 0
		.amdhsa_exception_int_div_zero 0
	.end_amdhsa_kernel
	.section	.text._ZN7rocprim17ROCPRIM_400000_NS6detail17trampoline_kernelINS0_14default_configENS1_27scan_by_key_config_selectorIxxEEZZNS1_16scan_by_key_implILNS1_25lookback_scan_determinismE0ELb1ES3_N6thrust23THRUST_200600_302600_NS6detail15normal_iteratorINS9_10device_ptrIxEEEESE_SE_xNS9_10multipliesIxEENS9_8equal_toIxEExEE10hipError_tPvRmT2_T3_T4_T5_mT6_T7_P12ihipStream_tbENKUlT_T0_E_clISt17integral_constantIbLb1EESZ_EEDaSU_SV_EUlSU_E_NS1_11comp_targetILNS1_3genE2ELNS1_11target_archE906ELNS1_3gpuE6ELNS1_3repE0EEENS1_30default_config_static_selectorELNS0_4arch9wavefront6targetE0EEEvT1_,"axG",@progbits,_ZN7rocprim17ROCPRIM_400000_NS6detail17trampoline_kernelINS0_14default_configENS1_27scan_by_key_config_selectorIxxEEZZNS1_16scan_by_key_implILNS1_25lookback_scan_determinismE0ELb1ES3_N6thrust23THRUST_200600_302600_NS6detail15normal_iteratorINS9_10device_ptrIxEEEESE_SE_xNS9_10multipliesIxEENS9_8equal_toIxEExEE10hipError_tPvRmT2_T3_T4_T5_mT6_T7_P12ihipStream_tbENKUlT_T0_E_clISt17integral_constantIbLb1EESZ_EEDaSU_SV_EUlSU_E_NS1_11comp_targetILNS1_3genE2ELNS1_11target_archE906ELNS1_3gpuE6ELNS1_3repE0EEENS1_30default_config_static_selectorELNS0_4arch9wavefront6targetE0EEEvT1_,comdat
.Lfunc_end403:
	.size	_ZN7rocprim17ROCPRIM_400000_NS6detail17trampoline_kernelINS0_14default_configENS1_27scan_by_key_config_selectorIxxEEZZNS1_16scan_by_key_implILNS1_25lookback_scan_determinismE0ELb1ES3_N6thrust23THRUST_200600_302600_NS6detail15normal_iteratorINS9_10device_ptrIxEEEESE_SE_xNS9_10multipliesIxEENS9_8equal_toIxEExEE10hipError_tPvRmT2_T3_T4_T5_mT6_T7_P12ihipStream_tbENKUlT_T0_E_clISt17integral_constantIbLb1EESZ_EEDaSU_SV_EUlSU_E_NS1_11comp_targetILNS1_3genE2ELNS1_11target_archE906ELNS1_3gpuE6ELNS1_3repE0EEENS1_30default_config_static_selectorELNS0_4arch9wavefront6targetE0EEEvT1_, .Lfunc_end403-_ZN7rocprim17ROCPRIM_400000_NS6detail17trampoline_kernelINS0_14default_configENS1_27scan_by_key_config_selectorIxxEEZZNS1_16scan_by_key_implILNS1_25lookback_scan_determinismE0ELb1ES3_N6thrust23THRUST_200600_302600_NS6detail15normal_iteratorINS9_10device_ptrIxEEEESE_SE_xNS9_10multipliesIxEENS9_8equal_toIxEExEE10hipError_tPvRmT2_T3_T4_T5_mT6_T7_P12ihipStream_tbENKUlT_T0_E_clISt17integral_constantIbLb1EESZ_EEDaSU_SV_EUlSU_E_NS1_11comp_targetILNS1_3genE2ELNS1_11target_archE906ELNS1_3gpuE6ELNS1_3repE0EEENS1_30default_config_static_selectorELNS0_4arch9wavefront6targetE0EEEvT1_
                                        ; -- End function
	.set _ZN7rocprim17ROCPRIM_400000_NS6detail17trampoline_kernelINS0_14default_configENS1_27scan_by_key_config_selectorIxxEEZZNS1_16scan_by_key_implILNS1_25lookback_scan_determinismE0ELb1ES3_N6thrust23THRUST_200600_302600_NS6detail15normal_iteratorINS9_10device_ptrIxEEEESE_SE_xNS9_10multipliesIxEENS9_8equal_toIxEExEE10hipError_tPvRmT2_T3_T4_T5_mT6_T7_P12ihipStream_tbENKUlT_T0_E_clISt17integral_constantIbLb1EESZ_EEDaSU_SV_EUlSU_E_NS1_11comp_targetILNS1_3genE2ELNS1_11target_archE906ELNS1_3gpuE6ELNS1_3repE0EEENS1_30default_config_static_selectorELNS0_4arch9wavefront6targetE0EEEvT1_.num_vgpr, 0
	.set _ZN7rocprim17ROCPRIM_400000_NS6detail17trampoline_kernelINS0_14default_configENS1_27scan_by_key_config_selectorIxxEEZZNS1_16scan_by_key_implILNS1_25lookback_scan_determinismE0ELb1ES3_N6thrust23THRUST_200600_302600_NS6detail15normal_iteratorINS9_10device_ptrIxEEEESE_SE_xNS9_10multipliesIxEENS9_8equal_toIxEExEE10hipError_tPvRmT2_T3_T4_T5_mT6_T7_P12ihipStream_tbENKUlT_T0_E_clISt17integral_constantIbLb1EESZ_EEDaSU_SV_EUlSU_E_NS1_11comp_targetILNS1_3genE2ELNS1_11target_archE906ELNS1_3gpuE6ELNS1_3repE0EEENS1_30default_config_static_selectorELNS0_4arch9wavefront6targetE0EEEvT1_.num_agpr, 0
	.set _ZN7rocprim17ROCPRIM_400000_NS6detail17trampoline_kernelINS0_14default_configENS1_27scan_by_key_config_selectorIxxEEZZNS1_16scan_by_key_implILNS1_25lookback_scan_determinismE0ELb1ES3_N6thrust23THRUST_200600_302600_NS6detail15normal_iteratorINS9_10device_ptrIxEEEESE_SE_xNS9_10multipliesIxEENS9_8equal_toIxEExEE10hipError_tPvRmT2_T3_T4_T5_mT6_T7_P12ihipStream_tbENKUlT_T0_E_clISt17integral_constantIbLb1EESZ_EEDaSU_SV_EUlSU_E_NS1_11comp_targetILNS1_3genE2ELNS1_11target_archE906ELNS1_3gpuE6ELNS1_3repE0EEENS1_30default_config_static_selectorELNS0_4arch9wavefront6targetE0EEEvT1_.numbered_sgpr, 0
	.set _ZN7rocprim17ROCPRIM_400000_NS6detail17trampoline_kernelINS0_14default_configENS1_27scan_by_key_config_selectorIxxEEZZNS1_16scan_by_key_implILNS1_25lookback_scan_determinismE0ELb1ES3_N6thrust23THRUST_200600_302600_NS6detail15normal_iteratorINS9_10device_ptrIxEEEESE_SE_xNS9_10multipliesIxEENS9_8equal_toIxEExEE10hipError_tPvRmT2_T3_T4_T5_mT6_T7_P12ihipStream_tbENKUlT_T0_E_clISt17integral_constantIbLb1EESZ_EEDaSU_SV_EUlSU_E_NS1_11comp_targetILNS1_3genE2ELNS1_11target_archE906ELNS1_3gpuE6ELNS1_3repE0EEENS1_30default_config_static_selectorELNS0_4arch9wavefront6targetE0EEEvT1_.num_named_barrier, 0
	.set _ZN7rocprim17ROCPRIM_400000_NS6detail17trampoline_kernelINS0_14default_configENS1_27scan_by_key_config_selectorIxxEEZZNS1_16scan_by_key_implILNS1_25lookback_scan_determinismE0ELb1ES3_N6thrust23THRUST_200600_302600_NS6detail15normal_iteratorINS9_10device_ptrIxEEEESE_SE_xNS9_10multipliesIxEENS9_8equal_toIxEExEE10hipError_tPvRmT2_T3_T4_T5_mT6_T7_P12ihipStream_tbENKUlT_T0_E_clISt17integral_constantIbLb1EESZ_EEDaSU_SV_EUlSU_E_NS1_11comp_targetILNS1_3genE2ELNS1_11target_archE906ELNS1_3gpuE6ELNS1_3repE0EEENS1_30default_config_static_selectorELNS0_4arch9wavefront6targetE0EEEvT1_.private_seg_size, 0
	.set _ZN7rocprim17ROCPRIM_400000_NS6detail17trampoline_kernelINS0_14default_configENS1_27scan_by_key_config_selectorIxxEEZZNS1_16scan_by_key_implILNS1_25lookback_scan_determinismE0ELb1ES3_N6thrust23THRUST_200600_302600_NS6detail15normal_iteratorINS9_10device_ptrIxEEEESE_SE_xNS9_10multipliesIxEENS9_8equal_toIxEExEE10hipError_tPvRmT2_T3_T4_T5_mT6_T7_P12ihipStream_tbENKUlT_T0_E_clISt17integral_constantIbLb1EESZ_EEDaSU_SV_EUlSU_E_NS1_11comp_targetILNS1_3genE2ELNS1_11target_archE906ELNS1_3gpuE6ELNS1_3repE0EEENS1_30default_config_static_selectorELNS0_4arch9wavefront6targetE0EEEvT1_.uses_vcc, 0
	.set _ZN7rocprim17ROCPRIM_400000_NS6detail17trampoline_kernelINS0_14default_configENS1_27scan_by_key_config_selectorIxxEEZZNS1_16scan_by_key_implILNS1_25lookback_scan_determinismE0ELb1ES3_N6thrust23THRUST_200600_302600_NS6detail15normal_iteratorINS9_10device_ptrIxEEEESE_SE_xNS9_10multipliesIxEENS9_8equal_toIxEExEE10hipError_tPvRmT2_T3_T4_T5_mT6_T7_P12ihipStream_tbENKUlT_T0_E_clISt17integral_constantIbLb1EESZ_EEDaSU_SV_EUlSU_E_NS1_11comp_targetILNS1_3genE2ELNS1_11target_archE906ELNS1_3gpuE6ELNS1_3repE0EEENS1_30default_config_static_selectorELNS0_4arch9wavefront6targetE0EEEvT1_.uses_flat_scratch, 0
	.set _ZN7rocprim17ROCPRIM_400000_NS6detail17trampoline_kernelINS0_14default_configENS1_27scan_by_key_config_selectorIxxEEZZNS1_16scan_by_key_implILNS1_25lookback_scan_determinismE0ELb1ES3_N6thrust23THRUST_200600_302600_NS6detail15normal_iteratorINS9_10device_ptrIxEEEESE_SE_xNS9_10multipliesIxEENS9_8equal_toIxEExEE10hipError_tPvRmT2_T3_T4_T5_mT6_T7_P12ihipStream_tbENKUlT_T0_E_clISt17integral_constantIbLb1EESZ_EEDaSU_SV_EUlSU_E_NS1_11comp_targetILNS1_3genE2ELNS1_11target_archE906ELNS1_3gpuE6ELNS1_3repE0EEENS1_30default_config_static_selectorELNS0_4arch9wavefront6targetE0EEEvT1_.has_dyn_sized_stack, 0
	.set _ZN7rocprim17ROCPRIM_400000_NS6detail17trampoline_kernelINS0_14default_configENS1_27scan_by_key_config_selectorIxxEEZZNS1_16scan_by_key_implILNS1_25lookback_scan_determinismE0ELb1ES3_N6thrust23THRUST_200600_302600_NS6detail15normal_iteratorINS9_10device_ptrIxEEEESE_SE_xNS9_10multipliesIxEENS9_8equal_toIxEExEE10hipError_tPvRmT2_T3_T4_T5_mT6_T7_P12ihipStream_tbENKUlT_T0_E_clISt17integral_constantIbLb1EESZ_EEDaSU_SV_EUlSU_E_NS1_11comp_targetILNS1_3genE2ELNS1_11target_archE906ELNS1_3gpuE6ELNS1_3repE0EEENS1_30default_config_static_selectorELNS0_4arch9wavefront6targetE0EEEvT1_.has_recursion, 0
	.set _ZN7rocprim17ROCPRIM_400000_NS6detail17trampoline_kernelINS0_14default_configENS1_27scan_by_key_config_selectorIxxEEZZNS1_16scan_by_key_implILNS1_25lookback_scan_determinismE0ELb1ES3_N6thrust23THRUST_200600_302600_NS6detail15normal_iteratorINS9_10device_ptrIxEEEESE_SE_xNS9_10multipliesIxEENS9_8equal_toIxEExEE10hipError_tPvRmT2_T3_T4_T5_mT6_T7_P12ihipStream_tbENKUlT_T0_E_clISt17integral_constantIbLb1EESZ_EEDaSU_SV_EUlSU_E_NS1_11comp_targetILNS1_3genE2ELNS1_11target_archE906ELNS1_3gpuE6ELNS1_3repE0EEENS1_30default_config_static_selectorELNS0_4arch9wavefront6targetE0EEEvT1_.has_indirect_call, 0
	.section	.AMDGPU.csdata,"",@progbits
; Kernel info:
; codeLenInByte = 0
; TotalNumSgprs: 0
; NumVgprs: 0
; ScratchSize: 0
; MemoryBound: 0
; FloatMode: 240
; IeeeMode: 1
; LDSByteSize: 0 bytes/workgroup (compile time only)
; SGPRBlocks: 0
; VGPRBlocks: 0
; NumSGPRsForWavesPerEU: 1
; NumVGPRsForWavesPerEU: 1
; NamedBarCnt: 0
; Occupancy: 16
; WaveLimiterHint : 0
; COMPUTE_PGM_RSRC2:SCRATCH_EN: 0
; COMPUTE_PGM_RSRC2:USER_SGPR: 2
; COMPUTE_PGM_RSRC2:TRAP_HANDLER: 0
; COMPUTE_PGM_RSRC2:TGID_X_EN: 1
; COMPUTE_PGM_RSRC2:TGID_Y_EN: 0
; COMPUTE_PGM_RSRC2:TGID_Z_EN: 0
; COMPUTE_PGM_RSRC2:TIDIG_COMP_CNT: 0
	.section	.text._ZN7rocprim17ROCPRIM_400000_NS6detail17trampoline_kernelINS0_14default_configENS1_27scan_by_key_config_selectorIxxEEZZNS1_16scan_by_key_implILNS1_25lookback_scan_determinismE0ELb1ES3_N6thrust23THRUST_200600_302600_NS6detail15normal_iteratorINS9_10device_ptrIxEEEESE_SE_xNS9_10multipliesIxEENS9_8equal_toIxEExEE10hipError_tPvRmT2_T3_T4_T5_mT6_T7_P12ihipStream_tbENKUlT_T0_E_clISt17integral_constantIbLb1EESZ_EEDaSU_SV_EUlSU_E_NS1_11comp_targetILNS1_3genE10ELNS1_11target_archE1200ELNS1_3gpuE4ELNS1_3repE0EEENS1_30default_config_static_selectorELNS0_4arch9wavefront6targetE0EEEvT1_,"axG",@progbits,_ZN7rocprim17ROCPRIM_400000_NS6detail17trampoline_kernelINS0_14default_configENS1_27scan_by_key_config_selectorIxxEEZZNS1_16scan_by_key_implILNS1_25lookback_scan_determinismE0ELb1ES3_N6thrust23THRUST_200600_302600_NS6detail15normal_iteratorINS9_10device_ptrIxEEEESE_SE_xNS9_10multipliesIxEENS9_8equal_toIxEExEE10hipError_tPvRmT2_T3_T4_T5_mT6_T7_P12ihipStream_tbENKUlT_T0_E_clISt17integral_constantIbLb1EESZ_EEDaSU_SV_EUlSU_E_NS1_11comp_targetILNS1_3genE10ELNS1_11target_archE1200ELNS1_3gpuE4ELNS1_3repE0EEENS1_30default_config_static_selectorELNS0_4arch9wavefront6targetE0EEEvT1_,comdat
	.protected	_ZN7rocprim17ROCPRIM_400000_NS6detail17trampoline_kernelINS0_14default_configENS1_27scan_by_key_config_selectorIxxEEZZNS1_16scan_by_key_implILNS1_25lookback_scan_determinismE0ELb1ES3_N6thrust23THRUST_200600_302600_NS6detail15normal_iteratorINS9_10device_ptrIxEEEESE_SE_xNS9_10multipliesIxEENS9_8equal_toIxEExEE10hipError_tPvRmT2_T3_T4_T5_mT6_T7_P12ihipStream_tbENKUlT_T0_E_clISt17integral_constantIbLb1EESZ_EEDaSU_SV_EUlSU_E_NS1_11comp_targetILNS1_3genE10ELNS1_11target_archE1200ELNS1_3gpuE4ELNS1_3repE0EEENS1_30default_config_static_selectorELNS0_4arch9wavefront6targetE0EEEvT1_ ; -- Begin function _ZN7rocprim17ROCPRIM_400000_NS6detail17trampoline_kernelINS0_14default_configENS1_27scan_by_key_config_selectorIxxEEZZNS1_16scan_by_key_implILNS1_25lookback_scan_determinismE0ELb1ES3_N6thrust23THRUST_200600_302600_NS6detail15normal_iteratorINS9_10device_ptrIxEEEESE_SE_xNS9_10multipliesIxEENS9_8equal_toIxEExEE10hipError_tPvRmT2_T3_T4_T5_mT6_T7_P12ihipStream_tbENKUlT_T0_E_clISt17integral_constantIbLb1EESZ_EEDaSU_SV_EUlSU_E_NS1_11comp_targetILNS1_3genE10ELNS1_11target_archE1200ELNS1_3gpuE4ELNS1_3repE0EEENS1_30default_config_static_selectorELNS0_4arch9wavefront6targetE0EEEvT1_
	.globl	_ZN7rocprim17ROCPRIM_400000_NS6detail17trampoline_kernelINS0_14default_configENS1_27scan_by_key_config_selectorIxxEEZZNS1_16scan_by_key_implILNS1_25lookback_scan_determinismE0ELb1ES3_N6thrust23THRUST_200600_302600_NS6detail15normal_iteratorINS9_10device_ptrIxEEEESE_SE_xNS9_10multipliesIxEENS9_8equal_toIxEExEE10hipError_tPvRmT2_T3_T4_T5_mT6_T7_P12ihipStream_tbENKUlT_T0_E_clISt17integral_constantIbLb1EESZ_EEDaSU_SV_EUlSU_E_NS1_11comp_targetILNS1_3genE10ELNS1_11target_archE1200ELNS1_3gpuE4ELNS1_3repE0EEENS1_30default_config_static_selectorELNS0_4arch9wavefront6targetE0EEEvT1_
	.p2align	8
	.type	_ZN7rocprim17ROCPRIM_400000_NS6detail17trampoline_kernelINS0_14default_configENS1_27scan_by_key_config_selectorIxxEEZZNS1_16scan_by_key_implILNS1_25lookback_scan_determinismE0ELb1ES3_N6thrust23THRUST_200600_302600_NS6detail15normal_iteratorINS9_10device_ptrIxEEEESE_SE_xNS9_10multipliesIxEENS9_8equal_toIxEExEE10hipError_tPvRmT2_T3_T4_T5_mT6_T7_P12ihipStream_tbENKUlT_T0_E_clISt17integral_constantIbLb1EESZ_EEDaSU_SV_EUlSU_E_NS1_11comp_targetILNS1_3genE10ELNS1_11target_archE1200ELNS1_3gpuE4ELNS1_3repE0EEENS1_30default_config_static_selectorELNS0_4arch9wavefront6targetE0EEEvT1_,@function
_ZN7rocprim17ROCPRIM_400000_NS6detail17trampoline_kernelINS0_14default_configENS1_27scan_by_key_config_selectorIxxEEZZNS1_16scan_by_key_implILNS1_25lookback_scan_determinismE0ELb1ES3_N6thrust23THRUST_200600_302600_NS6detail15normal_iteratorINS9_10device_ptrIxEEEESE_SE_xNS9_10multipliesIxEENS9_8equal_toIxEExEE10hipError_tPvRmT2_T3_T4_T5_mT6_T7_P12ihipStream_tbENKUlT_T0_E_clISt17integral_constantIbLb1EESZ_EEDaSU_SV_EUlSU_E_NS1_11comp_targetILNS1_3genE10ELNS1_11target_archE1200ELNS1_3gpuE4ELNS1_3repE0EEENS1_30default_config_static_selectorELNS0_4arch9wavefront6targetE0EEEvT1_: ; @_ZN7rocprim17ROCPRIM_400000_NS6detail17trampoline_kernelINS0_14default_configENS1_27scan_by_key_config_selectorIxxEEZZNS1_16scan_by_key_implILNS1_25lookback_scan_determinismE0ELb1ES3_N6thrust23THRUST_200600_302600_NS6detail15normal_iteratorINS9_10device_ptrIxEEEESE_SE_xNS9_10multipliesIxEENS9_8equal_toIxEExEE10hipError_tPvRmT2_T3_T4_T5_mT6_T7_P12ihipStream_tbENKUlT_T0_E_clISt17integral_constantIbLb1EESZ_EEDaSU_SV_EUlSU_E_NS1_11comp_targetILNS1_3genE10ELNS1_11target_archE1200ELNS1_3gpuE4ELNS1_3repE0EEENS1_30default_config_static_selectorELNS0_4arch9wavefront6targetE0EEEvT1_
; %bb.0:
	.section	.rodata,"a",@progbits
	.p2align	6, 0x0
	.amdhsa_kernel _ZN7rocprim17ROCPRIM_400000_NS6detail17trampoline_kernelINS0_14default_configENS1_27scan_by_key_config_selectorIxxEEZZNS1_16scan_by_key_implILNS1_25lookback_scan_determinismE0ELb1ES3_N6thrust23THRUST_200600_302600_NS6detail15normal_iteratorINS9_10device_ptrIxEEEESE_SE_xNS9_10multipliesIxEENS9_8equal_toIxEExEE10hipError_tPvRmT2_T3_T4_T5_mT6_T7_P12ihipStream_tbENKUlT_T0_E_clISt17integral_constantIbLb1EESZ_EEDaSU_SV_EUlSU_E_NS1_11comp_targetILNS1_3genE10ELNS1_11target_archE1200ELNS1_3gpuE4ELNS1_3repE0EEENS1_30default_config_static_selectorELNS0_4arch9wavefront6targetE0EEEvT1_
		.amdhsa_group_segment_fixed_size 0
		.amdhsa_private_segment_fixed_size 0
		.amdhsa_kernarg_size 136
		.amdhsa_user_sgpr_count 2
		.amdhsa_user_sgpr_dispatch_ptr 0
		.amdhsa_user_sgpr_queue_ptr 0
		.amdhsa_user_sgpr_kernarg_segment_ptr 1
		.amdhsa_user_sgpr_dispatch_id 0
		.amdhsa_user_sgpr_kernarg_preload_length 0
		.amdhsa_user_sgpr_kernarg_preload_offset 0
		.amdhsa_user_sgpr_private_segment_size 0
		.amdhsa_wavefront_size32 1
		.amdhsa_uses_dynamic_stack 0
		.amdhsa_enable_private_segment 0
		.amdhsa_system_sgpr_workgroup_id_x 1
		.amdhsa_system_sgpr_workgroup_id_y 0
		.amdhsa_system_sgpr_workgroup_id_z 0
		.amdhsa_system_sgpr_workgroup_info 0
		.amdhsa_system_vgpr_workitem_id 0
		.amdhsa_next_free_vgpr 1
		.amdhsa_next_free_sgpr 1
		.amdhsa_named_barrier_count 0
		.amdhsa_reserve_vcc 0
		.amdhsa_float_round_mode_32 0
		.amdhsa_float_round_mode_16_64 0
		.amdhsa_float_denorm_mode_32 3
		.amdhsa_float_denorm_mode_16_64 3
		.amdhsa_fp16_overflow 0
		.amdhsa_memory_ordered 1
		.amdhsa_forward_progress 1
		.amdhsa_inst_pref_size 0
		.amdhsa_round_robin_scheduling 0
		.amdhsa_exception_fp_ieee_invalid_op 0
		.amdhsa_exception_fp_denorm_src 0
		.amdhsa_exception_fp_ieee_div_zero 0
		.amdhsa_exception_fp_ieee_overflow 0
		.amdhsa_exception_fp_ieee_underflow 0
		.amdhsa_exception_fp_ieee_inexact 0
		.amdhsa_exception_int_div_zero 0
	.end_amdhsa_kernel
	.section	.text._ZN7rocprim17ROCPRIM_400000_NS6detail17trampoline_kernelINS0_14default_configENS1_27scan_by_key_config_selectorIxxEEZZNS1_16scan_by_key_implILNS1_25lookback_scan_determinismE0ELb1ES3_N6thrust23THRUST_200600_302600_NS6detail15normal_iteratorINS9_10device_ptrIxEEEESE_SE_xNS9_10multipliesIxEENS9_8equal_toIxEExEE10hipError_tPvRmT2_T3_T4_T5_mT6_T7_P12ihipStream_tbENKUlT_T0_E_clISt17integral_constantIbLb1EESZ_EEDaSU_SV_EUlSU_E_NS1_11comp_targetILNS1_3genE10ELNS1_11target_archE1200ELNS1_3gpuE4ELNS1_3repE0EEENS1_30default_config_static_selectorELNS0_4arch9wavefront6targetE0EEEvT1_,"axG",@progbits,_ZN7rocprim17ROCPRIM_400000_NS6detail17trampoline_kernelINS0_14default_configENS1_27scan_by_key_config_selectorIxxEEZZNS1_16scan_by_key_implILNS1_25lookback_scan_determinismE0ELb1ES3_N6thrust23THRUST_200600_302600_NS6detail15normal_iteratorINS9_10device_ptrIxEEEESE_SE_xNS9_10multipliesIxEENS9_8equal_toIxEExEE10hipError_tPvRmT2_T3_T4_T5_mT6_T7_P12ihipStream_tbENKUlT_T0_E_clISt17integral_constantIbLb1EESZ_EEDaSU_SV_EUlSU_E_NS1_11comp_targetILNS1_3genE10ELNS1_11target_archE1200ELNS1_3gpuE4ELNS1_3repE0EEENS1_30default_config_static_selectorELNS0_4arch9wavefront6targetE0EEEvT1_,comdat
.Lfunc_end404:
	.size	_ZN7rocprim17ROCPRIM_400000_NS6detail17trampoline_kernelINS0_14default_configENS1_27scan_by_key_config_selectorIxxEEZZNS1_16scan_by_key_implILNS1_25lookback_scan_determinismE0ELb1ES3_N6thrust23THRUST_200600_302600_NS6detail15normal_iteratorINS9_10device_ptrIxEEEESE_SE_xNS9_10multipliesIxEENS9_8equal_toIxEExEE10hipError_tPvRmT2_T3_T4_T5_mT6_T7_P12ihipStream_tbENKUlT_T0_E_clISt17integral_constantIbLb1EESZ_EEDaSU_SV_EUlSU_E_NS1_11comp_targetILNS1_3genE10ELNS1_11target_archE1200ELNS1_3gpuE4ELNS1_3repE0EEENS1_30default_config_static_selectorELNS0_4arch9wavefront6targetE0EEEvT1_, .Lfunc_end404-_ZN7rocprim17ROCPRIM_400000_NS6detail17trampoline_kernelINS0_14default_configENS1_27scan_by_key_config_selectorIxxEEZZNS1_16scan_by_key_implILNS1_25lookback_scan_determinismE0ELb1ES3_N6thrust23THRUST_200600_302600_NS6detail15normal_iteratorINS9_10device_ptrIxEEEESE_SE_xNS9_10multipliesIxEENS9_8equal_toIxEExEE10hipError_tPvRmT2_T3_T4_T5_mT6_T7_P12ihipStream_tbENKUlT_T0_E_clISt17integral_constantIbLb1EESZ_EEDaSU_SV_EUlSU_E_NS1_11comp_targetILNS1_3genE10ELNS1_11target_archE1200ELNS1_3gpuE4ELNS1_3repE0EEENS1_30default_config_static_selectorELNS0_4arch9wavefront6targetE0EEEvT1_
                                        ; -- End function
	.set _ZN7rocprim17ROCPRIM_400000_NS6detail17trampoline_kernelINS0_14default_configENS1_27scan_by_key_config_selectorIxxEEZZNS1_16scan_by_key_implILNS1_25lookback_scan_determinismE0ELb1ES3_N6thrust23THRUST_200600_302600_NS6detail15normal_iteratorINS9_10device_ptrIxEEEESE_SE_xNS9_10multipliesIxEENS9_8equal_toIxEExEE10hipError_tPvRmT2_T3_T4_T5_mT6_T7_P12ihipStream_tbENKUlT_T0_E_clISt17integral_constantIbLb1EESZ_EEDaSU_SV_EUlSU_E_NS1_11comp_targetILNS1_3genE10ELNS1_11target_archE1200ELNS1_3gpuE4ELNS1_3repE0EEENS1_30default_config_static_selectorELNS0_4arch9wavefront6targetE0EEEvT1_.num_vgpr, 0
	.set _ZN7rocprim17ROCPRIM_400000_NS6detail17trampoline_kernelINS0_14default_configENS1_27scan_by_key_config_selectorIxxEEZZNS1_16scan_by_key_implILNS1_25lookback_scan_determinismE0ELb1ES3_N6thrust23THRUST_200600_302600_NS6detail15normal_iteratorINS9_10device_ptrIxEEEESE_SE_xNS9_10multipliesIxEENS9_8equal_toIxEExEE10hipError_tPvRmT2_T3_T4_T5_mT6_T7_P12ihipStream_tbENKUlT_T0_E_clISt17integral_constantIbLb1EESZ_EEDaSU_SV_EUlSU_E_NS1_11comp_targetILNS1_3genE10ELNS1_11target_archE1200ELNS1_3gpuE4ELNS1_3repE0EEENS1_30default_config_static_selectorELNS0_4arch9wavefront6targetE0EEEvT1_.num_agpr, 0
	.set _ZN7rocprim17ROCPRIM_400000_NS6detail17trampoline_kernelINS0_14default_configENS1_27scan_by_key_config_selectorIxxEEZZNS1_16scan_by_key_implILNS1_25lookback_scan_determinismE0ELb1ES3_N6thrust23THRUST_200600_302600_NS6detail15normal_iteratorINS9_10device_ptrIxEEEESE_SE_xNS9_10multipliesIxEENS9_8equal_toIxEExEE10hipError_tPvRmT2_T3_T4_T5_mT6_T7_P12ihipStream_tbENKUlT_T0_E_clISt17integral_constantIbLb1EESZ_EEDaSU_SV_EUlSU_E_NS1_11comp_targetILNS1_3genE10ELNS1_11target_archE1200ELNS1_3gpuE4ELNS1_3repE0EEENS1_30default_config_static_selectorELNS0_4arch9wavefront6targetE0EEEvT1_.numbered_sgpr, 0
	.set _ZN7rocprim17ROCPRIM_400000_NS6detail17trampoline_kernelINS0_14default_configENS1_27scan_by_key_config_selectorIxxEEZZNS1_16scan_by_key_implILNS1_25lookback_scan_determinismE0ELb1ES3_N6thrust23THRUST_200600_302600_NS6detail15normal_iteratorINS9_10device_ptrIxEEEESE_SE_xNS9_10multipliesIxEENS9_8equal_toIxEExEE10hipError_tPvRmT2_T3_T4_T5_mT6_T7_P12ihipStream_tbENKUlT_T0_E_clISt17integral_constantIbLb1EESZ_EEDaSU_SV_EUlSU_E_NS1_11comp_targetILNS1_3genE10ELNS1_11target_archE1200ELNS1_3gpuE4ELNS1_3repE0EEENS1_30default_config_static_selectorELNS0_4arch9wavefront6targetE0EEEvT1_.num_named_barrier, 0
	.set _ZN7rocprim17ROCPRIM_400000_NS6detail17trampoline_kernelINS0_14default_configENS1_27scan_by_key_config_selectorIxxEEZZNS1_16scan_by_key_implILNS1_25lookback_scan_determinismE0ELb1ES3_N6thrust23THRUST_200600_302600_NS6detail15normal_iteratorINS9_10device_ptrIxEEEESE_SE_xNS9_10multipliesIxEENS9_8equal_toIxEExEE10hipError_tPvRmT2_T3_T4_T5_mT6_T7_P12ihipStream_tbENKUlT_T0_E_clISt17integral_constantIbLb1EESZ_EEDaSU_SV_EUlSU_E_NS1_11comp_targetILNS1_3genE10ELNS1_11target_archE1200ELNS1_3gpuE4ELNS1_3repE0EEENS1_30default_config_static_selectorELNS0_4arch9wavefront6targetE0EEEvT1_.private_seg_size, 0
	.set _ZN7rocprim17ROCPRIM_400000_NS6detail17trampoline_kernelINS0_14default_configENS1_27scan_by_key_config_selectorIxxEEZZNS1_16scan_by_key_implILNS1_25lookback_scan_determinismE0ELb1ES3_N6thrust23THRUST_200600_302600_NS6detail15normal_iteratorINS9_10device_ptrIxEEEESE_SE_xNS9_10multipliesIxEENS9_8equal_toIxEExEE10hipError_tPvRmT2_T3_T4_T5_mT6_T7_P12ihipStream_tbENKUlT_T0_E_clISt17integral_constantIbLb1EESZ_EEDaSU_SV_EUlSU_E_NS1_11comp_targetILNS1_3genE10ELNS1_11target_archE1200ELNS1_3gpuE4ELNS1_3repE0EEENS1_30default_config_static_selectorELNS0_4arch9wavefront6targetE0EEEvT1_.uses_vcc, 0
	.set _ZN7rocprim17ROCPRIM_400000_NS6detail17trampoline_kernelINS0_14default_configENS1_27scan_by_key_config_selectorIxxEEZZNS1_16scan_by_key_implILNS1_25lookback_scan_determinismE0ELb1ES3_N6thrust23THRUST_200600_302600_NS6detail15normal_iteratorINS9_10device_ptrIxEEEESE_SE_xNS9_10multipliesIxEENS9_8equal_toIxEExEE10hipError_tPvRmT2_T3_T4_T5_mT6_T7_P12ihipStream_tbENKUlT_T0_E_clISt17integral_constantIbLb1EESZ_EEDaSU_SV_EUlSU_E_NS1_11comp_targetILNS1_3genE10ELNS1_11target_archE1200ELNS1_3gpuE4ELNS1_3repE0EEENS1_30default_config_static_selectorELNS0_4arch9wavefront6targetE0EEEvT1_.uses_flat_scratch, 0
	.set _ZN7rocprim17ROCPRIM_400000_NS6detail17trampoline_kernelINS0_14default_configENS1_27scan_by_key_config_selectorIxxEEZZNS1_16scan_by_key_implILNS1_25lookback_scan_determinismE0ELb1ES3_N6thrust23THRUST_200600_302600_NS6detail15normal_iteratorINS9_10device_ptrIxEEEESE_SE_xNS9_10multipliesIxEENS9_8equal_toIxEExEE10hipError_tPvRmT2_T3_T4_T5_mT6_T7_P12ihipStream_tbENKUlT_T0_E_clISt17integral_constantIbLb1EESZ_EEDaSU_SV_EUlSU_E_NS1_11comp_targetILNS1_3genE10ELNS1_11target_archE1200ELNS1_3gpuE4ELNS1_3repE0EEENS1_30default_config_static_selectorELNS0_4arch9wavefront6targetE0EEEvT1_.has_dyn_sized_stack, 0
	.set _ZN7rocprim17ROCPRIM_400000_NS6detail17trampoline_kernelINS0_14default_configENS1_27scan_by_key_config_selectorIxxEEZZNS1_16scan_by_key_implILNS1_25lookback_scan_determinismE0ELb1ES3_N6thrust23THRUST_200600_302600_NS6detail15normal_iteratorINS9_10device_ptrIxEEEESE_SE_xNS9_10multipliesIxEENS9_8equal_toIxEExEE10hipError_tPvRmT2_T3_T4_T5_mT6_T7_P12ihipStream_tbENKUlT_T0_E_clISt17integral_constantIbLb1EESZ_EEDaSU_SV_EUlSU_E_NS1_11comp_targetILNS1_3genE10ELNS1_11target_archE1200ELNS1_3gpuE4ELNS1_3repE0EEENS1_30default_config_static_selectorELNS0_4arch9wavefront6targetE0EEEvT1_.has_recursion, 0
	.set _ZN7rocprim17ROCPRIM_400000_NS6detail17trampoline_kernelINS0_14default_configENS1_27scan_by_key_config_selectorIxxEEZZNS1_16scan_by_key_implILNS1_25lookback_scan_determinismE0ELb1ES3_N6thrust23THRUST_200600_302600_NS6detail15normal_iteratorINS9_10device_ptrIxEEEESE_SE_xNS9_10multipliesIxEENS9_8equal_toIxEExEE10hipError_tPvRmT2_T3_T4_T5_mT6_T7_P12ihipStream_tbENKUlT_T0_E_clISt17integral_constantIbLb1EESZ_EEDaSU_SV_EUlSU_E_NS1_11comp_targetILNS1_3genE10ELNS1_11target_archE1200ELNS1_3gpuE4ELNS1_3repE0EEENS1_30default_config_static_selectorELNS0_4arch9wavefront6targetE0EEEvT1_.has_indirect_call, 0
	.section	.AMDGPU.csdata,"",@progbits
; Kernel info:
; codeLenInByte = 0
; TotalNumSgprs: 0
; NumVgprs: 0
; ScratchSize: 0
; MemoryBound: 0
; FloatMode: 240
; IeeeMode: 1
; LDSByteSize: 0 bytes/workgroup (compile time only)
; SGPRBlocks: 0
; VGPRBlocks: 0
; NumSGPRsForWavesPerEU: 1
; NumVGPRsForWavesPerEU: 1
; NamedBarCnt: 0
; Occupancy: 16
; WaveLimiterHint : 0
; COMPUTE_PGM_RSRC2:SCRATCH_EN: 0
; COMPUTE_PGM_RSRC2:USER_SGPR: 2
; COMPUTE_PGM_RSRC2:TRAP_HANDLER: 0
; COMPUTE_PGM_RSRC2:TGID_X_EN: 1
; COMPUTE_PGM_RSRC2:TGID_Y_EN: 0
; COMPUTE_PGM_RSRC2:TGID_Z_EN: 0
; COMPUTE_PGM_RSRC2:TIDIG_COMP_CNT: 0
	.section	.text._ZN7rocprim17ROCPRIM_400000_NS6detail17trampoline_kernelINS0_14default_configENS1_27scan_by_key_config_selectorIxxEEZZNS1_16scan_by_key_implILNS1_25lookback_scan_determinismE0ELb1ES3_N6thrust23THRUST_200600_302600_NS6detail15normal_iteratorINS9_10device_ptrIxEEEESE_SE_xNS9_10multipliesIxEENS9_8equal_toIxEExEE10hipError_tPvRmT2_T3_T4_T5_mT6_T7_P12ihipStream_tbENKUlT_T0_E_clISt17integral_constantIbLb1EESZ_EEDaSU_SV_EUlSU_E_NS1_11comp_targetILNS1_3genE9ELNS1_11target_archE1100ELNS1_3gpuE3ELNS1_3repE0EEENS1_30default_config_static_selectorELNS0_4arch9wavefront6targetE0EEEvT1_,"axG",@progbits,_ZN7rocprim17ROCPRIM_400000_NS6detail17trampoline_kernelINS0_14default_configENS1_27scan_by_key_config_selectorIxxEEZZNS1_16scan_by_key_implILNS1_25lookback_scan_determinismE0ELb1ES3_N6thrust23THRUST_200600_302600_NS6detail15normal_iteratorINS9_10device_ptrIxEEEESE_SE_xNS9_10multipliesIxEENS9_8equal_toIxEExEE10hipError_tPvRmT2_T3_T4_T5_mT6_T7_P12ihipStream_tbENKUlT_T0_E_clISt17integral_constantIbLb1EESZ_EEDaSU_SV_EUlSU_E_NS1_11comp_targetILNS1_3genE9ELNS1_11target_archE1100ELNS1_3gpuE3ELNS1_3repE0EEENS1_30default_config_static_selectorELNS0_4arch9wavefront6targetE0EEEvT1_,comdat
	.protected	_ZN7rocprim17ROCPRIM_400000_NS6detail17trampoline_kernelINS0_14default_configENS1_27scan_by_key_config_selectorIxxEEZZNS1_16scan_by_key_implILNS1_25lookback_scan_determinismE0ELb1ES3_N6thrust23THRUST_200600_302600_NS6detail15normal_iteratorINS9_10device_ptrIxEEEESE_SE_xNS9_10multipliesIxEENS9_8equal_toIxEExEE10hipError_tPvRmT2_T3_T4_T5_mT6_T7_P12ihipStream_tbENKUlT_T0_E_clISt17integral_constantIbLb1EESZ_EEDaSU_SV_EUlSU_E_NS1_11comp_targetILNS1_3genE9ELNS1_11target_archE1100ELNS1_3gpuE3ELNS1_3repE0EEENS1_30default_config_static_selectorELNS0_4arch9wavefront6targetE0EEEvT1_ ; -- Begin function _ZN7rocprim17ROCPRIM_400000_NS6detail17trampoline_kernelINS0_14default_configENS1_27scan_by_key_config_selectorIxxEEZZNS1_16scan_by_key_implILNS1_25lookback_scan_determinismE0ELb1ES3_N6thrust23THRUST_200600_302600_NS6detail15normal_iteratorINS9_10device_ptrIxEEEESE_SE_xNS9_10multipliesIxEENS9_8equal_toIxEExEE10hipError_tPvRmT2_T3_T4_T5_mT6_T7_P12ihipStream_tbENKUlT_T0_E_clISt17integral_constantIbLb1EESZ_EEDaSU_SV_EUlSU_E_NS1_11comp_targetILNS1_3genE9ELNS1_11target_archE1100ELNS1_3gpuE3ELNS1_3repE0EEENS1_30default_config_static_selectorELNS0_4arch9wavefront6targetE0EEEvT1_
	.globl	_ZN7rocprim17ROCPRIM_400000_NS6detail17trampoline_kernelINS0_14default_configENS1_27scan_by_key_config_selectorIxxEEZZNS1_16scan_by_key_implILNS1_25lookback_scan_determinismE0ELb1ES3_N6thrust23THRUST_200600_302600_NS6detail15normal_iteratorINS9_10device_ptrIxEEEESE_SE_xNS9_10multipliesIxEENS9_8equal_toIxEExEE10hipError_tPvRmT2_T3_T4_T5_mT6_T7_P12ihipStream_tbENKUlT_T0_E_clISt17integral_constantIbLb1EESZ_EEDaSU_SV_EUlSU_E_NS1_11comp_targetILNS1_3genE9ELNS1_11target_archE1100ELNS1_3gpuE3ELNS1_3repE0EEENS1_30default_config_static_selectorELNS0_4arch9wavefront6targetE0EEEvT1_
	.p2align	8
	.type	_ZN7rocprim17ROCPRIM_400000_NS6detail17trampoline_kernelINS0_14default_configENS1_27scan_by_key_config_selectorIxxEEZZNS1_16scan_by_key_implILNS1_25lookback_scan_determinismE0ELb1ES3_N6thrust23THRUST_200600_302600_NS6detail15normal_iteratorINS9_10device_ptrIxEEEESE_SE_xNS9_10multipliesIxEENS9_8equal_toIxEExEE10hipError_tPvRmT2_T3_T4_T5_mT6_T7_P12ihipStream_tbENKUlT_T0_E_clISt17integral_constantIbLb1EESZ_EEDaSU_SV_EUlSU_E_NS1_11comp_targetILNS1_3genE9ELNS1_11target_archE1100ELNS1_3gpuE3ELNS1_3repE0EEENS1_30default_config_static_selectorELNS0_4arch9wavefront6targetE0EEEvT1_,@function
_ZN7rocprim17ROCPRIM_400000_NS6detail17trampoline_kernelINS0_14default_configENS1_27scan_by_key_config_selectorIxxEEZZNS1_16scan_by_key_implILNS1_25lookback_scan_determinismE0ELb1ES3_N6thrust23THRUST_200600_302600_NS6detail15normal_iteratorINS9_10device_ptrIxEEEESE_SE_xNS9_10multipliesIxEENS9_8equal_toIxEExEE10hipError_tPvRmT2_T3_T4_T5_mT6_T7_P12ihipStream_tbENKUlT_T0_E_clISt17integral_constantIbLb1EESZ_EEDaSU_SV_EUlSU_E_NS1_11comp_targetILNS1_3genE9ELNS1_11target_archE1100ELNS1_3gpuE3ELNS1_3repE0EEENS1_30default_config_static_selectorELNS0_4arch9wavefront6targetE0EEEvT1_: ; @_ZN7rocprim17ROCPRIM_400000_NS6detail17trampoline_kernelINS0_14default_configENS1_27scan_by_key_config_selectorIxxEEZZNS1_16scan_by_key_implILNS1_25lookback_scan_determinismE0ELb1ES3_N6thrust23THRUST_200600_302600_NS6detail15normal_iteratorINS9_10device_ptrIxEEEESE_SE_xNS9_10multipliesIxEENS9_8equal_toIxEExEE10hipError_tPvRmT2_T3_T4_T5_mT6_T7_P12ihipStream_tbENKUlT_T0_E_clISt17integral_constantIbLb1EESZ_EEDaSU_SV_EUlSU_E_NS1_11comp_targetILNS1_3genE9ELNS1_11target_archE1100ELNS1_3gpuE3ELNS1_3repE0EEENS1_30default_config_static_selectorELNS0_4arch9wavefront6targetE0EEEvT1_
; %bb.0:
	.section	.rodata,"a",@progbits
	.p2align	6, 0x0
	.amdhsa_kernel _ZN7rocprim17ROCPRIM_400000_NS6detail17trampoline_kernelINS0_14default_configENS1_27scan_by_key_config_selectorIxxEEZZNS1_16scan_by_key_implILNS1_25lookback_scan_determinismE0ELb1ES3_N6thrust23THRUST_200600_302600_NS6detail15normal_iteratorINS9_10device_ptrIxEEEESE_SE_xNS9_10multipliesIxEENS9_8equal_toIxEExEE10hipError_tPvRmT2_T3_T4_T5_mT6_T7_P12ihipStream_tbENKUlT_T0_E_clISt17integral_constantIbLb1EESZ_EEDaSU_SV_EUlSU_E_NS1_11comp_targetILNS1_3genE9ELNS1_11target_archE1100ELNS1_3gpuE3ELNS1_3repE0EEENS1_30default_config_static_selectorELNS0_4arch9wavefront6targetE0EEEvT1_
		.amdhsa_group_segment_fixed_size 0
		.amdhsa_private_segment_fixed_size 0
		.amdhsa_kernarg_size 136
		.amdhsa_user_sgpr_count 2
		.amdhsa_user_sgpr_dispatch_ptr 0
		.amdhsa_user_sgpr_queue_ptr 0
		.amdhsa_user_sgpr_kernarg_segment_ptr 1
		.amdhsa_user_sgpr_dispatch_id 0
		.amdhsa_user_sgpr_kernarg_preload_length 0
		.amdhsa_user_sgpr_kernarg_preload_offset 0
		.amdhsa_user_sgpr_private_segment_size 0
		.amdhsa_wavefront_size32 1
		.amdhsa_uses_dynamic_stack 0
		.amdhsa_enable_private_segment 0
		.amdhsa_system_sgpr_workgroup_id_x 1
		.amdhsa_system_sgpr_workgroup_id_y 0
		.amdhsa_system_sgpr_workgroup_id_z 0
		.amdhsa_system_sgpr_workgroup_info 0
		.amdhsa_system_vgpr_workitem_id 0
		.amdhsa_next_free_vgpr 1
		.amdhsa_next_free_sgpr 1
		.amdhsa_named_barrier_count 0
		.amdhsa_reserve_vcc 0
		.amdhsa_float_round_mode_32 0
		.amdhsa_float_round_mode_16_64 0
		.amdhsa_float_denorm_mode_32 3
		.amdhsa_float_denorm_mode_16_64 3
		.amdhsa_fp16_overflow 0
		.amdhsa_memory_ordered 1
		.amdhsa_forward_progress 1
		.amdhsa_inst_pref_size 0
		.amdhsa_round_robin_scheduling 0
		.amdhsa_exception_fp_ieee_invalid_op 0
		.amdhsa_exception_fp_denorm_src 0
		.amdhsa_exception_fp_ieee_div_zero 0
		.amdhsa_exception_fp_ieee_overflow 0
		.amdhsa_exception_fp_ieee_underflow 0
		.amdhsa_exception_fp_ieee_inexact 0
		.amdhsa_exception_int_div_zero 0
	.end_amdhsa_kernel
	.section	.text._ZN7rocprim17ROCPRIM_400000_NS6detail17trampoline_kernelINS0_14default_configENS1_27scan_by_key_config_selectorIxxEEZZNS1_16scan_by_key_implILNS1_25lookback_scan_determinismE0ELb1ES3_N6thrust23THRUST_200600_302600_NS6detail15normal_iteratorINS9_10device_ptrIxEEEESE_SE_xNS9_10multipliesIxEENS9_8equal_toIxEExEE10hipError_tPvRmT2_T3_T4_T5_mT6_T7_P12ihipStream_tbENKUlT_T0_E_clISt17integral_constantIbLb1EESZ_EEDaSU_SV_EUlSU_E_NS1_11comp_targetILNS1_3genE9ELNS1_11target_archE1100ELNS1_3gpuE3ELNS1_3repE0EEENS1_30default_config_static_selectorELNS0_4arch9wavefront6targetE0EEEvT1_,"axG",@progbits,_ZN7rocprim17ROCPRIM_400000_NS6detail17trampoline_kernelINS0_14default_configENS1_27scan_by_key_config_selectorIxxEEZZNS1_16scan_by_key_implILNS1_25lookback_scan_determinismE0ELb1ES3_N6thrust23THRUST_200600_302600_NS6detail15normal_iteratorINS9_10device_ptrIxEEEESE_SE_xNS9_10multipliesIxEENS9_8equal_toIxEExEE10hipError_tPvRmT2_T3_T4_T5_mT6_T7_P12ihipStream_tbENKUlT_T0_E_clISt17integral_constantIbLb1EESZ_EEDaSU_SV_EUlSU_E_NS1_11comp_targetILNS1_3genE9ELNS1_11target_archE1100ELNS1_3gpuE3ELNS1_3repE0EEENS1_30default_config_static_selectorELNS0_4arch9wavefront6targetE0EEEvT1_,comdat
.Lfunc_end405:
	.size	_ZN7rocprim17ROCPRIM_400000_NS6detail17trampoline_kernelINS0_14default_configENS1_27scan_by_key_config_selectorIxxEEZZNS1_16scan_by_key_implILNS1_25lookback_scan_determinismE0ELb1ES3_N6thrust23THRUST_200600_302600_NS6detail15normal_iteratorINS9_10device_ptrIxEEEESE_SE_xNS9_10multipliesIxEENS9_8equal_toIxEExEE10hipError_tPvRmT2_T3_T4_T5_mT6_T7_P12ihipStream_tbENKUlT_T0_E_clISt17integral_constantIbLb1EESZ_EEDaSU_SV_EUlSU_E_NS1_11comp_targetILNS1_3genE9ELNS1_11target_archE1100ELNS1_3gpuE3ELNS1_3repE0EEENS1_30default_config_static_selectorELNS0_4arch9wavefront6targetE0EEEvT1_, .Lfunc_end405-_ZN7rocprim17ROCPRIM_400000_NS6detail17trampoline_kernelINS0_14default_configENS1_27scan_by_key_config_selectorIxxEEZZNS1_16scan_by_key_implILNS1_25lookback_scan_determinismE0ELb1ES3_N6thrust23THRUST_200600_302600_NS6detail15normal_iteratorINS9_10device_ptrIxEEEESE_SE_xNS9_10multipliesIxEENS9_8equal_toIxEExEE10hipError_tPvRmT2_T3_T4_T5_mT6_T7_P12ihipStream_tbENKUlT_T0_E_clISt17integral_constantIbLb1EESZ_EEDaSU_SV_EUlSU_E_NS1_11comp_targetILNS1_3genE9ELNS1_11target_archE1100ELNS1_3gpuE3ELNS1_3repE0EEENS1_30default_config_static_selectorELNS0_4arch9wavefront6targetE0EEEvT1_
                                        ; -- End function
	.set _ZN7rocprim17ROCPRIM_400000_NS6detail17trampoline_kernelINS0_14default_configENS1_27scan_by_key_config_selectorIxxEEZZNS1_16scan_by_key_implILNS1_25lookback_scan_determinismE0ELb1ES3_N6thrust23THRUST_200600_302600_NS6detail15normal_iteratorINS9_10device_ptrIxEEEESE_SE_xNS9_10multipliesIxEENS9_8equal_toIxEExEE10hipError_tPvRmT2_T3_T4_T5_mT6_T7_P12ihipStream_tbENKUlT_T0_E_clISt17integral_constantIbLb1EESZ_EEDaSU_SV_EUlSU_E_NS1_11comp_targetILNS1_3genE9ELNS1_11target_archE1100ELNS1_3gpuE3ELNS1_3repE0EEENS1_30default_config_static_selectorELNS0_4arch9wavefront6targetE0EEEvT1_.num_vgpr, 0
	.set _ZN7rocprim17ROCPRIM_400000_NS6detail17trampoline_kernelINS0_14default_configENS1_27scan_by_key_config_selectorIxxEEZZNS1_16scan_by_key_implILNS1_25lookback_scan_determinismE0ELb1ES3_N6thrust23THRUST_200600_302600_NS6detail15normal_iteratorINS9_10device_ptrIxEEEESE_SE_xNS9_10multipliesIxEENS9_8equal_toIxEExEE10hipError_tPvRmT2_T3_T4_T5_mT6_T7_P12ihipStream_tbENKUlT_T0_E_clISt17integral_constantIbLb1EESZ_EEDaSU_SV_EUlSU_E_NS1_11comp_targetILNS1_3genE9ELNS1_11target_archE1100ELNS1_3gpuE3ELNS1_3repE0EEENS1_30default_config_static_selectorELNS0_4arch9wavefront6targetE0EEEvT1_.num_agpr, 0
	.set _ZN7rocprim17ROCPRIM_400000_NS6detail17trampoline_kernelINS0_14default_configENS1_27scan_by_key_config_selectorIxxEEZZNS1_16scan_by_key_implILNS1_25lookback_scan_determinismE0ELb1ES3_N6thrust23THRUST_200600_302600_NS6detail15normal_iteratorINS9_10device_ptrIxEEEESE_SE_xNS9_10multipliesIxEENS9_8equal_toIxEExEE10hipError_tPvRmT2_T3_T4_T5_mT6_T7_P12ihipStream_tbENKUlT_T0_E_clISt17integral_constantIbLb1EESZ_EEDaSU_SV_EUlSU_E_NS1_11comp_targetILNS1_3genE9ELNS1_11target_archE1100ELNS1_3gpuE3ELNS1_3repE0EEENS1_30default_config_static_selectorELNS0_4arch9wavefront6targetE0EEEvT1_.numbered_sgpr, 0
	.set _ZN7rocprim17ROCPRIM_400000_NS6detail17trampoline_kernelINS0_14default_configENS1_27scan_by_key_config_selectorIxxEEZZNS1_16scan_by_key_implILNS1_25lookback_scan_determinismE0ELb1ES3_N6thrust23THRUST_200600_302600_NS6detail15normal_iteratorINS9_10device_ptrIxEEEESE_SE_xNS9_10multipliesIxEENS9_8equal_toIxEExEE10hipError_tPvRmT2_T3_T4_T5_mT6_T7_P12ihipStream_tbENKUlT_T0_E_clISt17integral_constantIbLb1EESZ_EEDaSU_SV_EUlSU_E_NS1_11comp_targetILNS1_3genE9ELNS1_11target_archE1100ELNS1_3gpuE3ELNS1_3repE0EEENS1_30default_config_static_selectorELNS0_4arch9wavefront6targetE0EEEvT1_.num_named_barrier, 0
	.set _ZN7rocprim17ROCPRIM_400000_NS6detail17trampoline_kernelINS0_14default_configENS1_27scan_by_key_config_selectorIxxEEZZNS1_16scan_by_key_implILNS1_25lookback_scan_determinismE0ELb1ES3_N6thrust23THRUST_200600_302600_NS6detail15normal_iteratorINS9_10device_ptrIxEEEESE_SE_xNS9_10multipliesIxEENS9_8equal_toIxEExEE10hipError_tPvRmT2_T3_T4_T5_mT6_T7_P12ihipStream_tbENKUlT_T0_E_clISt17integral_constantIbLb1EESZ_EEDaSU_SV_EUlSU_E_NS1_11comp_targetILNS1_3genE9ELNS1_11target_archE1100ELNS1_3gpuE3ELNS1_3repE0EEENS1_30default_config_static_selectorELNS0_4arch9wavefront6targetE0EEEvT1_.private_seg_size, 0
	.set _ZN7rocprim17ROCPRIM_400000_NS6detail17trampoline_kernelINS0_14default_configENS1_27scan_by_key_config_selectorIxxEEZZNS1_16scan_by_key_implILNS1_25lookback_scan_determinismE0ELb1ES3_N6thrust23THRUST_200600_302600_NS6detail15normal_iteratorINS9_10device_ptrIxEEEESE_SE_xNS9_10multipliesIxEENS9_8equal_toIxEExEE10hipError_tPvRmT2_T3_T4_T5_mT6_T7_P12ihipStream_tbENKUlT_T0_E_clISt17integral_constantIbLb1EESZ_EEDaSU_SV_EUlSU_E_NS1_11comp_targetILNS1_3genE9ELNS1_11target_archE1100ELNS1_3gpuE3ELNS1_3repE0EEENS1_30default_config_static_selectorELNS0_4arch9wavefront6targetE0EEEvT1_.uses_vcc, 0
	.set _ZN7rocprim17ROCPRIM_400000_NS6detail17trampoline_kernelINS0_14default_configENS1_27scan_by_key_config_selectorIxxEEZZNS1_16scan_by_key_implILNS1_25lookback_scan_determinismE0ELb1ES3_N6thrust23THRUST_200600_302600_NS6detail15normal_iteratorINS9_10device_ptrIxEEEESE_SE_xNS9_10multipliesIxEENS9_8equal_toIxEExEE10hipError_tPvRmT2_T3_T4_T5_mT6_T7_P12ihipStream_tbENKUlT_T0_E_clISt17integral_constantIbLb1EESZ_EEDaSU_SV_EUlSU_E_NS1_11comp_targetILNS1_3genE9ELNS1_11target_archE1100ELNS1_3gpuE3ELNS1_3repE0EEENS1_30default_config_static_selectorELNS0_4arch9wavefront6targetE0EEEvT1_.uses_flat_scratch, 0
	.set _ZN7rocprim17ROCPRIM_400000_NS6detail17trampoline_kernelINS0_14default_configENS1_27scan_by_key_config_selectorIxxEEZZNS1_16scan_by_key_implILNS1_25lookback_scan_determinismE0ELb1ES3_N6thrust23THRUST_200600_302600_NS6detail15normal_iteratorINS9_10device_ptrIxEEEESE_SE_xNS9_10multipliesIxEENS9_8equal_toIxEExEE10hipError_tPvRmT2_T3_T4_T5_mT6_T7_P12ihipStream_tbENKUlT_T0_E_clISt17integral_constantIbLb1EESZ_EEDaSU_SV_EUlSU_E_NS1_11comp_targetILNS1_3genE9ELNS1_11target_archE1100ELNS1_3gpuE3ELNS1_3repE0EEENS1_30default_config_static_selectorELNS0_4arch9wavefront6targetE0EEEvT1_.has_dyn_sized_stack, 0
	.set _ZN7rocprim17ROCPRIM_400000_NS6detail17trampoline_kernelINS0_14default_configENS1_27scan_by_key_config_selectorIxxEEZZNS1_16scan_by_key_implILNS1_25lookback_scan_determinismE0ELb1ES3_N6thrust23THRUST_200600_302600_NS6detail15normal_iteratorINS9_10device_ptrIxEEEESE_SE_xNS9_10multipliesIxEENS9_8equal_toIxEExEE10hipError_tPvRmT2_T3_T4_T5_mT6_T7_P12ihipStream_tbENKUlT_T0_E_clISt17integral_constantIbLb1EESZ_EEDaSU_SV_EUlSU_E_NS1_11comp_targetILNS1_3genE9ELNS1_11target_archE1100ELNS1_3gpuE3ELNS1_3repE0EEENS1_30default_config_static_selectorELNS0_4arch9wavefront6targetE0EEEvT1_.has_recursion, 0
	.set _ZN7rocprim17ROCPRIM_400000_NS6detail17trampoline_kernelINS0_14default_configENS1_27scan_by_key_config_selectorIxxEEZZNS1_16scan_by_key_implILNS1_25lookback_scan_determinismE0ELb1ES3_N6thrust23THRUST_200600_302600_NS6detail15normal_iteratorINS9_10device_ptrIxEEEESE_SE_xNS9_10multipliesIxEENS9_8equal_toIxEExEE10hipError_tPvRmT2_T3_T4_T5_mT6_T7_P12ihipStream_tbENKUlT_T0_E_clISt17integral_constantIbLb1EESZ_EEDaSU_SV_EUlSU_E_NS1_11comp_targetILNS1_3genE9ELNS1_11target_archE1100ELNS1_3gpuE3ELNS1_3repE0EEENS1_30default_config_static_selectorELNS0_4arch9wavefront6targetE0EEEvT1_.has_indirect_call, 0
	.section	.AMDGPU.csdata,"",@progbits
; Kernel info:
; codeLenInByte = 0
; TotalNumSgprs: 0
; NumVgprs: 0
; ScratchSize: 0
; MemoryBound: 0
; FloatMode: 240
; IeeeMode: 1
; LDSByteSize: 0 bytes/workgroup (compile time only)
; SGPRBlocks: 0
; VGPRBlocks: 0
; NumSGPRsForWavesPerEU: 1
; NumVGPRsForWavesPerEU: 1
; NamedBarCnt: 0
; Occupancy: 16
; WaveLimiterHint : 0
; COMPUTE_PGM_RSRC2:SCRATCH_EN: 0
; COMPUTE_PGM_RSRC2:USER_SGPR: 2
; COMPUTE_PGM_RSRC2:TRAP_HANDLER: 0
; COMPUTE_PGM_RSRC2:TGID_X_EN: 1
; COMPUTE_PGM_RSRC2:TGID_Y_EN: 0
; COMPUTE_PGM_RSRC2:TGID_Z_EN: 0
; COMPUTE_PGM_RSRC2:TIDIG_COMP_CNT: 0
	.section	.text._ZN7rocprim17ROCPRIM_400000_NS6detail17trampoline_kernelINS0_14default_configENS1_27scan_by_key_config_selectorIxxEEZZNS1_16scan_by_key_implILNS1_25lookback_scan_determinismE0ELb1ES3_N6thrust23THRUST_200600_302600_NS6detail15normal_iteratorINS9_10device_ptrIxEEEESE_SE_xNS9_10multipliesIxEENS9_8equal_toIxEExEE10hipError_tPvRmT2_T3_T4_T5_mT6_T7_P12ihipStream_tbENKUlT_T0_E_clISt17integral_constantIbLb1EESZ_EEDaSU_SV_EUlSU_E_NS1_11comp_targetILNS1_3genE8ELNS1_11target_archE1030ELNS1_3gpuE2ELNS1_3repE0EEENS1_30default_config_static_selectorELNS0_4arch9wavefront6targetE0EEEvT1_,"axG",@progbits,_ZN7rocprim17ROCPRIM_400000_NS6detail17trampoline_kernelINS0_14default_configENS1_27scan_by_key_config_selectorIxxEEZZNS1_16scan_by_key_implILNS1_25lookback_scan_determinismE0ELb1ES3_N6thrust23THRUST_200600_302600_NS6detail15normal_iteratorINS9_10device_ptrIxEEEESE_SE_xNS9_10multipliesIxEENS9_8equal_toIxEExEE10hipError_tPvRmT2_T3_T4_T5_mT6_T7_P12ihipStream_tbENKUlT_T0_E_clISt17integral_constantIbLb1EESZ_EEDaSU_SV_EUlSU_E_NS1_11comp_targetILNS1_3genE8ELNS1_11target_archE1030ELNS1_3gpuE2ELNS1_3repE0EEENS1_30default_config_static_selectorELNS0_4arch9wavefront6targetE0EEEvT1_,comdat
	.protected	_ZN7rocprim17ROCPRIM_400000_NS6detail17trampoline_kernelINS0_14default_configENS1_27scan_by_key_config_selectorIxxEEZZNS1_16scan_by_key_implILNS1_25lookback_scan_determinismE0ELb1ES3_N6thrust23THRUST_200600_302600_NS6detail15normal_iteratorINS9_10device_ptrIxEEEESE_SE_xNS9_10multipliesIxEENS9_8equal_toIxEExEE10hipError_tPvRmT2_T3_T4_T5_mT6_T7_P12ihipStream_tbENKUlT_T0_E_clISt17integral_constantIbLb1EESZ_EEDaSU_SV_EUlSU_E_NS1_11comp_targetILNS1_3genE8ELNS1_11target_archE1030ELNS1_3gpuE2ELNS1_3repE0EEENS1_30default_config_static_selectorELNS0_4arch9wavefront6targetE0EEEvT1_ ; -- Begin function _ZN7rocprim17ROCPRIM_400000_NS6detail17trampoline_kernelINS0_14default_configENS1_27scan_by_key_config_selectorIxxEEZZNS1_16scan_by_key_implILNS1_25lookback_scan_determinismE0ELb1ES3_N6thrust23THRUST_200600_302600_NS6detail15normal_iteratorINS9_10device_ptrIxEEEESE_SE_xNS9_10multipliesIxEENS9_8equal_toIxEExEE10hipError_tPvRmT2_T3_T4_T5_mT6_T7_P12ihipStream_tbENKUlT_T0_E_clISt17integral_constantIbLb1EESZ_EEDaSU_SV_EUlSU_E_NS1_11comp_targetILNS1_3genE8ELNS1_11target_archE1030ELNS1_3gpuE2ELNS1_3repE0EEENS1_30default_config_static_selectorELNS0_4arch9wavefront6targetE0EEEvT1_
	.globl	_ZN7rocprim17ROCPRIM_400000_NS6detail17trampoline_kernelINS0_14default_configENS1_27scan_by_key_config_selectorIxxEEZZNS1_16scan_by_key_implILNS1_25lookback_scan_determinismE0ELb1ES3_N6thrust23THRUST_200600_302600_NS6detail15normal_iteratorINS9_10device_ptrIxEEEESE_SE_xNS9_10multipliesIxEENS9_8equal_toIxEExEE10hipError_tPvRmT2_T3_T4_T5_mT6_T7_P12ihipStream_tbENKUlT_T0_E_clISt17integral_constantIbLb1EESZ_EEDaSU_SV_EUlSU_E_NS1_11comp_targetILNS1_3genE8ELNS1_11target_archE1030ELNS1_3gpuE2ELNS1_3repE0EEENS1_30default_config_static_selectorELNS0_4arch9wavefront6targetE0EEEvT1_
	.p2align	8
	.type	_ZN7rocprim17ROCPRIM_400000_NS6detail17trampoline_kernelINS0_14default_configENS1_27scan_by_key_config_selectorIxxEEZZNS1_16scan_by_key_implILNS1_25lookback_scan_determinismE0ELb1ES3_N6thrust23THRUST_200600_302600_NS6detail15normal_iteratorINS9_10device_ptrIxEEEESE_SE_xNS9_10multipliesIxEENS9_8equal_toIxEExEE10hipError_tPvRmT2_T3_T4_T5_mT6_T7_P12ihipStream_tbENKUlT_T0_E_clISt17integral_constantIbLb1EESZ_EEDaSU_SV_EUlSU_E_NS1_11comp_targetILNS1_3genE8ELNS1_11target_archE1030ELNS1_3gpuE2ELNS1_3repE0EEENS1_30default_config_static_selectorELNS0_4arch9wavefront6targetE0EEEvT1_,@function
_ZN7rocprim17ROCPRIM_400000_NS6detail17trampoline_kernelINS0_14default_configENS1_27scan_by_key_config_selectorIxxEEZZNS1_16scan_by_key_implILNS1_25lookback_scan_determinismE0ELb1ES3_N6thrust23THRUST_200600_302600_NS6detail15normal_iteratorINS9_10device_ptrIxEEEESE_SE_xNS9_10multipliesIxEENS9_8equal_toIxEExEE10hipError_tPvRmT2_T3_T4_T5_mT6_T7_P12ihipStream_tbENKUlT_T0_E_clISt17integral_constantIbLb1EESZ_EEDaSU_SV_EUlSU_E_NS1_11comp_targetILNS1_3genE8ELNS1_11target_archE1030ELNS1_3gpuE2ELNS1_3repE0EEENS1_30default_config_static_selectorELNS0_4arch9wavefront6targetE0EEEvT1_: ; @_ZN7rocprim17ROCPRIM_400000_NS6detail17trampoline_kernelINS0_14default_configENS1_27scan_by_key_config_selectorIxxEEZZNS1_16scan_by_key_implILNS1_25lookback_scan_determinismE0ELb1ES3_N6thrust23THRUST_200600_302600_NS6detail15normal_iteratorINS9_10device_ptrIxEEEESE_SE_xNS9_10multipliesIxEENS9_8equal_toIxEExEE10hipError_tPvRmT2_T3_T4_T5_mT6_T7_P12ihipStream_tbENKUlT_T0_E_clISt17integral_constantIbLb1EESZ_EEDaSU_SV_EUlSU_E_NS1_11comp_targetILNS1_3genE8ELNS1_11target_archE1030ELNS1_3gpuE2ELNS1_3repE0EEENS1_30default_config_static_selectorELNS0_4arch9wavefront6targetE0EEEvT1_
; %bb.0:
	.section	.rodata,"a",@progbits
	.p2align	6, 0x0
	.amdhsa_kernel _ZN7rocprim17ROCPRIM_400000_NS6detail17trampoline_kernelINS0_14default_configENS1_27scan_by_key_config_selectorIxxEEZZNS1_16scan_by_key_implILNS1_25lookback_scan_determinismE0ELb1ES3_N6thrust23THRUST_200600_302600_NS6detail15normal_iteratorINS9_10device_ptrIxEEEESE_SE_xNS9_10multipliesIxEENS9_8equal_toIxEExEE10hipError_tPvRmT2_T3_T4_T5_mT6_T7_P12ihipStream_tbENKUlT_T0_E_clISt17integral_constantIbLb1EESZ_EEDaSU_SV_EUlSU_E_NS1_11comp_targetILNS1_3genE8ELNS1_11target_archE1030ELNS1_3gpuE2ELNS1_3repE0EEENS1_30default_config_static_selectorELNS0_4arch9wavefront6targetE0EEEvT1_
		.amdhsa_group_segment_fixed_size 0
		.amdhsa_private_segment_fixed_size 0
		.amdhsa_kernarg_size 136
		.amdhsa_user_sgpr_count 2
		.amdhsa_user_sgpr_dispatch_ptr 0
		.amdhsa_user_sgpr_queue_ptr 0
		.amdhsa_user_sgpr_kernarg_segment_ptr 1
		.amdhsa_user_sgpr_dispatch_id 0
		.amdhsa_user_sgpr_kernarg_preload_length 0
		.amdhsa_user_sgpr_kernarg_preload_offset 0
		.amdhsa_user_sgpr_private_segment_size 0
		.amdhsa_wavefront_size32 1
		.amdhsa_uses_dynamic_stack 0
		.amdhsa_enable_private_segment 0
		.amdhsa_system_sgpr_workgroup_id_x 1
		.amdhsa_system_sgpr_workgroup_id_y 0
		.amdhsa_system_sgpr_workgroup_id_z 0
		.amdhsa_system_sgpr_workgroup_info 0
		.amdhsa_system_vgpr_workitem_id 0
		.amdhsa_next_free_vgpr 1
		.amdhsa_next_free_sgpr 1
		.amdhsa_named_barrier_count 0
		.amdhsa_reserve_vcc 0
		.amdhsa_float_round_mode_32 0
		.amdhsa_float_round_mode_16_64 0
		.amdhsa_float_denorm_mode_32 3
		.amdhsa_float_denorm_mode_16_64 3
		.amdhsa_fp16_overflow 0
		.amdhsa_memory_ordered 1
		.amdhsa_forward_progress 1
		.amdhsa_inst_pref_size 0
		.amdhsa_round_robin_scheduling 0
		.amdhsa_exception_fp_ieee_invalid_op 0
		.amdhsa_exception_fp_denorm_src 0
		.amdhsa_exception_fp_ieee_div_zero 0
		.amdhsa_exception_fp_ieee_overflow 0
		.amdhsa_exception_fp_ieee_underflow 0
		.amdhsa_exception_fp_ieee_inexact 0
		.amdhsa_exception_int_div_zero 0
	.end_amdhsa_kernel
	.section	.text._ZN7rocprim17ROCPRIM_400000_NS6detail17trampoline_kernelINS0_14default_configENS1_27scan_by_key_config_selectorIxxEEZZNS1_16scan_by_key_implILNS1_25lookback_scan_determinismE0ELb1ES3_N6thrust23THRUST_200600_302600_NS6detail15normal_iteratorINS9_10device_ptrIxEEEESE_SE_xNS9_10multipliesIxEENS9_8equal_toIxEExEE10hipError_tPvRmT2_T3_T4_T5_mT6_T7_P12ihipStream_tbENKUlT_T0_E_clISt17integral_constantIbLb1EESZ_EEDaSU_SV_EUlSU_E_NS1_11comp_targetILNS1_3genE8ELNS1_11target_archE1030ELNS1_3gpuE2ELNS1_3repE0EEENS1_30default_config_static_selectorELNS0_4arch9wavefront6targetE0EEEvT1_,"axG",@progbits,_ZN7rocprim17ROCPRIM_400000_NS6detail17trampoline_kernelINS0_14default_configENS1_27scan_by_key_config_selectorIxxEEZZNS1_16scan_by_key_implILNS1_25lookback_scan_determinismE0ELb1ES3_N6thrust23THRUST_200600_302600_NS6detail15normal_iteratorINS9_10device_ptrIxEEEESE_SE_xNS9_10multipliesIxEENS9_8equal_toIxEExEE10hipError_tPvRmT2_T3_T4_T5_mT6_T7_P12ihipStream_tbENKUlT_T0_E_clISt17integral_constantIbLb1EESZ_EEDaSU_SV_EUlSU_E_NS1_11comp_targetILNS1_3genE8ELNS1_11target_archE1030ELNS1_3gpuE2ELNS1_3repE0EEENS1_30default_config_static_selectorELNS0_4arch9wavefront6targetE0EEEvT1_,comdat
.Lfunc_end406:
	.size	_ZN7rocprim17ROCPRIM_400000_NS6detail17trampoline_kernelINS0_14default_configENS1_27scan_by_key_config_selectorIxxEEZZNS1_16scan_by_key_implILNS1_25lookback_scan_determinismE0ELb1ES3_N6thrust23THRUST_200600_302600_NS6detail15normal_iteratorINS9_10device_ptrIxEEEESE_SE_xNS9_10multipliesIxEENS9_8equal_toIxEExEE10hipError_tPvRmT2_T3_T4_T5_mT6_T7_P12ihipStream_tbENKUlT_T0_E_clISt17integral_constantIbLb1EESZ_EEDaSU_SV_EUlSU_E_NS1_11comp_targetILNS1_3genE8ELNS1_11target_archE1030ELNS1_3gpuE2ELNS1_3repE0EEENS1_30default_config_static_selectorELNS0_4arch9wavefront6targetE0EEEvT1_, .Lfunc_end406-_ZN7rocprim17ROCPRIM_400000_NS6detail17trampoline_kernelINS0_14default_configENS1_27scan_by_key_config_selectorIxxEEZZNS1_16scan_by_key_implILNS1_25lookback_scan_determinismE0ELb1ES3_N6thrust23THRUST_200600_302600_NS6detail15normal_iteratorINS9_10device_ptrIxEEEESE_SE_xNS9_10multipliesIxEENS9_8equal_toIxEExEE10hipError_tPvRmT2_T3_T4_T5_mT6_T7_P12ihipStream_tbENKUlT_T0_E_clISt17integral_constantIbLb1EESZ_EEDaSU_SV_EUlSU_E_NS1_11comp_targetILNS1_3genE8ELNS1_11target_archE1030ELNS1_3gpuE2ELNS1_3repE0EEENS1_30default_config_static_selectorELNS0_4arch9wavefront6targetE0EEEvT1_
                                        ; -- End function
	.set _ZN7rocprim17ROCPRIM_400000_NS6detail17trampoline_kernelINS0_14default_configENS1_27scan_by_key_config_selectorIxxEEZZNS1_16scan_by_key_implILNS1_25lookback_scan_determinismE0ELb1ES3_N6thrust23THRUST_200600_302600_NS6detail15normal_iteratorINS9_10device_ptrIxEEEESE_SE_xNS9_10multipliesIxEENS9_8equal_toIxEExEE10hipError_tPvRmT2_T3_T4_T5_mT6_T7_P12ihipStream_tbENKUlT_T0_E_clISt17integral_constantIbLb1EESZ_EEDaSU_SV_EUlSU_E_NS1_11comp_targetILNS1_3genE8ELNS1_11target_archE1030ELNS1_3gpuE2ELNS1_3repE0EEENS1_30default_config_static_selectorELNS0_4arch9wavefront6targetE0EEEvT1_.num_vgpr, 0
	.set _ZN7rocprim17ROCPRIM_400000_NS6detail17trampoline_kernelINS0_14default_configENS1_27scan_by_key_config_selectorIxxEEZZNS1_16scan_by_key_implILNS1_25lookback_scan_determinismE0ELb1ES3_N6thrust23THRUST_200600_302600_NS6detail15normal_iteratorINS9_10device_ptrIxEEEESE_SE_xNS9_10multipliesIxEENS9_8equal_toIxEExEE10hipError_tPvRmT2_T3_T4_T5_mT6_T7_P12ihipStream_tbENKUlT_T0_E_clISt17integral_constantIbLb1EESZ_EEDaSU_SV_EUlSU_E_NS1_11comp_targetILNS1_3genE8ELNS1_11target_archE1030ELNS1_3gpuE2ELNS1_3repE0EEENS1_30default_config_static_selectorELNS0_4arch9wavefront6targetE0EEEvT1_.num_agpr, 0
	.set _ZN7rocprim17ROCPRIM_400000_NS6detail17trampoline_kernelINS0_14default_configENS1_27scan_by_key_config_selectorIxxEEZZNS1_16scan_by_key_implILNS1_25lookback_scan_determinismE0ELb1ES3_N6thrust23THRUST_200600_302600_NS6detail15normal_iteratorINS9_10device_ptrIxEEEESE_SE_xNS9_10multipliesIxEENS9_8equal_toIxEExEE10hipError_tPvRmT2_T3_T4_T5_mT6_T7_P12ihipStream_tbENKUlT_T0_E_clISt17integral_constantIbLb1EESZ_EEDaSU_SV_EUlSU_E_NS1_11comp_targetILNS1_3genE8ELNS1_11target_archE1030ELNS1_3gpuE2ELNS1_3repE0EEENS1_30default_config_static_selectorELNS0_4arch9wavefront6targetE0EEEvT1_.numbered_sgpr, 0
	.set _ZN7rocprim17ROCPRIM_400000_NS6detail17trampoline_kernelINS0_14default_configENS1_27scan_by_key_config_selectorIxxEEZZNS1_16scan_by_key_implILNS1_25lookback_scan_determinismE0ELb1ES3_N6thrust23THRUST_200600_302600_NS6detail15normal_iteratorINS9_10device_ptrIxEEEESE_SE_xNS9_10multipliesIxEENS9_8equal_toIxEExEE10hipError_tPvRmT2_T3_T4_T5_mT6_T7_P12ihipStream_tbENKUlT_T0_E_clISt17integral_constantIbLb1EESZ_EEDaSU_SV_EUlSU_E_NS1_11comp_targetILNS1_3genE8ELNS1_11target_archE1030ELNS1_3gpuE2ELNS1_3repE0EEENS1_30default_config_static_selectorELNS0_4arch9wavefront6targetE0EEEvT1_.num_named_barrier, 0
	.set _ZN7rocprim17ROCPRIM_400000_NS6detail17trampoline_kernelINS0_14default_configENS1_27scan_by_key_config_selectorIxxEEZZNS1_16scan_by_key_implILNS1_25lookback_scan_determinismE0ELb1ES3_N6thrust23THRUST_200600_302600_NS6detail15normal_iteratorINS9_10device_ptrIxEEEESE_SE_xNS9_10multipliesIxEENS9_8equal_toIxEExEE10hipError_tPvRmT2_T3_T4_T5_mT6_T7_P12ihipStream_tbENKUlT_T0_E_clISt17integral_constantIbLb1EESZ_EEDaSU_SV_EUlSU_E_NS1_11comp_targetILNS1_3genE8ELNS1_11target_archE1030ELNS1_3gpuE2ELNS1_3repE0EEENS1_30default_config_static_selectorELNS0_4arch9wavefront6targetE0EEEvT1_.private_seg_size, 0
	.set _ZN7rocprim17ROCPRIM_400000_NS6detail17trampoline_kernelINS0_14default_configENS1_27scan_by_key_config_selectorIxxEEZZNS1_16scan_by_key_implILNS1_25lookback_scan_determinismE0ELb1ES3_N6thrust23THRUST_200600_302600_NS6detail15normal_iteratorINS9_10device_ptrIxEEEESE_SE_xNS9_10multipliesIxEENS9_8equal_toIxEExEE10hipError_tPvRmT2_T3_T4_T5_mT6_T7_P12ihipStream_tbENKUlT_T0_E_clISt17integral_constantIbLb1EESZ_EEDaSU_SV_EUlSU_E_NS1_11comp_targetILNS1_3genE8ELNS1_11target_archE1030ELNS1_3gpuE2ELNS1_3repE0EEENS1_30default_config_static_selectorELNS0_4arch9wavefront6targetE0EEEvT1_.uses_vcc, 0
	.set _ZN7rocprim17ROCPRIM_400000_NS6detail17trampoline_kernelINS0_14default_configENS1_27scan_by_key_config_selectorIxxEEZZNS1_16scan_by_key_implILNS1_25lookback_scan_determinismE0ELb1ES3_N6thrust23THRUST_200600_302600_NS6detail15normal_iteratorINS9_10device_ptrIxEEEESE_SE_xNS9_10multipliesIxEENS9_8equal_toIxEExEE10hipError_tPvRmT2_T3_T4_T5_mT6_T7_P12ihipStream_tbENKUlT_T0_E_clISt17integral_constantIbLb1EESZ_EEDaSU_SV_EUlSU_E_NS1_11comp_targetILNS1_3genE8ELNS1_11target_archE1030ELNS1_3gpuE2ELNS1_3repE0EEENS1_30default_config_static_selectorELNS0_4arch9wavefront6targetE0EEEvT1_.uses_flat_scratch, 0
	.set _ZN7rocprim17ROCPRIM_400000_NS6detail17trampoline_kernelINS0_14default_configENS1_27scan_by_key_config_selectorIxxEEZZNS1_16scan_by_key_implILNS1_25lookback_scan_determinismE0ELb1ES3_N6thrust23THRUST_200600_302600_NS6detail15normal_iteratorINS9_10device_ptrIxEEEESE_SE_xNS9_10multipliesIxEENS9_8equal_toIxEExEE10hipError_tPvRmT2_T3_T4_T5_mT6_T7_P12ihipStream_tbENKUlT_T0_E_clISt17integral_constantIbLb1EESZ_EEDaSU_SV_EUlSU_E_NS1_11comp_targetILNS1_3genE8ELNS1_11target_archE1030ELNS1_3gpuE2ELNS1_3repE0EEENS1_30default_config_static_selectorELNS0_4arch9wavefront6targetE0EEEvT1_.has_dyn_sized_stack, 0
	.set _ZN7rocprim17ROCPRIM_400000_NS6detail17trampoline_kernelINS0_14default_configENS1_27scan_by_key_config_selectorIxxEEZZNS1_16scan_by_key_implILNS1_25lookback_scan_determinismE0ELb1ES3_N6thrust23THRUST_200600_302600_NS6detail15normal_iteratorINS9_10device_ptrIxEEEESE_SE_xNS9_10multipliesIxEENS9_8equal_toIxEExEE10hipError_tPvRmT2_T3_T4_T5_mT6_T7_P12ihipStream_tbENKUlT_T0_E_clISt17integral_constantIbLb1EESZ_EEDaSU_SV_EUlSU_E_NS1_11comp_targetILNS1_3genE8ELNS1_11target_archE1030ELNS1_3gpuE2ELNS1_3repE0EEENS1_30default_config_static_selectorELNS0_4arch9wavefront6targetE0EEEvT1_.has_recursion, 0
	.set _ZN7rocprim17ROCPRIM_400000_NS6detail17trampoline_kernelINS0_14default_configENS1_27scan_by_key_config_selectorIxxEEZZNS1_16scan_by_key_implILNS1_25lookback_scan_determinismE0ELb1ES3_N6thrust23THRUST_200600_302600_NS6detail15normal_iteratorINS9_10device_ptrIxEEEESE_SE_xNS9_10multipliesIxEENS9_8equal_toIxEExEE10hipError_tPvRmT2_T3_T4_T5_mT6_T7_P12ihipStream_tbENKUlT_T0_E_clISt17integral_constantIbLb1EESZ_EEDaSU_SV_EUlSU_E_NS1_11comp_targetILNS1_3genE8ELNS1_11target_archE1030ELNS1_3gpuE2ELNS1_3repE0EEENS1_30default_config_static_selectorELNS0_4arch9wavefront6targetE0EEEvT1_.has_indirect_call, 0
	.section	.AMDGPU.csdata,"",@progbits
; Kernel info:
; codeLenInByte = 0
; TotalNumSgprs: 0
; NumVgprs: 0
; ScratchSize: 0
; MemoryBound: 0
; FloatMode: 240
; IeeeMode: 1
; LDSByteSize: 0 bytes/workgroup (compile time only)
; SGPRBlocks: 0
; VGPRBlocks: 0
; NumSGPRsForWavesPerEU: 1
; NumVGPRsForWavesPerEU: 1
; NamedBarCnt: 0
; Occupancy: 16
; WaveLimiterHint : 0
; COMPUTE_PGM_RSRC2:SCRATCH_EN: 0
; COMPUTE_PGM_RSRC2:USER_SGPR: 2
; COMPUTE_PGM_RSRC2:TRAP_HANDLER: 0
; COMPUTE_PGM_RSRC2:TGID_X_EN: 1
; COMPUTE_PGM_RSRC2:TGID_Y_EN: 0
; COMPUTE_PGM_RSRC2:TGID_Z_EN: 0
; COMPUTE_PGM_RSRC2:TIDIG_COMP_CNT: 0
	.section	.text._ZN7rocprim17ROCPRIM_400000_NS6detail17trampoline_kernelINS0_14default_configENS1_27scan_by_key_config_selectorIxxEEZZNS1_16scan_by_key_implILNS1_25lookback_scan_determinismE0ELb1ES3_N6thrust23THRUST_200600_302600_NS6detail15normal_iteratorINS9_10device_ptrIxEEEESE_SE_xNS9_10multipliesIxEENS9_8equal_toIxEExEE10hipError_tPvRmT2_T3_T4_T5_mT6_T7_P12ihipStream_tbENKUlT_T0_E_clISt17integral_constantIbLb1EESY_IbLb0EEEEDaSU_SV_EUlSU_E_NS1_11comp_targetILNS1_3genE0ELNS1_11target_archE4294967295ELNS1_3gpuE0ELNS1_3repE0EEENS1_30default_config_static_selectorELNS0_4arch9wavefront6targetE0EEEvT1_,"axG",@progbits,_ZN7rocprim17ROCPRIM_400000_NS6detail17trampoline_kernelINS0_14default_configENS1_27scan_by_key_config_selectorIxxEEZZNS1_16scan_by_key_implILNS1_25lookback_scan_determinismE0ELb1ES3_N6thrust23THRUST_200600_302600_NS6detail15normal_iteratorINS9_10device_ptrIxEEEESE_SE_xNS9_10multipliesIxEENS9_8equal_toIxEExEE10hipError_tPvRmT2_T3_T4_T5_mT6_T7_P12ihipStream_tbENKUlT_T0_E_clISt17integral_constantIbLb1EESY_IbLb0EEEEDaSU_SV_EUlSU_E_NS1_11comp_targetILNS1_3genE0ELNS1_11target_archE4294967295ELNS1_3gpuE0ELNS1_3repE0EEENS1_30default_config_static_selectorELNS0_4arch9wavefront6targetE0EEEvT1_,comdat
	.protected	_ZN7rocprim17ROCPRIM_400000_NS6detail17trampoline_kernelINS0_14default_configENS1_27scan_by_key_config_selectorIxxEEZZNS1_16scan_by_key_implILNS1_25lookback_scan_determinismE0ELb1ES3_N6thrust23THRUST_200600_302600_NS6detail15normal_iteratorINS9_10device_ptrIxEEEESE_SE_xNS9_10multipliesIxEENS9_8equal_toIxEExEE10hipError_tPvRmT2_T3_T4_T5_mT6_T7_P12ihipStream_tbENKUlT_T0_E_clISt17integral_constantIbLb1EESY_IbLb0EEEEDaSU_SV_EUlSU_E_NS1_11comp_targetILNS1_3genE0ELNS1_11target_archE4294967295ELNS1_3gpuE0ELNS1_3repE0EEENS1_30default_config_static_selectorELNS0_4arch9wavefront6targetE0EEEvT1_ ; -- Begin function _ZN7rocprim17ROCPRIM_400000_NS6detail17trampoline_kernelINS0_14default_configENS1_27scan_by_key_config_selectorIxxEEZZNS1_16scan_by_key_implILNS1_25lookback_scan_determinismE0ELb1ES3_N6thrust23THRUST_200600_302600_NS6detail15normal_iteratorINS9_10device_ptrIxEEEESE_SE_xNS9_10multipliesIxEENS9_8equal_toIxEExEE10hipError_tPvRmT2_T3_T4_T5_mT6_T7_P12ihipStream_tbENKUlT_T0_E_clISt17integral_constantIbLb1EESY_IbLb0EEEEDaSU_SV_EUlSU_E_NS1_11comp_targetILNS1_3genE0ELNS1_11target_archE4294967295ELNS1_3gpuE0ELNS1_3repE0EEENS1_30default_config_static_selectorELNS0_4arch9wavefront6targetE0EEEvT1_
	.globl	_ZN7rocprim17ROCPRIM_400000_NS6detail17trampoline_kernelINS0_14default_configENS1_27scan_by_key_config_selectorIxxEEZZNS1_16scan_by_key_implILNS1_25lookback_scan_determinismE0ELb1ES3_N6thrust23THRUST_200600_302600_NS6detail15normal_iteratorINS9_10device_ptrIxEEEESE_SE_xNS9_10multipliesIxEENS9_8equal_toIxEExEE10hipError_tPvRmT2_T3_T4_T5_mT6_T7_P12ihipStream_tbENKUlT_T0_E_clISt17integral_constantIbLb1EESY_IbLb0EEEEDaSU_SV_EUlSU_E_NS1_11comp_targetILNS1_3genE0ELNS1_11target_archE4294967295ELNS1_3gpuE0ELNS1_3repE0EEENS1_30default_config_static_selectorELNS0_4arch9wavefront6targetE0EEEvT1_
	.p2align	8
	.type	_ZN7rocprim17ROCPRIM_400000_NS6detail17trampoline_kernelINS0_14default_configENS1_27scan_by_key_config_selectorIxxEEZZNS1_16scan_by_key_implILNS1_25lookback_scan_determinismE0ELb1ES3_N6thrust23THRUST_200600_302600_NS6detail15normal_iteratorINS9_10device_ptrIxEEEESE_SE_xNS9_10multipliesIxEENS9_8equal_toIxEExEE10hipError_tPvRmT2_T3_T4_T5_mT6_T7_P12ihipStream_tbENKUlT_T0_E_clISt17integral_constantIbLb1EESY_IbLb0EEEEDaSU_SV_EUlSU_E_NS1_11comp_targetILNS1_3genE0ELNS1_11target_archE4294967295ELNS1_3gpuE0ELNS1_3repE0EEENS1_30default_config_static_selectorELNS0_4arch9wavefront6targetE0EEEvT1_,@function
_ZN7rocprim17ROCPRIM_400000_NS6detail17trampoline_kernelINS0_14default_configENS1_27scan_by_key_config_selectorIxxEEZZNS1_16scan_by_key_implILNS1_25lookback_scan_determinismE0ELb1ES3_N6thrust23THRUST_200600_302600_NS6detail15normal_iteratorINS9_10device_ptrIxEEEESE_SE_xNS9_10multipliesIxEENS9_8equal_toIxEExEE10hipError_tPvRmT2_T3_T4_T5_mT6_T7_P12ihipStream_tbENKUlT_T0_E_clISt17integral_constantIbLb1EESY_IbLb0EEEEDaSU_SV_EUlSU_E_NS1_11comp_targetILNS1_3genE0ELNS1_11target_archE4294967295ELNS1_3gpuE0ELNS1_3repE0EEENS1_30default_config_static_selectorELNS0_4arch9wavefront6targetE0EEEvT1_: ; @_ZN7rocprim17ROCPRIM_400000_NS6detail17trampoline_kernelINS0_14default_configENS1_27scan_by_key_config_selectorIxxEEZZNS1_16scan_by_key_implILNS1_25lookback_scan_determinismE0ELb1ES3_N6thrust23THRUST_200600_302600_NS6detail15normal_iteratorINS9_10device_ptrIxEEEESE_SE_xNS9_10multipliesIxEENS9_8equal_toIxEExEE10hipError_tPvRmT2_T3_T4_T5_mT6_T7_P12ihipStream_tbENKUlT_T0_E_clISt17integral_constantIbLb1EESY_IbLb0EEEEDaSU_SV_EUlSU_E_NS1_11comp_targetILNS1_3genE0ELNS1_11target_archE4294967295ELNS1_3gpuE0ELNS1_3repE0EEENS1_30default_config_static_selectorELNS0_4arch9wavefront6targetE0EEEvT1_
; %bb.0:
	s_endpgm
	.section	.rodata,"a",@progbits
	.p2align	6, 0x0
	.amdhsa_kernel _ZN7rocprim17ROCPRIM_400000_NS6detail17trampoline_kernelINS0_14default_configENS1_27scan_by_key_config_selectorIxxEEZZNS1_16scan_by_key_implILNS1_25lookback_scan_determinismE0ELb1ES3_N6thrust23THRUST_200600_302600_NS6detail15normal_iteratorINS9_10device_ptrIxEEEESE_SE_xNS9_10multipliesIxEENS9_8equal_toIxEExEE10hipError_tPvRmT2_T3_T4_T5_mT6_T7_P12ihipStream_tbENKUlT_T0_E_clISt17integral_constantIbLb1EESY_IbLb0EEEEDaSU_SV_EUlSU_E_NS1_11comp_targetILNS1_3genE0ELNS1_11target_archE4294967295ELNS1_3gpuE0ELNS1_3repE0EEENS1_30default_config_static_selectorELNS0_4arch9wavefront6targetE0EEEvT1_
		.amdhsa_group_segment_fixed_size 0
		.amdhsa_private_segment_fixed_size 0
		.amdhsa_kernarg_size 136
		.amdhsa_user_sgpr_count 2
		.amdhsa_user_sgpr_dispatch_ptr 0
		.amdhsa_user_sgpr_queue_ptr 0
		.amdhsa_user_sgpr_kernarg_segment_ptr 1
		.amdhsa_user_sgpr_dispatch_id 0
		.amdhsa_user_sgpr_kernarg_preload_length 0
		.amdhsa_user_sgpr_kernarg_preload_offset 0
		.amdhsa_user_sgpr_private_segment_size 0
		.amdhsa_wavefront_size32 1
		.amdhsa_uses_dynamic_stack 0
		.amdhsa_enable_private_segment 0
		.amdhsa_system_sgpr_workgroup_id_x 1
		.amdhsa_system_sgpr_workgroup_id_y 0
		.amdhsa_system_sgpr_workgroup_id_z 0
		.amdhsa_system_sgpr_workgroup_info 0
		.amdhsa_system_vgpr_workitem_id 0
		.amdhsa_next_free_vgpr 1
		.amdhsa_next_free_sgpr 1
		.amdhsa_named_barrier_count 0
		.amdhsa_reserve_vcc 0
		.amdhsa_float_round_mode_32 0
		.amdhsa_float_round_mode_16_64 0
		.amdhsa_float_denorm_mode_32 3
		.amdhsa_float_denorm_mode_16_64 3
		.amdhsa_fp16_overflow 0
		.amdhsa_memory_ordered 1
		.amdhsa_forward_progress 1
		.amdhsa_inst_pref_size 1
		.amdhsa_round_robin_scheduling 0
		.amdhsa_exception_fp_ieee_invalid_op 0
		.amdhsa_exception_fp_denorm_src 0
		.amdhsa_exception_fp_ieee_div_zero 0
		.amdhsa_exception_fp_ieee_overflow 0
		.amdhsa_exception_fp_ieee_underflow 0
		.amdhsa_exception_fp_ieee_inexact 0
		.amdhsa_exception_int_div_zero 0
	.end_amdhsa_kernel
	.section	.text._ZN7rocprim17ROCPRIM_400000_NS6detail17trampoline_kernelINS0_14default_configENS1_27scan_by_key_config_selectorIxxEEZZNS1_16scan_by_key_implILNS1_25lookback_scan_determinismE0ELb1ES3_N6thrust23THRUST_200600_302600_NS6detail15normal_iteratorINS9_10device_ptrIxEEEESE_SE_xNS9_10multipliesIxEENS9_8equal_toIxEExEE10hipError_tPvRmT2_T3_T4_T5_mT6_T7_P12ihipStream_tbENKUlT_T0_E_clISt17integral_constantIbLb1EESY_IbLb0EEEEDaSU_SV_EUlSU_E_NS1_11comp_targetILNS1_3genE0ELNS1_11target_archE4294967295ELNS1_3gpuE0ELNS1_3repE0EEENS1_30default_config_static_selectorELNS0_4arch9wavefront6targetE0EEEvT1_,"axG",@progbits,_ZN7rocprim17ROCPRIM_400000_NS6detail17trampoline_kernelINS0_14default_configENS1_27scan_by_key_config_selectorIxxEEZZNS1_16scan_by_key_implILNS1_25lookback_scan_determinismE0ELb1ES3_N6thrust23THRUST_200600_302600_NS6detail15normal_iteratorINS9_10device_ptrIxEEEESE_SE_xNS9_10multipliesIxEENS9_8equal_toIxEExEE10hipError_tPvRmT2_T3_T4_T5_mT6_T7_P12ihipStream_tbENKUlT_T0_E_clISt17integral_constantIbLb1EESY_IbLb0EEEEDaSU_SV_EUlSU_E_NS1_11comp_targetILNS1_3genE0ELNS1_11target_archE4294967295ELNS1_3gpuE0ELNS1_3repE0EEENS1_30default_config_static_selectorELNS0_4arch9wavefront6targetE0EEEvT1_,comdat
.Lfunc_end407:
	.size	_ZN7rocprim17ROCPRIM_400000_NS6detail17trampoline_kernelINS0_14default_configENS1_27scan_by_key_config_selectorIxxEEZZNS1_16scan_by_key_implILNS1_25lookback_scan_determinismE0ELb1ES3_N6thrust23THRUST_200600_302600_NS6detail15normal_iteratorINS9_10device_ptrIxEEEESE_SE_xNS9_10multipliesIxEENS9_8equal_toIxEExEE10hipError_tPvRmT2_T3_T4_T5_mT6_T7_P12ihipStream_tbENKUlT_T0_E_clISt17integral_constantIbLb1EESY_IbLb0EEEEDaSU_SV_EUlSU_E_NS1_11comp_targetILNS1_3genE0ELNS1_11target_archE4294967295ELNS1_3gpuE0ELNS1_3repE0EEENS1_30default_config_static_selectorELNS0_4arch9wavefront6targetE0EEEvT1_, .Lfunc_end407-_ZN7rocprim17ROCPRIM_400000_NS6detail17trampoline_kernelINS0_14default_configENS1_27scan_by_key_config_selectorIxxEEZZNS1_16scan_by_key_implILNS1_25lookback_scan_determinismE0ELb1ES3_N6thrust23THRUST_200600_302600_NS6detail15normal_iteratorINS9_10device_ptrIxEEEESE_SE_xNS9_10multipliesIxEENS9_8equal_toIxEExEE10hipError_tPvRmT2_T3_T4_T5_mT6_T7_P12ihipStream_tbENKUlT_T0_E_clISt17integral_constantIbLb1EESY_IbLb0EEEEDaSU_SV_EUlSU_E_NS1_11comp_targetILNS1_3genE0ELNS1_11target_archE4294967295ELNS1_3gpuE0ELNS1_3repE0EEENS1_30default_config_static_selectorELNS0_4arch9wavefront6targetE0EEEvT1_
                                        ; -- End function
	.set _ZN7rocprim17ROCPRIM_400000_NS6detail17trampoline_kernelINS0_14default_configENS1_27scan_by_key_config_selectorIxxEEZZNS1_16scan_by_key_implILNS1_25lookback_scan_determinismE0ELb1ES3_N6thrust23THRUST_200600_302600_NS6detail15normal_iteratorINS9_10device_ptrIxEEEESE_SE_xNS9_10multipliesIxEENS9_8equal_toIxEExEE10hipError_tPvRmT2_T3_T4_T5_mT6_T7_P12ihipStream_tbENKUlT_T0_E_clISt17integral_constantIbLb1EESY_IbLb0EEEEDaSU_SV_EUlSU_E_NS1_11comp_targetILNS1_3genE0ELNS1_11target_archE4294967295ELNS1_3gpuE0ELNS1_3repE0EEENS1_30default_config_static_selectorELNS0_4arch9wavefront6targetE0EEEvT1_.num_vgpr, 0
	.set _ZN7rocprim17ROCPRIM_400000_NS6detail17trampoline_kernelINS0_14default_configENS1_27scan_by_key_config_selectorIxxEEZZNS1_16scan_by_key_implILNS1_25lookback_scan_determinismE0ELb1ES3_N6thrust23THRUST_200600_302600_NS6detail15normal_iteratorINS9_10device_ptrIxEEEESE_SE_xNS9_10multipliesIxEENS9_8equal_toIxEExEE10hipError_tPvRmT2_T3_T4_T5_mT6_T7_P12ihipStream_tbENKUlT_T0_E_clISt17integral_constantIbLb1EESY_IbLb0EEEEDaSU_SV_EUlSU_E_NS1_11comp_targetILNS1_3genE0ELNS1_11target_archE4294967295ELNS1_3gpuE0ELNS1_3repE0EEENS1_30default_config_static_selectorELNS0_4arch9wavefront6targetE0EEEvT1_.num_agpr, 0
	.set _ZN7rocprim17ROCPRIM_400000_NS6detail17trampoline_kernelINS0_14default_configENS1_27scan_by_key_config_selectorIxxEEZZNS1_16scan_by_key_implILNS1_25lookback_scan_determinismE0ELb1ES3_N6thrust23THRUST_200600_302600_NS6detail15normal_iteratorINS9_10device_ptrIxEEEESE_SE_xNS9_10multipliesIxEENS9_8equal_toIxEExEE10hipError_tPvRmT2_T3_T4_T5_mT6_T7_P12ihipStream_tbENKUlT_T0_E_clISt17integral_constantIbLb1EESY_IbLb0EEEEDaSU_SV_EUlSU_E_NS1_11comp_targetILNS1_3genE0ELNS1_11target_archE4294967295ELNS1_3gpuE0ELNS1_3repE0EEENS1_30default_config_static_selectorELNS0_4arch9wavefront6targetE0EEEvT1_.numbered_sgpr, 0
	.set _ZN7rocprim17ROCPRIM_400000_NS6detail17trampoline_kernelINS0_14default_configENS1_27scan_by_key_config_selectorIxxEEZZNS1_16scan_by_key_implILNS1_25lookback_scan_determinismE0ELb1ES3_N6thrust23THRUST_200600_302600_NS6detail15normal_iteratorINS9_10device_ptrIxEEEESE_SE_xNS9_10multipliesIxEENS9_8equal_toIxEExEE10hipError_tPvRmT2_T3_T4_T5_mT6_T7_P12ihipStream_tbENKUlT_T0_E_clISt17integral_constantIbLb1EESY_IbLb0EEEEDaSU_SV_EUlSU_E_NS1_11comp_targetILNS1_3genE0ELNS1_11target_archE4294967295ELNS1_3gpuE0ELNS1_3repE0EEENS1_30default_config_static_selectorELNS0_4arch9wavefront6targetE0EEEvT1_.num_named_barrier, 0
	.set _ZN7rocprim17ROCPRIM_400000_NS6detail17trampoline_kernelINS0_14default_configENS1_27scan_by_key_config_selectorIxxEEZZNS1_16scan_by_key_implILNS1_25lookback_scan_determinismE0ELb1ES3_N6thrust23THRUST_200600_302600_NS6detail15normal_iteratorINS9_10device_ptrIxEEEESE_SE_xNS9_10multipliesIxEENS9_8equal_toIxEExEE10hipError_tPvRmT2_T3_T4_T5_mT6_T7_P12ihipStream_tbENKUlT_T0_E_clISt17integral_constantIbLb1EESY_IbLb0EEEEDaSU_SV_EUlSU_E_NS1_11comp_targetILNS1_3genE0ELNS1_11target_archE4294967295ELNS1_3gpuE0ELNS1_3repE0EEENS1_30default_config_static_selectorELNS0_4arch9wavefront6targetE0EEEvT1_.private_seg_size, 0
	.set _ZN7rocprim17ROCPRIM_400000_NS6detail17trampoline_kernelINS0_14default_configENS1_27scan_by_key_config_selectorIxxEEZZNS1_16scan_by_key_implILNS1_25lookback_scan_determinismE0ELb1ES3_N6thrust23THRUST_200600_302600_NS6detail15normal_iteratorINS9_10device_ptrIxEEEESE_SE_xNS9_10multipliesIxEENS9_8equal_toIxEExEE10hipError_tPvRmT2_T3_T4_T5_mT6_T7_P12ihipStream_tbENKUlT_T0_E_clISt17integral_constantIbLb1EESY_IbLb0EEEEDaSU_SV_EUlSU_E_NS1_11comp_targetILNS1_3genE0ELNS1_11target_archE4294967295ELNS1_3gpuE0ELNS1_3repE0EEENS1_30default_config_static_selectorELNS0_4arch9wavefront6targetE0EEEvT1_.uses_vcc, 0
	.set _ZN7rocprim17ROCPRIM_400000_NS6detail17trampoline_kernelINS0_14default_configENS1_27scan_by_key_config_selectorIxxEEZZNS1_16scan_by_key_implILNS1_25lookback_scan_determinismE0ELb1ES3_N6thrust23THRUST_200600_302600_NS6detail15normal_iteratorINS9_10device_ptrIxEEEESE_SE_xNS9_10multipliesIxEENS9_8equal_toIxEExEE10hipError_tPvRmT2_T3_T4_T5_mT6_T7_P12ihipStream_tbENKUlT_T0_E_clISt17integral_constantIbLb1EESY_IbLb0EEEEDaSU_SV_EUlSU_E_NS1_11comp_targetILNS1_3genE0ELNS1_11target_archE4294967295ELNS1_3gpuE0ELNS1_3repE0EEENS1_30default_config_static_selectorELNS0_4arch9wavefront6targetE0EEEvT1_.uses_flat_scratch, 0
	.set _ZN7rocprim17ROCPRIM_400000_NS6detail17trampoline_kernelINS0_14default_configENS1_27scan_by_key_config_selectorIxxEEZZNS1_16scan_by_key_implILNS1_25lookback_scan_determinismE0ELb1ES3_N6thrust23THRUST_200600_302600_NS6detail15normal_iteratorINS9_10device_ptrIxEEEESE_SE_xNS9_10multipliesIxEENS9_8equal_toIxEExEE10hipError_tPvRmT2_T3_T4_T5_mT6_T7_P12ihipStream_tbENKUlT_T0_E_clISt17integral_constantIbLb1EESY_IbLb0EEEEDaSU_SV_EUlSU_E_NS1_11comp_targetILNS1_3genE0ELNS1_11target_archE4294967295ELNS1_3gpuE0ELNS1_3repE0EEENS1_30default_config_static_selectorELNS0_4arch9wavefront6targetE0EEEvT1_.has_dyn_sized_stack, 0
	.set _ZN7rocprim17ROCPRIM_400000_NS6detail17trampoline_kernelINS0_14default_configENS1_27scan_by_key_config_selectorIxxEEZZNS1_16scan_by_key_implILNS1_25lookback_scan_determinismE0ELb1ES3_N6thrust23THRUST_200600_302600_NS6detail15normal_iteratorINS9_10device_ptrIxEEEESE_SE_xNS9_10multipliesIxEENS9_8equal_toIxEExEE10hipError_tPvRmT2_T3_T4_T5_mT6_T7_P12ihipStream_tbENKUlT_T0_E_clISt17integral_constantIbLb1EESY_IbLb0EEEEDaSU_SV_EUlSU_E_NS1_11comp_targetILNS1_3genE0ELNS1_11target_archE4294967295ELNS1_3gpuE0ELNS1_3repE0EEENS1_30default_config_static_selectorELNS0_4arch9wavefront6targetE0EEEvT1_.has_recursion, 0
	.set _ZN7rocprim17ROCPRIM_400000_NS6detail17trampoline_kernelINS0_14default_configENS1_27scan_by_key_config_selectorIxxEEZZNS1_16scan_by_key_implILNS1_25lookback_scan_determinismE0ELb1ES3_N6thrust23THRUST_200600_302600_NS6detail15normal_iteratorINS9_10device_ptrIxEEEESE_SE_xNS9_10multipliesIxEENS9_8equal_toIxEExEE10hipError_tPvRmT2_T3_T4_T5_mT6_T7_P12ihipStream_tbENKUlT_T0_E_clISt17integral_constantIbLb1EESY_IbLb0EEEEDaSU_SV_EUlSU_E_NS1_11comp_targetILNS1_3genE0ELNS1_11target_archE4294967295ELNS1_3gpuE0ELNS1_3repE0EEENS1_30default_config_static_selectorELNS0_4arch9wavefront6targetE0EEEvT1_.has_indirect_call, 0
	.section	.AMDGPU.csdata,"",@progbits
; Kernel info:
; codeLenInByte = 4
; TotalNumSgprs: 0
; NumVgprs: 0
; ScratchSize: 0
; MemoryBound: 0
; FloatMode: 240
; IeeeMode: 1
; LDSByteSize: 0 bytes/workgroup (compile time only)
; SGPRBlocks: 0
; VGPRBlocks: 0
; NumSGPRsForWavesPerEU: 1
; NumVGPRsForWavesPerEU: 1
; NamedBarCnt: 0
; Occupancy: 16
; WaveLimiterHint : 0
; COMPUTE_PGM_RSRC2:SCRATCH_EN: 0
; COMPUTE_PGM_RSRC2:USER_SGPR: 2
; COMPUTE_PGM_RSRC2:TRAP_HANDLER: 0
; COMPUTE_PGM_RSRC2:TGID_X_EN: 1
; COMPUTE_PGM_RSRC2:TGID_Y_EN: 0
; COMPUTE_PGM_RSRC2:TGID_Z_EN: 0
; COMPUTE_PGM_RSRC2:TIDIG_COMP_CNT: 0
	.section	.text._ZN7rocprim17ROCPRIM_400000_NS6detail17trampoline_kernelINS0_14default_configENS1_27scan_by_key_config_selectorIxxEEZZNS1_16scan_by_key_implILNS1_25lookback_scan_determinismE0ELb1ES3_N6thrust23THRUST_200600_302600_NS6detail15normal_iteratorINS9_10device_ptrIxEEEESE_SE_xNS9_10multipliesIxEENS9_8equal_toIxEExEE10hipError_tPvRmT2_T3_T4_T5_mT6_T7_P12ihipStream_tbENKUlT_T0_E_clISt17integral_constantIbLb1EESY_IbLb0EEEEDaSU_SV_EUlSU_E_NS1_11comp_targetILNS1_3genE10ELNS1_11target_archE1201ELNS1_3gpuE5ELNS1_3repE0EEENS1_30default_config_static_selectorELNS0_4arch9wavefront6targetE0EEEvT1_,"axG",@progbits,_ZN7rocprim17ROCPRIM_400000_NS6detail17trampoline_kernelINS0_14default_configENS1_27scan_by_key_config_selectorIxxEEZZNS1_16scan_by_key_implILNS1_25lookback_scan_determinismE0ELb1ES3_N6thrust23THRUST_200600_302600_NS6detail15normal_iteratorINS9_10device_ptrIxEEEESE_SE_xNS9_10multipliesIxEENS9_8equal_toIxEExEE10hipError_tPvRmT2_T3_T4_T5_mT6_T7_P12ihipStream_tbENKUlT_T0_E_clISt17integral_constantIbLb1EESY_IbLb0EEEEDaSU_SV_EUlSU_E_NS1_11comp_targetILNS1_3genE10ELNS1_11target_archE1201ELNS1_3gpuE5ELNS1_3repE0EEENS1_30default_config_static_selectorELNS0_4arch9wavefront6targetE0EEEvT1_,comdat
	.protected	_ZN7rocprim17ROCPRIM_400000_NS6detail17trampoline_kernelINS0_14default_configENS1_27scan_by_key_config_selectorIxxEEZZNS1_16scan_by_key_implILNS1_25lookback_scan_determinismE0ELb1ES3_N6thrust23THRUST_200600_302600_NS6detail15normal_iteratorINS9_10device_ptrIxEEEESE_SE_xNS9_10multipliesIxEENS9_8equal_toIxEExEE10hipError_tPvRmT2_T3_T4_T5_mT6_T7_P12ihipStream_tbENKUlT_T0_E_clISt17integral_constantIbLb1EESY_IbLb0EEEEDaSU_SV_EUlSU_E_NS1_11comp_targetILNS1_3genE10ELNS1_11target_archE1201ELNS1_3gpuE5ELNS1_3repE0EEENS1_30default_config_static_selectorELNS0_4arch9wavefront6targetE0EEEvT1_ ; -- Begin function _ZN7rocprim17ROCPRIM_400000_NS6detail17trampoline_kernelINS0_14default_configENS1_27scan_by_key_config_selectorIxxEEZZNS1_16scan_by_key_implILNS1_25lookback_scan_determinismE0ELb1ES3_N6thrust23THRUST_200600_302600_NS6detail15normal_iteratorINS9_10device_ptrIxEEEESE_SE_xNS9_10multipliesIxEENS9_8equal_toIxEExEE10hipError_tPvRmT2_T3_T4_T5_mT6_T7_P12ihipStream_tbENKUlT_T0_E_clISt17integral_constantIbLb1EESY_IbLb0EEEEDaSU_SV_EUlSU_E_NS1_11comp_targetILNS1_3genE10ELNS1_11target_archE1201ELNS1_3gpuE5ELNS1_3repE0EEENS1_30default_config_static_selectorELNS0_4arch9wavefront6targetE0EEEvT1_
	.globl	_ZN7rocprim17ROCPRIM_400000_NS6detail17trampoline_kernelINS0_14default_configENS1_27scan_by_key_config_selectorIxxEEZZNS1_16scan_by_key_implILNS1_25lookback_scan_determinismE0ELb1ES3_N6thrust23THRUST_200600_302600_NS6detail15normal_iteratorINS9_10device_ptrIxEEEESE_SE_xNS9_10multipliesIxEENS9_8equal_toIxEExEE10hipError_tPvRmT2_T3_T4_T5_mT6_T7_P12ihipStream_tbENKUlT_T0_E_clISt17integral_constantIbLb1EESY_IbLb0EEEEDaSU_SV_EUlSU_E_NS1_11comp_targetILNS1_3genE10ELNS1_11target_archE1201ELNS1_3gpuE5ELNS1_3repE0EEENS1_30default_config_static_selectorELNS0_4arch9wavefront6targetE0EEEvT1_
	.p2align	8
	.type	_ZN7rocprim17ROCPRIM_400000_NS6detail17trampoline_kernelINS0_14default_configENS1_27scan_by_key_config_selectorIxxEEZZNS1_16scan_by_key_implILNS1_25lookback_scan_determinismE0ELb1ES3_N6thrust23THRUST_200600_302600_NS6detail15normal_iteratorINS9_10device_ptrIxEEEESE_SE_xNS9_10multipliesIxEENS9_8equal_toIxEExEE10hipError_tPvRmT2_T3_T4_T5_mT6_T7_P12ihipStream_tbENKUlT_T0_E_clISt17integral_constantIbLb1EESY_IbLb0EEEEDaSU_SV_EUlSU_E_NS1_11comp_targetILNS1_3genE10ELNS1_11target_archE1201ELNS1_3gpuE5ELNS1_3repE0EEENS1_30default_config_static_selectorELNS0_4arch9wavefront6targetE0EEEvT1_,@function
_ZN7rocprim17ROCPRIM_400000_NS6detail17trampoline_kernelINS0_14default_configENS1_27scan_by_key_config_selectorIxxEEZZNS1_16scan_by_key_implILNS1_25lookback_scan_determinismE0ELb1ES3_N6thrust23THRUST_200600_302600_NS6detail15normal_iteratorINS9_10device_ptrIxEEEESE_SE_xNS9_10multipliesIxEENS9_8equal_toIxEExEE10hipError_tPvRmT2_T3_T4_T5_mT6_T7_P12ihipStream_tbENKUlT_T0_E_clISt17integral_constantIbLb1EESY_IbLb0EEEEDaSU_SV_EUlSU_E_NS1_11comp_targetILNS1_3genE10ELNS1_11target_archE1201ELNS1_3gpuE5ELNS1_3repE0EEENS1_30default_config_static_selectorELNS0_4arch9wavefront6targetE0EEEvT1_: ; @_ZN7rocprim17ROCPRIM_400000_NS6detail17trampoline_kernelINS0_14default_configENS1_27scan_by_key_config_selectorIxxEEZZNS1_16scan_by_key_implILNS1_25lookback_scan_determinismE0ELb1ES3_N6thrust23THRUST_200600_302600_NS6detail15normal_iteratorINS9_10device_ptrIxEEEESE_SE_xNS9_10multipliesIxEENS9_8equal_toIxEExEE10hipError_tPvRmT2_T3_T4_T5_mT6_T7_P12ihipStream_tbENKUlT_T0_E_clISt17integral_constantIbLb1EESY_IbLb0EEEEDaSU_SV_EUlSU_E_NS1_11comp_targetILNS1_3genE10ELNS1_11target_archE1201ELNS1_3gpuE5ELNS1_3repE0EEENS1_30default_config_static_selectorELNS0_4arch9wavefront6targetE0EEEvT1_
; %bb.0:
	.section	.rodata,"a",@progbits
	.p2align	6, 0x0
	.amdhsa_kernel _ZN7rocprim17ROCPRIM_400000_NS6detail17trampoline_kernelINS0_14default_configENS1_27scan_by_key_config_selectorIxxEEZZNS1_16scan_by_key_implILNS1_25lookback_scan_determinismE0ELb1ES3_N6thrust23THRUST_200600_302600_NS6detail15normal_iteratorINS9_10device_ptrIxEEEESE_SE_xNS9_10multipliesIxEENS9_8equal_toIxEExEE10hipError_tPvRmT2_T3_T4_T5_mT6_T7_P12ihipStream_tbENKUlT_T0_E_clISt17integral_constantIbLb1EESY_IbLb0EEEEDaSU_SV_EUlSU_E_NS1_11comp_targetILNS1_3genE10ELNS1_11target_archE1201ELNS1_3gpuE5ELNS1_3repE0EEENS1_30default_config_static_selectorELNS0_4arch9wavefront6targetE0EEEvT1_
		.amdhsa_group_segment_fixed_size 0
		.amdhsa_private_segment_fixed_size 0
		.amdhsa_kernarg_size 136
		.amdhsa_user_sgpr_count 2
		.amdhsa_user_sgpr_dispatch_ptr 0
		.amdhsa_user_sgpr_queue_ptr 0
		.amdhsa_user_sgpr_kernarg_segment_ptr 1
		.amdhsa_user_sgpr_dispatch_id 0
		.amdhsa_user_sgpr_kernarg_preload_length 0
		.amdhsa_user_sgpr_kernarg_preload_offset 0
		.amdhsa_user_sgpr_private_segment_size 0
		.amdhsa_wavefront_size32 1
		.amdhsa_uses_dynamic_stack 0
		.amdhsa_enable_private_segment 0
		.amdhsa_system_sgpr_workgroup_id_x 1
		.amdhsa_system_sgpr_workgroup_id_y 0
		.amdhsa_system_sgpr_workgroup_id_z 0
		.amdhsa_system_sgpr_workgroup_info 0
		.amdhsa_system_vgpr_workitem_id 0
		.amdhsa_next_free_vgpr 1
		.amdhsa_next_free_sgpr 1
		.amdhsa_named_barrier_count 0
		.amdhsa_reserve_vcc 0
		.amdhsa_float_round_mode_32 0
		.amdhsa_float_round_mode_16_64 0
		.amdhsa_float_denorm_mode_32 3
		.amdhsa_float_denorm_mode_16_64 3
		.amdhsa_fp16_overflow 0
		.amdhsa_memory_ordered 1
		.amdhsa_forward_progress 1
		.amdhsa_inst_pref_size 0
		.amdhsa_round_robin_scheduling 0
		.amdhsa_exception_fp_ieee_invalid_op 0
		.amdhsa_exception_fp_denorm_src 0
		.amdhsa_exception_fp_ieee_div_zero 0
		.amdhsa_exception_fp_ieee_overflow 0
		.amdhsa_exception_fp_ieee_underflow 0
		.amdhsa_exception_fp_ieee_inexact 0
		.amdhsa_exception_int_div_zero 0
	.end_amdhsa_kernel
	.section	.text._ZN7rocprim17ROCPRIM_400000_NS6detail17trampoline_kernelINS0_14default_configENS1_27scan_by_key_config_selectorIxxEEZZNS1_16scan_by_key_implILNS1_25lookback_scan_determinismE0ELb1ES3_N6thrust23THRUST_200600_302600_NS6detail15normal_iteratorINS9_10device_ptrIxEEEESE_SE_xNS9_10multipliesIxEENS9_8equal_toIxEExEE10hipError_tPvRmT2_T3_T4_T5_mT6_T7_P12ihipStream_tbENKUlT_T0_E_clISt17integral_constantIbLb1EESY_IbLb0EEEEDaSU_SV_EUlSU_E_NS1_11comp_targetILNS1_3genE10ELNS1_11target_archE1201ELNS1_3gpuE5ELNS1_3repE0EEENS1_30default_config_static_selectorELNS0_4arch9wavefront6targetE0EEEvT1_,"axG",@progbits,_ZN7rocprim17ROCPRIM_400000_NS6detail17trampoline_kernelINS0_14default_configENS1_27scan_by_key_config_selectorIxxEEZZNS1_16scan_by_key_implILNS1_25lookback_scan_determinismE0ELb1ES3_N6thrust23THRUST_200600_302600_NS6detail15normal_iteratorINS9_10device_ptrIxEEEESE_SE_xNS9_10multipliesIxEENS9_8equal_toIxEExEE10hipError_tPvRmT2_T3_T4_T5_mT6_T7_P12ihipStream_tbENKUlT_T0_E_clISt17integral_constantIbLb1EESY_IbLb0EEEEDaSU_SV_EUlSU_E_NS1_11comp_targetILNS1_3genE10ELNS1_11target_archE1201ELNS1_3gpuE5ELNS1_3repE0EEENS1_30default_config_static_selectorELNS0_4arch9wavefront6targetE0EEEvT1_,comdat
.Lfunc_end408:
	.size	_ZN7rocprim17ROCPRIM_400000_NS6detail17trampoline_kernelINS0_14default_configENS1_27scan_by_key_config_selectorIxxEEZZNS1_16scan_by_key_implILNS1_25lookback_scan_determinismE0ELb1ES3_N6thrust23THRUST_200600_302600_NS6detail15normal_iteratorINS9_10device_ptrIxEEEESE_SE_xNS9_10multipliesIxEENS9_8equal_toIxEExEE10hipError_tPvRmT2_T3_T4_T5_mT6_T7_P12ihipStream_tbENKUlT_T0_E_clISt17integral_constantIbLb1EESY_IbLb0EEEEDaSU_SV_EUlSU_E_NS1_11comp_targetILNS1_3genE10ELNS1_11target_archE1201ELNS1_3gpuE5ELNS1_3repE0EEENS1_30default_config_static_selectorELNS0_4arch9wavefront6targetE0EEEvT1_, .Lfunc_end408-_ZN7rocprim17ROCPRIM_400000_NS6detail17trampoline_kernelINS0_14default_configENS1_27scan_by_key_config_selectorIxxEEZZNS1_16scan_by_key_implILNS1_25lookback_scan_determinismE0ELb1ES3_N6thrust23THRUST_200600_302600_NS6detail15normal_iteratorINS9_10device_ptrIxEEEESE_SE_xNS9_10multipliesIxEENS9_8equal_toIxEExEE10hipError_tPvRmT2_T3_T4_T5_mT6_T7_P12ihipStream_tbENKUlT_T0_E_clISt17integral_constantIbLb1EESY_IbLb0EEEEDaSU_SV_EUlSU_E_NS1_11comp_targetILNS1_3genE10ELNS1_11target_archE1201ELNS1_3gpuE5ELNS1_3repE0EEENS1_30default_config_static_selectorELNS0_4arch9wavefront6targetE0EEEvT1_
                                        ; -- End function
	.set _ZN7rocprim17ROCPRIM_400000_NS6detail17trampoline_kernelINS0_14default_configENS1_27scan_by_key_config_selectorIxxEEZZNS1_16scan_by_key_implILNS1_25lookback_scan_determinismE0ELb1ES3_N6thrust23THRUST_200600_302600_NS6detail15normal_iteratorINS9_10device_ptrIxEEEESE_SE_xNS9_10multipliesIxEENS9_8equal_toIxEExEE10hipError_tPvRmT2_T3_T4_T5_mT6_T7_P12ihipStream_tbENKUlT_T0_E_clISt17integral_constantIbLb1EESY_IbLb0EEEEDaSU_SV_EUlSU_E_NS1_11comp_targetILNS1_3genE10ELNS1_11target_archE1201ELNS1_3gpuE5ELNS1_3repE0EEENS1_30default_config_static_selectorELNS0_4arch9wavefront6targetE0EEEvT1_.num_vgpr, 0
	.set _ZN7rocprim17ROCPRIM_400000_NS6detail17trampoline_kernelINS0_14default_configENS1_27scan_by_key_config_selectorIxxEEZZNS1_16scan_by_key_implILNS1_25lookback_scan_determinismE0ELb1ES3_N6thrust23THRUST_200600_302600_NS6detail15normal_iteratorINS9_10device_ptrIxEEEESE_SE_xNS9_10multipliesIxEENS9_8equal_toIxEExEE10hipError_tPvRmT2_T3_T4_T5_mT6_T7_P12ihipStream_tbENKUlT_T0_E_clISt17integral_constantIbLb1EESY_IbLb0EEEEDaSU_SV_EUlSU_E_NS1_11comp_targetILNS1_3genE10ELNS1_11target_archE1201ELNS1_3gpuE5ELNS1_3repE0EEENS1_30default_config_static_selectorELNS0_4arch9wavefront6targetE0EEEvT1_.num_agpr, 0
	.set _ZN7rocprim17ROCPRIM_400000_NS6detail17trampoline_kernelINS0_14default_configENS1_27scan_by_key_config_selectorIxxEEZZNS1_16scan_by_key_implILNS1_25lookback_scan_determinismE0ELb1ES3_N6thrust23THRUST_200600_302600_NS6detail15normal_iteratorINS9_10device_ptrIxEEEESE_SE_xNS9_10multipliesIxEENS9_8equal_toIxEExEE10hipError_tPvRmT2_T3_T4_T5_mT6_T7_P12ihipStream_tbENKUlT_T0_E_clISt17integral_constantIbLb1EESY_IbLb0EEEEDaSU_SV_EUlSU_E_NS1_11comp_targetILNS1_3genE10ELNS1_11target_archE1201ELNS1_3gpuE5ELNS1_3repE0EEENS1_30default_config_static_selectorELNS0_4arch9wavefront6targetE0EEEvT1_.numbered_sgpr, 0
	.set _ZN7rocprim17ROCPRIM_400000_NS6detail17trampoline_kernelINS0_14default_configENS1_27scan_by_key_config_selectorIxxEEZZNS1_16scan_by_key_implILNS1_25lookback_scan_determinismE0ELb1ES3_N6thrust23THRUST_200600_302600_NS6detail15normal_iteratorINS9_10device_ptrIxEEEESE_SE_xNS9_10multipliesIxEENS9_8equal_toIxEExEE10hipError_tPvRmT2_T3_T4_T5_mT6_T7_P12ihipStream_tbENKUlT_T0_E_clISt17integral_constantIbLb1EESY_IbLb0EEEEDaSU_SV_EUlSU_E_NS1_11comp_targetILNS1_3genE10ELNS1_11target_archE1201ELNS1_3gpuE5ELNS1_3repE0EEENS1_30default_config_static_selectorELNS0_4arch9wavefront6targetE0EEEvT1_.num_named_barrier, 0
	.set _ZN7rocprim17ROCPRIM_400000_NS6detail17trampoline_kernelINS0_14default_configENS1_27scan_by_key_config_selectorIxxEEZZNS1_16scan_by_key_implILNS1_25lookback_scan_determinismE0ELb1ES3_N6thrust23THRUST_200600_302600_NS6detail15normal_iteratorINS9_10device_ptrIxEEEESE_SE_xNS9_10multipliesIxEENS9_8equal_toIxEExEE10hipError_tPvRmT2_T3_T4_T5_mT6_T7_P12ihipStream_tbENKUlT_T0_E_clISt17integral_constantIbLb1EESY_IbLb0EEEEDaSU_SV_EUlSU_E_NS1_11comp_targetILNS1_3genE10ELNS1_11target_archE1201ELNS1_3gpuE5ELNS1_3repE0EEENS1_30default_config_static_selectorELNS0_4arch9wavefront6targetE0EEEvT1_.private_seg_size, 0
	.set _ZN7rocprim17ROCPRIM_400000_NS6detail17trampoline_kernelINS0_14default_configENS1_27scan_by_key_config_selectorIxxEEZZNS1_16scan_by_key_implILNS1_25lookback_scan_determinismE0ELb1ES3_N6thrust23THRUST_200600_302600_NS6detail15normal_iteratorINS9_10device_ptrIxEEEESE_SE_xNS9_10multipliesIxEENS9_8equal_toIxEExEE10hipError_tPvRmT2_T3_T4_T5_mT6_T7_P12ihipStream_tbENKUlT_T0_E_clISt17integral_constantIbLb1EESY_IbLb0EEEEDaSU_SV_EUlSU_E_NS1_11comp_targetILNS1_3genE10ELNS1_11target_archE1201ELNS1_3gpuE5ELNS1_3repE0EEENS1_30default_config_static_selectorELNS0_4arch9wavefront6targetE0EEEvT1_.uses_vcc, 0
	.set _ZN7rocprim17ROCPRIM_400000_NS6detail17trampoline_kernelINS0_14default_configENS1_27scan_by_key_config_selectorIxxEEZZNS1_16scan_by_key_implILNS1_25lookback_scan_determinismE0ELb1ES3_N6thrust23THRUST_200600_302600_NS6detail15normal_iteratorINS9_10device_ptrIxEEEESE_SE_xNS9_10multipliesIxEENS9_8equal_toIxEExEE10hipError_tPvRmT2_T3_T4_T5_mT6_T7_P12ihipStream_tbENKUlT_T0_E_clISt17integral_constantIbLb1EESY_IbLb0EEEEDaSU_SV_EUlSU_E_NS1_11comp_targetILNS1_3genE10ELNS1_11target_archE1201ELNS1_3gpuE5ELNS1_3repE0EEENS1_30default_config_static_selectorELNS0_4arch9wavefront6targetE0EEEvT1_.uses_flat_scratch, 0
	.set _ZN7rocprim17ROCPRIM_400000_NS6detail17trampoline_kernelINS0_14default_configENS1_27scan_by_key_config_selectorIxxEEZZNS1_16scan_by_key_implILNS1_25lookback_scan_determinismE0ELb1ES3_N6thrust23THRUST_200600_302600_NS6detail15normal_iteratorINS9_10device_ptrIxEEEESE_SE_xNS9_10multipliesIxEENS9_8equal_toIxEExEE10hipError_tPvRmT2_T3_T4_T5_mT6_T7_P12ihipStream_tbENKUlT_T0_E_clISt17integral_constantIbLb1EESY_IbLb0EEEEDaSU_SV_EUlSU_E_NS1_11comp_targetILNS1_3genE10ELNS1_11target_archE1201ELNS1_3gpuE5ELNS1_3repE0EEENS1_30default_config_static_selectorELNS0_4arch9wavefront6targetE0EEEvT1_.has_dyn_sized_stack, 0
	.set _ZN7rocprim17ROCPRIM_400000_NS6detail17trampoline_kernelINS0_14default_configENS1_27scan_by_key_config_selectorIxxEEZZNS1_16scan_by_key_implILNS1_25lookback_scan_determinismE0ELb1ES3_N6thrust23THRUST_200600_302600_NS6detail15normal_iteratorINS9_10device_ptrIxEEEESE_SE_xNS9_10multipliesIxEENS9_8equal_toIxEExEE10hipError_tPvRmT2_T3_T4_T5_mT6_T7_P12ihipStream_tbENKUlT_T0_E_clISt17integral_constantIbLb1EESY_IbLb0EEEEDaSU_SV_EUlSU_E_NS1_11comp_targetILNS1_3genE10ELNS1_11target_archE1201ELNS1_3gpuE5ELNS1_3repE0EEENS1_30default_config_static_selectorELNS0_4arch9wavefront6targetE0EEEvT1_.has_recursion, 0
	.set _ZN7rocprim17ROCPRIM_400000_NS6detail17trampoline_kernelINS0_14default_configENS1_27scan_by_key_config_selectorIxxEEZZNS1_16scan_by_key_implILNS1_25lookback_scan_determinismE0ELb1ES3_N6thrust23THRUST_200600_302600_NS6detail15normal_iteratorINS9_10device_ptrIxEEEESE_SE_xNS9_10multipliesIxEENS9_8equal_toIxEExEE10hipError_tPvRmT2_T3_T4_T5_mT6_T7_P12ihipStream_tbENKUlT_T0_E_clISt17integral_constantIbLb1EESY_IbLb0EEEEDaSU_SV_EUlSU_E_NS1_11comp_targetILNS1_3genE10ELNS1_11target_archE1201ELNS1_3gpuE5ELNS1_3repE0EEENS1_30default_config_static_selectorELNS0_4arch9wavefront6targetE0EEEvT1_.has_indirect_call, 0
	.section	.AMDGPU.csdata,"",@progbits
; Kernel info:
; codeLenInByte = 0
; TotalNumSgprs: 0
; NumVgprs: 0
; ScratchSize: 0
; MemoryBound: 0
; FloatMode: 240
; IeeeMode: 1
; LDSByteSize: 0 bytes/workgroup (compile time only)
; SGPRBlocks: 0
; VGPRBlocks: 0
; NumSGPRsForWavesPerEU: 1
; NumVGPRsForWavesPerEU: 1
; NamedBarCnt: 0
; Occupancy: 16
; WaveLimiterHint : 0
; COMPUTE_PGM_RSRC2:SCRATCH_EN: 0
; COMPUTE_PGM_RSRC2:USER_SGPR: 2
; COMPUTE_PGM_RSRC2:TRAP_HANDLER: 0
; COMPUTE_PGM_RSRC2:TGID_X_EN: 1
; COMPUTE_PGM_RSRC2:TGID_Y_EN: 0
; COMPUTE_PGM_RSRC2:TGID_Z_EN: 0
; COMPUTE_PGM_RSRC2:TIDIG_COMP_CNT: 0
	.section	.text._ZN7rocprim17ROCPRIM_400000_NS6detail17trampoline_kernelINS0_14default_configENS1_27scan_by_key_config_selectorIxxEEZZNS1_16scan_by_key_implILNS1_25lookback_scan_determinismE0ELb1ES3_N6thrust23THRUST_200600_302600_NS6detail15normal_iteratorINS9_10device_ptrIxEEEESE_SE_xNS9_10multipliesIxEENS9_8equal_toIxEExEE10hipError_tPvRmT2_T3_T4_T5_mT6_T7_P12ihipStream_tbENKUlT_T0_E_clISt17integral_constantIbLb1EESY_IbLb0EEEEDaSU_SV_EUlSU_E_NS1_11comp_targetILNS1_3genE5ELNS1_11target_archE942ELNS1_3gpuE9ELNS1_3repE0EEENS1_30default_config_static_selectorELNS0_4arch9wavefront6targetE0EEEvT1_,"axG",@progbits,_ZN7rocprim17ROCPRIM_400000_NS6detail17trampoline_kernelINS0_14default_configENS1_27scan_by_key_config_selectorIxxEEZZNS1_16scan_by_key_implILNS1_25lookback_scan_determinismE0ELb1ES3_N6thrust23THRUST_200600_302600_NS6detail15normal_iteratorINS9_10device_ptrIxEEEESE_SE_xNS9_10multipliesIxEENS9_8equal_toIxEExEE10hipError_tPvRmT2_T3_T4_T5_mT6_T7_P12ihipStream_tbENKUlT_T0_E_clISt17integral_constantIbLb1EESY_IbLb0EEEEDaSU_SV_EUlSU_E_NS1_11comp_targetILNS1_3genE5ELNS1_11target_archE942ELNS1_3gpuE9ELNS1_3repE0EEENS1_30default_config_static_selectorELNS0_4arch9wavefront6targetE0EEEvT1_,comdat
	.protected	_ZN7rocprim17ROCPRIM_400000_NS6detail17trampoline_kernelINS0_14default_configENS1_27scan_by_key_config_selectorIxxEEZZNS1_16scan_by_key_implILNS1_25lookback_scan_determinismE0ELb1ES3_N6thrust23THRUST_200600_302600_NS6detail15normal_iteratorINS9_10device_ptrIxEEEESE_SE_xNS9_10multipliesIxEENS9_8equal_toIxEExEE10hipError_tPvRmT2_T3_T4_T5_mT6_T7_P12ihipStream_tbENKUlT_T0_E_clISt17integral_constantIbLb1EESY_IbLb0EEEEDaSU_SV_EUlSU_E_NS1_11comp_targetILNS1_3genE5ELNS1_11target_archE942ELNS1_3gpuE9ELNS1_3repE0EEENS1_30default_config_static_selectorELNS0_4arch9wavefront6targetE0EEEvT1_ ; -- Begin function _ZN7rocprim17ROCPRIM_400000_NS6detail17trampoline_kernelINS0_14default_configENS1_27scan_by_key_config_selectorIxxEEZZNS1_16scan_by_key_implILNS1_25lookback_scan_determinismE0ELb1ES3_N6thrust23THRUST_200600_302600_NS6detail15normal_iteratorINS9_10device_ptrIxEEEESE_SE_xNS9_10multipliesIxEENS9_8equal_toIxEExEE10hipError_tPvRmT2_T3_T4_T5_mT6_T7_P12ihipStream_tbENKUlT_T0_E_clISt17integral_constantIbLb1EESY_IbLb0EEEEDaSU_SV_EUlSU_E_NS1_11comp_targetILNS1_3genE5ELNS1_11target_archE942ELNS1_3gpuE9ELNS1_3repE0EEENS1_30default_config_static_selectorELNS0_4arch9wavefront6targetE0EEEvT1_
	.globl	_ZN7rocprim17ROCPRIM_400000_NS6detail17trampoline_kernelINS0_14default_configENS1_27scan_by_key_config_selectorIxxEEZZNS1_16scan_by_key_implILNS1_25lookback_scan_determinismE0ELb1ES3_N6thrust23THRUST_200600_302600_NS6detail15normal_iteratorINS9_10device_ptrIxEEEESE_SE_xNS9_10multipliesIxEENS9_8equal_toIxEExEE10hipError_tPvRmT2_T3_T4_T5_mT6_T7_P12ihipStream_tbENKUlT_T0_E_clISt17integral_constantIbLb1EESY_IbLb0EEEEDaSU_SV_EUlSU_E_NS1_11comp_targetILNS1_3genE5ELNS1_11target_archE942ELNS1_3gpuE9ELNS1_3repE0EEENS1_30default_config_static_selectorELNS0_4arch9wavefront6targetE0EEEvT1_
	.p2align	8
	.type	_ZN7rocprim17ROCPRIM_400000_NS6detail17trampoline_kernelINS0_14default_configENS1_27scan_by_key_config_selectorIxxEEZZNS1_16scan_by_key_implILNS1_25lookback_scan_determinismE0ELb1ES3_N6thrust23THRUST_200600_302600_NS6detail15normal_iteratorINS9_10device_ptrIxEEEESE_SE_xNS9_10multipliesIxEENS9_8equal_toIxEExEE10hipError_tPvRmT2_T3_T4_T5_mT6_T7_P12ihipStream_tbENKUlT_T0_E_clISt17integral_constantIbLb1EESY_IbLb0EEEEDaSU_SV_EUlSU_E_NS1_11comp_targetILNS1_3genE5ELNS1_11target_archE942ELNS1_3gpuE9ELNS1_3repE0EEENS1_30default_config_static_selectorELNS0_4arch9wavefront6targetE0EEEvT1_,@function
_ZN7rocprim17ROCPRIM_400000_NS6detail17trampoline_kernelINS0_14default_configENS1_27scan_by_key_config_selectorIxxEEZZNS1_16scan_by_key_implILNS1_25lookback_scan_determinismE0ELb1ES3_N6thrust23THRUST_200600_302600_NS6detail15normal_iteratorINS9_10device_ptrIxEEEESE_SE_xNS9_10multipliesIxEENS9_8equal_toIxEExEE10hipError_tPvRmT2_T3_T4_T5_mT6_T7_P12ihipStream_tbENKUlT_T0_E_clISt17integral_constantIbLb1EESY_IbLb0EEEEDaSU_SV_EUlSU_E_NS1_11comp_targetILNS1_3genE5ELNS1_11target_archE942ELNS1_3gpuE9ELNS1_3repE0EEENS1_30default_config_static_selectorELNS0_4arch9wavefront6targetE0EEEvT1_: ; @_ZN7rocprim17ROCPRIM_400000_NS6detail17trampoline_kernelINS0_14default_configENS1_27scan_by_key_config_selectorIxxEEZZNS1_16scan_by_key_implILNS1_25lookback_scan_determinismE0ELb1ES3_N6thrust23THRUST_200600_302600_NS6detail15normal_iteratorINS9_10device_ptrIxEEEESE_SE_xNS9_10multipliesIxEENS9_8equal_toIxEExEE10hipError_tPvRmT2_T3_T4_T5_mT6_T7_P12ihipStream_tbENKUlT_T0_E_clISt17integral_constantIbLb1EESY_IbLb0EEEEDaSU_SV_EUlSU_E_NS1_11comp_targetILNS1_3genE5ELNS1_11target_archE942ELNS1_3gpuE9ELNS1_3repE0EEENS1_30default_config_static_selectorELNS0_4arch9wavefront6targetE0EEEvT1_
; %bb.0:
	.section	.rodata,"a",@progbits
	.p2align	6, 0x0
	.amdhsa_kernel _ZN7rocprim17ROCPRIM_400000_NS6detail17trampoline_kernelINS0_14default_configENS1_27scan_by_key_config_selectorIxxEEZZNS1_16scan_by_key_implILNS1_25lookback_scan_determinismE0ELb1ES3_N6thrust23THRUST_200600_302600_NS6detail15normal_iteratorINS9_10device_ptrIxEEEESE_SE_xNS9_10multipliesIxEENS9_8equal_toIxEExEE10hipError_tPvRmT2_T3_T4_T5_mT6_T7_P12ihipStream_tbENKUlT_T0_E_clISt17integral_constantIbLb1EESY_IbLb0EEEEDaSU_SV_EUlSU_E_NS1_11comp_targetILNS1_3genE5ELNS1_11target_archE942ELNS1_3gpuE9ELNS1_3repE0EEENS1_30default_config_static_selectorELNS0_4arch9wavefront6targetE0EEEvT1_
		.amdhsa_group_segment_fixed_size 0
		.amdhsa_private_segment_fixed_size 0
		.amdhsa_kernarg_size 136
		.amdhsa_user_sgpr_count 2
		.amdhsa_user_sgpr_dispatch_ptr 0
		.amdhsa_user_sgpr_queue_ptr 0
		.amdhsa_user_sgpr_kernarg_segment_ptr 1
		.amdhsa_user_sgpr_dispatch_id 0
		.amdhsa_user_sgpr_kernarg_preload_length 0
		.amdhsa_user_sgpr_kernarg_preload_offset 0
		.amdhsa_user_sgpr_private_segment_size 0
		.amdhsa_wavefront_size32 1
		.amdhsa_uses_dynamic_stack 0
		.amdhsa_enable_private_segment 0
		.amdhsa_system_sgpr_workgroup_id_x 1
		.amdhsa_system_sgpr_workgroup_id_y 0
		.amdhsa_system_sgpr_workgroup_id_z 0
		.amdhsa_system_sgpr_workgroup_info 0
		.amdhsa_system_vgpr_workitem_id 0
		.amdhsa_next_free_vgpr 1
		.amdhsa_next_free_sgpr 1
		.amdhsa_named_barrier_count 0
		.amdhsa_reserve_vcc 0
		.amdhsa_float_round_mode_32 0
		.amdhsa_float_round_mode_16_64 0
		.amdhsa_float_denorm_mode_32 3
		.amdhsa_float_denorm_mode_16_64 3
		.amdhsa_fp16_overflow 0
		.amdhsa_memory_ordered 1
		.amdhsa_forward_progress 1
		.amdhsa_inst_pref_size 0
		.amdhsa_round_robin_scheduling 0
		.amdhsa_exception_fp_ieee_invalid_op 0
		.amdhsa_exception_fp_denorm_src 0
		.amdhsa_exception_fp_ieee_div_zero 0
		.amdhsa_exception_fp_ieee_overflow 0
		.amdhsa_exception_fp_ieee_underflow 0
		.amdhsa_exception_fp_ieee_inexact 0
		.amdhsa_exception_int_div_zero 0
	.end_amdhsa_kernel
	.section	.text._ZN7rocprim17ROCPRIM_400000_NS6detail17trampoline_kernelINS0_14default_configENS1_27scan_by_key_config_selectorIxxEEZZNS1_16scan_by_key_implILNS1_25lookback_scan_determinismE0ELb1ES3_N6thrust23THRUST_200600_302600_NS6detail15normal_iteratorINS9_10device_ptrIxEEEESE_SE_xNS9_10multipliesIxEENS9_8equal_toIxEExEE10hipError_tPvRmT2_T3_T4_T5_mT6_T7_P12ihipStream_tbENKUlT_T0_E_clISt17integral_constantIbLb1EESY_IbLb0EEEEDaSU_SV_EUlSU_E_NS1_11comp_targetILNS1_3genE5ELNS1_11target_archE942ELNS1_3gpuE9ELNS1_3repE0EEENS1_30default_config_static_selectorELNS0_4arch9wavefront6targetE0EEEvT1_,"axG",@progbits,_ZN7rocprim17ROCPRIM_400000_NS6detail17trampoline_kernelINS0_14default_configENS1_27scan_by_key_config_selectorIxxEEZZNS1_16scan_by_key_implILNS1_25lookback_scan_determinismE0ELb1ES3_N6thrust23THRUST_200600_302600_NS6detail15normal_iteratorINS9_10device_ptrIxEEEESE_SE_xNS9_10multipliesIxEENS9_8equal_toIxEExEE10hipError_tPvRmT2_T3_T4_T5_mT6_T7_P12ihipStream_tbENKUlT_T0_E_clISt17integral_constantIbLb1EESY_IbLb0EEEEDaSU_SV_EUlSU_E_NS1_11comp_targetILNS1_3genE5ELNS1_11target_archE942ELNS1_3gpuE9ELNS1_3repE0EEENS1_30default_config_static_selectorELNS0_4arch9wavefront6targetE0EEEvT1_,comdat
.Lfunc_end409:
	.size	_ZN7rocprim17ROCPRIM_400000_NS6detail17trampoline_kernelINS0_14default_configENS1_27scan_by_key_config_selectorIxxEEZZNS1_16scan_by_key_implILNS1_25lookback_scan_determinismE0ELb1ES3_N6thrust23THRUST_200600_302600_NS6detail15normal_iteratorINS9_10device_ptrIxEEEESE_SE_xNS9_10multipliesIxEENS9_8equal_toIxEExEE10hipError_tPvRmT2_T3_T4_T5_mT6_T7_P12ihipStream_tbENKUlT_T0_E_clISt17integral_constantIbLb1EESY_IbLb0EEEEDaSU_SV_EUlSU_E_NS1_11comp_targetILNS1_3genE5ELNS1_11target_archE942ELNS1_3gpuE9ELNS1_3repE0EEENS1_30default_config_static_selectorELNS0_4arch9wavefront6targetE0EEEvT1_, .Lfunc_end409-_ZN7rocprim17ROCPRIM_400000_NS6detail17trampoline_kernelINS0_14default_configENS1_27scan_by_key_config_selectorIxxEEZZNS1_16scan_by_key_implILNS1_25lookback_scan_determinismE0ELb1ES3_N6thrust23THRUST_200600_302600_NS6detail15normal_iteratorINS9_10device_ptrIxEEEESE_SE_xNS9_10multipliesIxEENS9_8equal_toIxEExEE10hipError_tPvRmT2_T3_T4_T5_mT6_T7_P12ihipStream_tbENKUlT_T0_E_clISt17integral_constantIbLb1EESY_IbLb0EEEEDaSU_SV_EUlSU_E_NS1_11comp_targetILNS1_3genE5ELNS1_11target_archE942ELNS1_3gpuE9ELNS1_3repE0EEENS1_30default_config_static_selectorELNS0_4arch9wavefront6targetE0EEEvT1_
                                        ; -- End function
	.set _ZN7rocprim17ROCPRIM_400000_NS6detail17trampoline_kernelINS0_14default_configENS1_27scan_by_key_config_selectorIxxEEZZNS1_16scan_by_key_implILNS1_25lookback_scan_determinismE0ELb1ES3_N6thrust23THRUST_200600_302600_NS6detail15normal_iteratorINS9_10device_ptrIxEEEESE_SE_xNS9_10multipliesIxEENS9_8equal_toIxEExEE10hipError_tPvRmT2_T3_T4_T5_mT6_T7_P12ihipStream_tbENKUlT_T0_E_clISt17integral_constantIbLb1EESY_IbLb0EEEEDaSU_SV_EUlSU_E_NS1_11comp_targetILNS1_3genE5ELNS1_11target_archE942ELNS1_3gpuE9ELNS1_3repE0EEENS1_30default_config_static_selectorELNS0_4arch9wavefront6targetE0EEEvT1_.num_vgpr, 0
	.set _ZN7rocprim17ROCPRIM_400000_NS6detail17trampoline_kernelINS0_14default_configENS1_27scan_by_key_config_selectorIxxEEZZNS1_16scan_by_key_implILNS1_25lookback_scan_determinismE0ELb1ES3_N6thrust23THRUST_200600_302600_NS6detail15normal_iteratorINS9_10device_ptrIxEEEESE_SE_xNS9_10multipliesIxEENS9_8equal_toIxEExEE10hipError_tPvRmT2_T3_T4_T5_mT6_T7_P12ihipStream_tbENKUlT_T0_E_clISt17integral_constantIbLb1EESY_IbLb0EEEEDaSU_SV_EUlSU_E_NS1_11comp_targetILNS1_3genE5ELNS1_11target_archE942ELNS1_3gpuE9ELNS1_3repE0EEENS1_30default_config_static_selectorELNS0_4arch9wavefront6targetE0EEEvT1_.num_agpr, 0
	.set _ZN7rocprim17ROCPRIM_400000_NS6detail17trampoline_kernelINS0_14default_configENS1_27scan_by_key_config_selectorIxxEEZZNS1_16scan_by_key_implILNS1_25lookback_scan_determinismE0ELb1ES3_N6thrust23THRUST_200600_302600_NS6detail15normal_iteratorINS9_10device_ptrIxEEEESE_SE_xNS9_10multipliesIxEENS9_8equal_toIxEExEE10hipError_tPvRmT2_T3_T4_T5_mT6_T7_P12ihipStream_tbENKUlT_T0_E_clISt17integral_constantIbLb1EESY_IbLb0EEEEDaSU_SV_EUlSU_E_NS1_11comp_targetILNS1_3genE5ELNS1_11target_archE942ELNS1_3gpuE9ELNS1_3repE0EEENS1_30default_config_static_selectorELNS0_4arch9wavefront6targetE0EEEvT1_.numbered_sgpr, 0
	.set _ZN7rocprim17ROCPRIM_400000_NS6detail17trampoline_kernelINS0_14default_configENS1_27scan_by_key_config_selectorIxxEEZZNS1_16scan_by_key_implILNS1_25lookback_scan_determinismE0ELb1ES3_N6thrust23THRUST_200600_302600_NS6detail15normal_iteratorINS9_10device_ptrIxEEEESE_SE_xNS9_10multipliesIxEENS9_8equal_toIxEExEE10hipError_tPvRmT2_T3_T4_T5_mT6_T7_P12ihipStream_tbENKUlT_T0_E_clISt17integral_constantIbLb1EESY_IbLb0EEEEDaSU_SV_EUlSU_E_NS1_11comp_targetILNS1_3genE5ELNS1_11target_archE942ELNS1_3gpuE9ELNS1_3repE0EEENS1_30default_config_static_selectorELNS0_4arch9wavefront6targetE0EEEvT1_.num_named_barrier, 0
	.set _ZN7rocprim17ROCPRIM_400000_NS6detail17trampoline_kernelINS0_14default_configENS1_27scan_by_key_config_selectorIxxEEZZNS1_16scan_by_key_implILNS1_25lookback_scan_determinismE0ELb1ES3_N6thrust23THRUST_200600_302600_NS6detail15normal_iteratorINS9_10device_ptrIxEEEESE_SE_xNS9_10multipliesIxEENS9_8equal_toIxEExEE10hipError_tPvRmT2_T3_T4_T5_mT6_T7_P12ihipStream_tbENKUlT_T0_E_clISt17integral_constantIbLb1EESY_IbLb0EEEEDaSU_SV_EUlSU_E_NS1_11comp_targetILNS1_3genE5ELNS1_11target_archE942ELNS1_3gpuE9ELNS1_3repE0EEENS1_30default_config_static_selectorELNS0_4arch9wavefront6targetE0EEEvT1_.private_seg_size, 0
	.set _ZN7rocprim17ROCPRIM_400000_NS6detail17trampoline_kernelINS0_14default_configENS1_27scan_by_key_config_selectorIxxEEZZNS1_16scan_by_key_implILNS1_25lookback_scan_determinismE0ELb1ES3_N6thrust23THRUST_200600_302600_NS6detail15normal_iteratorINS9_10device_ptrIxEEEESE_SE_xNS9_10multipliesIxEENS9_8equal_toIxEExEE10hipError_tPvRmT2_T3_T4_T5_mT6_T7_P12ihipStream_tbENKUlT_T0_E_clISt17integral_constantIbLb1EESY_IbLb0EEEEDaSU_SV_EUlSU_E_NS1_11comp_targetILNS1_3genE5ELNS1_11target_archE942ELNS1_3gpuE9ELNS1_3repE0EEENS1_30default_config_static_selectorELNS0_4arch9wavefront6targetE0EEEvT1_.uses_vcc, 0
	.set _ZN7rocprim17ROCPRIM_400000_NS6detail17trampoline_kernelINS0_14default_configENS1_27scan_by_key_config_selectorIxxEEZZNS1_16scan_by_key_implILNS1_25lookback_scan_determinismE0ELb1ES3_N6thrust23THRUST_200600_302600_NS6detail15normal_iteratorINS9_10device_ptrIxEEEESE_SE_xNS9_10multipliesIxEENS9_8equal_toIxEExEE10hipError_tPvRmT2_T3_T4_T5_mT6_T7_P12ihipStream_tbENKUlT_T0_E_clISt17integral_constantIbLb1EESY_IbLb0EEEEDaSU_SV_EUlSU_E_NS1_11comp_targetILNS1_3genE5ELNS1_11target_archE942ELNS1_3gpuE9ELNS1_3repE0EEENS1_30default_config_static_selectorELNS0_4arch9wavefront6targetE0EEEvT1_.uses_flat_scratch, 0
	.set _ZN7rocprim17ROCPRIM_400000_NS6detail17trampoline_kernelINS0_14default_configENS1_27scan_by_key_config_selectorIxxEEZZNS1_16scan_by_key_implILNS1_25lookback_scan_determinismE0ELb1ES3_N6thrust23THRUST_200600_302600_NS6detail15normal_iteratorINS9_10device_ptrIxEEEESE_SE_xNS9_10multipliesIxEENS9_8equal_toIxEExEE10hipError_tPvRmT2_T3_T4_T5_mT6_T7_P12ihipStream_tbENKUlT_T0_E_clISt17integral_constantIbLb1EESY_IbLb0EEEEDaSU_SV_EUlSU_E_NS1_11comp_targetILNS1_3genE5ELNS1_11target_archE942ELNS1_3gpuE9ELNS1_3repE0EEENS1_30default_config_static_selectorELNS0_4arch9wavefront6targetE0EEEvT1_.has_dyn_sized_stack, 0
	.set _ZN7rocprim17ROCPRIM_400000_NS6detail17trampoline_kernelINS0_14default_configENS1_27scan_by_key_config_selectorIxxEEZZNS1_16scan_by_key_implILNS1_25lookback_scan_determinismE0ELb1ES3_N6thrust23THRUST_200600_302600_NS6detail15normal_iteratorINS9_10device_ptrIxEEEESE_SE_xNS9_10multipliesIxEENS9_8equal_toIxEExEE10hipError_tPvRmT2_T3_T4_T5_mT6_T7_P12ihipStream_tbENKUlT_T0_E_clISt17integral_constantIbLb1EESY_IbLb0EEEEDaSU_SV_EUlSU_E_NS1_11comp_targetILNS1_3genE5ELNS1_11target_archE942ELNS1_3gpuE9ELNS1_3repE0EEENS1_30default_config_static_selectorELNS0_4arch9wavefront6targetE0EEEvT1_.has_recursion, 0
	.set _ZN7rocprim17ROCPRIM_400000_NS6detail17trampoline_kernelINS0_14default_configENS1_27scan_by_key_config_selectorIxxEEZZNS1_16scan_by_key_implILNS1_25lookback_scan_determinismE0ELb1ES3_N6thrust23THRUST_200600_302600_NS6detail15normal_iteratorINS9_10device_ptrIxEEEESE_SE_xNS9_10multipliesIxEENS9_8equal_toIxEExEE10hipError_tPvRmT2_T3_T4_T5_mT6_T7_P12ihipStream_tbENKUlT_T0_E_clISt17integral_constantIbLb1EESY_IbLb0EEEEDaSU_SV_EUlSU_E_NS1_11comp_targetILNS1_3genE5ELNS1_11target_archE942ELNS1_3gpuE9ELNS1_3repE0EEENS1_30default_config_static_selectorELNS0_4arch9wavefront6targetE0EEEvT1_.has_indirect_call, 0
	.section	.AMDGPU.csdata,"",@progbits
; Kernel info:
; codeLenInByte = 0
; TotalNumSgprs: 0
; NumVgprs: 0
; ScratchSize: 0
; MemoryBound: 0
; FloatMode: 240
; IeeeMode: 1
; LDSByteSize: 0 bytes/workgroup (compile time only)
; SGPRBlocks: 0
; VGPRBlocks: 0
; NumSGPRsForWavesPerEU: 1
; NumVGPRsForWavesPerEU: 1
; NamedBarCnt: 0
; Occupancy: 16
; WaveLimiterHint : 0
; COMPUTE_PGM_RSRC2:SCRATCH_EN: 0
; COMPUTE_PGM_RSRC2:USER_SGPR: 2
; COMPUTE_PGM_RSRC2:TRAP_HANDLER: 0
; COMPUTE_PGM_RSRC2:TGID_X_EN: 1
; COMPUTE_PGM_RSRC2:TGID_Y_EN: 0
; COMPUTE_PGM_RSRC2:TGID_Z_EN: 0
; COMPUTE_PGM_RSRC2:TIDIG_COMP_CNT: 0
	.section	.text._ZN7rocprim17ROCPRIM_400000_NS6detail17trampoline_kernelINS0_14default_configENS1_27scan_by_key_config_selectorIxxEEZZNS1_16scan_by_key_implILNS1_25lookback_scan_determinismE0ELb1ES3_N6thrust23THRUST_200600_302600_NS6detail15normal_iteratorINS9_10device_ptrIxEEEESE_SE_xNS9_10multipliesIxEENS9_8equal_toIxEExEE10hipError_tPvRmT2_T3_T4_T5_mT6_T7_P12ihipStream_tbENKUlT_T0_E_clISt17integral_constantIbLb1EESY_IbLb0EEEEDaSU_SV_EUlSU_E_NS1_11comp_targetILNS1_3genE4ELNS1_11target_archE910ELNS1_3gpuE8ELNS1_3repE0EEENS1_30default_config_static_selectorELNS0_4arch9wavefront6targetE0EEEvT1_,"axG",@progbits,_ZN7rocprim17ROCPRIM_400000_NS6detail17trampoline_kernelINS0_14default_configENS1_27scan_by_key_config_selectorIxxEEZZNS1_16scan_by_key_implILNS1_25lookback_scan_determinismE0ELb1ES3_N6thrust23THRUST_200600_302600_NS6detail15normal_iteratorINS9_10device_ptrIxEEEESE_SE_xNS9_10multipliesIxEENS9_8equal_toIxEExEE10hipError_tPvRmT2_T3_T4_T5_mT6_T7_P12ihipStream_tbENKUlT_T0_E_clISt17integral_constantIbLb1EESY_IbLb0EEEEDaSU_SV_EUlSU_E_NS1_11comp_targetILNS1_3genE4ELNS1_11target_archE910ELNS1_3gpuE8ELNS1_3repE0EEENS1_30default_config_static_selectorELNS0_4arch9wavefront6targetE0EEEvT1_,comdat
	.protected	_ZN7rocprim17ROCPRIM_400000_NS6detail17trampoline_kernelINS0_14default_configENS1_27scan_by_key_config_selectorIxxEEZZNS1_16scan_by_key_implILNS1_25lookback_scan_determinismE0ELb1ES3_N6thrust23THRUST_200600_302600_NS6detail15normal_iteratorINS9_10device_ptrIxEEEESE_SE_xNS9_10multipliesIxEENS9_8equal_toIxEExEE10hipError_tPvRmT2_T3_T4_T5_mT6_T7_P12ihipStream_tbENKUlT_T0_E_clISt17integral_constantIbLb1EESY_IbLb0EEEEDaSU_SV_EUlSU_E_NS1_11comp_targetILNS1_3genE4ELNS1_11target_archE910ELNS1_3gpuE8ELNS1_3repE0EEENS1_30default_config_static_selectorELNS0_4arch9wavefront6targetE0EEEvT1_ ; -- Begin function _ZN7rocprim17ROCPRIM_400000_NS6detail17trampoline_kernelINS0_14default_configENS1_27scan_by_key_config_selectorIxxEEZZNS1_16scan_by_key_implILNS1_25lookback_scan_determinismE0ELb1ES3_N6thrust23THRUST_200600_302600_NS6detail15normal_iteratorINS9_10device_ptrIxEEEESE_SE_xNS9_10multipliesIxEENS9_8equal_toIxEExEE10hipError_tPvRmT2_T3_T4_T5_mT6_T7_P12ihipStream_tbENKUlT_T0_E_clISt17integral_constantIbLb1EESY_IbLb0EEEEDaSU_SV_EUlSU_E_NS1_11comp_targetILNS1_3genE4ELNS1_11target_archE910ELNS1_3gpuE8ELNS1_3repE0EEENS1_30default_config_static_selectorELNS0_4arch9wavefront6targetE0EEEvT1_
	.globl	_ZN7rocprim17ROCPRIM_400000_NS6detail17trampoline_kernelINS0_14default_configENS1_27scan_by_key_config_selectorIxxEEZZNS1_16scan_by_key_implILNS1_25lookback_scan_determinismE0ELb1ES3_N6thrust23THRUST_200600_302600_NS6detail15normal_iteratorINS9_10device_ptrIxEEEESE_SE_xNS9_10multipliesIxEENS9_8equal_toIxEExEE10hipError_tPvRmT2_T3_T4_T5_mT6_T7_P12ihipStream_tbENKUlT_T0_E_clISt17integral_constantIbLb1EESY_IbLb0EEEEDaSU_SV_EUlSU_E_NS1_11comp_targetILNS1_3genE4ELNS1_11target_archE910ELNS1_3gpuE8ELNS1_3repE0EEENS1_30default_config_static_selectorELNS0_4arch9wavefront6targetE0EEEvT1_
	.p2align	8
	.type	_ZN7rocprim17ROCPRIM_400000_NS6detail17trampoline_kernelINS0_14default_configENS1_27scan_by_key_config_selectorIxxEEZZNS1_16scan_by_key_implILNS1_25lookback_scan_determinismE0ELb1ES3_N6thrust23THRUST_200600_302600_NS6detail15normal_iteratorINS9_10device_ptrIxEEEESE_SE_xNS9_10multipliesIxEENS9_8equal_toIxEExEE10hipError_tPvRmT2_T3_T4_T5_mT6_T7_P12ihipStream_tbENKUlT_T0_E_clISt17integral_constantIbLb1EESY_IbLb0EEEEDaSU_SV_EUlSU_E_NS1_11comp_targetILNS1_3genE4ELNS1_11target_archE910ELNS1_3gpuE8ELNS1_3repE0EEENS1_30default_config_static_selectorELNS0_4arch9wavefront6targetE0EEEvT1_,@function
_ZN7rocprim17ROCPRIM_400000_NS6detail17trampoline_kernelINS0_14default_configENS1_27scan_by_key_config_selectorIxxEEZZNS1_16scan_by_key_implILNS1_25lookback_scan_determinismE0ELb1ES3_N6thrust23THRUST_200600_302600_NS6detail15normal_iteratorINS9_10device_ptrIxEEEESE_SE_xNS9_10multipliesIxEENS9_8equal_toIxEExEE10hipError_tPvRmT2_T3_T4_T5_mT6_T7_P12ihipStream_tbENKUlT_T0_E_clISt17integral_constantIbLb1EESY_IbLb0EEEEDaSU_SV_EUlSU_E_NS1_11comp_targetILNS1_3genE4ELNS1_11target_archE910ELNS1_3gpuE8ELNS1_3repE0EEENS1_30default_config_static_selectorELNS0_4arch9wavefront6targetE0EEEvT1_: ; @_ZN7rocprim17ROCPRIM_400000_NS6detail17trampoline_kernelINS0_14default_configENS1_27scan_by_key_config_selectorIxxEEZZNS1_16scan_by_key_implILNS1_25lookback_scan_determinismE0ELb1ES3_N6thrust23THRUST_200600_302600_NS6detail15normal_iteratorINS9_10device_ptrIxEEEESE_SE_xNS9_10multipliesIxEENS9_8equal_toIxEExEE10hipError_tPvRmT2_T3_T4_T5_mT6_T7_P12ihipStream_tbENKUlT_T0_E_clISt17integral_constantIbLb1EESY_IbLb0EEEEDaSU_SV_EUlSU_E_NS1_11comp_targetILNS1_3genE4ELNS1_11target_archE910ELNS1_3gpuE8ELNS1_3repE0EEENS1_30default_config_static_selectorELNS0_4arch9wavefront6targetE0EEEvT1_
; %bb.0:
	.section	.rodata,"a",@progbits
	.p2align	6, 0x0
	.amdhsa_kernel _ZN7rocprim17ROCPRIM_400000_NS6detail17trampoline_kernelINS0_14default_configENS1_27scan_by_key_config_selectorIxxEEZZNS1_16scan_by_key_implILNS1_25lookback_scan_determinismE0ELb1ES3_N6thrust23THRUST_200600_302600_NS6detail15normal_iteratorINS9_10device_ptrIxEEEESE_SE_xNS9_10multipliesIxEENS9_8equal_toIxEExEE10hipError_tPvRmT2_T3_T4_T5_mT6_T7_P12ihipStream_tbENKUlT_T0_E_clISt17integral_constantIbLb1EESY_IbLb0EEEEDaSU_SV_EUlSU_E_NS1_11comp_targetILNS1_3genE4ELNS1_11target_archE910ELNS1_3gpuE8ELNS1_3repE0EEENS1_30default_config_static_selectorELNS0_4arch9wavefront6targetE0EEEvT1_
		.amdhsa_group_segment_fixed_size 0
		.amdhsa_private_segment_fixed_size 0
		.amdhsa_kernarg_size 136
		.amdhsa_user_sgpr_count 2
		.amdhsa_user_sgpr_dispatch_ptr 0
		.amdhsa_user_sgpr_queue_ptr 0
		.amdhsa_user_sgpr_kernarg_segment_ptr 1
		.amdhsa_user_sgpr_dispatch_id 0
		.amdhsa_user_sgpr_kernarg_preload_length 0
		.amdhsa_user_sgpr_kernarg_preload_offset 0
		.amdhsa_user_sgpr_private_segment_size 0
		.amdhsa_wavefront_size32 1
		.amdhsa_uses_dynamic_stack 0
		.amdhsa_enable_private_segment 0
		.amdhsa_system_sgpr_workgroup_id_x 1
		.amdhsa_system_sgpr_workgroup_id_y 0
		.amdhsa_system_sgpr_workgroup_id_z 0
		.amdhsa_system_sgpr_workgroup_info 0
		.amdhsa_system_vgpr_workitem_id 0
		.amdhsa_next_free_vgpr 1
		.amdhsa_next_free_sgpr 1
		.amdhsa_named_barrier_count 0
		.amdhsa_reserve_vcc 0
		.amdhsa_float_round_mode_32 0
		.amdhsa_float_round_mode_16_64 0
		.amdhsa_float_denorm_mode_32 3
		.amdhsa_float_denorm_mode_16_64 3
		.amdhsa_fp16_overflow 0
		.amdhsa_memory_ordered 1
		.amdhsa_forward_progress 1
		.amdhsa_inst_pref_size 0
		.amdhsa_round_robin_scheduling 0
		.amdhsa_exception_fp_ieee_invalid_op 0
		.amdhsa_exception_fp_denorm_src 0
		.amdhsa_exception_fp_ieee_div_zero 0
		.amdhsa_exception_fp_ieee_overflow 0
		.amdhsa_exception_fp_ieee_underflow 0
		.amdhsa_exception_fp_ieee_inexact 0
		.amdhsa_exception_int_div_zero 0
	.end_amdhsa_kernel
	.section	.text._ZN7rocprim17ROCPRIM_400000_NS6detail17trampoline_kernelINS0_14default_configENS1_27scan_by_key_config_selectorIxxEEZZNS1_16scan_by_key_implILNS1_25lookback_scan_determinismE0ELb1ES3_N6thrust23THRUST_200600_302600_NS6detail15normal_iteratorINS9_10device_ptrIxEEEESE_SE_xNS9_10multipliesIxEENS9_8equal_toIxEExEE10hipError_tPvRmT2_T3_T4_T5_mT6_T7_P12ihipStream_tbENKUlT_T0_E_clISt17integral_constantIbLb1EESY_IbLb0EEEEDaSU_SV_EUlSU_E_NS1_11comp_targetILNS1_3genE4ELNS1_11target_archE910ELNS1_3gpuE8ELNS1_3repE0EEENS1_30default_config_static_selectorELNS0_4arch9wavefront6targetE0EEEvT1_,"axG",@progbits,_ZN7rocprim17ROCPRIM_400000_NS6detail17trampoline_kernelINS0_14default_configENS1_27scan_by_key_config_selectorIxxEEZZNS1_16scan_by_key_implILNS1_25lookback_scan_determinismE0ELb1ES3_N6thrust23THRUST_200600_302600_NS6detail15normal_iteratorINS9_10device_ptrIxEEEESE_SE_xNS9_10multipliesIxEENS9_8equal_toIxEExEE10hipError_tPvRmT2_T3_T4_T5_mT6_T7_P12ihipStream_tbENKUlT_T0_E_clISt17integral_constantIbLb1EESY_IbLb0EEEEDaSU_SV_EUlSU_E_NS1_11comp_targetILNS1_3genE4ELNS1_11target_archE910ELNS1_3gpuE8ELNS1_3repE0EEENS1_30default_config_static_selectorELNS0_4arch9wavefront6targetE0EEEvT1_,comdat
.Lfunc_end410:
	.size	_ZN7rocprim17ROCPRIM_400000_NS6detail17trampoline_kernelINS0_14default_configENS1_27scan_by_key_config_selectorIxxEEZZNS1_16scan_by_key_implILNS1_25lookback_scan_determinismE0ELb1ES3_N6thrust23THRUST_200600_302600_NS6detail15normal_iteratorINS9_10device_ptrIxEEEESE_SE_xNS9_10multipliesIxEENS9_8equal_toIxEExEE10hipError_tPvRmT2_T3_T4_T5_mT6_T7_P12ihipStream_tbENKUlT_T0_E_clISt17integral_constantIbLb1EESY_IbLb0EEEEDaSU_SV_EUlSU_E_NS1_11comp_targetILNS1_3genE4ELNS1_11target_archE910ELNS1_3gpuE8ELNS1_3repE0EEENS1_30default_config_static_selectorELNS0_4arch9wavefront6targetE0EEEvT1_, .Lfunc_end410-_ZN7rocprim17ROCPRIM_400000_NS6detail17trampoline_kernelINS0_14default_configENS1_27scan_by_key_config_selectorIxxEEZZNS1_16scan_by_key_implILNS1_25lookback_scan_determinismE0ELb1ES3_N6thrust23THRUST_200600_302600_NS6detail15normal_iteratorINS9_10device_ptrIxEEEESE_SE_xNS9_10multipliesIxEENS9_8equal_toIxEExEE10hipError_tPvRmT2_T3_T4_T5_mT6_T7_P12ihipStream_tbENKUlT_T0_E_clISt17integral_constantIbLb1EESY_IbLb0EEEEDaSU_SV_EUlSU_E_NS1_11comp_targetILNS1_3genE4ELNS1_11target_archE910ELNS1_3gpuE8ELNS1_3repE0EEENS1_30default_config_static_selectorELNS0_4arch9wavefront6targetE0EEEvT1_
                                        ; -- End function
	.set _ZN7rocprim17ROCPRIM_400000_NS6detail17trampoline_kernelINS0_14default_configENS1_27scan_by_key_config_selectorIxxEEZZNS1_16scan_by_key_implILNS1_25lookback_scan_determinismE0ELb1ES3_N6thrust23THRUST_200600_302600_NS6detail15normal_iteratorINS9_10device_ptrIxEEEESE_SE_xNS9_10multipliesIxEENS9_8equal_toIxEExEE10hipError_tPvRmT2_T3_T4_T5_mT6_T7_P12ihipStream_tbENKUlT_T0_E_clISt17integral_constantIbLb1EESY_IbLb0EEEEDaSU_SV_EUlSU_E_NS1_11comp_targetILNS1_3genE4ELNS1_11target_archE910ELNS1_3gpuE8ELNS1_3repE0EEENS1_30default_config_static_selectorELNS0_4arch9wavefront6targetE0EEEvT1_.num_vgpr, 0
	.set _ZN7rocprim17ROCPRIM_400000_NS6detail17trampoline_kernelINS0_14default_configENS1_27scan_by_key_config_selectorIxxEEZZNS1_16scan_by_key_implILNS1_25lookback_scan_determinismE0ELb1ES3_N6thrust23THRUST_200600_302600_NS6detail15normal_iteratorINS9_10device_ptrIxEEEESE_SE_xNS9_10multipliesIxEENS9_8equal_toIxEExEE10hipError_tPvRmT2_T3_T4_T5_mT6_T7_P12ihipStream_tbENKUlT_T0_E_clISt17integral_constantIbLb1EESY_IbLb0EEEEDaSU_SV_EUlSU_E_NS1_11comp_targetILNS1_3genE4ELNS1_11target_archE910ELNS1_3gpuE8ELNS1_3repE0EEENS1_30default_config_static_selectorELNS0_4arch9wavefront6targetE0EEEvT1_.num_agpr, 0
	.set _ZN7rocprim17ROCPRIM_400000_NS6detail17trampoline_kernelINS0_14default_configENS1_27scan_by_key_config_selectorIxxEEZZNS1_16scan_by_key_implILNS1_25lookback_scan_determinismE0ELb1ES3_N6thrust23THRUST_200600_302600_NS6detail15normal_iteratorINS9_10device_ptrIxEEEESE_SE_xNS9_10multipliesIxEENS9_8equal_toIxEExEE10hipError_tPvRmT2_T3_T4_T5_mT6_T7_P12ihipStream_tbENKUlT_T0_E_clISt17integral_constantIbLb1EESY_IbLb0EEEEDaSU_SV_EUlSU_E_NS1_11comp_targetILNS1_3genE4ELNS1_11target_archE910ELNS1_3gpuE8ELNS1_3repE0EEENS1_30default_config_static_selectorELNS0_4arch9wavefront6targetE0EEEvT1_.numbered_sgpr, 0
	.set _ZN7rocprim17ROCPRIM_400000_NS6detail17trampoline_kernelINS0_14default_configENS1_27scan_by_key_config_selectorIxxEEZZNS1_16scan_by_key_implILNS1_25lookback_scan_determinismE0ELb1ES3_N6thrust23THRUST_200600_302600_NS6detail15normal_iteratorINS9_10device_ptrIxEEEESE_SE_xNS9_10multipliesIxEENS9_8equal_toIxEExEE10hipError_tPvRmT2_T3_T4_T5_mT6_T7_P12ihipStream_tbENKUlT_T0_E_clISt17integral_constantIbLb1EESY_IbLb0EEEEDaSU_SV_EUlSU_E_NS1_11comp_targetILNS1_3genE4ELNS1_11target_archE910ELNS1_3gpuE8ELNS1_3repE0EEENS1_30default_config_static_selectorELNS0_4arch9wavefront6targetE0EEEvT1_.num_named_barrier, 0
	.set _ZN7rocprim17ROCPRIM_400000_NS6detail17trampoline_kernelINS0_14default_configENS1_27scan_by_key_config_selectorIxxEEZZNS1_16scan_by_key_implILNS1_25lookback_scan_determinismE0ELb1ES3_N6thrust23THRUST_200600_302600_NS6detail15normal_iteratorINS9_10device_ptrIxEEEESE_SE_xNS9_10multipliesIxEENS9_8equal_toIxEExEE10hipError_tPvRmT2_T3_T4_T5_mT6_T7_P12ihipStream_tbENKUlT_T0_E_clISt17integral_constantIbLb1EESY_IbLb0EEEEDaSU_SV_EUlSU_E_NS1_11comp_targetILNS1_3genE4ELNS1_11target_archE910ELNS1_3gpuE8ELNS1_3repE0EEENS1_30default_config_static_selectorELNS0_4arch9wavefront6targetE0EEEvT1_.private_seg_size, 0
	.set _ZN7rocprim17ROCPRIM_400000_NS6detail17trampoline_kernelINS0_14default_configENS1_27scan_by_key_config_selectorIxxEEZZNS1_16scan_by_key_implILNS1_25lookback_scan_determinismE0ELb1ES3_N6thrust23THRUST_200600_302600_NS6detail15normal_iteratorINS9_10device_ptrIxEEEESE_SE_xNS9_10multipliesIxEENS9_8equal_toIxEExEE10hipError_tPvRmT2_T3_T4_T5_mT6_T7_P12ihipStream_tbENKUlT_T0_E_clISt17integral_constantIbLb1EESY_IbLb0EEEEDaSU_SV_EUlSU_E_NS1_11comp_targetILNS1_3genE4ELNS1_11target_archE910ELNS1_3gpuE8ELNS1_3repE0EEENS1_30default_config_static_selectorELNS0_4arch9wavefront6targetE0EEEvT1_.uses_vcc, 0
	.set _ZN7rocprim17ROCPRIM_400000_NS6detail17trampoline_kernelINS0_14default_configENS1_27scan_by_key_config_selectorIxxEEZZNS1_16scan_by_key_implILNS1_25lookback_scan_determinismE0ELb1ES3_N6thrust23THRUST_200600_302600_NS6detail15normal_iteratorINS9_10device_ptrIxEEEESE_SE_xNS9_10multipliesIxEENS9_8equal_toIxEExEE10hipError_tPvRmT2_T3_T4_T5_mT6_T7_P12ihipStream_tbENKUlT_T0_E_clISt17integral_constantIbLb1EESY_IbLb0EEEEDaSU_SV_EUlSU_E_NS1_11comp_targetILNS1_3genE4ELNS1_11target_archE910ELNS1_3gpuE8ELNS1_3repE0EEENS1_30default_config_static_selectorELNS0_4arch9wavefront6targetE0EEEvT1_.uses_flat_scratch, 0
	.set _ZN7rocprim17ROCPRIM_400000_NS6detail17trampoline_kernelINS0_14default_configENS1_27scan_by_key_config_selectorIxxEEZZNS1_16scan_by_key_implILNS1_25lookback_scan_determinismE0ELb1ES3_N6thrust23THRUST_200600_302600_NS6detail15normal_iteratorINS9_10device_ptrIxEEEESE_SE_xNS9_10multipliesIxEENS9_8equal_toIxEExEE10hipError_tPvRmT2_T3_T4_T5_mT6_T7_P12ihipStream_tbENKUlT_T0_E_clISt17integral_constantIbLb1EESY_IbLb0EEEEDaSU_SV_EUlSU_E_NS1_11comp_targetILNS1_3genE4ELNS1_11target_archE910ELNS1_3gpuE8ELNS1_3repE0EEENS1_30default_config_static_selectorELNS0_4arch9wavefront6targetE0EEEvT1_.has_dyn_sized_stack, 0
	.set _ZN7rocprim17ROCPRIM_400000_NS6detail17trampoline_kernelINS0_14default_configENS1_27scan_by_key_config_selectorIxxEEZZNS1_16scan_by_key_implILNS1_25lookback_scan_determinismE0ELb1ES3_N6thrust23THRUST_200600_302600_NS6detail15normal_iteratorINS9_10device_ptrIxEEEESE_SE_xNS9_10multipliesIxEENS9_8equal_toIxEExEE10hipError_tPvRmT2_T3_T4_T5_mT6_T7_P12ihipStream_tbENKUlT_T0_E_clISt17integral_constantIbLb1EESY_IbLb0EEEEDaSU_SV_EUlSU_E_NS1_11comp_targetILNS1_3genE4ELNS1_11target_archE910ELNS1_3gpuE8ELNS1_3repE0EEENS1_30default_config_static_selectorELNS0_4arch9wavefront6targetE0EEEvT1_.has_recursion, 0
	.set _ZN7rocprim17ROCPRIM_400000_NS6detail17trampoline_kernelINS0_14default_configENS1_27scan_by_key_config_selectorIxxEEZZNS1_16scan_by_key_implILNS1_25lookback_scan_determinismE0ELb1ES3_N6thrust23THRUST_200600_302600_NS6detail15normal_iteratorINS9_10device_ptrIxEEEESE_SE_xNS9_10multipliesIxEENS9_8equal_toIxEExEE10hipError_tPvRmT2_T3_T4_T5_mT6_T7_P12ihipStream_tbENKUlT_T0_E_clISt17integral_constantIbLb1EESY_IbLb0EEEEDaSU_SV_EUlSU_E_NS1_11comp_targetILNS1_3genE4ELNS1_11target_archE910ELNS1_3gpuE8ELNS1_3repE0EEENS1_30default_config_static_selectorELNS0_4arch9wavefront6targetE0EEEvT1_.has_indirect_call, 0
	.section	.AMDGPU.csdata,"",@progbits
; Kernel info:
; codeLenInByte = 0
; TotalNumSgprs: 0
; NumVgprs: 0
; ScratchSize: 0
; MemoryBound: 0
; FloatMode: 240
; IeeeMode: 1
; LDSByteSize: 0 bytes/workgroup (compile time only)
; SGPRBlocks: 0
; VGPRBlocks: 0
; NumSGPRsForWavesPerEU: 1
; NumVGPRsForWavesPerEU: 1
; NamedBarCnt: 0
; Occupancy: 16
; WaveLimiterHint : 0
; COMPUTE_PGM_RSRC2:SCRATCH_EN: 0
; COMPUTE_PGM_RSRC2:USER_SGPR: 2
; COMPUTE_PGM_RSRC2:TRAP_HANDLER: 0
; COMPUTE_PGM_RSRC2:TGID_X_EN: 1
; COMPUTE_PGM_RSRC2:TGID_Y_EN: 0
; COMPUTE_PGM_RSRC2:TGID_Z_EN: 0
; COMPUTE_PGM_RSRC2:TIDIG_COMP_CNT: 0
	.section	.text._ZN7rocprim17ROCPRIM_400000_NS6detail17trampoline_kernelINS0_14default_configENS1_27scan_by_key_config_selectorIxxEEZZNS1_16scan_by_key_implILNS1_25lookback_scan_determinismE0ELb1ES3_N6thrust23THRUST_200600_302600_NS6detail15normal_iteratorINS9_10device_ptrIxEEEESE_SE_xNS9_10multipliesIxEENS9_8equal_toIxEExEE10hipError_tPvRmT2_T3_T4_T5_mT6_T7_P12ihipStream_tbENKUlT_T0_E_clISt17integral_constantIbLb1EESY_IbLb0EEEEDaSU_SV_EUlSU_E_NS1_11comp_targetILNS1_3genE3ELNS1_11target_archE908ELNS1_3gpuE7ELNS1_3repE0EEENS1_30default_config_static_selectorELNS0_4arch9wavefront6targetE0EEEvT1_,"axG",@progbits,_ZN7rocprim17ROCPRIM_400000_NS6detail17trampoline_kernelINS0_14default_configENS1_27scan_by_key_config_selectorIxxEEZZNS1_16scan_by_key_implILNS1_25lookback_scan_determinismE0ELb1ES3_N6thrust23THRUST_200600_302600_NS6detail15normal_iteratorINS9_10device_ptrIxEEEESE_SE_xNS9_10multipliesIxEENS9_8equal_toIxEExEE10hipError_tPvRmT2_T3_T4_T5_mT6_T7_P12ihipStream_tbENKUlT_T0_E_clISt17integral_constantIbLb1EESY_IbLb0EEEEDaSU_SV_EUlSU_E_NS1_11comp_targetILNS1_3genE3ELNS1_11target_archE908ELNS1_3gpuE7ELNS1_3repE0EEENS1_30default_config_static_selectorELNS0_4arch9wavefront6targetE0EEEvT1_,comdat
	.protected	_ZN7rocprim17ROCPRIM_400000_NS6detail17trampoline_kernelINS0_14default_configENS1_27scan_by_key_config_selectorIxxEEZZNS1_16scan_by_key_implILNS1_25lookback_scan_determinismE0ELb1ES3_N6thrust23THRUST_200600_302600_NS6detail15normal_iteratorINS9_10device_ptrIxEEEESE_SE_xNS9_10multipliesIxEENS9_8equal_toIxEExEE10hipError_tPvRmT2_T3_T4_T5_mT6_T7_P12ihipStream_tbENKUlT_T0_E_clISt17integral_constantIbLb1EESY_IbLb0EEEEDaSU_SV_EUlSU_E_NS1_11comp_targetILNS1_3genE3ELNS1_11target_archE908ELNS1_3gpuE7ELNS1_3repE0EEENS1_30default_config_static_selectorELNS0_4arch9wavefront6targetE0EEEvT1_ ; -- Begin function _ZN7rocprim17ROCPRIM_400000_NS6detail17trampoline_kernelINS0_14default_configENS1_27scan_by_key_config_selectorIxxEEZZNS1_16scan_by_key_implILNS1_25lookback_scan_determinismE0ELb1ES3_N6thrust23THRUST_200600_302600_NS6detail15normal_iteratorINS9_10device_ptrIxEEEESE_SE_xNS9_10multipliesIxEENS9_8equal_toIxEExEE10hipError_tPvRmT2_T3_T4_T5_mT6_T7_P12ihipStream_tbENKUlT_T0_E_clISt17integral_constantIbLb1EESY_IbLb0EEEEDaSU_SV_EUlSU_E_NS1_11comp_targetILNS1_3genE3ELNS1_11target_archE908ELNS1_3gpuE7ELNS1_3repE0EEENS1_30default_config_static_selectorELNS0_4arch9wavefront6targetE0EEEvT1_
	.globl	_ZN7rocprim17ROCPRIM_400000_NS6detail17trampoline_kernelINS0_14default_configENS1_27scan_by_key_config_selectorIxxEEZZNS1_16scan_by_key_implILNS1_25lookback_scan_determinismE0ELb1ES3_N6thrust23THRUST_200600_302600_NS6detail15normal_iteratorINS9_10device_ptrIxEEEESE_SE_xNS9_10multipliesIxEENS9_8equal_toIxEExEE10hipError_tPvRmT2_T3_T4_T5_mT6_T7_P12ihipStream_tbENKUlT_T0_E_clISt17integral_constantIbLb1EESY_IbLb0EEEEDaSU_SV_EUlSU_E_NS1_11comp_targetILNS1_3genE3ELNS1_11target_archE908ELNS1_3gpuE7ELNS1_3repE0EEENS1_30default_config_static_selectorELNS0_4arch9wavefront6targetE0EEEvT1_
	.p2align	8
	.type	_ZN7rocprim17ROCPRIM_400000_NS6detail17trampoline_kernelINS0_14default_configENS1_27scan_by_key_config_selectorIxxEEZZNS1_16scan_by_key_implILNS1_25lookback_scan_determinismE0ELb1ES3_N6thrust23THRUST_200600_302600_NS6detail15normal_iteratorINS9_10device_ptrIxEEEESE_SE_xNS9_10multipliesIxEENS9_8equal_toIxEExEE10hipError_tPvRmT2_T3_T4_T5_mT6_T7_P12ihipStream_tbENKUlT_T0_E_clISt17integral_constantIbLb1EESY_IbLb0EEEEDaSU_SV_EUlSU_E_NS1_11comp_targetILNS1_3genE3ELNS1_11target_archE908ELNS1_3gpuE7ELNS1_3repE0EEENS1_30default_config_static_selectorELNS0_4arch9wavefront6targetE0EEEvT1_,@function
_ZN7rocprim17ROCPRIM_400000_NS6detail17trampoline_kernelINS0_14default_configENS1_27scan_by_key_config_selectorIxxEEZZNS1_16scan_by_key_implILNS1_25lookback_scan_determinismE0ELb1ES3_N6thrust23THRUST_200600_302600_NS6detail15normal_iteratorINS9_10device_ptrIxEEEESE_SE_xNS9_10multipliesIxEENS9_8equal_toIxEExEE10hipError_tPvRmT2_T3_T4_T5_mT6_T7_P12ihipStream_tbENKUlT_T0_E_clISt17integral_constantIbLb1EESY_IbLb0EEEEDaSU_SV_EUlSU_E_NS1_11comp_targetILNS1_3genE3ELNS1_11target_archE908ELNS1_3gpuE7ELNS1_3repE0EEENS1_30default_config_static_selectorELNS0_4arch9wavefront6targetE0EEEvT1_: ; @_ZN7rocprim17ROCPRIM_400000_NS6detail17trampoline_kernelINS0_14default_configENS1_27scan_by_key_config_selectorIxxEEZZNS1_16scan_by_key_implILNS1_25lookback_scan_determinismE0ELb1ES3_N6thrust23THRUST_200600_302600_NS6detail15normal_iteratorINS9_10device_ptrIxEEEESE_SE_xNS9_10multipliesIxEENS9_8equal_toIxEExEE10hipError_tPvRmT2_T3_T4_T5_mT6_T7_P12ihipStream_tbENKUlT_T0_E_clISt17integral_constantIbLb1EESY_IbLb0EEEEDaSU_SV_EUlSU_E_NS1_11comp_targetILNS1_3genE3ELNS1_11target_archE908ELNS1_3gpuE7ELNS1_3repE0EEENS1_30default_config_static_selectorELNS0_4arch9wavefront6targetE0EEEvT1_
; %bb.0:
	.section	.rodata,"a",@progbits
	.p2align	6, 0x0
	.amdhsa_kernel _ZN7rocprim17ROCPRIM_400000_NS6detail17trampoline_kernelINS0_14default_configENS1_27scan_by_key_config_selectorIxxEEZZNS1_16scan_by_key_implILNS1_25lookback_scan_determinismE0ELb1ES3_N6thrust23THRUST_200600_302600_NS6detail15normal_iteratorINS9_10device_ptrIxEEEESE_SE_xNS9_10multipliesIxEENS9_8equal_toIxEExEE10hipError_tPvRmT2_T3_T4_T5_mT6_T7_P12ihipStream_tbENKUlT_T0_E_clISt17integral_constantIbLb1EESY_IbLb0EEEEDaSU_SV_EUlSU_E_NS1_11comp_targetILNS1_3genE3ELNS1_11target_archE908ELNS1_3gpuE7ELNS1_3repE0EEENS1_30default_config_static_selectorELNS0_4arch9wavefront6targetE0EEEvT1_
		.amdhsa_group_segment_fixed_size 0
		.amdhsa_private_segment_fixed_size 0
		.amdhsa_kernarg_size 136
		.amdhsa_user_sgpr_count 2
		.amdhsa_user_sgpr_dispatch_ptr 0
		.amdhsa_user_sgpr_queue_ptr 0
		.amdhsa_user_sgpr_kernarg_segment_ptr 1
		.amdhsa_user_sgpr_dispatch_id 0
		.amdhsa_user_sgpr_kernarg_preload_length 0
		.amdhsa_user_sgpr_kernarg_preload_offset 0
		.amdhsa_user_sgpr_private_segment_size 0
		.amdhsa_wavefront_size32 1
		.amdhsa_uses_dynamic_stack 0
		.amdhsa_enable_private_segment 0
		.amdhsa_system_sgpr_workgroup_id_x 1
		.amdhsa_system_sgpr_workgroup_id_y 0
		.amdhsa_system_sgpr_workgroup_id_z 0
		.amdhsa_system_sgpr_workgroup_info 0
		.amdhsa_system_vgpr_workitem_id 0
		.amdhsa_next_free_vgpr 1
		.amdhsa_next_free_sgpr 1
		.amdhsa_named_barrier_count 0
		.amdhsa_reserve_vcc 0
		.amdhsa_float_round_mode_32 0
		.amdhsa_float_round_mode_16_64 0
		.amdhsa_float_denorm_mode_32 3
		.amdhsa_float_denorm_mode_16_64 3
		.amdhsa_fp16_overflow 0
		.amdhsa_memory_ordered 1
		.amdhsa_forward_progress 1
		.amdhsa_inst_pref_size 0
		.amdhsa_round_robin_scheduling 0
		.amdhsa_exception_fp_ieee_invalid_op 0
		.amdhsa_exception_fp_denorm_src 0
		.amdhsa_exception_fp_ieee_div_zero 0
		.amdhsa_exception_fp_ieee_overflow 0
		.amdhsa_exception_fp_ieee_underflow 0
		.amdhsa_exception_fp_ieee_inexact 0
		.amdhsa_exception_int_div_zero 0
	.end_amdhsa_kernel
	.section	.text._ZN7rocprim17ROCPRIM_400000_NS6detail17trampoline_kernelINS0_14default_configENS1_27scan_by_key_config_selectorIxxEEZZNS1_16scan_by_key_implILNS1_25lookback_scan_determinismE0ELb1ES3_N6thrust23THRUST_200600_302600_NS6detail15normal_iteratorINS9_10device_ptrIxEEEESE_SE_xNS9_10multipliesIxEENS9_8equal_toIxEExEE10hipError_tPvRmT2_T3_T4_T5_mT6_T7_P12ihipStream_tbENKUlT_T0_E_clISt17integral_constantIbLb1EESY_IbLb0EEEEDaSU_SV_EUlSU_E_NS1_11comp_targetILNS1_3genE3ELNS1_11target_archE908ELNS1_3gpuE7ELNS1_3repE0EEENS1_30default_config_static_selectorELNS0_4arch9wavefront6targetE0EEEvT1_,"axG",@progbits,_ZN7rocprim17ROCPRIM_400000_NS6detail17trampoline_kernelINS0_14default_configENS1_27scan_by_key_config_selectorIxxEEZZNS1_16scan_by_key_implILNS1_25lookback_scan_determinismE0ELb1ES3_N6thrust23THRUST_200600_302600_NS6detail15normal_iteratorINS9_10device_ptrIxEEEESE_SE_xNS9_10multipliesIxEENS9_8equal_toIxEExEE10hipError_tPvRmT2_T3_T4_T5_mT6_T7_P12ihipStream_tbENKUlT_T0_E_clISt17integral_constantIbLb1EESY_IbLb0EEEEDaSU_SV_EUlSU_E_NS1_11comp_targetILNS1_3genE3ELNS1_11target_archE908ELNS1_3gpuE7ELNS1_3repE0EEENS1_30default_config_static_selectorELNS0_4arch9wavefront6targetE0EEEvT1_,comdat
.Lfunc_end411:
	.size	_ZN7rocprim17ROCPRIM_400000_NS6detail17trampoline_kernelINS0_14default_configENS1_27scan_by_key_config_selectorIxxEEZZNS1_16scan_by_key_implILNS1_25lookback_scan_determinismE0ELb1ES3_N6thrust23THRUST_200600_302600_NS6detail15normal_iteratorINS9_10device_ptrIxEEEESE_SE_xNS9_10multipliesIxEENS9_8equal_toIxEExEE10hipError_tPvRmT2_T3_T4_T5_mT6_T7_P12ihipStream_tbENKUlT_T0_E_clISt17integral_constantIbLb1EESY_IbLb0EEEEDaSU_SV_EUlSU_E_NS1_11comp_targetILNS1_3genE3ELNS1_11target_archE908ELNS1_3gpuE7ELNS1_3repE0EEENS1_30default_config_static_selectorELNS0_4arch9wavefront6targetE0EEEvT1_, .Lfunc_end411-_ZN7rocprim17ROCPRIM_400000_NS6detail17trampoline_kernelINS0_14default_configENS1_27scan_by_key_config_selectorIxxEEZZNS1_16scan_by_key_implILNS1_25lookback_scan_determinismE0ELb1ES3_N6thrust23THRUST_200600_302600_NS6detail15normal_iteratorINS9_10device_ptrIxEEEESE_SE_xNS9_10multipliesIxEENS9_8equal_toIxEExEE10hipError_tPvRmT2_T3_T4_T5_mT6_T7_P12ihipStream_tbENKUlT_T0_E_clISt17integral_constantIbLb1EESY_IbLb0EEEEDaSU_SV_EUlSU_E_NS1_11comp_targetILNS1_3genE3ELNS1_11target_archE908ELNS1_3gpuE7ELNS1_3repE0EEENS1_30default_config_static_selectorELNS0_4arch9wavefront6targetE0EEEvT1_
                                        ; -- End function
	.set _ZN7rocprim17ROCPRIM_400000_NS6detail17trampoline_kernelINS0_14default_configENS1_27scan_by_key_config_selectorIxxEEZZNS1_16scan_by_key_implILNS1_25lookback_scan_determinismE0ELb1ES3_N6thrust23THRUST_200600_302600_NS6detail15normal_iteratorINS9_10device_ptrIxEEEESE_SE_xNS9_10multipliesIxEENS9_8equal_toIxEExEE10hipError_tPvRmT2_T3_T4_T5_mT6_T7_P12ihipStream_tbENKUlT_T0_E_clISt17integral_constantIbLb1EESY_IbLb0EEEEDaSU_SV_EUlSU_E_NS1_11comp_targetILNS1_3genE3ELNS1_11target_archE908ELNS1_3gpuE7ELNS1_3repE0EEENS1_30default_config_static_selectorELNS0_4arch9wavefront6targetE0EEEvT1_.num_vgpr, 0
	.set _ZN7rocprim17ROCPRIM_400000_NS6detail17trampoline_kernelINS0_14default_configENS1_27scan_by_key_config_selectorIxxEEZZNS1_16scan_by_key_implILNS1_25lookback_scan_determinismE0ELb1ES3_N6thrust23THRUST_200600_302600_NS6detail15normal_iteratorINS9_10device_ptrIxEEEESE_SE_xNS9_10multipliesIxEENS9_8equal_toIxEExEE10hipError_tPvRmT2_T3_T4_T5_mT6_T7_P12ihipStream_tbENKUlT_T0_E_clISt17integral_constantIbLb1EESY_IbLb0EEEEDaSU_SV_EUlSU_E_NS1_11comp_targetILNS1_3genE3ELNS1_11target_archE908ELNS1_3gpuE7ELNS1_3repE0EEENS1_30default_config_static_selectorELNS0_4arch9wavefront6targetE0EEEvT1_.num_agpr, 0
	.set _ZN7rocprim17ROCPRIM_400000_NS6detail17trampoline_kernelINS0_14default_configENS1_27scan_by_key_config_selectorIxxEEZZNS1_16scan_by_key_implILNS1_25lookback_scan_determinismE0ELb1ES3_N6thrust23THRUST_200600_302600_NS6detail15normal_iteratorINS9_10device_ptrIxEEEESE_SE_xNS9_10multipliesIxEENS9_8equal_toIxEExEE10hipError_tPvRmT2_T3_T4_T5_mT6_T7_P12ihipStream_tbENKUlT_T0_E_clISt17integral_constantIbLb1EESY_IbLb0EEEEDaSU_SV_EUlSU_E_NS1_11comp_targetILNS1_3genE3ELNS1_11target_archE908ELNS1_3gpuE7ELNS1_3repE0EEENS1_30default_config_static_selectorELNS0_4arch9wavefront6targetE0EEEvT1_.numbered_sgpr, 0
	.set _ZN7rocprim17ROCPRIM_400000_NS6detail17trampoline_kernelINS0_14default_configENS1_27scan_by_key_config_selectorIxxEEZZNS1_16scan_by_key_implILNS1_25lookback_scan_determinismE0ELb1ES3_N6thrust23THRUST_200600_302600_NS6detail15normal_iteratorINS9_10device_ptrIxEEEESE_SE_xNS9_10multipliesIxEENS9_8equal_toIxEExEE10hipError_tPvRmT2_T3_T4_T5_mT6_T7_P12ihipStream_tbENKUlT_T0_E_clISt17integral_constantIbLb1EESY_IbLb0EEEEDaSU_SV_EUlSU_E_NS1_11comp_targetILNS1_3genE3ELNS1_11target_archE908ELNS1_3gpuE7ELNS1_3repE0EEENS1_30default_config_static_selectorELNS0_4arch9wavefront6targetE0EEEvT1_.num_named_barrier, 0
	.set _ZN7rocprim17ROCPRIM_400000_NS6detail17trampoline_kernelINS0_14default_configENS1_27scan_by_key_config_selectorIxxEEZZNS1_16scan_by_key_implILNS1_25lookback_scan_determinismE0ELb1ES3_N6thrust23THRUST_200600_302600_NS6detail15normal_iteratorINS9_10device_ptrIxEEEESE_SE_xNS9_10multipliesIxEENS9_8equal_toIxEExEE10hipError_tPvRmT2_T3_T4_T5_mT6_T7_P12ihipStream_tbENKUlT_T0_E_clISt17integral_constantIbLb1EESY_IbLb0EEEEDaSU_SV_EUlSU_E_NS1_11comp_targetILNS1_3genE3ELNS1_11target_archE908ELNS1_3gpuE7ELNS1_3repE0EEENS1_30default_config_static_selectorELNS0_4arch9wavefront6targetE0EEEvT1_.private_seg_size, 0
	.set _ZN7rocprim17ROCPRIM_400000_NS6detail17trampoline_kernelINS0_14default_configENS1_27scan_by_key_config_selectorIxxEEZZNS1_16scan_by_key_implILNS1_25lookback_scan_determinismE0ELb1ES3_N6thrust23THRUST_200600_302600_NS6detail15normal_iteratorINS9_10device_ptrIxEEEESE_SE_xNS9_10multipliesIxEENS9_8equal_toIxEExEE10hipError_tPvRmT2_T3_T4_T5_mT6_T7_P12ihipStream_tbENKUlT_T0_E_clISt17integral_constantIbLb1EESY_IbLb0EEEEDaSU_SV_EUlSU_E_NS1_11comp_targetILNS1_3genE3ELNS1_11target_archE908ELNS1_3gpuE7ELNS1_3repE0EEENS1_30default_config_static_selectorELNS0_4arch9wavefront6targetE0EEEvT1_.uses_vcc, 0
	.set _ZN7rocprim17ROCPRIM_400000_NS6detail17trampoline_kernelINS0_14default_configENS1_27scan_by_key_config_selectorIxxEEZZNS1_16scan_by_key_implILNS1_25lookback_scan_determinismE0ELb1ES3_N6thrust23THRUST_200600_302600_NS6detail15normal_iteratorINS9_10device_ptrIxEEEESE_SE_xNS9_10multipliesIxEENS9_8equal_toIxEExEE10hipError_tPvRmT2_T3_T4_T5_mT6_T7_P12ihipStream_tbENKUlT_T0_E_clISt17integral_constantIbLb1EESY_IbLb0EEEEDaSU_SV_EUlSU_E_NS1_11comp_targetILNS1_3genE3ELNS1_11target_archE908ELNS1_3gpuE7ELNS1_3repE0EEENS1_30default_config_static_selectorELNS0_4arch9wavefront6targetE0EEEvT1_.uses_flat_scratch, 0
	.set _ZN7rocprim17ROCPRIM_400000_NS6detail17trampoline_kernelINS0_14default_configENS1_27scan_by_key_config_selectorIxxEEZZNS1_16scan_by_key_implILNS1_25lookback_scan_determinismE0ELb1ES3_N6thrust23THRUST_200600_302600_NS6detail15normal_iteratorINS9_10device_ptrIxEEEESE_SE_xNS9_10multipliesIxEENS9_8equal_toIxEExEE10hipError_tPvRmT2_T3_T4_T5_mT6_T7_P12ihipStream_tbENKUlT_T0_E_clISt17integral_constantIbLb1EESY_IbLb0EEEEDaSU_SV_EUlSU_E_NS1_11comp_targetILNS1_3genE3ELNS1_11target_archE908ELNS1_3gpuE7ELNS1_3repE0EEENS1_30default_config_static_selectorELNS0_4arch9wavefront6targetE0EEEvT1_.has_dyn_sized_stack, 0
	.set _ZN7rocprim17ROCPRIM_400000_NS6detail17trampoline_kernelINS0_14default_configENS1_27scan_by_key_config_selectorIxxEEZZNS1_16scan_by_key_implILNS1_25lookback_scan_determinismE0ELb1ES3_N6thrust23THRUST_200600_302600_NS6detail15normal_iteratorINS9_10device_ptrIxEEEESE_SE_xNS9_10multipliesIxEENS9_8equal_toIxEExEE10hipError_tPvRmT2_T3_T4_T5_mT6_T7_P12ihipStream_tbENKUlT_T0_E_clISt17integral_constantIbLb1EESY_IbLb0EEEEDaSU_SV_EUlSU_E_NS1_11comp_targetILNS1_3genE3ELNS1_11target_archE908ELNS1_3gpuE7ELNS1_3repE0EEENS1_30default_config_static_selectorELNS0_4arch9wavefront6targetE0EEEvT1_.has_recursion, 0
	.set _ZN7rocprim17ROCPRIM_400000_NS6detail17trampoline_kernelINS0_14default_configENS1_27scan_by_key_config_selectorIxxEEZZNS1_16scan_by_key_implILNS1_25lookback_scan_determinismE0ELb1ES3_N6thrust23THRUST_200600_302600_NS6detail15normal_iteratorINS9_10device_ptrIxEEEESE_SE_xNS9_10multipliesIxEENS9_8equal_toIxEExEE10hipError_tPvRmT2_T3_T4_T5_mT6_T7_P12ihipStream_tbENKUlT_T0_E_clISt17integral_constantIbLb1EESY_IbLb0EEEEDaSU_SV_EUlSU_E_NS1_11comp_targetILNS1_3genE3ELNS1_11target_archE908ELNS1_3gpuE7ELNS1_3repE0EEENS1_30default_config_static_selectorELNS0_4arch9wavefront6targetE0EEEvT1_.has_indirect_call, 0
	.section	.AMDGPU.csdata,"",@progbits
; Kernel info:
; codeLenInByte = 0
; TotalNumSgprs: 0
; NumVgprs: 0
; ScratchSize: 0
; MemoryBound: 0
; FloatMode: 240
; IeeeMode: 1
; LDSByteSize: 0 bytes/workgroup (compile time only)
; SGPRBlocks: 0
; VGPRBlocks: 0
; NumSGPRsForWavesPerEU: 1
; NumVGPRsForWavesPerEU: 1
; NamedBarCnt: 0
; Occupancy: 16
; WaveLimiterHint : 0
; COMPUTE_PGM_RSRC2:SCRATCH_EN: 0
; COMPUTE_PGM_RSRC2:USER_SGPR: 2
; COMPUTE_PGM_RSRC2:TRAP_HANDLER: 0
; COMPUTE_PGM_RSRC2:TGID_X_EN: 1
; COMPUTE_PGM_RSRC2:TGID_Y_EN: 0
; COMPUTE_PGM_RSRC2:TGID_Z_EN: 0
; COMPUTE_PGM_RSRC2:TIDIG_COMP_CNT: 0
	.section	.text._ZN7rocprim17ROCPRIM_400000_NS6detail17trampoline_kernelINS0_14default_configENS1_27scan_by_key_config_selectorIxxEEZZNS1_16scan_by_key_implILNS1_25lookback_scan_determinismE0ELb1ES3_N6thrust23THRUST_200600_302600_NS6detail15normal_iteratorINS9_10device_ptrIxEEEESE_SE_xNS9_10multipliesIxEENS9_8equal_toIxEExEE10hipError_tPvRmT2_T3_T4_T5_mT6_T7_P12ihipStream_tbENKUlT_T0_E_clISt17integral_constantIbLb1EESY_IbLb0EEEEDaSU_SV_EUlSU_E_NS1_11comp_targetILNS1_3genE2ELNS1_11target_archE906ELNS1_3gpuE6ELNS1_3repE0EEENS1_30default_config_static_selectorELNS0_4arch9wavefront6targetE0EEEvT1_,"axG",@progbits,_ZN7rocprim17ROCPRIM_400000_NS6detail17trampoline_kernelINS0_14default_configENS1_27scan_by_key_config_selectorIxxEEZZNS1_16scan_by_key_implILNS1_25lookback_scan_determinismE0ELb1ES3_N6thrust23THRUST_200600_302600_NS6detail15normal_iteratorINS9_10device_ptrIxEEEESE_SE_xNS9_10multipliesIxEENS9_8equal_toIxEExEE10hipError_tPvRmT2_T3_T4_T5_mT6_T7_P12ihipStream_tbENKUlT_T0_E_clISt17integral_constantIbLb1EESY_IbLb0EEEEDaSU_SV_EUlSU_E_NS1_11comp_targetILNS1_3genE2ELNS1_11target_archE906ELNS1_3gpuE6ELNS1_3repE0EEENS1_30default_config_static_selectorELNS0_4arch9wavefront6targetE0EEEvT1_,comdat
	.protected	_ZN7rocprim17ROCPRIM_400000_NS6detail17trampoline_kernelINS0_14default_configENS1_27scan_by_key_config_selectorIxxEEZZNS1_16scan_by_key_implILNS1_25lookback_scan_determinismE0ELb1ES3_N6thrust23THRUST_200600_302600_NS6detail15normal_iteratorINS9_10device_ptrIxEEEESE_SE_xNS9_10multipliesIxEENS9_8equal_toIxEExEE10hipError_tPvRmT2_T3_T4_T5_mT6_T7_P12ihipStream_tbENKUlT_T0_E_clISt17integral_constantIbLb1EESY_IbLb0EEEEDaSU_SV_EUlSU_E_NS1_11comp_targetILNS1_3genE2ELNS1_11target_archE906ELNS1_3gpuE6ELNS1_3repE0EEENS1_30default_config_static_selectorELNS0_4arch9wavefront6targetE0EEEvT1_ ; -- Begin function _ZN7rocprim17ROCPRIM_400000_NS6detail17trampoline_kernelINS0_14default_configENS1_27scan_by_key_config_selectorIxxEEZZNS1_16scan_by_key_implILNS1_25lookback_scan_determinismE0ELb1ES3_N6thrust23THRUST_200600_302600_NS6detail15normal_iteratorINS9_10device_ptrIxEEEESE_SE_xNS9_10multipliesIxEENS9_8equal_toIxEExEE10hipError_tPvRmT2_T3_T4_T5_mT6_T7_P12ihipStream_tbENKUlT_T0_E_clISt17integral_constantIbLb1EESY_IbLb0EEEEDaSU_SV_EUlSU_E_NS1_11comp_targetILNS1_3genE2ELNS1_11target_archE906ELNS1_3gpuE6ELNS1_3repE0EEENS1_30default_config_static_selectorELNS0_4arch9wavefront6targetE0EEEvT1_
	.globl	_ZN7rocprim17ROCPRIM_400000_NS6detail17trampoline_kernelINS0_14default_configENS1_27scan_by_key_config_selectorIxxEEZZNS1_16scan_by_key_implILNS1_25lookback_scan_determinismE0ELb1ES3_N6thrust23THRUST_200600_302600_NS6detail15normal_iteratorINS9_10device_ptrIxEEEESE_SE_xNS9_10multipliesIxEENS9_8equal_toIxEExEE10hipError_tPvRmT2_T3_T4_T5_mT6_T7_P12ihipStream_tbENKUlT_T0_E_clISt17integral_constantIbLb1EESY_IbLb0EEEEDaSU_SV_EUlSU_E_NS1_11comp_targetILNS1_3genE2ELNS1_11target_archE906ELNS1_3gpuE6ELNS1_3repE0EEENS1_30default_config_static_selectorELNS0_4arch9wavefront6targetE0EEEvT1_
	.p2align	8
	.type	_ZN7rocprim17ROCPRIM_400000_NS6detail17trampoline_kernelINS0_14default_configENS1_27scan_by_key_config_selectorIxxEEZZNS1_16scan_by_key_implILNS1_25lookback_scan_determinismE0ELb1ES3_N6thrust23THRUST_200600_302600_NS6detail15normal_iteratorINS9_10device_ptrIxEEEESE_SE_xNS9_10multipliesIxEENS9_8equal_toIxEExEE10hipError_tPvRmT2_T3_T4_T5_mT6_T7_P12ihipStream_tbENKUlT_T0_E_clISt17integral_constantIbLb1EESY_IbLb0EEEEDaSU_SV_EUlSU_E_NS1_11comp_targetILNS1_3genE2ELNS1_11target_archE906ELNS1_3gpuE6ELNS1_3repE0EEENS1_30default_config_static_selectorELNS0_4arch9wavefront6targetE0EEEvT1_,@function
_ZN7rocprim17ROCPRIM_400000_NS6detail17trampoline_kernelINS0_14default_configENS1_27scan_by_key_config_selectorIxxEEZZNS1_16scan_by_key_implILNS1_25lookback_scan_determinismE0ELb1ES3_N6thrust23THRUST_200600_302600_NS6detail15normal_iteratorINS9_10device_ptrIxEEEESE_SE_xNS9_10multipliesIxEENS9_8equal_toIxEExEE10hipError_tPvRmT2_T3_T4_T5_mT6_T7_P12ihipStream_tbENKUlT_T0_E_clISt17integral_constantIbLb1EESY_IbLb0EEEEDaSU_SV_EUlSU_E_NS1_11comp_targetILNS1_3genE2ELNS1_11target_archE906ELNS1_3gpuE6ELNS1_3repE0EEENS1_30default_config_static_selectorELNS0_4arch9wavefront6targetE0EEEvT1_: ; @_ZN7rocprim17ROCPRIM_400000_NS6detail17trampoline_kernelINS0_14default_configENS1_27scan_by_key_config_selectorIxxEEZZNS1_16scan_by_key_implILNS1_25lookback_scan_determinismE0ELb1ES3_N6thrust23THRUST_200600_302600_NS6detail15normal_iteratorINS9_10device_ptrIxEEEESE_SE_xNS9_10multipliesIxEENS9_8equal_toIxEExEE10hipError_tPvRmT2_T3_T4_T5_mT6_T7_P12ihipStream_tbENKUlT_T0_E_clISt17integral_constantIbLb1EESY_IbLb0EEEEDaSU_SV_EUlSU_E_NS1_11comp_targetILNS1_3genE2ELNS1_11target_archE906ELNS1_3gpuE6ELNS1_3repE0EEENS1_30default_config_static_selectorELNS0_4arch9wavefront6targetE0EEEvT1_
; %bb.0:
	.section	.rodata,"a",@progbits
	.p2align	6, 0x0
	.amdhsa_kernel _ZN7rocprim17ROCPRIM_400000_NS6detail17trampoline_kernelINS0_14default_configENS1_27scan_by_key_config_selectorIxxEEZZNS1_16scan_by_key_implILNS1_25lookback_scan_determinismE0ELb1ES3_N6thrust23THRUST_200600_302600_NS6detail15normal_iteratorINS9_10device_ptrIxEEEESE_SE_xNS9_10multipliesIxEENS9_8equal_toIxEExEE10hipError_tPvRmT2_T3_T4_T5_mT6_T7_P12ihipStream_tbENKUlT_T0_E_clISt17integral_constantIbLb1EESY_IbLb0EEEEDaSU_SV_EUlSU_E_NS1_11comp_targetILNS1_3genE2ELNS1_11target_archE906ELNS1_3gpuE6ELNS1_3repE0EEENS1_30default_config_static_selectorELNS0_4arch9wavefront6targetE0EEEvT1_
		.amdhsa_group_segment_fixed_size 0
		.amdhsa_private_segment_fixed_size 0
		.amdhsa_kernarg_size 136
		.amdhsa_user_sgpr_count 2
		.amdhsa_user_sgpr_dispatch_ptr 0
		.amdhsa_user_sgpr_queue_ptr 0
		.amdhsa_user_sgpr_kernarg_segment_ptr 1
		.amdhsa_user_sgpr_dispatch_id 0
		.amdhsa_user_sgpr_kernarg_preload_length 0
		.amdhsa_user_sgpr_kernarg_preload_offset 0
		.amdhsa_user_sgpr_private_segment_size 0
		.amdhsa_wavefront_size32 1
		.amdhsa_uses_dynamic_stack 0
		.amdhsa_enable_private_segment 0
		.amdhsa_system_sgpr_workgroup_id_x 1
		.amdhsa_system_sgpr_workgroup_id_y 0
		.amdhsa_system_sgpr_workgroup_id_z 0
		.amdhsa_system_sgpr_workgroup_info 0
		.amdhsa_system_vgpr_workitem_id 0
		.amdhsa_next_free_vgpr 1
		.amdhsa_next_free_sgpr 1
		.amdhsa_named_barrier_count 0
		.amdhsa_reserve_vcc 0
		.amdhsa_float_round_mode_32 0
		.amdhsa_float_round_mode_16_64 0
		.amdhsa_float_denorm_mode_32 3
		.amdhsa_float_denorm_mode_16_64 3
		.amdhsa_fp16_overflow 0
		.amdhsa_memory_ordered 1
		.amdhsa_forward_progress 1
		.amdhsa_inst_pref_size 0
		.amdhsa_round_robin_scheduling 0
		.amdhsa_exception_fp_ieee_invalid_op 0
		.amdhsa_exception_fp_denorm_src 0
		.amdhsa_exception_fp_ieee_div_zero 0
		.amdhsa_exception_fp_ieee_overflow 0
		.amdhsa_exception_fp_ieee_underflow 0
		.amdhsa_exception_fp_ieee_inexact 0
		.amdhsa_exception_int_div_zero 0
	.end_amdhsa_kernel
	.section	.text._ZN7rocprim17ROCPRIM_400000_NS6detail17trampoline_kernelINS0_14default_configENS1_27scan_by_key_config_selectorIxxEEZZNS1_16scan_by_key_implILNS1_25lookback_scan_determinismE0ELb1ES3_N6thrust23THRUST_200600_302600_NS6detail15normal_iteratorINS9_10device_ptrIxEEEESE_SE_xNS9_10multipliesIxEENS9_8equal_toIxEExEE10hipError_tPvRmT2_T3_T4_T5_mT6_T7_P12ihipStream_tbENKUlT_T0_E_clISt17integral_constantIbLb1EESY_IbLb0EEEEDaSU_SV_EUlSU_E_NS1_11comp_targetILNS1_3genE2ELNS1_11target_archE906ELNS1_3gpuE6ELNS1_3repE0EEENS1_30default_config_static_selectorELNS0_4arch9wavefront6targetE0EEEvT1_,"axG",@progbits,_ZN7rocprim17ROCPRIM_400000_NS6detail17trampoline_kernelINS0_14default_configENS1_27scan_by_key_config_selectorIxxEEZZNS1_16scan_by_key_implILNS1_25lookback_scan_determinismE0ELb1ES3_N6thrust23THRUST_200600_302600_NS6detail15normal_iteratorINS9_10device_ptrIxEEEESE_SE_xNS9_10multipliesIxEENS9_8equal_toIxEExEE10hipError_tPvRmT2_T3_T4_T5_mT6_T7_P12ihipStream_tbENKUlT_T0_E_clISt17integral_constantIbLb1EESY_IbLb0EEEEDaSU_SV_EUlSU_E_NS1_11comp_targetILNS1_3genE2ELNS1_11target_archE906ELNS1_3gpuE6ELNS1_3repE0EEENS1_30default_config_static_selectorELNS0_4arch9wavefront6targetE0EEEvT1_,comdat
.Lfunc_end412:
	.size	_ZN7rocprim17ROCPRIM_400000_NS6detail17trampoline_kernelINS0_14default_configENS1_27scan_by_key_config_selectorIxxEEZZNS1_16scan_by_key_implILNS1_25lookback_scan_determinismE0ELb1ES3_N6thrust23THRUST_200600_302600_NS6detail15normal_iteratorINS9_10device_ptrIxEEEESE_SE_xNS9_10multipliesIxEENS9_8equal_toIxEExEE10hipError_tPvRmT2_T3_T4_T5_mT6_T7_P12ihipStream_tbENKUlT_T0_E_clISt17integral_constantIbLb1EESY_IbLb0EEEEDaSU_SV_EUlSU_E_NS1_11comp_targetILNS1_3genE2ELNS1_11target_archE906ELNS1_3gpuE6ELNS1_3repE0EEENS1_30default_config_static_selectorELNS0_4arch9wavefront6targetE0EEEvT1_, .Lfunc_end412-_ZN7rocprim17ROCPRIM_400000_NS6detail17trampoline_kernelINS0_14default_configENS1_27scan_by_key_config_selectorIxxEEZZNS1_16scan_by_key_implILNS1_25lookback_scan_determinismE0ELb1ES3_N6thrust23THRUST_200600_302600_NS6detail15normal_iteratorINS9_10device_ptrIxEEEESE_SE_xNS9_10multipliesIxEENS9_8equal_toIxEExEE10hipError_tPvRmT2_T3_T4_T5_mT6_T7_P12ihipStream_tbENKUlT_T0_E_clISt17integral_constantIbLb1EESY_IbLb0EEEEDaSU_SV_EUlSU_E_NS1_11comp_targetILNS1_3genE2ELNS1_11target_archE906ELNS1_3gpuE6ELNS1_3repE0EEENS1_30default_config_static_selectorELNS0_4arch9wavefront6targetE0EEEvT1_
                                        ; -- End function
	.set _ZN7rocprim17ROCPRIM_400000_NS6detail17trampoline_kernelINS0_14default_configENS1_27scan_by_key_config_selectorIxxEEZZNS1_16scan_by_key_implILNS1_25lookback_scan_determinismE0ELb1ES3_N6thrust23THRUST_200600_302600_NS6detail15normal_iteratorINS9_10device_ptrIxEEEESE_SE_xNS9_10multipliesIxEENS9_8equal_toIxEExEE10hipError_tPvRmT2_T3_T4_T5_mT6_T7_P12ihipStream_tbENKUlT_T0_E_clISt17integral_constantIbLb1EESY_IbLb0EEEEDaSU_SV_EUlSU_E_NS1_11comp_targetILNS1_3genE2ELNS1_11target_archE906ELNS1_3gpuE6ELNS1_3repE0EEENS1_30default_config_static_selectorELNS0_4arch9wavefront6targetE0EEEvT1_.num_vgpr, 0
	.set _ZN7rocprim17ROCPRIM_400000_NS6detail17trampoline_kernelINS0_14default_configENS1_27scan_by_key_config_selectorIxxEEZZNS1_16scan_by_key_implILNS1_25lookback_scan_determinismE0ELb1ES3_N6thrust23THRUST_200600_302600_NS6detail15normal_iteratorINS9_10device_ptrIxEEEESE_SE_xNS9_10multipliesIxEENS9_8equal_toIxEExEE10hipError_tPvRmT2_T3_T4_T5_mT6_T7_P12ihipStream_tbENKUlT_T0_E_clISt17integral_constantIbLb1EESY_IbLb0EEEEDaSU_SV_EUlSU_E_NS1_11comp_targetILNS1_3genE2ELNS1_11target_archE906ELNS1_3gpuE6ELNS1_3repE0EEENS1_30default_config_static_selectorELNS0_4arch9wavefront6targetE0EEEvT1_.num_agpr, 0
	.set _ZN7rocprim17ROCPRIM_400000_NS6detail17trampoline_kernelINS0_14default_configENS1_27scan_by_key_config_selectorIxxEEZZNS1_16scan_by_key_implILNS1_25lookback_scan_determinismE0ELb1ES3_N6thrust23THRUST_200600_302600_NS6detail15normal_iteratorINS9_10device_ptrIxEEEESE_SE_xNS9_10multipliesIxEENS9_8equal_toIxEExEE10hipError_tPvRmT2_T3_T4_T5_mT6_T7_P12ihipStream_tbENKUlT_T0_E_clISt17integral_constantIbLb1EESY_IbLb0EEEEDaSU_SV_EUlSU_E_NS1_11comp_targetILNS1_3genE2ELNS1_11target_archE906ELNS1_3gpuE6ELNS1_3repE0EEENS1_30default_config_static_selectorELNS0_4arch9wavefront6targetE0EEEvT1_.numbered_sgpr, 0
	.set _ZN7rocprim17ROCPRIM_400000_NS6detail17trampoline_kernelINS0_14default_configENS1_27scan_by_key_config_selectorIxxEEZZNS1_16scan_by_key_implILNS1_25lookback_scan_determinismE0ELb1ES3_N6thrust23THRUST_200600_302600_NS6detail15normal_iteratorINS9_10device_ptrIxEEEESE_SE_xNS9_10multipliesIxEENS9_8equal_toIxEExEE10hipError_tPvRmT2_T3_T4_T5_mT6_T7_P12ihipStream_tbENKUlT_T0_E_clISt17integral_constantIbLb1EESY_IbLb0EEEEDaSU_SV_EUlSU_E_NS1_11comp_targetILNS1_3genE2ELNS1_11target_archE906ELNS1_3gpuE6ELNS1_3repE0EEENS1_30default_config_static_selectorELNS0_4arch9wavefront6targetE0EEEvT1_.num_named_barrier, 0
	.set _ZN7rocprim17ROCPRIM_400000_NS6detail17trampoline_kernelINS0_14default_configENS1_27scan_by_key_config_selectorIxxEEZZNS1_16scan_by_key_implILNS1_25lookback_scan_determinismE0ELb1ES3_N6thrust23THRUST_200600_302600_NS6detail15normal_iteratorINS9_10device_ptrIxEEEESE_SE_xNS9_10multipliesIxEENS9_8equal_toIxEExEE10hipError_tPvRmT2_T3_T4_T5_mT6_T7_P12ihipStream_tbENKUlT_T0_E_clISt17integral_constantIbLb1EESY_IbLb0EEEEDaSU_SV_EUlSU_E_NS1_11comp_targetILNS1_3genE2ELNS1_11target_archE906ELNS1_3gpuE6ELNS1_3repE0EEENS1_30default_config_static_selectorELNS0_4arch9wavefront6targetE0EEEvT1_.private_seg_size, 0
	.set _ZN7rocprim17ROCPRIM_400000_NS6detail17trampoline_kernelINS0_14default_configENS1_27scan_by_key_config_selectorIxxEEZZNS1_16scan_by_key_implILNS1_25lookback_scan_determinismE0ELb1ES3_N6thrust23THRUST_200600_302600_NS6detail15normal_iteratorINS9_10device_ptrIxEEEESE_SE_xNS9_10multipliesIxEENS9_8equal_toIxEExEE10hipError_tPvRmT2_T3_T4_T5_mT6_T7_P12ihipStream_tbENKUlT_T0_E_clISt17integral_constantIbLb1EESY_IbLb0EEEEDaSU_SV_EUlSU_E_NS1_11comp_targetILNS1_3genE2ELNS1_11target_archE906ELNS1_3gpuE6ELNS1_3repE0EEENS1_30default_config_static_selectorELNS0_4arch9wavefront6targetE0EEEvT1_.uses_vcc, 0
	.set _ZN7rocprim17ROCPRIM_400000_NS6detail17trampoline_kernelINS0_14default_configENS1_27scan_by_key_config_selectorIxxEEZZNS1_16scan_by_key_implILNS1_25lookback_scan_determinismE0ELb1ES3_N6thrust23THRUST_200600_302600_NS6detail15normal_iteratorINS9_10device_ptrIxEEEESE_SE_xNS9_10multipliesIxEENS9_8equal_toIxEExEE10hipError_tPvRmT2_T3_T4_T5_mT6_T7_P12ihipStream_tbENKUlT_T0_E_clISt17integral_constantIbLb1EESY_IbLb0EEEEDaSU_SV_EUlSU_E_NS1_11comp_targetILNS1_3genE2ELNS1_11target_archE906ELNS1_3gpuE6ELNS1_3repE0EEENS1_30default_config_static_selectorELNS0_4arch9wavefront6targetE0EEEvT1_.uses_flat_scratch, 0
	.set _ZN7rocprim17ROCPRIM_400000_NS6detail17trampoline_kernelINS0_14default_configENS1_27scan_by_key_config_selectorIxxEEZZNS1_16scan_by_key_implILNS1_25lookback_scan_determinismE0ELb1ES3_N6thrust23THRUST_200600_302600_NS6detail15normal_iteratorINS9_10device_ptrIxEEEESE_SE_xNS9_10multipliesIxEENS9_8equal_toIxEExEE10hipError_tPvRmT2_T3_T4_T5_mT6_T7_P12ihipStream_tbENKUlT_T0_E_clISt17integral_constantIbLb1EESY_IbLb0EEEEDaSU_SV_EUlSU_E_NS1_11comp_targetILNS1_3genE2ELNS1_11target_archE906ELNS1_3gpuE6ELNS1_3repE0EEENS1_30default_config_static_selectorELNS0_4arch9wavefront6targetE0EEEvT1_.has_dyn_sized_stack, 0
	.set _ZN7rocprim17ROCPRIM_400000_NS6detail17trampoline_kernelINS0_14default_configENS1_27scan_by_key_config_selectorIxxEEZZNS1_16scan_by_key_implILNS1_25lookback_scan_determinismE0ELb1ES3_N6thrust23THRUST_200600_302600_NS6detail15normal_iteratorINS9_10device_ptrIxEEEESE_SE_xNS9_10multipliesIxEENS9_8equal_toIxEExEE10hipError_tPvRmT2_T3_T4_T5_mT6_T7_P12ihipStream_tbENKUlT_T0_E_clISt17integral_constantIbLb1EESY_IbLb0EEEEDaSU_SV_EUlSU_E_NS1_11comp_targetILNS1_3genE2ELNS1_11target_archE906ELNS1_3gpuE6ELNS1_3repE0EEENS1_30default_config_static_selectorELNS0_4arch9wavefront6targetE0EEEvT1_.has_recursion, 0
	.set _ZN7rocprim17ROCPRIM_400000_NS6detail17trampoline_kernelINS0_14default_configENS1_27scan_by_key_config_selectorIxxEEZZNS1_16scan_by_key_implILNS1_25lookback_scan_determinismE0ELb1ES3_N6thrust23THRUST_200600_302600_NS6detail15normal_iteratorINS9_10device_ptrIxEEEESE_SE_xNS9_10multipliesIxEENS9_8equal_toIxEExEE10hipError_tPvRmT2_T3_T4_T5_mT6_T7_P12ihipStream_tbENKUlT_T0_E_clISt17integral_constantIbLb1EESY_IbLb0EEEEDaSU_SV_EUlSU_E_NS1_11comp_targetILNS1_3genE2ELNS1_11target_archE906ELNS1_3gpuE6ELNS1_3repE0EEENS1_30default_config_static_selectorELNS0_4arch9wavefront6targetE0EEEvT1_.has_indirect_call, 0
	.section	.AMDGPU.csdata,"",@progbits
; Kernel info:
; codeLenInByte = 0
; TotalNumSgprs: 0
; NumVgprs: 0
; ScratchSize: 0
; MemoryBound: 0
; FloatMode: 240
; IeeeMode: 1
; LDSByteSize: 0 bytes/workgroup (compile time only)
; SGPRBlocks: 0
; VGPRBlocks: 0
; NumSGPRsForWavesPerEU: 1
; NumVGPRsForWavesPerEU: 1
; NamedBarCnt: 0
; Occupancy: 16
; WaveLimiterHint : 0
; COMPUTE_PGM_RSRC2:SCRATCH_EN: 0
; COMPUTE_PGM_RSRC2:USER_SGPR: 2
; COMPUTE_PGM_RSRC2:TRAP_HANDLER: 0
; COMPUTE_PGM_RSRC2:TGID_X_EN: 1
; COMPUTE_PGM_RSRC2:TGID_Y_EN: 0
; COMPUTE_PGM_RSRC2:TGID_Z_EN: 0
; COMPUTE_PGM_RSRC2:TIDIG_COMP_CNT: 0
	.section	.text._ZN7rocprim17ROCPRIM_400000_NS6detail17trampoline_kernelINS0_14default_configENS1_27scan_by_key_config_selectorIxxEEZZNS1_16scan_by_key_implILNS1_25lookback_scan_determinismE0ELb1ES3_N6thrust23THRUST_200600_302600_NS6detail15normal_iteratorINS9_10device_ptrIxEEEESE_SE_xNS9_10multipliesIxEENS9_8equal_toIxEExEE10hipError_tPvRmT2_T3_T4_T5_mT6_T7_P12ihipStream_tbENKUlT_T0_E_clISt17integral_constantIbLb1EESY_IbLb0EEEEDaSU_SV_EUlSU_E_NS1_11comp_targetILNS1_3genE10ELNS1_11target_archE1200ELNS1_3gpuE4ELNS1_3repE0EEENS1_30default_config_static_selectorELNS0_4arch9wavefront6targetE0EEEvT1_,"axG",@progbits,_ZN7rocprim17ROCPRIM_400000_NS6detail17trampoline_kernelINS0_14default_configENS1_27scan_by_key_config_selectorIxxEEZZNS1_16scan_by_key_implILNS1_25lookback_scan_determinismE0ELb1ES3_N6thrust23THRUST_200600_302600_NS6detail15normal_iteratorINS9_10device_ptrIxEEEESE_SE_xNS9_10multipliesIxEENS9_8equal_toIxEExEE10hipError_tPvRmT2_T3_T4_T5_mT6_T7_P12ihipStream_tbENKUlT_T0_E_clISt17integral_constantIbLb1EESY_IbLb0EEEEDaSU_SV_EUlSU_E_NS1_11comp_targetILNS1_3genE10ELNS1_11target_archE1200ELNS1_3gpuE4ELNS1_3repE0EEENS1_30default_config_static_selectorELNS0_4arch9wavefront6targetE0EEEvT1_,comdat
	.protected	_ZN7rocprim17ROCPRIM_400000_NS6detail17trampoline_kernelINS0_14default_configENS1_27scan_by_key_config_selectorIxxEEZZNS1_16scan_by_key_implILNS1_25lookback_scan_determinismE0ELb1ES3_N6thrust23THRUST_200600_302600_NS6detail15normal_iteratorINS9_10device_ptrIxEEEESE_SE_xNS9_10multipliesIxEENS9_8equal_toIxEExEE10hipError_tPvRmT2_T3_T4_T5_mT6_T7_P12ihipStream_tbENKUlT_T0_E_clISt17integral_constantIbLb1EESY_IbLb0EEEEDaSU_SV_EUlSU_E_NS1_11comp_targetILNS1_3genE10ELNS1_11target_archE1200ELNS1_3gpuE4ELNS1_3repE0EEENS1_30default_config_static_selectorELNS0_4arch9wavefront6targetE0EEEvT1_ ; -- Begin function _ZN7rocprim17ROCPRIM_400000_NS6detail17trampoline_kernelINS0_14default_configENS1_27scan_by_key_config_selectorIxxEEZZNS1_16scan_by_key_implILNS1_25lookback_scan_determinismE0ELb1ES3_N6thrust23THRUST_200600_302600_NS6detail15normal_iteratorINS9_10device_ptrIxEEEESE_SE_xNS9_10multipliesIxEENS9_8equal_toIxEExEE10hipError_tPvRmT2_T3_T4_T5_mT6_T7_P12ihipStream_tbENKUlT_T0_E_clISt17integral_constantIbLb1EESY_IbLb0EEEEDaSU_SV_EUlSU_E_NS1_11comp_targetILNS1_3genE10ELNS1_11target_archE1200ELNS1_3gpuE4ELNS1_3repE0EEENS1_30default_config_static_selectorELNS0_4arch9wavefront6targetE0EEEvT1_
	.globl	_ZN7rocprim17ROCPRIM_400000_NS6detail17trampoline_kernelINS0_14default_configENS1_27scan_by_key_config_selectorIxxEEZZNS1_16scan_by_key_implILNS1_25lookback_scan_determinismE0ELb1ES3_N6thrust23THRUST_200600_302600_NS6detail15normal_iteratorINS9_10device_ptrIxEEEESE_SE_xNS9_10multipliesIxEENS9_8equal_toIxEExEE10hipError_tPvRmT2_T3_T4_T5_mT6_T7_P12ihipStream_tbENKUlT_T0_E_clISt17integral_constantIbLb1EESY_IbLb0EEEEDaSU_SV_EUlSU_E_NS1_11comp_targetILNS1_3genE10ELNS1_11target_archE1200ELNS1_3gpuE4ELNS1_3repE0EEENS1_30default_config_static_selectorELNS0_4arch9wavefront6targetE0EEEvT1_
	.p2align	8
	.type	_ZN7rocprim17ROCPRIM_400000_NS6detail17trampoline_kernelINS0_14default_configENS1_27scan_by_key_config_selectorIxxEEZZNS1_16scan_by_key_implILNS1_25lookback_scan_determinismE0ELb1ES3_N6thrust23THRUST_200600_302600_NS6detail15normal_iteratorINS9_10device_ptrIxEEEESE_SE_xNS9_10multipliesIxEENS9_8equal_toIxEExEE10hipError_tPvRmT2_T3_T4_T5_mT6_T7_P12ihipStream_tbENKUlT_T0_E_clISt17integral_constantIbLb1EESY_IbLb0EEEEDaSU_SV_EUlSU_E_NS1_11comp_targetILNS1_3genE10ELNS1_11target_archE1200ELNS1_3gpuE4ELNS1_3repE0EEENS1_30default_config_static_selectorELNS0_4arch9wavefront6targetE0EEEvT1_,@function
_ZN7rocprim17ROCPRIM_400000_NS6detail17trampoline_kernelINS0_14default_configENS1_27scan_by_key_config_selectorIxxEEZZNS1_16scan_by_key_implILNS1_25lookback_scan_determinismE0ELb1ES3_N6thrust23THRUST_200600_302600_NS6detail15normal_iteratorINS9_10device_ptrIxEEEESE_SE_xNS9_10multipliesIxEENS9_8equal_toIxEExEE10hipError_tPvRmT2_T3_T4_T5_mT6_T7_P12ihipStream_tbENKUlT_T0_E_clISt17integral_constantIbLb1EESY_IbLb0EEEEDaSU_SV_EUlSU_E_NS1_11comp_targetILNS1_3genE10ELNS1_11target_archE1200ELNS1_3gpuE4ELNS1_3repE0EEENS1_30default_config_static_selectorELNS0_4arch9wavefront6targetE0EEEvT1_: ; @_ZN7rocprim17ROCPRIM_400000_NS6detail17trampoline_kernelINS0_14default_configENS1_27scan_by_key_config_selectorIxxEEZZNS1_16scan_by_key_implILNS1_25lookback_scan_determinismE0ELb1ES3_N6thrust23THRUST_200600_302600_NS6detail15normal_iteratorINS9_10device_ptrIxEEEESE_SE_xNS9_10multipliesIxEENS9_8equal_toIxEExEE10hipError_tPvRmT2_T3_T4_T5_mT6_T7_P12ihipStream_tbENKUlT_T0_E_clISt17integral_constantIbLb1EESY_IbLb0EEEEDaSU_SV_EUlSU_E_NS1_11comp_targetILNS1_3genE10ELNS1_11target_archE1200ELNS1_3gpuE4ELNS1_3repE0EEENS1_30default_config_static_selectorELNS0_4arch9wavefront6targetE0EEEvT1_
; %bb.0:
	.section	.rodata,"a",@progbits
	.p2align	6, 0x0
	.amdhsa_kernel _ZN7rocprim17ROCPRIM_400000_NS6detail17trampoline_kernelINS0_14default_configENS1_27scan_by_key_config_selectorIxxEEZZNS1_16scan_by_key_implILNS1_25lookback_scan_determinismE0ELb1ES3_N6thrust23THRUST_200600_302600_NS6detail15normal_iteratorINS9_10device_ptrIxEEEESE_SE_xNS9_10multipliesIxEENS9_8equal_toIxEExEE10hipError_tPvRmT2_T3_T4_T5_mT6_T7_P12ihipStream_tbENKUlT_T0_E_clISt17integral_constantIbLb1EESY_IbLb0EEEEDaSU_SV_EUlSU_E_NS1_11comp_targetILNS1_3genE10ELNS1_11target_archE1200ELNS1_3gpuE4ELNS1_3repE0EEENS1_30default_config_static_selectorELNS0_4arch9wavefront6targetE0EEEvT1_
		.amdhsa_group_segment_fixed_size 0
		.amdhsa_private_segment_fixed_size 0
		.amdhsa_kernarg_size 136
		.amdhsa_user_sgpr_count 2
		.amdhsa_user_sgpr_dispatch_ptr 0
		.amdhsa_user_sgpr_queue_ptr 0
		.amdhsa_user_sgpr_kernarg_segment_ptr 1
		.amdhsa_user_sgpr_dispatch_id 0
		.amdhsa_user_sgpr_kernarg_preload_length 0
		.amdhsa_user_sgpr_kernarg_preload_offset 0
		.amdhsa_user_sgpr_private_segment_size 0
		.amdhsa_wavefront_size32 1
		.amdhsa_uses_dynamic_stack 0
		.amdhsa_enable_private_segment 0
		.amdhsa_system_sgpr_workgroup_id_x 1
		.amdhsa_system_sgpr_workgroup_id_y 0
		.amdhsa_system_sgpr_workgroup_id_z 0
		.amdhsa_system_sgpr_workgroup_info 0
		.amdhsa_system_vgpr_workitem_id 0
		.amdhsa_next_free_vgpr 1
		.amdhsa_next_free_sgpr 1
		.amdhsa_named_barrier_count 0
		.amdhsa_reserve_vcc 0
		.amdhsa_float_round_mode_32 0
		.amdhsa_float_round_mode_16_64 0
		.amdhsa_float_denorm_mode_32 3
		.amdhsa_float_denorm_mode_16_64 3
		.amdhsa_fp16_overflow 0
		.amdhsa_memory_ordered 1
		.amdhsa_forward_progress 1
		.amdhsa_inst_pref_size 0
		.amdhsa_round_robin_scheduling 0
		.amdhsa_exception_fp_ieee_invalid_op 0
		.amdhsa_exception_fp_denorm_src 0
		.amdhsa_exception_fp_ieee_div_zero 0
		.amdhsa_exception_fp_ieee_overflow 0
		.amdhsa_exception_fp_ieee_underflow 0
		.amdhsa_exception_fp_ieee_inexact 0
		.amdhsa_exception_int_div_zero 0
	.end_amdhsa_kernel
	.section	.text._ZN7rocprim17ROCPRIM_400000_NS6detail17trampoline_kernelINS0_14default_configENS1_27scan_by_key_config_selectorIxxEEZZNS1_16scan_by_key_implILNS1_25lookback_scan_determinismE0ELb1ES3_N6thrust23THRUST_200600_302600_NS6detail15normal_iteratorINS9_10device_ptrIxEEEESE_SE_xNS9_10multipliesIxEENS9_8equal_toIxEExEE10hipError_tPvRmT2_T3_T4_T5_mT6_T7_P12ihipStream_tbENKUlT_T0_E_clISt17integral_constantIbLb1EESY_IbLb0EEEEDaSU_SV_EUlSU_E_NS1_11comp_targetILNS1_3genE10ELNS1_11target_archE1200ELNS1_3gpuE4ELNS1_3repE0EEENS1_30default_config_static_selectorELNS0_4arch9wavefront6targetE0EEEvT1_,"axG",@progbits,_ZN7rocprim17ROCPRIM_400000_NS6detail17trampoline_kernelINS0_14default_configENS1_27scan_by_key_config_selectorIxxEEZZNS1_16scan_by_key_implILNS1_25lookback_scan_determinismE0ELb1ES3_N6thrust23THRUST_200600_302600_NS6detail15normal_iteratorINS9_10device_ptrIxEEEESE_SE_xNS9_10multipliesIxEENS9_8equal_toIxEExEE10hipError_tPvRmT2_T3_T4_T5_mT6_T7_P12ihipStream_tbENKUlT_T0_E_clISt17integral_constantIbLb1EESY_IbLb0EEEEDaSU_SV_EUlSU_E_NS1_11comp_targetILNS1_3genE10ELNS1_11target_archE1200ELNS1_3gpuE4ELNS1_3repE0EEENS1_30default_config_static_selectorELNS0_4arch9wavefront6targetE0EEEvT1_,comdat
.Lfunc_end413:
	.size	_ZN7rocprim17ROCPRIM_400000_NS6detail17trampoline_kernelINS0_14default_configENS1_27scan_by_key_config_selectorIxxEEZZNS1_16scan_by_key_implILNS1_25lookback_scan_determinismE0ELb1ES3_N6thrust23THRUST_200600_302600_NS6detail15normal_iteratorINS9_10device_ptrIxEEEESE_SE_xNS9_10multipliesIxEENS9_8equal_toIxEExEE10hipError_tPvRmT2_T3_T4_T5_mT6_T7_P12ihipStream_tbENKUlT_T0_E_clISt17integral_constantIbLb1EESY_IbLb0EEEEDaSU_SV_EUlSU_E_NS1_11comp_targetILNS1_3genE10ELNS1_11target_archE1200ELNS1_3gpuE4ELNS1_3repE0EEENS1_30default_config_static_selectorELNS0_4arch9wavefront6targetE0EEEvT1_, .Lfunc_end413-_ZN7rocprim17ROCPRIM_400000_NS6detail17trampoline_kernelINS0_14default_configENS1_27scan_by_key_config_selectorIxxEEZZNS1_16scan_by_key_implILNS1_25lookback_scan_determinismE0ELb1ES3_N6thrust23THRUST_200600_302600_NS6detail15normal_iteratorINS9_10device_ptrIxEEEESE_SE_xNS9_10multipliesIxEENS9_8equal_toIxEExEE10hipError_tPvRmT2_T3_T4_T5_mT6_T7_P12ihipStream_tbENKUlT_T0_E_clISt17integral_constantIbLb1EESY_IbLb0EEEEDaSU_SV_EUlSU_E_NS1_11comp_targetILNS1_3genE10ELNS1_11target_archE1200ELNS1_3gpuE4ELNS1_3repE0EEENS1_30default_config_static_selectorELNS0_4arch9wavefront6targetE0EEEvT1_
                                        ; -- End function
	.set _ZN7rocprim17ROCPRIM_400000_NS6detail17trampoline_kernelINS0_14default_configENS1_27scan_by_key_config_selectorIxxEEZZNS1_16scan_by_key_implILNS1_25lookback_scan_determinismE0ELb1ES3_N6thrust23THRUST_200600_302600_NS6detail15normal_iteratorINS9_10device_ptrIxEEEESE_SE_xNS9_10multipliesIxEENS9_8equal_toIxEExEE10hipError_tPvRmT2_T3_T4_T5_mT6_T7_P12ihipStream_tbENKUlT_T0_E_clISt17integral_constantIbLb1EESY_IbLb0EEEEDaSU_SV_EUlSU_E_NS1_11comp_targetILNS1_3genE10ELNS1_11target_archE1200ELNS1_3gpuE4ELNS1_3repE0EEENS1_30default_config_static_selectorELNS0_4arch9wavefront6targetE0EEEvT1_.num_vgpr, 0
	.set _ZN7rocprim17ROCPRIM_400000_NS6detail17trampoline_kernelINS0_14default_configENS1_27scan_by_key_config_selectorIxxEEZZNS1_16scan_by_key_implILNS1_25lookback_scan_determinismE0ELb1ES3_N6thrust23THRUST_200600_302600_NS6detail15normal_iteratorINS9_10device_ptrIxEEEESE_SE_xNS9_10multipliesIxEENS9_8equal_toIxEExEE10hipError_tPvRmT2_T3_T4_T5_mT6_T7_P12ihipStream_tbENKUlT_T0_E_clISt17integral_constantIbLb1EESY_IbLb0EEEEDaSU_SV_EUlSU_E_NS1_11comp_targetILNS1_3genE10ELNS1_11target_archE1200ELNS1_3gpuE4ELNS1_3repE0EEENS1_30default_config_static_selectorELNS0_4arch9wavefront6targetE0EEEvT1_.num_agpr, 0
	.set _ZN7rocprim17ROCPRIM_400000_NS6detail17trampoline_kernelINS0_14default_configENS1_27scan_by_key_config_selectorIxxEEZZNS1_16scan_by_key_implILNS1_25lookback_scan_determinismE0ELb1ES3_N6thrust23THRUST_200600_302600_NS6detail15normal_iteratorINS9_10device_ptrIxEEEESE_SE_xNS9_10multipliesIxEENS9_8equal_toIxEExEE10hipError_tPvRmT2_T3_T4_T5_mT6_T7_P12ihipStream_tbENKUlT_T0_E_clISt17integral_constantIbLb1EESY_IbLb0EEEEDaSU_SV_EUlSU_E_NS1_11comp_targetILNS1_3genE10ELNS1_11target_archE1200ELNS1_3gpuE4ELNS1_3repE0EEENS1_30default_config_static_selectorELNS0_4arch9wavefront6targetE0EEEvT1_.numbered_sgpr, 0
	.set _ZN7rocprim17ROCPRIM_400000_NS6detail17trampoline_kernelINS0_14default_configENS1_27scan_by_key_config_selectorIxxEEZZNS1_16scan_by_key_implILNS1_25lookback_scan_determinismE0ELb1ES3_N6thrust23THRUST_200600_302600_NS6detail15normal_iteratorINS9_10device_ptrIxEEEESE_SE_xNS9_10multipliesIxEENS9_8equal_toIxEExEE10hipError_tPvRmT2_T3_T4_T5_mT6_T7_P12ihipStream_tbENKUlT_T0_E_clISt17integral_constantIbLb1EESY_IbLb0EEEEDaSU_SV_EUlSU_E_NS1_11comp_targetILNS1_3genE10ELNS1_11target_archE1200ELNS1_3gpuE4ELNS1_3repE0EEENS1_30default_config_static_selectorELNS0_4arch9wavefront6targetE0EEEvT1_.num_named_barrier, 0
	.set _ZN7rocprim17ROCPRIM_400000_NS6detail17trampoline_kernelINS0_14default_configENS1_27scan_by_key_config_selectorIxxEEZZNS1_16scan_by_key_implILNS1_25lookback_scan_determinismE0ELb1ES3_N6thrust23THRUST_200600_302600_NS6detail15normal_iteratorINS9_10device_ptrIxEEEESE_SE_xNS9_10multipliesIxEENS9_8equal_toIxEExEE10hipError_tPvRmT2_T3_T4_T5_mT6_T7_P12ihipStream_tbENKUlT_T0_E_clISt17integral_constantIbLb1EESY_IbLb0EEEEDaSU_SV_EUlSU_E_NS1_11comp_targetILNS1_3genE10ELNS1_11target_archE1200ELNS1_3gpuE4ELNS1_3repE0EEENS1_30default_config_static_selectorELNS0_4arch9wavefront6targetE0EEEvT1_.private_seg_size, 0
	.set _ZN7rocprim17ROCPRIM_400000_NS6detail17trampoline_kernelINS0_14default_configENS1_27scan_by_key_config_selectorIxxEEZZNS1_16scan_by_key_implILNS1_25lookback_scan_determinismE0ELb1ES3_N6thrust23THRUST_200600_302600_NS6detail15normal_iteratorINS9_10device_ptrIxEEEESE_SE_xNS9_10multipliesIxEENS9_8equal_toIxEExEE10hipError_tPvRmT2_T3_T4_T5_mT6_T7_P12ihipStream_tbENKUlT_T0_E_clISt17integral_constantIbLb1EESY_IbLb0EEEEDaSU_SV_EUlSU_E_NS1_11comp_targetILNS1_3genE10ELNS1_11target_archE1200ELNS1_3gpuE4ELNS1_3repE0EEENS1_30default_config_static_selectorELNS0_4arch9wavefront6targetE0EEEvT1_.uses_vcc, 0
	.set _ZN7rocprim17ROCPRIM_400000_NS6detail17trampoline_kernelINS0_14default_configENS1_27scan_by_key_config_selectorIxxEEZZNS1_16scan_by_key_implILNS1_25lookback_scan_determinismE0ELb1ES3_N6thrust23THRUST_200600_302600_NS6detail15normal_iteratorINS9_10device_ptrIxEEEESE_SE_xNS9_10multipliesIxEENS9_8equal_toIxEExEE10hipError_tPvRmT2_T3_T4_T5_mT6_T7_P12ihipStream_tbENKUlT_T0_E_clISt17integral_constantIbLb1EESY_IbLb0EEEEDaSU_SV_EUlSU_E_NS1_11comp_targetILNS1_3genE10ELNS1_11target_archE1200ELNS1_3gpuE4ELNS1_3repE0EEENS1_30default_config_static_selectorELNS0_4arch9wavefront6targetE0EEEvT1_.uses_flat_scratch, 0
	.set _ZN7rocprim17ROCPRIM_400000_NS6detail17trampoline_kernelINS0_14default_configENS1_27scan_by_key_config_selectorIxxEEZZNS1_16scan_by_key_implILNS1_25lookback_scan_determinismE0ELb1ES3_N6thrust23THRUST_200600_302600_NS6detail15normal_iteratorINS9_10device_ptrIxEEEESE_SE_xNS9_10multipliesIxEENS9_8equal_toIxEExEE10hipError_tPvRmT2_T3_T4_T5_mT6_T7_P12ihipStream_tbENKUlT_T0_E_clISt17integral_constantIbLb1EESY_IbLb0EEEEDaSU_SV_EUlSU_E_NS1_11comp_targetILNS1_3genE10ELNS1_11target_archE1200ELNS1_3gpuE4ELNS1_3repE0EEENS1_30default_config_static_selectorELNS0_4arch9wavefront6targetE0EEEvT1_.has_dyn_sized_stack, 0
	.set _ZN7rocprim17ROCPRIM_400000_NS6detail17trampoline_kernelINS0_14default_configENS1_27scan_by_key_config_selectorIxxEEZZNS1_16scan_by_key_implILNS1_25lookback_scan_determinismE0ELb1ES3_N6thrust23THRUST_200600_302600_NS6detail15normal_iteratorINS9_10device_ptrIxEEEESE_SE_xNS9_10multipliesIxEENS9_8equal_toIxEExEE10hipError_tPvRmT2_T3_T4_T5_mT6_T7_P12ihipStream_tbENKUlT_T0_E_clISt17integral_constantIbLb1EESY_IbLb0EEEEDaSU_SV_EUlSU_E_NS1_11comp_targetILNS1_3genE10ELNS1_11target_archE1200ELNS1_3gpuE4ELNS1_3repE0EEENS1_30default_config_static_selectorELNS0_4arch9wavefront6targetE0EEEvT1_.has_recursion, 0
	.set _ZN7rocprim17ROCPRIM_400000_NS6detail17trampoline_kernelINS0_14default_configENS1_27scan_by_key_config_selectorIxxEEZZNS1_16scan_by_key_implILNS1_25lookback_scan_determinismE0ELb1ES3_N6thrust23THRUST_200600_302600_NS6detail15normal_iteratorINS9_10device_ptrIxEEEESE_SE_xNS9_10multipliesIxEENS9_8equal_toIxEExEE10hipError_tPvRmT2_T3_T4_T5_mT6_T7_P12ihipStream_tbENKUlT_T0_E_clISt17integral_constantIbLb1EESY_IbLb0EEEEDaSU_SV_EUlSU_E_NS1_11comp_targetILNS1_3genE10ELNS1_11target_archE1200ELNS1_3gpuE4ELNS1_3repE0EEENS1_30default_config_static_selectorELNS0_4arch9wavefront6targetE0EEEvT1_.has_indirect_call, 0
	.section	.AMDGPU.csdata,"",@progbits
; Kernel info:
; codeLenInByte = 0
; TotalNumSgprs: 0
; NumVgprs: 0
; ScratchSize: 0
; MemoryBound: 0
; FloatMode: 240
; IeeeMode: 1
; LDSByteSize: 0 bytes/workgroup (compile time only)
; SGPRBlocks: 0
; VGPRBlocks: 0
; NumSGPRsForWavesPerEU: 1
; NumVGPRsForWavesPerEU: 1
; NamedBarCnt: 0
; Occupancy: 16
; WaveLimiterHint : 0
; COMPUTE_PGM_RSRC2:SCRATCH_EN: 0
; COMPUTE_PGM_RSRC2:USER_SGPR: 2
; COMPUTE_PGM_RSRC2:TRAP_HANDLER: 0
; COMPUTE_PGM_RSRC2:TGID_X_EN: 1
; COMPUTE_PGM_RSRC2:TGID_Y_EN: 0
; COMPUTE_PGM_RSRC2:TGID_Z_EN: 0
; COMPUTE_PGM_RSRC2:TIDIG_COMP_CNT: 0
	.section	.text._ZN7rocprim17ROCPRIM_400000_NS6detail17trampoline_kernelINS0_14default_configENS1_27scan_by_key_config_selectorIxxEEZZNS1_16scan_by_key_implILNS1_25lookback_scan_determinismE0ELb1ES3_N6thrust23THRUST_200600_302600_NS6detail15normal_iteratorINS9_10device_ptrIxEEEESE_SE_xNS9_10multipliesIxEENS9_8equal_toIxEExEE10hipError_tPvRmT2_T3_T4_T5_mT6_T7_P12ihipStream_tbENKUlT_T0_E_clISt17integral_constantIbLb1EESY_IbLb0EEEEDaSU_SV_EUlSU_E_NS1_11comp_targetILNS1_3genE9ELNS1_11target_archE1100ELNS1_3gpuE3ELNS1_3repE0EEENS1_30default_config_static_selectorELNS0_4arch9wavefront6targetE0EEEvT1_,"axG",@progbits,_ZN7rocprim17ROCPRIM_400000_NS6detail17trampoline_kernelINS0_14default_configENS1_27scan_by_key_config_selectorIxxEEZZNS1_16scan_by_key_implILNS1_25lookback_scan_determinismE0ELb1ES3_N6thrust23THRUST_200600_302600_NS6detail15normal_iteratorINS9_10device_ptrIxEEEESE_SE_xNS9_10multipliesIxEENS9_8equal_toIxEExEE10hipError_tPvRmT2_T3_T4_T5_mT6_T7_P12ihipStream_tbENKUlT_T0_E_clISt17integral_constantIbLb1EESY_IbLb0EEEEDaSU_SV_EUlSU_E_NS1_11comp_targetILNS1_3genE9ELNS1_11target_archE1100ELNS1_3gpuE3ELNS1_3repE0EEENS1_30default_config_static_selectorELNS0_4arch9wavefront6targetE0EEEvT1_,comdat
	.protected	_ZN7rocprim17ROCPRIM_400000_NS6detail17trampoline_kernelINS0_14default_configENS1_27scan_by_key_config_selectorIxxEEZZNS1_16scan_by_key_implILNS1_25lookback_scan_determinismE0ELb1ES3_N6thrust23THRUST_200600_302600_NS6detail15normal_iteratorINS9_10device_ptrIxEEEESE_SE_xNS9_10multipliesIxEENS9_8equal_toIxEExEE10hipError_tPvRmT2_T3_T4_T5_mT6_T7_P12ihipStream_tbENKUlT_T0_E_clISt17integral_constantIbLb1EESY_IbLb0EEEEDaSU_SV_EUlSU_E_NS1_11comp_targetILNS1_3genE9ELNS1_11target_archE1100ELNS1_3gpuE3ELNS1_3repE0EEENS1_30default_config_static_selectorELNS0_4arch9wavefront6targetE0EEEvT1_ ; -- Begin function _ZN7rocprim17ROCPRIM_400000_NS6detail17trampoline_kernelINS0_14default_configENS1_27scan_by_key_config_selectorIxxEEZZNS1_16scan_by_key_implILNS1_25lookback_scan_determinismE0ELb1ES3_N6thrust23THRUST_200600_302600_NS6detail15normal_iteratorINS9_10device_ptrIxEEEESE_SE_xNS9_10multipliesIxEENS9_8equal_toIxEExEE10hipError_tPvRmT2_T3_T4_T5_mT6_T7_P12ihipStream_tbENKUlT_T0_E_clISt17integral_constantIbLb1EESY_IbLb0EEEEDaSU_SV_EUlSU_E_NS1_11comp_targetILNS1_3genE9ELNS1_11target_archE1100ELNS1_3gpuE3ELNS1_3repE0EEENS1_30default_config_static_selectorELNS0_4arch9wavefront6targetE0EEEvT1_
	.globl	_ZN7rocprim17ROCPRIM_400000_NS6detail17trampoline_kernelINS0_14default_configENS1_27scan_by_key_config_selectorIxxEEZZNS1_16scan_by_key_implILNS1_25lookback_scan_determinismE0ELb1ES3_N6thrust23THRUST_200600_302600_NS6detail15normal_iteratorINS9_10device_ptrIxEEEESE_SE_xNS9_10multipliesIxEENS9_8equal_toIxEExEE10hipError_tPvRmT2_T3_T4_T5_mT6_T7_P12ihipStream_tbENKUlT_T0_E_clISt17integral_constantIbLb1EESY_IbLb0EEEEDaSU_SV_EUlSU_E_NS1_11comp_targetILNS1_3genE9ELNS1_11target_archE1100ELNS1_3gpuE3ELNS1_3repE0EEENS1_30default_config_static_selectorELNS0_4arch9wavefront6targetE0EEEvT1_
	.p2align	8
	.type	_ZN7rocprim17ROCPRIM_400000_NS6detail17trampoline_kernelINS0_14default_configENS1_27scan_by_key_config_selectorIxxEEZZNS1_16scan_by_key_implILNS1_25lookback_scan_determinismE0ELb1ES3_N6thrust23THRUST_200600_302600_NS6detail15normal_iteratorINS9_10device_ptrIxEEEESE_SE_xNS9_10multipliesIxEENS9_8equal_toIxEExEE10hipError_tPvRmT2_T3_T4_T5_mT6_T7_P12ihipStream_tbENKUlT_T0_E_clISt17integral_constantIbLb1EESY_IbLb0EEEEDaSU_SV_EUlSU_E_NS1_11comp_targetILNS1_3genE9ELNS1_11target_archE1100ELNS1_3gpuE3ELNS1_3repE0EEENS1_30default_config_static_selectorELNS0_4arch9wavefront6targetE0EEEvT1_,@function
_ZN7rocprim17ROCPRIM_400000_NS6detail17trampoline_kernelINS0_14default_configENS1_27scan_by_key_config_selectorIxxEEZZNS1_16scan_by_key_implILNS1_25lookback_scan_determinismE0ELb1ES3_N6thrust23THRUST_200600_302600_NS6detail15normal_iteratorINS9_10device_ptrIxEEEESE_SE_xNS9_10multipliesIxEENS9_8equal_toIxEExEE10hipError_tPvRmT2_T3_T4_T5_mT6_T7_P12ihipStream_tbENKUlT_T0_E_clISt17integral_constantIbLb1EESY_IbLb0EEEEDaSU_SV_EUlSU_E_NS1_11comp_targetILNS1_3genE9ELNS1_11target_archE1100ELNS1_3gpuE3ELNS1_3repE0EEENS1_30default_config_static_selectorELNS0_4arch9wavefront6targetE0EEEvT1_: ; @_ZN7rocprim17ROCPRIM_400000_NS6detail17trampoline_kernelINS0_14default_configENS1_27scan_by_key_config_selectorIxxEEZZNS1_16scan_by_key_implILNS1_25lookback_scan_determinismE0ELb1ES3_N6thrust23THRUST_200600_302600_NS6detail15normal_iteratorINS9_10device_ptrIxEEEESE_SE_xNS9_10multipliesIxEENS9_8equal_toIxEExEE10hipError_tPvRmT2_T3_T4_T5_mT6_T7_P12ihipStream_tbENKUlT_T0_E_clISt17integral_constantIbLb1EESY_IbLb0EEEEDaSU_SV_EUlSU_E_NS1_11comp_targetILNS1_3genE9ELNS1_11target_archE1100ELNS1_3gpuE3ELNS1_3repE0EEENS1_30default_config_static_selectorELNS0_4arch9wavefront6targetE0EEEvT1_
; %bb.0:
	.section	.rodata,"a",@progbits
	.p2align	6, 0x0
	.amdhsa_kernel _ZN7rocprim17ROCPRIM_400000_NS6detail17trampoline_kernelINS0_14default_configENS1_27scan_by_key_config_selectorIxxEEZZNS1_16scan_by_key_implILNS1_25lookback_scan_determinismE0ELb1ES3_N6thrust23THRUST_200600_302600_NS6detail15normal_iteratorINS9_10device_ptrIxEEEESE_SE_xNS9_10multipliesIxEENS9_8equal_toIxEExEE10hipError_tPvRmT2_T3_T4_T5_mT6_T7_P12ihipStream_tbENKUlT_T0_E_clISt17integral_constantIbLb1EESY_IbLb0EEEEDaSU_SV_EUlSU_E_NS1_11comp_targetILNS1_3genE9ELNS1_11target_archE1100ELNS1_3gpuE3ELNS1_3repE0EEENS1_30default_config_static_selectorELNS0_4arch9wavefront6targetE0EEEvT1_
		.amdhsa_group_segment_fixed_size 0
		.amdhsa_private_segment_fixed_size 0
		.amdhsa_kernarg_size 136
		.amdhsa_user_sgpr_count 2
		.amdhsa_user_sgpr_dispatch_ptr 0
		.amdhsa_user_sgpr_queue_ptr 0
		.amdhsa_user_sgpr_kernarg_segment_ptr 1
		.amdhsa_user_sgpr_dispatch_id 0
		.amdhsa_user_sgpr_kernarg_preload_length 0
		.amdhsa_user_sgpr_kernarg_preload_offset 0
		.amdhsa_user_sgpr_private_segment_size 0
		.amdhsa_wavefront_size32 1
		.amdhsa_uses_dynamic_stack 0
		.amdhsa_enable_private_segment 0
		.amdhsa_system_sgpr_workgroup_id_x 1
		.amdhsa_system_sgpr_workgroup_id_y 0
		.amdhsa_system_sgpr_workgroup_id_z 0
		.amdhsa_system_sgpr_workgroup_info 0
		.amdhsa_system_vgpr_workitem_id 0
		.amdhsa_next_free_vgpr 1
		.amdhsa_next_free_sgpr 1
		.amdhsa_named_barrier_count 0
		.amdhsa_reserve_vcc 0
		.amdhsa_float_round_mode_32 0
		.amdhsa_float_round_mode_16_64 0
		.amdhsa_float_denorm_mode_32 3
		.amdhsa_float_denorm_mode_16_64 3
		.amdhsa_fp16_overflow 0
		.amdhsa_memory_ordered 1
		.amdhsa_forward_progress 1
		.amdhsa_inst_pref_size 0
		.amdhsa_round_robin_scheduling 0
		.amdhsa_exception_fp_ieee_invalid_op 0
		.amdhsa_exception_fp_denorm_src 0
		.amdhsa_exception_fp_ieee_div_zero 0
		.amdhsa_exception_fp_ieee_overflow 0
		.amdhsa_exception_fp_ieee_underflow 0
		.amdhsa_exception_fp_ieee_inexact 0
		.amdhsa_exception_int_div_zero 0
	.end_amdhsa_kernel
	.section	.text._ZN7rocprim17ROCPRIM_400000_NS6detail17trampoline_kernelINS0_14default_configENS1_27scan_by_key_config_selectorIxxEEZZNS1_16scan_by_key_implILNS1_25lookback_scan_determinismE0ELb1ES3_N6thrust23THRUST_200600_302600_NS6detail15normal_iteratorINS9_10device_ptrIxEEEESE_SE_xNS9_10multipliesIxEENS9_8equal_toIxEExEE10hipError_tPvRmT2_T3_T4_T5_mT6_T7_P12ihipStream_tbENKUlT_T0_E_clISt17integral_constantIbLb1EESY_IbLb0EEEEDaSU_SV_EUlSU_E_NS1_11comp_targetILNS1_3genE9ELNS1_11target_archE1100ELNS1_3gpuE3ELNS1_3repE0EEENS1_30default_config_static_selectorELNS0_4arch9wavefront6targetE0EEEvT1_,"axG",@progbits,_ZN7rocprim17ROCPRIM_400000_NS6detail17trampoline_kernelINS0_14default_configENS1_27scan_by_key_config_selectorIxxEEZZNS1_16scan_by_key_implILNS1_25lookback_scan_determinismE0ELb1ES3_N6thrust23THRUST_200600_302600_NS6detail15normal_iteratorINS9_10device_ptrIxEEEESE_SE_xNS9_10multipliesIxEENS9_8equal_toIxEExEE10hipError_tPvRmT2_T3_T4_T5_mT6_T7_P12ihipStream_tbENKUlT_T0_E_clISt17integral_constantIbLb1EESY_IbLb0EEEEDaSU_SV_EUlSU_E_NS1_11comp_targetILNS1_3genE9ELNS1_11target_archE1100ELNS1_3gpuE3ELNS1_3repE0EEENS1_30default_config_static_selectorELNS0_4arch9wavefront6targetE0EEEvT1_,comdat
.Lfunc_end414:
	.size	_ZN7rocprim17ROCPRIM_400000_NS6detail17trampoline_kernelINS0_14default_configENS1_27scan_by_key_config_selectorIxxEEZZNS1_16scan_by_key_implILNS1_25lookback_scan_determinismE0ELb1ES3_N6thrust23THRUST_200600_302600_NS6detail15normal_iteratorINS9_10device_ptrIxEEEESE_SE_xNS9_10multipliesIxEENS9_8equal_toIxEExEE10hipError_tPvRmT2_T3_T4_T5_mT6_T7_P12ihipStream_tbENKUlT_T0_E_clISt17integral_constantIbLb1EESY_IbLb0EEEEDaSU_SV_EUlSU_E_NS1_11comp_targetILNS1_3genE9ELNS1_11target_archE1100ELNS1_3gpuE3ELNS1_3repE0EEENS1_30default_config_static_selectorELNS0_4arch9wavefront6targetE0EEEvT1_, .Lfunc_end414-_ZN7rocprim17ROCPRIM_400000_NS6detail17trampoline_kernelINS0_14default_configENS1_27scan_by_key_config_selectorIxxEEZZNS1_16scan_by_key_implILNS1_25lookback_scan_determinismE0ELb1ES3_N6thrust23THRUST_200600_302600_NS6detail15normal_iteratorINS9_10device_ptrIxEEEESE_SE_xNS9_10multipliesIxEENS9_8equal_toIxEExEE10hipError_tPvRmT2_T3_T4_T5_mT6_T7_P12ihipStream_tbENKUlT_T0_E_clISt17integral_constantIbLb1EESY_IbLb0EEEEDaSU_SV_EUlSU_E_NS1_11comp_targetILNS1_3genE9ELNS1_11target_archE1100ELNS1_3gpuE3ELNS1_3repE0EEENS1_30default_config_static_selectorELNS0_4arch9wavefront6targetE0EEEvT1_
                                        ; -- End function
	.set _ZN7rocprim17ROCPRIM_400000_NS6detail17trampoline_kernelINS0_14default_configENS1_27scan_by_key_config_selectorIxxEEZZNS1_16scan_by_key_implILNS1_25lookback_scan_determinismE0ELb1ES3_N6thrust23THRUST_200600_302600_NS6detail15normal_iteratorINS9_10device_ptrIxEEEESE_SE_xNS9_10multipliesIxEENS9_8equal_toIxEExEE10hipError_tPvRmT2_T3_T4_T5_mT6_T7_P12ihipStream_tbENKUlT_T0_E_clISt17integral_constantIbLb1EESY_IbLb0EEEEDaSU_SV_EUlSU_E_NS1_11comp_targetILNS1_3genE9ELNS1_11target_archE1100ELNS1_3gpuE3ELNS1_3repE0EEENS1_30default_config_static_selectorELNS0_4arch9wavefront6targetE0EEEvT1_.num_vgpr, 0
	.set _ZN7rocprim17ROCPRIM_400000_NS6detail17trampoline_kernelINS0_14default_configENS1_27scan_by_key_config_selectorIxxEEZZNS1_16scan_by_key_implILNS1_25lookback_scan_determinismE0ELb1ES3_N6thrust23THRUST_200600_302600_NS6detail15normal_iteratorINS9_10device_ptrIxEEEESE_SE_xNS9_10multipliesIxEENS9_8equal_toIxEExEE10hipError_tPvRmT2_T3_T4_T5_mT6_T7_P12ihipStream_tbENKUlT_T0_E_clISt17integral_constantIbLb1EESY_IbLb0EEEEDaSU_SV_EUlSU_E_NS1_11comp_targetILNS1_3genE9ELNS1_11target_archE1100ELNS1_3gpuE3ELNS1_3repE0EEENS1_30default_config_static_selectorELNS0_4arch9wavefront6targetE0EEEvT1_.num_agpr, 0
	.set _ZN7rocprim17ROCPRIM_400000_NS6detail17trampoline_kernelINS0_14default_configENS1_27scan_by_key_config_selectorIxxEEZZNS1_16scan_by_key_implILNS1_25lookback_scan_determinismE0ELb1ES3_N6thrust23THRUST_200600_302600_NS6detail15normal_iteratorINS9_10device_ptrIxEEEESE_SE_xNS9_10multipliesIxEENS9_8equal_toIxEExEE10hipError_tPvRmT2_T3_T4_T5_mT6_T7_P12ihipStream_tbENKUlT_T0_E_clISt17integral_constantIbLb1EESY_IbLb0EEEEDaSU_SV_EUlSU_E_NS1_11comp_targetILNS1_3genE9ELNS1_11target_archE1100ELNS1_3gpuE3ELNS1_3repE0EEENS1_30default_config_static_selectorELNS0_4arch9wavefront6targetE0EEEvT1_.numbered_sgpr, 0
	.set _ZN7rocprim17ROCPRIM_400000_NS6detail17trampoline_kernelINS0_14default_configENS1_27scan_by_key_config_selectorIxxEEZZNS1_16scan_by_key_implILNS1_25lookback_scan_determinismE0ELb1ES3_N6thrust23THRUST_200600_302600_NS6detail15normal_iteratorINS9_10device_ptrIxEEEESE_SE_xNS9_10multipliesIxEENS9_8equal_toIxEExEE10hipError_tPvRmT2_T3_T4_T5_mT6_T7_P12ihipStream_tbENKUlT_T0_E_clISt17integral_constantIbLb1EESY_IbLb0EEEEDaSU_SV_EUlSU_E_NS1_11comp_targetILNS1_3genE9ELNS1_11target_archE1100ELNS1_3gpuE3ELNS1_3repE0EEENS1_30default_config_static_selectorELNS0_4arch9wavefront6targetE0EEEvT1_.num_named_barrier, 0
	.set _ZN7rocprim17ROCPRIM_400000_NS6detail17trampoline_kernelINS0_14default_configENS1_27scan_by_key_config_selectorIxxEEZZNS1_16scan_by_key_implILNS1_25lookback_scan_determinismE0ELb1ES3_N6thrust23THRUST_200600_302600_NS6detail15normal_iteratorINS9_10device_ptrIxEEEESE_SE_xNS9_10multipliesIxEENS9_8equal_toIxEExEE10hipError_tPvRmT2_T3_T4_T5_mT6_T7_P12ihipStream_tbENKUlT_T0_E_clISt17integral_constantIbLb1EESY_IbLb0EEEEDaSU_SV_EUlSU_E_NS1_11comp_targetILNS1_3genE9ELNS1_11target_archE1100ELNS1_3gpuE3ELNS1_3repE0EEENS1_30default_config_static_selectorELNS0_4arch9wavefront6targetE0EEEvT1_.private_seg_size, 0
	.set _ZN7rocprim17ROCPRIM_400000_NS6detail17trampoline_kernelINS0_14default_configENS1_27scan_by_key_config_selectorIxxEEZZNS1_16scan_by_key_implILNS1_25lookback_scan_determinismE0ELb1ES3_N6thrust23THRUST_200600_302600_NS6detail15normal_iteratorINS9_10device_ptrIxEEEESE_SE_xNS9_10multipliesIxEENS9_8equal_toIxEExEE10hipError_tPvRmT2_T3_T4_T5_mT6_T7_P12ihipStream_tbENKUlT_T0_E_clISt17integral_constantIbLb1EESY_IbLb0EEEEDaSU_SV_EUlSU_E_NS1_11comp_targetILNS1_3genE9ELNS1_11target_archE1100ELNS1_3gpuE3ELNS1_3repE0EEENS1_30default_config_static_selectorELNS0_4arch9wavefront6targetE0EEEvT1_.uses_vcc, 0
	.set _ZN7rocprim17ROCPRIM_400000_NS6detail17trampoline_kernelINS0_14default_configENS1_27scan_by_key_config_selectorIxxEEZZNS1_16scan_by_key_implILNS1_25lookback_scan_determinismE0ELb1ES3_N6thrust23THRUST_200600_302600_NS6detail15normal_iteratorINS9_10device_ptrIxEEEESE_SE_xNS9_10multipliesIxEENS9_8equal_toIxEExEE10hipError_tPvRmT2_T3_T4_T5_mT6_T7_P12ihipStream_tbENKUlT_T0_E_clISt17integral_constantIbLb1EESY_IbLb0EEEEDaSU_SV_EUlSU_E_NS1_11comp_targetILNS1_3genE9ELNS1_11target_archE1100ELNS1_3gpuE3ELNS1_3repE0EEENS1_30default_config_static_selectorELNS0_4arch9wavefront6targetE0EEEvT1_.uses_flat_scratch, 0
	.set _ZN7rocprim17ROCPRIM_400000_NS6detail17trampoline_kernelINS0_14default_configENS1_27scan_by_key_config_selectorIxxEEZZNS1_16scan_by_key_implILNS1_25lookback_scan_determinismE0ELb1ES3_N6thrust23THRUST_200600_302600_NS6detail15normal_iteratorINS9_10device_ptrIxEEEESE_SE_xNS9_10multipliesIxEENS9_8equal_toIxEExEE10hipError_tPvRmT2_T3_T4_T5_mT6_T7_P12ihipStream_tbENKUlT_T0_E_clISt17integral_constantIbLb1EESY_IbLb0EEEEDaSU_SV_EUlSU_E_NS1_11comp_targetILNS1_3genE9ELNS1_11target_archE1100ELNS1_3gpuE3ELNS1_3repE0EEENS1_30default_config_static_selectorELNS0_4arch9wavefront6targetE0EEEvT1_.has_dyn_sized_stack, 0
	.set _ZN7rocprim17ROCPRIM_400000_NS6detail17trampoline_kernelINS0_14default_configENS1_27scan_by_key_config_selectorIxxEEZZNS1_16scan_by_key_implILNS1_25lookback_scan_determinismE0ELb1ES3_N6thrust23THRUST_200600_302600_NS6detail15normal_iteratorINS9_10device_ptrIxEEEESE_SE_xNS9_10multipliesIxEENS9_8equal_toIxEExEE10hipError_tPvRmT2_T3_T4_T5_mT6_T7_P12ihipStream_tbENKUlT_T0_E_clISt17integral_constantIbLb1EESY_IbLb0EEEEDaSU_SV_EUlSU_E_NS1_11comp_targetILNS1_3genE9ELNS1_11target_archE1100ELNS1_3gpuE3ELNS1_3repE0EEENS1_30default_config_static_selectorELNS0_4arch9wavefront6targetE0EEEvT1_.has_recursion, 0
	.set _ZN7rocprim17ROCPRIM_400000_NS6detail17trampoline_kernelINS0_14default_configENS1_27scan_by_key_config_selectorIxxEEZZNS1_16scan_by_key_implILNS1_25lookback_scan_determinismE0ELb1ES3_N6thrust23THRUST_200600_302600_NS6detail15normal_iteratorINS9_10device_ptrIxEEEESE_SE_xNS9_10multipliesIxEENS9_8equal_toIxEExEE10hipError_tPvRmT2_T3_T4_T5_mT6_T7_P12ihipStream_tbENKUlT_T0_E_clISt17integral_constantIbLb1EESY_IbLb0EEEEDaSU_SV_EUlSU_E_NS1_11comp_targetILNS1_3genE9ELNS1_11target_archE1100ELNS1_3gpuE3ELNS1_3repE0EEENS1_30default_config_static_selectorELNS0_4arch9wavefront6targetE0EEEvT1_.has_indirect_call, 0
	.section	.AMDGPU.csdata,"",@progbits
; Kernel info:
; codeLenInByte = 0
; TotalNumSgprs: 0
; NumVgprs: 0
; ScratchSize: 0
; MemoryBound: 0
; FloatMode: 240
; IeeeMode: 1
; LDSByteSize: 0 bytes/workgroup (compile time only)
; SGPRBlocks: 0
; VGPRBlocks: 0
; NumSGPRsForWavesPerEU: 1
; NumVGPRsForWavesPerEU: 1
; NamedBarCnt: 0
; Occupancy: 16
; WaveLimiterHint : 0
; COMPUTE_PGM_RSRC2:SCRATCH_EN: 0
; COMPUTE_PGM_RSRC2:USER_SGPR: 2
; COMPUTE_PGM_RSRC2:TRAP_HANDLER: 0
; COMPUTE_PGM_RSRC2:TGID_X_EN: 1
; COMPUTE_PGM_RSRC2:TGID_Y_EN: 0
; COMPUTE_PGM_RSRC2:TGID_Z_EN: 0
; COMPUTE_PGM_RSRC2:TIDIG_COMP_CNT: 0
	.section	.text._ZN7rocprim17ROCPRIM_400000_NS6detail17trampoline_kernelINS0_14default_configENS1_27scan_by_key_config_selectorIxxEEZZNS1_16scan_by_key_implILNS1_25lookback_scan_determinismE0ELb1ES3_N6thrust23THRUST_200600_302600_NS6detail15normal_iteratorINS9_10device_ptrIxEEEESE_SE_xNS9_10multipliesIxEENS9_8equal_toIxEExEE10hipError_tPvRmT2_T3_T4_T5_mT6_T7_P12ihipStream_tbENKUlT_T0_E_clISt17integral_constantIbLb1EESY_IbLb0EEEEDaSU_SV_EUlSU_E_NS1_11comp_targetILNS1_3genE8ELNS1_11target_archE1030ELNS1_3gpuE2ELNS1_3repE0EEENS1_30default_config_static_selectorELNS0_4arch9wavefront6targetE0EEEvT1_,"axG",@progbits,_ZN7rocprim17ROCPRIM_400000_NS6detail17trampoline_kernelINS0_14default_configENS1_27scan_by_key_config_selectorIxxEEZZNS1_16scan_by_key_implILNS1_25lookback_scan_determinismE0ELb1ES3_N6thrust23THRUST_200600_302600_NS6detail15normal_iteratorINS9_10device_ptrIxEEEESE_SE_xNS9_10multipliesIxEENS9_8equal_toIxEExEE10hipError_tPvRmT2_T3_T4_T5_mT6_T7_P12ihipStream_tbENKUlT_T0_E_clISt17integral_constantIbLb1EESY_IbLb0EEEEDaSU_SV_EUlSU_E_NS1_11comp_targetILNS1_3genE8ELNS1_11target_archE1030ELNS1_3gpuE2ELNS1_3repE0EEENS1_30default_config_static_selectorELNS0_4arch9wavefront6targetE0EEEvT1_,comdat
	.protected	_ZN7rocprim17ROCPRIM_400000_NS6detail17trampoline_kernelINS0_14default_configENS1_27scan_by_key_config_selectorIxxEEZZNS1_16scan_by_key_implILNS1_25lookback_scan_determinismE0ELb1ES3_N6thrust23THRUST_200600_302600_NS6detail15normal_iteratorINS9_10device_ptrIxEEEESE_SE_xNS9_10multipliesIxEENS9_8equal_toIxEExEE10hipError_tPvRmT2_T3_T4_T5_mT6_T7_P12ihipStream_tbENKUlT_T0_E_clISt17integral_constantIbLb1EESY_IbLb0EEEEDaSU_SV_EUlSU_E_NS1_11comp_targetILNS1_3genE8ELNS1_11target_archE1030ELNS1_3gpuE2ELNS1_3repE0EEENS1_30default_config_static_selectorELNS0_4arch9wavefront6targetE0EEEvT1_ ; -- Begin function _ZN7rocprim17ROCPRIM_400000_NS6detail17trampoline_kernelINS0_14default_configENS1_27scan_by_key_config_selectorIxxEEZZNS1_16scan_by_key_implILNS1_25lookback_scan_determinismE0ELb1ES3_N6thrust23THRUST_200600_302600_NS6detail15normal_iteratorINS9_10device_ptrIxEEEESE_SE_xNS9_10multipliesIxEENS9_8equal_toIxEExEE10hipError_tPvRmT2_T3_T4_T5_mT6_T7_P12ihipStream_tbENKUlT_T0_E_clISt17integral_constantIbLb1EESY_IbLb0EEEEDaSU_SV_EUlSU_E_NS1_11comp_targetILNS1_3genE8ELNS1_11target_archE1030ELNS1_3gpuE2ELNS1_3repE0EEENS1_30default_config_static_selectorELNS0_4arch9wavefront6targetE0EEEvT1_
	.globl	_ZN7rocprim17ROCPRIM_400000_NS6detail17trampoline_kernelINS0_14default_configENS1_27scan_by_key_config_selectorIxxEEZZNS1_16scan_by_key_implILNS1_25lookback_scan_determinismE0ELb1ES3_N6thrust23THRUST_200600_302600_NS6detail15normal_iteratorINS9_10device_ptrIxEEEESE_SE_xNS9_10multipliesIxEENS9_8equal_toIxEExEE10hipError_tPvRmT2_T3_T4_T5_mT6_T7_P12ihipStream_tbENKUlT_T0_E_clISt17integral_constantIbLb1EESY_IbLb0EEEEDaSU_SV_EUlSU_E_NS1_11comp_targetILNS1_3genE8ELNS1_11target_archE1030ELNS1_3gpuE2ELNS1_3repE0EEENS1_30default_config_static_selectorELNS0_4arch9wavefront6targetE0EEEvT1_
	.p2align	8
	.type	_ZN7rocprim17ROCPRIM_400000_NS6detail17trampoline_kernelINS0_14default_configENS1_27scan_by_key_config_selectorIxxEEZZNS1_16scan_by_key_implILNS1_25lookback_scan_determinismE0ELb1ES3_N6thrust23THRUST_200600_302600_NS6detail15normal_iteratorINS9_10device_ptrIxEEEESE_SE_xNS9_10multipliesIxEENS9_8equal_toIxEExEE10hipError_tPvRmT2_T3_T4_T5_mT6_T7_P12ihipStream_tbENKUlT_T0_E_clISt17integral_constantIbLb1EESY_IbLb0EEEEDaSU_SV_EUlSU_E_NS1_11comp_targetILNS1_3genE8ELNS1_11target_archE1030ELNS1_3gpuE2ELNS1_3repE0EEENS1_30default_config_static_selectorELNS0_4arch9wavefront6targetE0EEEvT1_,@function
_ZN7rocprim17ROCPRIM_400000_NS6detail17trampoline_kernelINS0_14default_configENS1_27scan_by_key_config_selectorIxxEEZZNS1_16scan_by_key_implILNS1_25lookback_scan_determinismE0ELb1ES3_N6thrust23THRUST_200600_302600_NS6detail15normal_iteratorINS9_10device_ptrIxEEEESE_SE_xNS9_10multipliesIxEENS9_8equal_toIxEExEE10hipError_tPvRmT2_T3_T4_T5_mT6_T7_P12ihipStream_tbENKUlT_T0_E_clISt17integral_constantIbLb1EESY_IbLb0EEEEDaSU_SV_EUlSU_E_NS1_11comp_targetILNS1_3genE8ELNS1_11target_archE1030ELNS1_3gpuE2ELNS1_3repE0EEENS1_30default_config_static_selectorELNS0_4arch9wavefront6targetE0EEEvT1_: ; @_ZN7rocprim17ROCPRIM_400000_NS6detail17trampoline_kernelINS0_14default_configENS1_27scan_by_key_config_selectorIxxEEZZNS1_16scan_by_key_implILNS1_25lookback_scan_determinismE0ELb1ES3_N6thrust23THRUST_200600_302600_NS6detail15normal_iteratorINS9_10device_ptrIxEEEESE_SE_xNS9_10multipliesIxEENS9_8equal_toIxEExEE10hipError_tPvRmT2_T3_T4_T5_mT6_T7_P12ihipStream_tbENKUlT_T0_E_clISt17integral_constantIbLb1EESY_IbLb0EEEEDaSU_SV_EUlSU_E_NS1_11comp_targetILNS1_3genE8ELNS1_11target_archE1030ELNS1_3gpuE2ELNS1_3repE0EEENS1_30default_config_static_selectorELNS0_4arch9wavefront6targetE0EEEvT1_
; %bb.0:
	.section	.rodata,"a",@progbits
	.p2align	6, 0x0
	.amdhsa_kernel _ZN7rocprim17ROCPRIM_400000_NS6detail17trampoline_kernelINS0_14default_configENS1_27scan_by_key_config_selectorIxxEEZZNS1_16scan_by_key_implILNS1_25lookback_scan_determinismE0ELb1ES3_N6thrust23THRUST_200600_302600_NS6detail15normal_iteratorINS9_10device_ptrIxEEEESE_SE_xNS9_10multipliesIxEENS9_8equal_toIxEExEE10hipError_tPvRmT2_T3_T4_T5_mT6_T7_P12ihipStream_tbENKUlT_T0_E_clISt17integral_constantIbLb1EESY_IbLb0EEEEDaSU_SV_EUlSU_E_NS1_11comp_targetILNS1_3genE8ELNS1_11target_archE1030ELNS1_3gpuE2ELNS1_3repE0EEENS1_30default_config_static_selectorELNS0_4arch9wavefront6targetE0EEEvT1_
		.amdhsa_group_segment_fixed_size 0
		.amdhsa_private_segment_fixed_size 0
		.amdhsa_kernarg_size 136
		.amdhsa_user_sgpr_count 2
		.amdhsa_user_sgpr_dispatch_ptr 0
		.amdhsa_user_sgpr_queue_ptr 0
		.amdhsa_user_sgpr_kernarg_segment_ptr 1
		.amdhsa_user_sgpr_dispatch_id 0
		.amdhsa_user_sgpr_kernarg_preload_length 0
		.amdhsa_user_sgpr_kernarg_preload_offset 0
		.amdhsa_user_sgpr_private_segment_size 0
		.amdhsa_wavefront_size32 1
		.amdhsa_uses_dynamic_stack 0
		.amdhsa_enable_private_segment 0
		.amdhsa_system_sgpr_workgroup_id_x 1
		.amdhsa_system_sgpr_workgroup_id_y 0
		.amdhsa_system_sgpr_workgroup_id_z 0
		.amdhsa_system_sgpr_workgroup_info 0
		.amdhsa_system_vgpr_workitem_id 0
		.amdhsa_next_free_vgpr 1
		.amdhsa_next_free_sgpr 1
		.amdhsa_named_barrier_count 0
		.amdhsa_reserve_vcc 0
		.amdhsa_float_round_mode_32 0
		.amdhsa_float_round_mode_16_64 0
		.amdhsa_float_denorm_mode_32 3
		.amdhsa_float_denorm_mode_16_64 3
		.amdhsa_fp16_overflow 0
		.amdhsa_memory_ordered 1
		.amdhsa_forward_progress 1
		.amdhsa_inst_pref_size 0
		.amdhsa_round_robin_scheduling 0
		.amdhsa_exception_fp_ieee_invalid_op 0
		.amdhsa_exception_fp_denorm_src 0
		.amdhsa_exception_fp_ieee_div_zero 0
		.amdhsa_exception_fp_ieee_overflow 0
		.amdhsa_exception_fp_ieee_underflow 0
		.amdhsa_exception_fp_ieee_inexact 0
		.amdhsa_exception_int_div_zero 0
	.end_amdhsa_kernel
	.section	.text._ZN7rocprim17ROCPRIM_400000_NS6detail17trampoline_kernelINS0_14default_configENS1_27scan_by_key_config_selectorIxxEEZZNS1_16scan_by_key_implILNS1_25lookback_scan_determinismE0ELb1ES3_N6thrust23THRUST_200600_302600_NS6detail15normal_iteratorINS9_10device_ptrIxEEEESE_SE_xNS9_10multipliesIxEENS9_8equal_toIxEExEE10hipError_tPvRmT2_T3_T4_T5_mT6_T7_P12ihipStream_tbENKUlT_T0_E_clISt17integral_constantIbLb1EESY_IbLb0EEEEDaSU_SV_EUlSU_E_NS1_11comp_targetILNS1_3genE8ELNS1_11target_archE1030ELNS1_3gpuE2ELNS1_3repE0EEENS1_30default_config_static_selectorELNS0_4arch9wavefront6targetE0EEEvT1_,"axG",@progbits,_ZN7rocprim17ROCPRIM_400000_NS6detail17trampoline_kernelINS0_14default_configENS1_27scan_by_key_config_selectorIxxEEZZNS1_16scan_by_key_implILNS1_25lookback_scan_determinismE0ELb1ES3_N6thrust23THRUST_200600_302600_NS6detail15normal_iteratorINS9_10device_ptrIxEEEESE_SE_xNS9_10multipliesIxEENS9_8equal_toIxEExEE10hipError_tPvRmT2_T3_T4_T5_mT6_T7_P12ihipStream_tbENKUlT_T0_E_clISt17integral_constantIbLb1EESY_IbLb0EEEEDaSU_SV_EUlSU_E_NS1_11comp_targetILNS1_3genE8ELNS1_11target_archE1030ELNS1_3gpuE2ELNS1_3repE0EEENS1_30default_config_static_selectorELNS0_4arch9wavefront6targetE0EEEvT1_,comdat
.Lfunc_end415:
	.size	_ZN7rocprim17ROCPRIM_400000_NS6detail17trampoline_kernelINS0_14default_configENS1_27scan_by_key_config_selectorIxxEEZZNS1_16scan_by_key_implILNS1_25lookback_scan_determinismE0ELb1ES3_N6thrust23THRUST_200600_302600_NS6detail15normal_iteratorINS9_10device_ptrIxEEEESE_SE_xNS9_10multipliesIxEENS9_8equal_toIxEExEE10hipError_tPvRmT2_T3_T4_T5_mT6_T7_P12ihipStream_tbENKUlT_T0_E_clISt17integral_constantIbLb1EESY_IbLb0EEEEDaSU_SV_EUlSU_E_NS1_11comp_targetILNS1_3genE8ELNS1_11target_archE1030ELNS1_3gpuE2ELNS1_3repE0EEENS1_30default_config_static_selectorELNS0_4arch9wavefront6targetE0EEEvT1_, .Lfunc_end415-_ZN7rocprim17ROCPRIM_400000_NS6detail17trampoline_kernelINS0_14default_configENS1_27scan_by_key_config_selectorIxxEEZZNS1_16scan_by_key_implILNS1_25lookback_scan_determinismE0ELb1ES3_N6thrust23THRUST_200600_302600_NS6detail15normal_iteratorINS9_10device_ptrIxEEEESE_SE_xNS9_10multipliesIxEENS9_8equal_toIxEExEE10hipError_tPvRmT2_T3_T4_T5_mT6_T7_P12ihipStream_tbENKUlT_T0_E_clISt17integral_constantIbLb1EESY_IbLb0EEEEDaSU_SV_EUlSU_E_NS1_11comp_targetILNS1_3genE8ELNS1_11target_archE1030ELNS1_3gpuE2ELNS1_3repE0EEENS1_30default_config_static_selectorELNS0_4arch9wavefront6targetE0EEEvT1_
                                        ; -- End function
	.set _ZN7rocprim17ROCPRIM_400000_NS6detail17trampoline_kernelINS0_14default_configENS1_27scan_by_key_config_selectorIxxEEZZNS1_16scan_by_key_implILNS1_25lookback_scan_determinismE0ELb1ES3_N6thrust23THRUST_200600_302600_NS6detail15normal_iteratorINS9_10device_ptrIxEEEESE_SE_xNS9_10multipliesIxEENS9_8equal_toIxEExEE10hipError_tPvRmT2_T3_T4_T5_mT6_T7_P12ihipStream_tbENKUlT_T0_E_clISt17integral_constantIbLb1EESY_IbLb0EEEEDaSU_SV_EUlSU_E_NS1_11comp_targetILNS1_3genE8ELNS1_11target_archE1030ELNS1_3gpuE2ELNS1_3repE0EEENS1_30default_config_static_selectorELNS0_4arch9wavefront6targetE0EEEvT1_.num_vgpr, 0
	.set _ZN7rocprim17ROCPRIM_400000_NS6detail17trampoline_kernelINS0_14default_configENS1_27scan_by_key_config_selectorIxxEEZZNS1_16scan_by_key_implILNS1_25lookback_scan_determinismE0ELb1ES3_N6thrust23THRUST_200600_302600_NS6detail15normal_iteratorINS9_10device_ptrIxEEEESE_SE_xNS9_10multipliesIxEENS9_8equal_toIxEExEE10hipError_tPvRmT2_T3_T4_T5_mT6_T7_P12ihipStream_tbENKUlT_T0_E_clISt17integral_constantIbLb1EESY_IbLb0EEEEDaSU_SV_EUlSU_E_NS1_11comp_targetILNS1_3genE8ELNS1_11target_archE1030ELNS1_3gpuE2ELNS1_3repE0EEENS1_30default_config_static_selectorELNS0_4arch9wavefront6targetE0EEEvT1_.num_agpr, 0
	.set _ZN7rocprim17ROCPRIM_400000_NS6detail17trampoline_kernelINS0_14default_configENS1_27scan_by_key_config_selectorIxxEEZZNS1_16scan_by_key_implILNS1_25lookback_scan_determinismE0ELb1ES3_N6thrust23THRUST_200600_302600_NS6detail15normal_iteratorINS9_10device_ptrIxEEEESE_SE_xNS9_10multipliesIxEENS9_8equal_toIxEExEE10hipError_tPvRmT2_T3_T4_T5_mT6_T7_P12ihipStream_tbENKUlT_T0_E_clISt17integral_constantIbLb1EESY_IbLb0EEEEDaSU_SV_EUlSU_E_NS1_11comp_targetILNS1_3genE8ELNS1_11target_archE1030ELNS1_3gpuE2ELNS1_3repE0EEENS1_30default_config_static_selectorELNS0_4arch9wavefront6targetE0EEEvT1_.numbered_sgpr, 0
	.set _ZN7rocprim17ROCPRIM_400000_NS6detail17trampoline_kernelINS0_14default_configENS1_27scan_by_key_config_selectorIxxEEZZNS1_16scan_by_key_implILNS1_25lookback_scan_determinismE0ELb1ES3_N6thrust23THRUST_200600_302600_NS6detail15normal_iteratorINS9_10device_ptrIxEEEESE_SE_xNS9_10multipliesIxEENS9_8equal_toIxEExEE10hipError_tPvRmT2_T3_T4_T5_mT6_T7_P12ihipStream_tbENKUlT_T0_E_clISt17integral_constantIbLb1EESY_IbLb0EEEEDaSU_SV_EUlSU_E_NS1_11comp_targetILNS1_3genE8ELNS1_11target_archE1030ELNS1_3gpuE2ELNS1_3repE0EEENS1_30default_config_static_selectorELNS0_4arch9wavefront6targetE0EEEvT1_.num_named_barrier, 0
	.set _ZN7rocprim17ROCPRIM_400000_NS6detail17trampoline_kernelINS0_14default_configENS1_27scan_by_key_config_selectorIxxEEZZNS1_16scan_by_key_implILNS1_25lookback_scan_determinismE0ELb1ES3_N6thrust23THRUST_200600_302600_NS6detail15normal_iteratorINS9_10device_ptrIxEEEESE_SE_xNS9_10multipliesIxEENS9_8equal_toIxEExEE10hipError_tPvRmT2_T3_T4_T5_mT6_T7_P12ihipStream_tbENKUlT_T0_E_clISt17integral_constantIbLb1EESY_IbLb0EEEEDaSU_SV_EUlSU_E_NS1_11comp_targetILNS1_3genE8ELNS1_11target_archE1030ELNS1_3gpuE2ELNS1_3repE0EEENS1_30default_config_static_selectorELNS0_4arch9wavefront6targetE0EEEvT1_.private_seg_size, 0
	.set _ZN7rocprim17ROCPRIM_400000_NS6detail17trampoline_kernelINS0_14default_configENS1_27scan_by_key_config_selectorIxxEEZZNS1_16scan_by_key_implILNS1_25lookback_scan_determinismE0ELb1ES3_N6thrust23THRUST_200600_302600_NS6detail15normal_iteratorINS9_10device_ptrIxEEEESE_SE_xNS9_10multipliesIxEENS9_8equal_toIxEExEE10hipError_tPvRmT2_T3_T4_T5_mT6_T7_P12ihipStream_tbENKUlT_T0_E_clISt17integral_constantIbLb1EESY_IbLb0EEEEDaSU_SV_EUlSU_E_NS1_11comp_targetILNS1_3genE8ELNS1_11target_archE1030ELNS1_3gpuE2ELNS1_3repE0EEENS1_30default_config_static_selectorELNS0_4arch9wavefront6targetE0EEEvT1_.uses_vcc, 0
	.set _ZN7rocprim17ROCPRIM_400000_NS6detail17trampoline_kernelINS0_14default_configENS1_27scan_by_key_config_selectorIxxEEZZNS1_16scan_by_key_implILNS1_25lookback_scan_determinismE0ELb1ES3_N6thrust23THRUST_200600_302600_NS6detail15normal_iteratorINS9_10device_ptrIxEEEESE_SE_xNS9_10multipliesIxEENS9_8equal_toIxEExEE10hipError_tPvRmT2_T3_T4_T5_mT6_T7_P12ihipStream_tbENKUlT_T0_E_clISt17integral_constantIbLb1EESY_IbLb0EEEEDaSU_SV_EUlSU_E_NS1_11comp_targetILNS1_3genE8ELNS1_11target_archE1030ELNS1_3gpuE2ELNS1_3repE0EEENS1_30default_config_static_selectorELNS0_4arch9wavefront6targetE0EEEvT1_.uses_flat_scratch, 0
	.set _ZN7rocprim17ROCPRIM_400000_NS6detail17trampoline_kernelINS0_14default_configENS1_27scan_by_key_config_selectorIxxEEZZNS1_16scan_by_key_implILNS1_25lookback_scan_determinismE0ELb1ES3_N6thrust23THRUST_200600_302600_NS6detail15normal_iteratorINS9_10device_ptrIxEEEESE_SE_xNS9_10multipliesIxEENS9_8equal_toIxEExEE10hipError_tPvRmT2_T3_T4_T5_mT6_T7_P12ihipStream_tbENKUlT_T0_E_clISt17integral_constantIbLb1EESY_IbLb0EEEEDaSU_SV_EUlSU_E_NS1_11comp_targetILNS1_3genE8ELNS1_11target_archE1030ELNS1_3gpuE2ELNS1_3repE0EEENS1_30default_config_static_selectorELNS0_4arch9wavefront6targetE0EEEvT1_.has_dyn_sized_stack, 0
	.set _ZN7rocprim17ROCPRIM_400000_NS6detail17trampoline_kernelINS0_14default_configENS1_27scan_by_key_config_selectorIxxEEZZNS1_16scan_by_key_implILNS1_25lookback_scan_determinismE0ELb1ES3_N6thrust23THRUST_200600_302600_NS6detail15normal_iteratorINS9_10device_ptrIxEEEESE_SE_xNS9_10multipliesIxEENS9_8equal_toIxEExEE10hipError_tPvRmT2_T3_T4_T5_mT6_T7_P12ihipStream_tbENKUlT_T0_E_clISt17integral_constantIbLb1EESY_IbLb0EEEEDaSU_SV_EUlSU_E_NS1_11comp_targetILNS1_3genE8ELNS1_11target_archE1030ELNS1_3gpuE2ELNS1_3repE0EEENS1_30default_config_static_selectorELNS0_4arch9wavefront6targetE0EEEvT1_.has_recursion, 0
	.set _ZN7rocprim17ROCPRIM_400000_NS6detail17trampoline_kernelINS0_14default_configENS1_27scan_by_key_config_selectorIxxEEZZNS1_16scan_by_key_implILNS1_25lookback_scan_determinismE0ELb1ES3_N6thrust23THRUST_200600_302600_NS6detail15normal_iteratorINS9_10device_ptrIxEEEESE_SE_xNS9_10multipliesIxEENS9_8equal_toIxEExEE10hipError_tPvRmT2_T3_T4_T5_mT6_T7_P12ihipStream_tbENKUlT_T0_E_clISt17integral_constantIbLb1EESY_IbLb0EEEEDaSU_SV_EUlSU_E_NS1_11comp_targetILNS1_3genE8ELNS1_11target_archE1030ELNS1_3gpuE2ELNS1_3repE0EEENS1_30default_config_static_selectorELNS0_4arch9wavefront6targetE0EEEvT1_.has_indirect_call, 0
	.section	.AMDGPU.csdata,"",@progbits
; Kernel info:
; codeLenInByte = 0
; TotalNumSgprs: 0
; NumVgprs: 0
; ScratchSize: 0
; MemoryBound: 0
; FloatMode: 240
; IeeeMode: 1
; LDSByteSize: 0 bytes/workgroup (compile time only)
; SGPRBlocks: 0
; VGPRBlocks: 0
; NumSGPRsForWavesPerEU: 1
; NumVGPRsForWavesPerEU: 1
; NamedBarCnt: 0
; Occupancy: 16
; WaveLimiterHint : 0
; COMPUTE_PGM_RSRC2:SCRATCH_EN: 0
; COMPUTE_PGM_RSRC2:USER_SGPR: 2
; COMPUTE_PGM_RSRC2:TRAP_HANDLER: 0
; COMPUTE_PGM_RSRC2:TGID_X_EN: 1
; COMPUTE_PGM_RSRC2:TGID_Y_EN: 0
; COMPUTE_PGM_RSRC2:TGID_Z_EN: 0
; COMPUTE_PGM_RSRC2:TIDIG_COMP_CNT: 0
	.section	.text._ZN7rocprim17ROCPRIM_400000_NS6detail17trampoline_kernelINS0_14default_configENS1_27scan_by_key_config_selectorIxxEEZZNS1_16scan_by_key_implILNS1_25lookback_scan_determinismE0ELb1ES3_N6thrust23THRUST_200600_302600_NS6detail15normal_iteratorINS9_10device_ptrIxEEEESE_SE_xNS9_10multipliesIxEENS9_8equal_toIxEExEE10hipError_tPvRmT2_T3_T4_T5_mT6_T7_P12ihipStream_tbENKUlT_T0_E_clISt17integral_constantIbLb0EESY_IbLb1EEEEDaSU_SV_EUlSU_E_NS1_11comp_targetILNS1_3genE0ELNS1_11target_archE4294967295ELNS1_3gpuE0ELNS1_3repE0EEENS1_30default_config_static_selectorELNS0_4arch9wavefront6targetE0EEEvT1_,"axG",@progbits,_ZN7rocprim17ROCPRIM_400000_NS6detail17trampoline_kernelINS0_14default_configENS1_27scan_by_key_config_selectorIxxEEZZNS1_16scan_by_key_implILNS1_25lookback_scan_determinismE0ELb1ES3_N6thrust23THRUST_200600_302600_NS6detail15normal_iteratorINS9_10device_ptrIxEEEESE_SE_xNS9_10multipliesIxEENS9_8equal_toIxEExEE10hipError_tPvRmT2_T3_T4_T5_mT6_T7_P12ihipStream_tbENKUlT_T0_E_clISt17integral_constantIbLb0EESY_IbLb1EEEEDaSU_SV_EUlSU_E_NS1_11comp_targetILNS1_3genE0ELNS1_11target_archE4294967295ELNS1_3gpuE0ELNS1_3repE0EEENS1_30default_config_static_selectorELNS0_4arch9wavefront6targetE0EEEvT1_,comdat
	.protected	_ZN7rocprim17ROCPRIM_400000_NS6detail17trampoline_kernelINS0_14default_configENS1_27scan_by_key_config_selectorIxxEEZZNS1_16scan_by_key_implILNS1_25lookback_scan_determinismE0ELb1ES3_N6thrust23THRUST_200600_302600_NS6detail15normal_iteratorINS9_10device_ptrIxEEEESE_SE_xNS9_10multipliesIxEENS9_8equal_toIxEExEE10hipError_tPvRmT2_T3_T4_T5_mT6_T7_P12ihipStream_tbENKUlT_T0_E_clISt17integral_constantIbLb0EESY_IbLb1EEEEDaSU_SV_EUlSU_E_NS1_11comp_targetILNS1_3genE0ELNS1_11target_archE4294967295ELNS1_3gpuE0ELNS1_3repE0EEENS1_30default_config_static_selectorELNS0_4arch9wavefront6targetE0EEEvT1_ ; -- Begin function _ZN7rocprim17ROCPRIM_400000_NS6detail17trampoline_kernelINS0_14default_configENS1_27scan_by_key_config_selectorIxxEEZZNS1_16scan_by_key_implILNS1_25lookback_scan_determinismE0ELb1ES3_N6thrust23THRUST_200600_302600_NS6detail15normal_iteratorINS9_10device_ptrIxEEEESE_SE_xNS9_10multipliesIxEENS9_8equal_toIxEExEE10hipError_tPvRmT2_T3_T4_T5_mT6_T7_P12ihipStream_tbENKUlT_T0_E_clISt17integral_constantIbLb0EESY_IbLb1EEEEDaSU_SV_EUlSU_E_NS1_11comp_targetILNS1_3genE0ELNS1_11target_archE4294967295ELNS1_3gpuE0ELNS1_3repE0EEENS1_30default_config_static_selectorELNS0_4arch9wavefront6targetE0EEEvT1_
	.globl	_ZN7rocprim17ROCPRIM_400000_NS6detail17trampoline_kernelINS0_14default_configENS1_27scan_by_key_config_selectorIxxEEZZNS1_16scan_by_key_implILNS1_25lookback_scan_determinismE0ELb1ES3_N6thrust23THRUST_200600_302600_NS6detail15normal_iteratorINS9_10device_ptrIxEEEESE_SE_xNS9_10multipliesIxEENS9_8equal_toIxEExEE10hipError_tPvRmT2_T3_T4_T5_mT6_T7_P12ihipStream_tbENKUlT_T0_E_clISt17integral_constantIbLb0EESY_IbLb1EEEEDaSU_SV_EUlSU_E_NS1_11comp_targetILNS1_3genE0ELNS1_11target_archE4294967295ELNS1_3gpuE0ELNS1_3repE0EEENS1_30default_config_static_selectorELNS0_4arch9wavefront6targetE0EEEvT1_
	.p2align	8
	.type	_ZN7rocprim17ROCPRIM_400000_NS6detail17trampoline_kernelINS0_14default_configENS1_27scan_by_key_config_selectorIxxEEZZNS1_16scan_by_key_implILNS1_25lookback_scan_determinismE0ELb1ES3_N6thrust23THRUST_200600_302600_NS6detail15normal_iteratorINS9_10device_ptrIxEEEESE_SE_xNS9_10multipliesIxEENS9_8equal_toIxEExEE10hipError_tPvRmT2_T3_T4_T5_mT6_T7_P12ihipStream_tbENKUlT_T0_E_clISt17integral_constantIbLb0EESY_IbLb1EEEEDaSU_SV_EUlSU_E_NS1_11comp_targetILNS1_3genE0ELNS1_11target_archE4294967295ELNS1_3gpuE0ELNS1_3repE0EEENS1_30default_config_static_selectorELNS0_4arch9wavefront6targetE0EEEvT1_,@function
_ZN7rocprim17ROCPRIM_400000_NS6detail17trampoline_kernelINS0_14default_configENS1_27scan_by_key_config_selectorIxxEEZZNS1_16scan_by_key_implILNS1_25lookback_scan_determinismE0ELb1ES3_N6thrust23THRUST_200600_302600_NS6detail15normal_iteratorINS9_10device_ptrIxEEEESE_SE_xNS9_10multipliesIxEENS9_8equal_toIxEExEE10hipError_tPvRmT2_T3_T4_T5_mT6_T7_P12ihipStream_tbENKUlT_T0_E_clISt17integral_constantIbLb0EESY_IbLb1EEEEDaSU_SV_EUlSU_E_NS1_11comp_targetILNS1_3genE0ELNS1_11target_archE4294967295ELNS1_3gpuE0ELNS1_3repE0EEENS1_30default_config_static_selectorELNS0_4arch9wavefront6targetE0EEEvT1_: ; @_ZN7rocprim17ROCPRIM_400000_NS6detail17trampoline_kernelINS0_14default_configENS1_27scan_by_key_config_selectorIxxEEZZNS1_16scan_by_key_implILNS1_25lookback_scan_determinismE0ELb1ES3_N6thrust23THRUST_200600_302600_NS6detail15normal_iteratorINS9_10device_ptrIxEEEESE_SE_xNS9_10multipliesIxEENS9_8equal_toIxEExEE10hipError_tPvRmT2_T3_T4_T5_mT6_T7_P12ihipStream_tbENKUlT_T0_E_clISt17integral_constantIbLb0EESY_IbLb1EEEEDaSU_SV_EUlSU_E_NS1_11comp_targetILNS1_3genE0ELNS1_11target_archE4294967295ELNS1_3gpuE0ELNS1_3repE0EEENS1_30default_config_static_selectorELNS0_4arch9wavefront6targetE0EEEvT1_
; %bb.0:
	s_clause 0x3
	s_load_b256 s[20:27], s[0:1], 0x0
	s_load_b64 s[44:45], s[0:1], 0x20
	s_load_b256 s[36:43], s[0:1], 0x30
	s_load_b64 s[46:47], s[0:1], 0x50
	v_cmp_ne_u32_e64 s3, 0, v0
	v_cmp_eq_u32_e64 s2, 0, v0
	s_and_saveexec_b32 s4, s2
	s_cbranch_execz .LBB416_4
; %bb.1:
	s_mov_b32 s6, exec_lo
	s_mov_b32 s5, exec_lo
	v_mbcnt_lo_u32_b32 v1, s6, 0
                                        ; implicit-def: $vgpr2
	s_delay_alu instid0(VALU_DEP_1)
	v_cmpx_eq_u32_e32 0, v1
	s_cbranch_execz .LBB416_3
; %bb.2:
	s_load_b64 s[8:9], s[0:1], 0x80
	s_bcnt1_i32_b32 s6, s6
	s_delay_alu instid0(SALU_CYCLE_1)
	v_dual_mov_b32 v2, 0 :: v_dual_mov_b32 v3, s6
	s_wait_xcnt 0x0
	s_wait_kmcnt 0x0
	global_atomic_add_u32 v2, v2, v3, s[8:9] th:TH_ATOMIC_RETURN scope:SCOPE_DEV
.LBB416_3:
	s_wait_xcnt 0x0
	s_or_b32 exec_lo, exec_lo, s5
	s_wait_loadcnt 0x0
	v_readfirstlane_b32 s5, v2
	s_delay_alu instid0(VALU_DEP_1)
	v_dual_mov_b32 v2, 0 :: v_dual_add_nc_u32 v1, s5, v1
	ds_store_b32 v2, v1
.LBB416_4:
	s_or_b32 exec_lo, exec_lo, s4
	v_mov_b32_e32 v3, 0
	s_clause 0x1
	s_load_b32 s4, s[0:1], 0x58
	s_load_b128 s[28:31], s[0:1], 0x60
	s_wait_dscnt 0x0
	s_barrier_signal -1
	s_barrier_wait -1
	ds_load_b32 v2, v3
	s_mov_b32 s5, 0
	s_wait_kmcnt 0x0
	s_lshl_b64 s[34:35], s[22:23], 3
	s_wait_dscnt 0x0
	s_add_nc_u64 s[6:7], s[20:21], s[34:35]
	s_add_nc_u64 s[8:9], s[24:25], s[34:35]
	s_barrier_signal -1
	s_barrier_wait -1
	s_barrier_signal -1
	s_barrier_wait -1
	s_mul_u64 s[0:1], s[46:47], s[4:5]
	s_add_nc_u64 s[10:11], s[28:29], -1
	s_delay_alu instid0(SALU_CYCLE_1)
	s_mul_i32 s25, s10, 0xfffff200
	v_add_nc_u64_e32 v[4:5], s[0:1], v[2:3]
	v_readfirstlane_b32 s33, v2
	s_mul_i32 s4, s33, 0xe00
	v_cmp_le_u64_e64 s0, s[10:11], v[4:5]
	s_lshl_b64 s[28:29], s[4:5], 3
	s_delay_alu instid0(SALU_CYCLE_1)
	s_add_nc_u64 s[20:21], s[6:7], s[28:29]
	s_add_nc_u64 s[18:19], s[8:9], s[28:29]
	s_and_b32 vcc_lo, exec_lo, s0
	s_cbranch_vccz .LBB416_80
; %bb.5:
	flat_load_b64 v[2:3], v3, s[20:21]
	s_add_co_i32 s43, s25, s42
	s_delay_alu instid0(SALU_CYCLE_1)
	v_cmp_gt_u32_e32 vcc_lo, s43, v0
	s_wait_loadcnt_dscnt 0x0
	v_mov_b64_e32 v[4:5], v[2:3]
	s_and_saveexec_b32 s1, vcc_lo
	s_cbranch_execz .LBB416_7
; %bb.6:
	flat_load_b64 v[4:5], v0, s[20:21] scale_offset
.LBB416_7:
	s_wait_xcnt 0x0
	s_or_b32 exec_lo, exec_lo, s1
	v_or_b32_e32 v1, 0x100, v0
	v_mov_b64_e32 v[6:7], v[2:3]
	s_delay_alu instid0(VALU_DEP_2)
	v_cmp_gt_u32_e64 s1, s43, v1
	s_and_saveexec_b32 s4, s1
	s_cbranch_execz .LBB416_9
; %bb.8:
	flat_load_b64 v[6:7], v0, s[20:21] offset:2048 scale_offset
.LBB416_9:
	s_wait_xcnt 0x0
	s_or_b32 exec_lo, exec_lo, s4
	v_or_b32_e32 v1, 0x200, v0
	v_mov_b64_e32 v[8:9], v[2:3]
	s_delay_alu instid0(VALU_DEP_2)
	v_cmp_gt_u32_e64 s4, s43, v1
	s_and_saveexec_b32 s5, s4
	s_cbranch_execz .LBB416_11
; %bb.10:
	flat_load_b64 v[8:9], v0, s[20:21] offset:4096 scale_offset
.LBB416_11:
	;; [unrolled: 11-line block ×12, first 2 shown]
	s_wait_xcnt 0x0
	s_or_b32 exec_lo, exec_lo, s15
	v_or_b32_e32 v1, 0xd00, v0
	s_delay_alu instid0(VALU_DEP_1) | instskip(SKIP_2) | instid1(SALU_CYCLE_1)
	v_cmp_gt_u32_e64 s15, s43, v1
	v_cmp_le_u32_e64 s16, s43, v1
	s_and_saveexec_b32 s17, s16
	s_xor_b32 s16, exec_lo, s17
	s_delay_alu instid0(SALU_CYCLE_1)
	s_and_not1_saveexec_b32 s16, s16
	s_cbranch_execz .LBB416_33
; %bb.32:
	flat_load_b64 v[2:3], v0, s[20:21] offset:26624 scale_offset
.LBB416_33:
	s_wait_xcnt 0x0
	s_or_b32 exec_lo, exec_lo, s16
	v_lshlrev_b32_e32 v1, 3, v0
	s_mov_b32 s17, exec_lo
	s_wait_loadcnt_dscnt 0x0
	ds_store_2addr_stride64_b64 v1, v[4:5], v[6:7] offset1:4
	ds_store_2addr_stride64_b64 v1, v[8:9], v[10:11] offset0:8 offset1:12
	ds_store_2addr_stride64_b64 v1, v[12:13], v[14:15] offset0:16 offset1:20
	;; [unrolled: 1-line block ×6, first 2 shown]
	v_mov_b32_e32 v2, 0
	s_wait_dscnt 0x0
	s_barrier_signal -1
	s_barrier_wait -1
	flat_load_b64 v[56:57], v2, s[20:21]
	v_mad_u32_u24 v104, 0x68, v0, v1
	ds_load_b128 v[26:29], v104
	ds_load_b128 v[22:25], v104 offset:16
	ds_load_b128 v[18:21], v104 offset:32
	;; [unrolled: 1-line block ×5, first 2 shown]
	s_wait_xcnt 0x0
	ds_load_b128 v[2:5], v104 offset:96
	v_mad_i32_i24 v30, 0xffffff98, v0, v104
	s_wait_dscnt 0x6
	ds_store_b64 v30, v[26:27] offset:30720
	s_wait_loadcnt_dscnt 0x0
	s_barrier_signal -1
	s_barrier_wait -1
	v_cmpx_ne_u32_e32 0xff, v0
; %bb.34:
	v_mul_i32_i24_e32 v30, 0xffffff98, v0
	s_delay_alu instid0(VALU_DEP_1)
	v_add_nc_u32_e32 v30, v104, v30
	ds_load_b64 v[56:57], v30 offset:30728
; %bb.35:
	s_or_b32 exec_lo, exec_lo, s17
	s_wait_dscnt 0x0
	s_barrier_signal -1
	s_barrier_wait -1
                                        ; implicit-def: $vgpr30_vgpr31
	s_and_saveexec_b32 s16, vcc_lo
	s_cbranch_execz .LBB416_138
; %bb.36:
	flat_load_b64 v[30:31], v0, s[18:19] scale_offset
	s_wait_xcnt 0x0
	s_or_b32 exec_lo, exec_lo, s16
                                        ; implicit-def: $vgpr32_vgpr33
	s_and_saveexec_b32 s16, s1
	s_cbranch_execnz .LBB416_139
.LBB416_37:
	s_or_b32 exec_lo, exec_lo, s16
                                        ; implicit-def: $vgpr34_vgpr35
	s_and_saveexec_b32 s1, s4
	s_cbranch_execz .LBB416_140
.LBB416_38:
	flat_load_b64 v[34:35], v0, s[18:19] offset:4096 scale_offset
	s_wait_xcnt 0x0
	s_or_b32 exec_lo, exec_lo, s1
                                        ; implicit-def: $vgpr36_vgpr37
	s_and_saveexec_b32 s1, s5
	s_cbranch_execnz .LBB416_141
.LBB416_39:
	s_or_b32 exec_lo, exec_lo, s1
                                        ; implicit-def: $vgpr38_vgpr39
	s_and_saveexec_b32 s1, s6
	s_cbranch_execz .LBB416_142
.LBB416_40:
	flat_load_b64 v[38:39], v0, s[18:19] offset:8192 scale_offset
	s_wait_xcnt 0x0
	s_or_b32 exec_lo, exec_lo, s1
                                        ; implicit-def: $vgpr40_vgpr41
	s_and_saveexec_b32 s1, s7
	s_cbranch_execnz .LBB416_143
.LBB416_41:
	s_or_b32 exec_lo, exec_lo, s1
                                        ; implicit-def: $vgpr42_vgpr43
	s_and_saveexec_b32 s1, s8
	s_cbranch_execz .LBB416_144
.LBB416_42:
	flat_load_b64 v[42:43], v0, s[18:19] offset:12288 scale_offset
	s_wait_xcnt 0x0
	s_or_b32 exec_lo, exec_lo, s1
                                        ; implicit-def: $vgpr44_vgpr45
	s_and_saveexec_b32 s1, s9
	s_cbranch_execnz .LBB416_145
.LBB416_43:
	s_or_b32 exec_lo, exec_lo, s1
                                        ; implicit-def: $vgpr46_vgpr47
	s_and_saveexec_b32 s1, s10
	s_cbranch_execz .LBB416_146
.LBB416_44:
	flat_load_b64 v[46:47], v0, s[18:19] offset:16384 scale_offset
	s_wait_xcnt 0x0
	s_or_b32 exec_lo, exec_lo, s1
                                        ; implicit-def: $vgpr48_vgpr49
	s_and_saveexec_b32 s1, s11
	s_cbranch_execnz .LBB416_147
.LBB416_45:
	s_or_b32 exec_lo, exec_lo, s1
                                        ; implicit-def: $vgpr50_vgpr51
	s_and_saveexec_b32 s1, s12
	s_cbranch_execz .LBB416_148
.LBB416_46:
	flat_load_b64 v[50:51], v0, s[18:19] offset:20480 scale_offset
	s_wait_xcnt 0x0
	s_or_b32 exec_lo, exec_lo, s1
                                        ; implicit-def: $vgpr52_vgpr53
	s_and_saveexec_b32 s1, s13
	s_cbranch_execnz .LBB416_149
.LBB416_47:
	s_or_b32 exec_lo, exec_lo, s1
                                        ; implicit-def: $vgpr54_vgpr55
	s_and_saveexec_b32 s1, s14
	s_cbranch_execz .LBB416_49
.LBB416_48:
	flat_load_b64 v[54:55], v0, s[18:19] offset:24576 scale_offset
.LBB416_49:
	s_wait_xcnt 0x0
	s_or_b32 exec_lo, exec_lo, s1
	v_mul_u32_u24_e32 v109, 14, v0
                                        ; implicit-def: $vgpr58_vgpr59
	s_and_saveexec_b32 s1, s15
	s_cbranch_execz .LBB416_51
; %bb.50:
	flat_load_b64 v[58:59], v0, s[18:19] offset:26624 scale_offset
.LBB416_51:
	s_wait_xcnt 0x0
	s_or_b32 exec_lo, exec_lo, s1
	s_wait_loadcnt_dscnt 0x0
	ds_store_2addr_stride64_b64 v1, v[30:31], v[32:33] offset1:4
	ds_store_2addr_stride64_b64 v1, v[34:35], v[36:37] offset0:8 offset1:12
	ds_store_2addr_stride64_b64 v1, v[38:39], v[40:41] offset0:16 offset1:20
	;; [unrolled: 1-line block ×6, first 2 shown]
	v_mov_b64_e32 v[66:67], 0
	v_mov_b64_e32 v[80:81], 0
	;; [unrolled: 1-line block ×27, first 2 shown]
	v_cmp_gt_u32_e32 vcc_lo, s43, v109
	v_dual_mov_b32 v86, 0 :: v_dual_mov_b32 v87, 0
	v_dual_mov_b32 v88, 0 :: v_dual_mov_b32 v89, 0
	;; [unrolled: 1-line block ×13, first 2 shown]
	s_mov_b32 s16, 0
	s_mov_b32 s5, 0
	s_wait_dscnt 0x0
	s_barrier_signal -1
	s_barrier_wait -1
                                        ; implicit-def: $sgpr22
	s_and_saveexec_b32 s17, vcc_lo
	s_cbranch_execz .LBB416_79
; %bb.52:
	ds_load_b64 v[30:31], v104
	v_cmp_ne_u64_e32 vcc_lo, v[26:27], v[28:29]
	v_dual_mov_b32 v86, 0 :: v_dual_bitop2_b32 v1, 1, v109 bitop3:0x54
	v_mov_b64_e32 v[66:67], 0
	v_mov_b64_e32 v[80:81], 0
	v_mov_b64_e32 v[78:79], 0
	v_mov_b64_e32 v[84:85], 0
	v_mov_b64_e32 v[76:77], 0
	v_mov_b64_e32 v[82:83], 0
	v_mov_b64_e32 v[72:73], 0
	v_mov_b64_e32 v[74:75], 0
	v_mov_b64_e32 v[70:71], 0
	v_mov_b64_e32 v[68:69], 0
	v_mov_b64_e32 v[64:65], 0
	v_mov_b64_e32 v[62:63], 0
	v_mov_b64_e32 v[44:45], 0
	v_mov_b64_e32 v[34:35], 0
	v_mov_b64_e32 v[36:37], 0
	v_mov_b64_e32 v[38:39], 0
	s_wait_dscnt 0x0
	v_cndmask_b32_e64 v61, v31, s45, vcc_lo
	v_cndmask_b32_e64 v60, v30, s44, vcc_lo
	v_mov_b64_e32 v[30:31], 0
	v_mov_b64_e32 v[40:41], 0
	;; [unrolled: 1-line block ×9, first 2 shown]
	v_dual_mov_b32 v87, 0 :: v_dual_mov_b32 v88, 0
	v_dual_mov_b32 v89, 0 :: v_dual_mov_b32 v90, 0
	;; [unrolled: 1-line block ×4, first 2 shown]
	v_cmp_gt_u32_e64 s1, s43, v1
	v_dual_mov_b32 v102, 0 :: v_dual_mov_b32 v105, 0
	v_dual_mov_b32 v108, 0 :: v_dual_mov_b32 v92, 0
	;; [unrolled: 1-line block ×7, first 2 shown]
	v_mov_b32_e32 v112, 0
	s_mov_b32 s4, 0
                                        ; implicit-def: $sgpr22
	s_and_saveexec_b32 s23, s1
	s_cbranch_execz .LBB416_78
; %bb.53:
	ds_load_2addr_b64 v[30:33], v104 offset0:1 offset1:2
	v_cmp_ne_u64_e64 s1, v[28:29], v[22:23]
	v_dual_mov_b32 v86, 0 :: v_dual_add_nc_u32 v1, 2, v109
	v_mov_b64_e32 v[66:67], 0
	v_mov_b64_e32 v[80:81], 0
	;; [unrolled: 1-line block ×16, first 2 shown]
	s_wait_dscnt 0x0
	v_cndmask_b32_e64 v63, v31, s45, s1
	v_cndmask_b32_e64 v62, v30, s44, s1
	v_mov_b64_e32 v[30:31], 0
	v_mov_b64_e32 v[42:43], 0
	;; [unrolled: 1-line block ×7, first 2 shown]
	v_dual_mov_b32 v87, 0 :: v_dual_mov_b32 v88, 0
	v_dual_mov_b32 v89, 0 :: v_dual_mov_b32 v90, 0
	;; [unrolled: 1-line block ×4, first 2 shown]
	v_cmp_gt_u32_e64 s4, s43, v1
	v_dual_mov_b32 v102, 0 :: v_dual_mov_b32 v105, 0
	v_dual_mov_b32 v92, 0 :: v_dual_mov_b32 v91, 0
	;; [unrolled: 1-line block ×6, first 2 shown]
	v_mov_b32_e32 v110, 0
                                        ; implicit-def: $sgpr22
	s_and_saveexec_b32 s24, s4
	s_cbranch_execz .LBB416_77
; %bb.54:
	v_cmp_ne_u64_e64 s4, v[22:23], v[24:25]
	v_dual_mov_b32 v86, 0 :: v_dual_add_nc_u32 v1, 3, v109
	v_mov_b64_e32 v[66:67], 0
	v_mov_b64_e32 v[80:81], 0
	;; [unrolled: 1-line block ×21, first 2 shown]
	v_cndmask_b32_e64 v65, v33, s45, s4
	v_dual_mov_b32 v87, 0 :: v_dual_mov_b32 v88, 0
	v_cmp_gt_u32_e64 s5, s43, v1
	v_cndmask_b32_e64 v64, v32, s44, s4
	v_dual_mov_b32 v89, 0 :: v_dual_mov_b32 v90, 0
	v_dual_mov_b32 v93, 0 :: v_dual_mov_b32 v95, 0
	;; [unrolled: 1-line block ×8, first 2 shown]
	v_mov_b32_e32 v107, 0
	s_mov_b32 s6, 0
                                        ; implicit-def: $sgpr22
	s_and_saveexec_b32 s48, s5
	s_cbranch_execz .LBB416_76
; %bb.55:
	ds_load_2addr_b64 v[26:29], v104 offset0:3 offset1:4
	v_cmp_ne_u64_e64 s5, v[24:25], v[18:19]
	v_dual_mov_b32 v86, 0 :: v_dual_add_nc_u32 v1, 4, v109
	v_mov_b64_e32 v[66:67], 0
	v_mov_b64_e32 v[80:81], 0
	;; [unrolled: 1-line block ×19, first 2 shown]
	v_dual_mov_b32 v87, 0 :: v_dual_mov_b32 v88, 0
	v_dual_mov_b32 v89, 0 :: v_dual_mov_b32 v90, 0
	v_dual_mov_b32 v93, 0 :: v_dual_mov_b32 v95, 0
	v_dual_mov_b32 v97, 0 :: v_dual_mov_b32 v100, 0
	v_cmp_gt_u32_e64 s6, s43, v1
	s_wait_dscnt 0x0
	v_cndmask_b32_e64 v69, v27, s45, s5
	v_cndmask_b32_e64 v68, v26, s44, s5
	v_dual_mov_b32 v92, 0 :: v_dual_mov_b32 v91, 0
	v_dual_mov_b32 v94, 0 :: v_dual_mov_b32 v96, 0
	;; [unrolled: 1-line block ×4, first 2 shown]
	v_mov_b32_e32 v106, 0
	s_mov_b32 s7, 0
                                        ; implicit-def: $sgpr22
	s_and_saveexec_b32 s49, s6
	s_cbranch_execz .LBB416_75
; %bb.56:
	v_cmp_ne_u64_e64 s6, v[18:19], v[20:21]
	v_dual_mov_b32 v86, 0 :: v_dual_add_nc_u32 v1, 5, v109
	v_mov_b64_e32 v[66:67], 0
	v_mov_b64_e32 v[80:81], 0
	;; [unrolled: 1-line block ×17, first 2 shown]
	v_cndmask_b32_e64 v71, v29, s45, s6
	v_dual_mov_b32 v87, 0 :: v_dual_mov_b32 v88, 0
	v_cmp_gt_u32_e64 s7, s43, v1
	v_cndmask_b32_e64 v70, v28, s44, s6
	v_dual_mov_b32 v89, 0 :: v_dual_mov_b32 v90, 0
	v_dual_mov_b32 v93, 0 :: v_dual_mov_b32 v95, 0
	;; [unrolled: 1-line block ×6, first 2 shown]
	v_mov_b32_e32 v103, 0
	s_mov_b32 s8, 0
                                        ; implicit-def: $sgpr22
	s_and_saveexec_b32 s50, s7
	s_cbranch_execz .LBB416_74
; %bb.57:
	ds_load_2addr_b64 v[22:25], v104 offset0:5 offset1:6
	v_cmp_ne_u64_e64 s7, v[20:21], v[14:15]
	v_mov_b64_e32 v[66:67], 0
	v_mov_b64_e32 v[80:81], 0
	;; [unrolled: 1-line block ×15, first 2 shown]
	v_dual_mov_b32 v86, 0 :: v_dual_add_nc_u32 v1, 6, v109
	v_dual_mov_b32 v87, 0 :: v_dual_mov_b32 v88, 0
	v_dual_mov_b32 v89, 0 :: v_dual_mov_b32 v90, 0
	;; [unrolled: 1-line block ×3, first 2 shown]
	s_wait_dscnt 0x0
	v_cndmask_b32_e64 v75, v23, s45, s7
	v_cndmask_b32_e64 v74, v22, s44, s7
	v_dual_mov_b32 v92, 0 :: v_dual_mov_b32 v91, 0
	v_dual_mov_b32 v94, 0 :: v_dual_mov_b32 v96, 0
	;; [unrolled: 1-line block ×3, first 2 shown]
	v_mov_b32_e32 v101, 0
	s_mov_b32 s9, 0
	s_mov_b32 s51, exec_lo
                                        ; implicit-def: $sgpr22
	v_cmpx_gt_u32_e64 s43, v1
	s_cbranch_execz .LBB416_73
; %bb.58:
	v_cmp_ne_u64_e64 s8, v[14:15], v[16:17]
	v_dual_mov_b32 v86, 0 :: v_dual_add_nc_u32 v1, 7, v109
	v_mov_b64_e32 v[66:67], 0
	v_mov_b64_e32 v[80:81], 0
	;; [unrolled: 1-line block ×13, first 2 shown]
	v_cndmask_b32_e64 v73, v25, s45, s8
	v_dual_mov_b32 v87, 0 :: v_dual_mov_b32 v88, 0
	v_cmp_gt_u32_e64 s9, s43, v1
	v_cndmask_b32_e64 v72, v24, s44, s8
	v_dual_mov_b32 v89, 0 :: v_dual_mov_b32 v90, 0
	v_dual_mov_b32 v93, 0 :: v_dual_mov_b32 v92, 0
	;; [unrolled: 1-line block ×4, first 2 shown]
	v_mov_b32_e32 v99, 0
	s_mov_b32 s10, 0
                                        ; implicit-def: $sgpr22
	s_and_saveexec_b32 s52, s9
	s_cbranch_execz .LBB416_72
; %bb.59:
	ds_load_2addr_b64 v[18:21], v104 offset0:7 offset1:8
	v_cmp_ne_u64_e64 s9, v[16:17], v[10:11]
	v_mov_b64_e32 v[66:67], 0
	v_mov_b64_e32 v[80:81], 0
	;; [unrolled: 1-line block ×11, first 2 shown]
	v_dual_mov_b32 v86, 0 :: v_dual_add_nc_u32 v1, 8, v109
	v_dual_mov_b32 v87, 0 :: v_dual_mov_b32 v88, 0
	v_dual_mov_b32 v89, 0 :: v_dual_mov_b32 v90, 0
	;; [unrolled: 1-line block ×3, first 2 shown]
	s_wait_dscnt 0x0
	v_cndmask_b32_e64 v83, v19, s45, s9
	v_cndmask_b32_e64 v82, v18, s44, s9
	v_dual_mov_b32 v94, 0 :: v_dual_mov_b32 v96, 0
	v_mov_b32_e32 v98, 0
	s_mov_b32 s11, 0
	s_mov_b32 s53, exec_lo
                                        ; implicit-def: $sgpr22
	v_cmpx_gt_u32_e64 s43, v1
	s_cbranch_execz .LBB416_71
; %bb.60:
	v_cmp_ne_u64_e64 s10, v[10:11], v[12:13]
	v_mov_b64_e32 v[66:67], 0
	v_mov_b64_e32 v[80:81], 0
	;; [unrolled: 1-line block ×9, first 2 shown]
	v_dual_mov_b32 v86, 0 :: v_dual_add_nc_u32 v1, 9, v109
	v_cndmask_b32_e64 v77, v21, s45, s10
	v_dual_mov_b32 v87, 0 :: v_dual_mov_b32 v88, 0
	v_cndmask_b32_e64 v76, v20, s44, s10
	v_dual_mov_b32 v89, 0 :: v_dual_mov_b32 v92, 0
	v_dual_mov_b32 v91, 0 :: v_dual_mov_b32 v94, 0
	v_mov_b32_e32 v96, 0
	s_mov_b32 s12, 0
	s_mov_b32 s54, exec_lo
                                        ; implicit-def: $sgpr22
	v_cmpx_gt_u32_e64 s43, v1
	s_cbranch_execz .LBB416_70
; %bb.61:
	ds_load_2addr_b64 v[14:17], v104 offset0:9 offset1:10
	v_cmp_ne_u64_e64 s11, v[12:13], v[6:7]
	v_mov_b64_e32 v[66:67], 0
	v_mov_b64_e32 v[80:81], 0
	v_mov_b64_e32 v[78:79], 0
	v_mov_b64_e32 v[44:45], 0
	v_mov_b64_e32 v[30:31], 0
	v_mov_b64_e32 v[34:35], 0
	v_mov_b64_e32 v[36:37], 0
	v_dual_mov_b32 v86, 0 :: v_dual_add_nc_u32 v1, 10, v109
	v_dual_mov_b32 v87, 0 :: v_dual_mov_b32 v88, 0
	v_dual_mov_b32 v92, 0 :: v_dual_mov_b32 v91, 0
	v_mov_b32_e32 v94, 0
	s_mov_b32 s13, 0
	s_mov_b32 s55, exec_lo
                                        ; implicit-def: $sgpr22
	s_wait_dscnt 0x0
	v_cndmask_b32_e64 v85, v15, s45, s11
	v_cndmask_b32_e64 v84, v14, s44, s11
	v_cmpx_gt_u32_e64 s43, v1
	s_cbranch_execz .LBB416_69
; %bb.62:
	v_cmp_ne_u64_e64 s12, v[6:7], v[8:9]
	v_mov_b64_e32 v[66:67], 0
	v_mov_b64_e32 v[80:81], 0
	;; [unrolled: 1-line block ×4, first 2 shown]
	v_dual_mov_b32 v86, 0 :: v_dual_add_nc_u32 v1, 11, v109
	v_cndmask_b32_e64 v79, v17, s45, s12
	v_cndmask_b32_e64 v78, v16, s44, s12
	v_dual_mov_b32 v87, 0 :: v_dual_mov_b32 v91, 0
	s_mov_b32 s14, 0
	s_mov_b32 s56, exec_lo
                                        ; implicit-def: $sgpr22
	v_cmpx_gt_u32_e64 s43, v1
	s_cbranch_execz .LBB416_68
; %bb.63:
	ds_load_2addr_b64 v[10:13], v104 offset0:11 offset1:12
	v_cmp_ne_u64_e64 s13, v[8:9], v[2:3]
	v_mov_b64_e32 v[66:67], 0
	v_mov_b64_e32 v[44:45], 0
	v_dual_mov_b32 v86, 0 :: v_dual_add_nc_u32 v1, 12, v109
	s_mov_b32 s15, 0
	s_mov_b32 s57, exec_lo
                                        ; implicit-def: $sgpr22
	s_wait_dscnt 0x0
	v_cndmask_b32_e64 v81, v11, s45, s13
	v_cndmask_b32_e64 v80, v10, s44, s13
	v_cmpx_gt_u32_e64 s43, v1
	s_cbranch_execz .LBB416_67
; %bb.64:
	v_cmp_ne_u64_e64 s14, v[2:3], v[4:5]
	v_add_nc_u32_e32 v1, 13, v109
	v_mov_b64_e32 v[44:45], 0
                                        ; implicit-def: $sgpr22
	s_delay_alu instid0(VALU_DEP_2) | instskip(NEXT) | instid1(VALU_DEP_4)
	v_cmp_gt_u32_e64 s15, s43, v1
	v_cndmask_b32_e64 v67, v13, s45, s14
	v_cndmask_b32_e64 v66, v12, s44, s14
	s_mov_b32 s43, 0
	s_and_saveexec_b32 s58, s15
	s_delay_alu instid0(SALU_CYCLE_1)
	s_xor_b32 s15, exec_lo, s58
	s_cbranch_execz .LBB416_66
; %bb.65:
	ds_load_b64 v[2:3], v104 offset:104
	v_cmp_ne_u64_e64 s22, v[4:5], v[56:57]
	s_mov_b32 s43, exec_lo
	s_wait_dscnt 0x0
	v_cndmask_b32_e64 v45, v3, s45, s22
	v_cndmask_b32_e64 v44, v2, s44, s22
.LBB416_66:
	s_or_b32 exec_lo, exec_lo, s15
	v_cndmask_b32_e64 v86, 0, 1, s14
	s_and_b32 s15, s43, exec_lo
.LBB416_67:
	s_or_b32 exec_lo, exec_lo, s57
	v_cndmask_b32_e64 v87, 0, 1, s13
	v_mov_b64_e32 v[34:35], v[80:81]
	s_and_b32 s14, s15, exec_lo
	s_delay_alu instid0(VALU_DEP_2)
	v_mov_b32_e32 v91, v87
.LBB416_68:
	s_or_b32 exec_lo, exec_lo, s56
	v_cndmask_b32_e64 v88, 0, 1, s12
	v_mov_b64_e32 v[30:31], v[66:67]
	v_mov_b64_e32 v[36:37], v[78:79]
	v_mov_b32_e32 v92, v86
	s_and_b32 s13, s14, exec_lo
	v_mov_b32_e32 v94, v88
.LBB416_69:
	s_or_b32 exec_lo, exec_lo, s55
	v_cndmask_b32_e64 v89, 0, 1, s11
	v_mov_b64_e32 v[38:39], v[84:85]
	s_and_b32 s12, s13, exec_lo
	s_delay_alu instid0(VALU_DEP_2)
	v_mov_b32_e32 v96, v89
.LBB416_70:
	s_or_b32 exec_lo, exec_lo, s54
	v_cndmask_b32_e64 v90, 0, 1, s10
	v_mov_b64_e32 v[40:41], v[76:77]
	s_and_b32 s11, s12, exec_lo
	s_delay_alu instid0(VALU_DEP_2)
	v_mov_b32_e32 v98, v90
.LBB416_71:
	s_or_b32 exec_lo, exec_lo, s53
	v_cndmask_b32_e64 v93, 0, 1, s9
	v_mov_b64_e32 v[42:43], v[82:83]
	s_and_b32 s10, s11, exec_lo
	s_delay_alu instid0(VALU_DEP_2)
	v_mov_b32_e32 v99, v93
.LBB416_72:
	s_or_b32 exec_lo, exec_lo, s52
	v_cndmask_b32_e64 v95, 0, 1, s8
	v_mov_b64_e32 v[46:47], v[72:73]
	s_and_b32 s9, s10, exec_lo
	s_delay_alu instid0(VALU_DEP_2)
	v_mov_b32_e32 v101, v95
.LBB416_73:
	s_or_b32 exec_lo, exec_lo, s51
	v_cndmask_b32_e64 v97, 0, 1, s7
	v_mov_b64_e32 v[48:49], v[74:75]
	s_and_b32 s8, s9, exec_lo
	s_delay_alu instid0(VALU_DEP_2)
	v_mov_b32_e32 v103, v97
.LBB416_74:
	s_or_b32 exec_lo, exec_lo, s50
	v_cndmask_b32_e64 v100, 0, 1, s6
	v_mov_b64_e32 v[50:51], v[70:71]
	s_and_b32 s7, s8, exec_lo
	s_delay_alu instid0(VALU_DEP_2)
	v_mov_b32_e32 v106, v100
.LBB416_75:
	s_or_b32 exec_lo, exec_lo, s49
	v_cndmask_b32_e64 v102, 0, 1, s5
	v_mov_b64_e32 v[52:53], v[68:69]
	s_and_b32 s6, s7, exec_lo
	s_delay_alu instid0(VALU_DEP_2)
	v_mov_b32_e32 v107, v102
.LBB416_76:
	s_or_b32 exec_lo, exec_lo, s48
	v_cndmask_b32_e64 v105, 0, 1, s4
	v_mov_b64_e32 v[54:55], v[64:65]
	s_and_b32 s5, s6, exec_lo
	s_delay_alu instid0(VALU_DEP_2)
	v_mov_b32_e32 v110, v105
.LBB416_77:
	s_or_b32 exec_lo, exec_lo, s24
	v_cndmask_b32_e64 v108, 0, 1, s1
	v_mov_b64_e32 v[32:33], v[62:63]
	s_and_b32 s4, s5, exec_lo
	s_delay_alu instid0(VALU_DEP_2)
	v_mov_b32_e32 v112, v108
.LBB416_78:
	s_or_b32 exec_lo, exec_lo, s23
	v_cndmask_b32_e64 v111, 0, 1, vcc_lo
	v_mov_b64_e32 v[58:59], v[60:61]
	s_and_b32 s5, s4, exec_lo
	s_delay_alu instid0(VALU_DEP_2)
	v_mov_b32_e32 v1, v111
.LBB416_79:
	s_or_b32 exec_lo, exec_lo, s17
	v_lshlrev_b32_e32 v56, 3, v0
	s_and_b32 vcc_lo, exec_lo, s16
	s_cbranch_vccnz .LBB416_81
	s_branch .LBB416_86
.LBB416_80:
                                        ; implicit-def: $sgpr22
                                        ; implicit-def: $vgpr86
                                        ; implicit-def: $vgpr66_vgpr67
                                        ; implicit-def: $vgpr87
                                        ; implicit-def: $vgpr80_vgpr81
                                        ; implicit-def: $vgpr88
                                        ; implicit-def: $vgpr78_vgpr79
                                        ; implicit-def: $vgpr89
                                        ; implicit-def: $vgpr84_vgpr85
                                        ; implicit-def: $vgpr90
                                        ; implicit-def: $vgpr76_vgpr77
                                        ; implicit-def: $vgpr93
                                        ; implicit-def: $vgpr82_vgpr83
                                        ; implicit-def: $vgpr95
                                        ; implicit-def: $vgpr72_vgpr73
                                        ; implicit-def: $vgpr97
                                        ; implicit-def: $vgpr74_vgpr75
                                        ; implicit-def: $vgpr100
                                        ; implicit-def: $vgpr70_vgpr71
                                        ; implicit-def: $vgpr102
                                        ; implicit-def: $vgpr68_vgpr69
                                        ; implicit-def: $vgpr105
                                        ; implicit-def: $vgpr64_vgpr65
                                        ; implicit-def: $vgpr108
                                        ; implicit-def: $vgpr62_vgpr63
                                        ; implicit-def: $vgpr111
                                        ; implicit-def: $vgpr60_vgpr61
                                        ; implicit-def: $vgpr44_vgpr45
                                        ; implicit-def: $vgpr92
                                        ; implicit-def: $vgpr30_vgpr31
                                        ; implicit-def: $vgpr91
                                        ; implicit-def: $vgpr34_vgpr35
                                        ; implicit-def: $vgpr94
                                        ; implicit-def: $vgpr36_vgpr37
                                        ; implicit-def: $vgpr96
                                        ; implicit-def: $vgpr98
                                        ; implicit-def: $vgpr99
                                        ; implicit-def: $vgpr101
                                        ; implicit-def: $vgpr103
                                        ; implicit-def: $vgpr106
                                        ; implicit-def: $vgpr107
                                        ; implicit-def: $vgpr110
                                        ; implicit-def: $vgpr112
                                        ; implicit-def: $vgpr1
                                        ; implicit-def: $vgpr38_vgpr39
                                        ; implicit-def: $vgpr40_vgpr41
                                        ; implicit-def: $vgpr42_vgpr43
                                        ; implicit-def: $vgpr46_vgpr47
                                        ; implicit-def: $vgpr48_vgpr49
                                        ; implicit-def: $vgpr50_vgpr51
                                        ; implicit-def: $vgpr52_vgpr53
                                        ; implicit-def: $vgpr54_vgpr55
                                        ; implicit-def: $vgpr32_vgpr33
                                        ; implicit-def: $vgpr58_vgpr59
	v_lshlrev_b32_e32 v56, 3, v0
	s_cbranch_execz .LBB416_86
.LBB416_81:
	s_clause 0xd
	flat_load_b64 v[2:3], v0, s[20:21] scale_offset
	flat_load_b64 v[4:5], v0, s[20:21] offset:2048 scale_offset
	flat_load_b64 v[6:7], v0, s[20:21] offset:4096 scale_offset
	;; [unrolled: 1-line block ×13, first 2 shown]
	v_mov_b32_e32 v1, 0
	s_mov_b32 s1, exec_lo
	s_wait_loadcnt_dscnt 0xc0c
	ds_store_2addr_stride64_b64 v56, v[2:3], v[4:5] offset1:4
	s_wait_loadcnt_dscnt 0xa0b
	ds_store_2addr_stride64_b64 v56, v[6:7], v[8:9] offset0:8 offset1:12
	s_wait_loadcnt_dscnt 0x80a
	ds_store_2addr_stride64_b64 v56, v[10:11], v[12:13] offset0:16 offset1:20
	;; [unrolled: 2-line block ×6, first 2 shown]
	s_wait_dscnt 0x0
	s_barrier_signal -1
	s_barrier_wait -1
	flat_load_b64 v[58:59], v1, s[20:21] offset:28672
	s_wait_xcnt 0x0
	v_mad_u32_u24 v1, 0x68, v0, v56
	ds_load_b128 v[38:41], v1
	ds_load_b128 v[34:37], v1 offset:16
	ds_load_b128 v[26:29], v1 offset:32
	ds_load_b128 v[18:21], v1 offset:48
	ds_load_b128 v[10:13], v1 offset:64
	ds_load_b128 v[6:9], v1 offset:80
	ds_load_b128 v[2:5], v1 offset:96
	v_mad_i32_i24 v14, 0xffffff98, v0, v1
	s_wait_dscnt 0x6
	ds_store_b64 v14, v[38:39] offset:30720
	s_wait_loadcnt_dscnt 0x0
	s_barrier_signal -1
	s_barrier_wait -1
	v_cmpx_ne_u32_e32 0xff, v0
; %bb.82:
	v_mul_i32_i24_e32 v14, 0xffffff98, v0
	s_delay_alu instid0(VALU_DEP_1)
	v_add_nc_u32_e32 v14, v1, v14
	ds_load_b64 v[58:59], v14 offset:30728
; %bb.83:
	s_or_b32 exec_lo, exec_lo, s1
	s_wait_dscnt 0x0
	s_barrier_signal -1
	s_barrier_wait -1
	s_clause 0xd
	flat_load_b64 v[14:15], v0, s[18:19] scale_offset
	flat_load_b64 v[16:17], v0, s[18:19] offset:2048 scale_offset
	flat_load_b64 v[22:23], v0, s[18:19] offset:4096 scale_offset
	;; [unrolled: 1-line block ×13, first 2 shown]
	s_mov_b32 s4, exec_lo
	v_cmp_ne_u64_e32 vcc_lo, v[38:39], v[40:41]
	s_wait_loadcnt_dscnt 0xc0c
	ds_store_2addr_stride64_b64 v56, v[14:15], v[16:17] offset1:4
	s_wait_loadcnt_dscnt 0xa0b
	ds_store_2addr_stride64_b64 v56, v[22:23], v[24:25] offset0:8 offset1:12
	s_wait_loadcnt_dscnt 0x80a
	ds_store_2addr_stride64_b64 v56, v[30:31], v[32:33] offset0:16 offset1:20
	s_wait_loadcnt_dscnt 0x609
	ds_store_2addr_stride64_b64 v56, v[42:43], v[44:45] offset0:24 offset1:28
	s_wait_loadcnt_dscnt 0x408
	ds_store_2addr_stride64_b64 v56, v[46:47], v[48:49] offset0:32 offset1:36
	s_wait_loadcnt_dscnt 0x207
	ds_store_2addr_stride64_b64 v56, v[50:51], v[52:53] offset0:40 offset1:44
	s_wait_loadcnt_dscnt 0x6
	ds_store_2addr_stride64_b64 v56, v[54:55], v[60:61] offset0:48 offset1:52
	s_wait_dscnt 0x0
	s_barrier_signal -1
	s_barrier_wait -1
	ds_load_2addr_b64 v[50:53], v1 offset0:1 offset1:2
	ds_load_2addr_b64 v[46:49], v1 offset0:3 offset1:4
	;; [unrolled: 1-line block ×6, first 2 shown]
	ds_load_b64 v[54:55], v1 offset:104
	v_mov_b64_e32 v[60:61], s[44:45]
	v_cmpx_eq_u64_e64 v[38:39], v[40:41]
; %bb.84:
	ds_load_b64 v[60:61], v1
; %bb.85:
	s_or_b32 exec_lo, exec_lo, s4
	v_cndmask_b32_e64 v111, 0, 1, vcc_lo
	v_cmp_ne_u64_e32 vcc_lo, v[40:41], v[34:35]
	v_cmp_ne_u64_e64 s1, v[34:35], v[36:37]
	v_cmp_ne_u64_e64 s4, v[36:37], v[26:27]
	;; [unrolled: 1-line block ×12, first 2 shown]
	s_wait_dscnt 0x6
	v_cndmask_b32_e64 v63, v51, s45, vcc_lo
	v_cndmask_b32_e64 v62, v50, s44, vcc_lo
	v_cndmask_b32_e64 v65, v53, s45, s1
	v_cndmask_b32_e64 v64, v52, s44, s1
	s_wait_dscnt 0x5
	v_cndmask_b32_e64 v69, v47, s45, s4
	v_cndmask_b32_e64 v68, v46, s44, s4
	v_cndmask_b32_e64 v71, v49, s45, s5
	v_cndmask_b32_e64 v70, v48, s44, s5
	s_wait_dscnt 0x4
	v_cndmask_b32_e64 v75, v43, s45, s6
	v_cndmask_b32_e64 v74, v42, s44, s6
	;; [unrolled: 5-line block ×5, first 2 shown]
	v_cndmask_b32_e64 v66, v16, s44, s13
	v_cndmask_b32_e64 v80, v14, s44, s12
	v_cndmask_b32_e64 v108, 0, 1, vcc_lo
	v_cndmask_b32_e64 v105, 0, 1, s1
	v_cndmask_b32_e64 v102, 0, 1, s4
	;; [unrolled: 1-line block ×11, first 2 shown]
	s_wait_dscnt 0x0
	v_cndmask_b32_e64 v45, v55, s45, s22
	v_cndmask_b32_e64 v44, v54, s44, s22
	v_mov_b64_e32 v[30:31], v[66:67]
	v_mov_b64_e32 v[34:35], v[80:81]
	;; [unrolled: 1-line block ×13, first 2 shown]
	v_dual_mov_b32 v92, v86 :: v_dual_mov_b32 v91, v87
	v_dual_mov_b32 v94, v88 :: v_dual_mov_b32 v96, v89
	;; [unrolled: 1-line block ×6, first 2 shown]
	v_mov_b32_e32 v1, v111
	s_mov_b32 s5, -1
.LBB416_86:
	v_mov_b32_e32 v57, 0
	s_and_saveexec_b32 s1, s5
	s_cbranch_execz .LBB416_88
; %bb.87:
	v_mov_b64_e32 v[58:59], v[60:61]
	v_mov_b64_e32 v[32:33], v[62:63]
	;; [unrolled: 1-line block ×13, first 2 shown]
	v_cndmask_b32_e64 v57, 0, 1, s22
	v_dual_mov_b32 v1, v111 :: v_dual_mov_b32 v112, v108
	v_dual_mov_b32 v110, v105 :: v_dual_mov_b32 v107, v102
	v_dual_mov_b32 v106, v100 :: v_dual_mov_b32 v103, v97
	v_dual_mov_b32 v101, v95 :: v_dual_mov_b32 v99, v93
	v_dual_mov_b32 v98, v90 :: v_dual_mov_b32 v96, v89
	v_dual_mov_b32 v94, v88 :: v_dual_mov_b32 v91, v87
	v_mov_b32_e32 v92, v86
.LBB416_88:
	s_or_b32 exec_lo, exec_lo, s1
	v_dual_lshrrev_b32 v69, 1, v0 :: v_dual_bitop2_b32 v66, 1, v1 bitop3:0x40
	v_and_b32_e32 v65, 1, v107
	v_and_b32_e32 v62, 1, v101
	;; [unrolled: 1-line block ×4, first 2 shown]
	v_cmp_eq_u32_e64 s15, 1, v66
	v_and_b32_e32 v84, 0xff, v112
	v_and_b32_e32 v83, 0xff, v110
	v_bitop3_b16 v67, v110, 0xff, v112 bitop3:0xc8
	v_and_b32_e32 v82, 0xff, v107
	v_cmp_eq_u32_e64 s16, 1, v65
	v_and_b32_e32 v81, 0xff, v106
	v_and_b32_e32 v80, 0xff, v103
	v_bitop3_b16 v68, v103, 0xff, v106 bitop3:0xc8
	v_and_b32_e32 v79, 0xff, v101
	v_cmp_eq_u32_e64 s17, 1, v62
	v_and_b32_e32 v78, 0xff, v99
	v_and_b32_e32 v77, 0xff, v98
	v_bitop3_b16 v70, v98, 0xff, v99 bitop3:0xc8
	v_and_b32_e32 v76, 0xff, v96
	v_cmp_eq_u32_e64 s18, 1, v63
	v_and_b32_e32 v75, 0xff, v94
	v_and_b32_e32 v74, 0xff, v91
	v_bitop3_b16 v71, v91, 0xff, v94 bitop3:0xc8
	v_and_b32_e32 v73, 0xff, v92
	v_cmp_eq_u32_e64 s19, 1, v64
	v_cmp_eq_u16_e64 s20, 0, v57
	v_and_b32_e32 v72, 1, v57
	s_cmp_lg_u32 s33, 0
	v_cmp_gt_u32_e32 vcc_lo, 32, v0
	s_barrier_signal -1
	s_barrier_wait -1
	s_cbranch_scc0 .LBB416_150
; %bb.89:
	v_cmp_eq_u16_e64 s1, 0, v84
	v_cmp_eq_u16_e64 s4, 0, v83
	;; [unrolled: 1-line block ×5, first 2 shown]
	v_dual_cndmask_b32 v3, 0, v59, s1 :: v_dual_cndmask_b32 v2, 1, v58, s1
	v_cmp_eq_u16_e64 s8, 0, v79
	v_cmp_eq_u16_e64 s9, 0, v78
	;; [unrolled: 1-line block ×4, first 2 shown]
	v_mul_u64_e32 v[2:3], v[2:3], v[32:33]
	v_cmp_eq_u16_e64 s12, 0, v75
	v_cmp_eq_u16_e64 s13, 0, v74
	;; [unrolled: 1-line block ×3, first 2 shown]
	v_cmp_ne_u16_e64 s21, 0, v71
	v_cmp_ne_u16_e64 s22, 0, v70
	v_cmp_eq_u32_e64 s23, 1, v72
	v_cmp_ne_u16_e64 s24, 0, v68
	s_or_b32 s19, s21, s19
	s_or_b32 s18, s22, s18
	;; [unrolled: 1-line block ×5, first 2 shown]
	s_delay_alu instid0(SALU_CYCLE_1) | instskip(SKIP_1) | instid1(VALU_DEP_1)
	s_or_b32 s17, s18, s17
	v_dual_cndmask_b32 v3, 0, v3, s4 :: v_dual_cndmask_b32 v2, 1, v2, s4
	v_mul_u64_e32 v[2:3], v[2:3], v[54:55]
	s_delay_alu instid0(VALU_DEP_1) | instskip(NEXT) | instid1(VALU_DEP_1)
	v_dual_cndmask_b32 v3, 0, v3, s5 :: v_dual_cndmask_b32 v2, 1, v2, s5
	v_mul_u64_e32 v[2:3], v[2:3], v[52:53]
	s_delay_alu instid0(VALU_DEP_1) | instskip(NEXT) | instid1(VALU_DEP_1)
	;; [unrolled: 3-line block ×10, first 2 shown]
	v_dual_cndmask_b32 v3, 0, v3, s14 :: v_dual_cndmask_b32 v2, 1, v2, s14
	v_mul_u64_e32 v[2:3], v[2:3], v[30:31]
	s_delay_alu instid0(VALU_DEP_1) | instskip(SKIP_1) | instid1(VALU_DEP_2)
	v_dual_cndmask_b32 v3, 0, v3, s20 :: v_dual_cndmask_b32 v2, 1, v2, s20
	v_cmp_ne_u16_e64 s20, 0, v67
	v_mul_u64_e32 v[4:5], v[2:3], v[44:45]
	s_or_b32 s16, s20, s16
	v_and_b32_e32 v2, 0x70, v69
	s_or_b32 s16, s17, s16
	s_delay_alu instid0(SALU_CYCLE_1) | instskip(NEXT) | instid1(VALU_DEP_1)
	s_or_b32 s15, s16, s15
	v_lshl_add_u32 v2, v0, 4, v2
	v_cndmask_b32_e64 v12, 0, 1, s15
	ds_store_b64 v2, v[4:5]
	ds_store_b8 v2, v12 offset:8
	s_wait_dscnt 0x0
	s_barrier_signal -1
	s_barrier_wait -1
	s_and_saveexec_b32 s17, vcc_lo
	s_cbranch_execz .LBB416_101
; %bb.90:
	v_dual_lshlrev_b32 v2, 2, v0 :: v_dual_lshlrev_b32 v3, 7, v0
	s_delay_alu instid0(VALU_DEP_1) | instskip(NEXT) | instid1(VALU_DEP_1)
	v_and_b32_e32 v2, 0x3f0, v2
	v_add_nc_u32_e32 v8, v2, v3
	ds_load_u8 v13, v8 offset:24
	ds_load_b64 v[2:3], v8
	ds_load_2addr_b64 v[14:17], v8 offset0:2 offset1:4
	ds_load_b32 v9, v8 offset:8
	ds_load_u8 v18, v8 offset:40
	ds_load_u8 v19, v8 offset:56
	;; [unrolled: 1-line block ×5, first 2 shown]
	s_wait_dscnt 0x8
	v_cmp_eq_u16_e64 s15, 0, v13
	s_wait_dscnt 0x7
	s_delay_alu instid0(VALU_DEP_1)
	v_dual_cndmask_b32 v7, 0, v3, s15 :: v_dual_cndmask_b32 v6, 1, v2, s15
	s_wait_dscnt 0x4
	v_cmp_eq_u16_e64 s15, 0, v18
	s_wait_dscnt 0x3
	v_bitop3_b16 v13, v18, v19, v13 bitop3:0xfe
	v_mul_u64_e32 v[6:7], v[6:7], v[14:15]
	s_delay_alu instid0(VALU_DEP_1) | instskip(SKIP_1) | instid1(VALU_DEP_2)
	v_dual_cndmask_b32 v7, 0, v7, s15 :: v_dual_cndmask_b32 v6, 1, v6, s15
	v_cmp_eq_u16_e64 s15, 0, v19
	v_mul_u64_e32 v[6:7], v[6:7], v[16:17]
	ds_load_2addr_b64 v[14:17], v8 offset0:6 offset1:8
	v_dual_cndmask_b32 v7, 0, v7, s15 :: v_dual_cndmask_b32 v6, 1, v6, s15
	s_wait_dscnt 0x3
	v_cmp_eq_u16_e64 s15, 0, v20
	s_wait_dscnt 0x0
	s_delay_alu instid0(VALU_DEP_2) | instskip(NEXT) | instid1(VALU_DEP_1)
	v_mul_u64_e32 v[6:7], v[6:7], v[14:15]
	v_dual_cndmask_b32 v7, 0, v7, s15 :: v_dual_cndmask_b32 v6, 1, v6, s15
	v_cmp_eq_u16_e64 s15, 0, v21
	s_delay_alu instid0(VALU_DEP_2) | instskip(SKIP_4) | instid1(VALU_DEP_2)
	v_mul_u64_e32 v[6:7], v[6:7], v[16:17]
	ds_load_2addr_b64 v[14:17], v8 offset0:10 offset1:12
	v_dual_cndmask_b32 v7, 0, v7, s15 :: v_dual_cndmask_b32 v6, 1, v6, s15
	v_cmp_eq_u16_e64 s15, 0, v22
	s_wait_dscnt 0x0
	v_mul_u64_e32 v[6:7], v[6:7], v[14:15]
	ds_load_u8 v14, v8 offset:120
	ds_load_b64 v[10:11], v8 offset:112
	v_bitop3_b16 v15, v21, v22, v20 bitop3:0xfe
	v_dual_cndmask_b32 v7, 0, v7, s15 :: v_dual_cndmask_b32 v6, 1, v6, s15
	s_wait_dscnt 0x1
	v_cmp_eq_u16_e64 s15, 0, v14
	s_delay_alu instid0(VALU_DEP_2) | instskip(NEXT) | instid1(VALU_DEP_1)
	v_mul_u64_e32 v[6:7], v[6:7], v[16:17]
	v_dual_cndmask_b32 v7, 0, v7, s15 :: v_dual_cndmask_b32 v6, 1, v6, s15
	s_wait_dscnt 0x0
	s_delay_alu instid0(VALU_DEP_1) | instskip(SKIP_2) | instid1(VALU_DEP_2)
	v_mul_u64_e32 v[6:7], v[6:7], v[10:11]
	v_bitop3_b16 v10, v14, v13, v15 bitop3:0xfe
	v_and_b32_e32 v11, 1, v9
	v_and_b32_e32 v10, 1, v10
	s_delay_alu instid0(VALU_DEP_2) | instskip(SKIP_1) | instid1(VALU_DEP_3)
	v_cmp_eq_u32_e64 s15, 1, v11
	v_mbcnt_lo_u32_b32 v11, -1, 0
	v_cmp_eq_u32_e64 s16, 1, v10
	v_and_b32_e32 v10, 0xffffff00, v9
	s_or_b32 s18, s16, s15
	s_mov_b32 s16, exec_lo
	v_cndmask_b32_e64 v14, 0, 1, s18
	v_cndmask_b32_e64 v13, 0, 1, s18
	s_delay_alu instid0(VALU_DEP_2) | instskip(SKIP_1) | instid1(VALU_DEP_2)
	v_or_b32_e32 v15, v10, v14
	v_and_b32_e32 v14, 15, v11
	v_mov_b32_dpp v16, v15 row_shr:1 row_mask:0xf bank_mask:0xf
	v_mov_b32_dpp v17, v6 row_shr:1 row_mask:0xf bank_mask:0xf
	v_mov_b32_dpp v18, v7 row_shr:1 row_mask:0xf bank_mask:0xf
	s_delay_alu instid0(VALU_DEP_4)
	v_cmpx_ne_u32_e32 0, v14
	s_cbranch_execz .LBB416_92
; %bb.91:
	s_delay_alu instid0(VALU_DEP_2) | instskip(SKIP_2) | instid1(VALU_DEP_2)
	v_cndmask_b32_e64 v19, v18, 0, s18
	v_cndmask_b32_e64 v18, v17, 1, s18
	v_bitop3_b16 v13, v16, v13, 1 bitop3:0xec
	v_mul_u64_e32 v[6:7], v[18:19], v[6:7]
	s_delay_alu instid0(VALU_DEP_2) | instskip(NEXT) | instid1(VALU_DEP_1)
	v_and_b32_e32 v15, 0xffff, v13
	v_or_b32_e32 v15, v10, v15
.LBB416_92:
	s_or_b32 exec_lo, exec_lo, s16
	s_delay_alu instid0(VALU_DEP_3) | instskip(NEXT) | instid1(VALU_DEP_4)
	v_mov_b32_dpp v17, v6 row_shr:2 row_mask:0xf bank_mask:0xf
	v_mov_b32_dpp v18, v7 row_shr:2 row_mask:0xf bank_mask:0xf
	s_delay_alu instid0(VALU_DEP_3)
	v_mov_b32_dpp v16, v15 row_shr:2 row_mask:0xf bank_mask:0xf
	s_mov_b32 s18, exec_lo
	v_cmpx_lt_u32_e32 1, v14
	s_cbranch_execz .LBB416_94
; %bb.93:
	v_cmp_eq_u16_e64 s15, 0, v13
	v_and_b32_e32 v13, 1, v13
	s_delay_alu instid0(VALU_DEP_2) | instskip(SKIP_1) | instid1(VALU_DEP_3)
	v_dual_cndmask_b32 v19, 0, v18, s15 :: v_dual_bitop2_b32 v15, 1, v16 bitop3:0x40
	v_cndmask_b32_e64 v18, 1, v17, s15
	v_cmp_eq_u32_e64 s15, 1, v13
	s_delay_alu instid0(VALU_DEP_3) | instskip(NEXT) | instid1(VALU_DEP_3)
	v_cmp_eq_u32_e64 s16, 1, v15
	v_mul_u64_e32 v[6:7], v[18:19], v[6:7]
	s_or_b32 s15, s15, s16
	s_delay_alu instid0(SALU_CYCLE_1) | instskip(SKIP_1) | instid1(VALU_DEP_2)
	v_cndmask_b32_e64 v15, 0, 1, s15
	v_cndmask_b32_e64 v13, 0, 1, s15
	v_or_b32_e32 v15, v10, v15
.LBB416_94:
	s_or_b32 exec_lo, exec_lo, s18
	s_delay_alu instid0(VALU_DEP_4) | instskip(SKIP_1) | instid1(VALU_DEP_3)
	v_mov_b32_dpp v17, v6 row_shr:4 row_mask:0xf bank_mask:0xf
	v_mov_b32_dpp v18, v7 row_shr:4 row_mask:0xf bank_mask:0xf
	;; [unrolled: 1-line block ×3, first 2 shown]
	s_mov_b32 s18, exec_lo
	v_cmpx_lt_u32_e32 3, v14
	s_cbranch_execz .LBB416_96
; %bb.95:
	v_cmp_eq_u16_e64 s15, 0, v13
	v_and_b32_e32 v13, 1, v13
	s_delay_alu instid0(VALU_DEP_2) | instskip(SKIP_1) | instid1(VALU_DEP_3)
	v_dual_cndmask_b32 v19, 0, v18, s15 :: v_dual_bitop2_b32 v15, 1, v16 bitop3:0x40
	v_cndmask_b32_e64 v18, 1, v17, s15
	v_cmp_eq_u32_e64 s15, 1, v13
	s_delay_alu instid0(VALU_DEP_3) | instskip(NEXT) | instid1(VALU_DEP_3)
	v_cmp_eq_u32_e64 s16, 1, v15
	v_mul_u64_e32 v[6:7], v[18:19], v[6:7]
	s_or_b32 s15, s15, s16
	s_delay_alu instid0(SALU_CYCLE_1) | instskip(SKIP_1) | instid1(VALU_DEP_2)
	v_cndmask_b32_e64 v15, 0, 1, s15
	v_cndmask_b32_e64 v13, 0, 1, s15
	v_or_b32_e32 v15, v10, v15
.LBB416_96:
	s_or_b32 exec_lo, exec_lo, s18
	s_delay_alu instid0(VALU_DEP_4) | instskip(SKIP_1) | instid1(VALU_DEP_3)
	v_mov_b32_dpp v17, v6 row_shr:8 row_mask:0xf bank_mask:0xf
	v_mov_b32_dpp v18, v7 row_shr:8 row_mask:0xf bank_mask:0xf
	;; [unrolled: 1-line block ×3, first 2 shown]
	s_mov_b32 s18, exec_lo
	v_cmpx_lt_u32_e32 7, v14
	s_cbranch_execz .LBB416_98
; %bb.97:
	v_cmp_eq_u16_e64 s15, 0, v13
	s_delay_alu instid0(VALU_DEP_1) | instskip(SKIP_1) | instid1(VALU_DEP_2)
	v_dual_cndmask_b32 v15, 0, v18, s15 :: v_dual_bitop2_b32 v13, 1, v13 bitop3:0x40
	v_cndmask_b32_e64 v14, 1, v17, s15
	v_cmp_eq_u32_e64 s15, 1, v13
	s_delay_alu instid0(VALU_DEP_2) | instskip(SKIP_1) | instid1(VALU_DEP_1)
	v_mul_u64_e32 v[6:7], v[14:15], v[6:7]
	v_and_b32_e32 v14, 1, v16
	v_cmp_eq_u32_e64 s16, 1, v14
	s_or_b32 s15, s15, s16
	s_delay_alu instid0(SALU_CYCLE_1) | instskip(SKIP_1) | instid1(VALU_DEP_2)
	v_cndmask_b32_e64 v14, 0, 1, s15
	v_cndmask_b32_e64 v13, 0, 1, s15
	v_or_b32_e32 v15, v10, v14
.LBB416_98:
	s_or_b32 exec_lo, exec_lo, s18
	ds_swizzle_b32 v16, v6 offset:swizzle(BROADCAST,32,15)
	ds_swizzle_b32 v17, v7 offset:swizzle(BROADCAST,32,15)
	;; [unrolled: 1-line block ×3, first 2 shown]
	v_and_b32_e32 v15, 16, v11
	s_mov_b32 s18, exec_lo
	s_delay_alu instid0(VALU_DEP_1)
	v_cmpx_ne_u32_e32 0, v15
	s_cbranch_execz .LBB416_100
; %bb.99:
	v_cmp_eq_u16_e64 s15, 0, v13
	v_and_b32_e32 v13, 1, v13
	s_wait_dscnt 0x0
	s_delay_alu instid0(VALU_DEP_2) | instskip(SKIP_1) | instid1(VALU_DEP_3)
	v_dual_cndmask_b32 v17, 0, v17, s15 :: v_dual_bitop2_b32 v14, 1, v14 bitop3:0x40
	v_cndmask_b32_e64 v16, 1, v16, s15
	v_cmp_eq_u32_e64 s15, 1, v13
	s_delay_alu instid0(VALU_DEP_3) | instskip(NEXT) | instid1(VALU_DEP_3)
	v_cmp_eq_u32_e64 s16, 1, v14
	v_mul_u64_e32 v[6:7], v[16:17], v[6:7]
	s_or_b32 s15, s15, s16
	s_delay_alu instid0(SALU_CYCLE_1)
	v_cndmask_b32_e64 v13, 0, 1, s15
.LBB416_100:
	s_or_b32 exec_lo, exec_lo, s18
	s_wait_dscnt 0x0
	v_add_nc_u32_e32 v14, -1, v11
	s_delay_alu instid0(VALU_DEP_2) | instskip(NEXT) | instid1(VALU_DEP_2)
	v_and_b32_e32 v13, 0xffff, v13
	; wave barrier
	v_cmp_gt_i32_e64 s15, 0, v14
	s_delay_alu instid0(VALU_DEP_2) | instskip(NEXT) | instid1(VALU_DEP_2)
	v_or_b32_e32 v10, v10, v13
	v_cndmask_b32_e64 v11, v14, v11, s15
	v_and_b32_e32 v14, 0xff, v9
	s_delay_alu instid0(VALU_DEP_2) | instskip(NEXT) | instid1(VALU_DEP_2)
	v_lshlrev_b32_e32 v11, 2, v11
	v_cmp_eq_u32_e64 s15, 0, v14
	ds_bpermute_b32 v7, v11, v7
	ds_bpermute_b32 v6, v11, v6
	s_wait_dscnt 0x0
	v_dual_cndmask_b32 v7, 0, v7, s15 :: v_dual_cndmask_b32 v6, 1, v6, s15
	s_delay_alu instid0(VALU_DEP_1) | instskip(SKIP_4) | instid1(VALU_DEP_1)
	v_mul_u64_e32 v[2:3], v[6:7], v[2:3]
	ds_bpermute_b32 v6, v11, v10
	v_cndmask_b32_e64 v3, v3, v5, s2
	s_wait_dscnt 0x0
	v_or_b32_e32 v6, v6, v9
	v_dual_cndmask_b32 v2, v2, v4, s2 :: v_dual_bitop2_b32 v6, 1, v6 bitop3:0x40
	s_delay_alu instid0(VALU_DEP_1)
	v_cndmask_b32_e64 v9, v6, v12, s2
	ds_store_b64 v8, v[2:3]
	ds_store_b8 v8, v9 offset:8
	; wave barrier
	ds_load_u8 v13, v8 offset:24
	ds_load_2addr_b64 v[14:17], v8 offset0:2 offset1:4
	ds_load_u8 v24, v8 offset:40
	ds_load_u8 v25, v8 offset:56
	;; [unrolled: 1-line block ×5, first 2 shown]
	ds_load_b64 v[6:7], v8 offset:112
	ds_load_u8 v29, v8 offset:120
	s_wait_dscnt 0x8
	v_and_b32_e32 v10, 0xff, v13
	s_wait_dscnt 0x5
	v_and_b32_e32 v18, 0xff, v25
	s_delay_alu instid0(VALU_DEP_2) | instskip(SKIP_3) | instid1(VALU_DEP_3)
	v_cmp_eq_u16_e64 s15, 0, v10
	v_and_b32_e32 v10, 0xff, v24
	s_wait_dscnt 0x3
	v_and_b32_e32 v22, 0xff, v27
	v_dual_cndmask_b32 v3, 0, v3, s15 :: v_dual_cndmask_b32 v2, 1, v2, s15
	s_delay_alu instid0(VALU_DEP_3) | instskip(NEXT) | instid1(VALU_DEP_2)
	v_cmp_eq_u16_e64 s15, 0, v10
	v_mul_u64_e32 v[2:3], v[2:3], v[14:15]
	s_delay_alu instid0(VALU_DEP_1) | instskip(SKIP_1) | instid1(VALU_DEP_2)
	v_dual_cndmask_b32 v11, 0, v3, s15 :: v_dual_cndmask_b32 v10, 1, v2, s15
	v_cmp_eq_u16_e64 s15, 0, v18
	v_mul_u64_e32 v[10:11], v[10:11], v[16:17]
	ds_load_2addr_b64 v[14:17], v8 offset0:6 offset1:8
	v_dual_cndmask_b32 v19, 0, v11, s15 :: v_dual_cndmask_b32 v18, 1, v10, s15
	s_wait_dscnt 0x0
	s_delay_alu instid0(VALU_DEP_1) | instskip(SKIP_1) | instid1(VALU_DEP_1)
	v_mul_u64_e32 v[18:19], v[18:19], v[14:15]
	v_and_b32_e32 v14, 0xff, v26
	v_cmp_eq_u16_e64 s15, 0, v14
	s_delay_alu instid0(VALU_DEP_1) | instskip(SKIP_1) | instid1(VALU_DEP_2)
	v_dual_cndmask_b32 v15, 0, v19, s15 :: v_dual_cndmask_b32 v14, 1, v18, s15
	v_cmp_eq_u16_e64 s15, 0, v22
	v_mul_u64_e32 v[20:21], v[14:15], v[16:17]
	ds_load_2addr_b64 v[14:17], v8 offset0:10 offset1:12
	v_dual_cndmask_b32 v23, 0, v21, s15 :: v_dual_cndmask_b32 v22, 1, v20, s15
	s_wait_dscnt 0x0
	s_delay_alu instid0(VALU_DEP_1) | instskip(SKIP_1) | instid1(VALU_DEP_1)
	v_mul_u64_e32 v[14:15], v[22:23], v[14:15]
	v_and_b32_e32 v22, 0xff, v28
	v_cmp_eq_u16_e64 s15, 0, v22
	s_delay_alu instid0(VALU_DEP_1) | instskip(SKIP_1) | instid1(VALU_DEP_2)
	v_dual_cndmask_b32 v23, 0, v15, s15 :: v_dual_cndmask_b32 v22, 1, v14, s15
	v_cmp_eq_u16_e64 s15, 0, v29
	v_mul_u64_e32 v[16:17], v[22:23], v[16:17]
	s_delay_alu instid0(VALU_DEP_1) | instskip(NEXT) | instid1(VALU_DEP_1)
	v_dual_cndmask_b32 v23, 0, v17, s15 :: v_dual_cndmask_b32 v22, 1, v16, s15
	v_mul_u64_e32 v[6:7], v[22:23], v[6:7]
	v_or_b32_e32 v22, v13, v9
	v_bitop3_b16 v23, v24, v13, v9 bitop3:0xfe
	v_bitop3_b16 v9, v13, 1, v9 bitop3:0xc8
	s_delay_alu instid0(VALU_DEP_3) | instskip(NEXT) | instid1(VALU_DEP_3)
	v_bitop3_b16 v60, v25, v24, v22 bitop3:0xfe
	v_bitop3_b16 v61, v26, v25, v23 bitop3:0xfe
	;; [unrolled: 1-line block ×4, first 2 shown]
	s_delay_alu instid0(VALU_DEP_4) | instskip(NEXT) | instid1(VALU_DEP_4)
	v_bitop3_b16 v22, v27, v26, v60 bitop3:0xfe
	v_bitop3_b16 v24, v28, v27, v61 bitop3:0xfe
	;; [unrolled: 1-line block ×4, first 2 shown]
	s_delay_alu instid0(VALU_DEP_4) | instskip(NEXT) | instid1(VALU_DEP_4)
	v_bitop3_b16 v22, v28, 1, v22 bitop3:0xc8
	v_bitop3_b16 v24, v29, 1, v24 bitop3:0xc8
	ds_store_2addr_b64 v8, v[2:3], v[10:11] offset0:2 offset1:4
	ds_store_2addr_b64 v8, v[18:19], v[20:21] offset0:6 offset1:8
	;; [unrolled: 1-line block ×3, first 2 shown]
	ds_store_b8 v8, v9 offset:24
	ds_store_b8 v8, v13 offset:40
	;; [unrolled: 1-line block ×6, first 2 shown]
	ds_store_b64 v8, v[6:7] offset:112
	ds_store_b8 v8, v24 offset:120
.LBB416_101:
	s_or_b32 exec_lo, exec_lo, s17
	s_wait_dscnt 0x0
	s_barrier_signal -1
	s_barrier_wait -1
	s_and_saveexec_b32 s15, s3
	s_cbranch_execz .LBB416_103
; %bb.102:
	v_add_nc_u32_e32 v2, -1, v0
	s_delay_alu instid0(VALU_DEP_1) | instskip(NEXT) | instid1(VALU_DEP_1)
	v_lshrrev_b32_e32 v3, 1, v2
	v_and_b32_e32 v3, 0x7ffffff0, v3
	s_delay_alu instid0(VALU_DEP_1)
	v_lshl_add_u32 v2, v2, 4, v3
	ds_load_b64 v[4:5], v2
	ds_load_u8 v12, v2 offset:8
.LBB416_103:
	s_or_b32 exec_lo, exec_lo, s15
	s_and_saveexec_b32 s18, vcc_lo
	s_cbranch_execz .LBB416_155
; %bb.104:
	v_mov_b32_e32 v9, 0
	v_mbcnt_lo_u32_b32 v14, -1, 0
	s_mov_b32 s17, 0
	ds_load_b64 v[2:3], v9 offset:4192
	ds_load_u8 v13, v9 offset:4200
	v_cmp_eq_u32_e64 s15, 0, v14
	s_and_saveexec_b32 s19, s15
	s_cbranch_execz .LBB416_106
; %bb.105:
	s_add_co_i32 s16, s33, 32
	s_delay_alu instid0(SALU_CYCLE_1) | instskip(SKIP_1) | instid1(SALU_CYCLE_1)
	v_dual_mov_b32 v6, 1 :: v_dual_mov_b32 v7, s16
	s_lshl_b64 s[20:21], s[16:17], 4
	s_add_nc_u64 s[16:17], s[36:37], s[20:21]
	s_wait_dscnt 0x1
	global_store_b64 v9, v[2:3], s[16:17]
	s_wait_dscnt 0x0
	global_store_b8 v9, v13, s[16:17] offset:8
	global_wb scope:SCOPE_DEV
	s_wait_storecnt 0x0
	global_inv scope:SCOPE_DEV
	s_wait_xcnt 0x0
	global_store_b8 v7, v6, s[40:41] scope:SCOPE_DEV
.LBB416_106:
	s_wait_xcnt 0x0
	s_or_b32 exec_lo, exec_lo, s19
	v_xad_u32 v6, v14, -1, s33
	s_mov_b32 s16, exec_lo
	s_delay_alu instid0(VALU_DEP_1)
	v_add_nc_u32_e32 v8, 32, v6
	global_load_u8 v15, v8, s[40:41] scope:SCOPE_DEV
	s_wait_loadcnt 0x0
	v_cmpx_eq_u16_e32 0, v15
	s_cbranch_execz .LBB416_110
; %bb.107:
	v_add_nc_u64_e32 v[10:11], s[40:41], v[8:9]
	s_mov_b32 s17, 0
.LBB416_108:                            ; =>This Inner Loop Header: Depth=1
	global_load_u8 v15, v[10:11], off scope:SCOPE_DEV
	s_wait_loadcnt 0x0
	v_cmp_ne_u16_e32 vcc_lo, 0, v15
	s_or_b32 s17, vcc_lo, s17
	s_wait_xcnt 0x0
	s_and_not1_b32 exec_lo, exec_lo, s17
	s_cbranch_execnz .LBB416_108
; %bb.109:
	s_or_b32 exec_lo, exec_lo, s17
.LBB416_110:
	s_delay_alu instid0(SALU_CYCLE_1)
	s_or_b32 exec_lo, exec_lo, s16
	v_dual_mov_b32 v7, s37 :: v_dual_mov_b32 v10, s36
	v_cmp_eq_u16_e32 vcc_lo, 1, v15
	global_wb scope:SCOPE_DEV
	s_wait_storecnt_dscnt 0x0
	global_inv scope:SCOPE_DEV
	v_lshlrev_b32_e64 v17, v14, -1
	s_mov_b32 s16, exec_lo
	v_cndmask_b32_e32 v11, s39, v7, vcc_lo
	v_cndmask_b32_e32 v10, s38, v10, vcc_lo
	v_cmp_ne_u32_e32 vcc_lo, 31, v14
	v_add_co_ci_u32_e64 v7, null, 0, v14, vcc_lo
	v_cmp_eq_u16_e32 vcc_lo, 2, v15
	s_delay_alu instid0(VALU_DEP_2)
	v_lshlrev_b32_e32 v16, 2, v7
	v_lshl_add_u64 v[8:9], v[8:9], 4, v[10:11]
	s_clause 0x1
	global_load_u8 v27, v[8:9], off offset:8
	global_load_b64 v[10:11], v[8:9], off
	v_and_or_b32 v7, vcc_lo, v17, 0x80000000
	s_delay_alu instid0(VALU_DEP_1)
	v_ctz_i32_b32_e32 v7, v7
	s_wait_loadcnt 0x1
	s_wait_xcnt 0x0
	v_and_b32_e32 v8, 1, v27
	s_wait_loadcnt 0x0
	ds_bpermute_b32 v18, v16, v10
	ds_bpermute_b32 v19, v16, v11
	ds_bpermute_b32 v9, v16, v8
	v_cmpx_lt_u32_e64 v14, v7
	s_cbranch_execz .LBB416_112
; %bb.111:
	v_and_b32_e32 v8, 0xff, v27
	s_wait_dscnt 0x0
	v_bitop3_b16 v27, v9, v27, 1 bitop3:0xec
	s_delay_alu instid0(VALU_DEP_2) | instskip(NEXT) | instid1(VALU_DEP_2)
	v_cmp_eq_u16_e32 vcc_lo, 0, v8
	v_and_b32_e32 v8, 0xff, v27
	v_dual_cndmask_b32 v19, 0, v19 :: v_dual_cndmask_b32 v18, 1, v18
	s_delay_alu instid0(VALU_DEP_1)
	v_mul_u64_e32 v[10:11], v[18:19], v[10:11]
.LBB416_112:
	s_or_b32 exec_lo, exec_lo, s16
	v_cmp_gt_u32_e32 vcc_lo, 30, v14
	s_wait_dscnt 0x1
	v_add_nc_u32_e32 v19, 2, v14
	s_mov_b32 s17, exec_lo
	s_wait_dscnt 0x0
	v_cndmask_b32_e64 v9, 0, 2, vcc_lo
	s_delay_alu instid0(VALU_DEP_1)
	v_add_lshl_u32 v18, v9, v14, 2
	ds_bpermute_b32 v20, v18, v10
	ds_bpermute_b32 v21, v18, v11
	ds_bpermute_b32 v9, v18, v8
	v_cmpx_le_u32_e64 v19, v7
	s_cbranch_execz .LBB416_114
; %bb.113:
	v_and_b32_e32 v8, 0xff, v27
	s_wait_dscnt 0x0
	v_and_b32_e32 v9, 1, v9
	s_delay_alu instid0(VALU_DEP_2) | instskip(SKIP_1) | instid1(VALU_DEP_3)
	v_cmp_eq_u16_e32 vcc_lo, 0, v8
	v_and_b32_e32 v8, 1, v27
	v_cmp_eq_u32_e64 s16, 1, v9
	v_dual_cndmask_b32 v21, 0, v21 :: v_dual_cndmask_b32 v20, 1, v20
	s_delay_alu instid0(VALU_DEP_3) | instskip(NEXT) | instid1(VALU_DEP_2)
	v_cmp_eq_u32_e32 vcc_lo, 1, v8
	v_mul_u64_e32 v[10:11], v[20:21], v[10:11]
	s_or_b32 s16, vcc_lo, s16
	s_delay_alu instid0(SALU_CYCLE_1)
	v_cndmask_b32_e64 v27, 0, 1, s16
	v_cndmask_b32_e64 v8, 0, 1, s16
.LBB416_114:
	s_or_b32 exec_lo, exec_lo, s17
	v_cmp_gt_u32_e32 vcc_lo, 28, v14
	s_wait_dscnt 0x1
	v_add_nc_u32_e32 v21, 4, v14
	s_mov_b32 s17, exec_lo
	s_wait_dscnt 0x0
	v_cndmask_b32_e64 v9, 0, 4, vcc_lo
	s_delay_alu instid0(VALU_DEP_1)
	v_add_lshl_u32 v20, v9, v14, 2
	ds_bpermute_b32 v22, v20, v10
	ds_bpermute_b32 v23, v20, v11
	ds_bpermute_b32 v9, v20, v8
	v_cmpx_le_u32_e64 v21, v7
	s_cbranch_execz .LBB416_116
; %bb.115:
	v_and_b32_e32 v8, 0xff, v27
	s_wait_dscnt 0x0
	v_and_b32_e32 v9, 1, v9
	s_delay_alu instid0(VALU_DEP_2) | instskip(SKIP_1) | instid1(VALU_DEP_3)
	v_cmp_eq_u16_e32 vcc_lo, 0, v8
	v_and_b32_e32 v8, 1, v27
	v_cmp_eq_u32_e64 s16, 1, v9
	v_dual_cndmask_b32 v23, 0, v23 :: v_dual_cndmask_b32 v22, 1, v22
	s_delay_alu instid0(VALU_DEP_3) | instskip(NEXT) | instid1(VALU_DEP_2)
	v_cmp_eq_u32_e32 vcc_lo, 1, v8
	v_mul_u64_e32 v[10:11], v[22:23], v[10:11]
	s_or_b32 s16, vcc_lo, s16
	s_delay_alu instid0(SALU_CYCLE_1)
	v_cndmask_b32_e64 v27, 0, 1, s16
	v_cndmask_b32_e64 v8, 0, 1, s16
.LBB416_116:
	;; [unrolled: 31-line block ×3, first 2 shown]
	s_or_b32 exec_lo, exec_lo, s17
	s_wait_dscnt 0x2
	v_lshl_or_b32 v24, v14, 2, 64
	v_add_nc_u32_e32 v26, 16, v14
	s_mov_b32 s17, exec_lo
	s_wait_dscnt 0x0
	ds_bpermute_b32 v9, v24, v10
	ds_bpermute_b32 v25, v24, v11
	;; [unrolled: 1-line block ×3, first 2 shown]
	v_cmpx_le_u32_e64 v26, v7
	s_cbranch_execz .LBB416_120
; %bb.119:
	v_and_b32_e32 v7, 0xff, v27
	s_wait_dscnt 0x0
	v_and_b32_e32 v8, 1, v8
	s_delay_alu instid0(VALU_DEP_2) | instskip(SKIP_1) | instid1(VALU_DEP_3)
	v_cmp_eq_u16_e32 vcc_lo, 0, v7
	v_and_b32_e32 v7, 1, v27
	v_cmp_eq_u32_e64 s16, 1, v8
	v_cndmask_b32_e32 v29, 0, v25, vcc_lo
	v_cndmask_b32_e32 v28, 1, v9, vcc_lo
	s_delay_alu instid0(VALU_DEP_4) | instskip(NEXT) | instid1(VALU_DEP_2)
	v_cmp_eq_u32_e32 vcc_lo, 1, v7
	v_mul_u64_e32 v[10:11], v[28:29], v[10:11]
	s_or_b32 s16, vcc_lo, s16
	s_delay_alu instid0(SALU_CYCLE_1)
	v_cndmask_b32_e64 v27, 0, 1, s16
.LBB416_120:
	s_or_b32 exec_lo, exec_lo, s17
	v_mov_b32_e32 v7, 0
	s_branch .LBB416_123
.LBB416_121:                            ;   in Loop: Header=BB416_123 Depth=1
	s_or_b32 exec_lo, exec_lo, s19
	v_and_b32_e32 v27, 0xff, v25
	v_subrev_nc_u32_e32 v6, 32, v6
	s_delay_alu instid0(VALU_DEP_2) | instskip(NEXT) | instid1(VALU_DEP_4)
	v_cmp_eq_u16_e32 vcc_lo, 0, v27
	v_dual_cndmask_b32 v11, 0, v11, vcc_lo :: v_dual_bitop2_b32 v27, 1, v25 bitop3:0x40
	v_cndmask_b32_e32 v10, 1, v10, vcc_lo
	s_delay_alu instid0(VALU_DEP_2) | instskip(NEXT) | instid1(VALU_DEP_2)
	v_cmp_eq_u32_e32 vcc_lo, 1, v27
	v_mul_u64_e32 v[10:11], v[10:11], v[8:9]
	s_or_b32 s16, vcc_lo, s17
	s_delay_alu instid0(SALU_CYCLE_1)
	v_cndmask_b32_e64 v27, 0, 1, s16
	s_mov_b32 s16, 0
.LBB416_122:                            ;   in Loop: Header=BB416_123 Depth=1
	s_delay_alu instid0(SALU_CYCLE_1)
	s_and_b32 vcc_lo, exec_lo, s16
	s_cbranch_vccnz .LBB416_151
.LBB416_123:                            ; =>This Loop Header: Depth=1
                                        ;     Child Loop BB416_126 Depth 2
	s_wait_dscnt 0x0
	v_and_b32_e32 v8, 0xff, v15
	v_mov_b32_e32 v25, v27
	s_mov_b32 s16, -1
                                        ; implicit-def: $vgpr27
                                        ; implicit-def: $vgpr15
	s_delay_alu instid0(VALU_DEP_2)
	v_cmp_ne_u16_e32 vcc_lo, 2, v8
	v_mov_b64_e32 v[8:9], v[10:11]
                                        ; implicit-def: $vgpr10_vgpr11
	s_cmp_lg_u32 vcc_lo, exec_lo
	s_cbranch_scc1 .LBB416_122
; %bb.124:                              ;   in Loop: Header=BB416_123 Depth=1
	global_load_u8 v15, v6, s[40:41] scope:SCOPE_DEV
	s_mov_b32 s16, exec_lo
	s_wait_loadcnt 0x0
	v_cmpx_eq_u16_e32 0, v15
	s_cbranch_execz .LBB416_128
; %bb.125:                              ;   in Loop: Header=BB416_123 Depth=1
	v_add_nc_u64_e32 v[10:11], s[40:41], v[6:7]
	s_mov_b32 s17, 0
.LBB416_126:                            ;   Parent Loop BB416_123 Depth=1
                                        ; =>  This Inner Loop Header: Depth=2
	global_load_u8 v15, v[10:11], off scope:SCOPE_DEV
	s_wait_loadcnt 0x0
	v_cmp_ne_u16_e32 vcc_lo, 0, v15
	s_or_b32 s17, vcc_lo, s17
	s_delay_alu instid0(SALU_CYCLE_1)
	s_and_not1_b32 exec_lo, exec_lo, s17
	s_cbranch_execnz .LBB416_126
; %bb.127:                              ;   in Loop: Header=BB416_123 Depth=1
	s_or_b32 exec_lo, exec_lo, s17
.LBB416_128:                            ;   in Loop: Header=BB416_123 Depth=1
	s_delay_alu instid0(SALU_CYCLE_1)
	s_or_b32 exec_lo, exec_lo, s16
	v_dual_mov_b32 v10, s37 :: v_dual_mov_b32 v27, s36
	v_cmp_eq_u16_e32 vcc_lo, 1, v15
	global_wb scope:SCOPE_DEV
	s_wait_storecnt 0x0
	global_inv scope:SCOPE_DEV
	s_mov_b32 s16, exec_lo
	v_cndmask_b32_e32 v11, s39, v10, vcc_lo
	v_cndmask_b32_e32 v10, s38, v27, vcc_lo
	v_cmp_eq_u16_e32 vcc_lo, 2, v15
	s_delay_alu instid0(VALU_DEP_2)
	v_lshl_add_u64 v[28:29], v[6:7], 4, v[10:11]
	s_clause 0x1
	global_load_u8 v27, v[28:29], off offset:8
	global_load_b64 v[10:11], v[28:29], off
	s_wait_xcnt 0x0
	v_and_or_b32 v28, vcc_lo, v17, 0x80000000
	s_delay_alu instid0(VALU_DEP_1)
	v_ctz_i32_b32_e32 v28, v28
	s_wait_loadcnt 0x1
	v_and_b32_e32 v29, 1, v27
	s_wait_loadcnt 0x0
	ds_bpermute_b32 v61, v16, v10
	ds_bpermute_b32 v85, v16, v11
	;; [unrolled: 1-line block ×3, first 2 shown]
	v_cmpx_lt_u32_e64 v14, v28
	s_cbranch_execz .LBB416_130
; %bb.129:                              ;   in Loop: Header=BB416_123 Depth=1
	v_and_b32_e32 v29, 0xff, v27
	s_wait_dscnt 0x0
	v_bitop3_b16 v27, v60, v27, 1 bitop3:0xec
	s_delay_alu instid0(VALU_DEP_2) | instskip(NEXT) | instid1(VALU_DEP_2)
	v_cmp_eq_u16_e32 vcc_lo, 0, v29
	v_and_b32_e32 v29, 0xff, v27
	v_cndmask_b32_e32 v87, 0, v85, vcc_lo
	v_cndmask_b32_e32 v86, 1, v61, vcc_lo
	s_delay_alu instid0(VALU_DEP_1)
	v_mul_u64_e32 v[10:11], v[86:87], v[10:11]
.LBB416_130:                            ;   in Loop: Header=BB416_123 Depth=1
	s_or_b32 exec_lo, exec_lo, s16
	s_wait_dscnt 0x2
	ds_bpermute_b32 v61, v18, v10
	s_wait_dscnt 0x2
	ds_bpermute_b32 v85, v18, v11
	;; [unrolled: 2-line block ×3, first 2 shown]
	v_and_b32_e32 v86, 1, v27
	s_mov_b32 s16, exec_lo
	s_delay_alu instid0(VALU_DEP_1)
	v_cmp_eq_u32_e64 s17, 1, v86
	v_cmpx_le_u32_e64 v19, v28
	s_cbranch_execz .LBB416_132
; %bb.131:                              ;   in Loop: Header=BB416_123 Depth=1
	v_and_b32_e32 v27, 0xff, v27
	s_delay_alu instid0(VALU_DEP_1) | instskip(SKIP_3) | instid1(VALU_DEP_2)
	v_cmp_eq_u16_e32 vcc_lo, 0, v27
	s_wait_dscnt 0x0
	v_dual_cndmask_b32 v87, 0, v85, vcc_lo :: v_dual_bitop2_b32 v27, 1, v60 bitop3:0x40
	v_cndmask_b32_e32 v86, 1, v61, vcc_lo
	v_cmp_eq_u32_e32 vcc_lo, 1, v27
	s_delay_alu instid0(VALU_DEP_2)
	v_mul_u64_e32 v[10:11], v[86:87], v[10:11]
	s_or_b32 s19, s17, vcc_lo
	s_and_not1_b32 s17, s17, exec_lo
	v_cndmask_b32_e64 v27, 0, 1, s19
	v_cndmask_b32_e64 v29, 0, 1, s19
	s_and_b32 s19, s19, exec_lo
	s_delay_alu instid0(SALU_CYCLE_1)
	s_or_b32 s17, s17, s19
.LBB416_132:                            ;   in Loop: Header=BB416_123 Depth=1
	s_or_b32 exec_lo, exec_lo, s16
	s_wait_dscnt 0x2
	ds_bpermute_b32 v61, v20, v10
	s_wait_dscnt 0x2
	ds_bpermute_b32 v85, v20, v11
	;; [unrolled: 2-line block ×3, first 2 shown]
	s_mov_b32 s19, exec_lo
	v_cmpx_le_u32_e64 v21, v28
	s_cbranch_execz .LBB416_134
; %bb.133:                              ;   in Loop: Header=BB416_123 Depth=1
	v_and_b32_e32 v29, 0xff, v27
	s_and_not1_b32 s17, s17, exec_lo
	v_and_b32_e32 v27, 1, v27
	s_delay_alu instid0(VALU_DEP_2) | instskip(SKIP_4) | instid1(VALU_DEP_3)
	v_cmp_eq_u16_e32 vcc_lo, 0, v29
	s_wait_dscnt 0x0
	v_dual_cndmask_b32 v86, 1, v61, vcc_lo :: v_dual_bitop2_b32 v29, 1, v60 bitop3:0x40
	v_cndmask_b32_e32 v87, 0, v85, vcc_lo
	v_cmp_eq_u32_e32 vcc_lo, 1, v27
	v_cmp_eq_u32_e64 s16, 1, v29
	s_delay_alu instid0(VALU_DEP_3) | instskip(SKIP_1) | instid1(SALU_CYCLE_1)
	v_mul_u64_e32 v[10:11], v[86:87], v[10:11]
	s_or_b32 s16, vcc_lo, s16
	v_cndmask_b32_e64 v27, 0, 1, s16
	v_cndmask_b32_e64 v29, 0, 1, s16
	s_and_b32 s16, s16, exec_lo
	s_delay_alu instid0(SALU_CYCLE_1)
	s_or_b32 s17, s17, s16
.LBB416_134:                            ;   in Loop: Header=BB416_123 Depth=1
	s_or_b32 exec_lo, exec_lo, s19
	s_wait_dscnt 0x2
	ds_bpermute_b32 v61, v22, v10
	s_wait_dscnt 0x2
	ds_bpermute_b32 v85, v22, v11
	;; [unrolled: 2-line block ×3, first 2 shown]
	s_mov_b32 s19, exec_lo
	v_cmpx_le_u32_e64 v23, v28
	s_cbranch_execz .LBB416_136
; %bb.135:                              ;   in Loop: Header=BB416_123 Depth=1
	v_and_b32_e32 v29, 0xff, v27
	s_and_not1_b32 s17, s17, exec_lo
	v_and_b32_e32 v27, 1, v27
	s_delay_alu instid0(VALU_DEP_2) | instskip(SKIP_4) | instid1(VALU_DEP_3)
	v_cmp_eq_u16_e32 vcc_lo, 0, v29
	s_wait_dscnt 0x0
	v_dual_cndmask_b32 v86, 1, v61, vcc_lo :: v_dual_bitop2_b32 v29, 1, v60 bitop3:0x40
	v_cndmask_b32_e32 v87, 0, v85, vcc_lo
	v_cmp_eq_u32_e32 vcc_lo, 1, v27
	v_cmp_eq_u32_e64 s16, 1, v29
	s_delay_alu instid0(VALU_DEP_3) | instskip(SKIP_1) | instid1(SALU_CYCLE_1)
	v_mul_u64_e32 v[10:11], v[86:87], v[10:11]
	s_or_b32 s16, vcc_lo, s16
	v_cndmask_b32_e64 v27, 0, 1, s16
	v_cndmask_b32_e64 v29, 0, 1, s16
	s_and_b32 s16, s16, exec_lo
	s_delay_alu instid0(SALU_CYCLE_1)
	s_or_b32 s17, s17, s16
.LBB416_136:                            ;   in Loop: Header=BB416_123 Depth=1
	s_or_b32 exec_lo, exec_lo, s19
	s_wait_dscnt 0x0
	ds_bpermute_b32 v60, v24, v10
	ds_bpermute_b32 v61, v24, v11
	;; [unrolled: 1-line block ×3, first 2 shown]
	s_mov_b32 s19, exec_lo
	v_cmpx_le_u32_e64 v26, v28
	s_cbranch_execz .LBB416_121
; %bb.137:                              ;   in Loop: Header=BB416_123 Depth=1
	v_and_b32_e32 v28, 0xff, v27
	v_and_b32_e32 v27, 1, v27
	s_and_not1_b32 s17, s17, exec_lo
	s_delay_alu instid0(VALU_DEP_2) | instskip(SKIP_4) | instid1(VALU_DEP_3)
	v_cmp_eq_u16_e32 vcc_lo, 0, v28
	s_wait_dscnt 0x0
	v_and_b32_e32 v28, 1, v29
	v_dual_cndmask_b32 v61, 0, v61 :: v_dual_cndmask_b32 v60, 1, v60
	v_cmp_eq_u32_e32 vcc_lo, 1, v27
	v_cmp_eq_u32_e64 s16, 1, v28
	s_delay_alu instid0(VALU_DEP_3) | instskip(SKIP_1) | instid1(SALU_CYCLE_1)
	v_mul_u64_e32 v[10:11], v[60:61], v[10:11]
	s_or_b32 s16, vcc_lo, s16
	s_and_b32 s16, s16, exec_lo
	s_delay_alu instid0(SALU_CYCLE_1)
	s_or_b32 s17, s17, s16
	s_branch .LBB416_121
.LBB416_138:
	s_or_b32 exec_lo, exec_lo, s16
                                        ; implicit-def: $vgpr32_vgpr33
	s_and_saveexec_b32 s16, s1
	s_cbranch_execz .LBB416_37
.LBB416_139:
	flat_load_b64 v[32:33], v0, s[18:19] offset:2048 scale_offset
	s_wait_xcnt 0x0
	s_or_b32 exec_lo, exec_lo, s16
                                        ; implicit-def: $vgpr34_vgpr35
	s_and_saveexec_b32 s1, s4
	s_cbranch_execnz .LBB416_38
.LBB416_140:
	s_or_b32 exec_lo, exec_lo, s1
                                        ; implicit-def: $vgpr36_vgpr37
	s_and_saveexec_b32 s1, s5
	s_cbranch_execz .LBB416_39
.LBB416_141:
	flat_load_b64 v[36:37], v0, s[18:19] offset:6144 scale_offset
	s_wait_xcnt 0x0
	s_or_b32 exec_lo, exec_lo, s1
                                        ; implicit-def: $vgpr38_vgpr39
	s_and_saveexec_b32 s1, s6
	s_cbranch_execnz .LBB416_40
.LBB416_142:
	s_or_b32 exec_lo, exec_lo, s1
                                        ; implicit-def: $vgpr40_vgpr41
	s_and_saveexec_b32 s1, s7
	s_cbranch_execz .LBB416_41
.LBB416_143:
	flat_load_b64 v[40:41], v0, s[18:19] offset:10240 scale_offset
	s_wait_xcnt 0x0
	s_or_b32 exec_lo, exec_lo, s1
                                        ; implicit-def: $vgpr42_vgpr43
	s_and_saveexec_b32 s1, s8
	s_cbranch_execnz .LBB416_42
.LBB416_144:
	s_or_b32 exec_lo, exec_lo, s1
                                        ; implicit-def: $vgpr44_vgpr45
	s_and_saveexec_b32 s1, s9
	s_cbranch_execz .LBB416_43
.LBB416_145:
	flat_load_b64 v[44:45], v0, s[18:19] offset:14336 scale_offset
	s_wait_xcnt 0x0
	s_or_b32 exec_lo, exec_lo, s1
                                        ; implicit-def: $vgpr46_vgpr47
	s_and_saveexec_b32 s1, s10
	s_cbranch_execnz .LBB416_44
.LBB416_146:
	s_or_b32 exec_lo, exec_lo, s1
                                        ; implicit-def: $vgpr48_vgpr49
	s_and_saveexec_b32 s1, s11
	s_cbranch_execz .LBB416_45
.LBB416_147:
	flat_load_b64 v[48:49], v0, s[18:19] offset:18432 scale_offset
	s_wait_xcnt 0x0
	s_or_b32 exec_lo, exec_lo, s1
                                        ; implicit-def: $vgpr50_vgpr51
	s_and_saveexec_b32 s1, s12
	s_cbranch_execnz .LBB416_46
.LBB416_148:
	s_or_b32 exec_lo, exec_lo, s1
                                        ; implicit-def: $vgpr52_vgpr53
	s_and_saveexec_b32 s1, s13
	s_cbranch_execz .LBB416_47
.LBB416_149:
	flat_load_b64 v[52:53], v0, s[18:19] offset:22528 scale_offset
	s_wait_xcnt 0x0
	s_or_b32 exec_lo, exec_lo, s1
                                        ; implicit-def: $vgpr54_vgpr55
	s_and_saveexec_b32 s1, s14
	s_cbranch_execz .LBB416_49
	s_branch .LBB416_48
.LBB416_150:
                                        ; implicit-def: $vgpr60_vgpr61
                                        ; implicit-def: $vgpr26_vgpr27
                                        ; implicit-def: $vgpr24_vgpr25
                                        ; implicit-def: $vgpr20_vgpr21
                                        ; implicit-def: $vgpr16_vgpr17
                                        ; implicit-def: $vgpr8_vgpr9
                                        ; implicit-def: $vgpr12_vgpr13
                                        ; implicit-def: $vgpr4_vgpr5
	s_cbranch_execnz .LBB416_158
	s_branch .LBB416_177
.LBB416_151:
	s_and_saveexec_b32 s16, s15
	s_cbranch_execz .LBB416_153
; %bb.152:
	v_and_b32_e32 v6, 0xff, v13
	s_add_co_i32 s20, s33, 32
	s_mov_b32 s21, 0
	v_mov_b32_e32 v11, s20
	s_lshl_b64 s[22:23], s[20:21], 4
	v_cmp_eq_u32_e32 vcc_lo, 0, v6
	s_add_nc_u64 s[20:21], s[38:39], s[22:23]
	v_dual_mov_b32 v10, 2 :: v_dual_cndmask_b32 v7, 0, v9
	v_cndmask_b32_e32 v6, 1, v8, vcc_lo
	s_delay_alu instid0(VALU_DEP_1)
	v_mul_u64_e32 v[2:3], v[6:7], v[2:3]
	v_mov_b32_e32 v7, 0
	v_bitop3_b16 v6, v13, 1, v25 bitop3:0xc8
	s_clause 0x1
	global_store_b64 v7, v[2:3], s[20:21]
	global_store_b8 v7, v6, s[20:21] offset:8
	global_wb scope:SCOPE_DEV
	s_wait_storecnt_dscnt 0x0
	global_inv scope:SCOPE_DEV
	s_wait_xcnt 0x0
	global_store_b8 v11, v10, s[40:41] scope:SCOPE_DEV
.LBB416_153:
	s_wait_xcnt 0x0
	s_or_b32 exec_lo, exec_lo, s16
	s_delay_alu instid0(SALU_CYCLE_1)
	s_and_b32 exec_lo, exec_lo, s2
	s_cbranch_execz .LBB416_155
; %bb.154:
	v_mov_b32_e32 v2, 0
	ds_store_b64 v2, v[8:9]
	ds_store_b8 v2, v25 offset:8
.LBB416_155:
	s_or_b32 exec_lo, exec_lo, s18
	v_mov_b32_e32 v2, 0
	s_wait_storecnt 0x0
	s_wait_loadcnt_dscnt 0x0
	s_barrier_signal -1
	s_barrier_wait -1
	ds_load_b64 v[2:3], v2
	s_and_saveexec_b32 s15, s3
	s_cbranch_execz .LBB416_157
; %bb.156:
	v_and_b32_e32 v6, 0xff, v12
	s_delay_alu instid0(VALU_DEP_1) | instskip(SKIP_2) | instid1(VALU_DEP_1)
	v_cmp_eq_u16_e32 vcc_lo, 0, v6
	s_wait_dscnt 0x0
	v_dual_cndmask_b32 v3, 0, v3 :: v_dual_cndmask_b32 v2, 1, v2
	v_mul_u64_e32 v[2:3], v[2:3], v[4:5]
.LBB416_157:
	s_or_b32 exec_lo, exec_lo, s15
	v_and_b32_e32 v4, 0xff, v1
	s_delay_alu instid0(VALU_DEP_1) | instskip(SKIP_1) | instid1(VALU_DEP_3)
	v_cmp_eq_u16_e32 vcc_lo, 0, v4
	s_wait_dscnt 0x0
	v_dual_cndmask_b32 v5, 0, v3 :: v_dual_cndmask_b32 v4, 1, v2
	s_delay_alu instid0(VALU_DEP_1) | instskip(NEXT) | instid1(VALU_DEP_1)
	v_mul_u64_e32 v[4:5], v[4:5], v[58:59]
	v_dual_cndmask_b32 v7, 0, v5, s1 :: v_dual_cndmask_b32 v6, 1, v4, s1
	s_delay_alu instid0(VALU_DEP_1) | instskip(NEXT) | instid1(VALU_DEP_1)
	v_mul_u64_e32 v[10:11], v[6:7], v[32:33]
	v_dual_cndmask_b32 v7, 0, v11, s4 :: v_dual_cndmask_b32 v6, 1, v10, s4
	;; [unrolled: 3-line block ×12, first 2 shown]
	s_branch .LBB416_177
.LBB416_158:
	s_cmp_eq_u64 s[46:47], 0
	v_mov_b64_e32 v[28:29], s[44:45]
	s_cselect_b32 s1, -1, 0
	s_cmp_eq_u64 s[30:31], 0
	s_cselect_b32 s4, -1, 0
	s_delay_alu instid0(SALU_CYCLE_1) | instskip(NEXT) | instid1(SALU_CYCLE_1)
	s_or_b32 s1, s1, s4
	s_and_b32 vcc_lo, exec_lo, s1
	s_cbranch_vccnz .LBB416_160
; %bb.159:
	v_mov_b32_e32 v2, 0
	global_load_b64 v[28:29], v2, s[30:31]
.LBB416_160:
	v_cmp_eq_u16_e32 vcc_lo, 0, v84
	v_cmp_eq_u16_e64 s1, 0, v83
	v_cmp_eq_u16_e64 s4, 0, v82
	;; [unrolled: 1-line block ×4, first 2 shown]
	s_wait_xcnt 0x0
	v_dual_cndmask_b32 v3, 0, v59 :: v_dual_cndmask_b32 v2, 1, v58
	v_cmp_eq_u16_e64 s7, 0, v79
	v_cmp_eq_u16_e64 s8, 0, v78
	;; [unrolled: 1-line block ×4, first 2 shown]
	v_mul_u64_e32 v[2:3], v[2:3], v[32:33]
	v_cmp_eq_u16_e64 s11, 0, v75
	v_cmp_eq_u16_e64 s12, 0, v74
	;; [unrolled: 1-line block ×4, first 2 shown]
	v_cmp_ne_u16_e64 s19, 0, v71
	v_cmp_eq_u32_e64 s20, 1, v64
	v_cmp_ne_u16_e64 s18, 0, v70
	v_cmp_eq_u32_e64 s21, 1, v63
	v_cmp_eq_u32_e64 s22, 1, v72
	v_cmp_ne_u16_e64 s17, 0, v68
	v_cmp_eq_u32_e64 s23, 1, v62
	s_or_b32 s19, s19, s20
	v_cmp_ne_u16_e64 s15, 0, v67
	v_cmp_eq_u32_e64 s16, 1, v65
	s_or_b32 s18, s18, s21
	s_or_b32 s19, s22, s19
	;; [unrolled: 1-line block ×6, first 2 shown]
	v_and_b32_e32 v4, 0x70, v69
	s_or_b32 s15, s16, s15
	s_mov_b32 s16, exec_lo
	s_delay_alu instid0(VALU_DEP_1) | instskip(SKIP_1) | instid1(VALU_DEP_1)
	v_lshl_add_u32 v4, v0, 4, v4
	v_dual_cndmask_b32 v3, 0, v3, s1 :: v_dual_cndmask_b32 v2, 1, v2, s1
	v_mul_u64_e32 v[2:3], v[2:3], v[54:55]
	s_delay_alu instid0(VALU_DEP_1) | instskip(NEXT) | instid1(VALU_DEP_1)
	v_dual_cndmask_b32 v3, 0, v3, s4 :: v_dual_cndmask_b32 v2, 1, v2, s4
	v_mul_u64_e32 v[2:3], v[2:3], v[52:53]
	s_delay_alu instid0(VALU_DEP_1) | instskip(NEXT) | instid1(VALU_DEP_1)
	;; [unrolled: 3-line block ×10, first 2 shown]
	v_dual_cndmask_b32 v3, 0, v3, s13 :: v_dual_cndmask_b32 v2, 1, v2, s13
	v_mul_u64_e32 v[2:3], v[2:3], v[30:31]
	s_delay_alu instid0(VALU_DEP_1) | instskip(SKIP_1) | instid1(VALU_DEP_2)
	v_dual_cndmask_b32 v3, 0, v3, s14 :: v_dual_cndmask_b32 v2, 1, v2, s14
	v_cmp_eq_u32_e64 s14, 1, v66
	v_mul_u64_e32 v[2:3], v[2:3], v[44:45]
	s_or_b32 s14, s15, s14
	s_delay_alu instid0(SALU_CYCLE_1)
	v_cndmask_b32_e64 v9, 0, 1, s14
	ds_store_b64 v4, v[2:3]
	ds_store_b8 v4, v9 offset:8
	s_wait_loadcnt_dscnt 0x0
	s_barrier_signal -1
	s_barrier_wait -1
	v_cmpx_gt_u32_e32 32, v0
	s_cbranch_execz .LBB416_172
; %bb.161:
	v_dual_lshlrev_b32 v4, 2, v0 :: v_dual_lshlrev_b32 v5, 7, v0
	s_delay_alu instid0(VALU_DEP_1) | instskip(NEXT) | instid1(VALU_DEP_1)
	v_and_b32_e32 v4, 0x3f0, v4
	v_add_nc_u32_e32 v8, v4, v5
	ds_load_u8 v11, v8 offset:24
	ds_load_b64 v[4:5], v8
	ds_load_2addr_b64 v[12:15], v8 offset0:2 offset1:4
	ds_load_b32 v10, v8 offset:8
	ds_load_u8 v16, v8 offset:40
	ds_load_u8 v17, v8 offset:56
	ds_load_u8 v18, v8 offset:72
	ds_load_u8 v19, v8 offset:88
	ds_load_u8 v20, v8 offset:104
	s_wait_dscnt 0x8
	v_cmp_eq_u16_e64 s14, 0, v11
	s_wait_dscnt 0x7
	s_delay_alu instid0(VALU_DEP_1)
	v_dual_cndmask_b32 v7, 0, v5, s14 :: v_dual_cndmask_b32 v6, 1, v4, s14
	s_wait_dscnt 0x4
	v_cmp_eq_u16_e64 s14, 0, v16
	s_wait_dscnt 0x3
	v_bitop3_b16 v11, v16, v17, v11 bitop3:0xfe
	v_mul_u64_e32 v[6:7], v[6:7], v[12:13]
	s_delay_alu instid0(VALU_DEP_1) | instskip(SKIP_1) | instid1(VALU_DEP_2)
	v_dual_cndmask_b32 v7, 0, v7, s14 :: v_dual_cndmask_b32 v6, 1, v6, s14
	v_cmp_eq_u16_e64 s14, 0, v17
	v_mul_u64_e32 v[6:7], v[6:7], v[14:15]
	ds_load_2addr_b64 v[12:15], v8 offset0:6 offset1:8
	v_dual_cndmask_b32 v7, 0, v7, s14 :: v_dual_cndmask_b32 v6, 1, v6, s14
	s_wait_dscnt 0x3
	v_cmp_eq_u16_e64 s14, 0, v18
	s_wait_dscnt 0x0
	s_delay_alu instid0(VALU_DEP_2) | instskip(NEXT) | instid1(VALU_DEP_1)
	v_mul_u64_e32 v[6:7], v[6:7], v[12:13]
	v_dual_cndmask_b32 v7, 0, v7, s14 :: v_dual_cndmask_b32 v6, 1, v6, s14
	v_cmp_eq_u16_e64 s14, 0, v19
	s_delay_alu instid0(VALU_DEP_2) | instskip(SKIP_4) | instid1(VALU_DEP_2)
	v_mul_u64_e32 v[6:7], v[6:7], v[14:15]
	ds_load_2addr_b64 v[12:15], v8 offset0:10 offset1:12
	v_dual_cndmask_b32 v7, 0, v7, s14 :: v_dual_cndmask_b32 v6, 1, v6, s14
	v_cmp_eq_u16_e64 s14, 0, v20
	s_wait_dscnt 0x0
	v_mul_u64_e32 v[6:7], v[6:7], v[12:13]
	s_delay_alu instid0(VALU_DEP_1) | instskip(NEXT) | instid1(VALU_DEP_1)
	v_dual_cndmask_b32 v7, 0, v7, s14 :: v_dual_cndmask_b32 v6, 1, v6, s14
	v_mul_u64_e32 v[6:7], v[6:7], v[14:15]
	ds_load_u8 v14, v8 offset:120
	ds_load_b64 v[12:13], v8 offset:112
	v_bitop3_b16 v15, v19, v20, v18 bitop3:0xfe
	s_wait_dscnt 0x1
	v_cmp_eq_u16_e64 s14, 0, v14
	s_delay_alu instid0(VALU_DEP_2) | instskip(NEXT) | instid1(VALU_DEP_1)
	v_bitop3_b16 v11, v14, v11, v15 bitop3:0xfe
	v_and_b32_e32 v11, 1, v11
	s_delay_alu instid0(VALU_DEP_1) | instskip(NEXT) | instid1(VALU_DEP_4)
	v_cmp_eq_u32_e64 s15, 1, v11
	v_dual_cndmask_b32 v7, 0, v7, s14 :: v_dual_cndmask_b32 v6, 1, v6, s14
	v_and_b32_e32 v11, 0xffffff00, v10
	s_wait_dscnt 0x0
	s_delay_alu instid0(VALU_DEP_2) | instskip(SKIP_1) | instid1(VALU_DEP_1)
	v_mul_u64_e32 v[6:7], v[6:7], v[12:13]
	v_and_b32_e32 v12, 1, v10
	v_cmp_eq_u32_e64 s14, 1, v12
	v_mbcnt_lo_u32_b32 v12, -1, 0
	s_or_b32 s17, s15, s14
	s_mov_b32 s15, exec_lo
	v_cndmask_b32_e64 v14, 0, 1, s17
	v_cndmask_b32_e64 v13, 0, 1, s17
	s_delay_alu instid0(VALU_DEP_2) | instskip(SKIP_1) | instid1(VALU_DEP_2)
	v_or_b32_e32 v15, v11, v14
	v_and_b32_e32 v14, 15, v12
	v_mov_b32_dpp v16, v15 row_shr:1 row_mask:0xf bank_mask:0xf
	v_mov_b32_dpp v17, v6 row_shr:1 row_mask:0xf bank_mask:0xf
	;; [unrolled: 1-line block ×3, first 2 shown]
	s_delay_alu instid0(VALU_DEP_4)
	v_cmpx_ne_u32_e32 0, v14
	s_cbranch_execz .LBB416_163
; %bb.162:
	s_delay_alu instid0(VALU_DEP_2) | instskip(SKIP_2) | instid1(VALU_DEP_2)
	v_cndmask_b32_e64 v19, v18, 0, s17
	v_cndmask_b32_e64 v18, v17, 1, s17
	v_bitop3_b16 v13, v16, v13, 1 bitop3:0xec
	v_mul_u64_e32 v[6:7], v[18:19], v[6:7]
	s_delay_alu instid0(VALU_DEP_2) | instskip(NEXT) | instid1(VALU_DEP_1)
	v_and_b32_e32 v15, 0xffff, v13
	v_or_b32_e32 v15, v11, v15
.LBB416_163:
	s_or_b32 exec_lo, exec_lo, s15
	s_delay_alu instid0(VALU_DEP_3) | instskip(NEXT) | instid1(VALU_DEP_4)
	v_mov_b32_dpp v17, v6 row_shr:2 row_mask:0xf bank_mask:0xf
	v_mov_b32_dpp v18, v7 row_shr:2 row_mask:0xf bank_mask:0xf
	s_delay_alu instid0(VALU_DEP_3)
	v_mov_b32_dpp v16, v15 row_shr:2 row_mask:0xf bank_mask:0xf
	s_mov_b32 s17, exec_lo
	v_cmpx_lt_u32_e32 1, v14
	s_cbranch_execz .LBB416_165
; %bb.164:
	v_cmp_eq_u16_e64 s14, 0, v13
	v_and_b32_e32 v13, 1, v13
	s_delay_alu instid0(VALU_DEP_2) | instskip(SKIP_1) | instid1(VALU_DEP_3)
	v_dual_cndmask_b32 v19, 0, v18, s14 :: v_dual_bitop2_b32 v15, 1, v16 bitop3:0x40
	v_cndmask_b32_e64 v18, 1, v17, s14
	v_cmp_eq_u32_e64 s14, 1, v13
	s_delay_alu instid0(VALU_DEP_3) | instskip(NEXT) | instid1(VALU_DEP_3)
	v_cmp_eq_u32_e64 s15, 1, v15
	v_mul_u64_e32 v[6:7], v[18:19], v[6:7]
	s_or_b32 s14, s14, s15
	s_delay_alu instid0(SALU_CYCLE_1) | instskip(SKIP_1) | instid1(VALU_DEP_2)
	v_cndmask_b32_e64 v15, 0, 1, s14
	v_cndmask_b32_e64 v13, 0, 1, s14
	v_or_b32_e32 v15, v11, v15
.LBB416_165:
	s_or_b32 exec_lo, exec_lo, s17
	s_delay_alu instid0(VALU_DEP_4) | instskip(SKIP_1) | instid1(VALU_DEP_3)
	v_mov_b32_dpp v17, v6 row_shr:4 row_mask:0xf bank_mask:0xf
	v_mov_b32_dpp v18, v7 row_shr:4 row_mask:0xf bank_mask:0xf
	;; [unrolled: 1-line block ×3, first 2 shown]
	s_mov_b32 s17, exec_lo
	v_cmpx_lt_u32_e32 3, v14
	s_cbranch_execz .LBB416_167
; %bb.166:
	v_cmp_eq_u16_e64 s14, 0, v13
	v_and_b32_e32 v13, 1, v13
	s_delay_alu instid0(VALU_DEP_2) | instskip(SKIP_1) | instid1(VALU_DEP_3)
	v_dual_cndmask_b32 v19, 0, v18, s14 :: v_dual_bitop2_b32 v15, 1, v16 bitop3:0x40
	v_cndmask_b32_e64 v18, 1, v17, s14
	v_cmp_eq_u32_e64 s14, 1, v13
	s_delay_alu instid0(VALU_DEP_3) | instskip(NEXT) | instid1(VALU_DEP_3)
	v_cmp_eq_u32_e64 s15, 1, v15
	v_mul_u64_e32 v[6:7], v[18:19], v[6:7]
	s_or_b32 s14, s14, s15
	s_delay_alu instid0(SALU_CYCLE_1) | instskip(SKIP_1) | instid1(VALU_DEP_2)
	v_cndmask_b32_e64 v15, 0, 1, s14
	v_cndmask_b32_e64 v13, 0, 1, s14
	v_or_b32_e32 v15, v11, v15
.LBB416_167:
	s_or_b32 exec_lo, exec_lo, s17
	s_delay_alu instid0(VALU_DEP_4) | instskip(SKIP_1) | instid1(VALU_DEP_3)
	v_mov_b32_dpp v17, v6 row_shr:8 row_mask:0xf bank_mask:0xf
	v_mov_b32_dpp v18, v7 row_shr:8 row_mask:0xf bank_mask:0xf
	;; [unrolled: 1-line block ×3, first 2 shown]
	s_mov_b32 s17, exec_lo
	v_cmpx_lt_u32_e32 7, v14
	s_cbranch_execz .LBB416_169
; %bb.168:
	v_cmp_eq_u16_e64 s14, 0, v13
	s_delay_alu instid0(VALU_DEP_1) | instskip(SKIP_1) | instid1(VALU_DEP_2)
	v_dual_cndmask_b32 v15, 0, v18, s14 :: v_dual_bitop2_b32 v13, 1, v13 bitop3:0x40
	v_cndmask_b32_e64 v14, 1, v17, s14
	v_cmp_eq_u32_e64 s14, 1, v13
	s_delay_alu instid0(VALU_DEP_2) | instskip(SKIP_1) | instid1(VALU_DEP_1)
	v_mul_u64_e32 v[6:7], v[14:15], v[6:7]
	v_and_b32_e32 v14, 1, v16
	v_cmp_eq_u32_e64 s15, 1, v14
	s_or_b32 s14, s14, s15
	s_delay_alu instid0(SALU_CYCLE_1) | instskip(SKIP_1) | instid1(VALU_DEP_2)
	v_cndmask_b32_e64 v14, 0, 1, s14
	v_cndmask_b32_e64 v13, 0, 1, s14
	v_or_b32_e32 v15, v11, v14
.LBB416_169:
	s_or_b32 exec_lo, exec_lo, s17
	ds_swizzle_b32 v16, v6 offset:swizzle(BROADCAST,32,15)
	ds_swizzle_b32 v17, v7 offset:swizzle(BROADCAST,32,15)
	;; [unrolled: 1-line block ×3, first 2 shown]
	v_and_b32_e32 v15, 16, v12
	s_mov_b32 s17, exec_lo
	s_delay_alu instid0(VALU_DEP_1)
	v_cmpx_ne_u32_e32 0, v15
	s_cbranch_execz .LBB416_171
; %bb.170:
	v_cmp_eq_u16_e64 s14, 0, v13
	v_and_b32_e32 v13, 1, v13
	s_wait_dscnt 0x0
	s_delay_alu instid0(VALU_DEP_2) | instskip(SKIP_1) | instid1(VALU_DEP_3)
	v_dual_cndmask_b32 v17, 0, v17, s14 :: v_dual_bitop2_b32 v14, 1, v14 bitop3:0x40
	v_cndmask_b32_e64 v16, 1, v16, s14
	v_cmp_eq_u32_e64 s14, 1, v13
	s_delay_alu instid0(VALU_DEP_3) | instskip(NEXT) | instid1(VALU_DEP_3)
	v_cmp_eq_u32_e64 s15, 1, v14
	v_mul_u64_e32 v[6:7], v[16:17], v[6:7]
	s_or_b32 s14, s14, s15
	s_delay_alu instid0(SALU_CYCLE_1)
	v_cndmask_b32_e64 v13, 0, 1, s14
.LBB416_171:
	s_or_b32 exec_lo, exec_lo, s17
	s_wait_dscnt 0x0
	v_add_nc_u32_e32 v14, -1, v12
	s_delay_alu instid0(VALU_DEP_2) | instskip(NEXT) | instid1(VALU_DEP_2)
	v_and_b32_e32 v13, 0xffff, v13
	; wave barrier
	v_cmp_gt_i32_e64 s14, 0, v14
	s_delay_alu instid0(VALU_DEP_1) | instskip(SKIP_1) | instid1(VALU_DEP_2)
	v_dual_cndmask_b32 v12, v14, v12, s14 :: v_dual_bitop2_b32 v11, v11, v13 bitop3:0x54
	v_and_b32_e32 v14, 0xff, v10
	v_lshlrev_b32_e32 v12, 2, v12
	s_delay_alu instid0(VALU_DEP_2) | instskip(SKIP_4) | instid1(VALU_DEP_1)
	v_cmp_eq_u32_e64 s14, 0, v14
	ds_bpermute_b32 v7, v12, v7
	ds_bpermute_b32 v6, v12, v6
	s_wait_dscnt 0x0
	v_dual_cndmask_b32 v7, 0, v7, s14 :: v_dual_cndmask_b32 v6, 1, v6, s14
	v_mul_u64_e32 v[4:5], v[6:7], v[4:5]
	ds_bpermute_b32 v6, v12, v11
	s_wait_dscnt 0x0
	v_dual_cndmask_b32 v7, v5, v3, s2 :: v_dual_bitop2_b32 v6, v6, v10 bitop3:0x54
	s_delay_alu instid0(VALU_DEP_1) | instskip(NEXT) | instid1(VALU_DEP_1)
	v_and_b32_e32 v10, 1, v6
	v_dual_cndmask_b32 v6, v4, v2, s2 :: v_dual_cndmask_b32 v9, v10, v9, s2
	ds_store_b64 v8, v[6:7]
	ds_store_b8 v8, v9 offset:8
	; wave barrier
	ds_load_u8 v20, v8 offset:24
	ds_load_2addr_b64 v[2:5], v8 offset0:2 offset1:4
	ds_load_u8 v21, v8 offset:40
	ds_load_u8 v22, v8 offset:56
	;; [unrolled: 1-line block ×5, first 2 shown]
	ds_load_b64 v[10:11], v8 offset:112
	ds_load_u8 v26, v8 offset:120
	s_wait_dscnt 0x8
	v_and_b32_e32 v12, 0xff, v20
	s_wait_dscnt 0x5
	v_and_b32_e32 v14, 0xff, v22
	s_delay_alu instid0(VALU_DEP_2) | instskip(SKIP_2) | instid1(VALU_DEP_2)
	v_cmp_eq_u16_e64 s14, 0, v12
	s_wait_dscnt 0x3
	v_and_b32_e32 v18, 0xff, v24
	v_dual_cndmask_b32 v7, 0, v7, s14 :: v_dual_cndmask_b32 v6, 1, v6, s14
	s_delay_alu instid0(VALU_DEP_1) | instskip(SKIP_1) | instid1(VALU_DEP_1)
	v_mul_u64_e32 v[6:7], v[6:7], v[2:3]
	v_and_b32_e32 v2, 0xff, v21
	v_cmp_eq_u16_e64 s14, 0, v2
	s_delay_alu instid0(VALU_DEP_1) | instskip(SKIP_1) | instid1(VALU_DEP_2)
	v_dual_cndmask_b32 v3, 0, v7, s14 :: v_dual_cndmask_b32 v2, 1, v6, s14
	v_cmp_eq_u16_e64 s14, 0, v14
	v_mul_u64_e32 v[12:13], v[2:3], v[4:5]
	ds_load_2addr_b64 v[2:5], v8 offset0:6 offset1:8
	v_dual_cndmask_b32 v15, 0, v13, s14 :: v_dual_cndmask_b32 v14, 1, v12, s14
	s_wait_dscnt 0x0
	s_delay_alu instid0(VALU_DEP_1) | instskip(SKIP_1) | instid1(VALU_DEP_1)
	v_mul_u64_e32 v[14:15], v[14:15], v[2:3]
	v_and_b32_e32 v2, 0xff, v23
	v_cmp_eq_u16_e64 s14, 0, v2
	s_delay_alu instid0(VALU_DEP_1) | instskip(SKIP_1) | instid1(VALU_DEP_2)
	v_dual_cndmask_b32 v3, 0, v15, s14 :: v_dual_cndmask_b32 v2, 1, v14, s14
	v_cmp_eq_u16_e64 s14, 0, v18
	v_mul_u64_e32 v[16:17], v[2:3], v[4:5]
	ds_load_2addr_b64 v[2:5], v8 offset0:10 offset1:12
	v_dual_cndmask_b32 v19, 0, v17, s14 :: v_dual_cndmask_b32 v18, 1, v16, s14
	s_wait_dscnt 0x0
	s_delay_alu instid0(VALU_DEP_1) | instskip(SKIP_1) | instid1(VALU_DEP_1)
	v_mul_u64_e32 v[2:3], v[18:19], v[2:3]
	v_and_b32_e32 v18, 0xff, v25
	v_cmp_eq_u16_e64 s14, 0, v18
	s_delay_alu instid0(VALU_DEP_1) | instskip(SKIP_1) | instid1(VALU_DEP_2)
	v_dual_cndmask_b32 v19, 0, v3, s14 :: v_dual_cndmask_b32 v18, 1, v2, s14
	v_cmp_eq_u16_e64 s14, 0, v26
	v_mul_u64_e32 v[4:5], v[18:19], v[4:5]
	s_delay_alu instid0(VALU_DEP_1) | instskip(NEXT) | instid1(VALU_DEP_1)
	v_dual_cndmask_b32 v19, 0, v5, s14 :: v_dual_cndmask_b32 v18, 1, v4, s14
	v_mul_u64_e32 v[10:11], v[18:19], v[10:11]
	v_or_b32_e32 v18, v20, v9
	v_bitop3_b16 v19, v21, v20, v9 bitop3:0xfe
	v_bitop3_b16 v9, v20, 1, v9 bitop3:0xc8
	s_delay_alu instid0(VALU_DEP_3) | instskip(NEXT) | instid1(VALU_DEP_3)
	v_bitop3_b16 v27, v22, v21, v18 bitop3:0xfe
	v_bitop3_b16 v44, v23, v22, v19 bitop3:0xfe
	;; [unrolled: 1-line block ×4, first 2 shown]
	s_delay_alu instid0(VALU_DEP_4) | instskip(NEXT) | instid1(VALU_DEP_4)
	v_bitop3_b16 v20, v24, v23, v27 bitop3:0xfe
	v_bitop3_b16 v21, v25, v24, v44 bitop3:0xfe
	;; [unrolled: 1-line block ×4, first 2 shown]
	s_delay_alu instid0(VALU_DEP_4) | instskip(NEXT) | instid1(VALU_DEP_4)
	v_bitop3_b16 v20, v25, 1, v20 bitop3:0xc8
	v_bitop3_b16 v21, v26, 1, v21 bitop3:0xc8
	ds_store_2addr_b64 v8, v[6:7], v[12:13] offset0:2 offset1:4
	ds_store_2addr_b64 v8, v[14:15], v[16:17] offset0:6 offset1:8
	ds_store_2addr_b64 v8, v[2:3], v[4:5] offset0:10 offset1:12
	ds_store_b8 v8, v9 offset:24
	ds_store_b8 v8, v18 offset:40
	;; [unrolled: 1-line block ×6, first 2 shown]
	ds_store_b64 v8, v[10:11] offset:112
	ds_store_b8 v8, v21 offset:120
.LBB416_172:
	s_or_b32 exec_lo, exec_lo, s16
	v_mov_b64_e32 v[2:3], v[28:29]
	s_wait_dscnt 0x0
	s_barrier_signal -1
	s_barrier_wait -1
	s_and_saveexec_b32 s14, s3
	s_cbranch_execz .LBB416_174
; %bb.173:
	v_add_nc_u32_e32 v2, -1, v0
	s_delay_alu instid0(VALU_DEP_1) | instskip(NEXT) | instid1(VALU_DEP_1)
	v_lshrrev_b32_e32 v3, 1, v2
	v_and_b32_e32 v3, 0x7ffffff0, v3
	s_delay_alu instid0(VALU_DEP_1) | instskip(SKIP_4) | instid1(VALU_DEP_1)
	v_lshl_add_u32 v2, v2, 4, v3
	ds_load_u8 v4, v2 offset:8
	ds_load_b64 v[2:3], v2
	s_wait_dscnt 0x1
	v_cmp_eq_u16_e64 s3, 0, v4
	v_dual_cndmask_b32 v5, 0, v29, s3 :: v_dual_cndmask_b32 v4, 1, v28, s3
	s_wait_dscnt 0x0
	s_delay_alu instid0(VALU_DEP_1)
	v_mul_u64_e32 v[2:3], v[4:5], v[2:3]
.LBB416_174:
	s_or_b32 exec_lo, exec_lo, s14
	v_and_b32_e32 v1, 0xff, v1
	s_delay_alu instid0(VALU_DEP_1) | instskip(NEXT) | instid1(VALU_DEP_1)
	v_cmp_eq_u16_e64 s3, 0, v1
	v_dual_cndmask_b32 v5, 0, v3, s3 :: v_dual_cndmask_b32 v4, 1, v2, s3
	s_delay_alu instid0(VALU_DEP_1) | instskip(NEXT) | instid1(VALU_DEP_1)
	v_mul_u64_e32 v[4:5], v[4:5], v[58:59]
	v_dual_cndmask_b32 v7, 0, v5 :: v_dual_cndmask_b32 v6, 1, v4
	s_delay_alu instid0(VALU_DEP_1) | instskip(NEXT) | instid1(VALU_DEP_1)
	v_mul_u64_e32 v[10:11], v[6:7], v[32:33]
	v_dual_cndmask_b32 v7, 0, v11, s1 :: v_dual_cndmask_b32 v6, 1, v10, s1
	s_delay_alu instid0(VALU_DEP_1) | instskip(NEXT) | instid1(VALU_DEP_1)
	v_mul_u64_e32 v[12:13], v[6:7], v[54:55]
	v_dual_cndmask_b32 v7, 0, v13, s4 :: v_dual_cndmask_b32 v6, 1, v12, s4
	;; [unrolled: 3-line block ×11, first 2 shown]
	s_and_saveexec_b32 s1, s2
	s_cbranch_execz .LBB416_176
; %bb.175:
	v_mov_b32_e32 v1, 0
	ds_load_u8 v34, v1 offset:4200
	ds_load_b64 v[32:33], v1 offset:4192
	s_wait_dscnt 0x1
	v_and_b32_e32 v35, 0xffff, v34
	s_delay_alu instid0(VALU_DEP_1) | instskip(SKIP_2) | instid1(VALU_DEP_1)
	v_cmp_eq_u32_e32 vcc_lo, 0, v35
	v_dual_cndmask_b32 v29, 0, v29 :: v_dual_cndmask_b32 v28, 1, v28
	s_wait_dscnt 0x0
	v_mul_u64_e32 v[28:29], v[28:29], v[32:33]
	v_mov_b32_e32 v32, 2
	s_clause 0x1
	global_store_b64 v1, v[28:29], s[38:39] offset:512
	global_store_b8 v1, v34, s[38:39] offset:520
	global_wb scope:SCOPE_DEV
	s_wait_storecnt 0x0
	global_inv scope:SCOPE_DEV
	s_wait_xcnt 0x0
	global_store_b8 v1, v32, s[40:41] offset:32 scope:SCOPE_DEV
.LBB416_176:
	s_wait_xcnt 0x0
	s_or_b32 exec_lo, exec_lo, s1
.LBB416_177:
	s_delay_alu instid0(VALU_DEP_1)
	v_mul_u64_e32 v[28:29], v[60:61], v[30:31]
	s_add_nc_u64 s[2:3], s[26:27], s[34:35]
	s_and_b32 vcc_lo, exec_lo, s0
	s_add_nc_u64 s[0:1], s[2:3], s[28:29]
	s_cbranch_vccz .LBB416_225
; %bb.178:
	v_mul_u32_u24_e32 v1, 14, v0
	s_add_co_i32 s25, s25, s42
	s_mov_b32 s2, exec_lo
	s_delay_alu instid0(VALU_DEP_1)
	v_cmpx_gt_u32_e64 s25, v1
	s_cbranch_execz .LBB416_198
; %bb.179:
	v_or_b32_e32 v30, 1, v1
	s_mov_b32 s3, exec_lo
	s_delay_alu instid0(VALU_DEP_1)
	v_cmpx_gt_u32_e64 s25, v30
	s_cbranch_execz .LBB416_197
; %bb.180:
	v_add_nc_u32_e32 v30, 2, v1
	s_mov_b32 s4, exec_lo
	s_delay_alu instid0(VALU_DEP_1)
	v_cmpx_gt_u32_e64 s25, v30
	s_cbranch_execz .LBB416_196
; %bb.181:
	v_add_nc_u32_e32 v30, 3, v1
	;; [unrolled: 6-line block ×8, first 2 shown]
	s_mov_b32 s11, exec_lo
	s_delay_alu instid0(VALU_DEP_1)
	v_cmpx_gt_u32_e64 s25, v30
; %bb.188:
	v_add_nc_u32_e32 v30, 10, v1
	s_mov_b32 s12, exec_lo
	s_delay_alu instid0(VALU_DEP_1)
	v_cmpx_gt_u32_e64 s25, v30
	s_or_b32 exec_lo, exec_lo, s12
; %bb.189:
	s_delay_alu instid0(SALU_CYCLE_1)
	s_or_b32 exec_lo, exec_lo, s11
.LBB416_190:
	s_delay_alu instid0(SALU_CYCLE_1)
	s_or_b32 exec_lo, exec_lo, s10
.LBB416_191:
	s_delay_alu instid0(SALU_CYCLE_1)
	s_or_b32 exec_lo, exec_lo, s9
.LBB416_192:
	s_delay_alu instid0(SALU_CYCLE_1)
	s_or_b32 exec_lo, exec_lo, s8
.LBB416_193:
	s_delay_alu instid0(SALU_CYCLE_1)
	s_or_b32 exec_lo, exec_lo, s7
.LBB416_194:
	s_delay_alu instid0(SALU_CYCLE_1)
	s_or_b32 exec_lo, exec_lo, s6
.LBB416_195:
	s_delay_alu instid0(SALU_CYCLE_1)
	s_or_b32 exec_lo, exec_lo, s5
.LBB416_196:
	s_delay_alu instid0(SALU_CYCLE_1)
	s_or_b32 exec_lo, exec_lo, s4
.LBB416_197:
	s_delay_alu instid0(SALU_CYCLE_1)
	s_or_b32 exec_lo, exec_lo, s3
.LBB416_198:
	s_delay_alu instid0(SALU_CYCLE_1)
	s_or_b32 exec_lo, exec_lo, s2
	v_dual_lshlrev_b32 v1, 3, v1 :: v_dual_mov_b32 v57, 0
	s_wait_loadcnt 0x0
	s_wait_storecnt 0x0
	s_barrier_signal -1
	s_barrier_wait -1
	v_mad_i32_i24 v30, 0xffffff98, v0, v1
	ds_store_b128 v1, v[2:5]
	ds_store_b128 v1, v[10:13] offset:16
	ds_store_b128 v1, v[6:9] offset:32
	;; [unrolled: 1-line block ×6, first 2 shown]
	s_wait_dscnt 0x0
	s_barrier_signal -1
	s_barrier_wait -1
	ds_load_2addr_stride64_b64 v[52:55], v30 offset0:4 offset1:8
	ds_load_2addr_stride64_b64 v[48:51], v30 offset0:12 offset1:16
	;; [unrolled: 1-line block ×6, first 2 shown]
	ds_load_b64 v[30:31], v30 offset:26624
	v_add_nc_u64_e32 v[56:57], s[0:1], v[56:57]
	s_mov_b32 s2, exec_lo
	v_cmpx_gt_u32_e64 s25, v0
	s_cbranch_execz .LBB416_200
; %bb.199:
	v_mul_i32_i24_e32 v58, 0xffffff98, v0
	s_delay_alu instid0(VALU_DEP_1)
	v_add_nc_u32_e32 v1, v1, v58
	ds_load_b64 v[58:59], v1
	s_wait_dscnt 0x0
	flat_store_b64 v[56:57], v[58:59]
.LBB416_200:
	s_wait_xcnt 0x0
	s_or_b32 exec_lo, exec_lo, s2
	v_or_b32_e32 v1, 0x100, v0
	s_mov_b32 s2, exec_lo
	s_delay_alu instid0(VALU_DEP_1)
	v_cmpx_gt_u32_e64 s25, v1
	s_cbranch_execz .LBB416_202
; %bb.201:
	s_wait_dscnt 0x6
	flat_store_b64 v[56:57], v[52:53] offset:2048
.LBB416_202:
	s_wait_xcnt 0x0
	s_or_b32 exec_lo, exec_lo, s2
	v_or_b32_e32 v1, 0x200, v0
	s_mov_b32 s2, exec_lo
	s_delay_alu instid0(VALU_DEP_1)
	v_cmpx_gt_u32_e64 s25, v1
	s_cbranch_execz .LBB416_204
; %bb.203:
	s_wait_dscnt 0x6
	flat_store_b64 v[56:57], v[54:55] offset:4096
.LBB416_204:
	;; [unrolled: 11-line block ×12, first 2 shown]
	s_wait_xcnt 0x0
	s_or_b32 exec_lo, exec_lo, s2
	v_or_b32_e32 v1, 0xd00, v0
	s_delay_alu instid0(VALU_DEP_1)
	v_cmp_gt_u32_e64 s2, s25, v1
	s_branch .LBB416_227
.LBB416_225:
	s_mov_b32 s2, 0
                                        ; implicit-def: $vgpr30_vgpr31
	s_cbranch_execz .LBB416_227
; %bb.226:
	v_mul_u32_u24_e32 v1, 0x70, v0
	s_wait_storecnt 0x0
	s_wait_loadcnt_dscnt 0x0
	s_barrier_signal -1
	s_barrier_wait -1
	ds_store_b128 v1, v[2:5]
	ds_store_b128 v1, v[10:13] offset:16
	v_mul_i32_i24_e32 v2, 0xffffff98, v0
	ds_store_b128 v1, v[6:9] offset:32
	ds_store_b128 v1, v[14:17] offset:48
	;; [unrolled: 1-line block ×5, first 2 shown]
	s_wait_dscnt 0x0
	s_barrier_signal -1
	s_barrier_wait -1
	v_mad_u32_u24 v1, 0x70, v0, v2
	s_or_b32 s2, s2, exec_lo
	ds_load_2addr_stride64_b64 v[2:5], v1 offset1:4
	ds_load_2addr_stride64_b64 v[6:9], v1 offset0:8 offset1:12
	ds_load_2addr_stride64_b64 v[10:13], v1 offset0:16 offset1:20
	;; [unrolled: 1-line block ×6, first 2 shown]
	s_wait_dscnt 0x6
	s_clause 0x1
	flat_store_b64 v0, v[2:3], s[0:1] scale_offset
	flat_store_b64 v0, v[4:5], s[0:1] offset:2048 scale_offset
	s_wait_dscnt 0x7
	s_clause 0x1
	flat_store_b64 v0, v[6:7], s[0:1] offset:4096 scale_offset
	flat_store_b64 v0, v[8:9], s[0:1] offset:6144 scale_offset
	s_wait_dscnt 0x8
	s_clause 0x1
	flat_store_b64 v0, v[10:11], s[0:1] offset:8192 scale_offset
	flat_store_b64 v0, v[12:13], s[0:1] offset:10240 scale_offset
	s_wait_dscnt 0x9
	s_clause 0x1
	flat_store_b64 v0, v[14:15], s[0:1] offset:12288 scale_offset
	flat_store_b64 v0, v[16:17], s[0:1] offset:14336 scale_offset
	s_wait_dscnt 0xa
	s_clause 0x1
	flat_store_b64 v0, v[18:19], s[0:1] offset:16384 scale_offset
	flat_store_b64 v0, v[20:21], s[0:1] offset:18432 scale_offset
	s_wait_dscnt 0xb
	s_clause 0x1
	flat_store_b64 v0, v[22:23], s[0:1] offset:20480 scale_offset
	flat_store_b64 v0, v[24:25], s[0:1] offset:22528 scale_offset
	s_wait_dscnt 0xc
	flat_store_b64 v0, v[28:29], s[0:1] offset:24576 scale_offset
.LBB416_227:
	s_wait_xcnt 0x0
	s_delay_alu instid0(VALU_DEP_1)
	s_and_saveexec_b32 s3, s2
	s_cbranch_execz .LBB416_229
; %bb.228:
	s_wait_dscnt 0x0
	flat_store_b64 v0, v[30:31], s[0:1] offset:26624 scale_offset
	s_sendmsg sendmsg(MSG_DEALLOC_VGPRS)
	s_endpgm
.LBB416_229:
	s_sendmsg sendmsg(MSG_DEALLOC_VGPRS)
	s_endpgm
	.section	.rodata,"a",@progbits
	.p2align	6, 0x0
	.amdhsa_kernel _ZN7rocprim17ROCPRIM_400000_NS6detail17trampoline_kernelINS0_14default_configENS1_27scan_by_key_config_selectorIxxEEZZNS1_16scan_by_key_implILNS1_25lookback_scan_determinismE0ELb1ES3_N6thrust23THRUST_200600_302600_NS6detail15normal_iteratorINS9_10device_ptrIxEEEESE_SE_xNS9_10multipliesIxEENS9_8equal_toIxEExEE10hipError_tPvRmT2_T3_T4_T5_mT6_T7_P12ihipStream_tbENKUlT_T0_E_clISt17integral_constantIbLb0EESY_IbLb1EEEEDaSU_SV_EUlSU_E_NS1_11comp_targetILNS1_3genE0ELNS1_11target_archE4294967295ELNS1_3gpuE0ELNS1_3repE0EEENS1_30default_config_static_selectorELNS0_4arch9wavefront6targetE0EEEvT1_
		.amdhsa_group_segment_fixed_size 32768
		.amdhsa_private_segment_fixed_size 0
		.amdhsa_kernarg_size 136
		.amdhsa_user_sgpr_count 2
		.amdhsa_user_sgpr_dispatch_ptr 0
		.amdhsa_user_sgpr_queue_ptr 0
		.amdhsa_user_sgpr_kernarg_segment_ptr 1
		.amdhsa_user_sgpr_dispatch_id 0
		.amdhsa_user_sgpr_kernarg_preload_length 0
		.amdhsa_user_sgpr_kernarg_preload_offset 0
		.amdhsa_user_sgpr_private_segment_size 0
		.amdhsa_wavefront_size32 1
		.amdhsa_uses_dynamic_stack 0
		.amdhsa_enable_private_segment 0
		.amdhsa_system_sgpr_workgroup_id_x 1
		.amdhsa_system_sgpr_workgroup_id_y 0
		.amdhsa_system_sgpr_workgroup_id_z 0
		.amdhsa_system_sgpr_workgroup_info 0
		.amdhsa_system_vgpr_workitem_id 0
		.amdhsa_next_free_vgpr 113
		.amdhsa_next_free_sgpr 59
		.amdhsa_named_barrier_count 0
		.amdhsa_reserve_vcc 1
		.amdhsa_float_round_mode_32 0
		.amdhsa_float_round_mode_16_64 0
		.amdhsa_float_denorm_mode_32 3
		.amdhsa_float_denorm_mode_16_64 3
		.amdhsa_fp16_overflow 0
		.amdhsa_memory_ordered 1
		.amdhsa_forward_progress 1
		.amdhsa_inst_pref_size 126
		.amdhsa_round_robin_scheduling 0
		.amdhsa_exception_fp_ieee_invalid_op 0
		.amdhsa_exception_fp_denorm_src 0
		.amdhsa_exception_fp_ieee_div_zero 0
		.amdhsa_exception_fp_ieee_overflow 0
		.amdhsa_exception_fp_ieee_underflow 0
		.amdhsa_exception_fp_ieee_inexact 0
		.amdhsa_exception_int_div_zero 0
	.end_amdhsa_kernel
	.section	.text._ZN7rocprim17ROCPRIM_400000_NS6detail17trampoline_kernelINS0_14default_configENS1_27scan_by_key_config_selectorIxxEEZZNS1_16scan_by_key_implILNS1_25lookback_scan_determinismE0ELb1ES3_N6thrust23THRUST_200600_302600_NS6detail15normal_iteratorINS9_10device_ptrIxEEEESE_SE_xNS9_10multipliesIxEENS9_8equal_toIxEExEE10hipError_tPvRmT2_T3_T4_T5_mT6_T7_P12ihipStream_tbENKUlT_T0_E_clISt17integral_constantIbLb0EESY_IbLb1EEEEDaSU_SV_EUlSU_E_NS1_11comp_targetILNS1_3genE0ELNS1_11target_archE4294967295ELNS1_3gpuE0ELNS1_3repE0EEENS1_30default_config_static_selectorELNS0_4arch9wavefront6targetE0EEEvT1_,"axG",@progbits,_ZN7rocprim17ROCPRIM_400000_NS6detail17trampoline_kernelINS0_14default_configENS1_27scan_by_key_config_selectorIxxEEZZNS1_16scan_by_key_implILNS1_25lookback_scan_determinismE0ELb1ES3_N6thrust23THRUST_200600_302600_NS6detail15normal_iteratorINS9_10device_ptrIxEEEESE_SE_xNS9_10multipliesIxEENS9_8equal_toIxEExEE10hipError_tPvRmT2_T3_T4_T5_mT6_T7_P12ihipStream_tbENKUlT_T0_E_clISt17integral_constantIbLb0EESY_IbLb1EEEEDaSU_SV_EUlSU_E_NS1_11comp_targetILNS1_3genE0ELNS1_11target_archE4294967295ELNS1_3gpuE0ELNS1_3repE0EEENS1_30default_config_static_selectorELNS0_4arch9wavefront6targetE0EEEvT1_,comdat
.Lfunc_end416:
	.size	_ZN7rocprim17ROCPRIM_400000_NS6detail17trampoline_kernelINS0_14default_configENS1_27scan_by_key_config_selectorIxxEEZZNS1_16scan_by_key_implILNS1_25lookback_scan_determinismE0ELb1ES3_N6thrust23THRUST_200600_302600_NS6detail15normal_iteratorINS9_10device_ptrIxEEEESE_SE_xNS9_10multipliesIxEENS9_8equal_toIxEExEE10hipError_tPvRmT2_T3_T4_T5_mT6_T7_P12ihipStream_tbENKUlT_T0_E_clISt17integral_constantIbLb0EESY_IbLb1EEEEDaSU_SV_EUlSU_E_NS1_11comp_targetILNS1_3genE0ELNS1_11target_archE4294967295ELNS1_3gpuE0ELNS1_3repE0EEENS1_30default_config_static_selectorELNS0_4arch9wavefront6targetE0EEEvT1_, .Lfunc_end416-_ZN7rocprim17ROCPRIM_400000_NS6detail17trampoline_kernelINS0_14default_configENS1_27scan_by_key_config_selectorIxxEEZZNS1_16scan_by_key_implILNS1_25lookback_scan_determinismE0ELb1ES3_N6thrust23THRUST_200600_302600_NS6detail15normal_iteratorINS9_10device_ptrIxEEEESE_SE_xNS9_10multipliesIxEENS9_8equal_toIxEExEE10hipError_tPvRmT2_T3_T4_T5_mT6_T7_P12ihipStream_tbENKUlT_T0_E_clISt17integral_constantIbLb0EESY_IbLb1EEEEDaSU_SV_EUlSU_E_NS1_11comp_targetILNS1_3genE0ELNS1_11target_archE4294967295ELNS1_3gpuE0ELNS1_3repE0EEENS1_30default_config_static_selectorELNS0_4arch9wavefront6targetE0EEEvT1_
                                        ; -- End function
	.set _ZN7rocprim17ROCPRIM_400000_NS6detail17trampoline_kernelINS0_14default_configENS1_27scan_by_key_config_selectorIxxEEZZNS1_16scan_by_key_implILNS1_25lookback_scan_determinismE0ELb1ES3_N6thrust23THRUST_200600_302600_NS6detail15normal_iteratorINS9_10device_ptrIxEEEESE_SE_xNS9_10multipliesIxEENS9_8equal_toIxEExEE10hipError_tPvRmT2_T3_T4_T5_mT6_T7_P12ihipStream_tbENKUlT_T0_E_clISt17integral_constantIbLb0EESY_IbLb1EEEEDaSU_SV_EUlSU_E_NS1_11comp_targetILNS1_3genE0ELNS1_11target_archE4294967295ELNS1_3gpuE0ELNS1_3repE0EEENS1_30default_config_static_selectorELNS0_4arch9wavefront6targetE0EEEvT1_.num_vgpr, 113
	.set _ZN7rocprim17ROCPRIM_400000_NS6detail17trampoline_kernelINS0_14default_configENS1_27scan_by_key_config_selectorIxxEEZZNS1_16scan_by_key_implILNS1_25lookback_scan_determinismE0ELb1ES3_N6thrust23THRUST_200600_302600_NS6detail15normal_iteratorINS9_10device_ptrIxEEEESE_SE_xNS9_10multipliesIxEENS9_8equal_toIxEExEE10hipError_tPvRmT2_T3_T4_T5_mT6_T7_P12ihipStream_tbENKUlT_T0_E_clISt17integral_constantIbLb0EESY_IbLb1EEEEDaSU_SV_EUlSU_E_NS1_11comp_targetILNS1_3genE0ELNS1_11target_archE4294967295ELNS1_3gpuE0ELNS1_3repE0EEENS1_30default_config_static_selectorELNS0_4arch9wavefront6targetE0EEEvT1_.num_agpr, 0
	.set _ZN7rocprim17ROCPRIM_400000_NS6detail17trampoline_kernelINS0_14default_configENS1_27scan_by_key_config_selectorIxxEEZZNS1_16scan_by_key_implILNS1_25lookback_scan_determinismE0ELb1ES3_N6thrust23THRUST_200600_302600_NS6detail15normal_iteratorINS9_10device_ptrIxEEEESE_SE_xNS9_10multipliesIxEENS9_8equal_toIxEExEE10hipError_tPvRmT2_T3_T4_T5_mT6_T7_P12ihipStream_tbENKUlT_T0_E_clISt17integral_constantIbLb0EESY_IbLb1EEEEDaSU_SV_EUlSU_E_NS1_11comp_targetILNS1_3genE0ELNS1_11target_archE4294967295ELNS1_3gpuE0ELNS1_3repE0EEENS1_30default_config_static_selectorELNS0_4arch9wavefront6targetE0EEEvT1_.numbered_sgpr, 59
	.set _ZN7rocprim17ROCPRIM_400000_NS6detail17trampoline_kernelINS0_14default_configENS1_27scan_by_key_config_selectorIxxEEZZNS1_16scan_by_key_implILNS1_25lookback_scan_determinismE0ELb1ES3_N6thrust23THRUST_200600_302600_NS6detail15normal_iteratorINS9_10device_ptrIxEEEESE_SE_xNS9_10multipliesIxEENS9_8equal_toIxEExEE10hipError_tPvRmT2_T3_T4_T5_mT6_T7_P12ihipStream_tbENKUlT_T0_E_clISt17integral_constantIbLb0EESY_IbLb1EEEEDaSU_SV_EUlSU_E_NS1_11comp_targetILNS1_3genE0ELNS1_11target_archE4294967295ELNS1_3gpuE0ELNS1_3repE0EEENS1_30default_config_static_selectorELNS0_4arch9wavefront6targetE0EEEvT1_.num_named_barrier, 0
	.set _ZN7rocprim17ROCPRIM_400000_NS6detail17trampoline_kernelINS0_14default_configENS1_27scan_by_key_config_selectorIxxEEZZNS1_16scan_by_key_implILNS1_25lookback_scan_determinismE0ELb1ES3_N6thrust23THRUST_200600_302600_NS6detail15normal_iteratorINS9_10device_ptrIxEEEESE_SE_xNS9_10multipliesIxEENS9_8equal_toIxEExEE10hipError_tPvRmT2_T3_T4_T5_mT6_T7_P12ihipStream_tbENKUlT_T0_E_clISt17integral_constantIbLb0EESY_IbLb1EEEEDaSU_SV_EUlSU_E_NS1_11comp_targetILNS1_3genE0ELNS1_11target_archE4294967295ELNS1_3gpuE0ELNS1_3repE0EEENS1_30default_config_static_selectorELNS0_4arch9wavefront6targetE0EEEvT1_.private_seg_size, 0
	.set _ZN7rocprim17ROCPRIM_400000_NS6detail17trampoline_kernelINS0_14default_configENS1_27scan_by_key_config_selectorIxxEEZZNS1_16scan_by_key_implILNS1_25lookback_scan_determinismE0ELb1ES3_N6thrust23THRUST_200600_302600_NS6detail15normal_iteratorINS9_10device_ptrIxEEEESE_SE_xNS9_10multipliesIxEENS9_8equal_toIxEExEE10hipError_tPvRmT2_T3_T4_T5_mT6_T7_P12ihipStream_tbENKUlT_T0_E_clISt17integral_constantIbLb0EESY_IbLb1EEEEDaSU_SV_EUlSU_E_NS1_11comp_targetILNS1_3genE0ELNS1_11target_archE4294967295ELNS1_3gpuE0ELNS1_3repE0EEENS1_30default_config_static_selectorELNS0_4arch9wavefront6targetE0EEEvT1_.uses_vcc, 1
	.set _ZN7rocprim17ROCPRIM_400000_NS6detail17trampoline_kernelINS0_14default_configENS1_27scan_by_key_config_selectorIxxEEZZNS1_16scan_by_key_implILNS1_25lookback_scan_determinismE0ELb1ES3_N6thrust23THRUST_200600_302600_NS6detail15normal_iteratorINS9_10device_ptrIxEEEESE_SE_xNS9_10multipliesIxEENS9_8equal_toIxEExEE10hipError_tPvRmT2_T3_T4_T5_mT6_T7_P12ihipStream_tbENKUlT_T0_E_clISt17integral_constantIbLb0EESY_IbLb1EEEEDaSU_SV_EUlSU_E_NS1_11comp_targetILNS1_3genE0ELNS1_11target_archE4294967295ELNS1_3gpuE0ELNS1_3repE0EEENS1_30default_config_static_selectorELNS0_4arch9wavefront6targetE0EEEvT1_.uses_flat_scratch, 1
	.set _ZN7rocprim17ROCPRIM_400000_NS6detail17trampoline_kernelINS0_14default_configENS1_27scan_by_key_config_selectorIxxEEZZNS1_16scan_by_key_implILNS1_25lookback_scan_determinismE0ELb1ES3_N6thrust23THRUST_200600_302600_NS6detail15normal_iteratorINS9_10device_ptrIxEEEESE_SE_xNS9_10multipliesIxEENS9_8equal_toIxEExEE10hipError_tPvRmT2_T3_T4_T5_mT6_T7_P12ihipStream_tbENKUlT_T0_E_clISt17integral_constantIbLb0EESY_IbLb1EEEEDaSU_SV_EUlSU_E_NS1_11comp_targetILNS1_3genE0ELNS1_11target_archE4294967295ELNS1_3gpuE0ELNS1_3repE0EEENS1_30default_config_static_selectorELNS0_4arch9wavefront6targetE0EEEvT1_.has_dyn_sized_stack, 0
	.set _ZN7rocprim17ROCPRIM_400000_NS6detail17trampoline_kernelINS0_14default_configENS1_27scan_by_key_config_selectorIxxEEZZNS1_16scan_by_key_implILNS1_25lookback_scan_determinismE0ELb1ES3_N6thrust23THRUST_200600_302600_NS6detail15normal_iteratorINS9_10device_ptrIxEEEESE_SE_xNS9_10multipliesIxEENS9_8equal_toIxEExEE10hipError_tPvRmT2_T3_T4_T5_mT6_T7_P12ihipStream_tbENKUlT_T0_E_clISt17integral_constantIbLb0EESY_IbLb1EEEEDaSU_SV_EUlSU_E_NS1_11comp_targetILNS1_3genE0ELNS1_11target_archE4294967295ELNS1_3gpuE0ELNS1_3repE0EEENS1_30default_config_static_selectorELNS0_4arch9wavefront6targetE0EEEvT1_.has_recursion, 0
	.set _ZN7rocprim17ROCPRIM_400000_NS6detail17trampoline_kernelINS0_14default_configENS1_27scan_by_key_config_selectorIxxEEZZNS1_16scan_by_key_implILNS1_25lookback_scan_determinismE0ELb1ES3_N6thrust23THRUST_200600_302600_NS6detail15normal_iteratorINS9_10device_ptrIxEEEESE_SE_xNS9_10multipliesIxEENS9_8equal_toIxEExEE10hipError_tPvRmT2_T3_T4_T5_mT6_T7_P12ihipStream_tbENKUlT_T0_E_clISt17integral_constantIbLb0EESY_IbLb1EEEEDaSU_SV_EUlSU_E_NS1_11comp_targetILNS1_3genE0ELNS1_11target_archE4294967295ELNS1_3gpuE0ELNS1_3repE0EEENS1_30default_config_static_selectorELNS0_4arch9wavefront6targetE0EEEvT1_.has_indirect_call, 0
	.section	.AMDGPU.csdata,"",@progbits
; Kernel info:
; codeLenInByte = 16124
; TotalNumSgprs: 61
; NumVgprs: 113
; ScratchSize: 0
; MemoryBound: 0
; FloatMode: 240
; IeeeMode: 1
; LDSByteSize: 32768 bytes/workgroup (compile time only)
; SGPRBlocks: 0
; VGPRBlocks: 7
; NumSGPRsForWavesPerEU: 61
; NumVGPRsForWavesPerEU: 113
; NamedBarCnt: 0
; Occupancy: 8
; WaveLimiterHint : 1
; COMPUTE_PGM_RSRC2:SCRATCH_EN: 0
; COMPUTE_PGM_RSRC2:USER_SGPR: 2
; COMPUTE_PGM_RSRC2:TRAP_HANDLER: 0
; COMPUTE_PGM_RSRC2:TGID_X_EN: 1
; COMPUTE_PGM_RSRC2:TGID_Y_EN: 0
; COMPUTE_PGM_RSRC2:TGID_Z_EN: 0
; COMPUTE_PGM_RSRC2:TIDIG_COMP_CNT: 0
	.section	.text._ZN7rocprim17ROCPRIM_400000_NS6detail17trampoline_kernelINS0_14default_configENS1_27scan_by_key_config_selectorIxxEEZZNS1_16scan_by_key_implILNS1_25lookback_scan_determinismE0ELb1ES3_N6thrust23THRUST_200600_302600_NS6detail15normal_iteratorINS9_10device_ptrIxEEEESE_SE_xNS9_10multipliesIxEENS9_8equal_toIxEExEE10hipError_tPvRmT2_T3_T4_T5_mT6_T7_P12ihipStream_tbENKUlT_T0_E_clISt17integral_constantIbLb0EESY_IbLb1EEEEDaSU_SV_EUlSU_E_NS1_11comp_targetILNS1_3genE10ELNS1_11target_archE1201ELNS1_3gpuE5ELNS1_3repE0EEENS1_30default_config_static_selectorELNS0_4arch9wavefront6targetE0EEEvT1_,"axG",@progbits,_ZN7rocprim17ROCPRIM_400000_NS6detail17trampoline_kernelINS0_14default_configENS1_27scan_by_key_config_selectorIxxEEZZNS1_16scan_by_key_implILNS1_25lookback_scan_determinismE0ELb1ES3_N6thrust23THRUST_200600_302600_NS6detail15normal_iteratorINS9_10device_ptrIxEEEESE_SE_xNS9_10multipliesIxEENS9_8equal_toIxEExEE10hipError_tPvRmT2_T3_T4_T5_mT6_T7_P12ihipStream_tbENKUlT_T0_E_clISt17integral_constantIbLb0EESY_IbLb1EEEEDaSU_SV_EUlSU_E_NS1_11comp_targetILNS1_3genE10ELNS1_11target_archE1201ELNS1_3gpuE5ELNS1_3repE0EEENS1_30default_config_static_selectorELNS0_4arch9wavefront6targetE0EEEvT1_,comdat
	.protected	_ZN7rocprim17ROCPRIM_400000_NS6detail17trampoline_kernelINS0_14default_configENS1_27scan_by_key_config_selectorIxxEEZZNS1_16scan_by_key_implILNS1_25lookback_scan_determinismE0ELb1ES3_N6thrust23THRUST_200600_302600_NS6detail15normal_iteratorINS9_10device_ptrIxEEEESE_SE_xNS9_10multipliesIxEENS9_8equal_toIxEExEE10hipError_tPvRmT2_T3_T4_T5_mT6_T7_P12ihipStream_tbENKUlT_T0_E_clISt17integral_constantIbLb0EESY_IbLb1EEEEDaSU_SV_EUlSU_E_NS1_11comp_targetILNS1_3genE10ELNS1_11target_archE1201ELNS1_3gpuE5ELNS1_3repE0EEENS1_30default_config_static_selectorELNS0_4arch9wavefront6targetE0EEEvT1_ ; -- Begin function _ZN7rocprim17ROCPRIM_400000_NS6detail17trampoline_kernelINS0_14default_configENS1_27scan_by_key_config_selectorIxxEEZZNS1_16scan_by_key_implILNS1_25lookback_scan_determinismE0ELb1ES3_N6thrust23THRUST_200600_302600_NS6detail15normal_iteratorINS9_10device_ptrIxEEEESE_SE_xNS9_10multipliesIxEENS9_8equal_toIxEExEE10hipError_tPvRmT2_T3_T4_T5_mT6_T7_P12ihipStream_tbENKUlT_T0_E_clISt17integral_constantIbLb0EESY_IbLb1EEEEDaSU_SV_EUlSU_E_NS1_11comp_targetILNS1_3genE10ELNS1_11target_archE1201ELNS1_3gpuE5ELNS1_3repE0EEENS1_30default_config_static_selectorELNS0_4arch9wavefront6targetE0EEEvT1_
	.globl	_ZN7rocprim17ROCPRIM_400000_NS6detail17trampoline_kernelINS0_14default_configENS1_27scan_by_key_config_selectorIxxEEZZNS1_16scan_by_key_implILNS1_25lookback_scan_determinismE0ELb1ES3_N6thrust23THRUST_200600_302600_NS6detail15normal_iteratorINS9_10device_ptrIxEEEESE_SE_xNS9_10multipliesIxEENS9_8equal_toIxEExEE10hipError_tPvRmT2_T3_T4_T5_mT6_T7_P12ihipStream_tbENKUlT_T0_E_clISt17integral_constantIbLb0EESY_IbLb1EEEEDaSU_SV_EUlSU_E_NS1_11comp_targetILNS1_3genE10ELNS1_11target_archE1201ELNS1_3gpuE5ELNS1_3repE0EEENS1_30default_config_static_selectorELNS0_4arch9wavefront6targetE0EEEvT1_
	.p2align	8
	.type	_ZN7rocprim17ROCPRIM_400000_NS6detail17trampoline_kernelINS0_14default_configENS1_27scan_by_key_config_selectorIxxEEZZNS1_16scan_by_key_implILNS1_25lookback_scan_determinismE0ELb1ES3_N6thrust23THRUST_200600_302600_NS6detail15normal_iteratorINS9_10device_ptrIxEEEESE_SE_xNS9_10multipliesIxEENS9_8equal_toIxEExEE10hipError_tPvRmT2_T3_T4_T5_mT6_T7_P12ihipStream_tbENKUlT_T0_E_clISt17integral_constantIbLb0EESY_IbLb1EEEEDaSU_SV_EUlSU_E_NS1_11comp_targetILNS1_3genE10ELNS1_11target_archE1201ELNS1_3gpuE5ELNS1_3repE0EEENS1_30default_config_static_selectorELNS0_4arch9wavefront6targetE0EEEvT1_,@function
_ZN7rocprim17ROCPRIM_400000_NS6detail17trampoline_kernelINS0_14default_configENS1_27scan_by_key_config_selectorIxxEEZZNS1_16scan_by_key_implILNS1_25lookback_scan_determinismE0ELb1ES3_N6thrust23THRUST_200600_302600_NS6detail15normal_iteratorINS9_10device_ptrIxEEEESE_SE_xNS9_10multipliesIxEENS9_8equal_toIxEExEE10hipError_tPvRmT2_T3_T4_T5_mT6_T7_P12ihipStream_tbENKUlT_T0_E_clISt17integral_constantIbLb0EESY_IbLb1EEEEDaSU_SV_EUlSU_E_NS1_11comp_targetILNS1_3genE10ELNS1_11target_archE1201ELNS1_3gpuE5ELNS1_3repE0EEENS1_30default_config_static_selectorELNS0_4arch9wavefront6targetE0EEEvT1_: ; @_ZN7rocprim17ROCPRIM_400000_NS6detail17trampoline_kernelINS0_14default_configENS1_27scan_by_key_config_selectorIxxEEZZNS1_16scan_by_key_implILNS1_25lookback_scan_determinismE0ELb1ES3_N6thrust23THRUST_200600_302600_NS6detail15normal_iteratorINS9_10device_ptrIxEEEESE_SE_xNS9_10multipliesIxEENS9_8equal_toIxEExEE10hipError_tPvRmT2_T3_T4_T5_mT6_T7_P12ihipStream_tbENKUlT_T0_E_clISt17integral_constantIbLb0EESY_IbLb1EEEEDaSU_SV_EUlSU_E_NS1_11comp_targetILNS1_3genE10ELNS1_11target_archE1201ELNS1_3gpuE5ELNS1_3repE0EEENS1_30default_config_static_selectorELNS0_4arch9wavefront6targetE0EEEvT1_
; %bb.0:
	.section	.rodata,"a",@progbits
	.p2align	6, 0x0
	.amdhsa_kernel _ZN7rocprim17ROCPRIM_400000_NS6detail17trampoline_kernelINS0_14default_configENS1_27scan_by_key_config_selectorIxxEEZZNS1_16scan_by_key_implILNS1_25lookback_scan_determinismE0ELb1ES3_N6thrust23THRUST_200600_302600_NS6detail15normal_iteratorINS9_10device_ptrIxEEEESE_SE_xNS9_10multipliesIxEENS9_8equal_toIxEExEE10hipError_tPvRmT2_T3_T4_T5_mT6_T7_P12ihipStream_tbENKUlT_T0_E_clISt17integral_constantIbLb0EESY_IbLb1EEEEDaSU_SV_EUlSU_E_NS1_11comp_targetILNS1_3genE10ELNS1_11target_archE1201ELNS1_3gpuE5ELNS1_3repE0EEENS1_30default_config_static_selectorELNS0_4arch9wavefront6targetE0EEEvT1_
		.amdhsa_group_segment_fixed_size 0
		.amdhsa_private_segment_fixed_size 0
		.amdhsa_kernarg_size 136
		.amdhsa_user_sgpr_count 2
		.amdhsa_user_sgpr_dispatch_ptr 0
		.amdhsa_user_sgpr_queue_ptr 0
		.amdhsa_user_sgpr_kernarg_segment_ptr 1
		.amdhsa_user_sgpr_dispatch_id 0
		.amdhsa_user_sgpr_kernarg_preload_length 0
		.amdhsa_user_sgpr_kernarg_preload_offset 0
		.amdhsa_user_sgpr_private_segment_size 0
		.amdhsa_wavefront_size32 1
		.amdhsa_uses_dynamic_stack 0
		.amdhsa_enable_private_segment 0
		.amdhsa_system_sgpr_workgroup_id_x 1
		.amdhsa_system_sgpr_workgroup_id_y 0
		.amdhsa_system_sgpr_workgroup_id_z 0
		.amdhsa_system_sgpr_workgroup_info 0
		.amdhsa_system_vgpr_workitem_id 0
		.amdhsa_next_free_vgpr 1
		.amdhsa_next_free_sgpr 1
		.amdhsa_named_barrier_count 0
		.amdhsa_reserve_vcc 0
		.amdhsa_float_round_mode_32 0
		.amdhsa_float_round_mode_16_64 0
		.amdhsa_float_denorm_mode_32 3
		.amdhsa_float_denorm_mode_16_64 3
		.amdhsa_fp16_overflow 0
		.amdhsa_memory_ordered 1
		.amdhsa_forward_progress 1
		.amdhsa_inst_pref_size 0
		.amdhsa_round_robin_scheduling 0
		.amdhsa_exception_fp_ieee_invalid_op 0
		.amdhsa_exception_fp_denorm_src 0
		.amdhsa_exception_fp_ieee_div_zero 0
		.amdhsa_exception_fp_ieee_overflow 0
		.amdhsa_exception_fp_ieee_underflow 0
		.amdhsa_exception_fp_ieee_inexact 0
		.amdhsa_exception_int_div_zero 0
	.end_amdhsa_kernel
	.section	.text._ZN7rocprim17ROCPRIM_400000_NS6detail17trampoline_kernelINS0_14default_configENS1_27scan_by_key_config_selectorIxxEEZZNS1_16scan_by_key_implILNS1_25lookback_scan_determinismE0ELb1ES3_N6thrust23THRUST_200600_302600_NS6detail15normal_iteratorINS9_10device_ptrIxEEEESE_SE_xNS9_10multipliesIxEENS9_8equal_toIxEExEE10hipError_tPvRmT2_T3_T4_T5_mT6_T7_P12ihipStream_tbENKUlT_T0_E_clISt17integral_constantIbLb0EESY_IbLb1EEEEDaSU_SV_EUlSU_E_NS1_11comp_targetILNS1_3genE10ELNS1_11target_archE1201ELNS1_3gpuE5ELNS1_3repE0EEENS1_30default_config_static_selectorELNS0_4arch9wavefront6targetE0EEEvT1_,"axG",@progbits,_ZN7rocprim17ROCPRIM_400000_NS6detail17trampoline_kernelINS0_14default_configENS1_27scan_by_key_config_selectorIxxEEZZNS1_16scan_by_key_implILNS1_25lookback_scan_determinismE0ELb1ES3_N6thrust23THRUST_200600_302600_NS6detail15normal_iteratorINS9_10device_ptrIxEEEESE_SE_xNS9_10multipliesIxEENS9_8equal_toIxEExEE10hipError_tPvRmT2_T3_T4_T5_mT6_T7_P12ihipStream_tbENKUlT_T0_E_clISt17integral_constantIbLb0EESY_IbLb1EEEEDaSU_SV_EUlSU_E_NS1_11comp_targetILNS1_3genE10ELNS1_11target_archE1201ELNS1_3gpuE5ELNS1_3repE0EEENS1_30default_config_static_selectorELNS0_4arch9wavefront6targetE0EEEvT1_,comdat
.Lfunc_end417:
	.size	_ZN7rocprim17ROCPRIM_400000_NS6detail17trampoline_kernelINS0_14default_configENS1_27scan_by_key_config_selectorIxxEEZZNS1_16scan_by_key_implILNS1_25lookback_scan_determinismE0ELb1ES3_N6thrust23THRUST_200600_302600_NS6detail15normal_iteratorINS9_10device_ptrIxEEEESE_SE_xNS9_10multipliesIxEENS9_8equal_toIxEExEE10hipError_tPvRmT2_T3_T4_T5_mT6_T7_P12ihipStream_tbENKUlT_T0_E_clISt17integral_constantIbLb0EESY_IbLb1EEEEDaSU_SV_EUlSU_E_NS1_11comp_targetILNS1_3genE10ELNS1_11target_archE1201ELNS1_3gpuE5ELNS1_3repE0EEENS1_30default_config_static_selectorELNS0_4arch9wavefront6targetE0EEEvT1_, .Lfunc_end417-_ZN7rocprim17ROCPRIM_400000_NS6detail17trampoline_kernelINS0_14default_configENS1_27scan_by_key_config_selectorIxxEEZZNS1_16scan_by_key_implILNS1_25lookback_scan_determinismE0ELb1ES3_N6thrust23THRUST_200600_302600_NS6detail15normal_iteratorINS9_10device_ptrIxEEEESE_SE_xNS9_10multipliesIxEENS9_8equal_toIxEExEE10hipError_tPvRmT2_T3_T4_T5_mT6_T7_P12ihipStream_tbENKUlT_T0_E_clISt17integral_constantIbLb0EESY_IbLb1EEEEDaSU_SV_EUlSU_E_NS1_11comp_targetILNS1_3genE10ELNS1_11target_archE1201ELNS1_3gpuE5ELNS1_3repE0EEENS1_30default_config_static_selectorELNS0_4arch9wavefront6targetE0EEEvT1_
                                        ; -- End function
	.set _ZN7rocprim17ROCPRIM_400000_NS6detail17trampoline_kernelINS0_14default_configENS1_27scan_by_key_config_selectorIxxEEZZNS1_16scan_by_key_implILNS1_25lookback_scan_determinismE0ELb1ES3_N6thrust23THRUST_200600_302600_NS6detail15normal_iteratorINS9_10device_ptrIxEEEESE_SE_xNS9_10multipliesIxEENS9_8equal_toIxEExEE10hipError_tPvRmT2_T3_T4_T5_mT6_T7_P12ihipStream_tbENKUlT_T0_E_clISt17integral_constantIbLb0EESY_IbLb1EEEEDaSU_SV_EUlSU_E_NS1_11comp_targetILNS1_3genE10ELNS1_11target_archE1201ELNS1_3gpuE5ELNS1_3repE0EEENS1_30default_config_static_selectorELNS0_4arch9wavefront6targetE0EEEvT1_.num_vgpr, 0
	.set _ZN7rocprim17ROCPRIM_400000_NS6detail17trampoline_kernelINS0_14default_configENS1_27scan_by_key_config_selectorIxxEEZZNS1_16scan_by_key_implILNS1_25lookback_scan_determinismE0ELb1ES3_N6thrust23THRUST_200600_302600_NS6detail15normal_iteratorINS9_10device_ptrIxEEEESE_SE_xNS9_10multipliesIxEENS9_8equal_toIxEExEE10hipError_tPvRmT2_T3_T4_T5_mT6_T7_P12ihipStream_tbENKUlT_T0_E_clISt17integral_constantIbLb0EESY_IbLb1EEEEDaSU_SV_EUlSU_E_NS1_11comp_targetILNS1_3genE10ELNS1_11target_archE1201ELNS1_3gpuE5ELNS1_3repE0EEENS1_30default_config_static_selectorELNS0_4arch9wavefront6targetE0EEEvT1_.num_agpr, 0
	.set _ZN7rocprim17ROCPRIM_400000_NS6detail17trampoline_kernelINS0_14default_configENS1_27scan_by_key_config_selectorIxxEEZZNS1_16scan_by_key_implILNS1_25lookback_scan_determinismE0ELb1ES3_N6thrust23THRUST_200600_302600_NS6detail15normal_iteratorINS9_10device_ptrIxEEEESE_SE_xNS9_10multipliesIxEENS9_8equal_toIxEExEE10hipError_tPvRmT2_T3_T4_T5_mT6_T7_P12ihipStream_tbENKUlT_T0_E_clISt17integral_constantIbLb0EESY_IbLb1EEEEDaSU_SV_EUlSU_E_NS1_11comp_targetILNS1_3genE10ELNS1_11target_archE1201ELNS1_3gpuE5ELNS1_3repE0EEENS1_30default_config_static_selectorELNS0_4arch9wavefront6targetE0EEEvT1_.numbered_sgpr, 0
	.set _ZN7rocprim17ROCPRIM_400000_NS6detail17trampoline_kernelINS0_14default_configENS1_27scan_by_key_config_selectorIxxEEZZNS1_16scan_by_key_implILNS1_25lookback_scan_determinismE0ELb1ES3_N6thrust23THRUST_200600_302600_NS6detail15normal_iteratorINS9_10device_ptrIxEEEESE_SE_xNS9_10multipliesIxEENS9_8equal_toIxEExEE10hipError_tPvRmT2_T3_T4_T5_mT6_T7_P12ihipStream_tbENKUlT_T0_E_clISt17integral_constantIbLb0EESY_IbLb1EEEEDaSU_SV_EUlSU_E_NS1_11comp_targetILNS1_3genE10ELNS1_11target_archE1201ELNS1_3gpuE5ELNS1_3repE0EEENS1_30default_config_static_selectorELNS0_4arch9wavefront6targetE0EEEvT1_.num_named_barrier, 0
	.set _ZN7rocprim17ROCPRIM_400000_NS6detail17trampoline_kernelINS0_14default_configENS1_27scan_by_key_config_selectorIxxEEZZNS1_16scan_by_key_implILNS1_25lookback_scan_determinismE0ELb1ES3_N6thrust23THRUST_200600_302600_NS6detail15normal_iteratorINS9_10device_ptrIxEEEESE_SE_xNS9_10multipliesIxEENS9_8equal_toIxEExEE10hipError_tPvRmT2_T3_T4_T5_mT6_T7_P12ihipStream_tbENKUlT_T0_E_clISt17integral_constantIbLb0EESY_IbLb1EEEEDaSU_SV_EUlSU_E_NS1_11comp_targetILNS1_3genE10ELNS1_11target_archE1201ELNS1_3gpuE5ELNS1_3repE0EEENS1_30default_config_static_selectorELNS0_4arch9wavefront6targetE0EEEvT1_.private_seg_size, 0
	.set _ZN7rocprim17ROCPRIM_400000_NS6detail17trampoline_kernelINS0_14default_configENS1_27scan_by_key_config_selectorIxxEEZZNS1_16scan_by_key_implILNS1_25lookback_scan_determinismE0ELb1ES3_N6thrust23THRUST_200600_302600_NS6detail15normal_iteratorINS9_10device_ptrIxEEEESE_SE_xNS9_10multipliesIxEENS9_8equal_toIxEExEE10hipError_tPvRmT2_T3_T4_T5_mT6_T7_P12ihipStream_tbENKUlT_T0_E_clISt17integral_constantIbLb0EESY_IbLb1EEEEDaSU_SV_EUlSU_E_NS1_11comp_targetILNS1_3genE10ELNS1_11target_archE1201ELNS1_3gpuE5ELNS1_3repE0EEENS1_30default_config_static_selectorELNS0_4arch9wavefront6targetE0EEEvT1_.uses_vcc, 0
	.set _ZN7rocprim17ROCPRIM_400000_NS6detail17trampoline_kernelINS0_14default_configENS1_27scan_by_key_config_selectorIxxEEZZNS1_16scan_by_key_implILNS1_25lookback_scan_determinismE0ELb1ES3_N6thrust23THRUST_200600_302600_NS6detail15normal_iteratorINS9_10device_ptrIxEEEESE_SE_xNS9_10multipliesIxEENS9_8equal_toIxEExEE10hipError_tPvRmT2_T3_T4_T5_mT6_T7_P12ihipStream_tbENKUlT_T0_E_clISt17integral_constantIbLb0EESY_IbLb1EEEEDaSU_SV_EUlSU_E_NS1_11comp_targetILNS1_3genE10ELNS1_11target_archE1201ELNS1_3gpuE5ELNS1_3repE0EEENS1_30default_config_static_selectorELNS0_4arch9wavefront6targetE0EEEvT1_.uses_flat_scratch, 0
	.set _ZN7rocprim17ROCPRIM_400000_NS6detail17trampoline_kernelINS0_14default_configENS1_27scan_by_key_config_selectorIxxEEZZNS1_16scan_by_key_implILNS1_25lookback_scan_determinismE0ELb1ES3_N6thrust23THRUST_200600_302600_NS6detail15normal_iteratorINS9_10device_ptrIxEEEESE_SE_xNS9_10multipliesIxEENS9_8equal_toIxEExEE10hipError_tPvRmT2_T3_T4_T5_mT6_T7_P12ihipStream_tbENKUlT_T0_E_clISt17integral_constantIbLb0EESY_IbLb1EEEEDaSU_SV_EUlSU_E_NS1_11comp_targetILNS1_3genE10ELNS1_11target_archE1201ELNS1_3gpuE5ELNS1_3repE0EEENS1_30default_config_static_selectorELNS0_4arch9wavefront6targetE0EEEvT1_.has_dyn_sized_stack, 0
	.set _ZN7rocprim17ROCPRIM_400000_NS6detail17trampoline_kernelINS0_14default_configENS1_27scan_by_key_config_selectorIxxEEZZNS1_16scan_by_key_implILNS1_25lookback_scan_determinismE0ELb1ES3_N6thrust23THRUST_200600_302600_NS6detail15normal_iteratorINS9_10device_ptrIxEEEESE_SE_xNS9_10multipliesIxEENS9_8equal_toIxEExEE10hipError_tPvRmT2_T3_T4_T5_mT6_T7_P12ihipStream_tbENKUlT_T0_E_clISt17integral_constantIbLb0EESY_IbLb1EEEEDaSU_SV_EUlSU_E_NS1_11comp_targetILNS1_3genE10ELNS1_11target_archE1201ELNS1_3gpuE5ELNS1_3repE0EEENS1_30default_config_static_selectorELNS0_4arch9wavefront6targetE0EEEvT1_.has_recursion, 0
	.set _ZN7rocprim17ROCPRIM_400000_NS6detail17trampoline_kernelINS0_14default_configENS1_27scan_by_key_config_selectorIxxEEZZNS1_16scan_by_key_implILNS1_25lookback_scan_determinismE0ELb1ES3_N6thrust23THRUST_200600_302600_NS6detail15normal_iteratorINS9_10device_ptrIxEEEESE_SE_xNS9_10multipliesIxEENS9_8equal_toIxEExEE10hipError_tPvRmT2_T3_T4_T5_mT6_T7_P12ihipStream_tbENKUlT_T0_E_clISt17integral_constantIbLb0EESY_IbLb1EEEEDaSU_SV_EUlSU_E_NS1_11comp_targetILNS1_3genE10ELNS1_11target_archE1201ELNS1_3gpuE5ELNS1_3repE0EEENS1_30default_config_static_selectorELNS0_4arch9wavefront6targetE0EEEvT1_.has_indirect_call, 0
	.section	.AMDGPU.csdata,"",@progbits
; Kernel info:
; codeLenInByte = 0
; TotalNumSgprs: 0
; NumVgprs: 0
; ScratchSize: 0
; MemoryBound: 0
; FloatMode: 240
; IeeeMode: 1
; LDSByteSize: 0 bytes/workgroup (compile time only)
; SGPRBlocks: 0
; VGPRBlocks: 0
; NumSGPRsForWavesPerEU: 1
; NumVGPRsForWavesPerEU: 1
; NamedBarCnt: 0
; Occupancy: 16
; WaveLimiterHint : 0
; COMPUTE_PGM_RSRC2:SCRATCH_EN: 0
; COMPUTE_PGM_RSRC2:USER_SGPR: 2
; COMPUTE_PGM_RSRC2:TRAP_HANDLER: 0
; COMPUTE_PGM_RSRC2:TGID_X_EN: 1
; COMPUTE_PGM_RSRC2:TGID_Y_EN: 0
; COMPUTE_PGM_RSRC2:TGID_Z_EN: 0
; COMPUTE_PGM_RSRC2:TIDIG_COMP_CNT: 0
	.section	.text._ZN7rocprim17ROCPRIM_400000_NS6detail17trampoline_kernelINS0_14default_configENS1_27scan_by_key_config_selectorIxxEEZZNS1_16scan_by_key_implILNS1_25lookback_scan_determinismE0ELb1ES3_N6thrust23THRUST_200600_302600_NS6detail15normal_iteratorINS9_10device_ptrIxEEEESE_SE_xNS9_10multipliesIxEENS9_8equal_toIxEExEE10hipError_tPvRmT2_T3_T4_T5_mT6_T7_P12ihipStream_tbENKUlT_T0_E_clISt17integral_constantIbLb0EESY_IbLb1EEEEDaSU_SV_EUlSU_E_NS1_11comp_targetILNS1_3genE5ELNS1_11target_archE942ELNS1_3gpuE9ELNS1_3repE0EEENS1_30default_config_static_selectorELNS0_4arch9wavefront6targetE0EEEvT1_,"axG",@progbits,_ZN7rocprim17ROCPRIM_400000_NS6detail17trampoline_kernelINS0_14default_configENS1_27scan_by_key_config_selectorIxxEEZZNS1_16scan_by_key_implILNS1_25lookback_scan_determinismE0ELb1ES3_N6thrust23THRUST_200600_302600_NS6detail15normal_iteratorINS9_10device_ptrIxEEEESE_SE_xNS9_10multipliesIxEENS9_8equal_toIxEExEE10hipError_tPvRmT2_T3_T4_T5_mT6_T7_P12ihipStream_tbENKUlT_T0_E_clISt17integral_constantIbLb0EESY_IbLb1EEEEDaSU_SV_EUlSU_E_NS1_11comp_targetILNS1_3genE5ELNS1_11target_archE942ELNS1_3gpuE9ELNS1_3repE0EEENS1_30default_config_static_selectorELNS0_4arch9wavefront6targetE0EEEvT1_,comdat
	.protected	_ZN7rocprim17ROCPRIM_400000_NS6detail17trampoline_kernelINS0_14default_configENS1_27scan_by_key_config_selectorIxxEEZZNS1_16scan_by_key_implILNS1_25lookback_scan_determinismE0ELb1ES3_N6thrust23THRUST_200600_302600_NS6detail15normal_iteratorINS9_10device_ptrIxEEEESE_SE_xNS9_10multipliesIxEENS9_8equal_toIxEExEE10hipError_tPvRmT2_T3_T4_T5_mT6_T7_P12ihipStream_tbENKUlT_T0_E_clISt17integral_constantIbLb0EESY_IbLb1EEEEDaSU_SV_EUlSU_E_NS1_11comp_targetILNS1_3genE5ELNS1_11target_archE942ELNS1_3gpuE9ELNS1_3repE0EEENS1_30default_config_static_selectorELNS0_4arch9wavefront6targetE0EEEvT1_ ; -- Begin function _ZN7rocprim17ROCPRIM_400000_NS6detail17trampoline_kernelINS0_14default_configENS1_27scan_by_key_config_selectorIxxEEZZNS1_16scan_by_key_implILNS1_25lookback_scan_determinismE0ELb1ES3_N6thrust23THRUST_200600_302600_NS6detail15normal_iteratorINS9_10device_ptrIxEEEESE_SE_xNS9_10multipliesIxEENS9_8equal_toIxEExEE10hipError_tPvRmT2_T3_T4_T5_mT6_T7_P12ihipStream_tbENKUlT_T0_E_clISt17integral_constantIbLb0EESY_IbLb1EEEEDaSU_SV_EUlSU_E_NS1_11comp_targetILNS1_3genE5ELNS1_11target_archE942ELNS1_3gpuE9ELNS1_3repE0EEENS1_30default_config_static_selectorELNS0_4arch9wavefront6targetE0EEEvT1_
	.globl	_ZN7rocprim17ROCPRIM_400000_NS6detail17trampoline_kernelINS0_14default_configENS1_27scan_by_key_config_selectorIxxEEZZNS1_16scan_by_key_implILNS1_25lookback_scan_determinismE0ELb1ES3_N6thrust23THRUST_200600_302600_NS6detail15normal_iteratorINS9_10device_ptrIxEEEESE_SE_xNS9_10multipliesIxEENS9_8equal_toIxEExEE10hipError_tPvRmT2_T3_T4_T5_mT6_T7_P12ihipStream_tbENKUlT_T0_E_clISt17integral_constantIbLb0EESY_IbLb1EEEEDaSU_SV_EUlSU_E_NS1_11comp_targetILNS1_3genE5ELNS1_11target_archE942ELNS1_3gpuE9ELNS1_3repE0EEENS1_30default_config_static_selectorELNS0_4arch9wavefront6targetE0EEEvT1_
	.p2align	8
	.type	_ZN7rocprim17ROCPRIM_400000_NS6detail17trampoline_kernelINS0_14default_configENS1_27scan_by_key_config_selectorIxxEEZZNS1_16scan_by_key_implILNS1_25lookback_scan_determinismE0ELb1ES3_N6thrust23THRUST_200600_302600_NS6detail15normal_iteratorINS9_10device_ptrIxEEEESE_SE_xNS9_10multipliesIxEENS9_8equal_toIxEExEE10hipError_tPvRmT2_T3_T4_T5_mT6_T7_P12ihipStream_tbENKUlT_T0_E_clISt17integral_constantIbLb0EESY_IbLb1EEEEDaSU_SV_EUlSU_E_NS1_11comp_targetILNS1_3genE5ELNS1_11target_archE942ELNS1_3gpuE9ELNS1_3repE0EEENS1_30default_config_static_selectorELNS0_4arch9wavefront6targetE0EEEvT1_,@function
_ZN7rocprim17ROCPRIM_400000_NS6detail17trampoline_kernelINS0_14default_configENS1_27scan_by_key_config_selectorIxxEEZZNS1_16scan_by_key_implILNS1_25lookback_scan_determinismE0ELb1ES3_N6thrust23THRUST_200600_302600_NS6detail15normal_iteratorINS9_10device_ptrIxEEEESE_SE_xNS9_10multipliesIxEENS9_8equal_toIxEExEE10hipError_tPvRmT2_T3_T4_T5_mT6_T7_P12ihipStream_tbENKUlT_T0_E_clISt17integral_constantIbLb0EESY_IbLb1EEEEDaSU_SV_EUlSU_E_NS1_11comp_targetILNS1_3genE5ELNS1_11target_archE942ELNS1_3gpuE9ELNS1_3repE0EEENS1_30default_config_static_selectorELNS0_4arch9wavefront6targetE0EEEvT1_: ; @_ZN7rocprim17ROCPRIM_400000_NS6detail17trampoline_kernelINS0_14default_configENS1_27scan_by_key_config_selectorIxxEEZZNS1_16scan_by_key_implILNS1_25lookback_scan_determinismE0ELb1ES3_N6thrust23THRUST_200600_302600_NS6detail15normal_iteratorINS9_10device_ptrIxEEEESE_SE_xNS9_10multipliesIxEENS9_8equal_toIxEExEE10hipError_tPvRmT2_T3_T4_T5_mT6_T7_P12ihipStream_tbENKUlT_T0_E_clISt17integral_constantIbLb0EESY_IbLb1EEEEDaSU_SV_EUlSU_E_NS1_11comp_targetILNS1_3genE5ELNS1_11target_archE942ELNS1_3gpuE9ELNS1_3repE0EEENS1_30default_config_static_selectorELNS0_4arch9wavefront6targetE0EEEvT1_
; %bb.0:
	.section	.rodata,"a",@progbits
	.p2align	6, 0x0
	.amdhsa_kernel _ZN7rocprim17ROCPRIM_400000_NS6detail17trampoline_kernelINS0_14default_configENS1_27scan_by_key_config_selectorIxxEEZZNS1_16scan_by_key_implILNS1_25lookback_scan_determinismE0ELb1ES3_N6thrust23THRUST_200600_302600_NS6detail15normal_iteratorINS9_10device_ptrIxEEEESE_SE_xNS9_10multipliesIxEENS9_8equal_toIxEExEE10hipError_tPvRmT2_T3_T4_T5_mT6_T7_P12ihipStream_tbENKUlT_T0_E_clISt17integral_constantIbLb0EESY_IbLb1EEEEDaSU_SV_EUlSU_E_NS1_11comp_targetILNS1_3genE5ELNS1_11target_archE942ELNS1_3gpuE9ELNS1_3repE0EEENS1_30default_config_static_selectorELNS0_4arch9wavefront6targetE0EEEvT1_
		.amdhsa_group_segment_fixed_size 0
		.amdhsa_private_segment_fixed_size 0
		.amdhsa_kernarg_size 136
		.amdhsa_user_sgpr_count 2
		.amdhsa_user_sgpr_dispatch_ptr 0
		.amdhsa_user_sgpr_queue_ptr 0
		.amdhsa_user_sgpr_kernarg_segment_ptr 1
		.amdhsa_user_sgpr_dispatch_id 0
		.amdhsa_user_sgpr_kernarg_preload_length 0
		.amdhsa_user_sgpr_kernarg_preload_offset 0
		.amdhsa_user_sgpr_private_segment_size 0
		.amdhsa_wavefront_size32 1
		.amdhsa_uses_dynamic_stack 0
		.amdhsa_enable_private_segment 0
		.amdhsa_system_sgpr_workgroup_id_x 1
		.amdhsa_system_sgpr_workgroup_id_y 0
		.amdhsa_system_sgpr_workgroup_id_z 0
		.amdhsa_system_sgpr_workgroup_info 0
		.amdhsa_system_vgpr_workitem_id 0
		.amdhsa_next_free_vgpr 1
		.amdhsa_next_free_sgpr 1
		.amdhsa_named_barrier_count 0
		.amdhsa_reserve_vcc 0
		.amdhsa_float_round_mode_32 0
		.amdhsa_float_round_mode_16_64 0
		.amdhsa_float_denorm_mode_32 3
		.amdhsa_float_denorm_mode_16_64 3
		.amdhsa_fp16_overflow 0
		.amdhsa_memory_ordered 1
		.amdhsa_forward_progress 1
		.amdhsa_inst_pref_size 0
		.amdhsa_round_robin_scheduling 0
		.amdhsa_exception_fp_ieee_invalid_op 0
		.amdhsa_exception_fp_denorm_src 0
		.amdhsa_exception_fp_ieee_div_zero 0
		.amdhsa_exception_fp_ieee_overflow 0
		.amdhsa_exception_fp_ieee_underflow 0
		.amdhsa_exception_fp_ieee_inexact 0
		.amdhsa_exception_int_div_zero 0
	.end_amdhsa_kernel
	.section	.text._ZN7rocprim17ROCPRIM_400000_NS6detail17trampoline_kernelINS0_14default_configENS1_27scan_by_key_config_selectorIxxEEZZNS1_16scan_by_key_implILNS1_25lookback_scan_determinismE0ELb1ES3_N6thrust23THRUST_200600_302600_NS6detail15normal_iteratorINS9_10device_ptrIxEEEESE_SE_xNS9_10multipliesIxEENS9_8equal_toIxEExEE10hipError_tPvRmT2_T3_T4_T5_mT6_T7_P12ihipStream_tbENKUlT_T0_E_clISt17integral_constantIbLb0EESY_IbLb1EEEEDaSU_SV_EUlSU_E_NS1_11comp_targetILNS1_3genE5ELNS1_11target_archE942ELNS1_3gpuE9ELNS1_3repE0EEENS1_30default_config_static_selectorELNS0_4arch9wavefront6targetE0EEEvT1_,"axG",@progbits,_ZN7rocprim17ROCPRIM_400000_NS6detail17trampoline_kernelINS0_14default_configENS1_27scan_by_key_config_selectorIxxEEZZNS1_16scan_by_key_implILNS1_25lookback_scan_determinismE0ELb1ES3_N6thrust23THRUST_200600_302600_NS6detail15normal_iteratorINS9_10device_ptrIxEEEESE_SE_xNS9_10multipliesIxEENS9_8equal_toIxEExEE10hipError_tPvRmT2_T3_T4_T5_mT6_T7_P12ihipStream_tbENKUlT_T0_E_clISt17integral_constantIbLb0EESY_IbLb1EEEEDaSU_SV_EUlSU_E_NS1_11comp_targetILNS1_3genE5ELNS1_11target_archE942ELNS1_3gpuE9ELNS1_3repE0EEENS1_30default_config_static_selectorELNS0_4arch9wavefront6targetE0EEEvT1_,comdat
.Lfunc_end418:
	.size	_ZN7rocprim17ROCPRIM_400000_NS6detail17trampoline_kernelINS0_14default_configENS1_27scan_by_key_config_selectorIxxEEZZNS1_16scan_by_key_implILNS1_25lookback_scan_determinismE0ELb1ES3_N6thrust23THRUST_200600_302600_NS6detail15normal_iteratorINS9_10device_ptrIxEEEESE_SE_xNS9_10multipliesIxEENS9_8equal_toIxEExEE10hipError_tPvRmT2_T3_T4_T5_mT6_T7_P12ihipStream_tbENKUlT_T0_E_clISt17integral_constantIbLb0EESY_IbLb1EEEEDaSU_SV_EUlSU_E_NS1_11comp_targetILNS1_3genE5ELNS1_11target_archE942ELNS1_3gpuE9ELNS1_3repE0EEENS1_30default_config_static_selectorELNS0_4arch9wavefront6targetE0EEEvT1_, .Lfunc_end418-_ZN7rocprim17ROCPRIM_400000_NS6detail17trampoline_kernelINS0_14default_configENS1_27scan_by_key_config_selectorIxxEEZZNS1_16scan_by_key_implILNS1_25lookback_scan_determinismE0ELb1ES3_N6thrust23THRUST_200600_302600_NS6detail15normal_iteratorINS9_10device_ptrIxEEEESE_SE_xNS9_10multipliesIxEENS9_8equal_toIxEExEE10hipError_tPvRmT2_T3_T4_T5_mT6_T7_P12ihipStream_tbENKUlT_T0_E_clISt17integral_constantIbLb0EESY_IbLb1EEEEDaSU_SV_EUlSU_E_NS1_11comp_targetILNS1_3genE5ELNS1_11target_archE942ELNS1_3gpuE9ELNS1_3repE0EEENS1_30default_config_static_selectorELNS0_4arch9wavefront6targetE0EEEvT1_
                                        ; -- End function
	.set _ZN7rocprim17ROCPRIM_400000_NS6detail17trampoline_kernelINS0_14default_configENS1_27scan_by_key_config_selectorIxxEEZZNS1_16scan_by_key_implILNS1_25lookback_scan_determinismE0ELb1ES3_N6thrust23THRUST_200600_302600_NS6detail15normal_iteratorINS9_10device_ptrIxEEEESE_SE_xNS9_10multipliesIxEENS9_8equal_toIxEExEE10hipError_tPvRmT2_T3_T4_T5_mT6_T7_P12ihipStream_tbENKUlT_T0_E_clISt17integral_constantIbLb0EESY_IbLb1EEEEDaSU_SV_EUlSU_E_NS1_11comp_targetILNS1_3genE5ELNS1_11target_archE942ELNS1_3gpuE9ELNS1_3repE0EEENS1_30default_config_static_selectorELNS0_4arch9wavefront6targetE0EEEvT1_.num_vgpr, 0
	.set _ZN7rocprim17ROCPRIM_400000_NS6detail17trampoline_kernelINS0_14default_configENS1_27scan_by_key_config_selectorIxxEEZZNS1_16scan_by_key_implILNS1_25lookback_scan_determinismE0ELb1ES3_N6thrust23THRUST_200600_302600_NS6detail15normal_iteratorINS9_10device_ptrIxEEEESE_SE_xNS9_10multipliesIxEENS9_8equal_toIxEExEE10hipError_tPvRmT2_T3_T4_T5_mT6_T7_P12ihipStream_tbENKUlT_T0_E_clISt17integral_constantIbLb0EESY_IbLb1EEEEDaSU_SV_EUlSU_E_NS1_11comp_targetILNS1_3genE5ELNS1_11target_archE942ELNS1_3gpuE9ELNS1_3repE0EEENS1_30default_config_static_selectorELNS0_4arch9wavefront6targetE0EEEvT1_.num_agpr, 0
	.set _ZN7rocprim17ROCPRIM_400000_NS6detail17trampoline_kernelINS0_14default_configENS1_27scan_by_key_config_selectorIxxEEZZNS1_16scan_by_key_implILNS1_25lookback_scan_determinismE0ELb1ES3_N6thrust23THRUST_200600_302600_NS6detail15normal_iteratorINS9_10device_ptrIxEEEESE_SE_xNS9_10multipliesIxEENS9_8equal_toIxEExEE10hipError_tPvRmT2_T3_T4_T5_mT6_T7_P12ihipStream_tbENKUlT_T0_E_clISt17integral_constantIbLb0EESY_IbLb1EEEEDaSU_SV_EUlSU_E_NS1_11comp_targetILNS1_3genE5ELNS1_11target_archE942ELNS1_3gpuE9ELNS1_3repE0EEENS1_30default_config_static_selectorELNS0_4arch9wavefront6targetE0EEEvT1_.numbered_sgpr, 0
	.set _ZN7rocprim17ROCPRIM_400000_NS6detail17trampoline_kernelINS0_14default_configENS1_27scan_by_key_config_selectorIxxEEZZNS1_16scan_by_key_implILNS1_25lookback_scan_determinismE0ELb1ES3_N6thrust23THRUST_200600_302600_NS6detail15normal_iteratorINS9_10device_ptrIxEEEESE_SE_xNS9_10multipliesIxEENS9_8equal_toIxEExEE10hipError_tPvRmT2_T3_T4_T5_mT6_T7_P12ihipStream_tbENKUlT_T0_E_clISt17integral_constantIbLb0EESY_IbLb1EEEEDaSU_SV_EUlSU_E_NS1_11comp_targetILNS1_3genE5ELNS1_11target_archE942ELNS1_3gpuE9ELNS1_3repE0EEENS1_30default_config_static_selectorELNS0_4arch9wavefront6targetE0EEEvT1_.num_named_barrier, 0
	.set _ZN7rocprim17ROCPRIM_400000_NS6detail17trampoline_kernelINS0_14default_configENS1_27scan_by_key_config_selectorIxxEEZZNS1_16scan_by_key_implILNS1_25lookback_scan_determinismE0ELb1ES3_N6thrust23THRUST_200600_302600_NS6detail15normal_iteratorINS9_10device_ptrIxEEEESE_SE_xNS9_10multipliesIxEENS9_8equal_toIxEExEE10hipError_tPvRmT2_T3_T4_T5_mT6_T7_P12ihipStream_tbENKUlT_T0_E_clISt17integral_constantIbLb0EESY_IbLb1EEEEDaSU_SV_EUlSU_E_NS1_11comp_targetILNS1_3genE5ELNS1_11target_archE942ELNS1_3gpuE9ELNS1_3repE0EEENS1_30default_config_static_selectorELNS0_4arch9wavefront6targetE0EEEvT1_.private_seg_size, 0
	.set _ZN7rocprim17ROCPRIM_400000_NS6detail17trampoline_kernelINS0_14default_configENS1_27scan_by_key_config_selectorIxxEEZZNS1_16scan_by_key_implILNS1_25lookback_scan_determinismE0ELb1ES3_N6thrust23THRUST_200600_302600_NS6detail15normal_iteratorINS9_10device_ptrIxEEEESE_SE_xNS9_10multipliesIxEENS9_8equal_toIxEExEE10hipError_tPvRmT2_T3_T4_T5_mT6_T7_P12ihipStream_tbENKUlT_T0_E_clISt17integral_constantIbLb0EESY_IbLb1EEEEDaSU_SV_EUlSU_E_NS1_11comp_targetILNS1_3genE5ELNS1_11target_archE942ELNS1_3gpuE9ELNS1_3repE0EEENS1_30default_config_static_selectorELNS0_4arch9wavefront6targetE0EEEvT1_.uses_vcc, 0
	.set _ZN7rocprim17ROCPRIM_400000_NS6detail17trampoline_kernelINS0_14default_configENS1_27scan_by_key_config_selectorIxxEEZZNS1_16scan_by_key_implILNS1_25lookback_scan_determinismE0ELb1ES3_N6thrust23THRUST_200600_302600_NS6detail15normal_iteratorINS9_10device_ptrIxEEEESE_SE_xNS9_10multipliesIxEENS9_8equal_toIxEExEE10hipError_tPvRmT2_T3_T4_T5_mT6_T7_P12ihipStream_tbENKUlT_T0_E_clISt17integral_constantIbLb0EESY_IbLb1EEEEDaSU_SV_EUlSU_E_NS1_11comp_targetILNS1_3genE5ELNS1_11target_archE942ELNS1_3gpuE9ELNS1_3repE0EEENS1_30default_config_static_selectorELNS0_4arch9wavefront6targetE0EEEvT1_.uses_flat_scratch, 0
	.set _ZN7rocprim17ROCPRIM_400000_NS6detail17trampoline_kernelINS0_14default_configENS1_27scan_by_key_config_selectorIxxEEZZNS1_16scan_by_key_implILNS1_25lookback_scan_determinismE0ELb1ES3_N6thrust23THRUST_200600_302600_NS6detail15normal_iteratorINS9_10device_ptrIxEEEESE_SE_xNS9_10multipliesIxEENS9_8equal_toIxEExEE10hipError_tPvRmT2_T3_T4_T5_mT6_T7_P12ihipStream_tbENKUlT_T0_E_clISt17integral_constantIbLb0EESY_IbLb1EEEEDaSU_SV_EUlSU_E_NS1_11comp_targetILNS1_3genE5ELNS1_11target_archE942ELNS1_3gpuE9ELNS1_3repE0EEENS1_30default_config_static_selectorELNS0_4arch9wavefront6targetE0EEEvT1_.has_dyn_sized_stack, 0
	.set _ZN7rocprim17ROCPRIM_400000_NS6detail17trampoline_kernelINS0_14default_configENS1_27scan_by_key_config_selectorIxxEEZZNS1_16scan_by_key_implILNS1_25lookback_scan_determinismE0ELb1ES3_N6thrust23THRUST_200600_302600_NS6detail15normal_iteratorINS9_10device_ptrIxEEEESE_SE_xNS9_10multipliesIxEENS9_8equal_toIxEExEE10hipError_tPvRmT2_T3_T4_T5_mT6_T7_P12ihipStream_tbENKUlT_T0_E_clISt17integral_constantIbLb0EESY_IbLb1EEEEDaSU_SV_EUlSU_E_NS1_11comp_targetILNS1_3genE5ELNS1_11target_archE942ELNS1_3gpuE9ELNS1_3repE0EEENS1_30default_config_static_selectorELNS0_4arch9wavefront6targetE0EEEvT1_.has_recursion, 0
	.set _ZN7rocprim17ROCPRIM_400000_NS6detail17trampoline_kernelINS0_14default_configENS1_27scan_by_key_config_selectorIxxEEZZNS1_16scan_by_key_implILNS1_25lookback_scan_determinismE0ELb1ES3_N6thrust23THRUST_200600_302600_NS6detail15normal_iteratorINS9_10device_ptrIxEEEESE_SE_xNS9_10multipliesIxEENS9_8equal_toIxEExEE10hipError_tPvRmT2_T3_T4_T5_mT6_T7_P12ihipStream_tbENKUlT_T0_E_clISt17integral_constantIbLb0EESY_IbLb1EEEEDaSU_SV_EUlSU_E_NS1_11comp_targetILNS1_3genE5ELNS1_11target_archE942ELNS1_3gpuE9ELNS1_3repE0EEENS1_30default_config_static_selectorELNS0_4arch9wavefront6targetE0EEEvT1_.has_indirect_call, 0
	.section	.AMDGPU.csdata,"",@progbits
; Kernel info:
; codeLenInByte = 0
; TotalNumSgprs: 0
; NumVgprs: 0
; ScratchSize: 0
; MemoryBound: 0
; FloatMode: 240
; IeeeMode: 1
; LDSByteSize: 0 bytes/workgroup (compile time only)
; SGPRBlocks: 0
; VGPRBlocks: 0
; NumSGPRsForWavesPerEU: 1
; NumVGPRsForWavesPerEU: 1
; NamedBarCnt: 0
; Occupancy: 16
; WaveLimiterHint : 0
; COMPUTE_PGM_RSRC2:SCRATCH_EN: 0
; COMPUTE_PGM_RSRC2:USER_SGPR: 2
; COMPUTE_PGM_RSRC2:TRAP_HANDLER: 0
; COMPUTE_PGM_RSRC2:TGID_X_EN: 1
; COMPUTE_PGM_RSRC2:TGID_Y_EN: 0
; COMPUTE_PGM_RSRC2:TGID_Z_EN: 0
; COMPUTE_PGM_RSRC2:TIDIG_COMP_CNT: 0
	.section	.text._ZN7rocprim17ROCPRIM_400000_NS6detail17trampoline_kernelINS0_14default_configENS1_27scan_by_key_config_selectorIxxEEZZNS1_16scan_by_key_implILNS1_25lookback_scan_determinismE0ELb1ES3_N6thrust23THRUST_200600_302600_NS6detail15normal_iteratorINS9_10device_ptrIxEEEESE_SE_xNS9_10multipliesIxEENS9_8equal_toIxEExEE10hipError_tPvRmT2_T3_T4_T5_mT6_T7_P12ihipStream_tbENKUlT_T0_E_clISt17integral_constantIbLb0EESY_IbLb1EEEEDaSU_SV_EUlSU_E_NS1_11comp_targetILNS1_3genE4ELNS1_11target_archE910ELNS1_3gpuE8ELNS1_3repE0EEENS1_30default_config_static_selectorELNS0_4arch9wavefront6targetE0EEEvT1_,"axG",@progbits,_ZN7rocprim17ROCPRIM_400000_NS6detail17trampoline_kernelINS0_14default_configENS1_27scan_by_key_config_selectorIxxEEZZNS1_16scan_by_key_implILNS1_25lookback_scan_determinismE0ELb1ES3_N6thrust23THRUST_200600_302600_NS6detail15normal_iteratorINS9_10device_ptrIxEEEESE_SE_xNS9_10multipliesIxEENS9_8equal_toIxEExEE10hipError_tPvRmT2_T3_T4_T5_mT6_T7_P12ihipStream_tbENKUlT_T0_E_clISt17integral_constantIbLb0EESY_IbLb1EEEEDaSU_SV_EUlSU_E_NS1_11comp_targetILNS1_3genE4ELNS1_11target_archE910ELNS1_3gpuE8ELNS1_3repE0EEENS1_30default_config_static_selectorELNS0_4arch9wavefront6targetE0EEEvT1_,comdat
	.protected	_ZN7rocprim17ROCPRIM_400000_NS6detail17trampoline_kernelINS0_14default_configENS1_27scan_by_key_config_selectorIxxEEZZNS1_16scan_by_key_implILNS1_25lookback_scan_determinismE0ELb1ES3_N6thrust23THRUST_200600_302600_NS6detail15normal_iteratorINS9_10device_ptrIxEEEESE_SE_xNS9_10multipliesIxEENS9_8equal_toIxEExEE10hipError_tPvRmT2_T3_T4_T5_mT6_T7_P12ihipStream_tbENKUlT_T0_E_clISt17integral_constantIbLb0EESY_IbLb1EEEEDaSU_SV_EUlSU_E_NS1_11comp_targetILNS1_3genE4ELNS1_11target_archE910ELNS1_3gpuE8ELNS1_3repE0EEENS1_30default_config_static_selectorELNS0_4arch9wavefront6targetE0EEEvT1_ ; -- Begin function _ZN7rocprim17ROCPRIM_400000_NS6detail17trampoline_kernelINS0_14default_configENS1_27scan_by_key_config_selectorIxxEEZZNS1_16scan_by_key_implILNS1_25lookback_scan_determinismE0ELb1ES3_N6thrust23THRUST_200600_302600_NS6detail15normal_iteratorINS9_10device_ptrIxEEEESE_SE_xNS9_10multipliesIxEENS9_8equal_toIxEExEE10hipError_tPvRmT2_T3_T4_T5_mT6_T7_P12ihipStream_tbENKUlT_T0_E_clISt17integral_constantIbLb0EESY_IbLb1EEEEDaSU_SV_EUlSU_E_NS1_11comp_targetILNS1_3genE4ELNS1_11target_archE910ELNS1_3gpuE8ELNS1_3repE0EEENS1_30default_config_static_selectorELNS0_4arch9wavefront6targetE0EEEvT1_
	.globl	_ZN7rocprim17ROCPRIM_400000_NS6detail17trampoline_kernelINS0_14default_configENS1_27scan_by_key_config_selectorIxxEEZZNS1_16scan_by_key_implILNS1_25lookback_scan_determinismE0ELb1ES3_N6thrust23THRUST_200600_302600_NS6detail15normal_iteratorINS9_10device_ptrIxEEEESE_SE_xNS9_10multipliesIxEENS9_8equal_toIxEExEE10hipError_tPvRmT2_T3_T4_T5_mT6_T7_P12ihipStream_tbENKUlT_T0_E_clISt17integral_constantIbLb0EESY_IbLb1EEEEDaSU_SV_EUlSU_E_NS1_11comp_targetILNS1_3genE4ELNS1_11target_archE910ELNS1_3gpuE8ELNS1_3repE0EEENS1_30default_config_static_selectorELNS0_4arch9wavefront6targetE0EEEvT1_
	.p2align	8
	.type	_ZN7rocprim17ROCPRIM_400000_NS6detail17trampoline_kernelINS0_14default_configENS1_27scan_by_key_config_selectorIxxEEZZNS1_16scan_by_key_implILNS1_25lookback_scan_determinismE0ELb1ES3_N6thrust23THRUST_200600_302600_NS6detail15normal_iteratorINS9_10device_ptrIxEEEESE_SE_xNS9_10multipliesIxEENS9_8equal_toIxEExEE10hipError_tPvRmT2_T3_T4_T5_mT6_T7_P12ihipStream_tbENKUlT_T0_E_clISt17integral_constantIbLb0EESY_IbLb1EEEEDaSU_SV_EUlSU_E_NS1_11comp_targetILNS1_3genE4ELNS1_11target_archE910ELNS1_3gpuE8ELNS1_3repE0EEENS1_30default_config_static_selectorELNS0_4arch9wavefront6targetE0EEEvT1_,@function
_ZN7rocprim17ROCPRIM_400000_NS6detail17trampoline_kernelINS0_14default_configENS1_27scan_by_key_config_selectorIxxEEZZNS1_16scan_by_key_implILNS1_25lookback_scan_determinismE0ELb1ES3_N6thrust23THRUST_200600_302600_NS6detail15normal_iteratorINS9_10device_ptrIxEEEESE_SE_xNS9_10multipliesIxEENS9_8equal_toIxEExEE10hipError_tPvRmT2_T3_T4_T5_mT6_T7_P12ihipStream_tbENKUlT_T0_E_clISt17integral_constantIbLb0EESY_IbLb1EEEEDaSU_SV_EUlSU_E_NS1_11comp_targetILNS1_3genE4ELNS1_11target_archE910ELNS1_3gpuE8ELNS1_3repE0EEENS1_30default_config_static_selectorELNS0_4arch9wavefront6targetE0EEEvT1_: ; @_ZN7rocprim17ROCPRIM_400000_NS6detail17trampoline_kernelINS0_14default_configENS1_27scan_by_key_config_selectorIxxEEZZNS1_16scan_by_key_implILNS1_25lookback_scan_determinismE0ELb1ES3_N6thrust23THRUST_200600_302600_NS6detail15normal_iteratorINS9_10device_ptrIxEEEESE_SE_xNS9_10multipliesIxEENS9_8equal_toIxEExEE10hipError_tPvRmT2_T3_T4_T5_mT6_T7_P12ihipStream_tbENKUlT_T0_E_clISt17integral_constantIbLb0EESY_IbLb1EEEEDaSU_SV_EUlSU_E_NS1_11comp_targetILNS1_3genE4ELNS1_11target_archE910ELNS1_3gpuE8ELNS1_3repE0EEENS1_30default_config_static_selectorELNS0_4arch9wavefront6targetE0EEEvT1_
; %bb.0:
	.section	.rodata,"a",@progbits
	.p2align	6, 0x0
	.amdhsa_kernel _ZN7rocprim17ROCPRIM_400000_NS6detail17trampoline_kernelINS0_14default_configENS1_27scan_by_key_config_selectorIxxEEZZNS1_16scan_by_key_implILNS1_25lookback_scan_determinismE0ELb1ES3_N6thrust23THRUST_200600_302600_NS6detail15normal_iteratorINS9_10device_ptrIxEEEESE_SE_xNS9_10multipliesIxEENS9_8equal_toIxEExEE10hipError_tPvRmT2_T3_T4_T5_mT6_T7_P12ihipStream_tbENKUlT_T0_E_clISt17integral_constantIbLb0EESY_IbLb1EEEEDaSU_SV_EUlSU_E_NS1_11comp_targetILNS1_3genE4ELNS1_11target_archE910ELNS1_3gpuE8ELNS1_3repE0EEENS1_30default_config_static_selectorELNS0_4arch9wavefront6targetE0EEEvT1_
		.amdhsa_group_segment_fixed_size 0
		.amdhsa_private_segment_fixed_size 0
		.amdhsa_kernarg_size 136
		.amdhsa_user_sgpr_count 2
		.amdhsa_user_sgpr_dispatch_ptr 0
		.amdhsa_user_sgpr_queue_ptr 0
		.amdhsa_user_sgpr_kernarg_segment_ptr 1
		.amdhsa_user_sgpr_dispatch_id 0
		.amdhsa_user_sgpr_kernarg_preload_length 0
		.amdhsa_user_sgpr_kernarg_preload_offset 0
		.amdhsa_user_sgpr_private_segment_size 0
		.amdhsa_wavefront_size32 1
		.amdhsa_uses_dynamic_stack 0
		.amdhsa_enable_private_segment 0
		.amdhsa_system_sgpr_workgroup_id_x 1
		.amdhsa_system_sgpr_workgroup_id_y 0
		.amdhsa_system_sgpr_workgroup_id_z 0
		.amdhsa_system_sgpr_workgroup_info 0
		.amdhsa_system_vgpr_workitem_id 0
		.amdhsa_next_free_vgpr 1
		.amdhsa_next_free_sgpr 1
		.amdhsa_named_barrier_count 0
		.amdhsa_reserve_vcc 0
		.amdhsa_float_round_mode_32 0
		.amdhsa_float_round_mode_16_64 0
		.amdhsa_float_denorm_mode_32 3
		.amdhsa_float_denorm_mode_16_64 3
		.amdhsa_fp16_overflow 0
		.amdhsa_memory_ordered 1
		.amdhsa_forward_progress 1
		.amdhsa_inst_pref_size 0
		.amdhsa_round_robin_scheduling 0
		.amdhsa_exception_fp_ieee_invalid_op 0
		.amdhsa_exception_fp_denorm_src 0
		.amdhsa_exception_fp_ieee_div_zero 0
		.amdhsa_exception_fp_ieee_overflow 0
		.amdhsa_exception_fp_ieee_underflow 0
		.amdhsa_exception_fp_ieee_inexact 0
		.amdhsa_exception_int_div_zero 0
	.end_amdhsa_kernel
	.section	.text._ZN7rocprim17ROCPRIM_400000_NS6detail17trampoline_kernelINS0_14default_configENS1_27scan_by_key_config_selectorIxxEEZZNS1_16scan_by_key_implILNS1_25lookback_scan_determinismE0ELb1ES3_N6thrust23THRUST_200600_302600_NS6detail15normal_iteratorINS9_10device_ptrIxEEEESE_SE_xNS9_10multipliesIxEENS9_8equal_toIxEExEE10hipError_tPvRmT2_T3_T4_T5_mT6_T7_P12ihipStream_tbENKUlT_T0_E_clISt17integral_constantIbLb0EESY_IbLb1EEEEDaSU_SV_EUlSU_E_NS1_11comp_targetILNS1_3genE4ELNS1_11target_archE910ELNS1_3gpuE8ELNS1_3repE0EEENS1_30default_config_static_selectorELNS0_4arch9wavefront6targetE0EEEvT1_,"axG",@progbits,_ZN7rocprim17ROCPRIM_400000_NS6detail17trampoline_kernelINS0_14default_configENS1_27scan_by_key_config_selectorIxxEEZZNS1_16scan_by_key_implILNS1_25lookback_scan_determinismE0ELb1ES3_N6thrust23THRUST_200600_302600_NS6detail15normal_iteratorINS9_10device_ptrIxEEEESE_SE_xNS9_10multipliesIxEENS9_8equal_toIxEExEE10hipError_tPvRmT2_T3_T4_T5_mT6_T7_P12ihipStream_tbENKUlT_T0_E_clISt17integral_constantIbLb0EESY_IbLb1EEEEDaSU_SV_EUlSU_E_NS1_11comp_targetILNS1_3genE4ELNS1_11target_archE910ELNS1_3gpuE8ELNS1_3repE0EEENS1_30default_config_static_selectorELNS0_4arch9wavefront6targetE0EEEvT1_,comdat
.Lfunc_end419:
	.size	_ZN7rocprim17ROCPRIM_400000_NS6detail17trampoline_kernelINS0_14default_configENS1_27scan_by_key_config_selectorIxxEEZZNS1_16scan_by_key_implILNS1_25lookback_scan_determinismE0ELb1ES3_N6thrust23THRUST_200600_302600_NS6detail15normal_iteratorINS9_10device_ptrIxEEEESE_SE_xNS9_10multipliesIxEENS9_8equal_toIxEExEE10hipError_tPvRmT2_T3_T4_T5_mT6_T7_P12ihipStream_tbENKUlT_T0_E_clISt17integral_constantIbLb0EESY_IbLb1EEEEDaSU_SV_EUlSU_E_NS1_11comp_targetILNS1_3genE4ELNS1_11target_archE910ELNS1_3gpuE8ELNS1_3repE0EEENS1_30default_config_static_selectorELNS0_4arch9wavefront6targetE0EEEvT1_, .Lfunc_end419-_ZN7rocprim17ROCPRIM_400000_NS6detail17trampoline_kernelINS0_14default_configENS1_27scan_by_key_config_selectorIxxEEZZNS1_16scan_by_key_implILNS1_25lookback_scan_determinismE0ELb1ES3_N6thrust23THRUST_200600_302600_NS6detail15normal_iteratorINS9_10device_ptrIxEEEESE_SE_xNS9_10multipliesIxEENS9_8equal_toIxEExEE10hipError_tPvRmT2_T3_T4_T5_mT6_T7_P12ihipStream_tbENKUlT_T0_E_clISt17integral_constantIbLb0EESY_IbLb1EEEEDaSU_SV_EUlSU_E_NS1_11comp_targetILNS1_3genE4ELNS1_11target_archE910ELNS1_3gpuE8ELNS1_3repE0EEENS1_30default_config_static_selectorELNS0_4arch9wavefront6targetE0EEEvT1_
                                        ; -- End function
	.set _ZN7rocprim17ROCPRIM_400000_NS6detail17trampoline_kernelINS0_14default_configENS1_27scan_by_key_config_selectorIxxEEZZNS1_16scan_by_key_implILNS1_25lookback_scan_determinismE0ELb1ES3_N6thrust23THRUST_200600_302600_NS6detail15normal_iteratorINS9_10device_ptrIxEEEESE_SE_xNS9_10multipliesIxEENS9_8equal_toIxEExEE10hipError_tPvRmT2_T3_T4_T5_mT6_T7_P12ihipStream_tbENKUlT_T0_E_clISt17integral_constantIbLb0EESY_IbLb1EEEEDaSU_SV_EUlSU_E_NS1_11comp_targetILNS1_3genE4ELNS1_11target_archE910ELNS1_3gpuE8ELNS1_3repE0EEENS1_30default_config_static_selectorELNS0_4arch9wavefront6targetE0EEEvT1_.num_vgpr, 0
	.set _ZN7rocprim17ROCPRIM_400000_NS6detail17trampoline_kernelINS0_14default_configENS1_27scan_by_key_config_selectorIxxEEZZNS1_16scan_by_key_implILNS1_25lookback_scan_determinismE0ELb1ES3_N6thrust23THRUST_200600_302600_NS6detail15normal_iteratorINS9_10device_ptrIxEEEESE_SE_xNS9_10multipliesIxEENS9_8equal_toIxEExEE10hipError_tPvRmT2_T3_T4_T5_mT6_T7_P12ihipStream_tbENKUlT_T0_E_clISt17integral_constantIbLb0EESY_IbLb1EEEEDaSU_SV_EUlSU_E_NS1_11comp_targetILNS1_3genE4ELNS1_11target_archE910ELNS1_3gpuE8ELNS1_3repE0EEENS1_30default_config_static_selectorELNS0_4arch9wavefront6targetE0EEEvT1_.num_agpr, 0
	.set _ZN7rocprim17ROCPRIM_400000_NS6detail17trampoline_kernelINS0_14default_configENS1_27scan_by_key_config_selectorIxxEEZZNS1_16scan_by_key_implILNS1_25lookback_scan_determinismE0ELb1ES3_N6thrust23THRUST_200600_302600_NS6detail15normal_iteratorINS9_10device_ptrIxEEEESE_SE_xNS9_10multipliesIxEENS9_8equal_toIxEExEE10hipError_tPvRmT2_T3_T4_T5_mT6_T7_P12ihipStream_tbENKUlT_T0_E_clISt17integral_constantIbLb0EESY_IbLb1EEEEDaSU_SV_EUlSU_E_NS1_11comp_targetILNS1_3genE4ELNS1_11target_archE910ELNS1_3gpuE8ELNS1_3repE0EEENS1_30default_config_static_selectorELNS0_4arch9wavefront6targetE0EEEvT1_.numbered_sgpr, 0
	.set _ZN7rocprim17ROCPRIM_400000_NS6detail17trampoline_kernelINS0_14default_configENS1_27scan_by_key_config_selectorIxxEEZZNS1_16scan_by_key_implILNS1_25lookback_scan_determinismE0ELb1ES3_N6thrust23THRUST_200600_302600_NS6detail15normal_iteratorINS9_10device_ptrIxEEEESE_SE_xNS9_10multipliesIxEENS9_8equal_toIxEExEE10hipError_tPvRmT2_T3_T4_T5_mT6_T7_P12ihipStream_tbENKUlT_T0_E_clISt17integral_constantIbLb0EESY_IbLb1EEEEDaSU_SV_EUlSU_E_NS1_11comp_targetILNS1_3genE4ELNS1_11target_archE910ELNS1_3gpuE8ELNS1_3repE0EEENS1_30default_config_static_selectorELNS0_4arch9wavefront6targetE0EEEvT1_.num_named_barrier, 0
	.set _ZN7rocprim17ROCPRIM_400000_NS6detail17trampoline_kernelINS0_14default_configENS1_27scan_by_key_config_selectorIxxEEZZNS1_16scan_by_key_implILNS1_25lookback_scan_determinismE0ELb1ES3_N6thrust23THRUST_200600_302600_NS6detail15normal_iteratorINS9_10device_ptrIxEEEESE_SE_xNS9_10multipliesIxEENS9_8equal_toIxEExEE10hipError_tPvRmT2_T3_T4_T5_mT6_T7_P12ihipStream_tbENKUlT_T0_E_clISt17integral_constantIbLb0EESY_IbLb1EEEEDaSU_SV_EUlSU_E_NS1_11comp_targetILNS1_3genE4ELNS1_11target_archE910ELNS1_3gpuE8ELNS1_3repE0EEENS1_30default_config_static_selectorELNS0_4arch9wavefront6targetE0EEEvT1_.private_seg_size, 0
	.set _ZN7rocprim17ROCPRIM_400000_NS6detail17trampoline_kernelINS0_14default_configENS1_27scan_by_key_config_selectorIxxEEZZNS1_16scan_by_key_implILNS1_25lookback_scan_determinismE0ELb1ES3_N6thrust23THRUST_200600_302600_NS6detail15normal_iteratorINS9_10device_ptrIxEEEESE_SE_xNS9_10multipliesIxEENS9_8equal_toIxEExEE10hipError_tPvRmT2_T3_T4_T5_mT6_T7_P12ihipStream_tbENKUlT_T0_E_clISt17integral_constantIbLb0EESY_IbLb1EEEEDaSU_SV_EUlSU_E_NS1_11comp_targetILNS1_3genE4ELNS1_11target_archE910ELNS1_3gpuE8ELNS1_3repE0EEENS1_30default_config_static_selectorELNS0_4arch9wavefront6targetE0EEEvT1_.uses_vcc, 0
	.set _ZN7rocprim17ROCPRIM_400000_NS6detail17trampoline_kernelINS0_14default_configENS1_27scan_by_key_config_selectorIxxEEZZNS1_16scan_by_key_implILNS1_25lookback_scan_determinismE0ELb1ES3_N6thrust23THRUST_200600_302600_NS6detail15normal_iteratorINS9_10device_ptrIxEEEESE_SE_xNS9_10multipliesIxEENS9_8equal_toIxEExEE10hipError_tPvRmT2_T3_T4_T5_mT6_T7_P12ihipStream_tbENKUlT_T0_E_clISt17integral_constantIbLb0EESY_IbLb1EEEEDaSU_SV_EUlSU_E_NS1_11comp_targetILNS1_3genE4ELNS1_11target_archE910ELNS1_3gpuE8ELNS1_3repE0EEENS1_30default_config_static_selectorELNS0_4arch9wavefront6targetE0EEEvT1_.uses_flat_scratch, 0
	.set _ZN7rocprim17ROCPRIM_400000_NS6detail17trampoline_kernelINS0_14default_configENS1_27scan_by_key_config_selectorIxxEEZZNS1_16scan_by_key_implILNS1_25lookback_scan_determinismE0ELb1ES3_N6thrust23THRUST_200600_302600_NS6detail15normal_iteratorINS9_10device_ptrIxEEEESE_SE_xNS9_10multipliesIxEENS9_8equal_toIxEExEE10hipError_tPvRmT2_T3_T4_T5_mT6_T7_P12ihipStream_tbENKUlT_T0_E_clISt17integral_constantIbLb0EESY_IbLb1EEEEDaSU_SV_EUlSU_E_NS1_11comp_targetILNS1_3genE4ELNS1_11target_archE910ELNS1_3gpuE8ELNS1_3repE0EEENS1_30default_config_static_selectorELNS0_4arch9wavefront6targetE0EEEvT1_.has_dyn_sized_stack, 0
	.set _ZN7rocprim17ROCPRIM_400000_NS6detail17trampoline_kernelINS0_14default_configENS1_27scan_by_key_config_selectorIxxEEZZNS1_16scan_by_key_implILNS1_25lookback_scan_determinismE0ELb1ES3_N6thrust23THRUST_200600_302600_NS6detail15normal_iteratorINS9_10device_ptrIxEEEESE_SE_xNS9_10multipliesIxEENS9_8equal_toIxEExEE10hipError_tPvRmT2_T3_T4_T5_mT6_T7_P12ihipStream_tbENKUlT_T0_E_clISt17integral_constantIbLb0EESY_IbLb1EEEEDaSU_SV_EUlSU_E_NS1_11comp_targetILNS1_3genE4ELNS1_11target_archE910ELNS1_3gpuE8ELNS1_3repE0EEENS1_30default_config_static_selectorELNS0_4arch9wavefront6targetE0EEEvT1_.has_recursion, 0
	.set _ZN7rocprim17ROCPRIM_400000_NS6detail17trampoline_kernelINS0_14default_configENS1_27scan_by_key_config_selectorIxxEEZZNS1_16scan_by_key_implILNS1_25lookback_scan_determinismE0ELb1ES3_N6thrust23THRUST_200600_302600_NS6detail15normal_iteratorINS9_10device_ptrIxEEEESE_SE_xNS9_10multipliesIxEENS9_8equal_toIxEExEE10hipError_tPvRmT2_T3_T4_T5_mT6_T7_P12ihipStream_tbENKUlT_T0_E_clISt17integral_constantIbLb0EESY_IbLb1EEEEDaSU_SV_EUlSU_E_NS1_11comp_targetILNS1_3genE4ELNS1_11target_archE910ELNS1_3gpuE8ELNS1_3repE0EEENS1_30default_config_static_selectorELNS0_4arch9wavefront6targetE0EEEvT1_.has_indirect_call, 0
	.section	.AMDGPU.csdata,"",@progbits
; Kernel info:
; codeLenInByte = 0
; TotalNumSgprs: 0
; NumVgprs: 0
; ScratchSize: 0
; MemoryBound: 0
; FloatMode: 240
; IeeeMode: 1
; LDSByteSize: 0 bytes/workgroup (compile time only)
; SGPRBlocks: 0
; VGPRBlocks: 0
; NumSGPRsForWavesPerEU: 1
; NumVGPRsForWavesPerEU: 1
; NamedBarCnt: 0
; Occupancy: 16
; WaveLimiterHint : 0
; COMPUTE_PGM_RSRC2:SCRATCH_EN: 0
; COMPUTE_PGM_RSRC2:USER_SGPR: 2
; COMPUTE_PGM_RSRC2:TRAP_HANDLER: 0
; COMPUTE_PGM_RSRC2:TGID_X_EN: 1
; COMPUTE_PGM_RSRC2:TGID_Y_EN: 0
; COMPUTE_PGM_RSRC2:TGID_Z_EN: 0
; COMPUTE_PGM_RSRC2:TIDIG_COMP_CNT: 0
	.section	.text._ZN7rocprim17ROCPRIM_400000_NS6detail17trampoline_kernelINS0_14default_configENS1_27scan_by_key_config_selectorIxxEEZZNS1_16scan_by_key_implILNS1_25lookback_scan_determinismE0ELb1ES3_N6thrust23THRUST_200600_302600_NS6detail15normal_iteratorINS9_10device_ptrIxEEEESE_SE_xNS9_10multipliesIxEENS9_8equal_toIxEExEE10hipError_tPvRmT2_T3_T4_T5_mT6_T7_P12ihipStream_tbENKUlT_T0_E_clISt17integral_constantIbLb0EESY_IbLb1EEEEDaSU_SV_EUlSU_E_NS1_11comp_targetILNS1_3genE3ELNS1_11target_archE908ELNS1_3gpuE7ELNS1_3repE0EEENS1_30default_config_static_selectorELNS0_4arch9wavefront6targetE0EEEvT1_,"axG",@progbits,_ZN7rocprim17ROCPRIM_400000_NS6detail17trampoline_kernelINS0_14default_configENS1_27scan_by_key_config_selectorIxxEEZZNS1_16scan_by_key_implILNS1_25lookback_scan_determinismE0ELb1ES3_N6thrust23THRUST_200600_302600_NS6detail15normal_iteratorINS9_10device_ptrIxEEEESE_SE_xNS9_10multipliesIxEENS9_8equal_toIxEExEE10hipError_tPvRmT2_T3_T4_T5_mT6_T7_P12ihipStream_tbENKUlT_T0_E_clISt17integral_constantIbLb0EESY_IbLb1EEEEDaSU_SV_EUlSU_E_NS1_11comp_targetILNS1_3genE3ELNS1_11target_archE908ELNS1_3gpuE7ELNS1_3repE0EEENS1_30default_config_static_selectorELNS0_4arch9wavefront6targetE0EEEvT1_,comdat
	.protected	_ZN7rocprim17ROCPRIM_400000_NS6detail17trampoline_kernelINS0_14default_configENS1_27scan_by_key_config_selectorIxxEEZZNS1_16scan_by_key_implILNS1_25lookback_scan_determinismE0ELb1ES3_N6thrust23THRUST_200600_302600_NS6detail15normal_iteratorINS9_10device_ptrIxEEEESE_SE_xNS9_10multipliesIxEENS9_8equal_toIxEExEE10hipError_tPvRmT2_T3_T4_T5_mT6_T7_P12ihipStream_tbENKUlT_T0_E_clISt17integral_constantIbLb0EESY_IbLb1EEEEDaSU_SV_EUlSU_E_NS1_11comp_targetILNS1_3genE3ELNS1_11target_archE908ELNS1_3gpuE7ELNS1_3repE0EEENS1_30default_config_static_selectorELNS0_4arch9wavefront6targetE0EEEvT1_ ; -- Begin function _ZN7rocprim17ROCPRIM_400000_NS6detail17trampoline_kernelINS0_14default_configENS1_27scan_by_key_config_selectorIxxEEZZNS1_16scan_by_key_implILNS1_25lookback_scan_determinismE0ELb1ES3_N6thrust23THRUST_200600_302600_NS6detail15normal_iteratorINS9_10device_ptrIxEEEESE_SE_xNS9_10multipliesIxEENS9_8equal_toIxEExEE10hipError_tPvRmT2_T3_T4_T5_mT6_T7_P12ihipStream_tbENKUlT_T0_E_clISt17integral_constantIbLb0EESY_IbLb1EEEEDaSU_SV_EUlSU_E_NS1_11comp_targetILNS1_3genE3ELNS1_11target_archE908ELNS1_3gpuE7ELNS1_3repE0EEENS1_30default_config_static_selectorELNS0_4arch9wavefront6targetE0EEEvT1_
	.globl	_ZN7rocprim17ROCPRIM_400000_NS6detail17trampoline_kernelINS0_14default_configENS1_27scan_by_key_config_selectorIxxEEZZNS1_16scan_by_key_implILNS1_25lookback_scan_determinismE0ELb1ES3_N6thrust23THRUST_200600_302600_NS6detail15normal_iteratorINS9_10device_ptrIxEEEESE_SE_xNS9_10multipliesIxEENS9_8equal_toIxEExEE10hipError_tPvRmT2_T3_T4_T5_mT6_T7_P12ihipStream_tbENKUlT_T0_E_clISt17integral_constantIbLb0EESY_IbLb1EEEEDaSU_SV_EUlSU_E_NS1_11comp_targetILNS1_3genE3ELNS1_11target_archE908ELNS1_3gpuE7ELNS1_3repE0EEENS1_30default_config_static_selectorELNS0_4arch9wavefront6targetE0EEEvT1_
	.p2align	8
	.type	_ZN7rocprim17ROCPRIM_400000_NS6detail17trampoline_kernelINS0_14default_configENS1_27scan_by_key_config_selectorIxxEEZZNS1_16scan_by_key_implILNS1_25lookback_scan_determinismE0ELb1ES3_N6thrust23THRUST_200600_302600_NS6detail15normal_iteratorINS9_10device_ptrIxEEEESE_SE_xNS9_10multipliesIxEENS9_8equal_toIxEExEE10hipError_tPvRmT2_T3_T4_T5_mT6_T7_P12ihipStream_tbENKUlT_T0_E_clISt17integral_constantIbLb0EESY_IbLb1EEEEDaSU_SV_EUlSU_E_NS1_11comp_targetILNS1_3genE3ELNS1_11target_archE908ELNS1_3gpuE7ELNS1_3repE0EEENS1_30default_config_static_selectorELNS0_4arch9wavefront6targetE0EEEvT1_,@function
_ZN7rocprim17ROCPRIM_400000_NS6detail17trampoline_kernelINS0_14default_configENS1_27scan_by_key_config_selectorIxxEEZZNS1_16scan_by_key_implILNS1_25lookback_scan_determinismE0ELb1ES3_N6thrust23THRUST_200600_302600_NS6detail15normal_iteratorINS9_10device_ptrIxEEEESE_SE_xNS9_10multipliesIxEENS9_8equal_toIxEExEE10hipError_tPvRmT2_T3_T4_T5_mT6_T7_P12ihipStream_tbENKUlT_T0_E_clISt17integral_constantIbLb0EESY_IbLb1EEEEDaSU_SV_EUlSU_E_NS1_11comp_targetILNS1_3genE3ELNS1_11target_archE908ELNS1_3gpuE7ELNS1_3repE0EEENS1_30default_config_static_selectorELNS0_4arch9wavefront6targetE0EEEvT1_: ; @_ZN7rocprim17ROCPRIM_400000_NS6detail17trampoline_kernelINS0_14default_configENS1_27scan_by_key_config_selectorIxxEEZZNS1_16scan_by_key_implILNS1_25lookback_scan_determinismE0ELb1ES3_N6thrust23THRUST_200600_302600_NS6detail15normal_iteratorINS9_10device_ptrIxEEEESE_SE_xNS9_10multipliesIxEENS9_8equal_toIxEExEE10hipError_tPvRmT2_T3_T4_T5_mT6_T7_P12ihipStream_tbENKUlT_T0_E_clISt17integral_constantIbLb0EESY_IbLb1EEEEDaSU_SV_EUlSU_E_NS1_11comp_targetILNS1_3genE3ELNS1_11target_archE908ELNS1_3gpuE7ELNS1_3repE0EEENS1_30default_config_static_selectorELNS0_4arch9wavefront6targetE0EEEvT1_
; %bb.0:
	.section	.rodata,"a",@progbits
	.p2align	6, 0x0
	.amdhsa_kernel _ZN7rocprim17ROCPRIM_400000_NS6detail17trampoline_kernelINS0_14default_configENS1_27scan_by_key_config_selectorIxxEEZZNS1_16scan_by_key_implILNS1_25lookback_scan_determinismE0ELb1ES3_N6thrust23THRUST_200600_302600_NS6detail15normal_iteratorINS9_10device_ptrIxEEEESE_SE_xNS9_10multipliesIxEENS9_8equal_toIxEExEE10hipError_tPvRmT2_T3_T4_T5_mT6_T7_P12ihipStream_tbENKUlT_T0_E_clISt17integral_constantIbLb0EESY_IbLb1EEEEDaSU_SV_EUlSU_E_NS1_11comp_targetILNS1_3genE3ELNS1_11target_archE908ELNS1_3gpuE7ELNS1_3repE0EEENS1_30default_config_static_selectorELNS0_4arch9wavefront6targetE0EEEvT1_
		.amdhsa_group_segment_fixed_size 0
		.amdhsa_private_segment_fixed_size 0
		.amdhsa_kernarg_size 136
		.amdhsa_user_sgpr_count 2
		.amdhsa_user_sgpr_dispatch_ptr 0
		.amdhsa_user_sgpr_queue_ptr 0
		.amdhsa_user_sgpr_kernarg_segment_ptr 1
		.amdhsa_user_sgpr_dispatch_id 0
		.amdhsa_user_sgpr_kernarg_preload_length 0
		.amdhsa_user_sgpr_kernarg_preload_offset 0
		.amdhsa_user_sgpr_private_segment_size 0
		.amdhsa_wavefront_size32 1
		.amdhsa_uses_dynamic_stack 0
		.amdhsa_enable_private_segment 0
		.amdhsa_system_sgpr_workgroup_id_x 1
		.amdhsa_system_sgpr_workgroup_id_y 0
		.amdhsa_system_sgpr_workgroup_id_z 0
		.amdhsa_system_sgpr_workgroup_info 0
		.amdhsa_system_vgpr_workitem_id 0
		.amdhsa_next_free_vgpr 1
		.amdhsa_next_free_sgpr 1
		.amdhsa_named_barrier_count 0
		.amdhsa_reserve_vcc 0
		.amdhsa_float_round_mode_32 0
		.amdhsa_float_round_mode_16_64 0
		.amdhsa_float_denorm_mode_32 3
		.amdhsa_float_denorm_mode_16_64 3
		.amdhsa_fp16_overflow 0
		.amdhsa_memory_ordered 1
		.amdhsa_forward_progress 1
		.amdhsa_inst_pref_size 0
		.amdhsa_round_robin_scheduling 0
		.amdhsa_exception_fp_ieee_invalid_op 0
		.amdhsa_exception_fp_denorm_src 0
		.amdhsa_exception_fp_ieee_div_zero 0
		.amdhsa_exception_fp_ieee_overflow 0
		.amdhsa_exception_fp_ieee_underflow 0
		.amdhsa_exception_fp_ieee_inexact 0
		.amdhsa_exception_int_div_zero 0
	.end_amdhsa_kernel
	.section	.text._ZN7rocprim17ROCPRIM_400000_NS6detail17trampoline_kernelINS0_14default_configENS1_27scan_by_key_config_selectorIxxEEZZNS1_16scan_by_key_implILNS1_25lookback_scan_determinismE0ELb1ES3_N6thrust23THRUST_200600_302600_NS6detail15normal_iteratorINS9_10device_ptrIxEEEESE_SE_xNS9_10multipliesIxEENS9_8equal_toIxEExEE10hipError_tPvRmT2_T3_T4_T5_mT6_T7_P12ihipStream_tbENKUlT_T0_E_clISt17integral_constantIbLb0EESY_IbLb1EEEEDaSU_SV_EUlSU_E_NS1_11comp_targetILNS1_3genE3ELNS1_11target_archE908ELNS1_3gpuE7ELNS1_3repE0EEENS1_30default_config_static_selectorELNS0_4arch9wavefront6targetE0EEEvT1_,"axG",@progbits,_ZN7rocprim17ROCPRIM_400000_NS6detail17trampoline_kernelINS0_14default_configENS1_27scan_by_key_config_selectorIxxEEZZNS1_16scan_by_key_implILNS1_25lookback_scan_determinismE0ELb1ES3_N6thrust23THRUST_200600_302600_NS6detail15normal_iteratorINS9_10device_ptrIxEEEESE_SE_xNS9_10multipliesIxEENS9_8equal_toIxEExEE10hipError_tPvRmT2_T3_T4_T5_mT6_T7_P12ihipStream_tbENKUlT_T0_E_clISt17integral_constantIbLb0EESY_IbLb1EEEEDaSU_SV_EUlSU_E_NS1_11comp_targetILNS1_3genE3ELNS1_11target_archE908ELNS1_3gpuE7ELNS1_3repE0EEENS1_30default_config_static_selectorELNS0_4arch9wavefront6targetE0EEEvT1_,comdat
.Lfunc_end420:
	.size	_ZN7rocprim17ROCPRIM_400000_NS6detail17trampoline_kernelINS0_14default_configENS1_27scan_by_key_config_selectorIxxEEZZNS1_16scan_by_key_implILNS1_25lookback_scan_determinismE0ELb1ES3_N6thrust23THRUST_200600_302600_NS6detail15normal_iteratorINS9_10device_ptrIxEEEESE_SE_xNS9_10multipliesIxEENS9_8equal_toIxEExEE10hipError_tPvRmT2_T3_T4_T5_mT6_T7_P12ihipStream_tbENKUlT_T0_E_clISt17integral_constantIbLb0EESY_IbLb1EEEEDaSU_SV_EUlSU_E_NS1_11comp_targetILNS1_3genE3ELNS1_11target_archE908ELNS1_3gpuE7ELNS1_3repE0EEENS1_30default_config_static_selectorELNS0_4arch9wavefront6targetE0EEEvT1_, .Lfunc_end420-_ZN7rocprim17ROCPRIM_400000_NS6detail17trampoline_kernelINS0_14default_configENS1_27scan_by_key_config_selectorIxxEEZZNS1_16scan_by_key_implILNS1_25lookback_scan_determinismE0ELb1ES3_N6thrust23THRUST_200600_302600_NS6detail15normal_iteratorINS9_10device_ptrIxEEEESE_SE_xNS9_10multipliesIxEENS9_8equal_toIxEExEE10hipError_tPvRmT2_T3_T4_T5_mT6_T7_P12ihipStream_tbENKUlT_T0_E_clISt17integral_constantIbLb0EESY_IbLb1EEEEDaSU_SV_EUlSU_E_NS1_11comp_targetILNS1_3genE3ELNS1_11target_archE908ELNS1_3gpuE7ELNS1_3repE0EEENS1_30default_config_static_selectorELNS0_4arch9wavefront6targetE0EEEvT1_
                                        ; -- End function
	.set _ZN7rocprim17ROCPRIM_400000_NS6detail17trampoline_kernelINS0_14default_configENS1_27scan_by_key_config_selectorIxxEEZZNS1_16scan_by_key_implILNS1_25lookback_scan_determinismE0ELb1ES3_N6thrust23THRUST_200600_302600_NS6detail15normal_iteratorINS9_10device_ptrIxEEEESE_SE_xNS9_10multipliesIxEENS9_8equal_toIxEExEE10hipError_tPvRmT2_T3_T4_T5_mT6_T7_P12ihipStream_tbENKUlT_T0_E_clISt17integral_constantIbLb0EESY_IbLb1EEEEDaSU_SV_EUlSU_E_NS1_11comp_targetILNS1_3genE3ELNS1_11target_archE908ELNS1_3gpuE7ELNS1_3repE0EEENS1_30default_config_static_selectorELNS0_4arch9wavefront6targetE0EEEvT1_.num_vgpr, 0
	.set _ZN7rocprim17ROCPRIM_400000_NS6detail17trampoline_kernelINS0_14default_configENS1_27scan_by_key_config_selectorIxxEEZZNS1_16scan_by_key_implILNS1_25lookback_scan_determinismE0ELb1ES3_N6thrust23THRUST_200600_302600_NS6detail15normal_iteratorINS9_10device_ptrIxEEEESE_SE_xNS9_10multipliesIxEENS9_8equal_toIxEExEE10hipError_tPvRmT2_T3_T4_T5_mT6_T7_P12ihipStream_tbENKUlT_T0_E_clISt17integral_constantIbLb0EESY_IbLb1EEEEDaSU_SV_EUlSU_E_NS1_11comp_targetILNS1_3genE3ELNS1_11target_archE908ELNS1_3gpuE7ELNS1_3repE0EEENS1_30default_config_static_selectorELNS0_4arch9wavefront6targetE0EEEvT1_.num_agpr, 0
	.set _ZN7rocprim17ROCPRIM_400000_NS6detail17trampoline_kernelINS0_14default_configENS1_27scan_by_key_config_selectorIxxEEZZNS1_16scan_by_key_implILNS1_25lookback_scan_determinismE0ELb1ES3_N6thrust23THRUST_200600_302600_NS6detail15normal_iteratorINS9_10device_ptrIxEEEESE_SE_xNS9_10multipliesIxEENS9_8equal_toIxEExEE10hipError_tPvRmT2_T3_T4_T5_mT6_T7_P12ihipStream_tbENKUlT_T0_E_clISt17integral_constantIbLb0EESY_IbLb1EEEEDaSU_SV_EUlSU_E_NS1_11comp_targetILNS1_3genE3ELNS1_11target_archE908ELNS1_3gpuE7ELNS1_3repE0EEENS1_30default_config_static_selectorELNS0_4arch9wavefront6targetE0EEEvT1_.numbered_sgpr, 0
	.set _ZN7rocprim17ROCPRIM_400000_NS6detail17trampoline_kernelINS0_14default_configENS1_27scan_by_key_config_selectorIxxEEZZNS1_16scan_by_key_implILNS1_25lookback_scan_determinismE0ELb1ES3_N6thrust23THRUST_200600_302600_NS6detail15normal_iteratorINS9_10device_ptrIxEEEESE_SE_xNS9_10multipliesIxEENS9_8equal_toIxEExEE10hipError_tPvRmT2_T3_T4_T5_mT6_T7_P12ihipStream_tbENKUlT_T0_E_clISt17integral_constantIbLb0EESY_IbLb1EEEEDaSU_SV_EUlSU_E_NS1_11comp_targetILNS1_3genE3ELNS1_11target_archE908ELNS1_3gpuE7ELNS1_3repE0EEENS1_30default_config_static_selectorELNS0_4arch9wavefront6targetE0EEEvT1_.num_named_barrier, 0
	.set _ZN7rocprim17ROCPRIM_400000_NS6detail17trampoline_kernelINS0_14default_configENS1_27scan_by_key_config_selectorIxxEEZZNS1_16scan_by_key_implILNS1_25lookback_scan_determinismE0ELb1ES3_N6thrust23THRUST_200600_302600_NS6detail15normal_iteratorINS9_10device_ptrIxEEEESE_SE_xNS9_10multipliesIxEENS9_8equal_toIxEExEE10hipError_tPvRmT2_T3_T4_T5_mT6_T7_P12ihipStream_tbENKUlT_T0_E_clISt17integral_constantIbLb0EESY_IbLb1EEEEDaSU_SV_EUlSU_E_NS1_11comp_targetILNS1_3genE3ELNS1_11target_archE908ELNS1_3gpuE7ELNS1_3repE0EEENS1_30default_config_static_selectorELNS0_4arch9wavefront6targetE0EEEvT1_.private_seg_size, 0
	.set _ZN7rocprim17ROCPRIM_400000_NS6detail17trampoline_kernelINS0_14default_configENS1_27scan_by_key_config_selectorIxxEEZZNS1_16scan_by_key_implILNS1_25lookback_scan_determinismE0ELb1ES3_N6thrust23THRUST_200600_302600_NS6detail15normal_iteratorINS9_10device_ptrIxEEEESE_SE_xNS9_10multipliesIxEENS9_8equal_toIxEExEE10hipError_tPvRmT2_T3_T4_T5_mT6_T7_P12ihipStream_tbENKUlT_T0_E_clISt17integral_constantIbLb0EESY_IbLb1EEEEDaSU_SV_EUlSU_E_NS1_11comp_targetILNS1_3genE3ELNS1_11target_archE908ELNS1_3gpuE7ELNS1_3repE0EEENS1_30default_config_static_selectorELNS0_4arch9wavefront6targetE0EEEvT1_.uses_vcc, 0
	.set _ZN7rocprim17ROCPRIM_400000_NS6detail17trampoline_kernelINS0_14default_configENS1_27scan_by_key_config_selectorIxxEEZZNS1_16scan_by_key_implILNS1_25lookback_scan_determinismE0ELb1ES3_N6thrust23THRUST_200600_302600_NS6detail15normal_iteratorINS9_10device_ptrIxEEEESE_SE_xNS9_10multipliesIxEENS9_8equal_toIxEExEE10hipError_tPvRmT2_T3_T4_T5_mT6_T7_P12ihipStream_tbENKUlT_T0_E_clISt17integral_constantIbLb0EESY_IbLb1EEEEDaSU_SV_EUlSU_E_NS1_11comp_targetILNS1_3genE3ELNS1_11target_archE908ELNS1_3gpuE7ELNS1_3repE0EEENS1_30default_config_static_selectorELNS0_4arch9wavefront6targetE0EEEvT1_.uses_flat_scratch, 0
	.set _ZN7rocprim17ROCPRIM_400000_NS6detail17trampoline_kernelINS0_14default_configENS1_27scan_by_key_config_selectorIxxEEZZNS1_16scan_by_key_implILNS1_25lookback_scan_determinismE0ELb1ES3_N6thrust23THRUST_200600_302600_NS6detail15normal_iteratorINS9_10device_ptrIxEEEESE_SE_xNS9_10multipliesIxEENS9_8equal_toIxEExEE10hipError_tPvRmT2_T3_T4_T5_mT6_T7_P12ihipStream_tbENKUlT_T0_E_clISt17integral_constantIbLb0EESY_IbLb1EEEEDaSU_SV_EUlSU_E_NS1_11comp_targetILNS1_3genE3ELNS1_11target_archE908ELNS1_3gpuE7ELNS1_3repE0EEENS1_30default_config_static_selectorELNS0_4arch9wavefront6targetE0EEEvT1_.has_dyn_sized_stack, 0
	.set _ZN7rocprim17ROCPRIM_400000_NS6detail17trampoline_kernelINS0_14default_configENS1_27scan_by_key_config_selectorIxxEEZZNS1_16scan_by_key_implILNS1_25lookback_scan_determinismE0ELb1ES3_N6thrust23THRUST_200600_302600_NS6detail15normal_iteratorINS9_10device_ptrIxEEEESE_SE_xNS9_10multipliesIxEENS9_8equal_toIxEExEE10hipError_tPvRmT2_T3_T4_T5_mT6_T7_P12ihipStream_tbENKUlT_T0_E_clISt17integral_constantIbLb0EESY_IbLb1EEEEDaSU_SV_EUlSU_E_NS1_11comp_targetILNS1_3genE3ELNS1_11target_archE908ELNS1_3gpuE7ELNS1_3repE0EEENS1_30default_config_static_selectorELNS0_4arch9wavefront6targetE0EEEvT1_.has_recursion, 0
	.set _ZN7rocprim17ROCPRIM_400000_NS6detail17trampoline_kernelINS0_14default_configENS1_27scan_by_key_config_selectorIxxEEZZNS1_16scan_by_key_implILNS1_25lookback_scan_determinismE0ELb1ES3_N6thrust23THRUST_200600_302600_NS6detail15normal_iteratorINS9_10device_ptrIxEEEESE_SE_xNS9_10multipliesIxEENS9_8equal_toIxEExEE10hipError_tPvRmT2_T3_T4_T5_mT6_T7_P12ihipStream_tbENKUlT_T0_E_clISt17integral_constantIbLb0EESY_IbLb1EEEEDaSU_SV_EUlSU_E_NS1_11comp_targetILNS1_3genE3ELNS1_11target_archE908ELNS1_3gpuE7ELNS1_3repE0EEENS1_30default_config_static_selectorELNS0_4arch9wavefront6targetE0EEEvT1_.has_indirect_call, 0
	.section	.AMDGPU.csdata,"",@progbits
; Kernel info:
; codeLenInByte = 0
; TotalNumSgprs: 0
; NumVgprs: 0
; ScratchSize: 0
; MemoryBound: 0
; FloatMode: 240
; IeeeMode: 1
; LDSByteSize: 0 bytes/workgroup (compile time only)
; SGPRBlocks: 0
; VGPRBlocks: 0
; NumSGPRsForWavesPerEU: 1
; NumVGPRsForWavesPerEU: 1
; NamedBarCnt: 0
; Occupancy: 16
; WaveLimiterHint : 0
; COMPUTE_PGM_RSRC2:SCRATCH_EN: 0
; COMPUTE_PGM_RSRC2:USER_SGPR: 2
; COMPUTE_PGM_RSRC2:TRAP_HANDLER: 0
; COMPUTE_PGM_RSRC2:TGID_X_EN: 1
; COMPUTE_PGM_RSRC2:TGID_Y_EN: 0
; COMPUTE_PGM_RSRC2:TGID_Z_EN: 0
; COMPUTE_PGM_RSRC2:TIDIG_COMP_CNT: 0
	.section	.text._ZN7rocprim17ROCPRIM_400000_NS6detail17trampoline_kernelINS0_14default_configENS1_27scan_by_key_config_selectorIxxEEZZNS1_16scan_by_key_implILNS1_25lookback_scan_determinismE0ELb1ES3_N6thrust23THRUST_200600_302600_NS6detail15normal_iteratorINS9_10device_ptrIxEEEESE_SE_xNS9_10multipliesIxEENS9_8equal_toIxEExEE10hipError_tPvRmT2_T3_T4_T5_mT6_T7_P12ihipStream_tbENKUlT_T0_E_clISt17integral_constantIbLb0EESY_IbLb1EEEEDaSU_SV_EUlSU_E_NS1_11comp_targetILNS1_3genE2ELNS1_11target_archE906ELNS1_3gpuE6ELNS1_3repE0EEENS1_30default_config_static_selectorELNS0_4arch9wavefront6targetE0EEEvT1_,"axG",@progbits,_ZN7rocprim17ROCPRIM_400000_NS6detail17trampoline_kernelINS0_14default_configENS1_27scan_by_key_config_selectorIxxEEZZNS1_16scan_by_key_implILNS1_25lookback_scan_determinismE0ELb1ES3_N6thrust23THRUST_200600_302600_NS6detail15normal_iteratorINS9_10device_ptrIxEEEESE_SE_xNS9_10multipliesIxEENS9_8equal_toIxEExEE10hipError_tPvRmT2_T3_T4_T5_mT6_T7_P12ihipStream_tbENKUlT_T0_E_clISt17integral_constantIbLb0EESY_IbLb1EEEEDaSU_SV_EUlSU_E_NS1_11comp_targetILNS1_3genE2ELNS1_11target_archE906ELNS1_3gpuE6ELNS1_3repE0EEENS1_30default_config_static_selectorELNS0_4arch9wavefront6targetE0EEEvT1_,comdat
	.protected	_ZN7rocprim17ROCPRIM_400000_NS6detail17trampoline_kernelINS0_14default_configENS1_27scan_by_key_config_selectorIxxEEZZNS1_16scan_by_key_implILNS1_25lookback_scan_determinismE0ELb1ES3_N6thrust23THRUST_200600_302600_NS6detail15normal_iteratorINS9_10device_ptrIxEEEESE_SE_xNS9_10multipliesIxEENS9_8equal_toIxEExEE10hipError_tPvRmT2_T3_T4_T5_mT6_T7_P12ihipStream_tbENKUlT_T0_E_clISt17integral_constantIbLb0EESY_IbLb1EEEEDaSU_SV_EUlSU_E_NS1_11comp_targetILNS1_3genE2ELNS1_11target_archE906ELNS1_3gpuE6ELNS1_3repE0EEENS1_30default_config_static_selectorELNS0_4arch9wavefront6targetE0EEEvT1_ ; -- Begin function _ZN7rocprim17ROCPRIM_400000_NS6detail17trampoline_kernelINS0_14default_configENS1_27scan_by_key_config_selectorIxxEEZZNS1_16scan_by_key_implILNS1_25lookback_scan_determinismE0ELb1ES3_N6thrust23THRUST_200600_302600_NS6detail15normal_iteratorINS9_10device_ptrIxEEEESE_SE_xNS9_10multipliesIxEENS9_8equal_toIxEExEE10hipError_tPvRmT2_T3_T4_T5_mT6_T7_P12ihipStream_tbENKUlT_T0_E_clISt17integral_constantIbLb0EESY_IbLb1EEEEDaSU_SV_EUlSU_E_NS1_11comp_targetILNS1_3genE2ELNS1_11target_archE906ELNS1_3gpuE6ELNS1_3repE0EEENS1_30default_config_static_selectorELNS0_4arch9wavefront6targetE0EEEvT1_
	.globl	_ZN7rocprim17ROCPRIM_400000_NS6detail17trampoline_kernelINS0_14default_configENS1_27scan_by_key_config_selectorIxxEEZZNS1_16scan_by_key_implILNS1_25lookback_scan_determinismE0ELb1ES3_N6thrust23THRUST_200600_302600_NS6detail15normal_iteratorINS9_10device_ptrIxEEEESE_SE_xNS9_10multipliesIxEENS9_8equal_toIxEExEE10hipError_tPvRmT2_T3_T4_T5_mT6_T7_P12ihipStream_tbENKUlT_T0_E_clISt17integral_constantIbLb0EESY_IbLb1EEEEDaSU_SV_EUlSU_E_NS1_11comp_targetILNS1_3genE2ELNS1_11target_archE906ELNS1_3gpuE6ELNS1_3repE0EEENS1_30default_config_static_selectorELNS0_4arch9wavefront6targetE0EEEvT1_
	.p2align	8
	.type	_ZN7rocprim17ROCPRIM_400000_NS6detail17trampoline_kernelINS0_14default_configENS1_27scan_by_key_config_selectorIxxEEZZNS1_16scan_by_key_implILNS1_25lookback_scan_determinismE0ELb1ES3_N6thrust23THRUST_200600_302600_NS6detail15normal_iteratorINS9_10device_ptrIxEEEESE_SE_xNS9_10multipliesIxEENS9_8equal_toIxEExEE10hipError_tPvRmT2_T3_T4_T5_mT6_T7_P12ihipStream_tbENKUlT_T0_E_clISt17integral_constantIbLb0EESY_IbLb1EEEEDaSU_SV_EUlSU_E_NS1_11comp_targetILNS1_3genE2ELNS1_11target_archE906ELNS1_3gpuE6ELNS1_3repE0EEENS1_30default_config_static_selectorELNS0_4arch9wavefront6targetE0EEEvT1_,@function
_ZN7rocprim17ROCPRIM_400000_NS6detail17trampoline_kernelINS0_14default_configENS1_27scan_by_key_config_selectorIxxEEZZNS1_16scan_by_key_implILNS1_25lookback_scan_determinismE0ELb1ES3_N6thrust23THRUST_200600_302600_NS6detail15normal_iteratorINS9_10device_ptrIxEEEESE_SE_xNS9_10multipliesIxEENS9_8equal_toIxEExEE10hipError_tPvRmT2_T3_T4_T5_mT6_T7_P12ihipStream_tbENKUlT_T0_E_clISt17integral_constantIbLb0EESY_IbLb1EEEEDaSU_SV_EUlSU_E_NS1_11comp_targetILNS1_3genE2ELNS1_11target_archE906ELNS1_3gpuE6ELNS1_3repE0EEENS1_30default_config_static_selectorELNS0_4arch9wavefront6targetE0EEEvT1_: ; @_ZN7rocprim17ROCPRIM_400000_NS6detail17trampoline_kernelINS0_14default_configENS1_27scan_by_key_config_selectorIxxEEZZNS1_16scan_by_key_implILNS1_25lookback_scan_determinismE0ELb1ES3_N6thrust23THRUST_200600_302600_NS6detail15normal_iteratorINS9_10device_ptrIxEEEESE_SE_xNS9_10multipliesIxEENS9_8equal_toIxEExEE10hipError_tPvRmT2_T3_T4_T5_mT6_T7_P12ihipStream_tbENKUlT_T0_E_clISt17integral_constantIbLb0EESY_IbLb1EEEEDaSU_SV_EUlSU_E_NS1_11comp_targetILNS1_3genE2ELNS1_11target_archE906ELNS1_3gpuE6ELNS1_3repE0EEENS1_30default_config_static_selectorELNS0_4arch9wavefront6targetE0EEEvT1_
; %bb.0:
	.section	.rodata,"a",@progbits
	.p2align	6, 0x0
	.amdhsa_kernel _ZN7rocprim17ROCPRIM_400000_NS6detail17trampoline_kernelINS0_14default_configENS1_27scan_by_key_config_selectorIxxEEZZNS1_16scan_by_key_implILNS1_25lookback_scan_determinismE0ELb1ES3_N6thrust23THRUST_200600_302600_NS6detail15normal_iteratorINS9_10device_ptrIxEEEESE_SE_xNS9_10multipliesIxEENS9_8equal_toIxEExEE10hipError_tPvRmT2_T3_T4_T5_mT6_T7_P12ihipStream_tbENKUlT_T0_E_clISt17integral_constantIbLb0EESY_IbLb1EEEEDaSU_SV_EUlSU_E_NS1_11comp_targetILNS1_3genE2ELNS1_11target_archE906ELNS1_3gpuE6ELNS1_3repE0EEENS1_30default_config_static_selectorELNS0_4arch9wavefront6targetE0EEEvT1_
		.amdhsa_group_segment_fixed_size 0
		.amdhsa_private_segment_fixed_size 0
		.amdhsa_kernarg_size 136
		.amdhsa_user_sgpr_count 2
		.amdhsa_user_sgpr_dispatch_ptr 0
		.amdhsa_user_sgpr_queue_ptr 0
		.amdhsa_user_sgpr_kernarg_segment_ptr 1
		.amdhsa_user_sgpr_dispatch_id 0
		.amdhsa_user_sgpr_kernarg_preload_length 0
		.amdhsa_user_sgpr_kernarg_preload_offset 0
		.amdhsa_user_sgpr_private_segment_size 0
		.amdhsa_wavefront_size32 1
		.amdhsa_uses_dynamic_stack 0
		.amdhsa_enable_private_segment 0
		.amdhsa_system_sgpr_workgroup_id_x 1
		.amdhsa_system_sgpr_workgroup_id_y 0
		.amdhsa_system_sgpr_workgroup_id_z 0
		.amdhsa_system_sgpr_workgroup_info 0
		.amdhsa_system_vgpr_workitem_id 0
		.amdhsa_next_free_vgpr 1
		.amdhsa_next_free_sgpr 1
		.amdhsa_named_barrier_count 0
		.amdhsa_reserve_vcc 0
		.amdhsa_float_round_mode_32 0
		.amdhsa_float_round_mode_16_64 0
		.amdhsa_float_denorm_mode_32 3
		.amdhsa_float_denorm_mode_16_64 3
		.amdhsa_fp16_overflow 0
		.amdhsa_memory_ordered 1
		.amdhsa_forward_progress 1
		.amdhsa_inst_pref_size 0
		.amdhsa_round_robin_scheduling 0
		.amdhsa_exception_fp_ieee_invalid_op 0
		.amdhsa_exception_fp_denorm_src 0
		.amdhsa_exception_fp_ieee_div_zero 0
		.amdhsa_exception_fp_ieee_overflow 0
		.amdhsa_exception_fp_ieee_underflow 0
		.amdhsa_exception_fp_ieee_inexact 0
		.amdhsa_exception_int_div_zero 0
	.end_amdhsa_kernel
	.section	.text._ZN7rocprim17ROCPRIM_400000_NS6detail17trampoline_kernelINS0_14default_configENS1_27scan_by_key_config_selectorIxxEEZZNS1_16scan_by_key_implILNS1_25lookback_scan_determinismE0ELb1ES3_N6thrust23THRUST_200600_302600_NS6detail15normal_iteratorINS9_10device_ptrIxEEEESE_SE_xNS9_10multipliesIxEENS9_8equal_toIxEExEE10hipError_tPvRmT2_T3_T4_T5_mT6_T7_P12ihipStream_tbENKUlT_T0_E_clISt17integral_constantIbLb0EESY_IbLb1EEEEDaSU_SV_EUlSU_E_NS1_11comp_targetILNS1_3genE2ELNS1_11target_archE906ELNS1_3gpuE6ELNS1_3repE0EEENS1_30default_config_static_selectorELNS0_4arch9wavefront6targetE0EEEvT1_,"axG",@progbits,_ZN7rocprim17ROCPRIM_400000_NS6detail17trampoline_kernelINS0_14default_configENS1_27scan_by_key_config_selectorIxxEEZZNS1_16scan_by_key_implILNS1_25lookback_scan_determinismE0ELb1ES3_N6thrust23THRUST_200600_302600_NS6detail15normal_iteratorINS9_10device_ptrIxEEEESE_SE_xNS9_10multipliesIxEENS9_8equal_toIxEExEE10hipError_tPvRmT2_T3_T4_T5_mT6_T7_P12ihipStream_tbENKUlT_T0_E_clISt17integral_constantIbLb0EESY_IbLb1EEEEDaSU_SV_EUlSU_E_NS1_11comp_targetILNS1_3genE2ELNS1_11target_archE906ELNS1_3gpuE6ELNS1_3repE0EEENS1_30default_config_static_selectorELNS0_4arch9wavefront6targetE0EEEvT1_,comdat
.Lfunc_end421:
	.size	_ZN7rocprim17ROCPRIM_400000_NS6detail17trampoline_kernelINS0_14default_configENS1_27scan_by_key_config_selectorIxxEEZZNS1_16scan_by_key_implILNS1_25lookback_scan_determinismE0ELb1ES3_N6thrust23THRUST_200600_302600_NS6detail15normal_iteratorINS9_10device_ptrIxEEEESE_SE_xNS9_10multipliesIxEENS9_8equal_toIxEExEE10hipError_tPvRmT2_T3_T4_T5_mT6_T7_P12ihipStream_tbENKUlT_T0_E_clISt17integral_constantIbLb0EESY_IbLb1EEEEDaSU_SV_EUlSU_E_NS1_11comp_targetILNS1_3genE2ELNS1_11target_archE906ELNS1_3gpuE6ELNS1_3repE0EEENS1_30default_config_static_selectorELNS0_4arch9wavefront6targetE0EEEvT1_, .Lfunc_end421-_ZN7rocprim17ROCPRIM_400000_NS6detail17trampoline_kernelINS0_14default_configENS1_27scan_by_key_config_selectorIxxEEZZNS1_16scan_by_key_implILNS1_25lookback_scan_determinismE0ELb1ES3_N6thrust23THRUST_200600_302600_NS6detail15normal_iteratorINS9_10device_ptrIxEEEESE_SE_xNS9_10multipliesIxEENS9_8equal_toIxEExEE10hipError_tPvRmT2_T3_T4_T5_mT6_T7_P12ihipStream_tbENKUlT_T0_E_clISt17integral_constantIbLb0EESY_IbLb1EEEEDaSU_SV_EUlSU_E_NS1_11comp_targetILNS1_3genE2ELNS1_11target_archE906ELNS1_3gpuE6ELNS1_3repE0EEENS1_30default_config_static_selectorELNS0_4arch9wavefront6targetE0EEEvT1_
                                        ; -- End function
	.set _ZN7rocprim17ROCPRIM_400000_NS6detail17trampoline_kernelINS0_14default_configENS1_27scan_by_key_config_selectorIxxEEZZNS1_16scan_by_key_implILNS1_25lookback_scan_determinismE0ELb1ES3_N6thrust23THRUST_200600_302600_NS6detail15normal_iteratorINS9_10device_ptrIxEEEESE_SE_xNS9_10multipliesIxEENS9_8equal_toIxEExEE10hipError_tPvRmT2_T3_T4_T5_mT6_T7_P12ihipStream_tbENKUlT_T0_E_clISt17integral_constantIbLb0EESY_IbLb1EEEEDaSU_SV_EUlSU_E_NS1_11comp_targetILNS1_3genE2ELNS1_11target_archE906ELNS1_3gpuE6ELNS1_3repE0EEENS1_30default_config_static_selectorELNS0_4arch9wavefront6targetE0EEEvT1_.num_vgpr, 0
	.set _ZN7rocprim17ROCPRIM_400000_NS6detail17trampoline_kernelINS0_14default_configENS1_27scan_by_key_config_selectorIxxEEZZNS1_16scan_by_key_implILNS1_25lookback_scan_determinismE0ELb1ES3_N6thrust23THRUST_200600_302600_NS6detail15normal_iteratorINS9_10device_ptrIxEEEESE_SE_xNS9_10multipliesIxEENS9_8equal_toIxEExEE10hipError_tPvRmT2_T3_T4_T5_mT6_T7_P12ihipStream_tbENKUlT_T0_E_clISt17integral_constantIbLb0EESY_IbLb1EEEEDaSU_SV_EUlSU_E_NS1_11comp_targetILNS1_3genE2ELNS1_11target_archE906ELNS1_3gpuE6ELNS1_3repE0EEENS1_30default_config_static_selectorELNS0_4arch9wavefront6targetE0EEEvT1_.num_agpr, 0
	.set _ZN7rocprim17ROCPRIM_400000_NS6detail17trampoline_kernelINS0_14default_configENS1_27scan_by_key_config_selectorIxxEEZZNS1_16scan_by_key_implILNS1_25lookback_scan_determinismE0ELb1ES3_N6thrust23THRUST_200600_302600_NS6detail15normal_iteratorINS9_10device_ptrIxEEEESE_SE_xNS9_10multipliesIxEENS9_8equal_toIxEExEE10hipError_tPvRmT2_T3_T4_T5_mT6_T7_P12ihipStream_tbENKUlT_T0_E_clISt17integral_constantIbLb0EESY_IbLb1EEEEDaSU_SV_EUlSU_E_NS1_11comp_targetILNS1_3genE2ELNS1_11target_archE906ELNS1_3gpuE6ELNS1_3repE0EEENS1_30default_config_static_selectorELNS0_4arch9wavefront6targetE0EEEvT1_.numbered_sgpr, 0
	.set _ZN7rocprim17ROCPRIM_400000_NS6detail17trampoline_kernelINS0_14default_configENS1_27scan_by_key_config_selectorIxxEEZZNS1_16scan_by_key_implILNS1_25lookback_scan_determinismE0ELb1ES3_N6thrust23THRUST_200600_302600_NS6detail15normal_iteratorINS9_10device_ptrIxEEEESE_SE_xNS9_10multipliesIxEENS9_8equal_toIxEExEE10hipError_tPvRmT2_T3_T4_T5_mT6_T7_P12ihipStream_tbENKUlT_T0_E_clISt17integral_constantIbLb0EESY_IbLb1EEEEDaSU_SV_EUlSU_E_NS1_11comp_targetILNS1_3genE2ELNS1_11target_archE906ELNS1_3gpuE6ELNS1_3repE0EEENS1_30default_config_static_selectorELNS0_4arch9wavefront6targetE0EEEvT1_.num_named_barrier, 0
	.set _ZN7rocprim17ROCPRIM_400000_NS6detail17trampoline_kernelINS0_14default_configENS1_27scan_by_key_config_selectorIxxEEZZNS1_16scan_by_key_implILNS1_25lookback_scan_determinismE0ELb1ES3_N6thrust23THRUST_200600_302600_NS6detail15normal_iteratorINS9_10device_ptrIxEEEESE_SE_xNS9_10multipliesIxEENS9_8equal_toIxEExEE10hipError_tPvRmT2_T3_T4_T5_mT6_T7_P12ihipStream_tbENKUlT_T0_E_clISt17integral_constantIbLb0EESY_IbLb1EEEEDaSU_SV_EUlSU_E_NS1_11comp_targetILNS1_3genE2ELNS1_11target_archE906ELNS1_3gpuE6ELNS1_3repE0EEENS1_30default_config_static_selectorELNS0_4arch9wavefront6targetE0EEEvT1_.private_seg_size, 0
	.set _ZN7rocprim17ROCPRIM_400000_NS6detail17trampoline_kernelINS0_14default_configENS1_27scan_by_key_config_selectorIxxEEZZNS1_16scan_by_key_implILNS1_25lookback_scan_determinismE0ELb1ES3_N6thrust23THRUST_200600_302600_NS6detail15normal_iteratorINS9_10device_ptrIxEEEESE_SE_xNS9_10multipliesIxEENS9_8equal_toIxEExEE10hipError_tPvRmT2_T3_T4_T5_mT6_T7_P12ihipStream_tbENKUlT_T0_E_clISt17integral_constantIbLb0EESY_IbLb1EEEEDaSU_SV_EUlSU_E_NS1_11comp_targetILNS1_3genE2ELNS1_11target_archE906ELNS1_3gpuE6ELNS1_3repE0EEENS1_30default_config_static_selectorELNS0_4arch9wavefront6targetE0EEEvT1_.uses_vcc, 0
	.set _ZN7rocprim17ROCPRIM_400000_NS6detail17trampoline_kernelINS0_14default_configENS1_27scan_by_key_config_selectorIxxEEZZNS1_16scan_by_key_implILNS1_25lookback_scan_determinismE0ELb1ES3_N6thrust23THRUST_200600_302600_NS6detail15normal_iteratorINS9_10device_ptrIxEEEESE_SE_xNS9_10multipliesIxEENS9_8equal_toIxEExEE10hipError_tPvRmT2_T3_T4_T5_mT6_T7_P12ihipStream_tbENKUlT_T0_E_clISt17integral_constantIbLb0EESY_IbLb1EEEEDaSU_SV_EUlSU_E_NS1_11comp_targetILNS1_3genE2ELNS1_11target_archE906ELNS1_3gpuE6ELNS1_3repE0EEENS1_30default_config_static_selectorELNS0_4arch9wavefront6targetE0EEEvT1_.uses_flat_scratch, 0
	.set _ZN7rocprim17ROCPRIM_400000_NS6detail17trampoline_kernelINS0_14default_configENS1_27scan_by_key_config_selectorIxxEEZZNS1_16scan_by_key_implILNS1_25lookback_scan_determinismE0ELb1ES3_N6thrust23THRUST_200600_302600_NS6detail15normal_iteratorINS9_10device_ptrIxEEEESE_SE_xNS9_10multipliesIxEENS9_8equal_toIxEExEE10hipError_tPvRmT2_T3_T4_T5_mT6_T7_P12ihipStream_tbENKUlT_T0_E_clISt17integral_constantIbLb0EESY_IbLb1EEEEDaSU_SV_EUlSU_E_NS1_11comp_targetILNS1_3genE2ELNS1_11target_archE906ELNS1_3gpuE6ELNS1_3repE0EEENS1_30default_config_static_selectorELNS0_4arch9wavefront6targetE0EEEvT1_.has_dyn_sized_stack, 0
	.set _ZN7rocprim17ROCPRIM_400000_NS6detail17trampoline_kernelINS0_14default_configENS1_27scan_by_key_config_selectorIxxEEZZNS1_16scan_by_key_implILNS1_25lookback_scan_determinismE0ELb1ES3_N6thrust23THRUST_200600_302600_NS6detail15normal_iteratorINS9_10device_ptrIxEEEESE_SE_xNS9_10multipliesIxEENS9_8equal_toIxEExEE10hipError_tPvRmT2_T3_T4_T5_mT6_T7_P12ihipStream_tbENKUlT_T0_E_clISt17integral_constantIbLb0EESY_IbLb1EEEEDaSU_SV_EUlSU_E_NS1_11comp_targetILNS1_3genE2ELNS1_11target_archE906ELNS1_3gpuE6ELNS1_3repE0EEENS1_30default_config_static_selectorELNS0_4arch9wavefront6targetE0EEEvT1_.has_recursion, 0
	.set _ZN7rocprim17ROCPRIM_400000_NS6detail17trampoline_kernelINS0_14default_configENS1_27scan_by_key_config_selectorIxxEEZZNS1_16scan_by_key_implILNS1_25lookback_scan_determinismE0ELb1ES3_N6thrust23THRUST_200600_302600_NS6detail15normal_iteratorINS9_10device_ptrIxEEEESE_SE_xNS9_10multipliesIxEENS9_8equal_toIxEExEE10hipError_tPvRmT2_T3_T4_T5_mT6_T7_P12ihipStream_tbENKUlT_T0_E_clISt17integral_constantIbLb0EESY_IbLb1EEEEDaSU_SV_EUlSU_E_NS1_11comp_targetILNS1_3genE2ELNS1_11target_archE906ELNS1_3gpuE6ELNS1_3repE0EEENS1_30default_config_static_selectorELNS0_4arch9wavefront6targetE0EEEvT1_.has_indirect_call, 0
	.section	.AMDGPU.csdata,"",@progbits
; Kernel info:
; codeLenInByte = 0
; TotalNumSgprs: 0
; NumVgprs: 0
; ScratchSize: 0
; MemoryBound: 0
; FloatMode: 240
; IeeeMode: 1
; LDSByteSize: 0 bytes/workgroup (compile time only)
; SGPRBlocks: 0
; VGPRBlocks: 0
; NumSGPRsForWavesPerEU: 1
; NumVGPRsForWavesPerEU: 1
; NamedBarCnt: 0
; Occupancy: 16
; WaveLimiterHint : 0
; COMPUTE_PGM_RSRC2:SCRATCH_EN: 0
; COMPUTE_PGM_RSRC2:USER_SGPR: 2
; COMPUTE_PGM_RSRC2:TRAP_HANDLER: 0
; COMPUTE_PGM_RSRC2:TGID_X_EN: 1
; COMPUTE_PGM_RSRC2:TGID_Y_EN: 0
; COMPUTE_PGM_RSRC2:TGID_Z_EN: 0
; COMPUTE_PGM_RSRC2:TIDIG_COMP_CNT: 0
	.section	.text._ZN7rocprim17ROCPRIM_400000_NS6detail17trampoline_kernelINS0_14default_configENS1_27scan_by_key_config_selectorIxxEEZZNS1_16scan_by_key_implILNS1_25lookback_scan_determinismE0ELb1ES3_N6thrust23THRUST_200600_302600_NS6detail15normal_iteratorINS9_10device_ptrIxEEEESE_SE_xNS9_10multipliesIxEENS9_8equal_toIxEExEE10hipError_tPvRmT2_T3_T4_T5_mT6_T7_P12ihipStream_tbENKUlT_T0_E_clISt17integral_constantIbLb0EESY_IbLb1EEEEDaSU_SV_EUlSU_E_NS1_11comp_targetILNS1_3genE10ELNS1_11target_archE1200ELNS1_3gpuE4ELNS1_3repE0EEENS1_30default_config_static_selectorELNS0_4arch9wavefront6targetE0EEEvT1_,"axG",@progbits,_ZN7rocprim17ROCPRIM_400000_NS6detail17trampoline_kernelINS0_14default_configENS1_27scan_by_key_config_selectorIxxEEZZNS1_16scan_by_key_implILNS1_25lookback_scan_determinismE0ELb1ES3_N6thrust23THRUST_200600_302600_NS6detail15normal_iteratorINS9_10device_ptrIxEEEESE_SE_xNS9_10multipliesIxEENS9_8equal_toIxEExEE10hipError_tPvRmT2_T3_T4_T5_mT6_T7_P12ihipStream_tbENKUlT_T0_E_clISt17integral_constantIbLb0EESY_IbLb1EEEEDaSU_SV_EUlSU_E_NS1_11comp_targetILNS1_3genE10ELNS1_11target_archE1200ELNS1_3gpuE4ELNS1_3repE0EEENS1_30default_config_static_selectorELNS0_4arch9wavefront6targetE0EEEvT1_,comdat
	.protected	_ZN7rocprim17ROCPRIM_400000_NS6detail17trampoline_kernelINS0_14default_configENS1_27scan_by_key_config_selectorIxxEEZZNS1_16scan_by_key_implILNS1_25lookback_scan_determinismE0ELb1ES3_N6thrust23THRUST_200600_302600_NS6detail15normal_iteratorINS9_10device_ptrIxEEEESE_SE_xNS9_10multipliesIxEENS9_8equal_toIxEExEE10hipError_tPvRmT2_T3_T4_T5_mT6_T7_P12ihipStream_tbENKUlT_T0_E_clISt17integral_constantIbLb0EESY_IbLb1EEEEDaSU_SV_EUlSU_E_NS1_11comp_targetILNS1_3genE10ELNS1_11target_archE1200ELNS1_3gpuE4ELNS1_3repE0EEENS1_30default_config_static_selectorELNS0_4arch9wavefront6targetE0EEEvT1_ ; -- Begin function _ZN7rocprim17ROCPRIM_400000_NS6detail17trampoline_kernelINS0_14default_configENS1_27scan_by_key_config_selectorIxxEEZZNS1_16scan_by_key_implILNS1_25lookback_scan_determinismE0ELb1ES3_N6thrust23THRUST_200600_302600_NS6detail15normal_iteratorINS9_10device_ptrIxEEEESE_SE_xNS9_10multipliesIxEENS9_8equal_toIxEExEE10hipError_tPvRmT2_T3_T4_T5_mT6_T7_P12ihipStream_tbENKUlT_T0_E_clISt17integral_constantIbLb0EESY_IbLb1EEEEDaSU_SV_EUlSU_E_NS1_11comp_targetILNS1_3genE10ELNS1_11target_archE1200ELNS1_3gpuE4ELNS1_3repE0EEENS1_30default_config_static_selectorELNS0_4arch9wavefront6targetE0EEEvT1_
	.globl	_ZN7rocprim17ROCPRIM_400000_NS6detail17trampoline_kernelINS0_14default_configENS1_27scan_by_key_config_selectorIxxEEZZNS1_16scan_by_key_implILNS1_25lookback_scan_determinismE0ELb1ES3_N6thrust23THRUST_200600_302600_NS6detail15normal_iteratorINS9_10device_ptrIxEEEESE_SE_xNS9_10multipliesIxEENS9_8equal_toIxEExEE10hipError_tPvRmT2_T3_T4_T5_mT6_T7_P12ihipStream_tbENKUlT_T0_E_clISt17integral_constantIbLb0EESY_IbLb1EEEEDaSU_SV_EUlSU_E_NS1_11comp_targetILNS1_3genE10ELNS1_11target_archE1200ELNS1_3gpuE4ELNS1_3repE0EEENS1_30default_config_static_selectorELNS0_4arch9wavefront6targetE0EEEvT1_
	.p2align	8
	.type	_ZN7rocprim17ROCPRIM_400000_NS6detail17trampoline_kernelINS0_14default_configENS1_27scan_by_key_config_selectorIxxEEZZNS1_16scan_by_key_implILNS1_25lookback_scan_determinismE0ELb1ES3_N6thrust23THRUST_200600_302600_NS6detail15normal_iteratorINS9_10device_ptrIxEEEESE_SE_xNS9_10multipliesIxEENS9_8equal_toIxEExEE10hipError_tPvRmT2_T3_T4_T5_mT6_T7_P12ihipStream_tbENKUlT_T0_E_clISt17integral_constantIbLb0EESY_IbLb1EEEEDaSU_SV_EUlSU_E_NS1_11comp_targetILNS1_3genE10ELNS1_11target_archE1200ELNS1_3gpuE4ELNS1_3repE0EEENS1_30default_config_static_selectorELNS0_4arch9wavefront6targetE0EEEvT1_,@function
_ZN7rocprim17ROCPRIM_400000_NS6detail17trampoline_kernelINS0_14default_configENS1_27scan_by_key_config_selectorIxxEEZZNS1_16scan_by_key_implILNS1_25lookback_scan_determinismE0ELb1ES3_N6thrust23THRUST_200600_302600_NS6detail15normal_iteratorINS9_10device_ptrIxEEEESE_SE_xNS9_10multipliesIxEENS9_8equal_toIxEExEE10hipError_tPvRmT2_T3_T4_T5_mT6_T7_P12ihipStream_tbENKUlT_T0_E_clISt17integral_constantIbLb0EESY_IbLb1EEEEDaSU_SV_EUlSU_E_NS1_11comp_targetILNS1_3genE10ELNS1_11target_archE1200ELNS1_3gpuE4ELNS1_3repE0EEENS1_30default_config_static_selectorELNS0_4arch9wavefront6targetE0EEEvT1_: ; @_ZN7rocprim17ROCPRIM_400000_NS6detail17trampoline_kernelINS0_14default_configENS1_27scan_by_key_config_selectorIxxEEZZNS1_16scan_by_key_implILNS1_25lookback_scan_determinismE0ELb1ES3_N6thrust23THRUST_200600_302600_NS6detail15normal_iteratorINS9_10device_ptrIxEEEESE_SE_xNS9_10multipliesIxEENS9_8equal_toIxEExEE10hipError_tPvRmT2_T3_T4_T5_mT6_T7_P12ihipStream_tbENKUlT_T0_E_clISt17integral_constantIbLb0EESY_IbLb1EEEEDaSU_SV_EUlSU_E_NS1_11comp_targetILNS1_3genE10ELNS1_11target_archE1200ELNS1_3gpuE4ELNS1_3repE0EEENS1_30default_config_static_selectorELNS0_4arch9wavefront6targetE0EEEvT1_
; %bb.0:
	.section	.rodata,"a",@progbits
	.p2align	6, 0x0
	.amdhsa_kernel _ZN7rocprim17ROCPRIM_400000_NS6detail17trampoline_kernelINS0_14default_configENS1_27scan_by_key_config_selectorIxxEEZZNS1_16scan_by_key_implILNS1_25lookback_scan_determinismE0ELb1ES3_N6thrust23THRUST_200600_302600_NS6detail15normal_iteratorINS9_10device_ptrIxEEEESE_SE_xNS9_10multipliesIxEENS9_8equal_toIxEExEE10hipError_tPvRmT2_T3_T4_T5_mT6_T7_P12ihipStream_tbENKUlT_T0_E_clISt17integral_constantIbLb0EESY_IbLb1EEEEDaSU_SV_EUlSU_E_NS1_11comp_targetILNS1_3genE10ELNS1_11target_archE1200ELNS1_3gpuE4ELNS1_3repE0EEENS1_30default_config_static_selectorELNS0_4arch9wavefront6targetE0EEEvT1_
		.amdhsa_group_segment_fixed_size 0
		.amdhsa_private_segment_fixed_size 0
		.amdhsa_kernarg_size 136
		.amdhsa_user_sgpr_count 2
		.amdhsa_user_sgpr_dispatch_ptr 0
		.amdhsa_user_sgpr_queue_ptr 0
		.amdhsa_user_sgpr_kernarg_segment_ptr 1
		.amdhsa_user_sgpr_dispatch_id 0
		.amdhsa_user_sgpr_kernarg_preload_length 0
		.amdhsa_user_sgpr_kernarg_preload_offset 0
		.amdhsa_user_sgpr_private_segment_size 0
		.amdhsa_wavefront_size32 1
		.amdhsa_uses_dynamic_stack 0
		.amdhsa_enable_private_segment 0
		.amdhsa_system_sgpr_workgroup_id_x 1
		.amdhsa_system_sgpr_workgroup_id_y 0
		.amdhsa_system_sgpr_workgroup_id_z 0
		.amdhsa_system_sgpr_workgroup_info 0
		.amdhsa_system_vgpr_workitem_id 0
		.amdhsa_next_free_vgpr 1
		.amdhsa_next_free_sgpr 1
		.amdhsa_named_barrier_count 0
		.amdhsa_reserve_vcc 0
		.amdhsa_float_round_mode_32 0
		.amdhsa_float_round_mode_16_64 0
		.amdhsa_float_denorm_mode_32 3
		.amdhsa_float_denorm_mode_16_64 3
		.amdhsa_fp16_overflow 0
		.amdhsa_memory_ordered 1
		.amdhsa_forward_progress 1
		.amdhsa_inst_pref_size 0
		.amdhsa_round_robin_scheduling 0
		.amdhsa_exception_fp_ieee_invalid_op 0
		.amdhsa_exception_fp_denorm_src 0
		.amdhsa_exception_fp_ieee_div_zero 0
		.amdhsa_exception_fp_ieee_overflow 0
		.amdhsa_exception_fp_ieee_underflow 0
		.amdhsa_exception_fp_ieee_inexact 0
		.amdhsa_exception_int_div_zero 0
	.end_amdhsa_kernel
	.section	.text._ZN7rocprim17ROCPRIM_400000_NS6detail17trampoline_kernelINS0_14default_configENS1_27scan_by_key_config_selectorIxxEEZZNS1_16scan_by_key_implILNS1_25lookback_scan_determinismE0ELb1ES3_N6thrust23THRUST_200600_302600_NS6detail15normal_iteratorINS9_10device_ptrIxEEEESE_SE_xNS9_10multipliesIxEENS9_8equal_toIxEExEE10hipError_tPvRmT2_T3_T4_T5_mT6_T7_P12ihipStream_tbENKUlT_T0_E_clISt17integral_constantIbLb0EESY_IbLb1EEEEDaSU_SV_EUlSU_E_NS1_11comp_targetILNS1_3genE10ELNS1_11target_archE1200ELNS1_3gpuE4ELNS1_3repE0EEENS1_30default_config_static_selectorELNS0_4arch9wavefront6targetE0EEEvT1_,"axG",@progbits,_ZN7rocprim17ROCPRIM_400000_NS6detail17trampoline_kernelINS0_14default_configENS1_27scan_by_key_config_selectorIxxEEZZNS1_16scan_by_key_implILNS1_25lookback_scan_determinismE0ELb1ES3_N6thrust23THRUST_200600_302600_NS6detail15normal_iteratorINS9_10device_ptrIxEEEESE_SE_xNS9_10multipliesIxEENS9_8equal_toIxEExEE10hipError_tPvRmT2_T3_T4_T5_mT6_T7_P12ihipStream_tbENKUlT_T0_E_clISt17integral_constantIbLb0EESY_IbLb1EEEEDaSU_SV_EUlSU_E_NS1_11comp_targetILNS1_3genE10ELNS1_11target_archE1200ELNS1_3gpuE4ELNS1_3repE0EEENS1_30default_config_static_selectorELNS0_4arch9wavefront6targetE0EEEvT1_,comdat
.Lfunc_end422:
	.size	_ZN7rocprim17ROCPRIM_400000_NS6detail17trampoline_kernelINS0_14default_configENS1_27scan_by_key_config_selectorIxxEEZZNS1_16scan_by_key_implILNS1_25lookback_scan_determinismE0ELb1ES3_N6thrust23THRUST_200600_302600_NS6detail15normal_iteratorINS9_10device_ptrIxEEEESE_SE_xNS9_10multipliesIxEENS9_8equal_toIxEExEE10hipError_tPvRmT2_T3_T4_T5_mT6_T7_P12ihipStream_tbENKUlT_T0_E_clISt17integral_constantIbLb0EESY_IbLb1EEEEDaSU_SV_EUlSU_E_NS1_11comp_targetILNS1_3genE10ELNS1_11target_archE1200ELNS1_3gpuE4ELNS1_3repE0EEENS1_30default_config_static_selectorELNS0_4arch9wavefront6targetE0EEEvT1_, .Lfunc_end422-_ZN7rocprim17ROCPRIM_400000_NS6detail17trampoline_kernelINS0_14default_configENS1_27scan_by_key_config_selectorIxxEEZZNS1_16scan_by_key_implILNS1_25lookback_scan_determinismE0ELb1ES3_N6thrust23THRUST_200600_302600_NS6detail15normal_iteratorINS9_10device_ptrIxEEEESE_SE_xNS9_10multipliesIxEENS9_8equal_toIxEExEE10hipError_tPvRmT2_T3_T4_T5_mT6_T7_P12ihipStream_tbENKUlT_T0_E_clISt17integral_constantIbLb0EESY_IbLb1EEEEDaSU_SV_EUlSU_E_NS1_11comp_targetILNS1_3genE10ELNS1_11target_archE1200ELNS1_3gpuE4ELNS1_3repE0EEENS1_30default_config_static_selectorELNS0_4arch9wavefront6targetE0EEEvT1_
                                        ; -- End function
	.set _ZN7rocprim17ROCPRIM_400000_NS6detail17trampoline_kernelINS0_14default_configENS1_27scan_by_key_config_selectorIxxEEZZNS1_16scan_by_key_implILNS1_25lookback_scan_determinismE0ELb1ES3_N6thrust23THRUST_200600_302600_NS6detail15normal_iteratorINS9_10device_ptrIxEEEESE_SE_xNS9_10multipliesIxEENS9_8equal_toIxEExEE10hipError_tPvRmT2_T3_T4_T5_mT6_T7_P12ihipStream_tbENKUlT_T0_E_clISt17integral_constantIbLb0EESY_IbLb1EEEEDaSU_SV_EUlSU_E_NS1_11comp_targetILNS1_3genE10ELNS1_11target_archE1200ELNS1_3gpuE4ELNS1_3repE0EEENS1_30default_config_static_selectorELNS0_4arch9wavefront6targetE0EEEvT1_.num_vgpr, 0
	.set _ZN7rocprim17ROCPRIM_400000_NS6detail17trampoline_kernelINS0_14default_configENS1_27scan_by_key_config_selectorIxxEEZZNS1_16scan_by_key_implILNS1_25lookback_scan_determinismE0ELb1ES3_N6thrust23THRUST_200600_302600_NS6detail15normal_iteratorINS9_10device_ptrIxEEEESE_SE_xNS9_10multipliesIxEENS9_8equal_toIxEExEE10hipError_tPvRmT2_T3_T4_T5_mT6_T7_P12ihipStream_tbENKUlT_T0_E_clISt17integral_constantIbLb0EESY_IbLb1EEEEDaSU_SV_EUlSU_E_NS1_11comp_targetILNS1_3genE10ELNS1_11target_archE1200ELNS1_3gpuE4ELNS1_3repE0EEENS1_30default_config_static_selectorELNS0_4arch9wavefront6targetE0EEEvT1_.num_agpr, 0
	.set _ZN7rocprim17ROCPRIM_400000_NS6detail17trampoline_kernelINS0_14default_configENS1_27scan_by_key_config_selectorIxxEEZZNS1_16scan_by_key_implILNS1_25lookback_scan_determinismE0ELb1ES3_N6thrust23THRUST_200600_302600_NS6detail15normal_iteratorINS9_10device_ptrIxEEEESE_SE_xNS9_10multipliesIxEENS9_8equal_toIxEExEE10hipError_tPvRmT2_T3_T4_T5_mT6_T7_P12ihipStream_tbENKUlT_T0_E_clISt17integral_constantIbLb0EESY_IbLb1EEEEDaSU_SV_EUlSU_E_NS1_11comp_targetILNS1_3genE10ELNS1_11target_archE1200ELNS1_3gpuE4ELNS1_3repE0EEENS1_30default_config_static_selectorELNS0_4arch9wavefront6targetE0EEEvT1_.numbered_sgpr, 0
	.set _ZN7rocprim17ROCPRIM_400000_NS6detail17trampoline_kernelINS0_14default_configENS1_27scan_by_key_config_selectorIxxEEZZNS1_16scan_by_key_implILNS1_25lookback_scan_determinismE0ELb1ES3_N6thrust23THRUST_200600_302600_NS6detail15normal_iteratorINS9_10device_ptrIxEEEESE_SE_xNS9_10multipliesIxEENS9_8equal_toIxEExEE10hipError_tPvRmT2_T3_T4_T5_mT6_T7_P12ihipStream_tbENKUlT_T0_E_clISt17integral_constantIbLb0EESY_IbLb1EEEEDaSU_SV_EUlSU_E_NS1_11comp_targetILNS1_3genE10ELNS1_11target_archE1200ELNS1_3gpuE4ELNS1_3repE0EEENS1_30default_config_static_selectorELNS0_4arch9wavefront6targetE0EEEvT1_.num_named_barrier, 0
	.set _ZN7rocprim17ROCPRIM_400000_NS6detail17trampoline_kernelINS0_14default_configENS1_27scan_by_key_config_selectorIxxEEZZNS1_16scan_by_key_implILNS1_25lookback_scan_determinismE0ELb1ES3_N6thrust23THRUST_200600_302600_NS6detail15normal_iteratorINS9_10device_ptrIxEEEESE_SE_xNS9_10multipliesIxEENS9_8equal_toIxEExEE10hipError_tPvRmT2_T3_T4_T5_mT6_T7_P12ihipStream_tbENKUlT_T0_E_clISt17integral_constantIbLb0EESY_IbLb1EEEEDaSU_SV_EUlSU_E_NS1_11comp_targetILNS1_3genE10ELNS1_11target_archE1200ELNS1_3gpuE4ELNS1_3repE0EEENS1_30default_config_static_selectorELNS0_4arch9wavefront6targetE0EEEvT1_.private_seg_size, 0
	.set _ZN7rocprim17ROCPRIM_400000_NS6detail17trampoline_kernelINS0_14default_configENS1_27scan_by_key_config_selectorIxxEEZZNS1_16scan_by_key_implILNS1_25lookback_scan_determinismE0ELb1ES3_N6thrust23THRUST_200600_302600_NS6detail15normal_iteratorINS9_10device_ptrIxEEEESE_SE_xNS9_10multipliesIxEENS9_8equal_toIxEExEE10hipError_tPvRmT2_T3_T4_T5_mT6_T7_P12ihipStream_tbENKUlT_T0_E_clISt17integral_constantIbLb0EESY_IbLb1EEEEDaSU_SV_EUlSU_E_NS1_11comp_targetILNS1_3genE10ELNS1_11target_archE1200ELNS1_3gpuE4ELNS1_3repE0EEENS1_30default_config_static_selectorELNS0_4arch9wavefront6targetE0EEEvT1_.uses_vcc, 0
	.set _ZN7rocprim17ROCPRIM_400000_NS6detail17trampoline_kernelINS0_14default_configENS1_27scan_by_key_config_selectorIxxEEZZNS1_16scan_by_key_implILNS1_25lookback_scan_determinismE0ELb1ES3_N6thrust23THRUST_200600_302600_NS6detail15normal_iteratorINS9_10device_ptrIxEEEESE_SE_xNS9_10multipliesIxEENS9_8equal_toIxEExEE10hipError_tPvRmT2_T3_T4_T5_mT6_T7_P12ihipStream_tbENKUlT_T0_E_clISt17integral_constantIbLb0EESY_IbLb1EEEEDaSU_SV_EUlSU_E_NS1_11comp_targetILNS1_3genE10ELNS1_11target_archE1200ELNS1_3gpuE4ELNS1_3repE0EEENS1_30default_config_static_selectorELNS0_4arch9wavefront6targetE0EEEvT1_.uses_flat_scratch, 0
	.set _ZN7rocprim17ROCPRIM_400000_NS6detail17trampoline_kernelINS0_14default_configENS1_27scan_by_key_config_selectorIxxEEZZNS1_16scan_by_key_implILNS1_25lookback_scan_determinismE0ELb1ES3_N6thrust23THRUST_200600_302600_NS6detail15normal_iteratorINS9_10device_ptrIxEEEESE_SE_xNS9_10multipliesIxEENS9_8equal_toIxEExEE10hipError_tPvRmT2_T3_T4_T5_mT6_T7_P12ihipStream_tbENKUlT_T0_E_clISt17integral_constantIbLb0EESY_IbLb1EEEEDaSU_SV_EUlSU_E_NS1_11comp_targetILNS1_3genE10ELNS1_11target_archE1200ELNS1_3gpuE4ELNS1_3repE0EEENS1_30default_config_static_selectorELNS0_4arch9wavefront6targetE0EEEvT1_.has_dyn_sized_stack, 0
	.set _ZN7rocprim17ROCPRIM_400000_NS6detail17trampoline_kernelINS0_14default_configENS1_27scan_by_key_config_selectorIxxEEZZNS1_16scan_by_key_implILNS1_25lookback_scan_determinismE0ELb1ES3_N6thrust23THRUST_200600_302600_NS6detail15normal_iteratorINS9_10device_ptrIxEEEESE_SE_xNS9_10multipliesIxEENS9_8equal_toIxEExEE10hipError_tPvRmT2_T3_T4_T5_mT6_T7_P12ihipStream_tbENKUlT_T0_E_clISt17integral_constantIbLb0EESY_IbLb1EEEEDaSU_SV_EUlSU_E_NS1_11comp_targetILNS1_3genE10ELNS1_11target_archE1200ELNS1_3gpuE4ELNS1_3repE0EEENS1_30default_config_static_selectorELNS0_4arch9wavefront6targetE0EEEvT1_.has_recursion, 0
	.set _ZN7rocprim17ROCPRIM_400000_NS6detail17trampoline_kernelINS0_14default_configENS1_27scan_by_key_config_selectorIxxEEZZNS1_16scan_by_key_implILNS1_25lookback_scan_determinismE0ELb1ES3_N6thrust23THRUST_200600_302600_NS6detail15normal_iteratorINS9_10device_ptrIxEEEESE_SE_xNS9_10multipliesIxEENS9_8equal_toIxEExEE10hipError_tPvRmT2_T3_T4_T5_mT6_T7_P12ihipStream_tbENKUlT_T0_E_clISt17integral_constantIbLb0EESY_IbLb1EEEEDaSU_SV_EUlSU_E_NS1_11comp_targetILNS1_3genE10ELNS1_11target_archE1200ELNS1_3gpuE4ELNS1_3repE0EEENS1_30default_config_static_selectorELNS0_4arch9wavefront6targetE0EEEvT1_.has_indirect_call, 0
	.section	.AMDGPU.csdata,"",@progbits
; Kernel info:
; codeLenInByte = 0
; TotalNumSgprs: 0
; NumVgprs: 0
; ScratchSize: 0
; MemoryBound: 0
; FloatMode: 240
; IeeeMode: 1
; LDSByteSize: 0 bytes/workgroup (compile time only)
; SGPRBlocks: 0
; VGPRBlocks: 0
; NumSGPRsForWavesPerEU: 1
; NumVGPRsForWavesPerEU: 1
; NamedBarCnt: 0
; Occupancy: 16
; WaveLimiterHint : 0
; COMPUTE_PGM_RSRC2:SCRATCH_EN: 0
; COMPUTE_PGM_RSRC2:USER_SGPR: 2
; COMPUTE_PGM_RSRC2:TRAP_HANDLER: 0
; COMPUTE_PGM_RSRC2:TGID_X_EN: 1
; COMPUTE_PGM_RSRC2:TGID_Y_EN: 0
; COMPUTE_PGM_RSRC2:TGID_Z_EN: 0
; COMPUTE_PGM_RSRC2:TIDIG_COMP_CNT: 0
	.section	.text._ZN7rocprim17ROCPRIM_400000_NS6detail17trampoline_kernelINS0_14default_configENS1_27scan_by_key_config_selectorIxxEEZZNS1_16scan_by_key_implILNS1_25lookback_scan_determinismE0ELb1ES3_N6thrust23THRUST_200600_302600_NS6detail15normal_iteratorINS9_10device_ptrIxEEEESE_SE_xNS9_10multipliesIxEENS9_8equal_toIxEExEE10hipError_tPvRmT2_T3_T4_T5_mT6_T7_P12ihipStream_tbENKUlT_T0_E_clISt17integral_constantIbLb0EESY_IbLb1EEEEDaSU_SV_EUlSU_E_NS1_11comp_targetILNS1_3genE9ELNS1_11target_archE1100ELNS1_3gpuE3ELNS1_3repE0EEENS1_30default_config_static_selectorELNS0_4arch9wavefront6targetE0EEEvT1_,"axG",@progbits,_ZN7rocprim17ROCPRIM_400000_NS6detail17trampoline_kernelINS0_14default_configENS1_27scan_by_key_config_selectorIxxEEZZNS1_16scan_by_key_implILNS1_25lookback_scan_determinismE0ELb1ES3_N6thrust23THRUST_200600_302600_NS6detail15normal_iteratorINS9_10device_ptrIxEEEESE_SE_xNS9_10multipliesIxEENS9_8equal_toIxEExEE10hipError_tPvRmT2_T3_T4_T5_mT6_T7_P12ihipStream_tbENKUlT_T0_E_clISt17integral_constantIbLb0EESY_IbLb1EEEEDaSU_SV_EUlSU_E_NS1_11comp_targetILNS1_3genE9ELNS1_11target_archE1100ELNS1_3gpuE3ELNS1_3repE0EEENS1_30default_config_static_selectorELNS0_4arch9wavefront6targetE0EEEvT1_,comdat
	.protected	_ZN7rocprim17ROCPRIM_400000_NS6detail17trampoline_kernelINS0_14default_configENS1_27scan_by_key_config_selectorIxxEEZZNS1_16scan_by_key_implILNS1_25lookback_scan_determinismE0ELb1ES3_N6thrust23THRUST_200600_302600_NS6detail15normal_iteratorINS9_10device_ptrIxEEEESE_SE_xNS9_10multipliesIxEENS9_8equal_toIxEExEE10hipError_tPvRmT2_T3_T4_T5_mT6_T7_P12ihipStream_tbENKUlT_T0_E_clISt17integral_constantIbLb0EESY_IbLb1EEEEDaSU_SV_EUlSU_E_NS1_11comp_targetILNS1_3genE9ELNS1_11target_archE1100ELNS1_3gpuE3ELNS1_3repE0EEENS1_30default_config_static_selectorELNS0_4arch9wavefront6targetE0EEEvT1_ ; -- Begin function _ZN7rocprim17ROCPRIM_400000_NS6detail17trampoline_kernelINS0_14default_configENS1_27scan_by_key_config_selectorIxxEEZZNS1_16scan_by_key_implILNS1_25lookback_scan_determinismE0ELb1ES3_N6thrust23THRUST_200600_302600_NS6detail15normal_iteratorINS9_10device_ptrIxEEEESE_SE_xNS9_10multipliesIxEENS9_8equal_toIxEExEE10hipError_tPvRmT2_T3_T4_T5_mT6_T7_P12ihipStream_tbENKUlT_T0_E_clISt17integral_constantIbLb0EESY_IbLb1EEEEDaSU_SV_EUlSU_E_NS1_11comp_targetILNS1_3genE9ELNS1_11target_archE1100ELNS1_3gpuE3ELNS1_3repE0EEENS1_30default_config_static_selectorELNS0_4arch9wavefront6targetE0EEEvT1_
	.globl	_ZN7rocprim17ROCPRIM_400000_NS6detail17trampoline_kernelINS0_14default_configENS1_27scan_by_key_config_selectorIxxEEZZNS1_16scan_by_key_implILNS1_25lookback_scan_determinismE0ELb1ES3_N6thrust23THRUST_200600_302600_NS6detail15normal_iteratorINS9_10device_ptrIxEEEESE_SE_xNS9_10multipliesIxEENS9_8equal_toIxEExEE10hipError_tPvRmT2_T3_T4_T5_mT6_T7_P12ihipStream_tbENKUlT_T0_E_clISt17integral_constantIbLb0EESY_IbLb1EEEEDaSU_SV_EUlSU_E_NS1_11comp_targetILNS1_3genE9ELNS1_11target_archE1100ELNS1_3gpuE3ELNS1_3repE0EEENS1_30default_config_static_selectorELNS0_4arch9wavefront6targetE0EEEvT1_
	.p2align	8
	.type	_ZN7rocprim17ROCPRIM_400000_NS6detail17trampoline_kernelINS0_14default_configENS1_27scan_by_key_config_selectorIxxEEZZNS1_16scan_by_key_implILNS1_25lookback_scan_determinismE0ELb1ES3_N6thrust23THRUST_200600_302600_NS6detail15normal_iteratorINS9_10device_ptrIxEEEESE_SE_xNS9_10multipliesIxEENS9_8equal_toIxEExEE10hipError_tPvRmT2_T3_T4_T5_mT6_T7_P12ihipStream_tbENKUlT_T0_E_clISt17integral_constantIbLb0EESY_IbLb1EEEEDaSU_SV_EUlSU_E_NS1_11comp_targetILNS1_3genE9ELNS1_11target_archE1100ELNS1_3gpuE3ELNS1_3repE0EEENS1_30default_config_static_selectorELNS0_4arch9wavefront6targetE0EEEvT1_,@function
_ZN7rocprim17ROCPRIM_400000_NS6detail17trampoline_kernelINS0_14default_configENS1_27scan_by_key_config_selectorIxxEEZZNS1_16scan_by_key_implILNS1_25lookback_scan_determinismE0ELb1ES3_N6thrust23THRUST_200600_302600_NS6detail15normal_iteratorINS9_10device_ptrIxEEEESE_SE_xNS9_10multipliesIxEENS9_8equal_toIxEExEE10hipError_tPvRmT2_T3_T4_T5_mT6_T7_P12ihipStream_tbENKUlT_T0_E_clISt17integral_constantIbLb0EESY_IbLb1EEEEDaSU_SV_EUlSU_E_NS1_11comp_targetILNS1_3genE9ELNS1_11target_archE1100ELNS1_3gpuE3ELNS1_3repE0EEENS1_30default_config_static_selectorELNS0_4arch9wavefront6targetE0EEEvT1_: ; @_ZN7rocprim17ROCPRIM_400000_NS6detail17trampoline_kernelINS0_14default_configENS1_27scan_by_key_config_selectorIxxEEZZNS1_16scan_by_key_implILNS1_25lookback_scan_determinismE0ELb1ES3_N6thrust23THRUST_200600_302600_NS6detail15normal_iteratorINS9_10device_ptrIxEEEESE_SE_xNS9_10multipliesIxEENS9_8equal_toIxEExEE10hipError_tPvRmT2_T3_T4_T5_mT6_T7_P12ihipStream_tbENKUlT_T0_E_clISt17integral_constantIbLb0EESY_IbLb1EEEEDaSU_SV_EUlSU_E_NS1_11comp_targetILNS1_3genE9ELNS1_11target_archE1100ELNS1_3gpuE3ELNS1_3repE0EEENS1_30default_config_static_selectorELNS0_4arch9wavefront6targetE0EEEvT1_
; %bb.0:
	.section	.rodata,"a",@progbits
	.p2align	6, 0x0
	.amdhsa_kernel _ZN7rocprim17ROCPRIM_400000_NS6detail17trampoline_kernelINS0_14default_configENS1_27scan_by_key_config_selectorIxxEEZZNS1_16scan_by_key_implILNS1_25lookback_scan_determinismE0ELb1ES3_N6thrust23THRUST_200600_302600_NS6detail15normal_iteratorINS9_10device_ptrIxEEEESE_SE_xNS9_10multipliesIxEENS9_8equal_toIxEExEE10hipError_tPvRmT2_T3_T4_T5_mT6_T7_P12ihipStream_tbENKUlT_T0_E_clISt17integral_constantIbLb0EESY_IbLb1EEEEDaSU_SV_EUlSU_E_NS1_11comp_targetILNS1_3genE9ELNS1_11target_archE1100ELNS1_3gpuE3ELNS1_3repE0EEENS1_30default_config_static_selectorELNS0_4arch9wavefront6targetE0EEEvT1_
		.amdhsa_group_segment_fixed_size 0
		.amdhsa_private_segment_fixed_size 0
		.amdhsa_kernarg_size 136
		.amdhsa_user_sgpr_count 2
		.amdhsa_user_sgpr_dispatch_ptr 0
		.amdhsa_user_sgpr_queue_ptr 0
		.amdhsa_user_sgpr_kernarg_segment_ptr 1
		.amdhsa_user_sgpr_dispatch_id 0
		.amdhsa_user_sgpr_kernarg_preload_length 0
		.amdhsa_user_sgpr_kernarg_preload_offset 0
		.amdhsa_user_sgpr_private_segment_size 0
		.amdhsa_wavefront_size32 1
		.amdhsa_uses_dynamic_stack 0
		.amdhsa_enable_private_segment 0
		.amdhsa_system_sgpr_workgroup_id_x 1
		.amdhsa_system_sgpr_workgroup_id_y 0
		.amdhsa_system_sgpr_workgroup_id_z 0
		.amdhsa_system_sgpr_workgroup_info 0
		.amdhsa_system_vgpr_workitem_id 0
		.amdhsa_next_free_vgpr 1
		.amdhsa_next_free_sgpr 1
		.amdhsa_named_barrier_count 0
		.amdhsa_reserve_vcc 0
		.amdhsa_float_round_mode_32 0
		.amdhsa_float_round_mode_16_64 0
		.amdhsa_float_denorm_mode_32 3
		.amdhsa_float_denorm_mode_16_64 3
		.amdhsa_fp16_overflow 0
		.amdhsa_memory_ordered 1
		.amdhsa_forward_progress 1
		.amdhsa_inst_pref_size 0
		.amdhsa_round_robin_scheduling 0
		.amdhsa_exception_fp_ieee_invalid_op 0
		.amdhsa_exception_fp_denorm_src 0
		.amdhsa_exception_fp_ieee_div_zero 0
		.amdhsa_exception_fp_ieee_overflow 0
		.amdhsa_exception_fp_ieee_underflow 0
		.amdhsa_exception_fp_ieee_inexact 0
		.amdhsa_exception_int_div_zero 0
	.end_amdhsa_kernel
	.section	.text._ZN7rocprim17ROCPRIM_400000_NS6detail17trampoline_kernelINS0_14default_configENS1_27scan_by_key_config_selectorIxxEEZZNS1_16scan_by_key_implILNS1_25lookback_scan_determinismE0ELb1ES3_N6thrust23THRUST_200600_302600_NS6detail15normal_iteratorINS9_10device_ptrIxEEEESE_SE_xNS9_10multipliesIxEENS9_8equal_toIxEExEE10hipError_tPvRmT2_T3_T4_T5_mT6_T7_P12ihipStream_tbENKUlT_T0_E_clISt17integral_constantIbLb0EESY_IbLb1EEEEDaSU_SV_EUlSU_E_NS1_11comp_targetILNS1_3genE9ELNS1_11target_archE1100ELNS1_3gpuE3ELNS1_3repE0EEENS1_30default_config_static_selectorELNS0_4arch9wavefront6targetE0EEEvT1_,"axG",@progbits,_ZN7rocprim17ROCPRIM_400000_NS6detail17trampoline_kernelINS0_14default_configENS1_27scan_by_key_config_selectorIxxEEZZNS1_16scan_by_key_implILNS1_25lookback_scan_determinismE0ELb1ES3_N6thrust23THRUST_200600_302600_NS6detail15normal_iteratorINS9_10device_ptrIxEEEESE_SE_xNS9_10multipliesIxEENS9_8equal_toIxEExEE10hipError_tPvRmT2_T3_T4_T5_mT6_T7_P12ihipStream_tbENKUlT_T0_E_clISt17integral_constantIbLb0EESY_IbLb1EEEEDaSU_SV_EUlSU_E_NS1_11comp_targetILNS1_3genE9ELNS1_11target_archE1100ELNS1_3gpuE3ELNS1_3repE0EEENS1_30default_config_static_selectorELNS0_4arch9wavefront6targetE0EEEvT1_,comdat
.Lfunc_end423:
	.size	_ZN7rocprim17ROCPRIM_400000_NS6detail17trampoline_kernelINS0_14default_configENS1_27scan_by_key_config_selectorIxxEEZZNS1_16scan_by_key_implILNS1_25lookback_scan_determinismE0ELb1ES3_N6thrust23THRUST_200600_302600_NS6detail15normal_iteratorINS9_10device_ptrIxEEEESE_SE_xNS9_10multipliesIxEENS9_8equal_toIxEExEE10hipError_tPvRmT2_T3_T4_T5_mT6_T7_P12ihipStream_tbENKUlT_T0_E_clISt17integral_constantIbLb0EESY_IbLb1EEEEDaSU_SV_EUlSU_E_NS1_11comp_targetILNS1_3genE9ELNS1_11target_archE1100ELNS1_3gpuE3ELNS1_3repE0EEENS1_30default_config_static_selectorELNS0_4arch9wavefront6targetE0EEEvT1_, .Lfunc_end423-_ZN7rocprim17ROCPRIM_400000_NS6detail17trampoline_kernelINS0_14default_configENS1_27scan_by_key_config_selectorIxxEEZZNS1_16scan_by_key_implILNS1_25lookback_scan_determinismE0ELb1ES3_N6thrust23THRUST_200600_302600_NS6detail15normal_iteratorINS9_10device_ptrIxEEEESE_SE_xNS9_10multipliesIxEENS9_8equal_toIxEExEE10hipError_tPvRmT2_T3_T4_T5_mT6_T7_P12ihipStream_tbENKUlT_T0_E_clISt17integral_constantIbLb0EESY_IbLb1EEEEDaSU_SV_EUlSU_E_NS1_11comp_targetILNS1_3genE9ELNS1_11target_archE1100ELNS1_3gpuE3ELNS1_3repE0EEENS1_30default_config_static_selectorELNS0_4arch9wavefront6targetE0EEEvT1_
                                        ; -- End function
	.set _ZN7rocprim17ROCPRIM_400000_NS6detail17trampoline_kernelINS0_14default_configENS1_27scan_by_key_config_selectorIxxEEZZNS1_16scan_by_key_implILNS1_25lookback_scan_determinismE0ELb1ES3_N6thrust23THRUST_200600_302600_NS6detail15normal_iteratorINS9_10device_ptrIxEEEESE_SE_xNS9_10multipliesIxEENS9_8equal_toIxEExEE10hipError_tPvRmT2_T3_T4_T5_mT6_T7_P12ihipStream_tbENKUlT_T0_E_clISt17integral_constantIbLb0EESY_IbLb1EEEEDaSU_SV_EUlSU_E_NS1_11comp_targetILNS1_3genE9ELNS1_11target_archE1100ELNS1_3gpuE3ELNS1_3repE0EEENS1_30default_config_static_selectorELNS0_4arch9wavefront6targetE0EEEvT1_.num_vgpr, 0
	.set _ZN7rocprim17ROCPRIM_400000_NS6detail17trampoline_kernelINS0_14default_configENS1_27scan_by_key_config_selectorIxxEEZZNS1_16scan_by_key_implILNS1_25lookback_scan_determinismE0ELb1ES3_N6thrust23THRUST_200600_302600_NS6detail15normal_iteratorINS9_10device_ptrIxEEEESE_SE_xNS9_10multipliesIxEENS9_8equal_toIxEExEE10hipError_tPvRmT2_T3_T4_T5_mT6_T7_P12ihipStream_tbENKUlT_T0_E_clISt17integral_constantIbLb0EESY_IbLb1EEEEDaSU_SV_EUlSU_E_NS1_11comp_targetILNS1_3genE9ELNS1_11target_archE1100ELNS1_3gpuE3ELNS1_3repE0EEENS1_30default_config_static_selectorELNS0_4arch9wavefront6targetE0EEEvT1_.num_agpr, 0
	.set _ZN7rocprim17ROCPRIM_400000_NS6detail17trampoline_kernelINS0_14default_configENS1_27scan_by_key_config_selectorIxxEEZZNS1_16scan_by_key_implILNS1_25lookback_scan_determinismE0ELb1ES3_N6thrust23THRUST_200600_302600_NS6detail15normal_iteratorINS9_10device_ptrIxEEEESE_SE_xNS9_10multipliesIxEENS9_8equal_toIxEExEE10hipError_tPvRmT2_T3_T4_T5_mT6_T7_P12ihipStream_tbENKUlT_T0_E_clISt17integral_constantIbLb0EESY_IbLb1EEEEDaSU_SV_EUlSU_E_NS1_11comp_targetILNS1_3genE9ELNS1_11target_archE1100ELNS1_3gpuE3ELNS1_3repE0EEENS1_30default_config_static_selectorELNS0_4arch9wavefront6targetE0EEEvT1_.numbered_sgpr, 0
	.set _ZN7rocprim17ROCPRIM_400000_NS6detail17trampoline_kernelINS0_14default_configENS1_27scan_by_key_config_selectorIxxEEZZNS1_16scan_by_key_implILNS1_25lookback_scan_determinismE0ELb1ES3_N6thrust23THRUST_200600_302600_NS6detail15normal_iteratorINS9_10device_ptrIxEEEESE_SE_xNS9_10multipliesIxEENS9_8equal_toIxEExEE10hipError_tPvRmT2_T3_T4_T5_mT6_T7_P12ihipStream_tbENKUlT_T0_E_clISt17integral_constantIbLb0EESY_IbLb1EEEEDaSU_SV_EUlSU_E_NS1_11comp_targetILNS1_3genE9ELNS1_11target_archE1100ELNS1_3gpuE3ELNS1_3repE0EEENS1_30default_config_static_selectorELNS0_4arch9wavefront6targetE0EEEvT1_.num_named_barrier, 0
	.set _ZN7rocprim17ROCPRIM_400000_NS6detail17trampoline_kernelINS0_14default_configENS1_27scan_by_key_config_selectorIxxEEZZNS1_16scan_by_key_implILNS1_25lookback_scan_determinismE0ELb1ES3_N6thrust23THRUST_200600_302600_NS6detail15normal_iteratorINS9_10device_ptrIxEEEESE_SE_xNS9_10multipliesIxEENS9_8equal_toIxEExEE10hipError_tPvRmT2_T3_T4_T5_mT6_T7_P12ihipStream_tbENKUlT_T0_E_clISt17integral_constantIbLb0EESY_IbLb1EEEEDaSU_SV_EUlSU_E_NS1_11comp_targetILNS1_3genE9ELNS1_11target_archE1100ELNS1_3gpuE3ELNS1_3repE0EEENS1_30default_config_static_selectorELNS0_4arch9wavefront6targetE0EEEvT1_.private_seg_size, 0
	.set _ZN7rocprim17ROCPRIM_400000_NS6detail17trampoline_kernelINS0_14default_configENS1_27scan_by_key_config_selectorIxxEEZZNS1_16scan_by_key_implILNS1_25lookback_scan_determinismE0ELb1ES3_N6thrust23THRUST_200600_302600_NS6detail15normal_iteratorINS9_10device_ptrIxEEEESE_SE_xNS9_10multipliesIxEENS9_8equal_toIxEExEE10hipError_tPvRmT2_T3_T4_T5_mT6_T7_P12ihipStream_tbENKUlT_T0_E_clISt17integral_constantIbLb0EESY_IbLb1EEEEDaSU_SV_EUlSU_E_NS1_11comp_targetILNS1_3genE9ELNS1_11target_archE1100ELNS1_3gpuE3ELNS1_3repE0EEENS1_30default_config_static_selectorELNS0_4arch9wavefront6targetE0EEEvT1_.uses_vcc, 0
	.set _ZN7rocprim17ROCPRIM_400000_NS6detail17trampoline_kernelINS0_14default_configENS1_27scan_by_key_config_selectorIxxEEZZNS1_16scan_by_key_implILNS1_25lookback_scan_determinismE0ELb1ES3_N6thrust23THRUST_200600_302600_NS6detail15normal_iteratorINS9_10device_ptrIxEEEESE_SE_xNS9_10multipliesIxEENS9_8equal_toIxEExEE10hipError_tPvRmT2_T3_T4_T5_mT6_T7_P12ihipStream_tbENKUlT_T0_E_clISt17integral_constantIbLb0EESY_IbLb1EEEEDaSU_SV_EUlSU_E_NS1_11comp_targetILNS1_3genE9ELNS1_11target_archE1100ELNS1_3gpuE3ELNS1_3repE0EEENS1_30default_config_static_selectorELNS0_4arch9wavefront6targetE0EEEvT1_.uses_flat_scratch, 0
	.set _ZN7rocprim17ROCPRIM_400000_NS6detail17trampoline_kernelINS0_14default_configENS1_27scan_by_key_config_selectorIxxEEZZNS1_16scan_by_key_implILNS1_25lookback_scan_determinismE0ELb1ES3_N6thrust23THRUST_200600_302600_NS6detail15normal_iteratorINS9_10device_ptrIxEEEESE_SE_xNS9_10multipliesIxEENS9_8equal_toIxEExEE10hipError_tPvRmT2_T3_T4_T5_mT6_T7_P12ihipStream_tbENKUlT_T0_E_clISt17integral_constantIbLb0EESY_IbLb1EEEEDaSU_SV_EUlSU_E_NS1_11comp_targetILNS1_3genE9ELNS1_11target_archE1100ELNS1_3gpuE3ELNS1_3repE0EEENS1_30default_config_static_selectorELNS0_4arch9wavefront6targetE0EEEvT1_.has_dyn_sized_stack, 0
	.set _ZN7rocprim17ROCPRIM_400000_NS6detail17trampoline_kernelINS0_14default_configENS1_27scan_by_key_config_selectorIxxEEZZNS1_16scan_by_key_implILNS1_25lookback_scan_determinismE0ELb1ES3_N6thrust23THRUST_200600_302600_NS6detail15normal_iteratorINS9_10device_ptrIxEEEESE_SE_xNS9_10multipliesIxEENS9_8equal_toIxEExEE10hipError_tPvRmT2_T3_T4_T5_mT6_T7_P12ihipStream_tbENKUlT_T0_E_clISt17integral_constantIbLb0EESY_IbLb1EEEEDaSU_SV_EUlSU_E_NS1_11comp_targetILNS1_3genE9ELNS1_11target_archE1100ELNS1_3gpuE3ELNS1_3repE0EEENS1_30default_config_static_selectorELNS0_4arch9wavefront6targetE0EEEvT1_.has_recursion, 0
	.set _ZN7rocprim17ROCPRIM_400000_NS6detail17trampoline_kernelINS0_14default_configENS1_27scan_by_key_config_selectorIxxEEZZNS1_16scan_by_key_implILNS1_25lookback_scan_determinismE0ELb1ES3_N6thrust23THRUST_200600_302600_NS6detail15normal_iteratorINS9_10device_ptrIxEEEESE_SE_xNS9_10multipliesIxEENS9_8equal_toIxEExEE10hipError_tPvRmT2_T3_T4_T5_mT6_T7_P12ihipStream_tbENKUlT_T0_E_clISt17integral_constantIbLb0EESY_IbLb1EEEEDaSU_SV_EUlSU_E_NS1_11comp_targetILNS1_3genE9ELNS1_11target_archE1100ELNS1_3gpuE3ELNS1_3repE0EEENS1_30default_config_static_selectorELNS0_4arch9wavefront6targetE0EEEvT1_.has_indirect_call, 0
	.section	.AMDGPU.csdata,"",@progbits
; Kernel info:
; codeLenInByte = 0
; TotalNumSgprs: 0
; NumVgprs: 0
; ScratchSize: 0
; MemoryBound: 0
; FloatMode: 240
; IeeeMode: 1
; LDSByteSize: 0 bytes/workgroup (compile time only)
; SGPRBlocks: 0
; VGPRBlocks: 0
; NumSGPRsForWavesPerEU: 1
; NumVGPRsForWavesPerEU: 1
; NamedBarCnt: 0
; Occupancy: 16
; WaveLimiterHint : 0
; COMPUTE_PGM_RSRC2:SCRATCH_EN: 0
; COMPUTE_PGM_RSRC2:USER_SGPR: 2
; COMPUTE_PGM_RSRC2:TRAP_HANDLER: 0
; COMPUTE_PGM_RSRC2:TGID_X_EN: 1
; COMPUTE_PGM_RSRC2:TGID_Y_EN: 0
; COMPUTE_PGM_RSRC2:TGID_Z_EN: 0
; COMPUTE_PGM_RSRC2:TIDIG_COMP_CNT: 0
	.section	.text._ZN7rocprim17ROCPRIM_400000_NS6detail17trampoline_kernelINS0_14default_configENS1_27scan_by_key_config_selectorIxxEEZZNS1_16scan_by_key_implILNS1_25lookback_scan_determinismE0ELb1ES3_N6thrust23THRUST_200600_302600_NS6detail15normal_iteratorINS9_10device_ptrIxEEEESE_SE_xNS9_10multipliesIxEENS9_8equal_toIxEExEE10hipError_tPvRmT2_T3_T4_T5_mT6_T7_P12ihipStream_tbENKUlT_T0_E_clISt17integral_constantIbLb0EESY_IbLb1EEEEDaSU_SV_EUlSU_E_NS1_11comp_targetILNS1_3genE8ELNS1_11target_archE1030ELNS1_3gpuE2ELNS1_3repE0EEENS1_30default_config_static_selectorELNS0_4arch9wavefront6targetE0EEEvT1_,"axG",@progbits,_ZN7rocprim17ROCPRIM_400000_NS6detail17trampoline_kernelINS0_14default_configENS1_27scan_by_key_config_selectorIxxEEZZNS1_16scan_by_key_implILNS1_25lookback_scan_determinismE0ELb1ES3_N6thrust23THRUST_200600_302600_NS6detail15normal_iteratorINS9_10device_ptrIxEEEESE_SE_xNS9_10multipliesIxEENS9_8equal_toIxEExEE10hipError_tPvRmT2_T3_T4_T5_mT6_T7_P12ihipStream_tbENKUlT_T0_E_clISt17integral_constantIbLb0EESY_IbLb1EEEEDaSU_SV_EUlSU_E_NS1_11comp_targetILNS1_3genE8ELNS1_11target_archE1030ELNS1_3gpuE2ELNS1_3repE0EEENS1_30default_config_static_selectorELNS0_4arch9wavefront6targetE0EEEvT1_,comdat
	.protected	_ZN7rocprim17ROCPRIM_400000_NS6detail17trampoline_kernelINS0_14default_configENS1_27scan_by_key_config_selectorIxxEEZZNS1_16scan_by_key_implILNS1_25lookback_scan_determinismE0ELb1ES3_N6thrust23THRUST_200600_302600_NS6detail15normal_iteratorINS9_10device_ptrIxEEEESE_SE_xNS9_10multipliesIxEENS9_8equal_toIxEExEE10hipError_tPvRmT2_T3_T4_T5_mT6_T7_P12ihipStream_tbENKUlT_T0_E_clISt17integral_constantIbLb0EESY_IbLb1EEEEDaSU_SV_EUlSU_E_NS1_11comp_targetILNS1_3genE8ELNS1_11target_archE1030ELNS1_3gpuE2ELNS1_3repE0EEENS1_30default_config_static_selectorELNS0_4arch9wavefront6targetE0EEEvT1_ ; -- Begin function _ZN7rocprim17ROCPRIM_400000_NS6detail17trampoline_kernelINS0_14default_configENS1_27scan_by_key_config_selectorIxxEEZZNS1_16scan_by_key_implILNS1_25lookback_scan_determinismE0ELb1ES3_N6thrust23THRUST_200600_302600_NS6detail15normal_iteratorINS9_10device_ptrIxEEEESE_SE_xNS9_10multipliesIxEENS9_8equal_toIxEExEE10hipError_tPvRmT2_T3_T4_T5_mT6_T7_P12ihipStream_tbENKUlT_T0_E_clISt17integral_constantIbLb0EESY_IbLb1EEEEDaSU_SV_EUlSU_E_NS1_11comp_targetILNS1_3genE8ELNS1_11target_archE1030ELNS1_3gpuE2ELNS1_3repE0EEENS1_30default_config_static_selectorELNS0_4arch9wavefront6targetE0EEEvT1_
	.globl	_ZN7rocprim17ROCPRIM_400000_NS6detail17trampoline_kernelINS0_14default_configENS1_27scan_by_key_config_selectorIxxEEZZNS1_16scan_by_key_implILNS1_25lookback_scan_determinismE0ELb1ES3_N6thrust23THRUST_200600_302600_NS6detail15normal_iteratorINS9_10device_ptrIxEEEESE_SE_xNS9_10multipliesIxEENS9_8equal_toIxEExEE10hipError_tPvRmT2_T3_T4_T5_mT6_T7_P12ihipStream_tbENKUlT_T0_E_clISt17integral_constantIbLb0EESY_IbLb1EEEEDaSU_SV_EUlSU_E_NS1_11comp_targetILNS1_3genE8ELNS1_11target_archE1030ELNS1_3gpuE2ELNS1_3repE0EEENS1_30default_config_static_selectorELNS0_4arch9wavefront6targetE0EEEvT1_
	.p2align	8
	.type	_ZN7rocprim17ROCPRIM_400000_NS6detail17trampoline_kernelINS0_14default_configENS1_27scan_by_key_config_selectorIxxEEZZNS1_16scan_by_key_implILNS1_25lookback_scan_determinismE0ELb1ES3_N6thrust23THRUST_200600_302600_NS6detail15normal_iteratorINS9_10device_ptrIxEEEESE_SE_xNS9_10multipliesIxEENS9_8equal_toIxEExEE10hipError_tPvRmT2_T3_T4_T5_mT6_T7_P12ihipStream_tbENKUlT_T0_E_clISt17integral_constantIbLb0EESY_IbLb1EEEEDaSU_SV_EUlSU_E_NS1_11comp_targetILNS1_3genE8ELNS1_11target_archE1030ELNS1_3gpuE2ELNS1_3repE0EEENS1_30default_config_static_selectorELNS0_4arch9wavefront6targetE0EEEvT1_,@function
_ZN7rocprim17ROCPRIM_400000_NS6detail17trampoline_kernelINS0_14default_configENS1_27scan_by_key_config_selectorIxxEEZZNS1_16scan_by_key_implILNS1_25lookback_scan_determinismE0ELb1ES3_N6thrust23THRUST_200600_302600_NS6detail15normal_iteratorINS9_10device_ptrIxEEEESE_SE_xNS9_10multipliesIxEENS9_8equal_toIxEExEE10hipError_tPvRmT2_T3_T4_T5_mT6_T7_P12ihipStream_tbENKUlT_T0_E_clISt17integral_constantIbLb0EESY_IbLb1EEEEDaSU_SV_EUlSU_E_NS1_11comp_targetILNS1_3genE8ELNS1_11target_archE1030ELNS1_3gpuE2ELNS1_3repE0EEENS1_30default_config_static_selectorELNS0_4arch9wavefront6targetE0EEEvT1_: ; @_ZN7rocprim17ROCPRIM_400000_NS6detail17trampoline_kernelINS0_14default_configENS1_27scan_by_key_config_selectorIxxEEZZNS1_16scan_by_key_implILNS1_25lookback_scan_determinismE0ELb1ES3_N6thrust23THRUST_200600_302600_NS6detail15normal_iteratorINS9_10device_ptrIxEEEESE_SE_xNS9_10multipliesIxEENS9_8equal_toIxEExEE10hipError_tPvRmT2_T3_T4_T5_mT6_T7_P12ihipStream_tbENKUlT_T0_E_clISt17integral_constantIbLb0EESY_IbLb1EEEEDaSU_SV_EUlSU_E_NS1_11comp_targetILNS1_3genE8ELNS1_11target_archE1030ELNS1_3gpuE2ELNS1_3repE0EEENS1_30default_config_static_selectorELNS0_4arch9wavefront6targetE0EEEvT1_
; %bb.0:
	.section	.rodata,"a",@progbits
	.p2align	6, 0x0
	.amdhsa_kernel _ZN7rocprim17ROCPRIM_400000_NS6detail17trampoline_kernelINS0_14default_configENS1_27scan_by_key_config_selectorIxxEEZZNS1_16scan_by_key_implILNS1_25lookback_scan_determinismE0ELb1ES3_N6thrust23THRUST_200600_302600_NS6detail15normal_iteratorINS9_10device_ptrIxEEEESE_SE_xNS9_10multipliesIxEENS9_8equal_toIxEExEE10hipError_tPvRmT2_T3_T4_T5_mT6_T7_P12ihipStream_tbENKUlT_T0_E_clISt17integral_constantIbLb0EESY_IbLb1EEEEDaSU_SV_EUlSU_E_NS1_11comp_targetILNS1_3genE8ELNS1_11target_archE1030ELNS1_3gpuE2ELNS1_3repE0EEENS1_30default_config_static_selectorELNS0_4arch9wavefront6targetE0EEEvT1_
		.amdhsa_group_segment_fixed_size 0
		.amdhsa_private_segment_fixed_size 0
		.amdhsa_kernarg_size 136
		.amdhsa_user_sgpr_count 2
		.amdhsa_user_sgpr_dispatch_ptr 0
		.amdhsa_user_sgpr_queue_ptr 0
		.amdhsa_user_sgpr_kernarg_segment_ptr 1
		.amdhsa_user_sgpr_dispatch_id 0
		.amdhsa_user_sgpr_kernarg_preload_length 0
		.amdhsa_user_sgpr_kernarg_preload_offset 0
		.amdhsa_user_sgpr_private_segment_size 0
		.amdhsa_wavefront_size32 1
		.amdhsa_uses_dynamic_stack 0
		.amdhsa_enable_private_segment 0
		.amdhsa_system_sgpr_workgroup_id_x 1
		.amdhsa_system_sgpr_workgroup_id_y 0
		.amdhsa_system_sgpr_workgroup_id_z 0
		.amdhsa_system_sgpr_workgroup_info 0
		.amdhsa_system_vgpr_workitem_id 0
		.amdhsa_next_free_vgpr 1
		.amdhsa_next_free_sgpr 1
		.amdhsa_named_barrier_count 0
		.amdhsa_reserve_vcc 0
		.amdhsa_float_round_mode_32 0
		.amdhsa_float_round_mode_16_64 0
		.amdhsa_float_denorm_mode_32 3
		.amdhsa_float_denorm_mode_16_64 3
		.amdhsa_fp16_overflow 0
		.amdhsa_memory_ordered 1
		.amdhsa_forward_progress 1
		.amdhsa_inst_pref_size 0
		.amdhsa_round_robin_scheduling 0
		.amdhsa_exception_fp_ieee_invalid_op 0
		.amdhsa_exception_fp_denorm_src 0
		.amdhsa_exception_fp_ieee_div_zero 0
		.amdhsa_exception_fp_ieee_overflow 0
		.amdhsa_exception_fp_ieee_underflow 0
		.amdhsa_exception_fp_ieee_inexact 0
		.amdhsa_exception_int_div_zero 0
	.end_amdhsa_kernel
	.section	.text._ZN7rocprim17ROCPRIM_400000_NS6detail17trampoline_kernelINS0_14default_configENS1_27scan_by_key_config_selectorIxxEEZZNS1_16scan_by_key_implILNS1_25lookback_scan_determinismE0ELb1ES3_N6thrust23THRUST_200600_302600_NS6detail15normal_iteratorINS9_10device_ptrIxEEEESE_SE_xNS9_10multipliesIxEENS9_8equal_toIxEExEE10hipError_tPvRmT2_T3_T4_T5_mT6_T7_P12ihipStream_tbENKUlT_T0_E_clISt17integral_constantIbLb0EESY_IbLb1EEEEDaSU_SV_EUlSU_E_NS1_11comp_targetILNS1_3genE8ELNS1_11target_archE1030ELNS1_3gpuE2ELNS1_3repE0EEENS1_30default_config_static_selectorELNS0_4arch9wavefront6targetE0EEEvT1_,"axG",@progbits,_ZN7rocprim17ROCPRIM_400000_NS6detail17trampoline_kernelINS0_14default_configENS1_27scan_by_key_config_selectorIxxEEZZNS1_16scan_by_key_implILNS1_25lookback_scan_determinismE0ELb1ES3_N6thrust23THRUST_200600_302600_NS6detail15normal_iteratorINS9_10device_ptrIxEEEESE_SE_xNS9_10multipliesIxEENS9_8equal_toIxEExEE10hipError_tPvRmT2_T3_T4_T5_mT6_T7_P12ihipStream_tbENKUlT_T0_E_clISt17integral_constantIbLb0EESY_IbLb1EEEEDaSU_SV_EUlSU_E_NS1_11comp_targetILNS1_3genE8ELNS1_11target_archE1030ELNS1_3gpuE2ELNS1_3repE0EEENS1_30default_config_static_selectorELNS0_4arch9wavefront6targetE0EEEvT1_,comdat
.Lfunc_end424:
	.size	_ZN7rocprim17ROCPRIM_400000_NS6detail17trampoline_kernelINS0_14default_configENS1_27scan_by_key_config_selectorIxxEEZZNS1_16scan_by_key_implILNS1_25lookback_scan_determinismE0ELb1ES3_N6thrust23THRUST_200600_302600_NS6detail15normal_iteratorINS9_10device_ptrIxEEEESE_SE_xNS9_10multipliesIxEENS9_8equal_toIxEExEE10hipError_tPvRmT2_T3_T4_T5_mT6_T7_P12ihipStream_tbENKUlT_T0_E_clISt17integral_constantIbLb0EESY_IbLb1EEEEDaSU_SV_EUlSU_E_NS1_11comp_targetILNS1_3genE8ELNS1_11target_archE1030ELNS1_3gpuE2ELNS1_3repE0EEENS1_30default_config_static_selectorELNS0_4arch9wavefront6targetE0EEEvT1_, .Lfunc_end424-_ZN7rocprim17ROCPRIM_400000_NS6detail17trampoline_kernelINS0_14default_configENS1_27scan_by_key_config_selectorIxxEEZZNS1_16scan_by_key_implILNS1_25lookback_scan_determinismE0ELb1ES3_N6thrust23THRUST_200600_302600_NS6detail15normal_iteratorINS9_10device_ptrIxEEEESE_SE_xNS9_10multipliesIxEENS9_8equal_toIxEExEE10hipError_tPvRmT2_T3_T4_T5_mT6_T7_P12ihipStream_tbENKUlT_T0_E_clISt17integral_constantIbLb0EESY_IbLb1EEEEDaSU_SV_EUlSU_E_NS1_11comp_targetILNS1_3genE8ELNS1_11target_archE1030ELNS1_3gpuE2ELNS1_3repE0EEENS1_30default_config_static_selectorELNS0_4arch9wavefront6targetE0EEEvT1_
                                        ; -- End function
	.set _ZN7rocprim17ROCPRIM_400000_NS6detail17trampoline_kernelINS0_14default_configENS1_27scan_by_key_config_selectorIxxEEZZNS1_16scan_by_key_implILNS1_25lookback_scan_determinismE0ELb1ES3_N6thrust23THRUST_200600_302600_NS6detail15normal_iteratorINS9_10device_ptrIxEEEESE_SE_xNS9_10multipliesIxEENS9_8equal_toIxEExEE10hipError_tPvRmT2_T3_T4_T5_mT6_T7_P12ihipStream_tbENKUlT_T0_E_clISt17integral_constantIbLb0EESY_IbLb1EEEEDaSU_SV_EUlSU_E_NS1_11comp_targetILNS1_3genE8ELNS1_11target_archE1030ELNS1_3gpuE2ELNS1_3repE0EEENS1_30default_config_static_selectorELNS0_4arch9wavefront6targetE0EEEvT1_.num_vgpr, 0
	.set _ZN7rocprim17ROCPRIM_400000_NS6detail17trampoline_kernelINS0_14default_configENS1_27scan_by_key_config_selectorIxxEEZZNS1_16scan_by_key_implILNS1_25lookback_scan_determinismE0ELb1ES3_N6thrust23THRUST_200600_302600_NS6detail15normal_iteratorINS9_10device_ptrIxEEEESE_SE_xNS9_10multipliesIxEENS9_8equal_toIxEExEE10hipError_tPvRmT2_T3_T4_T5_mT6_T7_P12ihipStream_tbENKUlT_T0_E_clISt17integral_constantIbLb0EESY_IbLb1EEEEDaSU_SV_EUlSU_E_NS1_11comp_targetILNS1_3genE8ELNS1_11target_archE1030ELNS1_3gpuE2ELNS1_3repE0EEENS1_30default_config_static_selectorELNS0_4arch9wavefront6targetE0EEEvT1_.num_agpr, 0
	.set _ZN7rocprim17ROCPRIM_400000_NS6detail17trampoline_kernelINS0_14default_configENS1_27scan_by_key_config_selectorIxxEEZZNS1_16scan_by_key_implILNS1_25lookback_scan_determinismE0ELb1ES3_N6thrust23THRUST_200600_302600_NS6detail15normal_iteratorINS9_10device_ptrIxEEEESE_SE_xNS9_10multipliesIxEENS9_8equal_toIxEExEE10hipError_tPvRmT2_T3_T4_T5_mT6_T7_P12ihipStream_tbENKUlT_T0_E_clISt17integral_constantIbLb0EESY_IbLb1EEEEDaSU_SV_EUlSU_E_NS1_11comp_targetILNS1_3genE8ELNS1_11target_archE1030ELNS1_3gpuE2ELNS1_3repE0EEENS1_30default_config_static_selectorELNS0_4arch9wavefront6targetE0EEEvT1_.numbered_sgpr, 0
	.set _ZN7rocprim17ROCPRIM_400000_NS6detail17trampoline_kernelINS0_14default_configENS1_27scan_by_key_config_selectorIxxEEZZNS1_16scan_by_key_implILNS1_25lookback_scan_determinismE0ELb1ES3_N6thrust23THRUST_200600_302600_NS6detail15normal_iteratorINS9_10device_ptrIxEEEESE_SE_xNS9_10multipliesIxEENS9_8equal_toIxEExEE10hipError_tPvRmT2_T3_T4_T5_mT6_T7_P12ihipStream_tbENKUlT_T0_E_clISt17integral_constantIbLb0EESY_IbLb1EEEEDaSU_SV_EUlSU_E_NS1_11comp_targetILNS1_3genE8ELNS1_11target_archE1030ELNS1_3gpuE2ELNS1_3repE0EEENS1_30default_config_static_selectorELNS0_4arch9wavefront6targetE0EEEvT1_.num_named_barrier, 0
	.set _ZN7rocprim17ROCPRIM_400000_NS6detail17trampoline_kernelINS0_14default_configENS1_27scan_by_key_config_selectorIxxEEZZNS1_16scan_by_key_implILNS1_25lookback_scan_determinismE0ELb1ES3_N6thrust23THRUST_200600_302600_NS6detail15normal_iteratorINS9_10device_ptrIxEEEESE_SE_xNS9_10multipliesIxEENS9_8equal_toIxEExEE10hipError_tPvRmT2_T3_T4_T5_mT6_T7_P12ihipStream_tbENKUlT_T0_E_clISt17integral_constantIbLb0EESY_IbLb1EEEEDaSU_SV_EUlSU_E_NS1_11comp_targetILNS1_3genE8ELNS1_11target_archE1030ELNS1_3gpuE2ELNS1_3repE0EEENS1_30default_config_static_selectorELNS0_4arch9wavefront6targetE0EEEvT1_.private_seg_size, 0
	.set _ZN7rocprim17ROCPRIM_400000_NS6detail17trampoline_kernelINS0_14default_configENS1_27scan_by_key_config_selectorIxxEEZZNS1_16scan_by_key_implILNS1_25lookback_scan_determinismE0ELb1ES3_N6thrust23THRUST_200600_302600_NS6detail15normal_iteratorINS9_10device_ptrIxEEEESE_SE_xNS9_10multipliesIxEENS9_8equal_toIxEExEE10hipError_tPvRmT2_T3_T4_T5_mT6_T7_P12ihipStream_tbENKUlT_T0_E_clISt17integral_constantIbLb0EESY_IbLb1EEEEDaSU_SV_EUlSU_E_NS1_11comp_targetILNS1_3genE8ELNS1_11target_archE1030ELNS1_3gpuE2ELNS1_3repE0EEENS1_30default_config_static_selectorELNS0_4arch9wavefront6targetE0EEEvT1_.uses_vcc, 0
	.set _ZN7rocprim17ROCPRIM_400000_NS6detail17trampoline_kernelINS0_14default_configENS1_27scan_by_key_config_selectorIxxEEZZNS1_16scan_by_key_implILNS1_25lookback_scan_determinismE0ELb1ES3_N6thrust23THRUST_200600_302600_NS6detail15normal_iteratorINS9_10device_ptrIxEEEESE_SE_xNS9_10multipliesIxEENS9_8equal_toIxEExEE10hipError_tPvRmT2_T3_T4_T5_mT6_T7_P12ihipStream_tbENKUlT_T0_E_clISt17integral_constantIbLb0EESY_IbLb1EEEEDaSU_SV_EUlSU_E_NS1_11comp_targetILNS1_3genE8ELNS1_11target_archE1030ELNS1_3gpuE2ELNS1_3repE0EEENS1_30default_config_static_selectorELNS0_4arch9wavefront6targetE0EEEvT1_.uses_flat_scratch, 0
	.set _ZN7rocprim17ROCPRIM_400000_NS6detail17trampoline_kernelINS0_14default_configENS1_27scan_by_key_config_selectorIxxEEZZNS1_16scan_by_key_implILNS1_25lookback_scan_determinismE0ELb1ES3_N6thrust23THRUST_200600_302600_NS6detail15normal_iteratorINS9_10device_ptrIxEEEESE_SE_xNS9_10multipliesIxEENS9_8equal_toIxEExEE10hipError_tPvRmT2_T3_T4_T5_mT6_T7_P12ihipStream_tbENKUlT_T0_E_clISt17integral_constantIbLb0EESY_IbLb1EEEEDaSU_SV_EUlSU_E_NS1_11comp_targetILNS1_3genE8ELNS1_11target_archE1030ELNS1_3gpuE2ELNS1_3repE0EEENS1_30default_config_static_selectorELNS0_4arch9wavefront6targetE0EEEvT1_.has_dyn_sized_stack, 0
	.set _ZN7rocprim17ROCPRIM_400000_NS6detail17trampoline_kernelINS0_14default_configENS1_27scan_by_key_config_selectorIxxEEZZNS1_16scan_by_key_implILNS1_25lookback_scan_determinismE0ELb1ES3_N6thrust23THRUST_200600_302600_NS6detail15normal_iteratorINS9_10device_ptrIxEEEESE_SE_xNS9_10multipliesIxEENS9_8equal_toIxEExEE10hipError_tPvRmT2_T3_T4_T5_mT6_T7_P12ihipStream_tbENKUlT_T0_E_clISt17integral_constantIbLb0EESY_IbLb1EEEEDaSU_SV_EUlSU_E_NS1_11comp_targetILNS1_3genE8ELNS1_11target_archE1030ELNS1_3gpuE2ELNS1_3repE0EEENS1_30default_config_static_selectorELNS0_4arch9wavefront6targetE0EEEvT1_.has_recursion, 0
	.set _ZN7rocprim17ROCPRIM_400000_NS6detail17trampoline_kernelINS0_14default_configENS1_27scan_by_key_config_selectorIxxEEZZNS1_16scan_by_key_implILNS1_25lookback_scan_determinismE0ELb1ES3_N6thrust23THRUST_200600_302600_NS6detail15normal_iteratorINS9_10device_ptrIxEEEESE_SE_xNS9_10multipliesIxEENS9_8equal_toIxEExEE10hipError_tPvRmT2_T3_T4_T5_mT6_T7_P12ihipStream_tbENKUlT_T0_E_clISt17integral_constantIbLb0EESY_IbLb1EEEEDaSU_SV_EUlSU_E_NS1_11comp_targetILNS1_3genE8ELNS1_11target_archE1030ELNS1_3gpuE2ELNS1_3repE0EEENS1_30default_config_static_selectorELNS0_4arch9wavefront6targetE0EEEvT1_.has_indirect_call, 0
	.section	.AMDGPU.csdata,"",@progbits
; Kernel info:
; codeLenInByte = 0
; TotalNumSgprs: 0
; NumVgprs: 0
; ScratchSize: 0
; MemoryBound: 0
; FloatMode: 240
; IeeeMode: 1
; LDSByteSize: 0 bytes/workgroup (compile time only)
; SGPRBlocks: 0
; VGPRBlocks: 0
; NumSGPRsForWavesPerEU: 1
; NumVGPRsForWavesPerEU: 1
; NamedBarCnt: 0
; Occupancy: 16
; WaveLimiterHint : 0
; COMPUTE_PGM_RSRC2:SCRATCH_EN: 0
; COMPUTE_PGM_RSRC2:USER_SGPR: 2
; COMPUTE_PGM_RSRC2:TRAP_HANDLER: 0
; COMPUTE_PGM_RSRC2:TGID_X_EN: 1
; COMPUTE_PGM_RSRC2:TGID_Y_EN: 0
; COMPUTE_PGM_RSRC2:TGID_Z_EN: 0
; COMPUTE_PGM_RSRC2:TIDIG_COMP_CNT: 0
	.section	.text._ZN7rocprim17ROCPRIM_400000_NS6detail17trampoline_kernelINS0_14default_configENS1_27scan_by_key_config_selectorIxxEEZZNS1_16scan_by_key_implILNS1_25lookback_scan_determinismE0ELb1ES3_N6thrust23THRUST_200600_302600_NS6detail15normal_iteratorINS9_10device_ptrIxEEEESE_SE_xNS9_4plusIvEENS9_8equal_toIxEExEE10hipError_tPvRmT2_T3_T4_T5_mT6_T7_P12ihipStream_tbENKUlT_T0_E_clISt17integral_constantIbLb0EESZ_EEDaSU_SV_EUlSU_E_NS1_11comp_targetILNS1_3genE0ELNS1_11target_archE4294967295ELNS1_3gpuE0ELNS1_3repE0EEENS1_30default_config_static_selectorELNS0_4arch9wavefront6targetE0EEEvT1_,"axG",@progbits,_ZN7rocprim17ROCPRIM_400000_NS6detail17trampoline_kernelINS0_14default_configENS1_27scan_by_key_config_selectorIxxEEZZNS1_16scan_by_key_implILNS1_25lookback_scan_determinismE0ELb1ES3_N6thrust23THRUST_200600_302600_NS6detail15normal_iteratorINS9_10device_ptrIxEEEESE_SE_xNS9_4plusIvEENS9_8equal_toIxEExEE10hipError_tPvRmT2_T3_T4_T5_mT6_T7_P12ihipStream_tbENKUlT_T0_E_clISt17integral_constantIbLb0EESZ_EEDaSU_SV_EUlSU_E_NS1_11comp_targetILNS1_3genE0ELNS1_11target_archE4294967295ELNS1_3gpuE0ELNS1_3repE0EEENS1_30default_config_static_selectorELNS0_4arch9wavefront6targetE0EEEvT1_,comdat
	.protected	_ZN7rocprim17ROCPRIM_400000_NS6detail17trampoline_kernelINS0_14default_configENS1_27scan_by_key_config_selectorIxxEEZZNS1_16scan_by_key_implILNS1_25lookback_scan_determinismE0ELb1ES3_N6thrust23THRUST_200600_302600_NS6detail15normal_iteratorINS9_10device_ptrIxEEEESE_SE_xNS9_4plusIvEENS9_8equal_toIxEExEE10hipError_tPvRmT2_T3_T4_T5_mT6_T7_P12ihipStream_tbENKUlT_T0_E_clISt17integral_constantIbLb0EESZ_EEDaSU_SV_EUlSU_E_NS1_11comp_targetILNS1_3genE0ELNS1_11target_archE4294967295ELNS1_3gpuE0ELNS1_3repE0EEENS1_30default_config_static_selectorELNS0_4arch9wavefront6targetE0EEEvT1_ ; -- Begin function _ZN7rocprim17ROCPRIM_400000_NS6detail17trampoline_kernelINS0_14default_configENS1_27scan_by_key_config_selectorIxxEEZZNS1_16scan_by_key_implILNS1_25lookback_scan_determinismE0ELb1ES3_N6thrust23THRUST_200600_302600_NS6detail15normal_iteratorINS9_10device_ptrIxEEEESE_SE_xNS9_4plusIvEENS9_8equal_toIxEExEE10hipError_tPvRmT2_T3_T4_T5_mT6_T7_P12ihipStream_tbENKUlT_T0_E_clISt17integral_constantIbLb0EESZ_EEDaSU_SV_EUlSU_E_NS1_11comp_targetILNS1_3genE0ELNS1_11target_archE4294967295ELNS1_3gpuE0ELNS1_3repE0EEENS1_30default_config_static_selectorELNS0_4arch9wavefront6targetE0EEEvT1_
	.globl	_ZN7rocprim17ROCPRIM_400000_NS6detail17trampoline_kernelINS0_14default_configENS1_27scan_by_key_config_selectorIxxEEZZNS1_16scan_by_key_implILNS1_25lookback_scan_determinismE0ELb1ES3_N6thrust23THRUST_200600_302600_NS6detail15normal_iteratorINS9_10device_ptrIxEEEESE_SE_xNS9_4plusIvEENS9_8equal_toIxEExEE10hipError_tPvRmT2_T3_T4_T5_mT6_T7_P12ihipStream_tbENKUlT_T0_E_clISt17integral_constantIbLb0EESZ_EEDaSU_SV_EUlSU_E_NS1_11comp_targetILNS1_3genE0ELNS1_11target_archE4294967295ELNS1_3gpuE0ELNS1_3repE0EEENS1_30default_config_static_selectorELNS0_4arch9wavefront6targetE0EEEvT1_
	.p2align	8
	.type	_ZN7rocprim17ROCPRIM_400000_NS6detail17trampoline_kernelINS0_14default_configENS1_27scan_by_key_config_selectorIxxEEZZNS1_16scan_by_key_implILNS1_25lookback_scan_determinismE0ELb1ES3_N6thrust23THRUST_200600_302600_NS6detail15normal_iteratorINS9_10device_ptrIxEEEESE_SE_xNS9_4plusIvEENS9_8equal_toIxEExEE10hipError_tPvRmT2_T3_T4_T5_mT6_T7_P12ihipStream_tbENKUlT_T0_E_clISt17integral_constantIbLb0EESZ_EEDaSU_SV_EUlSU_E_NS1_11comp_targetILNS1_3genE0ELNS1_11target_archE4294967295ELNS1_3gpuE0ELNS1_3repE0EEENS1_30default_config_static_selectorELNS0_4arch9wavefront6targetE0EEEvT1_,@function
_ZN7rocprim17ROCPRIM_400000_NS6detail17trampoline_kernelINS0_14default_configENS1_27scan_by_key_config_selectorIxxEEZZNS1_16scan_by_key_implILNS1_25lookback_scan_determinismE0ELb1ES3_N6thrust23THRUST_200600_302600_NS6detail15normal_iteratorINS9_10device_ptrIxEEEESE_SE_xNS9_4plusIvEENS9_8equal_toIxEExEE10hipError_tPvRmT2_T3_T4_T5_mT6_T7_P12ihipStream_tbENKUlT_T0_E_clISt17integral_constantIbLb0EESZ_EEDaSU_SV_EUlSU_E_NS1_11comp_targetILNS1_3genE0ELNS1_11target_archE4294967295ELNS1_3gpuE0ELNS1_3repE0EEENS1_30default_config_static_selectorELNS0_4arch9wavefront6targetE0EEEvT1_: ; @_ZN7rocprim17ROCPRIM_400000_NS6detail17trampoline_kernelINS0_14default_configENS1_27scan_by_key_config_selectorIxxEEZZNS1_16scan_by_key_implILNS1_25lookback_scan_determinismE0ELb1ES3_N6thrust23THRUST_200600_302600_NS6detail15normal_iteratorINS9_10device_ptrIxEEEESE_SE_xNS9_4plusIvEENS9_8equal_toIxEExEE10hipError_tPvRmT2_T3_T4_T5_mT6_T7_P12ihipStream_tbENKUlT_T0_E_clISt17integral_constantIbLb0EESZ_EEDaSU_SV_EUlSU_E_NS1_11comp_targetILNS1_3genE0ELNS1_11target_archE4294967295ELNS1_3gpuE0ELNS1_3repE0EEENS1_30default_config_static_selectorELNS0_4arch9wavefront6targetE0EEEvT1_
; %bb.0:
	s_clause 0x2
	s_load_b96 s[44:46], s[0:1], 0x50
	s_load_b256 s[20:27], s[0:1], 0x0
	s_load_b128 s[28:31], s[0:1], 0x60
	s_bfe_u32 s4, ttmp6, 0x4000c
	s_load_b64 s[48:49], s[0:1], 0x20
	s_add_co_i32 s4, s4, 1
	s_load_b256 s[36:43], s[0:1], 0x30
	s_and_b32 s2, ttmp6, 15
	s_wait_xcnt 0x0
	s_mul_i32 s0, ttmp9, s4
	s_getreg_b32 s5, hwreg(HW_REG_IB_STS2, 6, 4)
	s_add_co_i32 s6, s2, s0
	s_mov_b32 s3, 0
	s_delay_alu instid0(SALU_CYCLE_1)
	s_mov_b32 s47, s3
	s_barrier_signal -1
	s_barrier_wait -1
	s_wait_kmcnt 0x0
	s_mov_b32 s2, s46
	s_lshl_b64 s[34:35], s[22:23], 3
	s_cmp_eq_u32 s5, 0
	s_mul_u64 s[4:5], s[44:45], s[2:3]
	s_cselect_b32 s46, ttmp9, s6
	s_add_nc_u64 s[8:9], s[28:29], -1
	s_add_nc_u64 s[4:5], s[4:5], s[46:47]
	s_mul_i32 s2, s46, 0xe00
	v_cmp_ge_u64_e64 s23, s[4:5], s[8:9]
	s_add_nc_u64 s[0:1], s[20:21], s[34:35]
	s_add_nc_u64 s[6:7], s[24:25], s[34:35]
	s_lshl_b64 s[24:25], s[2:3], 3
	s_mul_i32 s28, s8, 0xfffff200
	s_add_nc_u64 s[16:17], s[0:1], s[24:25]
	s_add_nc_u64 s[14:15], s[6:7], s[24:25]
	s_and_b32 vcc_lo, exec_lo, s23
	s_cbranch_vccz .LBB425_76
; %bb.1:
	v_mov_b32_e32 v1, 0
	s_add_co_i32 s22, s28, s42
	s_delay_alu instid0(SALU_CYCLE_1)
	v_cmp_gt_u32_e32 vcc_lo, s22, v0
	flat_load_b64 v[2:3], v1, s[16:17]
	s_wait_loadcnt_dscnt 0x0
	v_mov_b64_e32 v[4:5], v[2:3]
	s_and_saveexec_b32 s0, vcc_lo
	s_cbranch_execz .LBB425_3
; %bb.2:
	flat_load_b64 v[4:5], v0, s[16:17] scale_offset
.LBB425_3:
	s_wait_xcnt 0x0
	s_or_b32 exec_lo, exec_lo, s0
	v_or_b32_e32 v1, 0x100, v0
	v_mov_b64_e32 v[6:7], v[2:3]
	s_delay_alu instid0(VALU_DEP_2)
	v_cmp_gt_u32_e64 s0, s22, v1
	s_and_saveexec_b32 s1, s0
	s_cbranch_execz .LBB425_5
; %bb.4:
	flat_load_b64 v[6:7], v0, s[16:17] offset:2048 scale_offset
.LBB425_5:
	s_wait_xcnt 0x0
	s_or_b32 exec_lo, exec_lo, s1
	v_or_b32_e32 v1, 0x200, v0
	v_mov_b64_e32 v[8:9], v[2:3]
	s_delay_alu instid0(VALU_DEP_2)
	v_cmp_gt_u32_e64 s1, s22, v1
	s_and_saveexec_b32 s2, s1
	s_cbranch_execz .LBB425_7
; %bb.6:
	flat_load_b64 v[8:9], v0, s[16:17] offset:4096 scale_offset
.LBB425_7:
	;; [unrolled: 11-line block ×12, first 2 shown]
	s_wait_xcnt 0x0
	s_or_b32 exec_lo, exec_lo, s12
	v_or_b32_e32 v1, 0xd00, v0
	s_delay_alu instid0(VALU_DEP_1) | instskip(SKIP_2) | instid1(SALU_CYCLE_1)
	v_cmp_gt_u32_e64 s12, s22, v1
	v_cmp_le_u32_e64 s13, s22, v1
	s_and_saveexec_b32 s18, s13
	s_xor_b32 s13, exec_lo, s18
	s_delay_alu instid0(SALU_CYCLE_1)
	s_and_not1_saveexec_b32 s13, s13
	s_cbranch_execz .LBB425_29
; %bb.28:
	flat_load_b64 v[2:3], v0, s[16:17] offset:26624 scale_offset
.LBB425_29:
	s_wait_xcnt 0x0
	s_or_b32 exec_lo, exec_lo, s13
	v_lshlrev_b32_e32 v1, 3, v0
	s_mov_b32 s18, exec_lo
	s_wait_loadcnt_dscnt 0x0
	ds_store_2addr_stride64_b64 v1, v[4:5], v[6:7] offset1:4
	ds_store_2addr_stride64_b64 v1, v[8:9], v[10:11] offset0:8 offset1:12
	ds_store_2addr_stride64_b64 v1, v[12:13], v[14:15] offset0:16 offset1:20
	;; [unrolled: 1-line block ×6, first 2 shown]
	v_mov_b32_e32 v2, 0
	s_wait_dscnt 0x0
	s_barrier_signal -1
	s_barrier_wait -1
	flat_load_b64 v[56:57], v2, s[16:17]
	v_mad_u32_u24 v104, 0x68, v0, v1
	ds_load_b128 v[26:29], v104
	ds_load_b128 v[22:25], v104 offset:16
	ds_load_b128 v[18:21], v104 offset:32
	;; [unrolled: 1-line block ×5, first 2 shown]
	s_wait_xcnt 0x0
	ds_load_b128 v[2:5], v104 offset:96
	v_mad_i32_i24 v30, 0xffffff98, v0, v104
	s_wait_dscnt 0x6
	ds_store_b64 v30, v[26:27] offset:30720
	s_wait_loadcnt_dscnt 0x0
	s_barrier_signal -1
	s_barrier_wait -1
	v_cmpx_ne_u32_e32 0xff, v0
; %bb.30:
	v_mul_i32_i24_e32 v30, 0xffffff98, v0
	s_delay_alu instid0(VALU_DEP_1)
	v_add_nc_u32_e32 v30, v104, v30
	ds_load_b64 v[56:57], v30 offset:30728
; %bb.31:
	s_or_b32 exec_lo, exec_lo, s18
	s_wait_dscnt 0x0
	s_barrier_signal -1
	s_barrier_wait -1
                                        ; implicit-def: $vgpr30_vgpr31
	s_and_saveexec_b32 s13, vcc_lo
	s_cbranch_execz .LBB425_134
; %bb.32:
	flat_load_b64 v[30:31], v0, s[14:15] scale_offset
	s_wait_xcnt 0x0
	s_or_b32 exec_lo, exec_lo, s13
                                        ; implicit-def: $vgpr32_vgpr33
	s_and_saveexec_b32 s13, s0
	s_cbranch_execnz .LBB425_135
.LBB425_33:
	s_or_b32 exec_lo, exec_lo, s13
                                        ; implicit-def: $vgpr34_vgpr35
	s_and_saveexec_b32 s0, s1
	s_cbranch_execz .LBB425_136
.LBB425_34:
	flat_load_b64 v[34:35], v0, s[14:15] offset:4096 scale_offset
	s_wait_xcnt 0x0
	s_or_b32 exec_lo, exec_lo, s0
                                        ; implicit-def: $vgpr36_vgpr37
	s_and_saveexec_b32 s0, s2
	s_cbranch_execnz .LBB425_137
.LBB425_35:
	s_or_b32 exec_lo, exec_lo, s0
                                        ; implicit-def: $vgpr38_vgpr39
	s_and_saveexec_b32 s0, s3
	s_cbranch_execz .LBB425_138
.LBB425_36:
	flat_load_b64 v[38:39], v0, s[14:15] offset:8192 scale_offset
	s_wait_xcnt 0x0
	s_or_b32 exec_lo, exec_lo, s0
                                        ; implicit-def: $vgpr40_vgpr41
	s_and_saveexec_b32 s0, s4
	s_cbranch_execnz .LBB425_139
.LBB425_37:
	s_or_b32 exec_lo, exec_lo, s0
                                        ; implicit-def: $vgpr42_vgpr43
	s_and_saveexec_b32 s0, s5
	s_cbranch_execz .LBB425_140
.LBB425_38:
	flat_load_b64 v[42:43], v0, s[14:15] offset:12288 scale_offset
	s_wait_xcnt 0x0
	s_or_b32 exec_lo, exec_lo, s0
                                        ; implicit-def: $vgpr44_vgpr45
	s_and_saveexec_b32 s0, s6
	s_cbranch_execnz .LBB425_141
.LBB425_39:
	s_or_b32 exec_lo, exec_lo, s0
                                        ; implicit-def: $vgpr46_vgpr47
	s_and_saveexec_b32 s0, s7
	s_cbranch_execz .LBB425_142
.LBB425_40:
	flat_load_b64 v[46:47], v0, s[14:15] offset:16384 scale_offset
	s_wait_xcnt 0x0
	s_or_b32 exec_lo, exec_lo, s0
                                        ; implicit-def: $vgpr48_vgpr49
	s_and_saveexec_b32 s0, s8
	s_cbranch_execnz .LBB425_143
.LBB425_41:
	s_or_b32 exec_lo, exec_lo, s0
                                        ; implicit-def: $vgpr50_vgpr51
	s_and_saveexec_b32 s0, s9
	s_cbranch_execz .LBB425_144
.LBB425_42:
	flat_load_b64 v[50:51], v0, s[14:15] offset:20480 scale_offset
	s_wait_xcnt 0x0
	s_or_b32 exec_lo, exec_lo, s0
                                        ; implicit-def: $vgpr52_vgpr53
	s_and_saveexec_b32 s0, s10
	s_cbranch_execnz .LBB425_145
.LBB425_43:
	s_or_b32 exec_lo, exec_lo, s0
                                        ; implicit-def: $vgpr54_vgpr55
	s_and_saveexec_b32 s0, s11
	s_cbranch_execz .LBB425_45
.LBB425_44:
	flat_load_b64 v[54:55], v0, s[14:15] offset:24576 scale_offset
.LBB425_45:
	s_wait_xcnt 0x0
	s_or_b32 exec_lo, exec_lo, s0
	v_mul_u32_u24_e32 v109, 14, v0
                                        ; implicit-def: $vgpr58_vgpr59
	s_and_saveexec_b32 s0, s12
	s_cbranch_execz .LBB425_47
; %bb.46:
	flat_load_b64 v[58:59], v0, s[14:15] offset:26624 scale_offset
.LBB425_47:
	s_wait_xcnt 0x0
	s_or_b32 exec_lo, exec_lo, s0
	s_wait_loadcnt_dscnt 0x0
	ds_store_2addr_stride64_b64 v1, v[30:31], v[32:33] offset1:4
	ds_store_2addr_stride64_b64 v1, v[34:35], v[36:37] offset0:8 offset1:12
	ds_store_2addr_stride64_b64 v1, v[38:39], v[40:41] offset0:16 offset1:20
	;; [unrolled: 1-line block ×6, first 2 shown]
	v_mov_b64_e32 v[66:67], 0
	v_mov_b64_e32 v[80:81], 0
	;; [unrolled: 1-line block ×27, first 2 shown]
	v_cmp_gt_u32_e32 vcc_lo, s22, v109
	v_dual_mov_b32 v86, 0 :: v_dual_mov_b32 v87, 0
	v_dual_mov_b32 v88, 0 :: v_dual_mov_b32 v89, 0
	;; [unrolled: 1-line block ×13, first 2 shown]
	s_mov_b32 s13, 0
	s_mov_b32 s3, 0
	s_wait_dscnt 0x0
	s_barrier_signal -1
	s_barrier_wait -1
                                        ; implicit-def: $sgpr19
	s_and_saveexec_b32 s18, vcc_lo
	s_cbranch_execz .LBB425_75
; %bb.48:
	ds_load_b64 v[30:31], v104
	v_cmp_ne_u64_e32 vcc_lo, v[26:27], v[28:29]
	v_dual_mov_b32 v86, 0 :: v_dual_bitop2_b32 v1, 1, v109 bitop3:0x54
	v_mov_b64_e32 v[66:67], 0
	v_mov_b64_e32 v[80:81], 0
	v_mov_b64_e32 v[78:79], 0
	v_mov_b64_e32 v[84:85], 0
	v_mov_b64_e32 v[76:77], 0
	v_mov_b64_e32 v[82:83], 0
	v_mov_b64_e32 v[72:73], 0
	v_mov_b64_e32 v[74:75], 0
	v_mov_b64_e32 v[70:71], 0
	v_mov_b64_e32 v[68:69], 0
	v_mov_b64_e32 v[64:65], 0
	v_mov_b64_e32 v[62:63], 0
	v_mov_b64_e32 v[44:45], 0
	v_mov_b64_e32 v[34:35], 0
	v_mov_b64_e32 v[36:37], 0
	v_mov_b64_e32 v[38:39], 0
	s_wait_dscnt 0x0
	v_cndmask_b32_e64 v61, v31, s49, vcc_lo
	v_cndmask_b32_e64 v60, v30, s48, vcc_lo
	v_mov_b64_e32 v[30:31], 0
	v_mov_b64_e32 v[40:41], 0
	;; [unrolled: 1-line block ×9, first 2 shown]
	v_dual_mov_b32 v87, 0 :: v_dual_mov_b32 v88, 0
	v_dual_mov_b32 v89, 0 :: v_dual_mov_b32 v90, 0
	;; [unrolled: 1-line block ×4, first 2 shown]
	v_cmp_gt_u32_e64 s0, s22, v1
	v_dual_mov_b32 v102, 0 :: v_dual_mov_b32 v105, 0
	v_dual_mov_b32 v108, 0 :: v_dual_mov_b32 v92, 0
	;; [unrolled: 1-line block ×7, first 2 shown]
	v_mov_b32_e32 v112, 0
	s_mov_b32 s1, 0
                                        ; implicit-def: $sgpr19
	s_and_saveexec_b32 s20, s0
	s_cbranch_execz .LBB425_74
; %bb.49:
	ds_load_2addr_b64 v[30:33], v104 offset0:1 offset1:2
	v_cmp_ne_u64_e64 s0, v[28:29], v[22:23]
	v_dual_mov_b32 v86, 0 :: v_dual_add_nc_u32 v1, 2, v109
	v_mov_b64_e32 v[66:67], 0
	v_mov_b64_e32 v[80:81], 0
	v_mov_b64_e32 v[78:79], 0
	v_mov_b64_e32 v[84:85], 0
	v_mov_b64_e32 v[76:77], 0
	v_mov_b64_e32 v[82:83], 0
	v_mov_b64_e32 v[72:73], 0
	v_mov_b64_e32 v[74:75], 0
	v_mov_b64_e32 v[70:71], 0
	v_mov_b64_e32 v[68:69], 0
	v_mov_b64_e32 v[64:65], 0
	v_mov_b64_e32 v[44:45], 0
	v_mov_b64_e32 v[34:35], 0
	v_mov_b64_e32 v[36:37], 0
	v_mov_b64_e32 v[38:39], 0
	v_mov_b64_e32 v[40:41], 0
	s_wait_dscnt 0x0
	v_cndmask_b32_e64 v63, v31, s49, s0
	v_cndmask_b32_e64 v62, v30, s48, s0
	v_mov_b64_e32 v[30:31], 0
	v_mov_b64_e32 v[42:43], 0
	;; [unrolled: 1-line block ×7, first 2 shown]
	v_dual_mov_b32 v87, 0 :: v_dual_mov_b32 v88, 0
	v_dual_mov_b32 v89, 0 :: v_dual_mov_b32 v90, 0
	;; [unrolled: 1-line block ×4, first 2 shown]
	v_cmp_gt_u32_e64 s1, s22, v1
	v_dual_mov_b32 v102, 0 :: v_dual_mov_b32 v105, 0
	v_dual_mov_b32 v92, 0 :: v_dual_mov_b32 v91, 0
	v_dual_mov_b32 v94, 0 :: v_dual_mov_b32 v96, 0
	v_dual_mov_b32 v98, 0 :: v_dual_mov_b32 v99, 0
	v_dual_mov_b32 v101, 0 :: v_dual_mov_b32 v103, 0
	v_dual_mov_b32 v106, 0 :: v_dual_mov_b32 v107, 0
	v_mov_b32_e32 v110, 0
	s_mov_b32 s2, 0
                                        ; implicit-def: $sgpr19
	s_and_saveexec_b32 s21, s1
	s_cbranch_execz .LBB425_73
; %bb.50:
	v_cmp_ne_u64_e64 s1, v[22:23], v[24:25]
	v_dual_mov_b32 v86, 0 :: v_dual_add_nc_u32 v1, 3, v109
	v_mov_b64_e32 v[66:67], 0
	v_mov_b64_e32 v[80:81], 0
	;; [unrolled: 1-line block ×21, first 2 shown]
	v_cndmask_b32_e64 v65, v33, s49, s1
	v_dual_mov_b32 v87, 0 :: v_dual_mov_b32 v88, 0
	v_cmp_gt_u32_e64 s2, s22, v1
	v_cndmask_b32_e64 v64, v32, s48, s1
	v_dual_mov_b32 v89, 0 :: v_dual_mov_b32 v90, 0
	v_dual_mov_b32 v93, 0 :: v_dual_mov_b32 v95, 0
	;; [unrolled: 1-line block ×8, first 2 shown]
	v_mov_b32_e32 v107, 0
                                        ; implicit-def: $sgpr19
	s_and_saveexec_b32 s29, s2
	s_cbranch_execz .LBB425_72
; %bb.51:
	ds_load_2addr_b64 v[26:29], v104 offset0:3 offset1:4
	v_cmp_ne_u64_e64 s2, v[24:25], v[18:19]
	v_dual_mov_b32 v86, 0 :: v_dual_add_nc_u32 v1, 4, v109
	v_mov_b64_e32 v[66:67], 0
	v_mov_b64_e32 v[80:81], 0
	;; [unrolled: 1-line block ×19, first 2 shown]
	v_dual_mov_b32 v87, 0 :: v_dual_mov_b32 v88, 0
	v_dual_mov_b32 v89, 0 :: v_dual_mov_b32 v90, 0
	;; [unrolled: 1-line block ×4, first 2 shown]
	v_cmp_gt_u32_e64 s3, s22, v1
	s_wait_dscnt 0x0
	v_cndmask_b32_e64 v69, v27, s49, s2
	v_cndmask_b32_e64 v68, v26, s48, s2
	v_dual_mov_b32 v92, 0 :: v_dual_mov_b32 v91, 0
	v_dual_mov_b32 v94, 0 :: v_dual_mov_b32 v96, 0
	;; [unrolled: 1-line block ×4, first 2 shown]
	v_mov_b32_e32 v106, 0
	s_mov_b32 s4, 0
                                        ; implicit-def: $sgpr19
	s_and_saveexec_b32 s33, s3
	s_cbranch_execz .LBB425_71
; %bb.52:
	v_cmp_ne_u64_e64 s3, v[18:19], v[20:21]
	v_dual_mov_b32 v86, 0 :: v_dual_add_nc_u32 v1, 5, v109
	v_mov_b64_e32 v[66:67], 0
	v_mov_b64_e32 v[80:81], 0
	;; [unrolled: 1-line block ×17, first 2 shown]
	v_cndmask_b32_e64 v71, v29, s49, s3
	v_dual_mov_b32 v87, 0 :: v_dual_mov_b32 v88, 0
	v_cmp_gt_u32_e64 s4, s22, v1
	v_cndmask_b32_e64 v70, v28, s48, s3
	v_dual_mov_b32 v89, 0 :: v_dual_mov_b32 v90, 0
	v_dual_mov_b32 v93, 0 :: v_dual_mov_b32 v95, 0
	;; [unrolled: 1-line block ×6, first 2 shown]
	v_mov_b32_e32 v103, 0
	s_mov_b32 s5, 0
                                        ; implicit-def: $sgpr19
	s_and_saveexec_b32 s43, s4
	s_cbranch_execz .LBB425_70
; %bb.53:
	ds_load_2addr_b64 v[22:25], v104 offset0:5 offset1:6
	v_cmp_ne_u64_e64 s4, v[20:21], v[14:15]
	v_mov_b64_e32 v[66:67], 0
	v_mov_b64_e32 v[80:81], 0
	;; [unrolled: 1-line block ×15, first 2 shown]
	v_dual_mov_b32 v86, 0 :: v_dual_add_nc_u32 v1, 6, v109
	v_dual_mov_b32 v87, 0 :: v_dual_mov_b32 v88, 0
	v_dual_mov_b32 v89, 0 :: v_dual_mov_b32 v90, 0
	;; [unrolled: 1-line block ×3, first 2 shown]
	s_wait_dscnt 0x0
	v_cndmask_b32_e64 v75, v23, s49, s4
	v_cndmask_b32_e64 v74, v22, s48, s4
	v_dual_mov_b32 v92, 0 :: v_dual_mov_b32 v91, 0
	v_dual_mov_b32 v94, 0 :: v_dual_mov_b32 v96, 0
	;; [unrolled: 1-line block ×3, first 2 shown]
	v_mov_b32_e32 v101, 0
	s_mov_b32 s6, 0
	s_mov_b32 s47, exec_lo
                                        ; implicit-def: $sgpr19
	v_cmpx_gt_u32_e64 s22, v1
	s_cbranch_execz .LBB425_69
; %bb.54:
	v_cmp_ne_u64_e64 s5, v[14:15], v[16:17]
	v_dual_mov_b32 v86, 0 :: v_dual_add_nc_u32 v1, 7, v109
	v_mov_b64_e32 v[66:67], 0
	v_mov_b64_e32 v[80:81], 0
	;; [unrolled: 1-line block ×13, first 2 shown]
	v_cndmask_b32_e64 v73, v25, s49, s5
	v_dual_mov_b32 v87, 0 :: v_dual_mov_b32 v88, 0
	v_cmp_gt_u32_e64 s6, s22, v1
	v_cndmask_b32_e64 v72, v24, s48, s5
	v_dual_mov_b32 v89, 0 :: v_dual_mov_b32 v90, 0
	v_dual_mov_b32 v93, 0 :: v_dual_mov_b32 v92, 0
	;; [unrolled: 1-line block ×4, first 2 shown]
	v_mov_b32_e32 v99, 0
	s_mov_b32 s7, 0
                                        ; implicit-def: $sgpr19
	s_and_saveexec_b32 s50, s6
	s_cbranch_execz .LBB425_68
; %bb.55:
	ds_load_2addr_b64 v[18:21], v104 offset0:7 offset1:8
	v_cmp_ne_u64_e64 s6, v[16:17], v[10:11]
	v_mov_b64_e32 v[66:67], 0
	v_mov_b64_e32 v[80:81], 0
	;; [unrolled: 1-line block ×11, first 2 shown]
	v_dual_mov_b32 v86, 0 :: v_dual_add_nc_u32 v1, 8, v109
	v_dual_mov_b32 v87, 0 :: v_dual_mov_b32 v88, 0
	v_dual_mov_b32 v89, 0 :: v_dual_mov_b32 v90, 0
	;; [unrolled: 1-line block ×3, first 2 shown]
	s_wait_dscnt 0x0
	v_cndmask_b32_e64 v83, v19, s49, s6
	v_cndmask_b32_e64 v82, v18, s48, s6
	v_dual_mov_b32 v94, 0 :: v_dual_mov_b32 v96, 0
	v_mov_b32_e32 v98, 0
	s_mov_b32 s8, 0
	s_mov_b32 s51, exec_lo
                                        ; implicit-def: $sgpr19
	v_cmpx_gt_u32_e64 s22, v1
	s_cbranch_execz .LBB425_67
; %bb.56:
	v_cmp_ne_u64_e64 s7, v[10:11], v[12:13]
	v_mov_b64_e32 v[66:67], 0
	v_mov_b64_e32 v[80:81], 0
	;; [unrolled: 1-line block ×9, first 2 shown]
	v_dual_mov_b32 v86, 0 :: v_dual_add_nc_u32 v1, 9, v109
	v_cndmask_b32_e64 v77, v21, s49, s7
	v_dual_mov_b32 v87, 0 :: v_dual_mov_b32 v88, 0
	v_cndmask_b32_e64 v76, v20, s48, s7
	v_dual_mov_b32 v89, 0 :: v_dual_mov_b32 v92, 0
	v_dual_mov_b32 v91, 0 :: v_dual_mov_b32 v94, 0
	v_mov_b32_e32 v96, 0
	s_mov_b32 s9, 0
	s_mov_b32 s52, exec_lo
                                        ; implicit-def: $sgpr19
	v_cmpx_gt_u32_e64 s22, v1
	s_cbranch_execz .LBB425_66
; %bb.57:
	ds_load_2addr_b64 v[14:17], v104 offset0:9 offset1:10
	v_cmp_ne_u64_e64 s8, v[12:13], v[6:7]
	v_mov_b64_e32 v[66:67], 0
	v_mov_b64_e32 v[80:81], 0
	;; [unrolled: 1-line block ×7, first 2 shown]
	v_dual_mov_b32 v86, 0 :: v_dual_add_nc_u32 v1, 10, v109
	v_dual_mov_b32 v87, 0 :: v_dual_mov_b32 v88, 0
	v_dual_mov_b32 v92, 0 :: v_dual_mov_b32 v91, 0
	v_mov_b32_e32 v94, 0
	s_mov_b32 s10, 0
	s_mov_b32 s53, exec_lo
                                        ; implicit-def: $sgpr19
	s_wait_dscnt 0x0
	v_cndmask_b32_e64 v85, v15, s49, s8
	v_cndmask_b32_e64 v84, v14, s48, s8
	v_cmpx_gt_u32_e64 s22, v1
	s_cbranch_execz .LBB425_65
; %bb.58:
	v_cmp_ne_u64_e64 s9, v[6:7], v[8:9]
	v_mov_b64_e32 v[66:67], 0
	v_mov_b64_e32 v[80:81], 0
	;; [unrolled: 1-line block ×4, first 2 shown]
	v_dual_mov_b32 v86, 0 :: v_dual_add_nc_u32 v1, 11, v109
	v_cndmask_b32_e64 v79, v17, s49, s9
	v_cndmask_b32_e64 v78, v16, s48, s9
	v_dual_mov_b32 v87, 0 :: v_dual_mov_b32 v91, 0
	s_mov_b32 s11, 0
	s_mov_b32 s54, exec_lo
                                        ; implicit-def: $sgpr19
	v_cmpx_gt_u32_e64 s22, v1
	s_cbranch_execz .LBB425_64
; %bb.59:
	ds_load_2addr_b64 v[10:13], v104 offset0:11 offset1:12
	v_cmp_ne_u64_e64 s10, v[8:9], v[2:3]
	v_mov_b64_e32 v[66:67], 0
	v_mov_b64_e32 v[44:45], 0
	v_dual_mov_b32 v86, 0 :: v_dual_add_nc_u32 v1, 12, v109
	s_mov_b32 s12, 0
	s_mov_b32 s55, exec_lo
                                        ; implicit-def: $sgpr19
	s_wait_dscnt 0x0
	v_cndmask_b32_e64 v81, v11, s49, s10
	v_cndmask_b32_e64 v80, v10, s48, s10
	v_cmpx_gt_u32_e64 s22, v1
	s_cbranch_execz .LBB425_63
; %bb.60:
	v_cmp_ne_u64_e64 s11, v[2:3], v[4:5]
	v_add_nc_u32_e32 v1, 13, v109
	v_mov_b64_e32 v[44:45], 0
                                        ; implicit-def: $sgpr19
	s_delay_alu instid0(VALU_DEP_2) | instskip(NEXT) | instid1(VALU_DEP_4)
	v_cmp_gt_u32_e64 s12, s22, v1
	v_cndmask_b32_e64 v67, v13, s49, s11
	v_cndmask_b32_e64 v66, v12, s48, s11
	s_mov_b32 s22, 0
	s_and_saveexec_b32 s56, s12
	s_delay_alu instid0(SALU_CYCLE_1)
	s_xor_b32 s12, exec_lo, s56
	s_cbranch_execz .LBB425_62
; %bb.61:
	ds_load_b64 v[2:3], v104 offset:104
	v_cmp_ne_u64_e64 s19, v[4:5], v[56:57]
	s_mov_b32 s22, exec_lo
	s_wait_dscnt 0x0
	v_cndmask_b32_e64 v45, v3, s49, s19
	v_cndmask_b32_e64 v44, v2, s48, s19
.LBB425_62:
	s_or_b32 exec_lo, exec_lo, s12
	v_cndmask_b32_e64 v86, 0, 1, s11
	s_and_b32 s12, s22, exec_lo
.LBB425_63:
	s_or_b32 exec_lo, exec_lo, s55
	v_cndmask_b32_e64 v87, 0, 1, s10
	v_mov_b64_e32 v[34:35], v[80:81]
	s_and_b32 s11, s12, exec_lo
	s_delay_alu instid0(VALU_DEP_2)
	v_mov_b32_e32 v91, v87
.LBB425_64:
	s_or_b32 exec_lo, exec_lo, s54
	v_cndmask_b32_e64 v88, 0, 1, s9
	v_mov_b64_e32 v[30:31], v[66:67]
	v_mov_b64_e32 v[36:37], v[78:79]
	v_mov_b32_e32 v92, v86
	s_and_b32 s10, s11, exec_lo
	v_mov_b32_e32 v94, v88
.LBB425_65:
	s_or_b32 exec_lo, exec_lo, s53
	v_cndmask_b32_e64 v89, 0, 1, s8
	v_mov_b64_e32 v[38:39], v[84:85]
	s_and_b32 s9, s10, exec_lo
	s_delay_alu instid0(VALU_DEP_2)
	v_mov_b32_e32 v96, v89
.LBB425_66:
	s_or_b32 exec_lo, exec_lo, s52
	v_cndmask_b32_e64 v90, 0, 1, s7
	v_mov_b64_e32 v[40:41], v[76:77]
	s_and_b32 s8, s9, exec_lo
	s_delay_alu instid0(VALU_DEP_2)
	v_mov_b32_e32 v98, v90
.LBB425_67:
	s_or_b32 exec_lo, exec_lo, s51
	v_cndmask_b32_e64 v93, 0, 1, s6
	v_mov_b64_e32 v[42:43], v[82:83]
	s_and_b32 s7, s8, exec_lo
	s_delay_alu instid0(VALU_DEP_2)
	v_mov_b32_e32 v99, v93
.LBB425_68:
	s_or_b32 exec_lo, exec_lo, s50
	v_cndmask_b32_e64 v95, 0, 1, s5
	v_mov_b64_e32 v[46:47], v[72:73]
	s_and_b32 s6, s7, exec_lo
	s_delay_alu instid0(VALU_DEP_2)
	v_mov_b32_e32 v101, v95
.LBB425_69:
	s_or_b32 exec_lo, exec_lo, s47
	v_cndmask_b32_e64 v97, 0, 1, s4
	v_mov_b64_e32 v[48:49], v[74:75]
	s_and_b32 s5, s6, exec_lo
	s_delay_alu instid0(VALU_DEP_2)
	v_mov_b32_e32 v103, v97
.LBB425_70:
	s_or_b32 exec_lo, exec_lo, s43
	v_cndmask_b32_e64 v100, 0, 1, s3
	v_mov_b64_e32 v[50:51], v[70:71]
	s_and_b32 s4, s5, exec_lo
	s_delay_alu instid0(VALU_DEP_2)
	v_mov_b32_e32 v106, v100
.LBB425_71:
	s_or_b32 exec_lo, exec_lo, s33
	v_cndmask_b32_e64 v102, 0, 1, s2
	v_mov_b64_e32 v[52:53], v[68:69]
	s_and_b32 s3, s4, exec_lo
	s_delay_alu instid0(VALU_DEP_2)
	v_mov_b32_e32 v107, v102
.LBB425_72:
	s_or_b32 exec_lo, exec_lo, s29
	v_cndmask_b32_e64 v105, 0, 1, s1
	v_mov_b64_e32 v[54:55], v[64:65]
	s_and_b32 s2, s3, exec_lo
	s_delay_alu instid0(VALU_DEP_2)
	v_mov_b32_e32 v110, v105
.LBB425_73:
	s_or_b32 exec_lo, exec_lo, s21
	v_cndmask_b32_e64 v108, 0, 1, s0
	v_mov_b64_e32 v[32:33], v[62:63]
	s_and_b32 s1, s2, exec_lo
	s_delay_alu instid0(VALU_DEP_2)
	v_mov_b32_e32 v112, v108
.LBB425_74:
	s_or_b32 exec_lo, exec_lo, s20
	v_cndmask_b32_e64 v111, 0, 1, vcc_lo
	v_mov_b64_e32 v[58:59], v[60:61]
	s_and_b32 s3, s1, exec_lo
	s_delay_alu instid0(VALU_DEP_2)
	v_mov_b32_e32 v1, v111
.LBB425_75:
	s_or_b32 exec_lo, exec_lo, s18
	v_lshlrev_b32_e32 v56, 3, v0
	s_and_b32 vcc_lo, exec_lo, s13
	s_cbranch_vccnz .LBB425_77
	s_branch .LBB425_82
.LBB425_76:
                                        ; implicit-def: $sgpr19
                                        ; implicit-def: $vgpr86
                                        ; implicit-def: $vgpr66_vgpr67
                                        ; implicit-def: $vgpr87
                                        ; implicit-def: $vgpr80_vgpr81
                                        ; implicit-def: $vgpr88
                                        ; implicit-def: $vgpr78_vgpr79
                                        ; implicit-def: $vgpr89
                                        ; implicit-def: $vgpr84_vgpr85
                                        ; implicit-def: $vgpr90
                                        ; implicit-def: $vgpr76_vgpr77
                                        ; implicit-def: $vgpr93
                                        ; implicit-def: $vgpr82_vgpr83
                                        ; implicit-def: $vgpr95
                                        ; implicit-def: $vgpr72_vgpr73
                                        ; implicit-def: $vgpr97
                                        ; implicit-def: $vgpr74_vgpr75
                                        ; implicit-def: $vgpr100
                                        ; implicit-def: $vgpr70_vgpr71
                                        ; implicit-def: $vgpr102
                                        ; implicit-def: $vgpr68_vgpr69
                                        ; implicit-def: $vgpr105
                                        ; implicit-def: $vgpr64_vgpr65
                                        ; implicit-def: $vgpr108
                                        ; implicit-def: $vgpr62_vgpr63
                                        ; implicit-def: $vgpr111
                                        ; implicit-def: $vgpr60_vgpr61
                                        ; implicit-def: $vgpr44_vgpr45
                                        ; implicit-def: $vgpr92
                                        ; implicit-def: $vgpr30_vgpr31
                                        ; implicit-def: $vgpr91
                                        ; implicit-def: $vgpr34_vgpr35
                                        ; implicit-def: $vgpr94
                                        ; implicit-def: $vgpr36_vgpr37
                                        ; implicit-def: $vgpr96
                                        ; implicit-def: $vgpr98
                                        ; implicit-def: $vgpr99
                                        ; implicit-def: $vgpr101
                                        ; implicit-def: $vgpr103
                                        ; implicit-def: $vgpr106
                                        ; implicit-def: $vgpr107
                                        ; implicit-def: $vgpr110
                                        ; implicit-def: $vgpr112
                                        ; implicit-def: $vgpr1
                                        ; implicit-def: $vgpr38_vgpr39
                                        ; implicit-def: $vgpr40_vgpr41
                                        ; implicit-def: $vgpr42_vgpr43
                                        ; implicit-def: $vgpr46_vgpr47
                                        ; implicit-def: $vgpr48_vgpr49
                                        ; implicit-def: $vgpr50_vgpr51
                                        ; implicit-def: $vgpr52_vgpr53
                                        ; implicit-def: $vgpr54_vgpr55
                                        ; implicit-def: $vgpr32_vgpr33
                                        ; implicit-def: $vgpr58_vgpr59
	v_lshlrev_b32_e32 v56, 3, v0
	s_cbranch_execz .LBB425_82
.LBB425_77:
	s_clause 0xd
	flat_load_b64 v[2:3], v0, s[16:17] scale_offset
	flat_load_b64 v[4:5], v0, s[16:17] offset:2048 scale_offset
	flat_load_b64 v[6:7], v0, s[16:17] offset:4096 scale_offset
	;; [unrolled: 1-line block ×13, first 2 shown]
	v_mov_b32_e32 v1, 0
	s_mov_b32 s0, exec_lo
	s_wait_loadcnt_dscnt 0xc0c
	ds_store_2addr_stride64_b64 v56, v[2:3], v[4:5] offset1:4
	s_wait_loadcnt_dscnt 0xa0b
	ds_store_2addr_stride64_b64 v56, v[6:7], v[8:9] offset0:8 offset1:12
	s_wait_loadcnt_dscnt 0x80a
	ds_store_2addr_stride64_b64 v56, v[10:11], v[12:13] offset0:16 offset1:20
	;; [unrolled: 2-line block ×6, first 2 shown]
	s_wait_dscnt 0x0
	s_barrier_signal -1
	s_barrier_wait -1
	flat_load_b64 v[58:59], v1, s[16:17] offset:28672
	s_wait_xcnt 0x0
	v_mad_u32_u24 v1, 0x68, v0, v56
	ds_load_b128 v[38:41], v1
	ds_load_b128 v[34:37], v1 offset:16
	ds_load_b128 v[26:29], v1 offset:32
	;; [unrolled: 1-line block ×6, first 2 shown]
	v_mad_i32_i24 v14, 0xffffff98, v0, v1
	s_wait_dscnt 0x6
	ds_store_b64 v14, v[38:39] offset:30720
	s_wait_loadcnt_dscnt 0x0
	s_barrier_signal -1
	s_barrier_wait -1
	v_cmpx_ne_u32_e32 0xff, v0
; %bb.78:
	v_mul_i32_i24_e32 v14, 0xffffff98, v0
	s_delay_alu instid0(VALU_DEP_1)
	v_add_nc_u32_e32 v14, v1, v14
	ds_load_b64 v[58:59], v14 offset:30728
; %bb.79:
	s_or_b32 exec_lo, exec_lo, s0
	s_wait_dscnt 0x0
	s_barrier_signal -1
	s_barrier_wait -1
	s_clause 0xd
	flat_load_b64 v[14:15], v0, s[14:15] scale_offset
	flat_load_b64 v[16:17], v0, s[14:15] offset:2048 scale_offset
	flat_load_b64 v[22:23], v0, s[14:15] offset:4096 scale_offset
	;; [unrolled: 1-line block ×13, first 2 shown]
	s_mov_b32 s1, exec_lo
	v_cmp_ne_u64_e32 vcc_lo, v[38:39], v[40:41]
	s_wait_loadcnt_dscnt 0xc0c
	ds_store_2addr_stride64_b64 v56, v[14:15], v[16:17] offset1:4
	s_wait_loadcnt_dscnt 0xa0b
	ds_store_2addr_stride64_b64 v56, v[22:23], v[24:25] offset0:8 offset1:12
	s_wait_loadcnt_dscnt 0x80a
	ds_store_2addr_stride64_b64 v56, v[30:31], v[32:33] offset0:16 offset1:20
	;; [unrolled: 2-line block ×6, first 2 shown]
	s_wait_dscnt 0x0
	s_barrier_signal -1
	s_barrier_wait -1
	ds_load_2addr_b64 v[50:53], v1 offset0:1 offset1:2
	ds_load_2addr_b64 v[46:49], v1 offset0:3 offset1:4
	;; [unrolled: 1-line block ×6, first 2 shown]
	ds_load_b64 v[54:55], v1 offset:104
	v_mov_b64_e32 v[60:61], s[48:49]
	v_cmpx_eq_u64_e64 v[38:39], v[40:41]
; %bb.80:
	ds_load_b64 v[60:61], v1
; %bb.81:
	s_or_b32 exec_lo, exec_lo, s1
	v_cndmask_b32_e64 v111, 0, 1, vcc_lo
	v_cmp_ne_u64_e32 vcc_lo, v[40:41], v[34:35]
	v_cmp_ne_u64_e64 s0, v[34:35], v[36:37]
	v_cmp_ne_u64_e64 s1, v[36:37], v[26:27]
	;; [unrolled: 1-line block ×12, first 2 shown]
	s_wait_dscnt 0x6
	v_cndmask_b32_e64 v63, v51, s49, vcc_lo
	v_cndmask_b32_e64 v62, v50, s48, vcc_lo
	v_cndmask_b32_e64 v65, v53, s49, s0
	v_cndmask_b32_e64 v64, v52, s48, s0
	s_wait_dscnt 0x5
	v_cndmask_b32_e64 v69, v47, s49, s1
	v_cndmask_b32_e64 v68, v46, s48, s1
	v_cndmask_b32_e64 v71, v49, s49, s2
	v_cndmask_b32_e64 v70, v48, s48, s2
	s_wait_dscnt 0x4
	v_cndmask_b32_e64 v75, v43, s49, s3
	v_cndmask_b32_e64 v74, v42, s48, s3
	;; [unrolled: 5-line block ×5, first 2 shown]
	v_cndmask_b32_e64 v66, v16, s48, s10
	v_cndmask_b32_e64 v80, v14, s48, s9
	v_cndmask_b32_e64 v108, 0, 1, vcc_lo
	v_cndmask_b32_e64 v105, 0, 1, s0
	v_cndmask_b32_e64 v102, 0, 1, s1
	;; [unrolled: 1-line block ×11, first 2 shown]
	s_wait_dscnt 0x0
	v_cndmask_b32_e64 v45, v55, s49, s19
	v_cndmask_b32_e64 v44, v54, s48, s19
	v_mov_b64_e32 v[30:31], v[66:67]
	v_mov_b64_e32 v[34:35], v[80:81]
	;; [unrolled: 1-line block ×13, first 2 shown]
	v_dual_mov_b32 v92, v86 :: v_dual_mov_b32 v91, v87
	v_dual_mov_b32 v94, v88 :: v_dual_mov_b32 v96, v89
	v_dual_mov_b32 v98, v90 :: v_dual_mov_b32 v99, v93
	v_dual_mov_b32 v101, v95 :: v_dual_mov_b32 v103, v97
	v_dual_mov_b32 v106, v100 :: v_dual_mov_b32 v107, v102
	v_dual_mov_b32 v110, v105 :: v_dual_mov_b32 v112, v108
	v_mov_b32_e32 v1, v111
	s_mov_b32 s3, -1
.LBB425_82:
	v_mov_b32_e32 v57, 0
	s_and_saveexec_b32 s0, s3
	s_cbranch_execz .LBB425_84
; %bb.83:
	v_mov_b64_e32 v[58:59], v[60:61]
	v_mov_b64_e32 v[32:33], v[62:63]
	;; [unrolled: 1-line block ×13, first 2 shown]
	v_cndmask_b32_e64 v57, 0, 1, s19
	v_dual_mov_b32 v1, v111 :: v_dual_mov_b32 v112, v108
	v_dual_mov_b32 v110, v105 :: v_dual_mov_b32 v107, v102
	;; [unrolled: 1-line block ×6, first 2 shown]
	v_mov_b32_e32 v92, v86
.LBB425_84:
	s_or_b32 exec_lo, exec_lo, s0
	v_dual_lshrrev_b32 v65, 1, v0 :: v_dual_bitop2_b32 v67, 1, v1 bitop3:0x40
	v_and_b32_e32 v66, 1, v107
	v_and_b32_e32 v64, 1, v101
	;; [unrolled: 1-line block ×4, first 2 shown]
	v_cmp_eq_u32_e64 s12, 1, v67
	v_and_b32_e32 v84, 0xff, v112
	v_and_b32_e32 v83, 0xff, v110
	v_bitop3_b16 v69, v110, 0xff, v112 bitop3:0xc8
	v_and_b32_e32 v82, 0xff, v107
	v_cmp_eq_u32_e64 s13, 1, v66
	v_and_b32_e32 v81, 0xff, v106
	v_and_b32_e32 v80, 0xff, v103
	v_bitop3_b16 v70, v103, 0xff, v106 bitop3:0xc8
	v_and_b32_e32 v79, 0xff, v101
	;; [unrolled: 5-line block ×4, first 2 shown]
	v_cmp_eq_u32_e64 s17, 1, v62
	v_cmp_eq_u16_e64 s16, 0, v57
	v_and_b32_e32 v68, 1, v57
	s_cmp_lg_u32 s46, 0
	v_cmp_gt_u32_e32 vcc_lo, 32, v0
	s_barrier_signal -1
	s_barrier_wait -1
	s_cbranch_scc0 .LBB425_146
; %bb.85:
	v_cmp_eq_u16_e64 s0, 0, v84
	v_cmp_eq_u16_e64 s1, 0, v83
	;; [unrolled: 1-line block ×5, first 2 shown]
	v_dual_cndmask_b32 v3, 0, v59, s0 :: v_dual_cndmask_b32 v2, 0, v58, s0
	v_cmp_eq_u16_e64 s5, 0, v79
	v_cmp_eq_u16_e64 s6, 0, v78
	;; [unrolled: 1-line block ×4, first 2 shown]
	v_add_nc_u64_e32 v[2:3], v[2:3], v[32:33]
	v_cmp_eq_u16_e64 s9, 0, v75
	v_cmp_eq_u16_e64 s10, 0, v74
	;; [unrolled: 1-line block ×3, first 2 shown]
	v_cmp_ne_u16_e64 s20, 0, v72
	v_cmp_ne_u16_e64 s21, 0, v71
	v_cmp_eq_u32_e64 s22, 1, v68
	v_dual_cndmask_b32 v3, 0, v3, s1 :: v_dual_cndmask_b32 v2, 0, v2, s1
	v_cmp_ne_u16_e64 s19, 0, v70
	s_or_b32 s17, s20, s17
	v_cmp_ne_u16_e64 s18, 0, v69
	s_or_b32 s15, s21, s15
	v_add_nc_u64_e32 v[2:3], v[2:3], v[54:55]
	s_or_b32 s17, s22, s17
	s_or_b32 s14, s19, s14
	;; [unrolled: 1-line block ×5, first 2 shown]
	v_and_b32_e32 v4, 0x70, v65
	v_dual_cndmask_b32 v3, 0, v3, s2 :: v_dual_cndmask_b32 v2, 0, v2, s2
	s_or_b32 s13, s14, s13
	s_delay_alu instid0(SALU_CYCLE_1) | instskip(NEXT) | instid1(VALU_DEP_2)
	s_or_b32 s12, s13, s12
	v_lshl_add_u32 v4, v0, 4, v4
	s_delay_alu instid0(VALU_DEP_2) | instskip(SKIP_1) | instid1(VALU_DEP_2)
	v_add_nc_u64_e32 v[2:3], v[2:3], v[52:53]
	v_cndmask_b32_e64 v12, 0, 1, s12
	v_dual_cndmask_b32 v3, 0, v3, s3 :: v_dual_cndmask_b32 v2, 0, v2, s3
	s_delay_alu instid0(VALU_DEP_1) | instskip(NEXT) | instid1(VALU_DEP_1)
	v_add_nc_u64_e32 v[2:3], v[2:3], v[50:51]
	v_dual_cndmask_b32 v3, 0, v3, s4 :: v_dual_cndmask_b32 v2, 0, v2, s4
	s_delay_alu instid0(VALU_DEP_1) | instskip(NEXT) | instid1(VALU_DEP_1)
	v_add_nc_u64_e32 v[2:3], v[2:3], v[48:49]
	;; [unrolled: 3-line block ×9, first 2 shown]
	v_dual_cndmask_b32 v3, 0, v3, s16 :: v_dual_cndmask_b32 v2, 0, v2, s16
	s_delay_alu instid0(VALU_DEP_1)
	v_add_nc_u64_e32 v[2:3], v[2:3], v[44:45]
	ds_store_b64 v4, v[2:3]
	ds_store_b8 v4, v12 offset:8
	s_wait_dscnt 0x0
	s_barrier_signal -1
	s_barrier_wait -1
	s_and_saveexec_b32 s15, vcc_lo
	s_cbranch_execz .LBB425_97
; %bb.86:
	v_dual_lshlrev_b32 v4, 2, v0 :: v_dual_lshlrev_b32 v5, 7, v0
	s_delay_alu instid0(VALU_DEP_1) | instskip(NEXT) | instid1(VALU_DEP_1)
	v_and_b32_e32 v4, 0x3f0, v4
	v_add_nc_u32_e32 v8, v4, v5
	ds_load_u8 v10, v8 offset:24
	ds_load_b64 v[4:5], v8
	ds_load_2addr_b64 v[14:17], v8 offset0:2 offset1:4
	ds_load_u8 v11, v8 offset:40
	ds_load_b32 v9, v8 offset:8
	ds_load_u8 v13, v8 offset:56
	ds_load_u8 v22, v8 offset:72
	;; [unrolled: 1-line block ×4, first 2 shown]
	s_wait_dscnt 0x8
	v_cmp_eq_u16_e64 s12, 0, v10
	s_wait_dscnt 0x7
	s_delay_alu instid0(VALU_DEP_1)
	v_dual_cndmask_b32 v7, 0, v5, s12 :: v_dual_cndmask_b32 v6, 0, v4, s12
	s_wait_dscnt 0x5
	v_cmp_eq_u16_e64 s12, 0, v11
	ds_load_2addr_b64 v[18:21], v8 offset0:6 offset1:8
	s_wait_dscnt 0x4
	v_bitop3_b16 v10, v11, v13, v10 bitop3:0xfe
	s_wait_dscnt 0x1
	v_bitop3_b16 v11, v23, v24, v22 bitop3:0xfe
	v_add_nc_u64_e32 v[6:7], v[6:7], v[14:15]
	s_delay_alu instid0(VALU_DEP_1) | instskip(SKIP_1) | instid1(VALU_DEP_2)
	v_dual_cndmask_b32 v7, 0, v7, s12 :: v_dual_cndmask_b32 v6, 0, v6, s12
	v_cmp_eq_u16_e64 s12, 0, v13
	v_add_nc_u64_e32 v[6:7], v[6:7], v[16:17]
	s_delay_alu instid0(VALU_DEP_1) | instskip(SKIP_2) | instid1(VALU_DEP_2)
	v_dual_cndmask_b32 v7, 0, v7, s12 :: v_dual_cndmask_b32 v6, 0, v6, s12
	v_cmp_eq_u16_e64 s12, 0, v22
	s_wait_dscnt 0x0
	v_add_nc_u64_e32 v[6:7], v[6:7], v[18:19]
	ds_load_2addr_b64 v[14:17], v8 offset0:10 offset1:12
	ds_load_u8 v18, v8 offset:120
	v_dual_cndmask_b32 v7, 0, v7, s12 :: v_dual_cndmask_b32 v6, 0, v6, s12
	v_cmp_eq_u16_e64 s12, 0, v23
	s_delay_alu instid0(VALU_DEP_2) | instskip(NEXT) | instid1(VALU_DEP_1)
	v_add_nc_u64_e32 v[6:7], v[6:7], v[20:21]
	v_dual_cndmask_b32 v7, 0, v7, s12 :: v_dual_cndmask_b32 v6, 0, v6, s12
	s_wait_dscnt 0x0
	v_bitop3_b16 v10, v18, v10, v11 bitop3:0xfe
	v_and_b32_e32 v11, 1, v9
	v_cmp_eq_u16_e64 s12, 0, v24
	v_cmp_eq_u16_e64 s14, 0, v18
	v_add_nc_u64_e32 v[6:7], v[6:7], v[14:15]
	ds_load_b64 v[14:15], v8 offset:112
	v_dual_cndmask_b32 v7, 0, v7, s12 :: v_dual_bitop2_b32 v10, 1, v10 bitop3:0x40
	v_cndmask_b32_e64 v6, 0, v6, s12
	v_cmp_eq_u32_e64 s12, 1, v11
	s_delay_alu instid0(VALU_DEP_3) | instskip(SKIP_4) | instid1(SALU_CYCLE_1)
	v_cmp_eq_u32_e64 s13, 1, v10
	v_and_b32_e32 v10, 0xffffff00, v9
	v_mbcnt_lo_u32_b32 v11, -1, 0
	v_add_nc_u64_e32 v[6:7], v[6:7], v[16:17]
	s_or_b32 s13, s13, s12
	v_cndmask_b32_e64 v16, 0, 1, s13
	v_cndmask_b32_e64 v13, 0, 1, s13
	s_delay_alu instid0(VALU_DEP_3) | instskip(SKIP_2) | instid1(VALU_DEP_1)
	v_dual_cndmask_b32 v7, 0, v7, s14 :: v_dual_cndmask_b32 v6, 0, v6, s14
	s_mov_b32 s14, exec_lo
	s_wait_dscnt 0x0
	v_add_nc_u64_e32 v[6:7], v[6:7], v[14:15]
	v_or_b32_e32 v15, v10, v16
	v_and_b32_e32 v14, 15, v11
	s_delay_alu instid0(VALU_DEP_2) | instskip(NEXT) | instid1(VALU_DEP_4)
	v_mov_b32_dpp v17, v15 row_shr:1 row_mask:0xf bank_mask:0xf
	v_mov_b32_dpp v16, v6 row_shr:1 row_mask:0xf bank_mask:0xf
	;; [unrolled: 1-line block ×3, first 2 shown]
	s_delay_alu instid0(VALU_DEP_4)
	v_cmpx_ne_u32_e32 0, v14
; %bb.87:
	s_delay_alu instid0(VALU_DEP_4) | instskip(NEXT) | instid1(VALU_DEP_3)
	v_bitop3_b16 v13, v17, v13, 1 bitop3:0xec
	v_cndmask_b32_e64 v17, v18, 0, s13
	v_cndmask_b32_e64 v16, v16, 0, s13
	s_delay_alu instid0(VALU_DEP_3) | instskip(NEXT) | instid1(VALU_DEP_2)
	v_and_b32_e32 v15, 0xffff, v13
	v_add_nc_u64_e32 v[6:7], v[16:17], v[6:7]
	s_delay_alu instid0(VALU_DEP_2)
	v_or_b32_e32 v15, v10, v15
; %bb.88:
	s_or_b32 exec_lo, exec_lo, s14
	s_delay_alu instid0(VALU_DEP_2) | instskip(NEXT) | instid1(VALU_DEP_3)
	v_mov_b32_dpp v16, v6 row_shr:2 row_mask:0xf bank_mask:0xf
	v_mov_b32_dpp v17, v7 row_shr:2 row_mask:0xf bank_mask:0xf
	s_delay_alu instid0(VALU_DEP_3)
	v_mov_b32_dpp v18, v15 row_shr:2 row_mask:0xf bank_mask:0xf
	s_mov_b32 s16, exec_lo
	v_cmpx_lt_u32_e32 1, v14
	s_cbranch_execz .LBB425_90
; %bb.89:
	v_cmp_eq_u16_e64 s12, 0, v13
	v_and_b32_e32 v15, 1, v13
	s_delay_alu instid0(VALU_DEP_2) | instskip(SKIP_1) | instid1(VALU_DEP_3)
	v_dual_cndmask_b32 v17, 0, v17, s12 :: v_dual_bitop2_b32 v18, 1, v18 bitop3:0x40
	v_cndmask_b32_e64 v16, 0, v16, s12
	v_cmp_eq_u32_e64 s13, 1, v15
	s_delay_alu instid0(VALU_DEP_3) | instskip(NEXT) | instid1(VALU_DEP_3)
	v_cmp_eq_u32_e64 s14, 1, v18
	v_add_nc_u64_e32 v[6:7], v[16:17], v[6:7]
	s_or_b32 s12, s13, s14
	s_delay_alu instid0(SALU_CYCLE_1) | instskip(SKIP_1) | instid1(VALU_DEP_2)
	v_cndmask_b32_e64 v15, 0, 1, s12
	v_cndmask_b32_e64 v13, 0, 1, s12
	v_or_b32_e32 v15, v10, v15
.LBB425_90:
	s_or_b32 exec_lo, exec_lo, s16
	s_delay_alu instid0(VALU_DEP_4) | instskip(SKIP_1) | instid1(VALU_DEP_3)
	v_mov_b32_dpp v16, v6 row_shr:4 row_mask:0xf bank_mask:0xf
	v_mov_b32_dpp v17, v7 row_shr:4 row_mask:0xf bank_mask:0xf
	;; [unrolled: 1-line block ×3, first 2 shown]
	s_mov_b32 s16, exec_lo
	v_cmpx_lt_u32_e32 3, v14
	s_cbranch_execz .LBB425_92
; %bb.91:
	v_cmp_eq_u16_e64 s12, 0, v13
	v_and_b32_e32 v15, 1, v13
	s_delay_alu instid0(VALU_DEP_2) | instskip(SKIP_1) | instid1(VALU_DEP_3)
	v_dual_cndmask_b32 v17, 0, v17, s12 :: v_dual_bitop2_b32 v18, 1, v18 bitop3:0x40
	v_cndmask_b32_e64 v16, 0, v16, s12
	v_cmp_eq_u32_e64 s13, 1, v15
	s_delay_alu instid0(VALU_DEP_3) | instskip(NEXT) | instid1(VALU_DEP_3)
	v_cmp_eq_u32_e64 s14, 1, v18
	v_add_nc_u64_e32 v[6:7], v[16:17], v[6:7]
	s_or_b32 s12, s13, s14
	s_delay_alu instid0(SALU_CYCLE_1) | instskip(SKIP_1) | instid1(VALU_DEP_2)
	v_cndmask_b32_e64 v15, 0, 1, s12
	v_cndmask_b32_e64 v13, 0, 1, s12
	v_or_b32_e32 v15, v10, v15
.LBB425_92:
	s_or_b32 exec_lo, exec_lo, s16
	s_delay_alu instid0(VALU_DEP_4) | instskip(SKIP_1) | instid1(VALU_DEP_3)
	v_mov_b32_dpp v16, v6 row_shr:8 row_mask:0xf bank_mask:0xf
	v_mov_b32_dpp v17, v7 row_shr:8 row_mask:0xf bank_mask:0xf
	;; [unrolled: 1-line block ×3, first 2 shown]
	s_mov_b32 s16, exec_lo
	v_cmpx_lt_u32_e32 7, v14
	s_cbranch_execz .LBB425_94
; %bb.93:
	v_and_b32_e32 v14, 1, v13
	v_cmp_eq_u16_e64 s12, 0, v13
	v_and_b32_e32 v15, 1, v18
	s_delay_alu instid0(VALU_DEP_3) | instskip(NEXT) | instid1(VALU_DEP_3)
	v_cmp_eq_u32_e64 s13, 1, v14
	v_cndmask_b32_e64 v14, 0, v16, s12
	s_delay_alu instid0(VALU_DEP_3) | instskip(SKIP_2) | instid1(VALU_DEP_1)
	v_cmp_eq_u32_e64 s14, 1, v15
	v_cndmask_b32_e64 v15, 0, v17, s12
	s_or_b32 s12, s13, s14
	v_add_nc_u64_e32 v[6:7], v[14:15], v[6:7]
	v_cndmask_b32_e64 v16, 0, 1, s12
	v_cndmask_b32_e64 v13, 0, 1, s12
	s_delay_alu instid0(VALU_DEP_2)
	v_or_b32_e32 v15, v10, v16
.LBB425_94:
	s_or_b32 exec_lo, exec_lo, s16
	ds_swizzle_b32 v14, v6 offset:swizzle(BROADCAST,32,15)
	ds_swizzle_b32 v16, v7 offset:swizzle(BROADCAST,32,15)
	;; [unrolled: 1-line block ×3, first 2 shown]
	v_and_b32_e32 v17, 16, v11
	s_mov_b32 s14, exec_lo
	s_delay_alu instid0(VALU_DEP_1)
	v_cmpx_ne_u32_e32 0, v17
	s_cbranch_execz .LBB425_96
; %bb.95:
	v_cmp_eq_u16_e64 s12, 0, v13
	v_and_b32_e32 v13, 1, v13
	s_wait_dscnt 0x0
	s_delay_alu instid0(VALU_DEP_2) | instskip(SKIP_1) | instid1(VALU_DEP_3)
	v_dual_cndmask_b32 v14, 0, v14, s12 :: v_dual_bitop2_b32 v17, 1, v15 bitop3:0x40
	v_cndmask_b32_e64 v15, 0, v16, s12
	v_cmp_eq_u32_e64 s12, 1, v13
	s_delay_alu instid0(VALU_DEP_3) | instskip(NEXT) | instid1(VALU_DEP_3)
	v_cmp_eq_u32_e64 s13, 1, v17
	v_add_nc_u64_e32 v[6:7], v[14:15], v[6:7]
	s_or_b32 s12, s12, s13
	s_delay_alu instid0(SALU_CYCLE_1)
	v_cndmask_b32_e64 v13, 0, 1, s12
.LBB425_96:
	s_or_b32 exec_lo, exec_lo, s14
	s_wait_dscnt 0x2
	v_add_nc_u32_e32 v14, -1, v11
	s_delay_alu instid0(VALU_DEP_2) | instskip(NEXT) | instid1(VALU_DEP_2)
	v_and_b32_e32 v13, 0xffff, v13
	; wave barrier
	v_cmp_gt_i32_e64 s12, 0, v14
	s_delay_alu instid0(VALU_DEP_1) | instskip(NEXT) | instid1(VALU_DEP_1)
	v_cndmask_b32_e64 v11, v14, v11, s12
	v_lshlrev_b32_e32 v11, 2, v11
	ds_bpermute_b32 v7, v11, v7
	ds_bpermute_b32 v6, v11, v6
	v_or_b32_e32 v10, v10, v13
	ds_bpermute_b32 v10, v11, v10
	v_and_b32_e32 v11, 0xff, v9
	s_delay_alu instid0(VALU_DEP_1) | instskip(SKIP_1) | instid1(VALU_DEP_1)
	v_cmp_eq_u32_e64 s12, 0, v11
	s_wait_dscnt 0x1
	v_dual_cndmask_b32 v7, 0, v7, s12 :: v_dual_cndmask_b32 v6, 0, v6, s12
	v_cmp_eq_u32_e64 s12, 0, v0
	s_delay_alu instid0(VALU_DEP_2) | instskip(SKIP_1) | instid1(VALU_DEP_1)
	v_add_nc_u64_e32 v[4:5], v[6:7], v[4:5]
	s_wait_dscnt 0x0
	v_dual_cndmask_b32 v11, v5, v3, s12 :: v_dual_bitop2_b32 v9, v10, v9 bitop3:0x54
	s_delay_alu instid0(VALU_DEP_1) | instskip(NEXT) | instid1(VALU_DEP_1)
	v_dual_cndmask_b32 v10, v4, v2, s12 :: v_dual_bitop2_b32 v6, 1, v9 bitop3:0x40
	v_cndmask_b32_e64 v9, v6, v12, s12
	ds_store_b64 v8, v[10:11]
	ds_store_b8 v8, v9 offset:8
	; wave barrier
	ds_load_u8 v13, v8 offset:24
	ds_load_2addr_b64 v[4:7], v8 offset0:2 offset1:4
	ds_load_u8 v24, v8 offset:40
	ds_load_u8 v25, v8 offset:56
	;; [unrolled: 1-line block ×5, first 2 shown]
	ds_load_b64 v[18:19], v8 offset:112
	ds_load_u8 v29, v8 offset:120
	s_wait_dscnt 0x8
	v_and_b32_e32 v14, 0xff, v13
	s_wait_dscnt 0x5
	v_and_b32_e32 v22, 0xff, v25
	s_delay_alu instid0(VALU_DEP_2) | instskip(SKIP_3) | instid1(VALU_DEP_3)
	v_cmp_eq_u16_e64 s12, 0, v14
	v_and_b32_e32 v14, 0xff, v24
	s_wait_dscnt 0x3
	v_and_b32_e32 v60, 0xff, v27
	v_dual_cndmask_b32 v11, 0, v11, s12 :: v_dual_cndmask_b32 v10, 0, v10, s12
	s_delay_alu instid0(VALU_DEP_3) | instskip(SKIP_3) | instid1(VALU_DEP_1)
	v_cmp_eq_u16_e64 s12, 0, v14
	ds_load_2addr_b64 v[14:17], v8 offset0:6 offset1:8
	v_bitop3_b16 v61, v13, 1, v9 bitop3:0xc8
	v_add_nc_u64_e32 v[10:11], v[10:11], v[4:5]
	v_dual_cndmask_b32 v5, 0, v11, s12 :: v_dual_cndmask_b32 v4, 0, v10, s12
	v_cmp_eq_u16_e64 s12, 0, v22
	s_delay_alu instid0(VALU_DEP_2) | instskip(SKIP_1) | instid1(VALU_DEP_2)
	v_add_nc_u64_e32 v[20:21], v[4:5], v[6:7]
	v_and_b32_e32 v6, 0xff, v26
	v_dual_cndmask_b32 v5, 0, v21, s12 :: v_dual_cndmask_b32 v4, 0, v20, s12
	s_delay_alu instid0(VALU_DEP_2) | instskip(SKIP_1) | instid1(VALU_DEP_2)
	v_cmp_eq_u16_e64 s12, 0, v6
	s_wait_dscnt 0x0
	v_add_nc_u64_e32 v[14:15], v[4:5], v[14:15]
	ds_load_2addr_b64 v[4:7], v8 offset0:10 offset1:12
	v_dual_cndmask_b32 v23, 0, v15, s12 :: v_dual_cndmask_b32 v22, 0, v14, s12
	v_cmp_eq_u16_e64 s12, 0, v60
	v_and_b32_e32 v60, 0xff, v28
	s_delay_alu instid0(VALU_DEP_3) | instskip(NEXT) | instid1(VALU_DEP_1)
	v_add_nc_u64_e32 v[16:17], v[22:23], v[16:17]
	v_dual_cndmask_b32 v23, 0, v17, s12 :: v_dual_cndmask_b32 v22, 0, v16, s12
	s_delay_alu instid0(VALU_DEP_3) | instskip(SKIP_4) | instid1(VALU_DEP_3)
	v_cmp_eq_u16_e64 s12, 0, v60
	v_or_b32_e32 v60, v13, v9
	v_bitop3_b16 v9, v24, v13, v9 bitop3:0xfe
	s_wait_dscnt 0x0
	v_add_nc_u64_e32 v[4:5], v[22:23], v[4:5]
	v_bitop3_b16 v13, v25, v24, v60 bitop3:0xfe
	v_bitop3_b16 v24, v24, 1, v60 bitop3:0xc8
	;; [unrolled: 1-line block ×4, first 2 shown]
	v_dual_cndmask_b32 v23, 0, v5, s12 :: v_dual_cndmask_b32 v22, 0, v4, s12
	v_cmp_eq_u16_e64 s12, 0, v29
	s_delay_alu instid0(VALU_DEP_3) | instskip(SKIP_1) | instid1(VALU_DEP_4)
	v_bitop3_b16 v25, v28, v27, v9 bitop3:0xfe
	v_bitop3_b16 v9, v27, 1, v9 bitop3:0xc8
	v_add_nc_u64_e32 v[6:7], v[22:23], v[6:7]
	v_bitop3_b16 v22, v27, v26, v13 bitop3:0xfe
	v_bitop3_b16 v13, v26, 1, v13 bitop3:0xc8
	ds_store_2addr_b64 v8, v[10:11], v[20:21] offset0:2 offset1:4
	ds_store_2addr_b64 v8, v[14:15], v[16:17] offset0:6 offset1:8
	;; [unrolled: 1-line block ×3, first 2 shown]
	v_bitop3_b16 v26, v28, 1, v22 bitop3:0xc8
	v_dual_cndmask_b32 v23, 0, v7, s12 :: v_dual_cndmask_b32 v22, 0, v6, s12
	v_bitop3_b16 v25, v29, 1, v25 bitop3:0xc8
	s_delay_alu instid0(VALU_DEP_2)
	v_add_nc_u64_e32 v[4:5], v[22:23], v[18:19]
	ds_store_b8 v8, v61 offset:24
	ds_store_b8 v8, v24 offset:40
	;; [unrolled: 1-line block ×6, first 2 shown]
	ds_store_b64 v8, v[4:5] offset:112
	ds_store_b8 v8, v25 offset:120
.LBB425_97:
	s_or_b32 exec_lo, exec_lo, s15
	v_cmp_eq_u32_e64 s12, 0, v0
	s_mov_b32 s14, exec_lo
	s_wait_dscnt 0x0
	s_barrier_signal -1
	s_barrier_wait -1
	v_cmpx_ne_u32_e32 0, v0
	s_cbranch_execz .LBB425_99
; %bb.98:
	v_add_nc_u32_e32 v2, -1, v0
	s_delay_alu instid0(VALU_DEP_1) | instskip(NEXT) | instid1(VALU_DEP_1)
	v_lshrrev_b32_e32 v3, 1, v2
	v_and_b32_e32 v3, 0x7ffffff0, v3
	s_delay_alu instid0(VALU_DEP_1)
	v_lshl_add_u32 v4, v2, 4, v3
	ds_load_b64 v[2:3], v4
	ds_load_u8 v12, v4 offset:8
.LBB425_99:
	s_or_b32 exec_lo, exec_lo, s14
	s_and_saveexec_b32 s16, vcc_lo
	s_cbranch_execz .LBB425_151
; %bb.100:
	v_mov_b32_e32 v9, 0
	v_mbcnt_lo_u32_b32 v14, -1, 0
	s_mov_b32 s15, 0
	ds_load_b64 v[4:5], v9 offset:4192
	ds_load_u8 v13, v9 offset:4200
	v_cmp_eq_u32_e64 s13, 0, v14
	s_and_saveexec_b32 s17, s13
	s_cbranch_execz .LBB425_102
; %bb.101:
	s_add_co_i32 s14, s46, 32
	s_delay_alu instid0(SALU_CYCLE_1) | instskip(SKIP_1) | instid1(SALU_CYCLE_1)
	v_dual_mov_b32 v6, 1 :: v_dual_mov_b32 v7, s14
	s_lshl_b64 s[18:19], s[14:15], 4
	s_add_nc_u64 s[14:15], s[36:37], s[18:19]
	s_wait_dscnt 0x1
	global_store_b64 v9, v[4:5], s[14:15]
	s_wait_dscnt 0x0
	global_store_b8 v9, v13, s[14:15] offset:8
	global_wb scope:SCOPE_DEV
	s_wait_storecnt 0x0
	global_inv scope:SCOPE_DEV
	s_wait_xcnt 0x0
	global_store_b8 v7, v6, s[40:41] scope:SCOPE_DEV
.LBB425_102:
	s_wait_xcnt 0x0
	s_or_b32 exec_lo, exec_lo, s17
	v_xad_u32 v6, v14, -1, s46
	s_mov_b32 s14, exec_lo
	s_delay_alu instid0(VALU_DEP_1)
	v_add_nc_u32_e32 v8, 32, v6
	global_load_u8 v15, v8, s[40:41] scope:SCOPE_DEV
	s_wait_loadcnt 0x0
	v_cmpx_eq_u16_e32 0, v15
	s_cbranch_execz .LBB425_106
; %bb.103:
	v_add_nc_u64_e32 v[10:11], s[40:41], v[8:9]
	s_mov_b32 s15, 0
.LBB425_104:                            ; =>This Inner Loop Header: Depth=1
	global_load_u8 v15, v[10:11], off scope:SCOPE_DEV
	s_wait_loadcnt 0x0
	v_cmp_ne_u16_e32 vcc_lo, 0, v15
	s_or_b32 s15, vcc_lo, s15
	s_wait_xcnt 0x0
	s_and_not1_b32 exec_lo, exec_lo, s15
	s_cbranch_execnz .LBB425_104
; %bb.105:
	s_or_b32 exec_lo, exec_lo, s15
.LBB425_106:
	s_delay_alu instid0(SALU_CYCLE_1)
	s_or_b32 exec_lo, exec_lo, s14
	v_dual_mov_b32 v7, s37 :: v_dual_mov_b32 v10, s36
	v_cmp_eq_u16_e32 vcc_lo, 1, v15
	global_wb scope:SCOPE_DEV
	s_wait_storecnt_dscnt 0x0
	global_inv scope:SCOPE_DEV
	v_lshlrev_b32_e64 v17, v14, -1
	s_mov_b32 s14, exec_lo
	v_cndmask_b32_e32 v11, s39, v7, vcc_lo
	v_cndmask_b32_e32 v10, s38, v10, vcc_lo
	v_cmp_ne_u32_e32 vcc_lo, 31, v14
	v_add_co_ci_u32_e64 v7, null, 0, v14, vcc_lo
	v_cmp_eq_u16_e32 vcc_lo, 2, v15
	s_delay_alu instid0(VALU_DEP_2)
	v_lshlrev_b32_e32 v16, 2, v7
	v_lshl_add_u64 v[8:9], v[8:9], 4, v[10:11]
	s_clause 0x1
	global_load_u8 v27, v[8:9], off offset:8
	global_load_b64 v[10:11], v[8:9], off
	v_and_or_b32 v7, vcc_lo, v17, 0x80000000
	s_delay_alu instid0(VALU_DEP_1)
	v_ctz_i32_b32_e32 v7, v7
	s_wait_loadcnt 0x1
	s_wait_xcnt 0x0
	v_and_b32_e32 v8, 1, v27
	s_wait_loadcnt 0x0
	ds_bpermute_b32 v18, v16, v10
	ds_bpermute_b32 v19, v16, v11
	;; [unrolled: 1-line block ×3, first 2 shown]
	v_cmpx_lt_u32_e64 v14, v7
	s_cbranch_execz .LBB425_108
; %bb.107:
	v_and_b32_e32 v8, 0xff, v27
	s_wait_dscnt 0x0
	v_bitop3_b16 v27, v9, v27, 1 bitop3:0xec
	s_delay_alu instid0(VALU_DEP_2) | instskip(NEXT) | instid1(VALU_DEP_2)
	v_cmp_eq_u16_e32 vcc_lo, 0, v8
	v_and_b32_e32 v8, 0xff, v27
	v_dual_cndmask_b32 v19, 0, v19 :: v_dual_cndmask_b32 v18, 0, v18
	s_delay_alu instid0(VALU_DEP_1)
	v_add_nc_u64_e32 v[10:11], v[18:19], v[10:11]
.LBB425_108:
	s_or_b32 exec_lo, exec_lo, s14
	v_cmp_gt_u32_e32 vcc_lo, 30, v14
	s_wait_dscnt 0x1
	v_add_nc_u32_e32 v19, 2, v14
	s_mov_b32 s15, exec_lo
	s_wait_dscnt 0x0
	v_cndmask_b32_e64 v9, 0, 2, vcc_lo
	s_delay_alu instid0(VALU_DEP_1)
	v_add_lshl_u32 v18, v9, v14, 2
	ds_bpermute_b32 v9, v18, v10
	ds_bpermute_b32 v20, v18, v11
	;; [unrolled: 1-line block ×3, first 2 shown]
	v_cmpx_le_u32_e64 v19, v7
	s_cbranch_execz .LBB425_110
; %bb.109:
	v_and_b32_e32 v8, 0xff, v27
	s_delay_alu instid0(VALU_DEP_1) | instskip(SKIP_3) | instid1(VALU_DEP_2)
	v_cmp_eq_u16_e32 vcc_lo, 0, v8
	v_and_b32_e32 v22, 1, v27
	s_wait_dscnt 0x0
	v_dual_cndmask_b32 v21, 0, v20, vcc_lo :: v_dual_bitop2_b32 v8, 1, v21 bitop3:0x40
	v_cmp_eq_u32_e64 s14, 1, v22
	v_cndmask_b32_e32 v20, 0, v9, vcc_lo
	s_delay_alu instid0(VALU_DEP_3) | instskip(NEXT) | instid1(VALU_DEP_2)
	v_cmp_eq_u32_e32 vcc_lo, 1, v8
	v_add_nc_u64_e32 v[10:11], v[20:21], v[10:11]
	s_or_b32 s14, s14, vcc_lo
	s_delay_alu instid0(SALU_CYCLE_1)
	v_cndmask_b32_e64 v27, 0, 1, s14
	v_cndmask_b32_e64 v8, 0, 1, s14
.LBB425_110:
	s_or_b32 exec_lo, exec_lo, s15
	v_cmp_gt_u32_e32 vcc_lo, 28, v14
	s_wait_dscnt 0x0
	v_add_nc_u32_e32 v21, 4, v14
	s_mov_b32 s15, exec_lo
	v_cndmask_b32_e64 v9, 0, 4, vcc_lo
	s_delay_alu instid0(VALU_DEP_1)
	v_add_lshl_u32 v20, v9, v14, 2
	ds_bpermute_b32 v9, v20, v10
	ds_bpermute_b32 v22, v20, v11
	;; [unrolled: 1-line block ×3, first 2 shown]
	v_cmpx_le_u32_e64 v21, v7
	s_cbranch_execz .LBB425_112
; %bb.111:
	v_and_b32_e32 v8, 0xff, v27
	s_delay_alu instid0(VALU_DEP_1) | instskip(SKIP_3) | instid1(VALU_DEP_2)
	v_cmp_eq_u16_e32 vcc_lo, 0, v8
	v_and_b32_e32 v24, 1, v27
	s_wait_dscnt 0x0
	v_dual_cndmask_b32 v23, 0, v22, vcc_lo :: v_dual_bitop2_b32 v8, 1, v23 bitop3:0x40
	v_cmp_eq_u32_e64 s14, 1, v24
	v_cndmask_b32_e32 v22, 0, v9, vcc_lo
	s_delay_alu instid0(VALU_DEP_3) | instskip(NEXT) | instid1(VALU_DEP_2)
	v_cmp_eq_u32_e32 vcc_lo, 1, v8
	v_add_nc_u64_e32 v[10:11], v[22:23], v[10:11]
	s_or_b32 s14, s14, vcc_lo
	s_delay_alu instid0(SALU_CYCLE_1)
	v_cndmask_b32_e64 v27, 0, 1, s14
	v_cndmask_b32_e64 v8, 0, 1, s14
.LBB425_112:
	s_or_b32 exec_lo, exec_lo, s15
	v_cmp_gt_u32_e32 vcc_lo, 24, v14
	s_wait_dscnt 0x0
	v_add_nc_u32_e32 v23, 8, v14
	s_mov_b32 s15, exec_lo
	v_cndmask_b32_e64 v9, 0, 8, vcc_lo
	s_delay_alu instid0(VALU_DEP_1)
	v_add_lshl_u32 v22, v9, v14, 2
	ds_bpermute_b32 v9, v22, v10
	ds_bpermute_b32 v24, v22, v11
	ds_bpermute_b32 v25, v22, v8
	v_cmpx_le_u32_e64 v23, v7
	s_cbranch_execz .LBB425_114
; %bb.113:
	v_and_b32_e32 v8, 0xff, v27
	s_delay_alu instid0(VALU_DEP_1) | instskip(SKIP_3) | instid1(VALU_DEP_2)
	v_cmp_eq_u16_e32 vcc_lo, 0, v8
	v_and_b32_e32 v26, 1, v27
	s_wait_dscnt 0x0
	v_dual_cndmask_b32 v25, 0, v24, vcc_lo :: v_dual_bitop2_b32 v8, 1, v25 bitop3:0x40
	v_cmp_eq_u32_e64 s14, 1, v26
	v_cndmask_b32_e32 v24, 0, v9, vcc_lo
	s_delay_alu instid0(VALU_DEP_3) | instskip(NEXT) | instid1(VALU_DEP_2)
	v_cmp_eq_u32_e32 vcc_lo, 1, v8
	v_add_nc_u64_e32 v[10:11], v[24:25], v[10:11]
	s_or_b32 s14, s14, vcc_lo
	s_delay_alu instid0(SALU_CYCLE_1)
	v_cndmask_b32_e64 v27, 0, 1, s14
	v_cndmask_b32_e64 v8, 0, 1, s14
.LBB425_114:
	s_or_b32 exec_lo, exec_lo, s15
	s_wait_dscnt 0x1
	v_lshl_or_b32 v24, v14, 2, 64
	v_add_nc_u32_e32 v26, 16, v14
	s_mov_b32 s15, exec_lo
	ds_bpermute_b32 v9, v24, v10
	s_wait_dscnt 0x1
	ds_bpermute_b32 v25, v24, v11
	ds_bpermute_b32 v8, v24, v8
	v_cmpx_le_u32_e64 v26, v7
	s_cbranch_execz .LBB425_116
; %bb.115:
	v_and_b32_e32 v7, 0xff, v27
	s_delay_alu instid0(VALU_DEP_1) | instskip(SKIP_4) | instid1(VALU_DEP_3)
	v_cmp_eq_u16_e32 vcc_lo, 0, v7
	v_and_b32_e32 v7, 1, v27
	s_wait_dscnt 0x0
	v_dual_cndmask_b32 v28, 0, v9, vcc_lo :: v_dual_bitop2_b32 v8, 1, v8 bitop3:0x40
	v_cndmask_b32_e32 v29, 0, v25, vcc_lo
	v_cmp_eq_u32_e32 vcc_lo, 1, v7
	s_delay_alu instid0(VALU_DEP_3) | instskip(NEXT) | instid1(VALU_DEP_3)
	v_cmp_eq_u32_e64 s14, 1, v8
	v_add_nc_u64_e32 v[10:11], v[28:29], v[10:11]
	s_or_b32 s14, vcc_lo, s14
	s_delay_alu instid0(SALU_CYCLE_1)
	v_cndmask_b32_e64 v27, 0, 1, s14
.LBB425_116:
	s_or_b32 exec_lo, exec_lo, s15
	v_mov_b32_e32 v7, 0
	s_branch .LBB425_119
.LBB425_117:                            ;   in Loop: Header=BB425_119 Depth=1
	s_or_b32 exec_lo, exec_lo, s17
	v_and_b32_e32 v27, 0xff, v25
	v_subrev_nc_u32_e32 v6, 32, v6
	s_delay_alu instid0(VALU_DEP_2) | instskip(SKIP_2) | instid1(VALU_DEP_2)
	v_cmp_eq_u16_e32 vcc_lo, 0, v27
	v_dual_cndmask_b32 v11, 0, v11, vcc_lo :: v_dual_bitop2_b32 v27, 1, v25 bitop3:0x40
	v_cndmask_b32_e32 v10, 0, v10, vcc_lo
	v_cmp_eq_u32_e32 vcc_lo, 1, v27
	s_delay_alu instid0(VALU_DEP_2) | instskip(SKIP_1) | instid1(SALU_CYCLE_1)
	v_add_nc_u64_e32 v[10:11], v[10:11], v[8:9]
	s_or_b32 s14, vcc_lo, s15
	v_cndmask_b32_e64 v27, 0, 1, s14
	s_mov_b32 s14, 0
.LBB425_118:                            ;   in Loop: Header=BB425_119 Depth=1
	s_delay_alu instid0(SALU_CYCLE_1)
	s_and_b32 vcc_lo, exec_lo, s14
	s_cbranch_vccnz .LBB425_147
.LBB425_119:                            ; =>This Loop Header: Depth=1
                                        ;     Child Loop BB425_122 Depth 2
	s_wait_dscnt 0x0
	v_and_b32_e32 v8, 0xff, v15
	v_mov_b32_e32 v25, v27
	s_mov_b32 s14, -1
                                        ; implicit-def: $vgpr27
                                        ; implicit-def: $vgpr15
	s_delay_alu instid0(VALU_DEP_2)
	v_cmp_ne_u16_e32 vcc_lo, 2, v8
	v_mov_b64_e32 v[8:9], v[10:11]
                                        ; implicit-def: $vgpr10_vgpr11
	s_cmp_lg_u32 vcc_lo, exec_lo
	s_cbranch_scc1 .LBB425_118
; %bb.120:                              ;   in Loop: Header=BB425_119 Depth=1
	global_load_u8 v15, v6, s[40:41] scope:SCOPE_DEV
	s_mov_b32 s14, exec_lo
	s_wait_loadcnt 0x0
	v_cmpx_eq_u16_e32 0, v15
	s_cbranch_execz .LBB425_124
; %bb.121:                              ;   in Loop: Header=BB425_119 Depth=1
	v_add_nc_u64_e32 v[10:11], s[40:41], v[6:7]
	s_mov_b32 s15, 0
.LBB425_122:                            ;   Parent Loop BB425_119 Depth=1
                                        ; =>  This Inner Loop Header: Depth=2
	global_load_u8 v15, v[10:11], off scope:SCOPE_DEV
	s_wait_loadcnt 0x0
	v_cmp_ne_u16_e32 vcc_lo, 0, v15
	s_or_b32 s15, vcc_lo, s15
	s_delay_alu instid0(SALU_CYCLE_1)
	s_and_not1_b32 exec_lo, exec_lo, s15
	s_cbranch_execnz .LBB425_122
; %bb.123:                              ;   in Loop: Header=BB425_119 Depth=1
	s_or_b32 exec_lo, exec_lo, s15
.LBB425_124:                            ;   in Loop: Header=BB425_119 Depth=1
	s_delay_alu instid0(SALU_CYCLE_1)
	s_or_b32 exec_lo, exec_lo, s14
	v_dual_mov_b32 v10, s37 :: v_dual_mov_b32 v27, s36
	v_cmp_eq_u16_e32 vcc_lo, 1, v15
	global_wb scope:SCOPE_DEV
	s_wait_storecnt 0x0
	global_inv scope:SCOPE_DEV
	s_mov_b32 s14, exec_lo
	v_cndmask_b32_e32 v11, s39, v10, vcc_lo
	v_cndmask_b32_e32 v10, s38, v27, vcc_lo
	v_cmp_eq_u16_e32 vcc_lo, 2, v15
	s_delay_alu instid0(VALU_DEP_2)
	v_lshl_add_u64 v[60:61], v[6:7], 4, v[10:11]
	v_and_or_b32 v27, vcc_lo, v17, 0x80000000
	s_clause 0x1
	global_load_u8 v28, v[60:61], off offset:8
	global_load_b64 v[10:11], v[60:61], off
	v_ctz_i32_b32_e32 v27, v27
	s_wait_loadcnt 0x1
	v_and_b32_e32 v29, 1, v28
	s_wait_loadcnt 0x0
	ds_bpermute_b32 v61, v16, v10
	ds_bpermute_b32 v85, v16, v11
	;; [unrolled: 1-line block ×3, first 2 shown]
	v_cmpx_lt_u32_e64 v14, v27
	s_cbranch_execz .LBB425_126
; %bb.125:                              ;   in Loop: Header=BB425_119 Depth=1
	v_and_b32_e32 v29, 0xff, v28
	s_wait_dscnt 0x0
	v_bitop3_b16 v28, v60, v28, 1 bitop3:0xec
	s_delay_alu instid0(VALU_DEP_2) | instskip(NEXT) | instid1(VALU_DEP_2)
	v_cmp_eq_u16_e32 vcc_lo, 0, v29
	v_and_b32_e32 v29, 0xff, v28
	v_cndmask_b32_e32 v87, 0, v85, vcc_lo
	v_cndmask_b32_e32 v86, 0, v61, vcc_lo
	s_delay_alu instid0(VALU_DEP_1)
	v_add_nc_u64_e32 v[10:11], v[86:87], v[10:11]
.LBB425_126:                            ;   in Loop: Header=BB425_119 Depth=1
	s_or_b32 exec_lo, exec_lo, s14
	s_wait_dscnt 0x0
	ds_bpermute_b32 v60, v18, v10
	ds_bpermute_b32 v61, v18, v11
	;; [unrolled: 1-line block ×3, first 2 shown]
	v_and_b32_e32 v86, 1, v28
	s_mov_b32 s14, exec_lo
	s_delay_alu instid0(VALU_DEP_1)
	v_cmp_eq_u32_e64 s15, 1, v86
	v_cmpx_le_u32_e64 v19, v27
	s_cbranch_execz .LBB425_128
; %bb.127:                              ;   in Loop: Header=BB425_119 Depth=1
	v_and_b32_e32 v28, 0xff, v28
	s_delay_alu instid0(VALU_DEP_1) | instskip(SKIP_3) | instid1(VALU_DEP_2)
	v_cmp_eq_u16_e32 vcc_lo, 0, v28
	s_wait_dscnt 0x0
	v_dual_cndmask_b32 v28, 0, v60, vcc_lo :: v_dual_bitop2_b32 v85, 1, v85 bitop3:0x40
	v_cndmask_b32_e32 v29, 0, v61, vcc_lo
	v_cmp_eq_u32_e32 vcc_lo, 1, v85
	s_delay_alu instid0(VALU_DEP_2)
	v_add_nc_u64_e32 v[10:11], v[28:29], v[10:11]
	s_or_b32 s17, s15, vcc_lo
	s_and_not1_b32 s15, s15, exec_lo
	v_cndmask_b32_e64 v28, 0, 1, s17
	v_cndmask_b32_e64 v29, 0, 1, s17
	s_and_b32 s17, s17, exec_lo
	s_delay_alu instid0(SALU_CYCLE_1)
	s_or_b32 s15, s15, s17
.LBB425_128:                            ;   in Loop: Header=BB425_119 Depth=1
	s_or_b32 exec_lo, exec_lo, s14
	s_wait_dscnt 0x2
	ds_bpermute_b32 v60, v20, v10
	s_wait_dscnt 0x2
	ds_bpermute_b32 v61, v20, v11
	;; [unrolled: 2-line block ×3, first 2 shown]
	s_mov_b32 s17, exec_lo
	v_cmpx_le_u32_e64 v21, v27
	s_cbranch_execz .LBB425_130
; %bb.129:                              ;   in Loop: Header=BB425_119 Depth=1
	v_and_b32_e32 v29, 0xff, v28
	s_and_not1_b32 s15, s15, exec_lo
	s_delay_alu instid0(VALU_DEP_1) | instskip(SKIP_4) | instid1(VALU_DEP_3)
	v_cmp_eq_u16_e32 vcc_lo, 0, v29
	v_and_b32_e32 v28, 1, v28
	s_wait_dscnt 0x0
	v_and_b32_e32 v85, 1, v85
	v_cndmask_b32_e32 v29, 0, v61, vcc_lo
	v_cmp_eq_u32_e64 s14, 1, v28
	v_cndmask_b32_e32 v28, 0, v60, vcc_lo
	s_delay_alu instid0(VALU_DEP_4) | instskip(NEXT) | instid1(VALU_DEP_2)
	v_cmp_eq_u32_e32 vcc_lo, 1, v85
	v_add_nc_u64_e32 v[10:11], v[28:29], v[10:11]
	s_or_b32 s14, s14, vcc_lo
	s_delay_alu instid0(SALU_CYCLE_1) | instskip(SKIP_2) | instid1(SALU_CYCLE_1)
	v_cndmask_b32_e64 v28, 0, 1, s14
	v_cndmask_b32_e64 v29, 0, 1, s14
	s_and_b32 s14, s14, exec_lo
	s_or_b32 s15, s15, s14
.LBB425_130:                            ;   in Loop: Header=BB425_119 Depth=1
	s_or_b32 exec_lo, exec_lo, s17
	s_wait_dscnt 0x2
	ds_bpermute_b32 v60, v22, v10
	s_wait_dscnt 0x2
	ds_bpermute_b32 v61, v22, v11
	;; [unrolled: 2-line block ×3, first 2 shown]
	s_mov_b32 s17, exec_lo
	v_cmpx_le_u32_e64 v23, v27
	s_cbranch_execz .LBB425_132
; %bb.131:                              ;   in Loop: Header=BB425_119 Depth=1
	v_and_b32_e32 v29, 0xff, v28
	s_and_not1_b32 s15, s15, exec_lo
	s_delay_alu instid0(VALU_DEP_1) | instskip(SKIP_4) | instid1(VALU_DEP_3)
	v_cmp_eq_u16_e32 vcc_lo, 0, v29
	v_and_b32_e32 v28, 1, v28
	s_wait_dscnt 0x0
	v_and_b32_e32 v85, 1, v85
	v_cndmask_b32_e32 v29, 0, v61, vcc_lo
	v_cmp_eq_u32_e64 s14, 1, v28
	v_cndmask_b32_e32 v28, 0, v60, vcc_lo
	s_delay_alu instid0(VALU_DEP_4) | instskip(NEXT) | instid1(VALU_DEP_2)
	v_cmp_eq_u32_e32 vcc_lo, 1, v85
	v_add_nc_u64_e32 v[10:11], v[28:29], v[10:11]
	s_or_b32 s14, s14, vcc_lo
	s_delay_alu instid0(SALU_CYCLE_1) | instskip(SKIP_2) | instid1(SALU_CYCLE_1)
	v_cndmask_b32_e64 v28, 0, 1, s14
	v_cndmask_b32_e64 v29, 0, 1, s14
	s_and_b32 s14, s14, exec_lo
	s_or_b32 s15, s15, s14
.LBB425_132:                            ;   in Loop: Header=BB425_119 Depth=1
	s_or_b32 exec_lo, exec_lo, s17
	s_wait_dscnt 0x2
	ds_bpermute_b32 v60, v24, v10
	s_wait_dscnt 0x2
	ds_bpermute_b32 v61, v24, v11
	ds_bpermute_b32 v29, v24, v29
	s_mov_b32 s17, exec_lo
	v_cmpx_le_u32_e64 v26, v27
	s_cbranch_execz .LBB425_117
; %bb.133:                              ;   in Loop: Header=BB425_119 Depth=1
	v_and_b32_e32 v27, 0xff, v28
	s_and_not1_b32 s15, s15, exec_lo
	s_delay_alu instid0(VALU_DEP_1) | instskip(SKIP_4) | instid1(VALU_DEP_3)
	v_cmp_eq_u16_e32 vcc_lo, 0, v27
	v_and_b32_e32 v27, 1, v28
	s_wait_dscnt 0x0
	v_dual_cndmask_b32 v28, 0, v60, vcc_lo :: v_dual_bitop2_b32 v85, 1, v29 bitop3:0x40
	v_cndmask_b32_e32 v29, 0, v61, vcc_lo
	v_cmp_eq_u32_e32 vcc_lo, 1, v27
	s_delay_alu instid0(VALU_DEP_3) | instskip(NEXT) | instid1(VALU_DEP_3)
	v_cmp_eq_u32_e64 s14, 1, v85
	v_add_nc_u64_e32 v[10:11], v[28:29], v[10:11]
	s_or_b32 s14, vcc_lo, s14
	s_delay_alu instid0(SALU_CYCLE_1) | instskip(NEXT) | instid1(SALU_CYCLE_1)
	s_and_b32 s14, s14, exec_lo
	s_or_b32 s15, s15, s14
	s_branch .LBB425_117
.LBB425_134:
	s_or_b32 exec_lo, exec_lo, s13
                                        ; implicit-def: $vgpr32_vgpr33
	s_and_saveexec_b32 s13, s0
	s_cbranch_execz .LBB425_33
.LBB425_135:
	flat_load_b64 v[32:33], v0, s[14:15] offset:2048 scale_offset
	s_wait_xcnt 0x0
	s_or_b32 exec_lo, exec_lo, s13
                                        ; implicit-def: $vgpr34_vgpr35
	s_and_saveexec_b32 s0, s1
	s_cbranch_execnz .LBB425_34
.LBB425_136:
	s_or_b32 exec_lo, exec_lo, s0
                                        ; implicit-def: $vgpr36_vgpr37
	s_and_saveexec_b32 s0, s2
	s_cbranch_execz .LBB425_35
.LBB425_137:
	flat_load_b64 v[36:37], v0, s[14:15] offset:6144 scale_offset
	s_wait_xcnt 0x0
	s_or_b32 exec_lo, exec_lo, s0
                                        ; implicit-def: $vgpr38_vgpr39
	s_and_saveexec_b32 s0, s3
	s_cbranch_execnz .LBB425_36
.LBB425_138:
	s_or_b32 exec_lo, exec_lo, s0
                                        ; implicit-def: $vgpr40_vgpr41
	s_and_saveexec_b32 s0, s4
	s_cbranch_execz .LBB425_37
.LBB425_139:
	flat_load_b64 v[40:41], v0, s[14:15] offset:10240 scale_offset
	s_wait_xcnt 0x0
	s_or_b32 exec_lo, exec_lo, s0
                                        ; implicit-def: $vgpr42_vgpr43
	s_and_saveexec_b32 s0, s5
	s_cbranch_execnz .LBB425_38
.LBB425_140:
	s_or_b32 exec_lo, exec_lo, s0
                                        ; implicit-def: $vgpr44_vgpr45
	s_and_saveexec_b32 s0, s6
	s_cbranch_execz .LBB425_39
.LBB425_141:
	flat_load_b64 v[44:45], v0, s[14:15] offset:14336 scale_offset
	s_wait_xcnt 0x0
	s_or_b32 exec_lo, exec_lo, s0
                                        ; implicit-def: $vgpr46_vgpr47
	s_and_saveexec_b32 s0, s7
	s_cbranch_execnz .LBB425_40
.LBB425_142:
	s_or_b32 exec_lo, exec_lo, s0
                                        ; implicit-def: $vgpr48_vgpr49
	s_and_saveexec_b32 s0, s8
	s_cbranch_execz .LBB425_41
.LBB425_143:
	flat_load_b64 v[48:49], v0, s[14:15] offset:18432 scale_offset
	s_wait_xcnt 0x0
	s_or_b32 exec_lo, exec_lo, s0
                                        ; implicit-def: $vgpr50_vgpr51
	s_and_saveexec_b32 s0, s9
	s_cbranch_execnz .LBB425_42
.LBB425_144:
	s_or_b32 exec_lo, exec_lo, s0
                                        ; implicit-def: $vgpr52_vgpr53
	s_and_saveexec_b32 s0, s10
	s_cbranch_execz .LBB425_43
.LBB425_145:
	flat_load_b64 v[52:53], v0, s[14:15] offset:22528 scale_offset
	s_wait_xcnt 0x0
	s_or_b32 exec_lo, exec_lo, s0
                                        ; implicit-def: $vgpr54_vgpr55
	s_and_saveexec_b32 s0, s11
	s_cbranch_execz .LBB425_45
	s_branch .LBB425_44
.LBB425_146:
                                        ; implicit-def: $vgpr60_vgpr61
                                        ; implicit-def: $vgpr26_vgpr27
                                        ; implicit-def: $vgpr24_vgpr25
                                        ; implicit-def: $vgpr20_vgpr21
                                        ; implicit-def: $vgpr16_vgpr17
                                        ; implicit-def: $vgpr8_vgpr9
                                        ; implicit-def: $vgpr12_vgpr13
                                        ; implicit-def: $vgpr4_vgpr5
	s_cbranch_execnz .LBB425_152
	s_branch .LBB425_171
.LBB425_147:
	s_and_saveexec_b32 s14, s13
	s_cbranch_execz .LBB425_149
; %bb.148:
	v_and_b32_e32 v6, 0xff, v13
	s_add_co_i32 s18, s46, 32
	s_mov_b32 s19, 0
	v_mov_b32_e32 v11, s18
	v_bitop3_b16 v10, v13, 1, v25 bitop3:0xc8
	v_cmp_eq_u32_e32 vcc_lo, 0, v6
	s_lshl_b64 s[20:21], s[18:19], 4
	s_delay_alu instid0(SALU_CYCLE_1) | instskip(SKIP_1) | instid1(VALU_DEP_1)
	s_add_nc_u64 s[18:19], s[38:39], s[20:21]
	v_dual_cndmask_b32 v7, 0, v9 :: v_dual_cndmask_b32 v6, 0, v8
	v_add_nc_u64_e32 v[4:5], v[6:7], v[4:5]
	v_dual_mov_b32 v6, 0 :: v_dual_mov_b32 v7, 2
	s_clause 0x1
	global_store_b64 v6, v[4:5], s[18:19]
	global_store_b8 v6, v10, s[18:19] offset:8
	global_wb scope:SCOPE_DEV
	s_wait_storecnt_dscnt 0x0
	global_inv scope:SCOPE_DEV
	s_wait_xcnt 0x0
	global_store_b8 v11, v7, s[40:41] scope:SCOPE_DEV
.LBB425_149:
	s_wait_xcnt 0x0
	s_or_b32 exec_lo, exec_lo, s14
	s_delay_alu instid0(SALU_CYCLE_1)
	s_and_b32 exec_lo, exec_lo, s12
	s_cbranch_execz .LBB425_151
; %bb.150:
	v_mov_b32_e32 v4, 0
	ds_store_b64 v4, v[8:9]
	ds_store_b8 v4, v25 offset:8
.LBB425_151:
	s_or_b32 exec_lo, exec_lo, s16
	s_wait_dscnt 0x0
	v_and_b32_e32 v6, 0xff, v12
	s_wait_loadcnt 0x0
	s_wait_storecnt 0x0
	s_barrier_signal -1
	s_barrier_wait -1
	v_cmp_eq_u16_e32 vcc_lo, 0, v6
	v_mov_b32_e32 v4, 0
	ds_load_b64 v[4:5], v4
	s_wait_dscnt 0x0
	v_dual_cndmask_b32 v7, 0, v5 :: v_dual_cndmask_b32 v6, 0, v4
	s_delay_alu instid0(VALU_DEP_1) | instskip(SKIP_1) | instid1(VALU_DEP_1)
	v_add_nc_u64_e32 v[2:3], v[6:7], v[2:3]
	v_and_b32_e32 v6, 0xff, v1
	v_cmp_eq_u16_e32 vcc_lo, 0, v6
	s_delay_alu instid0(VALU_DEP_3) | instskip(NEXT) | instid1(VALU_DEP_1)
	v_dual_cndmask_b32 v3, v3, v5, s12 :: v_dual_cndmask_b32 v2, v2, v4, s12
	v_dual_cndmask_b32 v5, 0, v3 :: v_dual_cndmask_b32 v4, 0, v2
	s_delay_alu instid0(VALU_DEP_1) | instskip(NEXT) | instid1(VALU_DEP_1)
	v_add_nc_u64_e32 v[4:5], v[4:5], v[58:59]
	v_dual_cndmask_b32 v7, 0, v5, s0 :: v_dual_cndmask_b32 v6, 0, v4, s0
	s_delay_alu instid0(VALU_DEP_1) | instskip(NEXT) | instid1(VALU_DEP_1)
	v_add_nc_u64_e32 v[10:11], v[6:7], v[32:33]
	v_dual_cndmask_b32 v7, 0, v11, s1 :: v_dual_cndmask_b32 v6, 0, v10, s1
	;; [unrolled: 3-line block ×12, first 2 shown]
	s_branch .LBB425_171
.LBB425_152:
	s_cmp_eq_u64 s[44:45], 0
	v_mov_b64_e32 v[28:29], s[48:49]
	s_cselect_b32 s0, -1, 0
	s_cmp_eq_u64 s[30:31], 0
	s_cselect_b32 s1, -1, 0
	s_delay_alu instid0(SALU_CYCLE_1) | instskip(NEXT) | instid1(SALU_CYCLE_1)
	s_or_b32 s0, s0, s1
	s_and_b32 vcc_lo, exec_lo, s0
	s_cbranch_vccnz .LBB425_154
; %bb.153:
	v_mov_b32_e32 v2, 0
	global_load_b64 v[28:29], v2, s[30:31]
.LBB425_154:
	v_cmp_eq_u16_e32 vcc_lo, 0, v84
	v_cmp_eq_u16_e64 s0, 0, v83
	v_cmp_eq_u16_e64 s1, 0, v82
	v_cmp_eq_u16_e64 s2, 0, v81
	v_cmp_eq_u16_e64 s3, 0, v80
	s_wait_xcnt 0x0
	v_dual_cndmask_b32 v3, 0, v59 :: v_dual_cndmask_b32 v2, 0, v58
	v_cmp_eq_u16_e64 s4, 0, v79
	v_cmp_eq_u16_e64 s5, 0, v78
	v_cmp_eq_u16_e64 s6, 0, v77
	v_cmp_eq_u16_e64 s7, 0, v76
	v_add_nc_u64_e32 v[2:3], v[2:3], v[32:33]
	v_cmp_eq_u16_e64 s8, 0, v75
	v_cmp_eq_u16_e64 s9, 0, v74
	;; [unrolled: 1-line block ×3, first 2 shown]
	v_cmp_ne_u16_e64 s16, 0, v71
	v_cmp_eq_u32_e64 s17, 1, v63
	v_cmp_ne_u16_e64 s18, 0, v72
	v_dual_cndmask_b32 v3, 0, v3, s0 :: v_dual_cndmask_b32 v2, 0, v2, s0
	v_cmp_eq_u32_e64 s19, 1, v62
	v_cmp_eq_u32_e64 s20, 1, v68
	v_cmp_ne_u16_e64 s14, 0, v70
	v_cmp_eq_u32_e64 s15, 1, v64
	v_add_nc_u64_e32 v[2:3], v[2:3], v[54:55]
	s_or_b32 s17, s16, s17
	s_or_b32 s18, s18, s19
	v_cmp_eq_u16_e64 s16, 0, v57
	v_cmp_ne_u16_e64 s12, 0, v69
	v_cmp_eq_u32_e64 s13, 1, v66
	s_or_b32 s18, s20, s18
	v_dual_cndmask_b32 v3, 0, v3, s1 :: v_dual_cndmask_b32 v2, 0, v2, s1
	s_or_b32 s14, s14, s15
	s_or_b32 s15, s18, s17
	v_cmp_eq_u32_e64 s11, 1, v67
	s_or_b32 s12, s12, s13
	v_add_nc_u64_e32 v[2:3], v[2:3], v[52:53]
	s_or_b32 s13, s15, s14
	v_and_b32_e32 v4, 0x70, v65
	s_or_b32 s12, s13, s12
	s_mov_b32 s14, exec_lo
	s_or_b32 s11, s12, s11
	s_delay_alu instid0(VALU_DEP_2) | instskip(SKIP_2) | instid1(VALU_DEP_3)
	v_dual_cndmask_b32 v3, 0, v3, s2 :: v_dual_cndmask_b32 v2, 0, v2, s2
	v_lshl_add_u32 v4, v0, 4, v4
	v_cndmask_b32_e64 v9, 0, 1, s11
	v_add_nc_u64_e32 v[2:3], v[2:3], v[50:51]
	s_delay_alu instid0(VALU_DEP_1) | instskip(NEXT) | instid1(VALU_DEP_1)
	v_dual_cndmask_b32 v3, 0, v3, s3 :: v_dual_cndmask_b32 v2, 0, v2, s3
	v_add_nc_u64_e32 v[2:3], v[2:3], v[48:49]
	s_delay_alu instid0(VALU_DEP_1) | instskip(NEXT) | instid1(VALU_DEP_1)
	v_dual_cndmask_b32 v3, 0, v3, s4 :: v_dual_cndmask_b32 v2, 0, v2, s4
	v_add_nc_u64_e32 v[2:3], v[2:3], v[46:47]
	s_delay_alu instid0(VALU_DEP_1) | instskip(NEXT) | instid1(VALU_DEP_1)
	v_dual_cndmask_b32 v3, 0, v3, s5 :: v_dual_cndmask_b32 v2, 0, v2, s5
	v_add_nc_u64_e32 v[2:3], v[2:3], v[42:43]
	s_delay_alu instid0(VALU_DEP_1) | instskip(NEXT) | instid1(VALU_DEP_1)
	v_dual_cndmask_b32 v3, 0, v3, s6 :: v_dual_cndmask_b32 v2, 0, v2, s6
	v_add_nc_u64_e32 v[2:3], v[2:3], v[40:41]
	s_delay_alu instid0(VALU_DEP_1) | instskip(NEXT) | instid1(VALU_DEP_1)
	v_dual_cndmask_b32 v3, 0, v3, s7 :: v_dual_cndmask_b32 v2, 0, v2, s7
	v_add_nc_u64_e32 v[2:3], v[2:3], v[38:39]
	s_delay_alu instid0(VALU_DEP_1) | instskip(NEXT) | instid1(VALU_DEP_1)
	v_dual_cndmask_b32 v3, 0, v3, s8 :: v_dual_cndmask_b32 v2, 0, v2, s8
	v_add_nc_u64_e32 v[2:3], v[2:3], v[36:37]
	s_delay_alu instid0(VALU_DEP_1) | instskip(NEXT) | instid1(VALU_DEP_1)
	v_dual_cndmask_b32 v3, 0, v3, s9 :: v_dual_cndmask_b32 v2, 0, v2, s9
	v_add_nc_u64_e32 v[2:3], v[2:3], v[34:35]
	s_delay_alu instid0(VALU_DEP_1) | instskip(NEXT) | instid1(VALU_DEP_1)
	v_dual_cndmask_b32 v3, 0, v3, s10 :: v_dual_cndmask_b32 v2, 0, v2, s10
	v_add_nc_u64_e32 v[2:3], v[2:3], v[30:31]
	s_delay_alu instid0(VALU_DEP_1) | instskip(NEXT) | instid1(VALU_DEP_1)
	v_dual_cndmask_b32 v3, 0, v3, s16 :: v_dual_cndmask_b32 v2, 0, v2, s16
	v_add_nc_u64_e32 v[2:3], v[2:3], v[44:45]
	ds_store_b64 v4, v[2:3]
	ds_store_b8 v4, v9 offset:8
	s_wait_loadcnt_dscnt 0x0
	s_barrier_signal -1
	s_barrier_wait -1
	v_cmpx_gt_u32_e32 32, v0
	s_cbranch_execz .LBB425_166
; %bb.155:
	v_dual_lshlrev_b32 v4, 2, v0 :: v_dual_lshlrev_b32 v5, 7, v0
	s_delay_alu instid0(VALU_DEP_1) | instskip(NEXT) | instid1(VALU_DEP_1)
	v_and_b32_e32 v4, 0x3f0, v4
	v_add_nc_u32_e32 v8, v4, v5
	ds_load_u8 v11, v8 offset:24
	ds_load_b64 v[4:5], v8
	ds_load_2addr_b64 v[12:15], v8 offset0:2 offset1:4
	ds_load_u8 v20, v8 offset:40
	ds_load_b32 v10, v8 offset:8
	ds_load_u8 v21, v8 offset:56
	ds_load_u8 v22, v8 offset:72
	;; [unrolled: 1-line block ×4, first 2 shown]
	s_wait_dscnt 0x8
	v_cmp_eq_u16_e64 s11, 0, v11
	s_wait_dscnt 0x7
	s_delay_alu instid0(VALU_DEP_1)
	v_dual_cndmask_b32 v7, 0, v5, s11 :: v_dual_cndmask_b32 v6, 0, v4, s11
	s_wait_dscnt 0x5
	v_cmp_eq_u16_e64 s11, 0, v20
	ds_load_2addr_b64 v[16:19], v8 offset0:6 offset1:8
	s_wait_dscnt 0x4
	v_bitop3_b16 v11, v20, v21, v11 bitop3:0xfe
	v_add_nc_u64_e32 v[6:7], v[6:7], v[12:13]
	s_delay_alu instid0(VALU_DEP_1) | instskip(SKIP_1) | instid1(VALU_DEP_2)
	v_dual_cndmask_b32 v7, 0, v7, s11 :: v_dual_cndmask_b32 v6, 0, v6, s11
	v_cmp_eq_u16_e64 s11, 0, v21
	v_add_nc_u64_e32 v[6:7], v[6:7], v[14:15]
	ds_load_2addr_b64 v[12:15], v8 offset0:10 offset1:12
	ds_load_u8 v25, v8 offset:120
	v_dual_cndmask_b32 v7, 0, v7, s11 :: v_dual_cndmask_b32 v6, 0, v6, s11
	s_wait_dscnt 0x5
	v_cmp_eq_u16_e64 s11, 0, v22
	s_wait_dscnt 0x2
	s_delay_alu instid0(VALU_DEP_2) | instskip(SKIP_1) | instid1(VALU_DEP_2)
	v_add_nc_u64_e32 v[6:7], v[6:7], v[16:17]
	v_bitop3_b16 v16, v23, v24, v22 bitop3:0xfe
	v_dual_cndmask_b32 v7, 0, v7, s11 :: v_dual_cndmask_b32 v6, 0, v6, s11
	v_cmp_eq_u16_e64 s11, 0, v23
	s_wait_dscnt 0x0
	s_delay_alu instid0(VALU_DEP_3) | instskip(SKIP_3) | instid1(VALU_DEP_1)
	v_bitop3_b16 v11, v25, v11, v16 bitop3:0xfe
	ds_load_b64 v[16:17], v8 offset:112
	v_cmp_eq_u16_e64 s13, 0, v25
	v_add_nc_u64_e32 v[6:7], v[6:7], v[18:19]
	v_dual_cndmask_b32 v6, 0, v6, s11 :: v_dual_bitop2_b32 v11, 1, v11 bitop3:0x40
	s_delay_alu instid0(VALU_DEP_2) | instskip(SKIP_1) | instid1(VALU_DEP_3)
	v_cndmask_b32_e64 v7, 0, v7, s11
	v_cmp_eq_u16_e64 s11, 0, v24
	v_cmp_eq_u32_e64 s12, 1, v11
	v_and_b32_e32 v11, 0xffffff00, v10
	s_delay_alu instid0(VALU_DEP_4) | instskip(NEXT) | instid1(VALU_DEP_1)
	v_add_nc_u64_e32 v[6:7], v[6:7], v[12:13]
	v_dual_cndmask_b32 v7, 0, v7, s11 :: v_dual_bitop2_b32 v12, 1, v10 bitop3:0x40
	s_delay_alu instid0(VALU_DEP_2) | instskip(NEXT) | instid1(VALU_DEP_2)
	v_cndmask_b32_e64 v6, 0, v6, s11
	v_cmp_eq_u32_e64 s11, 1, v12
	v_mbcnt_lo_u32_b32 v12, -1, 0
	s_delay_alu instid0(VALU_DEP_3) | instskip(SKIP_1) | instid1(SALU_CYCLE_1)
	v_add_nc_u64_e32 v[6:7], v[6:7], v[14:15]
	s_or_b32 s12, s12, s11
	v_cndmask_b32_e64 v14, 0, 1, s12
	v_cndmask_b32_e64 v13, 0, 1, s12
	s_delay_alu instid0(VALU_DEP_3) | instskip(NEXT) | instid1(VALU_DEP_3)
	v_dual_cndmask_b32 v7, 0, v7, s13 :: v_dual_cndmask_b32 v6, 0, v6, s13
	v_or_b32_e32 v15, v11, v14
	v_and_b32_e32 v14, 15, v12
	s_mov_b32 s13, exec_lo
	s_wait_dscnt 0x0
	v_add_nc_u64_e32 v[6:7], v[6:7], v[16:17]
	v_mov_b32_dpp v17, v15 row_shr:1 row_mask:0xf bank_mask:0xf
	s_delay_alu instid0(VALU_DEP_2) | instskip(NEXT) | instid1(VALU_DEP_3)
	v_mov_b32_dpp v16, v6 row_shr:1 row_mask:0xf bank_mask:0xf
	v_mov_b32_dpp v18, v7 row_shr:1 row_mask:0xf bank_mask:0xf
	v_cmpx_ne_u32_e32 0, v14
; %bb.156:
	s_delay_alu instid0(VALU_DEP_4) | instskip(NEXT) | instid1(VALU_DEP_3)
	v_bitop3_b16 v13, v17, v13, 1 bitop3:0xec
	v_cndmask_b32_e64 v17, v18, 0, s12
	v_cndmask_b32_e64 v16, v16, 0, s12
	s_delay_alu instid0(VALU_DEP_3) | instskip(NEXT) | instid1(VALU_DEP_2)
	v_and_b32_e32 v15, 0xffff, v13
	v_add_nc_u64_e32 v[6:7], v[16:17], v[6:7]
	s_delay_alu instid0(VALU_DEP_2)
	v_or_b32_e32 v15, v11, v15
; %bb.157:
	s_or_b32 exec_lo, exec_lo, s13
	s_delay_alu instid0(VALU_DEP_2) | instskip(NEXT) | instid1(VALU_DEP_3)
	v_mov_b32_dpp v16, v6 row_shr:2 row_mask:0xf bank_mask:0xf
	v_mov_b32_dpp v17, v7 row_shr:2 row_mask:0xf bank_mask:0xf
	s_delay_alu instid0(VALU_DEP_3)
	v_mov_b32_dpp v18, v15 row_shr:2 row_mask:0xf bank_mask:0xf
	s_mov_b32 s15, exec_lo
	v_cmpx_lt_u32_e32 1, v14
	s_cbranch_execz .LBB425_159
; %bb.158:
	v_cmp_eq_u16_e64 s11, 0, v13
	v_and_b32_e32 v15, 1, v13
	s_delay_alu instid0(VALU_DEP_2) | instskip(SKIP_1) | instid1(VALU_DEP_3)
	v_dual_cndmask_b32 v17, 0, v17, s11 :: v_dual_bitop2_b32 v18, 1, v18 bitop3:0x40
	v_cndmask_b32_e64 v16, 0, v16, s11
	v_cmp_eq_u32_e64 s12, 1, v15
	s_delay_alu instid0(VALU_DEP_3) | instskip(NEXT) | instid1(VALU_DEP_3)
	v_cmp_eq_u32_e64 s13, 1, v18
	v_add_nc_u64_e32 v[6:7], v[16:17], v[6:7]
	s_or_b32 s11, s12, s13
	s_delay_alu instid0(SALU_CYCLE_1) | instskip(SKIP_1) | instid1(VALU_DEP_2)
	v_cndmask_b32_e64 v15, 0, 1, s11
	v_cndmask_b32_e64 v13, 0, 1, s11
	v_or_b32_e32 v15, v11, v15
.LBB425_159:
	s_or_b32 exec_lo, exec_lo, s15
	s_delay_alu instid0(VALU_DEP_4) | instskip(SKIP_1) | instid1(VALU_DEP_3)
	v_mov_b32_dpp v16, v6 row_shr:4 row_mask:0xf bank_mask:0xf
	v_mov_b32_dpp v17, v7 row_shr:4 row_mask:0xf bank_mask:0xf
	;; [unrolled: 1-line block ×3, first 2 shown]
	s_mov_b32 s15, exec_lo
	v_cmpx_lt_u32_e32 3, v14
	s_cbranch_execz .LBB425_161
; %bb.160:
	v_cmp_eq_u16_e64 s11, 0, v13
	v_and_b32_e32 v15, 1, v13
	s_delay_alu instid0(VALU_DEP_2) | instskip(SKIP_1) | instid1(VALU_DEP_3)
	v_dual_cndmask_b32 v17, 0, v17, s11 :: v_dual_bitop2_b32 v18, 1, v18 bitop3:0x40
	v_cndmask_b32_e64 v16, 0, v16, s11
	v_cmp_eq_u32_e64 s12, 1, v15
	s_delay_alu instid0(VALU_DEP_3) | instskip(NEXT) | instid1(VALU_DEP_3)
	v_cmp_eq_u32_e64 s13, 1, v18
	v_add_nc_u64_e32 v[6:7], v[16:17], v[6:7]
	s_or_b32 s11, s12, s13
	s_delay_alu instid0(SALU_CYCLE_1) | instskip(SKIP_1) | instid1(VALU_DEP_2)
	v_cndmask_b32_e64 v15, 0, 1, s11
	v_cndmask_b32_e64 v13, 0, 1, s11
	v_or_b32_e32 v15, v11, v15
.LBB425_161:
	s_or_b32 exec_lo, exec_lo, s15
	s_delay_alu instid0(VALU_DEP_4) | instskip(SKIP_1) | instid1(VALU_DEP_3)
	v_mov_b32_dpp v16, v6 row_shr:8 row_mask:0xf bank_mask:0xf
	v_mov_b32_dpp v17, v7 row_shr:8 row_mask:0xf bank_mask:0xf
	;; [unrolled: 1-line block ×3, first 2 shown]
	s_mov_b32 s15, exec_lo
	v_cmpx_lt_u32_e32 7, v14
	s_cbranch_execz .LBB425_163
; %bb.162:
	v_and_b32_e32 v14, 1, v13
	v_cmp_eq_u16_e64 s11, 0, v13
	v_and_b32_e32 v15, 1, v18
	s_delay_alu instid0(VALU_DEP_3) | instskip(NEXT) | instid1(VALU_DEP_3)
	v_cmp_eq_u32_e64 s12, 1, v14
	v_cndmask_b32_e64 v14, 0, v16, s11
	s_delay_alu instid0(VALU_DEP_3) | instskip(SKIP_2) | instid1(VALU_DEP_1)
	v_cmp_eq_u32_e64 s13, 1, v15
	v_cndmask_b32_e64 v15, 0, v17, s11
	s_or_b32 s11, s12, s13
	v_add_nc_u64_e32 v[6:7], v[14:15], v[6:7]
	v_cndmask_b32_e64 v16, 0, 1, s11
	v_cndmask_b32_e64 v13, 0, 1, s11
	s_delay_alu instid0(VALU_DEP_2)
	v_or_b32_e32 v15, v11, v16
.LBB425_163:
	s_or_b32 exec_lo, exec_lo, s15
	ds_swizzle_b32 v14, v6 offset:swizzle(BROADCAST,32,15)
	ds_swizzle_b32 v16, v7 offset:swizzle(BROADCAST,32,15)
	;; [unrolled: 1-line block ×3, first 2 shown]
	v_and_b32_e32 v17, 16, v12
	s_mov_b32 s13, exec_lo
	s_delay_alu instid0(VALU_DEP_1)
	v_cmpx_ne_u32_e32 0, v17
	s_cbranch_execz .LBB425_165
; %bb.164:
	v_cmp_eq_u16_e64 s11, 0, v13
	v_and_b32_e32 v13, 1, v13
	s_wait_dscnt 0x0
	s_delay_alu instid0(VALU_DEP_2) | instskip(SKIP_1) | instid1(VALU_DEP_3)
	v_dual_cndmask_b32 v14, 0, v14, s11 :: v_dual_bitop2_b32 v17, 1, v15 bitop3:0x40
	v_cndmask_b32_e64 v15, 0, v16, s11
	v_cmp_eq_u32_e64 s11, 1, v13
	s_delay_alu instid0(VALU_DEP_3) | instskip(NEXT) | instid1(VALU_DEP_3)
	v_cmp_eq_u32_e64 s12, 1, v17
	v_add_nc_u64_e32 v[6:7], v[14:15], v[6:7]
	s_or_b32 s11, s11, s12
	s_delay_alu instid0(SALU_CYCLE_1)
	v_cndmask_b32_e64 v13, 0, 1, s11
.LBB425_165:
	s_or_b32 exec_lo, exec_lo, s13
	s_wait_dscnt 0x2
	v_add_nc_u32_e32 v14, -1, v12
	s_delay_alu instid0(VALU_DEP_2) | instskip(NEXT) | instid1(VALU_DEP_2)
	v_and_b32_e32 v13, 0xffff, v13
	; wave barrier
	v_cmp_gt_i32_e64 s11, 0, v14
	s_delay_alu instid0(VALU_DEP_1) | instskip(NEXT) | instid1(VALU_DEP_1)
	v_dual_cndmask_b32 v12, v14, v12, s11 :: v_dual_bitop2_b32 v11, v11, v13 bitop3:0x54
	v_lshlrev_b32_e32 v12, 2, v12
	ds_bpermute_b32 v7, v12, v7
	ds_bpermute_b32 v6, v12, v6
	;; [unrolled: 1-line block ×3, first 2 shown]
	v_and_b32_e32 v12, 0xff, v10
	s_delay_alu instid0(VALU_DEP_1) | instskip(SKIP_1) | instid1(VALU_DEP_1)
	v_cmp_eq_u32_e64 s11, 0, v12
	s_wait_dscnt 0x1
	v_dual_cndmask_b32 v7, 0, v7, s11 :: v_dual_cndmask_b32 v6, 0, v6, s11
	v_cmp_eq_u32_e64 s11, 0, v0
	s_wait_dscnt 0x0
	v_or_b32_e32 v10, v11, v10
	s_delay_alu instid0(VALU_DEP_3) | instskip(NEXT) | instid1(VALU_DEP_1)
	v_add_nc_u64_e32 v[4:5], v[6:7], v[4:5]
	v_dual_cndmask_b32 v7, v5, v3, s11 :: v_dual_bitop2_b32 v6, 1, v10 bitop3:0x40
	s_delay_alu instid0(VALU_DEP_1)
	v_dual_cndmask_b32 v9, v6, v9, s11 :: v_dual_cndmask_b32 v6, v4, v2, s11
	ds_store_b64 v8, v[6:7]
	ds_store_b8 v8, v9 offset:8
	; wave barrier
	ds_load_u8 v20, v8 offset:24
	ds_load_2addr_b64 v[2:5], v8 offset0:2 offset1:4
	ds_load_u8 v21, v8 offset:40
	ds_load_u8 v22, v8 offset:56
	;; [unrolled: 1-line block ×5, first 2 shown]
	ds_load_b64 v[14:15], v8 offset:112
	ds_load_u8 v26, v8 offset:120
	s_wait_dscnt 0x8
	v_and_b32_e32 v10, 0xff, v20
	v_bitop3_b16 v44, v20, 1, v9 bitop3:0xc8
	s_wait_dscnt 0x5
	v_and_b32_e32 v18, 0xff, v22
	s_delay_alu instid0(VALU_DEP_3) | instskip(SKIP_3) | instid1(VALU_DEP_3)
	v_cmp_eq_u16_e64 s11, 0, v10
	v_and_b32_e32 v10, 0xff, v21
	s_wait_dscnt 0x3
	v_and_b32_e32 v27, 0xff, v24
	v_dual_cndmask_b32 v7, 0, v7, s11 :: v_dual_cndmask_b32 v6, 0, v6, s11
	s_delay_alu instid0(VALU_DEP_3) | instskip(SKIP_2) | instid1(VALU_DEP_1)
	v_cmp_eq_u16_e64 s11, 0, v10
	ds_load_2addr_b64 v[10:13], v8 offset0:6 offset1:8
	v_add_nc_u64_e32 v[6:7], v[6:7], v[2:3]
	v_dual_cndmask_b32 v3, 0, v7, s11 :: v_dual_cndmask_b32 v2, 0, v6, s11
	v_cmp_eq_u16_e64 s11, 0, v18
	s_delay_alu instid0(VALU_DEP_2) | instskip(SKIP_1) | instid1(VALU_DEP_2)
	v_add_nc_u64_e32 v[16:17], v[2:3], v[4:5]
	v_and_b32_e32 v4, 0xff, v23
	v_dual_cndmask_b32 v3, 0, v17, s11 :: v_dual_cndmask_b32 v2, 0, v16, s11
	s_delay_alu instid0(VALU_DEP_2) | instskip(SKIP_1) | instid1(VALU_DEP_2)
	v_cmp_eq_u16_e64 s11, 0, v4
	s_wait_dscnt 0x0
	v_add_nc_u64_e32 v[10:11], v[2:3], v[10:11]
	ds_load_2addr_b64 v[2:5], v8 offset0:10 offset1:12
	v_dual_cndmask_b32 v19, 0, v11, s11 :: v_dual_cndmask_b32 v18, 0, v10, s11
	v_cmp_eq_u16_e64 s11, 0, v27
	v_and_b32_e32 v27, 0xff, v25
	s_delay_alu instid0(VALU_DEP_3) | instskip(NEXT) | instid1(VALU_DEP_1)
	v_add_nc_u64_e32 v[12:13], v[18:19], v[12:13]
	v_dual_cndmask_b32 v19, 0, v13, s11 :: v_dual_cndmask_b32 v18, 0, v12, s11
	s_delay_alu instid0(VALU_DEP_3) | instskip(SKIP_4) | instid1(VALU_DEP_3)
	v_cmp_eq_u16_e64 s11, 0, v27
	v_or_b32_e32 v27, v20, v9
	v_bitop3_b16 v9, v21, v20, v9 bitop3:0xfe
	s_wait_dscnt 0x0
	v_add_nc_u64_e32 v[2:3], v[18:19], v[2:3]
	v_bitop3_b16 v20, v22, v21, v27 bitop3:0xfe
	v_bitop3_b16 v21, v21, 1, v27 bitop3:0xc8
	;; [unrolled: 1-line block ×4, first 2 shown]
	v_dual_cndmask_b32 v19, 0, v3, s11 :: v_dual_cndmask_b32 v18, 0, v2, s11
	v_cmp_eq_u16_e64 s11, 0, v26
	s_delay_alu instid0(VALU_DEP_3) | instskip(SKIP_1) | instid1(VALU_DEP_4)
	v_bitop3_b16 v22, v25, v24, v9 bitop3:0xfe
	v_bitop3_b16 v9, v24, 1, v9 bitop3:0xc8
	v_add_nc_u64_e32 v[4:5], v[18:19], v[4:5]
	v_bitop3_b16 v18, v24, v23, v20 bitop3:0xfe
	v_bitop3_b16 v20, v23, 1, v20 bitop3:0xc8
	ds_store_2addr_b64 v8, v[6:7], v[16:17] offset0:2 offset1:4
	ds_store_2addr_b64 v8, v[10:11], v[12:13] offset0:6 offset1:8
	ds_store_2addr_b64 v8, v[2:3], v[4:5] offset0:10 offset1:12
	v_bitop3_b16 v23, v25, 1, v18 bitop3:0xc8
	v_dual_cndmask_b32 v19, 0, v5, s11 :: v_dual_cndmask_b32 v18, 0, v4, s11
	v_bitop3_b16 v22, v26, 1, v22 bitop3:0xc8
	s_delay_alu instid0(VALU_DEP_2)
	v_add_nc_u64_e32 v[2:3], v[18:19], v[14:15]
	ds_store_b8 v8, v44 offset:24
	ds_store_b8 v8, v21 offset:40
	;; [unrolled: 1-line block ×6, first 2 shown]
	ds_store_b64 v8, v[2:3] offset:112
	ds_store_b8 v8, v22 offset:120
.LBB425_166:
	s_or_b32 exec_lo, exec_lo, s14
	v_mov_b64_e32 v[2:3], v[28:29]
	v_cmp_eq_u32_e64 s11, 0, v0
	s_mov_b32 s13, exec_lo
	s_wait_dscnt 0x0
	s_barrier_signal -1
	s_barrier_wait -1
	v_cmpx_ne_u32_e32 0, v0
	s_cbranch_execz .LBB425_168
; %bb.167:
	v_add_nc_u32_e32 v2, -1, v0
	s_delay_alu instid0(VALU_DEP_1) | instskip(NEXT) | instid1(VALU_DEP_1)
	v_lshrrev_b32_e32 v3, 1, v2
	v_and_b32_e32 v3, 0x7ffffff0, v3
	s_delay_alu instid0(VALU_DEP_1) | instskip(SKIP_4) | instid1(VALU_DEP_1)
	v_lshl_add_u32 v2, v2, 4, v3
	ds_load_u8 v4, v2 offset:8
	ds_load_b64 v[2:3], v2
	s_wait_dscnt 0x1
	v_cmp_eq_u16_e64 s12, 0, v4
	v_dual_cndmask_b32 v5, 0, v29, s12 :: v_dual_cndmask_b32 v4, 0, v28, s12
	s_wait_dscnt 0x0
	s_delay_alu instid0(VALU_DEP_1)
	v_add_nc_u64_e32 v[2:3], v[4:5], v[2:3]
.LBB425_168:
	s_or_b32 exec_lo, exec_lo, s13
	v_and_b32_e32 v1, 0xff, v1
	s_delay_alu instid0(VALU_DEP_1) | instskip(NEXT) | instid1(VALU_DEP_1)
	v_cmp_eq_u16_e64 s12, 0, v1
	v_dual_cndmask_b32 v5, 0, v3, s12 :: v_dual_cndmask_b32 v4, 0, v2, s12
	s_delay_alu instid0(VALU_DEP_1) | instskip(NEXT) | instid1(VALU_DEP_1)
	v_add_nc_u64_e32 v[4:5], v[4:5], v[58:59]
	v_dual_cndmask_b32 v7, 0, v5 :: v_dual_cndmask_b32 v6, 0, v4
	s_delay_alu instid0(VALU_DEP_1) | instskip(NEXT) | instid1(VALU_DEP_1)
	v_add_nc_u64_e32 v[10:11], v[6:7], v[32:33]
	v_dual_cndmask_b32 v7, 0, v11, s0 :: v_dual_cndmask_b32 v6, 0, v10, s0
	s_delay_alu instid0(VALU_DEP_1) | instskip(NEXT) | instid1(VALU_DEP_1)
	v_add_nc_u64_e32 v[12:13], v[6:7], v[54:55]
	v_dual_cndmask_b32 v7, 0, v13, s1 :: v_dual_cndmask_b32 v6, 0, v12, s1
	;; [unrolled: 3-line block ×11, first 2 shown]
	s_and_saveexec_b32 s0, s11
	s_cbranch_execz .LBB425_170
; %bb.169:
	v_mov_b32_e32 v1, 0
	ds_load_u8 v34, v1 offset:4200
	ds_load_b64 v[32:33], v1 offset:4192
	s_wait_dscnt 0x1
	v_and_b32_e32 v35, 0xffff, v34
	s_delay_alu instid0(VALU_DEP_1) | instskip(SKIP_2) | instid1(VALU_DEP_1)
	v_cmp_eq_u32_e32 vcc_lo, 0, v35
	v_dual_cndmask_b32 v29, 0, v29 :: v_dual_cndmask_b32 v28, 0, v28
	s_wait_dscnt 0x0
	v_add_nc_u64_e32 v[28:29], v[28:29], v[32:33]
	v_mov_b32_e32 v32, 2
	s_clause 0x1
	global_store_b64 v1, v[28:29], s[38:39] offset:512
	global_store_b8 v1, v34, s[38:39] offset:520
	global_wb scope:SCOPE_DEV
	s_wait_storecnt 0x0
	global_inv scope:SCOPE_DEV
	s_wait_xcnt 0x0
	global_store_b8 v1, v32, s[40:41] offset:32 scope:SCOPE_DEV
.LBB425_170:
	s_wait_xcnt 0x0
	s_or_b32 exec_lo, exec_lo, s0
.LBB425_171:
	s_delay_alu instid0(VALU_DEP_1)
	v_add_nc_u64_e32 v[28:29], v[60:61], v[30:31]
	s_add_nc_u64 s[0:1], s[26:27], s[34:35]
	s_and_b32 vcc_lo, exec_lo, s23
	s_add_nc_u64 s[0:1], s[0:1], s[24:25]
	s_cbranch_vccz .LBB425_219
; %bb.172:
	v_mul_u32_u24_e32 v1, 14, v0
	s_add_co_i32 s28, s28, s42
	s_mov_b32 s2, exec_lo
	s_delay_alu instid0(VALU_DEP_1)
	v_cmpx_gt_u32_e64 s28, v1
	s_cbranch_execz .LBB425_192
; %bb.173:
	v_or_b32_e32 v30, 1, v1
	s_mov_b32 s3, exec_lo
	s_delay_alu instid0(VALU_DEP_1)
	v_cmpx_gt_u32_e64 s28, v30
	s_cbranch_execz .LBB425_191
; %bb.174:
	v_add_nc_u32_e32 v30, 2, v1
	s_mov_b32 s4, exec_lo
	s_delay_alu instid0(VALU_DEP_1)
	v_cmpx_gt_u32_e64 s28, v30
	s_cbranch_execz .LBB425_190
; %bb.175:
	v_add_nc_u32_e32 v30, 3, v1
	;; [unrolled: 6-line block ×8, first 2 shown]
	s_mov_b32 s11, exec_lo
	s_delay_alu instid0(VALU_DEP_1)
	v_cmpx_gt_u32_e64 s28, v30
; %bb.182:
	v_add_nc_u32_e32 v30, 10, v1
	s_mov_b32 s12, exec_lo
	s_delay_alu instid0(VALU_DEP_1)
	v_cmpx_gt_u32_e64 s28, v30
	s_or_b32 exec_lo, exec_lo, s12
; %bb.183:
	s_delay_alu instid0(SALU_CYCLE_1)
	s_or_b32 exec_lo, exec_lo, s11
.LBB425_184:
	s_delay_alu instid0(SALU_CYCLE_1)
	s_or_b32 exec_lo, exec_lo, s10
.LBB425_185:
	s_delay_alu instid0(SALU_CYCLE_1)
	s_or_b32 exec_lo, exec_lo, s9
.LBB425_186:
	s_delay_alu instid0(SALU_CYCLE_1)
	s_or_b32 exec_lo, exec_lo, s8
.LBB425_187:
	s_delay_alu instid0(SALU_CYCLE_1)
	s_or_b32 exec_lo, exec_lo, s7
.LBB425_188:
	s_delay_alu instid0(SALU_CYCLE_1)
	s_or_b32 exec_lo, exec_lo, s6
.LBB425_189:
	s_delay_alu instid0(SALU_CYCLE_1)
	s_or_b32 exec_lo, exec_lo, s5
.LBB425_190:
	s_delay_alu instid0(SALU_CYCLE_1)
	s_or_b32 exec_lo, exec_lo, s4
.LBB425_191:
	s_delay_alu instid0(SALU_CYCLE_1)
	s_or_b32 exec_lo, exec_lo, s3
.LBB425_192:
	s_delay_alu instid0(SALU_CYCLE_1)
	s_or_b32 exec_lo, exec_lo, s2
	v_dual_lshlrev_b32 v1, 3, v1 :: v_dual_mov_b32 v57, 0
	s_wait_loadcnt 0x0
	s_wait_storecnt 0x0
	s_barrier_signal -1
	s_barrier_wait -1
	v_mad_i32_i24 v30, 0xffffff98, v0, v1
	ds_store_b128 v1, v[2:5]
	ds_store_b128 v1, v[10:13] offset:16
	ds_store_b128 v1, v[6:9] offset:32
	;; [unrolled: 1-line block ×6, first 2 shown]
	s_wait_dscnt 0x0
	s_barrier_signal -1
	s_barrier_wait -1
	ds_load_2addr_stride64_b64 v[52:55], v30 offset0:4 offset1:8
	ds_load_2addr_stride64_b64 v[48:51], v30 offset0:12 offset1:16
	;; [unrolled: 1-line block ×6, first 2 shown]
	ds_load_b64 v[30:31], v30 offset:26624
	v_add_nc_u64_e32 v[56:57], s[0:1], v[56:57]
	s_mov_b32 s2, exec_lo
	v_cmpx_gt_u32_e64 s28, v0
	s_cbranch_execz .LBB425_194
; %bb.193:
	v_mul_i32_i24_e32 v58, 0xffffff98, v0
	s_delay_alu instid0(VALU_DEP_1)
	v_add_nc_u32_e32 v1, v1, v58
	ds_load_b64 v[58:59], v1
	s_wait_dscnt 0x0
	flat_store_b64 v[56:57], v[58:59]
.LBB425_194:
	s_wait_xcnt 0x0
	s_or_b32 exec_lo, exec_lo, s2
	v_or_b32_e32 v1, 0x100, v0
	s_mov_b32 s2, exec_lo
	s_delay_alu instid0(VALU_DEP_1)
	v_cmpx_gt_u32_e64 s28, v1
	s_cbranch_execz .LBB425_196
; %bb.195:
	s_wait_dscnt 0x6
	flat_store_b64 v[56:57], v[52:53] offset:2048
.LBB425_196:
	s_wait_xcnt 0x0
	s_or_b32 exec_lo, exec_lo, s2
	v_or_b32_e32 v1, 0x200, v0
	s_mov_b32 s2, exec_lo
	s_delay_alu instid0(VALU_DEP_1)
	v_cmpx_gt_u32_e64 s28, v1
	s_cbranch_execz .LBB425_198
; %bb.197:
	s_wait_dscnt 0x6
	flat_store_b64 v[56:57], v[54:55] offset:4096
.LBB425_198:
	;; [unrolled: 11-line block ×12, first 2 shown]
	s_wait_xcnt 0x0
	s_or_b32 exec_lo, exec_lo, s2
	v_or_b32_e32 v1, 0xd00, v0
	s_delay_alu instid0(VALU_DEP_1)
	v_cmp_gt_u32_e64 s2, s28, v1
	s_branch .LBB425_221
.LBB425_219:
	s_mov_b32 s2, 0
                                        ; implicit-def: $vgpr30_vgpr31
	s_cbranch_execz .LBB425_221
; %bb.220:
	v_mul_u32_u24_e32 v1, 0x70, v0
	s_wait_storecnt 0x0
	s_wait_loadcnt_dscnt 0x0
	s_barrier_signal -1
	s_barrier_wait -1
	ds_store_b128 v1, v[2:5]
	ds_store_b128 v1, v[10:13] offset:16
	v_mul_i32_i24_e32 v2, 0xffffff98, v0
	ds_store_b128 v1, v[6:9] offset:32
	ds_store_b128 v1, v[14:17] offset:48
	;; [unrolled: 1-line block ×5, first 2 shown]
	s_wait_dscnt 0x0
	s_barrier_signal -1
	s_barrier_wait -1
	v_mad_u32_u24 v1, 0x70, v0, v2
	s_or_b32 s2, s2, exec_lo
	ds_load_2addr_stride64_b64 v[2:5], v1 offset1:4
	ds_load_2addr_stride64_b64 v[6:9], v1 offset0:8 offset1:12
	ds_load_2addr_stride64_b64 v[10:13], v1 offset0:16 offset1:20
	;; [unrolled: 1-line block ×6, first 2 shown]
	s_wait_dscnt 0x6
	s_clause 0x1
	flat_store_b64 v0, v[2:3], s[0:1] scale_offset
	flat_store_b64 v0, v[4:5], s[0:1] offset:2048 scale_offset
	s_wait_dscnt 0x7
	s_clause 0x1
	flat_store_b64 v0, v[6:7], s[0:1] offset:4096 scale_offset
	flat_store_b64 v0, v[8:9], s[0:1] offset:6144 scale_offset
	s_wait_dscnt 0x8
	s_clause 0x1
	flat_store_b64 v0, v[10:11], s[0:1] offset:8192 scale_offset
	;; [unrolled: 4-line block ×5, first 2 shown]
	flat_store_b64 v0, v[24:25], s[0:1] offset:22528 scale_offset
	s_wait_dscnt 0xc
	flat_store_b64 v0, v[28:29], s[0:1] offset:24576 scale_offset
.LBB425_221:
	s_wait_xcnt 0x0
	s_delay_alu instid0(VALU_DEP_1)
	s_and_saveexec_b32 s3, s2
	s_cbranch_execz .LBB425_223
; %bb.222:
	s_wait_dscnt 0x0
	flat_store_b64 v0, v[30:31], s[0:1] offset:26624 scale_offset
	s_sendmsg sendmsg(MSG_DEALLOC_VGPRS)
	s_endpgm
.LBB425_223:
	s_sendmsg sendmsg(MSG_DEALLOC_VGPRS)
	s_endpgm
	.section	.rodata,"a",@progbits
	.p2align	6, 0x0
	.amdhsa_kernel _ZN7rocprim17ROCPRIM_400000_NS6detail17trampoline_kernelINS0_14default_configENS1_27scan_by_key_config_selectorIxxEEZZNS1_16scan_by_key_implILNS1_25lookback_scan_determinismE0ELb1ES3_N6thrust23THRUST_200600_302600_NS6detail15normal_iteratorINS9_10device_ptrIxEEEESE_SE_xNS9_4plusIvEENS9_8equal_toIxEExEE10hipError_tPvRmT2_T3_T4_T5_mT6_T7_P12ihipStream_tbENKUlT_T0_E_clISt17integral_constantIbLb0EESZ_EEDaSU_SV_EUlSU_E_NS1_11comp_targetILNS1_3genE0ELNS1_11target_archE4294967295ELNS1_3gpuE0ELNS1_3repE0EEENS1_30default_config_static_selectorELNS0_4arch9wavefront6targetE0EEEvT1_
		.amdhsa_group_segment_fixed_size 32768
		.amdhsa_private_segment_fixed_size 0
		.amdhsa_kernarg_size 136
		.amdhsa_user_sgpr_count 2
		.amdhsa_user_sgpr_dispatch_ptr 0
		.amdhsa_user_sgpr_queue_ptr 0
		.amdhsa_user_sgpr_kernarg_segment_ptr 1
		.amdhsa_user_sgpr_dispatch_id 0
		.amdhsa_user_sgpr_kernarg_preload_length 0
		.amdhsa_user_sgpr_kernarg_preload_offset 0
		.amdhsa_user_sgpr_private_segment_size 0
		.amdhsa_wavefront_size32 1
		.amdhsa_uses_dynamic_stack 0
		.amdhsa_enable_private_segment 0
		.amdhsa_system_sgpr_workgroup_id_x 1
		.amdhsa_system_sgpr_workgroup_id_y 0
		.amdhsa_system_sgpr_workgroup_id_z 0
		.amdhsa_system_sgpr_workgroup_info 0
		.amdhsa_system_vgpr_workitem_id 0
		.amdhsa_next_free_vgpr 113
		.amdhsa_next_free_sgpr 57
		.amdhsa_named_barrier_count 0
		.amdhsa_reserve_vcc 1
		.amdhsa_float_round_mode_32 0
		.amdhsa_float_round_mode_16_64 0
		.amdhsa_float_denorm_mode_32 3
		.amdhsa_float_denorm_mode_16_64 3
		.amdhsa_fp16_overflow 0
		.amdhsa_memory_ordered 1
		.amdhsa_forward_progress 1
		.amdhsa_inst_pref_size 125
		.amdhsa_round_robin_scheduling 0
		.amdhsa_exception_fp_ieee_invalid_op 0
		.amdhsa_exception_fp_denorm_src 0
		.amdhsa_exception_fp_ieee_div_zero 0
		.amdhsa_exception_fp_ieee_overflow 0
		.amdhsa_exception_fp_ieee_underflow 0
		.amdhsa_exception_fp_ieee_inexact 0
		.amdhsa_exception_int_div_zero 0
	.end_amdhsa_kernel
	.section	.text._ZN7rocprim17ROCPRIM_400000_NS6detail17trampoline_kernelINS0_14default_configENS1_27scan_by_key_config_selectorIxxEEZZNS1_16scan_by_key_implILNS1_25lookback_scan_determinismE0ELb1ES3_N6thrust23THRUST_200600_302600_NS6detail15normal_iteratorINS9_10device_ptrIxEEEESE_SE_xNS9_4plusIvEENS9_8equal_toIxEExEE10hipError_tPvRmT2_T3_T4_T5_mT6_T7_P12ihipStream_tbENKUlT_T0_E_clISt17integral_constantIbLb0EESZ_EEDaSU_SV_EUlSU_E_NS1_11comp_targetILNS1_3genE0ELNS1_11target_archE4294967295ELNS1_3gpuE0ELNS1_3repE0EEENS1_30default_config_static_selectorELNS0_4arch9wavefront6targetE0EEEvT1_,"axG",@progbits,_ZN7rocprim17ROCPRIM_400000_NS6detail17trampoline_kernelINS0_14default_configENS1_27scan_by_key_config_selectorIxxEEZZNS1_16scan_by_key_implILNS1_25lookback_scan_determinismE0ELb1ES3_N6thrust23THRUST_200600_302600_NS6detail15normal_iteratorINS9_10device_ptrIxEEEESE_SE_xNS9_4plusIvEENS9_8equal_toIxEExEE10hipError_tPvRmT2_T3_T4_T5_mT6_T7_P12ihipStream_tbENKUlT_T0_E_clISt17integral_constantIbLb0EESZ_EEDaSU_SV_EUlSU_E_NS1_11comp_targetILNS1_3genE0ELNS1_11target_archE4294967295ELNS1_3gpuE0ELNS1_3repE0EEENS1_30default_config_static_selectorELNS0_4arch9wavefront6targetE0EEEvT1_,comdat
.Lfunc_end425:
	.size	_ZN7rocprim17ROCPRIM_400000_NS6detail17trampoline_kernelINS0_14default_configENS1_27scan_by_key_config_selectorIxxEEZZNS1_16scan_by_key_implILNS1_25lookback_scan_determinismE0ELb1ES3_N6thrust23THRUST_200600_302600_NS6detail15normal_iteratorINS9_10device_ptrIxEEEESE_SE_xNS9_4plusIvEENS9_8equal_toIxEExEE10hipError_tPvRmT2_T3_T4_T5_mT6_T7_P12ihipStream_tbENKUlT_T0_E_clISt17integral_constantIbLb0EESZ_EEDaSU_SV_EUlSU_E_NS1_11comp_targetILNS1_3genE0ELNS1_11target_archE4294967295ELNS1_3gpuE0ELNS1_3repE0EEENS1_30default_config_static_selectorELNS0_4arch9wavefront6targetE0EEEvT1_, .Lfunc_end425-_ZN7rocprim17ROCPRIM_400000_NS6detail17trampoline_kernelINS0_14default_configENS1_27scan_by_key_config_selectorIxxEEZZNS1_16scan_by_key_implILNS1_25lookback_scan_determinismE0ELb1ES3_N6thrust23THRUST_200600_302600_NS6detail15normal_iteratorINS9_10device_ptrIxEEEESE_SE_xNS9_4plusIvEENS9_8equal_toIxEExEE10hipError_tPvRmT2_T3_T4_T5_mT6_T7_P12ihipStream_tbENKUlT_T0_E_clISt17integral_constantIbLb0EESZ_EEDaSU_SV_EUlSU_E_NS1_11comp_targetILNS1_3genE0ELNS1_11target_archE4294967295ELNS1_3gpuE0ELNS1_3repE0EEENS1_30default_config_static_selectorELNS0_4arch9wavefront6targetE0EEEvT1_
                                        ; -- End function
	.set _ZN7rocprim17ROCPRIM_400000_NS6detail17trampoline_kernelINS0_14default_configENS1_27scan_by_key_config_selectorIxxEEZZNS1_16scan_by_key_implILNS1_25lookback_scan_determinismE0ELb1ES3_N6thrust23THRUST_200600_302600_NS6detail15normal_iteratorINS9_10device_ptrIxEEEESE_SE_xNS9_4plusIvEENS9_8equal_toIxEExEE10hipError_tPvRmT2_T3_T4_T5_mT6_T7_P12ihipStream_tbENKUlT_T0_E_clISt17integral_constantIbLb0EESZ_EEDaSU_SV_EUlSU_E_NS1_11comp_targetILNS1_3genE0ELNS1_11target_archE4294967295ELNS1_3gpuE0ELNS1_3repE0EEENS1_30default_config_static_selectorELNS0_4arch9wavefront6targetE0EEEvT1_.num_vgpr, 113
	.set _ZN7rocprim17ROCPRIM_400000_NS6detail17trampoline_kernelINS0_14default_configENS1_27scan_by_key_config_selectorIxxEEZZNS1_16scan_by_key_implILNS1_25lookback_scan_determinismE0ELb1ES3_N6thrust23THRUST_200600_302600_NS6detail15normal_iteratorINS9_10device_ptrIxEEEESE_SE_xNS9_4plusIvEENS9_8equal_toIxEExEE10hipError_tPvRmT2_T3_T4_T5_mT6_T7_P12ihipStream_tbENKUlT_T0_E_clISt17integral_constantIbLb0EESZ_EEDaSU_SV_EUlSU_E_NS1_11comp_targetILNS1_3genE0ELNS1_11target_archE4294967295ELNS1_3gpuE0ELNS1_3repE0EEENS1_30default_config_static_selectorELNS0_4arch9wavefront6targetE0EEEvT1_.num_agpr, 0
	.set _ZN7rocprim17ROCPRIM_400000_NS6detail17trampoline_kernelINS0_14default_configENS1_27scan_by_key_config_selectorIxxEEZZNS1_16scan_by_key_implILNS1_25lookback_scan_determinismE0ELb1ES3_N6thrust23THRUST_200600_302600_NS6detail15normal_iteratorINS9_10device_ptrIxEEEESE_SE_xNS9_4plusIvEENS9_8equal_toIxEExEE10hipError_tPvRmT2_T3_T4_T5_mT6_T7_P12ihipStream_tbENKUlT_T0_E_clISt17integral_constantIbLb0EESZ_EEDaSU_SV_EUlSU_E_NS1_11comp_targetILNS1_3genE0ELNS1_11target_archE4294967295ELNS1_3gpuE0ELNS1_3repE0EEENS1_30default_config_static_selectorELNS0_4arch9wavefront6targetE0EEEvT1_.numbered_sgpr, 57
	.set _ZN7rocprim17ROCPRIM_400000_NS6detail17trampoline_kernelINS0_14default_configENS1_27scan_by_key_config_selectorIxxEEZZNS1_16scan_by_key_implILNS1_25lookback_scan_determinismE0ELb1ES3_N6thrust23THRUST_200600_302600_NS6detail15normal_iteratorINS9_10device_ptrIxEEEESE_SE_xNS9_4plusIvEENS9_8equal_toIxEExEE10hipError_tPvRmT2_T3_T4_T5_mT6_T7_P12ihipStream_tbENKUlT_T0_E_clISt17integral_constantIbLb0EESZ_EEDaSU_SV_EUlSU_E_NS1_11comp_targetILNS1_3genE0ELNS1_11target_archE4294967295ELNS1_3gpuE0ELNS1_3repE0EEENS1_30default_config_static_selectorELNS0_4arch9wavefront6targetE0EEEvT1_.num_named_barrier, 0
	.set _ZN7rocprim17ROCPRIM_400000_NS6detail17trampoline_kernelINS0_14default_configENS1_27scan_by_key_config_selectorIxxEEZZNS1_16scan_by_key_implILNS1_25lookback_scan_determinismE0ELb1ES3_N6thrust23THRUST_200600_302600_NS6detail15normal_iteratorINS9_10device_ptrIxEEEESE_SE_xNS9_4plusIvEENS9_8equal_toIxEExEE10hipError_tPvRmT2_T3_T4_T5_mT6_T7_P12ihipStream_tbENKUlT_T0_E_clISt17integral_constantIbLb0EESZ_EEDaSU_SV_EUlSU_E_NS1_11comp_targetILNS1_3genE0ELNS1_11target_archE4294967295ELNS1_3gpuE0ELNS1_3repE0EEENS1_30default_config_static_selectorELNS0_4arch9wavefront6targetE0EEEvT1_.private_seg_size, 0
	.set _ZN7rocprim17ROCPRIM_400000_NS6detail17trampoline_kernelINS0_14default_configENS1_27scan_by_key_config_selectorIxxEEZZNS1_16scan_by_key_implILNS1_25lookback_scan_determinismE0ELb1ES3_N6thrust23THRUST_200600_302600_NS6detail15normal_iteratorINS9_10device_ptrIxEEEESE_SE_xNS9_4plusIvEENS9_8equal_toIxEExEE10hipError_tPvRmT2_T3_T4_T5_mT6_T7_P12ihipStream_tbENKUlT_T0_E_clISt17integral_constantIbLb0EESZ_EEDaSU_SV_EUlSU_E_NS1_11comp_targetILNS1_3genE0ELNS1_11target_archE4294967295ELNS1_3gpuE0ELNS1_3repE0EEENS1_30default_config_static_selectorELNS0_4arch9wavefront6targetE0EEEvT1_.uses_vcc, 1
	.set _ZN7rocprim17ROCPRIM_400000_NS6detail17trampoline_kernelINS0_14default_configENS1_27scan_by_key_config_selectorIxxEEZZNS1_16scan_by_key_implILNS1_25lookback_scan_determinismE0ELb1ES3_N6thrust23THRUST_200600_302600_NS6detail15normal_iteratorINS9_10device_ptrIxEEEESE_SE_xNS9_4plusIvEENS9_8equal_toIxEExEE10hipError_tPvRmT2_T3_T4_T5_mT6_T7_P12ihipStream_tbENKUlT_T0_E_clISt17integral_constantIbLb0EESZ_EEDaSU_SV_EUlSU_E_NS1_11comp_targetILNS1_3genE0ELNS1_11target_archE4294967295ELNS1_3gpuE0ELNS1_3repE0EEENS1_30default_config_static_selectorELNS0_4arch9wavefront6targetE0EEEvT1_.uses_flat_scratch, 1
	.set _ZN7rocprim17ROCPRIM_400000_NS6detail17trampoline_kernelINS0_14default_configENS1_27scan_by_key_config_selectorIxxEEZZNS1_16scan_by_key_implILNS1_25lookback_scan_determinismE0ELb1ES3_N6thrust23THRUST_200600_302600_NS6detail15normal_iteratorINS9_10device_ptrIxEEEESE_SE_xNS9_4plusIvEENS9_8equal_toIxEExEE10hipError_tPvRmT2_T3_T4_T5_mT6_T7_P12ihipStream_tbENKUlT_T0_E_clISt17integral_constantIbLb0EESZ_EEDaSU_SV_EUlSU_E_NS1_11comp_targetILNS1_3genE0ELNS1_11target_archE4294967295ELNS1_3gpuE0ELNS1_3repE0EEENS1_30default_config_static_selectorELNS0_4arch9wavefront6targetE0EEEvT1_.has_dyn_sized_stack, 0
	.set _ZN7rocprim17ROCPRIM_400000_NS6detail17trampoline_kernelINS0_14default_configENS1_27scan_by_key_config_selectorIxxEEZZNS1_16scan_by_key_implILNS1_25lookback_scan_determinismE0ELb1ES3_N6thrust23THRUST_200600_302600_NS6detail15normal_iteratorINS9_10device_ptrIxEEEESE_SE_xNS9_4plusIvEENS9_8equal_toIxEExEE10hipError_tPvRmT2_T3_T4_T5_mT6_T7_P12ihipStream_tbENKUlT_T0_E_clISt17integral_constantIbLb0EESZ_EEDaSU_SV_EUlSU_E_NS1_11comp_targetILNS1_3genE0ELNS1_11target_archE4294967295ELNS1_3gpuE0ELNS1_3repE0EEENS1_30default_config_static_selectorELNS0_4arch9wavefront6targetE0EEEvT1_.has_recursion, 0
	.set _ZN7rocprim17ROCPRIM_400000_NS6detail17trampoline_kernelINS0_14default_configENS1_27scan_by_key_config_selectorIxxEEZZNS1_16scan_by_key_implILNS1_25lookback_scan_determinismE0ELb1ES3_N6thrust23THRUST_200600_302600_NS6detail15normal_iteratorINS9_10device_ptrIxEEEESE_SE_xNS9_4plusIvEENS9_8equal_toIxEExEE10hipError_tPvRmT2_T3_T4_T5_mT6_T7_P12ihipStream_tbENKUlT_T0_E_clISt17integral_constantIbLb0EESZ_EEDaSU_SV_EUlSU_E_NS1_11comp_targetILNS1_3genE0ELNS1_11target_archE4294967295ELNS1_3gpuE0ELNS1_3repE0EEENS1_30default_config_static_selectorELNS0_4arch9wavefront6targetE0EEEvT1_.has_indirect_call, 0
	.section	.AMDGPU.csdata,"",@progbits
; Kernel info:
; codeLenInByte = 15976
; TotalNumSgprs: 59
; NumVgprs: 113
; ScratchSize: 0
; MemoryBound: 0
; FloatMode: 240
; IeeeMode: 1
; LDSByteSize: 32768 bytes/workgroup (compile time only)
; SGPRBlocks: 0
; VGPRBlocks: 7
; NumSGPRsForWavesPerEU: 59
; NumVGPRsForWavesPerEU: 113
; NamedBarCnt: 0
; Occupancy: 8
; WaveLimiterHint : 1
; COMPUTE_PGM_RSRC2:SCRATCH_EN: 0
; COMPUTE_PGM_RSRC2:USER_SGPR: 2
; COMPUTE_PGM_RSRC2:TRAP_HANDLER: 0
; COMPUTE_PGM_RSRC2:TGID_X_EN: 1
; COMPUTE_PGM_RSRC2:TGID_Y_EN: 0
; COMPUTE_PGM_RSRC2:TGID_Z_EN: 0
; COMPUTE_PGM_RSRC2:TIDIG_COMP_CNT: 0
	.section	.text._ZN7rocprim17ROCPRIM_400000_NS6detail17trampoline_kernelINS0_14default_configENS1_27scan_by_key_config_selectorIxxEEZZNS1_16scan_by_key_implILNS1_25lookback_scan_determinismE0ELb1ES3_N6thrust23THRUST_200600_302600_NS6detail15normal_iteratorINS9_10device_ptrIxEEEESE_SE_xNS9_4plusIvEENS9_8equal_toIxEExEE10hipError_tPvRmT2_T3_T4_T5_mT6_T7_P12ihipStream_tbENKUlT_T0_E_clISt17integral_constantIbLb0EESZ_EEDaSU_SV_EUlSU_E_NS1_11comp_targetILNS1_3genE10ELNS1_11target_archE1201ELNS1_3gpuE5ELNS1_3repE0EEENS1_30default_config_static_selectorELNS0_4arch9wavefront6targetE0EEEvT1_,"axG",@progbits,_ZN7rocprim17ROCPRIM_400000_NS6detail17trampoline_kernelINS0_14default_configENS1_27scan_by_key_config_selectorIxxEEZZNS1_16scan_by_key_implILNS1_25lookback_scan_determinismE0ELb1ES3_N6thrust23THRUST_200600_302600_NS6detail15normal_iteratorINS9_10device_ptrIxEEEESE_SE_xNS9_4plusIvEENS9_8equal_toIxEExEE10hipError_tPvRmT2_T3_T4_T5_mT6_T7_P12ihipStream_tbENKUlT_T0_E_clISt17integral_constantIbLb0EESZ_EEDaSU_SV_EUlSU_E_NS1_11comp_targetILNS1_3genE10ELNS1_11target_archE1201ELNS1_3gpuE5ELNS1_3repE0EEENS1_30default_config_static_selectorELNS0_4arch9wavefront6targetE0EEEvT1_,comdat
	.protected	_ZN7rocprim17ROCPRIM_400000_NS6detail17trampoline_kernelINS0_14default_configENS1_27scan_by_key_config_selectorIxxEEZZNS1_16scan_by_key_implILNS1_25lookback_scan_determinismE0ELb1ES3_N6thrust23THRUST_200600_302600_NS6detail15normal_iteratorINS9_10device_ptrIxEEEESE_SE_xNS9_4plusIvEENS9_8equal_toIxEExEE10hipError_tPvRmT2_T3_T4_T5_mT6_T7_P12ihipStream_tbENKUlT_T0_E_clISt17integral_constantIbLb0EESZ_EEDaSU_SV_EUlSU_E_NS1_11comp_targetILNS1_3genE10ELNS1_11target_archE1201ELNS1_3gpuE5ELNS1_3repE0EEENS1_30default_config_static_selectorELNS0_4arch9wavefront6targetE0EEEvT1_ ; -- Begin function _ZN7rocprim17ROCPRIM_400000_NS6detail17trampoline_kernelINS0_14default_configENS1_27scan_by_key_config_selectorIxxEEZZNS1_16scan_by_key_implILNS1_25lookback_scan_determinismE0ELb1ES3_N6thrust23THRUST_200600_302600_NS6detail15normal_iteratorINS9_10device_ptrIxEEEESE_SE_xNS9_4plusIvEENS9_8equal_toIxEExEE10hipError_tPvRmT2_T3_T4_T5_mT6_T7_P12ihipStream_tbENKUlT_T0_E_clISt17integral_constantIbLb0EESZ_EEDaSU_SV_EUlSU_E_NS1_11comp_targetILNS1_3genE10ELNS1_11target_archE1201ELNS1_3gpuE5ELNS1_3repE0EEENS1_30default_config_static_selectorELNS0_4arch9wavefront6targetE0EEEvT1_
	.globl	_ZN7rocprim17ROCPRIM_400000_NS6detail17trampoline_kernelINS0_14default_configENS1_27scan_by_key_config_selectorIxxEEZZNS1_16scan_by_key_implILNS1_25lookback_scan_determinismE0ELb1ES3_N6thrust23THRUST_200600_302600_NS6detail15normal_iteratorINS9_10device_ptrIxEEEESE_SE_xNS9_4plusIvEENS9_8equal_toIxEExEE10hipError_tPvRmT2_T3_T4_T5_mT6_T7_P12ihipStream_tbENKUlT_T0_E_clISt17integral_constantIbLb0EESZ_EEDaSU_SV_EUlSU_E_NS1_11comp_targetILNS1_3genE10ELNS1_11target_archE1201ELNS1_3gpuE5ELNS1_3repE0EEENS1_30default_config_static_selectorELNS0_4arch9wavefront6targetE0EEEvT1_
	.p2align	8
	.type	_ZN7rocprim17ROCPRIM_400000_NS6detail17trampoline_kernelINS0_14default_configENS1_27scan_by_key_config_selectorIxxEEZZNS1_16scan_by_key_implILNS1_25lookback_scan_determinismE0ELb1ES3_N6thrust23THRUST_200600_302600_NS6detail15normal_iteratorINS9_10device_ptrIxEEEESE_SE_xNS9_4plusIvEENS9_8equal_toIxEExEE10hipError_tPvRmT2_T3_T4_T5_mT6_T7_P12ihipStream_tbENKUlT_T0_E_clISt17integral_constantIbLb0EESZ_EEDaSU_SV_EUlSU_E_NS1_11comp_targetILNS1_3genE10ELNS1_11target_archE1201ELNS1_3gpuE5ELNS1_3repE0EEENS1_30default_config_static_selectorELNS0_4arch9wavefront6targetE0EEEvT1_,@function
_ZN7rocprim17ROCPRIM_400000_NS6detail17trampoline_kernelINS0_14default_configENS1_27scan_by_key_config_selectorIxxEEZZNS1_16scan_by_key_implILNS1_25lookback_scan_determinismE0ELb1ES3_N6thrust23THRUST_200600_302600_NS6detail15normal_iteratorINS9_10device_ptrIxEEEESE_SE_xNS9_4plusIvEENS9_8equal_toIxEExEE10hipError_tPvRmT2_T3_T4_T5_mT6_T7_P12ihipStream_tbENKUlT_T0_E_clISt17integral_constantIbLb0EESZ_EEDaSU_SV_EUlSU_E_NS1_11comp_targetILNS1_3genE10ELNS1_11target_archE1201ELNS1_3gpuE5ELNS1_3repE0EEENS1_30default_config_static_selectorELNS0_4arch9wavefront6targetE0EEEvT1_: ; @_ZN7rocprim17ROCPRIM_400000_NS6detail17trampoline_kernelINS0_14default_configENS1_27scan_by_key_config_selectorIxxEEZZNS1_16scan_by_key_implILNS1_25lookback_scan_determinismE0ELb1ES3_N6thrust23THRUST_200600_302600_NS6detail15normal_iteratorINS9_10device_ptrIxEEEESE_SE_xNS9_4plusIvEENS9_8equal_toIxEExEE10hipError_tPvRmT2_T3_T4_T5_mT6_T7_P12ihipStream_tbENKUlT_T0_E_clISt17integral_constantIbLb0EESZ_EEDaSU_SV_EUlSU_E_NS1_11comp_targetILNS1_3genE10ELNS1_11target_archE1201ELNS1_3gpuE5ELNS1_3repE0EEENS1_30default_config_static_selectorELNS0_4arch9wavefront6targetE0EEEvT1_
; %bb.0:
	.section	.rodata,"a",@progbits
	.p2align	6, 0x0
	.amdhsa_kernel _ZN7rocprim17ROCPRIM_400000_NS6detail17trampoline_kernelINS0_14default_configENS1_27scan_by_key_config_selectorIxxEEZZNS1_16scan_by_key_implILNS1_25lookback_scan_determinismE0ELb1ES3_N6thrust23THRUST_200600_302600_NS6detail15normal_iteratorINS9_10device_ptrIxEEEESE_SE_xNS9_4plusIvEENS9_8equal_toIxEExEE10hipError_tPvRmT2_T3_T4_T5_mT6_T7_P12ihipStream_tbENKUlT_T0_E_clISt17integral_constantIbLb0EESZ_EEDaSU_SV_EUlSU_E_NS1_11comp_targetILNS1_3genE10ELNS1_11target_archE1201ELNS1_3gpuE5ELNS1_3repE0EEENS1_30default_config_static_selectorELNS0_4arch9wavefront6targetE0EEEvT1_
		.amdhsa_group_segment_fixed_size 0
		.amdhsa_private_segment_fixed_size 0
		.amdhsa_kernarg_size 136
		.amdhsa_user_sgpr_count 2
		.amdhsa_user_sgpr_dispatch_ptr 0
		.amdhsa_user_sgpr_queue_ptr 0
		.amdhsa_user_sgpr_kernarg_segment_ptr 1
		.amdhsa_user_sgpr_dispatch_id 0
		.amdhsa_user_sgpr_kernarg_preload_length 0
		.amdhsa_user_sgpr_kernarg_preload_offset 0
		.amdhsa_user_sgpr_private_segment_size 0
		.amdhsa_wavefront_size32 1
		.amdhsa_uses_dynamic_stack 0
		.amdhsa_enable_private_segment 0
		.amdhsa_system_sgpr_workgroup_id_x 1
		.amdhsa_system_sgpr_workgroup_id_y 0
		.amdhsa_system_sgpr_workgroup_id_z 0
		.amdhsa_system_sgpr_workgroup_info 0
		.amdhsa_system_vgpr_workitem_id 0
		.amdhsa_next_free_vgpr 1
		.amdhsa_next_free_sgpr 1
		.amdhsa_named_barrier_count 0
		.amdhsa_reserve_vcc 0
		.amdhsa_float_round_mode_32 0
		.amdhsa_float_round_mode_16_64 0
		.amdhsa_float_denorm_mode_32 3
		.amdhsa_float_denorm_mode_16_64 3
		.amdhsa_fp16_overflow 0
		.amdhsa_memory_ordered 1
		.amdhsa_forward_progress 1
		.amdhsa_inst_pref_size 0
		.amdhsa_round_robin_scheduling 0
		.amdhsa_exception_fp_ieee_invalid_op 0
		.amdhsa_exception_fp_denorm_src 0
		.amdhsa_exception_fp_ieee_div_zero 0
		.amdhsa_exception_fp_ieee_overflow 0
		.amdhsa_exception_fp_ieee_underflow 0
		.amdhsa_exception_fp_ieee_inexact 0
		.amdhsa_exception_int_div_zero 0
	.end_amdhsa_kernel
	.section	.text._ZN7rocprim17ROCPRIM_400000_NS6detail17trampoline_kernelINS0_14default_configENS1_27scan_by_key_config_selectorIxxEEZZNS1_16scan_by_key_implILNS1_25lookback_scan_determinismE0ELb1ES3_N6thrust23THRUST_200600_302600_NS6detail15normal_iteratorINS9_10device_ptrIxEEEESE_SE_xNS9_4plusIvEENS9_8equal_toIxEExEE10hipError_tPvRmT2_T3_T4_T5_mT6_T7_P12ihipStream_tbENKUlT_T0_E_clISt17integral_constantIbLb0EESZ_EEDaSU_SV_EUlSU_E_NS1_11comp_targetILNS1_3genE10ELNS1_11target_archE1201ELNS1_3gpuE5ELNS1_3repE0EEENS1_30default_config_static_selectorELNS0_4arch9wavefront6targetE0EEEvT1_,"axG",@progbits,_ZN7rocprim17ROCPRIM_400000_NS6detail17trampoline_kernelINS0_14default_configENS1_27scan_by_key_config_selectorIxxEEZZNS1_16scan_by_key_implILNS1_25lookback_scan_determinismE0ELb1ES3_N6thrust23THRUST_200600_302600_NS6detail15normal_iteratorINS9_10device_ptrIxEEEESE_SE_xNS9_4plusIvEENS9_8equal_toIxEExEE10hipError_tPvRmT2_T3_T4_T5_mT6_T7_P12ihipStream_tbENKUlT_T0_E_clISt17integral_constantIbLb0EESZ_EEDaSU_SV_EUlSU_E_NS1_11comp_targetILNS1_3genE10ELNS1_11target_archE1201ELNS1_3gpuE5ELNS1_3repE0EEENS1_30default_config_static_selectorELNS0_4arch9wavefront6targetE0EEEvT1_,comdat
.Lfunc_end426:
	.size	_ZN7rocprim17ROCPRIM_400000_NS6detail17trampoline_kernelINS0_14default_configENS1_27scan_by_key_config_selectorIxxEEZZNS1_16scan_by_key_implILNS1_25lookback_scan_determinismE0ELb1ES3_N6thrust23THRUST_200600_302600_NS6detail15normal_iteratorINS9_10device_ptrIxEEEESE_SE_xNS9_4plusIvEENS9_8equal_toIxEExEE10hipError_tPvRmT2_T3_T4_T5_mT6_T7_P12ihipStream_tbENKUlT_T0_E_clISt17integral_constantIbLb0EESZ_EEDaSU_SV_EUlSU_E_NS1_11comp_targetILNS1_3genE10ELNS1_11target_archE1201ELNS1_3gpuE5ELNS1_3repE0EEENS1_30default_config_static_selectorELNS0_4arch9wavefront6targetE0EEEvT1_, .Lfunc_end426-_ZN7rocprim17ROCPRIM_400000_NS6detail17trampoline_kernelINS0_14default_configENS1_27scan_by_key_config_selectorIxxEEZZNS1_16scan_by_key_implILNS1_25lookback_scan_determinismE0ELb1ES3_N6thrust23THRUST_200600_302600_NS6detail15normal_iteratorINS9_10device_ptrIxEEEESE_SE_xNS9_4plusIvEENS9_8equal_toIxEExEE10hipError_tPvRmT2_T3_T4_T5_mT6_T7_P12ihipStream_tbENKUlT_T0_E_clISt17integral_constantIbLb0EESZ_EEDaSU_SV_EUlSU_E_NS1_11comp_targetILNS1_3genE10ELNS1_11target_archE1201ELNS1_3gpuE5ELNS1_3repE0EEENS1_30default_config_static_selectorELNS0_4arch9wavefront6targetE0EEEvT1_
                                        ; -- End function
	.set _ZN7rocprim17ROCPRIM_400000_NS6detail17trampoline_kernelINS0_14default_configENS1_27scan_by_key_config_selectorIxxEEZZNS1_16scan_by_key_implILNS1_25lookback_scan_determinismE0ELb1ES3_N6thrust23THRUST_200600_302600_NS6detail15normal_iteratorINS9_10device_ptrIxEEEESE_SE_xNS9_4plusIvEENS9_8equal_toIxEExEE10hipError_tPvRmT2_T3_T4_T5_mT6_T7_P12ihipStream_tbENKUlT_T0_E_clISt17integral_constantIbLb0EESZ_EEDaSU_SV_EUlSU_E_NS1_11comp_targetILNS1_3genE10ELNS1_11target_archE1201ELNS1_3gpuE5ELNS1_3repE0EEENS1_30default_config_static_selectorELNS0_4arch9wavefront6targetE0EEEvT1_.num_vgpr, 0
	.set _ZN7rocprim17ROCPRIM_400000_NS6detail17trampoline_kernelINS0_14default_configENS1_27scan_by_key_config_selectorIxxEEZZNS1_16scan_by_key_implILNS1_25lookback_scan_determinismE0ELb1ES3_N6thrust23THRUST_200600_302600_NS6detail15normal_iteratorINS9_10device_ptrIxEEEESE_SE_xNS9_4plusIvEENS9_8equal_toIxEExEE10hipError_tPvRmT2_T3_T4_T5_mT6_T7_P12ihipStream_tbENKUlT_T0_E_clISt17integral_constantIbLb0EESZ_EEDaSU_SV_EUlSU_E_NS1_11comp_targetILNS1_3genE10ELNS1_11target_archE1201ELNS1_3gpuE5ELNS1_3repE0EEENS1_30default_config_static_selectorELNS0_4arch9wavefront6targetE0EEEvT1_.num_agpr, 0
	.set _ZN7rocprim17ROCPRIM_400000_NS6detail17trampoline_kernelINS0_14default_configENS1_27scan_by_key_config_selectorIxxEEZZNS1_16scan_by_key_implILNS1_25lookback_scan_determinismE0ELb1ES3_N6thrust23THRUST_200600_302600_NS6detail15normal_iteratorINS9_10device_ptrIxEEEESE_SE_xNS9_4plusIvEENS9_8equal_toIxEExEE10hipError_tPvRmT2_T3_T4_T5_mT6_T7_P12ihipStream_tbENKUlT_T0_E_clISt17integral_constantIbLb0EESZ_EEDaSU_SV_EUlSU_E_NS1_11comp_targetILNS1_3genE10ELNS1_11target_archE1201ELNS1_3gpuE5ELNS1_3repE0EEENS1_30default_config_static_selectorELNS0_4arch9wavefront6targetE0EEEvT1_.numbered_sgpr, 0
	.set _ZN7rocprim17ROCPRIM_400000_NS6detail17trampoline_kernelINS0_14default_configENS1_27scan_by_key_config_selectorIxxEEZZNS1_16scan_by_key_implILNS1_25lookback_scan_determinismE0ELb1ES3_N6thrust23THRUST_200600_302600_NS6detail15normal_iteratorINS9_10device_ptrIxEEEESE_SE_xNS9_4plusIvEENS9_8equal_toIxEExEE10hipError_tPvRmT2_T3_T4_T5_mT6_T7_P12ihipStream_tbENKUlT_T0_E_clISt17integral_constantIbLb0EESZ_EEDaSU_SV_EUlSU_E_NS1_11comp_targetILNS1_3genE10ELNS1_11target_archE1201ELNS1_3gpuE5ELNS1_3repE0EEENS1_30default_config_static_selectorELNS0_4arch9wavefront6targetE0EEEvT1_.num_named_barrier, 0
	.set _ZN7rocprim17ROCPRIM_400000_NS6detail17trampoline_kernelINS0_14default_configENS1_27scan_by_key_config_selectorIxxEEZZNS1_16scan_by_key_implILNS1_25lookback_scan_determinismE0ELb1ES3_N6thrust23THRUST_200600_302600_NS6detail15normal_iteratorINS9_10device_ptrIxEEEESE_SE_xNS9_4plusIvEENS9_8equal_toIxEExEE10hipError_tPvRmT2_T3_T4_T5_mT6_T7_P12ihipStream_tbENKUlT_T0_E_clISt17integral_constantIbLb0EESZ_EEDaSU_SV_EUlSU_E_NS1_11comp_targetILNS1_3genE10ELNS1_11target_archE1201ELNS1_3gpuE5ELNS1_3repE0EEENS1_30default_config_static_selectorELNS0_4arch9wavefront6targetE0EEEvT1_.private_seg_size, 0
	.set _ZN7rocprim17ROCPRIM_400000_NS6detail17trampoline_kernelINS0_14default_configENS1_27scan_by_key_config_selectorIxxEEZZNS1_16scan_by_key_implILNS1_25lookback_scan_determinismE0ELb1ES3_N6thrust23THRUST_200600_302600_NS6detail15normal_iteratorINS9_10device_ptrIxEEEESE_SE_xNS9_4plusIvEENS9_8equal_toIxEExEE10hipError_tPvRmT2_T3_T4_T5_mT6_T7_P12ihipStream_tbENKUlT_T0_E_clISt17integral_constantIbLb0EESZ_EEDaSU_SV_EUlSU_E_NS1_11comp_targetILNS1_3genE10ELNS1_11target_archE1201ELNS1_3gpuE5ELNS1_3repE0EEENS1_30default_config_static_selectorELNS0_4arch9wavefront6targetE0EEEvT1_.uses_vcc, 0
	.set _ZN7rocprim17ROCPRIM_400000_NS6detail17trampoline_kernelINS0_14default_configENS1_27scan_by_key_config_selectorIxxEEZZNS1_16scan_by_key_implILNS1_25lookback_scan_determinismE0ELb1ES3_N6thrust23THRUST_200600_302600_NS6detail15normal_iteratorINS9_10device_ptrIxEEEESE_SE_xNS9_4plusIvEENS9_8equal_toIxEExEE10hipError_tPvRmT2_T3_T4_T5_mT6_T7_P12ihipStream_tbENKUlT_T0_E_clISt17integral_constantIbLb0EESZ_EEDaSU_SV_EUlSU_E_NS1_11comp_targetILNS1_3genE10ELNS1_11target_archE1201ELNS1_3gpuE5ELNS1_3repE0EEENS1_30default_config_static_selectorELNS0_4arch9wavefront6targetE0EEEvT1_.uses_flat_scratch, 0
	.set _ZN7rocprim17ROCPRIM_400000_NS6detail17trampoline_kernelINS0_14default_configENS1_27scan_by_key_config_selectorIxxEEZZNS1_16scan_by_key_implILNS1_25lookback_scan_determinismE0ELb1ES3_N6thrust23THRUST_200600_302600_NS6detail15normal_iteratorINS9_10device_ptrIxEEEESE_SE_xNS9_4plusIvEENS9_8equal_toIxEExEE10hipError_tPvRmT2_T3_T4_T5_mT6_T7_P12ihipStream_tbENKUlT_T0_E_clISt17integral_constantIbLb0EESZ_EEDaSU_SV_EUlSU_E_NS1_11comp_targetILNS1_3genE10ELNS1_11target_archE1201ELNS1_3gpuE5ELNS1_3repE0EEENS1_30default_config_static_selectorELNS0_4arch9wavefront6targetE0EEEvT1_.has_dyn_sized_stack, 0
	.set _ZN7rocprim17ROCPRIM_400000_NS6detail17trampoline_kernelINS0_14default_configENS1_27scan_by_key_config_selectorIxxEEZZNS1_16scan_by_key_implILNS1_25lookback_scan_determinismE0ELb1ES3_N6thrust23THRUST_200600_302600_NS6detail15normal_iteratorINS9_10device_ptrIxEEEESE_SE_xNS9_4plusIvEENS9_8equal_toIxEExEE10hipError_tPvRmT2_T3_T4_T5_mT6_T7_P12ihipStream_tbENKUlT_T0_E_clISt17integral_constantIbLb0EESZ_EEDaSU_SV_EUlSU_E_NS1_11comp_targetILNS1_3genE10ELNS1_11target_archE1201ELNS1_3gpuE5ELNS1_3repE0EEENS1_30default_config_static_selectorELNS0_4arch9wavefront6targetE0EEEvT1_.has_recursion, 0
	.set _ZN7rocprim17ROCPRIM_400000_NS6detail17trampoline_kernelINS0_14default_configENS1_27scan_by_key_config_selectorIxxEEZZNS1_16scan_by_key_implILNS1_25lookback_scan_determinismE0ELb1ES3_N6thrust23THRUST_200600_302600_NS6detail15normal_iteratorINS9_10device_ptrIxEEEESE_SE_xNS9_4plusIvEENS9_8equal_toIxEExEE10hipError_tPvRmT2_T3_T4_T5_mT6_T7_P12ihipStream_tbENKUlT_T0_E_clISt17integral_constantIbLb0EESZ_EEDaSU_SV_EUlSU_E_NS1_11comp_targetILNS1_3genE10ELNS1_11target_archE1201ELNS1_3gpuE5ELNS1_3repE0EEENS1_30default_config_static_selectorELNS0_4arch9wavefront6targetE0EEEvT1_.has_indirect_call, 0
	.section	.AMDGPU.csdata,"",@progbits
; Kernel info:
; codeLenInByte = 0
; TotalNumSgprs: 0
; NumVgprs: 0
; ScratchSize: 0
; MemoryBound: 0
; FloatMode: 240
; IeeeMode: 1
; LDSByteSize: 0 bytes/workgroup (compile time only)
; SGPRBlocks: 0
; VGPRBlocks: 0
; NumSGPRsForWavesPerEU: 1
; NumVGPRsForWavesPerEU: 1
; NamedBarCnt: 0
; Occupancy: 16
; WaveLimiterHint : 0
; COMPUTE_PGM_RSRC2:SCRATCH_EN: 0
; COMPUTE_PGM_RSRC2:USER_SGPR: 2
; COMPUTE_PGM_RSRC2:TRAP_HANDLER: 0
; COMPUTE_PGM_RSRC2:TGID_X_EN: 1
; COMPUTE_PGM_RSRC2:TGID_Y_EN: 0
; COMPUTE_PGM_RSRC2:TGID_Z_EN: 0
; COMPUTE_PGM_RSRC2:TIDIG_COMP_CNT: 0
	.section	.text._ZN7rocprim17ROCPRIM_400000_NS6detail17trampoline_kernelINS0_14default_configENS1_27scan_by_key_config_selectorIxxEEZZNS1_16scan_by_key_implILNS1_25lookback_scan_determinismE0ELb1ES3_N6thrust23THRUST_200600_302600_NS6detail15normal_iteratorINS9_10device_ptrIxEEEESE_SE_xNS9_4plusIvEENS9_8equal_toIxEExEE10hipError_tPvRmT2_T3_T4_T5_mT6_T7_P12ihipStream_tbENKUlT_T0_E_clISt17integral_constantIbLb0EESZ_EEDaSU_SV_EUlSU_E_NS1_11comp_targetILNS1_3genE5ELNS1_11target_archE942ELNS1_3gpuE9ELNS1_3repE0EEENS1_30default_config_static_selectorELNS0_4arch9wavefront6targetE0EEEvT1_,"axG",@progbits,_ZN7rocprim17ROCPRIM_400000_NS6detail17trampoline_kernelINS0_14default_configENS1_27scan_by_key_config_selectorIxxEEZZNS1_16scan_by_key_implILNS1_25lookback_scan_determinismE0ELb1ES3_N6thrust23THRUST_200600_302600_NS6detail15normal_iteratorINS9_10device_ptrIxEEEESE_SE_xNS9_4plusIvEENS9_8equal_toIxEExEE10hipError_tPvRmT2_T3_T4_T5_mT6_T7_P12ihipStream_tbENKUlT_T0_E_clISt17integral_constantIbLb0EESZ_EEDaSU_SV_EUlSU_E_NS1_11comp_targetILNS1_3genE5ELNS1_11target_archE942ELNS1_3gpuE9ELNS1_3repE0EEENS1_30default_config_static_selectorELNS0_4arch9wavefront6targetE0EEEvT1_,comdat
	.protected	_ZN7rocprim17ROCPRIM_400000_NS6detail17trampoline_kernelINS0_14default_configENS1_27scan_by_key_config_selectorIxxEEZZNS1_16scan_by_key_implILNS1_25lookback_scan_determinismE0ELb1ES3_N6thrust23THRUST_200600_302600_NS6detail15normal_iteratorINS9_10device_ptrIxEEEESE_SE_xNS9_4plusIvEENS9_8equal_toIxEExEE10hipError_tPvRmT2_T3_T4_T5_mT6_T7_P12ihipStream_tbENKUlT_T0_E_clISt17integral_constantIbLb0EESZ_EEDaSU_SV_EUlSU_E_NS1_11comp_targetILNS1_3genE5ELNS1_11target_archE942ELNS1_3gpuE9ELNS1_3repE0EEENS1_30default_config_static_selectorELNS0_4arch9wavefront6targetE0EEEvT1_ ; -- Begin function _ZN7rocprim17ROCPRIM_400000_NS6detail17trampoline_kernelINS0_14default_configENS1_27scan_by_key_config_selectorIxxEEZZNS1_16scan_by_key_implILNS1_25lookback_scan_determinismE0ELb1ES3_N6thrust23THRUST_200600_302600_NS6detail15normal_iteratorINS9_10device_ptrIxEEEESE_SE_xNS9_4plusIvEENS9_8equal_toIxEExEE10hipError_tPvRmT2_T3_T4_T5_mT6_T7_P12ihipStream_tbENKUlT_T0_E_clISt17integral_constantIbLb0EESZ_EEDaSU_SV_EUlSU_E_NS1_11comp_targetILNS1_3genE5ELNS1_11target_archE942ELNS1_3gpuE9ELNS1_3repE0EEENS1_30default_config_static_selectorELNS0_4arch9wavefront6targetE0EEEvT1_
	.globl	_ZN7rocprim17ROCPRIM_400000_NS6detail17trampoline_kernelINS0_14default_configENS1_27scan_by_key_config_selectorIxxEEZZNS1_16scan_by_key_implILNS1_25lookback_scan_determinismE0ELb1ES3_N6thrust23THRUST_200600_302600_NS6detail15normal_iteratorINS9_10device_ptrIxEEEESE_SE_xNS9_4plusIvEENS9_8equal_toIxEExEE10hipError_tPvRmT2_T3_T4_T5_mT6_T7_P12ihipStream_tbENKUlT_T0_E_clISt17integral_constantIbLb0EESZ_EEDaSU_SV_EUlSU_E_NS1_11comp_targetILNS1_3genE5ELNS1_11target_archE942ELNS1_3gpuE9ELNS1_3repE0EEENS1_30default_config_static_selectorELNS0_4arch9wavefront6targetE0EEEvT1_
	.p2align	8
	.type	_ZN7rocprim17ROCPRIM_400000_NS6detail17trampoline_kernelINS0_14default_configENS1_27scan_by_key_config_selectorIxxEEZZNS1_16scan_by_key_implILNS1_25lookback_scan_determinismE0ELb1ES3_N6thrust23THRUST_200600_302600_NS6detail15normal_iteratorINS9_10device_ptrIxEEEESE_SE_xNS9_4plusIvEENS9_8equal_toIxEExEE10hipError_tPvRmT2_T3_T4_T5_mT6_T7_P12ihipStream_tbENKUlT_T0_E_clISt17integral_constantIbLb0EESZ_EEDaSU_SV_EUlSU_E_NS1_11comp_targetILNS1_3genE5ELNS1_11target_archE942ELNS1_3gpuE9ELNS1_3repE0EEENS1_30default_config_static_selectorELNS0_4arch9wavefront6targetE0EEEvT1_,@function
_ZN7rocprim17ROCPRIM_400000_NS6detail17trampoline_kernelINS0_14default_configENS1_27scan_by_key_config_selectorIxxEEZZNS1_16scan_by_key_implILNS1_25lookback_scan_determinismE0ELb1ES3_N6thrust23THRUST_200600_302600_NS6detail15normal_iteratorINS9_10device_ptrIxEEEESE_SE_xNS9_4plusIvEENS9_8equal_toIxEExEE10hipError_tPvRmT2_T3_T4_T5_mT6_T7_P12ihipStream_tbENKUlT_T0_E_clISt17integral_constantIbLb0EESZ_EEDaSU_SV_EUlSU_E_NS1_11comp_targetILNS1_3genE5ELNS1_11target_archE942ELNS1_3gpuE9ELNS1_3repE0EEENS1_30default_config_static_selectorELNS0_4arch9wavefront6targetE0EEEvT1_: ; @_ZN7rocprim17ROCPRIM_400000_NS6detail17trampoline_kernelINS0_14default_configENS1_27scan_by_key_config_selectorIxxEEZZNS1_16scan_by_key_implILNS1_25lookback_scan_determinismE0ELb1ES3_N6thrust23THRUST_200600_302600_NS6detail15normal_iteratorINS9_10device_ptrIxEEEESE_SE_xNS9_4plusIvEENS9_8equal_toIxEExEE10hipError_tPvRmT2_T3_T4_T5_mT6_T7_P12ihipStream_tbENKUlT_T0_E_clISt17integral_constantIbLb0EESZ_EEDaSU_SV_EUlSU_E_NS1_11comp_targetILNS1_3genE5ELNS1_11target_archE942ELNS1_3gpuE9ELNS1_3repE0EEENS1_30default_config_static_selectorELNS0_4arch9wavefront6targetE0EEEvT1_
; %bb.0:
	.section	.rodata,"a",@progbits
	.p2align	6, 0x0
	.amdhsa_kernel _ZN7rocprim17ROCPRIM_400000_NS6detail17trampoline_kernelINS0_14default_configENS1_27scan_by_key_config_selectorIxxEEZZNS1_16scan_by_key_implILNS1_25lookback_scan_determinismE0ELb1ES3_N6thrust23THRUST_200600_302600_NS6detail15normal_iteratorINS9_10device_ptrIxEEEESE_SE_xNS9_4plusIvEENS9_8equal_toIxEExEE10hipError_tPvRmT2_T3_T4_T5_mT6_T7_P12ihipStream_tbENKUlT_T0_E_clISt17integral_constantIbLb0EESZ_EEDaSU_SV_EUlSU_E_NS1_11comp_targetILNS1_3genE5ELNS1_11target_archE942ELNS1_3gpuE9ELNS1_3repE0EEENS1_30default_config_static_selectorELNS0_4arch9wavefront6targetE0EEEvT1_
		.amdhsa_group_segment_fixed_size 0
		.amdhsa_private_segment_fixed_size 0
		.amdhsa_kernarg_size 136
		.amdhsa_user_sgpr_count 2
		.amdhsa_user_sgpr_dispatch_ptr 0
		.amdhsa_user_sgpr_queue_ptr 0
		.amdhsa_user_sgpr_kernarg_segment_ptr 1
		.amdhsa_user_sgpr_dispatch_id 0
		.amdhsa_user_sgpr_kernarg_preload_length 0
		.amdhsa_user_sgpr_kernarg_preload_offset 0
		.amdhsa_user_sgpr_private_segment_size 0
		.amdhsa_wavefront_size32 1
		.amdhsa_uses_dynamic_stack 0
		.amdhsa_enable_private_segment 0
		.amdhsa_system_sgpr_workgroup_id_x 1
		.amdhsa_system_sgpr_workgroup_id_y 0
		.amdhsa_system_sgpr_workgroup_id_z 0
		.amdhsa_system_sgpr_workgroup_info 0
		.amdhsa_system_vgpr_workitem_id 0
		.amdhsa_next_free_vgpr 1
		.amdhsa_next_free_sgpr 1
		.amdhsa_named_barrier_count 0
		.amdhsa_reserve_vcc 0
		.amdhsa_float_round_mode_32 0
		.amdhsa_float_round_mode_16_64 0
		.amdhsa_float_denorm_mode_32 3
		.amdhsa_float_denorm_mode_16_64 3
		.amdhsa_fp16_overflow 0
		.amdhsa_memory_ordered 1
		.amdhsa_forward_progress 1
		.amdhsa_inst_pref_size 0
		.amdhsa_round_robin_scheduling 0
		.amdhsa_exception_fp_ieee_invalid_op 0
		.amdhsa_exception_fp_denorm_src 0
		.amdhsa_exception_fp_ieee_div_zero 0
		.amdhsa_exception_fp_ieee_overflow 0
		.amdhsa_exception_fp_ieee_underflow 0
		.amdhsa_exception_fp_ieee_inexact 0
		.amdhsa_exception_int_div_zero 0
	.end_amdhsa_kernel
	.section	.text._ZN7rocprim17ROCPRIM_400000_NS6detail17trampoline_kernelINS0_14default_configENS1_27scan_by_key_config_selectorIxxEEZZNS1_16scan_by_key_implILNS1_25lookback_scan_determinismE0ELb1ES3_N6thrust23THRUST_200600_302600_NS6detail15normal_iteratorINS9_10device_ptrIxEEEESE_SE_xNS9_4plusIvEENS9_8equal_toIxEExEE10hipError_tPvRmT2_T3_T4_T5_mT6_T7_P12ihipStream_tbENKUlT_T0_E_clISt17integral_constantIbLb0EESZ_EEDaSU_SV_EUlSU_E_NS1_11comp_targetILNS1_3genE5ELNS1_11target_archE942ELNS1_3gpuE9ELNS1_3repE0EEENS1_30default_config_static_selectorELNS0_4arch9wavefront6targetE0EEEvT1_,"axG",@progbits,_ZN7rocprim17ROCPRIM_400000_NS6detail17trampoline_kernelINS0_14default_configENS1_27scan_by_key_config_selectorIxxEEZZNS1_16scan_by_key_implILNS1_25lookback_scan_determinismE0ELb1ES3_N6thrust23THRUST_200600_302600_NS6detail15normal_iteratorINS9_10device_ptrIxEEEESE_SE_xNS9_4plusIvEENS9_8equal_toIxEExEE10hipError_tPvRmT2_T3_T4_T5_mT6_T7_P12ihipStream_tbENKUlT_T0_E_clISt17integral_constantIbLb0EESZ_EEDaSU_SV_EUlSU_E_NS1_11comp_targetILNS1_3genE5ELNS1_11target_archE942ELNS1_3gpuE9ELNS1_3repE0EEENS1_30default_config_static_selectorELNS0_4arch9wavefront6targetE0EEEvT1_,comdat
.Lfunc_end427:
	.size	_ZN7rocprim17ROCPRIM_400000_NS6detail17trampoline_kernelINS0_14default_configENS1_27scan_by_key_config_selectorIxxEEZZNS1_16scan_by_key_implILNS1_25lookback_scan_determinismE0ELb1ES3_N6thrust23THRUST_200600_302600_NS6detail15normal_iteratorINS9_10device_ptrIxEEEESE_SE_xNS9_4plusIvEENS9_8equal_toIxEExEE10hipError_tPvRmT2_T3_T4_T5_mT6_T7_P12ihipStream_tbENKUlT_T0_E_clISt17integral_constantIbLb0EESZ_EEDaSU_SV_EUlSU_E_NS1_11comp_targetILNS1_3genE5ELNS1_11target_archE942ELNS1_3gpuE9ELNS1_3repE0EEENS1_30default_config_static_selectorELNS0_4arch9wavefront6targetE0EEEvT1_, .Lfunc_end427-_ZN7rocprim17ROCPRIM_400000_NS6detail17trampoline_kernelINS0_14default_configENS1_27scan_by_key_config_selectorIxxEEZZNS1_16scan_by_key_implILNS1_25lookback_scan_determinismE0ELb1ES3_N6thrust23THRUST_200600_302600_NS6detail15normal_iteratorINS9_10device_ptrIxEEEESE_SE_xNS9_4plusIvEENS9_8equal_toIxEExEE10hipError_tPvRmT2_T3_T4_T5_mT6_T7_P12ihipStream_tbENKUlT_T0_E_clISt17integral_constantIbLb0EESZ_EEDaSU_SV_EUlSU_E_NS1_11comp_targetILNS1_3genE5ELNS1_11target_archE942ELNS1_3gpuE9ELNS1_3repE0EEENS1_30default_config_static_selectorELNS0_4arch9wavefront6targetE0EEEvT1_
                                        ; -- End function
	.set _ZN7rocprim17ROCPRIM_400000_NS6detail17trampoline_kernelINS0_14default_configENS1_27scan_by_key_config_selectorIxxEEZZNS1_16scan_by_key_implILNS1_25lookback_scan_determinismE0ELb1ES3_N6thrust23THRUST_200600_302600_NS6detail15normal_iteratorINS9_10device_ptrIxEEEESE_SE_xNS9_4plusIvEENS9_8equal_toIxEExEE10hipError_tPvRmT2_T3_T4_T5_mT6_T7_P12ihipStream_tbENKUlT_T0_E_clISt17integral_constantIbLb0EESZ_EEDaSU_SV_EUlSU_E_NS1_11comp_targetILNS1_3genE5ELNS1_11target_archE942ELNS1_3gpuE9ELNS1_3repE0EEENS1_30default_config_static_selectorELNS0_4arch9wavefront6targetE0EEEvT1_.num_vgpr, 0
	.set _ZN7rocprim17ROCPRIM_400000_NS6detail17trampoline_kernelINS0_14default_configENS1_27scan_by_key_config_selectorIxxEEZZNS1_16scan_by_key_implILNS1_25lookback_scan_determinismE0ELb1ES3_N6thrust23THRUST_200600_302600_NS6detail15normal_iteratorINS9_10device_ptrIxEEEESE_SE_xNS9_4plusIvEENS9_8equal_toIxEExEE10hipError_tPvRmT2_T3_T4_T5_mT6_T7_P12ihipStream_tbENKUlT_T0_E_clISt17integral_constantIbLb0EESZ_EEDaSU_SV_EUlSU_E_NS1_11comp_targetILNS1_3genE5ELNS1_11target_archE942ELNS1_3gpuE9ELNS1_3repE0EEENS1_30default_config_static_selectorELNS0_4arch9wavefront6targetE0EEEvT1_.num_agpr, 0
	.set _ZN7rocprim17ROCPRIM_400000_NS6detail17trampoline_kernelINS0_14default_configENS1_27scan_by_key_config_selectorIxxEEZZNS1_16scan_by_key_implILNS1_25lookback_scan_determinismE0ELb1ES3_N6thrust23THRUST_200600_302600_NS6detail15normal_iteratorINS9_10device_ptrIxEEEESE_SE_xNS9_4plusIvEENS9_8equal_toIxEExEE10hipError_tPvRmT2_T3_T4_T5_mT6_T7_P12ihipStream_tbENKUlT_T0_E_clISt17integral_constantIbLb0EESZ_EEDaSU_SV_EUlSU_E_NS1_11comp_targetILNS1_3genE5ELNS1_11target_archE942ELNS1_3gpuE9ELNS1_3repE0EEENS1_30default_config_static_selectorELNS0_4arch9wavefront6targetE0EEEvT1_.numbered_sgpr, 0
	.set _ZN7rocprim17ROCPRIM_400000_NS6detail17trampoline_kernelINS0_14default_configENS1_27scan_by_key_config_selectorIxxEEZZNS1_16scan_by_key_implILNS1_25lookback_scan_determinismE0ELb1ES3_N6thrust23THRUST_200600_302600_NS6detail15normal_iteratorINS9_10device_ptrIxEEEESE_SE_xNS9_4plusIvEENS9_8equal_toIxEExEE10hipError_tPvRmT2_T3_T4_T5_mT6_T7_P12ihipStream_tbENKUlT_T0_E_clISt17integral_constantIbLb0EESZ_EEDaSU_SV_EUlSU_E_NS1_11comp_targetILNS1_3genE5ELNS1_11target_archE942ELNS1_3gpuE9ELNS1_3repE0EEENS1_30default_config_static_selectorELNS0_4arch9wavefront6targetE0EEEvT1_.num_named_barrier, 0
	.set _ZN7rocprim17ROCPRIM_400000_NS6detail17trampoline_kernelINS0_14default_configENS1_27scan_by_key_config_selectorIxxEEZZNS1_16scan_by_key_implILNS1_25lookback_scan_determinismE0ELb1ES3_N6thrust23THRUST_200600_302600_NS6detail15normal_iteratorINS9_10device_ptrIxEEEESE_SE_xNS9_4plusIvEENS9_8equal_toIxEExEE10hipError_tPvRmT2_T3_T4_T5_mT6_T7_P12ihipStream_tbENKUlT_T0_E_clISt17integral_constantIbLb0EESZ_EEDaSU_SV_EUlSU_E_NS1_11comp_targetILNS1_3genE5ELNS1_11target_archE942ELNS1_3gpuE9ELNS1_3repE0EEENS1_30default_config_static_selectorELNS0_4arch9wavefront6targetE0EEEvT1_.private_seg_size, 0
	.set _ZN7rocprim17ROCPRIM_400000_NS6detail17trampoline_kernelINS0_14default_configENS1_27scan_by_key_config_selectorIxxEEZZNS1_16scan_by_key_implILNS1_25lookback_scan_determinismE0ELb1ES3_N6thrust23THRUST_200600_302600_NS6detail15normal_iteratorINS9_10device_ptrIxEEEESE_SE_xNS9_4plusIvEENS9_8equal_toIxEExEE10hipError_tPvRmT2_T3_T4_T5_mT6_T7_P12ihipStream_tbENKUlT_T0_E_clISt17integral_constantIbLb0EESZ_EEDaSU_SV_EUlSU_E_NS1_11comp_targetILNS1_3genE5ELNS1_11target_archE942ELNS1_3gpuE9ELNS1_3repE0EEENS1_30default_config_static_selectorELNS0_4arch9wavefront6targetE0EEEvT1_.uses_vcc, 0
	.set _ZN7rocprim17ROCPRIM_400000_NS6detail17trampoline_kernelINS0_14default_configENS1_27scan_by_key_config_selectorIxxEEZZNS1_16scan_by_key_implILNS1_25lookback_scan_determinismE0ELb1ES3_N6thrust23THRUST_200600_302600_NS6detail15normal_iteratorINS9_10device_ptrIxEEEESE_SE_xNS9_4plusIvEENS9_8equal_toIxEExEE10hipError_tPvRmT2_T3_T4_T5_mT6_T7_P12ihipStream_tbENKUlT_T0_E_clISt17integral_constantIbLb0EESZ_EEDaSU_SV_EUlSU_E_NS1_11comp_targetILNS1_3genE5ELNS1_11target_archE942ELNS1_3gpuE9ELNS1_3repE0EEENS1_30default_config_static_selectorELNS0_4arch9wavefront6targetE0EEEvT1_.uses_flat_scratch, 0
	.set _ZN7rocprim17ROCPRIM_400000_NS6detail17trampoline_kernelINS0_14default_configENS1_27scan_by_key_config_selectorIxxEEZZNS1_16scan_by_key_implILNS1_25lookback_scan_determinismE0ELb1ES3_N6thrust23THRUST_200600_302600_NS6detail15normal_iteratorINS9_10device_ptrIxEEEESE_SE_xNS9_4plusIvEENS9_8equal_toIxEExEE10hipError_tPvRmT2_T3_T4_T5_mT6_T7_P12ihipStream_tbENKUlT_T0_E_clISt17integral_constantIbLb0EESZ_EEDaSU_SV_EUlSU_E_NS1_11comp_targetILNS1_3genE5ELNS1_11target_archE942ELNS1_3gpuE9ELNS1_3repE0EEENS1_30default_config_static_selectorELNS0_4arch9wavefront6targetE0EEEvT1_.has_dyn_sized_stack, 0
	.set _ZN7rocprim17ROCPRIM_400000_NS6detail17trampoline_kernelINS0_14default_configENS1_27scan_by_key_config_selectorIxxEEZZNS1_16scan_by_key_implILNS1_25lookback_scan_determinismE0ELb1ES3_N6thrust23THRUST_200600_302600_NS6detail15normal_iteratorINS9_10device_ptrIxEEEESE_SE_xNS9_4plusIvEENS9_8equal_toIxEExEE10hipError_tPvRmT2_T3_T4_T5_mT6_T7_P12ihipStream_tbENKUlT_T0_E_clISt17integral_constantIbLb0EESZ_EEDaSU_SV_EUlSU_E_NS1_11comp_targetILNS1_3genE5ELNS1_11target_archE942ELNS1_3gpuE9ELNS1_3repE0EEENS1_30default_config_static_selectorELNS0_4arch9wavefront6targetE0EEEvT1_.has_recursion, 0
	.set _ZN7rocprim17ROCPRIM_400000_NS6detail17trampoline_kernelINS0_14default_configENS1_27scan_by_key_config_selectorIxxEEZZNS1_16scan_by_key_implILNS1_25lookback_scan_determinismE0ELb1ES3_N6thrust23THRUST_200600_302600_NS6detail15normal_iteratorINS9_10device_ptrIxEEEESE_SE_xNS9_4plusIvEENS9_8equal_toIxEExEE10hipError_tPvRmT2_T3_T4_T5_mT6_T7_P12ihipStream_tbENKUlT_T0_E_clISt17integral_constantIbLb0EESZ_EEDaSU_SV_EUlSU_E_NS1_11comp_targetILNS1_3genE5ELNS1_11target_archE942ELNS1_3gpuE9ELNS1_3repE0EEENS1_30default_config_static_selectorELNS0_4arch9wavefront6targetE0EEEvT1_.has_indirect_call, 0
	.section	.AMDGPU.csdata,"",@progbits
; Kernel info:
; codeLenInByte = 0
; TotalNumSgprs: 0
; NumVgprs: 0
; ScratchSize: 0
; MemoryBound: 0
; FloatMode: 240
; IeeeMode: 1
; LDSByteSize: 0 bytes/workgroup (compile time only)
; SGPRBlocks: 0
; VGPRBlocks: 0
; NumSGPRsForWavesPerEU: 1
; NumVGPRsForWavesPerEU: 1
; NamedBarCnt: 0
; Occupancy: 16
; WaveLimiterHint : 0
; COMPUTE_PGM_RSRC2:SCRATCH_EN: 0
; COMPUTE_PGM_RSRC2:USER_SGPR: 2
; COMPUTE_PGM_RSRC2:TRAP_HANDLER: 0
; COMPUTE_PGM_RSRC2:TGID_X_EN: 1
; COMPUTE_PGM_RSRC2:TGID_Y_EN: 0
; COMPUTE_PGM_RSRC2:TGID_Z_EN: 0
; COMPUTE_PGM_RSRC2:TIDIG_COMP_CNT: 0
	.section	.text._ZN7rocprim17ROCPRIM_400000_NS6detail17trampoline_kernelINS0_14default_configENS1_27scan_by_key_config_selectorIxxEEZZNS1_16scan_by_key_implILNS1_25lookback_scan_determinismE0ELb1ES3_N6thrust23THRUST_200600_302600_NS6detail15normal_iteratorINS9_10device_ptrIxEEEESE_SE_xNS9_4plusIvEENS9_8equal_toIxEExEE10hipError_tPvRmT2_T3_T4_T5_mT6_T7_P12ihipStream_tbENKUlT_T0_E_clISt17integral_constantIbLb0EESZ_EEDaSU_SV_EUlSU_E_NS1_11comp_targetILNS1_3genE4ELNS1_11target_archE910ELNS1_3gpuE8ELNS1_3repE0EEENS1_30default_config_static_selectorELNS0_4arch9wavefront6targetE0EEEvT1_,"axG",@progbits,_ZN7rocprim17ROCPRIM_400000_NS6detail17trampoline_kernelINS0_14default_configENS1_27scan_by_key_config_selectorIxxEEZZNS1_16scan_by_key_implILNS1_25lookback_scan_determinismE0ELb1ES3_N6thrust23THRUST_200600_302600_NS6detail15normal_iteratorINS9_10device_ptrIxEEEESE_SE_xNS9_4plusIvEENS9_8equal_toIxEExEE10hipError_tPvRmT2_T3_T4_T5_mT6_T7_P12ihipStream_tbENKUlT_T0_E_clISt17integral_constantIbLb0EESZ_EEDaSU_SV_EUlSU_E_NS1_11comp_targetILNS1_3genE4ELNS1_11target_archE910ELNS1_3gpuE8ELNS1_3repE0EEENS1_30default_config_static_selectorELNS0_4arch9wavefront6targetE0EEEvT1_,comdat
	.protected	_ZN7rocprim17ROCPRIM_400000_NS6detail17trampoline_kernelINS0_14default_configENS1_27scan_by_key_config_selectorIxxEEZZNS1_16scan_by_key_implILNS1_25lookback_scan_determinismE0ELb1ES3_N6thrust23THRUST_200600_302600_NS6detail15normal_iteratorINS9_10device_ptrIxEEEESE_SE_xNS9_4plusIvEENS9_8equal_toIxEExEE10hipError_tPvRmT2_T3_T4_T5_mT6_T7_P12ihipStream_tbENKUlT_T0_E_clISt17integral_constantIbLb0EESZ_EEDaSU_SV_EUlSU_E_NS1_11comp_targetILNS1_3genE4ELNS1_11target_archE910ELNS1_3gpuE8ELNS1_3repE0EEENS1_30default_config_static_selectorELNS0_4arch9wavefront6targetE0EEEvT1_ ; -- Begin function _ZN7rocprim17ROCPRIM_400000_NS6detail17trampoline_kernelINS0_14default_configENS1_27scan_by_key_config_selectorIxxEEZZNS1_16scan_by_key_implILNS1_25lookback_scan_determinismE0ELb1ES3_N6thrust23THRUST_200600_302600_NS6detail15normal_iteratorINS9_10device_ptrIxEEEESE_SE_xNS9_4plusIvEENS9_8equal_toIxEExEE10hipError_tPvRmT2_T3_T4_T5_mT6_T7_P12ihipStream_tbENKUlT_T0_E_clISt17integral_constantIbLb0EESZ_EEDaSU_SV_EUlSU_E_NS1_11comp_targetILNS1_3genE4ELNS1_11target_archE910ELNS1_3gpuE8ELNS1_3repE0EEENS1_30default_config_static_selectorELNS0_4arch9wavefront6targetE0EEEvT1_
	.globl	_ZN7rocprim17ROCPRIM_400000_NS6detail17trampoline_kernelINS0_14default_configENS1_27scan_by_key_config_selectorIxxEEZZNS1_16scan_by_key_implILNS1_25lookback_scan_determinismE0ELb1ES3_N6thrust23THRUST_200600_302600_NS6detail15normal_iteratorINS9_10device_ptrIxEEEESE_SE_xNS9_4plusIvEENS9_8equal_toIxEExEE10hipError_tPvRmT2_T3_T4_T5_mT6_T7_P12ihipStream_tbENKUlT_T0_E_clISt17integral_constantIbLb0EESZ_EEDaSU_SV_EUlSU_E_NS1_11comp_targetILNS1_3genE4ELNS1_11target_archE910ELNS1_3gpuE8ELNS1_3repE0EEENS1_30default_config_static_selectorELNS0_4arch9wavefront6targetE0EEEvT1_
	.p2align	8
	.type	_ZN7rocprim17ROCPRIM_400000_NS6detail17trampoline_kernelINS0_14default_configENS1_27scan_by_key_config_selectorIxxEEZZNS1_16scan_by_key_implILNS1_25lookback_scan_determinismE0ELb1ES3_N6thrust23THRUST_200600_302600_NS6detail15normal_iteratorINS9_10device_ptrIxEEEESE_SE_xNS9_4plusIvEENS9_8equal_toIxEExEE10hipError_tPvRmT2_T3_T4_T5_mT6_T7_P12ihipStream_tbENKUlT_T0_E_clISt17integral_constantIbLb0EESZ_EEDaSU_SV_EUlSU_E_NS1_11comp_targetILNS1_3genE4ELNS1_11target_archE910ELNS1_3gpuE8ELNS1_3repE0EEENS1_30default_config_static_selectorELNS0_4arch9wavefront6targetE0EEEvT1_,@function
_ZN7rocprim17ROCPRIM_400000_NS6detail17trampoline_kernelINS0_14default_configENS1_27scan_by_key_config_selectorIxxEEZZNS1_16scan_by_key_implILNS1_25lookback_scan_determinismE0ELb1ES3_N6thrust23THRUST_200600_302600_NS6detail15normal_iteratorINS9_10device_ptrIxEEEESE_SE_xNS9_4plusIvEENS9_8equal_toIxEExEE10hipError_tPvRmT2_T3_T4_T5_mT6_T7_P12ihipStream_tbENKUlT_T0_E_clISt17integral_constantIbLb0EESZ_EEDaSU_SV_EUlSU_E_NS1_11comp_targetILNS1_3genE4ELNS1_11target_archE910ELNS1_3gpuE8ELNS1_3repE0EEENS1_30default_config_static_selectorELNS0_4arch9wavefront6targetE0EEEvT1_: ; @_ZN7rocprim17ROCPRIM_400000_NS6detail17trampoline_kernelINS0_14default_configENS1_27scan_by_key_config_selectorIxxEEZZNS1_16scan_by_key_implILNS1_25lookback_scan_determinismE0ELb1ES3_N6thrust23THRUST_200600_302600_NS6detail15normal_iteratorINS9_10device_ptrIxEEEESE_SE_xNS9_4plusIvEENS9_8equal_toIxEExEE10hipError_tPvRmT2_T3_T4_T5_mT6_T7_P12ihipStream_tbENKUlT_T0_E_clISt17integral_constantIbLb0EESZ_EEDaSU_SV_EUlSU_E_NS1_11comp_targetILNS1_3genE4ELNS1_11target_archE910ELNS1_3gpuE8ELNS1_3repE0EEENS1_30default_config_static_selectorELNS0_4arch9wavefront6targetE0EEEvT1_
; %bb.0:
	.section	.rodata,"a",@progbits
	.p2align	6, 0x0
	.amdhsa_kernel _ZN7rocprim17ROCPRIM_400000_NS6detail17trampoline_kernelINS0_14default_configENS1_27scan_by_key_config_selectorIxxEEZZNS1_16scan_by_key_implILNS1_25lookback_scan_determinismE0ELb1ES3_N6thrust23THRUST_200600_302600_NS6detail15normal_iteratorINS9_10device_ptrIxEEEESE_SE_xNS9_4plusIvEENS9_8equal_toIxEExEE10hipError_tPvRmT2_T3_T4_T5_mT6_T7_P12ihipStream_tbENKUlT_T0_E_clISt17integral_constantIbLb0EESZ_EEDaSU_SV_EUlSU_E_NS1_11comp_targetILNS1_3genE4ELNS1_11target_archE910ELNS1_3gpuE8ELNS1_3repE0EEENS1_30default_config_static_selectorELNS0_4arch9wavefront6targetE0EEEvT1_
		.amdhsa_group_segment_fixed_size 0
		.amdhsa_private_segment_fixed_size 0
		.amdhsa_kernarg_size 136
		.amdhsa_user_sgpr_count 2
		.amdhsa_user_sgpr_dispatch_ptr 0
		.amdhsa_user_sgpr_queue_ptr 0
		.amdhsa_user_sgpr_kernarg_segment_ptr 1
		.amdhsa_user_sgpr_dispatch_id 0
		.amdhsa_user_sgpr_kernarg_preload_length 0
		.amdhsa_user_sgpr_kernarg_preload_offset 0
		.amdhsa_user_sgpr_private_segment_size 0
		.amdhsa_wavefront_size32 1
		.amdhsa_uses_dynamic_stack 0
		.amdhsa_enable_private_segment 0
		.amdhsa_system_sgpr_workgroup_id_x 1
		.amdhsa_system_sgpr_workgroup_id_y 0
		.amdhsa_system_sgpr_workgroup_id_z 0
		.amdhsa_system_sgpr_workgroup_info 0
		.amdhsa_system_vgpr_workitem_id 0
		.amdhsa_next_free_vgpr 1
		.amdhsa_next_free_sgpr 1
		.amdhsa_named_barrier_count 0
		.amdhsa_reserve_vcc 0
		.amdhsa_float_round_mode_32 0
		.amdhsa_float_round_mode_16_64 0
		.amdhsa_float_denorm_mode_32 3
		.amdhsa_float_denorm_mode_16_64 3
		.amdhsa_fp16_overflow 0
		.amdhsa_memory_ordered 1
		.amdhsa_forward_progress 1
		.amdhsa_inst_pref_size 0
		.amdhsa_round_robin_scheduling 0
		.amdhsa_exception_fp_ieee_invalid_op 0
		.amdhsa_exception_fp_denorm_src 0
		.amdhsa_exception_fp_ieee_div_zero 0
		.amdhsa_exception_fp_ieee_overflow 0
		.amdhsa_exception_fp_ieee_underflow 0
		.amdhsa_exception_fp_ieee_inexact 0
		.amdhsa_exception_int_div_zero 0
	.end_amdhsa_kernel
	.section	.text._ZN7rocprim17ROCPRIM_400000_NS6detail17trampoline_kernelINS0_14default_configENS1_27scan_by_key_config_selectorIxxEEZZNS1_16scan_by_key_implILNS1_25lookback_scan_determinismE0ELb1ES3_N6thrust23THRUST_200600_302600_NS6detail15normal_iteratorINS9_10device_ptrIxEEEESE_SE_xNS9_4plusIvEENS9_8equal_toIxEExEE10hipError_tPvRmT2_T3_T4_T5_mT6_T7_P12ihipStream_tbENKUlT_T0_E_clISt17integral_constantIbLb0EESZ_EEDaSU_SV_EUlSU_E_NS1_11comp_targetILNS1_3genE4ELNS1_11target_archE910ELNS1_3gpuE8ELNS1_3repE0EEENS1_30default_config_static_selectorELNS0_4arch9wavefront6targetE0EEEvT1_,"axG",@progbits,_ZN7rocprim17ROCPRIM_400000_NS6detail17trampoline_kernelINS0_14default_configENS1_27scan_by_key_config_selectorIxxEEZZNS1_16scan_by_key_implILNS1_25lookback_scan_determinismE0ELb1ES3_N6thrust23THRUST_200600_302600_NS6detail15normal_iteratorINS9_10device_ptrIxEEEESE_SE_xNS9_4plusIvEENS9_8equal_toIxEExEE10hipError_tPvRmT2_T3_T4_T5_mT6_T7_P12ihipStream_tbENKUlT_T0_E_clISt17integral_constantIbLb0EESZ_EEDaSU_SV_EUlSU_E_NS1_11comp_targetILNS1_3genE4ELNS1_11target_archE910ELNS1_3gpuE8ELNS1_3repE0EEENS1_30default_config_static_selectorELNS0_4arch9wavefront6targetE0EEEvT1_,comdat
.Lfunc_end428:
	.size	_ZN7rocprim17ROCPRIM_400000_NS6detail17trampoline_kernelINS0_14default_configENS1_27scan_by_key_config_selectorIxxEEZZNS1_16scan_by_key_implILNS1_25lookback_scan_determinismE0ELb1ES3_N6thrust23THRUST_200600_302600_NS6detail15normal_iteratorINS9_10device_ptrIxEEEESE_SE_xNS9_4plusIvEENS9_8equal_toIxEExEE10hipError_tPvRmT2_T3_T4_T5_mT6_T7_P12ihipStream_tbENKUlT_T0_E_clISt17integral_constantIbLb0EESZ_EEDaSU_SV_EUlSU_E_NS1_11comp_targetILNS1_3genE4ELNS1_11target_archE910ELNS1_3gpuE8ELNS1_3repE0EEENS1_30default_config_static_selectorELNS0_4arch9wavefront6targetE0EEEvT1_, .Lfunc_end428-_ZN7rocprim17ROCPRIM_400000_NS6detail17trampoline_kernelINS0_14default_configENS1_27scan_by_key_config_selectorIxxEEZZNS1_16scan_by_key_implILNS1_25lookback_scan_determinismE0ELb1ES3_N6thrust23THRUST_200600_302600_NS6detail15normal_iteratorINS9_10device_ptrIxEEEESE_SE_xNS9_4plusIvEENS9_8equal_toIxEExEE10hipError_tPvRmT2_T3_T4_T5_mT6_T7_P12ihipStream_tbENKUlT_T0_E_clISt17integral_constantIbLb0EESZ_EEDaSU_SV_EUlSU_E_NS1_11comp_targetILNS1_3genE4ELNS1_11target_archE910ELNS1_3gpuE8ELNS1_3repE0EEENS1_30default_config_static_selectorELNS0_4arch9wavefront6targetE0EEEvT1_
                                        ; -- End function
	.set _ZN7rocprim17ROCPRIM_400000_NS6detail17trampoline_kernelINS0_14default_configENS1_27scan_by_key_config_selectorIxxEEZZNS1_16scan_by_key_implILNS1_25lookback_scan_determinismE0ELb1ES3_N6thrust23THRUST_200600_302600_NS6detail15normal_iteratorINS9_10device_ptrIxEEEESE_SE_xNS9_4plusIvEENS9_8equal_toIxEExEE10hipError_tPvRmT2_T3_T4_T5_mT6_T7_P12ihipStream_tbENKUlT_T0_E_clISt17integral_constantIbLb0EESZ_EEDaSU_SV_EUlSU_E_NS1_11comp_targetILNS1_3genE4ELNS1_11target_archE910ELNS1_3gpuE8ELNS1_3repE0EEENS1_30default_config_static_selectorELNS0_4arch9wavefront6targetE0EEEvT1_.num_vgpr, 0
	.set _ZN7rocprim17ROCPRIM_400000_NS6detail17trampoline_kernelINS0_14default_configENS1_27scan_by_key_config_selectorIxxEEZZNS1_16scan_by_key_implILNS1_25lookback_scan_determinismE0ELb1ES3_N6thrust23THRUST_200600_302600_NS6detail15normal_iteratorINS9_10device_ptrIxEEEESE_SE_xNS9_4plusIvEENS9_8equal_toIxEExEE10hipError_tPvRmT2_T3_T4_T5_mT6_T7_P12ihipStream_tbENKUlT_T0_E_clISt17integral_constantIbLb0EESZ_EEDaSU_SV_EUlSU_E_NS1_11comp_targetILNS1_3genE4ELNS1_11target_archE910ELNS1_3gpuE8ELNS1_3repE0EEENS1_30default_config_static_selectorELNS0_4arch9wavefront6targetE0EEEvT1_.num_agpr, 0
	.set _ZN7rocprim17ROCPRIM_400000_NS6detail17trampoline_kernelINS0_14default_configENS1_27scan_by_key_config_selectorIxxEEZZNS1_16scan_by_key_implILNS1_25lookback_scan_determinismE0ELb1ES3_N6thrust23THRUST_200600_302600_NS6detail15normal_iteratorINS9_10device_ptrIxEEEESE_SE_xNS9_4plusIvEENS9_8equal_toIxEExEE10hipError_tPvRmT2_T3_T4_T5_mT6_T7_P12ihipStream_tbENKUlT_T0_E_clISt17integral_constantIbLb0EESZ_EEDaSU_SV_EUlSU_E_NS1_11comp_targetILNS1_3genE4ELNS1_11target_archE910ELNS1_3gpuE8ELNS1_3repE0EEENS1_30default_config_static_selectorELNS0_4arch9wavefront6targetE0EEEvT1_.numbered_sgpr, 0
	.set _ZN7rocprim17ROCPRIM_400000_NS6detail17trampoline_kernelINS0_14default_configENS1_27scan_by_key_config_selectorIxxEEZZNS1_16scan_by_key_implILNS1_25lookback_scan_determinismE0ELb1ES3_N6thrust23THRUST_200600_302600_NS6detail15normal_iteratorINS9_10device_ptrIxEEEESE_SE_xNS9_4plusIvEENS9_8equal_toIxEExEE10hipError_tPvRmT2_T3_T4_T5_mT6_T7_P12ihipStream_tbENKUlT_T0_E_clISt17integral_constantIbLb0EESZ_EEDaSU_SV_EUlSU_E_NS1_11comp_targetILNS1_3genE4ELNS1_11target_archE910ELNS1_3gpuE8ELNS1_3repE0EEENS1_30default_config_static_selectorELNS0_4arch9wavefront6targetE0EEEvT1_.num_named_barrier, 0
	.set _ZN7rocprim17ROCPRIM_400000_NS6detail17trampoline_kernelINS0_14default_configENS1_27scan_by_key_config_selectorIxxEEZZNS1_16scan_by_key_implILNS1_25lookback_scan_determinismE0ELb1ES3_N6thrust23THRUST_200600_302600_NS6detail15normal_iteratorINS9_10device_ptrIxEEEESE_SE_xNS9_4plusIvEENS9_8equal_toIxEExEE10hipError_tPvRmT2_T3_T4_T5_mT6_T7_P12ihipStream_tbENKUlT_T0_E_clISt17integral_constantIbLb0EESZ_EEDaSU_SV_EUlSU_E_NS1_11comp_targetILNS1_3genE4ELNS1_11target_archE910ELNS1_3gpuE8ELNS1_3repE0EEENS1_30default_config_static_selectorELNS0_4arch9wavefront6targetE0EEEvT1_.private_seg_size, 0
	.set _ZN7rocprim17ROCPRIM_400000_NS6detail17trampoline_kernelINS0_14default_configENS1_27scan_by_key_config_selectorIxxEEZZNS1_16scan_by_key_implILNS1_25lookback_scan_determinismE0ELb1ES3_N6thrust23THRUST_200600_302600_NS6detail15normal_iteratorINS9_10device_ptrIxEEEESE_SE_xNS9_4plusIvEENS9_8equal_toIxEExEE10hipError_tPvRmT2_T3_T4_T5_mT6_T7_P12ihipStream_tbENKUlT_T0_E_clISt17integral_constantIbLb0EESZ_EEDaSU_SV_EUlSU_E_NS1_11comp_targetILNS1_3genE4ELNS1_11target_archE910ELNS1_3gpuE8ELNS1_3repE0EEENS1_30default_config_static_selectorELNS0_4arch9wavefront6targetE0EEEvT1_.uses_vcc, 0
	.set _ZN7rocprim17ROCPRIM_400000_NS6detail17trampoline_kernelINS0_14default_configENS1_27scan_by_key_config_selectorIxxEEZZNS1_16scan_by_key_implILNS1_25lookback_scan_determinismE0ELb1ES3_N6thrust23THRUST_200600_302600_NS6detail15normal_iteratorINS9_10device_ptrIxEEEESE_SE_xNS9_4plusIvEENS9_8equal_toIxEExEE10hipError_tPvRmT2_T3_T4_T5_mT6_T7_P12ihipStream_tbENKUlT_T0_E_clISt17integral_constantIbLb0EESZ_EEDaSU_SV_EUlSU_E_NS1_11comp_targetILNS1_3genE4ELNS1_11target_archE910ELNS1_3gpuE8ELNS1_3repE0EEENS1_30default_config_static_selectorELNS0_4arch9wavefront6targetE0EEEvT1_.uses_flat_scratch, 0
	.set _ZN7rocprim17ROCPRIM_400000_NS6detail17trampoline_kernelINS0_14default_configENS1_27scan_by_key_config_selectorIxxEEZZNS1_16scan_by_key_implILNS1_25lookback_scan_determinismE0ELb1ES3_N6thrust23THRUST_200600_302600_NS6detail15normal_iteratorINS9_10device_ptrIxEEEESE_SE_xNS9_4plusIvEENS9_8equal_toIxEExEE10hipError_tPvRmT2_T3_T4_T5_mT6_T7_P12ihipStream_tbENKUlT_T0_E_clISt17integral_constantIbLb0EESZ_EEDaSU_SV_EUlSU_E_NS1_11comp_targetILNS1_3genE4ELNS1_11target_archE910ELNS1_3gpuE8ELNS1_3repE0EEENS1_30default_config_static_selectorELNS0_4arch9wavefront6targetE0EEEvT1_.has_dyn_sized_stack, 0
	.set _ZN7rocprim17ROCPRIM_400000_NS6detail17trampoline_kernelINS0_14default_configENS1_27scan_by_key_config_selectorIxxEEZZNS1_16scan_by_key_implILNS1_25lookback_scan_determinismE0ELb1ES3_N6thrust23THRUST_200600_302600_NS6detail15normal_iteratorINS9_10device_ptrIxEEEESE_SE_xNS9_4plusIvEENS9_8equal_toIxEExEE10hipError_tPvRmT2_T3_T4_T5_mT6_T7_P12ihipStream_tbENKUlT_T0_E_clISt17integral_constantIbLb0EESZ_EEDaSU_SV_EUlSU_E_NS1_11comp_targetILNS1_3genE4ELNS1_11target_archE910ELNS1_3gpuE8ELNS1_3repE0EEENS1_30default_config_static_selectorELNS0_4arch9wavefront6targetE0EEEvT1_.has_recursion, 0
	.set _ZN7rocprim17ROCPRIM_400000_NS6detail17trampoline_kernelINS0_14default_configENS1_27scan_by_key_config_selectorIxxEEZZNS1_16scan_by_key_implILNS1_25lookback_scan_determinismE0ELb1ES3_N6thrust23THRUST_200600_302600_NS6detail15normal_iteratorINS9_10device_ptrIxEEEESE_SE_xNS9_4plusIvEENS9_8equal_toIxEExEE10hipError_tPvRmT2_T3_T4_T5_mT6_T7_P12ihipStream_tbENKUlT_T0_E_clISt17integral_constantIbLb0EESZ_EEDaSU_SV_EUlSU_E_NS1_11comp_targetILNS1_3genE4ELNS1_11target_archE910ELNS1_3gpuE8ELNS1_3repE0EEENS1_30default_config_static_selectorELNS0_4arch9wavefront6targetE0EEEvT1_.has_indirect_call, 0
	.section	.AMDGPU.csdata,"",@progbits
; Kernel info:
; codeLenInByte = 0
; TotalNumSgprs: 0
; NumVgprs: 0
; ScratchSize: 0
; MemoryBound: 0
; FloatMode: 240
; IeeeMode: 1
; LDSByteSize: 0 bytes/workgroup (compile time only)
; SGPRBlocks: 0
; VGPRBlocks: 0
; NumSGPRsForWavesPerEU: 1
; NumVGPRsForWavesPerEU: 1
; NamedBarCnt: 0
; Occupancy: 16
; WaveLimiterHint : 0
; COMPUTE_PGM_RSRC2:SCRATCH_EN: 0
; COMPUTE_PGM_RSRC2:USER_SGPR: 2
; COMPUTE_PGM_RSRC2:TRAP_HANDLER: 0
; COMPUTE_PGM_RSRC2:TGID_X_EN: 1
; COMPUTE_PGM_RSRC2:TGID_Y_EN: 0
; COMPUTE_PGM_RSRC2:TGID_Z_EN: 0
; COMPUTE_PGM_RSRC2:TIDIG_COMP_CNT: 0
	.section	.text._ZN7rocprim17ROCPRIM_400000_NS6detail17trampoline_kernelINS0_14default_configENS1_27scan_by_key_config_selectorIxxEEZZNS1_16scan_by_key_implILNS1_25lookback_scan_determinismE0ELb1ES3_N6thrust23THRUST_200600_302600_NS6detail15normal_iteratorINS9_10device_ptrIxEEEESE_SE_xNS9_4plusIvEENS9_8equal_toIxEExEE10hipError_tPvRmT2_T3_T4_T5_mT6_T7_P12ihipStream_tbENKUlT_T0_E_clISt17integral_constantIbLb0EESZ_EEDaSU_SV_EUlSU_E_NS1_11comp_targetILNS1_3genE3ELNS1_11target_archE908ELNS1_3gpuE7ELNS1_3repE0EEENS1_30default_config_static_selectorELNS0_4arch9wavefront6targetE0EEEvT1_,"axG",@progbits,_ZN7rocprim17ROCPRIM_400000_NS6detail17trampoline_kernelINS0_14default_configENS1_27scan_by_key_config_selectorIxxEEZZNS1_16scan_by_key_implILNS1_25lookback_scan_determinismE0ELb1ES3_N6thrust23THRUST_200600_302600_NS6detail15normal_iteratorINS9_10device_ptrIxEEEESE_SE_xNS9_4plusIvEENS9_8equal_toIxEExEE10hipError_tPvRmT2_T3_T4_T5_mT6_T7_P12ihipStream_tbENKUlT_T0_E_clISt17integral_constantIbLb0EESZ_EEDaSU_SV_EUlSU_E_NS1_11comp_targetILNS1_3genE3ELNS1_11target_archE908ELNS1_3gpuE7ELNS1_3repE0EEENS1_30default_config_static_selectorELNS0_4arch9wavefront6targetE0EEEvT1_,comdat
	.protected	_ZN7rocprim17ROCPRIM_400000_NS6detail17trampoline_kernelINS0_14default_configENS1_27scan_by_key_config_selectorIxxEEZZNS1_16scan_by_key_implILNS1_25lookback_scan_determinismE0ELb1ES3_N6thrust23THRUST_200600_302600_NS6detail15normal_iteratorINS9_10device_ptrIxEEEESE_SE_xNS9_4plusIvEENS9_8equal_toIxEExEE10hipError_tPvRmT2_T3_T4_T5_mT6_T7_P12ihipStream_tbENKUlT_T0_E_clISt17integral_constantIbLb0EESZ_EEDaSU_SV_EUlSU_E_NS1_11comp_targetILNS1_3genE3ELNS1_11target_archE908ELNS1_3gpuE7ELNS1_3repE0EEENS1_30default_config_static_selectorELNS0_4arch9wavefront6targetE0EEEvT1_ ; -- Begin function _ZN7rocprim17ROCPRIM_400000_NS6detail17trampoline_kernelINS0_14default_configENS1_27scan_by_key_config_selectorIxxEEZZNS1_16scan_by_key_implILNS1_25lookback_scan_determinismE0ELb1ES3_N6thrust23THRUST_200600_302600_NS6detail15normal_iteratorINS9_10device_ptrIxEEEESE_SE_xNS9_4plusIvEENS9_8equal_toIxEExEE10hipError_tPvRmT2_T3_T4_T5_mT6_T7_P12ihipStream_tbENKUlT_T0_E_clISt17integral_constantIbLb0EESZ_EEDaSU_SV_EUlSU_E_NS1_11comp_targetILNS1_3genE3ELNS1_11target_archE908ELNS1_3gpuE7ELNS1_3repE0EEENS1_30default_config_static_selectorELNS0_4arch9wavefront6targetE0EEEvT1_
	.globl	_ZN7rocprim17ROCPRIM_400000_NS6detail17trampoline_kernelINS0_14default_configENS1_27scan_by_key_config_selectorIxxEEZZNS1_16scan_by_key_implILNS1_25lookback_scan_determinismE0ELb1ES3_N6thrust23THRUST_200600_302600_NS6detail15normal_iteratorINS9_10device_ptrIxEEEESE_SE_xNS9_4plusIvEENS9_8equal_toIxEExEE10hipError_tPvRmT2_T3_T4_T5_mT6_T7_P12ihipStream_tbENKUlT_T0_E_clISt17integral_constantIbLb0EESZ_EEDaSU_SV_EUlSU_E_NS1_11comp_targetILNS1_3genE3ELNS1_11target_archE908ELNS1_3gpuE7ELNS1_3repE0EEENS1_30default_config_static_selectorELNS0_4arch9wavefront6targetE0EEEvT1_
	.p2align	8
	.type	_ZN7rocprim17ROCPRIM_400000_NS6detail17trampoline_kernelINS0_14default_configENS1_27scan_by_key_config_selectorIxxEEZZNS1_16scan_by_key_implILNS1_25lookback_scan_determinismE0ELb1ES3_N6thrust23THRUST_200600_302600_NS6detail15normal_iteratorINS9_10device_ptrIxEEEESE_SE_xNS9_4plusIvEENS9_8equal_toIxEExEE10hipError_tPvRmT2_T3_T4_T5_mT6_T7_P12ihipStream_tbENKUlT_T0_E_clISt17integral_constantIbLb0EESZ_EEDaSU_SV_EUlSU_E_NS1_11comp_targetILNS1_3genE3ELNS1_11target_archE908ELNS1_3gpuE7ELNS1_3repE0EEENS1_30default_config_static_selectorELNS0_4arch9wavefront6targetE0EEEvT1_,@function
_ZN7rocprim17ROCPRIM_400000_NS6detail17trampoline_kernelINS0_14default_configENS1_27scan_by_key_config_selectorIxxEEZZNS1_16scan_by_key_implILNS1_25lookback_scan_determinismE0ELb1ES3_N6thrust23THRUST_200600_302600_NS6detail15normal_iteratorINS9_10device_ptrIxEEEESE_SE_xNS9_4plusIvEENS9_8equal_toIxEExEE10hipError_tPvRmT2_T3_T4_T5_mT6_T7_P12ihipStream_tbENKUlT_T0_E_clISt17integral_constantIbLb0EESZ_EEDaSU_SV_EUlSU_E_NS1_11comp_targetILNS1_3genE3ELNS1_11target_archE908ELNS1_3gpuE7ELNS1_3repE0EEENS1_30default_config_static_selectorELNS0_4arch9wavefront6targetE0EEEvT1_: ; @_ZN7rocprim17ROCPRIM_400000_NS6detail17trampoline_kernelINS0_14default_configENS1_27scan_by_key_config_selectorIxxEEZZNS1_16scan_by_key_implILNS1_25lookback_scan_determinismE0ELb1ES3_N6thrust23THRUST_200600_302600_NS6detail15normal_iteratorINS9_10device_ptrIxEEEESE_SE_xNS9_4plusIvEENS9_8equal_toIxEExEE10hipError_tPvRmT2_T3_T4_T5_mT6_T7_P12ihipStream_tbENKUlT_T0_E_clISt17integral_constantIbLb0EESZ_EEDaSU_SV_EUlSU_E_NS1_11comp_targetILNS1_3genE3ELNS1_11target_archE908ELNS1_3gpuE7ELNS1_3repE0EEENS1_30default_config_static_selectorELNS0_4arch9wavefront6targetE0EEEvT1_
; %bb.0:
	.section	.rodata,"a",@progbits
	.p2align	6, 0x0
	.amdhsa_kernel _ZN7rocprim17ROCPRIM_400000_NS6detail17trampoline_kernelINS0_14default_configENS1_27scan_by_key_config_selectorIxxEEZZNS1_16scan_by_key_implILNS1_25lookback_scan_determinismE0ELb1ES3_N6thrust23THRUST_200600_302600_NS6detail15normal_iteratorINS9_10device_ptrIxEEEESE_SE_xNS9_4plusIvEENS9_8equal_toIxEExEE10hipError_tPvRmT2_T3_T4_T5_mT6_T7_P12ihipStream_tbENKUlT_T0_E_clISt17integral_constantIbLb0EESZ_EEDaSU_SV_EUlSU_E_NS1_11comp_targetILNS1_3genE3ELNS1_11target_archE908ELNS1_3gpuE7ELNS1_3repE0EEENS1_30default_config_static_selectorELNS0_4arch9wavefront6targetE0EEEvT1_
		.amdhsa_group_segment_fixed_size 0
		.amdhsa_private_segment_fixed_size 0
		.amdhsa_kernarg_size 136
		.amdhsa_user_sgpr_count 2
		.amdhsa_user_sgpr_dispatch_ptr 0
		.amdhsa_user_sgpr_queue_ptr 0
		.amdhsa_user_sgpr_kernarg_segment_ptr 1
		.amdhsa_user_sgpr_dispatch_id 0
		.amdhsa_user_sgpr_kernarg_preload_length 0
		.amdhsa_user_sgpr_kernarg_preload_offset 0
		.amdhsa_user_sgpr_private_segment_size 0
		.amdhsa_wavefront_size32 1
		.amdhsa_uses_dynamic_stack 0
		.amdhsa_enable_private_segment 0
		.amdhsa_system_sgpr_workgroup_id_x 1
		.amdhsa_system_sgpr_workgroup_id_y 0
		.amdhsa_system_sgpr_workgroup_id_z 0
		.amdhsa_system_sgpr_workgroup_info 0
		.amdhsa_system_vgpr_workitem_id 0
		.amdhsa_next_free_vgpr 1
		.amdhsa_next_free_sgpr 1
		.amdhsa_named_barrier_count 0
		.amdhsa_reserve_vcc 0
		.amdhsa_float_round_mode_32 0
		.amdhsa_float_round_mode_16_64 0
		.amdhsa_float_denorm_mode_32 3
		.amdhsa_float_denorm_mode_16_64 3
		.amdhsa_fp16_overflow 0
		.amdhsa_memory_ordered 1
		.amdhsa_forward_progress 1
		.amdhsa_inst_pref_size 0
		.amdhsa_round_robin_scheduling 0
		.amdhsa_exception_fp_ieee_invalid_op 0
		.amdhsa_exception_fp_denorm_src 0
		.amdhsa_exception_fp_ieee_div_zero 0
		.amdhsa_exception_fp_ieee_overflow 0
		.amdhsa_exception_fp_ieee_underflow 0
		.amdhsa_exception_fp_ieee_inexact 0
		.amdhsa_exception_int_div_zero 0
	.end_amdhsa_kernel
	.section	.text._ZN7rocprim17ROCPRIM_400000_NS6detail17trampoline_kernelINS0_14default_configENS1_27scan_by_key_config_selectorIxxEEZZNS1_16scan_by_key_implILNS1_25lookback_scan_determinismE0ELb1ES3_N6thrust23THRUST_200600_302600_NS6detail15normal_iteratorINS9_10device_ptrIxEEEESE_SE_xNS9_4plusIvEENS9_8equal_toIxEExEE10hipError_tPvRmT2_T3_T4_T5_mT6_T7_P12ihipStream_tbENKUlT_T0_E_clISt17integral_constantIbLb0EESZ_EEDaSU_SV_EUlSU_E_NS1_11comp_targetILNS1_3genE3ELNS1_11target_archE908ELNS1_3gpuE7ELNS1_3repE0EEENS1_30default_config_static_selectorELNS0_4arch9wavefront6targetE0EEEvT1_,"axG",@progbits,_ZN7rocprim17ROCPRIM_400000_NS6detail17trampoline_kernelINS0_14default_configENS1_27scan_by_key_config_selectorIxxEEZZNS1_16scan_by_key_implILNS1_25lookback_scan_determinismE0ELb1ES3_N6thrust23THRUST_200600_302600_NS6detail15normal_iteratorINS9_10device_ptrIxEEEESE_SE_xNS9_4plusIvEENS9_8equal_toIxEExEE10hipError_tPvRmT2_T3_T4_T5_mT6_T7_P12ihipStream_tbENKUlT_T0_E_clISt17integral_constantIbLb0EESZ_EEDaSU_SV_EUlSU_E_NS1_11comp_targetILNS1_3genE3ELNS1_11target_archE908ELNS1_3gpuE7ELNS1_3repE0EEENS1_30default_config_static_selectorELNS0_4arch9wavefront6targetE0EEEvT1_,comdat
.Lfunc_end429:
	.size	_ZN7rocprim17ROCPRIM_400000_NS6detail17trampoline_kernelINS0_14default_configENS1_27scan_by_key_config_selectorIxxEEZZNS1_16scan_by_key_implILNS1_25lookback_scan_determinismE0ELb1ES3_N6thrust23THRUST_200600_302600_NS6detail15normal_iteratorINS9_10device_ptrIxEEEESE_SE_xNS9_4plusIvEENS9_8equal_toIxEExEE10hipError_tPvRmT2_T3_T4_T5_mT6_T7_P12ihipStream_tbENKUlT_T0_E_clISt17integral_constantIbLb0EESZ_EEDaSU_SV_EUlSU_E_NS1_11comp_targetILNS1_3genE3ELNS1_11target_archE908ELNS1_3gpuE7ELNS1_3repE0EEENS1_30default_config_static_selectorELNS0_4arch9wavefront6targetE0EEEvT1_, .Lfunc_end429-_ZN7rocprim17ROCPRIM_400000_NS6detail17trampoline_kernelINS0_14default_configENS1_27scan_by_key_config_selectorIxxEEZZNS1_16scan_by_key_implILNS1_25lookback_scan_determinismE0ELb1ES3_N6thrust23THRUST_200600_302600_NS6detail15normal_iteratorINS9_10device_ptrIxEEEESE_SE_xNS9_4plusIvEENS9_8equal_toIxEExEE10hipError_tPvRmT2_T3_T4_T5_mT6_T7_P12ihipStream_tbENKUlT_T0_E_clISt17integral_constantIbLb0EESZ_EEDaSU_SV_EUlSU_E_NS1_11comp_targetILNS1_3genE3ELNS1_11target_archE908ELNS1_3gpuE7ELNS1_3repE0EEENS1_30default_config_static_selectorELNS0_4arch9wavefront6targetE0EEEvT1_
                                        ; -- End function
	.set _ZN7rocprim17ROCPRIM_400000_NS6detail17trampoline_kernelINS0_14default_configENS1_27scan_by_key_config_selectorIxxEEZZNS1_16scan_by_key_implILNS1_25lookback_scan_determinismE0ELb1ES3_N6thrust23THRUST_200600_302600_NS6detail15normal_iteratorINS9_10device_ptrIxEEEESE_SE_xNS9_4plusIvEENS9_8equal_toIxEExEE10hipError_tPvRmT2_T3_T4_T5_mT6_T7_P12ihipStream_tbENKUlT_T0_E_clISt17integral_constantIbLb0EESZ_EEDaSU_SV_EUlSU_E_NS1_11comp_targetILNS1_3genE3ELNS1_11target_archE908ELNS1_3gpuE7ELNS1_3repE0EEENS1_30default_config_static_selectorELNS0_4arch9wavefront6targetE0EEEvT1_.num_vgpr, 0
	.set _ZN7rocprim17ROCPRIM_400000_NS6detail17trampoline_kernelINS0_14default_configENS1_27scan_by_key_config_selectorIxxEEZZNS1_16scan_by_key_implILNS1_25lookback_scan_determinismE0ELb1ES3_N6thrust23THRUST_200600_302600_NS6detail15normal_iteratorINS9_10device_ptrIxEEEESE_SE_xNS9_4plusIvEENS9_8equal_toIxEExEE10hipError_tPvRmT2_T3_T4_T5_mT6_T7_P12ihipStream_tbENKUlT_T0_E_clISt17integral_constantIbLb0EESZ_EEDaSU_SV_EUlSU_E_NS1_11comp_targetILNS1_3genE3ELNS1_11target_archE908ELNS1_3gpuE7ELNS1_3repE0EEENS1_30default_config_static_selectorELNS0_4arch9wavefront6targetE0EEEvT1_.num_agpr, 0
	.set _ZN7rocprim17ROCPRIM_400000_NS6detail17trampoline_kernelINS0_14default_configENS1_27scan_by_key_config_selectorIxxEEZZNS1_16scan_by_key_implILNS1_25lookback_scan_determinismE0ELb1ES3_N6thrust23THRUST_200600_302600_NS6detail15normal_iteratorINS9_10device_ptrIxEEEESE_SE_xNS9_4plusIvEENS9_8equal_toIxEExEE10hipError_tPvRmT2_T3_T4_T5_mT6_T7_P12ihipStream_tbENKUlT_T0_E_clISt17integral_constantIbLb0EESZ_EEDaSU_SV_EUlSU_E_NS1_11comp_targetILNS1_3genE3ELNS1_11target_archE908ELNS1_3gpuE7ELNS1_3repE0EEENS1_30default_config_static_selectorELNS0_4arch9wavefront6targetE0EEEvT1_.numbered_sgpr, 0
	.set _ZN7rocprim17ROCPRIM_400000_NS6detail17trampoline_kernelINS0_14default_configENS1_27scan_by_key_config_selectorIxxEEZZNS1_16scan_by_key_implILNS1_25lookback_scan_determinismE0ELb1ES3_N6thrust23THRUST_200600_302600_NS6detail15normal_iteratorINS9_10device_ptrIxEEEESE_SE_xNS9_4plusIvEENS9_8equal_toIxEExEE10hipError_tPvRmT2_T3_T4_T5_mT6_T7_P12ihipStream_tbENKUlT_T0_E_clISt17integral_constantIbLb0EESZ_EEDaSU_SV_EUlSU_E_NS1_11comp_targetILNS1_3genE3ELNS1_11target_archE908ELNS1_3gpuE7ELNS1_3repE0EEENS1_30default_config_static_selectorELNS0_4arch9wavefront6targetE0EEEvT1_.num_named_barrier, 0
	.set _ZN7rocprim17ROCPRIM_400000_NS6detail17trampoline_kernelINS0_14default_configENS1_27scan_by_key_config_selectorIxxEEZZNS1_16scan_by_key_implILNS1_25lookback_scan_determinismE0ELb1ES3_N6thrust23THRUST_200600_302600_NS6detail15normal_iteratorINS9_10device_ptrIxEEEESE_SE_xNS9_4plusIvEENS9_8equal_toIxEExEE10hipError_tPvRmT2_T3_T4_T5_mT6_T7_P12ihipStream_tbENKUlT_T0_E_clISt17integral_constantIbLb0EESZ_EEDaSU_SV_EUlSU_E_NS1_11comp_targetILNS1_3genE3ELNS1_11target_archE908ELNS1_3gpuE7ELNS1_3repE0EEENS1_30default_config_static_selectorELNS0_4arch9wavefront6targetE0EEEvT1_.private_seg_size, 0
	.set _ZN7rocprim17ROCPRIM_400000_NS6detail17trampoline_kernelINS0_14default_configENS1_27scan_by_key_config_selectorIxxEEZZNS1_16scan_by_key_implILNS1_25lookback_scan_determinismE0ELb1ES3_N6thrust23THRUST_200600_302600_NS6detail15normal_iteratorINS9_10device_ptrIxEEEESE_SE_xNS9_4plusIvEENS9_8equal_toIxEExEE10hipError_tPvRmT2_T3_T4_T5_mT6_T7_P12ihipStream_tbENKUlT_T0_E_clISt17integral_constantIbLb0EESZ_EEDaSU_SV_EUlSU_E_NS1_11comp_targetILNS1_3genE3ELNS1_11target_archE908ELNS1_3gpuE7ELNS1_3repE0EEENS1_30default_config_static_selectorELNS0_4arch9wavefront6targetE0EEEvT1_.uses_vcc, 0
	.set _ZN7rocprim17ROCPRIM_400000_NS6detail17trampoline_kernelINS0_14default_configENS1_27scan_by_key_config_selectorIxxEEZZNS1_16scan_by_key_implILNS1_25lookback_scan_determinismE0ELb1ES3_N6thrust23THRUST_200600_302600_NS6detail15normal_iteratorINS9_10device_ptrIxEEEESE_SE_xNS9_4plusIvEENS9_8equal_toIxEExEE10hipError_tPvRmT2_T3_T4_T5_mT6_T7_P12ihipStream_tbENKUlT_T0_E_clISt17integral_constantIbLb0EESZ_EEDaSU_SV_EUlSU_E_NS1_11comp_targetILNS1_3genE3ELNS1_11target_archE908ELNS1_3gpuE7ELNS1_3repE0EEENS1_30default_config_static_selectorELNS0_4arch9wavefront6targetE0EEEvT1_.uses_flat_scratch, 0
	.set _ZN7rocprim17ROCPRIM_400000_NS6detail17trampoline_kernelINS0_14default_configENS1_27scan_by_key_config_selectorIxxEEZZNS1_16scan_by_key_implILNS1_25lookback_scan_determinismE0ELb1ES3_N6thrust23THRUST_200600_302600_NS6detail15normal_iteratorINS9_10device_ptrIxEEEESE_SE_xNS9_4plusIvEENS9_8equal_toIxEExEE10hipError_tPvRmT2_T3_T4_T5_mT6_T7_P12ihipStream_tbENKUlT_T0_E_clISt17integral_constantIbLb0EESZ_EEDaSU_SV_EUlSU_E_NS1_11comp_targetILNS1_3genE3ELNS1_11target_archE908ELNS1_3gpuE7ELNS1_3repE0EEENS1_30default_config_static_selectorELNS0_4arch9wavefront6targetE0EEEvT1_.has_dyn_sized_stack, 0
	.set _ZN7rocprim17ROCPRIM_400000_NS6detail17trampoline_kernelINS0_14default_configENS1_27scan_by_key_config_selectorIxxEEZZNS1_16scan_by_key_implILNS1_25lookback_scan_determinismE0ELb1ES3_N6thrust23THRUST_200600_302600_NS6detail15normal_iteratorINS9_10device_ptrIxEEEESE_SE_xNS9_4plusIvEENS9_8equal_toIxEExEE10hipError_tPvRmT2_T3_T4_T5_mT6_T7_P12ihipStream_tbENKUlT_T0_E_clISt17integral_constantIbLb0EESZ_EEDaSU_SV_EUlSU_E_NS1_11comp_targetILNS1_3genE3ELNS1_11target_archE908ELNS1_3gpuE7ELNS1_3repE0EEENS1_30default_config_static_selectorELNS0_4arch9wavefront6targetE0EEEvT1_.has_recursion, 0
	.set _ZN7rocprim17ROCPRIM_400000_NS6detail17trampoline_kernelINS0_14default_configENS1_27scan_by_key_config_selectorIxxEEZZNS1_16scan_by_key_implILNS1_25lookback_scan_determinismE0ELb1ES3_N6thrust23THRUST_200600_302600_NS6detail15normal_iteratorINS9_10device_ptrIxEEEESE_SE_xNS9_4plusIvEENS9_8equal_toIxEExEE10hipError_tPvRmT2_T3_T4_T5_mT6_T7_P12ihipStream_tbENKUlT_T0_E_clISt17integral_constantIbLb0EESZ_EEDaSU_SV_EUlSU_E_NS1_11comp_targetILNS1_3genE3ELNS1_11target_archE908ELNS1_3gpuE7ELNS1_3repE0EEENS1_30default_config_static_selectorELNS0_4arch9wavefront6targetE0EEEvT1_.has_indirect_call, 0
	.section	.AMDGPU.csdata,"",@progbits
; Kernel info:
; codeLenInByte = 0
; TotalNumSgprs: 0
; NumVgprs: 0
; ScratchSize: 0
; MemoryBound: 0
; FloatMode: 240
; IeeeMode: 1
; LDSByteSize: 0 bytes/workgroup (compile time only)
; SGPRBlocks: 0
; VGPRBlocks: 0
; NumSGPRsForWavesPerEU: 1
; NumVGPRsForWavesPerEU: 1
; NamedBarCnt: 0
; Occupancy: 16
; WaveLimiterHint : 0
; COMPUTE_PGM_RSRC2:SCRATCH_EN: 0
; COMPUTE_PGM_RSRC2:USER_SGPR: 2
; COMPUTE_PGM_RSRC2:TRAP_HANDLER: 0
; COMPUTE_PGM_RSRC2:TGID_X_EN: 1
; COMPUTE_PGM_RSRC2:TGID_Y_EN: 0
; COMPUTE_PGM_RSRC2:TGID_Z_EN: 0
; COMPUTE_PGM_RSRC2:TIDIG_COMP_CNT: 0
	.section	.text._ZN7rocprim17ROCPRIM_400000_NS6detail17trampoline_kernelINS0_14default_configENS1_27scan_by_key_config_selectorIxxEEZZNS1_16scan_by_key_implILNS1_25lookback_scan_determinismE0ELb1ES3_N6thrust23THRUST_200600_302600_NS6detail15normal_iteratorINS9_10device_ptrIxEEEESE_SE_xNS9_4plusIvEENS9_8equal_toIxEExEE10hipError_tPvRmT2_T3_T4_T5_mT6_T7_P12ihipStream_tbENKUlT_T0_E_clISt17integral_constantIbLb0EESZ_EEDaSU_SV_EUlSU_E_NS1_11comp_targetILNS1_3genE2ELNS1_11target_archE906ELNS1_3gpuE6ELNS1_3repE0EEENS1_30default_config_static_selectorELNS0_4arch9wavefront6targetE0EEEvT1_,"axG",@progbits,_ZN7rocprim17ROCPRIM_400000_NS6detail17trampoline_kernelINS0_14default_configENS1_27scan_by_key_config_selectorIxxEEZZNS1_16scan_by_key_implILNS1_25lookback_scan_determinismE0ELb1ES3_N6thrust23THRUST_200600_302600_NS6detail15normal_iteratorINS9_10device_ptrIxEEEESE_SE_xNS9_4plusIvEENS9_8equal_toIxEExEE10hipError_tPvRmT2_T3_T4_T5_mT6_T7_P12ihipStream_tbENKUlT_T0_E_clISt17integral_constantIbLb0EESZ_EEDaSU_SV_EUlSU_E_NS1_11comp_targetILNS1_3genE2ELNS1_11target_archE906ELNS1_3gpuE6ELNS1_3repE0EEENS1_30default_config_static_selectorELNS0_4arch9wavefront6targetE0EEEvT1_,comdat
	.protected	_ZN7rocprim17ROCPRIM_400000_NS6detail17trampoline_kernelINS0_14default_configENS1_27scan_by_key_config_selectorIxxEEZZNS1_16scan_by_key_implILNS1_25lookback_scan_determinismE0ELb1ES3_N6thrust23THRUST_200600_302600_NS6detail15normal_iteratorINS9_10device_ptrIxEEEESE_SE_xNS9_4plusIvEENS9_8equal_toIxEExEE10hipError_tPvRmT2_T3_T4_T5_mT6_T7_P12ihipStream_tbENKUlT_T0_E_clISt17integral_constantIbLb0EESZ_EEDaSU_SV_EUlSU_E_NS1_11comp_targetILNS1_3genE2ELNS1_11target_archE906ELNS1_3gpuE6ELNS1_3repE0EEENS1_30default_config_static_selectorELNS0_4arch9wavefront6targetE0EEEvT1_ ; -- Begin function _ZN7rocprim17ROCPRIM_400000_NS6detail17trampoline_kernelINS0_14default_configENS1_27scan_by_key_config_selectorIxxEEZZNS1_16scan_by_key_implILNS1_25lookback_scan_determinismE0ELb1ES3_N6thrust23THRUST_200600_302600_NS6detail15normal_iteratorINS9_10device_ptrIxEEEESE_SE_xNS9_4plusIvEENS9_8equal_toIxEExEE10hipError_tPvRmT2_T3_T4_T5_mT6_T7_P12ihipStream_tbENKUlT_T0_E_clISt17integral_constantIbLb0EESZ_EEDaSU_SV_EUlSU_E_NS1_11comp_targetILNS1_3genE2ELNS1_11target_archE906ELNS1_3gpuE6ELNS1_3repE0EEENS1_30default_config_static_selectorELNS0_4arch9wavefront6targetE0EEEvT1_
	.globl	_ZN7rocprim17ROCPRIM_400000_NS6detail17trampoline_kernelINS0_14default_configENS1_27scan_by_key_config_selectorIxxEEZZNS1_16scan_by_key_implILNS1_25lookback_scan_determinismE0ELb1ES3_N6thrust23THRUST_200600_302600_NS6detail15normal_iteratorINS9_10device_ptrIxEEEESE_SE_xNS9_4plusIvEENS9_8equal_toIxEExEE10hipError_tPvRmT2_T3_T4_T5_mT6_T7_P12ihipStream_tbENKUlT_T0_E_clISt17integral_constantIbLb0EESZ_EEDaSU_SV_EUlSU_E_NS1_11comp_targetILNS1_3genE2ELNS1_11target_archE906ELNS1_3gpuE6ELNS1_3repE0EEENS1_30default_config_static_selectorELNS0_4arch9wavefront6targetE0EEEvT1_
	.p2align	8
	.type	_ZN7rocprim17ROCPRIM_400000_NS6detail17trampoline_kernelINS0_14default_configENS1_27scan_by_key_config_selectorIxxEEZZNS1_16scan_by_key_implILNS1_25lookback_scan_determinismE0ELb1ES3_N6thrust23THRUST_200600_302600_NS6detail15normal_iteratorINS9_10device_ptrIxEEEESE_SE_xNS9_4plusIvEENS9_8equal_toIxEExEE10hipError_tPvRmT2_T3_T4_T5_mT6_T7_P12ihipStream_tbENKUlT_T0_E_clISt17integral_constantIbLb0EESZ_EEDaSU_SV_EUlSU_E_NS1_11comp_targetILNS1_3genE2ELNS1_11target_archE906ELNS1_3gpuE6ELNS1_3repE0EEENS1_30default_config_static_selectorELNS0_4arch9wavefront6targetE0EEEvT1_,@function
_ZN7rocprim17ROCPRIM_400000_NS6detail17trampoline_kernelINS0_14default_configENS1_27scan_by_key_config_selectorIxxEEZZNS1_16scan_by_key_implILNS1_25lookback_scan_determinismE0ELb1ES3_N6thrust23THRUST_200600_302600_NS6detail15normal_iteratorINS9_10device_ptrIxEEEESE_SE_xNS9_4plusIvEENS9_8equal_toIxEExEE10hipError_tPvRmT2_T3_T4_T5_mT6_T7_P12ihipStream_tbENKUlT_T0_E_clISt17integral_constantIbLb0EESZ_EEDaSU_SV_EUlSU_E_NS1_11comp_targetILNS1_3genE2ELNS1_11target_archE906ELNS1_3gpuE6ELNS1_3repE0EEENS1_30default_config_static_selectorELNS0_4arch9wavefront6targetE0EEEvT1_: ; @_ZN7rocprim17ROCPRIM_400000_NS6detail17trampoline_kernelINS0_14default_configENS1_27scan_by_key_config_selectorIxxEEZZNS1_16scan_by_key_implILNS1_25lookback_scan_determinismE0ELb1ES3_N6thrust23THRUST_200600_302600_NS6detail15normal_iteratorINS9_10device_ptrIxEEEESE_SE_xNS9_4plusIvEENS9_8equal_toIxEExEE10hipError_tPvRmT2_T3_T4_T5_mT6_T7_P12ihipStream_tbENKUlT_T0_E_clISt17integral_constantIbLb0EESZ_EEDaSU_SV_EUlSU_E_NS1_11comp_targetILNS1_3genE2ELNS1_11target_archE906ELNS1_3gpuE6ELNS1_3repE0EEENS1_30default_config_static_selectorELNS0_4arch9wavefront6targetE0EEEvT1_
; %bb.0:
	.section	.rodata,"a",@progbits
	.p2align	6, 0x0
	.amdhsa_kernel _ZN7rocprim17ROCPRIM_400000_NS6detail17trampoline_kernelINS0_14default_configENS1_27scan_by_key_config_selectorIxxEEZZNS1_16scan_by_key_implILNS1_25lookback_scan_determinismE0ELb1ES3_N6thrust23THRUST_200600_302600_NS6detail15normal_iteratorINS9_10device_ptrIxEEEESE_SE_xNS9_4plusIvEENS9_8equal_toIxEExEE10hipError_tPvRmT2_T3_T4_T5_mT6_T7_P12ihipStream_tbENKUlT_T0_E_clISt17integral_constantIbLb0EESZ_EEDaSU_SV_EUlSU_E_NS1_11comp_targetILNS1_3genE2ELNS1_11target_archE906ELNS1_3gpuE6ELNS1_3repE0EEENS1_30default_config_static_selectorELNS0_4arch9wavefront6targetE0EEEvT1_
		.amdhsa_group_segment_fixed_size 0
		.amdhsa_private_segment_fixed_size 0
		.amdhsa_kernarg_size 136
		.amdhsa_user_sgpr_count 2
		.amdhsa_user_sgpr_dispatch_ptr 0
		.amdhsa_user_sgpr_queue_ptr 0
		.amdhsa_user_sgpr_kernarg_segment_ptr 1
		.amdhsa_user_sgpr_dispatch_id 0
		.amdhsa_user_sgpr_kernarg_preload_length 0
		.amdhsa_user_sgpr_kernarg_preload_offset 0
		.amdhsa_user_sgpr_private_segment_size 0
		.amdhsa_wavefront_size32 1
		.amdhsa_uses_dynamic_stack 0
		.amdhsa_enable_private_segment 0
		.amdhsa_system_sgpr_workgroup_id_x 1
		.amdhsa_system_sgpr_workgroup_id_y 0
		.amdhsa_system_sgpr_workgroup_id_z 0
		.amdhsa_system_sgpr_workgroup_info 0
		.amdhsa_system_vgpr_workitem_id 0
		.amdhsa_next_free_vgpr 1
		.amdhsa_next_free_sgpr 1
		.amdhsa_named_barrier_count 0
		.amdhsa_reserve_vcc 0
		.amdhsa_float_round_mode_32 0
		.amdhsa_float_round_mode_16_64 0
		.amdhsa_float_denorm_mode_32 3
		.amdhsa_float_denorm_mode_16_64 3
		.amdhsa_fp16_overflow 0
		.amdhsa_memory_ordered 1
		.amdhsa_forward_progress 1
		.amdhsa_inst_pref_size 0
		.amdhsa_round_robin_scheduling 0
		.amdhsa_exception_fp_ieee_invalid_op 0
		.amdhsa_exception_fp_denorm_src 0
		.amdhsa_exception_fp_ieee_div_zero 0
		.amdhsa_exception_fp_ieee_overflow 0
		.amdhsa_exception_fp_ieee_underflow 0
		.amdhsa_exception_fp_ieee_inexact 0
		.amdhsa_exception_int_div_zero 0
	.end_amdhsa_kernel
	.section	.text._ZN7rocprim17ROCPRIM_400000_NS6detail17trampoline_kernelINS0_14default_configENS1_27scan_by_key_config_selectorIxxEEZZNS1_16scan_by_key_implILNS1_25lookback_scan_determinismE0ELb1ES3_N6thrust23THRUST_200600_302600_NS6detail15normal_iteratorINS9_10device_ptrIxEEEESE_SE_xNS9_4plusIvEENS9_8equal_toIxEExEE10hipError_tPvRmT2_T3_T4_T5_mT6_T7_P12ihipStream_tbENKUlT_T0_E_clISt17integral_constantIbLb0EESZ_EEDaSU_SV_EUlSU_E_NS1_11comp_targetILNS1_3genE2ELNS1_11target_archE906ELNS1_3gpuE6ELNS1_3repE0EEENS1_30default_config_static_selectorELNS0_4arch9wavefront6targetE0EEEvT1_,"axG",@progbits,_ZN7rocprim17ROCPRIM_400000_NS6detail17trampoline_kernelINS0_14default_configENS1_27scan_by_key_config_selectorIxxEEZZNS1_16scan_by_key_implILNS1_25lookback_scan_determinismE0ELb1ES3_N6thrust23THRUST_200600_302600_NS6detail15normal_iteratorINS9_10device_ptrIxEEEESE_SE_xNS9_4plusIvEENS9_8equal_toIxEExEE10hipError_tPvRmT2_T3_T4_T5_mT6_T7_P12ihipStream_tbENKUlT_T0_E_clISt17integral_constantIbLb0EESZ_EEDaSU_SV_EUlSU_E_NS1_11comp_targetILNS1_3genE2ELNS1_11target_archE906ELNS1_3gpuE6ELNS1_3repE0EEENS1_30default_config_static_selectorELNS0_4arch9wavefront6targetE0EEEvT1_,comdat
.Lfunc_end430:
	.size	_ZN7rocprim17ROCPRIM_400000_NS6detail17trampoline_kernelINS0_14default_configENS1_27scan_by_key_config_selectorIxxEEZZNS1_16scan_by_key_implILNS1_25lookback_scan_determinismE0ELb1ES3_N6thrust23THRUST_200600_302600_NS6detail15normal_iteratorINS9_10device_ptrIxEEEESE_SE_xNS9_4plusIvEENS9_8equal_toIxEExEE10hipError_tPvRmT2_T3_T4_T5_mT6_T7_P12ihipStream_tbENKUlT_T0_E_clISt17integral_constantIbLb0EESZ_EEDaSU_SV_EUlSU_E_NS1_11comp_targetILNS1_3genE2ELNS1_11target_archE906ELNS1_3gpuE6ELNS1_3repE0EEENS1_30default_config_static_selectorELNS0_4arch9wavefront6targetE0EEEvT1_, .Lfunc_end430-_ZN7rocprim17ROCPRIM_400000_NS6detail17trampoline_kernelINS0_14default_configENS1_27scan_by_key_config_selectorIxxEEZZNS1_16scan_by_key_implILNS1_25lookback_scan_determinismE0ELb1ES3_N6thrust23THRUST_200600_302600_NS6detail15normal_iteratorINS9_10device_ptrIxEEEESE_SE_xNS9_4plusIvEENS9_8equal_toIxEExEE10hipError_tPvRmT2_T3_T4_T5_mT6_T7_P12ihipStream_tbENKUlT_T0_E_clISt17integral_constantIbLb0EESZ_EEDaSU_SV_EUlSU_E_NS1_11comp_targetILNS1_3genE2ELNS1_11target_archE906ELNS1_3gpuE6ELNS1_3repE0EEENS1_30default_config_static_selectorELNS0_4arch9wavefront6targetE0EEEvT1_
                                        ; -- End function
	.set _ZN7rocprim17ROCPRIM_400000_NS6detail17trampoline_kernelINS0_14default_configENS1_27scan_by_key_config_selectorIxxEEZZNS1_16scan_by_key_implILNS1_25lookback_scan_determinismE0ELb1ES3_N6thrust23THRUST_200600_302600_NS6detail15normal_iteratorINS9_10device_ptrIxEEEESE_SE_xNS9_4plusIvEENS9_8equal_toIxEExEE10hipError_tPvRmT2_T3_T4_T5_mT6_T7_P12ihipStream_tbENKUlT_T0_E_clISt17integral_constantIbLb0EESZ_EEDaSU_SV_EUlSU_E_NS1_11comp_targetILNS1_3genE2ELNS1_11target_archE906ELNS1_3gpuE6ELNS1_3repE0EEENS1_30default_config_static_selectorELNS0_4arch9wavefront6targetE0EEEvT1_.num_vgpr, 0
	.set _ZN7rocprim17ROCPRIM_400000_NS6detail17trampoline_kernelINS0_14default_configENS1_27scan_by_key_config_selectorIxxEEZZNS1_16scan_by_key_implILNS1_25lookback_scan_determinismE0ELb1ES3_N6thrust23THRUST_200600_302600_NS6detail15normal_iteratorINS9_10device_ptrIxEEEESE_SE_xNS9_4plusIvEENS9_8equal_toIxEExEE10hipError_tPvRmT2_T3_T4_T5_mT6_T7_P12ihipStream_tbENKUlT_T0_E_clISt17integral_constantIbLb0EESZ_EEDaSU_SV_EUlSU_E_NS1_11comp_targetILNS1_3genE2ELNS1_11target_archE906ELNS1_3gpuE6ELNS1_3repE0EEENS1_30default_config_static_selectorELNS0_4arch9wavefront6targetE0EEEvT1_.num_agpr, 0
	.set _ZN7rocprim17ROCPRIM_400000_NS6detail17trampoline_kernelINS0_14default_configENS1_27scan_by_key_config_selectorIxxEEZZNS1_16scan_by_key_implILNS1_25lookback_scan_determinismE0ELb1ES3_N6thrust23THRUST_200600_302600_NS6detail15normal_iteratorINS9_10device_ptrIxEEEESE_SE_xNS9_4plusIvEENS9_8equal_toIxEExEE10hipError_tPvRmT2_T3_T4_T5_mT6_T7_P12ihipStream_tbENKUlT_T0_E_clISt17integral_constantIbLb0EESZ_EEDaSU_SV_EUlSU_E_NS1_11comp_targetILNS1_3genE2ELNS1_11target_archE906ELNS1_3gpuE6ELNS1_3repE0EEENS1_30default_config_static_selectorELNS0_4arch9wavefront6targetE0EEEvT1_.numbered_sgpr, 0
	.set _ZN7rocprim17ROCPRIM_400000_NS6detail17trampoline_kernelINS0_14default_configENS1_27scan_by_key_config_selectorIxxEEZZNS1_16scan_by_key_implILNS1_25lookback_scan_determinismE0ELb1ES3_N6thrust23THRUST_200600_302600_NS6detail15normal_iteratorINS9_10device_ptrIxEEEESE_SE_xNS9_4plusIvEENS9_8equal_toIxEExEE10hipError_tPvRmT2_T3_T4_T5_mT6_T7_P12ihipStream_tbENKUlT_T0_E_clISt17integral_constantIbLb0EESZ_EEDaSU_SV_EUlSU_E_NS1_11comp_targetILNS1_3genE2ELNS1_11target_archE906ELNS1_3gpuE6ELNS1_3repE0EEENS1_30default_config_static_selectorELNS0_4arch9wavefront6targetE0EEEvT1_.num_named_barrier, 0
	.set _ZN7rocprim17ROCPRIM_400000_NS6detail17trampoline_kernelINS0_14default_configENS1_27scan_by_key_config_selectorIxxEEZZNS1_16scan_by_key_implILNS1_25lookback_scan_determinismE0ELb1ES3_N6thrust23THRUST_200600_302600_NS6detail15normal_iteratorINS9_10device_ptrIxEEEESE_SE_xNS9_4plusIvEENS9_8equal_toIxEExEE10hipError_tPvRmT2_T3_T4_T5_mT6_T7_P12ihipStream_tbENKUlT_T0_E_clISt17integral_constantIbLb0EESZ_EEDaSU_SV_EUlSU_E_NS1_11comp_targetILNS1_3genE2ELNS1_11target_archE906ELNS1_3gpuE6ELNS1_3repE0EEENS1_30default_config_static_selectorELNS0_4arch9wavefront6targetE0EEEvT1_.private_seg_size, 0
	.set _ZN7rocprim17ROCPRIM_400000_NS6detail17trampoline_kernelINS0_14default_configENS1_27scan_by_key_config_selectorIxxEEZZNS1_16scan_by_key_implILNS1_25lookback_scan_determinismE0ELb1ES3_N6thrust23THRUST_200600_302600_NS6detail15normal_iteratorINS9_10device_ptrIxEEEESE_SE_xNS9_4plusIvEENS9_8equal_toIxEExEE10hipError_tPvRmT2_T3_T4_T5_mT6_T7_P12ihipStream_tbENKUlT_T0_E_clISt17integral_constantIbLb0EESZ_EEDaSU_SV_EUlSU_E_NS1_11comp_targetILNS1_3genE2ELNS1_11target_archE906ELNS1_3gpuE6ELNS1_3repE0EEENS1_30default_config_static_selectorELNS0_4arch9wavefront6targetE0EEEvT1_.uses_vcc, 0
	.set _ZN7rocprim17ROCPRIM_400000_NS6detail17trampoline_kernelINS0_14default_configENS1_27scan_by_key_config_selectorIxxEEZZNS1_16scan_by_key_implILNS1_25lookback_scan_determinismE0ELb1ES3_N6thrust23THRUST_200600_302600_NS6detail15normal_iteratorINS9_10device_ptrIxEEEESE_SE_xNS9_4plusIvEENS9_8equal_toIxEExEE10hipError_tPvRmT2_T3_T4_T5_mT6_T7_P12ihipStream_tbENKUlT_T0_E_clISt17integral_constantIbLb0EESZ_EEDaSU_SV_EUlSU_E_NS1_11comp_targetILNS1_3genE2ELNS1_11target_archE906ELNS1_3gpuE6ELNS1_3repE0EEENS1_30default_config_static_selectorELNS0_4arch9wavefront6targetE0EEEvT1_.uses_flat_scratch, 0
	.set _ZN7rocprim17ROCPRIM_400000_NS6detail17trampoline_kernelINS0_14default_configENS1_27scan_by_key_config_selectorIxxEEZZNS1_16scan_by_key_implILNS1_25lookback_scan_determinismE0ELb1ES3_N6thrust23THRUST_200600_302600_NS6detail15normal_iteratorINS9_10device_ptrIxEEEESE_SE_xNS9_4plusIvEENS9_8equal_toIxEExEE10hipError_tPvRmT2_T3_T4_T5_mT6_T7_P12ihipStream_tbENKUlT_T0_E_clISt17integral_constantIbLb0EESZ_EEDaSU_SV_EUlSU_E_NS1_11comp_targetILNS1_3genE2ELNS1_11target_archE906ELNS1_3gpuE6ELNS1_3repE0EEENS1_30default_config_static_selectorELNS0_4arch9wavefront6targetE0EEEvT1_.has_dyn_sized_stack, 0
	.set _ZN7rocprim17ROCPRIM_400000_NS6detail17trampoline_kernelINS0_14default_configENS1_27scan_by_key_config_selectorIxxEEZZNS1_16scan_by_key_implILNS1_25lookback_scan_determinismE0ELb1ES3_N6thrust23THRUST_200600_302600_NS6detail15normal_iteratorINS9_10device_ptrIxEEEESE_SE_xNS9_4plusIvEENS9_8equal_toIxEExEE10hipError_tPvRmT2_T3_T4_T5_mT6_T7_P12ihipStream_tbENKUlT_T0_E_clISt17integral_constantIbLb0EESZ_EEDaSU_SV_EUlSU_E_NS1_11comp_targetILNS1_3genE2ELNS1_11target_archE906ELNS1_3gpuE6ELNS1_3repE0EEENS1_30default_config_static_selectorELNS0_4arch9wavefront6targetE0EEEvT1_.has_recursion, 0
	.set _ZN7rocprim17ROCPRIM_400000_NS6detail17trampoline_kernelINS0_14default_configENS1_27scan_by_key_config_selectorIxxEEZZNS1_16scan_by_key_implILNS1_25lookback_scan_determinismE0ELb1ES3_N6thrust23THRUST_200600_302600_NS6detail15normal_iteratorINS9_10device_ptrIxEEEESE_SE_xNS9_4plusIvEENS9_8equal_toIxEExEE10hipError_tPvRmT2_T3_T4_T5_mT6_T7_P12ihipStream_tbENKUlT_T0_E_clISt17integral_constantIbLb0EESZ_EEDaSU_SV_EUlSU_E_NS1_11comp_targetILNS1_3genE2ELNS1_11target_archE906ELNS1_3gpuE6ELNS1_3repE0EEENS1_30default_config_static_selectorELNS0_4arch9wavefront6targetE0EEEvT1_.has_indirect_call, 0
	.section	.AMDGPU.csdata,"",@progbits
; Kernel info:
; codeLenInByte = 0
; TotalNumSgprs: 0
; NumVgprs: 0
; ScratchSize: 0
; MemoryBound: 0
; FloatMode: 240
; IeeeMode: 1
; LDSByteSize: 0 bytes/workgroup (compile time only)
; SGPRBlocks: 0
; VGPRBlocks: 0
; NumSGPRsForWavesPerEU: 1
; NumVGPRsForWavesPerEU: 1
; NamedBarCnt: 0
; Occupancy: 16
; WaveLimiterHint : 0
; COMPUTE_PGM_RSRC2:SCRATCH_EN: 0
; COMPUTE_PGM_RSRC2:USER_SGPR: 2
; COMPUTE_PGM_RSRC2:TRAP_HANDLER: 0
; COMPUTE_PGM_RSRC2:TGID_X_EN: 1
; COMPUTE_PGM_RSRC2:TGID_Y_EN: 0
; COMPUTE_PGM_RSRC2:TGID_Z_EN: 0
; COMPUTE_PGM_RSRC2:TIDIG_COMP_CNT: 0
	.section	.text._ZN7rocprim17ROCPRIM_400000_NS6detail17trampoline_kernelINS0_14default_configENS1_27scan_by_key_config_selectorIxxEEZZNS1_16scan_by_key_implILNS1_25lookback_scan_determinismE0ELb1ES3_N6thrust23THRUST_200600_302600_NS6detail15normal_iteratorINS9_10device_ptrIxEEEESE_SE_xNS9_4plusIvEENS9_8equal_toIxEExEE10hipError_tPvRmT2_T3_T4_T5_mT6_T7_P12ihipStream_tbENKUlT_T0_E_clISt17integral_constantIbLb0EESZ_EEDaSU_SV_EUlSU_E_NS1_11comp_targetILNS1_3genE10ELNS1_11target_archE1200ELNS1_3gpuE4ELNS1_3repE0EEENS1_30default_config_static_selectorELNS0_4arch9wavefront6targetE0EEEvT1_,"axG",@progbits,_ZN7rocprim17ROCPRIM_400000_NS6detail17trampoline_kernelINS0_14default_configENS1_27scan_by_key_config_selectorIxxEEZZNS1_16scan_by_key_implILNS1_25lookback_scan_determinismE0ELb1ES3_N6thrust23THRUST_200600_302600_NS6detail15normal_iteratorINS9_10device_ptrIxEEEESE_SE_xNS9_4plusIvEENS9_8equal_toIxEExEE10hipError_tPvRmT2_T3_T4_T5_mT6_T7_P12ihipStream_tbENKUlT_T0_E_clISt17integral_constantIbLb0EESZ_EEDaSU_SV_EUlSU_E_NS1_11comp_targetILNS1_3genE10ELNS1_11target_archE1200ELNS1_3gpuE4ELNS1_3repE0EEENS1_30default_config_static_selectorELNS0_4arch9wavefront6targetE0EEEvT1_,comdat
	.protected	_ZN7rocprim17ROCPRIM_400000_NS6detail17trampoline_kernelINS0_14default_configENS1_27scan_by_key_config_selectorIxxEEZZNS1_16scan_by_key_implILNS1_25lookback_scan_determinismE0ELb1ES3_N6thrust23THRUST_200600_302600_NS6detail15normal_iteratorINS9_10device_ptrIxEEEESE_SE_xNS9_4plusIvEENS9_8equal_toIxEExEE10hipError_tPvRmT2_T3_T4_T5_mT6_T7_P12ihipStream_tbENKUlT_T0_E_clISt17integral_constantIbLb0EESZ_EEDaSU_SV_EUlSU_E_NS1_11comp_targetILNS1_3genE10ELNS1_11target_archE1200ELNS1_3gpuE4ELNS1_3repE0EEENS1_30default_config_static_selectorELNS0_4arch9wavefront6targetE0EEEvT1_ ; -- Begin function _ZN7rocprim17ROCPRIM_400000_NS6detail17trampoline_kernelINS0_14default_configENS1_27scan_by_key_config_selectorIxxEEZZNS1_16scan_by_key_implILNS1_25lookback_scan_determinismE0ELb1ES3_N6thrust23THRUST_200600_302600_NS6detail15normal_iteratorINS9_10device_ptrIxEEEESE_SE_xNS9_4plusIvEENS9_8equal_toIxEExEE10hipError_tPvRmT2_T3_T4_T5_mT6_T7_P12ihipStream_tbENKUlT_T0_E_clISt17integral_constantIbLb0EESZ_EEDaSU_SV_EUlSU_E_NS1_11comp_targetILNS1_3genE10ELNS1_11target_archE1200ELNS1_3gpuE4ELNS1_3repE0EEENS1_30default_config_static_selectorELNS0_4arch9wavefront6targetE0EEEvT1_
	.globl	_ZN7rocprim17ROCPRIM_400000_NS6detail17trampoline_kernelINS0_14default_configENS1_27scan_by_key_config_selectorIxxEEZZNS1_16scan_by_key_implILNS1_25lookback_scan_determinismE0ELb1ES3_N6thrust23THRUST_200600_302600_NS6detail15normal_iteratorINS9_10device_ptrIxEEEESE_SE_xNS9_4plusIvEENS9_8equal_toIxEExEE10hipError_tPvRmT2_T3_T4_T5_mT6_T7_P12ihipStream_tbENKUlT_T0_E_clISt17integral_constantIbLb0EESZ_EEDaSU_SV_EUlSU_E_NS1_11comp_targetILNS1_3genE10ELNS1_11target_archE1200ELNS1_3gpuE4ELNS1_3repE0EEENS1_30default_config_static_selectorELNS0_4arch9wavefront6targetE0EEEvT1_
	.p2align	8
	.type	_ZN7rocprim17ROCPRIM_400000_NS6detail17trampoline_kernelINS0_14default_configENS1_27scan_by_key_config_selectorIxxEEZZNS1_16scan_by_key_implILNS1_25lookback_scan_determinismE0ELb1ES3_N6thrust23THRUST_200600_302600_NS6detail15normal_iteratorINS9_10device_ptrIxEEEESE_SE_xNS9_4plusIvEENS9_8equal_toIxEExEE10hipError_tPvRmT2_T3_T4_T5_mT6_T7_P12ihipStream_tbENKUlT_T0_E_clISt17integral_constantIbLb0EESZ_EEDaSU_SV_EUlSU_E_NS1_11comp_targetILNS1_3genE10ELNS1_11target_archE1200ELNS1_3gpuE4ELNS1_3repE0EEENS1_30default_config_static_selectorELNS0_4arch9wavefront6targetE0EEEvT1_,@function
_ZN7rocprim17ROCPRIM_400000_NS6detail17trampoline_kernelINS0_14default_configENS1_27scan_by_key_config_selectorIxxEEZZNS1_16scan_by_key_implILNS1_25lookback_scan_determinismE0ELb1ES3_N6thrust23THRUST_200600_302600_NS6detail15normal_iteratorINS9_10device_ptrIxEEEESE_SE_xNS9_4plusIvEENS9_8equal_toIxEExEE10hipError_tPvRmT2_T3_T4_T5_mT6_T7_P12ihipStream_tbENKUlT_T0_E_clISt17integral_constantIbLb0EESZ_EEDaSU_SV_EUlSU_E_NS1_11comp_targetILNS1_3genE10ELNS1_11target_archE1200ELNS1_3gpuE4ELNS1_3repE0EEENS1_30default_config_static_selectorELNS0_4arch9wavefront6targetE0EEEvT1_: ; @_ZN7rocprim17ROCPRIM_400000_NS6detail17trampoline_kernelINS0_14default_configENS1_27scan_by_key_config_selectorIxxEEZZNS1_16scan_by_key_implILNS1_25lookback_scan_determinismE0ELb1ES3_N6thrust23THRUST_200600_302600_NS6detail15normal_iteratorINS9_10device_ptrIxEEEESE_SE_xNS9_4plusIvEENS9_8equal_toIxEExEE10hipError_tPvRmT2_T3_T4_T5_mT6_T7_P12ihipStream_tbENKUlT_T0_E_clISt17integral_constantIbLb0EESZ_EEDaSU_SV_EUlSU_E_NS1_11comp_targetILNS1_3genE10ELNS1_11target_archE1200ELNS1_3gpuE4ELNS1_3repE0EEENS1_30default_config_static_selectorELNS0_4arch9wavefront6targetE0EEEvT1_
; %bb.0:
	.section	.rodata,"a",@progbits
	.p2align	6, 0x0
	.amdhsa_kernel _ZN7rocprim17ROCPRIM_400000_NS6detail17trampoline_kernelINS0_14default_configENS1_27scan_by_key_config_selectorIxxEEZZNS1_16scan_by_key_implILNS1_25lookback_scan_determinismE0ELb1ES3_N6thrust23THRUST_200600_302600_NS6detail15normal_iteratorINS9_10device_ptrIxEEEESE_SE_xNS9_4plusIvEENS9_8equal_toIxEExEE10hipError_tPvRmT2_T3_T4_T5_mT6_T7_P12ihipStream_tbENKUlT_T0_E_clISt17integral_constantIbLb0EESZ_EEDaSU_SV_EUlSU_E_NS1_11comp_targetILNS1_3genE10ELNS1_11target_archE1200ELNS1_3gpuE4ELNS1_3repE0EEENS1_30default_config_static_selectorELNS0_4arch9wavefront6targetE0EEEvT1_
		.amdhsa_group_segment_fixed_size 0
		.amdhsa_private_segment_fixed_size 0
		.amdhsa_kernarg_size 136
		.amdhsa_user_sgpr_count 2
		.amdhsa_user_sgpr_dispatch_ptr 0
		.amdhsa_user_sgpr_queue_ptr 0
		.amdhsa_user_sgpr_kernarg_segment_ptr 1
		.amdhsa_user_sgpr_dispatch_id 0
		.amdhsa_user_sgpr_kernarg_preload_length 0
		.amdhsa_user_sgpr_kernarg_preload_offset 0
		.amdhsa_user_sgpr_private_segment_size 0
		.amdhsa_wavefront_size32 1
		.amdhsa_uses_dynamic_stack 0
		.amdhsa_enable_private_segment 0
		.amdhsa_system_sgpr_workgroup_id_x 1
		.amdhsa_system_sgpr_workgroup_id_y 0
		.amdhsa_system_sgpr_workgroup_id_z 0
		.amdhsa_system_sgpr_workgroup_info 0
		.amdhsa_system_vgpr_workitem_id 0
		.amdhsa_next_free_vgpr 1
		.amdhsa_next_free_sgpr 1
		.amdhsa_named_barrier_count 0
		.amdhsa_reserve_vcc 0
		.amdhsa_float_round_mode_32 0
		.amdhsa_float_round_mode_16_64 0
		.amdhsa_float_denorm_mode_32 3
		.amdhsa_float_denorm_mode_16_64 3
		.amdhsa_fp16_overflow 0
		.amdhsa_memory_ordered 1
		.amdhsa_forward_progress 1
		.amdhsa_inst_pref_size 0
		.amdhsa_round_robin_scheduling 0
		.amdhsa_exception_fp_ieee_invalid_op 0
		.amdhsa_exception_fp_denorm_src 0
		.amdhsa_exception_fp_ieee_div_zero 0
		.amdhsa_exception_fp_ieee_overflow 0
		.amdhsa_exception_fp_ieee_underflow 0
		.amdhsa_exception_fp_ieee_inexact 0
		.amdhsa_exception_int_div_zero 0
	.end_amdhsa_kernel
	.section	.text._ZN7rocprim17ROCPRIM_400000_NS6detail17trampoline_kernelINS0_14default_configENS1_27scan_by_key_config_selectorIxxEEZZNS1_16scan_by_key_implILNS1_25lookback_scan_determinismE0ELb1ES3_N6thrust23THRUST_200600_302600_NS6detail15normal_iteratorINS9_10device_ptrIxEEEESE_SE_xNS9_4plusIvEENS9_8equal_toIxEExEE10hipError_tPvRmT2_T3_T4_T5_mT6_T7_P12ihipStream_tbENKUlT_T0_E_clISt17integral_constantIbLb0EESZ_EEDaSU_SV_EUlSU_E_NS1_11comp_targetILNS1_3genE10ELNS1_11target_archE1200ELNS1_3gpuE4ELNS1_3repE0EEENS1_30default_config_static_selectorELNS0_4arch9wavefront6targetE0EEEvT1_,"axG",@progbits,_ZN7rocprim17ROCPRIM_400000_NS6detail17trampoline_kernelINS0_14default_configENS1_27scan_by_key_config_selectorIxxEEZZNS1_16scan_by_key_implILNS1_25lookback_scan_determinismE0ELb1ES3_N6thrust23THRUST_200600_302600_NS6detail15normal_iteratorINS9_10device_ptrIxEEEESE_SE_xNS9_4plusIvEENS9_8equal_toIxEExEE10hipError_tPvRmT2_T3_T4_T5_mT6_T7_P12ihipStream_tbENKUlT_T0_E_clISt17integral_constantIbLb0EESZ_EEDaSU_SV_EUlSU_E_NS1_11comp_targetILNS1_3genE10ELNS1_11target_archE1200ELNS1_3gpuE4ELNS1_3repE0EEENS1_30default_config_static_selectorELNS0_4arch9wavefront6targetE0EEEvT1_,comdat
.Lfunc_end431:
	.size	_ZN7rocprim17ROCPRIM_400000_NS6detail17trampoline_kernelINS0_14default_configENS1_27scan_by_key_config_selectorIxxEEZZNS1_16scan_by_key_implILNS1_25lookback_scan_determinismE0ELb1ES3_N6thrust23THRUST_200600_302600_NS6detail15normal_iteratorINS9_10device_ptrIxEEEESE_SE_xNS9_4plusIvEENS9_8equal_toIxEExEE10hipError_tPvRmT2_T3_T4_T5_mT6_T7_P12ihipStream_tbENKUlT_T0_E_clISt17integral_constantIbLb0EESZ_EEDaSU_SV_EUlSU_E_NS1_11comp_targetILNS1_3genE10ELNS1_11target_archE1200ELNS1_3gpuE4ELNS1_3repE0EEENS1_30default_config_static_selectorELNS0_4arch9wavefront6targetE0EEEvT1_, .Lfunc_end431-_ZN7rocprim17ROCPRIM_400000_NS6detail17trampoline_kernelINS0_14default_configENS1_27scan_by_key_config_selectorIxxEEZZNS1_16scan_by_key_implILNS1_25lookback_scan_determinismE0ELb1ES3_N6thrust23THRUST_200600_302600_NS6detail15normal_iteratorINS9_10device_ptrIxEEEESE_SE_xNS9_4plusIvEENS9_8equal_toIxEExEE10hipError_tPvRmT2_T3_T4_T5_mT6_T7_P12ihipStream_tbENKUlT_T0_E_clISt17integral_constantIbLb0EESZ_EEDaSU_SV_EUlSU_E_NS1_11comp_targetILNS1_3genE10ELNS1_11target_archE1200ELNS1_3gpuE4ELNS1_3repE0EEENS1_30default_config_static_selectorELNS0_4arch9wavefront6targetE0EEEvT1_
                                        ; -- End function
	.set _ZN7rocprim17ROCPRIM_400000_NS6detail17trampoline_kernelINS0_14default_configENS1_27scan_by_key_config_selectorIxxEEZZNS1_16scan_by_key_implILNS1_25lookback_scan_determinismE0ELb1ES3_N6thrust23THRUST_200600_302600_NS6detail15normal_iteratorINS9_10device_ptrIxEEEESE_SE_xNS9_4plusIvEENS9_8equal_toIxEExEE10hipError_tPvRmT2_T3_T4_T5_mT6_T7_P12ihipStream_tbENKUlT_T0_E_clISt17integral_constantIbLb0EESZ_EEDaSU_SV_EUlSU_E_NS1_11comp_targetILNS1_3genE10ELNS1_11target_archE1200ELNS1_3gpuE4ELNS1_3repE0EEENS1_30default_config_static_selectorELNS0_4arch9wavefront6targetE0EEEvT1_.num_vgpr, 0
	.set _ZN7rocprim17ROCPRIM_400000_NS6detail17trampoline_kernelINS0_14default_configENS1_27scan_by_key_config_selectorIxxEEZZNS1_16scan_by_key_implILNS1_25lookback_scan_determinismE0ELb1ES3_N6thrust23THRUST_200600_302600_NS6detail15normal_iteratorINS9_10device_ptrIxEEEESE_SE_xNS9_4plusIvEENS9_8equal_toIxEExEE10hipError_tPvRmT2_T3_T4_T5_mT6_T7_P12ihipStream_tbENKUlT_T0_E_clISt17integral_constantIbLb0EESZ_EEDaSU_SV_EUlSU_E_NS1_11comp_targetILNS1_3genE10ELNS1_11target_archE1200ELNS1_3gpuE4ELNS1_3repE0EEENS1_30default_config_static_selectorELNS0_4arch9wavefront6targetE0EEEvT1_.num_agpr, 0
	.set _ZN7rocprim17ROCPRIM_400000_NS6detail17trampoline_kernelINS0_14default_configENS1_27scan_by_key_config_selectorIxxEEZZNS1_16scan_by_key_implILNS1_25lookback_scan_determinismE0ELb1ES3_N6thrust23THRUST_200600_302600_NS6detail15normal_iteratorINS9_10device_ptrIxEEEESE_SE_xNS9_4plusIvEENS9_8equal_toIxEExEE10hipError_tPvRmT2_T3_T4_T5_mT6_T7_P12ihipStream_tbENKUlT_T0_E_clISt17integral_constantIbLb0EESZ_EEDaSU_SV_EUlSU_E_NS1_11comp_targetILNS1_3genE10ELNS1_11target_archE1200ELNS1_3gpuE4ELNS1_3repE0EEENS1_30default_config_static_selectorELNS0_4arch9wavefront6targetE0EEEvT1_.numbered_sgpr, 0
	.set _ZN7rocprim17ROCPRIM_400000_NS6detail17trampoline_kernelINS0_14default_configENS1_27scan_by_key_config_selectorIxxEEZZNS1_16scan_by_key_implILNS1_25lookback_scan_determinismE0ELb1ES3_N6thrust23THRUST_200600_302600_NS6detail15normal_iteratorINS9_10device_ptrIxEEEESE_SE_xNS9_4plusIvEENS9_8equal_toIxEExEE10hipError_tPvRmT2_T3_T4_T5_mT6_T7_P12ihipStream_tbENKUlT_T0_E_clISt17integral_constantIbLb0EESZ_EEDaSU_SV_EUlSU_E_NS1_11comp_targetILNS1_3genE10ELNS1_11target_archE1200ELNS1_3gpuE4ELNS1_3repE0EEENS1_30default_config_static_selectorELNS0_4arch9wavefront6targetE0EEEvT1_.num_named_barrier, 0
	.set _ZN7rocprim17ROCPRIM_400000_NS6detail17trampoline_kernelINS0_14default_configENS1_27scan_by_key_config_selectorIxxEEZZNS1_16scan_by_key_implILNS1_25lookback_scan_determinismE0ELb1ES3_N6thrust23THRUST_200600_302600_NS6detail15normal_iteratorINS9_10device_ptrIxEEEESE_SE_xNS9_4plusIvEENS9_8equal_toIxEExEE10hipError_tPvRmT2_T3_T4_T5_mT6_T7_P12ihipStream_tbENKUlT_T0_E_clISt17integral_constantIbLb0EESZ_EEDaSU_SV_EUlSU_E_NS1_11comp_targetILNS1_3genE10ELNS1_11target_archE1200ELNS1_3gpuE4ELNS1_3repE0EEENS1_30default_config_static_selectorELNS0_4arch9wavefront6targetE0EEEvT1_.private_seg_size, 0
	.set _ZN7rocprim17ROCPRIM_400000_NS6detail17trampoline_kernelINS0_14default_configENS1_27scan_by_key_config_selectorIxxEEZZNS1_16scan_by_key_implILNS1_25lookback_scan_determinismE0ELb1ES3_N6thrust23THRUST_200600_302600_NS6detail15normal_iteratorINS9_10device_ptrIxEEEESE_SE_xNS9_4plusIvEENS9_8equal_toIxEExEE10hipError_tPvRmT2_T3_T4_T5_mT6_T7_P12ihipStream_tbENKUlT_T0_E_clISt17integral_constantIbLb0EESZ_EEDaSU_SV_EUlSU_E_NS1_11comp_targetILNS1_3genE10ELNS1_11target_archE1200ELNS1_3gpuE4ELNS1_3repE0EEENS1_30default_config_static_selectorELNS0_4arch9wavefront6targetE0EEEvT1_.uses_vcc, 0
	.set _ZN7rocprim17ROCPRIM_400000_NS6detail17trampoline_kernelINS0_14default_configENS1_27scan_by_key_config_selectorIxxEEZZNS1_16scan_by_key_implILNS1_25lookback_scan_determinismE0ELb1ES3_N6thrust23THRUST_200600_302600_NS6detail15normal_iteratorINS9_10device_ptrIxEEEESE_SE_xNS9_4plusIvEENS9_8equal_toIxEExEE10hipError_tPvRmT2_T3_T4_T5_mT6_T7_P12ihipStream_tbENKUlT_T0_E_clISt17integral_constantIbLb0EESZ_EEDaSU_SV_EUlSU_E_NS1_11comp_targetILNS1_3genE10ELNS1_11target_archE1200ELNS1_3gpuE4ELNS1_3repE0EEENS1_30default_config_static_selectorELNS0_4arch9wavefront6targetE0EEEvT1_.uses_flat_scratch, 0
	.set _ZN7rocprim17ROCPRIM_400000_NS6detail17trampoline_kernelINS0_14default_configENS1_27scan_by_key_config_selectorIxxEEZZNS1_16scan_by_key_implILNS1_25lookback_scan_determinismE0ELb1ES3_N6thrust23THRUST_200600_302600_NS6detail15normal_iteratorINS9_10device_ptrIxEEEESE_SE_xNS9_4plusIvEENS9_8equal_toIxEExEE10hipError_tPvRmT2_T3_T4_T5_mT6_T7_P12ihipStream_tbENKUlT_T0_E_clISt17integral_constantIbLb0EESZ_EEDaSU_SV_EUlSU_E_NS1_11comp_targetILNS1_3genE10ELNS1_11target_archE1200ELNS1_3gpuE4ELNS1_3repE0EEENS1_30default_config_static_selectorELNS0_4arch9wavefront6targetE0EEEvT1_.has_dyn_sized_stack, 0
	.set _ZN7rocprim17ROCPRIM_400000_NS6detail17trampoline_kernelINS0_14default_configENS1_27scan_by_key_config_selectorIxxEEZZNS1_16scan_by_key_implILNS1_25lookback_scan_determinismE0ELb1ES3_N6thrust23THRUST_200600_302600_NS6detail15normal_iteratorINS9_10device_ptrIxEEEESE_SE_xNS9_4plusIvEENS9_8equal_toIxEExEE10hipError_tPvRmT2_T3_T4_T5_mT6_T7_P12ihipStream_tbENKUlT_T0_E_clISt17integral_constantIbLb0EESZ_EEDaSU_SV_EUlSU_E_NS1_11comp_targetILNS1_3genE10ELNS1_11target_archE1200ELNS1_3gpuE4ELNS1_3repE0EEENS1_30default_config_static_selectorELNS0_4arch9wavefront6targetE0EEEvT1_.has_recursion, 0
	.set _ZN7rocprim17ROCPRIM_400000_NS6detail17trampoline_kernelINS0_14default_configENS1_27scan_by_key_config_selectorIxxEEZZNS1_16scan_by_key_implILNS1_25lookback_scan_determinismE0ELb1ES3_N6thrust23THRUST_200600_302600_NS6detail15normal_iteratorINS9_10device_ptrIxEEEESE_SE_xNS9_4plusIvEENS9_8equal_toIxEExEE10hipError_tPvRmT2_T3_T4_T5_mT6_T7_P12ihipStream_tbENKUlT_T0_E_clISt17integral_constantIbLb0EESZ_EEDaSU_SV_EUlSU_E_NS1_11comp_targetILNS1_3genE10ELNS1_11target_archE1200ELNS1_3gpuE4ELNS1_3repE0EEENS1_30default_config_static_selectorELNS0_4arch9wavefront6targetE0EEEvT1_.has_indirect_call, 0
	.section	.AMDGPU.csdata,"",@progbits
; Kernel info:
; codeLenInByte = 0
; TotalNumSgprs: 0
; NumVgprs: 0
; ScratchSize: 0
; MemoryBound: 0
; FloatMode: 240
; IeeeMode: 1
; LDSByteSize: 0 bytes/workgroup (compile time only)
; SGPRBlocks: 0
; VGPRBlocks: 0
; NumSGPRsForWavesPerEU: 1
; NumVGPRsForWavesPerEU: 1
; NamedBarCnt: 0
; Occupancy: 16
; WaveLimiterHint : 0
; COMPUTE_PGM_RSRC2:SCRATCH_EN: 0
; COMPUTE_PGM_RSRC2:USER_SGPR: 2
; COMPUTE_PGM_RSRC2:TRAP_HANDLER: 0
; COMPUTE_PGM_RSRC2:TGID_X_EN: 1
; COMPUTE_PGM_RSRC2:TGID_Y_EN: 0
; COMPUTE_PGM_RSRC2:TGID_Z_EN: 0
; COMPUTE_PGM_RSRC2:TIDIG_COMP_CNT: 0
	.section	.text._ZN7rocprim17ROCPRIM_400000_NS6detail17trampoline_kernelINS0_14default_configENS1_27scan_by_key_config_selectorIxxEEZZNS1_16scan_by_key_implILNS1_25lookback_scan_determinismE0ELb1ES3_N6thrust23THRUST_200600_302600_NS6detail15normal_iteratorINS9_10device_ptrIxEEEESE_SE_xNS9_4plusIvEENS9_8equal_toIxEExEE10hipError_tPvRmT2_T3_T4_T5_mT6_T7_P12ihipStream_tbENKUlT_T0_E_clISt17integral_constantIbLb0EESZ_EEDaSU_SV_EUlSU_E_NS1_11comp_targetILNS1_3genE9ELNS1_11target_archE1100ELNS1_3gpuE3ELNS1_3repE0EEENS1_30default_config_static_selectorELNS0_4arch9wavefront6targetE0EEEvT1_,"axG",@progbits,_ZN7rocprim17ROCPRIM_400000_NS6detail17trampoline_kernelINS0_14default_configENS1_27scan_by_key_config_selectorIxxEEZZNS1_16scan_by_key_implILNS1_25lookback_scan_determinismE0ELb1ES3_N6thrust23THRUST_200600_302600_NS6detail15normal_iteratorINS9_10device_ptrIxEEEESE_SE_xNS9_4plusIvEENS9_8equal_toIxEExEE10hipError_tPvRmT2_T3_T4_T5_mT6_T7_P12ihipStream_tbENKUlT_T0_E_clISt17integral_constantIbLb0EESZ_EEDaSU_SV_EUlSU_E_NS1_11comp_targetILNS1_3genE9ELNS1_11target_archE1100ELNS1_3gpuE3ELNS1_3repE0EEENS1_30default_config_static_selectorELNS0_4arch9wavefront6targetE0EEEvT1_,comdat
	.protected	_ZN7rocprim17ROCPRIM_400000_NS6detail17trampoline_kernelINS0_14default_configENS1_27scan_by_key_config_selectorIxxEEZZNS1_16scan_by_key_implILNS1_25lookback_scan_determinismE0ELb1ES3_N6thrust23THRUST_200600_302600_NS6detail15normal_iteratorINS9_10device_ptrIxEEEESE_SE_xNS9_4plusIvEENS9_8equal_toIxEExEE10hipError_tPvRmT2_T3_T4_T5_mT6_T7_P12ihipStream_tbENKUlT_T0_E_clISt17integral_constantIbLb0EESZ_EEDaSU_SV_EUlSU_E_NS1_11comp_targetILNS1_3genE9ELNS1_11target_archE1100ELNS1_3gpuE3ELNS1_3repE0EEENS1_30default_config_static_selectorELNS0_4arch9wavefront6targetE0EEEvT1_ ; -- Begin function _ZN7rocprim17ROCPRIM_400000_NS6detail17trampoline_kernelINS0_14default_configENS1_27scan_by_key_config_selectorIxxEEZZNS1_16scan_by_key_implILNS1_25lookback_scan_determinismE0ELb1ES3_N6thrust23THRUST_200600_302600_NS6detail15normal_iteratorINS9_10device_ptrIxEEEESE_SE_xNS9_4plusIvEENS9_8equal_toIxEExEE10hipError_tPvRmT2_T3_T4_T5_mT6_T7_P12ihipStream_tbENKUlT_T0_E_clISt17integral_constantIbLb0EESZ_EEDaSU_SV_EUlSU_E_NS1_11comp_targetILNS1_3genE9ELNS1_11target_archE1100ELNS1_3gpuE3ELNS1_3repE0EEENS1_30default_config_static_selectorELNS0_4arch9wavefront6targetE0EEEvT1_
	.globl	_ZN7rocprim17ROCPRIM_400000_NS6detail17trampoline_kernelINS0_14default_configENS1_27scan_by_key_config_selectorIxxEEZZNS1_16scan_by_key_implILNS1_25lookback_scan_determinismE0ELb1ES3_N6thrust23THRUST_200600_302600_NS6detail15normal_iteratorINS9_10device_ptrIxEEEESE_SE_xNS9_4plusIvEENS9_8equal_toIxEExEE10hipError_tPvRmT2_T3_T4_T5_mT6_T7_P12ihipStream_tbENKUlT_T0_E_clISt17integral_constantIbLb0EESZ_EEDaSU_SV_EUlSU_E_NS1_11comp_targetILNS1_3genE9ELNS1_11target_archE1100ELNS1_3gpuE3ELNS1_3repE0EEENS1_30default_config_static_selectorELNS0_4arch9wavefront6targetE0EEEvT1_
	.p2align	8
	.type	_ZN7rocprim17ROCPRIM_400000_NS6detail17trampoline_kernelINS0_14default_configENS1_27scan_by_key_config_selectorIxxEEZZNS1_16scan_by_key_implILNS1_25lookback_scan_determinismE0ELb1ES3_N6thrust23THRUST_200600_302600_NS6detail15normal_iteratorINS9_10device_ptrIxEEEESE_SE_xNS9_4plusIvEENS9_8equal_toIxEExEE10hipError_tPvRmT2_T3_T4_T5_mT6_T7_P12ihipStream_tbENKUlT_T0_E_clISt17integral_constantIbLb0EESZ_EEDaSU_SV_EUlSU_E_NS1_11comp_targetILNS1_3genE9ELNS1_11target_archE1100ELNS1_3gpuE3ELNS1_3repE0EEENS1_30default_config_static_selectorELNS0_4arch9wavefront6targetE0EEEvT1_,@function
_ZN7rocprim17ROCPRIM_400000_NS6detail17trampoline_kernelINS0_14default_configENS1_27scan_by_key_config_selectorIxxEEZZNS1_16scan_by_key_implILNS1_25lookback_scan_determinismE0ELb1ES3_N6thrust23THRUST_200600_302600_NS6detail15normal_iteratorINS9_10device_ptrIxEEEESE_SE_xNS9_4plusIvEENS9_8equal_toIxEExEE10hipError_tPvRmT2_T3_T4_T5_mT6_T7_P12ihipStream_tbENKUlT_T0_E_clISt17integral_constantIbLb0EESZ_EEDaSU_SV_EUlSU_E_NS1_11comp_targetILNS1_3genE9ELNS1_11target_archE1100ELNS1_3gpuE3ELNS1_3repE0EEENS1_30default_config_static_selectorELNS0_4arch9wavefront6targetE0EEEvT1_: ; @_ZN7rocprim17ROCPRIM_400000_NS6detail17trampoline_kernelINS0_14default_configENS1_27scan_by_key_config_selectorIxxEEZZNS1_16scan_by_key_implILNS1_25lookback_scan_determinismE0ELb1ES3_N6thrust23THRUST_200600_302600_NS6detail15normal_iteratorINS9_10device_ptrIxEEEESE_SE_xNS9_4plusIvEENS9_8equal_toIxEExEE10hipError_tPvRmT2_T3_T4_T5_mT6_T7_P12ihipStream_tbENKUlT_T0_E_clISt17integral_constantIbLb0EESZ_EEDaSU_SV_EUlSU_E_NS1_11comp_targetILNS1_3genE9ELNS1_11target_archE1100ELNS1_3gpuE3ELNS1_3repE0EEENS1_30default_config_static_selectorELNS0_4arch9wavefront6targetE0EEEvT1_
; %bb.0:
	.section	.rodata,"a",@progbits
	.p2align	6, 0x0
	.amdhsa_kernel _ZN7rocprim17ROCPRIM_400000_NS6detail17trampoline_kernelINS0_14default_configENS1_27scan_by_key_config_selectorIxxEEZZNS1_16scan_by_key_implILNS1_25lookback_scan_determinismE0ELb1ES3_N6thrust23THRUST_200600_302600_NS6detail15normal_iteratorINS9_10device_ptrIxEEEESE_SE_xNS9_4plusIvEENS9_8equal_toIxEExEE10hipError_tPvRmT2_T3_T4_T5_mT6_T7_P12ihipStream_tbENKUlT_T0_E_clISt17integral_constantIbLb0EESZ_EEDaSU_SV_EUlSU_E_NS1_11comp_targetILNS1_3genE9ELNS1_11target_archE1100ELNS1_3gpuE3ELNS1_3repE0EEENS1_30default_config_static_selectorELNS0_4arch9wavefront6targetE0EEEvT1_
		.amdhsa_group_segment_fixed_size 0
		.amdhsa_private_segment_fixed_size 0
		.amdhsa_kernarg_size 136
		.amdhsa_user_sgpr_count 2
		.amdhsa_user_sgpr_dispatch_ptr 0
		.amdhsa_user_sgpr_queue_ptr 0
		.amdhsa_user_sgpr_kernarg_segment_ptr 1
		.amdhsa_user_sgpr_dispatch_id 0
		.amdhsa_user_sgpr_kernarg_preload_length 0
		.amdhsa_user_sgpr_kernarg_preload_offset 0
		.amdhsa_user_sgpr_private_segment_size 0
		.amdhsa_wavefront_size32 1
		.amdhsa_uses_dynamic_stack 0
		.amdhsa_enable_private_segment 0
		.amdhsa_system_sgpr_workgroup_id_x 1
		.amdhsa_system_sgpr_workgroup_id_y 0
		.amdhsa_system_sgpr_workgroup_id_z 0
		.amdhsa_system_sgpr_workgroup_info 0
		.amdhsa_system_vgpr_workitem_id 0
		.amdhsa_next_free_vgpr 1
		.amdhsa_next_free_sgpr 1
		.amdhsa_named_barrier_count 0
		.amdhsa_reserve_vcc 0
		.amdhsa_float_round_mode_32 0
		.amdhsa_float_round_mode_16_64 0
		.amdhsa_float_denorm_mode_32 3
		.amdhsa_float_denorm_mode_16_64 3
		.amdhsa_fp16_overflow 0
		.amdhsa_memory_ordered 1
		.amdhsa_forward_progress 1
		.amdhsa_inst_pref_size 0
		.amdhsa_round_robin_scheduling 0
		.amdhsa_exception_fp_ieee_invalid_op 0
		.amdhsa_exception_fp_denorm_src 0
		.amdhsa_exception_fp_ieee_div_zero 0
		.amdhsa_exception_fp_ieee_overflow 0
		.amdhsa_exception_fp_ieee_underflow 0
		.amdhsa_exception_fp_ieee_inexact 0
		.amdhsa_exception_int_div_zero 0
	.end_amdhsa_kernel
	.section	.text._ZN7rocprim17ROCPRIM_400000_NS6detail17trampoline_kernelINS0_14default_configENS1_27scan_by_key_config_selectorIxxEEZZNS1_16scan_by_key_implILNS1_25lookback_scan_determinismE0ELb1ES3_N6thrust23THRUST_200600_302600_NS6detail15normal_iteratorINS9_10device_ptrIxEEEESE_SE_xNS9_4plusIvEENS9_8equal_toIxEExEE10hipError_tPvRmT2_T3_T4_T5_mT6_T7_P12ihipStream_tbENKUlT_T0_E_clISt17integral_constantIbLb0EESZ_EEDaSU_SV_EUlSU_E_NS1_11comp_targetILNS1_3genE9ELNS1_11target_archE1100ELNS1_3gpuE3ELNS1_3repE0EEENS1_30default_config_static_selectorELNS0_4arch9wavefront6targetE0EEEvT1_,"axG",@progbits,_ZN7rocprim17ROCPRIM_400000_NS6detail17trampoline_kernelINS0_14default_configENS1_27scan_by_key_config_selectorIxxEEZZNS1_16scan_by_key_implILNS1_25lookback_scan_determinismE0ELb1ES3_N6thrust23THRUST_200600_302600_NS6detail15normal_iteratorINS9_10device_ptrIxEEEESE_SE_xNS9_4plusIvEENS9_8equal_toIxEExEE10hipError_tPvRmT2_T3_T4_T5_mT6_T7_P12ihipStream_tbENKUlT_T0_E_clISt17integral_constantIbLb0EESZ_EEDaSU_SV_EUlSU_E_NS1_11comp_targetILNS1_3genE9ELNS1_11target_archE1100ELNS1_3gpuE3ELNS1_3repE0EEENS1_30default_config_static_selectorELNS0_4arch9wavefront6targetE0EEEvT1_,comdat
.Lfunc_end432:
	.size	_ZN7rocprim17ROCPRIM_400000_NS6detail17trampoline_kernelINS0_14default_configENS1_27scan_by_key_config_selectorIxxEEZZNS1_16scan_by_key_implILNS1_25lookback_scan_determinismE0ELb1ES3_N6thrust23THRUST_200600_302600_NS6detail15normal_iteratorINS9_10device_ptrIxEEEESE_SE_xNS9_4plusIvEENS9_8equal_toIxEExEE10hipError_tPvRmT2_T3_T4_T5_mT6_T7_P12ihipStream_tbENKUlT_T0_E_clISt17integral_constantIbLb0EESZ_EEDaSU_SV_EUlSU_E_NS1_11comp_targetILNS1_3genE9ELNS1_11target_archE1100ELNS1_3gpuE3ELNS1_3repE0EEENS1_30default_config_static_selectorELNS0_4arch9wavefront6targetE0EEEvT1_, .Lfunc_end432-_ZN7rocprim17ROCPRIM_400000_NS6detail17trampoline_kernelINS0_14default_configENS1_27scan_by_key_config_selectorIxxEEZZNS1_16scan_by_key_implILNS1_25lookback_scan_determinismE0ELb1ES3_N6thrust23THRUST_200600_302600_NS6detail15normal_iteratorINS9_10device_ptrIxEEEESE_SE_xNS9_4plusIvEENS9_8equal_toIxEExEE10hipError_tPvRmT2_T3_T4_T5_mT6_T7_P12ihipStream_tbENKUlT_T0_E_clISt17integral_constantIbLb0EESZ_EEDaSU_SV_EUlSU_E_NS1_11comp_targetILNS1_3genE9ELNS1_11target_archE1100ELNS1_3gpuE3ELNS1_3repE0EEENS1_30default_config_static_selectorELNS0_4arch9wavefront6targetE0EEEvT1_
                                        ; -- End function
	.set _ZN7rocprim17ROCPRIM_400000_NS6detail17trampoline_kernelINS0_14default_configENS1_27scan_by_key_config_selectorIxxEEZZNS1_16scan_by_key_implILNS1_25lookback_scan_determinismE0ELb1ES3_N6thrust23THRUST_200600_302600_NS6detail15normal_iteratorINS9_10device_ptrIxEEEESE_SE_xNS9_4plusIvEENS9_8equal_toIxEExEE10hipError_tPvRmT2_T3_T4_T5_mT6_T7_P12ihipStream_tbENKUlT_T0_E_clISt17integral_constantIbLb0EESZ_EEDaSU_SV_EUlSU_E_NS1_11comp_targetILNS1_3genE9ELNS1_11target_archE1100ELNS1_3gpuE3ELNS1_3repE0EEENS1_30default_config_static_selectorELNS0_4arch9wavefront6targetE0EEEvT1_.num_vgpr, 0
	.set _ZN7rocprim17ROCPRIM_400000_NS6detail17trampoline_kernelINS0_14default_configENS1_27scan_by_key_config_selectorIxxEEZZNS1_16scan_by_key_implILNS1_25lookback_scan_determinismE0ELb1ES3_N6thrust23THRUST_200600_302600_NS6detail15normal_iteratorINS9_10device_ptrIxEEEESE_SE_xNS9_4plusIvEENS9_8equal_toIxEExEE10hipError_tPvRmT2_T3_T4_T5_mT6_T7_P12ihipStream_tbENKUlT_T0_E_clISt17integral_constantIbLb0EESZ_EEDaSU_SV_EUlSU_E_NS1_11comp_targetILNS1_3genE9ELNS1_11target_archE1100ELNS1_3gpuE3ELNS1_3repE0EEENS1_30default_config_static_selectorELNS0_4arch9wavefront6targetE0EEEvT1_.num_agpr, 0
	.set _ZN7rocprim17ROCPRIM_400000_NS6detail17trampoline_kernelINS0_14default_configENS1_27scan_by_key_config_selectorIxxEEZZNS1_16scan_by_key_implILNS1_25lookback_scan_determinismE0ELb1ES3_N6thrust23THRUST_200600_302600_NS6detail15normal_iteratorINS9_10device_ptrIxEEEESE_SE_xNS9_4plusIvEENS9_8equal_toIxEExEE10hipError_tPvRmT2_T3_T4_T5_mT6_T7_P12ihipStream_tbENKUlT_T0_E_clISt17integral_constantIbLb0EESZ_EEDaSU_SV_EUlSU_E_NS1_11comp_targetILNS1_3genE9ELNS1_11target_archE1100ELNS1_3gpuE3ELNS1_3repE0EEENS1_30default_config_static_selectorELNS0_4arch9wavefront6targetE0EEEvT1_.numbered_sgpr, 0
	.set _ZN7rocprim17ROCPRIM_400000_NS6detail17trampoline_kernelINS0_14default_configENS1_27scan_by_key_config_selectorIxxEEZZNS1_16scan_by_key_implILNS1_25lookback_scan_determinismE0ELb1ES3_N6thrust23THRUST_200600_302600_NS6detail15normal_iteratorINS9_10device_ptrIxEEEESE_SE_xNS9_4plusIvEENS9_8equal_toIxEExEE10hipError_tPvRmT2_T3_T4_T5_mT6_T7_P12ihipStream_tbENKUlT_T0_E_clISt17integral_constantIbLb0EESZ_EEDaSU_SV_EUlSU_E_NS1_11comp_targetILNS1_3genE9ELNS1_11target_archE1100ELNS1_3gpuE3ELNS1_3repE0EEENS1_30default_config_static_selectorELNS0_4arch9wavefront6targetE0EEEvT1_.num_named_barrier, 0
	.set _ZN7rocprim17ROCPRIM_400000_NS6detail17trampoline_kernelINS0_14default_configENS1_27scan_by_key_config_selectorIxxEEZZNS1_16scan_by_key_implILNS1_25lookback_scan_determinismE0ELb1ES3_N6thrust23THRUST_200600_302600_NS6detail15normal_iteratorINS9_10device_ptrIxEEEESE_SE_xNS9_4plusIvEENS9_8equal_toIxEExEE10hipError_tPvRmT2_T3_T4_T5_mT6_T7_P12ihipStream_tbENKUlT_T0_E_clISt17integral_constantIbLb0EESZ_EEDaSU_SV_EUlSU_E_NS1_11comp_targetILNS1_3genE9ELNS1_11target_archE1100ELNS1_3gpuE3ELNS1_3repE0EEENS1_30default_config_static_selectorELNS0_4arch9wavefront6targetE0EEEvT1_.private_seg_size, 0
	.set _ZN7rocprim17ROCPRIM_400000_NS6detail17trampoline_kernelINS0_14default_configENS1_27scan_by_key_config_selectorIxxEEZZNS1_16scan_by_key_implILNS1_25lookback_scan_determinismE0ELb1ES3_N6thrust23THRUST_200600_302600_NS6detail15normal_iteratorINS9_10device_ptrIxEEEESE_SE_xNS9_4plusIvEENS9_8equal_toIxEExEE10hipError_tPvRmT2_T3_T4_T5_mT6_T7_P12ihipStream_tbENKUlT_T0_E_clISt17integral_constantIbLb0EESZ_EEDaSU_SV_EUlSU_E_NS1_11comp_targetILNS1_3genE9ELNS1_11target_archE1100ELNS1_3gpuE3ELNS1_3repE0EEENS1_30default_config_static_selectorELNS0_4arch9wavefront6targetE0EEEvT1_.uses_vcc, 0
	.set _ZN7rocprim17ROCPRIM_400000_NS6detail17trampoline_kernelINS0_14default_configENS1_27scan_by_key_config_selectorIxxEEZZNS1_16scan_by_key_implILNS1_25lookback_scan_determinismE0ELb1ES3_N6thrust23THRUST_200600_302600_NS6detail15normal_iteratorINS9_10device_ptrIxEEEESE_SE_xNS9_4plusIvEENS9_8equal_toIxEExEE10hipError_tPvRmT2_T3_T4_T5_mT6_T7_P12ihipStream_tbENKUlT_T0_E_clISt17integral_constantIbLb0EESZ_EEDaSU_SV_EUlSU_E_NS1_11comp_targetILNS1_3genE9ELNS1_11target_archE1100ELNS1_3gpuE3ELNS1_3repE0EEENS1_30default_config_static_selectorELNS0_4arch9wavefront6targetE0EEEvT1_.uses_flat_scratch, 0
	.set _ZN7rocprim17ROCPRIM_400000_NS6detail17trampoline_kernelINS0_14default_configENS1_27scan_by_key_config_selectorIxxEEZZNS1_16scan_by_key_implILNS1_25lookback_scan_determinismE0ELb1ES3_N6thrust23THRUST_200600_302600_NS6detail15normal_iteratorINS9_10device_ptrIxEEEESE_SE_xNS9_4plusIvEENS9_8equal_toIxEExEE10hipError_tPvRmT2_T3_T4_T5_mT6_T7_P12ihipStream_tbENKUlT_T0_E_clISt17integral_constantIbLb0EESZ_EEDaSU_SV_EUlSU_E_NS1_11comp_targetILNS1_3genE9ELNS1_11target_archE1100ELNS1_3gpuE3ELNS1_3repE0EEENS1_30default_config_static_selectorELNS0_4arch9wavefront6targetE0EEEvT1_.has_dyn_sized_stack, 0
	.set _ZN7rocprim17ROCPRIM_400000_NS6detail17trampoline_kernelINS0_14default_configENS1_27scan_by_key_config_selectorIxxEEZZNS1_16scan_by_key_implILNS1_25lookback_scan_determinismE0ELb1ES3_N6thrust23THRUST_200600_302600_NS6detail15normal_iteratorINS9_10device_ptrIxEEEESE_SE_xNS9_4plusIvEENS9_8equal_toIxEExEE10hipError_tPvRmT2_T3_T4_T5_mT6_T7_P12ihipStream_tbENKUlT_T0_E_clISt17integral_constantIbLb0EESZ_EEDaSU_SV_EUlSU_E_NS1_11comp_targetILNS1_3genE9ELNS1_11target_archE1100ELNS1_3gpuE3ELNS1_3repE0EEENS1_30default_config_static_selectorELNS0_4arch9wavefront6targetE0EEEvT1_.has_recursion, 0
	.set _ZN7rocprim17ROCPRIM_400000_NS6detail17trampoline_kernelINS0_14default_configENS1_27scan_by_key_config_selectorIxxEEZZNS1_16scan_by_key_implILNS1_25lookback_scan_determinismE0ELb1ES3_N6thrust23THRUST_200600_302600_NS6detail15normal_iteratorINS9_10device_ptrIxEEEESE_SE_xNS9_4plusIvEENS9_8equal_toIxEExEE10hipError_tPvRmT2_T3_T4_T5_mT6_T7_P12ihipStream_tbENKUlT_T0_E_clISt17integral_constantIbLb0EESZ_EEDaSU_SV_EUlSU_E_NS1_11comp_targetILNS1_3genE9ELNS1_11target_archE1100ELNS1_3gpuE3ELNS1_3repE0EEENS1_30default_config_static_selectorELNS0_4arch9wavefront6targetE0EEEvT1_.has_indirect_call, 0
	.section	.AMDGPU.csdata,"",@progbits
; Kernel info:
; codeLenInByte = 0
; TotalNumSgprs: 0
; NumVgprs: 0
; ScratchSize: 0
; MemoryBound: 0
; FloatMode: 240
; IeeeMode: 1
; LDSByteSize: 0 bytes/workgroup (compile time only)
; SGPRBlocks: 0
; VGPRBlocks: 0
; NumSGPRsForWavesPerEU: 1
; NumVGPRsForWavesPerEU: 1
; NamedBarCnt: 0
; Occupancy: 16
; WaveLimiterHint : 0
; COMPUTE_PGM_RSRC2:SCRATCH_EN: 0
; COMPUTE_PGM_RSRC2:USER_SGPR: 2
; COMPUTE_PGM_RSRC2:TRAP_HANDLER: 0
; COMPUTE_PGM_RSRC2:TGID_X_EN: 1
; COMPUTE_PGM_RSRC2:TGID_Y_EN: 0
; COMPUTE_PGM_RSRC2:TGID_Z_EN: 0
; COMPUTE_PGM_RSRC2:TIDIG_COMP_CNT: 0
	.section	.text._ZN7rocprim17ROCPRIM_400000_NS6detail17trampoline_kernelINS0_14default_configENS1_27scan_by_key_config_selectorIxxEEZZNS1_16scan_by_key_implILNS1_25lookback_scan_determinismE0ELb1ES3_N6thrust23THRUST_200600_302600_NS6detail15normal_iteratorINS9_10device_ptrIxEEEESE_SE_xNS9_4plusIvEENS9_8equal_toIxEExEE10hipError_tPvRmT2_T3_T4_T5_mT6_T7_P12ihipStream_tbENKUlT_T0_E_clISt17integral_constantIbLb0EESZ_EEDaSU_SV_EUlSU_E_NS1_11comp_targetILNS1_3genE8ELNS1_11target_archE1030ELNS1_3gpuE2ELNS1_3repE0EEENS1_30default_config_static_selectorELNS0_4arch9wavefront6targetE0EEEvT1_,"axG",@progbits,_ZN7rocprim17ROCPRIM_400000_NS6detail17trampoline_kernelINS0_14default_configENS1_27scan_by_key_config_selectorIxxEEZZNS1_16scan_by_key_implILNS1_25lookback_scan_determinismE0ELb1ES3_N6thrust23THRUST_200600_302600_NS6detail15normal_iteratorINS9_10device_ptrIxEEEESE_SE_xNS9_4plusIvEENS9_8equal_toIxEExEE10hipError_tPvRmT2_T3_T4_T5_mT6_T7_P12ihipStream_tbENKUlT_T0_E_clISt17integral_constantIbLb0EESZ_EEDaSU_SV_EUlSU_E_NS1_11comp_targetILNS1_3genE8ELNS1_11target_archE1030ELNS1_3gpuE2ELNS1_3repE0EEENS1_30default_config_static_selectorELNS0_4arch9wavefront6targetE0EEEvT1_,comdat
	.protected	_ZN7rocprim17ROCPRIM_400000_NS6detail17trampoline_kernelINS0_14default_configENS1_27scan_by_key_config_selectorIxxEEZZNS1_16scan_by_key_implILNS1_25lookback_scan_determinismE0ELb1ES3_N6thrust23THRUST_200600_302600_NS6detail15normal_iteratorINS9_10device_ptrIxEEEESE_SE_xNS9_4plusIvEENS9_8equal_toIxEExEE10hipError_tPvRmT2_T3_T4_T5_mT6_T7_P12ihipStream_tbENKUlT_T0_E_clISt17integral_constantIbLb0EESZ_EEDaSU_SV_EUlSU_E_NS1_11comp_targetILNS1_3genE8ELNS1_11target_archE1030ELNS1_3gpuE2ELNS1_3repE0EEENS1_30default_config_static_selectorELNS0_4arch9wavefront6targetE0EEEvT1_ ; -- Begin function _ZN7rocprim17ROCPRIM_400000_NS6detail17trampoline_kernelINS0_14default_configENS1_27scan_by_key_config_selectorIxxEEZZNS1_16scan_by_key_implILNS1_25lookback_scan_determinismE0ELb1ES3_N6thrust23THRUST_200600_302600_NS6detail15normal_iteratorINS9_10device_ptrIxEEEESE_SE_xNS9_4plusIvEENS9_8equal_toIxEExEE10hipError_tPvRmT2_T3_T4_T5_mT6_T7_P12ihipStream_tbENKUlT_T0_E_clISt17integral_constantIbLb0EESZ_EEDaSU_SV_EUlSU_E_NS1_11comp_targetILNS1_3genE8ELNS1_11target_archE1030ELNS1_3gpuE2ELNS1_3repE0EEENS1_30default_config_static_selectorELNS0_4arch9wavefront6targetE0EEEvT1_
	.globl	_ZN7rocprim17ROCPRIM_400000_NS6detail17trampoline_kernelINS0_14default_configENS1_27scan_by_key_config_selectorIxxEEZZNS1_16scan_by_key_implILNS1_25lookback_scan_determinismE0ELb1ES3_N6thrust23THRUST_200600_302600_NS6detail15normal_iteratorINS9_10device_ptrIxEEEESE_SE_xNS9_4plusIvEENS9_8equal_toIxEExEE10hipError_tPvRmT2_T3_T4_T5_mT6_T7_P12ihipStream_tbENKUlT_T0_E_clISt17integral_constantIbLb0EESZ_EEDaSU_SV_EUlSU_E_NS1_11comp_targetILNS1_3genE8ELNS1_11target_archE1030ELNS1_3gpuE2ELNS1_3repE0EEENS1_30default_config_static_selectorELNS0_4arch9wavefront6targetE0EEEvT1_
	.p2align	8
	.type	_ZN7rocprim17ROCPRIM_400000_NS6detail17trampoline_kernelINS0_14default_configENS1_27scan_by_key_config_selectorIxxEEZZNS1_16scan_by_key_implILNS1_25lookback_scan_determinismE0ELb1ES3_N6thrust23THRUST_200600_302600_NS6detail15normal_iteratorINS9_10device_ptrIxEEEESE_SE_xNS9_4plusIvEENS9_8equal_toIxEExEE10hipError_tPvRmT2_T3_T4_T5_mT6_T7_P12ihipStream_tbENKUlT_T0_E_clISt17integral_constantIbLb0EESZ_EEDaSU_SV_EUlSU_E_NS1_11comp_targetILNS1_3genE8ELNS1_11target_archE1030ELNS1_3gpuE2ELNS1_3repE0EEENS1_30default_config_static_selectorELNS0_4arch9wavefront6targetE0EEEvT1_,@function
_ZN7rocprim17ROCPRIM_400000_NS6detail17trampoline_kernelINS0_14default_configENS1_27scan_by_key_config_selectorIxxEEZZNS1_16scan_by_key_implILNS1_25lookback_scan_determinismE0ELb1ES3_N6thrust23THRUST_200600_302600_NS6detail15normal_iteratorINS9_10device_ptrIxEEEESE_SE_xNS9_4plusIvEENS9_8equal_toIxEExEE10hipError_tPvRmT2_T3_T4_T5_mT6_T7_P12ihipStream_tbENKUlT_T0_E_clISt17integral_constantIbLb0EESZ_EEDaSU_SV_EUlSU_E_NS1_11comp_targetILNS1_3genE8ELNS1_11target_archE1030ELNS1_3gpuE2ELNS1_3repE0EEENS1_30default_config_static_selectorELNS0_4arch9wavefront6targetE0EEEvT1_: ; @_ZN7rocprim17ROCPRIM_400000_NS6detail17trampoline_kernelINS0_14default_configENS1_27scan_by_key_config_selectorIxxEEZZNS1_16scan_by_key_implILNS1_25lookback_scan_determinismE0ELb1ES3_N6thrust23THRUST_200600_302600_NS6detail15normal_iteratorINS9_10device_ptrIxEEEESE_SE_xNS9_4plusIvEENS9_8equal_toIxEExEE10hipError_tPvRmT2_T3_T4_T5_mT6_T7_P12ihipStream_tbENKUlT_T0_E_clISt17integral_constantIbLb0EESZ_EEDaSU_SV_EUlSU_E_NS1_11comp_targetILNS1_3genE8ELNS1_11target_archE1030ELNS1_3gpuE2ELNS1_3repE0EEENS1_30default_config_static_selectorELNS0_4arch9wavefront6targetE0EEEvT1_
; %bb.0:
	.section	.rodata,"a",@progbits
	.p2align	6, 0x0
	.amdhsa_kernel _ZN7rocprim17ROCPRIM_400000_NS6detail17trampoline_kernelINS0_14default_configENS1_27scan_by_key_config_selectorIxxEEZZNS1_16scan_by_key_implILNS1_25lookback_scan_determinismE0ELb1ES3_N6thrust23THRUST_200600_302600_NS6detail15normal_iteratorINS9_10device_ptrIxEEEESE_SE_xNS9_4plusIvEENS9_8equal_toIxEExEE10hipError_tPvRmT2_T3_T4_T5_mT6_T7_P12ihipStream_tbENKUlT_T0_E_clISt17integral_constantIbLb0EESZ_EEDaSU_SV_EUlSU_E_NS1_11comp_targetILNS1_3genE8ELNS1_11target_archE1030ELNS1_3gpuE2ELNS1_3repE0EEENS1_30default_config_static_selectorELNS0_4arch9wavefront6targetE0EEEvT1_
		.amdhsa_group_segment_fixed_size 0
		.amdhsa_private_segment_fixed_size 0
		.amdhsa_kernarg_size 136
		.amdhsa_user_sgpr_count 2
		.amdhsa_user_sgpr_dispatch_ptr 0
		.amdhsa_user_sgpr_queue_ptr 0
		.amdhsa_user_sgpr_kernarg_segment_ptr 1
		.amdhsa_user_sgpr_dispatch_id 0
		.amdhsa_user_sgpr_kernarg_preload_length 0
		.amdhsa_user_sgpr_kernarg_preload_offset 0
		.amdhsa_user_sgpr_private_segment_size 0
		.amdhsa_wavefront_size32 1
		.amdhsa_uses_dynamic_stack 0
		.amdhsa_enable_private_segment 0
		.amdhsa_system_sgpr_workgroup_id_x 1
		.amdhsa_system_sgpr_workgroup_id_y 0
		.amdhsa_system_sgpr_workgroup_id_z 0
		.amdhsa_system_sgpr_workgroup_info 0
		.amdhsa_system_vgpr_workitem_id 0
		.amdhsa_next_free_vgpr 1
		.amdhsa_next_free_sgpr 1
		.amdhsa_named_barrier_count 0
		.amdhsa_reserve_vcc 0
		.amdhsa_float_round_mode_32 0
		.amdhsa_float_round_mode_16_64 0
		.amdhsa_float_denorm_mode_32 3
		.amdhsa_float_denorm_mode_16_64 3
		.amdhsa_fp16_overflow 0
		.amdhsa_memory_ordered 1
		.amdhsa_forward_progress 1
		.amdhsa_inst_pref_size 0
		.amdhsa_round_robin_scheduling 0
		.amdhsa_exception_fp_ieee_invalid_op 0
		.amdhsa_exception_fp_denorm_src 0
		.amdhsa_exception_fp_ieee_div_zero 0
		.amdhsa_exception_fp_ieee_overflow 0
		.amdhsa_exception_fp_ieee_underflow 0
		.amdhsa_exception_fp_ieee_inexact 0
		.amdhsa_exception_int_div_zero 0
	.end_amdhsa_kernel
	.section	.text._ZN7rocprim17ROCPRIM_400000_NS6detail17trampoline_kernelINS0_14default_configENS1_27scan_by_key_config_selectorIxxEEZZNS1_16scan_by_key_implILNS1_25lookback_scan_determinismE0ELb1ES3_N6thrust23THRUST_200600_302600_NS6detail15normal_iteratorINS9_10device_ptrIxEEEESE_SE_xNS9_4plusIvEENS9_8equal_toIxEExEE10hipError_tPvRmT2_T3_T4_T5_mT6_T7_P12ihipStream_tbENKUlT_T0_E_clISt17integral_constantIbLb0EESZ_EEDaSU_SV_EUlSU_E_NS1_11comp_targetILNS1_3genE8ELNS1_11target_archE1030ELNS1_3gpuE2ELNS1_3repE0EEENS1_30default_config_static_selectorELNS0_4arch9wavefront6targetE0EEEvT1_,"axG",@progbits,_ZN7rocprim17ROCPRIM_400000_NS6detail17trampoline_kernelINS0_14default_configENS1_27scan_by_key_config_selectorIxxEEZZNS1_16scan_by_key_implILNS1_25lookback_scan_determinismE0ELb1ES3_N6thrust23THRUST_200600_302600_NS6detail15normal_iteratorINS9_10device_ptrIxEEEESE_SE_xNS9_4plusIvEENS9_8equal_toIxEExEE10hipError_tPvRmT2_T3_T4_T5_mT6_T7_P12ihipStream_tbENKUlT_T0_E_clISt17integral_constantIbLb0EESZ_EEDaSU_SV_EUlSU_E_NS1_11comp_targetILNS1_3genE8ELNS1_11target_archE1030ELNS1_3gpuE2ELNS1_3repE0EEENS1_30default_config_static_selectorELNS0_4arch9wavefront6targetE0EEEvT1_,comdat
.Lfunc_end433:
	.size	_ZN7rocprim17ROCPRIM_400000_NS6detail17trampoline_kernelINS0_14default_configENS1_27scan_by_key_config_selectorIxxEEZZNS1_16scan_by_key_implILNS1_25lookback_scan_determinismE0ELb1ES3_N6thrust23THRUST_200600_302600_NS6detail15normal_iteratorINS9_10device_ptrIxEEEESE_SE_xNS9_4plusIvEENS9_8equal_toIxEExEE10hipError_tPvRmT2_T3_T4_T5_mT6_T7_P12ihipStream_tbENKUlT_T0_E_clISt17integral_constantIbLb0EESZ_EEDaSU_SV_EUlSU_E_NS1_11comp_targetILNS1_3genE8ELNS1_11target_archE1030ELNS1_3gpuE2ELNS1_3repE0EEENS1_30default_config_static_selectorELNS0_4arch9wavefront6targetE0EEEvT1_, .Lfunc_end433-_ZN7rocprim17ROCPRIM_400000_NS6detail17trampoline_kernelINS0_14default_configENS1_27scan_by_key_config_selectorIxxEEZZNS1_16scan_by_key_implILNS1_25lookback_scan_determinismE0ELb1ES3_N6thrust23THRUST_200600_302600_NS6detail15normal_iteratorINS9_10device_ptrIxEEEESE_SE_xNS9_4plusIvEENS9_8equal_toIxEExEE10hipError_tPvRmT2_T3_T4_T5_mT6_T7_P12ihipStream_tbENKUlT_T0_E_clISt17integral_constantIbLb0EESZ_EEDaSU_SV_EUlSU_E_NS1_11comp_targetILNS1_3genE8ELNS1_11target_archE1030ELNS1_3gpuE2ELNS1_3repE0EEENS1_30default_config_static_selectorELNS0_4arch9wavefront6targetE0EEEvT1_
                                        ; -- End function
	.set _ZN7rocprim17ROCPRIM_400000_NS6detail17trampoline_kernelINS0_14default_configENS1_27scan_by_key_config_selectorIxxEEZZNS1_16scan_by_key_implILNS1_25lookback_scan_determinismE0ELb1ES3_N6thrust23THRUST_200600_302600_NS6detail15normal_iteratorINS9_10device_ptrIxEEEESE_SE_xNS9_4plusIvEENS9_8equal_toIxEExEE10hipError_tPvRmT2_T3_T4_T5_mT6_T7_P12ihipStream_tbENKUlT_T0_E_clISt17integral_constantIbLb0EESZ_EEDaSU_SV_EUlSU_E_NS1_11comp_targetILNS1_3genE8ELNS1_11target_archE1030ELNS1_3gpuE2ELNS1_3repE0EEENS1_30default_config_static_selectorELNS0_4arch9wavefront6targetE0EEEvT1_.num_vgpr, 0
	.set _ZN7rocprim17ROCPRIM_400000_NS6detail17trampoline_kernelINS0_14default_configENS1_27scan_by_key_config_selectorIxxEEZZNS1_16scan_by_key_implILNS1_25lookback_scan_determinismE0ELb1ES3_N6thrust23THRUST_200600_302600_NS6detail15normal_iteratorINS9_10device_ptrIxEEEESE_SE_xNS9_4plusIvEENS9_8equal_toIxEExEE10hipError_tPvRmT2_T3_T4_T5_mT6_T7_P12ihipStream_tbENKUlT_T0_E_clISt17integral_constantIbLb0EESZ_EEDaSU_SV_EUlSU_E_NS1_11comp_targetILNS1_3genE8ELNS1_11target_archE1030ELNS1_3gpuE2ELNS1_3repE0EEENS1_30default_config_static_selectorELNS0_4arch9wavefront6targetE0EEEvT1_.num_agpr, 0
	.set _ZN7rocprim17ROCPRIM_400000_NS6detail17trampoline_kernelINS0_14default_configENS1_27scan_by_key_config_selectorIxxEEZZNS1_16scan_by_key_implILNS1_25lookback_scan_determinismE0ELb1ES3_N6thrust23THRUST_200600_302600_NS6detail15normal_iteratorINS9_10device_ptrIxEEEESE_SE_xNS9_4plusIvEENS9_8equal_toIxEExEE10hipError_tPvRmT2_T3_T4_T5_mT6_T7_P12ihipStream_tbENKUlT_T0_E_clISt17integral_constantIbLb0EESZ_EEDaSU_SV_EUlSU_E_NS1_11comp_targetILNS1_3genE8ELNS1_11target_archE1030ELNS1_3gpuE2ELNS1_3repE0EEENS1_30default_config_static_selectorELNS0_4arch9wavefront6targetE0EEEvT1_.numbered_sgpr, 0
	.set _ZN7rocprim17ROCPRIM_400000_NS6detail17trampoline_kernelINS0_14default_configENS1_27scan_by_key_config_selectorIxxEEZZNS1_16scan_by_key_implILNS1_25lookback_scan_determinismE0ELb1ES3_N6thrust23THRUST_200600_302600_NS6detail15normal_iteratorINS9_10device_ptrIxEEEESE_SE_xNS9_4plusIvEENS9_8equal_toIxEExEE10hipError_tPvRmT2_T3_T4_T5_mT6_T7_P12ihipStream_tbENKUlT_T0_E_clISt17integral_constantIbLb0EESZ_EEDaSU_SV_EUlSU_E_NS1_11comp_targetILNS1_3genE8ELNS1_11target_archE1030ELNS1_3gpuE2ELNS1_3repE0EEENS1_30default_config_static_selectorELNS0_4arch9wavefront6targetE0EEEvT1_.num_named_barrier, 0
	.set _ZN7rocprim17ROCPRIM_400000_NS6detail17trampoline_kernelINS0_14default_configENS1_27scan_by_key_config_selectorIxxEEZZNS1_16scan_by_key_implILNS1_25lookback_scan_determinismE0ELb1ES3_N6thrust23THRUST_200600_302600_NS6detail15normal_iteratorINS9_10device_ptrIxEEEESE_SE_xNS9_4plusIvEENS9_8equal_toIxEExEE10hipError_tPvRmT2_T3_T4_T5_mT6_T7_P12ihipStream_tbENKUlT_T0_E_clISt17integral_constantIbLb0EESZ_EEDaSU_SV_EUlSU_E_NS1_11comp_targetILNS1_3genE8ELNS1_11target_archE1030ELNS1_3gpuE2ELNS1_3repE0EEENS1_30default_config_static_selectorELNS0_4arch9wavefront6targetE0EEEvT1_.private_seg_size, 0
	.set _ZN7rocprim17ROCPRIM_400000_NS6detail17trampoline_kernelINS0_14default_configENS1_27scan_by_key_config_selectorIxxEEZZNS1_16scan_by_key_implILNS1_25lookback_scan_determinismE0ELb1ES3_N6thrust23THRUST_200600_302600_NS6detail15normal_iteratorINS9_10device_ptrIxEEEESE_SE_xNS9_4plusIvEENS9_8equal_toIxEExEE10hipError_tPvRmT2_T3_T4_T5_mT6_T7_P12ihipStream_tbENKUlT_T0_E_clISt17integral_constantIbLb0EESZ_EEDaSU_SV_EUlSU_E_NS1_11comp_targetILNS1_3genE8ELNS1_11target_archE1030ELNS1_3gpuE2ELNS1_3repE0EEENS1_30default_config_static_selectorELNS0_4arch9wavefront6targetE0EEEvT1_.uses_vcc, 0
	.set _ZN7rocprim17ROCPRIM_400000_NS6detail17trampoline_kernelINS0_14default_configENS1_27scan_by_key_config_selectorIxxEEZZNS1_16scan_by_key_implILNS1_25lookback_scan_determinismE0ELb1ES3_N6thrust23THRUST_200600_302600_NS6detail15normal_iteratorINS9_10device_ptrIxEEEESE_SE_xNS9_4plusIvEENS9_8equal_toIxEExEE10hipError_tPvRmT2_T3_T4_T5_mT6_T7_P12ihipStream_tbENKUlT_T0_E_clISt17integral_constantIbLb0EESZ_EEDaSU_SV_EUlSU_E_NS1_11comp_targetILNS1_3genE8ELNS1_11target_archE1030ELNS1_3gpuE2ELNS1_3repE0EEENS1_30default_config_static_selectorELNS0_4arch9wavefront6targetE0EEEvT1_.uses_flat_scratch, 0
	.set _ZN7rocprim17ROCPRIM_400000_NS6detail17trampoline_kernelINS0_14default_configENS1_27scan_by_key_config_selectorIxxEEZZNS1_16scan_by_key_implILNS1_25lookback_scan_determinismE0ELb1ES3_N6thrust23THRUST_200600_302600_NS6detail15normal_iteratorINS9_10device_ptrIxEEEESE_SE_xNS9_4plusIvEENS9_8equal_toIxEExEE10hipError_tPvRmT2_T3_T4_T5_mT6_T7_P12ihipStream_tbENKUlT_T0_E_clISt17integral_constantIbLb0EESZ_EEDaSU_SV_EUlSU_E_NS1_11comp_targetILNS1_3genE8ELNS1_11target_archE1030ELNS1_3gpuE2ELNS1_3repE0EEENS1_30default_config_static_selectorELNS0_4arch9wavefront6targetE0EEEvT1_.has_dyn_sized_stack, 0
	.set _ZN7rocprim17ROCPRIM_400000_NS6detail17trampoline_kernelINS0_14default_configENS1_27scan_by_key_config_selectorIxxEEZZNS1_16scan_by_key_implILNS1_25lookback_scan_determinismE0ELb1ES3_N6thrust23THRUST_200600_302600_NS6detail15normal_iteratorINS9_10device_ptrIxEEEESE_SE_xNS9_4plusIvEENS9_8equal_toIxEExEE10hipError_tPvRmT2_T3_T4_T5_mT6_T7_P12ihipStream_tbENKUlT_T0_E_clISt17integral_constantIbLb0EESZ_EEDaSU_SV_EUlSU_E_NS1_11comp_targetILNS1_3genE8ELNS1_11target_archE1030ELNS1_3gpuE2ELNS1_3repE0EEENS1_30default_config_static_selectorELNS0_4arch9wavefront6targetE0EEEvT1_.has_recursion, 0
	.set _ZN7rocprim17ROCPRIM_400000_NS6detail17trampoline_kernelINS0_14default_configENS1_27scan_by_key_config_selectorIxxEEZZNS1_16scan_by_key_implILNS1_25lookback_scan_determinismE0ELb1ES3_N6thrust23THRUST_200600_302600_NS6detail15normal_iteratorINS9_10device_ptrIxEEEESE_SE_xNS9_4plusIvEENS9_8equal_toIxEExEE10hipError_tPvRmT2_T3_T4_T5_mT6_T7_P12ihipStream_tbENKUlT_T0_E_clISt17integral_constantIbLb0EESZ_EEDaSU_SV_EUlSU_E_NS1_11comp_targetILNS1_3genE8ELNS1_11target_archE1030ELNS1_3gpuE2ELNS1_3repE0EEENS1_30default_config_static_selectorELNS0_4arch9wavefront6targetE0EEEvT1_.has_indirect_call, 0
	.section	.AMDGPU.csdata,"",@progbits
; Kernel info:
; codeLenInByte = 0
; TotalNumSgprs: 0
; NumVgprs: 0
; ScratchSize: 0
; MemoryBound: 0
; FloatMode: 240
; IeeeMode: 1
; LDSByteSize: 0 bytes/workgroup (compile time only)
; SGPRBlocks: 0
; VGPRBlocks: 0
; NumSGPRsForWavesPerEU: 1
; NumVGPRsForWavesPerEU: 1
; NamedBarCnt: 0
; Occupancy: 16
; WaveLimiterHint : 0
; COMPUTE_PGM_RSRC2:SCRATCH_EN: 0
; COMPUTE_PGM_RSRC2:USER_SGPR: 2
; COMPUTE_PGM_RSRC2:TRAP_HANDLER: 0
; COMPUTE_PGM_RSRC2:TGID_X_EN: 1
; COMPUTE_PGM_RSRC2:TGID_Y_EN: 0
; COMPUTE_PGM_RSRC2:TGID_Z_EN: 0
; COMPUTE_PGM_RSRC2:TIDIG_COMP_CNT: 0
	.section	.text._ZN7rocprim17ROCPRIM_400000_NS6detail17trampoline_kernelINS0_14default_configENS1_27scan_by_key_config_selectorIxxEEZZNS1_16scan_by_key_implILNS1_25lookback_scan_determinismE0ELb1ES3_N6thrust23THRUST_200600_302600_NS6detail15normal_iteratorINS9_10device_ptrIxEEEESE_SE_xNS9_4plusIvEENS9_8equal_toIxEExEE10hipError_tPvRmT2_T3_T4_T5_mT6_T7_P12ihipStream_tbENKUlT_T0_E_clISt17integral_constantIbLb1EESZ_EEDaSU_SV_EUlSU_E_NS1_11comp_targetILNS1_3genE0ELNS1_11target_archE4294967295ELNS1_3gpuE0ELNS1_3repE0EEENS1_30default_config_static_selectorELNS0_4arch9wavefront6targetE0EEEvT1_,"axG",@progbits,_ZN7rocprim17ROCPRIM_400000_NS6detail17trampoline_kernelINS0_14default_configENS1_27scan_by_key_config_selectorIxxEEZZNS1_16scan_by_key_implILNS1_25lookback_scan_determinismE0ELb1ES3_N6thrust23THRUST_200600_302600_NS6detail15normal_iteratorINS9_10device_ptrIxEEEESE_SE_xNS9_4plusIvEENS9_8equal_toIxEExEE10hipError_tPvRmT2_T3_T4_T5_mT6_T7_P12ihipStream_tbENKUlT_T0_E_clISt17integral_constantIbLb1EESZ_EEDaSU_SV_EUlSU_E_NS1_11comp_targetILNS1_3genE0ELNS1_11target_archE4294967295ELNS1_3gpuE0ELNS1_3repE0EEENS1_30default_config_static_selectorELNS0_4arch9wavefront6targetE0EEEvT1_,comdat
	.protected	_ZN7rocprim17ROCPRIM_400000_NS6detail17trampoline_kernelINS0_14default_configENS1_27scan_by_key_config_selectorIxxEEZZNS1_16scan_by_key_implILNS1_25lookback_scan_determinismE0ELb1ES3_N6thrust23THRUST_200600_302600_NS6detail15normal_iteratorINS9_10device_ptrIxEEEESE_SE_xNS9_4plusIvEENS9_8equal_toIxEExEE10hipError_tPvRmT2_T3_T4_T5_mT6_T7_P12ihipStream_tbENKUlT_T0_E_clISt17integral_constantIbLb1EESZ_EEDaSU_SV_EUlSU_E_NS1_11comp_targetILNS1_3genE0ELNS1_11target_archE4294967295ELNS1_3gpuE0ELNS1_3repE0EEENS1_30default_config_static_selectorELNS0_4arch9wavefront6targetE0EEEvT1_ ; -- Begin function _ZN7rocprim17ROCPRIM_400000_NS6detail17trampoline_kernelINS0_14default_configENS1_27scan_by_key_config_selectorIxxEEZZNS1_16scan_by_key_implILNS1_25lookback_scan_determinismE0ELb1ES3_N6thrust23THRUST_200600_302600_NS6detail15normal_iteratorINS9_10device_ptrIxEEEESE_SE_xNS9_4plusIvEENS9_8equal_toIxEExEE10hipError_tPvRmT2_T3_T4_T5_mT6_T7_P12ihipStream_tbENKUlT_T0_E_clISt17integral_constantIbLb1EESZ_EEDaSU_SV_EUlSU_E_NS1_11comp_targetILNS1_3genE0ELNS1_11target_archE4294967295ELNS1_3gpuE0ELNS1_3repE0EEENS1_30default_config_static_selectorELNS0_4arch9wavefront6targetE0EEEvT1_
	.globl	_ZN7rocprim17ROCPRIM_400000_NS6detail17trampoline_kernelINS0_14default_configENS1_27scan_by_key_config_selectorIxxEEZZNS1_16scan_by_key_implILNS1_25lookback_scan_determinismE0ELb1ES3_N6thrust23THRUST_200600_302600_NS6detail15normal_iteratorINS9_10device_ptrIxEEEESE_SE_xNS9_4plusIvEENS9_8equal_toIxEExEE10hipError_tPvRmT2_T3_T4_T5_mT6_T7_P12ihipStream_tbENKUlT_T0_E_clISt17integral_constantIbLb1EESZ_EEDaSU_SV_EUlSU_E_NS1_11comp_targetILNS1_3genE0ELNS1_11target_archE4294967295ELNS1_3gpuE0ELNS1_3repE0EEENS1_30default_config_static_selectorELNS0_4arch9wavefront6targetE0EEEvT1_
	.p2align	8
	.type	_ZN7rocprim17ROCPRIM_400000_NS6detail17trampoline_kernelINS0_14default_configENS1_27scan_by_key_config_selectorIxxEEZZNS1_16scan_by_key_implILNS1_25lookback_scan_determinismE0ELb1ES3_N6thrust23THRUST_200600_302600_NS6detail15normal_iteratorINS9_10device_ptrIxEEEESE_SE_xNS9_4plusIvEENS9_8equal_toIxEExEE10hipError_tPvRmT2_T3_T4_T5_mT6_T7_P12ihipStream_tbENKUlT_T0_E_clISt17integral_constantIbLb1EESZ_EEDaSU_SV_EUlSU_E_NS1_11comp_targetILNS1_3genE0ELNS1_11target_archE4294967295ELNS1_3gpuE0ELNS1_3repE0EEENS1_30default_config_static_selectorELNS0_4arch9wavefront6targetE0EEEvT1_,@function
_ZN7rocprim17ROCPRIM_400000_NS6detail17trampoline_kernelINS0_14default_configENS1_27scan_by_key_config_selectorIxxEEZZNS1_16scan_by_key_implILNS1_25lookback_scan_determinismE0ELb1ES3_N6thrust23THRUST_200600_302600_NS6detail15normal_iteratorINS9_10device_ptrIxEEEESE_SE_xNS9_4plusIvEENS9_8equal_toIxEExEE10hipError_tPvRmT2_T3_T4_T5_mT6_T7_P12ihipStream_tbENKUlT_T0_E_clISt17integral_constantIbLb1EESZ_EEDaSU_SV_EUlSU_E_NS1_11comp_targetILNS1_3genE0ELNS1_11target_archE4294967295ELNS1_3gpuE0ELNS1_3repE0EEENS1_30default_config_static_selectorELNS0_4arch9wavefront6targetE0EEEvT1_: ; @_ZN7rocprim17ROCPRIM_400000_NS6detail17trampoline_kernelINS0_14default_configENS1_27scan_by_key_config_selectorIxxEEZZNS1_16scan_by_key_implILNS1_25lookback_scan_determinismE0ELb1ES3_N6thrust23THRUST_200600_302600_NS6detail15normal_iteratorINS9_10device_ptrIxEEEESE_SE_xNS9_4plusIvEENS9_8equal_toIxEExEE10hipError_tPvRmT2_T3_T4_T5_mT6_T7_P12ihipStream_tbENKUlT_T0_E_clISt17integral_constantIbLb1EESZ_EEDaSU_SV_EUlSU_E_NS1_11comp_targetILNS1_3genE0ELNS1_11target_archE4294967295ELNS1_3gpuE0ELNS1_3repE0EEENS1_30default_config_static_selectorELNS0_4arch9wavefront6targetE0EEEvT1_
; %bb.0:
	s_endpgm
	.section	.rodata,"a",@progbits
	.p2align	6, 0x0
	.amdhsa_kernel _ZN7rocprim17ROCPRIM_400000_NS6detail17trampoline_kernelINS0_14default_configENS1_27scan_by_key_config_selectorIxxEEZZNS1_16scan_by_key_implILNS1_25lookback_scan_determinismE0ELb1ES3_N6thrust23THRUST_200600_302600_NS6detail15normal_iteratorINS9_10device_ptrIxEEEESE_SE_xNS9_4plusIvEENS9_8equal_toIxEExEE10hipError_tPvRmT2_T3_T4_T5_mT6_T7_P12ihipStream_tbENKUlT_T0_E_clISt17integral_constantIbLb1EESZ_EEDaSU_SV_EUlSU_E_NS1_11comp_targetILNS1_3genE0ELNS1_11target_archE4294967295ELNS1_3gpuE0ELNS1_3repE0EEENS1_30default_config_static_selectorELNS0_4arch9wavefront6targetE0EEEvT1_
		.amdhsa_group_segment_fixed_size 0
		.amdhsa_private_segment_fixed_size 0
		.amdhsa_kernarg_size 136
		.amdhsa_user_sgpr_count 2
		.amdhsa_user_sgpr_dispatch_ptr 0
		.amdhsa_user_sgpr_queue_ptr 0
		.amdhsa_user_sgpr_kernarg_segment_ptr 1
		.amdhsa_user_sgpr_dispatch_id 0
		.amdhsa_user_sgpr_kernarg_preload_length 0
		.amdhsa_user_sgpr_kernarg_preload_offset 0
		.amdhsa_user_sgpr_private_segment_size 0
		.amdhsa_wavefront_size32 1
		.amdhsa_uses_dynamic_stack 0
		.amdhsa_enable_private_segment 0
		.amdhsa_system_sgpr_workgroup_id_x 1
		.amdhsa_system_sgpr_workgroup_id_y 0
		.amdhsa_system_sgpr_workgroup_id_z 0
		.amdhsa_system_sgpr_workgroup_info 0
		.amdhsa_system_vgpr_workitem_id 0
		.amdhsa_next_free_vgpr 1
		.amdhsa_next_free_sgpr 1
		.amdhsa_named_barrier_count 0
		.amdhsa_reserve_vcc 0
		.amdhsa_float_round_mode_32 0
		.amdhsa_float_round_mode_16_64 0
		.amdhsa_float_denorm_mode_32 3
		.amdhsa_float_denorm_mode_16_64 3
		.amdhsa_fp16_overflow 0
		.amdhsa_memory_ordered 1
		.amdhsa_forward_progress 1
		.amdhsa_inst_pref_size 1
		.amdhsa_round_robin_scheduling 0
		.amdhsa_exception_fp_ieee_invalid_op 0
		.amdhsa_exception_fp_denorm_src 0
		.amdhsa_exception_fp_ieee_div_zero 0
		.amdhsa_exception_fp_ieee_overflow 0
		.amdhsa_exception_fp_ieee_underflow 0
		.amdhsa_exception_fp_ieee_inexact 0
		.amdhsa_exception_int_div_zero 0
	.end_amdhsa_kernel
	.section	.text._ZN7rocprim17ROCPRIM_400000_NS6detail17trampoline_kernelINS0_14default_configENS1_27scan_by_key_config_selectorIxxEEZZNS1_16scan_by_key_implILNS1_25lookback_scan_determinismE0ELb1ES3_N6thrust23THRUST_200600_302600_NS6detail15normal_iteratorINS9_10device_ptrIxEEEESE_SE_xNS9_4plusIvEENS9_8equal_toIxEExEE10hipError_tPvRmT2_T3_T4_T5_mT6_T7_P12ihipStream_tbENKUlT_T0_E_clISt17integral_constantIbLb1EESZ_EEDaSU_SV_EUlSU_E_NS1_11comp_targetILNS1_3genE0ELNS1_11target_archE4294967295ELNS1_3gpuE0ELNS1_3repE0EEENS1_30default_config_static_selectorELNS0_4arch9wavefront6targetE0EEEvT1_,"axG",@progbits,_ZN7rocprim17ROCPRIM_400000_NS6detail17trampoline_kernelINS0_14default_configENS1_27scan_by_key_config_selectorIxxEEZZNS1_16scan_by_key_implILNS1_25lookback_scan_determinismE0ELb1ES3_N6thrust23THRUST_200600_302600_NS6detail15normal_iteratorINS9_10device_ptrIxEEEESE_SE_xNS9_4plusIvEENS9_8equal_toIxEExEE10hipError_tPvRmT2_T3_T4_T5_mT6_T7_P12ihipStream_tbENKUlT_T0_E_clISt17integral_constantIbLb1EESZ_EEDaSU_SV_EUlSU_E_NS1_11comp_targetILNS1_3genE0ELNS1_11target_archE4294967295ELNS1_3gpuE0ELNS1_3repE0EEENS1_30default_config_static_selectorELNS0_4arch9wavefront6targetE0EEEvT1_,comdat
.Lfunc_end434:
	.size	_ZN7rocprim17ROCPRIM_400000_NS6detail17trampoline_kernelINS0_14default_configENS1_27scan_by_key_config_selectorIxxEEZZNS1_16scan_by_key_implILNS1_25lookback_scan_determinismE0ELb1ES3_N6thrust23THRUST_200600_302600_NS6detail15normal_iteratorINS9_10device_ptrIxEEEESE_SE_xNS9_4plusIvEENS9_8equal_toIxEExEE10hipError_tPvRmT2_T3_T4_T5_mT6_T7_P12ihipStream_tbENKUlT_T0_E_clISt17integral_constantIbLb1EESZ_EEDaSU_SV_EUlSU_E_NS1_11comp_targetILNS1_3genE0ELNS1_11target_archE4294967295ELNS1_3gpuE0ELNS1_3repE0EEENS1_30default_config_static_selectorELNS0_4arch9wavefront6targetE0EEEvT1_, .Lfunc_end434-_ZN7rocprim17ROCPRIM_400000_NS6detail17trampoline_kernelINS0_14default_configENS1_27scan_by_key_config_selectorIxxEEZZNS1_16scan_by_key_implILNS1_25lookback_scan_determinismE0ELb1ES3_N6thrust23THRUST_200600_302600_NS6detail15normal_iteratorINS9_10device_ptrIxEEEESE_SE_xNS9_4plusIvEENS9_8equal_toIxEExEE10hipError_tPvRmT2_T3_T4_T5_mT6_T7_P12ihipStream_tbENKUlT_T0_E_clISt17integral_constantIbLb1EESZ_EEDaSU_SV_EUlSU_E_NS1_11comp_targetILNS1_3genE0ELNS1_11target_archE4294967295ELNS1_3gpuE0ELNS1_3repE0EEENS1_30default_config_static_selectorELNS0_4arch9wavefront6targetE0EEEvT1_
                                        ; -- End function
	.set _ZN7rocprim17ROCPRIM_400000_NS6detail17trampoline_kernelINS0_14default_configENS1_27scan_by_key_config_selectorIxxEEZZNS1_16scan_by_key_implILNS1_25lookback_scan_determinismE0ELb1ES3_N6thrust23THRUST_200600_302600_NS6detail15normal_iteratorINS9_10device_ptrIxEEEESE_SE_xNS9_4plusIvEENS9_8equal_toIxEExEE10hipError_tPvRmT2_T3_T4_T5_mT6_T7_P12ihipStream_tbENKUlT_T0_E_clISt17integral_constantIbLb1EESZ_EEDaSU_SV_EUlSU_E_NS1_11comp_targetILNS1_3genE0ELNS1_11target_archE4294967295ELNS1_3gpuE0ELNS1_3repE0EEENS1_30default_config_static_selectorELNS0_4arch9wavefront6targetE0EEEvT1_.num_vgpr, 0
	.set _ZN7rocprim17ROCPRIM_400000_NS6detail17trampoline_kernelINS0_14default_configENS1_27scan_by_key_config_selectorIxxEEZZNS1_16scan_by_key_implILNS1_25lookback_scan_determinismE0ELb1ES3_N6thrust23THRUST_200600_302600_NS6detail15normal_iteratorINS9_10device_ptrIxEEEESE_SE_xNS9_4plusIvEENS9_8equal_toIxEExEE10hipError_tPvRmT2_T3_T4_T5_mT6_T7_P12ihipStream_tbENKUlT_T0_E_clISt17integral_constantIbLb1EESZ_EEDaSU_SV_EUlSU_E_NS1_11comp_targetILNS1_3genE0ELNS1_11target_archE4294967295ELNS1_3gpuE0ELNS1_3repE0EEENS1_30default_config_static_selectorELNS0_4arch9wavefront6targetE0EEEvT1_.num_agpr, 0
	.set _ZN7rocprim17ROCPRIM_400000_NS6detail17trampoline_kernelINS0_14default_configENS1_27scan_by_key_config_selectorIxxEEZZNS1_16scan_by_key_implILNS1_25lookback_scan_determinismE0ELb1ES3_N6thrust23THRUST_200600_302600_NS6detail15normal_iteratorINS9_10device_ptrIxEEEESE_SE_xNS9_4plusIvEENS9_8equal_toIxEExEE10hipError_tPvRmT2_T3_T4_T5_mT6_T7_P12ihipStream_tbENKUlT_T0_E_clISt17integral_constantIbLb1EESZ_EEDaSU_SV_EUlSU_E_NS1_11comp_targetILNS1_3genE0ELNS1_11target_archE4294967295ELNS1_3gpuE0ELNS1_3repE0EEENS1_30default_config_static_selectorELNS0_4arch9wavefront6targetE0EEEvT1_.numbered_sgpr, 0
	.set _ZN7rocprim17ROCPRIM_400000_NS6detail17trampoline_kernelINS0_14default_configENS1_27scan_by_key_config_selectorIxxEEZZNS1_16scan_by_key_implILNS1_25lookback_scan_determinismE0ELb1ES3_N6thrust23THRUST_200600_302600_NS6detail15normal_iteratorINS9_10device_ptrIxEEEESE_SE_xNS9_4plusIvEENS9_8equal_toIxEExEE10hipError_tPvRmT2_T3_T4_T5_mT6_T7_P12ihipStream_tbENKUlT_T0_E_clISt17integral_constantIbLb1EESZ_EEDaSU_SV_EUlSU_E_NS1_11comp_targetILNS1_3genE0ELNS1_11target_archE4294967295ELNS1_3gpuE0ELNS1_3repE0EEENS1_30default_config_static_selectorELNS0_4arch9wavefront6targetE0EEEvT1_.num_named_barrier, 0
	.set _ZN7rocprim17ROCPRIM_400000_NS6detail17trampoline_kernelINS0_14default_configENS1_27scan_by_key_config_selectorIxxEEZZNS1_16scan_by_key_implILNS1_25lookback_scan_determinismE0ELb1ES3_N6thrust23THRUST_200600_302600_NS6detail15normal_iteratorINS9_10device_ptrIxEEEESE_SE_xNS9_4plusIvEENS9_8equal_toIxEExEE10hipError_tPvRmT2_T3_T4_T5_mT6_T7_P12ihipStream_tbENKUlT_T0_E_clISt17integral_constantIbLb1EESZ_EEDaSU_SV_EUlSU_E_NS1_11comp_targetILNS1_3genE0ELNS1_11target_archE4294967295ELNS1_3gpuE0ELNS1_3repE0EEENS1_30default_config_static_selectorELNS0_4arch9wavefront6targetE0EEEvT1_.private_seg_size, 0
	.set _ZN7rocprim17ROCPRIM_400000_NS6detail17trampoline_kernelINS0_14default_configENS1_27scan_by_key_config_selectorIxxEEZZNS1_16scan_by_key_implILNS1_25lookback_scan_determinismE0ELb1ES3_N6thrust23THRUST_200600_302600_NS6detail15normal_iteratorINS9_10device_ptrIxEEEESE_SE_xNS9_4plusIvEENS9_8equal_toIxEExEE10hipError_tPvRmT2_T3_T4_T5_mT6_T7_P12ihipStream_tbENKUlT_T0_E_clISt17integral_constantIbLb1EESZ_EEDaSU_SV_EUlSU_E_NS1_11comp_targetILNS1_3genE0ELNS1_11target_archE4294967295ELNS1_3gpuE0ELNS1_3repE0EEENS1_30default_config_static_selectorELNS0_4arch9wavefront6targetE0EEEvT1_.uses_vcc, 0
	.set _ZN7rocprim17ROCPRIM_400000_NS6detail17trampoline_kernelINS0_14default_configENS1_27scan_by_key_config_selectorIxxEEZZNS1_16scan_by_key_implILNS1_25lookback_scan_determinismE0ELb1ES3_N6thrust23THRUST_200600_302600_NS6detail15normal_iteratorINS9_10device_ptrIxEEEESE_SE_xNS9_4plusIvEENS9_8equal_toIxEExEE10hipError_tPvRmT2_T3_T4_T5_mT6_T7_P12ihipStream_tbENKUlT_T0_E_clISt17integral_constantIbLb1EESZ_EEDaSU_SV_EUlSU_E_NS1_11comp_targetILNS1_3genE0ELNS1_11target_archE4294967295ELNS1_3gpuE0ELNS1_3repE0EEENS1_30default_config_static_selectorELNS0_4arch9wavefront6targetE0EEEvT1_.uses_flat_scratch, 0
	.set _ZN7rocprim17ROCPRIM_400000_NS6detail17trampoline_kernelINS0_14default_configENS1_27scan_by_key_config_selectorIxxEEZZNS1_16scan_by_key_implILNS1_25lookback_scan_determinismE0ELb1ES3_N6thrust23THRUST_200600_302600_NS6detail15normal_iteratorINS9_10device_ptrIxEEEESE_SE_xNS9_4plusIvEENS9_8equal_toIxEExEE10hipError_tPvRmT2_T3_T4_T5_mT6_T7_P12ihipStream_tbENKUlT_T0_E_clISt17integral_constantIbLb1EESZ_EEDaSU_SV_EUlSU_E_NS1_11comp_targetILNS1_3genE0ELNS1_11target_archE4294967295ELNS1_3gpuE0ELNS1_3repE0EEENS1_30default_config_static_selectorELNS0_4arch9wavefront6targetE0EEEvT1_.has_dyn_sized_stack, 0
	.set _ZN7rocprim17ROCPRIM_400000_NS6detail17trampoline_kernelINS0_14default_configENS1_27scan_by_key_config_selectorIxxEEZZNS1_16scan_by_key_implILNS1_25lookback_scan_determinismE0ELb1ES3_N6thrust23THRUST_200600_302600_NS6detail15normal_iteratorINS9_10device_ptrIxEEEESE_SE_xNS9_4plusIvEENS9_8equal_toIxEExEE10hipError_tPvRmT2_T3_T4_T5_mT6_T7_P12ihipStream_tbENKUlT_T0_E_clISt17integral_constantIbLb1EESZ_EEDaSU_SV_EUlSU_E_NS1_11comp_targetILNS1_3genE0ELNS1_11target_archE4294967295ELNS1_3gpuE0ELNS1_3repE0EEENS1_30default_config_static_selectorELNS0_4arch9wavefront6targetE0EEEvT1_.has_recursion, 0
	.set _ZN7rocprim17ROCPRIM_400000_NS6detail17trampoline_kernelINS0_14default_configENS1_27scan_by_key_config_selectorIxxEEZZNS1_16scan_by_key_implILNS1_25lookback_scan_determinismE0ELb1ES3_N6thrust23THRUST_200600_302600_NS6detail15normal_iteratorINS9_10device_ptrIxEEEESE_SE_xNS9_4plusIvEENS9_8equal_toIxEExEE10hipError_tPvRmT2_T3_T4_T5_mT6_T7_P12ihipStream_tbENKUlT_T0_E_clISt17integral_constantIbLb1EESZ_EEDaSU_SV_EUlSU_E_NS1_11comp_targetILNS1_3genE0ELNS1_11target_archE4294967295ELNS1_3gpuE0ELNS1_3repE0EEENS1_30default_config_static_selectorELNS0_4arch9wavefront6targetE0EEEvT1_.has_indirect_call, 0
	.section	.AMDGPU.csdata,"",@progbits
; Kernel info:
; codeLenInByte = 4
; TotalNumSgprs: 0
; NumVgprs: 0
; ScratchSize: 0
; MemoryBound: 0
; FloatMode: 240
; IeeeMode: 1
; LDSByteSize: 0 bytes/workgroup (compile time only)
; SGPRBlocks: 0
; VGPRBlocks: 0
; NumSGPRsForWavesPerEU: 1
; NumVGPRsForWavesPerEU: 1
; NamedBarCnt: 0
; Occupancy: 16
; WaveLimiterHint : 0
; COMPUTE_PGM_RSRC2:SCRATCH_EN: 0
; COMPUTE_PGM_RSRC2:USER_SGPR: 2
; COMPUTE_PGM_RSRC2:TRAP_HANDLER: 0
; COMPUTE_PGM_RSRC2:TGID_X_EN: 1
; COMPUTE_PGM_RSRC2:TGID_Y_EN: 0
; COMPUTE_PGM_RSRC2:TGID_Z_EN: 0
; COMPUTE_PGM_RSRC2:TIDIG_COMP_CNT: 0
	.section	.text._ZN7rocprim17ROCPRIM_400000_NS6detail17trampoline_kernelINS0_14default_configENS1_27scan_by_key_config_selectorIxxEEZZNS1_16scan_by_key_implILNS1_25lookback_scan_determinismE0ELb1ES3_N6thrust23THRUST_200600_302600_NS6detail15normal_iteratorINS9_10device_ptrIxEEEESE_SE_xNS9_4plusIvEENS9_8equal_toIxEExEE10hipError_tPvRmT2_T3_T4_T5_mT6_T7_P12ihipStream_tbENKUlT_T0_E_clISt17integral_constantIbLb1EESZ_EEDaSU_SV_EUlSU_E_NS1_11comp_targetILNS1_3genE10ELNS1_11target_archE1201ELNS1_3gpuE5ELNS1_3repE0EEENS1_30default_config_static_selectorELNS0_4arch9wavefront6targetE0EEEvT1_,"axG",@progbits,_ZN7rocprim17ROCPRIM_400000_NS6detail17trampoline_kernelINS0_14default_configENS1_27scan_by_key_config_selectorIxxEEZZNS1_16scan_by_key_implILNS1_25lookback_scan_determinismE0ELb1ES3_N6thrust23THRUST_200600_302600_NS6detail15normal_iteratorINS9_10device_ptrIxEEEESE_SE_xNS9_4plusIvEENS9_8equal_toIxEExEE10hipError_tPvRmT2_T3_T4_T5_mT6_T7_P12ihipStream_tbENKUlT_T0_E_clISt17integral_constantIbLb1EESZ_EEDaSU_SV_EUlSU_E_NS1_11comp_targetILNS1_3genE10ELNS1_11target_archE1201ELNS1_3gpuE5ELNS1_3repE0EEENS1_30default_config_static_selectorELNS0_4arch9wavefront6targetE0EEEvT1_,comdat
	.protected	_ZN7rocprim17ROCPRIM_400000_NS6detail17trampoline_kernelINS0_14default_configENS1_27scan_by_key_config_selectorIxxEEZZNS1_16scan_by_key_implILNS1_25lookback_scan_determinismE0ELb1ES3_N6thrust23THRUST_200600_302600_NS6detail15normal_iteratorINS9_10device_ptrIxEEEESE_SE_xNS9_4plusIvEENS9_8equal_toIxEExEE10hipError_tPvRmT2_T3_T4_T5_mT6_T7_P12ihipStream_tbENKUlT_T0_E_clISt17integral_constantIbLb1EESZ_EEDaSU_SV_EUlSU_E_NS1_11comp_targetILNS1_3genE10ELNS1_11target_archE1201ELNS1_3gpuE5ELNS1_3repE0EEENS1_30default_config_static_selectorELNS0_4arch9wavefront6targetE0EEEvT1_ ; -- Begin function _ZN7rocprim17ROCPRIM_400000_NS6detail17trampoline_kernelINS0_14default_configENS1_27scan_by_key_config_selectorIxxEEZZNS1_16scan_by_key_implILNS1_25lookback_scan_determinismE0ELb1ES3_N6thrust23THRUST_200600_302600_NS6detail15normal_iteratorINS9_10device_ptrIxEEEESE_SE_xNS9_4plusIvEENS9_8equal_toIxEExEE10hipError_tPvRmT2_T3_T4_T5_mT6_T7_P12ihipStream_tbENKUlT_T0_E_clISt17integral_constantIbLb1EESZ_EEDaSU_SV_EUlSU_E_NS1_11comp_targetILNS1_3genE10ELNS1_11target_archE1201ELNS1_3gpuE5ELNS1_3repE0EEENS1_30default_config_static_selectorELNS0_4arch9wavefront6targetE0EEEvT1_
	.globl	_ZN7rocprim17ROCPRIM_400000_NS6detail17trampoline_kernelINS0_14default_configENS1_27scan_by_key_config_selectorIxxEEZZNS1_16scan_by_key_implILNS1_25lookback_scan_determinismE0ELb1ES3_N6thrust23THRUST_200600_302600_NS6detail15normal_iteratorINS9_10device_ptrIxEEEESE_SE_xNS9_4plusIvEENS9_8equal_toIxEExEE10hipError_tPvRmT2_T3_T4_T5_mT6_T7_P12ihipStream_tbENKUlT_T0_E_clISt17integral_constantIbLb1EESZ_EEDaSU_SV_EUlSU_E_NS1_11comp_targetILNS1_3genE10ELNS1_11target_archE1201ELNS1_3gpuE5ELNS1_3repE0EEENS1_30default_config_static_selectorELNS0_4arch9wavefront6targetE0EEEvT1_
	.p2align	8
	.type	_ZN7rocprim17ROCPRIM_400000_NS6detail17trampoline_kernelINS0_14default_configENS1_27scan_by_key_config_selectorIxxEEZZNS1_16scan_by_key_implILNS1_25lookback_scan_determinismE0ELb1ES3_N6thrust23THRUST_200600_302600_NS6detail15normal_iteratorINS9_10device_ptrIxEEEESE_SE_xNS9_4plusIvEENS9_8equal_toIxEExEE10hipError_tPvRmT2_T3_T4_T5_mT6_T7_P12ihipStream_tbENKUlT_T0_E_clISt17integral_constantIbLb1EESZ_EEDaSU_SV_EUlSU_E_NS1_11comp_targetILNS1_3genE10ELNS1_11target_archE1201ELNS1_3gpuE5ELNS1_3repE0EEENS1_30default_config_static_selectorELNS0_4arch9wavefront6targetE0EEEvT1_,@function
_ZN7rocprim17ROCPRIM_400000_NS6detail17trampoline_kernelINS0_14default_configENS1_27scan_by_key_config_selectorIxxEEZZNS1_16scan_by_key_implILNS1_25lookback_scan_determinismE0ELb1ES3_N6thrust23THRUST_200600_302600_NS6detail15normal_iteratorINS9_10device_ptrIxEEEESE_SE_xNS9_4plusIvEENS9_8equal_toIxEExEE10hipError_tPvRmT2_T3_T4_T5_mT6_T7_P12ihipStream_tbENKUlT_T0_E_clISt17integral_constantIbLb1EESZ_EEDaSU_SV_EUlSU_E_NS1_11comp_targetILNS1_3genE10ELNS1_11target_archE1201ELNS1_3gpuE5ELNS1_3repE0EEENS1_30default_config_static_selectorELNS0_4arch9wavefront6targetE0EEEvT1_: ; @_ZN7rocprim17ROCPRIM_400000_NS6detail17trampoline_kernelINS0_14default_configENS1_27scan_by_key_config_selectorIxxEEZZNS1_16scan_by_key_implILNS1_25lookback_scan_determinismE0ELb1ES3_N6thrust23THRUST_200600_302600_NS6detail15normal_iteratorINS9_10device_ptrIxEEEESE_SE_xNS9_4plusIvEENS9_8equal_toIxEExEE10hipError_tPvRmT2_T3_T4_T5_mT6_T7_P12ihipStream_tbENKUlT_T0_E_clISt17integral_constantIbLb1EESZ_EEDaSU_SV_EUlSU_E_NS1_11comp_targetILNS1_3genE10ELNS1_11target_archE1201ELNS1_3gpuE5ELNS1_3repE0EEENS1_30default_config_static_selectorELNS0_4arch9wavefront6targetE0EEEvT1_
; %bb.0:
	.section	.rodata,"a",@progbits
	.p2align	6, 0x0
	.amdhsa_kernel _ZN7rocprim17ROCPRIM_400000_NS6detail17trampoline_kernelINS0_14default_configENS1_27scan_by_key_config_selectorIxxEEZZNS1_16scan_by_key_implILNS1_25lookback_scan_determinismE0ELb1ES3_N6thrust23THRUST_200600_302600_NS6detail15normal_iteratorINS9_10device_ptrIxEEEESE_SE_xNS9_4plusIvEENS9_8equal_toIxEExEE10hipError_tPvRmT2_T3_T4_T5_mT6_T7_P12ihipStream_tbENKUlT_T0_E_clISt17integral_constantIbLb1EESZ_EEDaSU_SV_EUlSU_E_NS1_11comp_targetILNS1_3genE10ELNS1_11target_archE1201ELNS1_3gpuE5ELNS1_3repE0EEENS1_30default_config_static_selectorELNS0_4arch9wavefront6targetE0EEEvT1_
		.amdhsa_group_segment_fixed_size 0
		.amdhsa_private_segment_fixed_size 0
		.amdhsa_kernarg_size 136
		.amdhsa_user_sgpr_count 2
		.amdhsa_user_sgpr_dispatch_ptr 0
		.amdhsa_user_sgpr_queue_ptr 0
		.amdhsa_user_sgpr_kernarg_segment_ptr 1
		.amdhsa_user_sgpr_dispatch_id 0
		.amdhsa_user_sgpr_kernarg_preload_length 0
		.amdhsa_user_sgpr_kernarg_preload_offset 0
		.amdhsa_user_sgpr_private_segment_size 0
		.amdhsa_wavefront_size32 1
		.amdhsa_uses_dynamic_stack 0
		.amdhsa_enable_private_segment 0
		.amdhsa_system_sgpr_workgroup_id_x 1
		.amdhsa_system_sgpr_workgroup_id_y 0
		.amdhsa_system_sgpr_workgroup_id_z 0
		.amdhsa_system_sgpr_workgroup_info 0
		.amdhsa_system_vgpr_workitem_id 0
		.amdhsa_next_free_vgpr 1
		.amdhsa_next_free_sgpr 1
		.amdhsa_named_barrier_count 0
		.amdhsa_reserve_vcc 0
		.amdhsa_float_round_mode_32 0
		.amdhsa_float_round_mode_16_64 0
		.amdhsa_float_denorm_mode_32 3
		.amdhsa_float_denorm_mode_16_64 3
		.amdhsa_fp16_overflow 0
		.amdhsa_memory_ordered 1
		.amdhsa_forward_progress 1
		.amdhsa_inst_pref_size 0
		.amdhsa_round_robin_scheduling 0
		.amdhsa_exception_fp_ieee_invalid_op 0
		.amdhsa_exception_fp_denorm_src 0
		.amdhsa_exception_fp_ieee_div_zero 0
		.amdhsa_exception_fp_ieee_overflow 0
		.amdhsa_exception_fp_ieee_underflow 0
		.amdhsa_exception_fp_ieee_inexact 0
		.amdhsa_exception_int_div_zero 0
	.end_amdhsa_kernel
	.section	.text._ZN7rocprim17ROCPRIM_400000_NS6detail17trampoline_kernelINS0_14default_configENS1_27scan_by_key_config_selectorIxxEEZZNS1_16scan_by_key_implILNS1_25lookback_scan_determinismE0ELb1ES3_N6thrust23THRUST_200600_302600_NS6detail15normal_iteratorINS9_10device_ptrIxEEEESE_SE_xNS9_4plusIvEENS9_8equal_toIxEExEE10hipError_tPvRmT2_T3_T4_T5_mT6_T7_P12ihipStream_tbENKUlT_T0_E_clISt17integral_constantIbLb1EESZ_EEDaSU_SV_EUlSU_E_NS1_11comp_targetILNS1_3genE10ELNS1_11target_archE1201ELNS1_3gpuE5ELNS1_3repE0EEENS1_30default_config_static_selectorELNS0_4arch9wavefront6targetE0EEEvT1_,"axG",@progbits,_ZN7rocprim17ROCPRIM_400000_NS6detail17trampoline_kernelINS0_14default_configENS1_27scan_by_key_config_selectorIxxEEZZNS1_16scan_by_key_implILNS1_25lookback_scan_determinismE0ELb1ES3_N6thrust23THRUST_200600_302600_NS6detail15normal_iteratorINS9_10device_ptrIxEEEESE_SE_xNS9_4plusIvEENS9_8equal_toIxEExEE10hipError_tPvRmT2_T3_T4_T5_mT6_T7_P12ihipStream_tbENKUlT_T0_E_clISt17integral_constantIbLb1EESZ_EEDaSU_SV_EUlSU_E_NS1_11comp_targetILNS1_3genE10ELNS1_11target_archE1201ELNS1_3gpuE5ELNS1_3repE0EEENS1_30default_config_static_selectorELNS0_4arch9wavefront6targetE0EEEvT1_,comdat
.Lfunc_end435:
	.size	_ZN7rocprim17ROCPRIM_400000_NS6detail17trampoline_kernelINS0_14default_configENS1_27scan_by_key_config_selectorIxxEEZZNS1_16scan_by_key_implILNS1_25lookback_scan_determinismE0ELb1ES3_N6thrust23THRUST_200600_302600_NS6detail15normal_iteratorINS9_10device_ptrIxEEEESE_SE_xNS9_4plusIvEENS9_8equal_toIxEExEE10hipError_tPvRmT2_T3_T4_T5_mT6_T7_P12ihipStream_tbENKUlT_T0_E_clISt17integral_constantIbLb1EESZ_EEDaSU_SV_EUlSU_E_NS1_11comp_targetILNS1_3genE10ELNS1_11target_archE1201ELNS1_3gpuE5ELNS1_3repE0EEENS1_30default_config_static_selectorELNS0_4arch9wavefront6targetE0EEEvT1_, .Lfunc_end435-_ZN7rocprim17ROCPRIM_400000_NS6detail17trampoline_kernelINS0_14default_configENS1_27scan_by_key_config_selectorIxxEEZZNS1_16scan_by_key_implILNS1_25lookback_scan_determinismE0ELb1ES3_N6thrust23THRUST_200600_302600_NS6detail15normal_iteratorINS9_10device_ptrIxEEEESE_SE_xNS9_4plusIvEENS9_8equal_toIxEExEE10hipError_tPvRmT2_T3_T4_T5_mT6_T7_P12ihipStream_tbENKUlT_T0_E_clISt17integral_constantIbLb1EESZ_EEDaSU_SV_EUlSU_E_NS1_11comp_targetILNS1_3genE10ELNS1_11target_archE1201ELNS1_3gpuE5ELNS1_3repE0EEENS1_30default_config_static_selectorELNS0_4arch9wavefront6targetE0EEEvT1_
                                        ; -- End function
	.set _ZN7rocprim17ROCPRIM_400000_NS6detail17trampoline_kernelINS0_14default_configENS1_27scan_by_key_config_selectorIxxEEZZNS1_16scan_by_key_implILNS1_25lookback_scan_determinismE0ELb1ES3_N6thrust23THRUST_200600_302600_NS6detail15normal_iteratorINS9_10device_ptrIxEEEESE_SE_xNS9_4plusIvEENS9_8equal_toIxEExEE10hipError_tPvRmT2_T3_T4_T5_mT6_T7_P12ihipStream_tbENKUlT_T0_E_clISt17integral_constantIbLb1EESZ_EEDaSU_SV_EUlSU_E_NS1_11comp_targetILNS1_3genE10ELNS1_11target_archE1201ELNS1_3gpuE5ELNS1_3repE0EEENS1_30default_config_static_selectorELNS0_4arch9wavefront6targetE0EEEvT1_.num_vgpr, 0
	.set _ZN7rocprim17ROCPRIM_400000_NS6detail17trampoline_kernelINS0_14default_configENS1_27scan_by_key_config_selectorIxxEEZZNS1_16scan_by_key_implILNS1_25lookback_scan_determinismE0ELb1ES3_N6thrust23THRUST_200600_302600_NS6detail15normal_iteratorINS9_10device_ptrIxEEEESE_SE_xNS9_4plusIvEENS9_8equal_toIxEExEE10hipError_tPvRmT2_T3_T4_T5_mT6_T7_P12ihipStream_tbENKUlT_T0_E_clISt17integral_constantIbLb1EESZ_EEDaSU_SV_EUlSU_E_NS1_11comp_targetILNS1_3genE10ELNS1_11target_archE1201ELNS1_3gpuE5ELNS1_3repE0EEENS1_30default_config_static_selectorELNS0_4arch9wavefront6targetE0EEEvT1_.num_agpr, 0
	.set _ZN7rocprim17ROCPRIM_400000_NS6detail17trampoline_kernelINS0_14default_configENS1_27scan_by_key_config_selectorIxxEEZZNS1_16scan_by_key_implILNS1_25lookback_scan_determinismE0ELb1ES3_N6thrust23THRUST_200600_302600_NS6detail15normal_iteratorINS9_10device_ptrIxEEEESE_SE_xNS9_4plusIvEENS9_8equal_toIxEExEE10hipError_tPvRmT2_T3_T4_T5_mT6_T7_P12ihipStream_tbENKUlT_T0_E_clISt17integral_constantIbLb1EESZ_EEDaSU_SV_EUlSU_E_NS1_11comp_targetILNS1_3genE10ELNS1_11target_archE1201ELNS1_3gpuE5ELNS1_3repE0EEENS1_30default_config_static_selectorELNS0_4arch9wavefront6targetE0EEEvT1_.numbered_sgpr, 0
	.set _ZN7rocprim17ROCPRIM_400000_NS6detail17trampoline_kernelINS0_14default_configENS1_27scan_by_key_config_selectorIxxEEZZNS1_16scan_by_key_implILNS1_25lookback_scan_determinismE0ELb1ES3_N6thrust23THRUST_200600_302600_NS6detail15normal_iteratorINS9_10device_ptrIxEEEESE_SE_xNS9_4plusIvEENS9_8equal_toIxEExEE10hipError_tPvRmT2_T3_T4_T5_mT6_T7_P12ihipStream_tbENKUlT_T0_E_clISt17integral_constantIbLb1EESZ_EEDaSU_SV_EUlSU_E_NS1_11comp_targetILNS1_3genE10ELNS1_11target_archE1201ELNS1_3gpuE5ELNS1_3repE0EEENS1_30default_config_static_selectorELNS0_4arch9wavefront6targetE0EEEvT1_.num_named_barrier, 0
	.set _ZN7rocprim17ROCPRIM_400000_NS6detail17trampoline_kernelINS0_14default_configENS1_27scan_by_key_config_selectorIxxEEZZNS1_16scan_by_key_implILNS1_25lookback_scan_determinismE0ELb1ES3_N6thrust23THRUST_200600_302600_NS6detail15normal_iteratorINS9_10device_ptrIxEEEESE_SE_xNS9_4plusIvEENS9_8equal_toIxEExEE10hipError_tPvRmT2_T3_T4_T5_mT6_T7_P12ihipStream_tbENKUlT_T0_E_clISt17integral_constantIbLb1EESZ_EEDaSU_SV_EUlSU_E_NS1_11comp_targetILNS1_3genE10ELNS1_11target_archE1201ELNS1_3gpuE5ELNS1_3repE0EEENS1_30default_config_static_selectorELNS0_4arch9wavefront6targetE0EEEvT1_.private_seg_size, 0
	.set _ZN7rocprim17ROCPRIM_400000_NS6detail17trampoline_kernelINS0_14default_configENS1_27scan_by_key_config_selectorIxxEEZZNS1_16scan_by_key_implILNS1_25lookback_scan_determinismE0ELb1ES3_N6thrust23THRUST_200600_302600_NS6detail15normal_iteratorINS9_10device_ptrIxEEEESE_SE_xNS9_4plusIvEENS9_8equal_toIxEExEE10hipError_tPvRmT2_T3_T4_T5_mT6_T7_P12ihipStream_tbENKUlT_T0_E_clISt17integral_constantIbLb1EESZ_EEDaSU_SV_EUlSU_E_NS1_11comp_targetILNS1_3genE10ELNS1_11target_archE1201ELNS1_3gpuE5ELNS1_3repE0EEENS1_30default_config_static_selectorELNS0_4arch9wavefront6targetE0EEEvT1_.uses_vcc, 0
	.set _ZN7rocprim17ROCPRIM_400000_NS6detail17trampoline_kernelINS0_14default_configENS1_27scan_by_key_config_selectorIxxEEZZNS1_16scan_by_key_implILNS1_25lookback_scan_determinismE0ELb1ES3_N6thrust23THRUST_200600_302600_NS6detail15normal_iteratorINS9_10device_ptrIxEEEESE_SE_xNS9_4plusIvEENS9_8equal_toIxEExEE10hipError_tPvRmT2_T3_T4_T5_mT6_T7_P12ihipStream_tbENKUlT_T0_E_clISt17integral_constantIbLb1EESZ_EEDaSU_SV_EUlSU_E_NS1_11comp_targetILNS1_3genE10ELNS1_11target_archE1201ELNS1_3gpuE5ELNS1_3repE0EEENS1_30default_config_static_selectorELNS0_4arch9wavefront6targetE0EEEvT1_.uses_flat_scratch, 0
	.set _ZN7rocprim17ROCPRIM_400000_NS6detail17trampoline_kernelINS0_14default_configENS1_27scan_by_key_config_selectorIxxEEZZNS1_16scan_by_key_implILNS1_25lookback_scan_determinismE0ELb1ES3_N6thrust23THRUST_200600_302600_NS6detail15normal_iteratorINS9_10device_ptrIxEEEESE_SE_xNS9_4plusIvEENS9_8equal_toIxEExEE10hipError_tPvRmT2_T3_T4_T5_mT6_T7_P12ihipStream_tbENKUlT_T0_E_clISt17integral_constantIbLb1EESZ_EEDaSU_SV_EUlSU_E_NS1_11comp_targetILNS1_3genE10ELNS1_11target_archE1201ELNS1_3gpuE5ELNS1_3repE0EEENS1_30default_config_static_selectorELNS0_4arch9wavefront6targetE0EEEvT1_.has_dyn_sized_stack, 0
	.set _ZN7rocprim17ROCPRIM_400000_NS6detail17trampoline_kernelINS0_14default_configENS1_27scan_by_key_config_selectorIxxEEZZNS1_16scan_by_key_implILNS1_25lookback_scan_determinismE0ELb1ES3_N6thrust23THRUST_200600_302600_NS6detail15normal_iteratorINS9_10device_ptrIxEEEESE_SE_xNS9_4plusIvEENS9_8equal_toIxEExEE10hipError_tPvRmT2_T3_T4_T5_mT6_T7_P12ihipStream_tbENKUlT_T0_E_clISt17integral_constantIbLb1EESZ_EEDaSU_SV_EUlSU_E_NS1_11comp_targetILNS1_3genE10ELNS1_11target_archE1201ELNS1_3gpuE5ELNS1_3repE0EEENS1_30default_config_static_selectorELNS0_4arch9wavefront6targetE0EEEvT1_.has_recursion, 0
	.set _ZN7rocprim17ROCPRIM_400000_NS6detail17trampoline_kernelINS0_14default_configENS1_27scan_by_key_config_selectorIxxEEZZNS1_16scan_by_key_implILNS1_25lookback_scan_determinismE0ELb1ES3_N6thrust23THRUST_200600_302600_NS6detail15normal_iteratorINS9_10device_ptrIxEEEESE_SE_xNS9_4plusIvEENS9_8equal_toIxEExEE10hipError_tPvRmT2_T3_T4_T5_mT6_T7_P12ihipStream_tbENKUlT_T0_E_clISt17integral_constantIbLb1EESZ_EEDaSU_SV_EUlSU_E_NS1_11comp_targetILNS1_3genE10ELNS1_11target_archE1201ELNS1_3gpuE5ELNS1_3repE0EEENS1_30default_config_static_selectorELNS0_4arch9wavefront6targetE0EEEvT1_.has_indirect_call, 0
	.section	.AMDGPU.csdata,"",@progbits
; Kernel info:
; codeLenInByte = 0
; TotalNumSgprs: 0
; NumVgprs: 0
; ScratchSize: 0
; MemoryBound: 0
; FloatMode: 240
; IeeeMode: 1
; LDSByteSize: 0 bytes/workgroup (compile time only)
; SGPRBlocks: 0
; VGPRBlocks: 0
; NumSGPRsForWavesPerEU: 1
; NumVGPRsForWavesPerEU: 1
; NamedBarCnt: 0
; Occupancy: 16
; WaveLimiterHint : 0
; COMPUTE_PGM_RSRC2:SCRATCH_EN: 0
; COMPUTE_PGM_RSRC2:USER_SGPR: 2
; COMPUTE_PGM_RSRC2:TRAP_HANDLER: 0
; COMPUTE_PGM_RSRC2:TGID_X_EN: 1
; COMPUTE_PGM_RSRC2:TGID_Y_EN: 0
; COMPUTE_PGM_RSRC2:TGID_Z_EN: 0
; COMPUTE_PGM_RSRC2:TIDIG_COMP_CNT: 0
	.section	.text._ZN7rocprim17ROCPRIM_400000_NS6detail17trampoline_kernelINS0_14default_configENS1_27scan_by_key_config_selectorIxxEEZZNS1_16scan_by_key_implILNS1_25lookback_scan_determinismE0ELb1ES3_N6thrust23THRUST_200600_302600_NS6detail15normal_iteratorINS9_10device_ptrIxEEEESE_SE_xNS9_4plusIvEENS9_8equal_toIxEExEE10hipError_tPvRmT2_T3_T4_T5_mT6_T7_P12ihipStream_tbENKUlT_T0_E_clISt17integral_constantIbLb1EESZ_EEDaSU_SV_EUlSU_E_NS1_11comp_targetILNS1_3genE5ELNS1_11target_archE942ELNS1_3gpuE9ELNS1_3repE0EEENS1_30default_config_static_selectorELNS0_4arch9wavefront6targetE0EEEvT1_,"axG",@progbits,_ZN7rocprim17ROCPRIM_400000_NS6detail17trampoline_kernelINS0_14default_configENS1_27scan_by_key_config_selectorIxxEEZZNS1_16scan_by_key_implILNS1_25lookback_scan_determinismE0ELb1ES3_N6thrust23THRUST_200600_302600_NS6detail15normal_iteratorINS9_10device_ptrIxEEEESE_SE_xNS9_4plusIvEENS9_8equal_toIxEExEE10hipError_tPvRmT2_T3_T4_T5_mT6_T7_P12ihipStream_tbENKUlT_T0_E_clISt17integral_constantIbLb1EESZ_EEDaSU_SV_EUlSU_E_NS1_11comp_targetILNS1_3genE5ELNS1_11target_archE942ELNS1_3gpuE9ELNS1_3repE0EEENS1_30default_config_static_selectorELNS0_4arch9wavefront6targetE0EEEvT1_,comdat
	.protected	_ZN7rocprim17ROCPRIM_400000_NS6detail17trampoline_kernelINS0_14default_configENS1_27scan_by_key_config_selectorIxxEEZZNS1_16scan_by_key_implILNS1_25lookback_scan_determinismE0ELb1ES3_N6thrust23THRUST_200600_302600_NS6detail15normal_iteratorINS9_10device_ptrIxEEEESE_SE_xNS9_4plusIvEENS9_8equal_toIxEExEE10hipError_tPvRmT2_T3_T4_T5_mT6_T7_P12ihipStream_tbENKUlT_T0_E_clISt17integral_constantIbLb1EESZ_EEDaSU_SV_EUlSU_E_NS1_11comp_targetILNS1_3genE5ELNS1_11target_archE942ELNS1_3gpuE9ELNS1_3repE0EEENS1_30default_config_static_selectorELNS0_4arch9wavefront6targetE0EEEvT1_ ; -- Begin function _ZN7rocprim17ROCPRIM_400000_NS6detail17trampoline_kernelINS0_14default_configENS1_27scan_by_key_config_selectorIxxEEZZNS1_16scan_by_key_implILNS1_25lookback_scan_determinismE0ELb1ES3_N6thrust23THRUST_200600_302600_NS6detail15normal_iteratorINS9_10device_ptrIxEEEESE_SE_xNS9_4plusIvEENS9_8equal_toIxEExEE10hipError_tPvRmT2_T3_T4_T5_mT6_T7_P12ihipStream_tbENKUlT_T0_E_clISt17integral_constantIbLb1EESZ_EEDaSU_SV_EUlSU_E_NS1_11comp_targetILNS1_3genE5ELNS1_11target_archE942ELNS1_3gpuE9ELNS1_3repE0EEENS1_30default_config_static_selectorELNS0_4arch9wavefront6targetE0EEEvT1_
	.globl	_ZN7rocprim17ROCPRIM_400000_NS6detail17trampoline_kernelINS0_14default_configENS1_27scan_by_key_config_selectorIxxEEZZNS1_16scan_by_key_implILNS1_25lookback_scan_determinismE0ELb1ES3_N6thrust23THRUST_200600_302600_NS6detail15normal_iteratorINS9_10device_ptrIxEEEESE_SE_xNS9_4plusIvEENS9_8equal_toIxEExEE10hipError_tPvRmT2_T3_T4_T5_mT6_T7_P12ihipStream_tbENKUlT_T0_E_clISt17integral_constantIbLb1EESZ_EEDaSU_SV_EUlSU_E_NS1_11comp_targetILNS1_3genE5ELNS1_11target_archE942ELNS1_3gpuE9ELNS1_3repE0EEENS1_30default_config_static_selectorELNS0_4arch9wavefront6targetE0EEEvT1_
	.p2align	8
	.type	_ZN7rocprim17ROCPRIM_400000_NS6detail17trampoline_kernelINS0_14default_configENS1_27scan_by_key_config_selectorIxxEEZZNS1_16scan_by_key_implILNS1_25lookback_scan_determinismE0ELb1ES3_N6thrust23THRUST_200600_302600_NS6detail15normal_iteratorINS9_10device_ptrIxEEEESE_SE_xNS9_4plusIvEENS9_8equal_toIxEExEE10hipError_tPvRmT2_T3_T4_T5_mT6_T7_P12ihipStream_tbENKUlT_T0_E_clISt17integral_constantIbLb1EESZ_EEDaSU_SV_EUlSU_E_NS1_11comp_targetILNS1_3genE5ELNS1_11target_archE942ELNS1_3gpuE9ELNS1_3repE0EEENS1_30default_config_static_selectorELNS0_4arch9wavefront6targetE0EEEvT1_,@function
_ZN7rocprim17ROCPRIM_400000_NS6detail17trampoline_kernelINS0_14default_configENS1_27scan_by_key_config_selectorIxxEEZZNS1_16scan_by_key_implILNS1_25lookback_scan_determinismE0ELb1ES3_N6thrust23THRUST_200600_302600_NS6detail15normal_iteratorINS9_10device_ptrIxEEEESE_SE_xNS9_4plusIvEENS9_8equal_toIxEExEE10hipError_tPvRmT2_T3_T4_T5_mT6_T7_P12ihipStream_tbENKUlT_T0_E_clISt17integral_constantIbLb1EESZ_EEDaSU_SV_EUlSU_E_NS1_11comp_targetILNS1_3genE5ELNS1_11target_archE942ELNS1_3gpuE9ELNS1_3repE0EEENS1_30default_config_static_selectorELNS0_4arch9wavefront6targetE0EEEvT1_: ; @_ZN7rocprim17ROCPRIM_400000_NS6detail17trampoline_kernelINS0_14default_configENS1_27scan_by_key_config_selectorIxxEEZZNS1_16scan_by_key_implILNS1_25lookback_scan_determinismE0ELb1ES3_N6thrust23THRUST_200600_302600_NS6detail15normal_iteratorINS9_10device_ptrIxEEEESE_SE_xNS9_4plusIvEENS9_8equal_toIxEExEE10hipError_tPvRmT2_T3_T4_T5_mT6_T7_P12ihipStream_tbENKUlT_T0_E_clISt17integral_constantIbLb1EESZ_EEDaSU_SV_EUlSU_E_NS1_11comp_targetILNS1_3genE5ELNS1_11target_archE942ELNS1_3gpuE9ELNS1_3repE0EEENS1_30default_config_static_selectorELNS0_4arch9wavefront6targetE0EEEvT1_
; %bb.0:
	.section	.rodata,"a",@progbits
	.p2align	6, 0x0
	.amdhsa_kernel _ZN7rocprim17ROCPRIM_400000_NS6detail17trampoline_kernelINS0_14default_configENS1_27scan_by_key_config_selectorIxxEEZZNS1_16scan_by_key_implILNS1_25lookback_scan_determinismE0ELb1ES3_N6thrust23THRUST_200600_302600_NS6detail15normal_iteratorINS9_10device_ptrIxEEEESE_SE_xNS9_4plusIvEENS9_8equal_toIxEExEE10hipError_tPvRmT2_T3_T4_T5_mT6_T7_P12ihipStream_tbENKUlT_T0_E_clISt17integral_constantIbLb1EESZ_EEDaSU_SV_EUlSU_E_NS1_11comp_targetILNS1_3genE5ELNS1_11target_archE942ELNS1_3gpuE9ELNS1_3repE0EEENS1_30default_config_static_selectorELNS0_4arch9wavefront6targetE0EEEvT1_
		.amdhsa_group_segment_fixed_size 0
		.amdhsa_private_segment_fixed_size 0
		.amdhsa_kernarg_size 136
		.amdhsa_user_sgpr_count 2
		.amdhsa_user_sgpr_dispatch_ptr 0
		.amdhsa_user_sgpr_queue_ptr 0
		.amdhsa_user_sgpr_kernarg_segment_ptr 1
		.amdhsa_user_sgpr_dispatch_id 0
		.amdhsa_user_sgpr_kernarg_preload_length 0
		.amdhsa_user_sgpr_kernarg_preload_offset 0
		.amdhsa_user_sgpr_private_segment_size 0
		.amdhsa_wavefront_size32 1
		.amdhsa_uses_dynamic_stack 0
		.amdhsa_enable_private_segment 0
		.amdhsa_system_sgpr_workgroup_id_x 1
		.amdhsa_system_sgpr_workgroup_id_y 0
		.amdhsa_system_sgpr_workgroup_id_z 0
		.amdhsa_system_sgpr_workgroup_info 0
		.amdhsa_system_vgpr_workitem_id 0
		.amdhsa_next_free_vgpr 1
		.amdhsa_next_free_sgpr 1
		.amdhsa_named_barrier_count 0
		.amdhsa_reserve_vcc 0
		.amdhsa_float_round_mode_32 0
		.amdhsa_float_round_mode_16_64 0
		.amdhsa_float_denorm_mode_32 3
		.amdhsa_float_denorm_mode_16_64 3
		.amdhsa_fp16_overflow 0
		.amdhsa_memory_ordered 1
		.amdhsa_forward_progress 1
		.amdhsa_inst_pref_size 0
		.amdhsa_round_robin_scheduling 0
		.amdhsa_exception_fp_ieee_invalid_op 0
		.amdhsa_exception_fp_denorm_src 0
		.amdhsa_exception_fp_ieee_div_zero 0
		.amdhsa_exception_fp_ieee_overflow 0
		.amdhsa_exception_fp_ieee_underflow 0
		.amdhsa_exception_fp_ieee_inexact 0
		.amdhsa_exception_int_div_zero 0
	.end_amdhsa_kernel
	.section	.text._ZN7rocprim17ROCPRIM_400000_NS6detail17trampoline_kernelINS0_14default_configENS1_27scan_by_key_config_selectorIxxEEZZNS1_16scan_by_key_implILNS1_25lookback_scan_determinismE0ELb1ES3_N6thrust23THRUST_200600_302600_NS6detail15normal_iteratorINS9_10device_ptrIxEEEESE_SE_xNS9_4plusIvEENS9_8equal_toIxEExEE10hipError_tPvRmT2_T3_T4_T5_mT6_T7_P12ihipStream_tbENKUlT_T0_E_clISt17integral_constantIbLb1EESZ_EEDaSU_SV_EUlSU_E_NS1_11comp_targetILNS1_3genE5ELNS1_11target_archE942ELNS1_3gpuE9ELNS1_3repE0EEENS1_30default_config_static_selectorELNS0_4arch9wavefront6targetE0EEEvT1_,"axG",@progbits,_ZN7rocprim17ROCPRIM_400000_NS6detail17trampoline_kernelINS0_14default_configENS1_27scan_by_key_config_selectorIxxEEZZNS1_16scan_by_key_implILNS1_25lookback_scan_determinismE0ELb1ES3_N6thrust23THRUST_200600_302600_NS6detail15normal_iteratorINS9_10device_ptrIxEEEESE_SE_xNS9_4plusIvEENS9_8equal_toIxEExEE10hipError_tPvRmT2_T3_T4_T5_mT6_T7_P12ihipStream_tbENKUlT_T0_E_clISt17integral_constantIbLb1EESZ_EEDaSU_SV_EUlSU_E_NS1_11comp_targetILNS1_3genE5ELNS1_11target_archE942ELNS1_3gpuE9ELNS1_3repE0EEENS1_30default_config_static_selectorELNS0_4arch9wavefront6targetE0EEEvT1_,comdat
.Lfunc_end436:
	.size	_ZN7rocprim17ROCPRIM_400000_NS6detail17trampoline_kernelINS0_14default_configENS1_27scan_by_key_config_selectorIxxEEZZNS1_16scan_by_key_implILNS1_25lookback_scan_determinismE0ELb1ES3_N6thrust23THRUST_200600_302600_NS6detail15normal_iteratorINS9_10device_ptrIxEEEESE_SE_xNS9_4plusIvEENS9_8equal_toIxEExEE10hipError_tPvRmT2_T3_T4_T5_mT6_T7_P12ihipStream_tbENKUlT_T0_E_clISt17integral_constantIbLb1EESZ_EEDaSU_SV_EUlSU_E_NS1_11comp_targetILNS1_3genE5ELNS1_11target_archE942ELNS1_3gpuE9ELNS1_3repE0EEENS1_30default_config_static_selectorELNS0_4arch9wavefront6targetE0EEEvT1_, .Lfunc_end436-_ZN7rocprim17ROCPRIM_400000_NS6detail17trampoline_kernelINS0_14default_configENS1_27scan_by_key_config_selectorIxxEEZZNS1_16scan_by_key_implILNS1_25lookback_scan_determinismE0ELb1ES3_N6thrust23THRUST_200600_302600_NS6detail15normal_iteratorINS9_10device_ptrIxEEEESE_SE_xNS9_4plusIvEENS9_8equal_toIxEExEE10hipError_tPvRmT2_T3_T4_T5_mT6_T7_P12ihipStream_tbENKUlT_T0_E_clISt17integral_constantIbLb1EESZ_EEDaSU_SV_EUlSU_E_NS1_11comp_targetILNS1_3genE5ELNS1_11target_archE942ELNS1_3gpuE9ELNS1_3repE0EEENS1_30default_config_static_selectorELNS0_4arch9wavefront6targetE0EEEvT1_
                                        ; -- End function
	.set _ZN7rocprim17ROCPRIM_400000_NS6detail17trampoline_kernelINS0_14default_configENS1_27scan_by_key_config_selectorIxxEEZZNS1_16scan_by_key_implILNS1_25lookback_scan_determinismE0ELb1ES3_N6thrust23THRUST_200600_302600_NS6detail15normal_iteratorINS9_10device_ptrIxEEEESE_SE_xNS9_4plusIvEENS9_8equal_toIxEExEE10hipError_tPvRmT2_T3_T4_T5_mT6_T7_P12ihipStream_tbENKUlT_T0_E_clISt17integral_constantIbLb1EESZ_EEDaSU_SV_EUlSU_E_NS1_11comp_targetILNS1_3genE5ELNS1_11target_archE942ELNS1_3gpuE9ELNS1_3repE0EEENS1_30default_config_static_selectorELNS0_4arch9wavefront6targetE0EEEvT1_.num_vgpr, 0
	.set _ZN7rocprim17ROCPRIM_400000_NS6detail17trampoline_kernelINS0_14default_configENS1_27scan_by_key_config_selectorIxxEEZZNS1_16scan_by_key_implILNS1_25lookback_scan_determinismE0ELb1ES3_N6thrust23THRUST_200600_302600_NS6detail15normal_iteratorINS9_10device_ptrIxEEEESE_SE_xNS9_4plusIvEENS9_8equal_toIxEExEE10hipError_tPvRmT2_T3_T4_T5_mT6_T7_P12ihipStream_tbENKUlT_T0_E_clISt17integral_constantIbLb1EESZ_EEDaSU_SV_EUlSU_E_NS1_11comp_targetILNS1_3genE5ELNS1_11target_archE942ELNS1_3gpuE9ELNS1_3repE0EEENS1_30default_config_static_selectorELNS0_4arch9wavefront6targetE0EEEvT1_.num_agpr, 0
	.set _ZN7rocprim17ROCPRIM_400000_NS6detail17trampoline_kernelINS0_14default_configENS1_27scan_by_key_config_selectorIxxEEZZNS1_16scan_by_key_implILNS1_25lookback_scan_determinismE0ELb1ES3_N6thrust23THRUST_200600_302600_NS6detail15normal_iteratorINS9_10device_ptrIxEEEESE_SE_xNS9_4plusIvEENS9_8equal_toIxEExEE10hipError_tPvRmT2_T3_T4_T5_mT6_T7_P12ihipStream_tbENKUlT_T0_E_clISt17integral_constantIbLb1EESZ_EEDaSU_SV_EUlSU_E_NS1_11comp_targetILNS1_3genE5ELNS1_11target_archE942ELNS1_3gpuE9ELNS1_3repE0EEENS1_30default_config_static_selectorELNS0_4arch9wavefront6targetE0EEEvT1_.numbered_sgpr, 0
	.set _ZN7rocprim17ROCPRIM_400000_NS6detail17trampoline_kernelINS0_14default_configENS1_27scan_by_key_config_selectorIxxEEZZNS1_16scan_by_key_implILNS1_25lookback_scan_determinismE0ELb1ES3_N6thrust23THRUST_200600_302600_NS6detail15normal_iteratorINS9_10device_ptrIxEEEESE_SE_xNS9_4plusIvEENS9_8equal_toIxEExEE10hipError_tPvRmT2_T3_T4_T5_mT6_T7_P12ihipStream_tbENKUlT_T0_E_clISt17integral_constantIbLb1EESZ_EEDaSU_SV_EUlSU_E_NS1_11comp_targetILNS1_3genE5ELNS1_11target_archE942ELNS1_3gpuE9ELNS1_3repE0EEENS1_30default_config_static_selectorELNS0_4arch9wavefront6targetE0EEEvT1_.num_named_barrier, 0
	.set _ZN7rocprim17ROCPRIM_400000_NS6detail17trampoline_kernelINS0_14default_configENS1_27scan_by_key_config_selectorIxxEEZZNS1_16scan_by_key_implILNS1_25lookback_scan_determinismE0ELb1ES3_N6thrust23THRUST_200600_302600_NS6detail15normal_iteratorINS9_10device_ptrIxEEEESE_SE_xNS9_4plusIvEENS9_8equal_toIxEExEE10hipError_tPvRmT2_T3_T4_T5_mT6_T7_P12ihipStream_tbENKUlT_T0_E_clISt17integral_constantIbLb1EESZ_EEDaSU_SV_EUlSU_E_NS1_11comp_targetILNS1_3genE5ELNS1_11target_archE942ELNS1_3gpuE9ELNS1_3repE0EEENS1_30default_config_static_selectorELNS0_4arch9wavefront6targetE0EEEvT1_.private_seg_size, 0
	.set _ZN7rocprim17ROCPRIM_400000_NS6detail17trampoline_kernelINS0_14default_configENS1_27scan_by_key_config_selectorIxxEEZZNS1_16scan_by_key_implILNS1_25lookback_scan_determinismE0ELb1ES3_N6thrust23THRUST_200600_302600_NS6detail15normal_iteratorINS9_10device_ptrIxEEEESE_SE_xNS9_4plusIvEENS9_8equal_toIxEExEE10hipError_tPvRmT2_T3_T4_T5_mT6_T7_P12ihipStream_tbENKUlT_T0_E_clISt17integral_constantIbLb1EESZ_EEDaSU_SV_EUlSU_E_NS1_11comp_targetILNS1_3genE5ELNS1_11target_archE942ELNS1_3gpuE9ELNS1_3repE0EEENS1_30default_config_static_selectorELNS0_4arch9wavefront6targetE0EEEvT1_.uses_vcc, 0
	.set _ZN7rocprim17ROCPRIM_400000_NS6detail17trampoline_kernelINS0_14default_configENS1_27scan_by_key_config_selectorIxxEEZZNS1_16scan_by_key_implILNS1_25lookback_scan_determinismE0ELb1ES3_N6thrust23THRUST_200600_302600_NS6detail15normal_iteratorINS9_10device_ptrIxEEEESE_SE_xNS9_4plusIvEENS9_8equal_toIxEExEE10hipError_tPvRmT2_T3_T4_T5_mT6_T7_P12ihipStream_tbENKUlT_T0_E_clISt17integral_constantIbLb1EESZ_EEDaSU_SV_EUlSU_E_NS1_11comp_targetILNS1_3genE5ELNS1_11target_archE942ELNS1_3gpuE9ELNS1_3repE0EEENS1_30default_config_static_selectorELNS0_4arch9wavefront6targetE0EEEvT1_.uses_flat_scratch, 0
	.set _ZN7rocprim17ROCPRIM_400000_NS6detail17trampoline_kernelINS0_14default_configENS1_27scan_by_key_config_selectorIxxEEZZNS1_16scan_by_key_implILNS1_25lookback_scan_determinismE0ELb1ES3_N6thrust23THRUST_200600_302600_NS6detail15normal_iteratorINS9_10device_ptrIxEEEESE_SE_xNS9_4plusIvEENS9_8equal_toIxEExEE10hipError_tPvRmT2_T3_T4_T5_mT6_T7_P12ihipStream_tbENKUlT_T0_E_clISt17integral_constantIbLb1EESZ_EEDaSU_SV_EUlSU_E_NS1_11comp_targetILNS1_3genE5ELNS1_11target_archE942ELNS1_3gpuE9ELNS1_3repE0EEENS1_30default_config_static_selectorELNS0_4arch9wavefront6targetE0EEEvT1_.has_dyn_sized_stack, 0
	.set _ZN7rocprim17ROCPRIM_400000_NS6detail17trampoline_kernelINS0_14default_configENS1_27scan_by_key_config_selectorIxxEEZZNS1_16scan_by_key_implILNS1_25lookback_scan_determinismE0ELb1ES3_N6thrust23THRUST_200600_302600_NS6detail15normal_iteratorINS9_10device_ptrIxEEEESE_SE_xNS9_4plusIvEENS9_8equal_toIxEExEE10hipError_tPvRmT2_T3_T4_T5_mT6_T7_P12ihipStream_tbENKUlT_T0_E_clISt17integral_constantIbLb1EESZ_EEDaSU_SV_EUlSU_E_NS1_11comp_targetILNS1_3genE5ELNS1_11target_archE942ELNS1_3gpuE9ELNS1_3repE0EEENS1_30default_config_static_selectorELNS0_4arch9wavefront6targetE0EEEvT1_.has_recursion, 0
	.set _ZN7rocprim17ROCPRIM_400000_NS6detail17trampoline_kernelINS0_14default_configENS1_27scan_by_key_config_selectorIxxEEZZNS1_16scan_by_key_implILNS1_25lookback_scan_determinismE0ELb1ES3_N6thrust23THRUST_200600_302600_NS6detail15normal_iteratorINS9_10device_ptrIxEEEESE_SE_xNS9_4plusIvEENS9_8equal_toIxEExEE10hipError_tPvRmT2_T3_T4_T5_mT6_T7_P12ihipStream_tbENKUlT_T0_E_clISt17integral_constantIbLb1EESZ_EEDaSU_SV_EUlSU_E_NS1_11comp_targetILNS1_3genE5ELNS1_11target_archE942ELNS1_3gpuE9ELNS1_3repE0EEENS1_30default_config_static_selectorELNS0_4arch9wavefront6targetE0EEEvT1_.has_indirect_call, 0
	.section	.AMDGPU.csdata,"",@progbits
; Kernel info:
; codeLenInByte = 0
; TotalNumSgprs: 0
; NumVgprs: 0
; ScratchSize: 0
; MemoryBound: 0
; FloatMode: 240
; IeeeMode: 1
; LDSByteSize: 0 bytes/workgroup (compile time only)
; SGPRBlocks: 0
; VGPRBlocks: 0
; NumSGPRsForWavesPerEU: 1
; NumVGPRsForWavesPerEU: 1
; NamedBarCnt: 0
; Occupancy: 16
; WaveLimiterHint : 0
; COMPUTE_PGM_RSRC2:SCRATCH_EN: 0
; COMPUTE_PGM_RSRC2:USER_SGPR: 2
; COMPUTE_PGM_RSRC2:TRAP_HANDLER: 0
; COMPUTE_PGM_RSRC2:TGID_X_EN: 1
; COMPUTE_PGM_RSRC2:TGID_Y_EN: 0
; COMPUTE_PGM_RSRC2:TGID_Z_EN: 0
; COMPUTE_PGM_RSRC2:TIDIG_COMP_CNT: 0
	.section	.text._ZN7rocprim17ROCPRIM_400000_NS6detail17trampoline_kernelINS0_14default_configENS1_27scan_by_key_config_selectorIxxEEZZNS1_16scan_by_key_implILNS1_25lookback_scan_determinismE0ELb1ES3_N6thrust23THRUST_200600_302600_NS6detail15normal_iteratorINS9_10device_ptrIxEEEESE_SE_xNS9_4plusIvEENS9_8equal_toIxEExEE10hipError_tPvRmT2_T3_T4_T5_mT6_T7_P12ihipStream_tbENKUlT_T0_E_clISt17integral_constantIbLb1EESZ_EEDaSU_SV_EUlSU_E_NS1_11comp_targetILNS1_3genE4ELNS1_11target_archE910ELNS1_3gpuE8ELNS1_3repE0EEENS1_30default_config_static_selectorELNS0_4arch9wavefront6targetE0EEEvT1_,"axG",@progbits,_ZN7rocprim17ROCPRIM_400000_NS6detail17trampoline_kernelINS0_14default_configENS1_27scan_by_key_config_selectorIxxEEZZNS1_16scan_by_key_implILNS1_25lookback_scan_determinismE0ELb1ES3_N6thrust23THRUST_200600_302600_NS6detail15normal_iteratorINS9_10device_ptrIxEEEESE_SE_xNS9_4plusIvEENS9_8equal_toIxEExEE10hipError_tPvRmT2_T3_T4_T5_mT6_T7_P12ihipStream_tbENKUlT_T0_E_clISt17integral_constantIbLb1EESZ_EEDaSU_SV_EUlSU_E_NS1_11comp_targetILNS1_3genE4ELNS1_11target_archE910ELNS1_3gpuE8ELNS1_3repE0EEENS1_30default_config_static_selectorELNS0_4arch9wavefront6targetE0EEEvT1_,comdat
	.protected	_ZN7rocprim17ROCPRIM_400000_NS6detail17trampoline_kernelINS0_14default_configENS1_27scan_by_key_config_selectorIxxEEZZNS1_16scan_by_key_implILNS1_25lookback_scan_determinismE0ELb1ES3_N6thrust23THRUST_200600_302600_NS6detail15normal_iteratorINS9_10device_ptrIxEEEESE_SE_xNS9_4plusIvEENS9_8equal_toIxEExEE10hipError_tPvRmT2_T3_T4_T5_mT6_T7_P12ihipStream_tbENKUlT_T0_E_clISt17integral_constantIbLb1EESZ_EEDaSU_SV_EUlSU_E_NS1_11comp_targetILNS1_3genE4ELNS1_11target_archE910ELNS1_3gpuE8ELNS1_3repE0EEENS1_30default_config_static_selectorELNS0_4arch9wavefront6targetE0EEEvT1_ ; -- Begin function _ZN7rocprim17ROCPRIM_400000_NS6detail17trampoline_kernelINS0_14default_configENS1_27scan_by_key_config_selectorIxxEEZZNS1_16scan_by_key_implILNS1_25lookback_scan_determinismE0ELb1ES3_N6thrust23THRUST_200600_302600_NS6detail15normal_iteratorINS9_10device_ptrIxEEEESE_SE_xNS9_4plusIvEENS9_8equal_toIxEExEE10hipError_tPvRmT2_T3_T4_T5_mT6_T7_P12ihipStream_tbENKUlT_T0_E_clISt17integral_constantIbLb1EESZ_EEDaSU_SV_EUlSU_E_NS1_11comp_targetILNS1_3genE4ELNS1_11target_archE910ELNS1_3gpuE8ELNS1_3repE0EEENS1_30default_config_static_selectorELNS0_4arch9wavefront6targetE0EEEvT1_
	.globl	_ZN7rocprim17ROCPRIM_400000_NS6detail17trampoline_kernelINS0_14default_configENS1_27scan_by_key_config_selectorIxxEEZZNS1_16scan_by_key_implILNS1_25lookback_scan_determinismE0ELb1ES3_N6thrust23THRUST_200600_302600_NS6detail15normal_iteratorINS9_10device_ptrIxEEEESE_SE_xNS9_4plusIvEENS9_8equal_toIxEExEE10hipError_tPvRmT2_T3_T4_T5_mT6_T7_P12ihipStream_tbENKUlT_T0_E_clISt17integral_constantIbLb1EESZ_EEDaSU_SV_EUlSU_E_NS1_11comp_targetILNS1_3genE4ELNS1_11target_archE910ELNS1_3gpuE8ELNS1_3repE0EEENS1_30default_config_static_selectorELNS0_4arch9wavefront6targetE0EEEvT1_
	.p2align	8
	.type	_ZN7rocprim17ROCPRIM_400000_NS6detail17trampoline_kernelINS0_14default_configENS1_27scan_by_key_config_selectorIxxEEZZNS1_16scan_by_key_implILNS1_25lookback_scan_determinismE0ELb1ES3_N6thrust23THRUST_200600_302600_NS6detail15normal_iteratorINS9_10device_ptrIxEEEESE_SE_xNS9_4plusIvEENS9_8equal_toIxEExEE10hipError_tPvRmT2_T3_T4_T5_mT6_T7_P12ihipStream_tbENKUlT_T0_E_clISt17integral_constantIbLb1EESZ_EEDaSU_SV_EUlSU_E_NS1_11comp_targetILNS1_3genE4ELNS1_11target_archE910ELNS1_3gpuE8ELNS1_3repE0EEENS1_30default_config_static_selectorELNS0_4arch9wavefront6targetE0EEEvT1_,@function
_ZN7rocprim17ROCPRIM_400000_NS6detail17trampoline_kernelINS0_14default_configENS1_27scan_by_key_config_selectorIxxEEZZNS1_16scan_by_key_implILNS1_25lookback_scan_determinismE0ELb1ES3_N6thrust23THRUST_200600_302600_NS6detail15normal_iteratorINS9_10device_ptrIxEEEESE_SE_xNS9_4plusIvEENS9_8equal_toIxEExEE10hipError_tPvRmT2_T3_T4_T5_mT6_T7_P12ihipStream_tbENKUlT_T0_E_clISt17integral_constantIbLb1EESZ_EEDaSU_SV_EUlSU_E_NS1_11comp_targetILNS1_3genE4ELNS1_11target_archE910ELNS1_3gpuE8ELNS1_3repE0EEENS1_30default_config_static_selectorELNS0_4arch9wavefront6targetE0EEEvT1_: ; @_ZN7rocprim17ROCPRIM_400000_NS6detail17trampoline_kernelINS0_14default_configENS1_27scan_by_key_config_selectorIxxEEZZNS1_16scan_by_key_implILNS1_25lookback_scan_determinismE0ELb1ES3_N6thrust23THRUST_200600_302600_NS6detail15normal_iteratorINS9_10device_ptrIxEEEESE_SE_xNS9_4plusIvEENS9_8equal_toIxEExEE10hipError_tPvRmT2_T3_T4_T5_mT6_T7_P12ihipStream_tbENKUlT_T0_E_clISt17integral_constantIbLb1EESZ_EEDaSU_SV_EUlSU_E_NS1_11comp_targetILNS1_3genE4ELNS1_11target_archE910ELNS1_3gpuE8ELNS1_3repE0EEENS1_30default_config_static_selectorELNS0_4arch9wavefront6targetE0EEEvT1_
; %bb.0:
	.section	.rodata,"a",@progbits
	.p2align	6, 0x0
	.amdhsa_kernel _ZN7rocprim17ROCPRIM_400000_NS6detail17trampoline_kernelINS0_14default_configENS1_27scan_by_key_config_selectorIxxEEZZNS1_16scan_by_key_implILNS1_25lookback_scan_determinismE0ELb1ES3_N6thrust23THRUST_200600_302600_NS6detail15normal_iteratorINS9_10device_ptrIxEEEESE_SE_xNS9_4plusIvEENS9_8equal_toIxEExEE10hipError_tPvRmT2_T3_T4_T5_mT6_T7_P12ihipStream_tbENKUlT_T0_E_clISt17integral_constantIbLb1EESZ_EEDaSU_SV_EUlSU_E_NS1_11comp_targetILNS1_3genE4ELNS1_11target_archE910ELNS1_3gpuE8ELNS1_3repE0EEENS1_30default_config_static_selectorELNS0_4arch9wavefront6targetE0EEEvT1_
		.amdhsa_group_segment_fixed_size 0
		.amdhsa_private_segment_fixed_size 0
		.amdhsa_kernarg_size 136
		.amdhsa_user_sgpr_count 2
		.amdhsa_user_sgpr_dispatch_ptr 0
		.amdhsa_user_sgpr_queue_ptr 0
		.amdhsa_user_sgpr_kernarg_segment_ptr 1
		.amdhsa_user_sgpr_dispatch_id 0
		.amdhsa_user_sgpr_kernarg_preload_length 0
		.amdhsa_user_sgpr_kernarg_preload_offset 0
		.amdhsa_user_sgpr_private_segment_size 0
		.amdhsa_wavefront_size32 1
		.amdhsa_uses_dynamic_stack 0
		.amdhsa_enable_private_segment 0
		.amdhsa_system_sgpr_workgroup_id_x 1
		.amdhsa_system_sgpr_workgroup_id_y 0
		.amdhsa_system_sgpr_workgroup_id_z 0
		.amdhsa_system_sgpr_workgroup_info 0
		.amdhsa_system_vgpr_workitem_id 0
		.amdhsa_next_free_vgpr 1
		.amdhsa_next_free_sgpr 1
		.amdhsa_named_barrier_count 0
		.amdhsa_reserve_vcc 0
		.amdhsa_float_round_mode_32 0
		.amdhsa_float_round_mode_16_64 0
		.amdhsa_float_denorm_mode_32 3
		.amdhsa_float_denorm_mode_16_64 3
		.amdhsa_fp16_overflow 0
		.amdhsa_memory_ordered 1
		.amdhsa_forward_progress 1
		.amdhsa_inst_pref_size 0
		.amdhsa_round_robin_scheduling 0
		.amdhsa_exception_fp_ieee_invalid_op 0
		.amdhsa_exception_fp_denorm_src 0
		.amdhsa_exception_fp_ieee_div_zero 0
		.amdhsa_exception_fp_ieee_overflow 0
		.amdhsa_exception_fp_ieee_underflow 0
		.amdhsa_exception_fp_ieee_inexact 0
		.amdhsa_exception_int_div_zero 0
	.end_amdhsa_kernel
	.section	.text._ZN7rocprim17ROCPRIM_400000_NS6detail17trampoline_kernelINS0_14default_configENS1_27scan_by_key_config_selectorIxxEEZZNS1_16scan_by_key_implILNS1_25lookback_scan_determinismE0ELb1ES3_N6thrust23THRUST_200600_302600_NS6detail15normal_iteratorINS9_10device_ptrIxEEEESE_SE_xNS9_4plusIvEENS9_8equal_toIxEExEE10hipError_tPvRmT2_T3_T4_T5_mT6_T7_P12ihipStream_tbENKUlT_T0_E_clISt17integral_constantIbLb1EESZ_EEDaSU_SV_EUlSU_E_NS1_11comp_targetILNS1_3genE4ELNS1_11target_archE910ELNS1_3gpuE8ELNS1_3repE0EEENS1_30default_config_static_selectorELNS0_4arch9wavefront6targetE0EEEvT1_,"axG",@progbits,_ZN7rocprim17ROCPRIM_400000_NS6detail17trampoline_kernelINS0_14default_configENS1_27scan_by_key_config_selectorIxxEEZZNS1_16scan_by_key_implILNS1_25lookback_scan_determinismE0ELb1ES3_N6thrust23THRUST_200600_302600_NS6detail15normal_iteratorINS9_10device_ptrIxEEEESE_SE_xNS9_4plusIvEENS9_8equal_toIxEExEE10hipError_tPvRmT2_T3_T4_T5_mT6_T7_P12ihipStream_tbENKUlT_T0_E_clISt17integral_constantIbLb1EESZ_EEDaSU_SV_EUlSU_E_NS1_11comp_targetILNS1_3genE4ELNS1_11target_archE910ELNS1_3gpuE8ELNS1_3repE0EEENS1_30default_config_static_selectorELNS0_4arch9wavefront6targetE0EEEvT1_,comdat
.Lfunc_end437:
	.size	_ZN7rocprim17ROCPRIM_400000_NS6detail17trampoline_kernelINS0_14default_configENS1_27scan_by_key_config_selectorIxxEEZZNS1_16scan_by_key_implILNS1_25lookback_scan_determinismE0ELb1ES3_N6thrust23THRUST_200600_302600_NS6detail15normal_iteratorINS9_10device_ptrIxEEEESE_SE_xNS9_4plusIvEENS9_8equal_toIxEExEE10hipError_tPvRmT2_T3_T4_T5_mT6_T7_P12ihipStream_tbENKUlT_T0_E_clISt17integral_constantIbLb1EESZ_EEDaSU_SV_EUlSU_E_NS1_11comp_targetILNS1_3genE4ELNS1_11target_archE910ELNS1_3gpuE8ELNS1_3repE0EEENS1_30default_config_static_selectorELNS0_4arch9wavefront6targetE0EEEvT1_, .Lfunc_end437-_ZN7rocprim17ROCPRIM_400000_NS6detail17trampoline_kernelINS0_14default_configENS1_27scan_by_key_config_selectorIxxEEZZNS1_16scan_by_key_implILNS1_25lookback_scan_determinismE0ELb1ES3_N6thrust23THRUST_200600_302600_NS6detail15normal_iteratorINS9_10device_ptrIxEEEESE_SE_xNS9_4plusIvEENS9_8equal_toIxEExEE10hipError_tPvRmT2_T3_T4_T5_mT6_T7_P12ihipStream_tbENKUlT_T0_E_clISt17integral_constantIbLb1EESZ_EEDaSU_SV_EUlSU_E_NS1_11comp_targetILNS1_3genE4ELNS1_11target_archE910ELNS1_3gpuE8ELNS1_3repE0EEENS1_30default_config_static_selectorELNS0_4arch9wavefront6targetE0EEEvT1_
                                        ; -- End function
	.set _ZN7rocprim17ROCPRIM_400000_NS6detail17trampoline_kernelINS0_14default_configENS1_27scan_by_key_config_selectorIxxEEZZNS1_16scan_by_key_implILNS1_25lookback_scan_determinismE0ELb1ES3_N6thrust23THRUST_200600_302600_NS6detail15normal_iteratorINS9_10device_ptrIxEEEESE_SE_xNS9_4plusIvEENS9_8equal_toIxEExEE10hipError_tPvRmT2_T3_T4_T5_mT6_T7_P12ihipStream_tbENKUlT_T0_E_clISt17integral_constantIbLb1EESZ_EEDaSU_SV_EUlSU_E_NS1_11comp_targetILNS1_3genE4ELNS1_11target_archE910ELNS1_3gpuE8ELNS1_3repE0EEENS1_30default_config_static_selectorELNS0_4arch9wavefront6targetE0EEEvT1_.num_vgpr, 0
	.set _ZN7rocprim17ROCPRIM_400000_NS6detail17trampoline_kernelINS0_14default_configENS1_27scan_by_key_config_selectorIxxEEZZNS1_16scan_by_key_implILNS1_25lookback_scan_determinismE0ELb1ES3_N6thrust23THRUST_200600_302600_NS6detail15normal_iteratorINS9_10device_ptrIxEEEESE_SE_xNS9_4plusIvEENS9_8equal_toIxEExEE10hipError_tPvRmT2_T3_T4_T5_mT6_T7_P12ihipStream_tbENKUlT_T0_E_clISt17integral_constantIbLb1EESZ_EEDaSU_SV_EUlSU_E_NS1_11comp_targetILNS1_3genE4ELNS1_11target_archE910ELNS1_3gpuE8ELNS1_3repE0EEENS1_30default_config_static_selectorELNS0_4arch9wavefront6targetE0EEEvT1_.num_agpr, 0
	.set _ZN7rocprim17ROCPRIM_400000_NS6detail17trampoline_kernelINS0_14default_configENS1_27scan_by_key_config_selectorIxxEEZZNS1_16scan_by_key_implILNS1_25lookback_scan_determinismE0ELb1ES3_N6thrust23THRUST_200600_302600_NS6detail15normal_iteratorINS9_10device_ptrIxEEEESE_SE_xNS9_4plusIvEENS9_8equal_toIxEExEE10hipError_tPvRmT2_T3_T4_T5_mT6_T7_P12ihipStream_tbENKUlT_T0_E_clISt17integral_constantIbLb1EESZ_EEDaSU_SV_EUlSU_E_NS1_11comp_targetILNS1_3genE4ELNS1_11target_archE910ELNS1_3gpuE8ELNS1_3repE0EEENS1_30default_config_static_selectorELNS0_4arch9wavefront6targetE0EEEvT1_.numbered_sgpr, 0
	.set _ZN7rocprim17ROCPRIM_400000_NS6detail17trampoline_kernelINS0_14default_configENS1_27scan_by_key_config_selectorIxxEEZZNS1_16scan_by_key_implILNS1_25lookback_scan_determinismE0ELb1ES3_N6thrust23THRUST_200600_302600_NS6detail15normal_iteratorINS9_10device_ptrIxEEEESE_SE_xNS9_4plusIvEENS9_8equal_toIxEExEE10hipError_tPvRmT2_T3_T4_T5_mT6_T7_P12ihipStream_tbENKUlT_T0_E_clISt17integral_constantIbLb1EESZ_EEDaSU_SV_EUlSU_E_NS1_11comp_targetILNS1_3genE4ELNS1_11target_archE910ELNS1_3gpuE8ELNS1_3repE0EEENS1_30default_config_static_selectorELNS0_4arch9wavefront6targetE0EEEvT1_.num_named_barrier, 0
	.set _ZN7rocprim17ROCPRIM_400000_NS6detail17trampoline_kernelINS0_14default_configENS1_27scan_by_key_config_selectorIxxEEZZNS1_16scan_by_key_implILNS1_25lookback_scan_determinismE0ELb1ES3_N6thrust23THRUST_200600_302600_NS6detail15normal_iteratorINS9_10device_ptrIxEEEESE_SE_xNS9_4plusIvEENS9_8equal_toIxEExEE10hipError_tPvRmT2_T3_T4_T5_mT6_T7_P12ihipStream_tbENKUlT_T0_E_clISt17integral_constantIbLb1EESZ_EEDaSU_SV_EUlSU_E_NS1_11comp_targetILNS1_3genE4ELNS1_11target_archE910ELNS1_3gpuE8ELNS1_3repE0EEENS1_30default_config_static_selectorELNS0_4arch9wavefront6targetE0EEEvT1_.private_seg_size, 0
	.set _ZN7rocprim17ROCPRIM_400000_NS6detail17trampoline_kernelINS0_14default_configENS1_27scan_by_key_config_selectorIxxEEZZNS1_16scan_by_key_implILNS1_25lookback_scan_determinismE0ELb1ES3_N6thrust23THRUST_200600_302600_NS6detail15normal_iteratorINS9_10device_ptrIxEEEESE_SE_xNS9_4plusIvEENS9_8equal_toIxEExEE10hipError_tPvRmT2_T3_T4_T5_mT6_T7_P12ihipStream_tbENKUlT_T0_E_clISt17integral_constantIbLb1EESZ_EEDaSU_SV_EUlSU_E_NS1_11comp_targetILNS1_3genE4ELNS1_11target_archE910ELNS1_3gpuE8ELNS1_3repE0EEENS1_30default_config_static_selectorELNS0_4arch9wavefront6targetE0EEEvT1_.uses_vcc, 0
	.set _ZN7rocprim17ROCPRIM_400000_NS6detail17trampoline_kernelINS0_14default_configENS1_27scan_by_key_config_selectorIxxEEZZNS1_16scan_by_key_implILNS1_25lookback_scan_determinismE0ELb1ES3_N6thrust23THRUST_200600_302600_NS6detail15normal_iteratorINS9_10device_ptrIxEEEESE_SE_xNS9_4plusIvEENS9_8equal_toIxEExEE10hipError_tPvRmT2_T3_T4_T5_mT6_T7_P12ihipStream_tbENKUlT_T0_E_clISt17integral_constantIbLb1EESZ_EEDaSU_SV_EUlSU_E_NS1_11comp_targetILNS1_3genE4ELNS1_11target_archE910ELNS1_3gpuE8ELNS1_3repE0EEENS1_30default_config_static_selectorELNS0_4arch9wavefront6targetE0EEEvT1_.uses_flat_scratch, 0
	.set _ZN7rocprim17ROCPRIM_400000_NS6detail17trampoline_kernelINS0_14default_configENS1_27scan_by_key_config_selectorIxxEEZZNS1_16scan_by_key_implILNS1_25lookback_scan_determinismE0ELb1ES3_N6thrust23THRUST_200600_302600_NS6detail15normal_iteratorINS9_10device_ptrIxEEEESE_SE_xNS9_4plusIvEENS9_8equal_toIxEExEE10hipError_tPvRmT2_T3_T4_T5_mT6_T7_P12ihipStream_tbENKUlT_T0_E_clISt17integral_constantIbLb1EESZ_EEDaSU_SV_EUlSU_E_NS1_11comp_targetILNS1_3genE4ELNS1_11target_archE910ELNS1_3gpuE8ELNS1_3repE0EEENS1_30default_config_static_selectorELNS0_4arch9wavefront6targetE0EEEvT1_.has_dyn_sized_stack, 0
	.set _ZN7rocprim17ROCPRIM_400000_NS6detail17trampoline_kernelINS0_14default_configENS1_27scan_by_key_config_selectorIxxEEZZNS1_16scan_by_key_implILNS1_25lookback_scan_determinismE0ELb1ES3_N6thrust23THRUST_200600_302600_NS6detail15normal_iteratorINS9_10device_ptrIxEEEESE_SE_xNS9_4plusIvEENS9_8equal_toIxEExEE10hipError_tPvRmT2_T3_T4_T5_mT6_T7_P12ihipStream_tbENKUlT_T0_E_clISt17integral_constantIbLb1EESZ_EEDaSU_SV_EUlSU_E_NS1_11comp_targetILNS1_3genE4ELNS1_11target_archE910ELNS1_3gpuE8ELNS1_3repE0EEENS1_30default_config_static_selectorELNS0_4arch9wavefront6targetE0EEEvT1_.has_recursion, 0
	.set _ZN7rocprim17ROCPRIM_400000_NS6detail17trampoline_kernelINS0_14default_configENS1_27scan_by_key_config_selectorIxxEEZZNS1_16scan_by_key_implILNS1_25lookback_scan_determinismE0ELb1ES3_N6thrust23THRUST_200600_302600_NS6detail15normal_iteratorINS9_10device_ptrIxEEEESE_SE_xNS9_4plusIvEENS9_8equal_toIxEExEE10hipError_tPvRmT2_T3_T4_T5_mT6_T7_P12ihipStream_tbENKUlT_T0_E_clISt17integral_constantIbLb1EESZ_EEDaSU_SV_EUlSU_E_NS1_11comp_targetILNS1_3genE4ELNS1_11target_archE910ELNS1_3gpuE8ELNS1_3repE0EEENS1_30default_config_static_selectorELNS0_4arch9wavefront6targetE0EEEvT1_.has_indirect_call, 0
	.section	.AMDGPU.csdata,"",@progbits
; Kernel info:
; codeLenInByte = 0
; TotalNumSgprs: 0
; NumVgprs: 0
; ScratchSize: 0
; MemoryBound: 0
; FloatMode: 240
; IeeeMode: 1
; LDSByteSize: 0 bytes/workgroup (compile time only)
; SGPRBlocks: 0
; VGPRBlocks: 0
; NumSGPRsForWavesPerEU: 1
; NumVGPRsForWavesPerEU: 1
; NamedBarCnt: 0
; Occupancy: 16
; WaveLimiterHint : 0
; COMPUTE_PGM_RSRC2:SCRATCH_EN: 0
; COMPUTE_PGM_RSRC2:USER_SGPR: 2
; COMPUTE_PGM_RSRC2:TRAP_HANDLER: 0
; COMPUTE_PGM_RSRC2:TGID_X_EN: 1
; COMPUTE_PGM_RSRC2:TGID_Y_EN: 0
; COMPUTE_PGM_RSRC2:TGID_Z_EN: 0
; COMPUTE_PGM_RSRC2:TIDIG_COMP_CNT: 0
	.section	.text._ZN7rocprim17ROCPRIM_400000_NS6detail17trampoline_kernelINS0_14default_configENS1_27scan_by_key_config_selectorIxxEEZZNS1_16scan_by_key_implILNS1_25lookback_scan_determinismE0ELb1ES3_N6thrust23THRUST_200600_302600_NS6detail15normal_iteratorINS9_10device_ptrIxEEEESE_SE_xNS9_4plusIvEENS9_8equal_toIxEExEE10hipError_tPvRmT2_T3_T4_T5_mT6_T7_P12ihipStream_tbENKUlT_T0_E_clISt17integral_constantIbLb1EESZ_EEDaSU_SV_EUlSU_E_NS1_11comp_targetILNS1_3genE3ELNS1_11target_archE908ELNS1_3gpuE7ELNS1_3repE0EEENS1_30default_config_static_selectorELNS0_4arch9wavefront6targetE0EEEvT1_,"axG",@progbits,_ZN7rocprim17ROCPRIM_400000_NS6detail17trampoline_kernelINS0_14default_configENS1_27scan_by_key_config_selectorIxxEEZZNS1_16scan_by_key_implILNS1_25lookback_scan_determinismE0ELb1ES3_N6thrust23THRUST_200600_302600_NS6detail15normal_iteratorINS9_10device_ptrIxEEEESE_SE_xNS9_4plusIvEENS9_8equal_toIxEExEE10hipError_tPvRmT2_T3_T4_T5_mT6_T7_P12ihipStream_tbENKUlT_T0_E_clISt17integral_constantIbLb1EESZ_EEDaSU_SV_EUlSU_E_NS1_11comp_targetILNS1_3genE3ELNS1_11target_archE908ELNS1_3gpuE7ELNS1_3repE0EEENS1_30default_config_static_selectorELNS0_4arch9wavefront6targetE0EEEvT1_,comdat
	.protected	_ZN7rocprim17ROCPRIM_400000_NS6detail17trampoline_kernelINS0_14default_configENS1_27scan_by_key_config_selectorIxxEEZZNS1_16scan_by_key_implILNS1_25lookback_scan_determinismE0ELb1ES3_N6thrust23THRUST_200600_302600_NS6detail15normal_iteratorINS9_10device_ptrIxEEEESE_SE_xNS9_4plusIvEENS9_8equal_toIxEExEE10hipError_tPvRmT2_T3_T4_T5_mT6_T7_P12ihipStream_tbENKUlT_T0_E_clISt17integral_constantIbLb1EESZ_EEDaSU_SV_EUlSU_E_NS1_11comp_targetILNS1_3genE3ELNS1_11target_archE908ELNS1_3gpuE7ELNS1_3repE0EEENS1_30default_config_static_selectorELNS0_4arch9wavefront6targetE0EEEvT1_ ; -- Begin function _ZN7rocprim17ROCPRIM_400000_NS6detail17trampoline_kernelINS0_14default_configENS1_27scan_by_key_config_selectorIxxEEZZNS1_16scan_by_key_implILNS1_25lookback_scan_determinismE0ELb1ES3_N6thrust23THRUST_200600_302600_NS6detail15normal_iteratorINS9_10device_ptrIxEEEESE_SE_xNS9_4plusIvEENS9_8equal_toIxEExEE10hipError_tPvRmT2_T3_T4_T5_mT6_T7_P12ihipStream_tbENKUlT_T0_E_clISt17integral_constantIbLb1EESZ_EEDaSU_SV_EUlSU_E_NS1_11comp_targetILNS1_3genE3ELNS1_11target_archE908ELNS1_3gpuE7ELNS1_3repE0EEENS1_30default_config_static_selectorELNS0_4arch9wavefront6targetE0EEEvT1_
	.globl	_ZN7rocprim17ROCPRIM_400000_NS6detail17trampoline_kernelINS0_14default_configENS1_27scan_by_key_config_selectorIxxEEZZNS1_16scan_by_key_implILNS1_25lookback_scan_determinismE0ELb1ES3_N6thrust23THRUST_200600_302600_NS6detail15normal_iteratorINS9_10device_ptrIxEEEESE_SE_xNS9_4plusIvEENS9_8equal_toIxEExEE10hipError_tPvRmT2_T3_T4_T5_mT6_T7_P12ihipStream_tbENKUlT_T0_E_clISt17integral_constantIbLb1EESZ_EEDaSU_SV_EUlSU_E_NS1_11comp_targetILNS1_3genE3ELNS1_11target_archE908ELNS1_3gpuE7ELNS1_3repE0EEENS1_30default_config_static_selectorELNS0_4arch9wavefront6targetE0EEEvT1_
	.p2align	8
	.type	_ZN7rocprim17ROCPRIM_400000_NS6detail17trampoline_kernelINS0_14default_configENS1_27scan_by_key_config_selectorIxxEEZZNS1_16scan_by_key_implILNS1_25lookback_scan_determinismE0ELb1ES3_N6thrust23THRUST_200600_302600_NS6detail15normal_iteratorINS9_10device_ptrIxEEEESE_SE_xNS9_4plusIvEENS9_8equal_toIxEExEE10hipError_tPvRmT2_T3_T4_T5_mT6_T7_P12ihipStream_tbENKUlT_T0_E_clISt17integral_constantIbLb1EESZ_EEDaSU_SV_EUlSU_E_NS1_11comp_targetILNS1_3genE3ELNS1_11target_archE908ELNS1_3gpuE7ELNS1_3repE0EEENS1_30default_config_static_selectorELNS0_4arch9wavefront6targetE0EEEvT1_,@function
_ZN7rocprim17ROCPRIM_400000_NS6detail17trampoline_kernelINS0_14default_configENS1_27scan_by_key_config_selectorIxxEEZZNS1_16scan_by_key_implILNS1_25lookback_scan_determinismE0ELb1ES3_N6thrust23THRUST_200600_302600_NS6detail15normal_iteratorINS9_10device_ptrIxEEEESE_SE_xNS9_4plusIvEENS9_8equal_toIxEExEE10hipError_tPvRmT2_T3_T4_T5_mT6_T7_P12ihipStream_tbENKUlT_T0_E_clISt17integral_constantIbLb1EESZ_EEDaSU_SV_EUlSU_E_NS1_11comp_targetILNS1_3genE3ELNS1_11target_archE908ELNS1_3gpuE7ELNS1_3repE0EEENS1_30default_config_static_selectorELNS0_4arch9wavefront6targetE0EEEvT1_: ; @_ZN7rocprim17ROCPRIM_400000_NS6detail17trampoline_kernelINS0_14default_configENS1_27scan_by_key_config_selectorIxxEEZZNS1_16scan_by_key_implILNS1_25lookback_scan_determinismE0ELb1ES3_N6thrust23THRUST_200600_302600_NS6detail15normal_iteratorINS9_10device_ptrIxEEEESE_SE_xNS9_4plusIvEENS9_8equal_toIxEExEE10hipError_tPvRmT2_T3_T4_T5_mT6_T7_P12ihipStream_tbENKUlT_T0_E_clISt17integral_constantIbLb1EESZ_EEDaSU_SV_EUlSU_E_NS1_11comp_targetILNS1_3genE3ELNS1_11target_archE908ELNS1_3gpuE7ELNS1_3repE0EEENS1_30default_config_static_selectorELNS0_4arch9wavefront6targetE0EEEvT1_
; %bb.0:
	.section	.rodata,"a",@progbits
	.p2align	6, 0x0
	.amdhsa_kernel _ZN7rocprim17ROCPRIM_400000_NS6detail17trampoline_kernelINS0_14default_configENS1_27scan_by_key_config_selectorIxxEEZZNS1_16scan_by_key_implILNS1_25lookback_scan_determinismE0ELb1ES3_N6thrust23THRUST_200600_302600_NS6detail15normal_iteratorINS9_10device_ptrIxEEEESE_SE_xNS9_4plusIvEENS9_8equal_toIxEExEE10hipError_tPvRmT2_T3_T4_T5_mT6_T7_P12ihipStream_tbENKUlT_T0_E_clISt17integral_constantIbLb1EESZ_EEDaSU_SV_EUlSU_E_NS1_11comp_targetILNS1_3genE3ELNS1_11target_archE908ELNS1_3gpuE7ELNS1_3repE0EEENS1_30default_config_static_selectorELNS0_4arch9wavefront6targetE0EEEvT1_
		.amdhsa_group_segment_fixed_size 0
		.amdhsa_private_segment_fixed_size 0
		.amdhsa_kernarg_size 136
		.amdhsa_user_sgpr_count 2
		.amdhsa_user_sgpr_dispatch_ptr 0
		.amdhsa_user_sgpr_queue_ptr 0
		.amdhsa_user_sgpr_kernarg_segment_ptr 1
		.amdhsa_user_sgpr_dispatch_id 0
		.amdhsa_user_sgpr_kernarg_preload_length 0
		.amdhsa_user_sgpr_kernarg_preload_offset 0
		.amdhsa_user_sgpr_private_segment_size 0
		.amdhsa_wavefront_size32 1
		.amdhsa_uses_dynamic_stack 0
		.amdhsa_enable_private_segment 0
		.amdhsa_system_sgpr_workgroup_id_x 1
		.amdhsa_system_sgpr_workgroup_id_y 0
		.amdhsa_system_sgpr_workgroup_id_z 0
		.amdhsa_system_sgpr_workgroup_info 0
		.amdhsa_system_vgpr_workitem_id 0
		.amdhsa_next_free_vgpr 1
		.amdhsa_next_free_sgpr 1
		.amdhsa_named_barrier_count 0
		.amdhsa_reserve_vcc 0
		.amdhsa_float_round_mode_32 0
		.amdhsa_float_round_mode_16_64 0
		.amdhsa_float_denorm_mode_32 3
		.amdhsa_float_denorm_mode_16_64 3
		.amdhsa_fp16_overflow 0
		.amdhsa_memory_ordered 1
		.amdhsa_forward_progress 1
		.amdhsa_inst_pref_size 0
		.amdhsa_round_robin_scheduling 0
		.amdhsa_exception_fp_ieee_invalid_op 0
		.amdhsa_exception_fp_denorm_src 0
		.amdhsa_exception_fp_ieee_div_zero 0
		.amdhsa_exception_fp_ieee_overflow 0
		.amdhsa_exception_fp_ieee_underflow 0
		.amdhsa_exception_fp_ieee_inexact 0
		.amdhsa_exception_int_div_zero 0
	.end_amdhsa_kernel
	.section	.text._ZN7rocprim17ROCPRIM_400000_NS6detail17trampoline_kernelINS0_14default_configENS1_27scan_by_key_config_selectorIxxEEZZNS1_16scan_by_key_implILNS1_25lookback_scan_determinismE0ELb1ES3_N6thrust23THRUST_200600_302600_NS6detail15normal_iteratorINS9_10device_ptrIxEEEESE_SE_xNS9_4plusIvEENS9_8equal_toIxEExEE10hipError_tPvRmT2_T3_T4_T5_mT6_T7_P12ihipStream_tbENKUlT_T0_E_clISt17integral_constantIbLb1EESZ_EEDaSU_SV_EUlSU_E_NS1_11comp_targetILNS1_3genE3ELNS1_11target_archE908ELNS1_3gpuE7ELNS1_3repE0EEENS1_30default_config_static_selectorELNS0_4arch9wavefront6targetE0EEEvT1_,"axG",@progbits,_ZN7rocprim17ROCPRIM_400000_NS6detail17trampoline_kernelINS0_14default_configENS1_27scan_by_key_config_selectorIxxEEZZNS1_16scan_by_key_implILNS1_25lookback_scan_determinismE0ELb1ES3_N6thrust23THRUST_200600_302600_NS6detail15normal_iteratorINS9_10device_ptrIxEEEESE_SE_xNS9_4plusIvEENS9_8equal_toIxEExEE10hipError_tPvRmT2_T3_T4_T5_mT6_T7_P12ihipStream_tbENKUlT_T0_E_clISt17integral_constantIbLb1EESZ_EEDaSU_SV_EUlSU_E_NS1_11comp_targetILNS1_3genE3ELNS1_11target_archE908ELNS1_3gpuE7ELNS1_3repE0EEENS1_30default_config_static_selectorELNS0_4arch9wavefront6targetE0EEEvT1_,comdat
.Lfunc_end438:
	.size	_ZN7rocprim17ROCPRIM_400000_NS6detail17trampoline_kernelINS0_14default_configENS1_27scan_by_key_config_selectorIxxEEZZNS1_16scan_by_key_implILNS1_25lookback_scan_determinismE0ELb1ES3_N6thrust23THRUST_200600_302600_NS6detail15normal_iteratorINS9_10device_ptrIxEEEESE_SE_xNS9_4plusIvEENS9_8equal_toIxEExEE10hipError_tPvRmT2_T3_T4_T5_mT6_T7_P12ihipStream_tbENKUlT_T0_E_clISt17integral_constantIbLb1EESZ_EEDaSU_SV_EUlSU_E_NS1_11comp_targetILNS1_3genE3ELNS1_11target_archE908ELNS1_3gpuE7ELNS1_3repE0EEENS1_30default_config_static_selectorELNS0_4arch9wavefront6targetE0EEEvT1_, .Lfunc_end438-_ZN7rocprim17ROCPRIM_400000_NS6detail17trampoline_kernelINS0_14default_configENS1_27scan_by_key_config_selectorIxxEEZZNS1_16scan_by_key_implILNS1_25lookback_scan_determinismE0ELb1ES3_N6thrust23THRUST_200600_302600_NS6detail15normal_iteratorINS9_10device_ptrIxEEEESE_SE_xNS9_4plusIvEENS9_8equal_toIxEExEE10hipError_tPvRmT2_T3_T4_T5_mT6_T7_P12ihipStream_tbENKUlT_T0_E_clISt17integral_constantIbLb1EESZ_EEDaSU_SV_EUlSU_E_NS1_11comp_targetILNS1_3genE3ELNS1_11target_archE908ELNS1_3gpuE7ELNS1_3repE0EEENS1_30default_config_static_selectorELNS0_4arch9wavefront6targetE0EEEvT1_
                                        ; -- End function
	.set _ZN7rocprim17ROCPRIM_400000_NS6detail17trampoline_kernelINS0_14default_configENS1_27scan_by_key_config_selectorIxxEEZZNS1_16scan_by_key_implILNS1_25lookback_scan_determinismE0ELb1ES3_N6thrust23THRUST_200600_302600_NS6detail15normal_iteratorINS9_10device_ptrIxEEEESE_SE_xNS9_4plusIvEENS9_8equal_toIxEExEE10hipError_tPvRmT2_T3_T4_T5_mT6_T7_P12ihipStream_tbENKUlT_T0_E_clISt17integral_constantIbLb1EESZ_EEDaSU_SV_EUlSU_E_NS1_11comp_targetILNS1_3genE3ELNS1_11target_archE908ELNS1_3gpuE7ELNS1_3repE0EEENS1_30default_config_static_selectorELNS0_4arch9wavefront6targetE0EEEvT1_.num_vgpr, 0
	.set _ZN7rocprim17ROCPRIM_400000_NS6detail17trampoline_kernelINS0_14default_configENS1_27scan_by_key_config_selectorIxxEEZZNS1_16scan_by_key_implILNS1_25lookback_scan_determinismE0ELb1ES3_N6thrust23THRUST_200600_302600_NS6detail15normal_iteratorINS9_10device_ptrIxEEEESE_SE_xNS9_4plusIvEENS9_8equal_toIxEExEE10hipError_tPvRmT2_T3_T4_T5_mT6_T7_P12ihipStream_tbENKUlT_T0_E_clISt17integral_constantIbLb1EESZ_EEDaSU_SV_EUlSU_E_NS1_11comp_targetILNS1_3genE3ELNS1_11target_archE908ELNS1_3gpuE7ELNS1_3repE0EEENS1_30default_config_static_selectorELNS0_4arch9wavefront6targetE0EEEvT1_.num_agpr, 0
	.set _ZN7rocprim17ROCPRIM_400000_NS6detail17trampoline_kernelINS0_14default_configENS1_27scan_by_key_config_selectorIxxEEZZNS1_16scan_by_key_implILNS1_25lookback_scan_determinismE0ELb1ES3_N6thrust23THRUST_200600_302600_NS6detail15normal_iteratorINS9_10device_ptrIxEEEESE_SE_xNS9_4plusIvEENS9_8equal_toIxEExEE10hipError_tPvRmT2_T3_T4_T5_mT6_T7_P12ihipStream_tbENKUlT_T0_E_clISt17integral_constantIbLb1EESZ_EEDaSU_SV_EUlSU_E_NS1_11comp_targetILNS1_3genE3ELNS1_11target_archE908ELNS1_3gpuE7ELNS1_3repE0EEENS1_30default_config_static_selectorELNS0_4arch9wavefront6targetE0EEEvT1_.numbered_sgpr, 0
	.set _ZN7rocprim17ROCPRIM_400000_NS6detail17trampoline_kernelINS0_14default_configENS1_27scan_by_key_config_selectorIxxEEZZNS1_16scan_by_key_implILNS1_25lookback_scan_determinismE0ELb1ES3_N6thrust23THRUST_200600_302600_NS6detail15normal_iteratorINS9_10device_ptrIxEEEESE_SE_xNS9_4plusIvEENS9_8equal_toIxEExEE10hipError_tPvRmT2_T3_T4_T5_mT6_T7_P12ihipStream_tbENKUlT_T0_E_clISt17integral_constantIbLb1EESZ_EEDaSU_SV_EUlSU_E_NS1_11comp_targetILNS1_3genE3ELNS1_11target_archE908ELNS1_3gpuE7ELNS1_3repE0EEENS1_30default_config_static_selectorELNS0_4arch9wavefront6targetE0EEEvT1_.num_named_barrier, 0
	.set _ZN7rocprim17ROCPRIM_400000_NS6detail17trampoline_kernelINS0_14default_configENS1_27scan_by_key_config_selectorIxxEEZZNS1_16scan_by_key_implILNS1_25lookback_scan_determinismE0ELb1ES3_N6thrust23THRUST_200600_302600_NS6detail15normal_iteratorINS9_10device_ptrIxEEEESE_SE_xNS9_4plusIvEENS9_8equal_toIxEExEE10hipError_tPvRmT2_T3_T4_T5_mT6_T7_P12ihipStream_tbENKUlT_T0_E_clISt17integral_constantIbLb1EESZ_EEDaSU_SV_EUlSU_E_NS1_11comp_targetILNS1_3genE3ELNS1_11target_archE908ELNS1_3gpuE7ELNS1_3repE0EEENS1_30default_config_static_selectorELNS0_4arch9wavefront6targetE0EEEvT1_.private_seg_size, 0
	.set _ZN7rocprim17ROCPRIM_400000_NS6detail17trampoline_kernelINS0_14default_configENS1_27scan_by_key_config_selectorIxxEEZZNS1_16scan_by_key_implILNS1_25lookback_scan_determinismE0ELb1ES3_N6thrust23THRUST_200600_302600_NS6detail15normal_iteratorINS9_10device_ptrIxEEEESE_SE_xNS9_4plusIvEENS9_8equal_toIxEExEE10hipError_tPvRmT2_T3_T4_T5_mT6_T7_P12ihipStream_tbENKUlT_T0_E_clISt17integral_constantIbLb1EESZ_EEDaSU_SV_EUlSU_E_NS1_11comp_targetILNS1_3genE3ELNS1_11target_archE908ELNS1_3gpuE7ELNS1_3repE0EEENS1_30default_config_static_selectorELNS0_4arch9wavefront6targetE0EEEvT1_.uses_vcc, 0
	.set _ZN7rocprim17ROCPRIM_400000_NS6detail17trampoline_kernelINS0_14default_configENS1_27scan_by_key_config_selectorIxxEEZZNS1_16scan_by_key_implILNS1_25lookback_scan_determinismE0ELb1ES3_N6thrust23THRUST_200600_302600_NS6detail15normal_iteratorINS9_10device_ptrIxEEEESE_SE_xNS9_4plusIvEENS9_8equal_toIxEExEE10hipError_tPvRmT2_T3_T4_T5_mT6_T7_P12ihipStream_tbENKUlT_T0_E_clISt17integral_constantIbLb1EESZ_EEDaSU_SV_EUlSU_E_NS1_11comp_targetILNS1_3genE3ELNS1_11target_archE908ELNS1_3gpuE7ELNS1_3repE0EEENS1_30default_config_static_selectorELNS0_4arch9wavefront6targetE0EEEvT1_.uses_flat_scratch, 0
	.set _ZN7rocprim17ROCPRIM_400000_NS6detail17trampoline_kernelINS0_14default_configENS1_27scan_by_key_config_selectorIxxEEZZNS1_16scan_by_key_implILNS1_25lookback_scan_determinismE0ELb1ES3_N6thrust23THRUST_200600_302600_NS6detail15normal_iteratorINS9_10device_ptrIxEEEESE_SE_xNS9_4plusIvEENS9_8equal_toIxEExEE10hipError_tPvRmT2_T3_T4_T5_mT6_T7_P12ihipStream_tbENKUlT_T0_E_clISt17integral_constantIbLb1EESZ_EEDaSU_SV_EUlSU_E_NS1_11comp_targetILNS1_3genE3ELNS1_11target_archE908ELNS1_3gpuE7ELNS1_3repE0EEENS1_30default_config_static_selectorELNS0_4arch9wavefront6targetE0EEEvT1_.has_dyn_sized_stack, 0
	.set _ZN7rocprim17ROCPRIM_400000_NS6detail17trampoline_kernelINS0_14default_configENS1_27scan_by_key_config_selectorIxxEEZZNS1_16scan_by_key_implILNS1_25lookback_scan_determinismE0ELb1ES3_N6thrust23THRUST_200600_302600_NS6detail15normal_iteratorINS9_10device_ptrIxEEEESE_SE_xNS9_4plusIvEENS9_8equal_toIxEExEE10hipError_tPvRmT2_T3_T4_T5_mT6_T7_P12ihipStream_tbENKUlT_T0_E_clISt17integral_constantIbLb1EESZ_EEDaSU_SV_EUlSU_E_NS1_11comp_targetILNS1_3genE3ELNS1_11target_archE908ELNS1_3gpuE7ELNS1_3repE0EEENS1_30default_config_static_selectorELNS0_4arch9wavefront6targetE0EEEvT1_.has_recursion, 0
	.set _ZN7rocprim17ROCPRIM_400000_NS6detail17trampoline_kernelINS0_14default_configENS1_27scan_by_key_config_selectorIxxEEZZNS1_16scan_by_key_implILNS1_25lookback_scan_determinismE0ELb1ES3_N6thrust23THRUST_200600_302600_NS6detail15normal_iteratorINS9_10device_ptrIxEEEESE_SE_xNS9_4plusIvEENS9_8equal_toIxEExEE10hipError_tPvRmT2_T3_T4_T5_mT6_T7_P12ihipStream_tbENKUlT_T0_E_clISt17integral_constantIbLb1EESZ_EEDaSU_SV_EUlSU_E_NS1_11comp_targetILNS1_3genE3ELNS1_11target_archE908ELNS1_3gpuE7ELNS1_3repE0EEENS1_30default_config_static_selectorELNS0_4arch9wavefront6targetE0EEEvT1_.has_indirect_call, 0
	.section	.AMDGPU.csdata,"",@progbits
; Kernel info:
; codeLenInByte = 0
; TotalNumSgprs: 0
; NumVgprs: 0
; ScratchSize: 0
; MemoryBound: 0
; FloatMode: 240
; IeeeMode: 1
; LDSByteSize: 0 bytes/workgroup (compile time only)
; SGPRBlocks: 0
; VGPRBlocks: 0
; NumSGPRsForWavesPerEU: 1
; NumVGPRsForWavesPerEU: 1
; NamedBarCnt: 0
; Occupancy: 16
; WaveLimiterHint : 0
; COMPUTE_PGM_RSRC2:SCRATCH_EN: 0
; COMPUTE_PGM_RSRC2:USER_SGPR: 2
; COMPUTE_PGM_RSRC2:TRAP_HANDLER: 0
; COMPUTE_PGM_RSRC2:TGID_X_EN: 1
; COMPUTE_PGM_RSRC2:TGID_Y_EN: 0
; COMPUTE_PGM_RSRC2:TGID_Z_EN: 0
; COMPUTE_PGM_RSRC2:TIDIG_COMP_CNT: 0
	.section	.text._ZN7rocprim17ROCPRIM_400000_NS6detail17trampoline_kernelINS0_14default_configENS1_27scan_by_key_config_selectorIxxEEZZNS1_16scan_by_key_implILNS1_25lookback_scan_determinismE0ELb1ES3_N6thrust23THRUST_200600_302600_NS6detail15normal_iteratorINS9_10device_ptrIxEEEESE_SE_xNS9_4plusIvEENS9_8equal_toIxEExEE10hipError_tPvRmT2_T3_T4_T5_mT6_T7_P12ihipStream_tbENKUlT_T0_E_clISt17integral_constantIbLb1EESZ_EEDaSU_SV_EUlSU_E_NS1_11comp_targetILNS1_3genE2ELNS1_11target_archE906ELNS1_3gpuE6ELNS1_3repE0EEENS1_30default_config_static_selectorELNS0_4arch9wavefront6targetE0EEEvT1_,"axG",@progbits,_ZN7rocprim17ROCPRIM_400000_NS6detail17trampoline_kernelINS0_14default_configENS1_27scan_by_key_config_selectorIxxEEZZNS1_16scan_by_key_implILNS1_25lookback_scan_determinismE0ELb1ES3_N6thrust23THRUST_200600_302600_NS6detail15normal_iteratorINS9_10device_ptrIxEEEESE_SE_xNS9_4plusIvEENS9_8equal_toIxEExEE10hipError_tPvRmT2_T3_T4_T5_mT6_T7_P12ihipStream_tbENKUlT_T0_E_clISt17integral_constantIbLb1EESZ_EEDaSU_SV_EUlSU_E_NS1_11comp_targetILNS1_3genE2ELNS1_11target_archE906ELNS1_3gpuE6ELNS1_3repE0EEENS1_30default_config_static_selectorELNS0_4arch9wavefront6targetE0EEEvT1_,comdat
	.protected	_ZN7rocprim17ROCPRIM_400000_NS6detail17trampoline_kernelINS0_14default_configENS1_27scan_by_key_config_selectorIxxEEZZNS1_16scan_by_key_implILNS1_25lookback_scan_determinismE0ELb1ES3_N6thrust23THRUST_200600_302600_NS6detail15normal_iteratorINS9_10device_ptrIxEEEESE_SE_xNS9_4plusIvEENS9_8equal_toIxEExEE10hipError_tPvRmT2_T3_T4_T5_mT6_T7_P12ihipStream_tbENKUlT_T0_E_clISt17integral_constantIbLb1EESZ_EEDaSU_SV_EUlSU_E_NS1_11comp_targetILNS1_3genE2ELNS1_11target_archE906ELNS1_3gpuE6ELNS1_3repE0EEENS1_30default_config_static_selectorELNS0_4arch9wavefront6targetE0EEEvT1_ ; -- Begin function _ZN7rocprim17ROCPRIM_400000_NS6detail17trampoline_kernelINS0_14default_configENS1_27scan_by_key_config_selectorIxxEEZZNS1_16scan_by_key_implILNS1_25lookback_scan_determinismE0ELb1ES3_N6thrust23THRUST_200600_302600_NS6detail15normal_iteratorINS9_10device_ptrIxEEEESE_SE_xNS9_4plusIvEENS9_8equal_toIxEExEE10hipError_tPvRmT2_T3_T4_T5_mT6_T7_P12ihipStream_tbENKUlT_T0_E_clISt17integral_constantIbLb1EESZ_EEDaSU_SV_EUlSU_E_NS1_11comp_targetILNS1_3genE2ELNS1_11target_archE906ELNS1_3gpuE6ELNS1_3repE0EEENS1_30default_config_static_selectorELNS0_4arch9wavefront6targetE0EEEvT1_
	.globl	_ZN7rocprim17ROCPRIM_400000_NS6detail17trampoline_kernelINS0_14default_configENS1_27scan_by_key_config_selectorIxxEEZZNS1_16scan_by_key_implILNS1_25lookback_scan_determinismE0ELb1ES3_N6thrust23THRUST_200600_302600_NS6detail15normal_iteratorINS9_10device_ptrIxEEEESE_SE_xNS9_4plusIvEENS9_8equal_toIxEExEE10hipError_tPvRmT2_T3_T4_T5_mT6_T7_P12ihipStream_tbENKUlT_T0_E_clISt17integral_constantIbLb1EESZ_EEDaSU_SV_EUlSU_E_NS1_11comp_targetILNS1_3genE2ELNS1_11target_archE906ELNS1_3gpuE6ELNS1_3repE0EEENS1_30default_config_static_selectorELNS0_4arch9wavefront6targetE0EEEvT1_
	.p2align	8
	.type	_ZN7rocprim17ROCPRIM_400000_NS6detail17trampoline_kernelINS0_14default_configENS1_27scan_by_key_config_selectorIxxEEZZNS1_16scan_by_key_implILNS1_25lookback_scan_determinismE0ELb1ES3_N6thrust23THRUST_200600_302600_NS6detail15normal_iteratorINS9_10device_ptrIxEEEESE_SE_xNS9_4plusIvEENS9_8equal_toIxEExEE10hipError_tPvRmT2_T3_T4_T5_mT6_T7_P12ihipStream_tbENKUlT_T0_E_clISt17integral_constantIbLb1EESZ_EEDaSU_SV_EUlSU_E_NS1_11comp_targetILNS1_3genE2ELNS1_11target_archE906ELNS1_3gpuE6ELNS1_3repE0EEENS1_30default_config_static_selectorELNS0_4arch9wavefront6targetE0EEEvT1_,@function
_ZN7rocprim17ROCPRIM_400000_NS6detail17trampoline_kernelINS0_14default_configENS1_27scan_by_key_config_selectorIxxEEZZNS1_16scan_by_key_implILNS1_25lookback_scan_determinismE0ELb1ES3_N6thrust23THRUST_200600_302600_NS6detail15normal_iteratorINS9_10device_ptrIxEEEESE_SE_xNS9_4plusIvEENS9_8equal_toIxEExEE10hipError_tPvRmT2_T3_T4_T5_mT6_T7_P12ihipStream_tbENKUlT_T0_E_clISt17integral_constantIbLb1EESZ_EEDaSU_SV_EUlSU_E_NS1_11comp_targetILNS1_3genE2ELNS1_11target_archE906ELNS1_3gpuE6ELNS1_3repE0EEENS1_30default_config_static_selectorELNS0_4arch9wavefront6targetE0EEEvT1_: ; @_ZN7rocprim17ROCPRIM_400000_NS6detail17trampoline_kernelINS0_14default_configENS1_27scan_by_key_config_selectorIxxEEZZNS1_16scan_by_key_implILNS1_25lookback_scan_determinismE0ELb1ES3_N6thrust23THRUST_200600_302600_NS6detail15normal_iteratorINS9_10device_ptrIxEEEESE_SE_xNS9_4plusIvEENS9_8equal_toIxEExEE10hipError_tPvRmT2_T3_T4_T5_mT6_T7_P12ihipStream_tbENKUlT_T0_E_clISt17integral_constantIbLb1EESZ_EEDaSU_SV_EUlSU_E_NS1_11comp_targetILNS1_3genE2ELNS1_11target_archE906ELNS1_3gpuE6ELNS1_3repE0EEENS1_30default_config_static_selectorELNS0_4arch9wavefront6targetE0EEEvT1_
; %bb.0:
	.section	.rodata,"a",@progbits
	.p2align	6, 0x0
	.amdhsa_kernel _ZN7rocprim17ROCPRIM_400000_NS6detail17trampoline_kernelINS0_14default_configENS1_27scan_by_key_config_selectorIxxEEZZNS1_16scan_by_key_implILNS1_25lookback_scan_determinismE0ELb1ES3_N6thrust23THRUST_200600_302600_NS6detail15normal_iteratorINS9_10device_ptrIxEEEESE_SE_xNS9_4plusIvEENS9_8equal_toIxEExEE10hipError_tPvRmT2_T3_T4_T5_mT6_T7_P12ihipStream_tbENKUlT_T0_E_clISt17integral_constantIbLb1EESZ_EEDaSU_SV_EUlSU_E_NS1_11comp_targetILNS1_3genE2ELNS1_11target_archE906ELNS1_3gpuE6ELNS1_3repE0EEENS1_30default_config_static_selectorELNS0_4arch9wavefront6targetE0EEEvT1_
		.amdhsa_group_segment_fixed_size 0
		.amdhsa_private_segment_fixed_size 0
		.amdhsa_kernarg_size 136
		.amdhsa_user_sgpr_count 2
		.amdhsa_user_sgpr_dispatch_ptr 0
		.amdhsa_user_sgpr_queue_ptr 0
		.amdhsa_user_sgpr_kernarg_segment_ptr 1
		.amdhsa_user_sgpr_dispatch_id 0
		.amdhsa_user_sgpr_kernarg_preload_length 0
		.amdhsa_user_sgpr_kernarg_preload_offset 0
		.amdhsa_user_sgpr_private_segment_size 0
		.amdhsa_wavefront_size32 1
		.amdhsa_uses_dynamic_stack 0
		.amdhsa_enable_private_segment 0
		.amdhsa_system_sgpr_workgroup_id_x 1
		.amdhsa_system_sgpr_workgroup_id_y 0
		.amdhsa_system_sgpr_workgroup_id_z 0
		.amdhsa_system_sgpr_workgroup_info 0
		.amdhsa_system_vgpr_workitem_id 0
		.amdhsa_next_free_vgpr 1
		.amdhsa_next_free_sgpr 1
		.amdhsa_named_barrier_count 0
		.amdhsa_reserve_vcc 0
		.amdhsa_float_round_mode_32 0
		.amdhsa_float_round_mode_16_64 0
		.amdhsa_float_denorm_mode_32 3
		.amdhsa_float_denorm_mode_16_64 3
		.amdhsa_fp16_overflow 0
		.amdhsa_memory_ordered 1
		.amdhsa_forward_progress 1
		.amdhsa_inst_pref_size 0
		.amdhsa_round_robin_scheduling 0
		.amdhsa_exception_fp_ieee_invalid_op 0
		.amdhsa_exception_fp_denorm_src 0
		.amdhsa_exception_fp_ieee_div_zero 0
		.amdhsa_exception_fp_ieee_overflow 0
		.amdhsa_exception_fp_ieee_underflow 0
		.amdhsa_exception_fp_ieee_inexact 0
		.amdhsa_exception_int_div_zero 0
	.end_amdhsa_kernel
	.section	.text._ZN7rocprim17ROCPRIM_400000_NS6detail17trampoline_kernelINS0_14default_configENS1_27scan_by_key_config_selectorIxxEEZZNS1_16scan_by_key_implILNS1_25lookback_scan_determinismE0ELb1ES3_N6thrust23THRUST_200600_302600_NS6detail15normal_iteratorINS9_10device_ptrIxEEEESE_SE_xNS9_4plusIvEENS9_8equal_toIxEExEE10hipError_tPvRmT2_T3_T4_T5_mT6_T7_P12ihipStream_tbENKUlT_T0_E_clISt17integral_constantIbLb1EESZ_EEDaSU_SV_EUlSU_E_NS1_11comp_targetILNS1_3genE2ELNS1_11target_archE906ELNS1_3gpuE6ELNS1_3repE0EEENS1_30default_config_static_selectorELNS0_4arch9wavefront6targetE0EEEvT1_,"axG",@progbits,_ZN7rocprim17ROCPRIM_400000_NS6detail17trampoline_kernelINS0_14default_configENS1_27scan_by_key_config_selectorIxxEEZZNS1_16scan_by_key_implILNS1_25lookback_scan_determinismE0ELb1ES3_N6thrust23THRUST_200600_302600_NS6detail15normal_iteratorINS9_10device_ptrIxEEEESE_SE_xNS9_4plusIvEENS9_8equal_toIxEExEE10hipError_tPvRmT2_T3_T4_T5_mT6_T7_P12ihipStream_tbENKUlT_T0_E_clISt17integral_constantIbLb1EESZ_EEDaSU_SV_EUlSU_E_NS1_11comp_targetILNS1_3genE2ELNS1_11target_archE906ELNS1_3gpuE6ELNS1_3repE0EEENS1_30default_config_static_selectorELNS0_4arch9wavefront6targetE0EEEvT1_,comdat
.Lfunc_end439:
	.size	_ZN7rocprim17ROCPRIM_400000_NS6detail17trampoline_kernelINS0_14default_configENS1_27scan_by_key_config_selectorIxxEEZZNS1_16scan_by_key_implILNS1_25lookback_scan_determinismE0ELb1ES3_N6thrust23THRUST_200600_302600_NS6detail15normal_iteratorINS9_10device_ptrIxEEEESE_SE_xNS9_4plusIvEENS9_8equal_toIxEExEE10hipError_tPvRmT2_T3_T4_T5_mT6_T7_P12ihipStream_tbENKUlT_T0_E_clISt17integral_constantIbLb1EESZ_EEDaSU_SV_EUlSU_E_NS1_11comp_targetILNS1_3genE2ELNS1_11target_archE906ELNS1_3gpuE6ELNS1_3repE0EEENS1_30default_config_static_selectorELNS0_4arch9wavefront6targetE0EEEvT1_, .Lfunc_end439-_ZN7rocprim17ROCPRIM_400000_NS6detail17trampoline_kernelINS0_14default_configENS1_27scan_by_key_config_selectorIxxEEZZNS1_16scan_by_key_implILNS1_25lookback_scan_determinismE0ELb1ES3_N6thrust23THRUST_200600_302600_NS6detail15normal_iteratorINS9_10device_ptrIxEEEESE_SE_xNS9_4plusIvEENS9_8equal_toIxEExEE10hipError_tPvRmT2_T3_T4_T5_mT6_T7_P12ihipStream_tbENKUlT_T0_E_clISt17integral_constantIbLb1EESZ_EEDaSU_SV_EUlSU_E_NS1_11comp_targetILNS1_3genE2ELNS1_11target_archE906ELNS1_3gpuE6ELNS1_3repE0EEENS1_30default_config_static_selectorELNS0_4arch9wavefront6targetE0EEEvT1_
                                        ; -- End function
	.set _ZN7rocprim17ROCPRIM_400000_NS6detail17trampoline_kernelINS0_14default_configENS1_27scan_by_key_config_selectorIxxEEZZNS1_16scan_by_key_implILNS1_25lookback_scan_determinismE0ELb1ES3_N6thrust23THRUST_200600_302600_NS6detail15normal_iteratorINS9_10device_ptrIxEEEESE_SE_xNS9_4plusIvEENS9_8equal_toIxEExEE10hipError_tPvRmT2_T3_T4_T5_mT6_T7_P12ihipStream_tbENKUlT_T0_E_clISt17integral_constantIbLb1EESZ_EEDaSU_SV_EUlSU_E_NS1_11comp_targetILNS1_3genE2ELNS1_11target_archE906ELNS1_3gpuE6ELNS1_3repE0EEENS1_30default_config_static_selectorELNS0_4arch9wavefront6targetE0EEEvT1_.num_vgpr, 0
	.set _ZN7rocprim17ROCPRIM_400000_NS6detail17trampoline_kernelINS0_14default_configENS1_27scan_by_key_config_selectorIxxEEZZNS1_16scan_by_key_implILNS1_25lookback_scan_determinismE0ELb1ES3_N6thrust23THRUST_200600_302600_NS6detail15normal_iteratorINS9_10device_ptrIxEEEESE_SE_xNS9_4plusIvEENS9_8equal_toIxEExEE10hipError_tPvRmT2_T3_T4_T5_mT6_T7_P12ihipStream_tbENKUlT_T0_E_clISt17integral_constantIbLb1EESZ_EEDaSU_SV_EUlSU_E_NS1_11comp_targetILNS1_3genE2ELNS1_11target_archE906ELNS1_3gpuE6ELNS1_3repE0EEENS1_30default_config_static_selectorELNS0_4arch9wavefront6targetE0EEEvT1_.num_agpr, 0
	.set _ZN7rocprim17ROCPRIM_400000_NS6detail17trampoline_kernelINS0_14default_configENS1_27scan_by_key_config_selectorIxxEEZZNS1_16scan_by_key_implILNS1_25lookback_scan_determinismE0ELb1ES3_N6thrust23THRUST_200600_302600_NS6detail15normal_iteratorINS9_10device_ptrIxEEEESE_SE_xNS9_4plusIvEENS9_8equal_toIxEExEE10hipError_tPvRmT2_T3_T4_T5_mT6_T7_P12ihipStream_tbENKUlT_T0_E_clISt17integral_constantIbLb1EESZ_EEDaSU_SV_EUlSU_E_NS1_11comp_targetILNS1_3genE2ELNS1_11target_archE906ELNS1_3gpuE6ELNS1_3repE0EEENS1_30default_config_static_selectorELNS0_4arch9wavefront6targetE0EEEvT1_.numbered_sgpr, 0
	.set _ZN7rocprim17ROCPRIM_400000_NS6detail17trampoline_kernelINS0_14default_configENS1_27scan_by_key_config_selectorIxxEEZZNS1_16scan_by_key_implILNS1_25lookback_scan_determinismE0ELb1ES3_N6thrust23THRUST_200600_302600_NS6detail15normal_iteratorINS9_10device_ptrIxEEEESE_SE_xNS9_4plusIvEENS9_8equal_toIxEExEE10hipError_tPvRmT2_T3_T4_T5_mT6_T7_P12ihipStream_tbENKUlT_T0_E_clISt17integral_constantIbLb1EESZ_EEDaSU_SV_EUlSU_E_NS1_11comp_targetILNS1_3genE2ELNS1_11target_archE906ELNS1_3gpuE6ELNS1_3repE0EEENS1_30default_config_static_selectorELNS0_4arch9wavefront6targetE0EEEvT1_.num_named_barrier, 0
	.set _ZN7rocprim17ROCPRIM_400000_NS6detail17trampoline_kernelINS0_14default_configENS1_27scan_by_key_config_selectorIxxEEZZNS1_16scan_by_key_implILNS1_25lookback_scan_determinismE0ELb1ES3_N6thrust23THRUST_200600_302600_NS6detail15normal_iteratorINS9_10device_ptrIxEEEESE_SE_xNS9_4plusIvEENS9_8equal_toIxEExEE10hipError_tPvRmT2_T3_T4_T5_mT6_T7_P12ihipStream_tbENKUlT_T0_E_clISt17integral_constantIbLb1EESZ_EEDaSU_SV_EUlSU_E_NS1_11comp_targetILNS1_3genE2ELNS1_11target_archE906ELNS1_3gpuE6ELNS1_3repE0EEENS1_30default_config_static_selectorELNS0_4arch9wavefront6targetE0EEEvT1_.private_seg_size, 0
	.set _ZN7rocprim17ROCPRIM_400000_NS6detail17trampoline_kernelINS0_14default_configENS1_27scan_by_key_config_selectorIxxEEZZNS1_16scan_by_key_implILNS1_25lookback_scan_determinismE0ELb1ES3_N6thrust23THRUST_200600_302600_NS6detail15normal_iteratorINS9_10device_ptrIxEEEESE_SE_xNS9_4plusIvEENS9_8equal_toIxEExEE10hipError_tPvRmT2_T3_T4_T5_mT6_T7_P12ihipStream_tbENKUlT_T0_E_clISt17integral_constantIbLb1EESZ_EEDaSU_SV_EUlSU_E_NS1_11comp_targetILNS1_3genE2ELNS1_11target_archE906ELNS1_3gpuE6ELNS1_3repE0EEENS1_30default_config_static_selectorELNS0_4arch9wavefront6targetE0EEEvT1_.uses_vcc, 0
	.set _ZN7rocprim17ROCPRIM_400000_NS6detail17trampoline_kernelINS0_14default_configENS1_27scan_by_key_config_selectorIxxEEZZNS1_16scan_by_key_implILNS1_25lookback_scan_determinismE0ELb1ES3_N6thrust23THRUST_200600_302600_NS6detail15normal_iteratorINS9_10device_ptrIxEEEESE_SE_xNS9_4plusIvEENS9_8equal_toIxEExEE10hipError_tPvRmT2_T3_T4_T5_mT6_T7_P12ihipStream_tbENKUlT_T0_E_clISt17integral_constantIbLb1EESZ_EEDaSU_SV_EUlSU_E_NS1_11comp_targetILNS1_3genE2ELNS1_11target_archE906ELNS1_3gpuE6ELNS1_3repE0EEENS1_30default_config_static_selectorELNS0_4arch9wavefront6targetE0EEEvT1_.uses_flat_scratch, 0
	.set _ZN7rocprim17ROCPRIM_400000_NS6detail17trampoline_kernelINS0_14default_configENS1_27scan_by_key_config_selectorIxxEEZZNS1_16scan_by_key_implILNS1_25lookback_scan_determinismE0ELb1ES3_N6thrust23THRUST_200600_302600_NS6detail15normal_iteratorINS9_10device_ptrIxEEEESE_SE_xNS9_4plusIvEENS9_8equal_toIxEExEE10hipError_tPvRmT2_T3_T4_T5_mT6_T7_P12ihipStream_tbENKUlT_T0_E_clISt17integral_constantIbLb1EESZ_EEDaSU_SV_EUlSU_E_NS1_11comp_targetILNS1_3genE2ELNS1_11target_archE906ELNS1_3gpuE6ELNS1_3repE0EEENS1_30default_config_static_selectorELNS0_4arch9wavefront6targetE0EEEvT1_.has_dyn_sized_stack, 0
	.set _ZN7rocprim17ROCPRIM_400000_NS6detail17trampoline_kernelINS0_14default_configENS1_27scan_by_key_config_selectorIxxEEZZNS1_16scan_by_key_implILNS1_25lookback_scan_determinismE0ELb1ES3_N6thrust23THRUST_200600_302600_NS6detail15normal_iteratorINS9_10device_ptrIxEEEESE_SE_xNS9_4plusIvEENS9_8equal_toIxEExEE10hipError_tPvRmT2_T3_T4_T5_mT6_T7_P12ihipStream_tbENKUlT_T0_E_clISt17integral_constantIbLb1EESZ_EEDaSU_SV_EUlSU_E_NS1_11comp_targetILNS1_3genE2ELNS1_11target_archE906ELNS1_3gpuE6ELNS1_3repE0EEENS1_30default_config_static_selectorELNS0_4arch9wavefront6targetE0EEEvT1_.has_recursion, 0
	.set _ZN7rocprim17ROCPRIM_400000_NS6detail17trampoline_kernelINS0_14default_configENS1_27scan_by_key_config_selectorIxxEEZZNS1_16scan_by_key_implILNS1_25lookback_scan_determinismE0ELb1ES3_N6thrust23THRUST_200600_302600_NS6detail15normal_iteratorINS9_10device_ptrIxEEEESE_SE_xNS9_4plusIvEENS9_8equal_toIxEExEE10hipError_tPvRmT2_T3_T4_T5_mT6_T7_P12ihipStream_tbENKUlT_T0_E_clISt17integral_constantIbLb1EESZ_EEDaSU_SV_EUlSU_E_NS1_11comp_targetILNS1_3genE2ELNS1_11target_archE906ELNS1_3gpuE6ELNS1_3repE0EEENS1_30default_config_static_selectorELNS0_4arch9wavefront6targetE0EEEvT1_.has_indirect_call, 0
	.section	.AMDGPU.csdata,"",@progbits
; Kernel info:
; codeLenInByte = 0
; TotalNumSgprs: 0
; NumVgprs: 0
; ScratchSize: 0
; MemoryBound: 0
; FloatMode: 240
; IeeeMode: 1
; LDSByteSize: 0 bytes/workgroup (compile time only)
; SGPRBlocks: 0
; VGPRBlocks: 0
; NumSGPRsForWavesPerEU: 1
; NumVGPRsForWavesPerEU: 1
; NamedBarCnt: 0
; Occupancy: 16
; WaveLimiterHint : 0
; COMPUTE_PGM_RSRC2:SCRATCH_EN: 0
; COMPUTE_PGM_RSRC2:USER_SGPR: 2
; COMPUTE_PGM_RSRC2:TRAP_HANDLER: 0
; COMPUTE_PGM_RSRC2:TGID_X_EN: 1
; COMPUTE_PGM_RSRC2:TGID_Y_EN: 0
; COMPUTE_PGM_RSRC2:TGID_Z_EN: 0
; COMPUTE_PGM_RSRC2:TIDIG_COMP_CNT: 0
	.section	.text._ZN7rocprim17ROCPRIM_400000_NS6detail17trampoline_kernelINS0_14default_configENS1_27scan_by_key_config_selectorIxxEEZZNS1_16scan_by_key_implILNS1_25lookback_scan_determinismE0ELb1ES3_N6thrust23THRUST_200600_302600_NS6detail15normal_iteratorINS9_10device_ptrIxEEEESE_SE_xNS9_4plusIvEENS9_8equal_toIxEExEE10hipError_tPvRmT2_T3_T4_T5_mT6_T7_P12ihipStream_tbENKUlT_T0_E_clISt17integral_constantIbLb1EESZ_EEDaSU_SV_EUlSU_E_NS1_11comp_targetILNS1_3genE10ELNS1_11target_archE1200ELNS1_3gpuE4ELNS1_3repE0EEENS1_30default_config_static_selectorELNS0_4arch9wavefront6targetE0EEEvT1_,"axG",@progbits,_ZN7rocprim17ROCPRIM_400000_NS6detail17trampoline_kernelINS0_14default_configENS1_27scan_by_key_config_selectorIxxEEZZNS1_16scan_by_key_implILNS1_25lookback_scan_determinismE0ELb1ES3_N6thrust23THRUST_200600_302600_NS6detail15normal_iteratorINS9_10device_ptrIxEEEESE_SE_xNS9_4plusIvEENS9_8equal_toIxEExEE10hipError_tPvRmT2_T3_T4_T5_mT6_T7_P12ihipStream_tbENKUlT_T0_E_clISt17integral_constantIbLb1EESZ_EEDaSU_SV_EUlSU_E_NS1_11comp_targetILNS1_3genE10ELNS1_11target_archE1200ELNS1_3gpuE4ELNS1_3repE0EEENS1_30default_config_static_selectorELNS0_4arch9wavefront6targetE0EEEvT1_,comdat
	.protected	_ZN7rocprim17ROCPRIM_400000_NS6detail17trampoline_kernelINS0_14default_configENS1_27scan_by_key_config_selectorIxxEEZZNS1_16scan_by_key_implILNS1_25lookback_scan_determinismE0ELb1ES3_N6thrust23THRUST_200600_302600_NS6detail15normal_iteratorINS9_10device_ptrIxEEEESE_SE_xNS9_4plusIvEENS9_8equal_toIxEExEE10hipError_tPvRmT2_T3_T4_T5_mT6_T7_P12ihipStream_tbENKUlT_T0_E_clISt17integral_constantIbLb1EESZ_EEDaSU_SV_EUlSU_E_NS1_11comp_targetILNS1_3genE10ELNS1_11target_archE1200ELNS1_3gpuE4ELNS1_3repE0EEENS1_30default_config_static_selectorELNS0_4arch9wavefront6targetE0EEEvT1_ ; -- Begin function _ZN7rocprim17ROCPRIM_400000_NS6detail17trampoline_kernelINS0_14default_configENS1_27scan_by_key_config_selectorIxxEEZZNS1_16scan_by_key_implILNS1_25lookback_scan_determinismE0ELb1ES3_N6thrust23THRUST_200600_302600_NS6detail15normal_iteratorINS9_10device_ptrIxEEEESE_SE_xNS9_4plusIvEENS9_8equal_toIxEExEE10hipError_tPvRmT2_T3_T4_T5_mT6_T7_P12ihipStream_tbENKUlT_T0_E_clISt17integral_constantIbLb1EESZ_EEDaSU_SV_EUlSU_E_NS1_11comp_targetILNS1_3genE10ELNS1_11target_archE1200ELNS1_3gpuE4ELNS1_3repE0EEENS1_30default_config_static_selectorELNS0_4arch9wavefront6targetE0EEEvT1_
	.globl	_ZN7rocprim17ROCPRIM_400000_NS6detail17trampoline_kernelINS0_14default_configENS1_27scan_by_key_config_selectorIxxEEZZNS1_16scan_by_key_implILNS1_25lookback_scan_determinismE0ELb1ES3_N6thrust23THRUST_200600_302600_NS6detail15normal_iteratorINS9_10device_ptrIxEEEESE_SE_xNS9_4plusIvEENS9_8equal_toIxEExEE10hipError_tPvRmT2_T3_T4_T5_mT6_T7_P12ihipStream_tbENKUlT_T0_E_clISt17integral_constantIbLb1EESZ_EEDaSU_SV_EUlSU_E_NS1_11comp_targetILNS1_3genE10ELNS1_11target_archE1200ELNS1_3gpuE4ELNS1_3repE0EEENS1_30default_config_static_selectorELNS0_4arch9wavefront6targetE0EEEvT1_
	.p2align	8
	.type	_ZN7rocprim17ROCPRIM_400000_NS6detail17trampoline_kernelINS0_14default_configENS1_27scan_by_key_config_selectorIxxEEZZNS1_16scan_by_key_implILNS1_25lookback_scan_determinismE0ELb1ES3_N6thrust23THRUST_200600_302600_NS6detail15normal_iteratorINS9_10device_ptrIxEEEESE_SE_xNS9_4plusIvEENS9_8equal_toIxEExEE10hipError_tPvRmT2_T3_T4_T5_mT6_T7_P12ihipStream_tbENKUlT_T0_E_clISt17integral_constantIbLb1EESZ_EEDaSU_SV_EUlSU_E_NS1_11comp_targetILNS1_3genE10ELNS1_11target_archE1200ELNS1_3gpuE4ELNS1_3repE0EEENS1_30default_config_static_selectorELNS0_4arch9wavefront6targetE0EEEvT1_,@function
_ZN7rocprim17ROCPRIM_400000_NS6detail17trampoline_kernelINS0_14default_configENS1_27scan_by_key_config_selectorIxxEEZZNS1_16scan_by_key_implILNS1_25lookback_scan_determinismE0ELb1ES3_N6thrust23THRUST_200600_302600_NS6detail15normal_iteratorINS9_10device_ptrIxEEEESE_SE_xNS9_4plusIvEENS9_8equal_toIxEExEE10hipError_tPvRmT2_T3_T4_T5_mT6_T7_P12ihipStream_tbENKUlT_T0_E_clISt17integral_constantIbLb1EESZ_EEDaSU_SV_EUlSU_E_NS1_11comp_targetILNS1_3genE10ELNS1_11target_archE1200ELNS1_3gpuE4ELNS1_3repE0EEENS1_30default_config_static_selectorELNS0_4arch9wavefront6targetE0EEEvT1_: ; @_ZN7rocprim17ROCPRIM_400000_NS6detail17trampoline_kernelINS0_14default_configENS1_27scan_by_key_config_selectorIxxEEZZNS1_16scan_by_key_implILNS1_25lookback_scan_determinismE0ELb1ES3_N6thrust23THRUST_200600_302600_NS6detail15normal_iteratorINS9_10device_ptrIxEEEESE_SE_xNS9_4plusIvEENS9_8equal_toIxEExEE10hipError_tPvRmT2_T3_T4_T5_mT6_T7_P12ihipStream_tbENKUlT_T0_E_clISt17integral_constantIbLb1EESZ_EEDaSU_SV_EUlSU_E_NS1_11comp_targetILNS1_3genE10ELNS1_11target_archE1200ELNS1_3gpuE4ELNS1_3repE0EEENS1_30default_config_static_selectorELNS0_4arch9wavefront6targetE0EEEvT1_
; %bb.0:
	.section	.rodata,"a",@progbits
	.p2align	6, 0x0
	.amdhsa_kernel _ZN7rocprim17ROCPRIM_400000_NS6detail17trampoline_kernelINS0_14default_configENS1_27scan_by_key_config_selectorIxxEEZZNS1_16scan_by_key_implILNS1_25lookback_scan_determinismE0ELb1ES3_N6thrust23THRUST_200600_302600_NS6detail15normal_iteratorINS9_10device_ptrIxEEEESE_SE_xNS9_4plusIvEENS9_8equal_toIxEExEE10hipError_tPvRmT2_T3_T4_T5_mT6_T7_P12ihipStream_tbENKUlT_T0_E_clISt17integral_constantIbLb1EESZ_EEDaSU_SV_EUlSU_E_NS1_11comp_targetILNS1_3genE10ELNS1_11target_archE1200ELNS1_3gpuE4ELNS1_3repE0EEENS1_30default_config_static_selectorELNS0_4arch9wavefront6targetE0EEEvT1_
		.amdhsa_group_segment_fixed_size 0
		.amdhsa_private_segment_fixed_size 0
		.amdhsa_kernarg_size 136
		.amdhsa_user_sgpr_count 2
		.amdhsa_user_sgpr_dispatch_ptr 0
		.amdhsa_user_sgpr_queue_ptr 0
		.amdhsa_user_sgpr_kernarg_segment_ptr 1
		.amdhsa_user_sgpr_dispatch_id 0
		.amdhsa_user_sgpr_kernarg_preload_length 0
		.amdhsa_user_sgpr_kernarg_preload_offset 0
		.amdhsa_user_sgpr_private_segment_size 0
		.amdhsa_wavefront_size32 1
		.amdhsa_uses_dynamic_stack 0
		.amdhsa_enable_private_segment 0
		.amdhsa_system_sgpr_workgroup_id_x 1
		.amdhsa_system_sgpr_workgroup_id_y 0
		.amdhsa_system_sgpr_workgroup_id_z 0
		.amdhsa_system_sgpr_workgroup_info 0
		.amdhsa_system_vgpr_workitem_id 0
		.amdhsa_next_free_vgpr 1
		.amdhsa_next_free_sgpr 1
		.amdhsa_named_barrier_count 0
		.amdhsa_reserve_vcc 0
		.amdhsa_float_round_mode_32 0
		.amdhsa_float_round_mode_16_64 0
		.amdhsa_float_denorm_mode_32 3
		.amdhsa_float_denorm_mode_16_64 3
		.amdhsa_fp16_overflow 0
		.amdhsa_memory_ordered 1
		.amdhsa_forward_progress 1
		.amdhsa_inst_pref_size 0
		.amdhsa_round_robin_scheduling 0
		.amdhsa_exception_fp_ieee_invalid_op 0
		.amdhsa_exception_fp_denorm_src 0
		.amdhsa_exception_fp_ieee_div_zero 0
		.amdhsa_exception_fp_ieee_overflow 0
		.amdhsa_exception_fp_ieee_underflow 0
		.amdhsa_exception_fp_ieee_inexact 0
		.amdhsa_exception_int_div_zero 0
	.end_amdhsa_kernel
	.section	.text._ZN7rocprim17ROCPRIM_400000_NS6detail17trampoline_kernelINS0_14default_configENS1_27scan_by_key_config_selectorIxxEEZZNS1_16scan_by_key_implILNS1_25lookback_scan_determinismE0ELb1ES3_N6thrust23THRUST_200600_302600_NS6detail15normal_iteratorINS9_10device_ptrIxEEEESE_SE_xNS9_4plusIvEENS9_8equal_toIxEExEE10hipError_tPvRmT2_T3_T4_T5_mT6_T7_P12ihipStream_tbENKUlT_T0_E_clISt17integral_constantIbLb1EESZ_EEDaSU_SV_EUlSU_E_NS1_11comp_targetILNS1_3genE10ELNS1_11target_archE1200ELNS1_3gpuE4ELNS1_3repE0EEENS1_30default_config_static_selectorELNS0_4arch9wavefront6targetE0EEEvT1_,"axG",@progbits,_ZN7rocprim17ROCPRIM_400000_NS6detail17trampoline_kernelINS0_14default_configENS1_27scan_by_key_config_selectorIxxEEZZNS1_16scan_by_key_implILNS1_25lookback_scan_determinismE0ELb1ES3_N6thrust23THRUST_200600_302600_NS6detail15normal_iteratorINS9_10device_ptrIxEEEESE_SE_xNS9_4plusIvEENS9_8equal_toIxEExEE10hipError_tPvRmT2_T3_T4_T5_mT6_T7_P12ihipStream_tbENKUlT_T0_E_clISt17integral_constantIbLb1EESZ_EEDaSU_SV_EUlSU_E_NS1_11comp_targetILNS1_3genE10ELNS1_11target_archE1200ELNS1_3gpuE4ELNS1_3repE0EEENS1_30default_config_static_selectorELNS0_4arch9wavefront6targetE0EEEvT1_,comdat
.Lfunc_end440:
	.size	_ZN7rocprim17ROCPRIM_400000_NS6detail17trampoline_kernelINS0_14default_configENS1_27scan_by_key_config_selectorIxxEEZZNS1_16scan_by_key_implILNS1_25lookback_scan_determinismE0ELb1ES3_N6thrust23THRUST_200600_302600_NS6detail15normal_iteratorINS9_10device_ptrIxEEEESE_SE_xNS9_4plusIvEENS9_8equal_toIxEExEE10hipError_tPvRmT2_T3_T4_T5_mT6_T7_P12ihipStream_tbENKUlT_T0_E_clISt17integral_constantIbLb1EESZ_EEDaSU_SV_EUlSU_E_NS1_11comp_targetILNS1_3genE10ELNS1_11target_archE1200ELNS1_3gpuE4ELNS1_3repE0EEENS1_30default_config_static_selectorELNS0_4arch9wavefront6targetE0EEEvT1_, .Lfunc_end440-_ZN7rocprim17ROCPRIM_400000_NS6detail17trampoline_kernelINS0_14default_configENS1_27scan_by_key_config_selectorIxxEEZZNS1_16scan_by_key_implILNS1_25lookback_scan_determinismE0ELb1ES3_N6thrust23THRUST_200600_302600_NS6detail15normal_iteratorINS9_10device_ptrIxEEEESE_SE_xNS9_4plusIvEENS9_8equal_toIxEExEE10hipError_tPvRmT2_T3_T4_T5_mT6_T7_P12ihipStream_tbENKUlT_T0_E_clISt17integral_constantIbLb1EESZ_EEDaSU_SV_EUlSU_E_NS1_11comp_targetILNS1_3genE10ELNS1_11target_archE1200ELNS1_3gpuE4ELNS1_3repE0EEENS1_30default_config_static_selectorELNS0_4arch9wavefront6targetE0EEEvT1_
                                        ; -- End function
	.set _ZN7rocprim17ROCPRIM_400000_NS6detail17trampoline_kernelINS0_14default_configENS1_27scan_by_key_config_selectorIxxEEZZNS1_16scan_by_key_implILNS1_25lookback_scan_determinismE0ELb1ES3_N6thrust23THRUST_200600_302600_NS6detail15normal_iteratorINS9_10device_ptrIxEEEESE_SE_xNS9_4plusIvEENS9_8equal_toIxEExEE10hipError_tPvRmT2_T3_T4_T5_mT6_T7_P12ihipStream_tbENKUlT_T0_E_clISt17integral_constantIbLb1EESZ_EEDaSU_SV_EUlSU_E_NS1_11comp_targetILNS1_3genE10ELNS1_11target_archE1200ELNS1_3gpuE4ELNS1_3repE0EEENS1_30default_config_static_selectorELNS0_4arch9wavefront6targetE0EEEvT1_.num_vgpr, 0
	.set _ZN7rocprim17ROCPRIM_400000_NS6detail17trampoline_kernelINS0_14default_configENS1_27scan_by_key_config_selectorIxxEEZZNS1_16scan_by_key_implILNS1_25lookback_scan_determinismE0ELb1ES3_N6thrust23THRUST_200600_302600_NS6detail15normal_iteratorINS9_10device_ptrIxEEEESE_SE_xNS9_4plusIvEENS9_8equal_toIxEExEE10hipError_tPvRmT2_T3_T4_T5_mT6_T7_P12ihipStream_tbENKUlT_T0_E_clISt17integral_constantIbLb1EESZ_EEDaSU_SV_EUlSU_E_NS1_11comp_targetILNS1_3genE10ELNS1_11target_archE1200ELNS1_3gpuE4ELNS1_3repE0EEENS1_30default_config_static_selectorELNS0_4arch9wavefront6targetE0EEEvT1_.num_agpr, 0
	.set _ZN7rocprim17ROCPRIM_400000_NS6detail17trampoline_kernelINS0_14default_configENS1_27scan_by_key_config_selectorIxxEEZZNS1_16scan_by_key_implILNS1_25lookback_scan_determinismE0ELb1ES3_N6thrust23THRUST_200600_302600_NS6detail15normal_iteratorINS9_10device_ptrIxEEEESE_SE_xNS9_4plusIvEENS9_8equal_toIxEExEE10hipError_tPvRmT2_T3_T4_T5_mT6_T7_P12ihipStream_tbENKUlT_T0_E_clISt17integral_constantIbLb1EESZ_EEDaSU_SV_EUlSU_E_NS1_11comp_targetILNS1_3genE10ELNS1_11target_archE1200ELNS1_3gpuE4ELNS1_3repE0EEENS1_30default_config_static_selectorELNS0_4arch9wavefront6targetE0EEEvT1_.numbered_sgpr, 0
	.set _ZN7rocprim17ROCPRIM_400000_NS6detail17trampoline_kernelINS0_14default_configENS1_27scan_by_key_config_selectorIxxEEZZNS1_16scan_by_key_implILNS1_25lookback_scan_determinismE0ELb1ES3_N6thrust23THRUST_200600_302600_NS6detail15normal_iteratorINS9_10device_ptrIxEEEESE_SE_xNS9_4plusIvEENS9_8equal_toIxEExEE10hipError_tPvRmT2_T3_T4_T5_mT6_T7_P12ihipStream_tbENKUlT_T0_E_clISt17integral_constantIbLb1EESZ_EEDaSU_SV_EUlSU_E_NS1_11comp_targetILNS1_3genE10ELNS1_11target_archE1200ELNS1_3gpuE4ELNS1_3repE0EEENS1_30default_config_static_selectorELNS0_4arch9wavefront6targetE0EEEvT1_.num_named_barrier, 0
	.set _ZN7rocprim17ROCPRIM_400000_NS6detail17trampoline_kernelINS0_14default_configENS1_27scan_by_key_config_selectorIxxEEZZNS1_16scan_by_key_implILNS1_25lookback_scan_determinismE0ELb1ES3_N6thrust23THRUST_200600_302600_NS6detail15normal_iteratorINS9_10device_ptrIxEEEESE_SE_xNS9_4plusIvEENS9_8equal_toIxEExEE10hipError_tPvRmT2_T3_T4_T5_mT6_T7_P12ihipStream_tbENKUlT_T0_E_clISt17integral_constantIbLb1EESZ_EEDaSU_SV_EUlSU_E_NS1_11comp_targetILNS1_3genE10ELNS1_11target_archE1200ELNS1_3gpuE4ELNS1_3repE0EEENS1_30default_config_static_selectorELNS0_4arch9wavefront6targetE0EEEvT1_.private_seg_size, 0
	.set _ZN7rocprim17ROCPRIM_400000_NS6detail17trampoline_kernelINS0_14default_configENS1_27scan_by_key_config_selectorIxxEEZZNS1_16scan_by_key_implILNS1_25lookback_scan_determinismE0ELb1ES3_N6thrust23THRUST_200600_302600_NS6detail15normal_iteratorINS9_10device_ptrIxEEEESE_SE_xNS9_4plusIvEENS9_8equal_toIxEExEE10hipError_tPvRmT2_T3_T4_T5_mT6_T7_P12ihipStream_tbENKUlT_T0_E_clISt17integral_constantIbLb1EESZ_EEDaSU_SV_EUlSU_E_NS1_11comp_targetILNS1_3genE10ELNS1_11target_archE1200ELNS1_3gpuE4ELNS1_3repE0EEENS1_30default_config_static_selectorELNS0_4arch9wavefront6targetE0EEEvT1_.uses_vcc, 0
	.set _ZN7rocprim17ROCPRIM_400000_NS6detail17trampoline_kernelINS0_14default_configENS1_27scan_by_key_config_selectorIxxEEZZNS1_16scan_by_key_implILNS1_25lookback_scan_determinismE0ELb1ES3_N6thrust23THRUST_200600_302600_NS6detail15normal_iteratorINS9_10device_ptrIxEEEESE_SE_xNS9_4plusIvEENS9_8equal_toIxEExEE10hipError_tPvRmT2_T3_T4_T5_mT6_T7_P12ihipStream_tbENKUlT_T0_E_clISt17integral_constantIbLb1EESZ_EEDaSU_SV_EUlSU_E_NS1_11comp_targetILNS1_3genE10ELNS1_11target_archE1200ELNS1_3gpuE4ELNS1_3repE0EEENS1_30default_config_static_selectorELNS0_4arch9wavefront6targetE0EEEvT1_.uses_flat_scratch, 0
	.set _ZN7rocprim17ROCPRIM_400000_NS6detail17trampoline_kernelINS0_14default_configENS1_27scan_by_key_config_selectorIxxEEZZNS1_16scan_by_key_implILNS1_25lookback_scan_determinismE0ELb1ES3_N6thrust23THRUST_200600_302600_NS6detail15normal_iteratorINS9_10device_ptrIxEEEESE_SE_xNS9_4plusIvEENS9_8equal_toIxEExEE10hipError_tPvRmT2_T3_T4_T5_mT6_T7_P12ihipStream_tbENKUlT_T0_E_clISt17integral_constantIbLb1EESZ_EEDaSU_SV_EUlSU_E_NS1_11comp_targetILNS1_3genE10ELNS1_11target_archE1200ELNS1_3gpuE4ELNS1_3repE0EEENS1_30default_config_static_selectorELNS0_4arch9wavefront6targetE0EEEvT1_.has_dyn_sized_stack, 0
	.set _ZN7rocprim17ROCPRIM_400000_NS6detail17trampoline_kernelINS0_14default_configENS1_27scan_by_key_config_selectorIxxEEZZNS1_16scan_by_key_implILNS1_25lookback_scan_determinismE0ELb1ES3_N6thrust23THRUST_200600_302600_NS6detail15normal_iteratorINS9_10device_ptrIxEEEESE_SE_xNS9_4plusIvEENS9_8equal_toIxEExEE10hipError_tPvRmT2_T3_T4_T5_mT6_T7_P12ihipStream_tbENKUlT_T0_E_clISt17integral_constantIbLb1EESZ_EEDaSU_SV_EUlSU_E_NS1_11comp_targetILNS1_3genE10ELNS1_11target_archE1200ELNS1_3gpuE4ELNS1_3repE0EEENS1_30default_config_static_selectorELNS0_4arch9wavefront6targetE0EEEvT1_.has_recursion, 0
	.set _ZN7rocprim17ROCPRIM_400000_NS6detail17trampoline_kernelINS0_14default_configENS1_27scan_by_key_config_selectorIxxEEZZNS1_16scan_by_key_implILNS1_25lookback_scan_determinismE0ELb1ES3_N6thrust23THRUST_200600_302600_NS6detail15normal_iteratorINS9_10device_ptrIxEEEESE_SE_xNS9_4plusIvEENS9_8equal_toIxEExEE10hipError_tPvRmT2_T3_T4_T5_mT6_T7_P12ihipStream_tbENKUlT_T0_E_clISt17integral_constantIbLb1EESZ_EEDaSU_SV_EUlSU_E_NS1_11comp_targetILNS1_3genE10ELNS1_11target_archE1200ELNS1_3gpuE4ELNS1_3repE0EEENS1_30default_config_static_selectorELNS0_4arch9wavefront6targetE0EEEvT1_.has_indirect_call, 0
	.section	.AMDGPU.csdata,"",@progbits
; Kernel info:
; codeLenInByte = 0
; TotalNumSgprs: 0
; NumVgprs: 0
; ScratchSize: 0
; MemoryBound: 0
; FloatMode: 240
; IeeeMode: 1
; LDSByteSize: 0 bytes/workgroup (compile time only)
; SGPRBlocks: 0
; VGPRBlocks: 0
; NumSGPRsForWavesPerEU: 1
; NumVGPRsForWavesPerEU: 1
; NamedBarCnt: 0
; Occupancy: 16
; WaveLimiterHint : 0
; COMPUTE_PGM_RSRC2:SCRATCH_EN: 0
; COMPUTE_PGM_RSRC2:USER_SGPR: 2
; COMPUTE_PGM_RSRC2:TRAP_HANDLER: 0
; COMPUTE_PGM_RSRC2:TGID_X_EN: 1
; COMPUTE_PGM_RSRC2:TGID_Y_EN: 0
; COMPUTE_PGM_RSRC2:TGID_Z_EN: 0
; COMPUTE_PGM_RSRC2:TIDIG_COMP_CNT: 0
	.section	.text._ZN7rocprim17ROCPRIM_400000_NS6detail17trampoline_kernelINS0_14default_configENS1_27scan_by_key_config_selectorIxxEEZZNS1_16scan_by_key_implILNS1_25lookback_scan_determinismE0ELb1ES3_N6thrust23THRUST_200600_302600_NS6detail15normal_iteratorINS9_10device_ptrIxEEEESE_SE_xNS9_4plusIvEENS9_8equal_toIxEExEE10hipError_tPvRmT2_T3_T4_T5_mT6_T7_P12ihipStream_tbENKUlT_T0_E_clISt17integral_constantIbLb1EESZ_EEDaSU_SV_EUlSU_E_NS1_11comp_targetILNS1_3genE9ELNS1_11target_archE1100ELNS1_3gpuE3ELNS1_3repE0EEENS1_30default_config_static_selectorELNS0_4arch9wavefront6targetE0EEEvT1_,"axG",@progbits,_ZN7rocprim17ROCPRIM_400000_NS6detail17trampoline_kernelINS0_14default_configENS1_27scan_by_key_config_selectorIxxEEZZNS1_16scan_by_key_implILNS1_25lookback_scan_determinismE0ELb1ES3_N6thrust23THRUST_200600_302600_NS6detail15normal_iteratorINS9_10device_ptrIxEEEESE_SE_xNS9_4plusIvEENS9_8equal_toIxEExEE10hipError_tPvRmT2_T3_T4_T5_mT6_T7_P12ihipStream_tbENKUlT_T0_E_clISt17integral_constantIbLb1EESZ_EEDaSU_SV_EUlSU_E_NS1_11comp_targetILNS1_3genE9ELNS1_11target_archE1100ELNS1_3gpuE3ELNS1_3repE0EEENS1_30default_config_static_selectorELNS0_4arch9wavefront6targetE0EEEvT1_,comdat
	.protected	_ZN7rocprim17ROCPRIM_400000_NS6detail17trampoline_kernelINS0_14default_configENS1_27scan_by_key_config_selectorIxxEEZZNS1_16scan_by_key_implILNS1_25lookback_scan_determinismE0ELb1ES3_N6thrust23THRUST_200600_302600_NS6detail15normal_iteratorINS9_10device_ptrIxEEEESE_SE_xNS9_4plusIvEENS9_8equal_toIxEExEE10hipError_tPvRmT2_T3_T4_T5_mT6_T7_P12ihipStream_tbENKUlT_T0_E_clISt17integral_constantIbLb1EESZ_EEDaSU_SV_EUlSU_E_NS1_11comp_targetILNS1_3genE9ELNS1_11target_archE1100ELNS1_3gpuE3ELNS1_3repE0EEENS1_30default_config_static_selectorELNS0_4arch9wavefront6targetE0EEEvT1_ ; -- Begin function _ZN7rocprim17ROCPRIM_400000_NS6detail17trampoline_kernelINS0_14default_configENS1_27scan_by_key_config_selectorIxxEEZZNS1_16scan_by_key_implILNS1_25lookback_scan_determinismE0ELb1ES3_N6thrust23THRUST_200600_302600_NS6detail15normal_iteratorINS9_10device_ptrIxEEEESE_SE_xNS9_4plusIvEENS9_8equal_toIxEExEE10hipError_tPvRmT2_T3_T4_T5_mT6_T7_P12ihipStream_tbENKUlT_T0_E_clISt17integral_constantIbLb1EESZ_EEDaSU_SV_EUlSU_E_NS1_11comp_targetILNS1_3genE9ELNS1_11target_archE1100ELNS1_3gpuE3ELNS1_3repE0EEENS1_30default_config_static_selectorELNS0_4arch9wavefront6targetE0EEEvT1_
	.globl	_ZN7rocprim17ROCPRIM_400000_NS6detail17trampoline_kernelINS0_14default_configENS1_27scan_by_key_config_selectorIxxEEZZNS1_16scan_by_key_implILNS1_25lookback_scan_determinismE0ELb1ES3_N6thrust23THRUST_200600_302600_NS6detail15normal_iteratorINS9_10device_ptrIxEEEESE_SE_xNS9_4plusIvEENS9_8equal_toIxEExEE10hipError_tPvRmT2_T3_T4_T5_mT6_T7_P12ihipStream_tbENKUlT_T0_E_clISt17integral_constantIbLb1EESZ_EEDaSU_SV_EUlSU_E_NS1_11comp_targetILNS1_3genE9ELNS1_11target_archE1100ELNS1_3gpuE3ELNS1_3repE0EEENS1_30default_config_static_selectorELNS0_4arch9wavefront6targetE0EEEvT1_
	.p2align	8
	.type	_ZN7rocprim17ROCPRIM_400000_NS6detail17trampoline_kernelINS0_14default_configENS1_27scan_by_key_config_selectorIxxEEZZNS1_16scan_by_key_implILNS1_25lookback_scan_determinismE0ELb1ES3_N6thrust23THRUST_200600_302600_NS6detail15normal_iteratorINS9_10device_ptrIxEEEESE_SE_xNS9_4plusIvEENS9_8equal_toIxEExEE10hipError_tPvRmT2_T3_T4_T5_mT6_T7_P12ihipStream_tbENKUlT_T0_E_clISt17integral_constantIbLb1EESZ_EEDaSU_SV_EUlSU_E_NS1_11comp_targetILNS1_3genE9ELNS1_11target_archE1100ELNS1_3gpuE3ELNS1_3repE0EEENS1_30default_config_static_selectorELNS0_4arch9wavefront6targetE0EEEvT1_,@function
_ZN7rocprim17ROCPRIM_400000_NS6detail17trampoline_kernelINS0_14default_configENS1_27scan_by_key_config_selectorIxxEEZZNS1_16scan_by_key_implILNS1_25lookback_scan_determinismE0ELb1ES3_N6thrust23THRUST_200600_302600_NS6detail15normal_iteratorINS9_10device_ptrIxEEEESE_SE_xNS9_4plusIvEENS9_8equal_toIxEExEE10hipError_tPvRmT2_T3_T4_T5_mT6_T7_P12ihipStream_tbENKUlT_T0_E_clISt17integral_constantIbLb1EESZ_EEDaSU_SV_EUlSU_E_NS1_11comp_targetILNS1_3genE9ELNS1_11target_archE1100ELNS1_3gpuE3ELNS1_3repE0EEENS1_30default_config_static_selectorELNS0_4arch9wavefront6targetE0EEEvT1_: ; @_ZN7rocprim17ROCPRIM_400000_NS6detail17trampoline_kernelINS0_14default_configENS1_27scan_by_key_config_selectorIxxEEZZNS1_16scan_by_key_implILNS1_25lookback_scan_determinismE0ELb1ES3_N6thrust23THRUST_200600_302600_NS6detail15normal_iteratorINS9_10device_ptrIxEEEESE_SE_xNS9_4plusIvEENS9_8equal_toIxEExEE10hipError_tPvRmT2_T3_T4_T5_mT6_T7_P12ihipStream_tbENKUlT_T0_E_clISt17integral_constantIbLb1EESZ_EEDaSU_SV_EUlSU_E_NS1_11comp_targetILNS1_3genE9ELNS1_11target_archE1100ELNS1_3gpuE3ELNS1_3repE0EEENS1_30default_config_static_selectorELNS0_4arch9wavefront6targetE0EEEvT1_
; %bb.0:
	.section	.rodata,"a",@progbits
	.p2align	6, 0x0
	.amdhsa_kernel _ZN7rocprim17ROCPRIM_400000_NS6detail17trampoline_kernelINS0_14default_configENS1_27scan_by_key_config_selectorIxxEEZZNS1_16scan_by_key_implILNS1_25lookback_scan_determinismE0ELb1ES3_N6thrust23THRUST_200600_302600_NS6detail15normal_iteratorINS9_10device_ptrIxEEEESE_SE_xNS9_4plusIvEENS9_8equal_toIxEExEE10hipError_tPvRmT2_T3_T4_T5_mT6_T7_P12ihipStream_tbENKUlT_T0_E_clISt17integral_constantIbLb1EESZ_EEDaSU_SV_EUlSU_E_NS1_11comp_targetILNS1_3genE9ELNS1_11target_archE1100ELNS1_3gpuE3ELNS1_3repE0EEENS1_30default_config_static_selectorELNS0_4arch9wavefront6targetE0EEEvT1_
		.amdhsa_group_segment_fixed_size 0
		.amdhsa_private_segment_fixed_size 0
		.amdhsa_kernarg_size 136
		.amdhsa_user_sgpr_count 2
		.amdhsa_user_sgpr_dispatch_ptr 0
		.amdhsa_user_sgpr_queue_ptr 0
		.amdhsa_user_sgpr_kernarg_segment_ptr 1
		.amdhsa_user_sgpr_dispatch_id 0
		.amdhsa_user_sgpr_kernarg_preload_length 0
		.amdhsa_user_sgpr_kernarg_preload_offset 0
		.amdhsa_user_sgpr_private_segment_size 0
		.amdhsa_wavefront_size32 1
		.amdhsa_uses_dynamic_stack 0
		.amdhsa_enable_private_segment 0
		.amdhsa_system_sgpr_workgroup_id_x 1
		.amdhsa_system_sgpr_workgroup_id_y 0
		.amdhsa_system_sgpr_workgroup_id_z 0
		.amdhsa_system_sgpr_workgroup_info 0
		.amdhsa_system_vgpr_workitem_id 0
		.amdhsa_next_free_vgpr 1
		.amdhsa_next_free_sgpr 1
		.amdhsa_named_barrier_count 0
		.amdhsa_reserve_vcc 0
		.amdhsa_float_round_mode_32 0
		.amdhsa_float_round_mode_16_64 0
		.amdhsa_float_denorm_mode_32 3
		.amdhsa_float_denorm_mode_16_64 3
		.amdhsa_fp16_overflow 0
		.amdhsa_memory_ordered 1
		.amdhsa_forward_progress 1
		.amdhsa_inst_pref_size 0
		.amdhsa_round_robin_scheduling 0
		.amdhsa_exception_fp_ieee_invalid_op 0
		.amdhsa_exception_fp_denorm_src 0
		.amdhsa_exception_fp_ieee_div_zero 0
		.amdhsa_exception_fp_ieee_overflow 0
		.amdhsa_exception_fp_ieee_underflow 0
		.amdhsa_exception_fp_ieee_inexact 0
		.amdhsa_exception_int_div_zero 0
	.end_amdhsa_kernel
	.section	.text._ZN7rocprim17ROCPRIM_400000_NS6detail17trampoline_kernelINS0_14default_configENS1_27scan_by_key_config_selectorIxxEEZZNS1_16scan_by_key_implILNS1_25lookback_scan_determinismE0ELb1ES3_N6thrust23THRUST_200600_302600_NS6detail15normal_iteratorINS9_10device_ptrIxEEEESE_SE_xNS9_4plusIvEENS9_8equal_toIxEExEE10hipError_tPvRmT2_T3_T4_T5_mT6_T7_P12ihipStream_tbENKUlT_T0_E_clISt17integral_constantIbLb1EESZ_EEDaSU_SV_EUlSU_E_NS1_11comp_targetILNS1_3genE9ELNS1_11target_archE1100ELNS1_3gpuE3ELNS1_3repE0EEENS1_30default_config_static_selectorELNS0_4arch9wavefront6targetE0EEEvT1_,"axG",@progbits,_ZN7rocprim17ROCPRIM_400000_NS6detail17trampoline_kernelINS0_14default_configENS1_27scan_by_key_config_selectorIxxEEZZNS1_16scan_by_key_implILNS1_25lookback_scan_determinismE0ELb1ES3_N6thrust23THRUST_200600_302600_NS6detail15normal_iteratorINS9_10device_ptrIxEEEESE_SE_xNS9_4plusIvEENS9_8equal_toIxEExEE10hipError_tPvRmT2_T3_T4_T5_mT6_T7_P12ihipStream_tbENKUlT_T0_E_clISt17integral_constantIbLb1EESZ_EEDaSU_SV_EUlSU_E_NS1_11comp_targetILNS1_3genE9ELNS1_11target_archE1100ELNS1_3gpuE3ELNS1_3repE0EEENS1_30default_config_static_selectorELNS0_4arch9wavefront6targetE0EEEvT1_,comdat
.Lfunc_end441:
	.size	_ZN7rocprim17ROCPRIM_400000_NS6detail17trampoline_kernelINS0_14default_configENS1_27scan_by_key_config_selectorIxxEEZZNS1_16scan_by_key_implILNS1_25lookback_scan_determinismE0ELb1ES3_N6thrust23THRUST_200600_302600_NS6detail15normal_iteratorINS9_10device_ptrIxEEEESE_SE_xNS9_4plusIvEENS9_8equal_toIxEExEE10hipError_tPvRmT2_T3_T4_T5_mT6_T7_P12ihipStream_tbENKUlT_T0_E_clISt17integral_constantIbLb1EESZ_EEDaSU_SV_EUlSU_E_NS1_11comp_targetILNS1_3genE9ELNS1_11target_archE1100ELNS1_3gpuE3ELNS1_3repE0EEENS1_30default_config_static_selectorELNS0_4arch9wavefront6targetE0EEEvT1_, .Lfunc_end441-_ZN7rocprim17ROCPRIM_400000_NS6detail17trampoline_kernelINS0_14default_configENS1_27scan_by_key_config_selectorIxxEEZZNS1_16scan_by_key_implILNS1_25lookback_scan_determinismE0ELb1ES3_N6thrust23THRUST_200600_302600_NS6detail15normal_iteratorINS9_10device_ptrIxEEEESE_SE_xNS9_4plusIvEENS9_8equal_toIxEExEE10hipError_tPvRmT2_T3_T4_T5_mT6_T7_P12ihipStream_tbENKUlT_T0_E_clISt17integral_constantIbLb1EESZ_EEDaSU_SV_EUlSU_E_NS1_11comp_targetILNS1_3genE9ELNS1_11target_archE1100ELNS1_3gpuE3ELNS1_3repE0EEENS1_30default_config_static_selectorELNS0_4arch9wavefront6targetE0EEEvT1_
                                        ; -- End function
	.set _ZN7rocprim17ROCPRIM_400000_NS6detail17trampoline_kernelINS0_14default_configENS1_27scan_by_key_config_selectorIxxEEZZNS1_16scan_by_key_implILNS1_25lookback_scan_determinismE0ELb1ES3_N6thrust23THRUST_200600_302600_NS6detail15normal_iteratorINS9_10device_ptrIxEEEESE_SE_xNS9_4plusIvEENS9_8equal_toIxEExEE10hipError_tPvRmT2_T3_T4_T5_mT6_T7_P12ihipStream_tbENKUlT_T0_E_clISt17integral_constantIbLb1EESZ_EEDaSU_SV_EUlSU_E_NS1_11comp_targetILNS1_3genE9ELNS1_11target_archE1100ELNS1_3gpuE3ELNS1_3repE0EEENS1_30default_config_static_selectorELNS0_4arch9wavefront6targetE0EEEvT1_.num_vgpr, 0
	.set _ZN7rocprim17ROCPRIM_400000_NS6detail17trampoline_kernelINS0_14default_configENS1_27scan_by_key_config_selectorIxxEEZZNS1_16scan_by_key_implILNS1_25lookback_scan_determinismE0ELb1ES3_N6thrust23THRUST_200600_302600_NS6detail15normal_iteratorINS9_10device_ptrIxEEEESE_SE_xNS9_4plusIvEENS9_8equal_toIxEExEE10hipError_tPvRmT2_T3_T4_T5_mT6_T7_P12ihipStream_tbENKUlT_T0_E_clISt17integral_constantIbLb1EESZ_EEDaSU_SV_EUlSU_E_NS1_11comp_targetILNS1_3genE9ELNS1_11target_archE1100ELNS1_3gpuE3ELNS1_3repE0EEENS1_30default_config_static_selectorELNS0_4arch9wavefront6targetE0EEEvT1_.num_agpr, 0
	.set _ZN7rocprim17ROCPRIM_400000_NS6detail17trampoline_kernelINS0_14default_configENS1_27scan_by_key_config_selectorIxxEEZZNS1_16scan_by_key_implILNS1_25lookback_scan_determinismE0ELb1ES3_N6thrust23THRUST_200600_302600_NS6detail15normal_iteratorINS9_10device_ptrIxEEEESE_SE_xNS9_4plusIvEENS9_8equal_toIxEExEE10hipError_tPvRmT2_T3_T4_T5_mT6_T7_P12ihipStream_tbENKUlT_T0_E_clISt17integral_constantIbLb1EESZ_EEDaSU_SV_EUlSU_E_NS1_11comp_targetILNS1_3genE9ELNS1_11target_archE1100ELNS1_3gpuE3ELNS1_3repE0EEENS1_30default_config_static_selectorELNS0_4arch9wavefront6targetE0EEEvT1_.numbered_sgpr, 0
	.set _ZN7rocprim17ROCPRIM_400000_NS6detail17trampoline_kernelINS0_14default_configENS1_27scan_by_key_config_selectorIxxEEZZNS1_16scan_by_key_implILNS1_25lookback_scan_determinismE0ELb1ES3_N6thrust23THRUST_200600_302600_NS6detail15normal_iteratorINS9_10device_ptrIxEEEESE_SE_xNS9_4plusIvEENS9_8equal_toIxEExEE10hipError_tPvRmT2_T3_T4_T5_mT6_T7_P12ihipStream_tbENKUlT_T0_E_clISt17integral_constantIbLb1EESZ_EEDaSU_SV_EUlSU_E_NS1_11comp_targetILNS1_3genE9ELNS1_11target_archE1100ELNS1_3gpuE3ELNS1_3repE0EEENS1_30default_config_static_selectorELNS0_4arch9wavefront6targetE0EEEvT1_.num_named_barrier, 0
	.set _ZN7rocprim17ROCPRIM_400000_NS6detail17trampoline_kernelINS0_14default_configENS1_27scan_by_key_config_selectorIxxEEZZNS1_16scan_by_key_implILNS1_25lookback_scan_determinismE0ELb1ES3_N6thrust23THRUST_200600_302600_NS6detail15normal_iteratorINS9_10device_ptrIxEEEESE_SE_xNS9_4plusIvEENS9_8equal_toIxEExEE10hipError_tPvRmT2_T3_T4_T5_mT6_T7_P12ihipStream_tbENKUlT_T0_E_clISt17integral_constantIbLb1EESZ_EEDaSU_SV_EUlSU_E_NS1_11comp_targetILNS1_3genE9ELNS1_11target_archE1100ELNS1_3gpuE3ELNS1_3repE0EEENS1_30default_config_static_selectorELNS0_4arch9wavefront6targetE0EEEvT1_.private_seg_size, 0
	.set _ZN7rocprim17ROCPRIM_400000_NS6detail17trampoline_kernelINS0_14default_configENS1_27scan_by_key_config_selectorIxxEEZZNS1_16scan_by_key_implILNS1_25lookback_scan_determinismE0ELb1ES3_N6thrust23THRUST_200600_302600_NS6detail15normal_iteratorINS9_10device_ptrIxEEEESE_SE_xNS9_4plusIvEENS9_8equal_toIxEExEE10hipError_tPvRmT2_T3_T4_T5_mT6_T7_P12ihipStream_tbENKUlT_T0_E_clISt17integral_constantIbLb1EESZ_EEDaSU_SV_EUlSU_E_NS1_11comp_targetILNS1_3genE9ELNS1_11target_archE1100ELNS1_3gpuE3ELNS1_3repE0EEENS1_30default_config_static_selectorELNS0_4arch9wavefront6targetE0EEEvT1_.uses_vcc, 0
	.set _ZN7rocprim17ROCPRIM_400000_NS6detail17trampoline_kernelINS0_14default_configENS1_27scan_by_key_config_selectorIxxEEZZNS1_16scan_by_key_implILNS1_25lookback_scan_determinismE0ELb1ES3_N6thrust23THRUST_200600_302600_NS6detail15normal_iteratorINS9_10device_ptrIxEEEESE_SE_xNS9_4plusIvEENS9_8equal_toIxEExEE10hipError_tPvRmT2_T3_T4_T5_mT6_T7_P12ihipStream_tbENKUlT_T0_E_clISt17integral_constantIbLb1EESZ_EEDaSU_SV_EUlSU_E_NS1_11comp_targetILNS1_3genE9ELNS1_11target_archE1100ELNS1_3gpuE3ELNS1_3repE0EEENS1_30default_config_static_selectorELNS0_4arch9wavefront6targetE0EEEvT1_.uses_flat_scratch, 0
	.set _ZN7rocprim17ROCPRIM_400000_NS6detail17trampoline_kernelINS0_14default_configENS1_27scan_by_key_config_selectorIxxEEZZNS1_16scan_by_key_implILNS1_25lookback_scan_determinismE0ELb1ES3_N6thrust23THRUST_200600_302600_NS6detail15normal_iteratorINS9_10device_ptrIxEEEESE_SE_xNS9_4plusIvEENS9_8equal_toIxEExEE10hipError_tPvRmT2_T3_T4_T5_mT6_T7_P12ihipStream_tbENKUlT_T0_E_clISt17integral_constantIbLb1EESZ_EEDaSU_SV_EUlSU_E_NS1_11comp_targetILNS1_3genE9ELNS1_11target_archE1100ELNS1_3gpuE3ELNS1_3repE0EEENS1_30default_config_static_selectorELNS0_4arch9wavefront6targetE0EEEvT1_.has_dyn_sized_stack, 0
	.set _ZN7rocprim17ROCPRIM_400000_NS6detail17trampoline_kernelINS0_14default_configENS1_27scan_by_key_config_selectorIxxEEZZNS1_16scan_by_key_implILNS1_25lookback_scan_determinismE0ELb1ES3_N6thrust23THRUST_200600_302600_NS6detail15normal_iteratorINS9_10device_ptrIxEEEESE_SE_xNS9_4plusIvEENS9_8equal_toIxEExEE10hipError_tPvRmT2_T3_T4_T5_mT6_T7_P12ihipStream_tbENKUlT_T0_E_clISt17integral_constantIbLb1EESZ_EEDaSU_SV_EUlSU_E_NS1_11comp_targetILNS1_3genE9ELNS1_11target_archE1100ELNS1_3gpuE3ELNS1_3repE0EEENS1_30default_config_static_selectorELNS0_4arch9wavefront6targetE0EEEvT1_.has_recursion, 0
	.set _ZN7rocprim17ROCPRIM_400000_NS6detail17trampoline_kernelINS0_14default_configENS1_27scan_by_key_config_selectorIxxEEZZNS1_16scan_by_key_implILNS1_25lookback_scan_determinismE0ELb1ES3_N6thrust23THRUST_200600_302600_NS6detail15normal_iteratorINS9_10device_ptrIxEEEESE_SE_xNS9_4plusIvEENS9_8equal_toIxEExEE10hipError_tPvRmT2_T3_T4_T5_mT6_T7_P12ihipStream_tbENKUlT_T0_E_clISt17integral_constantIbLb1EESZ_EEDaSU_SV_EUlSU_E_NS1_11comp_targetILNS1_3genE9ELNS1_11target_archE1100ELNS1_3gpuE3ELNS1_3repE0EEENS1_30default_config_static_selectorELNS0_4arch9wavefront6targetE0EEEvT1_.has_indirect_call, 0
	.section	.AMDGPU.csdata,"",@progbits
; Kernel info:
; codeLenInByte = 0
; TotalNumSgprs: 0
; NumVgprs: 0
; ScratchSize: 0
; MemoryBound: 0
; FloatMode: 240
; IeeeMode: 1
; LDSByteSize: 0 bytes/workgroup (compile time only)
; SGPRBlocks: 0
; VGPRBlocks: 0
; NumSGPRsForWavesPerEU: 1
; NumVGPRsForWavesPerEU: 1
; NamedBarCnt: 0
; Occupancy: 16
; WaveLimiterHint : 0
; COMPUTE_PGM_RSRC2:SCRATCH_EN: 0
; COMPUTE_PGM_RSRC2:USER_SGPR: 2
; COMPUTE_PGM_RSRC2:TRAP_HANDLER: 0
; COMPUTE_PGM_RSRC2:TGID_X_EN: 1
; COMPUTE_PGM_RSRC2:TGID_Y_EN: 0
; COMPUTE_PGM_RSRC2:TGID_Z_EN: 0
; COMPUTE_PGM_RSRC2:TIDIG_COMP_CNT: 0
	.section	.text._ZN7rocprim17ROCPRIM_400000_NS6detail17trampoline_kernelINS0_14default_configENS1_27scan_by_key_config_selectorIxxEEZZNS1_16scan_by_key_implILNS1_25lookback_scan_determinismE0ELb1ES3_N6thrust23THRUST_200600_302600_NS6detail15normal_iteratorINS9_10device_ptrIxEEEESE_SE_xNS9_4plusIvEENS9_8equal_toIxEExEE10hipError_tPvRmT2_T3_T4_T5_mT6_T7_P12ihipStream_tbENKUlT_T0_E_clISt17integral_constantIbLb1EESZ_EEDaSU_SV_EUlSU_E_NS1_11comp_targetILNS1_3genE8ELNS1_11target_archE1030ELNS1_3gpuE2ELNS1_3repE0EEENS1_30default_config_static_selectorELNS0_4arch9wavefront6targetE0EEEvT1_,"axG",@progbits,_ZN7rocprim17ROCPRIM_400000_NS6detail17trampoline_kernelINS0_14default_configENS1_27scan_by_key_config_selectorIxxEEZZNS1_16scan_by_key_implILNS1_25lookback_scan_determinismE0ELb1ES3_N6thrust23THRUST_200600_302600_NS6detail15normal_iteratorINS9_10device_ptrIxEEEESE_SE_xNS9_4plusIvEENS9_8equal_toIxEExEE10hipError_tPvRmT2_T3_T4_T5_mT6_T7_P12ihipStream_tbENKUlT_T0_E_clISt17integral_constantIbLb1EESZ_EEDaSU_SV_EUlSU_E_NS1_11comp_targetILNS1_3genE8ELNS1_11target_archE1030ELNS1_3gpuE2ELNS1_3repE0EEENS1_30default_config_static_selectorELNS0_4arch9wavefront6targetE0EEEvT1_,comdat
	.protected	_ZN7rocprim17ROCPRIM_400000_NS6detail17trampoline_kernelINS0_14default_configENS1_27scan_by_key_config_selectorIxxEEZZNS1_16scan_by_key_implILNS1_25lookback_scan_determinismE0ELb1ES3_N6thrust23THRUST_200600_302600_NS6detail15normal_iteratorINS9_10device_ptrIxEEEESE_SE_xNS9_4plusIvEENS9_8equal_toIxEExEE10hipError_tPvRmT2_T3_T4_T5_mT6_T7_P12ihipStream_tbENKUlT_T0_E_clISt17integral_constantIbLb1EESZ_EEDaSU_SV_EUlSU_E_NS1_11comp_targetILNS1_3genE8ELNS1_11target_archE1030ELNS1_3gpuE2ELNS1_3repE0EEENS1_30default_config_static_selectorELNS0_4arch9wavefront6targetE0EEEvT1_ ; -- Begin function _ZN7rocprim17ROCPRIM_400000_NS6detail17trampoline_kernelINS0_14default_configENS1_27scan_by_key_config_selectorIxxEEZZNS1_16scan_by_key_implILNS1_25lookback_scan_determinismE0ELb1ES3_N6thrust23THRUST_200600_302600_NS6detail15normal_iteratorINS9_10device_ptrIxEEEESE_SE_xNS9_4plusIvEENS9_8equal_toIxEExEE10hipError_tPvRmT2_T3_T4_T5_mT6_T7_P12ihipStream_tbENKUlT_T0_E_clISt17integral_constantIbLb1EESZ_EEDaSU_SV_EUlSU_E_NS1_11comp_targetILNS1_3genE8ELNS1_11target_archE1030ELNS1_3gpuE2ELNS1_3repE0EEENS1_30default_config_static_selectorELNS0_4arch9wavefront6targetE0EEEvT1_
	.globl	_ZN7rocprim17ROCPRIM_400000_NS6detail17trampoline_kernelINS0_14default_configENS1_27scan_by_key_config_selectorIxxEEZZNS1_16scan_by_key_implILNS1_25lookback_scan_determinismE0ELb1ES3_N6thrust23THRUST_200600_302600_NS6detail15normal_iteratorINS9_10device_ptrIxEEEESE_SE_xNS9_4plusIvEENS9_8equal_toIxEExEE10hipError_tPvRmT2_T3_T4_T5_mT6_T7_P12ihipStream_tbENKUlT_T0_E_clISt17integral_constantIbLb1EESZ_EEDaSU_SV_EUlSU_E_NS1_11comp_targetILNS1_3genE8ELNS1_11target_archE1030ELNS1_3gpuE2ELNS1_3repE0EEENS1_30default_config_static_selectorELNS0_4arch9wavefront6targetE0EEEvT1_
	.p2align	8
	.type	_ZN7rocprim17ROCPRIM_400000_NS6detail17trampoline_kernelINS0_14default_configENS1_27scan_by_key_config_selectorIxxEEZZNS1_16scan_by_key_implILNS1_25lookback_scan_determinismE0ELb1ES3_N6thrust23THRUST_200600_302600_NS6detail15normal_iteratorINS9_10device_ptrIxEEEESE_SE_xNS9_4plusIvEENS9_8equal_toIxEExEE10hipError_tPvRmT2_T3_T4_T5_mT6_T7_P12ihipStream_tbENKUlT_T0_E_clISt17integral_constantIbLb1EESZ_EEDaSU_SV_EUlSU_E_NS1_11comp_targetILNS1_3genE8ELNS1_11target_archE1030ELNS1_3gpuE2ELNS1_3repE0EEENS1_30default_config_static_selectorELNS0_4arch9wavefront6targetE0EEEvT1_,@function
_ZN7rocprim17ROCPRIM_400000_NS6detail17trampoline_kernelINS0_14default_configENS1_27scan_by_key_config_selectorIxxEEZZNS1_16scan_by_key_implILNS1_25lookback_scan_determinismE0ELb1ES3_N6thrust23THRUST_200600_302600_NS6detail15normal_iteratorINS9_10device_ptrIxEEEESE_SE_xNS9_4plusIvEENS9_8equal_toIxEExEE10hipError_tPvRmT2_T3_T4_T5_mT6_T7_P12ihipStream_tbENKUlT_T0_E_clISt17integral_constantIbLb1EESZ_EEDaSU_SV_EUlSU_E_NS1_11comp_targetILNS1_3genE8ELNS1_11target_archE1030ELNS1_3gpuE2ELNS1_3repE0EEENS1_30default_config_static_selectorELNS0_4arch9wavefront6targetE0EEEvT1_: ; @_ZN7rocprim17ROCPRIM_400000_NS6detail17trampoline_kernelINS0_14default_configENS1_27scan_by_key_config_selectorIxxEEZZNS1_16scan_by_key_implILNS1_25lookback_scan_determinismE0ELb1ES3_N6thrust23THRUST_200600_302600_NS6detail15normal_iteratorINS9_10device_ptrIxEEEESE_SE_xNS9_4plusIvEENS9_8equal_toIxEExEE10hipError_tPvRmT2_T3_T4_T5_mT6_T7_P12ihipStream_tbENKUlT_T0_E_clISt17integral_constantIbLb1EESZ_EEDaSU_SV_EUlSU_E_NS1_11comp_targetILNS1_3genE8ELNS1_11target_archE1030ELNS1_3gpuE2ELNS1_3repE0EEENS1_30default_config_static_selectorELNS0_4arch9wavefront6targetE0EEEvT1_
; %bb.0:
	.section	.rodata,"a",@progbits
	.p2align	6, 0x0
	.amdhsa_kernel _ZN7rocprim17ROCPRIM_400000_NS6detail17trampoline_kernelINS0_14default_configENS1_27scan_by_key_config_selectorIxxEEZZNS1_16scan_by_key_implILNS1_25lookback_scan_determinismE0ELb1ES3_N6thrust23THRUST_200600_302600_NS6detail15normal_iteratorINS9_10device_ptrIxEEEESE_SE_xNS9_4plusIvEENS9_8equal_toIxEExEE10hipError_tPvRmT2_T3_T4_T5_mT6_T7_P12ihipStream_tbENKUlT_T0_E_clISt17integral_constantIbLb1EESZ_EEDaSU_SV_EUlSU_E_NS1_11comp_targetILNS1_3genE8ELNS1_11target_archE1030ELNS1_3gpuE2ELNS1_3repE0EEENS1_30default_config_static_selectorELNS0_4arch9wavefront6targetE0EEEvT1_
		.amdhsa_group_segment_fixed_size 0
		.amdhsa_private_segment_fixed_size 0
		.amdhsa_kernarg_size 136
		.amdhsa_user_sgpr_count 2
		.amdhsa_user_sgpr_dispatch_ptr 0
		.amdhsa_user_sgpr_queue_ptr 0
		.amdhsa_user_sgpr_kernarg_segment_ptr 1
		.amdhsa_user_sgpr_dispatch_id 0
		.amdhsa_user_sgpr_kernarg_preload_length 0
		.amdhsa_user_sgpr_kernarg_preload_offset 0
		.amdhsa_user_sgpr_private_segment_size 0
		.amdhsa_wavefront_size32 1
		.amdhsa_uses_dynamic_stack 0
		.amdhsa_enable_private_segment 0
		.amdhsa_system_sgpr_workgroup_id_x 1
		.amdhsa_system_sgpr_workgroup_id_y 0
		.amdhsa_system_sgpr_workgroup_id_z 0
		.amdhsa_system_sgpr_workgroup_info 0
		.amdhsa_system_vgpr_workitem_id 0
		.amdhsa_next_free_vgpr 1
		.amdhsa_next_free_sgpr 1
		.amdhsa_named_barrier_count 0
		.amdhsa_reserve_vcc 0
		.amdhsa_float_round_mode_32 0
		.amdhsa_float_round_mode_16_64 0
		.amdhsa_float_denorm_mode_32 3
		.amdhsa_float_denorm_mode_16_64 3
		.amdhsa_fp16_overflow 0
		.amdhsa_memory_ordered 1
		.amdhsa_forward_progress 1
		.amdhsa_inst_pref_size 0
		.amdhsa_round_robin_scheduling 0
		.amdhsa_exception_fp_ieee_invalid_op 0
		.amdhsa_exception_fp_denorm_src 0
		.amdhsa_exception_fp_ieee_div_zero 0
		.amdhsa_exception_fp_ieee_overflow 0
		.amdhsa_exception_fp_ieee_underflow 0
		.amdhsa_exception_fp_ieee_inexact 0
		.amdhsa_exception_int_div_zero 0
	.end_amdhsa_kernel
	.section	.text._ZN7rocprim17ROCPRIM_400000_NS6detail17trampoline_kernelINS0_14default_configENS1_27scan_by_key_config_selectorIxxEEZZNS1_16scan_by_key_implILNS1_25lookback_scan_determinismE0ELb1ES3_N6thrust23THRUST_200600_302600_NS6detail15normal_iteratorINS9_10device_ptrIxEEEESE_SE_xNS9_4plusIvEENS9_8equal_toIxEExEE10hipError_tPvRmT2_T3_T4_T5_mT6_T7_P12ihipStream_tbENKUlT_T0_E_clISt17integral_constantIbLb1EESZ_EEDaSU_SV_EUlSU_E_NS1_11comp_targetILNS1_3genE8ELNS1_11target_archE1030ELNS1_3gpuE2ELNS1_3repE0EEENS1_30default_config_static_selectorELNS0_4arch9wavefront6targetE0EEEvT1_,"axG",@progbits,_ZN7rocprim17ROCPRIM_400000_NS6detail17trampoline_kernelINS0_14default_configENS1_27scan_by_key_config_selectorIxxEEZZNS1_16scan_by_key_implILNS1_25lookback_scan_determinismE0ELb1ES3_N6thrust23THRUST_200600_302600_NS6detail15normal_iteratorINS9_10device_ptrIxEEEESE_SE_xNS9_4plusIvEENS9_8equal_toIxEExEE10hipError_tPvRmT2_T3_T4_T5_mT6_T7_P12ihipStream_tbENKUlT_T0_E_clISt17integral_constantIbLb1EESZ_EEDaSU_SV_EUlSU_E_NS1_11comp_targetILNS1_3genE8ELNS1_11target_archE1030ELNS1_3gpuE2ELNS1_3repE0EEENS1_30default_config_static_selectorELNS0_4arch9wavefront6targetE0EEEvT1_,comdat
.Lfunc_end442:
	.size	_ZN7rocprim17ROCPRIM_400000_NS6detail17trampoline_kernelINS0_14default_configENS1_27scan_by_key_config_selectorIxxEEZZNS1_16scan_by_key_implILNS1_25lookback_scan_determinismE0ELb1ES3_N6thrust23THRUST_200600_302600_NS6detail15normal_iteratorINS9_10device_ptrIxEEEESE_SE_xNS9_4plusIvEENS9_8equal_toIxEExEE10hipError_tPvRmT2_T3_T4_T5_mT6_T7_P12ihipStream_tbENKUlT_T0_E_clISt17integral_constantIbLb1EESZ_EEDaSU_SV_EUlSU_E_NS1_11comp_targetILNS1_3genE8ELNS1_11target_archE1030ELNS1_3gpuE2ELNS1_3repE0EEENS1_30default_config_static_selectorELNS0_4arch9wavefront6targetE0EEEvT1_, .Lfunc_end442-_ZN7rocprim17ROCPRIM_400000_NS6detail17trampoline_kernelINS0_14default_configENS1_27scan_by_key_config_selectorIxxEEZZNS1_16scan_by_key_implILNS1_25lookback_scan_determinismE0ELb1ES3_N6thrust23THRUST_200600_302600_NS6detail15normal_iteratorINS9_10device_ptrIxEEEESE_SE_xNS9_4plusIvEENS9_8equal_toIxEExEE10hipError_tPvRmT2_T3_T4_T5_mT6_T7_P12ihipStream_tbENKUlT_T0_E_clISt17integral_constantIbLb1EESZ_EEDaSU_SV_EUlSU_E_NS1_11comp_targetILNS1_3genE8ELNS1_11target_archE1030ELNS1_3gpuE2ELNS1_3repE0EEENS1_30default_config_static_selectorELNS0_4arch9wavefront6targetE0EEEvT1_
                                        ; -- End function
	.set _ZN7rocprim17ROCPRIM_400000_NS6detail17trampoline_kernelINS0_14default_configENS1_27scan_by_key_config_selectorIxxEEZZNS1_16scan_by_key_implILNS1_25lookback_scan_determinismE0ELb1ES3_N6thrust23THRUST_200600_302600_NS6detail15normal_iteratorINS9_10device_ptrIxEEEESE_SE_xNS9_4plusIvEENS9_8equal_toIxEExEE10hipError_tPvRmT2_T3_T4_T5_mT6_T7_P12ihipStream_tbENKUlT_T0_E_clISt17integral_constantIbLb1EESZ_EEDaSU_SV_EUlSU_E_NS1_11comp_targetILNS1_3genE8ELNS1_11target_archE1030ELNS1_3gpuE2ELNS1_3repE0EEENS1_30default_config_static_selectorELNS0_4arch9wavefront6targetE0EEEvT1_.num_vgpr, 0
	.set _ZN7rocprim17ROCPRIM_400000_NS6detail17trampoline_kernelINS0_14default_configENS1_27scan_by_key_config_selectorIxxEEZZNS1_16scan_by_key_implILNS1_25lookback_scan_determinismE0ELb1ES3_N6thrust23THRUST_200600_302600_NS6detail15normal_iteratorINS9_10device_ptrIxEEEESE_SE_xNS9_4plusIvEENS9_8equal_toIxEExEE10hipError_tPvRmT2_T3_T4_T5_mT6_T7_P12ihipStream_tbENKUlT_T0_E_clISt17integral_constantIbLb1EESZ_EEDaSU_SV_EUlSU_E_NS1_11comp_targetILNS1_3genE8ELNS1_11target_archE1030ELNS1_3gpuE2ELNS1_3repE0EEENS1_30default_config_static_selectorELNS0_4arch9wavefront6targetE0EEEvT1_.num_agpr, 0
	.set _ZN7rocprim17ROCPRIM_400000_NS6detail17trampoline_kernelINS0_14default_configENS1_27scan_by_key_config_selectorIxxEEZZNS1_16scan_by_key_implILNS1_25lookback_scan_determinismE0ELb1ES3_N6thrust23THRUST_200600_302600_NS6detail15normal_iteratorINS9_10device_ptrIxEEEESE_SE_xNS9_4plusIvEENS9_8equal_toIxEExEE10hipError_tPvRmT2_T3_T4_T5_mT6_T7_P12ihipStream_tbENKUlT_T0_E_clISt17integral_constantIbLb1EESZ_EEDaSU_SV_EUlSU_E_NS1_11comp_targetILNS1_3genE8ELNS1_11target_archE1030ELNS1_3gpuE2ELNS1_3repE0EEENS1_30default_config_static_selectorELNS0_4arch9wavefront6targetE0EEEvT1_.numbered_sgpr, 0
	.set _ZN7rocprim17ROCPRIM_400000_NS6detail17trampoline_kernelINS0_14default_configENS1_27scan_by_key_config_selectorIxxEEZZNS1_16scan_by_key_implILNS1_25lookback_scan_determinismE0ELb1ES3_N6thrust23THRUST_200600_302600_NS6detail15normal_iteratorINS9_10device_ptrIxEEEESE_SE_xNS9_4plusIvEENS9_8equal_toIxEExEE10hipError_tPvRmT2_T3_T4_T5_mT6_T7_P12ihipStream_tbENKUlT_T0_E_clISt17integral_constantIbLb1EESZ_EEDaSU_SV_EUlSU_E_NS1_11comp_targetILNS1_3genE8ELNS1_11target_archE1030ELNS1_3gpuE2ELNS1_3repE0EEENS1_30default_config_static_selectorELNS0_4arch9wavefront6targetE0EEEvT1_.num_named_barrier, 0
	.set _ZN7rocprim17ROCPRIM_400000_NS6detail17trampoline_kernelINS0_14default_configENS1_27scan_by_key_config_selectorIxxEEZZNS1_16scan_by_key_implILNS1_25lookback_scan_determinismE0ELb1ES3_N6thrust23THRUST_200600_302600_NS6detail15normal_iteratorINS9_10device_ptrIxEEEESE_SE_xNS9_4plusIvEENS9_8equal_toIxEExEE10hipError_tPvRmT2_T3_T4_T5_mT6_T7_P12ihipStream_tbENKUlT_T0_E_clISt17integral_constantIbLb1EESZ_EEDaSU_SV_EUlSU_E_NS1_11comp_targetILNS1_3genE8ELNS1_11target_archE1030ELNS1_3gpuE2ELNS1_3repE0EEENS1_30default_config_static_selectorELNS0_4arch9wavefront6targetE0EEEvT1_.private_seg_size, 0
	.set _ZN7rocprim17ROCPRIM_400000_NS6detail17trampoline_kernelINS0_14default_configENS1_27scan_by_key_config_selectorIxxEEZZNS1_16scan_by_key_implILNS1_25lookback_scan_determinismE0ELb1ES3_N6thrust23THRUST_200600_302600_NS6detail15normal_iteratorINS9_10device_ptrIxEEEESE_SE_xNS9_4plusIvEENS9_8equal_toIxEExEE10hipError_tPvRmT2_T3_T4_T5_mT6_T7_P12ihipStream_tbENKUlT_T0_E_clISt17integral_constantIbLb1EESZ_EEDaSU_SV_EUlSU_E_NS1_11comp_targetILNS1_3genE8ELNS1_11target_archE1030ELNS1_3gpuE2ELNS1_3repE0EEENS1_30default_config_static_selectorELNS0_4arch9wavefront6targetE0EEEvT1_.uses_vcc, 0
	.set _ZN7rocprim17ROCPRIM_400000_NS6detail17trampoline_kernelINS0_14default_configENS1_27scan_by_key_config_selectorIxxEEZZNS1_16scan_by_key_implILNS1_25lookback_scan_determinismE0ELb1ES3_N6thrust23THRUST_200600_302600_NS6detail15normal_iteratorINS9_10device_ptrIxEEEESE_SE_xNS9_4plusIvEENS9_8equal_toIxEExEE10hipError_tPvRmT2_T3_T4_T5_mT6_T7_P12ihipStream_tbENKUlT_T0_E_clISt17integral_constantIbLb1EESZ_EEDaSU_SV_EUlSU_E_NS1_11comp_targetILNS1_3genE8ELNS1_11target_archE1030ELNS1_3gpuE2ELNS1_3repE0EEENS1_30default_config_static_selectorELNS0_4arch9wavefront6targetE0EEEvT1_.uses_flat_scratch, 0
	.set _ZN7rocprim17ROCPRIM_400000_NS6detail17trampoline_kernelINS0_14default_configENS1_27scan_by_key_config_selectorIxxEEZZNS1_16scan_by_key_implILNS1_25lookback_scan_determinismE0ELb1ES3_N6thrust23THRUST_200600_302600_NS6detail15normal_iteratorINS9_10device_ptrIxEEEESE_SE_xNS9_4plusIvEENS9_8equal_toIxEExEE10hipError_tPvRmT2_T3_T4_T5_mT6_T7_P12ihipStream_tbENKUlT_T0_E_clISt17integral_constantIbLb1EESZ_EEDaSU_SV_EUlSU_E_NS1_11comp_targetILNS1_3genE8ELNS1_11target_archE1030ELNS1_3gpuE2ELNS1_3repE0EEENS1_30default_config_static_selectorELNS0_4arch9wavefront6targetE0EEEvT1_.has_dyn_sized_stack, 0
	.set _ZN7rocprim17ROCPRIM_400000_NS6detail17trampoline_kernelINS0_14default_configENS1_27scan_by_key_config_selectorIxxEEZZNS1_16scan_by_key_implILNS1_25lookback_scan_determinismE0ELb1ES3_N6thrust23THRUST_200600_302600_NS6detail15normal_iteratorINS9_10device_ptrIxEEEESE_SE_xNS9_4plusIvEENS9_8equal_toIxEExEE10hipError_tPvRmT2_T3_T4_T5_mT6_T7_P12ihipStream_tbENKUlT_T0_E_clISt17integral_constantIbLb1EESZ_EEDaSU_SV_EUlSU_E_NS1_11comp_targetILNS1_3genE8ELNS1_11target_archE1030ELNS1_3gpuE2ELNS1_3repE0EEENS1_30default_config_static_selectorELNS0_4arch9wavefront6targetE0EEEvT1_.has_recursion, 0
	.set _ZN7rocprim17ROCPRIM_400000_NS6detail17trampoline_kernelINS0_14default_configENS1_27scan_by_key_config_selectorIxxEEZZNS1_16scan_by_key_implILNS1_25lookback_scan_determinismE0ELb1ES3_N6thrust23THRUST_200600_302600_NS6detail15normal_iteratorINS9_10device_ptrIxEEEESE_SE_xNS9_4plusIvEENS9_8equal_toIxEExEE10hipError_tPvRmT2_T3_T4_T5_mT6_T7_P12ihipStream_tbENKUlT_T0_E_clISt17integral_constantIbLb1EESZ_EEDaSU_SV_EUlSU_E_NS1_11comp_targetILNS1_3genE8ELNS1_11target_archE1030ELNS1_3gpuE2ELNS1_3repE0EEENS1_30default_config_static_selectorELNS0_4arch9wavefront6targetE0EEEvT1_.has_indirect_call, 0
	.section	.AMDGPU.csdata,"",@progbits
; Kernel info:
; codeLenInByte = 0
; TotalNumSgprs: 0
; NumVgprs: 0
; ScratchSize: 0
; MemoryBound: 0
; FloatMode: 240
; IeeeMode: 1
; LDSByteSize: 0 bytes/workgroup (compile time only)
; SGPRBlocks: 0
; VGPRBlocks: 0
; NumSGPRsForWavesPerEU: 1
; NumVGPRsForWavesPerEU: 1
; NamedBarCnt: 0
; Occupancy: 16
; WaveLimiterHint : 0
; COMPUTE_PGM_RSRC2:SCRATCH_EN: 0
; COMPUTE_PGM_RSRC2:USER_SGPR: 2
; COMPUTE_PGM_RSRC2:TRAP_HANDLER: 0
; COMPUTE_PGM_RSRC2:TGID_X_EN: 1
; COMPUTE_PGM_RSRC2:TGID_Y_EN: 0
; COMPUTE_PGM_RSRC2:TGID_Z_EN: 0
; COMPUTE_PGM_RSRC2:TIDIG_COMP_CNT: 0
	.section	.text._ZN7rocprim17ROCPRIM_400000_NS6detail17trampoline_kernelINS0_14default_configENS1_27scan_by_key_config_selectorIxxEEZZNS1_16scan_by_key_implILNS1_25lookback_scan_determinismE0ELb1ES3_N6thrust23THRUST_200600_302600_NS6detail15normal_iteratorINS9_10device_ptrIxEEEESE_SE_xNS9_4plusIvEENS9_8equal_toIxEExEE10hipError_tPvRmT2_T3_T4_T5_mT6_T7_P12ihipStream_tbENKUlT_T0_E_clISt17integral_constantIbLb1EESY_IbLb0EEEEDaSU_SV_EUlSU_E_NS1_11comp_targetILNS1_3genE0ELNS1_11target_archE4294967295ELNS1_3gpuE0ELNS1_3repE0EEENS1_30default_config_static_selectorELNS0_4arch9wavefront6targetE0EEEvT1_,"axG",@progbits,_ZN7rocprim17ROCPRIM_400000_NS6detail17trampoline_kernelINS0_14default_configENS1_27scan_by_key_config_selectorIxxEEZZNS1_16scan_by_key_implILNS1_25lookback_scan_determinismE0ELb1ES3_N6thrust23THRUST_200600_302600_NS6detail15normal_iteratorINS9_10device_ptrIxEEEESE_SE_xNS9_4plusIvEENS9_8equal_toIxEExEE10hipError_tPvRmT2_T3_T4_T5_mT6_T7_P12ihipStream_tbENKUlT_T0_E_clISt17integral_constantIbLb1EESY_IbLb0EEEEDaSU_SV_EUlSU_E_NS1_11comp_targetILNS1_3genE0ELNS1_11target_archE4294967295ELNS1_3gpuE0ELNS1_3repE0EEENS1_30default_config_static_selectorELNS0_4arch9wavefront6targetE0EEEvT1_,comdat
	.protected	_ZN7rocprim17ROCPRIM_400000_NS6detail17trampoline_kernelINS0_14default_configENS1_27scan_by_key_config_selectorIxxEEZZNS1_16scan_by_key_implILNS1_25lookback_scan_determinismE0ELb1ES3_N6thrust23THRUST_200600_302600_NS6detail15normal_iteratorINS9_10device_ptrIxEEEESE_SE_xNS9_4plusIvEENS9_8equal_toIxEExEE10hipError_tPvRmT2_T3_T4_T5_mT6_T7_P12ihipStream_tbENKUlT_T0_E_clISt17integral_constantIbLb1EESY_IbLb0EEEEDaSU_SV_EUlSU_E_NS1_11comp_targetILNS1_3genE0ELNS1_11target_archE4294967295ELNS1_3gpuE0ELNS1_3repE0EEENS1_30default_config_static_selectorELNS0_4arch9wavefront6targetE0EEEvT1_ ; -- Begin function _ZN7rocprim17ROCPRIM_400000_NS6detail17trampoline_kernelINS0_14default_configENS1_27scan_by_key_config_selectorIxxEEZZNS1_16scan_by_key_implILNS1_25lookback_scan_determinismE0ELb1ES3_N6thrust23THRUST_200600_302600_NS6detail15normal_iteratorINS9_10device_ptrIxEEEESE_SE_xNS9_4plusIvEENS9_8equal_toIxEExEE10hipError_tPvRmT2_T3_T4_T5_mT6_T7_P12ihipStream_tbENKUlT_T0_E_clISt17integral_constantIbLb1EESY_IbLb0EEEEDaSU_SV_EUlSU_E_NS1_11comp_targetILNS1_3genE0ELNS1_11target_archE4294967295ELNS1_3gpuE0ELNS1_3repE0EEENS1_30default_config_static_selectorELNS0_4arch9wavefront6targetE0EEEvT1_
	.globl	_ZN7rocprim17ROCPRIM_400000_NS6detail17trampoline_kernelINS0_14default_configENS1_27scan_by_key_config_selectorIxxEEZZNS1_16scan_by_key_implILNS1_25lookback_scan_determinismE0ELb1ES3_N6thrust23THRUST_200600_302600_NS6detail15normal_iteratorINS9_10device_ptrIxEEEESE_SE_xNS9_4plusIvEENS9_8equal_toIxEExEE10hipError_tPvRmT2_T3_T4_T5_mT6_T7_P12ihipStream_tbENKUlT_T0_E_clISt17integral_constantIbLb1EESY_IbLb0EEEEDaSU_SV_EUlSU_E_NS1_11comp_targetILNS1_3genE0ELNS1_11target_archE4294967295ELNS1_3gpuE0ELNS1_3repE0EEENS1_30default_config_static_selectorELNS0_4arch9wavefront6targetE0EEEvT1_
	.p2align	8
	.type	_ZN7rocprim17ROCPRIM_400000_NS6detail17trampoline_kernelINS0_14default_configENS1_27scan_by_key_config_selectorIxxEEZZNS1_16scan_by_key_implILNS1_25lookback_scan_determinismE0ELb1ES3_N6thrust23THRUST_200600_302600_NS6detail15normal_iteratorINS9_10device_ptrIxEEEESE_SE_xNS9_4plusIvEENS9_8equal_toIxEExEE10hipError_tPvRmT2_T3_T4_T5_mT6_T7_P12ihipStream_tbENKUlT_T0_E_clISt17integral_constantIbLb1EESY_IbLb0EEEEDaSU_SV_EUlSU_E_NS1_11comp_targetILNS1_3genE0ELNS1_11target_archE4294967295ELNS1_3gpuE0ELNS1_3repE0EEENS1_30default_config_static_selectorELNS0_4arch9wavefront6targetE0EEEvT1_,@function
_ZN7rocprim17ROCPRIM_400000_NS6detail17trampoline_kernelINS0_14default_configENS1_27scan_by_key_config_selectorIxxEEZZNS1_16scan_by_key_implILNS1_25lookback_scan_determinismE0ELb1ES3_N6thrust23THRUST_200600_302600_NS6detail15normal_iteratorINS9_10device_ptrIxEEEESE_SE_xNS9_4plusIvEENS9_8equal_toIxEExEE10hipError_tPvRmT2_T3_T4_T5_mT6_T7_P12ihipStream_tbENKUlT_T0_E_clISt17integral_constantIbLb1EESY_IbLb0EEEEDaSU_SV_EUlSU_E_NS1_11comp_targetILNS1_3genE0ELNS1_11target_archE4294967295ELNS1_3gpuE0ELNS1_3repE0EEENS1_30default_config_static_selectorELNS0_4arch9wavefront6targetE0EEEvT1_: ; @_ZN7rocprim17ROCPRIM_400000_NS6detail17trampoline_kernelINS0_14default_configENS1_27scan_by_key_config_selectorIxxEEZZNS1_16scan_by_key_implILNS1_25lookback_scan_determinismE0ELb1ES3_N6thrust23THRUST_200600_302600_NS6detail15normal_iteratorINS9_10device_ptrIxEEEESE_SE_xNS9_4plusIvEENS9_8equal_toIxEExEE10hipError_tPvRmT2_T3_T4_T5_mT6_T7_P12ihipStream_tbENKUlT_T0_E_clISt17integral_constantIbLb1EESY_IbLb0EEEEDaSU_SV_EUlSU_E_NS1_11comp_targetILNS1_3genE0ELNS1_11target_archE4294967295ELNS1_3gpuE0ELNS1_3repE0EEENS1_30default_config_static_selectorELNS0_4arch9wavefront6targetE0EEEvT1_
; %bb.0:
	s_endpgm
	.section	.rodata,"a",@progbits
	.p2align	6, 0x0
	.amdhsa_kernel _ZN7rocprim17ROCPRIM_400000_NS6detail17trampoline_kernelINS0_14default_configENS1_27scan_by_key_config_selectorIxxEEZZNS1_16scan_by_key_implILNS1_25lookback_scan_determinismE0ELb1ES3_N6thrust23THRUST_200600_302600_NS6detail15normal_iteratorINS9_10device_ptrIxEEEESE_SE_xNS9_4plusIvEENS9_8equal_toIxEExEE10hipError_tPvRmT2_T3_T4_T5_mT6_T7_P12ihipStream_tbENKUlT_T0_E_clISt17integral_constantIbLb1EESY_IbLb0EEEEDaSU_SV_EUlSU_E_NS1_11comp_targetILNS1_3genE0ELNS1_11target_archE4294967295ELNS1_3gpuE0ELNS1_3repE0EEENS1_30default_config_static_selectorELNS0_4arch9wavefront6targetE0EEEvT1_
		.amdhsa_group_segment_fixed_size 0
		.amdhsa_private_segment_fixed_size 0
		.amdhsa_kernarg_size 136
		.amdhsa_user_sgpr_count 2
		.amdhsa_user_sgpr_dispatch_ptr 0
		.amdhsa_user_sgpr_queue_ptr 0
		.amdhsa_user_sgpr_kernarg_segment_ptr 1
		.amdhsa_user_sgpr_dispatch_id 0
		.amdhsa_user_sgpr_kernarg_preload_length 0
		.amdhsa_user_sgpr_kernarg_preload_offset 0
		.amdhsa_user_sgpr_private_segment_size 0
		.amdhsa_wavefront_size32 1
		.amdhsa_uses_dynamic_stack 0
		.amdhsa_enable_private_segment 0
		.amdhsa_system_sgpr_workgroup_id_x 1
		.amdhsa_system_sgpr_workgroup_id_y 0
		.amdhsa_system_sgpr_workgroup_id_z 0
		.amdhsa_system_sgpr_workgroup_info 0
		.amdhsa_system_vgpr_workitem_id 0
		.amdhsa_next_free_vgpr 1
		.amdhsa_next_free_sgpr 1
		.amdhsa_named_barrier_count 0
		.amdhsa_reserve_vcc 0
		.amdhsa_float_round_mode_32 0
		.amdhsa_float_round_mode_16_64 0
		.amdhsa_float_denorm_mode_32 3
		.amdhsa_float_denorm_mode_16_64 3
		.amdhsa_fp16_overflow 0
		.amdhsa_memory_ordered 1
		.amdhsa_forward_progress 1
		.amdhsa_inst_pref_size 1
		.amdhsa_round_robin_scheduling 0
		.amdhsa_exception_fp_ieee_invalid_op 0
		.amdhsa_exception_fp_denorm_src 0
		.amdhsa_exception_fp_ieee_div_zero 0
		.amdhsa_exception_fp_ieee_overflow 0
		.amdhsa_exception_fp_ieee_underflow 0
		.amdhsa_exception_fp_ieee_inexact 0
		.amdhsa_exception_int_div_zero 0
	.end_amdhsa_kernel
	.section	.text._ZN7rocprim17ROCPRIM_400000_NS6detail17trampoline_kernelINS0_14default_configENS1_27scan_by_key_config_selectorIxxEEZZNS1_16scan_by_key_implILNS1_25lookback_scan_determinismE0ELb1ES3_N6thrust23THRUST_200600_302600_NS6detail15normal_iteratorINS9_10device_ptrIxEEEESE_SE_xNS9_4plusIvEENS9_8equal_toIxEExEE10hipError_tPvRmT2_T3_T4_T5_mT6_T7_P12ihipStream_tbENKUlT_T0_E_clISt17integral_constantIbLb1EESY_IbLb0EEEEDaSU_SV_EUlSU_E_NS1_11comp_targetILNS1_3genE0ELNS1_11target_archE4294967295ELNS1_3gpuE0ELNS1_3repE0EEENS1_30default_config_static_selectorELNS0_4arch9wavefront6targetE0EEEvT1_,"axG",@progbits,_ZN7rocprim17ROCPRIM_400000_NS6detail17trampoline_kernelINS0_14default_configENS1_27scan_by_key_config_selectorIxxEEZZNS1_16scan_by_key_implILNS1_25lookback_scan_determinismE0ELb1ES3_N6thrust23THRUST_200600_302600_NS6detail15normal_iteratorINS9_10device_ptrIxEEEESE_SE_xNS9_4plusIvEENS9_8equal_toIxEExEE10hipError_tPvRmT2_T3_T4_T5_mT6_T7_P12ihipStream_tbENKUlT_T0_E_clISt17integral_constantIbLb1EESY_IbLb0EEEEDaSU_SV_EUlSU_E_NS1_11comp_targetILNS1_3genE0ELNS1_11target_archE4294967295ELNS1_3gpuE0ELNS1_3repE0EEENS1_30default_config_static_selectorELNS0_4arch9wavefront6targetE0EEEvT1_,comdat
.Lfunc_end443:
	.size	_ZN7rocprim17ROCPRIM_400000_NS6detail17trampoline_kernelINS0_14default_configENS1_27scan_by_key_config_selectorIxxEEZZNS1_16scan_by_key_implILNS1_25lookback_scan_determinismE0ELb1ES3_N6thrust23THRUST_200600_302600_NS6detail15normal_iteratorINS9_10device_ptrIxEEEESE_SE_xNS9_4plusIvEENS9_8equal_toIxEExEE10hipError_tPvRmT2_T3_T4_T5_mT6_T7_P12ihipStream_tbENKUlT_T0_E_clISt17integral_constantIbLb1EESY_IbLb0EEEEDaSU_SV_EUlSU_E_NS1_11comp_targetILNS1_3genE0ELNS1_11target_archE4294967295ELNS1_3gpuE0ELNS1_3repE0EEENS1_30default_config_static_selectorELNS0_4arch9wavefront6targetE0EEEvT1_, .Lfunc_end443-_ZN7rocprim17ROCPRIM_400000_NS6detail17trampoline_kernelINS0_14default_configENS1_27scan_by_key_config_selectorIxxEEZZNS1_16scan_by_key_implILNS1_25lookback_scan_determinismE0ELb1ES3_N6thrust23THRUST_200600_302600_NS6detail15normal_iteratorINS9_10device_ptrIxEEEESE_SE_xNS9_4plusIvEENS9_8equal_toIxEExEE10hipError_tPvRmT2_T3_T4_T5_mT6_T7_P12ihipStream_tbENKUlT_T0_E_clISt17integral_constantIbLb1EESY_IbLb0EEEEDaSU_SV_EUlSU_E_NS1_11comp_targetILNS1_3genE0ELNS1_11target_archE4294967295ELNS1_3gpuE0ELNS1_3repE0EEENS1_30default_config_static_selectorELNS0_4arch9wavefront6targetE0EEEvT1_
                                        ; -- End function
	.set _ZN7rocprim17ROCPRIM_400000_NS6detail17trampoline_kernelINS0_14default_configENS1_27scan_by_key_config_selectorIxxEEZZNS1_16scan_by_key_implILNS1_25lookback_scan_determinismE0ELb1ES3_N6thrust23THRUST_200600_302600_NS6detail15normal_iteratorINS9_10device_ptrIxEEEESE_SE_xNS9_4plusIvEENS9_8equal_toIxEExEE10hipError_tPvRmT2_T3_T4_T5_mT6_T7_P12ihipStream_tbENKUlT_T0_E_clISt17integral_constantIbLb1EESY_IbLb0EEEEDaSU_SV_EUlSU_E_NS1_11comp_targetILNS1_3genE0ELNS1_11target_archE4294967295ELNS1_3gpuE0ELNS1_3repE0EEENS1_30default_config_static_selectorELNS0_4arch9wavefront6targetE0EEEvT1_.num_vgpr, 0
	.set _ZN7rocprim17ROCPRIM_400000_NS6detail17trampoline_kernelINS0_14default_configENS1_27scan_by_key_config_selectorIxxEEZZNS1_16scan_by_key_implILNS1_25lookback_scan_determinismE0ELb1ES3_N6thrust23THRUST_200600_302600_NS6detail15normal_iteratorINS9_10device_ptrIxEEEESE_SE_xNS9_4plusIvEENS9_8equal_toIxEExEE10hipError_tPvRmT2_T3_T4_T5_mT6_T7_P12ihipStream_tbENKUlT_T0_E_clISt17integral_constantIbLb1EESY_IbLb0EEEEDaSU_SV_EUlSU_E_NS1_11comp_targetILNS1_3genE0ELNS1_11target_archE4294967295ELNS1_3gpuE0ELNS1_3repE0EEENS1_30default_config_static_selectorELNS0_4arch9wavefront6targetE0EEEvT1_.num_agpr, 0
	.set _ZN7rocprim17ROCPRIM_400000_NS6detail17trampoline_kernelINS0_14default_configENS1_27scan_by_key_config_selectorIxxEEZZNS1_16scan_by_key_implILNS1_25lookback_scan_determinismE0ELb1ES3_N6thrust23THRUST_200600_302600_NS6detail15normal_iteratorINS9_10device_ptrIxEEEESE_SE_xNS9_4plusIvEENS9_8equal_toIxEExEE10hipError_tPvRmT2_T3_T4_T5_mT6_T7_P12ihipStream_tbENKUlT_T0_E_clISt17integral_constantIbLb1EESY_IbLb0EEEEDaSU_SV_EUlSU_E_NS1_11comp_targetILNS1_3genE0ELNS1_11target_archE4294967295ELNS1_3gpuE0ELNS1_3repE0EEENS1_30default_config_static_selectorELNS0_4arch9wavefront6targetE0EEEvT1_.numbered_sgpr, 0
	.set _ZN7rocprim17ROCPRIM_400000_NS6detail17trampoline_kernelINS0_14default_configENS1_27scan_by_key_config_selectorIxxEEZZNS1_16scan_by_key_implILNS1_25lookback_scan_determinismE0ELb1ES3_N6thrust23THRUST_200600_302600_NS6detail15normal_iteratorINS9_10device_ptrIxEEEESE_SE_xNS9_4plusIvEENS9_8equal_toIxEExEE10hipError_tPvRmT2_T3_T4_T5_mT6_T7_P12ihipStream_tbENKUlT_T0_E_clISt17integral_constantIbLb1EESY_IbLb0EEEEDaSU_SV_EUlSU_E_NS1_11comp_targetILNS1_3genE0ELNS1_11target_archE4294967295ELNS1_3gpuE0ELNS1_3repE0EEENS1_30default_config_static_selectorELNS0_4arch9wavefront6targetE0EEEvT1_.num_named_barrier, 0
	.set _ZN7rocprim17ROCPRIM_400000_NS6detail17trampoline_kernelINS0_14default_configENS1_27scan_by_key_config_selectorIxxEEZZNS1_16scan_by_key_implILNS1_25lookback_scan_determinismE0ELb1ES3_N6thrust23THRUST_200600_302600_NS6detail15normal_iteratorINS9_10device_ptrIxEEEESE_SE_xNS9_4plusIvEENS9_8equal_toIxEExEE10hipError_tPvRmT2_T3_T4_T5_mT6_T7_P12ihipStream_tbENKUlT_T0_E_clISt17integral_constantIbLb1EESY_IbLb0EEEEDaSU_SV_EUlSU_E_NS1_11comp_targetILNS1_3genE0ELNS1_11target_archE4294967295ELNS1_3gpuE0ELNS1_3repE0EEENS1_30default_config_static_selectorELNS0_4arch9wavefront6targetE0EEEvT1_.private_seg_size, 0
	.set _ZN7rocprim17ROCPRIM_400000_NS6detail17trampoline_kernelINS0_14default_configENS1_27scan_by_key_config_selectorIxxEEZZNS1_16scan_by_key_implILNS1_25lookback_scan_determinismE0ELb1ES3_N6thrust23THRUST_200600_302600_NS6detail15normal_iteratorINS9_10device_ptrIxEEEESE_SE_xNS9_4plusIvEENS9_8equal_toIxEExEE10hipError_tPvRmT2_T3_T4_T5_mT6_T7_P12ihipStream_tbENKUlT_T0_E_clISt17integral_constantIbLb1EESY_IbLb0EEEEDaSU_SV_EUlSU_E_NS1_11comp_targetILNS1_3genE0ELNS1_11target_archE4294967295ELNS1_3gpuE0ELNS1_3repE0EEENS1_30default_config_static_selectorELNS0_4arch9wavefront6targetE0EEEvT1_.uses_vcc, 0
	.set _ZN7rocprim17ROCPRIM_400000_NS6detail17trampoline_kernelINS0_14default_configENS1_27scan_by_key_config_selectorIxxEEZZNS1_16scan_by_key_implILNS1_25lookback_scan_determinismE0ELb1ES3_N6thrust23THRUST_200600_302600_NS6detail15normal_iteratorINS9_10device_ptrIxEEEESE_SE_xNS9_4plusIvEENS9_8equal_toIxEExEE10hipError_tPvRmT2_T3_T4_T5_mT6_T7_P12ihipStream_tbENKUlT_T0_E_clISt17integral_constantIbLb1EESY_IbLb0EEEEDaSU_SV_EUlSU_E_NS1_11comp_targetILNS1_3genE0ELNS1_11target_archE4294967295ELNS1_3gpuE0ELNS1_3repE0EEENS1_30default_config_static_selectorELNS0_4arch9wavefront6targetE0EEEvT1_.uses_flat_scratch, 0
	.set _ZN7rocprim17ROCPRIM_400000_NS6detail17trampoline_kernelINS0_14default_configENS1_27scan_by_key_config_selectorIxxEEZZNS1_16scan_by_key_implILNS1_25lookback_scan_determinismE0ELb1ES3_N6thrust23THRUST_200600_302600_NS6detail15normal_iteratorINS9_10device_ptrIxEEEESE_SE_xNS9_4plusIvEENS9_8equal_toIxEExEE10hipError_tPvRmT2_T3_T4_T5_mT6_T7_P12ihipStream_tbENKUlT_T0_E_clISt17integral_constantIbLb1EESY_IbLb0EEEEDaSU_SV_EUlSU_E_NS1_11comp_targetILNS1_3genE0ELNS1_11target_archE4294967295ELNS1_3gpuE0ELNS1_3repE0EEENS1_30default_config_static_selectorELNS0_4arch9wavefront6targetE0EEEvT1_.has_dyn_sized_stack, 0
	.set _ZN7rocprim17ROCPRIM_400000_NS6detail17trampoline_kernelINS0_14default_configENS1_27scan_by_key_config_selectorIxxEEZZNS1_16scan_by_key_implILNS1_25lookback_scan_determinismE0ELb1ES3_N6thrust23THRUST_200600_302600_NS6detail15normal_iteratorINS9_10device_ptrIxEEEESE_SE_xNS9_4plusIvEENS9_8equal_toIxEExEE10hipError_tPvRmT2_T3_T4_T5_mT6_T7_P12ihipStream_tbENKUlT_T0_E_clISt17integral_constantIbLb1EESY_IbLb0EEEEDaSU_SV_EUlSU_E_NS1_11comp_targetILNS1_3genE0ELNS1_11target_archE4294967295ELNS1_3gpuE0ELNS1_3repE0EEENS1_30default_config_static_selectorELNS0_4arch9wavefront6targetE0EEEvT1_.has_recursion, 0
	.set _ZN7rocprim17ROCPRIM_400000_NS6detail17trampoline_kernelINS0_14default_configENS1_27scan_by_key_config_selectorIxxEEZZNS1_16scan_by_key_implILNS1_25lookback_scan_determinismE0ELb1ES3_N6thrust23THRUST_200600_302600_NS6detail15normal_iteratorINS9_10device_ptrIxEEEESE_SE_xNS9_4plusIvEENS9_8equal_toIxEExEE10hipError_tPvRmT2_T3_T4_T5_mT6_T7_P12ihipStream_tbENKUlT_T0_E_clISt17integral_constantIbLb1EESY_IbLb0EEEEDaSU_SV_EUlSU_E_NS1_11comp_targetILNS1_3genE0ELNS1_11target_archE4294967295ELNS1_3gpuE0ELNS1_3repE0EEENS1_30default_config_static_selectorELNS0_4arch9wavefront6targetE0EEEvT1_.has_indirect_call, 0
	.section	.AMDGPU.csdata,"",@progbits
; Kernel info:
; codeLenInByte = 4
; TotalNumSgprs: 0
; NumVgprs: 0
; ScratchSize: 0
; MemoryBound: 0
; FloatMode: 240
; IeeeMode: 1
; LDSByteSize: 0 bytes/workgroup (compile time only)
; SGPRBlocks: 0
; VGPRBlocks: 0
; NumSGPRsForWavesPerEU: 1
; NumVGPRsForWavesPerEU: 1
; NamedBarCnt: 0
; Occupancy: 16
; WaveLimiterHint : 0
; COMPUTE_PGM_RSRC2:SCRATCH_EN: 0
; COMPUTE_PGM_RSRC2:USER_SGPR: 2
; COMPUTE_PGM_RSRC2:TRAP_HANDLER: 0
; COMPUTE_PGM_RSRC2:TGID_X_EN: 1
; COMPUTE_PGM_RSRC2:TGID_Y_EN: 0
; COMPUTE_PGM_RSRC2:TGID_Z_EN: 0
; COMPUTE_PGM_RSRC2:TIDIG_COMP_CNT: 0
	.section	.text._ZN7rocprim17ROCPRIM_400000_NS6detail17trampoline_kernelINS0_14default_configENS1_27scan_by_key_config_selectorIxxEEZZNS1_16scan_by_key_implILNS1_25lookback_scan_determinismE0ELb1ES3_N6thrust23THRUST_200600_302600_NS6detail15normal_iteratorINS9_10device_ptrIxEEEESE_SE_xNS9_4plusIvEENS9_8equal_toIxEExEE10hipError_tPvRmT2_T3_T4_T5_mT6_T7_P12ihipStream_tbENKUlT_T0_E_clISt17integral_constantIbLb1EESY_IbLb0EEEEDaSU_SV_EUlSU_E_NS1_11comp_targetILNS1_3genE10ELNS1_11target_archE1201ELNS1_3gpuE5ELNS1_3repE0EEENS1_30default_config_static_selectorELNS0_4arch9wavefront6targetE0EEEvT1_,"axG",@progbits,_ZN7rocprim17ROCPRIM_400000_NS6detail17trampoline_kernelINS0_14default_configENS1_27scan_by_key_config_selectorIxxEEZZNS1_16scan_by_key_implILNS1_25lookback_scan_determinismE0ELb1ES3_N6thrust23THRUST_200600_302600_NS6detail15normal_iteratorINS9_10device_ptrIxEEEESE_SE_xNS9_4plusIvEENS9_8equal_toIxEExEE10hipError_tPvRmT2_T3_T4_T5_mT6_T7_P12ihipStream_tbENKUlT_T0_E_clISt17integral_constantIbLb1EESY_IbLb0EEEEDaSU_SV_EUlSU_E_NS1_11comp_targetILNS1_3genE10ELNS1_11target_archE1201ELNS1_3gpuE5ELNS1_3repE0EEENS1_30default_config_static_selectorELNS0_4arch9wavefront6targetE0EEEvT1_,comdat
	.protected	_ZN7rocprim17ROCPRIM_400000_NS6detail17trampoline_kernelINS0_14default_configENS1_27scan_by_key_config_selectorIxxEEZZNS1_16scan_by_key_implILNS1_25lookback_scan_determinismE0ELb1ES3_N6thrust23THRUST_200600_302600_NS6detail15normal_iteratorINS9_10device_ptrIxEEEESE_SE_xNS9_4plusIvEENS9_8equal_toIxEExEE10hipError_tPvRmT2_T3_T4_T5_mT6_T7_P12ihipStream_tbENKUlT_T0_E_clISt17integral_constantIbLb1EESY_IbLb0EEEEDaSU_SV_EUlSU_E_NS1_11comp_targetILNS1_3genE10ELNS1_11target_archE1201ELNS1_3gpuE5ELNS1_3repE0EEENS1_30default_config_static_selectorELNS0_4arch9wavefront6targetE0EEEvT1_ ; -- Begin function _ZN7rocprim17ROCPRIM_400000_NS6detail17trampoline_kernelINS0_14default_configENS1_27scan_by_key_config_selectorIxxEEZZNS1_16scan_by_key_implILNS1_25lookback_scan_determinismE0ELb1ES3_N6thrust23THRUST_200600_302600_NS6detail15normal_iteratorINS9_10device_ptrIxEEEESE_SE_xNS9_4plusIvEENS9_8equal_toIxEExEE10hipError_tPvRmT2_T3_T4_T5_mT6_T7_P12ihipStream_tbENKUlT_T0_E_clISt17integral_constantIbLb1EESY_IbLb0EEEEDaSU_SV_EUlSU_E_NS1_11comp_targetILNS1_3genE10ELNS1_11target_archE1201ELNS1_3gpuE5ELNS1_3repE0EEENS1_30default_config_static_selectorELNS0_4arch9wavefront6targetE0EEEvT1_
	.globl	_ZN7rocprim17ROCPRIM_400000_NS6detail17trampoline_kernelINS0_14default_configENS1_27scan_by_key_config_selectorIxxEEZZNS1_16scan_by_key_implILNS1_25lookback_scan_determinismE0ELb1ES3_N6thrust23THRUST_200600_302600_NS6detail15normal_iteratorINS9_10device_ptrIxEEEESE_SE_xNS9_4plusIvEENS9_8equal_toIxEExEE10hipError_tPvRmT2_T3_T4_T5_mT6_T7_P12ihipStream_tbENKUlT_T0_E_clISt17integral_constantIbLb1EESY_IbLb0EEEEDaSU_SV_EUlSU_E_NS1_11comp_targetILNS1_3genE10ELNS1_11target_archE1201ELNS1_3gpuE5ELNS1_3repE0EEENS1_30default_config_static_selectorELNS0_4arch9wavefront6targetE0EEEvT1_
	.p2align	8
	.type	_ZN7rocprim17ROCPRIM_400000_NS6detail17trampoline_kernelINS0_14default_configENS1_27scan_by_key_config_selectorIxxEEZZNS1_16scan_by_key_implILNS1_25lookback_scan_determinismE0ELb1ES3_N6thrust23THRUST_200600_302600_NS6detail15normal_iteratorINS9_10device_ptrIxEEEESE_SE_xNS9_4plusIvEENS9_8equal_toIxEExEE10hipError_tPvRmT2_T3_T4_T5_mT6_T7_P12ihipStream_tbENKUlT_T0_E_clISt17integral_constantIbLb1EESY_IbLb0EEEEDaSU_SV_EUlSU_E_NS1_11comp_targetILNS1_3genE10ELNS1_11target_archE1201ELNS1_3gpuE5ELNS1_3repE0EEENS1_30default_config_static_selectorELNS0_4arch9wavefront6targetE0EEEvT1_,@function
_ZN7rocprim17ROCPRIM_400000_NS6detail17trampoline_kernelINS0_14default_configENS1_27scan_by_key_config_selectorIxxEEZZNS1_16scan_by_key_implILNS1_25lookback_scan_determinismE0ELb1ES3_N6thrust23THRUST_200600_302600_NS6detail15normal_iteratorINS9_10device_ptrIxEEEESE_SE_xNS9_4plusIvEENS9_8equal_toIxEExEE10hipError_tPvRmT2_T3_T4_T5_mT6_T7_P12ihipStream_tbENKUlT_T0_E_clISt17integral_constantIbLb1EESY_IbLb0EEEEDaSU_SV_EUlSU_E_NS1_11comp_targetILNS1_3genE10ELNS1_11target_archE1201ELNS1_3gpuE5ELNS1_3repE0EEENS1_30default_config_static_selectorELNS0_4arch9wavefront6targetE0EEEvT1_: ; @_ZN7rocprim17ROCPRIM_400000_NS6detail17trampoline_kernelINS0_14default_configENS1_27scan_by_key_config_selectorIxxEEZZNS1_16scan_by_key_implILNS1_25lookback_scan_determinismE0ELb1ES3_N6thrust23THRUST_200600_302600_NS6detail15normal_iteratorINS9_10device_ptrIxEEEESE_SE_xNS9_4plusIvEENS9_8equal_toIxEExEE10hipError_tPvRmT2_T3_T4_T5_mT6_T7_P12ihipStream_tbENKUlT_T0_E_clISt17integral_constantIbLb1EESY_IbLb0EEEEDaSU_SV_EUlSU_E_NS1_11comp_targetILNS1_3genE10ELNS1_11target_archE1201ELNS1_3gpuE5ELNS1_3repE0EEENS1_30default_config_static_selectorELNS0_4arch9wavefront6targetE0EEEvT1_
; %bb.0:
	.section	.rodata,"a",@progbits
	.p2align	6, 0x0
	.amdhsa_kernel _ZN7rocprim17ROCPRIM_400000_NS6detail17trampoline_kernelINS0_14default_configENS1_27scan_by_key_config_selectorIxxEEZZNS1_16scan_by_key_implILNS1_25lookback_scan_determinismE0ELb1ES3_N6thrust23THRUST_200600_302600_NS6detail15normal_iteratorINS9_10device_ptrIxEEEESE_SE_xNS9_4plusIvEENS9_8equal_toIxEExEE10hipError_tPvRmT2_T3_T4_T5_mT6_T7_P12ihipStream_tbENKUlT_T0_E_clISt17integral_constantIbLb1EESY_IbLb0EEEEDaSU_SV_EUlSU_E_NS1_11comp_targetILNS1_3genE10ELNS1_11target_archE1201ELNS1_3gpuE5ELNS1_3repE0EEENS1_30default_config_static_selectorELNS0_4arch9wavefront6targetE0EEEvT1_
		.amdhsa_group_segment_fixed_size 0
		.amdhsa_private_segment_fixed_size 0
		.amdhsa_kernarg_size 136
		.amdhsa_user_sgpr_count 2
		.amdhsa_user_sgpr_dispatch_ptr 0
		.amdhsa_user_sgpr_queue_ptr 0
		.amdhsa_user_sgpr_kernarg_segment_ptr 1
		.amdhsa_user_sgpr_dispatch_id 0
		.amdhsa_user_sgpr_kernarg_preload_length 0
		.amdhsa_user_sgpr_kernarg_preload_offset 0
		.amdhsa_user_sgpr_private_segment_size 0
		.amdhsa_wavefront_size32 1
		.amdhsa_uses_dynamic_stack 0
		.amdhsa_enable_private_segment 0
		.amdhsa_system_sgpr_workgroup_id_x 1
		.amdhsa_system_sgpr_workgroup_id_y 0
		.amdhsa_system_sgpr_workgroup_id_z 0
		.amdhsa_system_sgpr_workgroup_info 0
		.amdhsa_system_vgpr_workitem_id 0
		.amdhsa_next_free_vgpr 1
		.amdhsa_next_free_sgpr 1
		.amdhsa_named_barrier_count 0
		.amdhsa_reserve_vcc 0
		.amdhsa_float_round_mode_32 0
		.amdhsa_float_round_mode_16_64 0
		.amdhsa_float_denorm_mode_32 3
		.amdhsa_float_denorm_mode_16_64 3
		.amdhsa_fp16_overflow 0
		.amdhsa_memory_ordered 1
		.amdhsa_forward_progress 1
		.amdhsa_inst_pref_size 0
		.amdhsa_round_robin_scheduling 0
		.amdhsa_exception_fp_ieee_invalid_op 0
		.amdhsa_exception_fp_denorm_src 0
		.amdhsa_exception_fp_ieee_div_zero 0
		.amdhsa_exception_fp_ieee_overflow 0
		.amdhsa_exception_fp_ieee_underflow 0
		.amdhsa_exception_fp_ieee_inexact 0
		.amdhsa_exception_int_div_zero 0
	.end_amdhsa_kernel
	.section	.text._ZN7rocprim17ROCPRIM_400000_NS6detail17trampoline_kernelINS0_14default_configENS1_27scan_by_key_config_selectorIxxEEZZNS1_16scan_by_key_implILNS1_25lookback_scan_determinismE0ELb1ES3_N6thrust23THRUST_200600_302600_NS6detail15normal_iteratorINS9_10device_ptrIxEEEESE_SE_xNS9_4plusIvEENS9_8equal_toIxEExEE10hipError_tPvRmT2_T3_T4_T5_mT6_T7_P12ihipStream_tbENKUlT_T0_E_clISt17integral_constantIbLb1EESY_IbLb0EEEEDaSU_SV_EUlSU_E_NS1_11comp_targetILNS1_3genE10ELNS1_11target_archE1201ELNS1_3gpuE5ELNS1_3repE0EEENS1_30default_config_static_selectorELNS0_4arch9wavefront6targetE0EEEvT1_,"axG",@progbits,_ZN7rocprim17ROCPRIM_400000_NS6detail17trampoline_kernelINS0_14default_configENS1_27scan_by_key_config_selectorIxxEEZZNS1_16scan_by_key_implILNS1_25lookback_scan_determinismE0ELb1ES3_N6thrust23THRUST_200600_302600_NS6detail15normal_iteratorINS9_10device_ptrIxEEEESE_SE_xNS9_4plusIvEENS9_8equal_toIxEExEE10hipError_tPvRmT2_T3_T4_T5_mT6_T7_P12ihipStream_tbENKUlT_T0_E_clISt17integral_constantIbLb1EESY_IbLb0EEEEDaSU_SV_EUlSU_E_NS1_11comp_targetILNS1_3genE10ELNS1_11target_archE1201ELNS1_3gpuE5ELNS1_3repE0EEENS1_30default_config_static_selectorELNS0_4arch9wavefront6targetE0EEEvT1_,comdat
.Lfunc_end444:
	.size	_ZN7rocprim17ROCPRIM_400000_NS6detail17trampoline_kernelINS0_14default_configENS1_27scan_by_key_config_selectorIxxEEZZNS1_16scan_by_key_implILNS1_25lookback_scan_determinismE0ELb1ES3_N6thrust23THRUST_200600_302600_NS6detail15normal_iteratorINS9_10device_ptrIxEEEESE_SE_xNS9_4plusIvEENS9_8equal_toIxEExEE10hipError_tPvRmT2_T3_T4_T5_mT6_T7_P12ihipStream_tbENKUlT_T0_E_clISt17integral_constantIbLb1EESY_IbLb0EEEEDaSU_SV_EUlSU_E_NS1_11comp_targetILNS1_3genE10ELNS1_11target_archE1201ELNS1_3gpuE5ELNS1_3repE0EEENS1_30default_config_static_selectorELNS0_4arch9wavefront6targetE0EEEvT1_, .Lfunc_end444-_ZN7rocprim17ROCPRIM_400000_NS6detail17trampoline_kernelINS0_14default_configENS1_27scan_by_key_config_selectorIxxEEZZNS1_16scan_by_key_implILNS1_25lookback_scan_determinismE0ELb1ES3_N6thrust23THRUST_200600_302600_NS6detail15normal_iteratorINS9_10device_ptrIxEEEESE_SE_xNS9_4plusIvEENS9_8equal_toIxEExEE10hipError_tPvRmT2_T3_T4_T5_mT6_T7_P12ihipStream_tbENKUlT_T0_E_clISt17integral_constantIbLb1EESY_IbLb0EEEEDaSU_SV_EUlSU_E_NS1_11comp_targetILNS1_3genE10ELNS1_11target_archE1201ELNS1_3gpuE5ELNS1_3repE0EEENS1_30default_config_static_selectorELNS0_4arch9wavefront6targetE0EEEvT1_
                                        ; -- End function
	.set _ZN7rocprim17ROCPRIM_400000_NS6detail17trampoline_kernelINS0_14default_configENS1_27scan_by_key_config_selectorIxxEEZZNS1_16scan_by_key_implILNS1_25lookback_scan_determinismE0ELb1ES3_N6thrust23THRUST_200600_302600_NS6detail15normal_iteratorINS9_10device_ptrIxEEEESE_SE_xNS9_4plusIvEENS9_8equal_toIxEExEE10hipError_tPvRmT2_T3_T4_T5_mT6_T7_P12ihipStream_tbENKUlT_T0_E_clISt17integral_constantIbLb1EESY_IbLb0EEEEDaSU_SV_EUlSU_E_NS1_11comp_targetILNS1_3genE10ELNS1_11target_archE1201ELNS1_3gpuE5ELNS1_3repE0EEENS1_30default_config_static_selectorELNS0_4arch9wavefront6targetE0EEEvT1_.num_vgpr, 0
	.set _ZN7rocprim17ROCPRIM_400000_NS6detail17trampoline_kernelINS0_14default_configENS1_27scan_by_key_config_selectorIxxEEZZNS1_16scan_by_key_implILNS1_25lookback_scan_determinismE0ELb1ES3_N6thrust23THRUST_200600_302600_NS6detail15normal_iteratorINS9_10device_ptrIxEEEESE_SE_xNS9_4plusIvEENS9_8equal_toIxEExEE10hipError_tPvRmT2_T3_T4_T5_mT6_T7_P12ihipStream_tbENKUlT_T0_E_clISt17integral_constantIbLb1EESY_IbLb0EEEEDaSU_SV_EUlSU_E_NS1_11comp_targetILNS1_3genE10ELNS1_11target_archE1201ELNS1_3gpuE5ELNS1_3repE0EEENS1_30default_config_static_selectorELNS0_4arch9wavefront6targetE0EEEvT1_.num_agpr, 0
	.set _ZN7rocprim17ROCPRIM_400000_NS6detail17trampoline_kernelINS0_14default_configENS1_27scan_by_key_config_selectorIxxEEZZNS1_16scan_by_key_implILNS1_25lookback_scan_determinismE0ELb1ES3_N6thrust23THRUST_200600_302600_NS6detail15normal_iteratorINS9_10device_ptrIxEEEESE_SE_xNS9_4plusIvEENS9_8equal_toIxEExEE10hipError_tPvRmT2_T3_T4_T5_mT6_T7_P12ihipStream_tbENKUlT_T0_E_clISt17integral_constantIbLb1EESY_IbLb0EEEEDaSU_SV_EUlSU_E_NS1_11comp_targetILNS1_3genE10ELNS1_11target_archE1201ELNS1_3gpuE5ELNS1_3repE0EEENS1_30default_config_static_selectorELNS0_4arch9wavefront6targetE0EEEvT1_.numbered_sgpr, 0
	.set _ZN7rocprim17ROCPRIM_400000_NS6detail17trampoline_kernelINS0_14default_configENS1_27scan_by_key_config_selectorIxxEEZZNS1_16scan_by_key_implILNS1_25lookback_scan_determinismE0ELb1ES3_N6thrust23THRUST_200600_302600_NS6detail15normal_iteratorINS9_10device_ptrIxEEEESE_SE_xNS9_4plusIvEENS9_8equal_toIxEExEE10hipError_tPvRmT2_T3_T4_T5_mT6_T7_P12ihipStream_tbENKUlT_T0_E_clISt17integral_constantIbLb1EESY_IbLb0EEEEDaSU_SV_EUlSU_E_NS1_11comp_targetILNS1_3genE10ELNS1_11target_archE1201ELNS1_3gpuE5ELNS1_3repE0EEENS1_30default_config_static_selectorELNS0_4arch9wavefront6targetE0EEEvT1_.num_named_barrier, 0
	.set _ZN7rocprim17ROCPRIM_400000_NS6detail17trampoline_kernelINS0_14default_configENS1_27scan_by_key_config_selectorIxxEEZZNS1_16scan_by_key_implILNS1_25lookback_scan_determinismE0ELb1ES3_N6thrust23THRUST_200600_302600_NS6detail15normal_iteratorINS9_10device_ptrIxEEEESE_SE_xNS9_4plusIvEENS9_8equal_toIxEExEE10hipError_tPvRmT2_T3_T4_T5_mT6_T7_P12ihipStream_tbENKUlT_T0_E_clISt17integral_constantIbLb1EESY_IbLb0EEEEDaSU_SV_EUlSU_E_NS1_11comp_targetILNS1_3genE10ELNS1_11target_archE1201ELNS1_3gpuE5ELNS1_3repE0EEENS1_30default_config_static_selectorELNS0_4arch9wavefront6targetE0EEEvT1_.private_seg_size, 0
	.set _ZN7rocprim17ROCPRIM_400000_NS6detail17trampoline_kernelINS0_14default_configENS1_27scan_by_key_config_selectorIxxEEZZNS1_16scan_by_key_implILNS1_25lookback_scan_determinismE0ELb1ES3_N6thrust23THRUST_200600_302600_NS6detail15normal_iteratorINS9_10device_ptrIxEEEESE_SE_xNS9_4plusIvEENS9_8equal_toIxEExEE10hipError_tPvRmT2_T3_T4_T5_mT6_T7_P12ihipStream_tbENKUlT_T0_E_clISt17integral_constantIbLb1EESY_IbLb0EEEEDaSU_SV_EUlSU_E_NS1_11comp_targetILNS1_3genE10ELNS1_11target_archE1201ELNS1_3gpuE5ELNS1_3repE0EEENS1_30default_config_static_selectorELNS0_4arch9wavefront6targetE0EEEvT1_.uses_vcc, 0
	.set _ZN7rocprim17ROCPRIM_400000_NS6detail17trampoline_kernelINS0_14default_configENS1_27scan_by_key_config_selectorIxxEEZZNS1_16scan_by_key_implILNS1_25lookback_scan_determinismE0ELb1ES3_N6thrust23THRUST_200600_302600_NS6detail15normal_iteratorINS9_10device_ptrIxEEEESE_SE_xNS9_4plusIvEENS9_8equal_toIxEExEE10hipError_tPvRmT2_T3_T4_T5_mT6_T7_P12ihipStream_tbENKUlT_T0_E_clISt17integral_constantIbLb1EESY_IbLb0EEEEDaSU_SV_EUlSU_E_NS1_11comp_targetILNS1_3genE10ELNS1_11target_archE1201ELNS1_3gpuE5ELNS1_3repE0EEENS1_30default_config_static_selectorELNS0_4arch9wavefront6targetE0EEEvT1_.uses_flat_scratch, 0
	.set _ZN7rocprim17ROCPRIM_400000_NS6detail17trampoline_kernelINS0_14default_configENS1_27scan_by_key_config_selectorIxxEEZZNS1_16scan_by_key_implILNS1_25lookback_scan_determinismE0ELb1ES3_N6thrust23THRUST_200600_302600_NS6detail15normal_iteratorINS9_10device_ptrIxEEEESE_SE_xNS9_4plusIvEENS9_8equal_toIxEExEE10hipError_tPvRmT2_T3_T4_T5_mT6_T7_P12ihipStream_tbENKUlT_T0_E_clISt17integral_constantIbLb1EESY_IbLb0EEEEDaSU_SV_EUlSU_E_NS1_11comp_targetILNS1_3genE10ELNS1_11target_archE1201ELNS1_3gpuE5ELNS1_3repE0EEENS1_30default_config_static_selectorELNS0_4arch9wavefront6targetE0EEEvT1_.has_dyn_sized_stack, 0
	.set _ZN7rocprim17ROCPRIM_400000_NS6detail17trampoline_kernelINS0_14default_configENS1_27scan_by_key_config_selectorIxxEEZZNS1_16scan_by_key_implILNS1_25lookback_scan_determinismE0ELb1ES3_N6thrust23THRUST_200600_302600_NS6detail15normal_iteratorINS9_10device_ptrIxEEEESE_SE_xNS9_4plusIvEENS9_8equal_toIxEExEE10hipError_tPvRmT2_T3_T4_T5_mT6_T7_P12ihipStream_tbENKUlT_T0_E_clISt17integral_constantIbLb1EESY_IbLb0EEEEDaSU_SV_EUlSU_E_NS1_11comp_targetILNS1_3genE10ELNS1_11target_archE1201ELNS1_3gpuE5ELNS1_3repE0EEENS1_30default_config_static_selectorELNS0_4arch9wavefront6targetE0EEEvT1_.has_recursion, 0
	.set _ZN7rocprim17ROCPRIM_400000_NS6detail17trampoline_kernelINS0_14default_configENS1_27scan_by_key_config_selectorIxxEEZZNS1_16scan_by_key_implILNS1_25lookback_scan_determinismE0ELb1ES3_N6thrust23THRUST_200600_302600_NS6detail15normal_iteratorINS9_10device_ptrIxEEEESE_SE_xNS9_4plusIvEENS9_8equal_toIxEExEE10hipError_tPvRmT2_T3_T4_T5_mT6_T7_P12ihipStream_tbENKUlT_T0_E_clISt17integral_constantIbLb1EESY_IbLb0EEEEDaSU_SV_EUlSU_E_NS1_11comp_targetILNS1_3genE10ELNS1_11target_archE1201ELNS1_3gpuE5ELNS1_3repE0EEENS1_30default_config_static_selectorELNS0_4arch9wavefront6targetE0EEEvT1_.has_indirect_call, 0
	.section	.AMDGPU.csdata,"",@progbits
; Kernel info:
; codeLenInByte = 0
; TotalNumSgprs: 0
; NumVgprs: 0
; ScratchSize: 0
; MemoryBound: 0
; FloatMode: 240
; IeeeMode: 1
; LDSByteSize: 0 bytes/workgroup (compile time only)
; SGPRBlocks: 0
; VGPRBlocks: 0
; NumSGPRsForWavesPerEU: 1
; NumVGPRsForWavesPerEU: 1
; NamedBarCnt: 0
; Occupancy: 16
; WaveLimiterHint : 0
; COMPUTE_PGM_RSRC2:SCRATCH_EN: 0
; COMPUTE_PGM_RSRC2:USER_SGPR: 2
; COMPUTE_PGM_RSRC2:TRAP_HANDLER: 0
; COMPUTE_PGM_RSRC2:TGID_X_EN: 1
; COMPUTE_PGM_RSRC2:TGID_Y_EN: 0
; COMPUTE_PGM_RSRC2:TGID_Z_EN: 0
; COMPUTE_PGM_RSRC2:TIDIG_COMP_CNT: 0
	.section	.text._ZN7rocprim17ROCPRIM_400000_NS6detail17trampoline_kernelINS0_14default_configENS1_27scan_by_key_config_selectorIxxEEZZNS1_16scan_by_key_implILNS1_25lookback_scan_determinismE0ELb1ES3_N6thrust23THRUST_200600_302600_NS6detail15normal_iteratorINS9_10device_ptrIxEEEESE_SE_xNS9_4plusIvEENS9_8equal_toIxEExEE10hipError_tPvRmT2_T3_T4_T5_mT6_T7_P12ihipStream_tbENKUlT_T0_E_clISt17integral_constantIbLb1EESY_IbLb0EEEEDaSU_SV_EUlSU_E_NS1_11comp_targetILNS1_3genE5ELNS1_11target_archE942ELNS1_3gpuE9ELNS1_3repE0EEENS1_30default_config_static_selectorELNS0_4arch9wavefront6targetE0EEEvT1_,"axG",@progbits,_ZN7rocprim17ROCPRIM_400000_NS6detail17trampoline_kernelINS0_14default_configENS1_27scan_by_key_config_selectorIxxEEZZNS1_16scan_by_key_implILNS1_25lookback_scan_determinismE0ELb1ES3_N6thrust23THRUST_200600_302600_NS6detail15normal_iteratorINS9_10device_ptrIxEEEESE_SE_xNS9_4plusIvEENS9_8equal_toIxEExEE10hipError_tPvRmT2_T3_T4_T5_mT6_T7_P12ihipStream_tbENKUlT_T0_E_clISt17integral_constantIbLb1EESY_IbLb0EEEEDaSU_SV_EUlSU_E_NS1_11comp_targetILNS1_3genE5ELNS1_11target_archE942ELNS1_3gpuE9ELNS1_3repE0EEENS1_30default_config_static_selectorELNS0_4arch9wavefront6targetE0EEEvT1_,comdat
	.protected	_ZN7rocprim17ROCPRIM_400000_NS6detail17trampoline_kernelINS0_14default_configENS1_27scan_by_key_config_selectorIxxEEZZNS1_16scan_by_key_implILNS1_25lookback_scan_determinismE0ELb1ES3_N6thrust23THRUST_200600_302600_NS6detail15normal_iteratorINS9_10device_ptrIxEEEESE_SE_xNS9_4plusIvEENS9_8equal_toIxEExEE10hipError_tPvRmT2_T3_T4_T5_mT6_T7_P12ihipStream_tbENKUlT_T0_E_clISt17integral_constantIbLb1EESY_IbLb0EEEEDaSU_SV_EUlSU_E_NS1_11comp_targetILNS1_3genE5ELNS1_11target_archE942ELNS1_3gpuE9ELNS1_3repE0EEENS1_30default_config_static_selectorELNS0_4arch9wavefront6targetE0EEEvT1_ ; -- Begin function _ZN7rocprim17ROCPRIM_400000_NS6detail17trampoline_kernelINS0_14default_configENS1_27scan_by_key_config_selectorIxxEEZZNS1_16scan_by_key_implILNS1_25lookback_scan_determinismE0ELb1ES3_N6thrust23THRUST_200600_302600_NS6detail15normal_iteratorINS9_10device_ptrIxEEEESE_SE_xNS9_4plusIvEENS9_8equal_toIxEExEE10hipError_tPvRmT2_T3_T4_T5_mT6_T7_P12ihipStream_tbENKUlT_T0_E_clISt17integral_constantIbLb1EESY_IbLb0EEEEDaSU_SV_EUlSU_E_NS1_11comp_targetILNS1_3genE5ELNS1_11target_archE942ELNS1_3gpuE9ELNS1_3repE0EEENS1_30default_config_static_selectorELNS0_4arch9wavefront6targetE0EEEvT1_
	.globl	_ZN7rocprim17ROCPRIM_400000_NS6detail17trampoline_kernelINS0_14default_configENS1_27scan_by_key_config_selectorIxxEEZZNS1_16scan_by_key_implILNS1_25lookback_scan_determinismE0ELb1ES3_N6thrust23THRUST_200600_302600_NS6detail15normal_iteratorINS9_10device_ptrIxEEEESE_SE_xNS9_4plusIvEENS9_8equal_toIxEExEE10hipError_tPvRmT2_T3_T4_T5_mT6_T7_P12ihipStream_tbENKUlT_T0_E_clISt17integral_constantIbLb1EESY_IbLb0EEEEDaSU_SV_EUlSU_E_NS1_11comp_targetILNS1_3genE5ELNS1_11target_archE942ELNS1_3gpuE9ELNS1_3repE0EEENS1_30default_config_static_selectorELNS0_4arch9wavefront6targetE0EEEvT1_
	.p2align	8
	.type	_ZN7rocprim17ROCPRIM_400000_NS6detail17trampoline_kernelINS0_14default_configENS1_27scan_by_key_config_selectorIxxEEZZNS1_16scan_by_key_implILNS1_25lookback_scan_determinismE0ELb1ES3_N6thrust23THRUST_200600_302600_NS6detail15normal_iteratorINS9_10device_ptrIxEEEESE_SE_xNS9_4plusIvEENS9_8equal_toIxEExEE10hipError_tPvRmT2_T3_T4_T5_mT6_T7_P12ihipStream_tbENKUlT_T0_E_clISt17integral_constantIbLb1EESY_IbLb0EEEEDaSU_SV_EUlSU_E_NS1_11comp_targetILNS1_3genE5ELNS1_11target_archE942ELNS1_3gpuE9ELNS1_3repE0EEENS1_30default_config_static_selectorELNS0_4arch9wavefront6targetE0EEEvT1_,@function
_ZN7rocprim17ROCPRIM_400000_NS6detail17trampoline_kernelINS0_14default_configENS1_27scan_by_key_config_selectorIxxEEZZNS1_16scan_by_key_implILNS1_25lookback_scan_determinismE0ELb1ES3_N6thrust23THRUST_200600_302600_NS6detail15normal_iteratorINS9_10device_ptrIxEEEESE_SE_xNS9_4plusIvEENS9_8equal_toIxEExEE10hipError_tPvRmT2_T3_T4_T5_mT6_T7_P12ihipStream_tbENKUlT_T0_E_clISt17integral_constantIbLb1EESY_IbLb0EEEEDaSU_SV_EUlSU_E_NS1_11comp_targetILNS1_3genE5ELNS1_11target_archE942ELNS1_3gpuE9ELNS1_3repE0EEENS1_30default_config_static_selectorELNS0_4arch9wavefront6targetE0EEEvT1_: ; @_ZN7rocprim17ROCPRIM_400000_NS6detail17trampoline_kernelINS0_14default_configENS1_27scan_by_key_config_selectorIxxEEZZNS1_16scan_by_key_implILNS1_25lookback_scan_determinismE0ELb1ES3_N6thrust23THRUST_200600_302600_NS6detail15normal_iteratorINS9_10device_ptrIxEEEESE_SE_xNS9_4plusIvEENS9_8equal_toIxEExEE10hipError_tPvRmT2_T3_T4_T5_mT6_T7_P12ihipStream_tbENKUlT_T0_E_clISt17integral_constantIbLb1EESY_IbLb0EEEEDaSU_SV_EUlSU_E_NS1_11comp_targetILNS1_3genE5ELNS1_11target_archE942ELNS1_3gpuE9ELNS1_3repE0EEENS1_30default_config_static_selectorELNS0_4arch9wavefront6targetE0EEEvT1_
; %bb.0:
	.section	.rodata,"a",@progbits
	.p2align	6, 0x0
	.amdhsa_kernel _ZN7rocprim17ROCPRIM_400000_NS6detail17trampoline_kernelINS0_14default_configENS1_27scan_by_key_config_selectorIxxEEZZNS1_16scan_by_key_implILNS1_25lookback_scan_determinismE0ELb1ES3_N6thrust23THRUST_200600_302600_NS6detail15normal_iteratorINS9_10device_ptrIxEEEESE_SE_xNS9_4plusIvEENS9_8equal_toIxEExEE10hipError_tPvRmT2_T3_T4_T5_mT6_T7_P12ihipStream_tbENKUlT_T0_E_clISt17integral_constantIbLb1EESY_IbLb0EEEEDaSU_SV_EUlSU_E_NS1_11comp_targetILNS1_3genE5ELNS1_11target_archE942ELNS1_3gpuE9ELNS1_3repE0EEENS1_30default_config_static_selectorELNS0_4arch9wavefront6targetE0EEEvT1_
		.amdhsa_group_segment_fixed_size 0
		.amdhsa_private_segment_fixed_size 0
		.amdhsa_kernarg_size 136
		.amdhsa_user_sgpr_count 2
		.amdhsa_user_sgpr_dispatch_ptr 0
		.amdhsa_user_sgpr_queue_ptr 0
		.amdhsa_user_sgpr_kernarg_segment_ptr 1
		.amdhsa_user_sgpr_dispatch_id 0
		.amdhsa_user_sgpr_kernarg_preload_length 0
		.amdhsa_user_sgpr_kernarg_preload_offset 0
		.amdhsa_user_sgpr_private_segment_size 0
		.amdhsa_wavefront_size32 1
		.amdhsa_uses_dynamic_stack 0
		.amdhsa_enable_private_segment 0
		.amdhsa_system_sgpr_workgroup_id_x 1
		.amdhsa_system_sgpr_workgroup_id_y 0
		.amdhsa_system_sgpr_workgroup_id_z 0
		.amdhsa_system_sgpr_workgroup_info 0
		.amdhsa_system_vgpr_workitem_id 0
		.amdhsa_next_free_vgpr 1
		.amdhsa_next_free_sgpr 1
		.amdhsa_named_barrier_count 0
		.amdhsa_reserve_vcc 0
		.amdhsa_float_round_mode_32 0
		.amdhsa_float_round_mode_16_64 0
		.amdhsa_float_denorm_mode_32 3
		.amdhsa_float_denorm_mode_16_64 3
		.amdhsa_fp16_overflow 0
		.amdhsa_memory_ordered 1
		.amdhsa_forward_progress 1
		.amdhsa_inst_pref_size 0
		.amdhsa_round_robin_scheduling 0
		.amdhsa_exception_fp_ieee_invalid_op 0
		.amdhsa_exception_fp_denorm_src 0
		.amdhsa_exception_fp_ieee_div_zero 0
		.amdhsa_exception_fp_ieee_overflow 0
		.amdhsa_exception_fp_ieee_underflow 0
		.amdhsa_exception_fp_ieee_inexact 0
		.amdhsa_exception_int_div_zero 0
	.end_amdhsa_kernel
	.section	.text._ZN7rocprim17ROCPRIM_400000_NS6detail17trampoline_kernelINS0_14default_configENS1_27scan_by_key_config_selectorIxxEEZZNS1_16scan_by_key_implILNS1_25lookback_scan_determinismE0ELb1ES3_N6thrust23THRUST_200600_302600_NS6detail15normal_iteratorINS9_10device_ptrIxEEEESE_SE_xNS9_4plusIvEENS9_8equal_toIxEExEE10hipError_tPvRmT2_T3_T4_T5_mT6_T7_P12ihipStream_tbENKUlT_T0_E_clISt17integral_constantIbLb1EESY_IbLb0EEEEDaSU_SV_EUlSU_E_NS1_11comp_targetILNS1_3genE5ELNS1_11target_archE942ELNS1_3gpuE9ELNS1_3repE0EEENS1_30default_config_static_selectorELNS0_4arch9wavefront6targetE0EEEvT1_,"axG",@progbits,_ZN7rocprim17ROCPRIM_400000_NS6detail17trampoline_kernelINS0_14default_configENS1_27scan_by_key_config_selectorIxxEEZZNS1_16scan_by_key_implILNS1_25lookback_scan_determinismE0ELb1ES3_N6thrust23THRUST_200600_302600_NS6detail15normal_iteratorINS9_10device_ptrIxEEEESE_SE_xNS9_4plusIvEENS9_8equal_toIxEExEE10hipError_tPvRmT2_T3_T4_T5_mT6_T7_P12ihipStream_tbENKUlT_T0_E_clISt17integral_constantIbLb1EESY_IbLb0EEEEDaSU_SV_EUlSU_E_NS1_11comp_targetILNS1_3genE5ELNS1_11target_archE942ELNS1_3gpuE9ELNS1_3repE0EEENS1_30default_config_static_selectorELNS0_4arch9wavefront6targetE0EEEvT1_,comdat
.Lfunc_end445:
	.size	_ZN7rocprim17ROCPRIM_400000_NS6detail17trampoline_kernelINS0_14default_configENS1_27scan_by_key_config_selectorIxxEEZZNS1_16scan_by_key_implILNS1_25lookback_scan_determinismE0ELb1ES3_N6thrust23THRUST_200600_302600_NS6detail15normal_iteratorINS9_10device_ptrIxEEEESE_SE_xNS9_4plusIvEENS9_8equal_toIxEExEE10hipError_tPvRmT2_T3_T4_T5_mT6_T7_P12ihipStream_tbENKUlT_T0_E_clISt17integral_constantIbLb1EESY_IbLb0EEEEDaSU_SV_EUlSU_E_NS1_11comp_targetILNS1_3genE5ELNS1_11target_archE942ELNS1_3gpuE9ELNS1_3repE0EEENS1_30default_config_static_selectorELNS0_4arch9wavefront6targetE0EEEvT1_, .Lfunc_end445-_ZN7rocprim17ROCPRIM_400000_NS6detail17trampoline_kernelINS0_14default_configENS1_27scan_by_key_config_selectorIxxEEZZNS1_16scan_by_key_implILNS1_25lookback_scan_determinismE0ELb1ES3_N6thrust23THRUST_200600_302600_NS6detail15normal_iteratorINS9_10device_ptrIxEEEESE_SE_xNS9_4plusIvEENS9_8equal_toIxEExEE10hipError_tPvRmT2_T3_T4_T5_mT6_T7_P12ihipStream_tbENKUlT_T0_E_clISt17integral_constantIbLb1EESY_IbLb0EEEEDaSU_SV_EUlSU_E_NS1_11comp_targetILNS1_3genE5ELNS1_11target_archE942ELNS1_3gpuE9ELNS1_3repE0EEENS1_30default_config_static_selectorELNS0_4arch9wavefront6targetE0EEEvT1_
                                        ; -- End function
	.set _ZN7rocprim17ROCPRIM_400000_NS6detail17trampoline_kernelINS0_14default_configENS1_27scan_by_key_config_selectorIxxEEZZNS1_16scan_by_key_implILNS1_25lookback_scan_determinismE0ELb1ES3_N6thrust23THRUST_200600_302600_NS6detail15normal_iteratorINS9_10device_ptrIxEEEESE_SE_xNS9_4plusIvEENS9_8equal_toIxEExEE10hipError_tPvRmT2_T3_T4_T5_mT6_T7_P12ihipStream_tbENKUlT_T0_E_clISt17integral_constantIbLb1EESY_IbLb0EEEEDaSU_SV_EUlSU_E_NS1_11comp_targetILNS1_3genE5ELNS1_11target_archE942ELNS1_3gpuE9ELNS1_3repE0EEENS1_30default_config_static_selectorELNS0_4arch9wavefront6targetE0EEEvT1_.num_vgpr, 0
	.set _ZN7rocprim17ROCPRIM_400000_NS6detail17trampoline_kernelINS0_14default_configENS1_27scan_by_key_config_selectorIxxEEZZNS1_16scan_by_key_implILNS1_25lookback_scan_determinismE0ELb1ES3_N6thrust23THRUST_200600_302600_NS6detail15normal_iteratorINS9_10device_ptrIxEEEESE_SE_xNS9_4plusIvEENS9_8equal_toIxEExEE10hipError_tPvRmT2_T3_T4_T5_mT6_T7_P12ihipStream_tbENKUlT_T0_E_clISt17integral_constantIbLb1EESY_IbLb0EEEEDaSU_SV_EUlSU_E_NS1_11comp_targetILNS1_3genE5ELNS1_11target_archE942ELNS1_3gpuE9ELNS1_3repE0EEENS1_30default_config_static_selectorELNS0_4arch9wavefront6targetE0EEEvT1_.num_agpr, 0
	.set _ZN7rocprim17ROCPRIM_400000_NS6detail17trampoline_kernelINS0_14default_configENS1_27scan_by_key_config_selectorIxxEEZZNS1_16scan_by_key_implILNS1_25lookback_scan_determinismE0ELb1ES3_N6thrust23THRUST_200600_302600_NS6detail15normal_iteratorINS9_10device_ptrIxEEEESE_SE_xNS9_4plusIvEENS9_8equal_toIxEExEE10hipError_tPvRmT2_T3_T4_T5_mT6_T7_P12ihipStream_tbENKUlT_T0_E_clISt17integral_constantIbLb1EESY_IbLb0EEEEDaSU_SV_EUlSU_E_NS1_11comp_targetILNS1_3genE5ELNS1_11target_archE942ELNS1_3gpuE9ELNS1_3repE0EEENS1_30default_config_static_selectorELNS0_4arch9wavefront6targetE0EEEvT1_.numbered_sgpr, 0
	.set _ZN7rocprim17ROCPRIM_400000_NS6detail17trampoline_kernelINS0_14default_configENS1_27scan_by_key_config_selectorIxxEEZZNS1_16scan_by_key_implILNS1_25lookback_scan_determinismE0ELb1ES3_N6thrust23THRUST_200600_302600_NS6detail15normal_iteratorINS9_10device_ptrIxEEEESE_SE_xNS9_4plusIvEENS9_8equal_toIxEExEE10hipError_tPvRmT2_T3_T4_T5_mT6_T7_P12ihipStream_tbENKUlT_T0_E_clISt17integral_constantIbLb1EESY_IbLb0EEEEDaSU_SV_EUlSU_E_NS1_11comp_targetILNS1_3genE5ELNS1_11target_archE942ELNS1_3gpuE9ELNS1_3repE0EEENS1_30default_config_static_selectorELNS0_4arch9wavefront6targetE0EEEvT1_.num_named_barrier, 0
	.set _ZN7rocprim17ROCPRIM_400000_NS6detail17trampoline_kernelINS0_14default_configENS1_27scan_by_key_config_selectorIxxEEZZNS1_16scan_by_key_implILNS1_25lookback_scan_determinismE0ELb1ES3_N6thrust23THRUST_200600_302600_NS6detail15normal_iteratorINS9_10device_ptrIxEEEESE_SE_xNS9_4plusIvEENS9_8equal_toIxEExEE10hipError_tPvRmT2_T3_T4_T5_mT6_T7_P12ihipStream_tbENKUlT_T0_E_clISt17integral_constantIbLb1EESY_IbLb0EEEEDaSU_SV_EUlSU_E_NS1_11comp_targetILNS1_3genE5ELNS1_11target_archE942ELNS1_3gpuE9ELNS1_3repE0EEENS1_30default_config_static_selectorELNS0_4arch9wavefront6targetE0EEEvT1_.private_seg_size, 0
	.set _ZN7rocprim17ROCPRIM_400000_NS6detail17trampoline_kernelINS0_14default_configENS1_27scan_by_key_config_selectorIxxEEZZNS1_16scan_by_key_implILNS1_25lookback_scan_determinismE0ELb1ES3_N6thrust23THRUST_200600_302600_NS6detail15normal_iteratorINS9_10device_ptrIxEEEESE_SE_xNS9_4plusIvEENS9_8equal_toIxEExEE10hipError_tPvRmT2_T3_T4_T5_mT6_T7_P12ihipStream_tbENKUlT_T0_E_clISt17integral_constantIbLb1EESY_IbLb0EEEEDaSU_SV_EUlSU_E_NS1_11comp_targetILNS1_3genE5ELNS1_11target_archE942ELNS1_3gpuE9ELNS1_3repE0EEENS1_30default_config_static_selectorELNS0_4arch9wavefront6targetE0EEEvT1_.uses_vcc, 0
	.set _ZN7rocprim17ROCPRIM_400000_NS6detail17trampoline_kernelINS0_14default_configENS1_27scan_by_key_config_selectorIxxEEZZNS1_16scan_by_key_implILNS1_25lookback_scan_determinismE0ELb1ES3_N6thrust23THRUST_200600_302600_NS6detail15normal_iteratorINS9_10device_ptrIxEEEESE_SE_xNS9_4plusIvEENS9_8equal_toIxEExEE10hipError_tPvRmT2_T3_T4_T5_mT6_T7_P12ihipStream_tbENKUlT_T0_E_clISt17integral_constantIbLb1EESY_IbLb0EEEEDaSU_SV_EUlSU_E_NS1_11comp_targetILNS1_3genE5ELNS1_11target_archE942ELNS1_3gpuE9ELNS1_3repE0EEENS1_30default_config_static_selectorELNS0_4arch9wavefront6targetE0EEEvT1_.uses_flat_scratch, 0
	.set _ZN7rocprim17ROCPRIM_400000_NS6detail17trampoline_kernelINS0_14default_configENS1_27scan_by_key_config_selectorIxxEEZZNS1_16scan_by_key_implILNS1_25lookback_scan_determinismE0ELb1ES3_N6thrust23THRUST_200600_302600_NS6detail15normal_iteratorINS9_10device_ptrIxEEEESE_SE_xNS9_4plusIvEENS9_8equal_toIxEExEE10hipError_tPvRmT2_T3_T4_T5_mT6_T7_P12ihipStream_tbENKUlT_T0_E_clISt17integral_constantIbLb1EESY_IbLb0EEEEDaSU_SV_EUlSU_E_NS1_11comp_targetILNS1_3genE5ELNS1_11target_archE942ELNS1_3gpuE9ELNS1_3repE0EEENS1_30default_config_static_selectorELNS0_4arch9wavefront6targetE0EEEvT1_.has_dyn_sized_stack, 0
	.set _ZN7rocprim17ROCPRIM_400000_NS6detail17trampoline_kernelINS0_14default_configENS1_27scan_by_key_config_selectorIxxEEZZNS1_16scan_by_key_implILNS1_25lookback_scan_determinismE0ELb1ES3_N6thrust23THRUST_200600_302600_NS6detail15normal_iteratorINS9_10device_ptrIxEEEESE_SE_xNS9_4plusIvEENS9_8equal_toIxEExEE10hipError_tPvRmT2_T3_T4_T5_mT6_T7_P12ihipStream_tbENKUlT_T0_E_clISt17integral_constantIbLb1EESY_IbLb0EEEEDaSU_SV_EUlSU_E_NS1_11comp_targetILNS1_3genE5ELNS1_11target_archE942ELNS1_3gpuE9ELNS1_3repE0EEENS1_30default_config_static_selectorELNS0_4arch9wavefront6targetE0EEEvT1_.has_recursion, 0
	.set _ZN7rocprim17ROCPRIM_400000_NS6detail17trampoline_kernelINS0_14default_configENS1_27scan_by_key_config_selectorIxxEEZZNS1_16scan_by_key_implILNS1_25lookback_scan_determinismE0ELb1ES3_N6thrust23THRUST_200600_302600_NS6detail15normal_iteratorINS9_10device_ptrIxEEEESE_SE_xNS9_4plusIvEENS9_8equal_toIxEExEE10hipError_tPvRmT2_T3_T4_T5_mT6_T7_P12ihipStream_tbENKUlT_T0_E_clISt17integral_constantIbLb1EESY_IbLb0EEEEDaSU_SV_EUlSU_E_NS1_11comp_targetILNS1_3genE5ELNS1_11target_archE942ELNS1_3gpuE9ELNS1_3repE0EEENS1_30default_config_static_selectorELNS0_4arch9wavefront6targetE0EEEvT1_.has_indirect_call, 0
	.section	.AMDGPU.csdata,"",@progbits
; Kernel info:
; codeLenInByte = 0
; TotalNumSgprs: 0
; NumVgprs: 0
; ScratchSize: 0
; MemoryBound: 0
; FloatMode: 240
; IeeeMode: 1
; LDSByteSize: 0 bytes/workgroup (compile time only)
; SGPRBlocks: 0
; VGPRBlocks: 0
; NumSGPRsForWavesPerEU: 1
; NumVGPRsForWavesPerEU: 1
; NamedBarCnt: 0
; Occupancy: 16
; WaveLimiterHint : 0
; COMPUTE_PGM_RSRC2:SCRATCH_EN: 0
; COMPUTE_PGM_RSRC2:USER_SGPR: 2
; COMPUTE_PGM_RSRC2:TRAP_HANDLER: 0
; COMPUTE_PGM_RSRC2:TGID_X_EN: 1
; COMPUTE_PGM_RSRC2:TGID_Y_EN: 0
; COMPUTE_PGM_RSRC2:TGID_Z_EN: 0
; COMPUTE_PGM_RSRC2:TIDIG_COMP_CNT: 0
	.section	.text._ZN7rocprim17ROCPRIM_400000_NS6detail17trampoline_kernelINS0_14default_configENS1_27scan_by_key_config_selectorIxxEEZZNS1_16scan_by_key_implILNS1_25lookback_scan_determinismE0ELb1ES3_N6thrust23THRUST_200600_302600_NS6detail15normal_iteratorINS9_10device_ptrIxEEEESE_SE_xNS9_4plusIvEENS9_8equal_toIxEExEE10hipError_tPvRmT2_T3_T4_T5_mT6_T7_P12ihipStream_tbENKUlT_T0_E_clISt17integral_constantIbLb1EESY_IbLb0EEEEDaSU_SV_EUlSU_E_NS1_11comp_targetILNS1_3genE4ELNS1_11target_archE910ELNS1_3gpuE8ELNS1_3repE0EEENS1_30default_config_static_selectorELNS0_4arch9wavefront6targetE0EEEvT1_,"axG",@progbits,_ZN7rocprim17ROCPRIM_400000_NS6detail17trampoline_kernelINS0_14default_configENS1_27scan_by_key_config_selectorIxxEEZZNS1_16scan_by_key_implILNS1_25lookback_scan_determinismE0ELb1ES3_N6thrust23THRUST_200600_302600_NS6detail15normal_iteratorINS9_10device_ptrIxEEEESE_SE_xNS9_4plusIvEENS9_8equal_toIxEExEE10hipError_tPvRmT2_T3_T4_T5_mT6_T7_P12ihipStream_tbENKUlT_T0_E_clISt17integral_constantIbLb1EESY_IbLb0EEEEDaSU_SV_EUlSU_E_NS1_11comp_targetILNS1_3genE4ELNS1_11target_archE910ELNS1_3gpuE8ELNS1_3repE0EEENS1_30default_config_static_selectorELNS0_4arch9wavefront6targetE0EEEvT1_,comdat
	.protected	_ZN7rocprim17ROCPRIM_400000_NS6detail17trampoline_kernelINS0_14default_configENS1_27scan_by_key_config_selectorIxxEEZZNS1_16scan_by_key_implILNS1_25lookback_scan_determinismE0ELb1ES3_N6thrust23THRUST_200600_302600_NS6detail15normal_iteratorINS9_10device_ptrIxEEEESE_SE_xNS9_4plusIvEENS9_8equal_toIxEExEE10hipError_tPvRmT2_T3_T4_T5_mT6_T7_P12ihipStream_tbENKUlT_T0_E_clISt17integral_constantIbLb1EESY_IbLb0EEEEDaSU_SV_EUlSU_E_NS1_11comp_targetILNS1_3genE4ELNS1_11target_archE910ELNS1_3gpuE8ELNS1_3repE0EEENS1_30default_config_static_selectorELNS0_4arch9wavefront6targetE0EEEvT1_ ; -- Begin function _ZN7rocprim17ROCPRIM_400000_NS6detail17trampoline_kernelINS0_14default_configENS1_27scan_by_key_config_selectorIxxEEZZNS1_16scan_by_key_implILNS1_25lookback_scan_determinismE0ELb1ES3_N6thrust23THRUST_200600_302600_NS6detail15normal_iteratorINS9_10device_ptrIxEEEESE_SE_xNS9_4plusIvEENS9_8equal_toIxEExEE10hipError_tPvRmT2_T3_T4_T5_mT6_T7_P12ihipStream_tbENKUlT_T0_E_clISt17integral_constantIbLb1EESY_IbLb0EEEEDaSU_SV_EUlSU_E_NS1_11comp_targetILNS1_3genE4ELNS1_11target_archE910ELNS1_3gpuE8ELNS1_3repE0EEENS1_30default_config_static_selectorELNS0_4arch9wavefront6targetE0EEEvT1_
	.globl	_ZN7rocprim17ROCPRIM_400000_NS6detail17trampoline_kernelINS0_14default_configENS1_27scan_by_key_config_selectorIxxEEZZNS1_16scan_by_key_implILNS1_25lookback_scan_determinismE0ELb1ES3_N6thrust23THRUST_200600_302600_NS6detail15normal_iteratorINS9_10device_ptrIxEEEESE_SE_xNS9_4plusIvEENS9_8equal_toIxEExEE10hipError_tPvRmT2_T3_T4_T5_mT6_T7_P12ihipStream_tbENKUlT_T0_E_clISt17integral_constantIbLb1EESY_IbLb0EEEEDaSU_SV_EUlSU_E_NS1_11comp_targetILNS1_3genE4ELNS1_11target_archE910ELNS1_3gpuE8ELNS1_3repE0EEENS1_30default_config_static_selectorELNS0_4arch9wavefront6targetE0EEEvT1_
	.p2align	8
	.type	_ZN7rocprim17ROCPRIM_400000_NS6detail17trampoline_kernelINS0_14default_configENS1_27scan_by_key_config_selectorIxxEEZZNS1_16scan_by_key_implILNS1_25lookback_scan_determinismE0ELb1ES3_N6thrust23THRUST_200600_302600_NS6detail15normal_iteratorINS9_10device_ptrIxEEEESE_SE_xNS9_4plusIvEENS9_8equal_toIxEExEE10hipError_tPvRmT2_T3_T4_T5_mT6_T7_P12ihipStream_tbENKUlT_T0_E_clISt17integral_constantIbLb1EESY_IbLb0EEEEDaSU_SV_EUlSU_E_NS1_11comp_targetILNS1_3genE4ELNS1_11target_archE910ELNS1_3gpuE8ELNS1_3repE0EEENS1_30default_config_static_selectorELNS0_4arch9wavefront6targetE0EEEvT1_,@function
_ZN7rocprim17ROCPRIM_400000_NS6detail17trampoline_kernelINS0_14default_configENS1_27scan_by_key_config_selectorIxxEEZZNS1_16scan_by_key_implILNS1_25lookback_scan_determinismE0ELb1ES3_N6thrust23THRUST_200600_302600_NS6detail15normal_iteratorINS9_10device_ptrIxEEEESE_SE_xNS9_4plusIvEENS9_8equal_toIxEExEE10hipError_tPvRmT2_T3_T4_T5_mT6_T7_P12ihipStream_tbENKUlT_T0_E_clISt17integral_constantIbLb1EESY_IbLb0EEEEDaSU_SV_EUlSU_E_NS1_11comp_targetILNS1_3genE4ELNS1_11target_archE910ELNS1_3gpuE8ELNS1_3repE0EEENS1_30default_config_static_selectorELNS0_4arch9wavefront6targetE0EEEvT1_: ; @_ZN7rocprim17ROCPRIM_400000_NS6detail17trampoline_kernelINS0_14default_configENS1_27scan_by_key_config_selectorIxxEEZZNS1_16scan_by_key_implILNS1_25lookback_scan_determinismE0ELb1ES3_N6thrust23THRUST_200600_302600_NS6detail15normal_iteratorINS9_10device_ptrIxEEEESE_SE_xNS9_4plusIvEENS9_8equal_toIxEExEE10hipError_tPvRmT2_T3_T4_T5_mT6_T7_P12ihipStream_tbENKUlT_T0_E_clISt17integral_constantIbLb1EESY_IbLb0EEEEDaSU_SV_EUlSU_E_NS1_11comp_targetILNS1_3genE4ELNS1_11target_archE910ELNS1_3gpuE8ELNS1_3repE0EEENS1_30default_config_static_selectorELNS0_4arch9wavefront6targetE0EEEvT1_
; %bb.0:
	.section	.rodata,"a",@progbits
	.p2align	6, 0x0
	.amdhsa_kernel _ZN7rocprim17ROCPRIM_400000_NS6detail17trampoline_kernelINS0_14default_configENS1_27scan_by_key_config_selectorIxxEEZZNS1_16scan_by_key_implILNS1_25lookback_scan_determinismE0ELb1ES3_N6thrust23THRUST_200600_302600_NS6detail15normal_iteratorINS9_10device_ptrIxEEEESE_SE_xNS9_4plusIvEENS9_8equal_toIxEExEE10hipError_tPvRmT2_T3_T4_T5_mT6_T7_P12ihipStream_tbENKUlT_T0_E_clISt17integral_constantIbLb1EESY_IbLb0EEEEDaSU_SV_EUlSU_E_NS1_11comp_targetILNS1_3genE4ELNS1_11target_archE910ELNS1_3gpuE8ELNS1_3repE0EEENS1_30default_config_static_selectorELNS0_4arch9wavefront6targetE0EEEvT1_
		.amdhsa_group_segment_fixed_size 0
		.amdhsa_private_segment_fixed_size 0
		.amdhsa_kernarg_size 136
		.amdhsa_user_sgpr_count 2
		.amdhsa_user_sgpr_dispatch_ptr 0
		.amdhsa_user_sgpr_queue_ptr 0
		.amdhsa_user_sgpr_kernarg_segment_ptr 1
		.amdhsa_user_sgpr_dispatch_id 0
		.amdhsa_user_sgpr_kernarg_preload_length 0
		.amdhsa_user_sgpr_kernarg_preload_offset 0
		.amdhsa_user_sgpr_private_segment_size 0
		.amdhsa_wavefront_size32 1
		.amdhsa_uses_dynamic_stack 0
		.amdhsa_enable_private_segment 0
		.amdhsa_system_sgpr_workgroup_id_x 1
		.amdhsa_system_sgpr_workgroup_id_y 0
		.amdhsa_system_sgpr_workgroup_id_z 0
		.amdhsa_system_sgpr_workgroup_info 0
		.amdhsa_system_vgpr_workitem_id 0
		.amdhsa_next_free_vgpr 1
		.amdhsa_next_free_sgpr 1
		.amdhsa_named_barrier_count 0
		.amdhsa_reserve_vcc 0
		.amdhsa_float_round_mode_32 0
		.amdhsa_float_round_mode_16_64 0
		.amdhsa_float_denorm_mode_32 3
		.amdhsa_float_denorm_mode_16_64 3
		.amdhsa_fp16_overflow 0
		.amdhsa_memory_ordered 1
		.amdhsa_forward_progress 1
		.amdhsa_inst_pref_size 0
		.amdhsa_round_robin_scheduling 0
		.amdhsa_exception_fp_ieee_invalid_op 0
		.amdhsa_exception_fp_denorm_src 0
		.amdhsa_exception_fp_ieee_div_zero 0
		.amdhsa_exception_fp_ieee_overflow 0
		.amdhsa_exception_fp_ieee_underflow 0
		.amdhsa_exception_fp_ieee_inexact 0
		.amdhsa_exception_int_div_zero 0
	.end_amdhsa_kernel
	.section	.text._ZN7rocprim17ROCPRIM_400000_NS6detail17trampoline_kernelINS0_14default_configENS1_27scan_by_key_config_selectorIxxEEZZNS1_16scan_by_key_implILNS1_25lookback_scan_determinismE0ELb1ES3_N6thrust23THRUST_200600_302600_NS6detail15normal_iteratorINS9_10device_ptrIxEEEESE_SE_xNS9_4plusIvEENS9_8equal_toIxEExEE10hipError_tPvRmT2_T3_T4_T5_mT6_T7_P12ihipStream_tbENKUlT_T0_E_clISt17integral_constantIbLb1EESY_IbLb0EEEEDaSU_SV_EUlSU_E_NS1_11comp_targetILNS1_3genE4ELNS1_11target_archE910ELNS1_3gpuE8ELNS1_3repE0EEENS1_30default_config_static_selectorELNS0_4arch9wavefront6targetE0EEEvT1_,"axG",@progbits,_ZN7rocprim17ROCPRIM_400000_NS6detail17trampoline_kernelINS0_14default_configENS1_27scan_by_key_config_selectorIxxEEZZNS1_16scan_by_key_implILNS1_25lookback_scan_determinismE0ELb1ES3_N6thrust23THRUST_200600_302600_NS6detail15normal_iteratorINS9_10device_ptrIxEEEESE_SE_xNS9_4plusIvEENS9_8equal_toIxEExEE10hipError_tPvRmT2_T3_T4_T5_mT6_T7_P12ihipStream_tbENKUlT_T0_E_clISt17integral_constantIbLb1EESY_IbLb0EEEEDaSU_SV_EUlSU_E_NS1_11comp_targetILNS1_3genE4ELNS1_11target_archE910ELNS1_3gpuE8ELNS1_3repE0EEENS1_30default_config_static_selectorELNS0_4arch9wavefront6targetE0EEEvT1_,comdat
.Lfunc_end446:
	.size	_ZN7rocprim17ROCPRIM_400000_NS6detail17trampoline_kernelINS0_14default_configENS1_27scan_by_key_config_selectorIxxEEZZNS1_16scan_by_key_implILNS1_25lookback_scan_determinismE0ELb1ES3_N6thrust23THRUST_200600_302600_NS6detail15normal_iteratorINS9_10device_ptrIxEEEESE_SE_xNS9_4plusIvEENS9_8equal_toIxEExEE10hipError_tPvRmT2_T3_T4_T5_mT6_T7_P12ihipStream_tbENKUlT_T0_E_clISt17integral_constantIbLb1EESY_IbLb0EEEEDaSU_SV_EUlSU_E_NS1_11comp_targetILNS1_3genE4ELNS1_11target_archE910ELNS1_3gpuE8ELNS1_3repE0EEENS1_30default_config_static_selectorELNS0_4arch9wavefront6targetE0EEEvT1_, .Lfunc_end446-_ZN7rocprim17ROCPRIM_400000_NS6detail17trampoline_kernelINS0_14default_configENS1_27scan_by_key_config_selectorIxxEEZZNS1_16scan_by_key_implILNS1_25lookback_scan_determinismE0ELb1ES3_N6thrust23THRUST_200600_302600_NS6detail15normal_iteratorINS9_10device_ptrIxEEEESE_SE_xNS9_4plusIvEENS9_8equal_toIxEExEE10hipError_tPvRmT2_T3_T4_T5_mT6_T7_P12ihipStream_tbENKUlT_T0_E_clISt17integral_constantIbLb1EESY_IbLb0EEEEDaSU_SV_EUlSU_E_NS1_11comp_targetILNS1_3genE4ELNS1_11target_archE910ELNS1_3gpuE8ELNS1_3repE0EEENS1_30default_config_static_selectorELNS0_4arch9wavefront6targetE0EEEvT1_
                                        ; -- End function
	.set _ZN7rocprim17ROCPRIM_400000_NS6detail17trampoline_kernelINS0_14default_configENS1_27scan_by_key_config_selectorIxxEEZZNS1_16scan_by_key_implILNS1_25lookback_scan_determinismE0ELb1ES3_N6thrust23THRUST_200600_302600_NS6detail15normal_iteratorINS9_10device_ptrIxEEEESE_SE_xNS9_4plusIvEENS9_8equal_toIxEExEE10hipError_tPvRmT2_T3_T4_T5_mT6_T7_P12ihipStream_tbENKUlT_T0_E_clISt17integral_constantIbLb1EESY_IbLb0EEEEDaSU_SV_EUlSU_E_NS1_11comp_targetILNS1_3genE4ELNS1_11target_archE910ELNS1_3gpuE8ELNS1_3repE0EEENS1_30default_config_static_selectorELNS0_4arch9wavefront6targetE0EEEvT1_.num_vgpr, 0
	.set _ZN7rocprim17ROCPRIM_400000_NS6detail17trampoline_kernelINS0_14default_configENS1_27scan_by_key_config_selectorIxxEEZZNS1_16scan_by_key_implILNS1_25lookback_scan_determinismE0ELb1ES3_N6thrust23THRUST_200600_302600_NS6detail15normal_iteratorINS9_10device_ptrIxEEEESE_SE_xNS9_4plusIvEENS9_8equal_toIxEExEE10hipError_tPvRmT2_T3_T4_T5_mT6_T7_P12ihipStream_tbENKUlT_T0_E_clISt17integral_constantIbLb1EESY_IbLb0EEEEDaSU_SV_EUlSU_E_NS1_11comp_targetILNS1_3genE4ELNS1_11target_archE910ELNS1_3gpuE8ELNS1_3repE0EEENS1_30default_config_static_selectorELNS0_4arch9wavefront6targetE0EEEvT1_.num_agpr, 0
	.set _ZN7rocprim17ROCPRIM_400000_NS6detail17trampoline_kernelINS0_14default_configENS1_27scan_by_key_config_selectorIxxEEZZNS1_16scan_by_key_implILNS1_25lookback_scan_determinismE0ELb1ES3_N6thrust23THRUST_200600_302600_NS6detail15normal_iteratorINS9_10device_ptrIxEEEESE_SE_xNS9_4plusIvEENS9_8equal_toIxEExEE10hipError_tPvRmT2_T3_T4_T5_mT6_T7_P12ihipStream_tbENKUlT_T0_E_clISt17integral_constantIbLb1EESY_IbLb0EEEEDaSU_SV_EUlSU_E_NS1_11comp_targetILNS1_3genE4ELNS1_11target_archE910ELNS1_3gpuE8ELNS1_3repE0EEENS1_30default_config_static_selectorELNS0_4arch9wavefront6targetE0EEEvT1_.numbered_sgpr, 0
	.set _ZN7rocprim17ROCPRIM_400000_NS6detail17trampoline_kernelINS0_14default_configENS1_27scan_by_key_config_selectorIxxEEZZNS1_16scan_by_key_implILNS1_25lookback_scan_determinismE0ELb1ES3_N6thrust23THRUST_200600_302600_NS6detail15normal_iteratorINS9_10device_ptrIxEEEESE_SE_xNS9_4plusIvEENS9_8equal_toIxEExEE10hipError_tPvRmT2_T3_T4_T5_mT6_T7_P12ihipStream_tbENKUlT_T0_E_clISt17integral_constantIbLb1EESY_IbLb0EEEEDaSU_SV_EUlSU_E_NS1_11comp_targetILNS1_3genE4ELNS1_11target_archE910ELNS1_3gpuE8ELNS1_3repE0EEENS1_30default_config_static_selectorELNS0_4arch9wavefront6targetE0EEEvT1_.num_named_barrier, 0
	.set _ZN7rocprim17ROCPRIM_400000_NS6detail17trampoline_kernelINS0_14default_configENS1_27scan_by_key_config_selectorIxxEEZZNS1_16scan_by_key_implILNS1_25lookback_scan_determinismE0ELb1ES3_N6thrust23THRUST_200600_302600_NS6detail15normal_iteratorINS9_10device_ptrIxEEEESE_SE_xNS9_4plusIvEENS9_8equal_toIxEExEE10hipError_tPvRmT2_T3_T4_T5_mT6_T7_P12ihipStream_tbENKUlT_T0_E_clISt17integral_constantIbLb1EESY_IbLb0EEEEDaSU_SV_EUlSU_E_NS1_11comp_targetILNS1_3genE4ELNS1_11target_archE910ELNS1_3gpuE8ELNS1_3repE0EEENS1_30default_config_static_selectorELNS0_4arch9wavefront6targetE0EEEvT1_.private_seg_size, 0
	.set _ZN7rocprim17ROCPRIM_400000_NS6detail17trampoline_kernelINS0_14default_configENS1_27scan_by_key_config_selectorIxxEEZZNS1_16scan_by_key_implILNS1_25lookback_scan_determinismE0ELb1ES3_N6thrust23THRUST_200600_302600_NS6detail15normal_iteratorINS9_10device_ptrIxEEEESE_SE_xNS9_4plusIvEENS9_8equal_toIxEExEE10hipError_tPvRmT2_T3_T4_T5_mT6_T7_P12ihipStream_tbENKUlT_T0_E_clISt17integral_constantIbLb1EESY_IbLb0EEEEDaSU_SV_EUlSU_E_NS1_11comp_targetILNS1_3genE4ELNS1_11target_archE910ELNS1_3gpuE8ELNS1_3repE0EEENS1_30default_config_static_selectorELNS0_4arch9wavefront6targetE0EEEvT1_.uses_vcc, 0
	.set _ZN7rocprim17ROCPRIM_400000_NS6detail17trampoline_kernelINS0_14default_configENS1_27scan_by_key_config_selectorIxxEEZZNS1_16scan_by_key_implILNS1_25lookback_scan_determinismE0ELb1ES3_N6thrust23THRUST_200600_302600_NS6detail15normal_iteratorINS9_10device_ptrIxEEEESE_SE_xNS9_4plusIvEENS9_8equal_toIxEExEE10hipError_tPvRmT2_T3_T4_T5_mT6_T7_P12ihipStream_tbENKUlT_T0_E_clISt17integral_constantIbLb1EESY_IbLb0EEEEDaSU_SV_EUlSU_E_NS1_11comp_targetILNS1_3genE4ELNS1_11target_archE910ELNS1_3gpuE8ELNS1_3repE0EEENS1_30default_config_static_selectorELNS0_4arch9wavefront6targetE0EEEvT1_.uses_flat_scratch, 0
	.set _ZN7rocprim17ROCPRIM_400000_NS6detail17trampoline_kernelINS0_14default_configENS1_27scan_by_key_config_selectorIxxEEZZNS1_16scan_by_key_implILNS1_25lookback_scan_determinismE0ELb1ES3_N6thrust23THRUST_200600_302600_NS6detail15normal_iteratorINS9_10device_ptrIxEEEESE_SE_xNS9_4plusIvEENS9_8equal_toIxEExEE10hipError_tPvRmT2_T3_T4_T5_mT6_T7_P12ihipStream_tbENKUlT_T0_E_clISt17integral_constantIbLb1EESY_IbLb0EEEEDaSU_SV_EUlSU_E_NS1_11comp_targetILNS1_3genE4ELNS1_11target_archE910ELNS1_3gpuE8ELNS1_3repE0EEENS1_30default_config_static_selectorELNS0_4arch9wavefront6targetE0EEEvT1_.has_dyn_sized_stack, 0
	.set _ZN7rocprim17ROCPRIM_400000_NS6detail17trampoline_kernelINS0_14default_configENS1_27scan_by_key_config_selectorIxxEEZZNS1_16scan_by_key_implILNS1_25lookback_scan_determinismE0ELb1ES3_N6thrust23THRUST_200600_302600_NS6detail15normal_iteratorINS9_10device_ptrIxEEEESE_SE_xNS9_4plusIvEENS9_8equal_toIxEExEE10hipError_tPvRmT2_T3_T4_T5_mT6_T7_P12ihipStream_tbENKUlT_T0_E_clISt17integral_constantIbLb1EESY_IbLb0EEEEDaSU_SV_EUlSU_E_NS1_11comp_targetILNS1_3genE4ELNS1_11target_archE910ELNS1_3gpuE8ELNS1_3repE0EEENS1_30default_config_static_selectorELNS0_4arch9wavefront6targetE0EEEvT1_.has_recursion, 0
	.set _ZN7rocprim17ROCPRIM_400000_NS6detail17trampoline_kernelINS0_14default_configENS1_27scan_by_key_config_selectorIxxEEZZNS1_16scan_by_key_implILNS1_25lookback_scan_determinismE0ELb1ES3_N6thrust23THRUST_200600_302600_NS6detail15normal_iteratorINS9_10device_ptrIxEEEESE_SE_xNS9_4plusIvEENS9_8equal_toIxEExEE10hipError_tPvRmT2_T3_T4_T5_mT6_T7_P12ihipStream_tbENKUlT_T0_E_clISt17integral_constantIbLb1EESY_IbLb0EEEEDaSU_SV_EUlSU_E_NS1_11comp_targetILNS1_3genE4ELNS1_11target_archE910ELNS1_3gpuE8ELNS1_3repE0EEENS1_30default_config_static_selectorELNS0_4arch9wavefront6targetE0EEEvT1_.has_indirect_call, 0
	.section	.AMDGPU.csdata,"",@progbits
; Kernel info:
; codeLenInByte = 0
; TotalNumSgprs: 0
; NumVgprs: 0
; ScratchSize: 0
; MemoryBound: 0
; FloatMode: 240
; IeeeMode: 1
; LDSByteSize: 0 bytes/workgroup (compile time only)
; SGPRBlocks: 0
; VGPRBlocks: 0
; NumSGPRsForWavesPerEU: 1
; NumVGPRsForWavesPerEU: 1
; NamedBarCnt: 0
; Occupancy: 16
; WaveLimiterHint : 0
; COMPUTE_PGM_RSRC2:SCRATCH_EN: 0
; COMPUTE_PGM_RSRC2:USER_SGPR: 2
; COMPUTE_PGM_RSRC2:TRAP_HANDLER: 0
; COMPUTE_PGM_RSRC2:TGID_X_EN: 1
; COMPUTE_PGM_RSRC2:TGID_Y_EN: 0
; COMPUTE_PGM_RSRC2:TGID_Z_EN: 0
; COMPUTE_PGM_RSRC2:TIDIG_COMP_CNT: 0
	.section	.text._ZN7rocprim17ROCPRIM_400000_NS6detail17trampoline_kernelINS0_14default_configENS1_27scan_by_key_config_selectorIxxEEZZNS1_16scan_by_key_implILNS1_25lookback_scan_determinismE0ELb1ES3_N6thrust23THRUST_200600_302600_NS6detail15normal_iteratorINS9_10device_ptrIxEEEESE_SE_xNS9_4plusIvEENS9_8equal_toIxEExEE10hipError_tPvRmT2_T3_T4_T5_mT6_T7_P12ihipStream_tbENKUlT_T0_E_clISt17integral_constantIbLb1EESY_IbLb0EEEEDaSU_SV_EUlSU_E_NS1_11comp_targetILNS1_3genE3ELNS1_11target_archE908ELNS1_3gpuE7ELNS1_3repE0EEENS1_30default_config_static_selectorELNS0_4arch9wavefront6targetE0EEEvT1_,"axG",@progbits,_ZN7rocprim17ROCPRIM_400000_NS6detail17trampoline_kernelINS0_14default_configENS1_27scan_by_key_config_selectorIxxEEZZNS1_16scan_by_key_implILNS1_25lookback_scan_determinismE0ELb1ES3_N6thrust23THRUST_200600_302600_NS6detail15normal_iteratorINS9_10device_ptrIxEEEESE_SE_xNS9_4plusIvEENS9_8equal_toIxEExEE10hipError_tPvRmT2_T3_T4_T5_mT6_T7_P12ihipStream_tbENKUlT_T0_E_clISt17integral_constantIbLb1EESY_IbLb0EEEEDaSU_SV_EUlSU_E_NS1_11comp_targetILNS1_3genE3ELNS1_11target_archE908ELNS1_3gpuE7ELNS1_3repE0EEENS1_30default_config_static_selectorELNS0_4arch9wavefront6targetE0EEEvT1_,comdat
	.protected	_ZN7rocprim17ROCPRIM_400000_NS6detail17trampoline_kernelINS0_14default_configENS1_27scan_by_key_config_selectorIxxEEZZNS1_16scan_by_key_implILNS1_25lookback_scan_determinismE0ELb1ES3_N6thrust23THRUST_200600_302600_NS6detail15normal_iteratorINS9_10device_ptrIxEEEESE_SE_xNS9_4plusIvEENS9_8equal_toIxEExEE10hipError_tPvRmT2_T3_T4_T5_mT6_T7_P12ihipStream_tbENKUlT_T0_E_clISt17integral_constantIbLb1EESY_IbLb0EEEEDaSU_SV_EUlSU_E_NS1_11comp_targetILNS1_3genE3ELNS1_11target_archE908ELNS1_3gpuE7ELNS1_3repE0EEENS1_30default_config_static_selectorELNS0_4arch9wavefront6targetE0EEEvT1_ ; -- Begin function _ZN7rocprim17ROCPRIM_400000_NS6detail17trampoline_kernelINS0_14default_configENS1_27scan_by_key_config_selectorIxxEEZZNS1_16scan_by_key_implILNS1_25lookback_scan_determinismE0ELb1ES3_N6thrust23THRUST_200600_302600_NS6detail15normal_iteratorINS9_10device_ptrIxEEEESE_SE_xNS9_4plusIvEENS9_8equal_toIxEExEE10hipError_tPvRmT2_T3_T4_T5_mT6_T7_P12ihipStream_tbENKUlT_T0_E_clISt17integral_constantIbLb1EESY_IbLb0EEEEDaSU_SV_EUlSU_E_NS1_11comp_targetILNS1_3genE3ELNS1_11target_archE908ELNS1_3gpuE7ELNS1_3repE0EEENS1_30default_config_static_selectorELNS0_4arch9wavefront6targetE0EEEvT1_
	.globl	_ZN7rocprim17ROCPRIM_400000_NS6detail17trampoline_kernelINS0_14default_configENS1_27scan_by_key_config_selectorIxxEEZZNS1_16scan_by_key_implILNS1_25lookback_scan_determinismE0ELb1ES3_N6thrust23THRUST_200600_302600_NS6detail15normal_iteratorINS9_10device_ptrIxEEEESE_SE_xNS9_4plusIvEENS9_8equal_toIxEExEE10hipError_tPvRmT2_T3_T4_T5_mT6_T7_P12ihipStream_tbENKUlT_T0_E_clISt17integral_constantIbLb1EESY_IbLb0EEEEDaSU_SV_EUlSU_E_NS1_11comp_targetILNS1_3genE3ELNS1_11target_archE908ELNS1_3gpuE7ELNS1_3repE0EEENS1_30default_config_static_selectorELNS0_4arch9wavefront6targetE0EEEvT1_
	.p2align	8
	.type	_ZN7rocprim17ROCPRIM_400000_NS6detail17trampoline_kernelINS0_14default_configENS1_27scan_by_key_config_selectorIxxEEZZNS1_16scan_by_key_implILNS1_25lookback_scan_determinismE0ELb1ES3_N6thrust23THRUST_200600_302600_NS6detail15normal_iteratorINS9_10device_ptrIxEEEESE_SE_xNS9_4plusIvEENS9_8equal_toIxEExEE10hipError_tPvRmT2_T3_T4_T5_mT6_T7_P12ihipStream_tbENKUlT_T0_E_clISt17integral_constantIbLb1EESY_IbLb0EEEEDaSU_SV_EUlSU_E_NS1_11comp_targetILNS1_3genE3ELNS1_11target_archE908ELNS1_3gpuE7ELNS1_3repE0EEENS1_30default_config_static_selectorELNS0_4arch9wavefront6targetE0EEEvT1_,@function
_ZN7rocprim17ROCPRIM_400000_NS6detail17trampoline_kernelINS0_14default_configENS1_27scan_by_key_config_selectorIxxEEZZNS1_16scan_by_key_implILNS1_25lookback_scan_determinismE0ELb1ES3_N6thrust23THRUST_200600_302600_NS6detail15normal_iteratorINS9_10device_ptrIxEEEESE_SE_xNS9_4plusIvEENS9_8equal_toIxEExEE10hipError_tPvRmT2_T3_T4_T5_mT6_T7_P12ihipStream_tbENKUlT_T0_E_clISt17integral_constantIbLb1EESY_IbLb0EEEEDaSU_SV_EUlSU_E_NS1_11comp_targetILNS1_3genE3ELNS1_11target_archE908ELNS1_3gpuE7ELNS1_3repE0EEENS1_30default_config_static_selectorELNS0_4arch9wavefront6targetE0EEEvT1_: ; @_ZN7rocprim17ROCPRIM_400000_NS6detail17trampoline_kernelINS0_14default_configENS1_27scan_by_key_config_selectorIxxEEZZNS1_16scan_by_key_implILNS1_25lookback_scan_determinismE0ELb1ES3_N6thrust23THRUST_200600_302600_NS6detail15normal_iteratorINS9_10device_ptrIxEEEESE_SE_xNS9_4plusIvEENS9_8equal_toIxEExEE10hipError_tPvRmT2_T3_T4_T5_mT6_T7_P12ihipStream_tbENKUlT_T0_E_clISt17integral_constantIbLb1EESY_IbLb0EEEEDaSU_SV_EUlSU_E_NS1_11comp_targetILNS1_3genE3ELNS1_11target_archE908ELNS1_3gpuE7ELNS1_3repE0EEENS1_30default_config_static_selectorELNS0_4arch9wavefront6targetE0EEEvT1_
; %bb.0:
	.section	.rodata,"a",@progbits
	.p2align	6, 0x0
	.amdhsa_kernel _ZN7rocprim17ROCPRIM_400000_NS6detail17trampoline_kernelINS0_14default_configENS1_27scan_by_key_config_selectorIxxEEZZNS1_16scan_by_key_implILNS1_25lookback_scan_determinismE0ELb1ES3_N6thrust23THRUST_200600_302600_NS6detail15normal_iteratorINS9_10device_ptrIxEEEESE_SE_xNS9_4plusIvEENS9_8equal_toIxEExEE10hipError_tPvRmT2_T3_T4_T5_mT6_T7_P12ihipStream_tbENKUlT_T0_E_clISt17integral_constantIbLb1EESY_IbLb0EEEEDaSU_SV_EUlSU_E_NS1_11comp_targetILNS1_3genE3ELNS1_11target_archE908ELNS1_3gpuE7ELNS1_3repE0EEENS1_30default_config_static_selectorELNS0_4arch9wavefront6targetE0EEEvT1_
		.amdhsa_group_segment_fixed_size 0
		.amdhsa_private_segment_fixed_size 0
		.amdhsa_kernarg_size 136
		.amdhsa_user_sgpr_count 2
		.amdhsa_user_sgpr_dispatch_ptr 0
		.amdhsa_user_sgpr_queue_ptr 0
		.amdhsa_user_sgpr_kernarg_segment_ptr 1
		.amdhsa_user_sgpr_dispatch_id 0
		.amdhsa_user_sgpr_kernarg_preload_length 0
		.amdhsa_user_sgpr_kernarg_preload_offset 0
		.amdhsa_user_sgpr_private_segment_size 0
		.amdhsa_wavefront_size32 1
		.amdhsa_uses_dynamic_stack 0
		.amdhsa_enable_private_segment 0
		.amdhsa_system_sgpr_workgroup_id_x 1
		.amdhsa_system_sgpr_workgroup_id_y 0
		.amdhsa_system_sgpr_workgroup_id_z 0
		.amdhsa_system_sgpr_workgroup_info 0
		.amdhsa_system_vgpr_workitem_id 0
		.amdhsa_next_free_vgpr 1
		.amdhsa_next_free_sgpr 1
		.amdhsa_named_barrier_count 0
		.amdhsa_reserve_vcc 0
		.amdhsa_float_round_mode_32 0
		.amdhsa_float_round_mode_16_64 0
		.amdhsa_float_denorm_mode_32 3
		.amdhsa_float_denorm_mode_16_64 3
		.amdhsa_fp16_overflow 0
		.amdhsa_memory_ordered 1
		.amdhsa_forward_progress 1
		.amdhsa_inst_pref_size 0
		.amdhsa_round_robin_scheduling 0
		.amdhsa_exception_fp_ieee_invalid_op 0
		.amdhsa_exception_fp_denorm_src 0
		.amdhsa_exception_fp_ieee_div_zero 0
		.amdhsa_exception_fp_ieee_overflow 0
		.amdhsa_exception_fp_ieee_underflow 0
		.amdhsa_exception_fp_ieee_inexact 0
		.amdhsa_exception_int_div_zero 0
	.end_amdhsa_kernel
	.section	.text._ZN7rocprim17ROCPRIM_400000_NS6detail17trampoline_kernelINS0_14default_configENS1_27scan_by_key_config_selectorIxxEEZZNS1_16scan_by_key_implILNS1_25lookback_scan_determinismE0ELb1ES3_N6thrust23THRUST_200600_302600_NS6detail15normal_iteratorINS9_10device_ptrIxEEEESE_SE_xNS9_4plusIvEENS9_8equal_toIxEExEE10hipError_tPvRmT2_T3_T4_T5_mT6_T7_P12ihipStream_tbENKUlT_T0_E_clISt17integral_constantIbLb1EESY_IbLb0EEEEDaSU_SV_EUlSU_E_NS1_11comp_targetILNS1_3genE3ELNS1_11target_archE908ELNS1_3gpuE7ELNS1_3repE0EEENS1_30default_config_static_selectorELNS0_4arch9wavefront6targetE0EEEvT1_,"axG",@progbits,_ZN7rocprim17ROCPRIM_400000_NS6detail17trampoline_kernelINS0_14default_configENS1_27scan_by_key_config_selectorIxxEEZZNS1_16scan_by_key_implILNS1_25lookback_scan_determinismE0ELb1ES3_N6thrust23THRUST_200600_302600_NS6detail15normal_iteratorINS9_10device_ptrIxEEEESE_SE_xNS9_4plusIvEENS9_8equal_toIxEExEE10hipError_tPvRmT2_T3_T4_T5_mT6_T7_P12ihipStream_tbENKUlT_T0_E_clISt17integral_constantIbLb1EESY_IbLb0EEEEDaSU_SV_EUlSU_E_NS1_11comp_targetILNS1_3genE3ELNS1_11target_archE908ELNS1_3gpuE7ELNS1_3repE0EEENS1_30default_config_static_selectorELNS0_4arch9wavefront6targetE0EEEvT1_,comdat
.Lfunc_end447:
	.size	_ZN7rocprim17ROCPRIM_400000_NS6detail17trampoline_kernelINS0_14default_configENS1_27scan_by_key_config_selectorIxxEEZZNS1_16scan_by_key_implILNS1_25lookback_scan_determinismE0ELb1ES3_N6thrust23THRUST_200600_302600_NS6detail15normal_iteratorINS9_10device_ptrIxEEEESE_SE_xNS9_4plusIvEENS9_8equal_toIxEExEE10hipError_tPvRmT2_T3_T4_T5_mT6_T7_P12ihipStream_tbENKUlT_T0_E_clISt17integral_constantIbLb1EESY_IbLb0EEEEDaSU_SV_EUlSU_E_NS1_11comp_targetILNS1_3genE3ELNS1_11target_archE908ELNS1_3gpuE7ELNS1_3repE0EEENS1_30default_config_static_selectorELNS0_4arch9wavefront6targetE0EEEvT1_, .Lfunc_end447-_ZN7rocprim17ROCPRIM_400000_NS6detail17trampoline_kernelINS0_14default_configENS1_27scan_by_key_config_selectorIxxEEZZNS1_16scan_by_key_implILNS1_25lookback_scan_determinismE0ELb1ES3_N6thrust23THRUST_200600_302600_NS6detail15normal_iteratorINS9_10device_ptrIxEEEESE_SE_xNS9_4plusIvEENS9_8equal_toIxEExEE10hipError_tPvRmT2_T3_T4_T5_mT6_T7_P12ihipStream_tbENKUlT_T0_E_clISt17integral_constantIbLb1EESY_IbLb0EEEEDaSU_SV_EUlSU_E_NS1_11comp_targetILNS1_3genE3ELNS1_11target_archE908ELNS1_3gpuE7ELNS1_3repE0EEENS1_30default_config_static_selectorELNS0_4arch9wavefront6targetE0EEEvT1_
                                        ; -- End function
	.set _ZN7rocprim17ROCPRIM_400000_NS6detail17trampoline_kernelINS0_14default_configENS1_27scan_by_key_config_selectorIxxEEZZNS1_16scan_by_key_implILNS1_25lookback_scan_determinismE0ELb1ES3_N6thrust23THRUST_200600_302600_NS6detail15normal_iteratorINS9_10device_ptrIxEEEESE_SE_xNS9_4plusIvEENS9_8equal_toIxEExEE10hipError_tPvRmT2_T3_T4_T5_mT6_T7_P12ihipStream_tbENKUlT_T0_E_clISt17integral_constantIbLb1EESY_IbLb0EEEEDaSU_SV_EUlSU_E_NS1_11comp_targetILNS1_3genE3ELNS1_11target_archE908ELNS1_3gpuE7ELNS1_3repE0EEENS1_30default_config_static_selectorELNS0_4arch9wavefront6targetE0EEEvT1_.num_vgpr, 0
	.set _ZN7rocprim17ROCPRIM_400000_NS6detail17trampoline_kernelINS0_14default_configENS1_27scan_by_key_config_selectorIxxEEZZNS1_16scan_by_key_implILNS1_25lookback_scan_determinismE0ELb1ES3_N6thrust23THRUST_200600_302600_NS6detail15normal_iteratorINS9_10device_ptrIxEEEESE_SE_xNS9_4plusIvEENS9_8equal_toIxEExEE10hipError_tPvRmT2_T3_T4_T5_mT6_T7_P12ihipStream_tbENKUlT_T0_E_clISt17integral_constantIbLb1EESY_IbLb0EEEEDaSU_SV_EUlSU_E_NS1_11comp_targetILNS1_3genE3ELNS1_11target_archE908ELNS1_3gpuE7ELNS1_3repE0EEENS1_30default_config_static_selectorELNS0_4arch9wavefront6targetE0EEEvT1_.num_agpr, 0
	.set _ZN7rocprim17ROCPRIM_400000_NS6detail17trampoline_kernelINS0_14default_configENS1_27scan_by_key_config_selectorIxxEEZZNS1_16scan_by_key_implILNS1_25lookback_scan_determinismE0ELb1ES3_N6thrust23THRUST_200600_302600_NS6detail15normal_iteratorINS9_10device_ptrIxEEEESE_SE_xNS9_4plusIvEENS9_8equal_toIxEExEE10hipError_tPvRmT2_T3_T4_T5_mT6_T7_P12ihipStream_tbENKUlT_T0_E_clISt17integral_constantIbLb1EESY_IbLb0EEEEDaSU_SV_EUlSU_E_NS1_11comp_targetILNS1_3genE3ELNS1_11target_archE908ELNS1_3gpuE7ELNS1_3repE0EEENS1_30default_config_static_selectorELNS0_4arch9wavefront6targetE0EEEvT1_.numbered_sgpr, 0
	.set _ZN7rocprim17ROCPRIM_400000_NS6detail17trampoline_kernelINS0_14default_configENS1_27scan_by_key_config_selectorIxxEEZZNS1_16scan_by_key_implILNS1_25lookback_scan_determinismE0ELb1ES3_N6thrust23THRUST_200600_302600_NS6detail15normal_iteratorINS9_10device_ptrIxEEEESE_SE_xNS9_4plusIvEENS9_8equal_toIxEExEE10hipError_tPvRmT2_T3_T4_T5_mT6_T7_P12ihipStream_tbENKUlT_T0_E_clISt17integral_constantIbLb1EESY_IbLb0EEEEDaSU_SV_EUlSU_E_NS1_11comp_targetILNS1_3genE3ELNS1_11target_archE908ELNS1_3gpuE7ELNS1_3repE0EEENS1_30default_config_static_selectorELNS0_4arch9wavefront6targetE0EEEvT1_.num_named_barrier, 0
	.set _ZN7rocprim17ROCPRIM_400000_NS6detail17trampoline_kernelINS0_14default_configENS1_27scan_by_key_config_selectorIxxEEZZNS1_16scan_by_key_implILNS1_25lookback_scan_determinismE0ELb1ES3_N6thrust23THRUST_200600_302600_NS6detail15normal_iteratorINS9_10device_ptrIxEEEESE_SE_xNS9_4plusIvEENS9_8equal_toIxEExEE10hipError_tPvRmT2_T3_T4_T5_mT6_T7_P12ihipStream_tbENKUlT_T0_E_clISt17integral_constantIbLb1EESY_IbLb0EEEEDaSU_SV_EUlSU_E_NS1_11comp_targetILNS1_3genE3ELNS1_11target_archE908ELNS1_3gpuE7ELNS1_3repE0EEENS1_30default_config_static_selectorELNS0_4arch9wavefront6targetE0EEEvT1_.private_seg_size, 0
	.set _ZN7rocprim17ROCPRIM_400000_NS6detail17trampoline_kernelINS0_14default_configENS1_27scan_by_key_config_selectorIxxEEZZNS1_16scan_by_key_implILNS1_25lookback_scan_determinismE0ELb1ES3_N6thrust23THRUST_200600_302600_NS6detail15normal_iteratorINS9_10device_ptrIxEEEESE_SE_xNS9_4plusIvEENS9_8equal_toIxEExEE10hipError_tPvRmT2_T3_T4_T5_mT6_T7_P12ihipStream_tbENKUlT_T0_E_clISt17integral_constantIbLb1EESY_IbLb0EEEEDaSU_SV_EUlSU_E_NS1_11comp_targetILNS1_3genE3ELNS1_11target_archE908ELNS1_3gpuE7ELNS1_3repE0EEENS1_30default_config_static_selectorELNS0_4arch9wavefront6targetE0EEEvT1_.uses_vcc, 0
	.set _ZN7rocprim17ROCPRIM_400000_NS6detail17trampoline_kernelINS0_14default_configENS1_27scan_by_key_config_selectorIxxEEZZNS1_16scan_by_key_implILNS1_25lookback_scan_determinismE0ELb1ES3_N6thrust23THRUST_200600_302600_NS6detail15normal_iteratorINS9_10device_ptrIxEEEESE_SE_xNS9_4plusIvEENS9_8equal_toIxEExEE10hipError_tPvRmT2_T3_T4_T5_mT6_T7_P12ihipStream_tbENKUlT_T0_E_clISt17integral_constantIbLb1EESY_IbLb0EEEEDaSU_SV_EUlSU_E_NS1_11comp_targetILNS1_3genE3ELNS1_11target_archE908ELNS1_3gpuE7ELNS1_3repE0EEENS1_30default_config_static_selectorELNS0_4arch9wavefront6targetE0EEEvT1_.uses_flat_scratch, 0
	.set _ZN7rocprim17ROCPRIM_400000_NS6detail17trampoline_kernelINS0_14default_configENS1_27scan_by_key_config_selectorIxxEEZZNS1_16scan_by_key_implILNS1_25lookback_scan_determinismE0ELb1ES3_N6thrust23THRUST_200600_302600_NS6detail15normal_iteratorINS9_10device_ptrIxEEEESE_SE_xNS9_4plusIvEENS9_8equal_toIxEExEE10hipError_tPvRmT2_T3_T4_T5_mT6_T7_P12ihipStream_tbENKUlT_T0_E_clISt17integral_constantIbLb1EESY_IbLb0EEEEDaSU_SV_EUlSU_E_NS1_11comp_targetILNS1_3genE3ELNS1_11target_archE908ELNS1_3gpuE7ELNS1_3repE0EEENS1_30default_config_static_selectorELNS0_4arch9wavefront6targetE0EEEvT1_.has_dyn_sized_stack, 0
	.set _ZN7rocprim17ROCPRIM_400000_NS6detail17trampoline_kernelINS0_14default_configENS1_27scan_by_key_config_selectorIxxEEZZNS1_16scan_by_key_implILNS1_25lookback_scan_determinismE0ELb1ES3_N6thrust23THRUST_200600_302600_NS6detail15normal_iteratorINS9_10device_ptrIxEEEESE_SE_xNS9_4plusIvEENS9_8equal_toIxEExEE10hipError_tPvRmT2_T3_T4_T5_mT6_T7_P12ihipStream_tbENKUlT_T0_E_clISt17integral_constantIbLb1EESY_IbLb0EEEEDaSU_SV_EUlSU_E_NS1_11comp_targetILNS1_3genE3ELNS1_11target_archE908ELNS1_3gpuE7ELNS1_3repE0EEENS1_30default_config_static_selectorELNS0_4arch9wavefront6targetE0EEEvT1_.has_recursion, 0
	.set _ZN7rocprim17ROCPRIM_400000_NS6detail17trampoline_kernelINS0_14default_configENS1_27scan_by_key_config_selectorIxxEEZZNS1_16scan_by_key_implILNS1_25lookback_scan_determinismE0ELb1ES3_N6thrust23THRUST_200600_302600_NS6detail15normal_iteratorINS9_10device_ptrIxEEEESE_SE_xNS9_4plusIvEENS9_8equal_toIxEExEE10hipError_tPvRmT2_T3_T4_T5_mT6_T7_P12ihipStream_tbENKUlT_T0_E_clISt17integral_constantIbLb1EESY_IbLb0EEEEDaSU_SV_EUlSU_E_NS1_11comp_targetILNS1_3genE3ELNS1_11target_archE908ELNS1_3gpuE7ELNS1_3repE0EEENS1_30default_config_static_selectorELNS0_4arch9wavefront6targetE0EEEvT1_.has_indirect_call, 0
	.section	.AMDGPU.csdata,"",@progbits
; Kernel info:
; codeLenInByte = 0
; TotalNumSgprs: 0
; NumVgprs: 0
; ScratchSize: 0
; MemoryBound: 0
; FloatMode: 240
; IeeeMode: 1
; LDSByteSize: 0 bytes/workgroup (compile time only)
; SGPRBlocks: 0
; VGPRBlocks: 0
; NumSGPRsForWavesPerEU: 1
; NumVGPRsForWavesPerEU: 1
; NamedBarCnt: 0
; Occupancy: 16
; WaveLimiterHint : 0
; COMPUTE_PGM_RSRC2:SCRATCH_EN: 0
; COMPUTE_PGM_RSRC2:USER_SGPR: 2
; COMPUTE_PGM_RSRC2:TRAP_HANDLER: 0
; COMPUTE_PGM_RSRC2:TGID_X_EN: 1
; COMPUTE_PGM_RSRC2:TGID_Y_EN: 0
; COMPUTE_PGM_RSRC2:TGID_Z_EN: 0
; COMPUTE_PGM_RSRC2:TIDIG_COMP_CNT: 0
	.section	.text._ZN7rocprim17ROCPRIM_400000_NS6detail17trampoline_kernelINS0_14default_configENS1_27scan_by_key_config_selectorIxxEEZZNS1_16scan_by_key_implILNS1_25lookback_scan_determinismE0ELb1ES3_N6thrust23THRUST_200600_302600_NS6detail15normal_iteratorINS9_10device_ptrIxEEEESE_SE_xNS9_4plusIvEENS9_8equal_toIxEExEE10hipError_tPvRmT2_T3_T4_T5_mT6_T7_P12ihipStream_tbENKUlT_T0_E_clISt17integral_constantIbLb1EESY_IbLb0EEEEDaSU_SV_EUlSU_E_NS1_11comp_targetILNS1_3genE2ELNS1_11target_archE906ELNS1_3gpuE6ELNS1_3repE0EEENS1_30default_config_static_selectorELNS0_4arch9wavefront6targetE0EEEvT1_,"axG",@progbits,_ZN7rocprim17ROCPRIM_400000_NS6detail17trampoline_kernelINS0_14default_configENS1_27scan_by_key_config_selectorIxxEEZZNS1_16scan_by_key_implILNS1_25lookback_scan_determinismE0ELb1ES3_N6thrust23THRUST_200600_302600_NS6detail15normal_iteratorINS9_10device_ptrIxEEEESE_SE_xNS9_4plusIvEENS9_8equal_toIxEExEE10hipError_tPvRmT2_T3_T4_T5_mT6_T7_P12ihipStream_tbENKUlT_T0_E_clISt17integral_constantIbLb1EESY_IbLb0EEEEDaSU_SV_EUlSU_E_NS1_11comp_targetILNS1_3genE2ELNS1_11target_archE906ELNS1_3gpuE6ELNS1_3repE0EEENS1_30default_config_static_selectorELNS0_4arch9wavefront6targetE0EEEvT1_,comdat
	.protected	_ZN7rocprim17ROCPRIM_400000_NS6detail17trampoline_kernelINS0_14default_configENS1_27scan_by_key_config_selectorIxxEEZZNS1_16scan_by_key_implILNS1_25lookback_scan_determinismE0ELb1ES3_N6thrust23THRUST_200600_302600_NS6detail15normal_iteratorINS9_10device_ptrIxEEEESE_SE_xNS9_4plusIvEENS9_8equal_toIxEExEE10hipError_tPvRmT2_T3_T4_T5_mT6_T7_P12ihipStream_tbENKUlT_T0_E_clISt17integral_constantIbLb1EESY_IbLb0EEEEDaSU_SV_EUlSU_E_NS1_11comp_targetILNS1_3genE2ELNS1_11target_archE906ELNS1_3gpuE6ELNS1_3repE0EEENS1_30default_config_static_selectorELNS0_4arch9wavefront6targetE0EEEvT1_ ; -- Begin function _ZN7rocprim17ROCPRIM_400000_NS6detail17trampoline_kernelINS0_14default_configENS1_27scan_by_key_config_selectorIxxEEZZNS1_16scan_by_key_implILNS1_25lookback_scan_determinismE0ELb1ES3_N6thrust23THRUST_200600_302600_NS6detail15normal_iteratorINS9_10device_ptrIxEEEESE_SE_xNS9_4plusIvEENS9_8equal_toIxEExEE10hipError_tPvRmT2_T3_T4_T5_mT6_T7_P12ihipStream_tbENKUlT_T0_E_clISt17integral_constantIbLb1EESY_IbLb0EEEEDaSU_SV_EUlSU_E_NS1_11comp_targetILNS1_3genE2ELNS1_11target_archE906ELNS1_3gpuE6ELNS1_3repE0EEENS1_30default_config_static_selectorELNS0_4arch9wavefront6targetE0EEEvT1_
	.globl	_ZN7rocprim17ROCPRIM_400000_NS6detail17trampoline_kernelINS0_14default_configENS1_27scan_by_key_config_selectorIxxEEZZNS1_16scan_by_key_implILNS1_25lookback_scan_determinismE0ELb1ES3_N6thrust23THRUST_200600_302600_NS6detail15normal_iteratorINS9_10device_ptrIxEEEESE_SE_xNS9_4plusIvEENS9_8equal_toIxEExEE10hipError_tPvRmT2_T3_T4_T5_mT6_T7_P12ihipStream_tbENKUlT_T0_E_clISt17integral_constantIbLb1EESY_IbLb0EEEEDaSU_SV_EUlSU_E_NS1_11comp_targetILNS1_3genE2ELNS1_11target_archE906ELNS1_3gpuE6ELNS1_3repE0EEENS1_30default_config_static_selectorELNS0_4arch9wavefront6targetE0EEEvT1_
	.p2align	8
	.type	_ZN7rocprim17ROCPRIM_400000_NS6detail17trampoline_kernelINS0_14default_configENS1_27scan_by_key_config_selectorIxxEEZZNS1_16scan_by_key_implILNS1_25lookback_scan_determinismE0ELb1ES3_N6thrust23THRUST_200600_302600_NS6detail15normal_iteratorINS9_10device_ptrIxEEEESE_SE_xNS9_4plusIvEENS9_8equal_toIxEExEE10hipError_tPvRmT2_T3_T4_T5_mT6_T7_P12ihipStream_tbENKUlT_T0_E_clISt17integral_constantIbLb1EESY_IbLb0EEEEDaSU_SV_EUlSU_E_NS1_11comp_targetILNS1_3genE2ELNS1_11target_archE906ELNS1_3gpuE6ELNS1_3repE0EEENS1_30default_config_static_selectorELNS0_4arch9wavefront6targetE0EEEvT1_,@function
_ZN7rocprim17ROCPRIM_400000_NS6detail17trampoline_kernelINS0_14default_configENS1_27scan_by_key_config_selectorIxxEEZZNS1_16scan_by_key_implILNS1_25lookback_scan_determinismE0ELb1ES3_N6thrust23THRUST_200600_302600_NS6detail15normal_iteratorINS9_10device_ptrIxEEEESE_SE_xNS9_4plusIvEENS9_8equal_toIxEExEE10hipError_tPvRmT2_T3_T4_T5_mT6_T7_P12ihipStream_tbENKUlT_T0_E_clISt17integral_constantIbLb1EESY_IbLb0EEEEDaSU_SV_EUlSU_E_NS1_11comp_targetILNS1_3genE2ELNS1_11target_archE906ELNS1_3gpuE6ELNS1_3repE0EEENS1_30default_config_static_selectorELNS0_4arch9wavefront6targetE0EEEvT1_: ; @_ZN7rocprim17ROCPRIM_400000_NS6detail17trampoline_kernelINS0_14default_configENS1_27scan_by_key_config_selectorIxxEEZZNS1_16scan_by_key_implILNS1_25lookback_scan_determinismE0ELb1ES3_N6thrust23THRUST_200600_302600_NS6detail15normal_iteratorINS9_10device_ptrIxEEEESE_SE_xNS9_4plusIvEENS9_8equal_toIxEExEE10hipError_tPvRmT2_T3_T4_T5_mT6_T7_P12ihipStream_tbENKUlT_T0_E_clISt17integral_constantIbLb1EESY_IbLb0EEEEDaSU_SV_EUlSU_E_NS1_11comp_targetILNS1_3genE2ELNS1_11target_archE906ELNS1_3gpuE6ELNS1_3repE0EEENS1_30default_config_static_selectorELNS0_4arch9wavefront6targetE0EEEvT1_
; %bb.0:
	.section	.rodata,"a",@progbits
	.p2align	6, 0x0
	.amdhsa_kernel _ZN7rocprim17ROCPRIM_400000_NS6detail17trampoline_kernelINS0_14default_configENS1_27scan_by_key_config_selectorIxxEEZZNS1_16scan_by_key_implILNS1_25lookback_scan_determinismE0ELb1ES3_N6thrust23THRUST_200600_302600_NS6detail15normal_iteratorINS9_10device_ptrIxEEEESE_SE_xNS9_4plusIvEENS9_8equal_toIxEExEE10hipError_tPvRmT2_T3_T4_T5_mT6_T7_P12ihipStream_tbENKUlT_T0_E_clISt17integral_constantIbLb1EESY_IbLb0EEEEDaSU_SV_EUlSU_E_NS1_11comp_targetILNS1_3genE2ELNS1_11target_archE906ELNS1_3gpuE6ELNS1_3repE0EEENS1_30default_config_static_selectorELNS0_4arch9wavefront6targetE0EEEvT1_
		.amdhsa_group_segment_fixed_size 0
		.amdhsa_private_segment_fixed_size 0
		.amdhsa_kernarg_size 136
		.amdhsa_user_sgpr_count 2
		.amdhsa_user_sgpr_dispatch_ptr 0
		.amdhsa_user_sgpr_queue_ptr 0
		.amdhsa_user_sgpr_kernarg_segment_ptr 1
		.amdhsa_user_sgpr_dispatch_id 0
		.amdhsa_user_sgpr_kernarg_preload_length 0
		.amdhsa_user_sgpr_kernarg_preload_offset 0
		.amdhsa_user_sgpr_private_segment_size 0
		.amdhsa_wavefront_size32 1
		.amdhsa_uses_dynamic_stack 0
		.amdhsa_enable_private_segment 0
		.amdhsa_system_sgpr_workgroup_id_x 1
		.amdhsa_system_sgpr_workgroup_id_y 0
		.amdhsa_system_sgpr_workgroup_id_z 0
		.amdhsa_system_sgpr_workgroup_info 0
		.amdhsa_system_vgpr_workitem_id 0
		.amdhsa_next_free_vgpr 1
		.amdhsa_next_free_sgpr 1
		.amdhsa_named_barrier_count 0
		.amdhsa_reserve_vcc 0
		.amdhsa_float_round_mode_32 0
		.amdhsa_float_round_mode_16_64 0
		.amdhsa_float_denorm_mode_32 3
		.amdhsa_float_denorm_mode_16_64 3
		.amdhsa_fp16_overflow 0
		.amdhsa_memory_ordered 1
		.amdhsa_forward_progress 1
		.amdhsa_inst_pref_size 0
		.amdhsa_round_robin_scheduling 0
		.amdhsa_exception_fp_ieee_invalid_op 0
		.amdhsa_exception_fp_denorm_src 0
		.amdhsa_exception_fp_ieee_div_zero 0
		.amdhsa_exception_fp_ieee_overflow 0
		.amdhsa_exception_fp_ieee_underflow 0
		.amdhsa_exception_fp_ieee_inexact 0
		.amdhsa_exception_int_div_zero 0
	.end_amdhsa_kernel
	.section	.text._ZN7rocprim17ROCPRIM_400000_NS6detail17trampoline_kernelINS0_14default_configENS1_27scan_by_key_config_selectorIxxEEZZNS1_16scan_by_key_implILNS1_25lookback_scan_determinismE0ELb1ES3_N6thrust23THRUST_200600_302600_NS6detail15normal_iteratorINS9_10device_ptrIxEEEESE_SE_xNS9_4plusIvEENS9_8equal_toIxEExEE10hipError_tPvRmT2_T3_T4_T5_mT6_T7_P12ihipStream_tbENKUlT_T0_E_clISt17integral_constantIbLb1EESY_IbLb0EEEEDaSU_SV_EUlSU_E_NS1_11comp_targetILNS1_3genE2ELNS1_11target_archE906ELNS1_3gpuE6ELNS1_3repE0EEENS1_30default_config_static_selectorELNS0_4arch9wavefront6targetE0EEEvT1_,"axG",@progbits,_ZN7rocprim17ROCPRIM_400000_NS6detail17trampoline_kernelINS0_14default_configENS1_27scan_by_key_config_selectorIxxEEZZNS1_16scan_by_key_implILNS1_25lookback_scan_determinismE0ELb1ES3_N6thrust23THRUST_200600_302600_NS6detail15normal_iteratorINS9_10device_ptrIxEEEESE_SE_xNS9_4plusIvEENS9_8equal_toIxEExEE10hipError_tPvRmT2_T3_T4_T5_mT6_T7_P12ihipStream_tbENKUlT_T0_E_clISt17integral_constantIbLb1EESY_IbLb0EEEEDaSU_SV_EUlSU_E_NS1_11comp_targetILNS1_3genE2ELNS1_11target_archE906ELNS1_3gpuE6ELNS1_3repE0EEENS1_30default_config_static_selectorELNS0_4arch9wavefront6targetE0EEEvT1_,comdat
.Lfunc_end448:
	.size	_ZN7rocprim17ROCPRIM_400000_NS6detail17trampoline_kernelINS0_14default_configENS1_27scan_by_key_config_selectorIxxEEZZNS1_16scan_by_key_implILNS1_25lookback_scan_determinismE0ELb1ES3_N6thrust23THRUST_200600_302600_NS6detail15normal_iteratorINS9_10device_ptrIxEEEESE_SE_xNS9_4plusIvEENS9_8equal_toIxEExEE10hipError_tPvRmT2_T3_T4_T5_mT6_T7_P12ihipStream_tbENKUlT_T0_E_clISt17integral_constantIbLb1EESY_IbLb0EEEEDaSU_SV_EUlSU_E_NS1_11comp_targetILNS1_3genE2ELNS1_11target_archE906ELNS1_3gpuE6ELNS1_3repE0EEENS1_30default_config_static_selectorELNS0_4arch9wavefront6targetE0EEEvT1_, .Lfunc_end448-_ZN7rocprim17ROCPRIM_400000_NS6detail17trampoline_kernelINS0_14default_configENS1_27scan_by_key_config_selectorIxxEEZZNS1_16scan_by_key_implILNS1_25lookback_scan_determinismE0ELb1ES3_N6thrust23THRUST_200600_302600_NS6detail15normal_iteratorINS9_10device_ptrIxEEEESE_SE_xNS9_4plusIvEENS9_8equal_toIxEExEE10hipError_tPvRmT2_T3_T4_T5_mT6_T7_P12ihipStream_tbENKUlT_T0_E_clISt17integral_constantIbLb1EESY_IbLb0EEEEDaSU_SV_EUlSU_E_NS1_11comp_targetILNS1_3genE2ELNS1_11target_archE906ELNS1_3gpuE6ELNS1_3repE0EEENS1_30default_config_static_selectorELNS0_4arch9wavefront6targetE0EEEvT1_
                                        ; -- End function
	.set _ZN7rocprim17ROCPRIM_400000_NS6detail17trampoline_kernelINS0_14default_configENS1_27scan_by_key_config_selectorIxxEEZZNS1_16scan_by_key_implILNS1_25lookback_scan_determinismE0ELb1ES3_N6thrust23THRUST_200600_302600_NS6detail15normal_iteratorINS9_10device_ptrIxEEEESE_SE_xNS9_4plusIvEENS9_8equal_toIxEExEE10hipError_tPvRmT2_T3_T4_T5_mT6_T7_P12ihipStream_tbENKUlT_T0_E_clISt17integral_constantIbLb1EESY_IbLb0EEEEDaSU_SV_EUlSU_E_NS1_11comp_targetILNS1_3genE2ELNS1_11target_archE906ELNS1_3gpuE6ELNS1_3repE0EEENS1_30default_config_static_selectorELNS0_4arch9wavefront6targetE0EEEvT1_.num_vgpr, 0
	.set _ZN7rocprim17ROCPRIM_400000_NS6detail17trampoline_kernelINS0_14default_configENS1_27scan_by_key_config_selectorIxxEEZZNS1_16scan_by_key_implILNS1_25lookback_scan_determinismE0ELb1ES3_N6thrust23THRUST_200600_302600_NS6detail15normal_iteratorINS9_10device_ptrIxEEEESE_SE_xNS9_4plusIvEENS9_8equal_toIxEExEE10hipError_tPvRmT2_T3_T4_T5_mT6_T7_P12ihipStream_tbENKUlT_T0_E_clISt17integral_constantIbLb1EESY_IbLb0EEEEDaSU_SV_EUlSU_E_NS1_11comp_targetILNS1_3genE2ELNS1_11target_archE906ELNS1_3gpuE6ELNS1_3repE0EEENS1_30default_config_static_selectorELNS0_4arch9wavefront6targetE0EEEvT1_.num_agpr, 0
	.set _ZN7rocprim17ROCPRIM_400000_NS6detail17trampoline_kernelINS0_14default_configENS1_27scan_by_key_config_selectorIxxEEZZNS1_16scan_by_key_implILNS1_25lookback_scan_determinismE0ELb1ES3_N6thrust23THRUST_200600_302600_NS6detail15normal_iteratorINS9_10device_ptrIxEEEESE_SE_xNS9_4plusIvEENS9_8equal_toIxEExEE10hipError_tPvRmT2_T3_T4_T5_mT6_T7_P12ihipStream_tbENKUlT_T0_E_clISt17integral_constantIbLb1EESY_IbLb0EEEEDaSU_SV_EUlSU_E_NS1_11comp_targetILNS1_3genE2ELNS1_11target_archE906ELNS1_3gpuE6ELNS1_3repE0EEENS1_30default_config_static_selectorELNS0_4arch9wavefront6targetE0EEEvT1_.numbered_sgpr, 0
	.set _ZN7rocprim17ROCPRIM_400000_NS6detail17trampoline_kernelINS0_14default_configENS1_27scan_by_key_config_selectorIxxEEZZNS1_16scan_by_key_implILNS1_25lookback_scan_determinismE0ELb1ES3_N6thrust23THRUST_200600_302600_NS6detail15normal_iteratorINS9_10device_ptrIxEEEESE_SE_xNS9_4plusIvEENS9_8equal_toIxEExEE10hipError_tPvRmT2_T3_T4_T5_mT6_T7_P12ihipStream_tbENKUlT_T0_E_clISt17integral_constantIbLb1EESY_IbLb0EEEEDaSU_SV_EUlSU_E_NS1_11comp_targetILNS1_3genE2ELNS1_11target_archE906ELNS1_3gpuE6ELNS1_3repE0EEENS1_30default_config_static_selectorELNS0_4arch9wavefront6targetE0EEEvT1_.num_named_barrier, 0
	.set _ZN7rocprim17ROCPRIM_400000_NS6detail17trampoline_kernelINS0_14default_configENS1_27scan_by_key_config_selectorIxxEEZZNS1_16scan_by_key_implILNS1_25lookback_scan_determinismE0ELb1ES3_N6thrust23THRUST_200600_302600_NS6detail15normal_iteratorINS9_10device_ptrIxEEEESE_SE_xNS9_4plusIvEENS9_8equal_toIxEExEE10hipError_tPvRmT2_T3_T4_T5_mT6_T7_P12ihipStream_tbENKUlT_T0_E_clISt17integral_constantIbLb1EESY_IbLb0EEEEDaSU_SV_EUlSU_E_NS1_11comp_targetILNS1_3genE2ELNS1_11target_archE906ELNS1_3gpuE6ELNS1_3repE0EEENS1_30default_config_static_selectorELNS0_4arch9wavefront6targetE0EEEvT1_.private_seg_size, 0
	.set _ZN7rocprim17ROCPRIM_400000_NS6detail17trampoline_kernelINS0_14default_configENS1_27scan_by_key_config_selectorIxxEEZZNS1_16scan_by_key_implILNS1_25lookback_scan_determinismE0ELb1ES3_N6thrust23THRUST_200600_302600_NS6detail15normal_iteratorINS9_10device_ptrIxEEEESE_SE_xNS9_4plusIvEENS9_8equal_toIxEExEE10hipError_tPvRmT2_T3_T4_T5_mT6_T7_P12ihipStream_tbENKUlT_T0_E_clISt17integral_constantIbLb1EESY_IbLb0EEEEDaSU_SV_EUlSU_E_NS1_11comp_targetILNS1_3genE2ELNS1_11target_archE906ELNS1_3gpuE6ELNS1_3repE0EEENS1_30default_config_static_selectorELNS0_4arch9wavefront6targetE0EEEvT1_.uses_vcc, 0
	.set _ZN7rocprim17ROCPRIM_400000_NS6detail17trampoline_kernelINS0_14default_configENS1_27scan_by_key_config_selectorIxxEEZZNS1_16scan_by_key_implILNS1_25lookback_scan_determinismE0ELb1ES3_N6thrust23THRUST_200600_302600_NS6detail15normal_iteratorINS9_10device_ptrIxEEEESE_SE_xNS9_4plusIvEENS9_8equal_toIxEExEE10hipError_tPvRmT2_T3_T4_T5_mT6_T7_P12ihipStream_tbENKUlT_T0_E_clISt17integral_constantIbLb1EESY_IbLb0EEEEDaSU_SV_EUlSU_E_NS1_11comp_targetILNS1_3genE2ELNS1_11target_archE906ELNS1_3gpuE6ELNS1_3repE0EEENS1_30default_config_static_selectorELNS0_4arch9wavefront6targetE0EEEvT1_.uses_flat_scratch, 0
	.set _ZN7rocprim17ROCPRIM_400000_NS6detail17trampoline_kernelINS0_14default_configENS1_27scan_by_key_config_selectorIxxEEZZNS1_16scan_by_key_implILNS1_25lookback_scan_determinismE0ELb1ES3_N6thrust23THRUST_200600_302600_NS6detail15normal_iteratorINS9_10device_ptrIxEEEESE_SE_xNS9_4plusIvEENS9_8equal_toIxEExEE10hipError_tPvRmT2_T3_T4_T5_mT6_T7_P12ihipStream_tbENKUlT_T0_E_clISt17integral_constantIbLb1EESY_IbLb0EEEEDaSU_SV_EUlSU_E_NS1_11comp_targetILNS1_3genE2ELNS1_11target_archE906ELNS1_3gpuE6ELNS1_3repE0EEENS1_30default_config_static_selectorELNS0_4arch9wavefront6targetE0EEEvT1_.has_dyn_sized_stack, 0
	.set _ZN7rocprim17ROCPRIM_400000_NS6detail17trampoline_kernelINS0_14default_configENS1_27scan_by_key_config_selectorIxxEEZZNS1_16scan_by_key_implILNS1_25lookback_scan_determinismE0ELb1ES3_N6thrust23THRUST_200600_302600_NS6detail15normal_iteratorINS9_10device_ptrIxEEEESE_SE_xNS9_4plusIvEENS9_8equal_toIxEExEE10hipError_tPvRmT2_T3_T4_T5_mT6_T7_P12ihipStream_tbENKUlT_T0_E_clISt17integral_constantIbLb1EESY_IbLb0EEEEDaSU_SV_EUlSU_E_NS1_11comp_targetILNS1_3genE2ELNS1_11target_archE906ELNS1_3gpuE6ELNS1_3repE0EEENS1_30default_config_static_selectorELNS0_4arch9wavefront6targetE0EEEvT1_.has_recursion, 0
	.set _ZN7rocprim17ROCPRIM_400000_NS6detail17trampoline_kernelINS0_14default_configENS1_27scan_by_key_config_selectorIxxEEZZNS1_16scan_by_key_implILNS1_25lookback_scan_determinismE0ELb1ES3_N6thrust23THRUST_200600_302600_NS6detail15normal_iteratorINS9_10device_ptrIxEEEESE_SE_xNS9_4plusIvEENS9_8equal_toIxEExEE10hipError_tPvRmT2_T3_T4_T5_mT6_T7_P12ihipStream_tbENKUlT_T0_E_clISt17integral_constantIbLb1EESY_IbLb0EEEEDaSU_SV_EUlSU_E_NS1_11comp_targetILNS1_3genE2ELNS1_11target_archE906ELNS1_3gpuE6ELNS1_3repE0EEENS1_30default_config_static_selectorELNS0_4arch9wavefront6targetE0EEEvT1_.has_indirect_call, 0
	.section	.AMDGPU.csdata,"",@progbits
; Kernel info:
; codeLenInByte = 0
; TotalNumSgprs: 0
; NumVgprs: 0
; ScratchSize: 0
; MemoryBound: 0
; FloatMode: 240
; IeeeMode: 1
; LDSByteSize: 0 bytes/workgroup (compile time only)
; SGPRBlocks: 0
; VGPRBlocks: 0
; NumSGPRsForWavesPerEU: 1
; NumVGPRsForWavesPerEU: 1
; NamedBarCnt: 0
; Occupancy: 16
; WaveLimiterHint : 0
; COMPUTE_PGM_RSRC2:SCRATCH_EN: 0
; COMPUTE_PGM_RSRC2:USER_SGPR: 2
; COMPUTE_PGM_RSRC2:TRAP_HANDLER: 0
; COMPUTE_PGM_RSRC2:TGID_X_EN: 1
; COMPUTE_PGM_RSRC2:TGID_Y_EN: 0
; COMPUTE_PGM_RSRC2:TGID_Z_EN: 0
; COMPUTE_PGM_RSRC2:TIDIG_COMP_CNT: 0
	.section	.text._ZN7rocprim17ROCPRIM_400000_NS6detail17trampoline_kernelINS0_14default_configENS1_27scan_by_key_config_selectorIxxEEZZNS1_16scan_by_key_implILNS1_25lookback_scan_determinismE0ELb1ES3_N6thrust23THRUST_200600_302600_NS6detail15normal_iteratorINS9_10device_ptrIxEEEESE_SE_xNS9_4plusIvEENS9_8equal_toIxEExEE10hipError_tPvRmT2_T3_T4_T5_mT6_T7_P12ihipStream_tbENKUlT_T0_E_clISt17integral_constantIbLb1EESY_IbLb0EEEEDaSU_SV_EUlSU_E_NS1_11comp_targetILNS1_3genE10ELNS1_11target_archE1200ELNS1_3gpuE4ELNS1_3repE0EEENS1_30default_config_static_selectorELNS0_4arch9wavefront6targetE0EEEvT1_,"axG",@progbits,_ZN7rocprim17ROCPRIM_400000_NS6detail17trampoline_kernelINS0_14default_configENS1_27scan_by_key_config_selectorIxxEEZZNS1_16scan_by_key_implILNS1_25lookback_scan_determinismE0ELb1ES3_N6thrust23THRUST_200600_302600_NS6detail15normal_iteratorINS9_10device_ptrIxEEEESE_SE_xNS9_4plusIvEENS9_8equal_toIxEExEE10hipError_tPvRmT2_T3_T4_T5_mT6_T7_P12ihipStream_tbENKUlT_T0_E_clISt17integral_constantIbLb1EESY_IbLb0EEEEDaSU_SV_EUlSU_E_NS1_11comp_targetILNS1_3genE10ELNS1_11target_archE1200ELNS1_3gpuE4ELNS1_3repE0EEENS1_30default_config_static_selectorELNS0_4arch9wavefront6targetE0EEEvT1_,comdat
	.protected	_ZN7rocprim17ROCPRIM_400000_NS6detail17trampoline_kernelINS0_14default_configENS1_27scan_by_key_config_selectorIxxEEZZNS1_16scan_by_key_implILNS1_25lookback_scan_determinismE0ELb1ES3_N6thrust23THRUST_200600_302600_NS6detail15normal_iteratorINS9_10device_ptrIxEEEESE_SE_xNS9_4plusIvEENS9_8equal_toIxEExEE10hipError_tPvRmT2_T3_T4_T5_mT6_T7_P12ihipStream_tbENKUlT_T0_E_clISt17integral_constantIbLb1EESY_IbLb0EEEEDaSU_SV_EUlSU_E_NS1_11comp_targetILNS1_3genE10ELNS1_11target_archE1200ELNS1_3gpuE4ELNS1_3repE0EEENS1_30default_config_static_selectorELNS0_4arch9wavefront6targetE0EEEvT1_ ; -- Begin function _ZN7rocprim17ROCPRIM_400000_NS6detail17trampoline_kernelINS0_14default_configENS1_27scan_by_key_config_selectorIxxEEZZNS1_16scan_by_key_implILNS1_25lookback_scan_determinismE0ELb1ES3_N6thrust23THRUST_200600_302600_NS6detail15normal_iteratorINS9_10device_ptrIxEEEESE_SE_xNS9_4plusIvEENS9_8equal_toIxEExEE10hipError_tPvRmT2_T3_T4_T5_mT6_T7_P12ihipStream_tbENKUlT_T0_E_clISt17integral_constantIbLb1EESY_IbLb0EEEEDaSU_SV_EUlSU_E_NS1_11comp_targetILNS1_3genE10ELNS1_11target_archE1200ELNS1_3gpuE4ELNS1_3repE0EEENS1_30default_config_static_selectorELNS0_4arch9wavefront6targetE0EEEvT1_
	.globl	_ZN7rocprim17ROCPRIM_400000_NS6detail17trampoline_kernelINS0_14default_configENS1_27scan_by_key_config_selectorIxxEEZZNS1_16scan_by_key_implILNS1_25lookback_scan_determinismE0ELb1ES3_N6thrust23THRUST_200600_302600_NS6detail15normal_iteratorINS9_10device_ptrIxEEEESE_SE_xNS9_4plusIvEENS9_8equal_toIxEExEE10hipError_tPvRmT2_T3_T4_T5_mT6_T7_P12ihipStream_tbENKUlT_T0_E_clISt17integral_constantIbLb1EESY_IbLb0EEEEDaSU_SV_EUlSU_E_NS1_11comp_targetILNS1_3genE10ELNS1_11target_archE1200ELNS1_3gpuE4ELNS1_3repE0EEENS1_30default_config_static_selectorELNS0_4arch9wavefront6targetE0EEEvT1_
	.p2align	8
	.type	_ZN7rocprim17ROCPRIM_400000_NS6detail17trampoline_kernelINS0_14default_configENS1_27scan_by_key_config_selectorIxxEEZZNS1_16scan_by_key_implILNS1_25lookback_scan_determinismE0ELb1ES3_N6thrust23THRUST_200600_302600_NS6detail15normal_iteratorINS9_10device_ptrIxEEEESE_SE_xNS9_4plusIvEENS9_8equal_toIxEExEE10hipError_tPvRmT2_T3_T4_T5_mT6_T7_P12ihipStream_tbENKUlT_T0_E_clISt17integral_constantIbLb1EESY_IbLb0EEEEDaSU_SV_EUlSU_E_NS1_11comp_targetILNS1_3genE10ELNS1_11target_archE1200ELNS1_3gpuE4ELNS1_3repE0EEENS1_30default_config_static_selectorELNS0_4arch9wavefront6targetE0EEEvT1_,@function
_ZN7rocprim17ROCPRIM_400000_NS6detail17trampoline_kernelINS0_14default_configENS1_27scan_by_key_config_selectorIxxEEZZNS1_16scan_by_key_implILNS1_25lookback_scan_determinismE0ELb1ES3_N6thrust23THRUST_200600_302600_NS6detail15normal_iteratorINS9_10device_ptrIxEEEESE_SE_xNS9_4plusIvEENS9_8equal_toIxEExEE10hipError_tPvRmT2_T3_T4_T5_mT6_T7_P12ihipStream_tbENKUlT_T0_E_clISt17integral_constantIbLb1EESY_IbLb0EEEEDaSU_SV_EUlSU_E_NS1_11comp_targetILNS1_3genE10ELNS1_11target_archE1200ELNS1_3gpuE4ELNS1_3repE0EEENS1_30default_config_static_selectorELNS0_4arch9wavefront6targetE0EEEvT1_: ; @_ZN7rocprim17ROCPRIM_400000_NS6detail17trampoline_kernelINS0_14default_configENS1_27scan_by_key_config_selectorIxxEEZZNS1_16scan_by_key_implILNS1_25lookback_scan_determinismE0ELb1ES3_N6thrust23THRUST_200600_302600_NS6detail15normal_iteratorINS9_10device_ptrIxEEEESE_SE_xNS9_4plusIvEENS9_8equal_toIxEExEE10hipError_tPvRmT2_T3_T4_T5_mT6_T7_P12ihipStream_tbENKUlT_T0_E_clISt17integral_constantIbLb1EESY_IbLb0EEEEDaSU_SV_EUlSU_E_NS1_11comp_targetILNS1_3genE10ELNS1_11target_archE1200ELNS1_3gpuE4ELNS1_3repE0EEENS1_30default_config_static_selectorELNS0_4arch9wavefront6targetE0EEEvT1_
; %bb.0:
	.section	.rodata,"a",@progbits
	.p2align	6, 0x0
	.amdhsa_kernel _ZN7rocprim17ROCPRIM_400000_NS6detail17trampoline_kernelINS0_14default_configENS1_27scan_by_key_config_selectorIxxEEZZNS1_16scan_by_key_implILNS1_25lookback_scan_determinismE0ELb1ES3_N6thrust23THRUST_200600_302600_NS6detail15normal_iteratorINS9_10device_ptrIxEEEESE_SE_xNS9_4plusIvEENS9_8equal_toIxEExEE10hipError_tPvRmT2_T3_T4_T5_mT6_T7_P12ihipStream_tbENKUlT_T0_E_clISt17integral_constantIbLb1EESY_IbLb0EEEEDaSU_SV_EUlSU_E_NS1_11comp_targetILNS1_3genE10ELNS1_11target_archE1200ELNS1_3gpuE4ELNS1_3repE0EEENS1_30default_config_static_selectorELNS0_4arch9wavefront6targetE0EEEvT1_
		.amdhsa_group_segment_fixed_size 0
		.amdhsa_private_segment_fixed_size 0
		.amdhsa_kernarg_size 136
		.amdhsa_user_sgpr_count 2
		.amdhsa_user_sgpr_dispatch_ptr 0
		.amdhsa_user_sgpr_queue_ptr 0
		.amdhsa_user_sgpr_kernarg_segment_ptr 1
		.amdhsa_user_sgpr_dispatch_id 0
		.amdhsa_user_sgpr_kernarg_preload_length 0
		.amdhsa_user_sgpr_kernarg_preload_offset 0
		.amdhsa_user_sgpr_private_segment_size 0
		.amdhsa_wavefront_size32 1
		.amdhsa_uses_dynamic_stack 0
		.amdhsa_enable_private_segment 0
		.amdhsa_system_sgpr_workgroup_id_x 1
		.amdhsa_system_sgpr_workgroup_id_y 0
		.amdhsa_system_sgpr_workgroup_id_z 0
		.amdhsa_system_sgpr_workgroup_info 0
		.amdhsa_system_vgpr_workitem_id 0
		.amdhsa_next_free_vgpr 1
		.amdhsa_next_free_sgpr 1
		.amdhsa_named_barrier_count 0
		.amdhsa_reserve_vcc 0
		.amdhsa_float_round_mode_32 0
		.amdhsa_float_round_mode_16_64 0
		.amdhsa_float_denorm_mode_32 3
		.amdhsa_float_denorm_mode_16_64 3
		.amdhsa_fp16_overflow 0
		.amdhsa_memory_ordered 1
		.amdhsa_forward_progress 1
		.amdhsa_inst_pref_size 0
		.amdhsa_round_robin_scheduling 0
		.amdhsa_exception_fp_ieee_invalid_op 0
		.amdhsa_exception_fp_denorm_src 0
		.amdhsa_exception_fp_ieee_div_zero 0
		.amdhsa_exception_fp_ieee_overflow 0
		.amdhsa_exception_fp_ieee_underflow 0
		.amdhsa_exception_fp_ieee_inexact 0
		.amdhsa_exception_int_div_zero 0
	.end_amdhsa_kernel
	.section	.text._ZN7rocprim17ROCPRIM_400000_NS6detail17trampoline_kernelINS0_14default_configENS1_27scan_by_key_config_selectorIxxEEZZNS1_16scan_by_key_implILNS1_25lookback_scan_determinismE0ELb1ES3_N6thrust23THRUST_200600_302600_NS6detail15normal_iteratorINS9_10device_ptrIxEEEESE_SE_xNS9_4plusIvEENS9_8equal_toIxEExEE10hipError_tPvRmT2_T3_T4_T5_mT6_T7_P12ihipStream_tbENKUlT_T0_E_clISt17integral_constantIbLb1EESY_IbLb0EEEEDaSU_SV_EUlSU_E_NS1_11comp_targetILNS1_3genE10ELNS1_11target_archE1200ELNS1_3gpuE4ELNS1_3repE0EEENS1_30default_config_static_selectorELNS0_4arch9wavefront6targetE0EEEvT1_,"axG",@progbits,_ZN7rocprim17ROCPRIM_400000_NS6detail17trampoline_kernelINS0_14default_configENS1_27scan_by_key_config_selectorIxxEEZZNS1_16scan_by_key_implILNS1_25lookback_scan_determinismE0ELb1ES3_N6thrust23THRUST_200600_302600_NS6detail15normal_iteratorINS9_10device_ptrIxEEEESE_SE_xNS9_4plusIvEENS9_8equal_toIxEExEE10hipError_tPvRmT2_T3_T4_T5_mT6_T7_P12ihipStream_tbENKUlT_T0_E_clISt17integral_constantIbLb1EESY_IbLb0EEEEDaSU_SV_EUlSU_E_NS1_11comp_targetILNS1_3genE10ELNS1_11target_archE1200ELNS1_3gpuE4ELNS1_3repE0EEENS1_30default_config_static_selectorELNS0_4arch9wavefront6targetE0EEEvT1_,comdat
.Lfunc_end449:
	.size	_ZN7rocprim17ROCPRIM_400000_NS6detail17trampoline_kernelINS0_14default_configENS1_27scan_by_key_config_selectorIxxEEZZNS1_16scan_by_key_implILNS1_25lookback_scan_determinismE0ELb1ES3_N6thrust23THRUST_200600_302600_NS6detail15normal_iteratorINS9_10device_ptrIxEEEESE_SE_xNS9_4plusIvEENS9_8equal_toIxEExEE10hipError_tPvRmT2_T3_T4_T5_mT6_T7_P12ihipStream_tbENKUlT_T0_E_clISt17integral_constantIbLb1EESY_IbLb0EEEEDaSU_SV_EUlSU_E_NS1_11comp_targetILNS1_3genE10ELNS1_11target_archE1200ELNS1_3gpuE4ELNS1_3repE0EEENS1_30default_config_static_selectorELNS0_4arch9wavefront6targetE0EEEvT1_, .Lfunc_end449-_ZN7rocprim17ROCPRIM_400000_NS6detail17trampoline_kernelINS0_14default_configENS1_27scan_by_key_config_selectorIxxEEZZNS1_16scan_by_key_implILNS1_25lookback_scan_determinismE0ELb1ES3_N6thrust23THRUST_200600_302600_NS6detail15normal_iteratorINS9_10device_ptrIxEEEESE_SE_xNS9_4plusIvEENS9_8equal_toIxEExEE10hipError_tPvRmT2_T3_T4_T5_mT6_T7_P12ihipStream_tbENKUlT_T0_E_clISt17integral_constantIbLb1EESY_IbLb0EEEEDaSU_SV_EUlSU_E_NS1_11comp_targetILNS1_3genE10ELNS1_11target_archE1200ELNS1_3gpuE4ELNS1_3repE0EEENS1_30default_config_static_selectorELNS0_4arch9wavefront6targetE0EEEvT1_
                                        ; -- End function
	.set _ZN7rocprim17ROCPRIM_400000_NS6detail17trampoline_kernelINS0_14default_configENS1_27scan_by_key_config_selectorIxxEEZZNS1_16scan_by_key_implILNS1_25lookback_scan_determinismE0ELb1ES3_N6thrust23THRUST_200600_302600_NS6detail15normal_iteratorINS9_10device_ptrIxEEEESE_SE_xNS9_4plusIvEENS9_8equal_toIxEExEE10hipError_tPvRmT2_T3_T4_T5_mT6_T7_P12ihipStream_tbENKUlT_T0_E_clISt17integral_constantIbLb1EESY_IbLb0EEEEDaSU_SV_EUlSU_E_NS1_11comp_targetILNS1_3genE10ELNS1_11target_archE1200ELNS1_3gpuE4ELNS1_3repE0EEENS1_30default_config_static_selectorELNS0_4arch9wavefront6targetE0EEEvT1_.num_vgpr, 0
	.set _ZN7rocprim17ROCPRIM_400000_NS6detail17trampoline_kernelINS0_14default_configENS1_27scan_by_key_config_selectorIxxEEZZNS1_16scan_by_key_implILNS1_25lookback_scan_determinismE0ELb1ES3_N6thrust23THRUST_200600_302600_NS6detail15normal_iteratorINS9_10device_ptrIxEEEESE_SE_xNS9_4plusIvEENS9_8equal_toIxEExEE10hipError_tPvRmT2_T3_T4_T5_mT6_T7_P12ihipStream_tbENKUlT_T0_E_clISt17integral_constantIbLb1EESY_IbLb0EEEEDaSU_SV_EUlSU_E_NS1_11comp_targetILNS1_3genE10ELNS1_11target_archE1200ELNS1_3gpuE4ELNS1_3repE0EEENS1_30default_config_static_selectorELNS0_4arch9wavefront6targetE0EEEvT1_.num_agpr, 0
	.set _ZN7rocprim17ROCPRIM_400000_NS6detail17trampoline_kernelINS0_14default_configENS1_27scan_by_key_config_selectorIxxEEZZNS1_16scan_by_key_implILNS1_25lookback_scan_determinismE0ELb1ES3_N6thrust23THRUST_200600_302600_NS6detail15normal_iteratorINS9_10device_ptrIxEEEESE_SE_xNS9_4plusIvEENS9_8equal_toIxEExEE10hipError_tPvRmT2_T3_T4_T5_mT6_T7_P12ihipStream_tbENKUlT_T0_E_clISt17integral_constantIbLb1EESY_IbLb0EEEEDaSU_SV_EUlSU_E_NS1_11comp_targetILNS1_3genE10ELNS1_11target_archE1200ELNS1_3gpuE4ELNS1_3repE0EEENS1_30default_config_static_selectorELNS0_4arch9wavefront6targetE0EEEvT1_.numbered_sgpr, 0
	.set _ZN7rocprim17ROCPRIM_400000_NS6detail17trampoline_kernelINS0_14default_configENS1_27scan_by_key_config_selectorIxxEEZZNS1_16scan_by_key_implILNS1_25lookback_scan_determinismE0ELb1ES3_N6thrust23THRUST_200600_302600_NS6detail15normal_iteratorINS9_10device_ptrIxEEEESE_SE_xNS9_4plusIvEENS9_8equal_toIxEExEE10hipError_tPvRmT2_T3_T4_T5_mT6_T7_P12ihipStream_tbENKUlT_T0_E_clISt17integral_constantIbLb1EESY_IbLb0EEEEDaSU_SV_EUlSU_E_NS1_11comp_targetILNS1_3genE10ELNS1_11target_archE1200ELNS1_3gpuE4ELNS1_3repE0EEENS1_30default_config_static_selectorELNS0_4arch9wavefront6targetE0EEEvT1_.num_named_barrier, 0
	.set _ZN7rocprim17ROCPRIM_400000_NS6detail17trampoline_kernelINS0_14default_configENS1_27scan_by_key_config_selectorIxxEEZZNS1_16scan_by_key_implILNS1_25lookback_scan_determinismE0ELb1ES3_N6thrust23THRUST_200600_302600_NS6detail15normal_iteratorINS9_10device_ptrIxEEEESE_SE_xNS9_4plusIvEENS9_8equal_toIxEExEE10hipError_tPvRmT2_T3_T4_T5_mT6_T7_P12ihipStream_tbENKUlT_T0_E_clISt17integral_constantIbLb1EESY_IbLb0EEEEDaSU_SV_EUlSU_E_NS1_11comp_targetILNS1_3genE10ELNS1_11target_archE1200ELNS1_3gpuE4ELNS1_3repE0EEENS1_30default_config_static_selectorELNS0_4arch9wavefront6targetE0EEEvT1_.private_seg_size, 0
	.set _ZN7rocprim17ROCPRIM_400000_NS6detail17trampoline_kernelINS0_14default_configENS1_27scan_by_key_config_selectorIxxEEZZNS1_16scan_by_key_implILNS1_25lookback_scan_determinismE0ELb1ES3_N6thrust23THRUST_200600_302600_NS6detail15normal_iteratorINS9_10device_ptrIxEEEESE_SE_xNS9_4plusIvEENS9_8equal_toIxEExEE10hipError_tPvRmT2_T3_T4_T5_mT6_T7_P12ihipStream_tbENKUlT_T0_E_clISt17integral_constantIbLb1EESY_IbLb0EEEEDaSU_SV_EUlSU_E_NS1_11comp_targetILNS1_3genE10ELNS1_11target_archE1200ELNS1_3gpuE4ELNS1_3repE0EEENS1_30default_config_static_selectorELNS0_4arch9wavefront6targetE0EEEvT1_.uses_vcc, 0
	.set _ZN7rocprim17ROCPRIM_400000_NS6detail17trampoline_kernelINS0_14default_configENS1_27scan_by_key_config_selectorIxxEEZZNS1_16scan_by_key_implILNS1_25lookback_scan_determinismE0ELb1ES3_N6thrust23THRUST_200600_302600_NS6detail15normal_iteratorINS9_10device_ptrIxEEEESE_SE_xNS9_4plusIvEENS9_8equal_toIxEExEE10hipError_tPvRmT2_T3_T4_T5_mT6_T7_P12ihipStream_tbENKUlT_T0_E_clISt17integral_constantIbLb1EESY_IbLb0EEEEDaSU_SV_EUlSU_E_NS1_11comp_targetILNS1_3genE10ELNS1_11target_archE1200ELNS1_3gpuE4ELNS1_3repE0EEENS1_30default_config_static_selectorELNS0_4arch9wavefront6targetE0EEEvT1_.uses_flat_scratch, 0
	.set _ZN7rocprim17ROCPRIM_400000_NS6detail17trampoline_kernelINS0_14default_configENS1_27scan_by_key_config_selectorIxxEEZZNS1_16scan_by_key_implILNS1_25lookback_scan_determinismE0ELb1ES3_N6thrust23THRUST_200600_302600_NS6detail15normal_iteratorINS9_10device_ptrIxEEEESE_SE_xNS9_4plusIvEENS9_8equal_toIxEExEE10hipError_tPvRmT2_T3_T4_T5_mT6_T7_P12ihipStream_tbENKUlT_T0_E_clISt17integral_constantIbLb1EESY_IbLb0EEEEDaSU_SV_EUlSU_E_NS1_11comp_targetILNS1_3genE10ELNS1_11target_archE1200ELNS1_3gpuE4ELNS1_3repE0EEENS1_30default_config_static_selectorELNS0_4arch9wavefront6targetE0EEEvT1_.has_dyn_sized_stack, 0
	.set _ZN7rocprim17ROCPRIM_400000_NS6detail17trampoline_kernelINS0_14default_configENS1_27scan_by_key_config_selectorIxxEEZZNS1_16scan_by_key_implILNS1_25lookback_scan_determinismE0ELb1ES3_N6thrust23THRUST_200600_302600_NS6detail15normal_iteratorINS9_10device_ptrIxEEEESE_SE_xNS9_4plusIvEENS9_8equal_toIxEExEE10hipError_tPvRmT2_T3_T4_T5_mT6_T7_P12ihipStream_tbENKUlT_T0_E_clISt17integral_constantIbLb1EESY_IbLb0EEEEDaSU_SV_EUlSU_E_NS1_11comp_targetILNS1_3genE10ELNS1_11target_archE1200ELNS1_3gpuE4ELNS1_3repE0EEENS1_30default_config_static_selectorELNS0_4arch9wavefront6targetE0EEEvT1_.has_recursion, 0
	.set _ZN7rocprim17ROCPRIM_400000_NS6detail17trampoline_kernelINS0_14default_configENS1_27scan_by_key_config_selectorIxxEEZZNS1_16scan_by_key_implILNS1_25lookback_scan_determinismE0ELb1ES3_N6thrust23THRUST_200600_302600_NS6detail15normal_iteratorINS9_10device_ptrIxEEEESE_SE_xNS9_4plusIvEENS9_8equal_toIxEExEE10hipError_tPvRmT2_T3_T4_T5_mT6_T7_P12ihipStream_tbENKUlT_T0_E_clISt17integral_constantIbLb1EESY_IbLb0EEEEDaSU_SV_EUlSU_E_NS1_11comp_targetILNS1_3genE10ELNS1_11target_archE1200ELNS1_3gpuE4ELNS1_3repE0EEENS1_30default_config_static_selectorELNS0_4arch9wavefront6targetE0EEEvT1_.has_indirect_call, 0
	.section	.AMDGPU.csdata,"",@progbits
; Kernel info:
; codeLenInByte = 0
; TotalNumSgprs: 0
; NumVgprs: 0
; ScratchSize: 0
; MemoryBound: 0
; FloatMode: 240
; IeeeMode: 1
; LDSByteSize: 0 bytes/workgroup (compile time only)
; SGPRBlocks: 0
; VGPRBlocks: 0
; NumSGPRsForWavesPerEU: 1
; NumVGPRsForWavesPerEU: 1
; NamedBarCnt: 0
; Occupancy: 16
; WaveLimiterHint : 0
; COMPUTE_PGM_RSRC2:SCRATCH_EN: 0
; COMPUTE_PGM_RSRC2:USER_SGPR: 2
; COMPUTE_PGM_RSRC2:TRAP_HANDLER: 0
; COMPUTE_PGM_RSRC2:TGID_X_EN: 1
; COMPUTE_PGM_RSRC2:TGID_Y_EN: 0
; COMPUTE_PGM_RSRC2:TGID_Z_EN: 0
; COMPUTE_PGM_RSRC2:TIDIG_COMP_CNT: 0
	.section	.text._ZN7rocprim17ROCPRIM_400000_NS6detail17trampoline_kernelINS0_14default_configENS1_27scan_by_key_config_selectorIxxEEZZNS1_16scan_by_key_implILNS1_25lookback_scan_determinismE0ELb1ES3_N6thrust23THRUST_200600_302600_NS6detail15normal_iteratorINS9_10device_ptrIxEEEESE_SE_xNS9_4plusIvEENS9_8equal_toIxEExEE10hipError_tPvRmT2_T3_T4_T5_mT6_T7_P12ihipStream_tbENKUlT_T0_E_clISt17integral_constantIbLb1EESY_IbLb0EEEEDaSU_SV_EUlSU_E_NS1_11comp_targetILNS1_3genE9ELNS1_11target_archE1100ELNS1_3gpuE3ELNS1_3repE0EEENS1_30default_config_static_selectorELNS0_4arch9wavefront6targetE0EEEvT1_,"axG",@progbits,_ZN7rocprim17ROCPRIM_400000_NS6detail17trampoline_kernelINS0_14default_configENS1_27scan_by_key_config_selectorIxxEEZZNS1_16scan_by_key_implILNS1_25lookback_scan_determinismE0ELb1ES3_N6thrust23THRUST_200600_302600_NS6detail15normal_iteratorINS9_10device_ptrIxEEEESE_SE_xNS9_4plusIvEENS9_8equal_toIxEExEE10hipError_tPvRmT2_T3_T4_T5_mT6_T7_P12ihipStream_tbENKUlT_T0_E_clISt17integral_constantIbLb1EESY_IbLb0EEEEDaSU_SV_EUlSU_E_NS1_11comp_targetILNS1_3genE9ELNS1_11target_archE1100ELNS1_3gpuE3ELNS1_3repE0EEENS1_30default_config_static_selectorELNS0_4arch9wavefront6targetE0EEEvT1_,comdat
	.protected	_ZN7rocprim17ROCPRIM_400000_NS6detail17trampoline_kernelINS0_14default_configENS1_27scan_by_key_config_selectorIxxEEZZNS1_16scan_by_key_implILNS1_25lookback_scan_determinismE0ELb1ES3_N6thrust23THRUST_200600_302600_NS6detail15normal_iteratorINS9_10device_ptrIxEEEESE_SE_xNS9_4plusIvEENS9_8equal_toIxEExEE10hipError_tPvRmT2_T3_T4_T5_mT6_T7_P12ihipStream_tbENKUlT_T0_E_clISt17integral_constantIbLb1EESY_IbLb0EEEEDaSU_SV_EUlSU_E_NS1_11comp_targetILNS1_3genE9ELNS1_11target_archE1100ELNS1_3gpuE3ELNS1_3repE0EEENS1_30default_config_static_selectorELNS0_4arch9wavefront6targetE0EEEvT1_ ; -- Begin function _ZN7rocprim17ROCPRIM_400000_NS6detail17trampoline_kernelINS0_14default_configENS1_27scan_by_key_config_selectorIxxEEZZNS1_16scan_by_key_implILNS1_25lookback_scan_determinismE0ELb1ES3_N6thrust23THRUST_200600_302600_NS6detail15normal_iteratorINS9_10device_ptrIxEEEESE_SE_xNS9_4plusIvEENS9_8equal_toIxEExEE10hipError_tPvRmT2_T3_T4_T5_mT6_T7_P12ihipStream_tbENKUlT_T0_E_clISt17integral_constantIbLb1EESY_IbLb0EEEEDaSU_SV_EUlSU_E_NS1_11comp_targetILNS1_3genE9ELNS1_11target_archE1100ELNS1_3gpuE3ELNS1_3repE0EEENS1_30default_config_static_selectorELNS0_4arch9wavefront6targetE0EEEvT1_
	.globl	_ZN7rocprim17ROCPRIM_400000_NS6detail17trampoline_kernelINS0_14default_configENS1_27scan_by_key_config_selectorIxxEEZZNS1_16scan_by_key_implILNS1_25lookback_scan_determinismE0ELb1ES3_N6thrust23THRUST_200600_302600_NS6detail15normal_iteratorINS9_10device_ptrIxEEEESE_SE_xNS9_4plusIvEENS9_8equal_toIxEExEE10hipError_tPvRmT2_T3_T4_T5_mT6_T7_P12ihipStream_tbENKUlT_T0_E_clISt17integral_constantIbLb1EESY_IbLb0EEEEDaSU_SV_EUlSU_E_NS1_11comp_targetILNS1_3genE9ELNS1_11target_archE1100ELNS1_3gpuE3ELNS1_3repE0EEENS1_30default_config_static_selectorELNS0_4arch9wavefront6targetE0EEEvT1_
	.p2align	8
	.type	_ZN7rocprim17ROCPRIM_400000_NS6detail17trampoline_kernelINS0_14default_configENS1_27scan_by_key_config_selectorIxxEEZZNS1_16scan_by_key_implILNS1_25lookback_scan_determinismE0ELb1ES3_N6thrust23THRUST_200600_302600_NS6detail15normal_iteratorINS9_10device_ptrIxEEEESE_SE_xNS9_4plusIvEENS9_8equal_toIxEExEE10hipError_tPvRmT2_T3_T4_T5_mT6_T7_P12ihipStream_tbENKUlT_T0_E_clISt17integral_constantIbLb1EESY_IbLb0EEEEDaSU_SV_EUlSU_E_NS1_11comp_targetILNS1_3genE9ELNS1_11target_archE1100ELNS1_3gpuE3ELNS1_3repE0EEENS1_30default_config_static_selectorELNS0_4arch9wavefront6targetE0EEEvT1_,@function
_ZN7rocprim17ROCPRIM_400000_NS6detail17trampoline_kernelINS0_14default_configENS1_27scan_by_key_config_selectorIxxEEZZNS1_16scan_by_key_implILNS1_25lookback_scan_determinismE0ELb1ES3_N6thrust23THRUST_200600_302600_NS6detail15normal_iteratorINS9_10device_ptrIxEEEESE_SE_xNS9_4plusIvEENS9_8equal_toIxEExEE10hipError_tPvRmT2_T3_T4_T5_mT6_T7_P12ihipStream_tbENKUlT_T0_E_clISt17integral_constantIbLb1EESY_IbLb0EEEEDaSU_SV_EUlSU_E_NS1_11comp_targetILNS1_3genE9ELNS1_11target_archE1100ELNS1_3gpuE3ELNS1_3repE0EEENS1_30default_config_static_selectorELNS0_4arch9wavefront6targetE0EEEvT1_: ; @_ZN7rocprim17ROCPRIM_400000_NS6detail17trampoline_kernelINS0_14default_configENS1_27scan_by_key_config_selectorIxxEEZZNS1_16scan_by_key_implILNS1_25lookback_scan_determinismE0ELb1ES3_N6thrust23THRUST_200600_302600_NS6detail15normal_iteratorINS9_10device_ptrIxEEEESE_SE_xNS9_4plusIvEENS9_8equal_toIxEExEE10hipError_tPvRmT2_T3_T4_T5_mT6_T7_P12ihipStream_tbENKUlT_T0_E_clISt17integral_constantIbLb1EESY_IbLb0EEEEDaSU_SV_EUlSU_E_NS1_11comp_targetILNS1_3genE9ELNS1_11target_archE1100ELNS1_3gpuE3ELNS1_3repE0EEENS1_30default_config_static_selectorELNS0_4arch9wavefront6targetE0EEEvT1_
; %bb.0:
	.section	.rodata,"a",@progbits
	.p2align	6, 0x0
	.amdhsa_kernel _ZN7rocprim17ROCPRIM_400000_NS6detail17trampoline_kernelINS0_14default_configENS1_27scan_by_key_config_selectorIxxEEZZNS1_16scan_by_key_implILNS1_25lookback_scan_determinismE0ELb1ES3_N6thrust23THRUST_200600_302600_NS6detail15normal_iteratorINS9_10device_ptrIxEEEESE_SE_xNS9_4plusIvEENS9_8equal_toIxEExEE10hipError_tPvRmT2_T3_T4_T5_mT6_T7_P12ihipStream_tbENKUlT_T0_E_clISt17integral_constantIbLb1EESY_IbLb0EEEEDaSU_SV_EUlSU_E_NS1_11comp_targetILNS1_3genE9ELNS1_11target_archE1100ELNS1_3gpuE3ELNS1_3repE0EEENS1_30default_config_static_selectorELNS0_4arch9wavefront6targetE0EEEvT1_
		.amdhsa_group_segment_fixed_size 0
		.amdhsa_private_segment_fixed_size 0
		.amdhsa_kernarg_size 136
		.amdhsa_user_sgpr_count 2
		.amdhsa_user_sgpr_dispatch_ptr 0
		.amdhsa_user_sgpr_queue_ptr 0
		.amdhsa_user_sgpr_kernarg_segment_ptr 1
		.amdhsa_user_sgpr_dispatch_id 0
		.amdhsa_user_sgpr_kernarg_preload_length 0
		.amdhsa_user_sgpr_kernarg_preload_offset 0
		.amdhsa_user_sgpr_private_segment_size 0
		.amdhsa_wavefront_size32 1
		.amdhsa_uses_dynamic_stack 0
		.amdhsa_enable_private_segment 0
		.amdhsa_system_sgpr_workgroup_id_x 1
		.amdhsa_system_sgpr_workgroup_id_y 0
		.amdhsa_system_sgpr_workgroup_id_z 0
		.amdhsa_system_sgpr_workgroup_info 0
		.amdhsa_system_vgpr_workitem_id 0
		.amdhsa_next_free_vgpr 1
		.amdhsa_next_free_sgpr 1
		.amdhsa_named_barrier_count 0
		.amdhsa_reserve_vcc 0
		.amdhsa_float_round_mode_32 0
		.amdhsa_float_round_mode_16_64 0
		.amdhsa_float_denorm_mode_32 3
		.amdhsa_float_denorm_mode_16_64 3
		.amdhsa_fp16_overflow 0
		.amdhsa_memory_ordered 1
		.amdhsa_forward_progress 1
		.amdhsa_inst_pref_size 0
		.amdhsa_round_robin_scheduling 0
		.amdhsa_exception_fp_ieee_invalid_op 0
		.amdhsa_exception_fp_denorm_src 0
		.amdhsa_exception_fp_ieee_div_zero 0
		.amdhsa_exception_fp_ieee_overflow 0
		.amdhsa_exception_fp_ieee_underflow 0
		.amdhsa_exception_fp_ieee_inexact 0
		.amdhsa_exception_int_div_zero 0
	.end_amdhsa_kernel
	.section	.text._ZN7rocprim17ROCPRIM_400000_NS6detail17trampoline_kernelINS0_14default_configENS1_27scan_by_key_config_selectorIxxEEZZNS1_16scan_by_key_implILNS1_25lookback_scan_determinismE0ELb1ES3_N6thrust23THRUST_200600_302600_NS6detail15normal_iteratorINS9_10device_ptrIxEEEESE_SE_xNS9_4plusIvEENS9_8equal_toIxEExEE10hipError_tPvRmT2_T3_T4_T5_mT6_T7_P12ihipStream_tbENKUlT_T0_E_clISt17integral_constantIbLb1EESY_IbLb0EEEEDaSU_SV_EUlSU_E_NS1_11comp_targetILNS1_3genE9ELNS1_11target_archE1100ELNS1_3gpuE3ELNS1_3repE0EEENS1_30default_config_static_selectorELNS0_4arch9wavefront6targetE0EEEvT1_,"axG",@progbits,_ZN7rocprim17ROCPRIM_400000_NS6detail17trampoline_kernelINS0_14default_configENS1_27scan_by_key_config_selectorIxxEEZZNS1_16scan_by_key_implILNS1_25lookback_scan_determinismE0ELb1ES3_N6thrust23THRUST_200600_302600_NS6detail15normal_iteratorINS9_10device_ptrIxEEEESE_SE_xNS9_4plusIvEENS9_8equal_toIxEExEE10hipError_tPvRmT2_T3_T4_T5_mT6_T7_P12ihipStream_tbENKUlT_T0_E_clISt17integral_constantIbLb1EESY_IbLb0EEEEDaSU_SV_EUlSU_E_NS1_11comp_targetILNS1_3genE9ELNS1_11target_archE1100ELNS1_3gpuE3ELNS1_3repE0EEENS1_30default_config_static_selectorELNS0_4arch9wavefront6targetE0EEEvT1_,comdat
.Lfunc_end450:
	.size	_ZN7rocprim17ROCPRIM_400000_NS6detail17trampoline_kernelINS0_14default_configENS1_27scan_by_key_config_selectorIxxEEZZNS1_16scan_by_key_implILNS1_25lookback_scan_determinismE0ELb1ES3_N6thrust23THRUST_200600_302600_NS6detail15normal_iteratorINS9_10device_ptrIxEEEESE_SE_xNS9_4plusIvEENS9_8equal_toIxEExEE10hipError_tPvRmT2_T3_T4_T5_mT6_T7_P12ihipStream_tbENKUlT_T0_E_clISt17integral_constantIbLb1EESY_IbLb0EEEEDaSU_SV_EUlSU_E_NS1_11comp_targetILNS1_3genE9ELNS1_11target_archE1100ELNS1_3gpuE3ELNS1_3repE0EEENS1_30default_config_static_selectorELNS0_4arch9wavefront6targetE0EEEvT1_, .Lfunc_end450-_ZN7rocprim17ROCPRIM_400000_NS6detail17trampoline_kernelINS0_14default_configENS1_27scan_by_key_config_selectorIxxEEZZNS1_16scan_by_key_implILNS1_25lookback_scan_determinismE0ELb1ES3_N6thrust23THRUST_200600_302600_NS6detail15normal_iteratorINS9_10device_ptrIxEEEESE_SE_xNS9_4plusIvEENS9_8equal_toIxEExEE10hipError_tPvRmT2_T3_T4_T5_mT6_T7_P12ihipStream_tbENKUlT_T0_E_clISt17integral_constantIbLb1EESY_IbLb0EEEEDaSU_SV_EUlSU_E_NS1_11comp_targetILNS1_3genE9ELNS1_11target_archE1100ELNS1_3gpuE3ELNS1_3repE0EEENS1_30default_config_static_selectorELNS0_4arch9wavefront6targetE0EEEvT1_
                                        ; -- End function
	.set _ZN7rocprim17ROCPRIM_400000_NS6detail17trampoline_kernelINS0_14default_configENS1_27scan_by_key_config_selectorIxxEEZZNS1_16scan_by_key_implILNS1_25lookback_scan_determinismE0ELb1ES3_N6thrust23THRUST_200600_302600_NS6detail15normal_iteratorINS9_10device_ptrIxEEEESE_SE_xNS9_4plusIvEENS9_8equal_toIxEExEE10hipError_tPvRmT2_T3_T4_T5_mT6_T7_P12ihipStream_tbENKUlT_T0_E_clISt17integral_constantIbLb1EESY_IbLb0EEEEDaSU_SV_EUlSU_E_NS1_11comp_targetILNS1_3genE9ELNS1_11target_archE1100ELNS1_3gpuE3ELNS1_3repE0EEENS1_30default_config_static_selectorELNS0_4arch9wavefront6targetE0EEEvT1_.num_vgpr, 0
	.set _ZN7rocprim17ROCPRIM_400000_NS6detail17trampoline_kernelINS0_14default_configENS1_27scan_by_key_config_selectorIxxEEZZNS1_16scan_by_key_implILNS1_25lookback_scan_determinismE0ELb1ES3_N6thrust23THRUST_200600_302600_NS6detail15normal_iteratorINS9_10device_ptrIxEEEESE_SE_xNS9_4plusIvEENS9_8equal_toIxEExEE10hipError_tPvRmT2_T3_T4_T5_mT6_T7_P12ihipStream_tbENKUlT_T0_E_clISt17integral_constantIbLb1EESY_IbLb0EEEEDaSU_SV_EUlSU_E_NS1_11comp_targetILNS1_3genE9ELNS1_11target_archE1100ELNS1_3gpuE3ELNS1_3repE0EEENS1_30default_config_static_selectorELNS0_4arch9wavefront6targetE0EEEvT1_.num_agpr, 0
	.set _ZN7rocprim17ROCPRIM_400000_NS6detail17trampoline_kernelINS0_14default_configENS1_27scan_by_key_config_selectorIxxEEZZNS1_16scan_by_key_implILNS1_25lookback_scan_determinismE0ELb1ES3_N6thrust23THRUST_200600_302600_NS6detail15normal_iteratorINS9_10device_ptrIxEEEESE_SE_xNS9_4plusIvEENS9_8equal_toIxEExEE10hipError_tPvRmT2_T3_T4_T5_mT6_T7_P12ihipStream_tbENKUlT_T0_E_clISt17integral_constantIbLb1EESY_IbLb0EEEEDaSU_SV_EUlSU_E_NS1_11comp_targetILNS1_3genE9ELNS1_11target_archE1100ELNS1_3gpuE3ELNS1_3repE0EEENS1_30default_config_static_selectorELNS0_4arch9wavefront6targetE0EEEvT1_.numbered_sgpr, 0
	.set _ZN7rocprim17ROCPRIM_400000_NS6detail17trampoline_kernelINS0_14default_configENS1_27scan_by_key_config_selectorIxxEEZZNS1_16scan_by_key_implILNS1_25lookback_scan_determinismE0ELb1ES3_N6thrust23THRUST_200600_302600_NS6detail15normal_iteratorINS9_10device_ptrIxEEEESE_SE_xNS9_4plusIvEENS9_8equal_toIxEExEE10hipError_tPvRmT2_T3_T4_T5_mT6_T7_P12ihipStream_tbENKUlT_T0_E_clISt17integral_constantIbLb1EESY_IbLb0EEEEDaSU_SV_EUlSU_E_NS1_11comp_targetILNS1_3genE9ELNS1_11target_archE1100ELNS1_3gpuE3ELNS1_3repE0EEENS1_30default_config_static_selectorELNS0_4arch9wavefront6targetE0EEEvT1_.num_named_barrier, 0
	.set _ZN7rocprim17ROCPRIM_400000_NS6detail17trampoline_kernelINS0_14default_configENS1_27scan_by_key_config_selectorIxxEEZZNS1_16scan_by_key_implILNS1_25lookback_scan_determinismE0ELb1ES3_N6thrust23THRUST_200600_302600_NS6detail15normal_iteratorINS9_10device_ptrIxEEEESE_SE_xNS9_4plusIvEENS9_8equal_toIxEExEE10hipError_tPvRmT2_T3_T4_T5_mT6_T7_P12ihipStream_tbENKUlT_T0_E_clISt17integral_constantIbLb1EESY_IbLb0EEEEDaSU_SV_EUlSU_E_NS1_11comp_targetILNS1_3genE9ELNS1_11target_archE1100ELNS1_3gpuE3ELNS1_3repE0EEENS1_30default_config_static_selectorELNS0_4arch9wavefront6targetE0EEEvT1_.private_seg_size, 0
	.set _ZN7rocprim17ROCPRIM_400000_NS6detail17trampoline_kernelINS0_14default_configENS1_27scan_by_key_config_selectorIxxEEZZNS1_16scan_by_key_implILNS1_25lookback_scan_determinismE0ELb1ES3_N6thrust23THRUST_200600_302600_NS6detail15normal_iteratorINS9_10device_ptrIxEEEESE_SE_xNS9_4plusIvEENS9_8equal_toIxEExEE10hipError_tPvRmT2_T3_T4_T5_mT6_T7_P12ihipStream_tbENKUlT_T0_E_clISt17integral_constantIbLb1EESY_IbLb0EEEEDaSU_SV_EUlSU_E_NS1_11comp_targetILNS1_3genE9ELNS1_11target_archE1100ELNS1_3gpuE3ELNS1_3repE0EEENS1_30default_config_static_selectorELNS0_4arch9wavefront6targetE0EEEvT1_.uses_vcc, 0
	.set _ZN7rocprim17ROCPRIM_400000_NS6detail17trampoline_kernelINS0_14default_configENS1_27scan_by_key_config_selectorIxxEEZZNS1_16scan_by_key_implILNS1_25lookback_scan_determinismE0ELb1ES3_N6thrust23THRUST_200600_302600_NS6detail15normal_iteratorINS9_10device_ptrIxEEEESE_SE_xNS9_4plusIvEENS9_8equal_toIxEExEE10hipError_tPvRmT2_T3_T4_T5_mT6_T7_P12ihipStream_tbENKUlT_T0_E_clISt17integral_constantIbLb1EESY_IbLb0EEEEDaSU_SV_EUlSU_E_NS1_11comp_targetILNS1_3genE9ELNS1_11target_archE1100ELNS1_3gpuE3ELNS1_3repE0EEENS1_30default_config_static_selectorELNS0_4arch9wavefront6targetE0EEEvT1_.uses_flat_scratch, 0
	.set _ZN7rocprim17ROCPRIM_400000_NS6detail17trampoline_kernelINS0_14default_configENS1_27scan_by_key_config_selectorIxxEEZZNS1_16scan_by_key_implILNS1_25lookback_scan_determinismE0ELb1ES3_N6thrust23THRUST_200600_302600_NS6detail15normal_iteratorINS9_10device_ptrIxEEEESE_SE_xNS9_4plusIvEENS9_8equal_toIxEExEE10hipError_tPvRmT2_T3_T4_T5_mT6_T7_P12ihipStream_tbENKUlT_T0_E_clISt17integral_constantIbLb1EESY_IbLb0EEEEDaSU_SV_EUlSU_E_NS1_11comp_targetILNS1_3genE9ELNS1_11target_archE1100ELNS1_3gpuE3ELNS1_3repE0EEENS1_30default_config_static_selectorELNS0_4arch9wavefront6targetE0EEEvT1_.has_dyn_sized_stack, 0
	.set _ZN7rocprim17ROCPRIM_400000_NS6detail17trampoline_kernelINS0_14default_configENS1_27scan_by_key_config_selectorIxxEEZZNS1_16scan_by_key_implILNS1_25lookback_scan_determinismE0ELb1ES3_N6thrust23THRUST_200600_302600_NS6detail15normal_iteratorINS9_10device_ptrIxEEEESE_SE_xNS9_4plusIvEENS9_8equal_toIxEExEE10hipError_tPvRmT2_T3_T4_T5_mT6_T7_P12ihipStream_tbENKUlT_T0_E_clISt17integral_constantIbLb1EESY_IbLb0EEEEDaSU_SV_EUlSU_E_NS1_11comp_targetILNS1_3genE9ELNS1_11target_archE1100ELNS1_3gpuE3ELNS1_3repE0EEENS1_30default_config_static_selectorELNS0_4arch9wavefront6targetE0EEEvT1_.has_recursion, 0
	.set _ZN7rocprim17ROCPRIM_400000_NS6detail17trampoline_kernelINS0_14default_configENS1_27scan_by_key_config_selectorIxxEEZZNS1_16scan_by_key_implILNS1_25lookback_scan_determinismE0ELb1ES3_N6thrust23THRUST_200600_302600_NS6detail15normal_iteratorINS9_10device_ptrIxEEEESE_SE_xNS9_4plusIvEENS9_8equal_toIxEExEE10hipError_tPvRmT2_T3_T4_T5_mT6_T7_P12ihipStream_tbENKUlT_T0_E_clISt17integral_constantIbLb1EESY_IbLb0EEEEDaSU_SV_EUlSU_E_NS1_11comp_targetILNS1_3genE9ELNS1_11target_archE1100ELNS1_3gpuE3ELNS1_3repE0EEENS1_30default_config_static_selectorELNS0_4arch9wavefront6targetE0EEEvT1_.has_indirect_call, 0
	.section	.AMDGPU.csdata,"",@progbits
; Kernel info:
; codeLenInByte = 0
; TotalNumSgprs: 0
; NumVgprs: 0
; ScratchSize: 0
; MemoryBound: 0
; FloatMode: 240
; IeeeMode: 1
; LDSByteSize: 0 bytes/workgroup (compile time only)
; SGPRBlocks: 0
; VGPRBlocks: 0
; NumSGPRsForWavesPerEU: 1
; NumVGPRsForWavesPerEU: 1
; NamedBarCnt: 0
; Occupancy: 16
; WaveLimiterHint : 0
; COMPUTE_PGM_RSRC2:SCRATCH_EN: 0
; COMPUTE_PGM_RSRC2:USER_SGPR: 2
; COMPUTE_PGM_RSRC2:TRAP_HANDLER: 0
; COMPUTE_PGM_RSRC2:TGID_X_EN: 1
; COMPUTE_PGM_RSRC2:TGID_Y_EN: 0
; COMPUTE_PGM_RSRC2:TGID_Z_EN: 0
; COMPUTE_PGM_RSRC2:TIDIG_COMP_CNT: 0
	.section	.text._ZN7rocprim17ROCPRIM_400000_NS6detail17trampoline_kernelINS0_14default_configENS1_27scan_by_key_config_selectorIxxEEZZNS1_16scan_by_key_implILNS1_25lookback_scan_determinismE0ELb1ES3_N6thrust23THRUST_200600_302600_NS6detail15normal_iteratorINS9_10device_ptrIxEEEESE_SE_xNS9_4plusIvEENS9_8equal_toIxEExEE10hipError_tPvRmT2_T3_T4_T5_mT6_T7_P12ihipStream_tbENKUlT_T0_E_clISt17integral_constantIbLb1EESY_IbLb0EEEEDaSU_SV_EUlSU_E_NS1_11comp_targetILNS1_3genE8ELNS1_11target_archE1030ELNS1_3gpuE2ELNS1_3repE0EEENS1_30default_config_static_selectorELNS0_4arch9wavefront6targetE0EEEvT1_,"axG",@progbits,_ZN7rocprim17ROCPRIM_400000_NS6detail17trampoline_kernelINS0_14default_configENS1_27scan_by_key_config_selectorIxxEEZZNS1_16scan_by_key_implILNS1_25lookback_scan_determinismE0ELb1ES3_N6thrust23THRUST_200600_302600_NS6detail15normal_iteratorINS9_10device_ptrIxEEEESE_SE_xNS9_4plusIvEENS9_8equal_toIxEExEE10hipError_tPvRmT2_T3_T4_T5_mT6_T7_P12ihipStream_tbENKUlT_T0_E_clISt17integral_constantIbLb1EESY_IbLb0EEEEDaSU_SV_EUlSU_E_NS1_11comp_targetILNS1_3genE8ELNS1_11target_archE1030ELNS1_3gpuE2ELNS1_3repE0EEENS1_30default_config_static_selectorELNS0_4arch9wavefront6targetE0EEEvT1_,comdat
	.protected	_ZN7rocprim17ROCPRIM_400000_NS6detail17trampoline_kernelINS0_14default_configENS1_27scan_by_key_config_selectorIxxEEZZNS1_16scan_by_key_implILNS1_25lookback_scan_determinismE0ELb1ES3_N6thrust23THRUST_200600_302600_NS6detail15normal_iteratorINS9_10device_ptrIxEEEESE_SE_xNS9_4plusIvEENS9_8equal_toIxEExEE10hipError_tPvRmT2_T3_T4_T5_mT6_T7_P12ihipStream_tbENKUlT_T0_E_clISt17integral_constantIbLb1EESY_IbLb0EEEEDaSU_SV_EUlSU_E_NS1_11comp_targetILNS1_3genE8ELNS1_11target_archE1030ELNS1_3gpuE2ELNS1_3repE0EEENS1_30default_config_static_selectorELNS0_4arch9wavefront6targetE0EEEvT1_ ; -- Begin function _ZN7rocprim17ROCPRIM_400000_NS6detail17trampoline_kernelINS0_14default_configENS1_27scan_by_key_config_selectorIxxEEZZNS1_16scan_by_key_implILNS1_25lookback_scan_determinismE0ELb1ES3_N6thrust23THRUST_200600_302600_NS6detail15normal_iteratorINS9_10device_ptrIxEEEESE_SE_xNS9_4plusIvEENS9_8equal_toIxEExEE10hipError_tPvRmT2_T3_T4_T5_mT6_T7_P12ihipStream_tbENKUlT_T0_E_clISt17integral_constantIbLb1EESY_IbLb0EEEEDaSU_SV_EUlSU_E_NS1_11comp_targetILNS1_3genE8ELNS1_11target_archE1030ELNS1_3gpuE2ELNS1_3repE0EEENS1_30default_config_static_selectorELNS0_4arch9wavefront6targetE0EEEvT1_
	.globl	_ZN7rocprim17ROCPRIM_400000_NS6detail17trampoline_kernelINS0_14default_configENS1_27scan_by_key_config_selectorIxxEEZZNS1_16scan_by_key_implILNS1_25lookback_scan_determinismE0ELb1ES3_N6thrust23THRUST_200600_302600_NS6detail15normal_iteratorINS9_10device_ptrIxEEEESE_SE_xNS9_4plusIvEENS9_8equal_toIxEExEE10hipError_tPvRmT2_T3_T4_T5_mT6_T7_P12ihipStream_tbENKUlT_T0_E_clISt17integral_constantIbLb1EESY_IbLb0EEEEDaSU_SV_EUlSU_E_NS1_11comp_targetILNS1_3genE8ELNS1_11target_archE1030ELNS1_3gpuE2ELNS1_3repE0EEENS1_30default_config_static_selectorELNS0_4arch9wavefront6targetE0EEEvT1_
	.p2align	8
	.type	_ZN7rocprim17ROCPRIM_400000_NS6detail17trampoline_kernelINS0_14default_configENS1_27scan_by_key_config_selectorIxxEEZZNS1_16scan_by_key_implILNS1_25lookback_scan_determinismE0ELb1ES3_N6thrust23THRUST_200600_302600_NS6detail15normal_iteratorINS9_10device_ptrIxEEEESE_SE_xNS9_4plusIvEENS9_8equal_toIxEExEE10hipError_tPvRmT2_T3_T4_T5_mT6_T7_P12ihipStream_tbENKUlT_T0_E_clISt17integral_constantIbLb1EESY_IbLb0EEEEDaSU_SV_EUlSU_E_NS1_11comp_targetILNS1_3genE8ELNS1_11target_archE1030ELNS1_3gpuE2ELNS1_3repE0EEENS1_30default_config_static_selectorELNS0_4arch9wavefront6targetE0EEEvT1_,@function
_ZN7rocprim17ROCPRIM_400000_NS6detail17trampoline_kernelINS0_14default_configENS1_27scan_by_key_config_selectorIxxEEZZNS1_16scan_by_key_implILNS1_25lookback_scan_determinismE0ELb1ES3_N6thrust23THRUST_200600_302600_NS6detail15normal_iteratorINS9_10device_ptrIxEEEESE_SE_xNS9_4plusIvEENS9_8equal_toIxEExEE10hipError_tPvRmT2_T3_T4_T5_mT6_T7_P12ihipStream_tbENKUlT_T0_E_clISt17integral_constantIbLb1EESY_IbLb0EEEEDaSU_SV_EUlSU_E_NS1_11comp_targetILNS1_3genE8ELNS1_11target_archE1030ELNS1_3gpuE2ELNS1_3repE0EEENS1_30default_config_static_selectorELNS0_4arch9wavefront6targetE0EEEvT1_: ; @_ZN7rocprim17ROCPRIM_400000_NS6detail17trampoline_kernelINS0_14default_configENS1_27scan_by_key_config_selectorIxxEEZZNS1_16scan_by_key_implILNS1_25lookback_scan_determinismE0ELb1ES3_N6thrust23THRUST_200600_302600_NS6detail15normal_iteratorINS9_10device_ptrIxEEEESE_SE_xNS9_4plusIvEENS9_8equal_toIxEExEE10hipError_tPvRmT2_T3_T4_T5_mT6_T7_P12ihipStream_tbENKUlT_T0_E_clISt17integral_constantIbLb1EESY_IbLb0EEEEDaSU_SV_EUlSU_E_NS1_11comp_targetILNS1_3genE8ELNS1_11target_archE1030ELNS1_3gpuE2ELNS1_3repE0EEENS1_30default_config_static_selectorELNS0_4arch9wavefront6targetE0EEEvT1_
; %bb.0:
	.section	.rodata,"a",@progbits
	.p2align	6, 0x0
	.amdhsa_kernel _ZN7rocprim17ROCPRIM_400000_NS6detail17trampoline_kernelINS0_14default_configENS1_27scan_by_key_config_selectorIxxEEZZNS1_16scan_by_key_implILNS1_25lookback_scan_determinismE0ELb1ES3_N6thrust23THRUST_200600_302600_NS6detail15normal_iteratorINS9_10device_ptrIxEEEESE_SE_xNS9_4plusIvEENS9_8equal_toIxEExEE10hipError_tPvRmT2_T3_T4_T5_mT6_T7_P12ihipStream_tbENKUlT_T0_E_clISt17integral_constantIbLb1EESY_IbLb0EEEEDaSU_SV_EUlSU_E_NS1_11comp_targetILNS1_3genE8ELNS1_11target_archE1030ELNS1_3gpuE2ELNS1_3repE0EEENS1_30default_config_static_selectorELNS0_4arch9wavefront6targetE0EEEvT1_
		.amdhsa_group_segment_fixed_size 0
		.amdhsa_private_segment_fixed_size 0
		.amdhsa_kernarg_size 136
		.amdhsa_user_sgpr_count 2
		.amdhsa_user_sgpr_dispatch_ptr 0
		.amdhsa_user_sgpr_queue_ptr 0
		.amdhsa_user_sgpr_kernarg_segment_ptr 1
		.amdhsa_user_sgpr_dispatch_id 0
		.amdhsa_user_sgpr_kernarg_preload_length 0
		.amdhsa_user_sgpr_kernarg_preload_offset 0
		.amdhsa_user_sgpr_private_segment_size 0
		.amdhsa_wavefront_size32 1
		.amdhsa_uses_dynamic_stack 0
		.amdhsa_enable_private_segment 0
		.amdhsa_system_sgpr_workgroup_id_x 1
		.amdhsa_system_sgpr_workgroup_id_y 0
		.amdhsa_system_sgpr_workgroup_id_z 0
		.amdhsa_system_sgpr_workgroup_info 0
		.amdhsa_system_vgpr_workitem_id 0
		.amdhsa_next_free_vgpr 1
		.amdhsa_next_free_sgpr 1
		.amdhsa_named_barrier_count 0
		.amdhsa_reserve_vcc 0
		.amdhsa_float_round_mode_32 0
		.amdhsa_float_round_mode_16_64 0
		.amdhsa_float_denorm_mode_32 3
		.amdhsa_float_denorm_mode_16_64 3
		.amdhsa_fp16_overflow 0
		.amdhsa_memory_ordered 1
		.amdhsa_forward_progress 1
		.amdhsa_inst_pref_size 0
		.amdhsa_round_robin_scheduling 0
		.amdhsa_exception_fp_ieee_invalid_op 0
		.amdhsa_exception_fp_denorm_src 0
		.amdhsa_exception_fp_ieee_div_zero 0
		.amdhsa_exception_fp_ieee_overflow 0
		.amdhsa_exception_fp_ieee_underflow 0
		.amdhsa_exception_fp_ieee_inexact 0
		.amdhsa_exception_int_div_zero 0
	.end_amdhsa_kernel
	.section	.text._ZN7rocprim17ROCPRIM_400000_NS6detail17trampoline_kernelINS0_14default_configENS1_27scan_by_key_config_selectorIxxEEZZNS1_16scan_by_key_implILNS1_25lookback_scan_determinismE0ELb1ES3_N6thrust23THRUST_200600_302600_NS6detail15normal_iteratorINS9_10device_ptrIxEEEESE_SE_xNS9_4plusIvEENS9_8equal_toIxEExEE10hipError_tPvRmT2_T3_T4_T5_mT6_T7_P12ihipStream_tbENKUlT_T0_E_clISt17integral_constantIbLb1EESY_IbLb0EEEEDaSU_SV_EUlSU_E_NS1_11comp_targetILNS1_3genE8ELNS1_11target_archE1030ELNS1_3gpuE2ELNS1_3repE0EEENS1_30default_config_static_selectorELNS0_4arch9wavefront6targetE0EEEvT1_,"axG",@progbits,_ZN7rocprim17ROCPRIM_400000_NS6detail17trampoline_kernelINS0_14default_configENS1_27scan_by_key_config_selectorIxxEEZZNS1_16scan_by_key_implILNS1_25lookback_scan_determinismE0ELb1ES3_N6thrust23THRUST_200600_302600_NS6detail15normal_iteratorINS9_10device_ptrIxEEEESE_SE_xNS9_4plusIvEENS9_8equal_toIxEExEE10hipError_tPvRmT2_T3_T4_T5_mT6_T7_P12ihipStream_tbENKUlT_T0_E_clISt17integral_constantIbLb1EESY_IbLb0EEEEDaSU_SV_EUlSU_E_NS1_11comp_targetILNS1_3genE8ELNS1_11target_archE1030ELNS1_3gpuE2ELNS1_3repE0EEENS1_30default_config_static_selectorELNS0_4arch9wavefront6targetE0EEEvT1_,comdat
.Lfunc_end451:
	.size	_ZN7rocprim17ROCPRIM_400000_NS6detail17trampoline_kernelINS0_14default_configENS1_27scan_by_key_config_selectorIxxEEZZNS1_16scan_by_key_implILNS1_25lookback_scan_determinismE0ELb1ES3_N6thrust23THRUST_200600_302600_NS6detail15normal_iteratorINS9_10device_ptrIxEEEESE_SE_xNS9_4plusIvEENS9_8equal_toIxEExEE10hipError_tPvRmT2_T3_T4_T5_mT6_T7_P12ihipStream_tbENKUlT_T0_E_clISt17integral_constantIbLb1EESY_IbLb0EEEEDaSU_SV_EUlSU_E_NS1_11comp_targetILNS1_3genE8ELNS1_11target_archE1030ELNS1_3gpuE2ELNS1_3repE0EEENS1_30default_config_static_selectorELNS0_4arch9wavefront6targetE0EEEvT1_, .Lfunc_end451-_ZN7rocprim17ROCPRIM_400000_NS6detail17trampoline_kernelINS0_14default_configENS1_27scan_by_key_config_selectorIxxEEZZNS1_16scan_by_key_implILNS1_25lookback_scan_determinismE0ELb1ES3_N6thrust23THRUST_200600_302600_NS6detail15normal_iteratorINS9_10device_ptrIxEEEESE_SE_xNS9_4plusIvEENS9_8equal_toIxEExEE10hipError_tPvRmT2_T3_T4_T5_mT6_T7_P12ihipStream_tbENKUlT_T0_E_clISt17integral_constantIbLb1EESY_IbLb0EEEEDaSU_SV_EUlSU_E_NS1_11comp_targetILNS1_3genE8ELNS1_11target_archE1030ELNS1_3gpuE2ELNS1_3repE0EEENS1_30default_config_static_selectorELNS0_4arch9wavefront6targetE0EEEvT1_
                                        ; -- End function
	.set _ZN7rocprim17ROCPRIM_400000_NS6detail17trampoline_kernelINS0_14default_configENS1_27scan_by_key_config_selectorIxxEEZZNS1_16scan_by_key_implILNS1_25lookback_scan_determinismE0ELb1ES3_N6thrust23THRUST_200600_302600_NS6detail15normal_iteratorINS9_10device_ptrIxEEEESE_SE_xNS9_4plusIvEENS9_8equal_toIxEExEE10hipError_tPvRmT2_T3_T4_T5_mT6_T7_P12ihipStream_tbENKUlT_T0_E_clISt17integral_constantIbLb1EESY_IbLb0EEEEDaSU_SV_EUlSU_E_NS1_11comp_targetILNS1_3genE8ELNS1_11target_archE1030ELNS1_3gpuE2ELNS1_3repE0EEENS1_30default_config_static_selectorELNS0_4arch9wavefront6targetE0EEEvT1_.num_vgpr, 0
	.set _ZN7rocprim17ROCPRIM_400000_NS6detail17trampoline_kernelINS0_14default_configENS1_27scan_by_key_config_selectorIxxEEZZNS1_16scan_by_key_implILNS1_25lookback_scan_determinismE0ELb1ES3_N6thrust23THRUST_200600_302600_NS6detail15normal_iteratorINS9_10device_ptrIxEEEESE_SE_xNS9_4plusIvEENS9_8equal_toIxEExEE10hipError_tPvRmT2_T3_T4_T5_mT6_T7_P12ihipStream_tbENKUlT_T0_E_clISt17integral_constantIbLb1EESY_IbLb0EEEEDaSU_SV_EUlSU_E_NS1_11comp_targetILNS1_3genE8ELNS1_11target_archE1030ELNS1_3gpuE2ELNS1_3repE0EEENS1_30default_config_static_selectorELNS0_4arch9wavefront6targetE0EEEvT1_.num_agpr, 0
	.set _ZN7rocprim17ROCPRIM_400000_NS6detail17trampoline_kernelINS0_14default_configENS1_27scan_by_key_config_selectorIxxEEZZNS1_16scan_by_key_implILNS1_25lookback_scan_determinismE0ELb1ES3_N6thrust23THRUST_200600_302600_NS6detail15normal_iteratorINS9_10device_ptrIxEEEESE_SE_xNS9_4plusIvEENS9_8equal_toIxEExEE10hipError_tPvRmT2_T3_T4_T5_mT6_T7_P12ihipStream_tbENKUlT_T0_E_clISt17integral_constantIbLb1EESY_IbLb0EEEEDaSU_SV_EUlSU_E_NS1_11comp_targetILNS1_3genE8ELNS1_11target_archE1030ELNS1_3gpuE2ELNS1_3repE0EEENS1_30default_config_static_selectorELNS0_4arch9wavefront6targetE0EEEvT1_.numbered_sgpr, 0
	.set _ZN7rocprim17ROCPRIM_400000_NS6detail17trampoline_kernelINS0_14default_configENS1_27scan_by_key_config_selectorIxxEEZZNS1_16scan_by_key_implILNS1_25lookback_scan_determinismE0ELb1ES3_N6thrust23THRUST_200600_302600_NS6detail15normal_iteratorINS9_10device_ptrIxEEEESE_SE_xNS9_4plusIvEENS9_8equal_toIxEExEE10hipError_tPvRmT2_T3_T4_T5_mT6_T7_P12ihipStream_tbENKUlT_T0_E_clISt17integral_constantIbLb1EESY_IbLb0EEEEDaSU_SV_EUlSU_E_NS1_11comp_targetILNS1_3genE8ELNS1_11target_archE1030ELNS1_3gpuE2ELNS1_3repE0EEENS1_30default_config_static_selectorELNS0_4arch9wavefront6targetE0EEEvT1_.num_named_barrier, 0
	.set _ZN7rocprim17ROCPRIM_400000_NS6detail17trampoline_kernelINS0_14default_configENS1_27scan_by_key_config_selectorIxxEEZZNS1_16scan_by_key_implILNS1_25lookback_scan_determinismE0ELb1ES3_N6thrust23THRUST_200600_302600_NS6detail15normal_iteratorINS9_10device_ptrIxEEEESE_SE_xNS9_4plusIvEENS9_8equal_toIxEExEE10hipError_tPvRmT2_T3_T4_T5_mT6_T7_P12ihipStream_tbENKUlT_T0_E_clISt17integral_constantIbLb1EESY_IbLb0EEEEDaSU_SV_EUlSU_E_NS1_11comp_targetILNS1_3genE8ELNS1_11target_archE1030ELNS1_3gpuE2ELNS1_3repE0EEENS1_30default_config_static_selectorELNS0_4arch9wavefront6targetE0EEEvT1_.private_seg_size, 0
	.set _ZN7rocprim17ROCPRIM_400000_NS6detail17trampoline_kernelINS0_14default_configENS1_27scan_by_key_config_selectorIxxEEZZNS1_16scan_by_key_implILNS1_25lookback_scan_determinismE0ELb1ES3_N6thrust23THRUST_200600_302600_NS6detail15normal_iteratorINS9_10device_ptrIxEEEESE_SE_xNS9_4plusIvEENS9_8equal_toIxEExEE10hipError_tPvRmT2_T3_T4_T5_mT6_T7_P12ihipStream_tbENKUlT_T0_E_clISt17integral_constantIbLb1EESY_IbLb0EEEEDaSU_SV_EUlSU_E_NS1_11comp_targetILNS1_3genE8ELNS1_11target_archE1030ELNS1_3gpuE2ELNS1_3repE0EEENS1_30default_config_static_selectorELNS0_4arch9wavefront6targetE0EEEvT1_.uses_vcc, 0
	.set _ZN7rocprim17ROCPRIM_400000_NS6detail17trampoline_kernelINS0_14default_configENS1_27scan_by_key_config_selectorIxxEEZZNS1_16scan_by_key_implILNS1_25lookback_scan_determinismE0ELb1ES3_N6thrust23THRUST_200600_302600_NS6detail15normal_iteratorINS9_10device_ptrIxEEEESE_SE_xNS9_4plusIvEENS9_8equal_toIxEExEE10hipError_tPvRmT2_T3_T4_T5_mT6_T7_P12ihipStream_tbENKUlT_T0_E_clISt17integral_constantIbLb1EESY_IbLb0EEEEDaSU_SV_EUlSU_E_NS1_11comp_targetILNS1_3genE8ELNS1_11target_archE1030ELNS1_3gpuE2ELNS1_3repE0EEENS1_30default_config_static_selectorELNS0_4arch9wavefront6targetE0EEEvT1_.uses_flat_scratch, 0
	.set _ZN7rocprim17ROCPRIM_400000_NS6detail17trampoline_kernelINS0_14default_configENS1_27scan_by_key_config_selectorIxxEEZZNS1_16scan_by_key_implILNS1_25lookback_scan_determinismE0ELb1ES3_N6thrust23THRUST_200600_302600_NS6detail15normal_iteratorINS9_10device_ptrIxEEEESE_SE_xNS9_4plusIvEENS9_8equal_toIxEExEE10hipError_tPvRmT2_T3_T4_T5_mT6_T7_P12ihipStream_tbENKUlT_T0_E_clISt17integral_constantIbLb1EESY_IbLb0EEEEDaSU_SV_EUlSU_E_NS1_11comp_targetILNS1_3genE8ELNS1_11target_archE1030ELNS1_3gpuE2ELNS1_3repE0EEENS1_30default_config_static_selectorELNS0_4arch9wavefront6targetE0EEEvT1_.has_dyn_sized_stack, 0
	.set _ZN7rocprim17ROCPRIM_400000_NS6detail17trampoline_kernelINS0_14default_configENS1_27scan_by_key_config_selectorIxxEEZZNS1_16scan_by_key_implILNS1_25lookback_scan_determinismE0ELb1ES3_N6thrust23THRUST_200600_302600_NS6detail15normal_iteratorINS9_10device_ptrIxEEEESE_SE_xNS9_4plusIvEENS9_8equal_toIxEExEE10hipError_tPvRmT2_T3_T4_T5_mT6_T7_P12ihipStream_tbENKUlT_T0_E_clISt17integral_constantIbLb1EESY_IbLb0EEEEDaSU_SV_EUlSU_E_NS1_11comp_targetILNS1_3genE8ELNS1_11target_archE1030ELNS1_3gpuE2ELNS1_3repE0EEENS1_30default_config_static_selectorELNS0_4arch9wavefront6targetE0EEEvT1_.has_recursion, 0
	.set _ZN7rocprim17ROCPRIM_400000_NS6detail17trampoline_kernelINS0_14default_configENS1_27scan_by_key_config_selectorIxxEEZZNS1_16scan_by_key_implILNS1_25lookback_scan_determinismE0ELb1ES3_N6thrust23THRUST_200600_302600_NS6detail15normal_iteratorINS9_10device_ptrIxEEEESE_SE_xNS9_4plusIvEENS9_8equal_toIxEExEE10hipError_tPvRmT2_T3_T4_T5_mT6_T7_P12ihipStream_tbENKUlT_T0_E_clISt17integral_constantIbLb1EESY_IbLb0EEEEDaSU_SV_EUlSU_E_NS1_11comp_targetILNS1_3genE8ELNS1_11target_archE1030ELNS1_3gpuE2ELNS1_3repE0EEENS1_30default_config_static_selectorELNS0_4arch9wavefront6targetE0EEEvT1_.has_indirect_call, 0
	.section	.AMDGPU.csdata,"",@progbits
; Kernel info:
; codeLenInByte = 0
; TotalNumSgprs: 0
; NumVgprs: 0
; ScratchSize: 0
; MemoryBound: 0
; FloatMode: 240
; IeeeMode: 1
; LDSByteSize: 0 bytes/workgroup (compile time only)
; SGPRBlocks: 0
; VGPRBlocks: 0
; NumSGPRsForWavesPerEU: 1
; NumVGPRsForWavesPerEU: 1
; NamedBarCnt: 0
; Occupancy: 16
; WaveLimiterHint : 0
; COMPUTE_PGM_RSRC2:SCRATCH_EN: 0
; COMPUTE_PGM_RSRC2:USER_SGPR: 2
; COMPUTE_PGM_RSRC2:TRAP_HANDLER: 0
; COMPUTE_PGM_RSRC2:TGID_X_EN: 1
; COMPUTE_PGM_RSRC2:TGID_Y_EN: 0
; COMPUTE_PGM_RSRC2:TGID_Z_EN: 0
; COMPUTE_PGM_RSRC2:TIDIG_COMP_CNT: 0
	.section	.text._ZN7rocprim17ROCPRIM_400000_NS6detail17trampoline_kernelINS0_14default_configENS1_27scan_by_key_config_selectorIxxEEZZNS1_16scan_by_key_implILNS1_25lookback_scan_determinismE0ELb1ES3_N6thrust23THRUST_200600_302600_NS6detail15normal_iteratorINS9_10device_ptrIxEEEESE_SE_xNS9_4plusIvEENS9_8equal_toIxEExEE10hipError_tPvRmT2_T3_T4_T5_mT6_T7_P12ihipStream_tbENKUlT_T0_E_clISt17integral_constantIbLb0EESY_IbLb1EEEEDaSU_SV_EUlSU_E_NS1_11comp_targetILNS1_3genE0ELNS1_11target_archE4294967295ELNS1_3gpuE0ELNS1_3repE0EEENS1_30default_config_static_selectorELNS0_4arch9wavefront6targetE0EEEvT1_,"axG",@progbits,_ZN7rocprim17ROCPRIM_400000_NS6detail17trampoline_kernelINS0_14default_configENS1_27scan_by_key_config_selectorIxxEEZZNS1_16scan_by_key_implILNS1_25lookback_scan_determinismE0ELb1ES3_N6thrust23THRUST_200600_302600_NS6detail15normal_iteratorINS9_10device_ptrIxEEEESE_SE_xNS9_4plusIvEENS9_8equal_toIxEExEE10hipError_tPvRmT2_T3_T4_T5_mT6_T7_P12ihipStream_tbENKUlT_T0_E_clISt17integral_constantIbLb0EESY_IbLb1EEEEDaSU_SV_EUlSU_E_NS1_11comp_targetILNS1_3genE0ELNS1_11target_archE4294967295ELNS1_3gpuE0ELNS1_3repE0EEENS1_30default_config_static_selectorELNS0_4arch9wavefront6targetE0EEEvT1_,comdat
	.protected	_ZN7rocprim17ROCPRIM_400000_NS6detail17trampoline_kernelINS0_14default_configENS1_27scan_by_key_config_selectorIxxEEZZNS1_16scan_by_key_implILNS1_25lookback_scan_determinismE0ELb1ES3_N6thrust23THRUST_200600_302600_NS6detail15normal_iteratorINS9_10device_ptrIxEEEESE_SE_xNS9_4plusIvEENS9_8equal_toIxEExEE10hipError_tPvRmT2_T3_T4_T5_mT6_T7_P12ihipStream_tbENKUlT_T0_E_clISt17integral_constantIbLb0EESY_IbLb1EEEEDaSU_SV_EUlSU_E_NS1_11comp_targetILNS1_3genE0ELNS1_11target_archE4294967295ELNS1_3gpuE0ELNS1_3repE0EEENS1_30default_config_static_selectorELNS0_4arch9wavefront6targetE0EEEvT1_ ; -- Begin function _ZN7rocprim17ROCPRIM_400000_NS6detail17trampoline_kernelINS0_14default_configENS1_27scan_by_key_config_selectorIxxEEZZNS1_16scan_by_key_implILNS1_25lookback_scan_determinismE0ELb1ES3_N6thrust23THRUST_200600_302600_NS6detail15normal_iteratorINS9_10device_ptrIxEEEESE_SE_xNS9_4plusIvEENS9_8equal_toIxEExEE10hipError_tPvRmT2_T3_T4_T5_mT6_T7_P12ihipStream_tbENKUlT_T0_E_clISt17integral_constantIbLb0EESY_IbLb1EEEEDaSU_SV_EUlSU_E_NS1_11comp_targetILNS1_3genE0ELNS1_11target_archE4294967295ELNS1_3gpuE0ELNS1_3repE0EEENS1_30default_config_static_selectorELNS0_4arch9wavefront6targetE0EEEvT1_
	.globl	_ZN7rocprim17ROCPRIM_400000_NS6detail17trampoline_kernelINS0_14default_configENS1_27scan_by_key_config_selectorIxxEEZZNS1_16scan_by_key_implILNS1_25lookback_scan_determinismE0ELb1ES3_N6thrust23THRUST_200600_302600_NS6detail15normal_iteratorINS9_10device_ptrIxEEEESE_SE_xNS9_4plusIvEENS9_8equal_toIxEExEE10hipError_tPvRmT2_T3_T4_T5_mT6_T7_P12ihipStream_tbENKUlT_T0_E_clISt17integral_constantIbLb0EESY_IbLb1EEEEDaSU_SV_EUlSU_E_NS1_11comp_targetILNS1_3genE0ELNS1_11target_archE4294967295ELNS1_3gpuE0ELNS1_3repE0EEENS1_30default_config_static_selectorELNS0_4arch9wavefront6targetE0EEEvT1_
	.p2align	8
	.type	_ZN7rocprim17ROCPRIM_400000_NS6detail17trampoline_kernelINS0_14default_configENS1_27scan_by_key_config_selectorIxxEEZZNS1_16scan_by_key_implILNS1_25lookback_scan_determinismE0ELb1ES3_N6thrust23THRUST_200600_302600_NS6detail15normal_iteratorINS9_10device_ptrIxEEEESE_SE_xNS9_4plusIvEENS9_8equal_toIxEExEE10hipError_tPvRmT2_T3_T4_T5_mT6_T7_P12ihipStream_tbENKUlT_T0_E_clISt17integral_constantIbLb0EESY_IbLb1EEEEDaSU_SV_EUlSU_E_NS1_11comp_targetILNS1_3genE0ELNS1_11target_archE4294967295ELNS1_3gpuE0ELNS1_3repE0EEENS1_30default_config_static_selectorELNS0_4arch9wavefront6targetE0EEEvT1_,@function
_ZN7rocprim17ROCPRIM_400000_NS6detail17trampoline_kernelINS0_14default_configENS1_27scan_by_key_config_selectorIxxEEZZNS1_16scan_by_key_implILNS1_25lookback_scan_determinismE0ELb1ES3_N6thrust23THRUST_200600_302600_NS6detail15normal_iteratorINS9_10device_ptrIxEEEESE_SE_xNS9_4plusIvEENS9_8equal_toIxEExEE10hipError_tPvRmT2_T3_T4_T5_mT6_T7_P12ihipStream_tbENKUlT_T0_E_clISt17integral_constantIbLb0EESY_IbLb1EEEEDaSU_SV_EUlSU_E_NS1_11comp_targetILNS1_3genE0ELNS1_11target_archE4294967295ELNS1_3gpuE0ELNS1_3repE0EEENS1_30default_config_static_selectorELNS0_4arch9wavefront6targetE0EEEvT1_: ; @_ZN7rocprim17ROCPRIM_400000_NS6detail17trampoline_kernelINS0_14default_configENS1_27scan_by_key_config_selectorIxxEEZZNS1_16scan_by_key_implILNS1_25lookback_scan_determinismE0ELb1ES3_N6thrust23THRUST_200600_302600_NS6detail15normal_iteratorINS9_10device_ptrIxEEEESE_SE_xNS9_4plusIvEENS9_8equal_toIxEExEE10hipError_tPvRmT2_T3_T4_T5_mT6_T7_P12ihipStream_tbENKUlT_T0_E_clISt17integral_constantIbLb0EESY_IbLb1EEEEDaSU_SV_EUlSU_E_NS1_11comp_targetILNS1_3genE0ELNS1_11target_archE4294967295ELNS1_3gpuE0ELNS1_3repE0EEENS1_30default_config_static_selectorELNS0_4arch9wavefront6targetE0EEEvT1_
; %bb.0:
	s_clause 0x3
	s_load_b256 s[20:27], s[0:1], 0x0
	s_load_b64 s[44:45], s[0:1], 0x20
	s_load_b256 s[36:43], s[0:1], 0x30
	s_load_b64 s[46:47], s[0:1], 0x50
	v_cmp_ne_u32_e64 s3, 0, v0
	v_cmp_eq_u32_e64 s2, 0, v0
	s_and_saveexec_b32 s4, s2
	s_cbranch_execz .LBB452_4
; %bb.1:
	s_mov_b32 s6, exec_lo
	s_mov_b32 s5, exec_lo
	v_mbcnt_lo_u32_b32 v1, s6, 0
                                        ; implicit-def: $vgpr2
	s_delay_alu instid0(VALU_DEP_1)
	v_cmpx_eq_u32_e32 0, v1
	s_cbranch_execz .LBB452_3
; %bb.2:
	s_load_b64 s[8:9], s[0:1], 0x80
	s_bcnt1_i32_b32 s6, s6
	s_delay_alu instid0(SALU_CYCLE_1)
	v_dual_mov_b32 v2, 0 :: v_dual_mov_b32 v3, s6
	s_wait_xcnt 0x0
	s_wait_kmcnt 0x0
	global_atomic_add_u32 v2, v2, v3, s[8:9] th:TH_ATOMIC_RETURN scope:SCOPE_DEV
.LBB452_3:
	s_wait_xcnt 0x0
	s_or_b32 exec_lo, exec_lo, s5
	s_wait_loadcnt 0x0
	v_readfirstlane_b32 s5, v2
	s_delay_alu instid0(VALU_DEP_1)
	v_dual_mov_b32 v2, 0 :: v_dual_add_nc_u32 v1, s5, v1
	ds_store_b32 v2, v1
.LBB452_4:
	s_or_b32 exec_lo, exec_lo, s4
	v_mov_b32_e32 v3, 0
	s_clause 0x1
	s_load_b32 s4, s[0:1], 0x58
	s_load_b128 s[28:31], s[0:1], 0x60
	s_wait_dscnt 0x0
	s_barrier_signal -1
	s_barrier_wait -1
	ds_load_b32 v2, v3
	s_mov_b32 s5, 0
	s_wait_kmcnt 0x0
	s_lshl_b64 s[34:35], s[22:23], 3
	s_wait_dscnt 0x0
	s_add_nc_u64 s[6:7], s[20:21], s[34:35]
	s_add_nc_u64 s[8:9], s[24:25], s[34:35]
	s_barrier_signal -1
	s_barrier_wait -1
	s_barrier_signal -1
	s_barrier_wait -1
	s_mul_u64 s[0:1], s[46:47], s[4:5]
	s_add_nc_u64 s[10:11], s[28:29], -1
	s_delay_alu instid0(SALU_CYCLE_1)
	s_mul_i32 s33, s10, 0xfffff200
	v_add_nc_u64_e32 v[4:5], s[0:1], v[2:3]
	v_readfirstlane_b32 s43, v2
	s_mul_i32 s4, s43, 0xe00
	v_cmp_le_u64_e64 s0, s[10:11], v[4:5]
	s_lshl_b64 s[28:29], s[4:5], 3
	s_delay_alu instid0(SALU_CYCLE_1)
	s_add_nc_u64 s[20:21], s[6:7], s[28:29]
	s_add_nc_u64 s[18:19], s[8:9], s[28:29]
	s_and_b32 vcc_lo, exec_lo, s0
	s_cbranch_vccz .LBB452_80
; %bb.5:
	flat_load_b64 v[2:3], v3, s[20:21]
	s_add_co_i32 s25, s33, s42
	s_delay_alu instid0(SALU_CYCLE_1)
	v_cmp_gt_u32_e32 vcc_lo, s25, v0
	s_wait_loadcnt_dscnt 0x0
	v_mov_b64_e32 v[4:5], v[2:3]
	s_and_saveexec_b32 s1, vcc_lo
	s_cbranch_execz .LBB452_7
; %bb.6:
	flat_load_b64 v[4:5], v0, s[20:21] scale_offset
.LBB452_7:
	s_wait_xcnt 0x0
	s_or_b32 exec_lo, exec_lo, s1
	v_or_b32_e32 v1, 0x100, v0
	v_mov_b64_e32 v[6:7], v[2:3]
	s_delay_alu instid0(VALU_DEP_2)
	v_cmp_gt_u32_e64 s1, s25, v1
	s_and_saveexec_b32 s4, s1
	s_cbranch_execz .LBB452_9
; %bb.8:
	flat_load_b64 v[6:7], v0, s[20:21] offset:2048 scale_offset
.LBB452_9:
	s_wait_xcnt 0x0
	s_or_b32 exec_lo, exec_lo, s4
	v_or_b32_e32 v1, 0x200, v0
	v_mov_b64_e32 v[8:9], v[2:3]
	s_delay_alu instid0(VALU_DEP_2)
	v_cmp_gt_u32_e64 s4, s25, v1
	s_and_saveexec_b32 s5, s4
	s_cbranch_execz .LBB452_11
; %bb.10:
	flat_load_b64 v[8:9], v0, s[20:21] offset:4096 scale_offset
.LBB452_11:
	;; [unrolled: 11-line block ×12, first 2 shown]
	s_wait_xcnt 0x0
	s_or_b32 exec_lo, exec_lo, s15
	v_or_b32_e32 v1, 0xd00, v0
	s_delay_alu instid0(VALU_DEP_1) | instskip(SKIP_2) | instid1(SALU_CYCLE_1)
	v_cmp_gt_u32_e64 s15, s25, v1
	v_cmp_le_u32_e64 s16, s25, v1
	s_and_saveexec_b32 s17, s16
	s_xor_b32 s16, exec_lo, s17
	s_delay_alu instid0(SALU_CYCLE_1)
	s_and_not1_saveexec_b32 s16, s16
	s_cbranch_execz .LBB452_33
; %bb.32:
	flat_load_b64 v[2:3], v0, s[20:21] offset:26624 scale_offset
.LBB452_33:
	s_wait_xcnt 0x0
	s_or_b32 exec_lo, exec_lo, s16
	v_lshlrev_b32_e32 v1, 3, v0
	s_mov_b32 s17, exec_lo
	s_wait_loadcnt_dscnt 0x0
	ds_store_2addr_stride64_b64 v1, v[4:5], v[6:7] offset1:4
	ds_store_2addr_stride64_b64 v1, v[8:9], v[10:11] offset0:8 offset1:12
	ds_store_2addr_stride64_b64 v1, v[12:13], v[14:15] offset0:16 offset1:20
	;; [unrolled: 1-line block ×6, first 2 shown]
	v_mov_b32_e32 v2, 0
	s_wait_dscnt 0x0
	s_barrier_signal -1
	s_barrier_wait -1
	flat_load_b64 v[56:57], v2, s[20:21]
	v_mad_u32_u24 v104, 0x68, v0, v1
	ds_load_b128 v[26:29], v104
	ds_load_b128 v[22:25], v104 offset:16
	ds_load_b128 v[18:21], v104 offset:32
	;; [unrolled: 1-line block ×5, first 2 shown]
	s_wait_xcnt 0x0
	ds_load_b128 v[2:5], v104 offset:96
	v_mad_i32_i24 v30, 0xffffff98, v0, v104
	s_wait_dscnt 0x6
	ds_store_b64 v30, v[26:27] offset:30720
	s_wait_loadcnt_dscnt 0x0
	s_barrier_signal -1
	s_barrier_wait -1
	v_cmpx_ne_u32_e32 0xff, v0
; %bb.34:
	v_mul_i32_i24_e32 v30, 0xffffff98, v0
	s_delay_alu instid0(VALU_DEP_1)
	v_add_nc_u32_e32 v30, v104, v30
	ds_load_b64 v[56:57], v30 offset:30728
; %bb.35:
	s_or_b32 exec_lo, exec_lo, s17
	s_wait_dscnt 0x0
	s_barrier_signal -1
	s_barrier_wait -1
                                        ; implicit-def: $vgpr30_vgpr31
	s_and_saveexec_b32 s16, vcc_lo
	s_cbranch_execz .LBB452_138
; %bb.36:
	flat_load_b64 v[30:31], v0, s[18:19] scale_offset
	s_wait_xcnt 0x0
	s_or_b32 exec_lo, exec_lo, s16
                                        ; implicit-def: $vgpr32_vgpr33
	s_and_saveexec_b32 s16, s1
	s_cbranch_execnz .LBB452_139
.LBB452_37:
	s_or_b32 exec_lo, exec_lo, s16
                                        ; implicit-def: $vgpr34_vgpr35
	s_and_saveexec_b32 s1, s4
	s_cbranch_execz .LBB452_140
.LBB452_38:
	flat_load_b64 v[34:35], v0, s[18:19] offset:4096 scale_offset
	s_wait_xcnt 0x0
	s_or_b32 exec_lo, exec_lo, s1
                                        ; implicit-def: $vgpr36_vgpr37
	s_and_saveexec_b32 s1, s5
	s_cbranch_execnz .LBB452_141
.LBB452_39:
	s_or_b32 exec_lo, exec_lo, s1
                                        ; implicit-def: $vgpr38_vgpr39
	s_and_saveexec_b32 s1, s6
	s_cbranch_execz .LBB452_142
.LBB452_40:
	flat_load_b64 v[38:39], v0, s[18:19] offset:8192 scale_offset
	s_wait_xcnt 0x0
	s_or_b32 exec_lo, exec_lo, s1
                                        ; implicit-def: $vgpr40_vgpr41
	s_and_saveexec_b32 s1, s7
	s_cbranch_execnz .LBB452_143
.LBB452_41:
	s_or_b32 exec_lo, exec_lo, s1
                                        ; implicit-def: $vgpr42_vgpr43
	s_and_saveexec_b32 s1, s8
	s_cbranch_execz .LBB452_144
.LBB452_42:
	flat_load_b64 v[42:43], v0, s[18:19] offset:12288 scale_offset
	s_wait_xcnt 0x0
	s_or_b32 exec_lo, exec_lo, s1
                                        ; implicit-def: $vgpr44_vgpr45
	s_and_saveexec_b32 s1, s9
	s_cbranch_execnz .LBB452_145
.LBB452_43:
	s_or_b32 exec_lo, exec_lo, s1
                                        ; implicit-def: $vgpr46_vgpr47
	s_and_saveexec_b32 s1, s10
	s_cbranch_execz .LBB452_146
.LBB452_44:
	flat_load_b64 v[46:47], v0, s[18:19] offset:16384 scale_offset
	s_wait_xcnt 0x0
	s_or_b32 exec_lo, exec_lo, s1
                                        ; implicit-def: $vgpr48_vgpr49
	s_and_saveexec_b32 s1, s11
	s_cbranch_execnz .LBB452_147
.LBB452_45:
	s_or_b32 exec_lo, exec_lo, s1
                                        ; implicit-def: $vgpr50_vgpr51
	s_and_saveexec_b32 s1, s12
	s_cbranch_execz .LBB452_148
.LBB452_46:
	flat_load_b64 v[50:51], v0, s[18:19] offset:20480 scale_offset
	s_wait_xcnt 0x0
	s_or_b32 exec_lo, exec_lo, s1
                                        ; implicit-def: $vgpr52_vgpr53
	s_and_saveexec_b32 s1, s13
	s_cbranch_execnz .LBB452_149
.LBB452_47:
	s_or_b32 exec_lo, exec_lo, s1
                                        ; implicit-def: $vgpr54_vgpr55
	s_and_saveexec_b32 s1, s14
	s_cbranch_execz .LBB452_49
.LBB452_48:
	flat_load_b64 v[54:55], v0, s[18:19] offset:24576 scale_offset
.LBB452_49:
	s_wait_xcnt 0x0
	s_or_b32 exec_lo, exec_lo, s1
	v_mul_u32_u24_e32 v109, 14, v0
                                        ; implicit-def: $vgpr58_vgpr59
	s_and_saveexec_b32 s1, s15
	s_cbranch_execz .LBB452_51
; %bb.50:
	flat_load_b64 v[58:59], v0, s[18:19] offset:26624 scale_offset
.LBB452_51:
	s_wait_xcnt 0x0
	s_or_b32 exec_lo, exec_lo, s1
	s_wait_loadcnt_dscnt 0x0
	ds_store_2addr_stride64_b64 v1, v[30:31], v[32:33] offset1:4
	ds_store_2addr_stride64_b64 v1, v[34:35], v[36:37] offset0:8 offset1:12
	ds_store_2addr_stride64_b64 v1, v[38:39], v[40:41] offset0:16 offset1:20
	;; [unrolled: 1-line block ×6, first 2 shown]
	v_mov_b64_e32 v[66:67], 0
	v_mov_b64_e32 v[80:81], 0
	;; [unrolled: 1-line block ×27, first 2 shown]
	v_cmp_gt_u32_e32 vcc_lo, s25, v109
	v_dual_mov_b32 v86, 0 :: v_dual_mov_b32 v87, 0
	v_dual_mov_b32 v88, 0 :: v_dual_mov_b32 v89, 0
	;; [unrolled: 1-line block ×13, first 2 shown]
	s_mov_b32 s16, 0
	s_mov_b32 s5, 0
	s_wait_dscnt 0x0
	s_barrier_signal -1
	s_barrier_wait -1
                                        ; implicit-def: $sgpr22
	s_and_saveexec_b32 s17, vcc_lo
	s_cbranch_execz .LBB452_79
; %bb.52:
	ds_load_b64 v[30:31], v104
	v_cmp_ne_u64_e32 vcc_lo, v[26:27], v[28:29]
	v_dual_mov_b32 v86, 0 :: v_dual_bitop2_b32 v1, 1, v109 bitop3:0x54
	v_mov_b64_e32 v[66:67], 0
	v_mov_b64_e32 v[80:81], 0
	v_mov_b64_e32 v[78:79], 0
	v_mov_b64_e32 v[84:85], 0
	v_mov_b64_e32 v[76:77], 0
	v_mov_b64_e32 v[82:83], 0
	v_mov_b64_e32 v[72:73], 0
	v_mov_b64_e32 v[74:75], 0
	v_mov_b64_e32 v[70:71], 0
	v_mov_b64_e32 v[68:69], 0
	v_mov_b64_e32 v[64:65], 0
	v_mov_b64_e32 v[62:63], 0
	v_mov_b64_e32 v[44:45], 0
	v_mov_b64_e32 v[34:35], 0
	v_mov_b64_e32 v[36:37], 0
	v_mov_b64_e32 v[38:39], 0
	s_wait_dscnt 0x0
	v_cndmask_b32_e64 v61, v31, s45, vcc_lo
	v_cndmask_b32_e64 v60, v30, s44, vcc_lo
	v_mov_b64_e32 v[30:31], 0
	v_mov_b64_e32 v[40:41], 0
	;; [unrolled: 1-line block ×9, first 2 shown]
	v_dual_mov_b32 v87, 0 :: v_dual_mov_b32 v88, 0
	v_dual_mov_b32 v89, 0 :: v_dual_mov_b32 v90, 0
	;; [unrolled: 1-line block ×4, first 2 shown]
	v_cmp_gt_u32_e64 s1, s25, v1
	v_dual_mov_b32 v102, 0 :: v_dual_mov_b32 v105, 0
	v_dual_mov_b32 v108, 0 :: v_dual_mov_b32 v92, 0
	;; [unrolled: 1-line block ×7, first 2 shown]
	v_mov_b32_e32 v112, 0
	s_mov_b32 s4, 0
                                        ; implicit-def: $sgpr22
	s_and_saveexec_b32 s23, s1
	s_cbranch_execz .LBB452_78
; %bb.53:
	ds_load_2addr_b64 v[30:33], v104 offset0:1 offset1:2
	v_cmp_ne_u64_e64 s1, v[28:29], v[22:23]
	v_dual_mov_b32 v86, 0 :: v_dual_add_nc_u32 v1, 2, v109
	v_mov_b64_e32 v[66:67], 0
	v_mov_b64_e32 v[80:81], 0
	;; [unrolled: 1-line block ×16, first 2 shown]
	s_wait_dscnt 0x0
	v_cndmask_b32_e64 v63, v31, s45, s1
	v_cndmask_b32_e64 v62, v30, s44, s1
	v_mov_b64_e32 v[30:31], 0
	v_mov_b64_e32 v[42:43], 0
	;; [unrolled: 1-line block ×7, first 2 shown]
	v_dual_mov_b32 v87, 0 :: v_dual_mov_b32 v88, 0
	v_dual_mov_b32 v89, 0 :: v_dual_mov_b32 v90, 0
	;; [unrolled: 1-line block ×4, first 2 shown]
	v_cmp_gt_u32_e64 s4, s25, v1
	v_dual_mov_b32 v102, 0 :: v_dual_mov_b32 v105, 0
	v_dual_mov_b32 v92, 0 :: v_dual_mov_b32 v91, 0
	;; [unrolled: 1-line block ×6, first 2 shown]
	v_mov_b32_e32 v110, 0
                                        ; implicit-def: $sgpr22
	s_and_saveexec_b32 s24, s4
	s_cbranch_execz .LBB452_77
; %bb.54:
	v_cmp_ne_u64_e64 s4, v[22:23], v[24:25]
	v_dual_mov_b32 v86, 0 :: v_dual_add_nc_u32 v1, 3, v109
	v_mov_b64_e32 v[66:67], 0
	v_mov_b64_e32 v[80:81], 0
	v_mov_b64_e32 v[78:79], 0
	v_mov_b64_e32 v[84:85], 0
	v_mov_b64_e32 v[76:77], 0
	v_mov_b64_e32 v[82:83], 0
	v_mov_b64_e32 v[72:73], 0
	v_mov_b64_e32 v[74:75], 0
	v_mov_b64_e32 v[70:71], 0
	v_mov_b64_e32 v[68:69], 0
	v_mov_b64_e32 v[44:45], 0
	v_mov_b64_e32 v[30:31], 0
	v_mov_b64_e32 v[34:35], 0
	v_mov_b64_e32 v[36:37], 0
	v_mov_b64_e32 v[38:39], 0
	v_mov_b64_e32 v[40:41], 0
	v_mov_b64_e32 v[42:43], 0
	v_mov_b64_e32 v[46:47], 0
	v_mov_b64_e32 v[48:49], 0
	v_mov_b64_e32 v[50:51], 0
	v_mov_b64_e32 v[52:53], 0
	v_cndmask_b32_e64 v65, v33, s45, s4
	v_dual_mov_b32 v87, 0 :: v_dual_mov_b32 v88, 0
	v_cmp_gt_u32_e64 s5, s25, v1
	v_cndmask_b32_e64 v64, v32, s44, s4
	v_dual_mov_b32 v89, 0 :: v_dual_mov_b32 v90, 0
	v_dual_mov_b32 v93, 0 :: v_dual_mov_b32 v95, 0
	;; [unrolled: 1-line block ×8, first 2 shown]
	v_mov_b32_e32 v107, 0
	s_mov_b32 s6, 0
                                        ; implicit-def: $sgpr22
	s_and_saveexec_b32 s48, s5
	s_cbranch_execz .LBB452_76
; %bb.55:
	ds_load_2addr_b64 v[26:29], v104 offset0:3 offset1:4
	v_cmp_ne_u64_e64 s5, v[24:25], v[18:19]
	v_dual_mov_b32 v86, 0 :: v_dual_add_nc_u32 v1, 4, v109
	v_mov_b64_e32 v[66:67], 0
	v_mov_b64_e32 v[80:81], 0
	;; [unrolled: 1-line block ×19, first 2 shown]
	v_dual_mov_b32 v87, 0 :: v_dual_mov_b32 v88, 0
	v_dual_mov_b32 v89, 0 :: v_dual_mov_b32 v90, 0
	v_dual_mov_b32 v93, 0 :: v_dual_mov_b32 v95, 0
	v_dual_mov_b32 v97, 0 :: v_dual_mov_b32 v100, 0
	v_cmp_gt_u32_e64 s6, s25, v1
	s_wait_dscnt 0x0
	v_cndmask_b32_e64 v69, v27, s45, s5
	v_cndmask_b32_e64 v68, v26, s44, s5
	v_dual_mov_b32 v92, 0 :: v_dual_mov_b32 v91, 0
	v_dual_mov_b32 v94, 0 :: v_dual_mov_b32 v96, 0
	;; [unrolled: 1-line block ×4, first 2 shown]
	v_mov_b32_e32 v106, 0
	s_mov_b32 s7, 0
                                        ; implicit-def: $sgpr22
	s_and_saveexec_b32 s49, s6
	s_cbranch_execz .LBB452_75
; %bb.56:
	v_cmp_ne_u64_e64 s6, v[18:19], v[20:21]
	v_dual_mov_b32 v86, 0 :: v_dual_add_nc_u32 v1, 5, v109
	v_mov_b64_e32 v[66:67], 0
	v_mov_b64_e32 v[80:81], 0
	;; [unrolled: 1-line block ×17, first 2 shown]
	v_cndmask_b32_e64 v71, v29, s45, s6
	v_dual_mov_b32 v87, 0 :: v_dual_mov_b32 v88, 0
	v_cmp_gt_u32_e64 s7, s25, v1
	v_cndmask_b32_e64 v70, v28, s44, s6
	v_dual_mov_b32 v89, 0 :: v_dual_mov_b32 v90, 0
	v_dual_mov_b32 v93, 0 :: v_dual_mov_b32 v95, 0
	v_dual_mov_b32 v97, 0 :: v_dual_mov_b32 v92, 0
	v_dual_mov_b32 v91, 0 :: v_dual_mov_b32 v94, 0
	v_dual_mov_b32 v96, 0 :: v_dual_mov_b32 v98, 0
	v_dual_mov_b32 v99, 0 :: v_dual_mov_b32 v101, 0
	v_mov_b32_e32 v103, 0
	s_mov_b32 s8, 0
                                        ; implicit-def: $sgpr22
	s_and_saveexec_b32 s50, s7
	s_cbranch_execz .LBB452_74
; %bb.57:
	ds_load_2addr_b64 v[22:25], v104 offset0:5 offset1:6
	v_cmp_ne_u64_e64 s7, v[20:21], v[14:15]
	v_mov_b64_e32 v[66:67], 0
	v_mov_b64_e32 v[80:81], 0
	v_mov_b64_e32 v[78:79], 0
	v_mov_b64_e32 v[84:85], 0
	v_mov_b64_e32 v[76:77], 0
	v_mov_b64_e32 v[82:83], 0
	v_mov_b64_e32 v[72:73], 0
	v_mov_b64_e32 v[44:45], 0
	v_mov_b64_e32 v[30:31], 0
	v_mov_b64_e32 v[34:35], 0
	v_mov_b64_e32 v[36:37], 0
	v_mov_b64_e32 v[38:39], 0
	v_mov_b64_e32 v[40:41], 0
	v_mov_b64_e32 v[42:43], 0
	v_mov_b64_e32 v[46:47], 0
	v_dual_mov_b32 v86, 0 :: v_dual_add_nc_u32 v1, 6, v109
	v_dual_mov_b32 v87, 0 :: v_dual_mov_b32 v88, 0
	v_dual_mov_b32 v89, 0 :: v_dual_mov_b32 v90, 0
	v_dual_mov_b32 v93, 0 :: v_dual_mov_b32 v95, 0
	s_wait_dscnt 0x0
	v_cndmask_b32_e64 v75, v23, s45, s7
	v_cndmask_b32_e64 v74, v22, s44, s7
	v_dual_mov_b32 v92, 0 :: v_dual_mov_b32 v91, 0
	v_dual_mov_b32 v94, 0 :: v_dual_mov_b32 v96, 0
	;; [unrolled: 1-line block ×3, first 2 shown]
	v_mov_b32_e32 v101, 0
	s_mov_b32 s9, 0
	s_mov_b32 s51, exec_lo
                                        ; implicit-def: $sgpr22
	v_cmpx_gt_u32_e64 s25, v1
	s_cbranch_execz .LBB452_73
; %bb.58:
	v_cmp_ne_u64_e64 s8, v[14:15], v[16:17]
	v_dual_mov_b32 v86, 0 :: v_dual_add_nc_u32 v1, 7, v109
	v_mov_b64_e32 v[66:67], 0
	v_mov_b64_e32 v[80:81], 0
	;; [unrolled: 1-line block ×13, first 2 shown]
	v_cndmask_b32_e64 v73, v25, s45, s8
	v_dual_mov_b32 v87, 0 :: v_dual_mov_b32 v88, 0
	v_cmp_gt_u32_e64 s9, s25, v1
	v_cndmask_b32_e64 v72, v24, s44, s8
	v_dual_mov_b32 v89, 0 :: v_dual_mov_b32 v90, 0
	v_dual_mov_b32 v93, 0 :: v_dual_mov_b32 v92, 0
	;; [unrolled: 1-line block ×4, first 2 shown]
	v_mov_b32_e32 v99, 0
	s_mov_b32 s10, 0
                                        ; implicit-def: $sgpr22
	s_and_saveexec_b32 s52, s9
	s_cbranch_execz .LBB452_72
; %bb.59:
	ds_load_2addr_b64 v[18:21], v104 offset0:7 offset1:8
	v_cmp_ne_u64_e64 s9, v[16:17], v[10:11]
	v_mov_b64_e32 v[66:67], 0
	v_mov_b64_e32 v[80:81], 0
	;; [unrolled: 1-line block ×11, first 2 shown]
	v_dual_mov_b32 v86, 0 :: v_dual_add_nc_u32 v1, 8, v109
	v_dual_mov_b32 v87, 0 :: v_dual_mov_b32 v88, 0
	v_dual_mov_b32 v89, 0 :: v_dual_mov_b32 v90, 0
	;; [unrolled: 1-line block ×3, first 2 shown]
	s_wait_dscnt 0x0
	v_cndmask_b32_e64 v83, v19, s45, s9
	v_cndmask_b32_e64 v82, v18, s44, s9
	v_dual_mov_b32 v94, 0 :: v_dual_mov_b32 v96, 0
	v_mov_b32_e32 v98, 0
	s_mov_b32 s11, 0
	s_mov_b32 s53, exec_lo
                                        ; implicit-def: $sgpr22
	v_cmpx_gt_u32_e64 s25, v1
	s_cbranch_execz .LBB452_71
; %bb.60:
	v_cmp_ne_u64_e64 s10, v[10:11], v[12:13]
	v_mov_b64_e32 v[66:67], 0
	v_mov_b64_e32 v[80:81], 0
	;; [unrolled: 1-line block ×9, first 2 shown]
	v_dual_mov_b32 v86, 0 :: v_dual_add_nc_u32 v1, 9, v109
	v_cndmask_b32_e64 v77, v21, s45, s10
	v_dual_mov_b32 v87, 0 :: v_dual_mov_b32 v88, 0
	v_cndmask_b32_e64 v76, v20, s44, s10
	v_dual_mov_b32 v89, 0 :: v_dual_mov_b32 v92, 0
	v_dual_mov_b32 v91, 0 :: v_dual_mov_b32 v94, 0
	v_mov_b32_e32 v96, 0
	s_mov_b32 s12, 0
	s_mov_b32 s54, exec_lo
                                        ; implicit-def: $sgpr22
	v_cmpx_gt_u32_e64 s25, v1
	s_cbranch_execz .LBB452_70
; %bb.61:
	ds_load_2addr_b64 v[14:17], v104 offset0:9 offset1:10
	v_cmp_ne_u64_e64 s11, v[12:13], v[6:7]
	v_mov_b64_e32 v[66:67], 0
	v_mov_b64_e32 v[80:81], 0
	;; [unrolled: 1-line block ×7, first 2 shown]
	v_dual_mov_b32 v86, 0 :: v_dual_add_nc_u32 v1, 10, v109
	v_dual_mov_b32 v87, 0 :: v_dual_mov_b32 v88, 0
	v_dual_mov_b32 v92, 0 :: v_dual_mov_b32 v91, 0
	v_mov_b32_e32 v94, 0
	s_mov_b32 s13, 0
	s_mov_b32 s55, exec_lo
                                        ; implicit-def: $sgpr22
	s_wait_dscnt 0x0
	v_cndmask_b32_e64 v85, v15, s45, s11
	v_cndmask_b32_e64 v84, v14, s44, s11
	v_cmpx_gt_u32_e64 s25, v1
	s_cbranch_execz .LBB452_69
; %bb.62:
	v_cmp_ne_u64_e64 s12, v[6:7], v[8:9]
	v_mov_b64_e32 v[66:67], 0
	v_mov_b64_e32 v[80:81], 0
	;; [unrolled: 1-line block ×4, first 2 shown]
	v_dual_mov_b32 v86, 0 :: v_dual_add_nc_u32 v1, 11, v109
	v_cndmask_b32_e64 v79, v17, s45, s12
	v_cndmask_b32_e64 v78, v16, s44, s12
	v_dual_mov_b32 v87, 0 :: v_dual_mov_b32 v91, 0
	s_mov_b32 s14, 0
	s_mov_b32 s56, exec_lo
                                        ; implicit-def: $sgpr22
	v_cmpx_gt_u32_e64 s25, v1
	s_cbranch_execz .LBB452_68
; %bb.63:
	ds_load_2addr_b64 v[10:13], v104 offset0:11 offset1:12
	v_cmp_ne_u64_e64 s13, v[8:9], v[2:3]
	v_mov_b64_e32 v[66:67], 0
	v_mov_b64_e32 v[44:45], 0
	v_dual_mov_b32 v86, 0 :: v_dual_add_nc_u32 v1, 12, v109
	s_mov_b32 s15, 0
	s_mov_b32 s57, exec_lo
                                        ; implicit-def: $sgpr22
	s_wait_dscnt 0x0
	v_cndmask_b32_e64 v81, v11, s45, s13
	v_cndmask_b32_e64 v80, v10, s44, s13
	v_cmpx_gt_u32_e64 s25, v1
	s_cbranch_execz .LBB452_67
; %bb.64:
	v_cmp_ne_u64_e64 s14, v[2:3], v[4:5]
	v_add_nc_u32_e32 v1, 13, v109
	v_mov_b64_e32 v[44:45], 0
                                        ; implicit-def: $sgpr22
	s_delay_alu instid0(VALU_DEP_2) | instskip(NEXT) | instid1(VALU_DEP_4)
	v_cmp_gt_u32_e64 s15, s25, v1
	v_cndmask_b32_e64 v67, v13, s45, s14
	v_cndmask_b32_e64 v66, v12, s44, s14
	s_mov_b32 s25, 0
	s_and_saveexec_b32 s58, s15
	s_delay_alu instid0(SALU_CYCLE_1)
	s_xor_b32 s15, exec_lo, s58
	s_cbranch_execz .LBB452_66
; %bb.65:
	ds_load_b64 v[2:3], v104 offset:104
	v_cmp_ne_u64_e64 s22, v[4:5], v[56:57]
	s_mov_b32 s25, exec_lo
	s_wait_dscnt 0x0
	v_cndmask_b32_e64 v45, v3, s45, s22
	v_cndmask_b32_e64 v44, v2, s44, s22
.LBB452_66:
	s_or_b32 exec_lo, exec_lo, s15
	v_cndmask_b32_e64 v86, 0, 1, s14
	s_and_b32 s15, s25, exec_lo
.LBB452_67:
	s_or_b32 exec_lo, exec_lo, s57
	v_cndmask_b32_e64 v87, 0, 1, s13
	v_mov_b64_e32 v[34:35], v[80:81]
	s_and_b32 s14, s15, exec_lo
	s_delay_alu instid0(VALU_DEP_2)
	v_mov_b32_e32 v91, v87
.LBB452_68:
	s_or_b32 exec_lo, exec_lo, s56
	v_cndmask_b32_e64 v88, 0, 1, s12
	v_mov_b64_e32 v[30:31], v[66:67]
	v_mov_b64_e32 v[36:37], v[78:79]
	v_mov_b32_e32 v92, v86
	s_and_b32 s13, s14, exec_lo
	v_mov_b32_e32 v94, v88
.LBB452_69:
	s_or_b32 exec_lo, exec_lo, s55
	v_cndmask_b32_e64 v89, 0, 1, s11
	v_mov_b64_e32 v[38:39], v[84:85]
	s_and_b32 s12, s13, exec_lo
	s_delay_alu instid0(VALU_DEP_2)
	v_mov_b32_e32 v96, v89
.LBB452_70:
	s_or_b32 exec_lo, exec_lo, s54
	v_cndmask_b32_e64 v90, 0, 1, s10
	v_mov_b64_e32 v[40:41], v[76:77]
	s_and_b32 s11, s12, exec_lo
	s_delay_alu instid0(VALU_DEP_2)
	v_mov_b32_e32 v98, v90
.LBB452_71:
	s_or_b32 exec_lo, exec_lo, s53
	v_cndmask_b32_e64 v93, 0, 1, s9
	v_mov_b64_e32 v[42:43], v[82:83]
	s_and_b32 s10, s11, exec_lo
	s_delay_alu instid0(VALU_DEP_2)
	v_mov_b32_e32 v99, v93
.LBB452_72:
	s_or_b32 exec_lo, exec_lo, s52
	v_cndmask_b32_e64 v95, 0, 1, s8
	v_mov_b64_e32 v[46:47], v[72:73]
	s_and_b32 s9, s10, exec_lo
	s_delay_alu instid0(VALU_DEP_2)
	v_mov_b32_e32 v101, v95
.LBB452_73:
	s_or_b32 exec_lo, exec_lo, s51
	v_cndmask_b32_e64 v97, 0, 1, s7
	v_mov_b64_e32 v[48:49], v[74:75]
	s_and_b32 s8, s9, exec_lo
	s_delay_alu instid0(VALU_DEP_2)
	v_mov_b32_e32 v103, v97
.LBB452_74:
	s_or_b32 exec_lo, exec_lo, s50
	v_cndmask_b32_e64 v100, 0, 1, s6
	v_mov_b64_e32 v[50:51], v[70:71]
	s_and_b32 s7, s8, exec_lo
	s_delay_alu instid0(VALU_DEP_2)
	v_mov_b32_e32 v106, v100
.LBB452_75:
	s_or_b32 exec_lo, exec_lo, s49
	v_cndmask_b32_e64 v102, 0, 1, s5
	v_mov_b64_e32 v[52:53], v[68:69]
	s_and_b32 s6, s7, exec_lo
	s_delay_alu instid0(VALU_DEP_2)
	v_mov_b32_e32 v107, v102
.LBB452_76:
	s_or_b32 exec_lo, exec_lo, s48
	v_cndmask_b32_e64 v105, 0, 1, s4
	v_mov_b64_e32 v[54:55], v[64:65]
	s_and_b32 s5, s6, exec_lo
	s_delay_alu instid0(VALU_DEP_2)
	v_mov_b32_e32 v110, v105
.LBB452_77:
	s_or_b32 exec_lo, exec_lo, s24
	v_cndmask_b32_e64 v108, 0, 1, s1
	v_mov_b64_e32 v[32:33], v[62:63]
	s_and_b32 s4, s5, exec_lo
	s_delay_alu instid0(VALU_DEP_2)
	v_mov_b32_e32 v112, v108
.LBB452_78:
	s_or_b32 exec_lo, exec_lo, s23
	v_cndmask_b32_e64 v111, 0, 1, vcc_lo
	v_mov_b64_e32 v[58:59], v[60:61]
	s_and_b32 s5, s4, exec_lo
	s_delay_alu instid0(VALU_DEP_2)
	v_mov_b32_e32 v1, v111
.LBB452_79:
	s_or_b32 exec_lo, exec_lo, s17
	v_lshlrev_b32_e32 v56, 3, v0
	s_and_b32 vcc_lo, exec_lo, s16
	s_cbranch_vccnz .LBB452_81
	s_branch .LBB452_86
.LBB452_80:
                                        ; implicit-def: $sgpr22
                                        ; implicit-def: $vgpr86
                                        ; implicit-def: $vgpr66_vgpr67
                                        ; implicit-def: $vgpr87
                                        ; implicit-def: $vgpr80_vgpr81
                                        ; implicit-def: $vgpr88
                                        ; implicit-def: $vgpr78_vgpr79
                                        ; implicit-def: $vgpr89
                                        ; implicit-def: $vgpr84_vgpr85
                                        ; implicit-def: $vgpr90
                                        ; implicit-def: $vgpr76_vgpr77
                                        ; implicit-def: $vgpr93
                                        ; implicit-def: $vgpr82_vgpr83
                                        ; implicit-def: $vgpr95
                                        ; implicit-def: $vgpr72_vgpr73
                                        ; implicit-def: $vgpr97
                                        ; implicit-def: $vgpr74_vgpr75
                                        ; implicit-def: $vgpr100
                                        ; implicit-def: $vgpr70_vgpr71
                                        ; implicit-def: $vgpr102
                                        ; implicit-def: $vgpr68_vgpr69
                                        ; implicit-def: $vgpr105
                                        ; implicit-def: $vgpr64_vgpr65
                                        ; implicit-def: $vgpr108
                                        ; implicit-def: $vgpr62_vgpr63
                                        ; implicit-def: $vgpr111
                                        ; implicit-def: $vgpr60_vgpr61
                                        ; implicit-def: $vgpr44_vgpr45
                                        ; implicit-def: $vgpr92
                                        ; implicit-def: $vgpr30_vgpr31
                                        ; implicit-def: $vgpr91
                                        ; implicit-def: $vgpr34_vgpr35
                                        ; implicit-def: $vgpr94
                                        ; implicit-def: $vgpr36_vgpr37
                                        ; implicit-def: $vgpr96
                                        ; implicit-def: $vgpr98
                                        ; implicit-def: $vgpr99
                                        ; implicit-def: $vgpr101
                                        ; implicit-def: $vgpr103
                                        ; implicit-def: $vgpr106
                                        ; implicit-def: $vgpr107
                                        ; implicit-def: $vgpr110
                                        ; implicit-def: $vgpr112
                                        ; implicit-def: $vgpr1
                                        ; implicit-def: $vgpr38_vgpr39
                                        ; implicit-def: $vgpr40_vgpr41
                                        ; implicit-def: $vgpr42_vgpr43
                                        ; implicit-def: $vgpr46_vgpr47
                                        ; implicit-def: $vgpr48_vgpr49
                                        ; implicit-def: $vgpr50_vgpr51
                                        ; implicit-def: $vgpr52_vgpr53
                                        ; implicit-def: $vgpr54_vgpr55
                                        ; implicit-def: $vgpr32_vgpr33
                                        ; implicit-def: $vgpr58_vgpr59
	v_lshlrev_b32_e32 v56, 3, v0
	s_cbranch_execz .LBB452_86
.LBB452_81:
	s_clause 0xd
	flat_load_b64 v[2:3], v0, s[20:21] scale_offset
	flat_load_b64 v[4:5], v0, s[20:21] offset:2048 scale_offset
	flat_load_b64 v[6:7], v0, s[20:21] offset:4096 scale_offset
	;; [unrolled: 1-line block ×13, first 2 shown]
	v_mov_b32_e32 v1, 0
	s_mov_b32 s1, exec_lo
	s_wait_loadcnt_dscnt 0xc0c
	ds_store_2addr_stride64_b64 v56, v[2:3], v[4:5] offset1:4
	s_wait_loadcnt_dscnt 0xa0b
	ds_store_2addr_stride64_b64 v56, v[6:7], v[8:9] offset0:8 offset1:12
	s_wait_loadcnt_dscnt 0x80a
	ds_store_2addr_stride64_b64 v56, v[10:11], v[12:13] offset0:16 offset1:20
	;; [unrolled: 2-line block ×6, first 2 shown]
	s_wait_dscnt 0x0
	s_barrier_signal -1
	s_barrier_wait -1
	flat_load_b64 v[58:59], v1, s[20:21] offset:28672
	s_wait_xcnt 0x0
	v_mad_u32_u24 v1, 0x68, v0, v56
	ds_load_b128 v[38:41], v1
	ds_load_b128 v[34:37], v1 offset:16
	ds_load_b128 v[26:29], v1 offset:32
	;; [unrolled: 1-line block ×6, first 2 shown]
	v_mad_i32_i24 v14, 0xffffff98, v0, v1
	s_wait_dscnt 0x6
	ds_store_b64 v14, v[38:39] offset:30720
	s_wait_loadcnt_dscnt 0x0
	s_barrier_signal -1
	s_barrier_wait -1
	v_cmpx_ne_u32_e32 0xff, v0
; %bb.82:
	v_mul_i32_i24_e32 v14, 0xffffff98, v0
	s_delay_alu instid0(VALU_DEP_1)
	v_add_nc_u32_e32 v14, v1, v14
	ds_load_b64 v[58:59], v14 offset:30728
; %bb.83:
	s_or_b32 exec_lo, exec_lo, s1
	s_wait_dscnt 0x0
	s_barrier_signal -1
	s_barrier_wait -1
	s_clause 0xd
	flat_load_b64 v[14:15], v0, s[18:19] scale_offset
	flat_load_b64 v[16:17], v0, s[18:19] offset:2048 scale_offset
	flat_load_b64 v[22:23], v0, s[18:19] offset:4096 scale_offset
	;; [unrolled: 1-line block ×13, first 2 shown]
	s_mov_b32 s4, exec_lo
	v_cmp_ne_u64_e32 vcc_lo, v[38:39], v[40:41]
	s_wait_loadcnt_dscnt 0xc0c
	ds_store_2addr_stride64_b64 v56, v[14:15], v[16:17] offset1:4
	s_wait_loadcnt_dscnt 0xa0b
	ds_store_2addr_stride64_b64 v56, v[22:23], v[24:25] offset0:8 offset1:12
	s_wait_loadcnt_dscnt 0x80a
	ds_store_2addr_stride64_b64 v56, v[30:31], v[32:33] offset0:16 offset1:20
	s_wait_loadcnt_dscnt 0x609
	ds_store_2addr_stride64_b64 v56, v[42:43], v[44:45] offset0:24 offset1:28
	s_wait_loadcnt_dscnt 0x408
	ds_store_2addr_stride64_b64 v56, v[46:47], v[48:49] offset0:32 offset1:36
	s_wait_loadcnt_dscnt 0x207
	ds_store_2addr_stride64_b64 v56, v[50:51], v[52:53] offset0:40 offset1:44
	s_wait_loadcnt_dscnt 0x6
	ds_store_2addr_stride64_b64 v56, v[54:55], v[60:61] offset0:48 offset1:52
	s_wait_dscnt 0x0
	s_barrier_signal -1
	s_barrier_wait -1
	ds_load_2addr_b64 v[50:53], v1 offset0:1 offset1:2
	ds_load_2addr_b64 v[46:49], v1 offset0:3 offset1:4
	;; [unrolled: 1-line block ×6, first 2 shown]
	ds_load_b64 v[54:55], v1 offset:104
	v_mov_b64_e32 v[60:61], s[44:45]
	v_cmpx_eq_u64_e64 v[38:39], v[40:41]
; %bb.84:
	ds_load_b64 v[60:61], v1
; %bb.85:
	s_or_b32 exec_lo, exec_lo, s4
	v_cndmask_b32_e64 v111, 0, 1, vcc_lo
	v_cmp_ne_u64_e32 vcc_lo, v[40:41], v[34:35]
	v_cmp_ne_u64_e64 s1, v[34:35], v[36:37]
	v_cmp_ne_u64_e64 s4, v[36:37], v[26:27]
	;; [unrolled: 1-line block ×12, first 2 shown]
	s_wait_dscnt 0x6
	v_cndmask_b32_e64 v63, v51, s45, vcc_lo
	v_cndmask_b32_e64 v62, v50, s44, vcc_lo
	v_cndmask_b32_e64 v65, v53, s45, s1
	v_cndmask_b32_e64 v64, v52, s44, s1
	s_wait_dscnt 0x5
	v_cndmask_b32_e64 v69, v47, s45, s4
	v_cndmask_b32_e64 v68, v46, s44, s4
	v_cndmask_b32_e64 v71, v49, s45, s5
	v_cndmask_b32_e64 v70, v48, s44, s5
	s_wait_dscnt 0x4
	v_cndmask_b32_e64 v75, v43, s45, s6
	v_cndmask_b32_e64 v74, v42, s44, s6
	;; [unrolled: 5-line block ×5, first 2 shown]
	v_cndmask_b32_e64 v66, v16, s44, s13
	v_cndmask_b32_e64 v80, v14, s44, s12
	v_cndmask_b32_e64 v108, 0, 1, vcc_lo
	v_cndmask_b32_e64 v105, 0, 1, s1
	v_cndmask_b32_e64 v102, 0, 1, s4
	v_cndmask_b32_e64 v100, 0, 1, s5
	v_cndmask_b32_e64 v97, 0, 1, s6
	v_cndmask_b32_e64 v95, 0, 1, s7
	v_cndmask_b32_e64 v93, 0, 1, s8
	v_cndmask_b32_e64 v90, 0, 1, s9
	v_cndmask_b32_e64 v89, 0, 1, s10
	v_cndmask_b32_e64 v88, 0, 1, s11
	v_cndmask_b32_e64 v87, 0, 1, s12
	v_cndmask_b32_e64 v86, 0, 1, s13
	s_wait_dscnt 0x0
	v_cndmask_b32_e64 v45, v55, s45, s22
	v_cndmask_b32_e64 v44, v54, s44, s22
	v_mov_b64_e32 v[30:31], v[66:67]
	v_mov_b64_e32 v[34:35], v[80:81]
	;; [unrolled: 1-line block ×13, first 2 shown]
	v_dual_mov_b32 v92, v86 :: v_dual_mov_b32 v91, v87
	v_dual_mov_b32 v94, v88 :: v_dual_mov_b32 v96, v89
	;; [unrolled: 1-line block ×6, first 2 shown]
	v_mov_b32_e32 v1, v111
	s_mov_b32 s5, -1
.LBB452_86:
	v_mov_b32_e32 v57, 0
	s_and_saveexec_b32 s1, s5
	s_cbranch_execz .LBB452_88
; %bb.87:
	v_mov_b64_e32 v[58:59], v[60:61]
	v_mov_b64_e32 v[32:33], v[62:63]
	v_mov_b64_e32 v[54:55], v[64:65]
	v_mov_b64_e32 v[52:53], v[68:69]
	v_mov_b64_e32 v[50:51], v[70:71]
	v_mov_b64_e32 v[48:49], v[74:75]
	v_mov_b64_e32 v[46:47], v[72:73]
	v_mov_b64_e32 v[42:43], v[82:83]
	v_mov_b64_e32 v[40:41], v[76:77]
	v_mov_b64_e32 v[38:39], v[84:85]
	v_mov_b64_e32 v[36:37], v[78:79]
	v_mov_b64_e32 v[34:35], v[80:81]
	v_mov_b64_e32 v[30:31], v[66:67]
	v_cndmask_b32_e64 v57, 0, 1, s22
	v_dual_mov_b32 v1, v111 :: v_dual_mov_b32 v112, v108
	v_dual_mov_b32 v110, v105 :: v_dual_mov_b32 v107, v102
	;; [unrolled: 1-line block ×6, first 2 shown]
	v_mov_b32_e32 v92, v86
.LBB452_88:
	s_or_b32 exec_lo, exec_lo, s1
	v_dual_lshrrev_b32 v65, 1, v0 :: v_dual_bitop2_b32 v67, 1, v1 bitop3:0x40
	v_and_b32_e32 v66, 1, v107
	v_and_b32_e32 v64, 1, v101
	v_and_b32_e32 v63, 1, v96
	v_and_b32_e32 v62, 1, v92
	v_cmp_eq_u32_e64 s15, 1, v67
	v_and_b32_e32 v84, 0xff, v112
	v_and_b32_e32 v83, 0xff, v110
	v_bitop3_b16 v69, v110, 0xff, v112 bitop3:0xc8
	v_and_b32_e32 v82, 0xff, v107
	v_cmp_eq_u32_e64 s16, 1, v66
	v_and_b32_e32 v81, 0xff, v106
	v_and_b32_e32 v80, 0xff, v103
	v_bitop3_b16 v70, v103, 0xff, v106 bitop3:0xc8
	v_and_b32_e32 v79, 0xff, v101
	;; [unrolled: 5-line block ×4, first 2 shown]
	v_cmp_eq_u32_e64 s20, 1, v62
	v_cmp_eq_u16_e64 s19, 0, v57
	v_and_b32_e32 v68, 1, v57
	s_cmp_lg_u32 s43, 0
	v_cmp_gt_u32_e32 vcc_lo, 32, v0
	s_barrier_signal -1
	s_barrier_wait -1
	s_cbranch_scc0 .LBB452_150
; %bb.89:
	v_cmp_eq_u16_e64 s1, 0, v84
	v_cmp_eq_u16_e64 s4, 0, v83
	;; [unrolled: 1-line block ×5, first 2 shown]
	v_dual_cndmask_b32 v3, 0, v59, s1 :: v_dual_cndmask_b32 v2, 0, v58, s1
	v_cmp_eq_u16_e64 s8, 0, v79
	v_cmp_eq_u16_e64 s9, 0, v78
	;; [unrolled: 1-line block ×4, first 2 shown]
	v_add_nc_u64_e32 v[2:3], v[2:3], v[32:33]
	v_cmp_eq_u16_e64 s12, 0, v75
	v_cmp_eq_u16_e64 s13, 0, v74
	;; [unrolled: 1-line block ×3, first 2 shown]
	v_cmp_ne_u16_e64 s23, 0, v72
	v_cmp_ne_u16_e64 s24, 0, v71
	v_cmp_eq_u32_e64 s25, 1, v68
	v_dual_cndmask_b32 v3, 0, v3, s4 :: v_dual_cndmask_b32 v2, 0, v2, s4
	v_cmp_ne_u16_e64 s22, 0, v70
	s_or_b32 s20, s23, s20
	v_cmp_ne_u16_e64 s21, 0, v69
	s_or_b32 s18, s24, s18
	v_add_nc_u64_e32 v[2:3], v[2:3], v[54:55]
	s_or_b32 s20, s25, s20
	s_or_b32 s17, s22, s17
	;; [unrolled: 1-line block ×5, first 2 shown]
	v_and_b32_e32 v4, 0x70, v65
	v_dual_cndmask_b32 v3, 0, v3, s5 :: v_dual_cndmask_b32 v2, 0, v2, s5
	s_or_b32 s16, s17, s16
	s_delay_alu instid0(SALU_CYCLE_1) | instskip(NEXT) | instid1(VALU_DEP_2)
	s_or_b32 s15, s16, s15
	v_lshl_add_u32 v4, v0, 4, v4
	s_delay_alu instid0(VALU_DEP_2) | instskip(SKIP_1) | instid1(VALU_DEP_2)
	v_add_nc_u64_e32 v[2:3], v[2:3], v[52:53]
	v_cndmask_b32_e64 v12, 0, 1, s15
	v_dual_cndmask_b32 v3, 0, v3, s6 :: v_dual_cndmask_b32 v2, 0, v2, s6
	s_delay_alu instid0(VALU_DEP_1) | instskip(NEXT) | instid1(VALU_DEP_1)
	v_add_nc_u64_e32 v[2:3], v[2:3], v[50:51]
	v_dual_cndmask_b32 v3, 0, v3, s7 :: v_dual_cndmask_b32 v2, 0, v2, s7
	s_delay_alu instid0(VALU_DEP_1) | instskip(NEXT) | instid1(VALU_DEP_1)
	v_add_nc_u64_e32 v[2:3], v[2:3], v[48:49]
	;; [unrolled: 3-line block ×9, first 2 shown]
	v_dual_cndmask_b32 v3, 0, v3, s19 :: v_dual_cndmask_b32 v2, 0, v2, s19
	s_delay_alu instid0(VALU_DEP_1)
	v_add_nc_u64_e32 v[2:3], v[2:3], v[44:45]
	ds_store_b64 v4, v[2:3]
	ds_store_b8 v4, v12 offset:8
	s_wait_dscnt 0x0
	s_barrier_signal -1
	s_barrier_wait -1
	s_and_saveexec_b32 s18, vcc_lo
	s_cbranch_execz .LBB452_101
; %bb.90:
	v_dual_lshlrev_b32 v4, 2, v0 :: v_dual_lshlrev_b32 v5, 7, v0
	s_delay_alu instid0(VALU_DEP_1) | instskip(NEXT) | instid1(VALU_DEP_1)
	v_and_b32_e32 v4, 0x3f0, v4
	v_add_nc_u32_e32 v8, v4, v5
	ds_load_u8 v10, v8 offset:24
	ds_load_b64 v[4:5], v8
	ds_load_2addr_b64 v[14:17], v8 offset0:2 offset1:4
	ds_load_u8 v11, v8 offset:40
	ds_load_b32 v9, v8 offset:8
	ds_load_u8 v13, v8 offset:56
	ds_load_u8 v22, v8 offset:72
	;; [unrolled: 1-line block ×4, first 2 shown]
	s_wait_dscnt 0x8
	v_cmp_eq_u16_e64 s15, 0, v10
	s_wait_dscnt 0x7
	s_delay_alu instid0(VALU_DEP_1)
	v_dual_cndmask_b32 v7, 0, v5, s15 :: v_dual_cndmask_b32 v6, 0, v4, s15
	s_wait_dscnt 0x5
	v_cmp_eq_u16_e64 s15, 0, v11
	ds_load_2addr_b64 v[18:21], v8 offset0:6 offset1:8
	s_wait_dscnt 0x4
	v_bitop3_b16 v10, v11, v13, v10 bitop3:0xfe
	s_wait_dscnt 0x1
	v_bitop3_b16 v11, v23, v24, v22 bitop3:0xfe
	v_add_nc_u64_e32 v[6:7], v[6:7], v[14:15]
	s_delay_alu instid0(VALU_DEP_1) | instskip(SKIP_1) | instid1(VALU_DEP_2)
	v_dual_cndmask_b32 v7, 0, v7, s15 :: v_dual_cndmask_b32 v6, 0, v6, s15
	v_cmp_eq_u16_e64 s15, 0, v13
	v_add_nc_u64_e32 v[6:7], v[6:7], v[16:17]
	s_delay_alu instid0(VALU_DEP_1) | instskip(SKIP_2) | instid1(VALU_DEP_2)
	v_dual_cndmask_b32 v7, 0, v7, s15 :: v_dual_cndmask_b32 v6, 0, v6, s15
	v_cmp_eq_u16_e64 s15, 0, v22
	s_wait_dscnt 0x0
	v_add_nc_u64_e32 v[6:7], v[6:7], v[18:19]
	ds_load_2addr_b64 v[14:17], v8 offset0:10 offset1:12
	ds_load_u8 v18, v8 offset:120
	v_dual_cndmask_b32 v7, 0, v7, s15 :: v_dual_cndmask_b32 v6, 0, v6, s15
	v_cmp_eq_u16_e64 s15, 0, v23
	s_delay_alu instid0(VALU_DEP_2) | instskip(NEXT) | instid1(VALU_DEP_1)
	v_add_nc_u64_e32 v[6:7], v[6:7], v[20:21]
	v_dual_cndmask_b32 v7, 0, v7, s15 :: v_dual_cndmask_b32 v6, 0, v6, s15
	s_wait_dscnt 0x0
	v_bitop3_b16 v10, v18, v10, v11 bitop3:0xfe
	v_and_b32_e32 v11, 1, v9
	v_cmp_eq_u16_e64 s15, 0, v24
	v_cmp_eq_u16_e64 s17, 0, v18
	v_add_nc_u64_e32 v[6:7], v[6:7], v[14:15]
	ds_load_b64 v[14:15], v8 offset:112
	v_dual_cndmask_b32 v7, 0, v7, s15 :: v_dual_bitop2_b32 v10, 1, v10 bitop3:0x40
	v_cndmask_b32_e64 v6, 0, v6, s15
	v_cmp_eq_u32_e64 s15, 1, v11
	s_delay_alu instid0(VALU_DEP_3) | instskip(SKIP_4) | instid1(SALU_CYCLE_1)
	v_cmp_eq_u32_e64 s16, 1, v10
	v_and_b32_e32 v10, 0xffffff00, v9
	v_mbcnt_lo_u32_b32 v11, -1, 0
	v_add_nc_u64_e32 v[6:7], v[6:7], v[16:17]
	s_or_b32 s16, s16, s15
	v_cndmask_b32_e64 v16, 0, 1, s16
	v_cndmask_b32_e64 v13, 0, 1, s16
	s_delay_alu instid0(VALU_DEP_3) | instskip(SKIP_2) | instid1(VALU_DEP_1)
	v_dual_cndmask_b32 v7, 0, v7, s17 :: v_dual_cndmask_b32 v6, 0, v6, s17
	s_mov_b32 s17, exec_lo
	s_wait_dscnt 0x0
	v_add_nc_u64_e32 v[6:7], v[6:7], v[14:15]
	v_or_b32_e32 v15, v10, v16
	v_and_b32_e32 v14, 15, v11
	s_delay_alu instid0(VALU_DEP_2) | instskip(NEXT) | instid1(VALU_DEP_4)
	v_mov_b32_dpp v17, v15 row_shr:1 row_mask:0xf bank_mask:0xf
	v_mov_b32_dpp v16, v6 row_shr:1 row_mask:0xf bank_mask:0xf
	v_mov_b32_dpp v18, v7 row_shr:1 row_mask:0xf bank_mask:0xf
	s_delay_alu instid0(VALU_DEP_4)
	v_cmpx_ne_u32_e32 0, v14
; %bb.91:
	s_delay_alu instid0(VALU_DEP_4) | instskip(NEXT) | instid1(VALU_DEP_3)
	v_bitop3_b16 v13, v17, v13, 1 bitop3:0xec
	v_cndmask_b32_e64 v17, v18, 0, s16
	v_cndmask_b32_e64 v16, v16, 0, s16
	s_delay_alu instid0(VALU_DEP_3) | instskip(NEXT) | instid1(VALU_DEP_2)
	v_and_b32_e32 v15, 0xffff, v13
	v_add_nc_u64_e32 v[6:7], v[16:17], v[6:7]
	s_delay_alu instid0(VALU_DEP_2)
	v_or_b32_e32 v15, v10, v15
; %bb.92:
	s_or_b32 exec_lo, exec_lo, s17
	s_delay_alu instid0(VALU_DEP_2) | instskip(NEXT) | instid1(VALU_DEP_3)
	v_mov_b32_dpp v16, v6 row_shr:2 row_mask:0xf bank_mask:0xf
	v_mov_b32_dpp v17, v7 row_shr:2 row_mask:0xf bank_mask:0xf
	s_delay_alu instid0(VALU_DEP_3)
	v_mov_b32_dpp v18, v15 row_shr:2 row_mask:0xf bank_mask:0xf
	s_mov_b32 s19, exec_lo
	v_cmpx_lt_u32_e32 1, v14
	s_cbranch_execz .LBB452_94
; %bb.93:
	v_cmp_eq_u16_e64 s15, 0, v13
	v_and_b32_e32 v15, 1, v13
	s_delay_alu instid0(VALU_DEP_2) | instskip(SKIP_1) | instid1(VALU_DEP_3)
	v_dual_cndmask_b32 v17, 0, v17, s15 :: v_dual_bitop2_b32 v18, 1, v18 bitop3:0x40
	v_cndmask_b32_e64 v16, 0, v16, s15
	v_cmp_eq_u32_e64 s16, 1, v15
	s_delay_alu instid0(VALU_DEP_3) | instskip(NEXT) | instid1(VALU_DEP_3)
	v_cmp_eq_u32_e64 s17, 1, v18
	v_add_nc_u64_e32 v[6:7], v[16:17], v[6:7]
	s_or_b32 s15, s16, s17
	s_delay_alu instid0(SALU_CYCLE_1) | instskip(SKIP_1) | instid1(VALU_DEP_2)
	v_cndmask_b32_e64 v15, 0, 1, s15
	v_cndmask_b32_e64 v13, 0, 1, s15
	v_or_b32_e32 v15, v10, v15
.LBB452_94:
	s_or_b32 exec_lo, exec_lo, s19
	s_delay_alu instid0(VALU_DEP_4) | instskip(SKIP_1) | instid1(VALU_DEP_3)
	v_mov_b32_dpp v16, v6 row_shr:4 row_mask:0xf bank_mask:0xf
	v_mov_b32_dpp v17, v7 row_shr:4 row_mask:0xf bank_mask:0xf
	v_mov_b32_dpp v18, v15 row_shr:4 row_mask:0xf bank_mask:0xf
	s_mov_b32 s19, exec_lo
	v_cmpx_lt_u32_e32 3, v14
	s_cbranch_execz .LBB452_96
; %bb.95:
	v_cmp_eq_u16_e64 s15, 0, v13
	v_and_b32_e32 v15, 1, v13
	s_delay_alu instid0(VALU_DEP_2) | instskip(SKIP_1) | instid1(VALU_DEP_3)
	v_dual_cndmask_b32 v17, 0, v17, s15 :: v_dual_bitop2_b32 v18, 1, v18 bitop3:0x40
	v_cndmask_b32_e64 v16, 0, v16, s15
	v_cmp_eq_u32_e64 s16, 1, v15
	s_delay_alu instid0(VALU_DEP_3) | instskip(NEXT) | instid1(VALU_DEP_3)
	v_cmp_eq_u32_e64 s17, 1, v18
	v_add_nc_u64_e32 v[6:7], v[16:17], v[6:7]
	s_or_b32 s15, s16, s17
	s_delay_alu instid0(SALU_CYCLE_1) | instskip(SKIP_1) | instid1(VALU_DEP_2)
	v_cndmask_b32_e64 v15, 0, 1, s15
	v_cndmask_b32_e64 v13, 0, 1, s15
	v_or_b32_e32 v15, v10, v15
.LBB452_96:
	s_or_b32 exec_lo, exec_lo, s19
	s_delay_alu instid0(VALU_DEP_4) | instskip(SKIP_1) | instid1(VALU_DEP_3)
	v_mov_b32_dpp v16, v6 row_shr:8 row_mask:0xf bank_mask:0xf
	v_mov_b32_dpp v17, v7 row_shr:8 row_mask:0xf bank_mask:0xf
	;; [unrolled: 1-line block ×3, first 2 shown]
	s_mov_b32 s19, exec_lo
	v_cmpx_lt_u32_e32 7, v14
	s_cbranch_execz .LBB452_98
; %bb.97:
	v_and_b32_e32 v14, 1, v13
	v_cmp_eq_u16_e64 s15, 0, v13
	v_and_b32_e32 v15, 1, v18
	s_delay_alu instid0(VALU_DEP_3) | instskip(NEXT) | instid1(VALU_DEP_3)
	v_cmp_eq_u32_e64 s16, 1, v14
	v_cndmask_b32_e64 v14, 0, v16, s15
	s_delay_alu instid0(VALU_DEP_3) | instskip(SKIP_2) | instid1(VALU_DEP_1)
	v_cmp_eq_u32_e64 s17, 1, v15
	v_cndmask_b32_e64 v15, 0, v17, s15
	s_or_b32 s15, s16, s17
	v_add_nc_u64_e32 v[6:7], v[14:15], v[6:7]
	v_cndmask_b32_e64 v16, 0, 1, s15
	v_cndmask_b32_e64 v13, 0, 1, s15
	s_delay_alu instid0(VALU_DEP_2)
	v_or_b32_e32 v15, v10, v16
.LBB452_98:
	s_or_b32 exec_lo, exec_lo, s19
	ds_swizzle_b32 v14, v6 offset:swizzle(BROADCAST,32,15)
	ds_swizzle_b32 v16, v7 offset:swizzle(BROADCAST,32,15)
	;; [unrolled: 1-line block ×3, first 2 shown]
	v_and_b32_e32 v17, 16, v11
	s_mov_b32 s17, exec_lo
	s_delay_alu instid0(VALU_DEP_1)
	v_cmpx_ne_u32_e32 0, v17
	s_cbranch_execz .LBB452_100
; %bb.99:
	v_cmp_eq_u16_e64 s15, 0, v13
	v_and_b32_e32 v13, 1, v13
	s_wait_dscnt 0x0
	s_delay_alu instid0(VALU_DEP_2) | instskip(SKIP_1) | instid1(VALU_DEP_3)
	v_dual_cndmask_b32 v14, 0, v14, s15 :: v_dual_bitop2_b32 v17, 1, v15 bitop3:0x40
	v_cndmask_b32_e64 v15, 0, v16, s15
	v_cmp_eq_u32_e64 s15, 1, v13
	s_delay_alu instid0(VALU_DEP_3) | instskip(NEXT) | instid1(VALU_DEP_3)
	v_cmp_eq_u32_e64 s16, 1, v17
	v_add_nc_u64_e32 v[6:7], v[14:15], v[6:7]
	s_or_b32 s15, s15, s16
	s_delay_alu instid0(SALU_CYCLE_1)
	v_cndmask_b32_e64 v13, 0, 1, s15
.LBB452_100:
	s_or_b32 exec_lo, exec_lo, s17
	s_wait_dscnt 0x2
	v_add_nc_u32_e32 v14, -1, v11
	s_delay_alu instid0(VALU_DEP_2) | instskip(NEXT) | instid1(VALU_DEP_2)
	v_and_b32_e32 v13, 0xffff, v13
	; wave barrier
	v_cmp_gt_i32_e64 s15, 0, v14
	s_delay_alu instid0(VALU_DEP_1) | instskip(NEXT) | instid1(VALU_DEP_1)
	v_cndmask_b32_e64 v11, v14, v11, s15
	v_lshlrev_b32_e32 v11, 2, v11
	ds_bpermute_b32 v7, v11, v7
	ds_bpermute_b32 v6, v11, v6
	v_or_b32_e32 v10, v10, v13
	ds_bpermute_b32 v10, v11, v10
	v_and_b32_e32 v11, 0xff, v9
	s_delay_alu instid0(VALU_DEP_1) | instskip(SKIP_1) | instid1(VALU_DEP_1)
	v_cmp_eq_u32_e64 s15, 0, v11
	s_wait_dscnt 0x1
	v_dual_cndmask_b32 v7, 0, v7, s15 :: v_dual_cndmask_b32 v6, 0, v6, s15
	s_delay_alu instid0(VALU_DEP_1) | instskip(SKIP_1) | instid1(VALU_DEP_1)
	v_add_nc_u64_e32 v[4:5], v[6:7], v[4:5]
	s_wait_dscnt 0x0
	v_dual_cndmask_b32 v11, v5, v3, s2 :: v_dual_bitop2_b32 v9, v10, v9 bitop3:0x54
	s_delay_alu instid0(VALU_DEP_1) | instskip(NEXT) | instid1(VALU_DEP_1)
	v_dual_cndmask_b32 v10, v4, v2, s2 :: v_dual_bitop2_b32 v6, 1, v9 bitop3:0x40
	v_cndmask_b32_e64 v9, v6, v12, s2
	ds_store_b64 v8, v[10:11]
	ds_store_b8 v8, v9 offset:8
	; wave barrier
	ds_load_u8 v13, v8 offset:24
	ds_load_2addr_b64 v[4:7], v8 offset0:2 offset1:4
	ds_load_u8 v24, v8 offset:40
	ds_load_u8 v25, v8 offset:56
	;; [unrolled: 1-line block ×5, first 2 shown]
	ds_load_b64 v[18:19], v8 offset:112
	ds_load_u8 v29, v8 offset:120
	s_wait_dscnt 0x8
	v_and_b32_e32 v14, 0xff, v13
	s_wait_dscnt 0x5
	v_and_b32_e32 v22, 0xff, v25
	s_delay_alu instid0(VALU_DEP_2) | instskip(SKIP_3) | instid1(VALU_DEP_3)
	v_cmp_eq_u16_e64 s15, 0, v14
	v_and_b32_e32 v14, 0xff, v24
	s_wait_dscnt 0x3
	v_and_b32_e32 v60, 0xff, v27
	v_dual_cndmask_b32 v11, 0, v11, s15 :: v_dual_cndmask_b32 v10, 0, v10, s15
	s_delay_alu instid0(VALU_DEP_3) | instskip(SKIP_3) | instid1(VALU_DEP_1)
	v_cmp_eq_u16_e64 s15, 0, v14
	ds_load_2addr_b64 v[14:17], v8 offset0:6 offset1:8
	v_bitop3_b16 v61, v13, 1, v9 bitop3:0xc8
	v_add_nc_u64_e32 v[10:11], v[10:11], v[4:5]
	v_dual_cndmask_b32 v5, 0, v11, s15 :: v_dual_cndmask_b32 v4, 0, v10, s15
	v_cmp_eq_u16_e64 s15, 0, v22
	s_delay_alu instid0(VALU_DEP_2) | instskip(SKIP_1) | instid1(VALU_DEP_2)
	v_add_nc_u64_e32 v[20:21], v[4:5], v[6:7]
	v_and_b32_e32 v6, 0xff, v26
	v_dual_cndmask_b32 v5, 0, v21, s15 :: v_dual_cndmask_b32 v4, 0, v20, s15
	s_delay_alu instid0(VALU_DEP_2) | instskip(SKIP_1) | instid1(VALU_DEP_2)
	v_cmp_eq_u16_e64 s15, 0, v6
	s_wait_dscnt 0x0
	v_add_nc_u64_e32 v[14:15], v[4:5], v[14:15]
	ds_load_2addr_b64 v[4:7], v8 offset0:10 offset1:12
	v_dual_cndmask_b32 v23, 0, v15, s15 :: v_dual_cndmask_b32 v22, 0, v14, s15
	v_cmp_eq_u16_e64 s15, 0, v60
	v_and_b32_e32 v60, 0xff, v28
	s_delay_alu instid0(VALU_DEP_3) | instskip(NEXT) | instid1(VALU_DEP_1)
	v_add_nc_u64_e32 v[16:17], v[22:23], v[16:17]
	v_dual_cndmask_b32 v23, 0, v17, s15 :: v_dual_cndmask_b32 v22, 0, v16, s15
	s_delay_alu instid0(VALU_DEP_3) | instskip(SKIP_4) | instid1(VALU_DEP_3)
	v_cmp_eq_u16_e64 s15, 0, v60
	v_or_b32_e32 v60, v13, v9
	v_bitop3_b16 v9, v24, v13, v9 bitop3:0xfe
	s_wait_dscnt 0x0
	v_add_nc_u64_e32 v[4:5], v[22:23], v[4:5]
	v_bitop3_b16 v13, v25, v24, v60 bitop3:0xfe
	v_bitop3_b16 v24, v24, 1, v60 bitop3:0xc8
	;; [unrolled: 1-line block ×4, first 2 shown]
	v_dual_cndmask_b32 v23, 0, v5, s15 :: v_dual_cndmask_b32 v22, 0, v4, s15
	v_cmp_eq_u16_e64 s15, 0, v29
	s_delay_alu instid0(VALU_DEP_3) | instskip(SKIP_1) | instid1(VALU_DEP_4)
	v_bitop3_b16 v25, v28, v27, v9 bitop3:0xfe
	v_bitop3_b16 v9, v27, 1, v9 bitop3:0xc8
	v_add_nc_u64_e32 v[6:7], v[22:23], v[6:7]
	v_bitop3_b16 v22, v27, v26, v13 bitop3:0xfe
	v_bitop3_b16 v13, v26, 1, v13 bitop3:0xc8
	ds_store_2addr_b64 v8, v[10:11], v[20:21] offset0:2 offset1:4
	ds_store_2addr_b64 v8, v[14:15], v[16:17] offset0:6 offset1:8
	;; [unrolled: 1-line block ×3, first 2 shown]
	v_bitop3_b16 v26, v28, 1, v22 bitop3:0xc8
	v_dual_cndmask_b32 v23, 0, v7, s15 :: v_dual_cndmask_b32 v22, 0, v6, s15
	v_bitop3_b16 v25, v29, 1, v25 bitop3:0xc8
	s_delay_alu instid0(VALU_DEP_2)
	v_add_nc_u64_e32 v[4:5], v[22:23], v[18:19]
	ds_store_b8 v8, v61 offset:24
	ds_store_b8 v8, v24 offset:40
	;; [unrolled: 1-line block ×6, first 2 shown]
	ds_store_b64 v8, v[4:5] offset:112
	ds_store_b8 v8, v25 offset:120
.LBB452_101:
	s_or_b32 exec_lo, exec_lo, s18
	s_wait_dscnt 0x0
	s_barrier_signal -1
	s_barrier_wait -1
	s_and_saveexec_b32 s15, s3
	s_cbranch_execz .LBB452_103
; %bb.102:
	v_add_nc_u32_e32 v2, -1, v0
	s_delay_alu instid0(VALU_DEP_1) | instskip(NEXT) | instid1(VALU_DEP_1)
	v_lshrrev_b32_e32 v3, 1, v2
	v_and_b32_e32 v3, 0x7ffffff0, v3
	s_delay_alu instid0(VALU_DEP_1)
	v_lshl_add_u32 v4, v2, 4, v3
	ds_load_b64 v[2:3], v4
	ds_load_u8 v12, v4 offset:8
.LBB452_103:
	s_or_b32 exec_lo, exec_lo, s15
	s_and_saveexec_b32 s18, vcc_lo
	s_cbranch_execz .LBB452_155
; %bb.104:
	v_mov_b32_e32 v9, 0
	v_mbcnt_lo_u32_b32 v14, -1, 0
	s_mov_b32 s17, 0
	ds_load_b64 v[4:5], v9 offset:4192
	ds_load_u8 v13, v9 offset:4200
	v_cmp_eq_u32_e64 s15, 0, v14
	s_and_saveexec_b32 s19, s15
	s_cbranch_execz .LBB452_106
; %bb.105:
	s_add_co_i32 s16, s43, 32
	s_delay_alu instid0(SALU_CYCLE_1) | instskip(SKIP_1) | instid1(SALU_CYCLE_1)
	v_dual_mov_b32 v6, 1 :: v_dual_mov_b32 v7, s16
	s_lshl_b64 s[20:21], s[16:17], 4
	s_add_nc_u64 s[16:17], s[36:37], s[20:21]
	s_wait_dscnt 0x1
	global_store_b64 v9, v[4:5], s[16:17]
	s_wait_dscnt 0x0
	global_store_b8 v9, v13, s[16:17] offset:8
	global_wb scope:SCOPE_DEV
	s_wait_storecnt 0x0
	global_inv scope:SCOPE_DEV
	s_wait_xcnt 0x0
	global_store_b8 v7, v6, s[40:41] scope:SCOPE_DEV
.LBB452_106:
	s_wait_xcnt 0x0
	s_or_b32 exec_lo, exec_lo, s19
	v_xad_u32 v6, v14, -1, s43
	s_mov_b32 s16, exec_lo
	s_delay_alu instid0(VALU_DEP_1)
	v_add_nc_u32_e32 v8, 32, v6
	global_load_u8 v15, v8, s[40:41] scope:SCOPE_DEV
	s_wait_loadcnt 0x0
	v_cmpx_eq_u16_e32 0, v15
	s_cbranch_execz .LBB452_110
; %bb.107:
	v_add_nc_u64_e32 v[10:11], s[40:41], v[8:9]
	s_mov_b32 s17, 0
.LBB452_108:                            ; =>This Inner Loop Header: Depth=1
	global_load_u8 v15, v[10:11], off scope:SCOPE_DEV
	s_wait_loadcnt 0x0
	v_cmp_ne_u16_e32 vcc_lo, 0, v15
	s_or_b32 s17, vcc_lo, s17
	s_wait_xcnt 0x0
	s_and_not1_b32 exec_lo, exec_lo, s17
	s_cbranch_execnz .LBB452_108
; %bb.109:
	s_or_b32 exec_lo, exec_lo, s17
.LBB452_110:
	s_delay_alu instid0(SALU_CYCLE_1)
	s_or_b32 exec_lo, exec_lo, s16
	v_dual_mov_b32 v7, s37 :: v_dual_mov_b32 v10, s36
	v_cmp_eq_u16_e32 vcc_lo, 1, v15
	global_wb scope:SCOPE_DEV
	s_wait_storecnt_dscnt 0x0
	global_inv scope:SCOPE_DEV
	v_lshlrev_b32_e64 v17, v14, -1
	s_mov_b32 s16, exec_lo
	v_cndmask_b32_e32 v11, s39, v7, vcc_lo
	v_cndmask_b32_e32 v10, s38, v10, vcc_lo
	v_cmp_ne_u32_e32 vcc_lo, 31, v14
	v_add_co_ci_u32_e64 v7, null, 0, v14, vcc_lo
	v_cmp_eq_u16_e32 vcc_lo, 2, v15
	s_delay_alu instid0(VALU_DEP_2)
	v_lshlrev_b32_e32 v16, 2, v7
	v_lshl_add_u64 v[8:9], v[8:9], 4, v[10:11]
	s_clause 0x1
	global_load_u8 v27, v[8:9], off offset:8
	global_load_b64 v[10:11], v[8:9], off
	v_and_or_b32 v7, vcc_lo, v17, 0x80000000
	s_delay_alu instid0(VALU_DEP_1)
	v_ctz_i32_b32_e32 v7, v7
	s_wait_loadcnt 0x1
	s_wait_xcnt 0x0
	v_and_b32_e32 v8, 1, v27
	s_wait_loadcnt 0x0
	ds_bpermute_b32 v18, v16, v10
	ds_bpermute_b32 v19, v16, v11
	;; [unrolled: 1-line block ×3, first 2 shown]
	v_cmpx_lt_u32_e64 v14, v7
	s_cbranch_execz .LBB452_112
; %bb.111:
	v_and_b32_e32 v8, 0xff, v27
	s_wait_dscnt 0x0
	v_bitop3_b16 v27, v9, v27, 1 bitop3:0xec
	s_delay_alu instid0(VALU_DEP_2) | instskip(NEXT) | instid1(VALU_DEP_2)
	v_cmp_eq_u16_e32 vcc_lo, 0, v8
	v_and_b32_e32 v8, 0xff, v27
	v_dual_cndmask_b32 v19, 0, v19 :: v_dual_cndmask_b32 v18, 0, v18
	s_delay_alu instid0(VALU_DEP_1)
	v_add_nc_u64_e32 v[10:11], v[18:19], v[10:11]
.LBB452_112:
	s_or_b32 exec_lo, exec_lo, s16
	v_cmp_gt_u32_e32 vcc_lo, 30, v14
	s_wait_dscnt 0x1
	v_add_nc_u32_e32 v19, 2, v14
	s_mov_b32 s17, exec_lo
	s_wait_dscnt 0x0
	v_cndmask_b32_e64 v9, 0, 2, vcc_lo
	s_delay_alu instid0(VALU_DEP_1)
	v_add_lshl_u32 v18, v9, v14, 2
	ds_bpermute_b32 v9, v18, v10
	ds_bpermute_b32 v20, v18, v11
	;; [unrolled: 1-line block ×3, first 2 shown]
	v_cmpx_le_u32_e64 v19, v7
	s_cbranch_execz .LBB452_114
; %bb.113:
	v_and_b32_e32 v8, 0xff, v27
	s_delay_alu instid0(VALU_DEP_1) | instskip(SKIP_3) | instid1(VALU_DEP_2)
	v_cmp_eq_u16_e32 vcc_lo, 0, v8
	v_and_b32_e32 v22, 1, v27
	s_wait_dscnt 0x0
	v_dual_cndmask_b32 v21, 0, v20, vcc_lo :: v_dual_bitop2_b32 v8, 1, v21 bitop3:0x40
	v_cmp_eq_u32_e64 s16, 1, v22
	v_cndmask_b32_e32 v20, 0, v9, vcc_lo
	s_delay_alu instid0(VALU_DEP_3) | instskip(NEXT) | instid1(VALU_DEP_2)
	v_cmp_eq_u32_e32 vcc_lo, 1, v8
	v_add_nc_u64_e32 v[10:11], v[20:21], v[10:11]
	s_or_b32 s16, s16, vcc_lo
	s_delay_alu instid0(SALU_CYCLE_1)
	v_cndmask_b32_e64 v27, 0, 1, s16
	v_cndmask_b32_e64 v8, 0, 1, s16
.LBB452_114:
	s_or_b32 exec_lo, exec_lo, s17
	v_cmp_gt_u32_e32 vcc_lo, 28, v14
	s_wait_dscnt 0x0
	v_add_nc_u32_e32 v21, 4, v14
	s_mov_b32 s17, exec_lo
	v_cndmask_b32_e64 v9, 0, 4, vcc_lo
	s_delay_alu instid0(VALU_DEP_1)
	v_add_lshl_u32 v20, v9, v14, 2
	ds_bpermute_b32 v9, v20, v10
	ds_bpermute_b32 v22, v20, v11
	;; [unrolled: 1-line block ×3, first 2 shown]
	v_cmpx_le_u32_e64 v21, v7
	s_cbranch_execz .LBB452_116
; %bb.115:
	v_and_b32_e32 v8, 0xff, v27
	s_delay_alu instid0(VALU_DEP_1) | instskip(SKIP_3) | instid1(VALU_DEP_2)
	v_cmp_eq_u16_e32 vcc_lo, 0, v8
	v_and_b32_e32 v24, 1, v27
	s_wait_dscnt 0x0
	v_dual_cndmask_b32 v23, 0, v22, vcc_lo :: v_dual_bitop2_b32 v8, 1, v23 bitop3:0x40
	v_cmp_eq_u32_e64 s16, 1, v24
	v_cndmask_b32_e32 v22, 0, v9, vcc_lo
	s_delay_alu instid0(VALU_DEP_3) | instskip(NEXT) | instid1(VALU_DEP_2)
	v_cmp_eq_u32_e32 vcc_lo, 1, v8
	v_add_nc_u64_e32 v[10:11], v[22:23], v[10:11]
	s_or_b32 s16, s16, vcc_lo
	s_delay_alu instid0(SALU_CYCLE_1)
	v_cndmask_b32_e64 v27, 0, 1, s16
	v_cndmask_b32_e64 v8, 0, 1, s16
.LBB452_116:
	s_or_b32 exec_lo, exec_lo, s17
	v_cmp_gt_u32_e32 vcc_lo, 24, v14
	s_wait_dscnt 0x0
	v_add_nc_u32_e32 v23, 8, v14
	s_mov_b32 s17, exec_lo
	v_cndmask_b32_e64 v9, 0, 8, vcc_lo
	s_delay_alu instid0(VALU_DEP_1)
	v_add_lshl_u32 v22, v9, v14, 2
	ds_bpermute_b32 v9, v22, v10
	ds_bpermute_b32 v24, v22, v11
	;; [unrolled: 1-line block ×3, first 2 shown]
	v_cmpx_le_u32_e64 v23, v7
	s_cbranch_execz .LBB452_118
; %bb.117:
	v_and_b32_e32 v8, 0xff, v27
	s_delay_alu instid0(VALU_DEP_1) | instskip(SKIP_3) | instid1(VALU_DEP_2)
	v_cmp_eq_u16_e32 vcc_lo, 0, v8
	v_and_b32_e32 v26, 1, v27
	s_wait_dscnt 0x0
	v_dual_cndmask_b32 v25, 0, v24, vcc_lo :: v_dual_bitop2_b32 v8, 1, v25 bitop3:0x40
	v_cmp_eq_u32_e64 s16, 1, v26
	v_cndmask_b32_e32 v24, 0, v9, vcc_lo
	s_delay_alu instid0(VALU_DEP_3) | instskip(NEXT) | instid1(VALU_DEP_2)
	v_cmp_eq_u32_e32 vcc_lo, 1, v8
	v_add_nc_u64_e32 v[10:11], v[24:25], v[10:11]
	s_or_b32 s16, s16, vcc_lo
	s_delay_alu instid0(SALU_CYCLE_1)
	v_cndmask_b32_e64 v27, 0, 1, s16
	v_cndmask_b32_e64 v8, 0, 1, s16
.LBB452_118:
	s_or_b32 exec_lo, exec_lo, s17
	s_wait_dscnt 0x1
	v_lshl_or_b32 v24, v14, 2, 64
	v_add_nc_u32_e32 v26, 16, v14
	s_mov_b32 s17, exec_lo
	ds_bpermute_b32 v9, v24, v10
	s_wait_dscnt 0x1
	ds_bpermute_b32 v25, v24, v11
	ds_bpermute_b32 v8, v24, v8
	v_cmpx_le_u32_e64 v26, v7
	s_cbranch_execz .LBB452_120
; %bb.119:
	v_and_b32_e32 v7, 0xff, v27
	s_delay_alu instid0(VALU_DEP_1) | instskip(SKIP_4) | instid1(VALU_DEP_3)
	v_cmp_eq_u16_e32 vcc_lo, 0, v7
	v_and_b32_e32 v7, 1, v27
	s_wait_dscnt 0x0
	v_dual_cndmask_b32 v28, 0, v9, vcc_lo :: v_dual_bitop2_b32 v8, 1, v8 bitop3:0x40
	v_cndmask_b32_e32 v29, 0, v25, vcc_lo
	v_cmp_eq_u32_e32 vcc_lo, 1, v7
	s_delay_alu instid0(VALU_DEP_3) | instskip(NEXT) | instid1(VALU_DEP_3)
	v_cmp_eq_u32_e64 s16, 1, v8
	v_add_nc_u64_e32 v[10:11], v[28:29], v[10:11]
	s_or_b32 s16, vcc_lo, s16
	s_delay_alu instid0(SALU_CYCLE_1)
	v_cndmask_b32_e64 v27, 0, 1, s16
.LBB452_120:
	s_or_b32 exec_lo, exec_lo, s17
	v_mov_b32_e32 v7, 0
	s_branch .LBB452_123
.LBB452_121:                            ;   in Loop: Header=BB452_123 Depth=1
	s_or_b32 exec_lo, exec_lo, s19
	v_and_b32_e32 v27, 0xff, v25
	v_subrev_nc_u32_e32 v6, 32, v6
	s_delay_alu instid0(VALU_DEP_2) | instskip(SKIP_2) | instid1(VALU_DEP_2)
	v_cmp_eq_u16_e32 vcc_lo, 0, v27
	v_dual_cndmask_b32 v11, 0, v11, vcc_lo :: v_dual_bitop2_b32 v27, 1, v25 bitop3:0x40
	v_cndmask_b32_e32 v10, 0, v10, vcc_lo
	v_cmp_eq_u32_e32 vcc_lo, 1, v27
	s_delay_alu instid0(VALU_DEP_2) | instskip(SKIP_1) | instid1(SALU_CYCLE_1)
	v_add_nc_u64_e32 v[10:11], v[10:11], v[8:9]
	s_or_b32 s16, vcc_lo, s17
	v_cndmask_b32_e64 v27, 0, 1, s16
	s_mov_b32 s16, 0
.LBB452_122:                            ;   in Loop: Header=BB452_123 Depth=1
	s_delay_alu instid0(SALU_CYCLE_1)
	s_and_b32 vcc_lo, exec_lo, s16
	s_cbranch_vccnz .LBB452_151
.LBB452_123:                            ; =>This Loop Header: Depth=1
                                        ;     Child Loop BB452_126 Depth 2
	s_wait_dscnt 0x0
	v_and_b32_e32 v8, 0xff, v15
	v_mov_b32_e32 v25, v27
	s_mov_b32 s16, -1
                                        ; implicit-def: $vgpr27
                                        ; implicit-def: $vgpr15
	s_delay_alu instid0(VALU_DEP_2)
	v_cmp_ne_u16_e32 vcc_lo, 2, v8
	v_mov_b64_e32 v[8:9], v[10:11]
                                        ; implicit-def: $vgpr10_vgpr11
	s_cmp_lg_u32 vcc_lo, exec_lo
	s_cbranch_scc1 .LBB452_122
; %bb.124:                              ;   in Loop: Header=BB452_123 Depth=1
	global_load_u8 v15, v6, s[40:41] scope:SCOPE_DEV
	s_mov_b32 s16, exec_lo
	s_wait_loadcnt 0x0
	v_cmpx_eq_u16_e32 0, v15
	s_cbranch_execz .LBB452_128
; %bb.125:                              ;   in Loop: Header=BB452_123 Depth=1
	v_add_nc_u64_e32 v[10:11], s[40:41], v[6:7]
	s_mov_b32 s17, 0
.LBB452_126:                            ;   Parent Loop BB452_123 Depth=1
                                        ; =>  This Inner Loop Header: Depth=2
	global_load_u8 v15, v[10:11], off scope:SCOPE_DEV
	s_wait_loadcnt 0x0
	v_cmp_ne_u16_e32 vcc_lo, 0, v15
	s_or_b32 s17, vcc_lo, s17
	s_delay_alu instid0(SALU_CYCLE_1)
	s_and_not1_b32 exec_lo, exec_lo, s17
	s_cbranch_execnz .LBB452_126
; %bb.127:                              ;   in Loop: Header=BB452_123 Depth=1
	s_or_b32 exec_lo, exec_lo, s17
.LBB452_128:                            ;   in Loop: Header=BB452_123 Depth=1
	s_delay_alu instid0(SALU_CYCLE_1)
	s_or_b32 exec_lo, exec_lo, s16
	v_dual_mov_b32 v10, s37 :: v_dual_mov_b32 v27, s36
	v_cmp_eq_u16_e32 vcc_lo, 1, v15
	global_wb scope:SCOPE_DEV
	s_wait_storecnt 0x0
	global_inv scope:SCOPE_DEV
	s_mov_b32 s16, exec_lo
	v_cndmask_b32_e32 v11, s39, v10, vcc_lo
	v_cndmask_b32_e32 v10, s38, v27, vcc_lo
	v_cmp_eq_u16_e32 vcc_lo, 2, v15
	s_delay_alu instid0(VALU_DEP_2)
	v_lshl_add_u64 v[60:61], v[6:7], 4, v[10:11]
	v_and_or_b32 v27, vcc_lo, v17, 0x80000000
	s_clause 0x1
	global_load_u8 v28, v[60:61], off offset:8
	global_load_b64 v[10:11], v[60:61], off
	v_ctz_i32_b32_e32 v27, v27
	s_wait_loadcnt 0x1
	v_and_b32_e32 v29, 1, v28
	s_wait_loadcnt 0x0
	ds_bpermute_b32 v61, v16, v10
	ds_bpermute_b32 v85, v16, v11
	;; [unrolled: 1-line block ×3, first 2 shown]
	v_cmpx_lt_u32_e64 v14, v27
	s_cbranch_execz .LBB452_130
; %bb.129:                              ;   in Loop: Header=BB452_123 Depth=1
	v_and_b32_e32 v29, 0xff, v28
	s_wait_dscnt 0x0
	v_bitop3_b16 v28, v60, v28, 1 bitop3:0xec
	s_delay_alu instid0(VALU_DEP_2) | instskip(NEXT) | instid1(VALU_DEP_2)
	v_cmp_eq_u16_e32 vcc_lo, 0, v29
	v_and_b32_e32 v29, 0xff, v28
	v_cndmask_b32_e32 v87, 0, v85, vcc_lo
	v_cndmask_b32_e32 v86, 0, v61, vcc_lo
	s_delay_alu instid0(VALU_DEP_1)
	v_add_nc_u64_e32 v[10:11], v[86:87], v[10:11]
.LBB452_130:                            ;   in Loop: Header=BB452_123 Depth=1
	s_or_b32 exec_lo, exec_lo, s16
	s_wait_dscnt 0x0
	ds_bpermute_b32 v60, v18, v10
	ds_bpermute_b32 v61, v18, v11
	;; [unrolled: 1-line block ×3, first 2 shown]
	v_and_b32_e32 v86, 1, v28
	s_mov_b32 s16, exec_lo
	s_delay_alu instid0(VALU_DEP_1)
	v_cmp_eq_u32_e64 s17, 1, v86
	v_cmpx_le_u32_e64 v19, v27
	s_cbranch_execz .LBB452_132
; %bb.131:                              ;   in Loop: Header=BB452_123 Depth=1
	v_and_b32_e32 v28, 0xff, v28
	s_delay_alu instid0(VALU_DEP_1) | instskip(SKIP_3) | instid1(VALU_DEP_2)
	v_cmp_eq_u16_e32 vcc_lo, 0, v28
	s_wait_dscnt 0x0
	v_dual_cndmask_b32 v28, 0, v60, vcc_lo :: v_dual_bitop2_b32 v85, 1, v85 bitop3:0x40
	v_cndmask_b32_e32 v29, 0, v61, vcc_lo
	v_cmp_eq_u32_e32 vcc_lo, 1, v85
	s_delay_alu instid0(VALU_DEP_2)
	v_add_nc_u64_e32 v[10:11], v[28:29], v[10:11]
	s_or_b32 s19, s17, vcc_lo
	s_and_not1_b32 s17, s17, exec_lo
	v_cndmask_b32_e64 v28, 0, 1, s19
	v_cndmask_b32_e64 v29, 0, 1, s19
	s_and_b32 s19, s19, exec_lo
	s_delay_alu instid0(SALU_CYCLE_1)
	s_or_b32 s17, s17, s19
.LBB452_132:                            ;   in Loop: Header=BB452_123 Depth=1
	s_or_b32 exec_lo, exec_lo, s16
	s_wait_dscnt 0x2
	ds_bpermute_b32 v60, v20, v10
	s_wait_dscnt 0x2
	ds_bpermute_b32 v61, v20, v11
	;; [unrolled: 2-line block ×3, first 2 shown]
	s_mov_b32 s19, exec_lo
	v_cmpx_le_u32_e64 v21, v27
	s_cbranch_execz .LBB452_134
; %bb.133:                              ;   in Loop: Header=BB452_123 Depth=1
	v_and_b32_e32 v29, 0xff, v28
	s_and_not1_b32 s17, s17, exec_lo
	s_delay_alu instid0(VALU_DEP_1) | instskip(SKIP_4) | instid1(VALU_DEP_3)
	v_cmp_eq_u16_e32 vcc_lo, 0, v29
	v_and_b32_e32 v28, 1, v28
	s_wait_dscnt 0x0
	v_and_b32_e32 v85, 1, v85
	v_cndmask_b32_e32 v29, 0, v61, vcc_lo
	v_cmp_eq_u32_e64 s16, 1, v28
	v_cndmask_b32_e32 v28, 0, v60, vcc_lo
	s_delay_alu instid0(VALU_DEP_4) | instskip(NEXT) | instid1(VALU_DEP_2)
	v_cmp_eq_u32_e32 vcc_lo, 1, v85
	v_add_nc_u64_e32 v[10:11], v[28:29], v[10:11]
	s_or_b32 s16, s16, vcc_lo
	s_delay_alu instid0(SALU_CYCLE_1) | instskip(SKIP_2) | instid1(SALU_CYCLE_1)
	v_cndmask_b32_e64 v28, 0, 1, s16
	v_cndmask_b32_e64 v29, 0, 1, s16
	s_and_b32 s16, s16, exec_lo
	s_or_b32 s17, s17, s16
.LBB452_134:                            ;   in Loop: Header=BB452_123 Depth=1
	s_or_b32 exec_lo, exec_lo, s19
	s_wait_dscnt 0x2
	ds_bpermute_b32 v60, v22, v10
	s_wait_dscnt 0x2
	ds_bpermute_b32 v61, v22, v11
	;; [unrolled: 2-line block ×3, first 2 shown]
	s_mov_b32 s19, exec_lo
	v_cmpx_le_u32_e64 v23, v27
	s_cbranch_execz .LBB452_136
; %bb.135:                              ;   in Loop: Header=BB452_123 Depth=1
	v_and_b32_e32 v29, 0xff, v28
	s_and_not1_b32 s17, s17, exec_lo
	s_delay_alu instid0(VALU_DEP_1) | instskip(SKIP_4) | instid1(VALU_DEP_3)
	v_cmp_eq_u16_e32 vcc_lo, 0, v29
	v_and_b32_e32 v28, 1, v28
	s_wait_dscnt 0x0
	v_and_b32_e32 v85, 1, v85
	v_cndmask_b32_e32 v29, 0, v61, vcc_lo
	v_cmp_eq_u32_e64 s16, 1, v28
	v_cndmask_b32_e32 v28, 0, v60, vcc_lo
	s_delay_alu instid0(VALU_DEP_4) | instskip(NEXT) | instid1(VALU_DEP_2)
	v_cmp_eq_u32_e32 vcc_lo, 1, v85
	v_add_nc_u64_e32 v[10:11], v[28:29], v[10:11]
	s_or_b32 s16, s16, vcc_lo
	s_delay_alu instid0(SALU_CYCLE_1) | instskip(SKIP_2) | instid1(SALU_CYCLE_1)
	v_cndmask_b32_e64 v28, 0, 1, s16
	v_cndmask_b32_e64 v29, 0, 1, s16
	s_and_b32 s16, s16, exec_lo
	s_or_b32 s17, s17, s16
.LBB452_136:                            ;   in Loop: Header=BB452_123 Depth=1
	s_or_b32 exec_lo, exec_lo, s19
	s_wait_dscnt 0x2
	ds_bpermute_b32 v60, v24, v10
	s_wait_dscnt 0x2
	ds_bpermute_b32 v61, v24, v11
	ds_bpermute_b32 v29, v24, v29
	s_mov_b32 s19, exec_lo
	v_cmpx_le_u32_e64 v26, v27
	s_cbranch_execz .LBB452_121
; %bb.137:                              ;   in Loop: Header=BB452_123 Depth=1
	v_and_b32_e32 v27, 0xff, v28
	s_and_not1_b32 s17, s17, exec_lo
	s_delay_alu instid0(VALU_DEP_1) | instskip(SKIP_4) | instid1(VALU_DEP_3)
	v_cmp_eq_u16_e32 vcc_lo, 0, v27
	v_and_b32_e32 v27, 1, v28
	s_wait_dscnt 0x0
	v_dual_cndmask_b32 v28, 0, v60, vcc_lo :: v_dual_bitop2_b32 v85, 1, v29 bitop3:0x40
	v_cndmask_b32_e32 v29, 0, v61, vcc_lo
	v_cmp_eq_u32_e32 vcc_lo, 1, v27
	s_delay_alu instid0(VALU_DEP_3) | instskip(NEXT) | instid1(VALU_DEP_3)
	v_cmp_eq_u32_e64 s16, 1, v85
	v_add_nc_u64_e32 v[10:11], v[28:29], v[10:11]
	s_or_b32 s16, vcc_lo, s16
	s_delay_alu instid0(SALU_CYCLE_1) | instskip(NEXT) | instid1(SALU_CYCLE_1)
	s_and_b32 s16, s16, exec_lo
	s_or_b32 s17, s17, s16
	s_branch .LBB452_121
.LBB452_138:
	s_or_b32 exec_lo, exec_lo, s16
                                        ; implicit-def: $vgpr32_vgpr33
	s_and_saveexec_b32 s16, s1
	s_cbranch_execz .LBB452_37
.LBB452_139:
	flat_load_b64 v[32:33], v0, s[18:19] offset:2048 scale_offset
	s_wait_xcnt 0x0
	s_or_b32 exec_lo, exec_lo, s16
                                        ; implicit-def: $vgpr34_vgpr35
	s_and_saveexec_b32 s1, s4
	s_cbranch_execnz .LBB452_38
.LBB452_140:
	s_or_b32 exec_lo, exec_lo, s1
                                        ; implicit-def: $vgpr36_vgpr37
	s_and_saveexec_b32 s1, s5
	s_cbranch_execz .LBB452_39
.LBB452_141:
	flat_load_b64 v[36:37], v0, s[18:19] offset:6144 scale_offset
	s_wait_xcnt 0x0
	s_or_b32 exec_lo, exec_lo, s1
                                        ; implicit-def: $vgpr38_vgpr39
	s_and_saveexec_b32 s1, s6
	s_cbranch_execnz .LBB452_40
.LBB452_142:
	s_or_b32 exec_lo, exec_lo, s1
                                        ; implicit-def: $vgpr40_vgpr41
	s_and_saveexec_b32 s1, s7
	s_cbranch_execz .LBB452_41
.LBB452_143:
	flat_load_b64 v[40:41], v0, s[18:19] offset:10240 scale_offset
	s_wait_xcnt 0x0
	s_or_b32 exec_lo, exec_lo, s1
                                        ; implicit-def: $vgpr42_vgpr43
	s_and_saveexec_b32 s1, s8
	s_cbranch_execnz .LBB452_42
.LBB452_144:
	s_or_b32 exec_lo, exec_lo, s1
                                        ; implicit-def: $vgpr44_vgpr45
	s_and_saveexec_b32 s1, s9
	s_cbranch_execz .LBB452_43
.LBB452_145:
	flat_load_b64 v[44:45], v0, s[18:19] offset:14336 scale_offset
	s_wait_xcnt 0x0
	s_or_b32 exec_lo, exec_lo, s1
                                        ; implicit-def: $vgpr46_vgpr47
	s_and_saveexec_b32 s1, s10
	s_cbranch_execnz .LBB452_44
.LBB452_146:
	s_or_b32 exec_lo, exec_lo, s1
                                        ; implicit-def: $vgpr48_vgpr49
	s_and_saveexec_b32 s1, s11
	s_cbranch_execz .LBB452_45
.LBB452_147:
	flat_load_b64 v[48:49], v0, s[18:19] offset:18432 scale_offset
	s_wait_xcnt 0x0
	s_or_b32 exec_lo, exec_lo, s1
                                        ; implicit-def: $vgpr50_vgpr51
	s_and_saveexec_b32 s1, s12
	s_cbranch_execnz .LBB452_46
.LBB452_148:
	s_or_b32 exec_lo, exec_lo, s1
                                        ; implicit-def: $vgpr52_vgpr53
	s_and_saveexec_b32 s1, s13
	s_cbranch_execz .LBB452_47
.LBB452_149:
	flat_load_b64 v[52:53], v0, s[18:19] offset:22528 scale_offset
	s_wait_xcnt 0x0
	s_or_b32 exec_lo, exec_lo, s1
                                        ; implicit-def: $vgpr54_vgpr55
	s_and_saveexec_b32 s1, s14
	s_cbranch_execz .LBB452_49
	s_branch .LBB452_48
.LBB452_150:
                                        ; implicit-def: $vgpr60_vgpr61
                                        ; implicit-def: $vgpr26_vgpr27
                                        ; implicit-def: $vgpr24_vgpr25
                                        ; implicit-def: $vgpr20_vgpr21
                                        ; implicit-def: $vgpr16_vgpr17
                                        ; implicit-def: $vgpr8_vgpr9
                                        ; implicit-def: $vgpr12_vgpr13
                                        ; implicit-def: $vgpr4_vgpr5
	s_cbranch_execnz .LBB452_156
	s_branch .LBB452_175
.LBB452_151:
	s_and_saveexec_b32 s16, s15
	s_cbranch_execz .LBB452_153
; %bb.152:
	v_and_b32_e32 v6, 0xff, v13
	s_add_co_i32 s20, s43, 32
	s_mov_b32 s21, 0
	v_mov_b32_e32 v11, s20
	v_bitop3_b16 v10, v13, 1, v25 bitop3:0xc8
	v_cmp_eq_u32_e32 vcc_lo, 0, v6
	s_lshl_b64 s[22:23], s[20:21], 4
	s_delay_alu instid0(SALU_CYCLE_1) | instskip(SKIP_1) | instid1(VALU_DEP_1)
	s_add_nc_u64 s[20:21], s[38:39], s[22:23]
	v_dual_cndmask_b32 v7, 0, v9 :: v_dual_cndmask_b32 v6, 0, v8
	v_add_nc_u64_e32 v[4:5], v[6:7], v[4:5]
	v_dual_mov_b32 v6, 0 :: v_dual_mov_b32 v7, 2
	s_clause 0x1
	global_store_b64 v6, v[4:5], s[20:21]
	global_store_b8 v6, v10, s[20:21] offset:8
	global_wb scope:SCOPE_DEV
	s_wait_storecnt_dscnt 0x0
	global_inv scope:SCOPE_DEV
	s_wait_xcnt 0x0
	global_store_b8 v11, v7, s[40:41] scope:SCOPE_DEV
.LBB452_153:
	s_wait_xcnt 0x0
	s_or_b32 exec_lo, exec_lo, s16
	s_delay_alu instid0(SALU_CYCLE_1)
	s_and_b32 exec_lo, exec_lo, s2
	s_cbranch_execz .LBB452_155
; %bb.154:
	v_mov_b32_e32 v4, 0
	ds_store_b64 v4, v[8:9]
	ds_store_b8 v4, v25 offset:8
.LBB452_155:
	s_or_b32 exec_lo, exec_lo, s18
	s_wait_dscnt 0x0
	v_and_b32_e32 v6, 0xff, v12
	s_wait_loadcnt 0x0
	s_wait_storecnt 0x0
	s_barrier_signal -1
	s_barrier_wait -1
	v_cmp_eq_u16_e32 vcc_lo, 0, v6
	v_mov_b32_e32 v4, 0
	ds_load_b64 v[4:5], v4
	s_wait_dscnt 0x0
	v_dual_cndmask_b32 v7, 0, v5 :: v_dual_cndmask_b32 v6, 0, v4
	s_delay_alu instid0(VALU_DEP_1) | instskip(SKIP_1) | instid1(VALU_DEP_1)
	v_add_nc_u64_e32 v[2:3], v[6:7], v[2:3]
	v_and_b32_e32 v6, 0xff, v1
	v_cmp_eq_u16_e32 vcc_lo, 0, v6
	s_delay_alu instid0(VALU_DEP_3) | instskip(NEXT) | instid1(VALU_DEP_1)
	v_dual_cndmask_b32 v3, v3, v5, s2 :: v_dual_cndmask_b32 v2, v2, v4, s2
	v_dual_cndmask_b32 v5, 0, v3 :: v_dual_cndmask_b32 v4, 0, v2
	s_delay_alu instid0(VALU_DEP_1) | instskip(NEXT) | instid1(VALU_DEP_1)
	v_add_nc_u64_e32 v[4:5], v[4:5], v[58:59]
	v_dual_cndmask_b32 v7, 0, v5, s1 :: v_dual_cndmask_b32 v6, 0, v4, s1
	s_delay_alu instid0(VALU_DEP_1) | instskip(NEXT) | instid1(VALU_DEP_1)
	v_add_nc_u64_e32 v[10:11], v[6:7], v[32:33]
	v_dual_cndmask_b32 v7, 0, v11, s4 :: v_dual_cndmask_b32 v6, 0, v10, s4
	;; [unrolled: 3-line block ×12, first 2 shown]
	s_branch .LBB452_175
.LBB452_156:
	s_cmp_eq_u64 s[46:47], 0
	v_mov_b64_e32 v[28:29], s[44:45]
	s_cselect_b32 s1, -1, 0
	s_cmp_eq_u64 s[30:31], 0
	s_cselect_b32 s4, -1, 0
	s_delay_alu instid0(SALU_CYCLE_1) | instskip(NEXT) | instid1(SALU_CYCLE_1)
	s_or_b32 s1, s1, s4
	s_and_b32 vcc_lo, exec_lo, s1
	s_cbranch_vccnz .LBB452_158
; %bb.157:
	v_mov_b32_e32 v2, 0
	global_load_b64 v[28:29], v2, s[30:31]
.LBB452_158:
	v_cmp_eq_u16_e32 vcc_lo, 0, v84
	v_cmp_eq_u16_e64 s1, 0, v83
	v_cmp_eq_u16_e64 s4, 0, v82
	;; [unrolled: 1-line block ×4, first 2 shown]
	s_wait_xcnt 0x0
	v_dual_cndmask_b32 v3, 0, v59 :: v_dual_cndmask_b32 v2, 0, v58
	v_cmp_eq_u16_e64 s7, 0, v79
	v_cmp_eq_u16_e64 s8, 0, v78
	;; [unrolled: 1-line block ×4, first 2 shown]
	v_add_nc_u64_e32 v[2:3], v[2:3], v[32:33]
	v_cmp_eq_u16_e64 s11, 0, v75
	v_cmp_eq_u16_e64 s12, 0, v74
	;; [unrolled: 1-line block ×3, first 2 shown]
	v_cmp_ne_u16_e64 s19, 0, v71
	v_cmp_eq_u32_e64 s20, 1, v63
	v_cmp_ne_u16_e64 s21, 0, v72
	v_dual_cndmask_b32 v3, 0, v3, s1 :: v_dual_cndmask_b32 v2, 0, v2, s1
	v_cmp_eq_u32_e64 s22, 1, v62
	v_cmp_eq_u32_e64 s23, 1, v68
	v_cmp_ne_u16_e64 s17, 0, v70
	v_cmp_eq_u32_e64 s18, 1, v64
	v_add_nc_u64_e32 v[2:3], v[2:3], v[54:55]
	s_or_b32 s20, s19, s20
	s_or_b32 s21, s21, s22
	v_cmp_eq_u16_e64 s19, 0, v57
	v_cmp_ne_u16_e64 s15, 0, v69
	v_cmp_eq_u32_e64 s16, 1, v66
	s_or_b32 s21, s23, s21
	v_dual_cndmask_b32 v3, 0, v3, s4 :: v_dual_cndmask_b32 v2, 0, v2, s4
	s_or_b32 s17, s17, s18
	s_or_b32 s18, s21, s20
	v_cmp_eq_u32_e64 s14, 1, v67
	s_or_b32 s15, s15, s16
	v_add_nc_u64_e32 v[2:3], v[2:3], v[52:53]
	s_or_b32 s16, s18, s17
	v_and_b32_e32 v4, 0x70, v65
	s_or_b32 s15, s16, s15
	s_mov_b32 s17, exec_lo
	s_or_b32 s14, s15, s14
	s_delay_alu instid0(VALU_DEP_2) | instskip(SKIP_2) | instid1(VALU_DEP_3)
	v_dual_cndmask_b32 v3, 0, v3, s5 :: v_dual_cndmask_b32 v2, 0, v2, s5
	v_lshl_add_u32 v4, v0, 4, v4
	v_cndmask_b32_e64 v9, 0, 1, s14
	v_add_nc_u64_e32 v[2:3], v[2:3], v[50:51]
	s_delay_alu instid0(VALU_DEP_1) | instskip(NEXT) | instid1(VALU_DEP_1)
	v_dual_cndmask_b32 v3, 0, v3, s6 :: v_dual_cndmask_b32 v2, 0, v2, s6
	v_add_nc_u64_e32 v[2:3], v[2:3], v[48:49]
	s_delay_alu instid0(VALU_DEP_1) | instskip(NEXT) | instid1(VALU_DEP_1)
	v_dual_cndmask_b32 v3, 0, v3, s7 :: v_dual_cndmask_b32 v2, 0, v2, s7
	;; [unrolled: 3-line block ×9, first 2 shown]
	v_add_nc_u64_e32 v[2:3], v[2:3], v[44:45]
	ds_store_b64 v4, v[2:3]
	ds_store_b8 v4, v9 offset:8
	s_wait_loadcnt_dscnt 0x0
	s_barrier_signal -1
	s_barrier_wait -1
	v_cmpx_gt_u32_e32 32, v0
	s_cbranch_execz .LBB452_170
; %bb.159:
	v_dual_lshlrev_b32 v4, 2, v0 :: v_dual_lshlrev_b32 v5, 7, v0
	s_delay_alu instid0(VALU_DEP_1) | instskip(NEXT) | instid1(VALU_DEP_1)
	v_and_b32_e32 v4, 0x3f0, v4
	v_add_nc_u32_e32 v8, v4, v5
	ds_load_u8 v11, v8 offset:24
	ds_load_b64 v[4:5], v8
	ds_load_2addr_b64 v[12:15], v8 offset0:2 offset1:4
	ds_load_u8 v20, v8 offset:40
	ds_load_b32 v10, v8 offset:8
	ds_load_u8 v21, v8 offset:56
	ds_load_u8 v22, v8 offset:72
	;; [unrolled: 1-line block ×4, first 2 shown]
	s_wait_dscnt 0x8
	v_cmp_eq_u16_e64 s14, 0, v11
	s_wait_dscnt 0x7
	s_delay_alu instid0(VALU_DEP_1)
	v_dual_cndmask_b32 v7, 0, v5, s14 :: v_dual_cndmask_b32 v6, 0, v4, s14
	s_wait_dscnt 0x5
	v_cmp_eq_u16_e64 s14, 0, v20
	ds_load_2addr_b64 v[16:19], v8 offset0:6 offset1:8
	s_wait_dscnt 0x4
	v_bitop3_b16 v11, v20, v21, v11 bitop3:0xfe
	v_add_nc_u64_e32 v[6:7], v[6:7], v[12:13]
	s_delay_alu instid0(VALU_DEP_1) | instskip(SKIP_1) | instid1(VALU_DEP_2)
	v_dual_cndmask_b32 v7, 0, v7, s14 :: v_dual_cndmask_b32 v6, 0, v6, s14
	v_cmp_eq_u16_e64 s14, 0, v21
	v_add_nc_u64_e32 v[6:7], v[6:7], v[14:15]
	ds_load_2addr_b64 v[12:15], v8 offset0:10 offset1:12
	ds_load_u8 v25, v8 offset:120
	v_dual_cndmask_b32 v7, 0, v7, s14 :: v_dual_cndmask_b32 v6, 0, v6, s14
	s_wait_dscnt 0x5
	v_cmp_eq_u16_e64 s14, 0, v22
	s_wait_dscnt 0x2
	s_delay_alu instid0(VALU_DEP_2) | instskip(SKIP_1) | instid1(VALU_DEP_2)
	v_add_nc_u64_e32 v[6:7], v[6:7], v[16:17]
	v_bitop3_b16 v16, v23, v24, v22 bitop3:0xfe
	v_dual_cndmask_b32 v7, 0, v7, s14 :: v_dual_cndmask_b32 v6, 0, v6, s14
	v_cmp_eq_u16_e64 s14, 0, v23
	s_wait_dscnt 0x0
	s_delay_alu instid0(VALU_DEP_3) | instskip(SKIP_3) | instid1(VALU_DEP_1)
	v_bitop3_b16 v11, v25, v11, v16 bitop3:0xfe
	ds_load_b64 v[16:17], v8 offset:112
	v_cmp_eq_u16_e64 s16, 0, v25
	v_add_nc_u64_e32 v[6:7], v[6:7], v[18:19]
	v_dual_cndmask_b32 v6, 0, v6, s14 :: v_dual_bitop2_b32 v11, 1, v11 bitop3:0x40
	s_delay_alu instid0(VALU_DEP_2) | instskip(SKIP_1) | instid1(VALU_DEP_3)
	v_cndmask_b32_e64 v7, 0, v7, s14
	v_cmp_eq_u16_e64 s14, 0, v24
	v_cmp_eq_u32_e64 s15, 1, v11
	v_and_b32_e32 v11, 0xffffff00, v10
	s_delay_alu instid0(VALU_DEP_4) | instskip(NEXT) | instid1(VALU_DEP_1)
	v_add_nc_u64_e32 v[6:7], v[6:7], v[12:13]
	v_dual_cndmask_b32 v7, 0, v7, s14 :: v_dual_bitop2_b32 v12, 1, v10 bitop3:0x40
	s_delay_alu instid0(VALU_DEP_2) | instskip(NEXT) | instid1(VALU_DEP_2)
	v_cndmask_b32_e64 v6, 0, v6, s14
	v_cmp_eq_u32_e64 s14, 1, v12
	v_mbcnt_lo_u32_b32 v12, -1, 0
	s_delay_alu instid0(VALU_DEP_3) | instskip(SKIP_1) | instid1(SALU_CYCLE_1)
	v_add_nc_u64_e32 v[6:7], v[6:7], v[14:15]
	s_or_b32 s15, s15, s14
	v_cndmask_b32_e64 v14, 0, 1, s15
	v_cndmask_b32_e64 v13, 0, 1, s15
	s_delay_alu instid0(VALU_DEP_3) | instskip(NEXT) | instid1(VALU_DEP_3)
	v_dual_cndmask_b32 v7, 0, v7, s16 :: v_dual_cndmask_b32 v6, 0, v6, s16
	v_or_b32_e32 v15, v11, v14
	v_and_b32_e32 v14, 15, v12
	s_mov_b32 s16, exec_lo
	s_wait_dscnt 0x0
	v_add_nc_u64_e32 v[6:7], v[6:7], v[16:17]
	v_mov_b32_dpp v17, v15 row_shr:1 row_mask:0xf bank_mask:0xf
	s_delay_alu instid0(VALU_DEP_2) | instskip(NEXT) | instid1(VALU_DEP_3)
	v_mov_b32_dpp v16, v6 row_shr:1 row_mask:0xf bank_mask:0xf
	v_mov_b32_dpp v18, v7 row_shr:1 row_mask:0xf bank_mask:0xf
	v_cmpx_ne_u32_e32 0, v14
; %bb.160:
	s_delay_alu instid0(VALU_DEP_4) | instskip(NEXT) | instid1(VALU_DEP_3)
	v_bitop3_b16 v13, v17, v13, 1 bitop3:0xec
	v_cndmask_b32_e64 v17, v18, 0, s15
	v_cndmask_b32_e64 v16, v16, 0, s15
	s_delay_alu instid0(VALU_DEP_3) | instskip(NEXT) | instid1(VALU_DEP_2)
	v_and_b32_e32 v15, 0xffff, v13
	v_add_nc_u64_e32 v[6:7], v[16:17], v[6:7]
	s_delay_alu instid0(VALU_DEP_2)
	v_or_b32_e32 v15, v11, v15
; %bb.161:
	s_or_b32 exec_lo, exec_lo, s16
	s_delay_alu instid0(VALU_DEP_2) | instskip(NEXT) | instid1(VALU_DEP_3)
	v_mov_b32_dpp v16, v6 row_shr:2 row_mask:0xf bank_mask:0xf
	v_mov_b32_dpp v17, v7 row_shr:2 row_mask:0xf bank_mask:0xf
	s_delay_alu instid0(VALU_DEP_3)
	v_mov_b32_dpp v18, v15 row_shr:2 row_mask:0xf bank_mask:0xf
	s_mov_b32 s18, exec_lo
	v_cmpx_lt_u32_e32 1, v14
	s_cbranch_execz .LBB452_163
; %bb.162:
	v_cmp_eq_u16_e64 s14, 0, v13
	v_and_b32_e32 v15, 1, v13
	s_delay_alu instid0(VALU_DEP_2) | instskip(SKIP_1) | instid1(VALU_DEP_3)
	v_dual_cndmask_b32 v17, 0, v17, s14 :: v_dual_bitop2_b32 v18, 1, v18 bitop3:0x40
	v_cndmask_b32_e64 v16, 0, v16, s14
	v_cmp_eq_u32_e64 s15, 1, v15
	s_delay_alu instid0(VALU_DEP_3) | instskip(NEXT) | instid1(VALU_DEP_3)
	v_cmp_eq_u32_e64 s16, 1, v18
	v_add_nc_u64_e32 v[6:7], v[16:17], v[6:7]
	s_or_b32 s14, s15, s16
	s_delay_alu instid0(SALU_CYCLE_1) | instskip(SKIP_1) | instid1(VALU_DEP_2)
	v_cndmask_b32_e64 v15, 0, 1, s14
	v_cndmask_b32_e64 v13, 0, 1, s14
	v_or_b32_e32 v15, v11, v15
.LBB452_163:
	s_or_b32 exec_lo, exec_lo, s18
	s_delay_alu instid0(VALU_DEP_4) | instskip(SKIP_1) | instid1(VALU_DEP_3)
	v_mov_b32_dpp v16, v6 row_shr:4 row_mask:0xf bank_mask:0xf
	v_mov_b32_dpp v17, v7 row_shr:4 row_mask:0xf bank_mask:0xf
	;; [unrolled: 1-line block ×3, first 2 shown]
	s_mov_b32 s18, exec_lo
	v_cmpx_lt_u32_e32 3, v14
	s_cbranch_execz .LBB452_165
; %bb.164:
	v_cmp_eq_u16_e64 s14, 0, v13
	v_and_b32_e32 v15, 1, v13
	s_delay_alu instid0(VALU_DEP_2) | instskip(SKIP_1) | instid1(VALU_DEP_3)
	v_dual_cndmask_b32 v17, 0, v17, s14 :: v_dual_bitop2_b32 v18, 1, v18 bitop3:0x40
	v_cndmask_b32_e64 v16, 0, v16, s14
	v_cmp_eq_u32_e64 s15, 1, v15
	s_delay_alu instid0(VALU_DEP_3) | instskip(NEXT) | instid1(VALU_DEP_3)
	v_cmp_eq_u32_e64 s16, 1, v18
	v_add_nc_u64_e32 v[6:7], v[16:17], v[6:7]
	s_or_b32 s14, s15, s16
	s_delay_alu instid0(SALU_CYCLE_1) | instskip(SKIP_1) | instid1(VALU_DEP_2)
	v_cndmask_b32_e64 v15, 0, 1, s14
	v_cndmask_b32_e64 v13, 0, 1, s14
	v_or_b32_e32 v15, v11, v15
.LBB452_165:
	s_or_b32 exec_lo, exec_lo, s18
	s_delay_alu instid0(VALU_DEP_4) | instskip(SKIP_1) | instid1(VALU_DEP_3)
	v_mov_b32_dpp v16, v6 row_shr:8 row_mask:0xf bank_mask:0xf
	v_mov_b32_dpp v17, v7 row_shr:8 row_mask:0xf bank_mask:0xf
	;; [unrolled: 1-line block ×3, first 2 shown]
	s_mov_b32 s18, exec_lo
	v_cmpx_lt_u32_e32 7, v14
	s_cbranch_execz .LBB452_167
; %bb.166:
	v_and_b32_e32 v14, 1, v13
	v_cmp_eq_u16_e64 s14, 0, v13
	v_and_b32_e32 v15, 1, v18
	s_delay_alu instid0(VALU_DEP_3) | instskip(NEXT) | instid1(VALU_DEP_3)
	v_cmp_eq_u32_e64 s15, 1, v14
	v_cndmask_b32_e64 v14, 0, v16, s14
	s_delay_alu instid0(VALU_DEP_3) | instskip(SKIP_2) | instid1(VALU_DEP_1)
	v_cmp_eq_u32_e64 s16, 1, v15
	v_cndmask_b32_e64 v15, 0, v17, s14
	s_or_b32 s14, s15, s16
	v_add_nc_u64_e32 v[6:7], v[14:15], v[6:7]
	v_cndmask_b32_e64 v16, 0, 1, s14
	v_cndmask_b32_e64 v13, 0, 1, s14
	s_delay_alu instid0(VALU_DEP_2)
	v_or_b32_e32 v15, v11, v16
.LBB452_167:
	s_or_b32 exec_lo, exec_lo, s18
	ds_swizzle_b32 v14, v6 offset:swizzle(BROADCAST,32,15)
	ds_swizzle_b32 v16, v7 offset:swizzle(BROADCAST,32,15)
	ds_swizzle_b32 v15, v15 offset:swizzle(BROADCAST,32,15)
	v_and_b32_e32 v17, 16, v12
	s_mov_b32 s16, exec_lo
	s_delay_alu instid0(VALU_DEP_1)
	v_cmpx_ne_u32_e32 0, v17
	s_cbranch_execz .LBB452_169
; %bb.168:
	v_cmp_eq_u16_e64 s14, 0, v13
	v_and_b32_e32 v13, 1, v13
	s_wait_dscnt 0x0
	s_delay_alu instid0(VALU_DEP_2) | instskip(SKIP_1) | instid1(VALU_DEP_3)
	v_dual_cndmask_b32 v14, 0, v14, s14 :: v_dual_bitop2_b32 v17, 1, v15 bitop3:0x40
	v_cndmask_b32_e64 v15, 0, v16, s14
	v_cmp_eq_u32_e64 s14, 1, v13
	s_delay_alu instid0(VALU_DEP_3) | instskip(NEXT) | instid1(VALU_DEP_3)
	v_cmp_eq_u32_e64 s15, 1, v17
	v_add_nc_u64_e32 v[6:7], v[14:15], v[6:7]
	s_or_b32 s14, s14, s15
	s_delay_alu instid0(SALU_CYCLE_1)
	v_cndmask_b32_e64 v13, 0, 1, s14
.LBB452_169:
	s_or_b32 exec_lo, exec_lo, s16
	s_wait_dscnt 0x2
	v_add_nc_u32_e32 v14, -1, v12
	s_delay_alu instid0(VALU_DEP_2) | instskip(NEXT) | instid1(VALU_DEP_2)
	v_and_b32_e32 v13, 0xffff, v13
	; wave barrier
	v_cmp_gt_i32_e64 s14, 0, v14
	s_delay_alu instid0(VALU_DEP_1) | instskip(NEXT) | instid1(VALU_DEP_1)
	v_dual_cndmask_b32 v12, v14, v12, s14 :: v_dual_bitop2_b32 v11, v11, v13 bitop3:0x54
	v_lshlrev_b32_e32 v12, 2, v12
	ds_bpermute_b32 v7, v12, v7
	ds_bpermute_b32 v6, v12, v6
	;; [unrolled: 1-line block ×3, first 2 shown]
	v_and_b32_e32 v12, 0xff, v10
	s_delay_alu instid0(VALU_DEP_1) | instskip(SKIP_1) | instid1(VALU_DEP_1)
	v_cmp_eq_u32_e64 s14, 0, v12
	s_wait_dscnt 0x1
	v_dual_cndmask_b32 v7, 0, v7, s14 :: v_dual_cndmask_b32 v6, 0, v6, s14
	s_delay_alu instid0(VALU_DEP_1) | instskip(SKIP_1) | instid1(VALU_DEP_1)
	v_add_nc_u64_e32 v[4:5], v[6:7], v[4:5]
	s_wait_dscnt 0x0
	v_dual_cndmask_b32 v7, v5, v3, s2 :: v_dual_bitop2_b32 v10, v11, v10 bitop3:0x54
	s_delay_alu instid0(VALU_DEP_1) | instskip(NEXT) | instid1(VALU_DEP_1)
	v_and_b32_e32 v10, 1, v10
	v_dual_cndmask_b32 v6, v4, v2, s2 :: v_dual_cndmask_b32 v9, v10, v9, s2
	ds_store_b64 v8, v[6:7]
	ds_store_b8 v8, v9 offset:8
	; wave barrier
	ds_load_u8 v20, v8 offset:24
	ds_load_2addr_b64 v[2:5], v8 offset0:2 offset1:4
	ds_load_u8 v21, v8 offset:40
	ds_load_u8 v22, v8 offset:56
	;; [unrolled: 1-line block ×5, first 2 shown]
	ds_load_b64 v[14:15], v8 offset:112
	ds_load_u8 v26, v8 offset:120
	s_wait_dscnt 0x8
	v_and_b32_e32 v10, 0xff, v20
	v_bitop3_b16 v44, v20, 1, v9 bitop3:0xc8
	s_wait_dscnt 0x5
	v_and_b32_e32 v18, 0xff, v22
	s_delay_alu instid0(VALU_DEP_3) | instskip(SKIP_3) | instid1(VALU_DEP_3)
	v_cmp_eq_u16_e64 s14, 0, v10
	v_and_b32_e32 v10, 0xff, v21
	s_wait_dscnt 0x3
	v_and_b32_e32 v27, 0xff, v24
	v_dual_cndmask_b32 v7, 0, v7, s14 :: v_dual_cndmask_b32 v6, 0, v6, s14
	s_delay_alu instid0(VALU_DEP_3) | instskip(SKIP_2) | instid1(VALU_DEP_1)
	v_cmp_eq_u16_e64 s14, 0, v10
	ds_load_2addr_b64 v[10:13], v8 offset0:6 offset1:8
	v_add_nc_u64_e32 v[6:7], v[6:7], v[2:3]
	v_dual_cndmask_b32 v3, 0, v7, s14 :: v_dual_cndmask_b32 v2, 0, v6, s14
	v_cmp_eq_u16_e64 s14, 0, v18
	s_delay_alu instid0(VALU_DEP_2) | instskip(SKIP_1) | instid1(VALU_DEP_2)
	v_add_nc_u64_e32 v[16:17], v[2:3], v[4:5]
	v_and_b32_e32 v4, 0xff, v23
	v_dual_cndmask_b32 v3, 0, v17, s14 :: v_dual_cndmask_b32 v2, 0, v16, s14
	s_delay_alu instid0(VALU_DEP_2) | instskip(SKIP_1) | instid1(VALU_DEP_2)
	v_cmp_eq_u16_e64 s14, 0, v4
	s_wait_dscnt 0x0
	v_add_nc_u64_e32 v[10:11], v[2:3], v[10:11]
	ds_load_2addr_b64 v[2:5], v8 offset0:10 offset1:12
	v_dual_cndmask_b32 v19, 0, v11, s14 :: v_dual_cndmask_b32 v18, 0, v10, s14
	v_cmp_eq_u16_e64 s14, 0, v27
	v_and_b32_e32 v27, 0xff, v25
	s_delay_alu instid0(VALU_DEP_3) | instskip(NEXT) | instid1(VALU_DEP_1)
	v_add_nc_u64_e32 v[12:13], v[18:19], v[12:13]
	v_dual_cndmask_b32 v19, 0, v13, s14 :: v_dual_cndmask_b32 v18, 0, v12, s14
	s_delay_alu instid0(VALU_DEP_3) | instskip(SKIP_4) | instid1(VALU_DEP_3)
	v_cmp_eq_u16_e64 s14, 0, v27
	v_or_b32_e32 v27, v20, v9
	v_bitop3_b16 v9, v21, v20, v9 bitop3:0xfe
	s_wait_dscnt 0x0
	v_add_nc_u64_e32 v[2:3], v[18:19], v[2:3]
	v_bitop3_b16 v20, v22, v21, v27 bitop3:0xfe
	v_bitop3_b16 v21, v21, 1, v27 bitop3:0xc8
	;; [unrolled: 1-line block ×4, first 2 shown]
	v_dual_cndmask_b32 v19, 0, v3, s14 :: v_dual_cndmask_b32 v18, 0, v2, s14
	v_cmp_eq_u16_e64 s14, 0, v26
	s_delay_alu instid0(VALU_DEP_3) | instskip(SKIP_1) | instid1(VALU_DEP_4)
	v_bitop3_b16 v22, v25, v24, v9 bitop3:0xfe
	v_bitop3_b16 v9, v24, 1, v9 bitop3:0xc8
	v_add_nc_u64_e32 v[4:5], v[18:19], v[4:5]
	v_bitop3_b16 v18, v24, v23, v20 bitop3:0xfe
	v_bitop3_b16 v20, v23, 1, v20 bitop3:0xc8
	ds_store_2addr_b64 v8, v[6:7], v[16:17] offset0:2 offset1:4
	ds_store_2addr_b64 v8, v[10:11], v[12:13] offset0:6 offset1:8
	;; [unrolled: 1-line block ×3, first 2 shown]
	v_bitop3_b16 v23, v25, 1, v18 bitop3:0xc8
	v_dual_cndmask_b32 v19, 0, v5, s14 :: v_dual_cndmask_b32 v18, 0, v4, s14
	v_bitop3_b16 v22, v26, 1, v22 bitop3:0xc8
	s_delay_alu instid0(VALU_DEP_2)
	v_add_nc_u64_e32 v[2:3], v[18:19], v[14:15]
	ds_store_b8 v8, v44 offset:24
	ds_store_b8 v8, v21 offset:40
	;; [unrolled: 1-line block ×6, first 2 shown]
	ds_store_b64 v8, v[2:3] offset:112
	ds_store_b8 v8, v22 offset:120
.LBB452_170:
	s_or_b32 exec_lo, exec_lo, s17
	v_mov_b64_e32 v[2:3], v[28:29]
	s_wait_dscnt 0x0
	s_barrier_signal -1
	s_barrier_wait -1
	s_and_saveexec_b32 s14, s3
	s_cbranch_execz .LBB452_172
; %bb.171:
	v_add_nc_u32_e32 v2, -1, v0
	s_delay_alu instid0(VALU_DEP_1) | instskip(NEXT) | instid1(VALU_DEP_1)
	v_lshrrev_b32_e32 v3, 1, v2
	v_and_b32_e32 v3, 0x7ffffff0, v3
	s_delay_alu instid0(VALU_DEP_1) | instskip(SKIP_4) | instid1(VALU_DEP_1)
	v_lshl_add_u32 v2, v2, 4, v3
	ds_load_u8 v4, v2 offset:8
	ds_load_b64 v[2:3], v2
	s_wait_dscnt 0x1
	v_cmp_eq_u16_e64 s3, 0, v4
	v_dual_cndmask_b32 v5, 0, v29, s3 :: v_dual_cndmask_b32 v4, 0, v28, s3
	s_wait_dscnt 0x0
	s_delay_alu instid0(VALU_DEP_1)
	v_add_nc_u64_e32 v[2:3], v[4:5], v[2:3]
.LBB452_172:
	s_or_b32 exec_lo, exec_lo, s14
	v_and_b32_e32 v1, 0xff, v1
	s_delay_alu instid0(VALU_DEP_1) | instskip(NEXT) | instid1(VALU_DEP_1)
	v_cmp_eq_u16_e64 s3, 0, v1
	v_dual_cndmask_b32 v5, 0, v3, s3 :: v_dual_cndmask_b32 v4, 0, v2, s3
	s_delay_alu instid0(VALU_DEP_1) | instskip(NEXT) | instid1(VALU_DEP_1)
	v_add_nc_u64_e32 v[4:5], v[4:5], v[58:59]
	v_dual_cndmask_b32 v7, 0, v5 :: v_dual_cndmask_b32 v6, 0, v4
	s_delay_alu instid0(VALU_DEP_1) | instskip(NEXT) | instid1(VALU_DEP_1)
	v_add_nc_u64_e32 v[10:11], v[6:7], v[32:33]
	v_dual_cndmask_b32 v7, 0, v11, s1 :: v_dual_cndmask_b32 v6, 0, v10, s1
	s_delay_alu instid0(VALU_DEP_1) | instskip(NEXT) | instid1(VALU_DEP_1)
	v_add_nc_u64_e32 v[12:13], v[6:7], v[54:55]
	v_dual_cndmask_b32 v7, 0, v13, s4 :: v_dual_cndmask_b32 v6, 0, v12, s4
	;; [unrolled: 3-line block ×11, first 2 shown]
	s_and_saveexec_b32 s1, s2
	s_cbranch_execz .LBB452_174
; %bb.173:
	v_mov_b32_e32 v1, 0
	ds_load_u8 v34, v1 offset:4200
	ds_load_b64 v[32:33], v1 offset:4192
	s_wait_dscnt 0x1
	v_and_b32_e32 v35, 0xffff, v34
	s_delay_alu instid0(VALU_DEP_1) | instskip(SKIP_2) | instid1(VALU_DEP_1)
	v_cmp_eq_u32_e32 vcc_lo, 0, v35
	v_dual_cndmask_b32 v29, 0, v29 :: v_dual_cndmask_b32 v28, 0, v28
	s_wait_dscnt 0x0
	v_add_nc_u64_e32 v[28:29], v[28:29], v[32:33]
	v_mov_b32_e32 v32, 2
	s_clause 0x1
	global_store_b64 v1, v[28:29], s[38:39] offset:512
	global_store_b8 v1, v34, s[38:39] offset:520
	global_wb scope:SCOPE_DEV
	s_wait_storecnt 0x0
	global_inv scope:SCOPE_DEV
	s_wait_xcnt 0x0
	global_store_b8 v1, v32, s[40:41] offset:32 scope:SCOPE_DEV
.LBB452_174:
	s_wait_xcnt 0x0
	s_or_b32 exec_lo, exec_lo, s1
.LBB452_175:
	s_delay_alu instid0(VALU_DEP_1)
	v_add_nc_u64_e32 v[28:29], v[60:61], v[30:31]
	s_add_nc_u64 s[2:3], s[26:27], s[34:35]
	s_and_b32 vcc_lo, exec_lo, s0
	s_add_nc_u64 s[0:1], s[2:3], s[28:29]
	s_cbranch_vccz .LBB452_223
; %bb.176:
	v_mul_u32_u24_e32 v1, 14, v0
	s_add_co_i32 s33, s33, s42
	s_mov_b32 s2, exec_lo
	s_delay_alu instid0(VALU_DEP_1)
	v_cmpx_gt_u32_e64 s33, v1
	s_cbranch_execz .LBB452_196
; %bb.177:
	v_or_b32_e32 v30, 1, v1
	s_mov_b32 s3, exec_lo
	s_delay_alu instid0(VALU_DEP_1)
	v_cmpx_gt_u32_e64 s33, v30
	s_cbranch_execz .LBB452_195
; %bb.178:
	v_add_nc_u32_e32 v30, 2, v1
	s_mov_b32 s4, exec_lo
	s_delay_alu instid0(VALU_DEP_1)
	v_cmpx_gt_u32_e64 s33, v30
	s_cbranch_execz .LBB452_194
; %bb.179:
	v_add_nc_u32_e32 v30, 3, v1
	;; [unrolled: 6-line block ×8, first 2 shown]
	s_mov_b32 s11, exec_lo
	s_delay_alu instid0(VALU_DEP_1)
	v_cmpx_gt_u32_e64 s33, v30
; %bb.186:
	v_add_nc_u32_e32 v30, 10, v1
	s_mov_b32 s12, exec_lo
	s_delay_alu instid0(VALU_DEP_1)
	v_cmpx_gt_u32_e64 s33, v30
	s_or_b32 exec_lo, exec_lo, s12
; %bb.187:
	s_delay_alu instid0(SALU_CYCLE_1)
	s_or_b32 exec_lo, exec_lo, s11
.LBB452_188:
	s_delay_alu instid0(SALU_CYCLE_1)
	s_or_b32 exec_lo, exec_lo, s10
.LBB452_189:
	s_delay_alu instid0(SALU_CYCLE_1)
	s_or_b32 exec_lo, exec_lo, s9
.LBB452_190:
	s_delay_alu instid0(SALU_CYCLE_1)
	s_or_b32 exec_lo, exec_lo, s8
.LBB452_191:
	s_delay_alu instid0(SALU_CYCLE_1)
	s_or_b32 exec_lo, exec_lo, s7
.LBB452_192:
	s_delay_alu instid0(SALU_CYCLE_1)
	s_or_b32 exec_lo, exec_lo, s6
.LBB452_193:
	s_delay_alu instid0(SALU_CYCLE_1)
	s_or_b32 exec_lo, exec_lo, s5
.LBB452_194:
	s_delay_alu instid0(SALU_CYCLE_1)
	s_or_b32 exec_lo, exec_lo, s4
.LBB452_195:
	s_delay_alu instid0(SALU_CYCLE_1)
	s_or_b32 exec_lo, exec_lo, s3
.LBB452_196:
	s_delay_alu instid0(SALU_CYCLE_1)
	s_or_b32 exec_lo, exec_lo, s2
	v_dual_lshlrev_b32 v1, 3, v1 :: v_dual_mov_b32 v57, 0
	s_wait_loadcnt 0x0
	s_wait_storecnt 0x0
	s_barrier_signal -1
	s_barrier_wait -1
	v_mad_i32_i24 v30, 0xffffff98, v0, v1
	ds_store_b128 v1, v[2:5]
	ds_store_b128 v1, v[10:13] offset:16
	ds_store_b128 v1, v[6:9] offset:32
	;; [unrolled: 1-line block ×6, first 2 shown]
	s_wait_dscnt 0x0
	s_barrier_signal -1
	s_barrier_wait -1
	ds_load_2addr_stride64_b64 v[52:55], v30 offset0:4 offset1:8
	ds_load_2addr_stride64_b64 v[48:51], v30 offset0:12 offset1:16
	;; [unrolled: 1-line block ×6, first 2 shown]
	ds_load_b64 v[30:31], v30 offset:26624
	v_add_nc_u64_e32 v[56:57], s[0:1], v[56:57]
	s_mov_b32 s2, exec_lo
	v_cmpx_gt_u32_e64 s33, v0
	s_cbranch_execz .LBB452_198
; %bb.197:
	v_mul_i32_i24_e32 v58, 0xffffff98, v0
	s_delay_alu instid0(VALU_DEP_1)
	v_add_nc_u32_e32 v1, v1, v58
	ds_load_b64 v[58:59], v1
	s_wait_dscnt 0x0
	flat_store_b64 v[56:57], v[58:59]
.LBB452_198:
	s_wait_xcnt 0x0
	s_or_b32 exec_lo, exec_lo, s2
	v_or_b32_e32 v1, 0x100, v0
	s_mov_b32 s2, exec_lo
	s_delay_alu instid0(VALU_DEP_1)
	v_cmpx_gt_u32_e64 s33, v1
	s_cbranch_execz .LBB452_200
; %bb.199:
	s_wait_dscnt 0x6
	flat_store_b64 v[56:57], v[52:53] offset:2048
.LBB452_200:
	s_wait_xcnt 0x0
	s_or_b32 exec_lo, exec_lo, s2
	v_or_b32_e32 v1, 0x200, v0
	s_mov_b32 s2, exec_lo
	s_delay_alu instid0(VALU_DEP_1)
	v_cmpx_gt_u32_e64 s33, v1
	s_cbranch_execz .LBB452_202
; %bb.201:
	s_wait_dscnt 0x6
	flat_store_b64 v[56:57], v[54:55] offset:4096
.LBB452_202:
	;; [unrolled: 11-line block ×12, first 2 shown]
	s_wait_xcnt 0x0
	s_or_b32 exec_lo, exec_lo, s2
	v_or_b32_e32 v1, 0xd00, v0
	s_delay_alu instid0(VALU_DEP_1)
	v_cmp_gt_u32_e64 s2, s33, v1
	s_branch .LBB452_225
.LBB452_223:
	s_mov_b32 s2, 0
                                        ; implicit-def: $vgpr30_vgpr31
	s_cbranch_execz .LBB452_225
; %bb.224:
	v_mul_u32_u24_e32 v1, 0x70, v0
	s_wait_storecnt 0x0
	s_wait_loadcnt_dscnt 0x0
	s_barrier_signal -1
	s_barrier_wait -1
	ds_store_b128 v1, v[2:5]
	ds_store_b128 v1, v[10:13] offset:16
	v_mul_i32_i24_e32 v2, 0xffffff98, v0
	ds_store_b128 v1, v[6:9] offset:32
	ds_store_b128 v1, v[14:17] offset:48
	;; [unrolled: 1-line block ×5, first 2 shown]
	s_wait_dscnt 0x0
	s_barrier_signal -1
	s_barrier_wait -1
	v_mad_u32_u24 v1, 0x70, v0, v2
	s_or_b32 s2, s2, exec_lo
	ds_load_2addr_stride64_b64 v[2:5], v1 offset1:4
	ds_load_2addr_stride64_b64 v[6:9], v1 offset0:8 offset1:12
	ds_load_2addr_stride64_b64 v[10:13], v1 offset0:16 offset1:20
	;; [unrolled: 1-line block ×6, first 2 shown]
	s_wait_dscnt 0x6
	s_clause 0x1
	flat_store_b64 v0, v[2:3], s[0:1] scale_offset
	flat_store_b64 v0, v[4:5], s[0:1] offset:2048 scale_offset
	s_wait_dscnt 0x7
	s_clause 0x1
	flat_store_b64 v0, v[6:7], s[0:1] offset:4096 scale_offset
	flat_store_b64 v0, v[8:9], s[0:1] offset:6144 scale_offset
	s_wait_dscnt 0x8
	s_clause 0x1
	flat_store_b64 v0, v[10:11], s[0:1] offset:8192 scale_offset
	;; [unrolled: 4-line block ×5, first 2 shown]
	flat_store_b64 v0, v[24:25], s[0:1] offset:22528 scale_offset
	s_wait_dscnt 0xc
	flat_store_b64 v0, v[28:29], s[0:1] offset:24576 scale_offset
.LBB452_225:
	s_wait_xcnt 0x0
	s_delay_alu instid0(VALU_DEP_1)
	s_and_saveexec_b32 s3, s2
	s_cbranch_execz .LBB452_227
; %bb.226:
	s_wait_dscnt 0x0
	flat_store_b64 v0, v[30:31], s[0:1] offset:26624 scale_offset
	s_sendmsg sendmsg(MSG_DEALLOC_VGPRS)
	s_endpgm
.LBB452_227:
	s_sendmsg sendmsg(MSG_DEALLOC_VGPRS)
	s_endpgm
	.section	.rodata,"a",@progbits
	.p2align	6, 0x0
	.amdhsa_kernel _ZN7rocprim17ROCPRIM_400000_NS6detail17trampoline_kernelINS0_14default_configENS1_27scan_by_key_config_selectorIxxEEZZNS1_16scan_by_key_implILNS1_25lookback_scan_determinismE0ELb1ES3_N6thrust23THRUST_200600_302600_NS6detail15normal_iteratorINS9_10device_ptrIxEEEESE_SE_xNS9_4plusIvEENS9_8equal_toIxEExEE10hipError_tPvRmT2_T3_T4_T5_mT6_T7_P12ihipStream_tbENKUlT_T0_E_clISt17integral_constantIbLb0EESY_IbLb1EEEEDaSU_SV_EUlSU_E_NS1_11comp_targetILNS1_3genE0ELNS1_11target_archE4294967295ELNS1_3gpuE0ELNS1_3repE0EEENS1_30default_config_static_selectorELNS0_4arch9wavefront6targetE0EEEvT1_
		.amdhsa_group_segment_fixed_size 32768
		.amdhsa_private_segment_fixed_size 0
		.amdhsa_kernarg_size 136
		.amdhsa_user_sgpr_count 2
		.amdhsa_user_sgpr_dispatch_ptr 0
		.amdhsa_user_sgpr_queue_ptr 0
		.amdhsa_user_sgpr_kernarg_segment_ptr 1
		.amdhsa_user_sgpr_dispatch_id 0
		.amdhsa_user_sgpr_kernarg_preload_length 0
		.amdhsa_user_sgpr_kernarg_preload_offset 0
		.amdhsa_user_sgpr_private_segment_size 0
		.amdhsa_wavefront_size32 1
		.amdhsa_uses_dynamic_stack 0
		.amdhsa_enable_private_segment 0
		.amdhsa_system_sgpr_workgroup_id_x 1
		.amdhsa_system_sgpr_workgroup_id_y 0
		.amdhsa_system_sgpr_workgroup_id_z 0
		.amdhsa_system_sgpr_workgroup_info 0
		.amdhsa_system_vgpr_workitem_id 0
		.amdhsa_next_free_vgpr 113
		.amdhsa_next_free_sgpr 59
		.amdhsa_named_barrier_count 0
		.amdhsa_reserve_vcc 1
		.amdhsa_float_round_mode_32 0
		.amdhsa_float_round_mode_16_64 0
		.amdhsa_float_denorm_mode_32 3
		.amdhsa_float_denorm_mode_16_64 3
		.amdhsa_fp16_overflow 0
		.amdhsa_memory_ordered 1
		.amdhsa_forward_progress 1
		.amdhsa_inst_pref_size 126
		.amdhsa_round_robin_scheduling 0
		.amdhsa_exception_fp_ieee_invalid_op 0
		.amdhsa_exception_fp_denorm_src 0
		.amdhsa_exception_fp_ieee_div_zero 0
		.amdhsa_exception_fp_ieee_overflow 0
		.amdhsa_exception_fp_ieee_underflow 0
		.amdhsa_exception_fp_ieee_inexact 0
		.amdhsa_exception_int_div_zero 0
	.end_amdhsa_kernel
	.section	.text._ZN7rocprim17ROCPRIM_400000_NS6detail17trampoline_kernelINS0_14default_configENS1_27scan_by_key_config_selectorIxxEEZZNS1_16scan_by_key_implILNS1_25lookback_scan_determinismE0ELb1ES3_N6thrust23THRUST_200600_302600_NS6detail15normal_iteratorINS9_10device_ptrIxEEEESE_SE_xNS9_4plusIvEENS9_8equal_toIxEExEE10hipError_tPvRmT2_T3_T4_T5_mT6_T7_P12ihipStream_tbENKUlT_T0_E_clISt17integral_constantIbLb0EESY_IbLb1EEEEDaSU_SV_EUlSU_E_NS1_11comp_targetILNS1_3genE0ELNS1_11target_archE4294967295ELNS1_3gpuE0ELNS1_3repE0EEENS1_30default_config_static_selectorELNS0_4arch9wavefront6targetE0EEEvT1_,"axG",@progbits,_ZN7rocprim17ROCPRIM_400000_NS6detail17trampoline_kernelINS0_14default_configENS1_27scan_by_key_config_selectorIxxEEZZNS1_16scan_by_key_implILNS1_25lookback_scan_determinismE0ELb1ES3_N6thrust23THRUST_200600_302600_NS6detail15normal_iteratorINS9_10device_ptrIxEEEESE_SE_xNS9_4plusIvEENS9_8equal_toIxEExEE10hipError_tPvRmT2_T3_T4_T5_mT6_T7_P12ihipStream_tbENKUlT_T0_E_clISt17integral_constantIbLb0EESY_IbLb1EEEEDaSU_SV_EUlSU_E_NS1_11comp_targetILNS1_3genE0ELNS1_11target_archE4294967295ELNS1_3gpuE0ELNS1_3repE0EEENS1_30default_config_static_selectorELNS0_4arch9wavefront6targetE0EEEvT1_,comdat
.Lfunc_end452:
	.size	_ZN7rocprim17ROCPRIM_400000_NS6detail17trampoline_kernelINS0_14default_configENS1_27scan_by_key_config_selectorIxxEEZZNS1_16scan_by_key_implILNS1_25lookback_scan_determinismE0ELb1ES3_N6thrust23THRUST_200600_302600_NS6detail15normal_iteratorINS9_10device_ptrIxEEEESE_SE_xNS9_4plusIvEENS9_8equal_toIxEExEE10hipError_tPvRmT2_T3_T4_T5_mT6_T7_P12ihipStream_tbENKUlT_T0_E_clISt17integral_constantIbLb0EESY_IbLb1EEEEDaSU_SV_EUlSU_E_NS1_11comp_targetILNS1_3genE0ELNS1_11target_archE4294967295ELNS1_3gpuE0ELNS1_3repE0EEENS1_30default_config_static_selectorELNS0_4arch9wavefront6targetE0EEEvT1_, .Lfunc_end452-_ZN7rocprim17ROCPRIM_400000_NS6detail17trampoline_kernelINS0_14default_configENS1_27scan_by_key_config_selectorIxxEEZZNS1_16scan_by_key_implILNS1_25lookback_scan_determinismE0ELb1ES3_N6thrust23THRUST_200600_302600_NS6detail15normal_iteratorINS9_10device_ptrIxEEEESE_SE_xNS9_4plusIvEENS9_8equal_toIxEExEE10hipError_tPvRmT2_T3_T4_T5_mT6_T7_P12ihipStream_tbENKUlT_T0_E_clISt17integral_constantIbLb0EESY_IbLb1EEEEDaSU_SV_EUlSU_E_NS1_11comp_targetILNS1_3genE0ELNS1_11target_archE4294967295ELNS1_3gpuE0ELNS1_3repE0EEENS1_30default_config_static_selectorELNS0_4arch9wavefront6targetE0EEEvT1_
                                        ; -- End function
	.set _ZN7rocprim17ROCPRIM_400000_NS6detail17trampoline_kernelINS0_14default_configENS1_27scan_by_key_config_selectorIxxEEZZNS1_16scan_by_key_implILNS1_25lookback_scan_determinismE0ELb1ES3_N6thrust23THRUST_200600_302600_NS6detail15normal_iteratorINS9_10device_ptrIxEEEESE_SE_xNS9_4plusIvEENS9_8equal_toIxEExEE10hipError_tPvRmT2_T3_T4_T5_mT6_T7_P12ihipStream_tbENKUlT_T0_E_clISt17integral_constantIbLb0EESY_IbLb1EEEEDaSU_SV_EUlSU_E_NS1_11comp_targetILNS1_3genE0ELNS1_11target_archE4294967295ELNS1_3gpuE0ELNS1_3repE0EEENS1_30default_config_static_selectorELNS0_4arch9wavefront6targetE0EEEvT1_.num_vgpr, 113
	.set _ZN7rocprim17ROCPRIM_400000_NS6detail17trampoline_kernelINS0_14default_configENS1_27scan_by_key_config_selectorIxxEEZZNS1_16scan_by_key_implILNS1_25lookback_scan_determinismE0ELb1ES3_N6thrust23THRUST_200600_302600_NS6detail15normal_iteratorINS9_10device_ptrIxEEEESE_SE_xNS9_4plusIvEENS9_8equal_toIxEExEE10hipError_tPvRmT2_T3_T4_T5_mT6_T7_P12ihipStream_tbENKUlT_T0_E_clISt17integral_constantIbLb0EESY_IbLb1EEEEDaSU_SV_EUlSU_E_NS1_11comp_targetILNS1_3genE0ELNS1_11target_archE4294967295ELNS1_3gpuE0ELNS1_3repE0EEENS1_30default_config_static_selectorELNS0_4arch9wavefront6targetE0EEEvT1_.num_agpr, 0
	.set _ZN7rocprim17ROCPRIM_400000_NS6detail17trampoline_kernelINS0_14default_configENS1_27scan_by_key_config_selectorIxxEEZZNS1_16scan_by_key_implILNS1_25lookback_scan_determinismE0ELb1ES3_N6thrust23THRUST_200600_302600_NS6detail15normal_iteratorINS9_10device_ptrIxEEEESE_SE_xNS9_4plusIvEENS9_8equal_toIxEExEE10hipError_tPvRmT2_T3_T4_T5_mT6_T7_P12ihipStream_tbENKUlT_T0_E_clISt17integral_constantIbLb0EESY_IbLb1EEEEDaSU_SV_EUlSU_E_NS1_11comp_targetILNS1_3genE0ELNS1_11target_archE4294967295ELNS1_3gpuE0ELNS1_3repE0EEENS1_30default_config_static_selectorELNS0_4arch9wavefront6targetE0EEEvT1_.numbered_sgpr, 59
	.set _ZN7rocprim17ROCPRIM_400000_NS6detail17trampoline_kernelINS0_14default_configENS1_27scan_by_key_config_selectorIxxEEZZNS1_16scan_by_key_implILNS1_25lookback_scan_determinismE0ELb1ES3_N6thrust23THRUST_200600_302600_NS6detail15normal_iteratorINS9_10device_ptrIxEEEESE_SE_xNS9_4plusIvEENS9_8equal_toIxEExEE10hipError_tPvRmT2_T3_T4_T5_mT6_T7_P12ihipStream_tbENKUlT_T0_E_clISt17integral_constantIbLb0EESY_IbLb1EEEEDaSU_SV_EUlSU_E_NS1_11comp_targetILNS1_3genE0ELNS1_11target_archE4294967295ELNS1_3gpuE0ELNS1_3repE0EEENS1_30default_config_static_selectorELNS0_4arch9wavefront6targetE0EEEvT1_.num_named_barrier, 0
	.set _ZN7rocprim17ROCPRIM_400000_NS6detail17trampoline_kernelINS0_14default_configENS1_27scan_by_key_config_selectorIxxEEZZNS1_16scan_by_key_implILNS1_25lookback_scan_determinismE0ELb1ES3_N6thrust23THRUST_200600_302600_NS6detail15normal_iteratorINS9_10device_ptrIxEEEESE_SE_xNS9_4plusIvEENS9_8equal_toIxEExEE10hipError_tPvRmT2_T3_T4_T5_mT6_T7_P12ihipStream_tbENKUlT_T0_E_clISt17integral_constantIbLb0EESY_IbLb1EEEEDaSU_SV_EUlSU_E_NS1_11comp_targetILNS1_3genE0ELNS1_11target_archE4294967295ELNS1_3gpuE0ELNS1_3repE0EEENS1_30default_config_static_selectorELNS0_4arch9wavefront6targetE0EEEvT1_.private_seg_size, 0
	.set _ZN7rocprim17ROCPRIM_400000_NS6detail17trampoline_kernelINS0_14default_configENS1_27scan_by_key_config_selectorIxxEEZZNS1_16scan_by_key_implILNS1_25lookback_scan_determinismE0ELb1ES3_N6thrust23THRUST_200600_302600_NS6detail15normal_iteratorINS9_10device_ptrIxEEEESE_SE_xNS9_4plusIvEENS9_8equal_toIxEExEE10hipError_tPvRmT2_T3_T4_T5_mT6_T7_P12ihipStream_tbENKUlT_T0_E_clISt17integral_constantIbLb0EESY_IbLb1EEEEDaSU_SV_EUlSU_E_NS1_11comp_targetILNS1_3genE0ELNS1_11target_archE4294967295ELNS1_3gpuE0ELNS1_3repE0EEENS1_30default_config_static_selectorELNS0_4arch9wavefront6targetE0EEEvT1_.uses_vcc, 1
	.set _ZN7rocprim17ROCPRIM_400000_NS6detail17trampoline_kernelINS0_14default_configENS1_27scan_by_key_config_selectorIxxEEZZNS1_16scan_by_key_implILNS1_25lookback_scan_determinismE0ELb1ES3_N6thrust23THRUST_200600_302600_NS6detail15normal_iteratorINS9_10device_ptrIxEEEESE_SE_xNS9_4plusIvEENS9_8equal_toIxEExEE10hipError_tPvRmT2_T3_T4_T5_mT6_T7_P12ihipStream_tbENKUlT_T0_E_clISt17integral_constantIbLb0EESY_IbLb1EEEEDaSU_SV_EUlSU_E_NS1_11comp_targetILNS1_3genE0ELNS1_11target_archE4294967295ELNS1_3gpuE0ELNS1_3repE0EEENS1_30default_config_static_selectorELNS0_4arch9wavefront6targetE0EEEvT1_.uses_flat_scratch, 1
	.set _ZN7rocprim17ROCPRIM_400000_NS6detail17trampoline_kernelINS0_14default_configENS1_27scan_by_key_config_selectorIxxEEZZNS1_16scan_by_key_implILNS1_25lookback_scan_determinismE0ELb1ES3_N6thrust23THRUST_200600_302600_NS6detail15normal_iteratorINS9_10device_ptrIxEEEESE_SE_xNS9_4plusIvEENS9_8equal_toIxEExEE10hipError_tPvRmT2_T3_T4_T5_mT6_T7_P12ihipStream_tbENKUlT_T0_E_clISt17integral_constantIbLb0EESY_IbLb1EEEEDaSU_SV_EUlSU_E_NS1_11comp_targetILNS1_3genE0ELNS1_11target_archE4294967295ELNS1_3gpuE0ELNS1_3repE0EEENS1_30default_config_static_selectorELNS0_4arch9wavefront6targetE0EEEvT1_.has_dyn_sized_stack, 0
	.set _ZN7rocprim17ROCPRIM_400000_NS6detail17trampoline_kernelINS0_14default_configENS1_27scan_by_key_config_selectorIxxEEZZNS1_16scan_by_key_implILNS1_25lookback_scan_determinismE0ELb1ES3_N6thrust23THRUST_200600_302600_NS6detail15normal_iteratorINS9_10device_ptrIxEEEESE_SE_xNS9_4plusIvEENS9_8equal_toIxEExEE10hipError_tPvRmT2_T3_T4_T5_mT6_T7_P12ihipStream_tbENKUlT_T0_E_clISt17integral_constantIbLb0EESY_IbLb1EEEEDaSU_SV_EUlSU_E_NS1_11comp_targetILNS1_3genE0ELNS1_11target_archE4294967295ELNS1_3gpuE0ELNS1_3repE0EEENS1_30default_config_static_selectorELNS0_4arch9wavefront6targetE0EEEvT1_.has_recursion, 0
	.set _ZN7rocprim17ROCPRIM_400000_NS6detail17trampoline_kernelINS0_14default_configENS1_27scan_by_key_config_selectorIxxEEZZNS1_16scan_by_key_implILNS1_25lookback_scan_determinismE0ELb1ES3_N6thrust23THRUST_200600_302600_NS6detail15normal_iteratorINS9_10device_ptrIxEEEESE_SE_xNS9_4plusIvEENS9_8equal_toIxEExEE10hipError_tPvRmT2_T3_T4_T5_mT6_T7_P12ihipStream_tbENKUlT_T0_E_clISt17integral_constantIbLb0EESY_IbLb1EEEEDaSU_SV_EUlSU_E_NS1_11comp_targetILNS1_3genE0ELNS1_11target_archE4294967295ELNS1_3gpuE0ELNS1_3repE0EEENS1_30default_config_static_selectorELNS0_4arch9wavefront6targetE0EEEvT1_.has_indirect_call, 0
	.section	.AMDGPU.csdata,"",@progbits
; Kernel info:
; codeLenInByte = 16076
; TotalNumSgprs: 61
; NumVgprs: 113
; ScratchSize: 0
; MemoryBound: 0
; FloatMode: 240
; IeeeMode: 1
; LDSByteSize: 32768 bytes/workgroup (compile time only)
; SGPRBlocks: 0
; VGPRBlocks: 7
; NumSGPRsForWavesPerEU: 61
; NumVGPRsForWavesPerEU: 113
; NamedBarCnt: 0
; Occupancy: 8
; WaveLimiterHint : 1
; COMPUTE_PGM_RSRC2:SCRATCH_EN: 0
; COMPUTE_PGM_RSRC2:USER_SGPR: 2
; COMPUTE_PGM_RSRC2:TRAP_HANDLER: 0
; COMPUTE_PGM_RSRC2:TGID_X_EN: 1
; COMPUTE_PGM_RSRC2:TGID_Y_EN: 0
; COMPUTE_PGM_RSRC2:TGID_Z_EN: 0
; COMPUTE_PGM_RSRC2:TIDIG_COMP_CNT: 0
	.section	.text._ZN7rocprim17ROCPRIM_400000_NS6detail17trampoline_kernelINS0_14default_configENS1_27scan_by_key_config_selectorIxxEEZZNS1_16scan_by_key_implILNS1_25lookback_scan_determinismE0ELb1ES3_N6thrust23THRUST_200600_302600_NS6detail15normal_iteratorINS9_10device_ptrIxEEEESE_SE_xNS9_4plusIvEENS9_8equal_toIxEExEE10hipError_tPvRmT2_T3_T4_T5_mT6_T7_P12ihipStream_tbENKUlT_T0_E_clISt17integral_constantIbLb0EESY_IbLb1EEEEDaSU_SV_EUlSU_E_NS1_11comp_targetILNS1_3genE10ELNS1_11target_archE1201ELNS1_3gpuE5ELNS1_3repE0EEENS1_30default_config_static_selectorELNS0_4arch9wavefront6targetE0EEEvT1_,"axG",@progbits,_ZN7rocprim17ROCPRIM_400000_NS6detail17trampoline_kernelINS0_14default_configENS1_27scan_by_key_config_selectorIxxEEZZNS1_16scan_by_key_implILNS1_25lookback_scan_determinismE0ELb1ES3_N6thrust23THRUST_200600_302600_NS6detail15normal_iteratorINS9_10device_ptrIxEEEESE_SE_xNS9_4plusIvEENS9_8equal_toIxEExEE10hipError_tPvRmT2_T3_T4_T5_mT6_T7_P12ihipStream_tbENKUlT_T0_E_clISt17integral_constantIbLb0EESY_IbLb1EEEEDaSU_SV_EUlSU_E_NS1_11comp_targetILNS1_3genE10ELNS1_11target_archE1201ELNS1_3gpuE5ELNS1_3repE0EEENS1_30default_config_static_selectorELNS0_4arch9wavefront6targetE0EEEvT1_,comdat
	.protected	_ZN7rocprim17ROCPRIM_400000_NS6detail17trampoline_kernelINS0_14default_configENS1_27scan_by_key_config_selectorIxxEEZZNS1_16scan_by_key_implILNS1_25lookback_scan_determinismE0ELb1ES3_N6thrust23THRUST_200600_302600_NS6detail15normal_iteratorINS9_10device_ptrIxEEEESE_SE_xNS9_4plusIvEENS9_8equal_toIxEExEE10hipError_tPvRmT2_T3_T4_T5_mT6_T7_P12ihipStream_tbENKUlT_T0_E_clISt17integral_constantIbLb0EESY_IbLb1EEEEDaSU_SV_EUlSU_E_NS1_11comp_targetILNS1_3genE10ELNS1_11target_archE1201ELNS1_3gpuE5ELNS1_3repE0EEENS1_30default_config_static_selectorELNS0_4arch9wavefront6targetE0EEEvT1_ ; -- Begin function _ZN7rocprim17ROCPRIM_400000_NS6detail17trampoline_kernelINS0_14default_configENS1_27scan_by_key_config_selectorIxxEEZZNS1_16scan_by_key_implILNS1_25lookback_scan_determinismE0ELb1ES3_N6thrust23THRUST_200600_302600_NS6detail15normal_iteratorINS9_10device_ptrIxEEEESE_SE_xNS9_4plusIvEENS9_8equal_toIxEExEE10hipError_tPvRmT2_T3_T4_T5_mT6_T7_P12ihipStream_tbENKUlT_T0_E_clISt17integral_constantIbLb0EESY_IbLb1EEEEDaSU_SV_EUlSU_E_NS1_11comp_targetILNS1_3genE10ELNS1_11target_archE1201ELNS1_3gpuE5ELNS1_3repE0EEENS1_30default_config_static_selectorELNS0_4arch9wavefront6targetE0EEEvT1_
	.globl	_ZN7rocprim17ROCPRIM_400000_NS6detail17trampoline_kernelINS0_14default_configENS1_27scan_by_key_config_selectorIxxEEZZNS1_16scan_by_key_implILNS1_25lookback_scan_determinismE0ELb1ES3_N6thrust23THRUST_200600_302600_NS6detail15normal_iteratorINS9_10device_ptrIxEEEESE_SE_xNS9_4plusIvEENS9_8equal_toIxEExEE10hipError_tPvRmT2_T3_T4_T5_mT6_T7_P12ihipStream_tbENKUlT_T0_E_clISt17integral_constantIbLb0EESY_IbLb1EEEEDaSU_SV_EUlSU_E_NS1_11comp_targetILNS1_3genE10ELNS1_11target_archE1201ELNS1_3gpuE5ELNS1_3repE0EEENS1_30default_config_static_selectorELNS0_4arch9wavefront6targetE0EEEvT1_
	.p2align	8
	.type	_ZN7rocprim17ROCPRIM_400000_NS6detail17trampoline_kernelINS0_14default_configENS1_27scan_by_key_config_selectorIxxEEZZNS1_16scan_by_key_implILNS1_25lookback_scan_determinismE0ELb1ES3_N6thrust23THRUST_200600_302600_NS6detail15normal_iteratorINS9_10device_ptrIxEEEESE_SE_xNS9_4plusIvEENS9_8equal_toIxEExEE10hipError_tPvRmT2_T3_T4_T5_mT6_T7_P12ihipStream_tbENKUlT_T0_E_clISt17integral_constantIbLb0EESY_IbLb1EEEEDaSU_SV_EUlSU_E_NS1_11comp_targetILNS1_3genE10ELNS1_11target_archE1201ELNS1_3gpuE5ELNS1_3repE0EEENS1_30default_config_static_selectorELNS0_4arch9wavefront6targetE0EEEvT1_,@function
_ZN7rocprim17ROCPRIM_400000_NS6detail17trampoline_kernelINS0_14default_configENS1_27scan_by_key_config_selectorIxxEEZZNS1_16scan_by_key_implILNS1_25lookback_scan_determinismE0ELb1ES3_N6thrust23THRUST_200600_302600_NS6detail15normal_iteratorINS9_10device_ptrIxEEEESE_SE_xNS9_4plusIvEENS9_8equal_toIxEExEE10hipError_tPvRmT2_T3_T4_T5_mT6_T7_P12ihipStream_tbENKUlT_T0_E_clISt17integral_constantIbLb0EESY_IbLb1EEEEDaSU_SV_EUlSU_E_NS1_11comp_targetILNS1_3genE10ELNS1_11target_archE1201ELNS1_3gpuE5ELNS1_3repE0EEENS1_30default_config_static_selectorELNS0_4arch9wavefront6targetE0EEEvT1_: ; @_ZN7rocprim17ROCPRIM_400000_NS6detail17trampoline_kernelINS0_14default_configENS1_27scan_by_key_config_selectorIxxEEZZNS1_16scan_by_key_implILNS1_25lookback_scan_determinismE0ELb1ES3_N6thrust23THRUST_200600_302600_NS6detail15normal_iteratorINS9_10device_ptrIxEEEESE_SE_xNS9_4plusIvEENS9_8equal_toIxEExEE10hipError_tPvRmT2_T3_T4_T5_mT6_T7_P12ihipStream_tbENKUlT_T0_E_clISt17integral_constantIbLb0EESY_IbLb1EEEEDaSU_SV_EUlSU_E_NS1_11comp_targetILNS1_3genE10ELNS1_11target_archE1201ELNS1_3gpuE5ELNS1_3repE0EEENS1_30default_config_static_selectorELNS0_4arch9wavefront6targetE0EEEvT1_
; %bb.0:
	.section	.rodata,"a",@progbits
	.p2align	6, 0x0
	.amdhsa_kernel _ZN7rocprim17ROCPRIM_400000_NS6detail17trampoline_kernelINS0_14default_configENS1_27scan_by_key_config_selectorIxxEEZZNS1_16scan_by_key_implILNS1_25lookback_scan_determinismE0ELb1ES3_N6thrust23THRUST_200600_302600_NS6detail15normal_iteratorINS9_10device_ptrIxEEEESE_SE_xNS9_4plusIvEENS9_8equal_toIxEExEE10hipError_tPvRmT2_T3_T4_T5_mT6_T7_P12ihipStream_tbENKUlT_T0_E_clISt17integral_constantIbLb0EESY_IbLb1EEEEDaSU_SV_EUlSU_E_NS1_11comp_targetILNS1_3genE10ELNS1_11target_archE1201ELNS1_3gpuE5ELNS1_3repE0EEENS1_30default_config_static_selectorELNS0_4arch9wavefront6targetE0EEEvT1_
		.amdhsa_group_segment_fixed_size 0
		.amdhsa_private_segment_fixed_size 0
		.amdhsa_kernarg_size 136
		.amdhsa_user_sgpr_count 2
		.amdhsa_user_sgpr_dispatch_ptr 0
		.amdhsa_user_sgpr_queue_ptr 0
		.amdhsa_user_sgpr_kernarg_segment_ptr 1
		.amdhsa_user_sgpr_dispatch_id 0
		.amdhsa_user_sgpr_kernarg_preload_length 0
		.amdhsa_user_sgpr_kernarg_preload_offset 0
		.amdhsa_user_sgpr_private_segment_size 0
		.amdhsa_wavefront_size32 1
		.amdhsa_uses_dynamic_stack 0
		.amdhsa_enable_private_segment 0
		.amdhsa_system_sgpr_workgroup_id_x 1
		.amdhsa_system_sgpr_workgroup_id_y 0
		.amdhsa_system_sgpr_workgroup_id_z 0
		.amdhsa_system_sgpr_workgroup_info 0
		.amdhsa_system_vgpr_workitem_id 0
		.amdhsa_next_free_vgpr 1
		.amdhsa_next_free_sgpr 1
		.amdhsa_named_barrier_count 0
		.amdhsa_reserve_vcc 0
		.amdhsa_float_round_mode_32 0
		.amdhsa_float_round_mode_16_64 0
		.amdhsa_float_denorm_mode_32 3
		.amdhsa_float_denorm_mode_16_64 3
		.amdhsa_fp16_overflow 0
		.amdhsa_memory_ordered 1
		.amdhsa_forward_progress 1
		.amdhsa_inst_pref_size 0
		.amdhsa_round_robin_scheduling 0
		.amdhsa_exception_fp_ieee_invalid_op 0
		.amdhsa_exception_fp_denorm_src 0
		.amdhsa_exception_fp_ieee_div_zero 0
		.amdhsa_exception_fp_ieee_overflow 0
		.amdhsa_exception_fp_ieee_underflow 0
		.amdhsa_exception_fp_ieee_inexact 0
		.amdhsa_exception_int_div_zero 0
	.end_amdhsa_kernel
	.section	.text._ZN7rocprim17ROCPRIM_400000_NS6detail17trampoline_kernelINS0_14default_configENS1_27scan_by_key_config_selectorIxxEEZZNS1_16scan_by_key_implILNS1_25lookback_scan_determinismE0ELb1ES3_N6thrust23THRUST_200600_302600_NS6detail15normal_iteratorINS9_10device_ptrIxEEEESE_SE_xNS9_4plusIvEENS9_8equal_toIxEExEE10hipError_tPvRmT2_T3_T4_T5_mT6_T7_P12ihipStream_tbENKUlT_T0_E_clISt17integral_constantIbLb0EESY_IbLb1EEEEDaSU_SV_EUlSU_E_NS1_11comp_targetILNS1_3genE10ELNS1_11target_archE1201ELNS1_3gpuE5ELNS1_3repE0EEENS1_30default_config_static_selectorELNS0_4arch9wavefront6targetE0EEEvT1_,"axG",@progbits,_ZN7rocprim17ROCPRIM_400000_NS6detail17trampoline_kernelINS0_14default_configENS1_27scan_by_key_config_selectorIxxEEZZNS1_16scan_by_key_implILNS1_25lookback_scan_determinismE0ELb1ES3_N6thrust23THRUST_200600_302600_NS6detail15normal_iteratorINS9_10device_ptrIxEEEESE_SE_xNS9_4plusIvEENS9_8equal_toIxEExEE10hipError_tPvRmT2_T3_T4_T5_mT6_T7_P12ihipStream_tbENKUlT_T0_E_clISt17integral_constantIbLb0EESY_IbLb1EEEEDaSU_SV_EUlSU_E_NS1_11comp_targetILNS1_3genE10ELNS1_11target_archE1201ELNS1_3gpuE5ELNS1_3repE0EEENS1_30default_config_static_selectorELNS0_4arch9wavefront6targetE0EEEvT1_,comdat
.Lfunc_end453:
	.size	_ZN7rocprim17ROCPRIM_400000_NS6detail17trampoline_kernelINS0_14default_configENS1_27scan_by_key_config_selectorIxxEEZZNS1_16scan_by_key_implILNS1_25lookback_scan_determinismE0ELb1ES3_N6thrust23THRUST_200600_302600_NS6detail15normal_iteratorINS9_10device_ptrIxEEEESE_SE_xNS9_4plusIvEENS9_8equal_toIxEExEE10hipError_tPvRmT2_T3_T4_T5_mT6_T7_P12ihipStream_tbENKUlT_T0_E_clISt17integral_constantIbLb0EESY_IbLb1EEEEDaSU_SV_EUlSU_E_NS1_11comp_targetILNS1_3genE10ELNS1_11target_archE1201ELNS1_3gpuE5ELNS1_3repE0EEENS1_30default_config_static_selectorELNS0_4arch9wavefront6targetE0EEEvT1_, .Lfunc_end453-_ZN7rocprim17ROCPRIM_400000_NS6detail17trampoline_kernelINS0_14default_configENS1_27scan_by_key_config_selectorIxxEEZZNS1_16scan_by_key_implILNS1_25lookback_scan_determinismE0ELb1ES3_N6thrust23THRUST_200600_302600_NS6detail15normal_iteratorINS9_10device_ptrIxEEEESE_SE_xNS9_4plusIvEENS9_8equal_toIxEExEE10hipError_tPvRmT2_T3_T4_T5_mT6_T7_P12ihipStream_tbENKUlT_T0_E_clISt17integral_constantIbLb0EESY_IbLb1EEEEDaSU_SV_EUlSU_E_NS1_11comp_targetILNS1_3genE10ELNS1_11target_archE1201ELNS1_3gpuE5ELNS1_3repE0EEENS1_30default_config_static_selectorELNS0_4arch9wavefront6targetE0EEEvT1_
                                        ; -- End function
	.set _ZN7rocprim17ROCPRIM_400000_NS6detail17trampoline_kernelINS0_14default_configENS1_27scan_by_key_config_selectorIxxEEZZNS1_16scan_by_key_implILNS1_25lookback_scan_determinismE0ELb1ES3_N6thrust23THRUST_200600_302600_NS6detail15normal_iteratorINS9_10device_ptrIxEEEESE_SE_xNS9_4plusIvEENS9_8equal_toIxEExEE10hipError_tPvRmT2_T3_T4_T5_mT6_T7_P12ihipStream_tbENKUlT_T0_E_clISt17integral_constantIbLb0EESY_IbLb1EEEEDaSU_SV_EUlSU_E_NS1_11comp_targetILNS1_3genE10ELNS1_11target_archE1201ELNS1_3gpuE5ELNS1_3repE0EEENS1_30default_config_static_selectorELNS0_4arch9wavefront6targetE0EEEvT1_.num_vgpr, 0
	.set _ZN7rocprim17ROCPRIM_400000_NS6detail17trampoline_kernelINS0_14default_configENS1_27scan_by_key_config_selectorIxxEEZZNS1_16scan_by_key_implILNS1_25lookback_scan_determinismE0ELb1ES3_N6thrust23THRUST_200600_302600_NS6detail15normal_iteratorINS9_10device_ptrIxEEEESE_SE_xNS9_4plusIvEENS9_8equal_toIxEExEE10hipError_tPvRmT2_T3_T4_T5_mT6_T7_P12ihipStream_tbENKUlT_T0_E_clISt17integral_constantIbLb0EESY_IbLb1EEEEDaSU_SV_EUlSU_E_NS1_11comp_targetILNS1_3genE10ELNS1_11target_archE1201ELNS1_3gpuE5ELNS1_3repE0EEENS1_30default_config_static_selectorELNS0_4arch9wavefront6targetE0EEEvT1_.num_agpr, 0
	.set _ZN7rocprim17ROCPRIM_400000_NS6detail17trampoline_kernelINS0_14default_configENS1_27scan_by_key_config_selectorIxxEEZZNS1_16scan_by_key_implILNS1_25lookback_scan_determinismE0ELb1ES3_N6thrust23THRUST_200600_302600_NS6detail15normal_iteratorINS9_10device_ptrIxEEEESE_SE_xNS9_4plusIvEENS9_8equal_toIxEExEE10hipError_tPvRmT2_T3_T4_T5_mT6_T7_P12ihipStream_tbENKUlT_T0_E_clISt17integral_constantIbLb0EESY_IbLb1EEEEDaSU_SV_EUlSU_E_NS1_11comp_targetILNS1_3genE10ELNS1_11target_archE1201ELNS1_3gpuE5ELNS1_3repE0EEENS1_30default_config_static_selectorELNS0_4arch9wavefront6targetE0EEEvT1_.numbered_sgpr, 0
	.set _ZN7rocprim17ROCPRIM_400000_NS6detail17trampoline_kernelINS0_14default_configENS1_27scan_by_key_config_selectorIxxEEZZNS1_16scan_by_key_implILNS1_25lookback_scan_determinismE0ELb1ES3_N6thrust23THRUST_200600_302600_NS6detail15normal_iteratorINS9_10device_ptrIxEEEESE_SE_xNS9_4plusIvEENS9_8equal_toIxEExEE10hipError_tPvRmT2_T3_T4_T5_mT6_T7_P12ihipStream_tbENKUlT_T0_E_clISt17integral_constantIbLb0EESY_IbLb1EEEEDaSU_SV_EUlSU_E_NS1_11comp_targetILNS1_3genE10ELNS1_11target_archE1201ELNS1_3gpuE5ELNS1_3repE0EEENS1_30default_config_static_selectorELNS0_4arch9wavefront6targetE0EEEvT1_.num_named_barrier, 0
	.set _ZN7rocprim17ROCPRIM_400000_NS6detail17trampoline_kernelINS0_14default_configENS1_27scan_by_key_config_selectorIxxEEZZNS1_16scan_by_key_implILNS1_25lookback_scan_determinismE0ELb1ES3_N6thrust23THRUST_200600_302600_NS6detail15normal_iteratorINS9_10device_ptrIxEEEESE_SE_xNS9_4plusIvEENS9_8equal_toIxEExEE10hipError_tPvRmT2_T3_T4_T5_mT6_T7_P12ihipStream_tbENKUlT_T0_E_clISt17integral_constantIbLb0EESY_IbLb1EEEEDaSU_SV_EUlSU_E_NS1_11comp_targetILNS1_3genE10ELNS1_11target_archE1201ELNS1_3gpuE5ELNS1_3repE0EEENS1_30default_config_static_selectorELNS0_4arch9wavefront6targetE0EEEvT1_.private_seg_size, 0
	.set _ZN7rocprim17ROCPRIM_400000_NS6detail17trampoline_kernelINS0_14default_configENS1_27scan_by_key_config_selectorIxxEEZZNS1_16scan_by_key_implILNS1_25lookback_scan_determinismE0ELb1ES3_N6thrust23THRUST_200600_302600_NS6detail15normal_iteratorINS9_10device_ptrIxEEEESE_SE_xNS9_4plusIvEENS9_8equal_toIxEExEE10hipError_tPvRmT2_T3_T4_T5_mT6_T7_P12ihipStream_tbENKUlT_T0_E_clISt17integral_constantIbLb0EESY_IbLb1EEEEDaSU_SV_EUlSU_E_NS1_11comp_targetILNS1_3genE10ELNS1_11target_archE1201ELNS1_3gpuE5ELNS1_3repE0EEENS1_30default_config_static_selectorELNS0_4arch9wavefront6targetE0EEEvT1_.uses_vcc, 0
	.set _ZN7rocprim17ROCPRIM_400000_NS6detail17trampoline_kernelINS0_14default_configENS1_27scan_by_key_config_selectorIxxEEZZNS1_16scan_by_key_implILNS1_25lookback_scan_determinismE0ELb1ES3_N6thrust23THRUST_200600_302600_NS6detail15normal_iteratorINS9_10device_ptrIxEEEESE_SE_xNS9_4plusIvEENS9_8equal_toIxEExEE10hipError_tPvRmT2_T3_T4_T5_mT6_T7_P12ihipStream_tbENKUlT_T0_E_clISt17integral_constantIbLb0EESY_IbLb1EEEEDaSU_SV_EUlSU_E_NS1_11comp_targetILNS1_3genE10ELNS1_11target_archE1201ELNS1_3gpuE5ELNS1_3repE0EEENS1_30default_config_static_selectorELNS0_4arch9wavefront6targetE0EEEvT1_.uses_flat_scratch, 0
	.set _ZN7rocprim17ROCPRIM_400000_NS6detail17trampoline_kernelINS0_14default_configENS1_27scan_by_key_config_selectorIxxEEZZNS1_16scan_by_key_implILNS1_25lookback_scan_determinismE0ELb1ES3_N6thrust23THRUST_200600_302600_NS6detail15normal_iteratorINS9_10device_ptrIxEEEESE_SE_xNS9_4plusIvEENS9_8equal_toIxEExEE10hipError_tPvRmT2_T3_T4_T5_mT6_T7_P12ihipStream_tbENKUlT_T0_E_clISt17integral_constantIbLb0EESY_IbLb1EEEEDaSU_SV_EUlSU_E_NS1_11comp_targetILNS1_3genE10ELNS1_11target_archE1201ELNS1_3gpuE5ELNS1_3repE0EEENS1_30default_config_static_selectorELNS0_4arch9wavefront6targetE0EEEvT1_.has_dyn_sized_stack, 0
	.set _ZN7rocprim17ROCPRIM_400000_NS6detail17trampoline_kernelINS0_14default_configENS1_27scan_by_key_config_selectorIxxEEZZNS1_16scan_by_key_implILNS1_25lookback_scan_determinismE0ELb1ES3_N6thrust23THRUST_200600_302600_NS6detail15normal_iteratorINS9_10device_ptrIxEEEESE_SE_xNS9_4plusIvEENS9_8equal_toIxEExEE10hipError_tPvRmT2_T3_T4_T5_mT6_T7_P12ihipStream_tbENKUlT_T0_E_clISt17integral_constantIbLb0EESY_IbLb1EEEEDaSU_SV_EUlSU_E_NS1_11comp_targetILNS1_3genE10ELNS1_11target_archE1201ELNS1_3gpuE5ELNS1_3repE0EEENS1_30default_config_static_selectorELNS0_4arch9wavefront6targetE0EEEvT1_.has_recursion, 0
	.set _ZN7rocprim17ROCPRIM_400000_NS6detail17trampoline_kernelINS0_14default_configENS1_27scan_by_key_config_selectorIxxEEZZNS1_16scan_by_key_implILNS1_25lookback_scan_determinismE0ELb1ES3_N6thrust23THRUST_200600_302600_NS6detail15normal_iteratorINS9_10device_ptrIxEEEESE_SE_xNS9_4plusIvEENS9_8equal_toIxEExEE10hipError_tPvRmT2_T3_T4_T5_mT6_T7_P12ihipStream_tbENKUlT_T0_E_clISt17integral_constantIbLb0EESY_IbLb1EEEEDaSU_SV_EUlSU_E_NS1_11comp_targetILNS1_3genE10ELNS1_11target_archE1201ELNS1_3gpuE5ELNS1_3repE0EEENS1_30default_config_static_selectorELNS0_4arch9wavefront6targetE0EEEvT1_.has_indirect_call, 0
	.section	.AMDGPU.csdata,"",@progbits
; Kernel info:
; codeLenInByte = 0
; TotalNumSgprs: 0
; NumVgprs: 0
; ScratchSize: 0
; MemoryBound: 0
; FloatMode: 240
; IeeeMode: 1
; LDSByteSize: 0 bytes/workgroup (compile time only)
; SGPRBlocks: 0
; VGPRBlocks: 0
; NumSGPRsForWavesPerEU: 1
; NumVGPRsForWavesPerEU: 1
; NamedBarCnt: 0
; Occupancy: 16
; WaveLimiterHint : 0
; COMPUTE_PGM_RSRC2:SCRATCH_EN: 0
; COMPUTE_PGM_RSRC2:USER_SGPR: 2
; COMPUTE_PGM_RSRC2:TRAP_HANDLER: 0
; COMPUTE_PGM_RSRC2:TGID_X_EN: 1
; COMPUTE_PGM_RSRC2:TGID_Y_EN: 0
; COMPUTE_PGM_RSRC2:TGID_Z_EN: 0
; COMPUTE_PGM_RSRC2:TIDIG_COMP_CNT: 0
	.section	.text._ZN7rocprim17ROCPRIM_400000_NS6detail17trampoline_kernelINS0_14default_configENS1_27scan_by_key_config_selectorIxxEEZZNS1_16scan_by_key_implILNS1_25lookback_scan_determinismE0ELb1ES3_N6thrust23THRUST_200600_302600_NS6detail15normal_iteratorINS9_10device_ptrIxEEEESE_SE_xNS9_4plusIvEENS9_8equal_toIxEExEE10hipError_tPvRmT2_T3_T4_T5_mT6_T7_P12ihipStream_tbENKUlT_T0_E_clISt17integral_constantIbLb0EESY_IbLb1EEEEDaSU_SV_EUlSU_E_NS1_11comp_targetILNS1_3genE5ELNS1_11target_archE942ELNS1_3gpuE9ELNS1_3repE0EEENS1_30default_config_static_selectorELNS0_4arch9wavefront6targetE0EEEvT1_,"axG",@progbits,_ZN7rocprim17ROCPRIM_400000_NS6detail17trampoline_kernelINS0_14default_configENS1_27scan_by_key_config_selectorIxxEEZZNS1_16scan_by_key_implILNS1_25lookback_scan_determinismE0ELb1ES3_N6thrust23THRUST_200600_302600_NS6detail15normal_iteratorINS9_10device_ptrIxEEEESE_SE_xNS9_4plusIvEENS9_8equal_toIxEExEE10hipError_tPvRmT2_T3_T4_T5_mT6_T7_P12ihipStream_tbENKUlT_T0_E_clISt17integral_constantIbLb0EESY_IbLb1EEEEDaSU_SV_EUlSU_E_NS1_11comp_targetILNS1_3genE5ELNS1_11target_archE942ELNS1_3gpuE9ELNS1_3repE0EEENS1_30default_config_static_selectorELNS0_4arch9wavefront6targetE0EEEvT1_,comdat
	.protected	_ZN7rocprim17ROCPRIM_400000_NS6detail17trampoline_kernelINS0_14default_configENS1_27scan_by_key_config_selectorIxxEEZZNS1_16scan_by_key_implILNS1_25lookback_scan_determinismE0ELb1ES3_N6thrust23THRUST_200600_302600_NS6detail15normal_iteratorINS9_10device_ptrIxEEEESE_SE_xNS9_4plusIvEENS9_8equal_toIxEExEE10hipError_tPvRmT2_T3_T4_T5_mT6_T7_P12ihipStream_tbENKUlT_T0_E_clISt17integral_constantIbLb0EESY_IbLb1EEEEDaSU_SV_EUlSU_E_NS1_11comp_targetILNS1_3genE5ELNS1_11target_archE942ELNS1_3gpuE9ELNS1_3repE0EEENS1_30default_config_static_selectorELNS0_4arch9wavefront6targetE0EEEvT1_ ; -- Begin function _ZN7rocprim17ROCPRIM_400000_NS6detail17trampoline_kernelINS0_14default_configENS1_27scan_by_key_config_selectorIxxEEZZNS1_16scan_by_key_implILNS1_25lookback_scan_determinismE0ELb1ES3_N6thrust23THRUST_200600_302600_NS6detail15normal_iteratorINS9_10device_ptrIxEEEESE_SE_xNS9_4plusIvEENS9_8equal_toIxEExEE10hipError_tPvRmT2_T3_T4_T5_mT6_T7_P12ihipStream_tbENKUlT_T0_E_clISt17integral_constantIbLb0EESY_IbLb1EEEEDaSU_SV_EUlSU_E_NS1_11comp_targetILNS1_3genE5ELNS1_11target_archE942ELNS1_3gpuE9ELNS1_3repE0EEENS1_30default_config_static_selectorELNS0_4arch9wavefront6targetE0EEEvT1_
	.globl	_ZN7rocprim17ROCPRIM_400000_NS6detail17trampoline_kernelINS0_14default_configENS1_27scan_by_key_config_selectorIxxEEZZNS1_16scan_by_key_implILNS1_25lookback_scan_determinismE0ELb1ES3_N6thrust23THRUST_200600_302600_NS6detail15normal_iteratorINS9_10device_ptrIxEEEESE_SE_xNS9_4plusIvEENS9_8equal_toIxEExEE10hipError_tPvRmT2_T3_T4_T5_mT6_T7_P12ihipStream_tbENKUlT_T0_E_clISt17integral_constantIbLb0EESY_IbLb1EEEEDaSU_SV_EUlSU_E_NS1_11comp_targetILNS1_3genE5ELNS1_11target_archE942ELNS1_3gpuE9ELNS1_3repE0EEENS1_30default_config_static_selectorELNS0_4arch9wavefront6targetE0EEEvT1_
	.p2align	8
	.type	_ZN7rocprim17ROCPRIM_400000_NS6detail17trampoline_kernelINS0_14default_configENS1_27scan_by_key_config_selectorIxxEEZZNS1_16scan_by_key_implILNS1_25lookback_scan_determinismE0ELb1ES3_N6thrust23THRUST_200600_302600_NS6detail15normal_iteratorINS9_10device_ptrIxEEEESE_SE_xNS9_4plusIvEENS9_8equal_toIxEExEE10hipError_tPvRmT2_T3_T4_T5_mT6_T7_P12ihipStream_tbENKUlT_T0_E_clISt17integral_constantIbLb0EESY_IbLb1EEEEDaSU_SV_EUlSU_E_NS1_11comp_targetILNS1_3genE5ELNS1_11target_archE942ELNS1_3gpuE9ELNS1_3repE0EEENS1_30default_config_static_selectorELNS0_4arch9wavefront6targetE0EEEvT1_,@function
_ZN7rocprim17ROCPRIM_400000_NS6detail17trampoline_kernelINS0_14default_configENS1_27scan_by_key_config_selectorIxxEEZZNS1_16scan_by_key_implILNS1_25lookback_scan_determinismE0ELb1ES3_N6thrust23THRUST_200600_302600_NS6detail15normal_iteratorINS9_10device_ptrIxEEEESE_SE_xNS9_4plusIvEENS9_8equal_toIxEExEE10hipError_tPvRmT2_T3_T4_T5_mT6_T7_P12ihipStream_tbENKUlT_T0_E_clISt17integral_constantIbLb0EESY_IbLb1EEEEDaSU_SV_EUlSU_E_NS1_11comp_targetILNS1_3genE5ELNS1_11target_archE942ELNS1_3gpuE9ELNS1_3repE0EEENS1_30default_config_static_selectorELNS0_4arch9wavefront6targetE0EEEvT1_: ; @_ZN7rocprim17ROCPRIM_400000_NS6detail17trampoline_kernelINS0_14default_configENS1_27scan_by_key_config_selectorIxxEEZZNS1_16scan_by_key_implILNS1_25lookback_scan_determinismE0ELb1ES3_N6thrust23THRUST_200600_302600_NS6detail15normal_iteratorINS9_10device_ptrIxEEEESE_SE_xNS9_4plusIvEENS9_8equal_toIxEExEE10hipError_tPvRmT2_T3_T4_T5_mT6_T7_P12ihipStream_tbENKUlT_T0_E_clISt17integral_constantIbLb0EESY_IbLb1EEEEDaSU_SV_EUlSU_E_NS1_11comp_targetILNS1_3genE5ELNS1_11target_archE942ELNS1_3gpuE9ELNS1_3repE0EEENS1_30default_config_static_selectorELNS0_4arch9wavefront6targetE0EEEvT1_
; %bb.0:
	.section	.rodata,"a",@progbits
	.p2align	6, 0x0
	.amdhsa_kernel _ZN7rocprim17ROCPRIM_400000_NS6detail17trampoline_kernelINS0_14default_configENS1_27scan_by_key_config_selectorIxxEEZZNS1_16scan_by_key_implILNS1_25lookback_scan_determinismE0ELb1ES3_N6thrust23THRUST_200600_302600_NS6detail15normal_iteratorINS9_10device_ptrIxEEEESE_SE_xNS9_4plusIvEENS9_8equal_toIxEExEE10hipError_tPvRmT2_T3_T4_T5_mT6_T7_P12ihipStream_tbENKUlT_T0_E_clISt17integral_constantIbLb0EESY_IbLb1EEEEDaSU_SV_EUlSU_E_NS1_11comp_targetILNS1_3genE5ELNS1_11target_archE942ELNS1_3gpuE9ELNS1_3repE0EEENS1_30default_config_static_selectorELNS0_4arch9wavefront6targetE0EEEvT1_
		.amdhsa_group_segment_fixed_size 0
		.amdhsa_private_segment_fixed_size 0
		.amdhsa_kernarg_size 136
		.amdhsa_user_sgpr_count 2
		.amdhsa_user_sgpr_dispatch_ptr 0
		.amdhsa_user_sgpr_queue_ptr 0
		.amdhsa_user_sgpr_kernarg_segment_ptr 1
		.amdhsa_user_sgpr_dispatch_id 0
		.amdhsa_user_sgpr_kernarg_preload_length 0
		.amdhsa_user_sgpr_kernarg_preload_offset 0
		.amdhsa_user_sgpr_private_segment_size 0
		.amdhsa_wavefront_size32 1
		.amdhsa_uses_dynamic_stack 0
		.amdhsa_enable_private_segment 0
		.amdhsa_system_sgpr_workgroup_id_x 1
		.amdhsa_system_sgpr_workgroup_id_y 0
		.amdhsa_system_sgpr_workgroup_id_z 0
		.amdhsa_system_sgpr_workgroup_info 0
		.amdhsa_system_vgpr_workitem_id 0
		.amdhsa_next_free_vgpr 1
		.amdhsa_next_free_sgpr 1
		.amdhsa_named_barrier_count 0
		.amdhsa_reserve_vcc 0
		.amdhsa_float_round_mode_32 0
		.amdhsa_float_round_mode_16_64 0
		.amdhsa_float_denorm_mode_32 3
		.amdhsa_float_denorm_mode_16_64 3
		.amdhsa_fp16_overflow 0
		.amdhsa_memory_ordered 1
		.amdhsa_forward_progress 1
		.amdhsa_inst_pref_size 0
		.amdhsa_round_robin_scheduling 0
		.amdhsa_exception_fp_ieee_invalid_op 0
		.amdhsa_exception_fp_denorm_src 0
		.amdhsa_exception_fp_ieee_div_zero 0
		.amdhsa_exception_fp_ieee_overflow 0
		.amdhsa_exception_fp_ieee_underflow 0
		.amdhsa_exception_fp_ieee_inexact 0
		.amdhsa_exception_int_div_zero 0
	.end_amdhsa_kernel
	.section	.text._ZN7rocprim17ROCPRIM_400000_NS6detail17trampoline_kernelINS0_14default_configENS1_27scan_by_key_config_selectorIxxEEZZNS1_16scan_by_key_implILNS1_25lookback_scan_determinismE0ELb1ES3_N6thrust23THRUST_200600_302600_NS6detail15normal_iteratorINS9_10device_ptrIxEEEESE_SE_xNS9_4plusIvEENS9_8equal_toIxEExEE10hipError_tPvRmT2_T3_T4_T5_mT6_T7_P12ihipStream_tbENKUlT_T0_E_clISt17integral_constantIbLb0EESY_IbLb1EEEEDaSU_SV_EUlSU_E_NS1_11comp_targetILNS1_3genE5ELNS1_11target_archE942ELNS1_3gpuE9ELNS1_3repE0EEENS1_30default_config_static_selectorELNS0_4arch9wavefront6targetE0EEEvT1_,"axG",@progbits,_ZN7rocprim17ROCPRIM_400000_NS6detail17trampoline_kernelINS0_14default_configENS1_27scan_by_key_config_selectorIxxEEZZNS1_16scan_by_key_implILNS1_25lookback_scan_determinismE0ELb1ES3_N6thrust23THRUST_200600_302600_NS6detail15normal_iteratorINS9_10device_ptrIxEEEESE_SE_xNS9_4plusIvEENS9_8equal_toIxEExEE10hipError_tPvRmT2_T3_T4_T5_mT6_T7_P12ihipStream_tbENKUlT_T0_E_clISt17integral_constantIbLb0EESY_IbLb1EEEEDaSU_SV_EUlSU_E_NS1_11comp_targetILNS1_3genE5ELNS1_11target_archE942ELNS1_3gpuE9ELNS1_3repE0EEENS1_30default_config_static_selectorELNS0_4arch9wavefront6targetE0EEEvT1_,comdat
.Lfunc_end454:
	.size	_ZN7rocprim17ROCPRIM_400000_NS6detail17trampoline_kernelINS0_14default_configENS1_27scan_by_key_config_selectorIxxEEZZNS1_16scan_by_key_implILNS1_25lookback_scan_determinismE0ELb1ES3_N6thrust23THRUST_200600_302600_NS6detail15normal_iteratorINS9_10device_ptrIxEEEESE_SE_xNS9_4plusIvEENS9_8equal_toIxEExEE10hipError_tPvRmT2_T3_T4_T5_mT6_T7_P12ihipStream_tbENKUlT_T0_E_clISt17integral_constantIbLb0EESY_IbLb1EEEEDaSU_SV_EUlSU_E_NS1_11comp_targetILNS1_3genE5ELNS1_11target_archE942ELNS1_3gpuE9ELNS1_3repE0EEENS1_30default_config_static_selectorELNS0_4arch9wavefront6targetE0EEEvT1_, .Lfunc_end454-_ZN7rocprim17ROCPRIM_400000_NS6detail17trampoline_kernelINS0_14default_configENS1_27scan_by_key_config_selectorIxxEEZZNS1_16scan_by_key_implILNS1_25lookback_scan_determinismE0ELb1ES3_N6thrust23THRUST_200600_302600_NS6detail15normal_iteratorINS9_10device_ptrIxEEEESE_SE_xNS9_4plusIvEENS9_8equal_toIxEExEE10hipError_tPvRmT2_T3_T4_T5_mT6_T7_P12ihipStream_tbENKUlT_T0_E_clISt17integral_constantIbLb0EESY_IbLb1EEEEDaSU_SV_EUlSU_E_NS1_11comp_targetILNS1_3genE5ELNS1_11target_archE942ELNS1_3gpuE9ELNS1_3repE0EEENS1_30default_config_static_selectorELNS0_4arch9wavefront6targetE0EEEvT1_
                                        ; -- End function
	.set _ZN7rocprim17ROCPRIM_400000_NS6detail17trampoline_kernelINS0_14default_configENS1_27scan_by_key_config_selectorIxxEEZZNS1_16scan_by_key_implILNS1_25lookback_scan_determinismE0ELb1ES3_N6thrust23THRUST_200600_302600_NS6detail15normal_iteratorINS9_10device_ptrIxEEEESE_SE_xNS9_4plusIvEENS9_8equal_toIxEExEE10hipError_tPvRmT2_T3_T4_T5_mT6_T7_P12ihipStream_tbENKUlT_T0_E_clISt17integral_constantIbLb0EESY_IbLb1EEEEDaSU_SV_EUlSU_E_NS1_11comp_targetILNS1_3genE5ELNS1_11target_archE942ELNS1_3gpuE9ELNS1_3repE0EEENS1_30default_config_static_selectorELNS0_4arch9wavefront6targetE0EEEvT1_.num_vgpr, 0
	.set _ZN7rocprim17ROCPRIM_400000_NS6detail17trampoline_kernelINS0_14default_configENS1_27scan_by_key_config_selectorIxxEEZZNS1_16scan_by_key_implILNS1_25lookback_scan_determinismE0ELb1ES3_N6thrust23THRUST_200600_302600_NS6detail15normal_iteratorINS9_10device_ptrIxEEEESE_SE_xNS9_4plusIvEENS9_8equal_toIxEExEE10hipError_tPvRmT2_T3_T4_T5_mT6_T7_P12ihipStream_tbENKUlT_T0_E_clISt17integral_constantIbLb0EESY_IbLb1EEEEDaSU_SV_EUlSU_E_NS1_11comp_targetILNS1_3genE5ELNS1_11target_archE942ELNS1_3gpuE9ELNS1_3repE0EEENS1_30default_config_static_selectorELNS0_4arch9wavefront6targetE0EEEvT1_.num_agpr, 0
	.set _ZN7rocprim17ROCPRIM_400000_NS6detail17trampoline_kernelINS0_14default_configENS1_27scan_by_key_config_selectorIxxEEZZNS1_16scan_by_key_implILNS1_25lookback_scan_determinismE0ELb1ES3_N6thrust23THRUST_200600_302600_NS6detail15normal_iteratorINS9_10device_ptrIxEEEESE_SE_xNS9_4plusIvEENS9_8equal_toIxEExEE10hipError_tPvRmT2_T3_T4_T5_mT6_T7_P12ihipStream_tbENKUlT_T0_E_clISt17integral_constantIbLb0EESY_IbLb1EEEEDaSU_SV_EUlSU_E_NS1_11comp_targetILNS1_3genE5ELNS1_11target_archE942ELNS1_3gpuE9ELNS1_3repE0EEENS1_30default_config_static_selectorELNS0_4arch9wavefront6targetE0EEEvT1_.numbered_sgpr, 0
	.set _ZN7rocprim17ROCPRIM_400000_NS6detail17trampoline_kernelINS0_14default_configENS1_27scan_by_key_config_selectorIxxEEZZNS1_16scan_by_key_implILNS1_25lookback_scan_determinismE0ELb1ES3_N6thrust23THRUST_200600_302600_NS6detail15normal_iteratorINS9_10device_ptrIxEEEESE_SE_xNS9_4plusIvEENS9_8equal_toIxEExEE10hipError_tPvRmT2_T3_T4_T5_mT6_T7_P12ihipStream_tbENKUlT_T0_E_clISt17integral_constantIbLb0EESY_IbLb1EEEEDaSU_SV_EUlSU_E_NS1_11comp_targetILNS1_3genE5ELNS1_11target_archE942ELNS1_3gpuE9ELNS1_3repE0EEENS1_30default_config_static_selectorELNS0_4arch9wavefront6targetE0EEEvT1_.num_named_barrier, 0
	.set _ZN7rocprim17ROCPRIM_400000_NS6detail17trampoline_kernelINS0_14default_configENS1_27scan_by_key_config_selectorIxxEEZZNS1_16scan_by_key_implILNS1_25lookback_scan_determinismE0ELb1ES3_N6thrust23THRUST_200600_302600_NS6detail15normal_iteratorINS9_10device_ptrIxEEEESE_SE_xNS9_4plusIvEENS9_8equal_toIxEExEE10hipError_tPvRmT2_T3_T4_T5_mT6_T7_P12ihipStream_tbENKUlT_T0_E_clISt17integral_constantIbLb0EESY_IbLb1EEEEDaSU_SV_EUlSU_E_NS1_11comp_targetILNS1_3genE5ELNS1_11target_archE942ELNS1_3gpuE9ELNS1_3repE0EEENS1_30default_config_static_selectorELNS0_4arch9wavefront6targetE0EEEvT1_.private_seg_size, 0
	.set _ZN7rocprim17ROCPRIM_400000_NS6detail17trampoline_kernelINS0_14default_configENS1_27scan_by_key_config_selectorIxxEEZZNS1_16scan_by_key_implILNS1_25lookback_scan_determinismE0ELb1ES3_N6thrust23THRUST_200600_302600_NS6detail15normal_iteratorINS9_10device_ptrIxEEEESE_SE_xNS9_4plusIvEENS9_8equal_toIxEExEE10hipError_tPvRmT2_T3_T4_T5_mT6_T7_P12ihipStream_tbENKUlT_T0_E_clISt17integral_constantIbLb0EESY_IbLb1EEEEDaSU_SV_EUlSU_E_NS1_11comp_targetILNS1_3genE5ELNS1_11target_archE942ELNS1_3gpuE9ELNS1_3repE0EEENS1_30default_config_static_selectorELNS0_4arch9wavefront6targetE0EEEvT1_.uses_vcc, 0
	.set _ZN7rocprim17ROCPRIM_400000_NS6detail17trampoline_kernelINS0_14default_configENS1_27scan_by_key_config_selectorIxxEEZZNS1_16scan_by_key_implILNS1_25lookback_scan_determinismE0ELb1ES3_N6thrust23THRUST_200600_302600_NS6detail15normal_iteratorINS9_10device_ptrIxEEEESE_SE_xNS9_4plusIvEENS9_8equal_toIxEExEE10hipError_tPvRmT2_T3_T4_T5_mT6_T7_P12ihipStream_tbENKUlT_T0_E_clISt17integral_constantIbLb0EESY_IbLb1EEEEDaSU_SV_EUlSU_E_NS1_11comp_targetILNS1_3genE5ELNS1_11target_archE942ELNS1_3gpuE9ELNS1_3repE0EEENS1_30default_config_static_selectorELNS0_4arch9wavefront6targetE0EEEvT1_.uses_flat_scratch, 0
	.set _ZN7rocprim17ROCPRIM_400000_NS6detail17trampoline_kernelINS0_14default_configENS1_27scan_by_key_config_selectorIxxEEZZNS1_16scan_by_key_implILNS1_25lookback_scan_determinismE0ELb1ES3_N6thrust23THRUST_200600_302600_NS6detail15normal_iteratorINS9_10device_ptrIxEEEESE_SE_xNS9_4plusIvEENS9_8equal_toIxEExEE10hipError_tPvRmT2_T3_T4_T5_mT6_T7_P12ihipStream_tbENKUlT_T0_E_clISt17integral_constantIbLb0EESY_IbLb1EEEEDaSU_SV_EUlSU_E_NS1_11comp_targetILNS1_3genE5ELNS1_11target_archE942ELNS1_3gpuE9ELNS1_3repE0EEENS1_30default_config_static_selectorELNS0_4arch9wavefront6targetE0EEEvT1_.has_dyn_sized_stack, 0
	.set _ZN7rocprim17ROCPRIM_400000_NS6detail17trampoline_kernelINS0_14default_configENS1_27scan_by_key_config_selectorIxxEEZZNS1_16scan_by_key_implILNS1_25lookback_scan_determinismE0ELb1ES3_N6thrust23THRUST_200600_302600_NS6detail15normal_iteratorINS9_10device_ptrIxEEEESE_SE_xNS9_4plusIvEENS9_8equal_toIxEExEE10hipError_tPvRmT2_T3_T4_T5_mT6_T7_P12ihipStream_tbENKUlT_T0_E_clISt17integral_constantIbLb0EESY_IbLb1EEEEDaSU_SV_EUlSU_E_NS1_11comp_targetILNS1_3genE5ELNS1_11target_archE942ELNS1_3gpuE9ELNS1_3repE0EEENS1_30default_config_static_selectorELNS0_4arch9wavefront6targetE0EEEvT1_.has_recursion, 0
	.set _ZN7rocprim17ROCPRIM_400000_NS6detail17trampoline_kernelINS0_14default_configENS1_27scan_by_key_config_selectorIxxEEZZNS1_16scan_by_key_implILNS1_25lookback_scan_determinismE0ELb1ES3_N6thrust23THRUST_200600_302600_NS6detail15normal_iteratorINS9_10device_ptrIxEEEESE_SE_xNS9_4plusIvEENS9_8equal_toIxEExEE10hipError_tPvRmT2_T3_T4_T5_mT6_T7_P12ihipStream_tbENKUlT_T0_E_clISt17integral_constantIbLb0EESY_IbLb1EEEEDaSU_SV_EUlSU_E_NS1_11comp_targetILNS1_3genE5ELNS1_11target_archE942ELNS1_3gpuE9ELNS1_3repE0EEENS1_30default_config_static_selectorELNS0_4arch9wavefront6targetE0EEEvT1_.has_indirect_call, 0
	.section	.AMDGPU.csdata,"",@progbits
; Kernel info:
; codeLenInByte = 0
; TotalNumSgprs: 0
; NumVgprs: 0
; ScratchSize: 0
; MemoryBound: 0
; FloatMode: 240
; IeeeMode: 1
; LDSByteSize: 0 bytes/workgroup (compile time only)
; SGPRBlocks: 0
; VGPRBlocks: 0
; NumSGPRsForWavesPerEU: 1
; NumVGPRsForWavesPerEU: 1
; NamedBarCnt: 0
; Occupancy: 16
; WaveLimiterHint : 0
; COMPUTE_PGM_RSRC2:SCRATCH_EN: 0
; COMPUTE_PGM_RSRC2:USER_SGPR: 2
; COMPUTE_PGM_RSRC2:TRAP_HANDLER: 0
; COMPUTE_PGM_RSRC2:TGID_X_EN: 1
; COMPUTE_PGM_RSRC2:TGID_Y_EN: 0
; COMPUTE_PGM_RSRC2:TGID_Z_EN: 0
; COMPUTE_PGM_RSRC2:TIDIG_COMP_CNT: 0
	.section	.text._ZN7rocprim17ROCPRIM_400000_NS6detail17trampoline_kernelINS0_14default_configENS1_27scan_by_key_config_selectorIxxEEZZNS1_16scan_by_key_implILNS1_25lookback_scan_determinismE0ELb1ES3_N6thrust23THRUST_200600_302600_NS6detail15normal_iteratorINS9_10device_ptrIxEEEESE_SE_xNS9_4plusIvEENS9_8equal_toIxEExEE10hipError_tPvRmT2_T3_T4_T5_mT6_T7_P12ihipStream_tbENKUlT_T0_E_clISt17integral_constantIbLb0EESY_IbLb1EEEEDaSU_SV_EUlSU_E_NS1_11comp_targetILNS1_3genE4ELNS1_11target_archE910ELNS1_3gpuE8ELNS1_3repE0EEENS1_30default_config_static_selectorELNS0_4arch9wavefront6targetE0EEEvT1_,"axG",@progbits,_ZN7rocprim17ROCPRIM_400000_NS6detail17trampoline_kernelINS0_14default_configENS1_27scan_by_key_config_selectorIxxEEZZNS1_16scan_by_key_implILNS1_25lookback_scan_determinismE0ELb1ES3_N6thrust23THRUST_200600_302600_NS6detail15normal_iteratorINS9_10device_ptrIxEEEESE_SE_xNS9_4plusIvEENS9_8equal_toIxEExEE10hipError_tPvRmT2_T3_T4_T5_mT6_T7_P12ihipStream_tbENKUlT_T0_E_clISt17integral_constantIbLb0EESY_IbLb1EEEEDaSU_SV_EUlSU_E_NS1_11comp_targetILNS1_3genE4ELNS1_11target_archE910ELNS1_3gpuE8ELNS1_3repE0EEENS1_30default_config_static_selectorELNS0_4arch9wavefront6targetE0EEEvT1_,comdat
	.protected	_ZN7rocprim17ROCPRIM_400000_NS6detail17trampoline_kernelINS0_14default_configENS1_27scan_by_key_config_selectorIxxEEZZNS1_16scan_by_key_implILNS1_25lookback_scan_determinismE0ELb1ES3_N6thrust23THRUST_200600_302600_NS6detail15normal_iteratorINS9_10device_ptrIxEEEESE_SE_xNS9_4plusIvEENS9_8equal_toIxEExEE10hipError_tPvRmT2_T3_T4_T5_mT6_T7_P12ihipStream_tbENKUlT_T0_E_clISt17integral_constantIbLb0EESY_IbLb1EEEEDaSU_SV_EUlSU_E_NS1_11comp_targetILNS1_3genE4ELNS1_11target_archE910ELNS1_3gpuE8ELNS1_3repE0EEENS1_30default_config_static_selectorELNS0_4arch9wavefront6targetE0EEEvT1_ ; -- Begin function _ZN7rocprim17ROCPRIM_400000_NS6detail17trampoline_kernelINS0_14default_configENS1_27scan_by_key_config_selectorIxxEEZZNS1_16scan_by_key_implILNS1_25lookback_scan_determinismE0ELb1ES3_N6thrust23THRUST_200600_302600_NS6detail15normal_iteratorINS9_10device_ptrIxEEEESE_SE_xNS9_4plusIvEENS9_8equal_toIxEExEE10hipError_tPvRmT2_T3_T4_T5_mT6_T7_P12ihipStream_tbENKUlT_T0_E_clISt17integral_constantIbLb0EESY_IbLb1EEEEDaSU_SV_EUlSU_E_NS1_11comp_targetILNS1_3genE4ELNS1_11target_archE910ELNS1_3gpuE8ELNS1_3repE0EEENS1_30default_config_static_selectorELNS0_4arch9wavefront6targetE0EEEvT1_
	.globl	_ZN7rocprim17ROCPRIM_400000_NS6detail17trampoline_kernelINS0_14default_configENS1_27scan_by_key_config_selectorIxxEEZZNS1_16scan_by_key_implILNS1_25lookback_scan_determinismE0ELb1ES3_N6thrust23THRUST_200600_302600_NS6detail15normal_iteratorINS9_10device_ptrIxEEEESE_SE_xNS9_4plusIvEENS9_8equal_toIxEExEE10hipError_tPvRmT2_T3_T4_T5_mT6_T7_P12ihipStream_tbENKUlT_T0_E_clISt17integral_constantIbLb0EESY_IbLb1EEEEDaSU_SV_EUlSU_E_NS1_11comp_targetILNS1_3genE4ELNS1_11target_archE910ELNS1_3gpuE8ELNS1_3repE0EEENS1_30default_config_static_selectorELNS0_4arch9wavefront6targetE0EEEvT1_
	.p2align	8
	.type	_ZN7rocprim17ROCPRIM_400000_NS6detail17trampoline_kernelINS0_14default_configENS1_27scan_by_key_config_selectorIxxEEZZNS1_16scan_by_key_implILNS1_25lookback_scan_determinismE0ELb1ES3_N6thrust23THRUST_200600_302600_NS6detail15normal_iteratorINS9_10device_ptrIxEEEESE_SE_xNS9_4plusIvEENS9_8equal_toIxEExEE10hipError_tPvRmT2_T3_T4_T5_mT6_T7_P12ihipStream_tbENKUlT_T0_E_clISt17integral_constantIbLb0EESY_IbLb1EEEEDaSU_SV_EUlSU_E_NS1_11comp_targetILNS1_3genE4ELNS1_11target_archE910ELNS1_3gpuE8ELNS1_3repE0EEENS1_30default_config_static_selectorELNS0_4arch9wavefront6targetE0EEEvT1_,@function
_ZN7rocprim17ROCPRIM_400000_NS6detail17trampoline_kernelINS0_14default_configENS1_27scan_by_key_config_selectorIxxEEZZNS1_16scan_by_key_implILNS1_25lookback_scan_determinismE0ELb1ES3_N6thrust23THRUST_200600_302600_NS6detail15normal_iteratorINS9_10device_ptrIxEEEESE_SE_xNS9_4plusIvEENS9_8equal_toIxEExEE10hipError_tPvRmT2_T3_T4_T5_mT6_T7_P12ihipStream_tbENKUlT_T0_E_clISt17integral_constantIbLb0EESY_IbLb1EEEEDaSU_SV_EUlSU_E_NS1_11comp_targetILNS1_3genE4ELNS1_11target_archE910ELNS1_3gpuE8ELNS1_3repE0EEENS1_30default_config_static_selectorELNS0_4arch9wavefront6targetE0EEEvT1_: ; @_ZN7rocprim17ROCPRIM_400000_NS6detail17trampoline_kernelINS0_14default_configENS1_27scan_by_key_config_selectorIxxEEZZNS1_16scan_by_key_implILNS1_25lookback_scan_determinismE0ELb1ES3_N6thrust23THRUST_200600_302600_NS6detail15normal_iteratorINS9_10device_ptrIxEEEESE_SE_xNS9_4plusIvEENS9_8equal_toIxEExEE10hipError_tPvRmT2_T3_T4_T5_mT6_T7_P12ihipStream_tbENKUlT_T0_E_clISt17integral_constantIbLb0EESY_IbLb1EEEEDaSU_SV_EUlSU_E_NS1_11comp_targetILNS1_3genE4ELNS1_11target_archE910ELNS1_3gpuE8ELNS1_3repE0EEENS1_30default_config_static_selectorELNS0_4arch9wavefront6targetE0EEEvT1_
; %bb.0:
	.section	.rodata,"a",@progbits
	.p2align	6, 0x0
	.amdhsa_kernel _ZN7rocprim17ROCPRIM_400000_NS6detail17trampoline_kernelINS0_14default_configENS1_27scan_by_key_config_selectorIxxEEZZNS1_16scan_by_key_implILNS1_25lookback_scan_determinismE0ELb1ES3_N6thrust23THRUST_200600_302600_NS6detail15normal_iteratorINS9_10device_ptrIxEEEESE_SE_xNS9_4plusIvEENS9_8equal_toIxEExEE10hipError_tPvRmT2_T3_T4_T5_mT6_T7_P12ihipStream_tbENKUlT_T0_E_clISt17integral_constantIbLb0EESY_IbLb1EEEEDaSU_SV_EUlSU_E_NS1_11comp_targetILNS1_3genE4ELNS1_11target_archE910ELNS1_3gpuE8ELNS1_3repE0EEENS1_30default_config_static_selectorELNS0_4arch9wavefront6targetE0EEEvT1_
		.amdhsa_group_segment_fixed_size 0
		.amdhsa_private_segment_fixed_size 0
		.amdhsa_kernarg_size 136
		.amdhsa_user_sgpr_count 2
		.amdhsa_user_sgpr_dispatch_ptr 0
		.amdhsa_user_sgpr_queue_ptr 0
		.amdhsa_user_sgpr_kernarg_segment_ptr 1
		.amdhsa_user_sgpr_dispatch_id 0
		.amdhsa_user_sgpr_kernarg_preload_length 0
		.amdhsa_user_sgpr_kernarg_preload_offset 0
		.amdhsa_user_sgpr_private_segment_size 0
		.amdhsa_wavefront_size32 1
		.amdhsa_uses_dynamic_stack 0
		.amdhsa_enable_private_segment 0
		.amdhsa_system_sgpr_workgroup_id_x 1
		.amdhsa_system_sgpr_workgroup_id_y 0
		.amdhsa_system_sgpr_workgroup_id_z 0
		.amdhsa_system_sgpr_workgroup_info 0
		.amdhsa_system_vgpr_workitem_id 0
		.amdhsa_next_free_vgpr 1
		.amdhsa_next_free_sgpr 1
		.amdhsa_named_barrier_count 0
		.amdhsa_reserve_vcc 0
		.amdhsa_float_round_mode_32 0
		.amdhsa_float_round_mode_16_64 0
		.amdhsa_float_denorm_mode_32 3
		.amdhsa_float_denorm_mode_16_64 3
		.amdhsa_fp16_overflow 0
		.amdhsa_memory_ordered 1
		.amdhsa_forward_progress 1
		.amdhsa_inst_pref_size 0
		.amdhsa_round_robin_scheduling 0
		.amdhsa_exception_fp_ieee_invalid_op 0
		.amdhsa_exception_fp_denorm_src 0
		.amdhsa_exception_fp_ieee_div_zero 0
		.amdhsa_exception_fp_ieee_overflow 0
		.amdhsa_exception_fp_ieee_underflow 0
		.amdhsa_exception_fp_ieee_inexact 0
		.amdhsa_exception_int_div_zero 0
	.end_amdhsa_kernel
	.section	.text._ZN7rocprim17ROCPRIM_400000_NS6detail17trampoline_kernelINS0_14default_configENS1_27scan_by_key_config_selectorIxxEEZZNS1_16scan_by_key_implILNS1_25lookback_scan_determinismE0ELb1ES3_N6thrust23THRUST_200600_302600_NS6detail15normal_iteratorINS9_10device_ptrIxEEEESE_SE_xNS9_4plusIvEENS9_8equal_toIxEExEE10hipError_tPvRmT2_T3_T4_T5_mT6_T7_P12ihipStream_tbENKUlT_T0_E_clISt17integral_constantIbLb0EESY_IbLb1EEEEDaSU_SV_EUlSU_E_NS1_11comp_targetILNS1_3genE4ELNS1_11target_archE910ELNS1_3gpuE8ELNS1_3repE0EEENS1_30default_config_static_selectorELNS0_4arch9wavefront6targetE0EEEvT1_,"axG",@progbits,_ZN7rocprim17ROCPRIM_400000_NS6detail17trampoline_kernelINS0_14default_configENS1_27scan_by_key_config_selectorIxxEEZZNS1_16scan_by_key_implILNS1_25lookback_scan_determinismE0ELb1ES3_N6thrust23THRUST_200600_302600_NS6detail15normal_iteratorINS9_10device_ptrIxEEEESE_SE_xNS9_4plusIvEENS9_8equal_toIxEExEE10hipError_tPvRmT2_T3_T4_T5_mT6_T7_P12ihipStream_tbENKUlT_T0_E_clISt17integral_constantIbLb0EESY_IbLb1EEEEDaSU_SV_EUlSU_E_NS1_11comp_targetILNS1_3genE4ELNS1_11target_archE910ELNS1_3gpuE8ELNS1_3repE0EEENS1_30default_config_static_selectorELNS0_4arch9wavefront6targetE0EEEvT1_,comdat
.Lfunc_end455:
	.size	_ZN7rocprim17ROCPRIM_400000_NS6detail17trampoline_kernelINS0_14default_configENS1_27scan_by_key_config_selectorIxxEEZZNS1_16scan_by_key_implILNS1_25lookback_scan_determinismE0ELb1ES3_N6thrust23THRUST_200600_302600_NS6detail15normal_iteratorINS9_10device_ptrIxEEEESE_SE_xNS9_4plusIvEENS9_8equal_toIxEExEE10hipError_tPvRmT2_T3_T4_T5_mT6_T7_P12ihipStream_tbENKUlT_T0_E_clISt17integral_constantIbLb0EESY_IbLb1EEEEDaSU_SV_EUlSU_E_NS1_11comp_targetILNS1_3genE4ELNS1_11target_archE910ELNS1_3gpuE8ELNS1_3repE0EEENS1_30default_config_static_selectorELNS0_4arch9wavefront6targetE0EEEvT1_, .Lfunc_end455-_ZN7rocprim17ROCPRIM_400000_NS6detail17trampoline_kernelINS0_14default_configENS1_27scan_by_key_config_selectorIxxEEZZNS1_16scan_by_key_implILNS1_25lookback_scan_determinismE0ELb1ES3_N6thrust23THRUST_200600_302600_NS6detail15normal_iteratorINS9_10device_ptrIxEEEESE_SE_xNS9_4plusIvEENS9_8equal_toIxEExEE10hipError_tPvRmT2_T3_T4_T5_mT6_T7_P12ihipStream_tbENKUlT_T0_E_clISt17integral_constantIbLb0EESY_IbLb1EEEEDaSU_SV_EUlSU_E_NS1_11comp_targetILNS1_3genE4ELNS1_11target_archE910ELNS1_3gpuE8ELNS1_3repE0EEENS1_30default_config_static_selectorELNS0_4arch9wavefront6targetE0EEEvT1_
                                        ; -- End function
	.set _ZN7rocprim17ROCPRIM_400000_NS6detail17trampoline_kernelINS0_14default_configENS1_27scan_by_key_config_selectorIxxEEZZNS1_16scan_by_key_implILNS1_25lookback_scan_determinismE0ELb1ES3_N6thrust23THRUST_200600_302600_NS6detail15normal_iteratorINS9_10device_ptrIxEEEESE_SE_xNS9_4plusIvEENS9_8equal_toIxEExEE10hipError_tPvRmT2_T3_T4_T5_mT6_T7_P12ihipStream_tbENKUlT_T0_E_clISt17integral_constantIbLb0EESY_IbLb1EEEEDaSU_SV_EUlSU_E_NS1_11comp_targetILNS1_3genE4ELNS1_11target_archE910ELNS1_3gpuE8ELNS1_3repE0EEENS1_30default_config_static_selectorELNS0_4arch9wavefront6targetE0EEEvT1_.num_vgpr, 0
	.set _ZN7rocprim17ROCPRIM_400000_NS6detail17trampoline_kernelINS0_14default_configENS1_27scan_by_key_config_selectorIxxEEZZNS1_16scan_by_key_implILNS1_25lookback_scan_determinismE0ELb1ES3_N6thrust23THRUST_200600_302600_NS6detail15normal_iteratorINS9_10device_ptrIxEEEESE_SE_xNS9_4plusIvEENS9_8equal_toIxEExEE10hipError_tPvRmT2_T3_T4_T5_mT6_T7_P12ihipStream_tbENKUlT_T0_E_clISt17integral_constantIbLb0EESY_IbLb1EEEEDaSU_SV_EUlSU_E_NS1_11comp_targetILNS1_3genE4ELNS1_11target_archE910ELNS1_3gpuE8ELNS1_3repE0EEENS1_30default_config_static_selectorELNS0_4arch9wavefront6targetE0EEEvT1_.num_agpr, 0
	.set _ZN7rocprim17ROCPRIM_400000_NS6detail17trampoline_kernelINS0_14default_configENS1_27scan_by_key_config_selectorIxxEEZZNS1_16scan_by_key_implILNS1_25lookback_scan_determinismE0ELb1ES3_N6thrust23THRUST_200600_302600_NS6detail15normal_iteratorINS9_10device_ptrIxEEEESE_SE_xNS9_4plusIvEENS9_8equal_toIxEExEE10hipError_tPvRmT2_T3_T4_T5_mT6_T7_P12ihipStream_tbENKUlT_T0_E_clISt17integral_constantIbLb0EESY_IbLb1EEEEDaSU_SV_EUlSU_E_NS1_11comp_targetILNS1_3genE4ELNS1_11target_archE910ELNS1_3gpuE8ELNS1_3repE0EEENS1_30default_config_static_selectorELNS0_4arch9wavefront6targetE0EEEvT1_.numbered_sgpr, 0
	.set _ZN7rocprim17ROCPRIM_400000_NS6detail17trampoline_kernelINS0_14default_configENS1_27scan_by_key_config_selectorIxxEEZZNS1_16scan_by_key_implILNS1_25lookback_scan_determinismE0ELb1ES3_N6thrust23THRUST_200600_302600_NS6detail15normal_iteratorINS9_10device_ptrIxEEEESE_SE_xNS9_4plusIvEENS9_8equal_toIxEExEE10hipError_tPvRmT2_T3_T4_T5_mT6_T7_P12ihipStream_tbENKUlT_T0_E_clISt17integral_constantIbLb0EESY_IbLb1EEEEDaSU_SV_EUlSU_E_NS1_11comp_targetILNS1_3genE4ELNS1_11target_archE910ELNS1_3gpuE8ELNS1_3repE0EEENS1_30default_config_static_selectorELNS0_4arch9wavefront6targetE0EEEvT1_.num_named_barrier, 0
	.set _ZN7rocprim17ROCPRIM_400000_NS6detail17trampoline_kernelINS0_14default_configENS1_27scan_by_key_config_selectorIxxEEZZNS1_16scan_by_key_implILNS1_25lookback_scan_determinismE0ELb1ES3_N6thrust23THRUST_200600_302600_NS6detail15normal_iteratorINS9_10device_ptrIxEEEESE_SE_xNS9_4plusIvEENS9_8equal_toIxEExEE10hipError_tPvRmT2_T3_T4_T5_mT6_T7_P12ihipStream_tbENKUlT_T0_E_clISt17integral_constantIbLb0EESY_IbLb1EEEEDaSU_SV_EUlSU_E_NS1_11comp_targetILNS1_3genE4ELNS1_11target_archE910ELNS1_3gpuE8ELNS1_3repE0EEENS1_30default_config_static_selectorELNS0_4arch9wavefront6targetE0EEEvT1_.private_seg_size, 0
	.set _ZN7rocprim17ROCPRIM_400000_NS6detail17trampoline_kernelINS0_14default_configENS1_27scan_by_key_config_selectorIxxEEZZNS1_16scan_by_key_implILNS1_25lookback_scan_determinismE0ELb1ES3_N6thrust23THRUST_200600_302600_NS6detail15normal_iteratorINS9_10device_ptrIxEEEESE_SE_xNS9_4plusIvEENS9_8equal_toIxEExEE10hipError_tPvRmT2_T3_T4_T5_mT6_T7_P12ihipStream_tbENKUlT_T0_E_clISt17integral_constantIbLb0EESY_IbLb1EEEEDaSU_SV_EUlSU_E_NS1_11comp_targetILNS1_3genE4ELNS1_11target_archE910ELNS1_3gpuE8ELNS1_3repE0EEENS1_30default_config_static_selectorELNS0_4arch9wavefront6targetE0EEEvT1_.uses_vcc, 0
	.set _ZN7rocprim17ROCPRIM_400000_NS6detail17trampoline_kernelINS0_14default_configENS1_27scan_by_key_config_selectorIxxEEZZNS1_16scan_by_key_implILNS1_25lookback_scan_determinismE0ELb1ES3_N6thrust23THRUST_200600_302600_NS6detail15normal_iteratorINS9_10device_ptrIxEEEESE_SE_xNS9_4plusIvEENS9_8equal_toIxEExEE10hipError_tPvRmT2_T3_T4_T5_mT6_T7_P12ihipStream_tbENKUlT_T0_E_clISt17integral_constantIbLb0EESY_IbLb1EEEEDaSU_SV_EUlSU_E_NS1_11comp_targetILNS1_3genE4ELNS1_11target_archE910ELNS1_3gpuE8ELNS1_3repE0EEENS1_30default_config_static_selectorELNS0_4arch9wavefront6targetE0EEEvT1_.uses_flat_scratch, 0
	.set _ZN7rocprim17ROCPRIM_400000_NS6detail17trampoline_kernelINS0_14default_configENS1_27scan_by_key_config_selectorIxxEEZZNS1_16scan_by_key_implILNS1_25lookback_scan_determinismE0ELb1ES3_N6thrust23THRUST_200600_302600_NS6detail15normal_iteratorINS9_10device_ptrIxEEEESE_SE_xNS9_4plusIvEENS9_8equal_toIxEExEE10hipError_tPvRmT2_T3_T4_T5_mT6_T7_P12ihipStream_tbENKUlT_T0_E_clISt17integral_constantIbLb0EESY_IbLb1EEEEDaSU_SV_EUlSU_E_NS1_11comp_targetILNS1_3genE4ELNS1_11target_archE910ELNS1_3gpuE8ELNS1_3repE0EEENS1_30default_config_static_selectorELNS0_4arch9wavefront6targetE0EEEvT1_.has_dyn_sized_stack, 0
	.set _ZN7rocprim17ROCPRIM_400000_NS6detail17trampoline_kernelINS0_14default_configENS1_27scan_by_key_config_selectorIxxEEZZNS1_16scan_by_key_implILNS1_25lookback_scan_determinismE0ELb1ES3_N6thrust23THRUST_200600_302600_NS6detail15normal_iteratorINS9_10device_ptrIxEEEESE_SE_xNS9_4plusIvEENS9_8equal_toIxEExEE10hipError_tPvRmT2_T3_T4_T5_mT6_T7_P12ihipStream_tbENKUlT_T0_E_clISt17integral_constantIbLb0EESY_IbLb1EEEEDaSU_SV_EUlSU_E_NS1_11comp_targetILNS1_3genE4ELNS1_11target_archE910ELNS1_3gpuE8ELNS1_3repE0EEENS1_30default_config_static_selectorELNS0_4arch9wavefront6targetE0EEEvT1_.has_recursion, 0
	.set _ZN7rocprim17ROCPRIM_400000_NS6detail17trampoline_kernelINS0_14default_configENS1_27scan_by_key_config_selectorIxxEEZZNS1_16scan_by_key_implILNS1_25lookback_scan_determinismE0ELb1ES3_N6thrust23THRUST_200600_302600_NS6detail15normal_iteratorINS9_10device_ptrIxEEEESE_SE_xNS9_4plusIvEENS9_8equal_toIxEExEE10hipError_tPvRmT2_T3_T4_T5_mT6_T7_P12ihipStream_tbENKUlT_T0_E_clISt17integral_constantIbLb0EESY_IbLb1EEEEDaSU_SV_EUlSU_E_NS1_11comp_targetILNS1_3genE4ELNS1_11target_archE910ELNS1_3gpuE8ELNS1_3repE0EEENS1_30default_config_static_selectorELNS0_4arch9wavefront6targetE0EEEvT1_.has_indirect_call, 0
	.section	.AMDGPU.csdata,"",@progbits
; Kernel info:
; codeLenInByte = 0
; TotalNumSgprs: 0
; NumVgprs: 0
; ScratchSize: 0
; MemoryBound: 0
; FloatMode: 240
; IeeeMode: 1
; LDSByteSize: 0 bytes/workgroup (compile time only)
; SGPRBlocks: 0
; VGPRBlocks: 0
; NumSGPRsForWavesPerEU: 1
; NumVGPRsForWavesPerEU: 1
; NamedBarCnt: 0
; Occupancy: 16
; WaveLimiterHint : 0
; COMPUTE_PGM_RSRC2:SCRATCH_EN: 0
; COMPUTE_PGM_RSRC2:USER_SGPR: 2
; COMPUTE_PGM_RSRC2:TRAP_HANDLER: 0
; COMPUTE_PGM_RSRC2:TGID_X_EN: 1
; COMPUTE_PGM_RSRC2:TGID_Y_EN: 0
; COMPUTE_PGM_RSRC2:TGID_Z_EN: 0
; COMPUTE_PGM_RSRC2:TIDIG_COMP_CNT: 0
	.section	.text._ZN7rocprim17ROCPRIM_400000_NS6detail17trampoline_kernelINS0_14default_configENS1_27scan_by_key_config_selectorIxxEEZZNS1_16scan_by_key_implILNS1_25lookback_scan_determinismE0ELb1ES3_N6thrust23THRUST_200600_302600_NS6detail15normal_iteratorINS9_10device_ptrIxEEEESE_SE_xNS9_4plusIvEENS9_8equal_toIxEExEE10hipError_tPvRmT2_T3_T4_T5_mT6_T7_P12ihipStream_tbENKUlT_T0_E_clISt17integral_constantIbLb0EESY_IbLb1EEEEDaSU_SV_EUlSU_E_NS1_11comp_targetILNS1_3genE3ELNS1_11target_archE908ELNS1_3gpuE7ELNS1_3repE0EEENS1_30default_config_static_selectorELNS0_4arch9wavefront6targetE0EEEvT1_,"axG",@progbits,_ZN7rocprim17ROCPRIM_400000_NS6detail17trampoline_kernelINS0_14default_configENS1_27scan_by_key_config_selectorIxxEEZZNS1_16scan_by_key_implILNS1_25lookback_scan_determinismE0ELb1ES3_N6thrust23THRUST_200600_302600_NS6detail15normal_iteratorINS9_10device_ptrIxEEEESE_SE_xNS9_4plusIvEENS9_8equal_toIxEExEE10hipError_tPvRmT2_T3_T4_T5_mT6_T7_P12ihipStream_tbENKUlT_T0_E_clISt17integral_constantIbLb0EESY_IbLb1EEEEDaSU_SV_EUlSU_E_NS1_11comp_targetILNS1_3genE3ELNS1_11target_archE908ELNS1_3gpuE7ELNS1_3repE0EEENS1_30default_config_static_selectorELNS0_4arch9wavefront6targetE0EEEvT1_,comdat
	.protected	_ZN7rocprim17ROCPRIM_400000_NS6detail17trampoline_kernelINS0_14default_configENS1_27scan_by_key_config_selectorIxxEEZZNS1_16scan_by_key_implILNS1_25lookback_scan_determinismE0ELb1ES3_N6thrust23THRUST_200600_302600_NS6detail15normal_iteratorINS9_10device_ptrIxEEEESE_SE_xNS9_4plusIvEENS9_8equal_toIxEExEE10hipError_tPvRmT2_T3_T4_T5_mT6_T7_P12ihipStream_tbENKUlT_T0_E_clISt17integral_constantIbLb0EESY_IbLb1EEEEDaSU_SV_EUlSU_E_NS1_11comp_targetILNS1_3genE3ELNS1_11target_archE908ELNS1_3gpuE7ELNS1_3repE0EEENS1_30default_config_static_selectorELNS0_4arch9wavefront6targetE0EEEvT1_ ; -- Begin function _ZN7rocprim17ROCPRIM_400000_NS6detail17trampoline_kernelINS0_14default_configENS1_27scan_by_key_config_selectorIxxEEZZNS1_16scan_by_key_implILNS1_25lookback_scan_determinismE0ELb1ES3_N6thrust23THRUST_200600_302600_NS6detail15normal_iteratorINS9_10device_ptrIxEEEESE_SE_xNS9_4plusIvEENS9_8equal_toIxEExEE10hipError_tPvRmT2_T3_T4_T5_mT6_T7_P12ihipStream_tbENKUlT_T0_E_clISt17integral_constantIbLb0EESY_IbLb1EEEEDaSU_SV_EUlSU_E_NS1_11comp_targetILNS1_3genE3ELNS1_11target_archE908ELNS1_3gpuE7ELNS1_3repE0EEENS1_30default_config_static_selectorELNS0_4arch9wavefront6targetE0EEEvT1_
	.globl	_ZN7rocprim17ROCPRIM_400000_NS6detail17trampoline_kernelINS0_14default_configENS1_27scan_by_key_config_selectorIxxEEZZNS1_16scan_by_key_implILNS1_25lookback_scan_determinismE0ELb1ES3_N6thrust23THRUST_200600_302600_NS6detail15normal_iteratorINS9_10device_ptrIxEEEESE_SE_xNS9_4plusIvEENS9_8equal_toIxEExEE10hipError_tPvRmT2_T3_T4_T5_mT6_T7_P12ihipStream_tbENKUlT_T0_E_clISt17integral_constantIbLb0EESY_IbLb1EEEEDaSU_SV_EUlSU_E_NS1_11comp_targetILNS1_3genE3ELNS1_11target_archE908ELNS1_3gpuE7ELNS1_3repE0EEENS1_30default_config_static_selectorELNS0_4arch9wavefront6targetE0EEEvT1_
	.p2align	8
	.type	_ZN7rocprim17ROCPRIM_400000_NS6detail17trampoline_kernelINS0_14default_configENS1_27scan_by_key_config_selectorIxxEEZZNS1_16scan_by_key_implILNS1_25lookback_scan_determinismE0ELb1ES3_N6thrust23THRUST_200600_302600_NS6detail15normal_iteratorINS9_10device_ptrIxEEEESE_SE_xNS9_4plusIvEENS9_8equal_toIxEExEE10hipError_tPvRmT2_T3_T4_T5_mT6_T7_P12ihipStream_tbENKUlT_T0_E_clISt17integral_constantIbLb0EESY_IbLb1EEEEDaSU_SV_EUlSU_E_NS1_11comp_targetILNS1_3genE3ELNS1_11target_archE908ELNS1_3gpuE7ELNS1_3repE0EEENS1_30default_config_static_selectorELNS0_4arch9wavefront6targetE0EEEvT1_,@function
_ZN7rocprim17ROCPRIM_400000_NS6detail17trampoline_kernelINS0_14default_configENS1_27scan_by_key_config_selectorIxxEEZZNS1_16scan_by_key_implILNS1_25lookback_scan_determinismE0ELb1ES3_N6thrust23THRUST_200600_302600_NS6detail15normal_iteratorINS9_10device_ptrIxEEEESE_SE_xNS9_4plusIvEENS9_8equal_toIxEExEE10hipError_tPvRmT2_T3_T4_T5_mT6_T7_P12ihipStream_tbENKUlT_T0_E_clISt17integral_constantIbLb0EESY_IbLb1EEEEDaSU_SV_EUlSU_E_NS1_11comp_targetILNS1_3genE3ELNS1_11target_archE908ELNS1_3gpuE7ELNS1_3repE0EEENS1_30default_config_static_selectorELNS0_4arch9wavefront6targetE0EEEvT1_: ; @_ZN7rocprim17ROCPRIM_400000_NS6detail17trampoline_kernelINS0_14default_configENS1_27scan_by_key_config_selectorIxxEEZZNS1_16scan_by_key_implILNS1_25lookback_scan_determinismE0ELb1ES3_N6thrust23THRUST_200600_302600_NS6detail15normal_iteratorINS9_10device_ptrIxEEEESE_SE_xNS9_4plusIvEENS9_8equal_toIxEExEE10hipError_tPvRmT2_T3_T4_T5_mT6_T7_P12ihipStream_tbENKUlT_T0_E_clISt17integral_constantIbLb0EESY_IbLb1EEEEDaSU_SV_EUlSU_E_NS1_11comp_targetILNS1_3genE3ELNS1_11target_archE908ELNS1_3gpuE7ELNS1_3repE0EEENS1_30default_config_static_selectorELNS0_4arch9wavefront6targetE0EEEvT1_
; %bb.0:
	.section	.rodata,"a",@progbits
	.p2align	6, 0x0
	.amdhsa_kernel _ZN7rocprim17ROCPRIM_400000_NS6detail17trampoline_kernelINS0_14default_configENS1_27scan_by_key_config_selectorIxxEEZZNS1_16scan_by_key_implILNS1_25lookback_scan_determinismE0ELb1ES3_N6thrust23THRUST_200600_302600_NS6detail15normal_iteratorINS9_10device_ptrIxEEEESE_SE_xNS9_4plusIvEENS9_8equal_toIxEExEE10hipError_tPvRmT2_T3_T4_T5_mT6_T7_P12ihipStream_tbENKUlT_T0_E_clISt17integral_constantIbLb0EESY_IbLb1EEEEDaSU_SV_EUlSU_E_NS1_11comp_targetILNS1_3genE3ELNS1_11target_archE908ELNS1_3gpuE7ELNS1_3repE0EEENS1_30default_config_static_selectorELNS0_4arch9wavefront6targetE0EEEvT1_
		.amdhsa_group_segment_fixed_size 0
		.amdhsa_private_segment_fixed_size 0
		.amdhsa_kernarg_size 136
		.amdhsa_user_sgpr_count 2
		.amdhsa_user_sgpr_dispatch_ptr 0
		.amdhsa_user_sgpr_queue_ptr 0
		.amdhsa_user_sgpr_kernarg_segment_ptr 1
		.amdhsa_user_sgpr_dispatch_id 0
		.amdhsa_user_sgpr_kernarg_preload_length 0
		.amdhsa_user_sgpr_kernarg_preload_offset 0
		.amdhsa_user_sgpr_private_segment_size 0
		.amdhsa_wavefront_size32 1
		.amdhsa_uses_dynamic_stack 0
		.amdhsa_enable_private_segment 0
		.amdhsa_system_sgpr_workgroup_id_x 1
		.amdhsa_system_sgpr_workgroup_id_y 0
		.amdhsa_system_sgpr_workgroup_id_z 0
		.amdhsa_system_sgpr_workgroup_info 0
		.amdhsa_system_vgpr_workitem_id 0
		.amdhsa_next_free_vgpr 1
		.amdhsa_next_free_sgpr 1
		.amdhsa_named_barrier_count 0
		.amdhsa_reserve_vcc 0
		.amdhsa_float_round_mode_32 0
		.amdhsa_float_round_mode_16_64 0
		.amdhsa_float_denorm_mode_32 3
		.amdhsa_float_denorm_mode_16_64 3
		.amdhsa_fp16_overflow 0
		.amdhsa_memory_ordered 1
		.amdhsa_forward_progress 1
		.amdhsa_inst_pref_size 0
		.amdhsa_round_robin_scheduling 0
		.amdhsa_exception_fp_ieee_invalid_op 0
		.amdhsa_exception_fp_denorm_src 0
		.amdhsa_exception_fp_ieee_div_zero 0
		.amdhsa_exception_fp_ieee_overflow 0
		.amdhsa_exception_fp_ieee_underflow 0
		.amdhsa_exception_fp_ieee_inexact 0
		.amdhsa_exception_int_div_zero 0
	.end_amdhsa_kernel
	.section	.text._ZN7rocprim17ROCPRIM_400000_NS6detail17trampoline_kernelINS0_14default_configENS1_27scan_by_key_config_selectorIxxEEZZNS1_16scan_by_key_implILNS1_25lookback_scan_determinismE0ELb1ES3_N6thrust23THRUST_200600_302600_NS6detail15normal_iteratorINS9_10device_ptrIxEEEESE_SE_xNS9_4plusIvEENS9_8equal_toIxEExEE10hipError_tPvRmT2_T3_T4_T5_mT6_T7_P12ihipStream_tbENKUlT_T0_E_clISt17integral_constantIbLb0EESY_IbLb1EEEEDaSU_SV_EUlSU_E_NS1_11comp_targetILNS1_3genE3ELNS1_11target_archE908ELNS1_3gpuE7ELNS1_3repE0EEENS1_30default_config_static_selectorELNS0_4arch9wavefront6targetE0EEEvT1_,"axG",@progbits,_ZN7rocprim17ROCPRIM_400000_NS6detail17trampoline_kernelINS0_14default_configENS1_27scan_by_key_config_selectorIxxEEZZNS1_16scan_by_key_implILNS1_25lookback_scan_determinismE0ELb1ES3_N6thrust23THRUST_200600_302600_NS6detail15normal_iteratorINS9_10device_ptrIxEEEESE_SE_xNS9_4plusIvEENS9_8equal_toIxEExEE10hipError_tPvRmT2_T3_T4_T5_mT6_T7_P12ihipStream_tbENKUlT_T0_E_clISt17integral_constantIbLb0EESY_IbLb1EEEEDaSU_SV_EUlSU_E_NS1_11comp_targetILNS1_3genE3ELNS1_11target_archE908ELNS1_3gpuE7ELNS1_3repE0EEENS1_30default_config_static_selectorELNS0_4arch9wavefront6targetE0EEEvT1_,comdat
.Lfunc_end456:
	.size	_ZN7rocprim17ROCPRIM_400000_NS6detail17trampoline_kernelINS0_14default_configENS1_27scan_by_key_config_selectorIxxEEZZNS1_16scan_by_key_implILNS1_25lookback_scan_determinismE0ELb1ES3_N6thrust23THRUST_200600_302600_NS6detail15normal_iteratorINS9_10device_ptrIxEEEESE_SE_xNS9_4plusIvEENS9_8equal_toIxEExEE10hipError_tPvRmT2_T3_T4_T5_mT6_T7_P12ihipStream_tbENKUlT_T0_E_clISt17integral_constantIbLb0EESY_IbLb1EEEEDaSU_SV_EUlSU_E_NS1_11comp_targetILNS1_3genE3ELNS1_11target_archE908ELNS1_3gpuE7ELNS1_3repE0EEENS1_30default_config_static_selectorELNS0_4arch9wavefront6targetE0EEEvT1_, .Lfunc_end456-_ZN7rocprim17ROCPRIM_400000_NS6detail17trampoline_kernelINS0_14default_configENS1_27scan_by_key_config_selectorIxxEEZZNS1_16scan_by_key_implILNS1_25lookback_scan_determinismE0ELb1ES3_N6thrust23THRUST_200600_302600_NS6detail15normal_iteratorINS9_10device_ptrIxEEEESE_SE_xNS9_4plusIvEENS9_8equal_toIxEExEE10hipError_tPvRmT2_T3_T4_T5_mT6_T7_P12ihipStream_tbENKUlT_T0_E_clISt17integral_constantIbLb0EESY_IbLb1EEEEDaSU_SV_EUlSU_E_NS1_11comp_targetILNS1_3genE3ELNS1_11target_archE908ELNS1_3gpuE7ELNS1_3repE0EEENS1_30default_config_static_selectorELNS0_4arch9wavefront6targetE0EEEvT1_
                                        ; -- End function
	.set _ZN7rocprim17ROCPRIM_400000_NS6detail17trampoline_kernelINS0_14default_configENS1_27scan_by_key_config_selectorIxxEEZZNS1_16scan_by_key_implILNS1_25lookback_scan_determinismE0ELb1ES3_N6thrust23THRUST_200600_302600_NS6detail15normal_iteratorINS9_10device_ptrIxEEEESE_SE_xNS9_4plusIvEENS9_8equal_toIxEExEE10hipError_tPvRmT2_T3_T4_T5_mT6_T7_P12ihipStream_tbENKUlT_T0_E_clISt17integral_constantIbLb0EESY_IbLb1EEEEDaSU_SV_EUlSU_E_NS1_11comp_targetILNS1_3genE3ELNS1_11target_archE908ELNS1_3gpuE7ELNS1_3repE0EEENS1_30default_config_static_selectorELNS0_4arch9wavefront6targetE0EEEvT1_.num_vgpr, 0
	.set _ZN7rocprim17ROCPRIM_400000_NS6detail17trampoline_kernelINS0_14default_configENS1_27scan_by_key_config_selectorIxxEEZZNS1_16scan_by_key_implILNS1_25lookback_scan_determinismE0ELb1ES3_N6thrust23THRUST_200600_302600_NS6detail15normal_iteratorINS9_10device_ptrIxEEEESE_SE_xNS9_4plusIvEENS9_8equal_toIxEExEE10hipError_tPvRmT2_T3_T4_T5_mT6_T7_P12ihipStream_tbENKUlT_T0_E_clISt17integral_constantIbLb0EESY_IbLb1EEEEDaSU_SV_EUlSU_E_NS1_11comp_targetILNS1_3genE3ELNS1_11target_archE908ELNS1_3gpuE7ELNS1_3repE0EEENS1_30default_config_static_selectorELNS0_4arch9wavefront6targetE0EEEvT1_.num_agpr, 0
	.set _ZN7rocprim17ROCPRIM_400000_NS6detail17trampoline_kernelINS0_14default_configENS1_27scan_by_key_config_selectorIxxEEZZNS1_16scan_by_key_implILNS1_25lookback_scan_determinismE0ELb1ES3_N6thrust23THRUST_200600_302600_NS6detail15normal_iteratorINS9_10device_ptrIxEEEESE_SE_xNS9_4plusIvEENS9_8equal_toIxEExEE10hipError_tPvRmT2_T3_T4_T5_mT6_T7_P12ihipStream_tbENKUlT_T0_E_clISt17integral_constantIbLb0EESY_IbLb1EEEEDaSU_SV_EUlSU_E_NS1_11comp_targetILNS1_3genE3ELNS1_11target_archE908ELNS1_3gpuE7ELNS1_3repE0EEENS1_30default_config_static_selectorELNS0_4arch9wavefront6targetE0EEEvT1_.numbered_sgpr, 0
	.set _ZN7rocprim17ROCPRIM_400000_NS6detail17trampoline_kernelINS0_14default_configENS1_27scan_by_key_config_selectorIxxEEZZNS1_16scan_by_key_implILNS1_25lookback_scan_determinismE0ELb1ES3_N6thrust23THRUST_200600_302600_NS6detail15normal_iteratorINS9_10device_ptrIxEEEESE_SE_xNS9_4plusIvEENS9_8equal_toIxEExEE10hipError_tPvRmT2_T3_T4_T5_mT6_T7_P12ihipStream_tbENKUlT_T0_E_clISt17integral_constantIbLb0EESY_IbLb1EEEEDaSU_SV_EUlSU_E_NS1_11comp_targetILNS1_3genE3ELNS1_11target_archE908ELNS1_3gpuE7ELNS1_3repE0EEENS1_30default_config_static_selectorELNS0_4arch9wavefront6targetE0EEEvT1_.num_named_barrier, 0
	.set _ZN7rocprim17ROCPRIM_400000_NS6detail17trampoline_kernelINS0_14default_configENS1_27scan_by_key_config_selectorIxxEEZZNS1_16scan_by_key_implILNS1_25lookback_scan_determinismE0ELb1ES3_N6thrust23THRUST_200600_302600_NS6detail15normal_iteratorINS9_10device_ptrIxEEEESE_SE_xNS9_4plusIvEENS9_8equal_toIxEExEE10hipError_tPvRmT2_T3_T4_T5_mT6_T7_P12ihipStream_tbENKUlT_T0_E_clISt17integral_constantIbLb0EESY_IbLb1EEEEDaSU_SV_EUlSU_E_NS1_11comp_targetILNS1_3genE3ELNS1_11target_archE908ELNS1_3gpuE7ELNS1_3repE0EEENS1_30default_config_static_selectorELNS0_4arch9wavefront6targetE0EEEvT1_.private_seg_size, 0
	.set _ZN7rocprim17ROCPRIM_400000_NS6detail17trampoline_kernelINS0_14default_configENS1_27scan_by_key_config_selectorIxxEEZZNS1_16scan_by_key_implILNS1_25lookback_scan_determinismE0ELb1ES3_N6thrust23THRUST_200600_302600_NS6detail15normal_iteratorINS9_10device_ptrIxEEEESE_SE_xNS9_4plusIvEENS9_8equal_toIxEExEE10hipError_tPvRmT2_T3_T4_T5_mT6_T7_P12ihipStream_tbENKUlT_T0_E_clISt17integral_constantIbLb0EESY_IbLb1EEEEDaSU_SV_EUlSU_E_NS1_11comp_targetILNS1_3genE3ELNS1_11target_archE908ELNS1_3gpuE7ELNS1_3repE0EEENS1_30default_config_static_selectorELNS0_4arch9wavefront6targetE0EEEvT1_.uses_vcc, 0
	.set _ZN7rocprim17ROCPRIM_400000_NS6detail17trampoline_kernelINS0_14default_configENS1_27scan_by_key_config_selectorIxxEEZZNS1_16scan_by_key_implILNS1_25lookback_scan_determinismE0ELb1ES3_N6thrust23THRUST_200600_302600_NS6detail15normal_iteratorINS9_10device_ptrIxEEEESE_SE_xNS9_4plusIvEENS9_8equal_toIxEExEE10hipError_tPvRmT2_T3_T4_T5_mT6_T7_P12ihipStream_tbENKUlT_T0_E_clISt17integral_constantIbLb0EESY_IbLb1EEEEDaSU_SV_EUlSU_E_NS1_11comp_targetILNS1_3genE3ELNS1_11target_archE908ELNS1_3gpuE7ELNS1_3repE0EEENS1_30default_config_static_selectorELNS0_4arch9wavefront6targetE0EEEvT1_.uses_flat_scratch, 0
	.set _ZN7rocprim17ROCPRIM_400000_NS6detail17trampoline_kernelINS0_14default_configENS1_27scan_by_key_config_selectorIxxEEZZNS1_16scan_by_key_implILNS1_25lookback_scan_determinismE0ELb1ES3_N6thrust23THRUST_200600_302600_NS6detail15normal_iteratorINS9_10device_ptrIxEEEESE_SE_xNS9_4plusIvEENS9_8equal_toIxEExEE10hipError_tPvRmT2_T3_T4_T5_mT6_T7_P12ihipStream_tbENKUlT_T0_E_clISt17integral_constantIbLb0EESY_IbLb1EEEEDaSU_SV_EUlSU_E_NS1_11comp_targetILNS1_3genE3ELNS1_11target_archE908ELNS1_3gpuE7ELNS1_3repE0EEENS1_30default_config_static_selectorELNS0_4arch9wavefront6targetE0EEEvT1_.has_dyn_sized_stack, 0
	.set _ZN7rocprim17ROCPRIM_400000_NS6detail17trampoline_kernelINS0_14default_configENS1_27scan_by_key_config_selectorIxxEEZZNS1_16scan_by_key_implILNS1_25lookback_scan_determinismE0ELb1ES3_N6thrust23THRUST_200600_302600_NS6detail15normal_iteratorINS9_10device_ptrIxEEEESE_SE_xNS9_4plusIvEENS9_8equal_toIxEExEE10hipError_tPvRmT2_T3_T4_T5_mT6_T7_P12ihipStream_tbENKUlT_T0_E_clISt17integral_constantIbLb0EESY_IbLb1EEEEDaSU_SV_EUlSU_E_NS1_11comp_targetILNS1_3genE3ELNS1_11target_archE908ELNS1_3gpuE7ELNS1_3repE0EEENS1_30default_config_static_selectorELNS0_4arch9wavefront6targetE0EEEvT1_.has_recursion, 0
	.set _ZN7rocprim17ROCPRIM_400000_NS6detail17trampoline_kernelINS0_14default_configENS1_27scan_by_key_config_selectorIxxEEZZNS1_16scan_by_key_implILNS1_25lookback_scan_determinismE0ELb1ES3_N6thrust23THRUST_200600_302600_NS6detail15normal_iteratorINS9_10device_ptrIxEEEESE_SE_xNS9_4plusIvEENS9_8equal_toIxEExEE10hipError_tPvRmT2_T3_T4_T5_mT6_T7_P12ihipStream_tbENKUlT_T0_E_clISt17integral_constantIbLb0EESY_IbLb1EEEEDaSU_SV_EUlSU_E_NS1_11comp_targetILNS1_3genE3ELNS1_11target_archE908ELNS1_3gpuE7ELNS1_3repE0EEENS1_30default_config_static_selectorELNS0_4arch9wavefront6targetE0EEEvT1_.has_indirect_call, 0
	.section	.AMDGPU.csdata,"",@progbits
; Kernel info:
; codeLenInByte = 0
; TotalNumSgprs: 0
; NumVgprs: 0
; ScratchSize: 0
; MemoryBound: 0
; FloatMode: 240
; IeeeMode: 1
; LDSByteSize: 0 bytes/workgroup (compile time only)
; SGPRBlocks: 0
; VGPRBlocks: 0
; NumSGPRsForWavesPerEU: 1
; NumVGPRsForWavesPerEU: 1
; NamedBarCnt: 0
; Occupancy: 16
; WaveLimiterHint : 0
; COMPUTE_PGM_RSRC2:SCRATCH_EN: 0
; COMPUTE_PGM_RSRC2:USER_SGPR: 2
; COMPUTE_PGM_RSRC2:TRAP_HANDLER: 0
; COMPUTE_PGM_RSRC2:TGID_X_EN: 1
; COMPUTE_PGM_RSRC2:TGID_Y_EN: 0
; COMPUTE_PGM_RSRC2:TGID_Z_EN: 0
; COMPUTE_PGM_RSRC2:TIDIG_COMP_CNT: 0
	.section	.text._ZN7rocprim17ROCPRIM_400000_NS6detail17trampoline_kernelINS0_14default_configENS1_27scan_by_key_config_selectorIxxEEZZNS1_16scan_by_key_implILNS1_25lookback_scan_determinismE0ELb1ES3_N6thrust23THRUST_200600_302600_NS6detail15normal_iteratorINS9_10device_ptrIxEEEESE_SE_xNS9_4plusIvEENS9_8equal_toIxEExEE10hipError_tPvRmT2_T3_T4_T5_mT6_T7_P12ihipStream_tbENKUlT_T0_E_clISt17integral_constantIbLb0EESY_IbLb1EEEEDaSU_SV_EUlSU_E_NS1_11comp_targetILNS1_3genE2ELNS1_11target_archE906ELNS1_3gpuE6ELNS1_3repE0EEENS1_30default_config_static_selectorELNS0_4arch9wavefront6targetE0EEEvT1_,"axG",@progbits,_ZN7rocprim17ROCPRIM_400000_NS6detail17trampoline_kernelINS0_14default_configENS1_27scan_by_key_config_selectorIxxEEZZNS1_16scan_by_key_implILNS1_25lookback_scan_determinismE0ELb1ES3_N6thrust23THRUST_200600_302600_NS6detail15normal_iteratorINS9_10device_ptrIxEEEESE_SE_xNS9_4plusIvEENS9_8equal_toIxEExEE10hipError_tPvRmT2_T3_T4_T5_mT6_T7_P12ihipStream_tbENKUlT_T0_E_clISt17integral_constantIbLb0EESY_IbLb1EEEEDaSU_SV_EUlSU_E_NS1_11comp_targetILNS1_3genE2ELNS1_11target_archE906ELNS1_3gpuE6ELNS1_3repE0EEENS1_30default_config_static_selectorELNS0_4arch9wavefront6targetE0EEEvT1_,comdat
	.protected	_ZN7rocprim17ROCPRIM_400000_NS6detail17trampoline_kernelINS0_14default_configENS1_27scan_by_key_config_selectorIxxEEZZNS1_16scan_by_key_implILNS1_25lookback_scan_determinismE0ELb1ES3_N6thrust23THRUST_200600_302600_NS6detail15normal_iteratorINS9_10device_ptrIxEEEESE_SE_xNS9_4plusIvEENS9_8equal_toIxEExEE10hipError_tPvRmT2_T3_T4_T5_mT6_T7_P12ihipStream_tbENKUlT_T0_E_clISt17integral_constantIbLb0EESY_IbLb1EEEEDaSU_SV_EUlSU_E_NS1_11comp_targetILNS1_3genE2ELNS1_11target_archE906ELNS1_3gpuE6ELNS1_3repE0EEENS1_30default_config_static_selectorELNS0_4arch9wavefront6targetE0EEEvT1_ ; -- Begin function _ZN7rocprim17ROCPRIM_400000_NS6detail17trampoline_kernelINS0_14default_configENS1_27scan_by_key_config_selectorIxxEEZZNS1_16scan_by_key_implILNS1_25lookback_scan_determinismE0ELb1ES3_N6thrust23THRUST_200600_302600_NS6detail15normal_iteratorINS9_10device_ptrIxEEEESE_SE_xNS9_4plusIvEENS9_8equal_toIxEExEE10hipError_tPvRmT2_T3_T4_T5_mT6_T7_P12ihipStream_tbENKUlT_T0_E_clISt17integral_constantIbLb0EESY_IbLb1EEEEDaSU_SV_EUlSU_E_NS1_11comp_targetILNS1_3genE2ELNS1_11target_archE906ELNS1_3gpuE6ELNS1_3repE0EEENS1_30default_config_static_selectorELNS0_4arch9wavefront6targetE0EEEvT1_
	.globl	_ZN7rocprim17ROCPRIM_400000_NS6detail17trampoline_kernelINS0_14default_configENS1_27scan_by_key_config_selectorIxxEEZZNS1_16scan_by_key_implILNS1_25lookback_scan_determinismE0ELb1ES3_N6thrust23THRUST_200600_302600_NS6detail15normal_iteratorINS9_10device_ptrIxEEEESE_SE_xNS9_4plusIvEENS9_8equal_toIxEExEE10hipError_tPvRmT2_T3_T4_T5_mT6_T7_P12ihipStream_tbENKUlT_T0_E_clISt17integral_constantIbLb0EESY_IbLb1EEEEDaSU_SV_EUlSU_E_NS1_11comp_targetILNS1_3genE2ELNS1_11target_archE906ELNS1_3gpuE6ELNS1_3repE0EEENS1_30default_config_static_selectorELNS0_4arch9wavefront6targetE0EEEvT1_
	.p2align	8
	.type	_ZN7rocprim17ROCPRIM_400000_NS6detail17trampoline_kernelINS0_14default_configENS1_27scan_by_key_config_selectorIxxEEZZNS1_16scan_by_key_implILNS1_25lookback_scan_determinismE0ELb1ES3_N6thrust23THRUST_200600_302600_NS6detail15normal_iteratorINS9_10device_ptrIxEEEESE_SE_xNS9_4plusIvEENS9_8equal_toIxEExEE10hipError_tPvRmT2_T3_T4_T5_mT6_T7_P12ihipStream_tbENKUlT_T0_E_clISt17integral_constantIbLb0EESY_IbLb1EEEEDaSU_SV_EUlSU_E_NS1_11comp_targetILNS1_3genE2ELNS1_11target_archE906ELNS1_3gpuE6ELNS1_3repE0EEENS1_30default_config_static_selectorELNS0_4arch9wavefront6targetE0EEEvT1_,@function
_ZN7rocprim17ROCPRIM_400000_NS6detail17trampoline_kernelINS0_14default_configENS1_27scan_by_key_config_selectorIxxEEZZNS1_16scan_by_key_implILNS1_25lookback_scan_determinismE0ELb1ES3_N6thrust23THRUST_200600_302600_NS6detail15normal_iteratorINS9_10device_ptrIxEEEESE_SE_xNS9_4plusIvEENS9_8equal_toIxEExEE10hipError_tPvRmT2_T3_T4_T5_mT6_T7_P12ihipStream_tbENKUlT_T0_E_clISt17integral_constantIbLb0EESY_IbLb1EEEEDaSU_SV_EUlSU_E_NS1_11comp_targetILNS1_3genE2ELNS1_11target_archE906ELNS1_3gpuE6ELNS1_3repE0EEENS1_30default_config_static_selectorELNS0_4arch9wavefront6targetE0EEEvT1_: ; @_ZN7rocprim17ROCPRIM_400000_NS6detail17trampoline_kernelINS0_14default_configENS1_27scan_by_key_config_selectorIxxEEZZNS1_16scan_by_key_implILNS1_25lookback_scan_determinismE0ELb1ES3_N6thrust23THRUST_200600_302600_NS6detail15normal_iteratorINS9_10device_ptrIxEEEESE_SE_xNS9_4plusIvEENS9_8equal_toIxEExEE10hipError_tPvRmT2_T3_T4_T5_mT6_T7_P12ihipStream_tbENKUlT_T0_E_clISt17integral_constantIbLb0EESY_IbLb1EEEEDaSU_SV_EUlSU_E_NS1_11comp_targetILNS1_3genE2ELNS1_11target_archE906ELNS1_3gpuE6ELNS1_3repE0EEENS1_30default_config_static_selectorELNS0_4arch9wavefront6targetE0EEEvT1_
; %bb.0:
	.section	.rodata,"a",@progbits
	.p2align	6, 0x0
	.amdhsa_kernel _ZN7rocprim17ROCPRIM_400000_NS6detail17trampoline_kernelINS0_14default_configENS1_27scan_by_key_config_selectorIxxEEZZNS1_16scan_by_key_implILNS1_25lookback_scan_determinismE0ELb1ES3_N6thrust23THRUST_200600_302600_NS6detail15normal_iteratorINS9_10device_ptrIxEEEESE_SE_xNS9_4plusIvEENS9_8equal_toIxEExEE10hipError_tPvRmT2_T3_T4_T5_mT6_T7_P12ihipStream_tbENKUlT_T0_E_clISt17integral_constantIbLb0EESY_IbLb1EEEEDaSU_SV_EUlSU_E_NS1_11comp_targetILNS1_3genE2ELNS1_11target_archE906ELNS1_3gpuE6ELNS1_3repE0EEENS1_30default_config_static_selectorELNS0_4arch9wavefront6targetE0EEEvT1_
		.amdhsa_group_segment_fixed_size 0
		.amdhsa_private_segment_fixed_size 0
		.amdhsa_kernarg_size 136
		.amdhsa_user_sgpr_count 2
		.amdhsa_user_sgpr_dispatch_ptr 0
		.amdhsa_user_sgpr_queue_ptr 0
		.amdhsa_user_sgpr_kernarg_segment_ptr 1
		.amdhsa_user_sgpr_dispatch_id 0
		.amdhsa_user_sgpr_kernarg_preload_length 0
		.amdhsa_user_sgpr_kernarg_preload_offset 0
		.amdhsa_user_sgpr_private_segment_size 0
		.amdhsa_wavefront_size32 1
		.amdhsa_uses_dynamic_stack 0
		.amdhsa_enable_private_segment 0
		.amdhsa_system_sgpr_workgroup_id_x 1
		.amdhsa_system_sgpr_workgroup_id_y 0
		.amdhsa_system_sgpr_workgroup_id_z 0
		.amdhsa_system_sgpr_workgroup_info 0
		.amdhsa_system_vgpr_workitem_id 0
		.amdhsa_next_free_vgpr 1
		.amdhsa_next_free_sgpr 1
		.amdhsa_named_barrier_count 0
		.amdhsa_reserve_vcc 0
		.amdhsa_float_round_mode_32 0
		.amdhsa_float_round_mode_16_64 0
		.amdhsa_float_denorm_mode_32 3
		.amdhsa_float_denorm_mode_16_64 3
		.amdhsa_fp16_overflow 0
		.amdhsa_memory_ordered 1
		.amdhsa_forward_progress 1
		.amdhsa_inst_pref_size 0
		.amdhsa_round_robin_scheduling 0
		.amdhsa_exception_fp_ieee_invalid_op 0
		.amdhsa_exception_fp_denorm_src 0
		.amdhsa_exception_fp_ieee_div_zero 0
		.amdhsa_exception_fp_ieee_overflow 0
		.amdhsa_exception_fp_ieee_underflow 0
		.amdhsa_exception_fp_ieee_inexact 0
		.amdhsa_exception_int_div_zero 0
	.end_amdhsa_kernel
	.section	.text._ZN7rocprim17ROCPRIM_400000_NS6detail17trampoline_kernelINS0_14default_configENS1_27scan_by_key_config_selectorIxxEEZZNS1_16scan_by_key_implILNS1_25lookback_scan_determinismE0ELb1ES3_N6thrust23THRUST_200600_302600_NS6detail15normal_iteratorINS9_10device_ptrIxEEEESE_SE_xNS9_4plusIvEENS9_8equal_toIxEExEE10hipError_tPvRmT2_T3_T4_T5_mT6_T7_P12ihipStream_tbENKUlT_T0_E_clISt17integral_constantIbLb0EESY_IbLb1EEEEDaSU_SV_EUlSU_E_NS1_11comp_targetILNS1_3genE2ELNS1_11target_archE906ELNS1_3gpuE6ELNS1_3repE0EEENS1_30default_config_static_selectorELNS0_4arch9wavefront6targetE0EEEvT1_,"axG",@progbits,_ZN7rocprim17ROCPRIM_400000_NS6detail17trampoline_kernelINS0_14default_configENS1_27scan_by_key_config_selectorIxxEEZZNS1_16scan_by_key_implILNS1_25lookback_scan_determinismE0ELb1ES3_N6thrust23THRUST_200600_302600_NS6detail15normal_iteratorINS9_10device_ptrIxEEEESE_SE_xNS9_4plusIvEENS9_8equal_toIxEExEE10hipError_tPvRmT2_T3_T4_T5_mT6_T7_P12ihipStream_tbENKUlT_T0_E_clISt17integral_constantIbLb0EESY_IbLb1EEEEDaSU_SV_EUlSU_E_NS1_11comp_targetILNS1_3genE2ELNS1_11target_archE906ELNS1_3gpuE6ELNS1_3repE0EEENS1_30default_config_static_selectorELNS0_4arch9wavefront6targetE0EEEvT1_,comdat
.Lfunc_end457:
	.size	_ZN7rocprim17ROCPRIM_400000_NS6detail17trampoline_kernelINS0_14default_configENS1_27scan_by_key_config_selectorIxxEEZZNS1_16scan_by_key_implILNS1_25lookback_scan_determinismE0ELb1ES3_N6thrust23THRUST_200600_302600_NS6detail15normal_iteratorINS9_10device_ptrIxEEEESE_SE_xNS9_4plusIvEENS9_8equal_toIxEExEE10hipError_tPvRmT2_T3_T4_T5_mT6_T7_P12ihipStream_tbENKUlT_T0_E_clISt17integral_constantIbLb0EESY_IbLb1EEEEDaSU_SV_EUlSU_E_NS1_11comp_targetILNS1_3genE2ELNS1_11target_archE906ELNS1_3gpuE6ELNS1_3repE0EEENS1_30default_config_static_selectorELNS0_4arch9wavefront6targetE0EEEvT1_, .Lfunc_end457-_ZN7rocprim17ROCPRIM_400000_NS6detail17trampoline_kernelINS0_14default_configENS1_27scan_by_key_config_selectorIxxEEZZNS1_16scan_by_key_implILNS1_25lookback_scan_determinismE0ELb1ES3_N6thrust23THRUST_200600_302600_NS6detail15normal_iteratorINS9_10device_ptrIxEEEESE_SE_xNS9_4plusIvEENS9_8equal_toIxEExEE10hipError_tPvRmT2_T3_T4_T5_mT6_T7_P12ihipStream_tbENKUlT_T0_E_clISt17integral_constantIbLb0EESY_IbLb1EEEEDaSU_SV_EUlSU_E_NS1_11comp_targetILNS1_3genE2ELNS1_11target_archE906ELNS1_3gpuE6ELNS1_3repE0EEENS1_30default_config_static_selectorELNS0_4arch9wavefront6targetE0EEEvT1_
                                        ; -- End function
	.set _ZN7rocprim17ROCPRIM_400000_NS6detail17trampoline_kernelINS0_14default_configENS1_27scan_by_key_config_selectorIxxEEZZNS1_16scan_by_key_implILNS1_25lookback_scan_determinismE0ELb1ES3_N6thrust23THRUST_200600_302600_NS6detail15normal_iteratorINS9_10device_ptrIxEEEESE_SE_xNS9_4plusIvEENS9_8equal_toIxEExEE10hipError_tPvRmT2_T3_T4_T5_mT6_T7_P12ihipStream_tbENKUlT_T0_E_clISt17integral_constantIbLb0EESY_IbLb1EEEEDaSU_SV_EUlSU_E_NS1_11comp_targetILNS1_3genE2ELNS1_11target_archE906ELNS1_3gpuE6ELNS1_3repE0EEENS1_30default_config_static_selectorELNS0_4arch9wavefront6targetE0EEEvT1_.num_vgpr, 0
	.set _ZN7rocprim17ROCPRIM_400000_NS6detail17trampoline_kernelINS0_14default_configENS1_27scan_by_key_config_selectorIxxEEZZNS1_16scan_by_key_implILNS1_25lookback_scan_determinismE0ELb1ES3_N6thrust23THRUST_200600_302600_NS6detail15normal_iteratorINS9_10device_ptrIxEEEESE_SE_xNS9_4plusIvEENS9_8equal_toIxEExEE10hipError_tPvRmT2_T3_T4_T5_mT6_T7_P12ihipStream_tbENKUlT_T0_E_clISt17integral_constantIbLb0EESY_IbLb1EEEEDaSU_SV_EUlSU_E_NS1_11comp_targetILNS1_3genE2ELNS1_11target_archE906ELNS1_3gpuE6ELNS1_3repE0EEENS1_30default_config_static_selectorELNS0_4arch9wavefront6targetE0EEEvT1_.num_agpr, 0
	.set _ZN7rocprim17ROCPRIM_400000_NS6detail17trampoline_kernelINS0_14default_configENS1_27scan_by_key_config_selectorIxxEEZZNS1_16scan_by_key_implILNS1_25lookback_scan_determinismE0ELb1ES3_N6thrust23THRUST_200600_302600_NS6detail15normal_iteratorINS9_10device_ptrIxEEEESE_SE_xNS9_4plusIvEENS9_8equal_toIxEExEE10hipError_tPvRmT2_T3_T4_T5_mT6_T7_P12ihipStream_tbENKUlT_T0_E_clISt17integral_constantIbLb0EESY_IbLb1EEEEDaSU_SV_EUlSU_E_NS1_11comp_targetILNS1_3genE2ELNS1_11target_archE906ELNS1_3gpuE6ELNS1_3repE0EEENS1_30default_config_static_selectorELNS0_4arch9wavefront6targetE0EEEvT1_.numbered_sgpr, 0
	.set _ZN7rocprim17ROCPRIM_400000_NS6detail17trampoline_kernelINS0_14default_configENS1_27scan_by_key_config_selectorIxxEEZZNS1_16scan_by_key_implILNS1_25lookback_scan_determinismE0ELb1ES3_N6thrust23THRUST_200600_302600_NS6detail15normal_iteratorINS9_10device_ptrIxEEEESE_SE_xNS9_4plusIvEENS9_8equal_toIxEExEE10hipError_tPvRmT2_T3_T4_T5_mT6_T7_P12ihipStream_tbENKUlT_T0_E_clISt17integral_constantIbLb0EESY_IbLb1EEEEDaSU_SV_EUlSU_E_NS1_11comp_targetILNS1_3genE2ELNS1_11target_archE906ELNS1_3gpuE6ELNS1_3repE0EEENS1_30default_config_static_selectorELNS0_4arch9wavefront6targetE0EEEvT1_.num_named_barrier, 0
	.set _ZN7rocprim17ROCPRIM_400000_NS6detail17trampoline_kernelINS0_14default_configENS1_27scan_by_key_config_selectorIxxEEZZNS1_16scan_by_key_implILNS1_25lookback_scan_determinismE0ELb1ES3_N6thrust23THRUST_200600_302600_NS6detail15normal_iteratorINS9_10device_ptrIxEEEESE_SE_xNS9_4plusIvEENS9_8equal_toIxEExEE10hipError_tPvRmT2_T3_T4_T5_mT6_T7_P12ihipStream_tbENKUlT_T0_E_clISt17integral_constantIbLb0EESY_IbLb1EEEEDaSU_SV_EUlSU_E_NS1_11comp_targetILNS1_3genE2ELNS1_11target_archE906ELNS1_3gpuE6ELNS1_3repE0EEENS1_30default_config_static_selectorELNS0_4arch9wavefront6targetE0EEEvT1_.private_seg_size, 0
	.set _ZN7rocprim17ROCPRIM_400000_NS6detail17trampoline_kernelINS0_14default_configENS1_27scan_by_key_config_selectorIxxEEZZNS1_16scan_by_key_implILNS1_25lookback_scan_determinismE0ELb1ES3_N6thrust23THRUST_200600_302600_NS6detail15normal_iteratorINS9_10device_ptrIxEEEESE_SE_xNS9_4plusIvEENS9_8equal_toIxEExEE10hipError_tPvRmT2_T3_T4_T5_mT6_T7_P12ihipStream_tbENKUlT_T0_E_clISt17integral_constantIbLb0EESY_IbLb1EEEEDaSU_SV_EUlSU_E_NS1_11comp_targetILNS1_3genE2ELNS1_11target_archE906ELNS1_3gpuE6ELNS1_3repE0EEENS1_30default_config_static_selectorELNS0_4arch9wavefront6targetE0EEEvT1_.uses_vcc, 0
	.set _ZN7rocprim17ROCPRIM_400000_NS6detail17trampoline_kernelINS0_14default_configENS1_27scan_by_key_config_selectorIxxEEZZNS1_16scan_by_key_implILNS1_25lookback_scan_determinismE0ELb1ES3_N6thrust23THRUST_200600_302600_NS6detail15normal_iteratorINS9_10device_ptrIxEEEESE_SE_xNS9_4plusIvEENS9_8equal_toIxEExEE10hipError_tPvRmT2_T3_T4_T5_mT6_T7_P12ihipStream_tbENKUlT_T0_E_clISt17integral_constantIbLb0EESY_IbLb1EEEEDaSU_SV_EUlSU_E_NS1_11comp_targetILNS1_3genE2ELNS1_11target_archE906ELNS1_3gpuE6ELNS1_3repE0EEENS1_30default_config_static_selectorELNS0_4arch9wavefront6targetE0EEEvT1_.uses_flat_scratch, 0
	.set _ZN7rocprim17ROCPRIM_400000_NS6detail17trampoline_kernelINS0_14default_configENS1_27scan_by_key_config_selectorIxxEEZZNS1_16scan_by_key_implILNS1_25lookback_scan_determinismE0ELb1ES3_N6thrust23THRUST_200600_302600_NS6detail15normal_iteratorINS9_10device_ptrIxEEEESE_SE_xNS9_4plusIvEENS9_8equal_toIxEExEE10hipError_tPvRmT2_T3_T4_T5_mT6_T7_P12ihipStream_tbENKUlT_T0_E_clISt17integral_constantIbLb0EESY_IbLb1EEEEDaSU_SV_EUlSU_E_NS1_11comp_targetILNS1_3genE2ELNS1_11target_archE906ELNS1_3gpuE6ELNS1_3repE0EEENS1_30default_config_static_selectorELNS0_4arch9wavefront6targetE0EEEvT1_.has_dyn_sized_stack, 0
	.set _ZN7rocprim17ROCPRIM_400000_NS6detail17trampoline_kernelINS0_14default_configENS1_27scan_by_key_config_selectorIxxEEZZNS1_16scan_by_key_implILNS1_25lookback_scan_determinismE0ELb1ES3_N6thrust23THRUST_200600_302600_NS6detail15normal_iteratorINS9_10device_ptrIxEEEESE_SE_xNS9_4plusIvEENS9_8equal_toIxEExEE10hipError_tPvRmT2_T3_T4_T5_mT6_T7_P12ihipStream_tbENKUlT_T0_E_clISt17integral_constantIbLb0EESY_IbLb1EEEEDaSU_SV_EUlSU_E_NS1_11comp_targetILNS1_3genE2ELNS1_11target_archE906ELNS1_3gpuE6ELNS1_3repE0EEENS1_30default_config_static_selectorELNS0_4arch9wavefront6targetE0EEEvT1_.has_recursion, 0
	.set _ZN7rocprim17ROCPRIM_400000_NS6detail17trampoline_kernelINS0_14default_configENS1_27scan_by_key_config_selectorIxxEEZZNS1_16scan_by_key_implILNS1_25lookback_scan_determinismE0ELb1ES3_N6thrust23THRUST_200600_302600_NS6detail15normal_iteratorINS9_10device_ptrIxEEEESE_SE_xNS9_4plusIvEENS9_8equal_toIxEExEE10hipError_tPvRmT2_T3_T4_T5_mT6_T7_P12ihipStream_tbENKUlT_T0_E_clISt17integral_constantIbLb0EESY_IbLb1EEEEDaSU_SV_EUlSU_E_NS1_11comp_targetILNS1_3genE2ELNS1_11target_archE906ELNS1_3gpuE6ELNS1_3repE0EEENS1_30default_config_static_selectorELNS0_4arch9wavefront6targetE0EEEvT1_.has_indirect_call, 0
	.section	.AMDGPU.csdata,"",@progbits
; Kernel info:
; codeLenInByte = 0
; TotalNumSgprs: 0
; NumVgprs: 0
; ScratchSize: 0
; MemoryBound: 0
; FloatMode: 240
; IeeeMode: 1
; LDSByteSize: 0 bytes/workgroup (compile time only)
; SGPRBlocks: 0
; VGPRBlocks: 0
; NumSGPRsForWavesPerEU: 1
; NumVGPRsForWavesPerEU: 1
; NamedBarCnt: 0
; Occupancy: 16
; WaveLimiterHint : 0
; COMPUTE_PGM_RSRC2:SCRATCH_EN: 0
; COMPUTE_PGM_RSRC2:USER_SGPR: 2
; COMPUTE_PGM_RSRC2:TRAP_HANDLER: 0
; COMPUTE_PGM_RSRC2:TGID_X_EN: 1
; COMPUTE_PGM_RSRC2:TGID_Y_EN: 0
; COMPUTE_PGM_RSRC2:TGID_Z_EN: 0
; COMPUTE_PGM_RSRC2:TIDIG_COMP_CNT: 0
	.section	.text._ZN7rocprim17ROCPRIM_400000_NS6detail17trampoline_kernelINS0_14default_configENS1_27scan_by_key_config_selectorIxxEEZZNS1_16scan_by_key_implILNS1_25lookback_scan_determinismE0ELb1ES3_N6thrust23THRUST_200600_302600_NS6detail15normal_iteratorINS9_10device_ptrIxEEEESE_SE_xNS9_4plusIvEENS9_8equal_toIxEExEE10hipError_tPvRmT2_T3_T4_T5_mT6_T7_P12ihipStream_tbENKUlT_T0_E_clISt17integral_constantIbLb0EESY_IbLb1EEEEDaSU_SV_EUlSU_E_NS1_11comp_targetILNS1_3genE10ELNS1_11target_archE1200ELNS1_3gpuE4ELNS1_3repE0EEENS1_30default_config_static_selectorELNS0_4arch9wavefront6targetE0EEEvT1_,"axG",@progbits,_ZN7rocprim17ROCPRIM_400000_NS6detail17trampoline_kernelINS0_14default_configENS1_27scan_by_key_config_selectorIxxEEZZNS1_16scan_by_key_implILNS1_25lookback_scan_determinismE0ELb1ES3_N6thrust23THRUST_200600_302600_NS6detail15normal_iteratorINS9_10device_ptrIxEEEESE_SE_xNS9_4plusIvEENS9_8equal_toIxEExEE10hipError_tPvRmT2_T3_T4_T5_mT6_T7_P12ihipStream_tbENKUlT_T0_E_clISt17integral_constantIbLb0EESY_IbLb1EEEEDaSU_SV_EUlSU_E_NS1_11comp_targetILNS1_3genE10ELNS1_11target_archE1200ELNS1_3gpuE4ELNS1_3repE0EEENS1_30default_config_static_selectorELNS0_4arch9wavefront6targetE0EEEvT1_,comdat
	.protected	_ZN7rocprim17ROCPRIM_400000_NS6detail17trampoline_kernelINS0_14default_configENS1_27scan_by_key_config_selectorIxxEEZZNS1_16scan_by_key_implILNS1_25lookback_scan_determinismE0ELb1ES3_N6thrust23THRUST_200600_302600_NS6detail15normal_iteratorINS9_10device_ptrIxEEEESE_SE_xNS9_4plusIvEENS9_8equal_toIxEExEE10hipError_tPvRmT2_T3_T4_T5_mT6_T7_P12ihipStream_tbENKUlT_T0_E_clISt17integral_constantIbLb0EESY_IbLb1EEEEDaSU_SV_EUlSU_E_NS1_11comp_targetILNS1_3genE10ELNS1_11target_archE1200ELNS1_3gpuE4ELNS1_3repE0EEENS1_30default_config_static_selectorELNS0_4arch9wavefront6targetE0EEEvT1_ ; -- Begin function _ZN7rocprim17ROCPRIM_400000_NS6detail17trampoline_kernelINS0_14default_configENS1_27scan_by_key_config_selectorIxxEEZZNS1_16scan_by_key_implILNS1_25lookback_scan_determinismE0ELb1ES3_N6thrust23THRUST_200600_302600_NS6detail15normal_iteratorINS9_10device_ptrIxEEEESE_SE_xNS9_4plusIvEENS9_8equal_toIxEExEE10hipError_tPvRmT2_T3_T4_T5_mT6_T7_P12ihipStream_tbENKUlT_T0_E_clISt17integral_constantIbLb0EESY_IbLb1EEEEDaSU_SV_EUlSU_E_NS1_11comp_targetILNS1_3genE10ELNS1_11target_archE1200ELNS1_3gpuE4ELNS1_3repE0EEENS1_30default_config_static_selectorELNS0_4arch9wavefront6targetE0EEEvT1_
	.globl	_ZN7rocprim17ROCPRIM_400000_NS6detail17trampoline_kernelINS0_14default_configENS1_27scan_by_key_config_selectorIxxEEZZNS1_16scan_by_key_implILNS1_25lookback_scan_determinismE0ELb1ES3_N6thrust23THRUST_200600_302600_NS6detail15normal_iteratorINS9_10device_ptrIxEEEESE_SE_xNS9_4plusIvEENS9_8equal_toIxEExEE10hipError_tPvRmT2_T3_T4_T5_mT6_T7_P12ihipStream_tbENKUlT_T0_E_clISt17integral_constantIbLb0EESY_IbLb1EEEEDaSU_SV_EUlSU_E_NS1_11comp_targetILNS1_3genE10ELNS1_11target_archE1200ELNS1_3gpuE4ELNS1_3repE0EEENS1_30default_config_static_selectorELNS0_4arch9wavefront6targetE0EEEvT1_
	.p2align	8
	.type	_ZN7rocprim17ROCPRIM_400000_NS6detail17trampoline_kernelINS0_14default_configENS1_27scan_by_key_config_selectorIxxEEZZNS1_16scan_by_key_implILNS1_25lookback_scan_determinismE0ELb1ES3_N6thrust23THRUST_200600_302600_NS6detail15normal_iteratorINS9_10device_ptrIxEEEESE_SE_xNS9_4plusIvEENS9_8equal_toIxEExEE10hipError_tPvRmT2_T3_T4_T5_mT6_T7_P12ihipStream_tbENKUlT_T0_E_clISt17integral_constantIbLb0EESY_IbLb1EEEEDaSU_SV_EUlSU_E_NS1_11comp_targetILNS1_3genE10ELNS1_11target_archE1200ELNS1_3gpuE4ELNS1_3repE0EEENS1_30default_config_static_selectorELNS0_4arch9wavefront6targetE0EEEvT1_,@function
_ZN7rocprim17ROCPRIM_400000_NS6detail17trampoline_kernelINS0_14default_configENS1_27scan_by_key_config_selectorIxxEEZZNS1_16scan_by_key_implILNS1_25lookback_scan_determinismE0ELb1ES3_N6thrust23THRUST_200600_302600_NS6detail15normal_iteratorINS9_10device_ptrIxEEEESE_SE_xNS9_4plusIvEENS9_8equal_toIxEExEE10hipError_tPvRmT2_T3_T4_T5_mT6_T7_P12ihipStream_tbENKUlT_T0_E_clISt17integral_constantIbLb0EESY_IbLb1EEEEDaSU_SV_EUlSU_E_NS1_11comp_targetILNS1_3genE10ELNS1_11target_archE1200ELNS1_3gpuE4ELNS1_3repE0EEENS1_30default_config_static_selectorELNS0_4arch9wavefront6targetE0EEEvT1_: ; @_ZN7rocprim17ROCPRIM_400000_NS6detail17trampoline_kernelINS0_14default_configENS1_27scan_by_key_config_selectorIxxEEZZNS1_16scan_by_key_implILNS1_25lookback_scan_determinismE0ELb1ES3_N6thrust23THRUST_200600_302600_NS6detail15normal_iteratorINS9_10device_ptrIxEEEESE_SE_xNS9_4plusIvEENS9_8equal_toIxEExEE10hipError_tPvRmT2_T3_T4_T5_mT6_T7_P12ihipStream_tbENKUlT_T0_E_clISt17integral_constantIbLb0EESY_IbLb1EEEEDaSU_SV_EUlSU_E_NS1_11comp_targetILNS1_3genE10ELNS1_11target_archE1200ELNS1_3gpuE4ELNS1_3repE0EEENS1_30default_config_static_selectorELNS0_4arch9wavefront6targetE0EEEvT1_
; %bb.0:
	.section	.rodata,"a",@progbits
	.p2align	6, 0x0
	.amdhsa_kernel _ZN7rocprim17ROCPRIM_400000_NS6detail17trampoline_kernelINS0_14default_configENS1_27scan_by_key_config_selectorIxxEEZZNS1_16scan_by_key_implILNS1_25lookback_scan_determinismE0ELb1ES3_N6thrust23THRUST_200600_302600_NS6detail15normal_iteratorINS9_10device_ptrIxEEEESE_SE_xNS9_4plusIvEENS9_8equal_toIxEExEE10hipError_tPvRmT2_T3_T4_T5_mT6_T7_P12ihipStream_tbENKUlT_T0_E_clISt17integral_constantIbLb0EESY_IbLb1EEEEDaSU_SV_EUlSU_E_NS1_11comp_targetILNS1_3genE10ELNS1_11target_archE1200ELNS1_3gpuE4ELNS1_3repE0EEENS1_30default_config_static_selectorELNS0_4arch9wavefront6targetE0EEEvT1_
		.amdhsa_group_segment_fixed_size 0
		.amdhsa_private_segment_fixed_size 0
		.amdhsa_kernarg_size 136
		.amdhsa_user_sgpr_count 2
		.amdhsa_user_sgpr_dispatch_ptr 0
		.amdhsa_user_sgpr_queue_ptr 0
		.amdhsa_user_sgpr_kernarg_segment_ptr 1
		.amdhsa_user_sgpr_dispatch_id 0
		.amdhsa_user_sgpr_kernarg_preload_length 0
		.amdhsa_user_sgpr_kernarg_preload_offset 0
		.amdhsa_user_sgpr_private_segment_size 0
		.amdhsa_wavefront_size32 1
		.amdhsa_uses_dynamic_stack 0
		.amdhsa_enable_private_segment 0
		.amdhsa_system_sgpr_workgroup_id_x 1
		.amdhsa_system_sgpr_workgroup_id_y 0
		.amdhsa_system_sgpr_workgroup_id_z 0
		.amdhsa_system_sgpr_workgroup_info 0
		.amdhsa_system_vgpr_workitem_id 0
		.amdhsa_next_free_vgpr 1
		.amdhsa_next_free_sgpr 1
		.amdhsa_named_barrier_count 0
		.amdhsa_reserve_vcc 0
		.amdhsa_float_round_mode_32 0
		.amdhsa_float_round_mode_16_64 0
		.amdhsa_float_denorm_mode_32 3
		.amdhsa_float_denorm_mode_16_64 3
		.amdhsa_fp16_overflow 0
		.amdhsa_memory_ordered 1
		.amdhsa_forward_progress 1
		.amdhsa_inst_pref_size 0
		.amdhsa_round_robin_scheduling 0
		.amdhsa_exception_fp_ieee_invalid_op 0
		.amdhsa_exception_fp_denorm_src 0
		.amdhsa_exception_fp_ieee_div_zero 0
		.amdhsa_exception_fp_ieee_overflow 0
		.amdhsa_exception_fp_ieee_underflow 0
		.amdhsa_exception_fp_ieee_inexact 0
		.amdhsa_exception_int_div_zero 0
	.end_amdhsa_kernel
	.section	.text._ZN7rocprim17ROCPRIM_400000_NS6detail17trampoline_kernelINS0_14default_configENS1_27scan_by_key_config_selectorIxxEEZZNS1_16scan_by_key_implILNS1_25lookback_scan_determinismE0ELb1ES3_N6thrust23THRUST_200600_302600_NS6detail15normal_iteratorINS9_10device_ptrIxEEEESE_SE_xNS9_4plusIvEENS9_8equal_toIxEExEE10hipError_tPvRmT2_T3_T4_T5_mT6_T7_P12ihipStream_tbENKUlT_T0_E_clISt17integral_constantIbLb0EESY_IbLb1EEEEDaSU_SV_EUlSU_E_NS1_11comp_targetILNS1_3genE10ELNS1_11target_archE1200ELNS1_3gpuE4ELNS1_3repE0EEENS1_30default_config_static_selectorELNS0_4arch9wavefront6targetE0EEEvT1_,"axG",@progbits,_ZN7rocprim17ROCPRIM_400000_NS6detail17trampoline_kernelINS0_14default_configENS1_27scan_by_key_config_selectorIxxEEZZNS1_16scan_by_key_implILNS1_25lookback_scan_determinismE0ELb1ES3_N6thrust23THRUST_200600_302600_NS6detail15normal_iteratorINS9_10device_ptrIxEEEESE_SE_xNS9_4plusIvEENS9_8equal_toIxEExEE10hipError_tPvRmT2_T3_T4_T5_mT6_T7_P12ihipStream_tbENKUlT_T0_E_clISt17integral_constantIbLb0EESY_IbLb1EEEEDaSU_SV_EUlSU_E_NS1_11comp_targetILNS1_3genE10ELNS1_11target_archE1200ELNS1_3gpuE4ELNS1_3repE0EEENS1_30default_config_static_selectorELNS0_4arch9wavefront6targetE0EEEvT1_,comdat
.Lfunc_end458:
	.size	_ZN7rocprim17ROCPRIM_400000_NS6detail17trampoline_kernelINS0_14default_configENS1_27scan_by_key_config_selectorIxxEEZZNS1_16scan_by_key_implILNS1_25lookback_scan_determinismE0ELb1ES3_N6thrust23THRUST_200600_302600_NS6detail15normal_iteratorINS9_10device_ptrIxEEEESE_SE_xNS9_4plusIvEENS9_8equal_toIxEExEE10hipError_tPvRmT2_T3_T4_T5_mT6_T7_P12ihipStream_tbENKUlT_T0_E_clISt17integral_constantIbLb0EESY_IbLb1EEEEDaSU_SV_EUlSU_E_NS1_11comp_targetILNS1_3genE10ELNS1_11target_archE1200ELNS1_3gpuE4ELNS1_3repE0EEENS1_30default_config_static_selectorELNS0_4arch9wavefront6targetE0EEEvT1_, .Lfunc_end458-_ZN7rocprim17ROCPRIM_400000_NS6detail17trampoline_kernelINS0_14default_configENS1_27scan_by_key_config_selectorIxxEEZZNS1_16scan_by_key_implILNS1_25lookback_scan_determinismE0ELb1ES3_N6thrust23THRUST_200600_302600_NS6detail15normal_iteratorINS9_10device_ptrIxEEEESE_SE_xNS9_4plusIvEENS9_8equal_toIxEExEE10hipError_tPvRmT2_T3_T4_T5_mT6_T7_P12ihipStream_tbENKUlT_T0_E_clISt17integral_constantIbLb0EESY_IbLb1EEEEDaSU_SV_EUlSU_E_NS1_11comp_targetILNS1_3genE10ELNS1_11target_archE1200ELNS1_3gpuE4ELNS1_3repE0EEENS1_30default_config_static_selectorELNS0_4arch9wavefront6targetE0EEEvT1_
                                        ; -- End function
	.set _ZN7rocprim17ROCPRIM_400000_NS6detail17trampoline_kernelINS0_14default_configENS1_27scan_by_key_config_selectorIxxEEZZNS1_16scan_by_key_implILNS1_25lookback_scan_determinismE0ELb1ES3_N6thrust23THRUST_200600_302600_NS6detail15normal_iteratorINS9_10device_ptrIxEEEESE_SE_xNS9_4plusIvEENS9_8equal_toIxEExEE10hipError_tPvRmT2_T3_T4_T5_mT6_T7_P12ihipStream_tbENKUlT_T0_E_clISt17integral_constantIbLb0EESY_IbLb1EEEEDaSU_SV_EUlSU_E_NS1_11comp_targetILNS1_3genE10ELNS1_11target_archE1200ELNS1_3gpuE4ELNS1_3repE0EEENS1_30default_config_static_selectorELNS0_4arch9wavefront6targetE0EEEvT1_.num_vgpr, 0
	.set _ZN7rocprim17ROCPRIM_400000_NS6detail17trampoline_kernelINS0_14default_configENS1_27scan_by_key_config_selectorIxxEEZZNS1_16scan_by_key_implILNS1_25lookback_scan_determinismE0ELb1ES3_N6thrust23THRUST_200600_302600_NS6detail15normal_iteratorINS9_10device_ptrIxEEEESE_SE_xNS9_4plusIvEENS9_8equal_toIxEExEE10hipError_tPvRmT2_T3_T4_T5_mT6_T7_P12ihipStream_tbENKUlT_T0_E_clISt17integral_constantIbLb0EESY_IbLb1EEEEDaSU_SV_EUlSU_E_NS1_11comp_targetILNS1_3genE10ELNS1_11target_archE1200ELNS1_3gpuE4ELNS1_3repE0EEENS1_30default_config_static_selectorELNS0_4arch9wavefront6targetE0EEEvT1_.num_agpr, 0
	.set _ZN7rocprim17ROCPRIM_400000_NS6detail17trampoline_kernelINS0_14default_configENS1_27scan_by_key_config_selectorIxxEEZZNS1_16scan_by_key_implILNS1_25lookback_scan_determinismE0ELb1ES3_N6thrust23THRUST_200600_302600_NS6detail15normal_iteratorINS9_10device_ptrIxEEEESE_SE_xNS9_4plusIvEENS9_8equal_toIxEExEE10hipError_tPvRmT2_T3_T4_T5_mT6_T7_P12ihipStream_tbENKUlT_T0_E_clISt17integral_constantIbLb0EESY_IbLb1EEEEDaSU_SV_EUlSU_E_NS1_11comp_targetILNS1_3genE10ELNS1_11target_archE1200ELNS1_3gpuE4ELNS1_3repE0EEENS1_30default_config_static_selectorELNS0_4arch9wavefront6targetE0EEEvT1_.numbered_sgpr, 0
	.set _ZN7rocprim17ROCPRIM_400000_NS6detail17trampoline_kernelINS0_14default_configENS1_27scan_by_key_config_selectorIxxEEZZNS1_16scan_by_key_implILNS1_25lookback_scan_determinismE0ELb1ES3_N6thrust23THRUST_200600_302600_NS6detail15normal_iteratorINS9_10device_ptrIxEEEESE_SE_xNS9_4plusIvEENS9_8equal_toIxEExEE10hipError_tPvRmT2_T3_T4_T5_mT6_T7_P12ihipStream_tbENKUlT_T0_E_clISt17integral_constantIbLb0EESY_IbLb1EEEEDaSU_SV_EUlSU_E_NS1_11comp_targetILNS1_3genE10ELNS1_11target_archE1200ELNS1_3gpuE4ELNS1_3repE0EEENS1_30default_config_static_selectorELNS0_4arch9wavefront6targetE0EEEvT1_.num_named_barrier, 0
	.set _ZN7rocprim17ROCPRIM_400000_NS6detail17trampoline_kernelINS0_14default_configENS1_27scan_by_key_config_selectorIxxEEZZNS1_16scan_by_key_implILNS1_25lookback_scan_determinismE0ELb1ES3_N6thrust23THRUST_200600_302600_NS6detail15normal_iteratorINS9_10device_ptrIxEEEESE_SE_xNS9_4plusIvEENS9_8equal_toIxEExEE10hipError_tPvRmT2_T3_T4_T5_mT6_T7_P12ihipStream_tbENKUlT_T0_E_clISt17integral_constantIbLb0EESY_IbLb1EEEEDaSU_SV_EUlSU_E_NS1_11comp_targetILNS1_3genE10ELNS1_11target_archE1200ELNS1_3gpuE4ELNS1_3repE0EEENS1_30default_config_static_selectorELNS0_4arch9wavefront6targetE0EEEvT1_.private_seg_size, 0
	.set _ZN7rocprim17ROCPRIM_400000_NS6detail17trampoline_kernelINS0_14default_configENS1_27scan_by_key_config_selectorIxxEEZZNS1_16scan_by_key_implILNS1_25lookback_scan_determinismE0ELb1ES3_N6thrust23THRUST_200600_302600_NS6detail15normal_iteratorINS9_10device_ptrIxEEEESE_SE_xNS9_4plusIvEENS9_8equal_toIxEExEE10hipError_tPvRmT2_T3_T4_T5_mT6_T7_P12ihipStream_tbENKUlT_T0_E_clISt17integral_constantIbLb0EESY_IbLb1EEEEDaSU_SV_EUlSU_E_NS1_11comp_targetILNS1_3genE10ELNS1_11target_archE1200ELNS1_3gpuE4ELNS1_3repE0EEENS1_30default_config_static_selectorELNS0_4arch9wavefront6targetE0EEEvT1_.uses_vcc, 0
	.set _ZN7rocprim17ROCPRIM_400000_NS6detail17trampoline_kernelINS0_14default_configENS1_27scan_by_key_config_selectorIxxEEZZNS1_16scan_by_key_implILNS1_25lookback_scan_determinismE0ELb1ES3_N6thrust23THRUST_200600_302600_NS6detail15normal_iteratorINS9_10device_ptrIxEEEESE_SE_xNS9_4plusIvEENS9_8equal_toIxEExEE10hipError_tPvRmT2_T3_T4_T5_mT6_T7_P12ihipStream_tbENKUlT_T0_E_clISt17integral_constantIbLb0EESY_IbLb1EEEEDaSU_SV_EUlSU_E_NS1_11comp_targetILNS1_3genE10ELNS1_11target_archE1200ELNS1_3gpuE4ELNS1_3repE0EEENS1_30default_config_static_selectorELNS0_4arch9wavefront6targetE0EEEvT1_.uses_flat_scratch, 0
	.set _ZN7rocprim17ROCPRIM_400000_NS6detail17trampoline_kernelINS0_14default_configENS1_27scan_by_key_config_selectorIxxEEZZNS1_16scan_by_key_implILNS1_25lookback_scan_determinismE0ELb1ES3_N6thrust23THRUST_200600_302600_NS6detail15normal_iteratorINS9_10device_ptrIxEEEESE_SE_xNS9_4plusIvEENS9_8equal_toIxEExEE10hipError_tPvRmT2_T3_T4_T5_mT6_T7_P12ihipStream_tbENKUlT_T0_E_clISt17integral_constantIbLb0EESY_IbLb1EEEEDaSU_SV_EUlSU_E_NS1_11comp_targetILNS1_3genE10ELNS1_11target_archE1200ELNS1_3gpuE4ELNS1_3repE0EEENS1_30default_config_static_selectorELNS0_4arch9wavefront6targetE0EEEvT1_.has_dyn_sized_stack, 0
	.set _ZN7rocprim17ROCPRIM_400000_NS6detail17trampoline_kernelINS0_14default_configENS1_27scan_by_key_config_selectorIxxEEZZNS1_16scan_by_key_implILNS1_25lookback_scan_determinismE0ELb1ES3_N6thrust23THRUST_200600_302600_NS6detail15normal_iteratorINS9_10device_ptrIxEEEESE_SE_xNS9_4plusIvEENS9_8equal_toIxEExEE10hipError_tPvRmT2_T3_T4_T5_mT6_T7_P12ihipStream_tbENKUlT_T0_E_clISt17integral_constantIbLb0EESY_IbLb1EEEEDaSU_SV_EUlSU_E_NS1_11comp_targetILNS1_3genE10ELNS1_11target_archE1200ELNS1_3gpuE4ELNS1_3repE0EEENS1_30default_config_static_selectorELNS0_4arch9wavefront6targetE0EEEvT1_.has_recursion, 0
	.set _ZN7rocprim17ROCPRIM_400000_NS6detail17trampoline_kernelINS0_14default_configENS1_27scan_by_key_config_selectorIxxEEZZNS1_16scan_by_key_implILNS1_25lookback_scan_determinismE0ELb1ES3_N6thrust23THRUST_200600_302600_NS6detail15normal_iteratorINS9_10device_ptrIxEEEESE_SE_xNS9_4plusIvEENS9_8equal_toIxEExEE10hipError_tPvRmT2_T3_T4_T5_mT6_T7_P12ihipStream_tbENKUlT_T0_E_clISt17integral_constantIbLb0EESY_IbLb1EEEEDaSU_SV_EUlSU_E_NS1_11comp_targetILNS1_3genE10ELNS1_11target_archE1200ELNS1_3gpuE4ELNS1_3repE0EEENS1_30default_config_static_selectorELNS0_4arch9wavefront6targetE0EEEvT1_.has_indirect_call, 0
	.section	.AMDGPU.csdata,"",@progbits
; Kernel info:
; codeLenInByte = 0
; TotalNumSgprs: 0
; NumVgprs: 0
; ScratchSize: 0
; MemoryBound: 0
; FloatMode: 240
; IeeeMode: 1
; LDSByteSize: 0 bytes/workgroup (compile time only)
; SGPRBlocks: 0
; VGPRBlocks: 0
; NumSGPRsForWavesPerEU: 1
; NumVGPRsForWavesPerEU: 1
; NamedBarCnt: 0
; Occupancy: 16
; WaveLimiterHint : 0
; COMPUTE_PGM_RSRC2:SCRATCH_EN: 0
; COMPUTE_PGM_RSRC2:USER_SGPR: 2
; COMPUTE_PGM_RSRC2:TRAP_HANDLER: 0
; COMPUTE_PGM_RSRC2:TGID_X_EN: 1
; COMPUTE_PGM_RSRC2:TGID_Y_EN: 0
; COMPUTE_PGM_RSRC2:TGID_Z_EN: 0
; COMPUTE_PGM_RSRC2:TIDIG_COMP_CNT: 0
	.section	.text._ZN7rocprim17ROCPRIM_400000_NS6detail17trampoline_kernelINS0_14default_configENS1_27scan_by_key_config_selectorIxxEEZZNS1_16scan_by_key_implILNS1_25lookback_scan_determinismE0ELb1ES3_N6thrust23THRUST_200600_302600_NS6detail15normal_iteratorINS9_10device_ptrIxEEEESE_SE_xNS9_4plusIvEENS9_8equal_toIxEExEE10hipError_tPvRmT2_T3_T4_T5_mT6_T7_P12ihipStream_tbENKUlT_T0_E_clISt17integral_constantIbLb0EESY_IbLb1EEEEDaSU_SV_EUlSU_E_NS1_11comp_targetILNS1_3genE9ELNS1_11target_archE1100ELNS1_3gpuE3ELNS1_3repE0EEENS1_30default_config_static_selectorELNS0_4arch9wavefront6targetE0EEEvT1_,"axG",@progbits,_ZN7rocprim17ROCPRIM_400000_NS6detail17trampoline_kernelINS0_14default_configENS1_27scan_by_key_config_selectorIxxEEZZNS1_16scan_by_key_implILNS1_25lookback_scan_determinismE0ELb1ES3_N6thrust23THRUST_200600_302600_NS6detail15normal_iteratorINS9_10device_ptrIxEEEESE_SE_xNS9_4plusIvEENS9_8equal_toIxEExEE10hipError_tPvRmT2_T3_T4_T5_mT6_T7_P12ihipStream_tbENKUlT_T0_E_clISt17integral_constantIbLb0EESY_IbLb1EEEEDaSU_SV_EUlSU_E_NS1_11comp_targetILNS1_3genE9ELNS1_11target_archE1100ELNS1_3gpuE3ELNS1_3repE0EEENS1_30default_config_static_selectorELNS0_4arch9wavefront6targetE0EEEvT1_,comdat
	.protected	_ZN7rocprim17ROCPRIM_400000_NS6detail17trampoline_kernelINS0_14default_configENS1_27scan_by_key_config_selectorIxxEEZZNS1_16scan_by_key_implILNS1_25lookback_scan_determinismE0ELb1ES3_N6thrust23THRUST_200600_302600_NS6detail15normal_iteratorINS9_10device_ptrIxEEEESE_SE_xNS9_4plusIvEENS9_8equal_toIxEExEE10hipError_tPvRmT2_T3_T4_T5_mT6_T7_P12ihipStream_tbENKUlT_T0_E_clISt17integral_constantIbLb0EESY_IbLb1EEEEDaSU_SV_EUlSU_E_NS1_11comp_targetILNS1_3genE9ELNS1_11target_archE1100ELNS1_3gpuE3ELNS1_3repE0EEENS1_30default_config_static_selectorELNS0_4arch9wavefront6targetE0EEEvT1_ ; -- Begin function _ZN7rocprim17ROCPRIM_400000_NS6detail17trampoline_kernelINS0_14default_configENS1_27scan_by_key_config_selectorIxxEEZZNS1_16scan_by_key_implILNS1_25lookback_scan_determinismE0ELb1ES3_N6thrust23THRUST_200600_302600_NS6detail15normal_iteratorINS9_10device_ptrIxEEEESE_SE_xNS9_4plusIvEENS9_8equal_toIxEExEE10hipError_tPvRmT2_T3_T4_T5_mT6_T7_P12ihipStream_tbENKUlT_T0_E_clISt17integral_constantIbLb0EESY_IbLb1EEEEDaSU_SV_EUlSU_E_NS1_11comp_targetILNS1_3genE9ELNS1_11target_archE1100ELNS1_3gpuE3ELNS1_3repE0EEENS1_30default_config_static_selectorELNS0_4arch9wavefront6targetE0EEEvT1_
	.globl	_ZN7rocprim17ROCPRIM_400000_NS6detail17trampoline_kernelINS0_14default_configENS1_27scan_by_key_config_selectorIxxEEZZNS1_16scan_by_key_implILNS1_25lookback_scan_determinismE0ELb1ES3_N6thrust23THRUST_200600_302600_NS6detail15normal_iteratorINS9_10device_ptrIxEEEESE_SE_xNS9_4plusIvEENS9_8equal_toIxEExEE10hipError_tPvRmT2_T3_T4_T5_mT6_T7_P12ihipStream_tbENKUlT_T0_E_clISt17integral_constantIbLb0EESY_IbLb1EEEEDaSU_SV_EUlSU_E_NS1_11comp_targetILNS1_3genE9ELNS1_11target_archE1100ELNS1_3gpuE3ELNS1_3repE0EEENS1_30default_config_static_selectorELNS0_4arch9wavefront6targetE0EEEvT1_
	.p2align	8
	.type	_ZN7rocprim17ROCPRIM_400000_NS6detail17trampoline_kernelINS0_14default_configENS1_27scan_by_key_config_selectorIxxEEZZNS1_16scan_by_key_implILNS1_25lookback_scan_determinismE0ELb1ES3_N6thrust23THRUST_200600_302600_NS6detail15normal_iteratorINS9_10device_ptrIxEEEESE_SE_xNS9_4plusIvEENS9_8equal_toIxEExEE10hipError_tPvRmT2_T3_T4_T5_mT6_T7_P12ihipStream_tbENKUlT_T0_E_clISt17integral_constantIbLb0EESY_IbLb1EEEEDaSU_SV_EUlSU_E_NS1_11comp_targetILNS1_3genE9ELNS1_11target_archE1100ELNS1_3gpuE3ELNS1_3repE0EEENS1_30default_config_static_selectorELNS0_4arch9wavefront6targetE0EEEvT1_,@function
_ZN7rocprim17ROCPRIM_400000_NS6detail17trampoline_kernelINS0_14default_configENS1_27scan_by_key_config_selectorIxxEEZZNS1_16scan_by_key_implILNS1_25lookback_scan_determinismE0ELb1ES3_N6thrust23THRUST_200600_302600_NS6detail15normal_iteratorINS9_10device_ptrIxEEEESE_SE_xNS9_4plusIvEENS9_8equal_toIxEExEE10hipError_tPvRmT2_T3_T4_T5_mT6_T7_P12ihipStream_tbENKUlT_T0_E_clISt17integral_constantIbLb0EESY_IbLb1EEEEDaSU_SV_EUlSU_E_NS1_11comp_targetILNS1_3genE9ELNS1_11target_archE1100ELNS1_3gpuE3ELNS1_3repE0EEENS1_30default_config_static_selectorELNS0_4arch9wavefront6targetE0EEEvT1_: ; @_ZN7rocprim17ROCPRIM_400000_NS6detail17trampoline_kernelINS0_14default_configENS1_27scan_by_key_config_selectorIxxEEZZNS1_16scan_by_key_implILNS1_25lookback_scan_determinismE0ELb1ES3_N6thrust23THRUST_200600_302600_NS6detail15normal_iteratorINS9_10device_ptrIxEEEESE_SE_xNS9_4plusIvEENS9_8equal_toIxEExEE10hipError_tPvRmT2_T3_T4_T5_mT6_T7_P12ihipStream_tbENKUlT_T0_E_clISt17integral_constantIbLb0EESY_IbLb1EEEEDaSU_SV_EUlSU_E_NS1_11comp_targetILNS1_3genE9ELNS1_11target_archE1100ELNS1_3gpuE3ELNS1_3repE0EEENS1_30default_config_static_selectorELNS0_4arch9wavefront6targetE0EEEvT1_
; %bb.0:
	.section	.rodata,"a",@progbits
	.p2align	6, 0x0
	.amdhsa_kernel _ZN7rocprim17ROCPRIM_400000_NS6detail17trampoline_kernelINS0_14default_configENS1_27scan_by_key_config_selectorIxxEEZZNS1_16scan_by_key_implILNS1_25lookback_scan_determinismE0ELb1ES3_N6thrust23THRUST_200600_302600_NS6detail15normal_iteratorINS9_10device_ptrIxEEEESE_SE_xNS9_4plusIvEENS9_8equal_toIxEExEE10hipError_tPvRmT2_T3_T4_T5_mT6_T7_P12ihipStream_tbENKUlT_T0_E_clISt17integral_constantIbLb0EESY_IbLb1EEEEDaSU_SV_EUlSU_E_NS1_11comp_targetILNS1_3genE9ELNS1_11target_archE1100ELNS1_3gpuE3ELNS1_3repE0EEENS1_30default_config_static_selectorELNS0_4arch9wavefront6targetE0EEEvT1_
		.amdhsa_group_segment_fixed_size 0
		.amdhsa_private_segment_fixed_size 0
		.amdhsa_kernarg_size 136
		.amdhsa_user_sgpr_count 2
		.amdhsa_user_sgpr_dispatch_ptr 0
		.amdhsa_user_sgpr_queue_ptr 0
		.amdhsa_user_sgpr_kernarg_segment_ptr 1
		.amdhsa_user_sgpr_dispatch_id 0
		.amdhsa_user_sgpr_kernarg_preload_length 0
		.amdhsa_user_sgpr_kernarg_preload_offset 0
		.amdhsa_user_sgpr_private_segment_size 0
		.amdhsa_wavefront_size32 1
		.amdhsa_uses_dynamic_stack 0
		.amdhsa_enable_private_segment 0
		.amdhsa_system_sgpr_workgroup_id_x 1
		.amdhsa_system_sgpr_workgroup_id_y 0
		.amdhsa_system_sgpr_workgroup_id_z 0
		.amdhsa_system_sgpr_workgroup_info 0
		.amdhsa_system_vgpr_workitem_id 0
		.amdhsa_next_free_vgpr 1
		.amdhsa_next_free_sgpr 1
		.amdhsa_named_barrier_count 0
		.amdhsa_reserve_vcc 0
		.amdhsa_float_round_mode_32 0
		.amdhsa_float_round_mode_16_64 0
		.amdhsa_float_denorm_mode_32 3
		.amdhsa_float_denorm_mode_16_64 3
		.amdhsa_fp16_overflow 0
		.amdhsa_memory_ordered 1
		.amdhsa_forward_progress 1
		.amdhsa_inst_pref_size 0
		.amdhsa_round_robin_scheduling 0
		.amdhsa_exception_fp_ieee_invalid_op 0
		.amdhsa_exception_fp_denorm_src 0
		.amdhsa_exception_fp_ieee_div_zero 0
		.amdhsa_exception_fp_ieee_overflow 0
		.amdhsa_exception_fp_ieee_underflow 0
		.amdhsa_exception_fp_ieee_inexact 0
		.amdhsa_exception_int_div_zero 0
	.end_amdhsa_kernel
	.section	.text._ZN7rocprim17ROCPRIM_400000_NS6detail17trampoline_kernelINS0_14default_configENS1_27scan_by_key_config_selectorIxxEEZZNS1_16scan_by_key_implILNS1_25lookback_scan_determinismE0ELb1ES3_N6thrust23THRUST_200600_302600_NS6detail15normal_iteratorINS9_10device_ptrIxEEEESE_SE_xNS9_4plusIvEENS9_8equal_toIxEExEE10hipError_tPvRmT2_T3_T4_T5_mT6_T7_P12ihipStream_tbENKUlT_T0_E_clISt17integral_constantIbLb0EESY_IbLb1EEEEDaSU_SV_EUlSU_E_NS1_11comp_targetILNS1_3genE9ELNS1_11target_archE1100ELNS1_3gpuE3ELNS1_3repE0EEENS1_30default_config_static_selectorELNS0_4arch9wavefront6targetE0EEEvT1_,"axG",@progbits,_ZN7rocprim17ROCPRIM_400000_NS6detail17trampoline_kernelINS0_14default_configENS1_27scan_by_key_config_selectorIxxEEZZNS1_16scan_by_key_implILNS1_25lookback_scan_determinismE0ELb1ES3_N6thrust23THRUST_200600_302600_NS6detail15normal_iteratorINS9_10device_ptrIxEEEESE_SE_xNS9_4plusIvEENS9_8equal_toIxEExEE10hipError_tPvRmT2_T3_T4_T5_mT6_T7_P12ihipStream_tbENKUlT_T0_E_clISt17integral_constantIbLb0EESY_IbLb1EEEEDaSU_SV_EUlSU_E_NS1_11comp_targetILNS1_3genE9ELNS1_11target_archE1100ELNS1_3gpuE3ELNS1_3repE0EEENS1_30default_config_static_selectorELNS0_4arch9wavefront6targetE0EEEvT1_,comdat
.Lfunc_end459:
	.size	_ZN7rocprim17ROCPRIM_400000_NS6detail17trampoline_kernelINS0_14default_configENS1_27scan_by_key_config_selectorIxxEEZZNS1_16scan_by_key_implILNS1_25lookback_scan_determinismE0ELb1ES3_N6thrust23THRUST_200600_302600_NS6detail15normal_iteratorINS9_10device_ptrIxEEEESE_SE_xNS9_4plusIvEENS9_8equal_toIxEExEE10hipError_tPvRmT2_T3_T4_T5_mT6_T7_P12ihipStream_tbENKUlT_T0_E_clISt17integral_constantIbLb0EESY_IbLb1EEEEDaSU_SV_EUlSU_E_NS1_11comp_targetILNS1_3genE9ELNS1_11target_archE1100ELNS1_3gpuE3ELNS1_3repE0EEENS1_30default_config_static_selectorELNS0_4arch9wavefront6targetE0EEEvT1_, .Lfunc_end459-_ZN7rocprim17ROCPRIM_400000_NS6detail17trampoline_kernelINS0_14default_configENS1_27scan_by_key_config_selectorIxxEEZZNS1_16scan_by_key_implILNS1_25lookback_scan_determinismE0ELb1ES3_N6thrust23THRUST_200600_302600_NS6detail15normal_iteratorINS9_10device_ptrIxEEEESE_SE_xNS9_4plusIvEENS9_8equal_toIxEExEE10hipError_tPvRmT2_T3_T4_T5_mT6_T7_P12ihipStream_tbENKUlT_T0_E_clISt17integral_constantIbLb0EESY_IbLb1EEEEDaSU_SV_EUlSU_E_NS1_11comp_targetILNS1_3genE9ELNS1_11target_archE1100ELNS1_3gpuE3ELNS1_3repE0EEENS1_30default_config_static_selectorELNS0_4arch9wavefront6targetE0EEEvT1_
                                        ; -- End function
	.set _ZN7rocprim17ROCPRIM_400000_NS6detail17trampoline_kernelINS0_14default_configENS1_27scan_by_key_config_selectorIxxEEZZNS1_16scan_by_key_implILNS1_25lookback_scan_determinismE0ELb1ES3_N6thrust23THRUST_200600_302600_NS6detail15normal_iteratorINS9_10device_ptrIxEEEESE_SE_xNS9_4plusIvEENS9_8equal_toIxEExEE10hipError_tPvRmT2_T3_T4_T5_mT6_T7_P12ihipStream_tbENKUlT_T0_E_clISt17integral_constantIbLb0EESY_IbLb1EEEEDaSU_SV_EUlSU_E_NS1_11comp_targetILNS1_3genE9ELNS1_11target_archE1100ELNS1_3gpuE3ELNS1_3repE0EEENS1_30default_config_static_selectorELNS0_4arch9wavefront6targetE0EEEvT1_.num_vgpr, 0
	.set _ZN7rocprim17ROCPRIM_400000_NS6detail17trampoline_kernelINS0_14default_configENS1_27scan_by_key_config_selectorIxxEEZZNS1_16scan_by_key_implILNS1_25lookback_scan_determinismE0ELb1ES3_N6thrust23THRUST_200600_302600_NS6detail15normal_iteratorINS9_10device_ptrIxEEEESE_SE_xNS9_4plusIvEENS9_8equal_toIxEExEE10hipError_tPvRmT2_T3_T4_T5_mT6_T7_P12ihipStream_tbENKUlT_T0_E_clISt17integral_constantIbLb0EESY_IbLb1EEEEDaSU_SV_EUlSU_E_NS1_11comp_targetILNS1_3genE9ELNS1_11target_archE1100ELNS1_3gpuE3ELNS1_3repE0EEENS1_30default_config_static_selectorELNS0_4arch9wavefront6targetE0EEEvT1_.num_agpr, 0
	.set _ZN7rocprim17ROCPRIM_400000_NS6detail17trampoline_kernelINS0_14default_configENS1_27scan_by_key_config_selectorIxxEEZZNS1_16scan_by_key_implILNS1_25lookback_scan_determinismE0ELb1ES3_N6thrust23THRUST_200600_302600_NS6detail15normal_iteratorINS9_10device_ptrIxEEEESE_SE_xNS9_4plusIvEENS9_8equal_toIxEExEE10hipError_tPvRmT2_T3_T4_T5_mT6_T7_P12ihipStream_tbENKUlT_T0_E_clISt17integral_constantIbLb0EESY_IbLb1EEEEDaSU_SV_EUlSU_E_NS1_11comp_targetILNS1_3genE9ELNS1_11target_archE1100ELNS1_3gpuE3ELNS1_3repE0EEENS1_30default_config_static_selectorELNS0_4arch9wavefront6targetE0EEEvT1_.numbered_sgpr, 0
	.set _ZN7rocprim17ROCPRIM_400000_NS6detail17trampoline_kernelINS0_14default_configENS1_27scan_by_key_config_selectorIxxEEZZNS1_16scan_by_key_implILNS1_25lookback_scan_determinismE0ELb1ES3_N6thrust23THRUST_200600_302600_NS6detail15normal_iteratorINS9_10device_ptrIxEEEESE_SE_xNS9_4plusIvEENS9_8equal_toIxEExEE10hipError_tPvRmT2_T3_T4_T5_mT6_T7_P12ihipStream_tbENKUlT_T0_E_clISt17integral_constantIbLb0EESY_IbLb1EEEEDaSU_SV_EUlSU_E_NS1_11comp_targetILNS1_3genE9ELNS1_11target_archE1100ELNS1_3gpuE3ELNS1_3repE0EEENS1_30default_config_static_selectorELNS0_4arch9wavefront6targetE0EEEvT1_.num_named_barrier, 0
	.set _ZN7rocprim17ROCPRIM_400000_NS6detail17trampoline_kernelINS0_14default_configENS1_27scan_by_key_config_selectorIxxEEZZNS1_16scan_by_key_implILNS1_25lookback_scan_determinismE0ELb1ES3_N6thrust23THRUST_200600_302600_NS6detail15normal_iteratorINS9_10device_ptrIxEEEESE_SE_xNS9_4plusIvEENS9_8equal_toIxEExEE10hipError_tPvRmT2_T3_T4_T5_mT6_T7_P12ihipStream_tbENKUlT_T0_E_clISt17integral_constantIbLb0EESY_IbLb1EEEEDaSU_SV_EUlSU_E_NS1_11comp_targetILNS1_3genE9ELNS1_11target_archE1100ELNS1_3gpuE3ELNS1_3repE0EEENS1_30default_config_static_selectorELNS0_4arch9wavefront6targetE0EEEvT1_.private_seg_size, 0
	.set _ZN7rocprim17ROCPRIM_400000_NS6detail17trampoline_kernelINS0_14default_configENS1_27scan_by_key_config_selectorIxxEEZZNS1_16scan_by_key_implILNS1_25lookback_scan_determinismE0ELb1ES3_N6thrust23THRUST_200600_302600_NS6detail15normal_iteratorINS9_10device_ptrIxEEEESE_SE_xNS9_4plusIvEENS9_8equal_toIxEExEE10hipError_tPvRmT2_T3_T4_T5_mT6_T7_P12ihipStream_tbENKUlT_T0_E_clISt17integral_constantIbLb0EESY_IbLb1EEEEDaSU_SV_EUlSU_E_NS1_11comp_targetILNS1_3genE9ELNS1_11target_archE1100ELNS1_3gpuE3ELNS1_3repE0EEENS1_30default_config_static_selectorELNS0_4arch9wavefront6targetE0EEEvT1_.uses_vcc, 0
	.set _ZN7rocprim17ROCPRIM_400000_NS6detail17trampoline_kernelINS0_14default_configENS1_27scan_by_key_config_selectorIxxEEZZNS1_16scan_by_key_implILNS1_25lookback_scan_determinismE0ELb1ES3_N6thrust23THRUST_200600_302600_NS6detail15normal_iteratorINS9_10device_ptrIxEEEESE_SE_xNS9_4plusIvEENS9_8equal_toIxEExEE10hipError_tPvRmT2_T3_T4_T5_mT6_T7_P12ihipStream_tbENKUlT_T0_E_clISt17integral_constantIbLb0EESY_IbLb1EEEEDaSU_SV_EUlSU_E_NS1_11comp_targetILNS1_3genE9ELNS1_11target_archE1100ELNS1_3gpuE3ELNS1_3repE0EEENS1_30default_config_static_selectorELNS0_4arch9wavefront6targetE0EEEvT1_.uses_flat_scratch, 0
	.set _ZN7rocprim17ROCPRIM_400000_NS6detail17trampoline_kernelINS0_14default_configENS1_27scan_by_key_config_selectorIxxEEZZNS1_16scan_by_key_implILNS1_25lookback_scan_determinismE0ELb1ES3_N6thrust23THRUST_200600_302600_NS6detail15normal_iteratorINS9_10device_ptrIxEEEESE_SE_xNS9_4plusIvEENS9_8equal_toIxEExEE10hipError_tPvRmT2_T3_T4_T5_mT6_T7_P12ihipStream_tbENKUlT_T0_E_clISt17integral_constantIbLb0EESY_IbLb1EEEEDaSU_SV_EUlSU_E_NS1_11comp_targetILNS1_3genE9ELNS1_11target_archE1100ELNS1_3gpuE3ELNS1_3repE0EEENS1_30default_config_static_selectorELNS0_4arch9wavefront6targetE0EEEvT1_.has_dyn_sized_stack, 0
	.set _ZN7rocprim17ROCPRIM_400000_NS6detail17trampoline_kernelINS0_14default_configENS1_27scan_by_key_config_selectorIxxEEZZNS1_16scan_by_key_implILNS1_25lookback_scan_determinismE0ELb1ES3_N6thrust23THRUST_200600_302600_NS6detail15normal_iteratorINS9_10device_ptrIxEEEESE_SE_xNS9_4plusIvEENS9_8equal_toIxEExEE10hipError_tPvRmT2_T3_T4_T5_mT6_T7_P12ihipStream_tbENKUlT_T0_E_clISt17integral_constantIbLb0EESY_IbLb1EEEEDaSU_SV_EUlSU_E_NS1_11comp_targetILNS1_3genE9ELNS1_11target_archE1100ELNS1_3gpuE3ELNS1_3repE0EEENS1_30default_config_static_selectorELNS0_4arch9wavefront6targetE0EEEvT1_.has_recursion, 0
	.set _ZN7rocprim17ROCPRIM_400000_NS6detail17trampoline_kernelINS0_14default_configENS1_27scan_by_key_config_selectorIxxEEZZNS1_16scan_by_key_implILNS1_25lookback_scan_determinismE0ELb1ES3_N6thrust23THRUST_200600_302600_NS6detail15normal_iteratorINS9_10device_ptrIxEEEESE_SE_xNS9_4plusIvEENS9_8equal_toIxEExEE10hipError_tPvRmT2_T3_T4_T5_mT6_T7_P12ihipStream_tbENKUlT_T0_E_clISt17integral_constantIbLb0EESY_IbLb1EEEEDaSU_SV_EUlSU_E_NS1_11comp_targetILNS1_3genE9ELNS1_11target_archE1100ELNS1_3gpuE3ELNS1_3repE0EEENS1_30default_config_static_selectorELNS0_4arch9wavefront6targetE0EEEvT1_.has_indirect_call, 0
	.section	.AMDGPU.csdata,"",@progbits
; Kernel info:
; codeLenInByte = 0
; TotalNumSgprs: 0
; NumVgprs: 0
; ScratchSize: 0
; MemoryBound: 0
; FloatMode: 240
; IeeeMode: 1
; LDSByteSize: 0 bytes/workgroup (compile time only)
; SGPRBlocks: 0
; VGPRBlocks: 0
; NumSGPRsForWavesPerEU: 1
; NumVGPRsForWavesPerEU: 1
; NamedBarCnt: 0
; Occupancy: 16
; WaveLimiterHint : 0
; COMPUTE_PGM_RSRC2:SCRATCH_EN: 0
; COMPUTE_PGM_RSRC2:USER_SGPR: 2
; COMPUTE_PGM_RSRC2:TRAP_HANDLER: 0
; COMPUTE_PGM_RSRC2:TGID_X_EN: 1
; COMPUTE_PGM_RSRC2:TGID_Y_EN: 0
; COMPUTE_PGM_RSRC2:TGID_Z_EN: 0
; COMPUTE_PGM_RSRC2:TIDIG_COMP_CNT: 0
	.section	.text._ZN7rocprim17ROCPRIM_400000_NS6detail17trampoline_kernelINS0_14default_configENS1_27scan_by_key_config_selectorIxxEEZZNS1_16scan_by_key_implILNS1_25lookback_scan_determinismE0ELb1ES3_N6thrust23THRUST_200600_302600_NS6detail15normal_iteratorINS9_10device_ptrIxEEEESE_SE_xNS9_4plusIvEENS9_8equal_toIxEExEE10hipError_tPvRmT2_T3_T4_T5_mT6_T7_P12ihipStream_tbENKUlT_T0_E_clISt17integral_constantIbLb0EESY_IbLb1EEEEDaSU_SV_EUlSU_E_NS1_11comp_targetILNS1_3genE8ELNS1_11target_archE1030ELNS1_3gpuE2ELNS1_3repE0EEENS1_30default_config_static_selectorELNS0_4arch9wavefront6targetE0EEEvT1_,"axG",@progbits,_ZN7rocprim17ROCPRIM_400000_NS6detail17trampoline_kernelINS0_14default_configENS1_27scan_by_key_config_selectorIxxEEZZNS1_16scan_by_key_implILNS1_25lookback_scan_determinismE0ELb1ES3_N6thrust23THRUST_200600_302600_NS6detail15normal_iteratorINS9_10device_ptrIxEEEESE_SE_xNS9_4plusIvEENS9_8equal_toIxEExEE10hipError_tPvRmT2_T3_T4_T5_mT6_T7_P12ihipStream_tbENKUlT_T0_E_clISt17integral_constantIbLb0EESY_IbLb1EEEEDaSU_SV_EUlSU_E_NS1_11comp_targetILNS1_3genE8ELNS1_11target_archE1030ELNS1_3gpuE2ELNS1_3repE0EEENS1_30default_config_static_selectorELNS0_4arch9wavefront6targetE0EEEvT1_,comdat
	.protected	_ZN7rocprim17ROCPRIM_400000_NS6detail17trampoline_kernelINS0_14default_configENS1_27scan_by_key_config_selectorIxxEEZZNS1_16scan_by_key_implILNS1_25lookback_scan_determinismE0ELb1ES3_N6thrust23THRUST_200600_302600_NS6detail15normal_iteratorINS9_10device_ptrIxEEEESE_SE_xNS9_4plusIvEENS9_8equal_toIxEExEE10hipError_tPvRmT2_T3_T4_T5_mT6_T7_P12ihipStream_tbENKUlT_T0_E_clISt17integral_constantIbLb0EESY_IbLb1EEEEDaSU_SV_EUlSU_E_NS1_11comp_targetILNS1_3genE8ELNS1_11target_archE1030ELNS1_3gpuE2ELNS1_3repE0EEENS1_30default_config_static_selectorELNS0_4arch9wavefront6targetE0EEEvT1_ ; -- Begin function _ZN7rocprim17ROCPRIM_400000_NS6detail17trampoline_kernelINS0_14default_configENS1_27scan_by_key_config_selectorIxxEEZZNS1_16scan_by_key_implILNS1_25lookback_scan_determinismE0ELb1ES3_N6thrust23THRUST_200600_302600_NS6detail15normal_iteratorINS9_10device_ptrIxEEEESE_SE_xNS9_4plusIvEENS9_8equal_toIxEExEE10hipError_tPvRmT2_T3_T4_T5_mT6_T7_P12ihipStream_tbENKUlT_T0_E_clISt17integral_constantIbLb0EESY_IbLb1EEEEDaSU_SV_EUlSU_E_NS1_11comp_targetILNS1_3genE8ELNS1_11target_archE1030ELNS1_3gpuE2ELNS1_3repE0EEENS1_30default_config_static_selectorELNS0_4arch9wavefront6targetE0EEEvT1_
	.globl	_ZN7rocprim17ROCPRIM_400000_NS6detail17trampoline_kernelINS0_14default_configENS1_27scan_by_key_config_selectorIxxEEZZNS1_16scan_by_key_implILNS1_25lookback_scan_determinismE0ELb1ES3_N6thrust23THRUST_200600_302600_NS6detail15normal_iteratorINS9_10device_ptrIxEEEESE_SE_xNS9_4plusIvEENS9_8equal_toIxEExEE10hipError_tPvRmT2_T3_T4_T5_mT6_T7_P12ihipStream_tbENKUlT_T0_E_clISt17integral_constantIbLb0EESY_IbLb1EEEEDaSU_SV_EUlSU_E_NS1_11comp_targetILNS1_3genE8ELNS1_11target_archE1030ELNS1_3gpuE2ELNS1_3repE0EEENS1_30default_config_static_selectorELNS0_4arch9wavefront6targetE0EEEvT1_
	.p2align	8
	.type	_ZN7rocprim17ROCPRIM_400000_NS6detail17trampoline_kernelINS0_14default_configENS1_27scan_by_key_config_selectorIxxEEZZNS1_16scan_by_key_implILNS1_25lookback_scan_determinismE0ELb1ES3_N6thrust23THRUST_200600_302600_NS6detail15normal_iteratorINS9_10device_ptrIxEEEESE_SE_xNS9_4plusIvEENS9_8equal_toIxEExEE10hipError_tPvRmT2_T3_T4_T5_mT6_T7_P12ihipStream_tbENKUlT_T0_E_clISt17integral_constantIbLb0EESY_IbLb1EEEEDaSU_SV_EUlSU_E_NS1_11comp_targetILNS1_3genE8ELNS1_11target_archE1030ELNS1_3gpuE2ELNS1_3repE0EEENS1_30default_config_static_selectorELNS0_4arch9wavefront6targetE0EEEvT1_,@function
_ZN7rocprim17ROCPRIM_400000_NS6detail17trampoline_kernelINS0_14default_configENS1_27scan_by_key_config_selectorIxxEEZZNS1_16scan_by_key_implILNS1_25lookback_scan_determinismE0ELb1ES3_N6thrust23THRUST_200600_302600_NS6detail15normal_iteratorINS9_10device_ptrIxEEEESE_SE_xNS9_4plusIvEENS9_8equal_toIxEExEE10hipError_tPvRmT2_T3_T4_T5_mT6_T7_P12ihipStream_tbENKUlT_T0_E_clISt17integral_constantIbLb0EESY_IbLb1EEEEDaSU_SV_EUlSU_E_NS1_11comp_targetILNS1_3genE8ELNS1_11target_archE1030ELNS1_3gpuE2ELNS1_3repE0EEENS1_30default_config_static_selectorELNS0_4arch9wavefront6targetE0EEEvT1_: ; @_ZN7rocprim17ROCPRIM_400000_NS6detail17trampoline_kernelINS0_14default_configENS1_27scan_by_key_config_selectorIxxEEZZNS1_16scan_by_key_implILNS1_25lookback_scan_determinismE0ELb1ES3_N6thrust23THRUST_200600_302600_NS6detail15normal_iteratorINS9_10device_ptrIxEEEESE_SE_xNS9_4plusIvEENS9_8equal_toIxEExEE10hipError_tPvRmT2_T3_T4_T5_mT6_T7_P12ihipStream_tbENKUlT_T0_E_clISt17integral_constantIbLb0EESY_IbLb1EEEEDaSU_SV_EUlSU_E_NS1_11comp_targetILNS1_3genE8ELNS1_11target_archE1030ELNS1_3gpuE2ELNS1_3repE0EEENS1_30default_config_static_selectorELNS0_4arch9wavefront6targetE0EEEvT1_
; %bb.0:
	.section	.rodata,"a",@progbits
	.p2align	6, 0x0
	.amdhsa_kernel _ZN7rocprim17ROCPRIM_400000_NS6detail17trampoline_kernelINS0_14default_configENS1_27scan_by_key_config_selectorIxxEEZZNS1_16scan_by_key_implILNS1_25lookback_scan_determinismE0ELb1ES3_N6thrust23THRUST_200600_302600_NS6detail15normal_iteratorINS9_10device_ptrIxEEEESE_SE_xNS9_4plusIvEENS9_8equal_toIxEExEE10hipError_tPvRmT2_T3_T4_T5_mT6_T7_P12ihipStream_tbENKUlT_T0_E_clISt17integral_constantIbLb0EESY_IbLb1EEEEDaSU_SV_EUlSU_E_NS1_11comp_targetILNS1_3genE8ELNS1_11target_archE1030ELNS1_3gpuE2ELNS1_3repE0EEENS1_30default_config_static_selectorELNS0_4arch9wavefront6targetE0EEEvT1_
		.amdhsa_group_segment_fixed_size 0
		.amdhsa_private_segment_fixed_size 0
		.amdhsa_kernarg_size 136
		.amdhsa_user_sgpr_count 2
		.amdhsa_user_sgpr_dispatch_ptr 0
		.amdhsa_user_sgpr_queue_ptr 0
		.amdhsa_user_sgpr_kernarg_segment_ptr 1
		.amdhsa_user_sgpr_dispatch_id 0
		.amdhsa_user_sgpr_kernarg_preload_length 0
		.amdhsa_user_sgpr_kernarg_preload_offset 0
		.amdhsa_user_sgpr_private_segment_size 0
		.amdhsa_wavefront_size32 1
		.amdhsa_uses_dynamic_stack 0
		.amdhsa_enable_private_segment 0
		.amdhsa_system_sgpr_workgroup_id_x 1
		.amdhsa_system_sgpr_workgroup_id_y 0
		.amdhsa_system_sgpr_workgroup_id_z 0
		.amdhsa_system_sgpr_workgroup_info 0
		.amdhsa_system_vgpr_workitem_id 0
		.amdhsa_next_free_vgpr 1
		.amdhsa_next_free_sgpr 1
		.amdhsa_named_barrier_count 0
		.amdhsa_reserve_vcc 0
		.amdhsa_float_round_mode_32 0
		.amdhsa_float_round_mode_16_64 0
		.amdhsa_float_denorm_mode_32 3
		.amdhsa_float_denorm_mode_16_64 3
		.amdhsa_fp16_overflow 0
		.amdhsa_memory_ordered 1
		.amdhsa_forward_progress 1
		.amdhsa_inst_pref_size 0
		.amdhsa_round_robin_scheduling 0
		.amdhsa_exception_fp_ieee_invalid_op 0
		.amdhsa_exception_fp_denorm_src 0
		.amdhsa_exception_fp_ieee_div_zero 0
		.amdhsa_exception_fp_ieee_overflow 0
		.amdhsa_exception_fp_ieee_underflow 0
		.amdhsa_exception_fp_ieee_inexact 0
		.amdhsa_exception_int_div_zero 0
	.end_amdhsa_kernel
	.section	.text._ZN7rocprim17ROCPRIM_400000_NS6detail17trampoline_kernelINS0_14default_configENS1_27scan_by_key_config_selectorIxxEEZZNS1_16scan_by_key_implILNS1_25lookback_scan_determinismE0ELb1ES3_N6thrust23THRUST_200600_302600_NS6detail15normal_iteratorINS9_10device_ptrIxEEEESE_SE_xNS9_4plusIvEENS9_8equal_toIxEExEE10hipError_tPvRmT2_T3_T4_T5_mT6_T7_P12ihipStream_tbENKUlT_T0_E_clISt17integral_constantIbLb0EESY_IbLb1EEEEDaSU_SV_EUlSU_E_NS1_11comp_targetILNS1_3genE8ELNS1_11target_archE1030ELNS1_3gpuE2ELNS1_3repE0EEENS1_30default_config_static_selectorELNS0_4arch9wavefront6targetE0EEEvT1_,"axG",@progbits,_ZN7rocprim17ROCPRIM_400000_NS6detail17trampoline_kernelINS0_14default_configENS1_27scan_by_key_config_selectorIxxEEZZNS1_16scan_by_key_implILNS1_25lookback_scan_determinismE0ELb1ES3_N6thrust23THRUST_200600_302600_NS6detail15normal_iteratorINS9_10device_ptrIxEEEESE_SE_xNS9_4plusIvEENS9_8equal_toIxEExEE10hipError_tPvRmT2_T3_T4_T5_mT6_T7_P12ihipStream_tbENKUlT_T0_E_clISt17integral_constantIbLb0EESY_IbLb1EEEEDaSU_SV_EUlSU_E_NS1_11comp_targetILNS1_3genE8ELNS1_11target_archE1030ELNS1_3gpuE2ELNS1_3repE0EEENS1_30default_config_static_selectorELNS0_4arch9wavefront6targetE0EEEvT1_,comdat
.Lfunc_end460:
	.size	_ZN7rocprim17ROCPRIM_400000_NS6detail17trampoline_kernelINS0_14default_configENS1_27scan_by_key_config_selectorIxxEEZZNS1_16scan_by_key_implILNS1_25lookback_scan_determinismE0ELb1ES3_N6thrust23THRUST_200600_302600_NS6detail15normal_iteratorINS9_10device_ptrIxEEEESE_SE_xNS9_4plusIvEENS9_8equal_toIxEExEE10hipError_tPvRmT2_T3_T4_T5_mT6_T7_P12ihipStream_tbENKUlT_T0_E_clISt17integral_constantIbLb0EESY_IbLb1EEEEDaSU_SV_EUlSU_E_NS1_11comp_targetILNS1_3genE8ELNS1_11target_archE1030ELNS1_3gpuE2ELNS1_3repE0EEENS1_30default_config_static_selectorELNS0_4arch9wavefront6targetE0EEEvT1_, .Lfunc_end460-_ZN7rocprim17ROCPRIM_400000_NS6detail17trampoline_kernelINS0_14default_configENS1_27scan_by_key_config_selectorIxxEEZZNS1_16scan_by_key_implILNS1_25lookback_scan_determinismE0ELb1ES3_N6thrust23THRUST_200600_302600_NS6detail15normal_iteratorINS9_10device_ptrIxEEEESE_SE_xNS9_4plusIvEENS9_8equal_toIxEExEE10hipError_tPvRmT2_T3_T4_T5_mT6_T7_P12ihipStream_tbENKUlT_T0_E_clISt17integral_constantIbLb0EESY_IbLb1EEEEDaSU_SV_EUlSU_E_NS1_11comp_targetILNS1_3genE8ELNS1_11target_archE1030ELNS1_3gpuE2ELNS1_3repE0EEENS1_30default_config_static_selectorELNS0_4arch9wavefront6targetE0EEEvT1_
                                        ; -- End function
	.set _ZN7rocprim17ROCPRIM_400000_NS6detail17trampoline_kernelINS0_14default_configENS1_27scan_by_key_config_selectorIxxEEZZNS1_16scan_by_key_implILNS1_25lookback_scan_determinismE0ELb1ES3_N6thrust23THRUST_200600_302600_NS6detail15normal_iteratorINS9_10device_ptrIxEEEESE_SE_xNS9_4plusIvEENS9_8equal_toIxEExEE10hipError_tPvRmT2_T3_T4_T5_mT6_T7_P12ihipStream_tbENKUlT_T0_E_clISt17integral_constantIbLb0EESY_IbLb1EEEEDaSU_SV_EUlSU_E_NS1_11comp_targetILNS1_3genE8ELNS1_11target_archE1030ELNS1_3gpuE2ELNS1_3repE0EEENS1_30default_config_static_selectorELNS0_4arch9wavefront6targetE0EEEvT1_.num_vgpr, 0
	.set _ZN7rocprim17ROCPRIM_400000_NS6detail17trampoline_kernelINS0_14default_configENS1_27scan_by_key_config_selectorIxxEEZZNS1_16scan_by_key_implILNS1_25lookback_scan_determinismE0ELb1ES3_N6thrust23THRUST_200600_302600_NS6detail15normal_iteratorINS9_10device_ptrIxEEEESE_SE_xNS9_4plusIvEENS9_8equal_toIxEExEE10hipError_tPvRmT2_T3_T4_T5_mT6_T7_P12ihipStream_tbENKUlT_T0_E_clISt17integral_constantIbLb0EESY_IbLb1EEEEDaSU_SV_EUlSU_E_NS1_11comp_targetILNS1_3genE8ELNS1_11target_archE1030ELNS1_3gpuE2ELNS1_3repE0EEENS1_30default_config_static_selectorELNS0_4arch9wavefront6targetE0EEEvT1_.num_agpr, 0
	.set _ZN7rocprim17ROCPRIM_400000_NS6detail17trampoline_kernelINS0_14default_configENS1_27scan_by_key_config_selectorIxxEEZZNS1_16scan_by_key_implILNS1_25lookback_scan_determinismE0ELb1ES3_N6thrust23THRUST_200600_302600_NS6detail15normal_iteratorINS9_10device_ptrIxEEEESE_SE_xNS9_4plusIvEENS9_8equal_toIxEExEE10hipError_tPvRmT2_T3_T4_T5_mT6_T7_P12ihipStream_tbENKUlT_T0_E_clISt17integral_constantIbLb0EESY_IbLb1EEEEDaSU_SV_EUlSU_E_NS1_11comp_targetILNS1_3genE8ELNS1_11target_archE1030ELNS1_3gpuE2ELNS1_3repE0EEENS1_30default_config_static_selectorELNS0_4arch9wavefront6targetE0EEEvT1_.numbered_sgpr, 0
	.set _ZN7rocprim17ROCPRIM_400000_NS6detail17trampoline_kernelINS0_14default_configENS1_27scan_by_key_config_selectorIxxEEZZNS1_16scan_by_key_implILNS1_25lookback_scan_determinismE0ELb1ES3_N6thrust23THRUST_200600_302600_NS6detail15normal_iteratorINS9_10device_ptrIxEEEESE_SE_xNS9_4plusIvEENS9_8equal_toIxEExEE10hipError_tPvRmT2_T3_T4_T5_mT6_T7_P12ihipStream_tbENKUlT_T0_E_clISt17integral_constantIbLb0EESY_IbLb1EEEEDaSU_SV_EUlSU_E_NS1_11comp_targetILNS1_3genE8ELNS1_11target_archE1030ELNS1_3gpuE2ELNS1_3repE0EEENS1_30default_config_static_selectorELNS0_4arch9wavefront6targetE0EEEvT1_.num_named_barrier, 0
	.set _ZN7rocprim17ROCPRIM_400000_NS6detail17trampoline_kernelINS0_14default_configENS1_27scan_by_key_config_selectorIxxEEZZNS1_16scan_by_key_implILNS1_25lookback_scan_determinismE0ELb1ES3_N6thrust23THRUST_200600_302600_NS6detail15normal_iteratorINS9_10device_ptrIxEEEESE_SE_xNS9_4plusIvEENS9_8equal_toIxEExEE10hipError_tPvRmT2_T3_T4_T5_mT6_T7_P12ihipStream_tbENKUlT_T0_E_clISt17integral_constantIbLb0EESY_IbLb1EEEEDaSU_SV_EUlSU_E_NS1_11comp_targetILNS1_3genE8ELNS1_11target_archE1030ELNS1_3gpuE2ELNS1_3repE0EEENS1_30default_config_static_selectorELNS0_4arch9wavefront6targetE0EEEvT1_.private_seg_size, 0
	.set _ZN7rocprim17ROCPRIM_400000_NS6detail17trampoline_kernelINS0_14default_configENS1_27scan_by_key_config_selectorIxxEEZZNS1_16scan_by_key_implILNS1_25lookback_scan_determinismE0ELb1ES3_N6thrust23THRUST_200600_302600_NS6detail15normal_iteratorINS9_10device_ptrIxEEEESE_SE_xNS9_4plusIvEENS9_8equal_toIxEExEE10hipError_tPvRmT2_T3_T4_T5_mT6_T7_P12ihipStream_tbENKUlT_T0_E_clISt17integral_constantIbLb0EESY_IbLb1EEEEDaSU_SV_EUlSU_E_NS1_11comp_targetILNS1_3genE8ELNS1_11target_archE1030ELNS1_3gpuE2ELNS1_3repE0EEENS1_30default_config_static_selectorELNS0_4arch9wavefront6targetE0EEEvT1_.uses_vcc, 0
	.set _ZN7rocprim17ROCPRIM_400000_NS6detail17trampoline_kernelINS0_14default_configENS1_27scan_by_key_config_selectorIxxEEZZNS1_16scan_by_key_implILNS1_25lookback_scan_determinismE0ELb1ES3_N6thrust23THRUST_200600_302600_NS6detail15normal_iteratorINS9_10device_ptrIxEEEESE_SE_xNS9_4plusIvEENS9_8equal_toIxEExEE10hipError_tPvRmT2_T3_T4_T5_mT6_T7_P12ihipStream_tbENKUlT_T0_E_clISt17integral_constantIbLb0EESY_IbLb1EEEEDaSU_SV_EUlSU_E_NS1_11comp_targetILNS1_3genE8ELNS1_11target_archE1030ELNS1_3gpuE2ELNS1_3repE0EEENS1_30default_config_static_selectorELNS0_4arch9wavefront6targetE0EEEvT1_.uses_flat_scratch, 0
	.set _ZN7rocprim17ROCPRIM_400000_NS6detail17trampoline_kernelINS0_14default_configENS1_27scan_by_key_config_selectorIxxEEZZNS1_16scan_by_key_implILNS1_25lookback_scan_determinismE0ELb1ES3_N6thrust23THRUST_200600_302600_NS6detail15normal_iteratorINS9_10device_ptrIxEEEESE_SE_xNS9_4plusIvEENS9_8equal_toIxEExEE10hipError_tPvRmT2_T3_T4_T5_mT6_T7_P12ihipStream_tbENKUlT_T0_E_clISt17integral_constantIbLb0EESY_IbLb1EEEEDaSU_SV_EUlSU_E_NS1_11comp_targetILNS1_3genE8ELNS1_11target_archE1030ELNS1_3gpuE2ELNS1_3repE0EEENS1_30default_config_static_selectorELNS0_4arch9wavefront6targetE0EEEvT1_.has_dyn_sized_stack, 0
	.set _ZN7rocprim17ROCPRIM_400000_NS6detail17trampoline_kernelINS0_14default_configENS1_27scan_by_key_config_selectorIxxEEZZNS1_16scan_by_key_implILNS1_25lookback_scan_determinismE0ELb1ES3_N6thrust23THRUST_200600_302600_NS6detail15normal_iteratorINS9_10device_ptrIxEEEESE_SE_xNS9_4plusIvEENS9_8equal_toIxEExEE10hipError_tPvRmT2_T3_T4_T5_mT6_T7_P12ihipStream_tbENKUlT_T0_E_clISt17integral_constantIbLb0EESY_IbLb1EEEEDaSU_SV_EUlSU_E_NS1_11comp_targetILNS1_3genE8ELNS1_11target_archE1030ELNS1_3gpuE2ELNS1_3repE0EEENS1_30default_config_static_selectorELNS0_4arch9wavefront6targetE0EEEvT1_.has_recursion, 0
	.set _ZN7rocprim17ROCPRIM_400000_NS6detail17trampoline_kernelINS0_14default_configENS1_27scan_by_key_config_selectorIxxEEZZNS1_16scan_by_key_implILNS1_25lookback_scan_determinismE0ELb1ES3_N6thrust23THRUST_200600_302600_NS6detail15normal_iteratorINS9_10device_ptrIxEEEESE_SE_xNS9_4plusIvEENS9_8equal_toIxEExEE10hipError_tPvRmT2_T3_T4_T5_mT6_T7_P12ihipStream_tbENKUlT_T0_E_clISt17integral_constantIbLb0EESY_IbLb1EEEEDaSU_SV_EUlSU_E_NS1_11comp_targetILNS1_3genE8ELNS1_11target_archE1030ELNS1_3gpuE2ELNS1_3repE0EEENS1_30default_config_static_selectorELNS0_4arch9wavefront6targetE0EEEvT1_.has_indirect_call, 0
	.section	.AMDGPU.csdata,"",@progbits
; Kernel info:
; codeLenInByte = 0
; TotalNumSgprs: 0
; NumVgprs: 0
; ScratchSize: 0
; MemoryBound: 0
; FloatMode: 240
; IeeeMode: 1
; LDSByteSize: 0 bytes/workgroup (compile time only)
; SGPRBlocks: 0
; VGPRBlocks: 0
; NumSGPRsForWavesPerEU: 1
; NumVGPRsForWavesPerEU: 1
; NamedBarCnt: 0
; Occupancy: 16
; WaveLimiterHint : 0
; COMPUTE_PGM_RSRC2:SCRATCH_EN: 0
; COMPUTE_PGM_RSRC2:USER_SGPR: 2
; COMPUTE_PGM_RSRC2:TRAP_HANDLER: 0
; COMPUTE_PGM_RSRC2:TGID_X_EN: 1
; COMPUTE_PGM_RSRC2:TGID_Y_EN: 0
; COMPUTE_PGM_RSRC2:TGID_Z_EN: 0
; COMPUTE_PGM_RSRC2:TIDIG_COMP_CNT: 0
	.section	.text._ZN7rocprim17ROCPRIM_400000_NS6detail17trampoline_kernelINS0_14default_configENS1_27scan_by_key_config_selectorIiiEEZZNS1_16scan_by_key_implILNS1_25lookback_scan_determinismE0ELb1ES3_N6thrust23THRUST_200600_302600_NS6detail15normal_iteratorINS9_10device_ptrIiEEEESE_SE_iNS9_4plusIvEENS9_8equal_toIvEEiEE10hipError_tPvRmT2_T3_T4_T5_mT6_T7_P12ihipStream_tbENKUlT_T0_E_clISt17integral_constantIbLb0EESZ_EEDaSU_SV_EUlSU_E_NS1_11comp_targetILNS1_3genE0ELNS1_11target_archE4294967295ELNS1_3gpuE0ELNS1_3repE0EEENS1_30default_config_static_selectorELNS0_4arch9wavefront6targetE0EEEvT1_,"axG",@progbits,_ZN7rocprim17ROCPRIM_400000_NS6detail17trampoline_kernelINS0_14default_configENS1_27scan_by_key_config_selectorIiiEEZZNS1_16scan_by_key_implILNS1_25lookback_scan_determinismE0ELb1ES3_N6thrust23THRUST_200600_302600_NS6detail15normal_iteratorINS9_10device_ptrIiEEEESE_SE_iNS9_4plusIvEENS9_8equal_toIvEEiEE10hipError_tPvRmT2_T3_T4_T5_mT6_T7_P12ihipStream_tbENKUlT_T0_E_clISt17integral_constantIbLb0EESZ_EEDaSU_SV_EUlSU_E_NS1_11comp_targetILNS1_3genE0ELNS1_11target_archE4294967295ELNS1_3gpuE0ELNS1_3repE0EEENS1_30default_config_static_selectorELNS0_4arch9wavefront6targetE0EEEvT1_,comdat
	.protected	_ZN7rocprim17ROCPRIM_400000_NS6detail17trampoline_kernelINS0_14default_configENS1_27scan_by_key_config_selectorIiiEEZZNS1_16scan_by_key_implILNS1_25lookback_scan_determinismE0ELb1ES3_N6thrust23THRUST_200600_302600_NS6detail15normal_iteratorINS9_10device_ptrIiEEEESE_SE_iNS9_4plusIvEENS9_8equal_toIvEEiEE10hipError_tPvRmT2_T3_T4_T5_mT6_T7_P12ihipStream_tbENKUlT_T0_E_clISt17integral_constantIbLb0EESZ_EEDaSU_SV_EUlSU_E_NS1_11comp_targetILNS1_3genE0ELNS1_11target_archE4294967295ELNS1_3gpuE0ELNS1_3repE0EEENS1_30default_config_static_selectorELNS0_4arch9wavefront6targetE0EEEvT1_ ; -- Begin function _ZN7rocprim17ROCPRIM_400000_NS6detail17trampoline_kernelINS0_14default_configENS1_27scan_by_key_config_selectorIiiEEZZNS1_16scan_by_key_implILNS1_25lookback_scan_determinismE0ELb1ES3_N6thrust23THRUST_200600_302600_NS6detail15normal_iteratorINS9_10device_ptrIiEEEESE_SE_iNS9_4plusIvEENS9_8equal_toIvEEiEE10hipError_tPvRmT2_T3_T4_T5_mT6_T7_P12ihipStream_tbENKUlT_T0_E_clISt17integral_constantIbLb0EESZ_EEDaSU_SV_EUlSU_E_NS1_11comp_targetILNS1_3genE0ELNS1_11target_archE4294967295ELNS1_3gpuE0ELNS1_3repE0EEENS1_30default_config_static_selectorELNS0_4arch9wavefront6targetE0EEEvT1_
	.globl	_ZN7rocprim17ROCPRIM_400000_NS6detail17trampoline_kernelINS0_14default_configENS1_27scan_by_key_config_selectorIiiEEZZNS1_16scan_by_key_implILNS1_25lookback_scan_determinismE0ELb1ES3_N6thrust23THRUST_200600_302600_NS6detail15normal_iteratorINS9_10device_ptrIiEEEESE_SE_iNS9_4plusIvEENS9_8equal_toIvEEiEE10hipError_tPvRmT2_T3_T4_T5_mT6_T7_P12ihipStream_tbENKUlT_T0_E_clISt17integral_constantIbLb0EESZ_EEDaSU_SV_EUlSU_E_NS1_11comp_targetILNS1_3genE0ELNS1_11target_archE4294967295ELNS1_3gpuE0ELNS1_3repE0EEENS1_30default_config_static_selectorELNS0_4arch9wavefront6targetE0EEEvT1_
	.p2align	8
	.type	_ZN7rocprim17ROCPRIM_400000_NS6detail17trampoline_kernelINS0_14default_configENS1_27scan_by_key_config_selectorIiiEEZZNS1_16scan_by_key_implILNS1_25lookback_scan_determinismE0ELb1ES3_N6thrust23THRUST_200600_302600_NS6detail15normal_iteratorINS9_10device_ptrIiEEEESE_SE_iNS9_4plusIvEENS9_8equal_toIvEEiEE10hipError_tPvRmT2_T3_T4_T5_mT6_T7_P12ihipStream_tbENKUlT_T0_E_clISt17integral_constantIbLb0EESZ_EEDaSU_SV_EUlSU_E_NS1_11comp_targetILNS1_3genE0ELNS1_11target_archE4294967295ELNS1_3gpuE0ELNS1_3repE0EEENS1_30default_config_static_selectorELNS0_4arch9wavefront6targetE0EEEvT1_,@function
_ZN7rocprim17ROCPRIM_400000_NS6detail17trampoline_kernelINS0_14default_configENS1_27scan_by_key_config_selectorIiiEEZZNS1_16scan_by_key_implILNS1_25lookback_scan_determinismE0ELb1ES3_N6thrust23THRUST_200600_302600_NS6detail15normal_iteratorINS9_10device_ptrIiEEEESE_SE_iNS9_4plusIvEENS9_8equal_toIvEEiEE10hipError_tPvRmT2_T3_T4_T5_mT6_T7_P12ihipStream_tbENKUlT_T0_E_clISt17integral_constantIbLb0EESZ_EEDaSU_SV_EUlSU_E_NS1_11comp_targetILNS1_3genE0ELNS1_11target_archE4294967295ELNS1_3gpuE0ELNS1_3repE0EEENS1_30default_config_static_selectorELNS0_4arch9wavefront6targetE0EEEvT1_: ; @_ZN7rocprim17ROCPRIM_400000_NS6detail17trampoline_kernelINS0_14default_configENS1_27scan_by_key_config_selectorIiiEEZZNS1_16scan_by_key_implILNS1_25lookback_scan_determinismE0ELb1ES3_N6thrust23THRUST_200600_302600_NS6detail15normal_iteratorINS9_10device_ptrIiEEEESE_SE_iNS9_4plusIvEENS9_8equal_toIvEEiEE10hipError_tPvRmT2_T3_T4_T5_mT6_T7_P12ihipStream_tbENKUlT_T0_E_clISt17integral_constantIbLb0EESZ_EEDaSU_SV_EUlSU_E_NS1_11comp_targetILNS1_3genE0ELNS1_11target_archE4294967295ELNS1_3gpuE0ELNS1_3repE0EEENS1_30default_config_static_selectorELNS0_4arch9wavefront6targetE0EEEvT1_
; %bb.0:
	s_clause 0x2
	s_load_b96 s[24:26], s[0:1], 0x38
	s_load_b256 s[8:15], s[0:1], 0x0
	s_load_b128 s[20:23], s[0:1], 0x48
	s_bfe_u32 s4, ttmp6, 0x4000c
	s_delay_alu instid0(SALU_CYCLE_1)
	s_add_co_i32 s4, s4, 1
	s_clause 0x1
	s_load_b32 s33, s[0:1], 0x20
	s_load_b128 s[16:19], s[0:1], 0x28
	s_and_b32 s2, ttmp6, 15
	s_wait_xcnt 0x0
	s_mul_i32 s0, ttmp9, s4
	s_getreg_b32 s5, hwreg(HW_REG_IB_STS2, 6, 4)
	s_add_co_i32 s6, s2, s0
	s_mov_b32 s3, 0
	s_barrier_signal -1
	s_mov_b32 s29, s3
	s_barrier_wait -1
	s_wait_kmcnt 0x0
	s_mov_b32 s2, s26
	s_lshl_b64 s[26:27], s[10:11], 2
	s_cmp_eq_u32 s5, 0
	s_mul_u64 s[4:5], s[24:25], s[2:3]
	s_cselect_b32 s28, ttmp9, s6
	s_add_nc_u64 s[0:1], s[8:9], s[26:27]
	s_add_nc_u64 s[4:5], s[4:5], s[28:29]
	s_add_nc_u64 s[8:9], s[20:21], -1
	s_mul_i32 s2, s28, 0xc00
	v_cmp_ge_u64_e64 s19, s[4:5], s[8:9]
	s_add_nc_u64 s[6:7], s[12:13], s[26:27]
	s_lshl_b64 s[20:21], s[2:3], 2
	s_mul_i32 s29, s8, 0xfffff400
	s_add_nc_u64 s[30:31], s[0:1], s[20:21]
	s_add_nc_u64 s[12:13], s[6:7], s[20:21]
	s_and_b32 vcc_lo, exec_lo, s19
	s_cbranch_vccz .LBB461_66
; %bb.1:
	v_mov_b32_e32 v1, 0
	s_add_co_i32 s34, s29, s18
	s_delay_alu instid0(SALU_CYCLE_1)
	v_cmp_gt_u32_e32 vcc_lo, s34, v0
	flat_load_b32 v1, v1, s[30:31]
	s_wait_loadcnt_dscnt 0x0
	v_mov_b32_e32 v2, v1
	s_and_saveexec_b32 s0, vcc_lo
	s_cbranch_execz .LBB461_3
; %bb.2:
	flat_load_b32 v2, v0, s[30:31] scale_offset
.LBB461_3:
	s_wait_xcnt 0x0
	s_or_b32 exec_lo, exec_lo, s0
	v_or_b32_e32 v3, 0x100, v0
	s_delay_alu instid0(VALU_DEP_1)
	v_cmp_gt_u32_e64 s0, s34, v3
	v_mov_b32_e32 v3, v1
	s_and_saveexec_b32 s1, s0
	s_cbranch_execz .LBB461_5
; %bb.4:
	flat_load_b32 v3, v0, s[30:31] offset:1024 scale_offset
.LBB461_5:
	s_wait_xcnt 0x0
	s_or_b32 exec_lo, exec_lo, s1
	v_or_b32_e32 v4, 0x200, v0
	s_delay_alu instid0(VALU_DEP_1)
	v_cmp_gt_u32_e64 s1, s34, v4
	v_mov_b32_e32 v4, v1
	s_and_saveexec_b32 s2, s1
	s_cbranch_execz .LBB461_7
; %bb.6:
	flat_load_b32 v4, v0, s[30:31] offset:2048 scale_offset
.LBB461_7:
	;; [unrolled: 11-line block ×10, first 2 shown]
	s_wait_xcnt 0x0
	s_or_b32 exec_lo, exec_lo, s10
	v_or_b32_e32 v13, 0xb00, v0
	s_delay_alu instid0(VALU_DEP_1) | instskip(SKIP_2) | instid1(SALU_CYCLE_1)
	v_cmp_gt_u32_e64 s10, s34, v13
	v_cmp_le_u32_e64 s11, s34, v13
	s_and_saveexec_b32 s35, s11
	s_xor_b32 s11, exec_lo, s35
	s_delay_alu instid0(SALU_CYCLE_1)
	s_and_not1_saveexec_b32 s11, s11
	s_cbranch_execz .LBB461_25
; %bb.24:
	flat_load_b32 v1, v0, s[30:31] offset:11264 scale_offset
.LBB461_25:
	s_wait_xcnt 0x0
	s_or_b32 exec_lo, exec_lo, s11
	v_lshlrev_b32_e32 v14, 2, v0
	s_mov_b32 s35, exec_lo
	s_wait_loadcnt_dscnt 0x0
	ds_store_2addr_stride64_b32 v14, v2, v3 offset1:4
	ds_store_2addr_stride64_b32 v14, v4, v5 offset0:8 offset1:12
	ds_store_2addr_stride64_b32 v14, v6, v7 offset0:16 offset1:20
	;; [unrolled: 1-line block ×5, first 2 shown]
	v_mov_b32_e32 v1, 0
	s_wait_dscnt 0x0
	s_barrier_signal -1
	s_barrier_wait -1
	flat_load_b32 v38, v1, s[30:31]
	s_wait_xcnt 0x0
	v_mad_u32_u24 v1, v0, 44, v14
	ds_load_b128 v[10:13], v1
	ds_load_b128 v[6:9], v1 offset:16
	ds_load_b128 v[2:5], v1 offset:32
	v_mad_i32_i24 v15, 0xffffffd4, v0, v1
	s_wait_dscnt 0x2
	ds_store_b32 v15, v10 offset:13312
	s_wait_loadcnt_dscnt 0x0
	s_barrier_signal -1
	s_barrier_wait -1
	v_cmpx_ne_u32_e32 0xff, v0
; %bb.26:
	v_mul_i32_i24_e32 v15, 0xffffffd4, v0
	s_delay_alu instid0(VALU_DEP_1)
	v_add_nc_u32_e32 v15, v1, v15
	ds_load_b32 v38, v15 offset:13316
; %bb.27:
	s_or_b32 exec_lo, exec_lo, s35
	s_wait_dscnt 0x0
	s_barrier_signal -1
	s_barrier_wait -1
                                        ; implicit-def: $vgpr15
	s_and_saveexec_b32 s11, vcc_lo
	s_cbranch_execz .LBB461_102
; %bb.28:
	flat_load_b32 v15, v0, s[12:13] scale_offset
	s_wait_xcnt 0x0
	s_or_b32 exec_lo, exec_lo, s11
                                        ; implicit-def: $vgpr16
	s_and_saveexec_b32 s11, s0
	s_cbranch_execnz .LBB461_103
.LBB461_29:
	s_or_b32 exec_lo, exec_lo, s11
                                        ; implicit-def: $vgpr17
	s_and_saveexec_b32 s0, s1
	s_cbranch_execz .LBB461_104
.LBB461_30:
	flat_load_b32 v17, v0, s[12:13] offset:2048 scale_offset
	s_wait_xcnt 0x0
	s_or_b32 exec_lo, exec_lo, s0
                                        ; implicit-def: $vgpr18
	s_and_saveexec_b32 s0, s2
	s_cbranch_execnz .LBB461_105
.LBB461_31:
	s_or_b32 exec_lo, exec_lo, s0
                                        ; implicit-def: $vgpr19
	s_and_saveexec_b32 s0, s3
	s_cbranch_execz .LBB461_106
.LBB461_32:
	flat_load_b32 v19, v0, s[12:13] offset:4096 scale_offset
	s_wait_xcnt 0x0
	s_or_b32 exec_lo, exec_lo, s0
                                        ; implicit-def: $vgpr20
	s_and_saveexec_b32 s0, s4
	s_cbranch_execnz .LBB461_107
.LBB461_33:
	s_or_b32 exec_lo, exec_lo, s0
                                        ; implicit-def: $vgpr21
	s_and_saveexec_b32 s0, s5
	s_cbranch_execz .LBB461_108
.LBB461_34:
	flat_load_b32 v21, v0, s[12:13] offset:6144 scale_offset
	s_wait_xcnt 0x0
	s_or_b32 exec_lo, exec_lo, s0
                                        ; implicit-def: $vgpr22
	s_and_saveexec_b32 s0, s6
	s_cbranch_execnz .LBB461_109
.LBB461_35:
	s_or_b32 exec_lo, exec_lo, s0
                                        ; implicit-def: $vgpr23
	s_and_saveexec_b32 s0, s7
	s_cbranch_execz .LBB461_110
.LBB461_36:
	flat_load_b32 v23, v0, s[12:13] offset:8192 scale_offset
	s_wait_xcnt 0x0
	s_or_b32 exec_lo, exec_lo, s0
                                        ; implicit-def: $vgpr24
	s_and_saveexec_b32 s0, s8
	s_cbranch_execnz .LBB461_111
.LBB461_37:
	s_or_b32 exec_lo, exec_lo, s0
                                        ; implicit-def: $vgpr25
	s_and_saveexec_b32 s0, s9
	s_cbranch_execz .LBB461_39
.LBB461_38:
	flat_load_b32 v25, v0, s[12:13] offset:10240 scale_offset
.LBB461_39:
	s_wait_xcnt 0x0
	s_or_b32 exec_lo, exec_lo, s0
	v_mul_u32_u24_e32 v39, 12, v0
                                        ; implicit-def: $vgpr26
	s_and_saveexec_b32 s0, s10
	s_cbranch_execz .LBB461_41
; %bb.40:
	flat_load_b32 v26, v0, s[12:13] offset:11264 scale_offset
.LBB461_41:
	s_wait_xcnt 0x0
	s_or_b32 exec_lo, exec_lo, s0
	s_wait_loadcnt_dscnt 0x0
	ds_store_2addr_stride64_b32 v14, v15, v16 offset1:4
	ds_store_2addr_stride64_b32 v14, v17, v18 offset0:8 offset1:12
	ds_store_2addr_stride64_b32 v14, v19, v20 offset0:16 offset1:20
	;; [unrolled: 1-line block ×5, first 2 shown]
	v_mov_b64_e32 v[14:15], 0
	v_mov_b64_e32 v[42:43], 0
	;; [unrolled: 1-line block ×21, first 2 shown]
	s_mov_b32 s0, 0
	s_mov_b32 s3, 0
	s_mov_b32 s1, exec_lo
	s_wait_dscnt 0x0
	s_barrier_signal -1
	s_barrier_wait -1
                                        ; implicit-def: $sgpr2
                                        ; implicit-def: $vgpr60
	v_cmpx_gt_u32_e64 s34, v39
	s_cbranch_execz .LBB461_65
; %bb.42:
	ds_load_b32 v14, v1
	v_cmp_eq_u32_e32 vcc_lo, v10, v11
	v_or_b32_e32 v16, 1, v39
	v_mov_b64_e32 v[42:43], 0
	v_mov_b64_e32 v[40:41], 0
	;; [unrolled: 1-line block ×17, first 2 shown]
	s_wait_dscnt 0x0
	v_cndmask_b32_e32 v14, s33, v14, vcc_lo
	v_cmp_ne_u32_e32 vcc_lo, v10, v11
	v_mov_b64_e32 v[20:21], 0
	v_mov_b64_e32 v[18:19], 0
	s_mov_b32 s4, 0
	s_mov_b32 s3, exec_lo
	v_cndmask_b32_e64 v15, 0, 1, vcc_lo
                                        ; implicit-def: $sgpr2
                                        ; implicit-def: $vgpr60
	v_cmpx_gt_u32_e64 s34, v16
	s_cbranch_execz .LBB461_64
; %bb.43:
	ds_load_2addr_b32 v[16:17], v1 offset0:1 offset1:2
	v_cmp_eq_u32_e32 vcc_lo, v11, v12
	v_or_b32_e32 v10, 2, v39
	v_mov_b64_e32 v[40:41], 0
	v_mov_b64_e32 v[44:45], 0
	;; [unrolled: 1-line block ×17, first 2 shown]
	s_wait_dscnt 0x0
	v_cndmask_b32_e32 v42, s33, v16, vcc_lo
	v_cmp_ne_u32_e32 vcc_lo, v11, v12
	s_mov_b32 s5, 0
	s_mov_b32 s4, exec_lo
                                        ; implicit-def: $sgpr2
                                        ; implicit-def: $vgpr60
	v_cndmask_b32_e64 v43, 0, 1, vcc_lo
	v_cmpx_gt_u32_e64 s34, v10
	s_cbranch_execz .LBB461_63
; %bb.44:
	v_cmp_eq_u32_e32 vcc_lo, v12, v13
	v_mov_b64_e32 v[44:45], 0
	v_mov_b64_e32 v[46:47], 0
	;; [unrolled: 1-line block ×4, first 2 shown]
	v_dual_cndmask_b32 v40, s33, v17, vcc_lo :: v_dual_bitop2_b32 v10, 3, v39 bitop3:0x54
	v_cmp_ne_u32_e32 vcc_lo, v12, v13
	v_mov_b64_e32 v[52:53], 0
	v_mov_b64_e32 v[54:55], 0
	;; [unrolled: 1-line block ×11, first 2 shown]
	v_cndmask_b32_e64 v41, 0, 1, vcc_lo
	s_mov_b32 s6, 0
	s_mov_b32 s5, exec_lo
                                        ; implicit-def: $sgpr2
                                        ; implicit-def: $vgpr60
	v_cmpx_gt_u32_e64 s34, v10
	s_cbranch_execz .LBB461_62
; %bb.45:
	ds_load_2addr_b32 v[10:11], v1 offset0:3 offset1:4
	v_cmp_ne_u32_e32 vcc_lo, v13, v6
	v_mov_b64_e32 v[46:47], 0
	v_mov_b64_e32 v[48:49], 0
	;; [unrolled: 1-line block ×4, first 2 shown]
	v_cndmask_b32_e64 v45, 0, 1, vcc_lo
	v_cmp_eq_u32_e32 vcc_lo, v13, v6
	v_mov_b64_e32 v[54:55], 0
	v_mov_b64_e32 v[56:57], 0
	;; [unrolled: 1-line block ×9, first 2 shown]
	v_add_nc_u32_e32 v12, 4, v39
	s_mov_b32 s7, 0
	s_mov_b32 s6, exec_lo
	s_wait_dscnt 0x0
	v_cndmask_b32_e32 v44, s33, v10, vcc_lo
                                        ; implicit-def: $sgpr2
                                        ; implicit-def: $vgpr60
	v_cmpx_gt_u32_e64 s34, v12
	s_cbranch_execz .LBB461_61
; %bb.46:
	v_cmp_eq_u32_e32 vcc_lo, v6, v7
	v_mov_b64_e32 v[48:49], 0
	v_mov_b64_e32 v[50:51], 0
	;; [unrolled: 1-line block ×4, first 2 shown]
	v_cndmask_b32_e32 v46, s33, v11, vcc_lo
	v_cmp_ne_u32_e32 vcc_lo, v6, v7
	v_mov_b64_e32 v[56:57], 0
	v_mov_b64_e32 v[58:59], 0
	v_mov_b64_e32 v[26:27], 0
	v_mov_b64_e32 v[24:25], 0
	v_mov_b64_e32 v[22:23], 0
	v_mov_b64_e32 v[20:21], 0
	v_mov_b64_e32 v[18:19], 0
	v_add_nc_u32_e32 v10, 5, v39
	v_cndmask_b32_e64 v47, 0, 1, vcc_lo
	s_mov_b32 s8, 0
	s_mov_b32 s7, exec_lo
                                        ; implicit-def: $sgpr2
                                        ; implicit-def: $vgpr60
	s_delay_alu instid0(VALU_DEP_2)
	v_cmpx_gt_u32_e64 s34, v10
	s_cbranch_execz .LBB461_60
; %bb.47:
	ds_load_2addr_b32 v[10:11], v1 offset0:5 offset1:6
	v_cmp_ne_u32_e32 vcc_lo, v7, v8
	v_mov_b64_e32 v[50:51], 0
	v_mov_b64_e32 v[52:53], 0
	;; [unrolled: 1-line block ×4, first 2 shown]
	v_cndmask_b32_e64 v49, 0, 1, vcc_lo
	v_cmp_eq_u32_e32 vcc_lo, v7, v8
	v_mov_b64_e32 v[58:59], 0
	v_mov_b64_e32 v[24:25], 0
	;; [unrolled: 1-line block ×5, first 2 shown]
	v_add_nc_u32_e32 v6, 6, v39
	s_mov_b32 s9, 0
	s_mov_b32 s8, exec_lo
                                        ; implicit-def: $sgpr2
                                        ; implicit-def: $vgpr60
	s_wait_dscnt 0x0
	v_cndmask_b32_e32 v48, s33, v10, vcc_lo
	v_cmpx_gt_u32_e64 s34, v6
	s_cbranch_execz .LBB461_59
; %bb.48:
	v_cmp_eq_u32_e32 vcc_lo, v8, v9
	v_mov_b64_e32 v[52:53], 0
	v_mov_b64_e32 v[54:55], 0
	v_mov_b64_e32 v[56:57], 0
	v_mov_b64_e32 v[58:59], 0
	v_cndmask_b32_e32 v50, s33, v11, vcc_lo
	v_cmp_ne_u32_e32 vcc_lo, v8, v9
	v_mov_b64_e32 v[22:23], 0
	v_mov_b64_e32 v[20:21], 0
	;; [unrolled: 1-line block ×3, first 2 shown]
	v_add_nc_u32_e32 v6, 7, v39
	v_cndmask_b32_e64 v51, 0, 1, vcc_lo
	s_mov_b32 s10, 0
	s_mov_b32 s9, exec_lo
                                        ; implicit-def: $sgpr2
                                        ; implicit-def: $vgpr60
	s_delay_alu instid0(VALU_DEP_2)
	v_cmpx_gt_u32_e64 s34, v6
	s_cbranch_execz .LBB461_58
; %bb.49:
	ds_load_2addr_b32 v[6:7], v1 offset0:7 offset1:8
	v_cmp_ne_u32_e32 vcc_lo, v9, v2
	v_mov_b64_e32 v[54:55], 0
	v_mov_b64_e32 v[56:57], 0
	;; [unrolled: 1-line block ×4, first 2 shown]
	v_cndmask_b32_e64 v53, 0, 1, vcc_lo
	v_cmp_eq_u32_e32 vcc_lo, v9, v2
	v_mov_b64_e32 v[18:19], 0
	v_add_nc_u32_e32 v8, 8, v39
	s_mov_b32 s11, 0
	s_mov_b32 s10, exec_lo
                                        ; implicit-def: $sgpr2
                                        ; implicit-def: $vgpr60
	s_wait_dscnt 0x0
	v_cndmask_b32_e32 v52, s33, v6, vcc_lo
	v_cmpx_gt_u32_e64 s34, v8
	s_cbranch_execz .LBB461_57
; %bb.50:
	v_cmp_eq_u32_e32 vcc_lo, v2, v3
	v_mov_b64_e32 v[56:57], 0
	v_mov_b64_e32 v[58:59], 0
	;; [unrolled: 1-line block ×3, first 2 shown]
	v_add_nc_u32_e32 v6, 9, v39
	v_cndmask_b32_e32 v54, s33, v7, vcc_lo
	v_cmp_ne_u32_e32 vcc_lo, v2, v3
	s_mov_b32 s35, 0
	s_mov_b32 s11, exec_lo
                                        ; implicit-def: $sgpr2
                                        ; implicit-def: $vgpr60
	v_cndmask_b32_e64 v55, 0, 1, vcc_lo
	v_cmpx_gt_u32_e64 s34, v6
	s_cbranch_execz .LBB461_56
; %bb.51:
	ds_load_2addr_b32 v[6:7], v1 offset0:9 offset1:10
	v_cmp_ne_u32_e32 vcc_lo, v3, v4
	v_mov_b64_e32 v[58:59], 0
	s_mov_b32 s36, 0
	s_mov_b32 s35, exec_lo
                                        ; implicit-def: $sgpr2
                                        ; implicit-def: $vgpr60
	v_cndmask_b32_e64 v57, 0, 1, vcc_lo
	v_cmp_eq_u32_e32 vcc_lo, v3, v4
	s_wait_dscnt 0x0
	v_dual_add_nc_u32 v2, 10, v39 :: v_dual_cndmask_b32 v56, s33, v6, vcc_lo
	s_delay_alu instid0(VALU_DEP_1)
	v_cmpx_gt_u32_e64 s34, v2
	s_cbranch_execz .LBB461_55
; %bb.52:
	v_cmp_eq_u32_e32 vcc_lo, v4, v5
	v_add_nc_u32_e32 v2, 11, v39
                                        ; implicit-def: $sgpr2
                                        ; implicit-def: $vgpr60
	v_cndmask_b32_e32 v58, s33, v7, vcc_lo
	v_cmp_ne_u32_e32 vcc_lo, v4, v5
	v_cndmask_b32_e64 v59, 0, 1, vcc_lo
	s_delay_alu instid0(VALU_DEP_4) | instskip(SKIP_2) | instid1(SALU_CYCLE_1)
	v_cmp_gt_u32_e32 vcc_lo, s34, v2
	s_mov_b32 s34, 0
	s_and_saveexec_b32 s36, vcc_lo
	s_xor_b32 s36, exec_lo, s36
	s_cbranch_execz .LBB461_54
; %bb.53:
	ds_load_b32 v1, v1 offset:44
	v_cmp_ne_u32_e64 s2, v5, v38
	s_mov_b32 s34, exec_lo
	s_wait_dscnt 0x0
	v_cndmask_b32_e64 v60, v1, s33, s2
.LBB461_54:
	s_or_b32 exec_lo, exec_lo, s36
	s_delay_alu instid0(SALU_CYCLE_1)
	s_and_b32 s36, s34, exec_lo
.LBB461_55:
	s_or_b32 exec_lo, exec_lo, s35
	v_mov_b64_e32 v[18:19], v[58:59]
	s_and_b32 s35, s36, exec_lo
.LBB461_56:
	s_or_b32 exec_lo, exec_lo, s11
	v_mov_b64_e32 v[20:21], v[56:57]
	s_and_b32 s11, s35, exec_lo
.LBB461_57:
	s_or_b32 exec_lo, exec_lo, s10
	v_mov_b64_e32 v[22:23], v[54:55]
	s_and_b32 s10, s11, exec_lo
.LBB461_58:
	s_or_b32 exec_lo, exec_lo, s9
	v_mov_b64_e32 v[24:25], v[52:53]
	s_and_b32 s9, s10, exec_lo
.LBB461_59:
	s_or_b32 exec_lo, exec_lo, s8
	v_mov_b64_e32 v[26:27], v[50:51]
	s_and_b32 s8, s9, exec_lo
.LBB461_60:
	s_or_b32 exec_lo, exec_lo, s7
	v_mov_b64_e32 v[28:29], v[48:49]
	s_and_b32 s7, s8, exec_lo
.LBB461_61:
	s_or_b32 exec_lo, exec_lo, s6
	v_mov_b64_e32 v[30:31], v[46:47]
	s_and_b32 s6, s7, exec_lo
.LBB461_62:
	s_or_b32 exec_lo, exec_lo, s5
	v_mov_b64_e32 v[32:33], v[44:45]
	s_and_b32 s5, s6, exec_lo
.LBB461_63:
	s_or_b32 exec_lo, exec_lo, s4
	v_mov_b64_e32 v[34:35], v[40:41]
	s_and_b32 s4, s5, exec_lo
.LBB461_64:
	s_or_b32 exec_lo, exec_lo, s3
	v_mov_b64_e32 v[36:37], v[42:43]
	s_and_b32 s3, s4, exec_lo
.LBB461_65:
	s_or_b32 exec_lo, exec_lo, s1
	v_lshlrev_b32_e32 v16, 2, v0
	s_and_b32 vcc_lo, exec_lo, s0
	s_cbranch_vccnz .LBB461_67
	s_branch .LBB461_72
.LBB461_66:
                                        ; implicit-def: $sgpr2
                                        ; implicit-def: $vgpr60
                                        ; implicit-def: $vgpr14_vgpr15
                                        ; implicit-def: $vgpr42_vgpr43
                                        ; implicit-def: $vgpr40_vgpr41
                                        ; implicit-def: $vgpr44_vgpr45
                                        ; implicit-def: $vgpr46_vgpr47
                                        ; implicit-def: $vgpr48_vgpr49
                                        ; implicit-def: $vgpr50_vgpr51
                                        ; implicit-def: $vgpr52_vgpr53
                                        ; implicit-def: $vgpr54_vgpr55
                                        ; implicit-def: $vgpr56_vgpr57
                                        ; implicit-def: $vgpr58_vgpr59
                                        ; implicit-def: $vgpr36_vgpr37
                                        ; implicit-def: $vgpr34_vgpr35
                                        ; implicit-def: $vgpr32_vgpr33
                                        ; implicit-def: $vgpr30_vgpr31
                                        ; implicit-def: $vgpr28_vgpr29
                                        ; implicit-def: $vgpr26_vgpr27
                                        ; implicit-def: $vgpr24_vgpr25
                                        ; implicit-def: $vgpr22_vgpr23
                                        ; implicit-def: $vgpr20_vgpr21
                                        ; implicit-def: $vgpr18_vgpr19
	v_lshlrev_b32_e32 v16, 2, v0
	s_cbranch_execz .LBB461_72
.LBB461_67:
	s_clause 0xb
	flat_load_b32 v1, v0, s[30:31] scale_offset
	flat_load_b32 v2, v0, s[30:31] offset:1024 scale_offset
	flat_load_b32 v3, v0, s[30:31] offset:2048 scale_offset
	flat_load_b32 v4, v0, s[30:31] offset:3072 scale_offset
	flat_load_b32 v5, v0, s[30:31] offset:4096 scale_offset
	flat_load_b32 v6, v0, s[30:31] offset:5120 scale_offset
	flat_load_b32 v7, v0, s[30:31] offset:6144 scale_offset
	flat_load_b32 v8, v0, s[30:31] offset:7168 scale_offset
	flat_load_b32 v9, v0, s[30:31] offset:8192 scale_offset
	flat_load_b32 v10, v0, s[30:31] offset:9216 scale_offset
	flat_load_b32 v11, v0, s[30:31] offset:10240 scale_offset
	flat_load_b32 v12, v0, s[30:31] offset:11264 scale_offset
	v_mov_b32_e32 v13, 0
	v_mad_u32_u24 v28, v0, 44, v16
	s_mov_b32 s0, exec_lo
	s_wait_loadcnt_dscnt 0xa0a
	ds_store_2addr_stride64_b32 v16, v1, v2 offset1:4
	s_wait_loadcnt_dscnt 0x809
	ds_store_2addr_stride64_b32 v16, v3, v4 offset0:8 offset1:12
	s_wait_loadcnt_dscnt 0x608
	ds_store_2addr_stride64_b32 v16, v5, v6 offset0:16 offset1:20
	;; [unrolled: 2-line block ×5, first 2 shown]
	s_wait_dscnt 0x0
	s_barrier_signal -1
	s_barrier_wait -1
	flat_load_b32 v1, v13, s[30:31] offset:12288
	s_wait_xcnt 0x0
	ds_load_b128 v[10:13], v28
	ds_load_b128 v[6:9], v28 offset:16
	ds_load_b128 v[2:5], v28 offset:32
	v_mad_i32_i24 v14, 0xffffffd4, v0, v28
	s_wait_dscnt 0x2
	ds_store_b32 v14, v10 offset:13312
	s_wait_loadcnt_dscnt 0x0
	s_barrier_signal -1
	s_barrier_wait -1
	v_cmpx_ne_u32_e32 0xff, v0
; %bb.68:
	v_mul_i32_i24_e32 v1, 0xffffffd4, v0
	s_delay_alu instid0(VALU_DEP_1)
	v_add_nc_u32_e32 v1, v28, v1
	ds_load_b32 v1, v1 offset:13316
; %bb.69:
	s_or_b32 exec_lo, exec_lo, s0
	s_wait_dscnt 0x0
	s_barrier_signal -1
	s_barrier_wait -1
	s_clause 0xb
	flat_load_b32 v14, v0, s[12:13] scale_offset
	flat_load_b32 v15, v0, s[12:13] offset:1024 scale_offset
	flat_load_b32 v17, v0, s[12:13] offset:2048 scale_offset
	;; [unrolled: 1-line block ×11, first 2 shown]
	v_cmp_eq_u32_e32 vcc_lo, v10, v11
	v_mov_b32_e32 v10, s33
	s_wait_loadcnt_dscnt 0xa0a
	ds_store_2addr_stride64_b32 v16, v14, v15 offset1:4
	s_wait_loadcnt_dscnt 0x809
	ds_store_2addr_stride64_b32 v16, v17, v18 offset0:8 offset1:12
	s_wait_loadcnt_dscnt 0x608
	ds_store_2addr_stride64_b32 v16, v19, v20 offset0:16 offset1:20
	;; [unrolled: 2-line block ×5, first 2 shown]
	s_wait_dscnt 0x0
	s_barrier_signal -1
	s_barrier_wait -1
	ds_load_2addr_b32 v[26:27], v28 offset0:1 offset1:2
	ds_load_2addr_b32 v[24:25], v28 offset0:3 offset1:4
	;; [unrolled: 1-line block ×5, first 2 shown]
	ds_load_b32 v17, v28 offset:44
	v_mov_b64_e32 v[14:15], 0x100000000
	s_and_saveexec_b32 s0, vcc_lo
; %bb.70:
	ds_load_b32 v10, v28
	v_mov_b64_e32 v[14:15], 0
; %bb.71:
	s_or_b32 exec_lo, exec_lo, s0
	v_cmp_eq_u32_e32 vcc_lo, v11, v12
	v_cmp_ne_u32_e64 s2, v5, v1
	s_mov_b32 s3, -1
	s_wait_dscnt 0x5
	v_cndmask_b32_e32 v42, s33, v26, vcc_lo
	v_cmp_ne_u32_e32 vcc_lo, v11, v12
	s_wait_dscnt 0x0
	v_cndmask_b32_e64 v60, v17, s33, s2
	v_cndmask_b32_e64 v43, 0, 1, vcc_lo
	v_cmp_eq_u32_e32 vcc_lo, v12, v13
	v_or_b32_e32 v14, v14, v10
	s_delay_alu instid0(VALU_DEP_3) | instskip(SKIP_4) | instid1(VALU_DEP_2)
	v_mov_b64_e32 v[36:37], v[42:43]
	v_cndmask_b32_e32 v40, s33, v27, vcc_lo
	v_cmp_ne_u32_e32 vcc_lo, v12, v13
	v_cndmask_b32_e64 v41, 0, 1, vcc_lo
	v_cmp_eq_u32_e32 vcc_lo, v13, v6
	v_mov_b64_e32 v[34:35], v[40:41]
	v_cndmask_b32_e32 v44, s33, v24, vcc_lo
	v_cmp_ne_u32_e32 vcc_lo, v13, v6
	v_cndmask_b32_e64 v45, 0, 1, vcc_lo
	v_cmp_eq_u32_e32 vcc_lo, v6, v7
	s_delay_alu instid0(VALU_DEP_2) | instskip(SKIP_4) | instid1(VALU_DEP_2)
	v_mov_b64_e32 v[32:33], v[44:45]
	v_cndmask_b32_e32 v46, s33, v25, vcc_lo
	v_cmp_ne_u32_e32 vcc_lo, v6, v7
	v_cndmask_b32_e64 v47, 0, 1, vcc_lo
	v_cmp_eq_u32_e32 vcc_lo, v7, v8
	v_mov_b64_e32 v[30:31], v[46:47]
	v_cndmask_b32_e32 v48, s33, v22, vcc_lo
	v_cmp_ne_u32_e32 vcc_lo, v7, v8
	v_cndmask_b32_e64 v49, 0, 1, vcc_lo
	v_cmp_eq_u32_e32 vcc_lo, v8, v9
	s_delay_alu instid0(VALU_DEP_2) | instskip(SKIP_4) | instid1(VALU_DEP_2)
	;; [unrolled: 11-line block ×3, first 2 shown]
	v_mov_b64_e32 v[24:25], v[52:53]
	v_cndmask_b32_e32 v54, s33, v21, vcc_lo
	v_cmp_ne_u32_e32 vcc_lo, v2, v3
	v_cndmask_b32_e64 v55, 0, 1, vcc_lo
	v_cmp_eq_u32_e32 vcc_lo, v3, v4
	v_mov_b64_e32 v[22:23], v[54:55]
	v_cndmask_b32_e32 v56, s33, v18, vcc_lo
	v_cmp_ne_u32_e32 vcc_lo, v3, v4
	v_cndmask_b32_e64 v57, 0, 1, vcc_lo
	v_cmp_eq_u32_e32 vcc_lo, v4, v5
	s_delay_alu instid0(VALU_DEP_2) | instskip(SKIP_3) | instid1(VALU_DEP_1)
	v_mov_b64_e32 v[20:21], v[56:57]
	v_cndmask_b32_e32 v58, s33, v19, vcc_lo
	v_cmp_ne_u32_e32 vcc_lo, v4, v5
	v_cndmask_b32_e64 v59, 0, 1, vcc_lo
	v_mov_b64_e32 v[18:19], v[58:59]
.LBB461_72:
	v_mov_b64_e32 v[38:39], 0
	s_and_saveexec_b32 s0, s3
	s_cbranch_execz .LBB461_74
; %bb.73:
	v_cndmask_b32_e64 v61, 0, 1, s2
	v_mov_b64_e32 v[18:19], v[58:59]
	v_mov_b64_e32 v[20:21], v[56:57]
	;; [unrolled: 1-line block ×11, first 2 shown]
.LBB461_74:
	s_or_b32 exec_lo, exec_lo, s0
	v_dual_lshrrev_b32 v1, 2, v0 :: v_dual_bitop2_b32 v40, v25, v23 bitop3:0x54
	s_delay_alu instid0(VALU_DEP_3)
	v_or_b32_e32 v17, v21, v19
	s_cmp_lg_u32 s28, 0
	v_cmp_gt_u32_e32 vcc_lo, 32, v0
	s_barrier_signal -1
	s_barrier_wait -1
	s_cbranch_scc0 .LBB461_112
; %bb.75:
	s_mov_b64 s[10:11], 0x100000000
	v_or3_b32 v3, v40, v27, v29
	v_cmp_gt_u64_e64 s0, s[10:11], v[36:37]
	v_cmp_gt_u64_e64 s1, s[10:11], v[34:35]
	;; [unrolled: 1-line block ×7, first 2 shown]
	v_dual_cndmask_b32 v2, 0, v14, s0 :: v_dual_bitop2_b32 v5, 56, v1 bitop3:0x40
	v_cmp_gt_u64_e64 s7, s[10:11], v[22:23]
	v_cmp_gt_u64_e64 s8, s[10:11], v[20:21]
	;; [unrolled: 1-line block ×3, first 2 shown]
	s_delay_alu instid0(VALU_DEP_4) | instskip(SKIP_3) | instid1(VALU_DEP_4)
	v_add_nc_u32_e32 v2, v2, v36
	v_cmp_gt_u64_e64 s10, s[10:11], v[38:39]
	v_or3_b32 v3, v3, v31, v33
	v_lshl_add_u32 v5, v0, 3, v5
	v_cndmask_b32_e64 v2, 0, v2, s1
	s_delay_alu instid0(VALU_DEP_3) | instskip(NEXT) | instid1(VALU_DEP_2)
	v_or3_b32 v3, v3, v35, v37
	v_add_nc_u32_e32 v2, v2, v34
	s_delay_alu instid0(VALU_DEP_2) | instskip(NEXT) | instid1(VALU_DEP_2)
	v_or3_b32 v3, v39, v17, v3
	v_cndmask_b32_e64 v2, 0, v2, s2
	s_delay_alu instid0(VALU_DEP_2) | instskip(NEXT) | instid1(VALU_DEP_2)
	v_and_b32_e32 v3, 0xff, v3
	v_add_nc_u32_e32 v2, v2, v32
	s_delay_alu instid0(VALU_DEP_1) | instskip(NEXT) | instid1(VALU_DEP_1)
	v_cndmask_b32_e64 v2, 0, v2, s3
	v_add_nc_u32_e32 v2, v2, v30
	s_delay_alu instid0(VALU_DEP_1) | instskip(NEXT) | instid1(VALU_DEP_1)
	v_cndmask_b32_e64 v2, 0, v2, s4
	;; [unrolled: 3-line block ×7, first 2 shown]
	v_dual_add_nc_u32 v4, v2, v18 :: v_dual_mov_b32 v2, 0
	s_delay_alu instid0(VALU_DEP_1) | instskip(NEXT) | instid1(VALU_DEP_2)
	v_cndmask_b32_e64 v4, 0, v4, s10
	v_cmp_eq_u64_e64 s10, 0, v[2:3]
	s_delay_alu instid0(VALU_DEP_1)
	v_dual_add_nc_u32 v12, v4, v38 :: v_dual_cndmask_b32 v13, 1, v15, s10
	ds_store_b32 v5, v12
	ds_store_b8 v5, v13 offset:4
	s_wait_dscnt 0x0
	s_barrier_signal -1
	s_barrier_wait -1
	s_and_saveexec_b32 s11, vcc_lo
	s_cbranch_execz .LBB461_85
; %bb.76:
	v_dual_lshlrev_b32 v2, 1, v0 :: v_dual_lshlrev_b32 v3, 6, v0
	s_mov_b32 s12, exec_lo
	s_delay_alu instid0(VALU_DEP_1) | instskip(NEXT) | instid1(VALU_DEP_1)
	v_and_b32_e32 v2, 0x1f8, v2
	v_add_nc_u32_e32 v4, v2, v3
	ds_load_u8 v5, v4 offset:12
	ds_load_b64 v[2:3], v4
	ds_load_2addr_b32 v[6:7], v4 offset0:2 offset1:4
	ds_load_u8 v10, v4 offset:20
	ds_load_u8 v11, v4 offset:28
	;; [unrolled: 1-line block ×5, first 2 shown]
	ds_load_b32 v44, v4 offset:56
	s_wait_dscnt 0x8
	v_cmp_eq_u16_e64 s10, 0, v5
	s_wait_dscnt 0x5
	s_delay_alu instid0(VALU_DEP_1)
	v_dual_cndmask_b32 v45, 0, v2, s10 :: v_dual_bitop2_b32 v5, v10, v5 bitop3:0x54
	ds_load_2addr_b32 v[8:9], v4 offset0:6 offset1:8
	v_cmp_eq_u16_e64 s10, 0, v10
	s_wait_dscnt 0x4
	v_bitop3_b16 v5, v5, v41, v11 bitop3:0xfe
	v_add_nc_u32_e32 v6, v45, v6
	s_delay_alu instid0(VALU_DEP_1) | instskip(SKIP_1) | instid1(VALU_DEP_2)
	v_cndmask_b32_e64 v6, 0, v6, s10
	v_cmp_eq_u16_e64 s10, 0, v11
	v_add_nc_u32_e32 v6, v6, v7
	s_delay_alu instid0(VALU_DEP_1)
	v_cndmask_b32_e64 v45, 0, v6, s10
	ds_load_2addr_b32 v[6:7], v4 offset0:10 offset1:12
	v_cmp_eq_u16_e64 s10, 0, v41
	s_wait_dscnt 0x1
	v_add_nc_u32_e32 v8, v45, v8
	ds_load_u8 v45, v4 offset:60
	v_cndmask_b32_e64 v8, 0, v8, s10
	v_cmp_eq_u16_e64 s10, 0, v42
	s_delay_alu instid0(VALU_DEP_2) | instskip(SKIP_1) | instid1(VALU_DEP_2)
	v_add_nc_u32_e32 v8, v8, v9
	v_bitop3_b16 v9, v5, v43, v42 bitop3:0xfe
	v_dual_cndmask_b32 v8, 0, v8, s10 :: v_dual_bitop2_b32 v5, 1, v3 bitop3:0x40
	s_delay_alu instid0(VALU_DEP_2) | instskip(SKIP_1) | instid1(VALU_DEP_2)
	v_cmp_eq_u16_e64 s10, 0, v9
	s_wait_dscnt 0x0
	v_dual_add_nc_u32 v6, v8, v6 :: v_dual_bitop2_b32 v8, 1, v45 bitop3:0x40
	s_delay_alu instid0(VALU_DEP_2) | instskip(SKIP_1) | instid1(VALU_DEP_1)
	v_cndmask_b32_e64 v9, 1, v5, s10
	v_cmp_eq_u16_e64 s10, 0, v43
	v_cndmask_b32_e64 v6, 0, v6, s10
	s_delay_alu instid0(VALU_DEP_4) | instskip(SKIP_1) | instid1(VALU_DEP_2)
	v_cmp_eq_u32_e64 s10, 1, v8
	v_mbcnt_lo_u32_b32 v8, -1, 0
	v_cndmask_b32_e64 v9, v9, 1, s10
	v_cmp_eq_u16_e64 s10, 0, v45
	s_delay_alu instid0(VALU_DEP_2) | instskip(SKIP_2) | instid1(VALU_DEP_1)
	v_and_b32_e32 v10, 0xffff, v9
	v_add_nc_u32_e32 v7, v6, v7
	v_and_b32_e32 v6, 0xffffff00, v3
	v_dual_cndmask_b32 v7, 0, v7, s10 :: v_dual_bitop2_b32 v11, v6, v10 bitop3:0x54
	v_and_b32_e32 v10, 15, v8
	s_delay_alu instid0(VALU_DEP_2) | instskip(NEXT) | instid1(VALU_DEP_3)
	v_mov_b32_dpp v42, v11 row_shr:1 row_mask:0xf bank_mask:0xf
	v_add_nc_u32_e32 v7, v7, v44
	s_delay_alu instid0(VALU_DEP_1) | instskip(NEXT) | instid1(VALU_DEP_4)
	v_mov_b32_dpp v41, v7 row_shr:1 row_mask:0xf bank_mask:0xf
	v_cmpx_ne_u32_e32 0, v10
	s_cbranch_execz .LBB461_78
; %bb.77:
	v_and_b32_e32 v11, 1, v9
	v_and_b32_e32 v42, 1, v42
	s_delay_alu instid0(VALU_DEP_2) | instskip(NEXT) | instid1(VALU_DEP_1)
	v_cmp_eq_u32_e64 s10, 1, v11
	v_cndmask_b32_e64 v42, v42, 1, s10
	v_cmp_eq_u16_e64 s10, 0, v9
	s_delay_alu instid0(VALU_DEP_2) | instskip(NEXT) | instid1(VALU_DEP_1)
	v_and_b32_e32 v11, 0xffff, v42
	v_dual_cndmask_b32 v9, 0, v41, s10 :: v_dual_bitop2_b32 v11, v6, v11 bitop3:0x54
	s_delay_alu instid0(VALU_DEP_1)
	v_dual_add_nc_u32 v7, v9, v7 :: v_dual_mov_b32 v9, v42
.LBB461_78:
	s_or_b32 exec_lo, exec_lo, s12
	s_delay_alu instid0(VALU_DEP_1) | instskip(NEXT) | instid1(VALU_DEP_3)
	v_mov_b32_dpp v41, v7 row_shr:2 row_mask:0xf bank_mask:0xf
	v_mov_b32_dpp v42, v11 row_shr:2 row_mask:0xf bank_mask:0xf
	s_mov_b32 s12, exec_lo
	v_cmpx_lt_u32_e32 1, v10
	s_cbranch_execz .LBB461_80
; %bb.79:
	v_and_b32_e32 v11, 1, v9
	v_and_b32_e32 v42, 1, v42
	s_delay_alu instid0(VALU_DEP_2) | instskip(NEXT) | instid1(VALU_DEP_1)
	v_cmp_eq_u32_e64 s10, 1, v11
	v_cndmask_b32_e64 v42, v42, 1, s10
	v_cmp_eq_u16_e64 s10, 0, v9
	s_delay_alu instid0(VALU_DEP_2) | instskip(NEXT) | instid1(VALU_DEP_1)
	v_and_b32_e32 v11, 0xffff, v42
	v_dual_cndmask_b32 v9, 0, v41, s10 :: v_dual_bitop2_b32 v11, v6, v11 bitop3:0x54
	s_delay_alu instid0(VALU_DEP_1)
	v_dual_add_nc_u32 v7, v9, v7 :: v_dual_mov_b32 v9, v42
.LBB461_80:
	s_or_b32 exec_lo, exec_lo, s12
	s_delay_alu instid0(VALU_DEP_1) | instskip(NEXT) | instid1(VALU_DEP_3)
	v_mov_b32_dpp v41, v7 row_shr:4 row_mask:0xf bank_mask:0xf
	v_mov_b32_dpp v42, v11 row_shr:4 row_mask:0xf bank_mask:0xf
	s_mov_b32 s12, exec_lo
	v_cmpx_lt_u32_e32 3, v10
	;; [unrolled: 20-line block ×3, first 2 shown]
	s_cbranch_execz .LBB461_84
; %bb.83:
	v_and_b32_e32 v10, 1, v9
	v_and_b32_e32 v11, 1, v42
	s_delay_alu instid0(VALU_DEP_2) | instskip(NEXT) | instid1(VALU_DEP_1)
	v_cmp_eq_u32_e64 s10, 1, v10
	v_cndmask_b32_e64 v10, v11, 1, s10
	v_cmp_eq_u16_e64 s10, 0, v9
	s_delay_alu instid0(VALU_DEP_2) | instskip(NEXT) | instid1(VALU_DEP_1)
	v_and_b32_e32 v11, 0xffff, v10
	v_dual_cndmask_b32 v9, 0, v41, s10 :: v_dual_bitop2_b32 v11, v6, v11 bitop3:0x54
	s_delay_alu instid0(VALU_DEP_1)
	v_dual_add_nc_u32 v7, v9, v7 :: v_dual_mov_b32 v9, v10
.LBB461_84:
	s_or_b32 exec_lo, exec_lo, s12
	ds_swizzle_b32 v10, v11 offset:swizzle(BROADCAST,32,15)
	ds_swizzle_b32 v11, v7 offset:swizzle(BROADCAST,32,15)
	v_and_b32_e32 v41, 1, v9
	v_bfe_i32 v43, v8, 4, 1
	v_and_b32_e32 v3, 0xff, v3
	; wave barrier
	s_delay_alu instid0(VALU_DEP_3) | instskip(SKIP_2) | instid1(VALU_DEP_1)
	v_cmp_eq_u32_e64 s10, 1, v41
	s_wait_dscnt 0x1
	v_dual_add_nc_u32 v41, -1, v8 :: v_dual_bitop2_b32 v10, 1, v10 bitop3:0x40
	v_cndmask_b32_e64 v10, v10, 1, s10
	v_and_b32_e32 v42, 16, v8
	v_cmp_eq_u16_e64 s10, 0, v9
	s_wait_dscnt 0x0
	s_delay_alu instid0(VALU_DEP_1) | instskip(NEXT) | instid1(VALU_DEP_3)
	v_cndmask_b32_e64 v11, 0, v11, s10
	v_cmp_eq_u32_e64 s10, 0, v42
	s_delay_alu instid0(VALU_DEP_1) | instskip(SKIP_1) | instid1(VALU_DEP_4)
	v_cndmask_b32_e64 v9, v10, v9, s10
	v_cmp_gt_i32_e64 s10, 0, v41
	v_and_b32_e32 v10, v43, v11
	s_delay_alu instid0(VALU_DEP_3) | instskip(NEXT) | instid1(VALU_DEP_2)
	v_and_b32_e32 v9, 0xffff, v9
	v_dual_cndmask_b32 v8, v41, v8, s10 :: v_dual_add_nc_u32 v7, v10, v7
	v_cmp_eq_u16_e64 s10, 0, v3
	s_delay_alu instid0(VALU_DEP_2)
	v_lshlrev_b32_e32 v8, 2, v8
	ds_bpermute_b32 v7, v8, v7
	s_wait_dscnt 0x0
	v_dual_cndmask_b32 v3, 0, v7, s10 :: v_dual_bitop2_b32 v6, v6, v9 bitop3:0x54
	ds_bpermute_b32 v6, v8, v6
	v_cmp_eq_u32_e64 s10, 1, v5
	v_add_nc_u32_e32 v2, v3, v2
	s_wait_dscnt 0x0
	v_and_b32_e32 v6, 1, v6
	s_delay_alu instid0(VALU_DEP_1) | instskip(SKIP_1) | instid1(VALU_DEP_1)
	v_cndmask_b32_e64 v3, v6, 1, s10
	v_cmp_eq_u32_e64 s10, 0, v0
	v_dual_cndmask_b32 v8, v3, v13, s10 :: v_dual_cndmask_b32 v5, v2, v12, s10
	ds_store_b32 v4, v5
	ds_store_b8 v4, v8 offset:4
	; wave barrier
	ds_load_u8 v9, v4 offset:12
	ds_load_2addr_b32 v[2:3], v4 offset0:2 offset1:4
	ds_load_u8 v10, v4 offset:20
	ds_load_u8 v11, v4 offset:28
	;; [unrolled: 1-line block ×5, first 2 shown]
	ds_load_b32 v44, v4 offset:56
	ds_load_u8 v45, v4 offset:60
	ds_load_2addr_b32 v[6:7], v4 offset0:6 offset1:8
	s_wait_dscnt 0x9
	v_cmp_eq_u16_e64 s10, 0, v9
	v_and_b32_e32 v9, 1, v9
	s_delay_alu instid0(VALU_DEP_2) | instskip(SKIP_2) | instid1(VALU_DEP_2)
	v_cndmask_b32_e64 v5, 0, v5, s10
	s_wait_dscnt 0x7
	v_cmp_eq_u16_e64 s10, 0, v10
	v_add_nc_u32_e32 v5, v5, v2
	s_delay_alu instid0(VALU_DEP_1) | instskip(SKIP_2) | instid1(VALU_DEP_2)
	v_cndmask_b32_e64 v2, 0, v5, s10
	s_wait_dscnt 0x6
	v_cmp_eq_u16_e64 s10, 0, v11
	v_add_nc_u32_e32 v46, v2, v3
	ds_load_2addr_b32 v[2:3], v4 offset0:10 offset1:12
	v_cndmask_b32_e64 v47, 0, v46, s10
	s_wait_dscnt 0x6
	v_cmp_eq_u16_e64 s10, 0, v41
	ds_store_2addr_b32 v4, v5, v46 offset0:2 offset1:4
	s_wait_dscnt 0x2
	v_add_nc_u32_e32 v6, v47, v6
	s_delay_alu instid0(VALU_DEP_1) | instskip(SKIP_3) | instid1(VALU_DEP_4)
	v_cndmask_b32_e64 v47, 0, v6, s10
	v_cmp_eq_u32_e64 s10, 1, v9
	v_and_b32_e32 v9, 1, v11
	v_and_b32_e32 v11, 1, v41
	v_dual_add_nc_u32 v7, v47, v7 :: v_dual_bitop2_b32 v10, 1, v10 bitop3:0x40
	s_delay_alu instid0(VALU_DEP_4) | instskip(SKIP_1) | instid1(VALU_DEP_3)
	v_cndmask_b32_e64 v8, v8, 1, s10
	v_and_b32_e32 v47, 1, v45
	v_cmp_eq_u32_e64 s10, 1, v10
	s_delay_alu instid0(VALU_DEP_1) | instskip(SKIP_1) | instid1(VALU_DEP_1)
	v_cndmask_b32_e64 v10, v8, 1, s10
	v_cmp_eq_u16_e64 s10, 0, v42
	v_dual_cndmask_b32 v41, 0, v7, s10 :: v_dual_bitop2_b32 v42, 1, v42 bitop3:0x40
	v_cmp_eq_u32_e64 s10, 1, v9
	s_wait_dscnt 0x1
	s_delay_alu instid0(VALU_DEP_2) | instskip(NEXT) | instid1(VALU_DEP_2)
	v_dual_add_nc_u32 v2, v41, v2 :: v_dual_bitop2_b32 v41, 1, v43 bitop3:0x40
	v_cndmask_b32_e64 v9, v10, 1, s10
	v_cmp_eq_u32_e64 s10, 1, v11
	s_delay_alu instid0(VALU_DEP_1) | instskip(SKIP_1) | instid1(VALU_DEP_1)
	v_cndmask_b32_e64 v11, v9, 1, s10
	v_cmp_eq_u16_e64 s10, 0, v43
	v_cndmask_b32_e64 v43, 0, v2, s10
	v_cmp_eq_u32_e64 s10, 1, v42
	s_delay_alu instid0(VALU_DEP_2) | instskip(NEXT) | instid1(VALU_DEP_2)
	v_add_nc_u32_e32 v3, v43, v3
	v_cndmask_b32_e64 v42, v11, 1, s10
	v_cmp_eq_u32_e64 s10, 1, v41
	ds_store_2addr_b32 v4, v6, v7 offset0:6 offset1:8
	ds_store_2addr_b32 v4, v2, v3 offset0:10 offset1:12
	v_cndmask_b32_e64 v41, v42, 1, s10
	v_cmp_eq_u16_e64 s10, 0, v45
	s_delay_alu instid0(VALU_DEP_1) | instskip(SKIP_1) | instid1(VALU_DEP_2)
	v_cndmask_b32_e64 v5, 0, v3, s10
	v_cmp_eq_u32_e64 s10, 1, v47
	v_add_nc_u32_e32 v2, v5, v44
	s_delay_alu instid0(VALU_DEP_2)
	v_cndmask_b32_e64 v43, v41, 1, s10
	ds_store_b8 v4, v8 offset:12
	ds_store_b8 v4, v10 offset:20
	;; [unrolled: 1-line block ×6, first 2 shown]
	ds_store_b32 v4, v2 offset:56
	ds_store_b8 v4, v43 offset:60
.LBB461_85:
	s_or_b32 exec_lo, exec_lo, s11
	v_cmp_eq_u32_e64 s10, 0, v0
	s_mov_b32 s12, exec_lo
	s_wait_dscnt 0x0
	s_barrier_signal -1
	s_barrier_wait -1
	v_cmpx_ne_u32_e32 0, v0
	s_cbranch_execz .LBB461_87
; %bb.86:
	v_add_nc_u32_e32 v2, -1, v0
	s_delay_alu instid0(VALU_DEP_1) | instskip(NEXT) | instid1(VALU_DEP_1)
	v_lshrrev_b32_e32 v3, 2, v2
	v_and_b32_e32 v3, 0x3ffffff8, v3
	s_delay_alu instid0(VALU_DEP_1)
	v_lshl_add_u32 v2, v2, 3, v3
	ds_load_b32 v12, v2
	ds_load_u8 v13, v2 offset:4
.LBB461_87:
	s_or_b32 exec_lo, exec_lo, s12
	s_and_saveexec_b32 s34, vcc_lo
	s_cbranch_execz .LBB461_157
; %bb.88:
	v_mov_b32_e32 v5, 0
	v_mbcnt_lo_u32_b32 v41, -1, 0
	s_mov_b32 s13, 0
	ds_load_b64 v[2:3], v5 offset:2096
	v_cmp_eq_u32_e64 s11, 0, v41
	s_and_saveexec_b32 s30, s11
	s_cbranch_execz .LBB461_90
; %bb.89:
	s_add_co_i32 s12, s28, 32
	v_mov_b32_e32 v4, 1
	s_lshl_b64 s[12:13], s[12:13], 4
	s_delay_alu instid0(SALU_CYCLE_1) | instskip(NEXT) | instid1(SALU_CYCLE_1)
	s_add_nc_u64 s[12:13], s[16:17], s[12:13]
	v_mov_b64_e32 v[6:7], s[12:13]
	s_wait_dscnt 0x0
	;;#ASMSTART
	global_store_b128 v[6:7], v[2:5] off scope:SCOPE_DEV	
s_wait_storecnt 0x0
	;;#ASMEND
.LBB461_90:
	s_or_b32 exec_lo, exec_lo, s30
	v_xad_u32 v8, v41, -1, s28
	s_mov_b32 s12, exec_lo
	s_delay_alu instid0(VALU_DEP_1) | instskip(NEXT) | instid1(VALU_DEP_1)
	v_add_nc_u32_e32 v4, 32, v8
	v_lshl_add_u64 v[10:11], v[4:5], 4, s[16:17]
	;;#ASMSTART
	global_load_b128 v[4:7], v[10:11] off scope:SCOPE_DEV	
s_wait_loadcnt 0x0
	;;#ASMEND
	v_and_b32_e32 v7, 0xff, v6
	v_and_b32_e32 v5, 0xff, v5
	s_delay_alu instid0(VALU_DEP_2)
	v_cmpx_eq_u16_e32 0, v7
	s_cbranch_execz .LBB461_94
; %bb.91:
	s_mov_b32 s13, 0
.LBB461_92:                             ; =>This Inner Loop Header: Depth=1
	;;#ASMSTART
	global_load_b128 v[4:7], v[10:11] off scope:SCOPE_DEV	
s_wait_loadcnt 0x0
	;;#ASMEND
	v_and_b32_e32 v7, 0xff, v6
	s_delay_alu instid0(VALU_DEP_1) | instskip(SKIP_1) | instid1(SALU_CYCLE_1)
	v_cmp_ne_u16_e32 vcc_lo, 0, v7
	s_or_b32 s13, vcc_lo, s13
	s_and_not1_b32 exec_lo, exec_lo, s13
	s_cbranch_execnz .LBB461_92
; %bb.93:
	s_or_b32 exec_lo, exec_lo, s13
	v_and_b32_e32 v5, 0xff, v5
.LBB461_94:
	s_or_b32 exec_lo, exec_lo, s12
	v_cmp_ne_u32_e32 vcc_lo, 31, v41
	v_and_b32_e32 v9, 0xff, v6
	v_lshlrev_b32_e64 v43, v41, -1
	s_mov_b64 s[30:31], 0x100000000
	v_lshl_or_b32 v52, v41, 2, 64
	v_add_co_ci_u32_e64 v7, null, 0, v41, vcc_lo
	v_cmp_eq_u16_e32 vcc_lo, 2, v9
	v_cmp_gt_u64_e64 s12, s[30:31], v[4:5]
	s_delay_alu instid0(VALU_DEP_3) | instskip(SKIP_1) | instid1(VALU_DEP_2)
	v_dual_lshlrev_b32 v42, 2, v7 :: v_dual_bitop2_b32 v10, 1, v5 bitop3:0x40
	v_and_or_b32 v9, vcc_lo, v43, 0x80000000
	v_cmp_eq_u32_e32 vcc_lo, 1, v10
	ds_bpermute_b32 v7, v42, v5
	ds_bpermute_b32 v10, v42, v4
	v_ctz_i32_b32_e32 v9, v9
	s_wait_dscnt 0x1
	v_and_b32_e32 v7, 1, v7
	s_delay_alu instid0(VALU_DEP_1) | instskip(SKIP_1) | instid1(VALU_DEP_2)
	v_cndmask_b32_e64 v7, v7, 1, vcc_lo
	v_cmp_gt_u32_e32 vcc_lo, 30, v41
	v_and_b32_e32 v45, 0xffff, v7
	v_cndmask_b32_e64 v11, 0, 2, vcc_lo
	v_cmp_lt_u32_e32 vcc_lo, v41, v9
	s_delay_alu instid0(VALU_DEP_2) | instskip(NEXT) | instid1(VALU_DEP_4)
	v_add_lshl_u32 v44, v11, v41, 2
	v_dual_cndmask_b32 v11, v5, v45, vcc_lo :: v_dual_cndmask_b32 v7, v5, v7, vcc_lo
	s_and_b32 vcc_lo, vcc_lo, s12
	s_wait_dscnt 0x0
	v_cndmask_b32_e32 v10, 0, v10, vcc_lo
	ds_bpermute_b32 v5, v44, v11
	v_and_b32_e32 v46, 1, v7
	v_and_b32_e32 v48, 0xff, v7
	v_add_nc_u32_e32 v4, v10, v4
	s_delay_alu instid0(VALU_DEP_3) | instskip(NEXT) | instid1(VALU_DEP_3)
	v_cmp_eq_u32_e32 vcc_lo, 1, v46
	v_cmp_eq_u16_e64 s12, 0, v48
	ds_bpermute_b32 v10, v44, v4
	s_wait_dscnt 0x1
	v_and_b32_e32 v5, 1, v5
	s_delay_alu instid0(VALU_DEP_1) | instskip(SKIP_2) | instid1(VALU_DEP_3)
	v_cndmask_b32_e64 v5, v5, 1, vcc_lo
	v_add_nc_u32_e32 v45, 2, v41
	v_cmp_gt_u32_e32 vcc_lo, 28, v41
	v_and_b32_e32 v47, 0xffff, v5
	v_cndmask_b32_e64 v46, 0, 4, vcc_lo
	s_delay_alu instid0(VALU_DEP_4) | instskip(NEXT) | instid1(VALU_DEP_2)
	v_cmp_gt_u32_e32 vcc_lo, v45, v9
	v_add_lshl_u32 v46, v46, v41, 2
	v_cndmask_b32_e32 v5, v5, v7, vcc_lo
	s_wait_dscnt 0x0
	v_dual_cndmask_b32 v7, v47, v11, vcc_lo :: v_dual_cndmask_b32 v10, 0, v10, s12
	s_delay_alu instid0(VALU_DEP_2) | instskip(SKIP_4) | instid1(VALU_DEP_3)
	v_and_b32_e32 v48, 1, v5
	ds_bpermute_b32 v11, v46, v7
	v_cndmask_b32_e64 v10, v10, 0, vcc_lo
	v_cmp_eq_u32_e32 vcc_lo, 1, v48
	v_and_b32_e32 v48, 0xff, v5
	v_add_nc_u32_e32 v4, v10, v4
	s_delay_alu instid0(VALU_DEP_2)
	v_cmp_eq_u16_e64 s12, 0, v48
	s_wait_dscnt 0x0
	v_and_b32_e32 v11, 1, v11
	ds_bpermute_b32 v10, v46, v4
	v_add_nc_u32_e32 v47, 4, v41
	v_cndmask_b32_e64 v11, v11, 1, vcc_lo
	v_cmp_gt_u32_e32 vcc_lo, 24, v41
	s_delay_alu instid0(VALU_DEP_2) | instskip(SKIP_1) | instid1(VALU_DEP_1)
	v_and_b32_e32 v50, 0xffff, v11
	v_cndmask_b32_e64 v49, 0, 8, vcc_lo
	v_add_lshl_u32 v48, v49, v41, 2
	s_wait_dscnt 0x0
	v_dual_add_nc_u32 v49, 8, v41 :: v_dual_cndmask_b32 v10, 0, v10, s12
	v_cmp_gt_u32_e32 vcc_lo, v47, v9
	v_dual_cndmask_b32 v5, v11, v5, vcc_lo :: v_dual_cndmask_b32 v7, v50, v7, vcc_lo
	s_delay_alu instid0(VALU_DEP_3) | instskip(NEXT) | instid1(VALU_DEP_2)
	v_cndmask_b32_e64 v10, v10, 0, vcc_lo
	v_and_b32_e32 v50, 1, v5
	ds_bpermute_b32 v11, v48, v7
	v_add_nc_u32_e32 v4, v10, v4
	v_and_b32_e32 v51, 0xff, v5
	v_cmp_eq_u32_e32 vcc_lo, 1, v50
	ds_bpermute_b32 v10, v48, v4
	s_wait_dscnt 0x1
	v_and_b32_e32 v11, 1, v11
	s_delay_alu instid0(VALU_DEP_1) | instskip(SKIP_1) | instid1(VALU_DEP_2)
	v_cndmask_b32_e64 v11, v11, 1, vcc_lo
	v_cmp_eq_u16_e32 vcc_lo, 0, v51
	v_and_b32_e32 v50, 0xffff, v11
	s_wait_dscnt 0x0
	v_cndmask_b32_e32 v10, 0, v10, vcc_lo
	v_cmp_gt_u32_e32 vcc_lo, v49, v9
	s_delay_alu instid0(VALU_DEP_3) | instskip(NEXT) | instid1(VALU_DEP_3)
	v_dual_cndmask_b32 v5, v11, v5, vcc_lo :: v_dual_cndmask_b32 v7, v50, v7, vcc_lo
	v_cndmask_b32_e64 v10, v10, 0, vcc_lo
	s_delay_alu instid0(VALU_DEP_2) | instskip(SKIP_3) | instid1(VALU_DEP_1)
	v_and_b32_e32 v50, 1, v5
	ds_bpermute_b32 v7, v52, v7
	v_add_nc_u32_e32 v4, v10, v4
	v_and_b32_e32 v11, 0xff, v5
	v_cmp_eq_u16_e32 vcc_lo, 0, v11
	s_wait_dscnt 0x0
	v_and_b32_e32 v7, 1, v7
	ds_bpermute_b32 v10, v52, v4
	s_wait_dscnt 0x0
	v_dual_cndmask_b32 v10, 0, v10 :: v_dual_add_nc_u32 v53, 16, v41
	v_cmp_eq_u32_e32 vcc_lo, 1, v50
	v_cndmask_b32_e64 v7, v7, 1, vcc_lo
	s_delay_alu instid0(VALU_DEP_3) | instskip(NEXT) | instid1(VALU_DEP_2)
	v_cmp_gt_u32_e32 vcc_lo, v53, v9
	v_dual_mov_b32 v9, 0 :: v_dual_cndmask_b32 v5, v7, v5, vcc_lo
	v_cndmask_b32_e64 v7, v10, 0, vcc_lo
	s_delay_alu instid0(VALU_DEP_1)
	v_add_nc_u32_e32 v4, v7, v4
	s_branch .LBB461_98
.LBB461_95:                             ;   in Loop: Header=BB461_98 Depth=1
	s_or_b32 exec_lo, exec_lo, s13
	v_and_b32_e32 v5, 0xff, v5
.LBB461_96:                             ;   in Loop: Header=BB461_98 Depth=1
	s_or_b32 exec_lo, exec_lo, s12
	ds_bpermute_b32 v7, v42, v5
	v_and_b32_e32 v10, 0xff, v6
	v_cmp_gt_u64_e64 s12, s[30:31], v[4:5]
	v_subrev_nc_u32_e32 v8, 32, v8
	s_delay_alu instid0(VALU_DEP_3) | instskip(SKIP_2) | instid1(VALU_DEP_2)
	v_cmp_eq_u16_e32 vcc_lo, 2, v10
	v_and_b32_e32 v10, 1, v5
	v_and_or_b32 v11, vcc_lo, v43, 0x80000000
	v_cmp_eq_u32_e32 vcc_lo, 1, v10
	s_delay_alu instid0(VALU_DEP_2) | instskip(SKIP_3) | instid1(VALU_DEP_1)
	v_ctz_i32_b32_e32 v10, v11
	ds_bpermute_b32 v11, v42, v4
	s_wait_dscnt 0x1
	v_and_b32_e32 v7, 1, v7
	v_cndmask_b32_e64 v7, v7, 1, vcc_lo
	v_cmp_lt_u32_e32 vcc_lo, v41, v10
	s_delay_alu instid0(VALU_DEP_2) | instskip(NEXT) | instid1(VALU_DEP_1)
	v_and_b32_e32 v54, 0xffff, v7
	v_dual_cndmask_b32 v7, v5, v7 :: v_dual_cndmask_b32 v54, v5, v54
	s_and_b32 vcc_lo, vcc_lo, s12
	s_delay_alu instid0(VALU_DEP_1)
	v_and_b32_e32 v56, 0xff, v7
	v_and_b32_e32 v55, 1, v7
	ds_bpermute_b32 v5, v44, v54
	s_wait_dscnt 0x1
	v_cndmask_b32_e32 v11, 0, v11, vcc_lo
	v_cmp_eq_u16_e64 s12, 0, v56
	v_cmp_eq_u32_e32 vcc_lo, 1, v55
	s_wait_dscnt 0x0
	s_delay_alu instid0(VALU_DEP_3) | instskip(NEXT) | instid1(VALU_DEP_1)
	v_dual_add_nc_u32 v4, v11, v4 :: v_dual_bitop2_b32 v5, 1, v5 bitop3:0x40
	v_cndmask_b32_e64 v5, v5, 1, vcc_lo
	ds_bpermute_b32 v11, v44, v4
	v_cmp_gt_u32_e32 vcc_lo, v45, v10
	v_and_b32_e32 v55, 0xffff, v5
	s_delay_alu instid0(VALU_DEP_1) | instskip(NEXT) | instid1(VALU_DEP_1)
	v_dual_cndmask_b32 v5, v5, v7, vcc_lo :: v_dual_cndmask_b32 v7, v55, v54, vcc_lo
	v_and_b32_e32 v55, 1, v5
	ds_bpermute_b32 v54, v46, v7
	s_wait_dscnt 0x1
	v_cndmask_b32_e64 v11, 0, v11, s12
	s_delay_alu instid0(VALU_DEP_1) | instskip(SKIP_2) | instid1(VALU_DEP_3)
	v_cndmask_b32_e64 v11, v11, 0, vcc_lo
	v_cmp_eq_u32_e32 vcc_lo, 1, v55
	v_and_b32_e32 v55, 0xff, v5
	v_add_nc_u32_e32 v4, v11, v4
	s_delay_alu instid0(VALU_DEP_2)
	v_cmp_eq_u16_e64 s12, 0, v55
	s_wait_dscnt 0x0
	v_and_b32_e32 v54, 1, v54
	ds_bpermute_b32 v11, v46, v4
	v_cndmask_b32_e64 v54, v54, 1, vcc_lo
	v_cmp_gt_u32_e32 vcc_lo, v47, v10
	s_delay_alu instid0(VALU_DEP_2) | instskip(SKIP_3) | instid1(VALU_DEP_1)
	v_and_b32_e32 v56, 0xffff, v54
	s_wait_dscnt 0x0
	v_dual_cndmask_b32 v5, v54, v5, vcc_lo :: v_dual_cndmask_b32 v11, 0, v11, s12
	s_mov_b32 s12, 0
	v_cndmask_b32_e64 v11, v11, 0, vcc_lo
	v_cndmask_b32_e32 v7, v56, v7, vcc_lo
	s_delay_alu instid0(VALU_DEP_3) | instskip(NEXT) | instid1(VALU_DEP_3)
	v_and_b32_e32 v56, 0xff, v5
	v_add_nc_u32_e32 v4, v11, v4
	ds_bpermute_b32 v54, v48, v7
	ds_bpermute_b32 v11, v48, v4
	v_and_b32_e32 v55, 1, v5
	s_delay_alu instid0(VALU_DEP_1) | instskip(SKIP_2) | instid1(VALU_DEP_1)
	v_cmp_eq_u32_e32 vcc_lo, 1, v55
	s_wait_dscnt 0x1
	v_and_b32_e32 v54, 1, v54
	v_cndmask_b32_e64 v54, v54, 1, vcc_lo
	v_cmp_eq_u16_e32 vcc_lo, 0, v56
	s_delay_alu instid0(VALU_DEP_2) | instskip(SKIP_3) | instid1(VALU_DEP_2)
	v_and_b32_e32 v55, 0xffff, v54
	s_wait_dscnt 0x0
	v_cndmask_b32_e32 v11, 0, v11, vcc_lo
	v_cmp_gt_u32_e32 vcc_lo, v49, v10
	v_cndmask_b32_e64 v11, v11, 0, vcc_lo
	v_dual_cndmask_b32 v7, v55, v7, vcc_lo :: v_dual_cndmask_b32 v5, v54, v5, vcc_lo
	s_delay_alu instid0(VALU_DEP_2) | instskip(SKIP_4) | instid1(VALU_DEP_1)
	v_add_nc_u32_e32 v4, v11, v4
	ds_bpermute_b32 v7, v52, v7
	v_and_b32_e32 v55, 0xff, v5
	ds_bpermute_b32 v11, v52, v4
	v_and_b32_e32 v54, 1, v5
	v_cmp_eq_u32_e32 vcc_lo, 1, v54
	s_wait_dscnt 0x1
	v_cndmask_b32_e64 v7, v7, 1, vcc_lo
	v_cmp_eq_u16_e32 vcc_lo, 0, v55
	s_wait_dscnt 0x0
	v_cndmask_b32_e32 v11, 0, v11, vcc_lo
	v_cmp_gt_u32_e32 vcc_lo, v53, v10
	v_and_b32_e32 v10, 0xff, v50
	v_cndmask_b32_e32 v5, v7, v5, vcc_lo
	s_delay_alu instid0(VALU_DEP_4) | instskip(NEXT) | instid1(VALU_DEP_3)
	v_cndmask_b32_e64 v7, v11, 0, vcc_lo
	v_cmp_eq_u16_e32 vcc_lo, 0, v10
	s_delay_alu instid0(VALU_DEP_2) | instskip(NEXT) | instid1(VALU_DEP_1)
	v_dual_add_nc_u32 v4, v7, v4 :: v_dual_bitop2_b32 v7, 1, v50 bitop3:0x40
	v_dual_cndmask_b32 v4, 0, v4, vcc_lo :: v_dual_bitop2_b32 v5, 1, v5 bitop3:0x40
	s_delay_alu instid0(VALU_DEP_2) | instskip(NEXT) | instid1(VALU_DEP_2)
	v_cmp_eq_u32_e32 vcc_lo, 1, v7
	v_add_nc_u32_e32 v4, v4, v51
	s_delay_alu instid0(VALU_DEP_3)
	v_cndmask_b32_e64 v5, v5, 1, vcc_lo
.LBB461_97:                             ;   in Loop: Header=BB461_98 Depth=1
	s_and_b32 vcc_lo, exec_lo, s12
	s_cbranch_vccnz .LBB461_153
.LBB461_98:                             ; =>This Loop Header: Depth=1
                                        ;     Child Loop BB461_101 Depth 2
	v_and_b32_e32 v6, 0xff, v6
	s_delay_alu instid0(VALU_DEP_2) | instskip(SKIP_1) | instid1(VALU_DEP_2)
	v_dual_mov_b32 v50, v5 :: v_dual_mov_b32 v51, v4
	s_mov_b32 s12, -1
                                        ; implicit-def: $vgpr5
                                        ; implicit-def: $vgpr4
	v_cmp_ne_u16_e32 vcc_lo, 2, v6
                                        ; implicit-def: $vgpr6
	s_cmp_lg_u32 vcc_lo, exec_lo
	s_cbranch_scc1 .LBB461_97
; %bb.99:                               ;   in Loop: Header=BB461_98 Depth=1
	v_lshl_add_u64 v[10:11], v[8:9], 4, s[16:17]
	;;#ASMSTART
	global_load_b128 v[4:7], v[10:11] off scope:SCOPE_DEV	
s_wait_loadcnt 0x0
	;;#ASMEND
	v_and_b32_e32 v7, 0xff, v6
	v_and_b32_e32 v5, 0xff, v5
	s_mov_b32 s12, exec_lo
	s_delay_alu instid0(VALU_DEP_2)
	v_cmpx_eq_u16_e32 0, v7
	s_cbranch_execz .LBB461_96
; %bb.100:                              ;   in Loop: Header=BB461_98 Depth=1
	s_mov_b32 s13, 0
.LBB461_101:                            ;   Parent Loop BB461_98 Depth=1
                                        ; =>  This Inner Loop Header: Depth=2
	;;#ASMSTART
	global_load_b128 v[4:7], v[10:11] off scope:SCOPE_DEV	
s_wait_loadcnt 0x0
	;;#ASMEND
	v_and_b32_e32 v7, 0xff, v6
	s_delay_alu instid0(VALU_DEP_1) | instskip(SKIP_1) | instid1(SALU_CYCLE_1)
	v_cmp_ne_u16_e32 vcc_lo, 0, v7
	s_or_b32 s13, vcc_lo, s13
	s_and_not1_b32 exec_lo, exec_lo, s13
	s_cbranch_execnz .LBB461_101
	s_branch .LBB461_95
.LBB461_102:
	s_or_b32 exec_lo, exec_lo, s11
                                        ; implicit-def: $vgpr16
	s_and_saveexec_b32 s11, s0
	s_cbranch_execz .LBB461_29
.LBB461_103:
	flat_load_b32 v16, v0, s[12:13] offset:1024 scale_offset
	s_wait_xcnt 0x0
	s_or_b32 exec_lo, exec_lo, s11
                                        ; implicit-def: $vgpr17
	s_and_saveexec_b32 s0, s1
	s_cbranch_execnz .LBB461_30
.LBB461_104:
	s_or_b32 exec_lo, exec_lo, s0
                                        ; implicit-def: $vgpr18
	s_and_saveexec_b32 s0, s2
	s_cbranch_execz .LBB461_31
.LBB461_105:
	flat_load_b32 v18, v0, s[12:13] offset:3072 scale_offset
	s_wait_xcnt 0x0
	s_or_b32 exec_lo, exec_lo, s0
                                        ; implicit-def: $vgpr19
	s_and_saveexec_b32 s0, s3
	s_cbranch_execnz .LBB461_32
.LBB461_106:
	s_or_b32 exec_lo, exec_lo, s0
                                        ; implicit-def: $vgpr20
	s_and_saveexec_b32 s0, s4
	s_cbranch_execz .LBB461_33
.LBB461_107:
	flat_load_b32 v20, v0, s[12:13] offset:5120 scale_offset
	s_wait_xcnt 0x0
	s_or_b32 exec_lo, exec_lo, s0
                                        ; implicit-def: $vgpr21
	s_and_saveexec_b32 s0, s5
	s_cbranch_execnz .LBB461_34
.LBB461_108:
	s_or_b32 exec_lo, exec_lo, s0
                                        ; implicit-def: $vgpr22
	s_and_saveexec_b32 s0, s6
	s_cbranch_execz .LBB461_35
.LBB461_109:
	flat_load_b32 v22, v0, s[12:13] offset:7168 scale_offset
	s_wait_xcnt 0x0
	s_or_b32 exec_lo, exec_lo, s0
                                        ; implicit-def: $vgpr23
	s_and_saveexec_b32 s0, s7
	s_cbranch_execnz .LBB461_36
.LBB461_110:
	s_or_b32 exec_lo, exec_lo, s0
                                        ; implicit-def: $vgpr24
	s_and_saveexec_b32 s0, s8
	s_cbranch_execz .LBB461_37
.LBB461_111:
	flat_load_b32 v24, v0, s[12:13] offset:9216 scale_offset
	s_wait_xcnt 0x0
	s_or_b32 exec_lo, exec_lo, s0
                                        ; implicit-def: $vgpr25
	s_and_saveexec_b32 s0, s9
	s_cbranch_execz .LBB461_39
	s_branch .LBB461_38
.LBB461_112:
                                        ; implicit-def: $vgpr13
                                        ; implicit-def: $vgpr9
                                        ; implicit-def: $vgpr5
	s_cbranch_execnz .LBB461_158
.LBB461_113:
	s_add_nc_u64 s[0:1], s[14:15], s[26:27]
	s_and_b32 vcc_lo, exec_lo, s19
	s_add_nc_u64 s[0:1], s[0:1], s[20:21]
	s_cbranch_vccz .LBB461_175
.LBB461_114:
	v_mul_u32_u24_e32 v1, 12, v0
	s_add_co_i32 s29, s29, s18
	s_mov_b32 s2, exec_lo
	s_delay_alu instid0(VALU_DEP_1)
	v_cmpx_gt_u32_e64 s29, v1
	s_cbranch_execz .LBB461_130
; %bb.115:
	v_or_b32_e32 v14, 1, v1
	s_mov_b32 s3, exec_lo
	s_delay_alu instid0(VALU_DEP_1)
	v_cmpx_gt_u32_e64 s29, v14
	s_cbranch_execz .LBB461_129
; %bb.116:
	v_or_b32_e32 v14, 2, v1
	;; [unrolled: 6-line block ×3, first 2 shown]
	s_mov_b32 s5, exec_lo
	s_delay_alu instid0(VALU_DEP_1)
	v_cmpx_gt_u32_e64 s29, v14
	s_cbranch_execz .LBB461_127
; %bb.118:
	v_add_nc_u32_e32 v14, 4, v1
	s_mov_b32 s6, exec_lo
	s_delay_alu instid0(VALU_DEP_1)
	v_cmpx_gt_u32_e64 s29, v14
	s_cbranch_execz .LBB461_126
; %bb.119:
	v_add_nc_u32_e32 v14, 5, v1
	;; [unrolled: 6-line block ×4, first 2 shown]
	s_mov_b32 s9, exec_lo
	s_delay_alu instid0(VALU_DEP_1)
	v_cmpx_gt_u32_e64 s29, v14
; %bb.122:
	v_add_nc_u32_e32 v14, 8, v1
	s_mov_b32 s10, exec_lo
	s_delay_alu instid0(VALU_DEP_1)
	v_cmpx_gt_u32_e64 s29, v14
	s_or_b32 exec_lo, exec_lo, s10
; %bb.123:
	s_delay_alu instid0(SALU_CYCLE_1)
	s_or_b32 exec_lo, exec_lo, s9
.LBB461_124:
	s_delay_alu instid0(SALU_CYCLE_1)
	s_or_b32 exec_lo, exec_lo, s8
.LBB461_125:
	s_delay_alu instid0(SALU_CYCLE_1)
	s_or_b32 exec_lo, exec_lo, s7
.LBB461_126:
	s_delay_alu instid0(SALU_CYCLE_1)
	s_or_b32 exec_lo, exec_lo, s6
.LBB461_127:
	s_delay_alu instid0(SALU_CYCLE_1)
	s_or_b32 exec_lo, exec_lo, s5
.LBB461_128:
	s_delay_alu instid0(SALU_CYCLE_1)
	s_or_b32 exec_lo, exec_lo, s4
.LBB461_129:
	s_delay_alu instid0(SALU_CYCLE_1)
	s_or_b32 exec_lo, exec_lo, s3
.LBB461_130:
	s_delay_alu instid0(SALU_CYCLE_1) | instskip(SKIP_3) | instid1(VALU_DEP_1)
	s_or_b32 exec_lo, exec_lo, s2
	v_dual_lshlrev_b32 v1, 2, v1 :: v_dual_mov_b32 v17, 0
	s_barrier_signal -1
	s_barrier_wait -1
	v_mad_i32_i24 v14, 0xffffffd4, v0, v1
	ds_store_b128 v1, v[2:5]
	ds_store_b128 v1, v[6:9] offset:16
	ds_store_b128 v1, v[10:13] offset:32
	s_wait_dscnt 0x0
	s_barrier_signal -1
	s_barrier_wait -1
	ds_load_2addr_stride64_b32 v[26:27], v14 offset0:4 offset1:8
	ds_load_2addr_stride64_b32 v[24:25], v14 offset0:12 offset1:16
	;; [unrolled: 1-line block ×5, first 2 shown]
	ds_load_b32 v15, v14 offset:11264
	v_add_nc_u64_e32 v[16:17], s[0:1], v[16:17]
	s_mov_b32 s2, exec_lo
	v_cmpx_gt_u32_e64 s29, v0
	s_cbranch_execz .LBB461_132
; %bb.131:
	v_mul_i32_i24_e32 v14, 0xffffffd4, v0
	s_delay_alu instid0(VALU_DEP_1)
	v_add_nc_u32_e32 v1, v1, v14
	ds_load_b32 v1, v1
	s_wait_dscnt 0x0
	flat_store_b32 v[16:17], v1
.LBB461_132:
	s_wait_xcnt 0x0
	s_or_b32 exec_lo, exec_lo, s2
	v_or_b32_e32 v1, 0x100, v0
	s_mov_b32 s2, exec_lo
	s_delay_alu instid0(VALU_DEP_1)
	v_cmpx_gt_u32_e64 s29, v1
	s_cbranch_execz .LBB461_134
; %bb.133:
	s_wait_dscnt 0x5
	flat_store_b32 v[16:17], v26 offset:1024
.LBB461_134:
	s_wait_xcnt 0x0
	s_or_b32 exec_lo, exec_lo, s2
	v_or_b32_e32 v1, 0x200, v0
	s_mov_b32 s2, exec_lo
	s_delay_alu instid0(VALU_DEP_1)
	v_cmpx_gt_u32_e64 s29, v1
	s_cbranch_execz .LBB461_136
; %bb.135:
	s_wait_dscnt 0x5
	flat_store_b32 v[16:17], v27 offset:2048
.LBB461_136:
	;; [unrolled: 11-line block ×10, first 2 shown]
	s_wait_xcnt 0x0
	s_or_b32 exec_lo, exec_lo, s2
	v_or_b32_e32 v1, 0xb00, v0
	s_delay_alu instid0(VALU_DEP_1)
	v_cmp_gt_u32_e64 s2, s29, v1
	s_branch .LBB461_177
.LBB461_153:
	s_and_saveexec_b32 s12, s11
	s_cbranch_execz .LBB461_155
; %bb.154:
	v_and_b32_e32 v4, 0xff, v3
	s_mov_b32 s31, 0
	s_add_co_i32 s30, s28, 32
	v_and_b32_e32 v5, 1, v50
	s_lshl_b64 s[30:31], s[30:31], 4
	v_cmp_eq_u32_e32 vcc_lo, 0, v4
	s_add_nc_u64 s[30:31], s[16:17], s[30:31]
	s_delay_alu instid0(SALU_CYCLE_1) | instskip(SKIP_1) | instid1(VALU_DEP_1)
	v_mov_b64_e32 v[6:7], s[30:31]
	v_cndmask_b32_e32 v4, 0, v51, vcc_lo
	v_dual_add_nc_u32 v2, v4, v2 :: v_dual_bitop2_b32 v3, 1, v3 bitop3:0x40
	s_delay_alu instid0(VALU_DEP_1)
	v_cmp_eq_u32_e32 vcc_lo, 1, v3
	v_mov_b32_e32 v4, 2
	v_cndmask_b32_e64 v3, v5, 1, vcc_lo
	v_mov_b32_e32 v5, 0
	;;#ASMSTART
	global_store_b128 v[6:7], v[2:5] off scope:SCOPE_DEV	
s_wait_storecnt 0x0
	;;#ASMEND
.LBB461_155:
	s_or_b32 exec_lo, exec_lo, s12
	s_delay_alu instid0(SALU_CYCLE_1)
	s_and_b32 exec_lo, exec_lo, s10
	s_cbranch_execz .LBB461_157
; %bb.156:
	v_mov_b32_e32 v2, 0
	ds_store_b32 v2, v51
	ds_store_b8 v2, v50 offset:4
.LBB461_157:
	s_or_b32 exec_lo, exec_lo, s34
	s_wait_dscnt 0x0
	v_and_b32_e32 v3, 0xff, v13
	s_barrier_signal -1
	s_barrier_wait -1
	s_delay_alu instid0(VALU_DEP_1)
	v_cmp_eq_u16_e32 vcc_lo, 0, v3
	v_mov_b32_e32 v4, 0
	v_and_b32_e32 v5, 0xff, v15
	ds_load_b32 v2, v4
	s_wait_dscnt 0x0
	v_cndmask_b32_e32 v3, 0, v2, vcc_lo
	v_cmp_eq_u64_e32 vcc_lo, 0, v[4:5]
	s_delay_alu instid0(VALU_DEP_2) | instskip(NEXT) | instid1(VALU_DEP_1)
	v_add_nc_u32_e32 v3, v3, v12
	v_cndmask_b32_e64 v2, v3, v2, s10
	s_delay_alu instid0(VALU_DEP_1) | instskip(NEXT) | instid1(VALU_DEP_1)
	v_cndmask_b32_e32 v3, 0, v2, vcc_lo
	v_add_nc_u32_e32 v3, v3, v14
	s_delay_alu instid0(VALU_DEP_1) | instskip(NEXT) | instid1(VALU_DEP_1)
	v_cndmask_b32_e64 v4, 0, v3, s0
	v_add_nc_u32_e32 v4, v4, v36
	s_delay_alu instid0(VALU_DEP_1) | instskip(NEXT) | instid1(VALU_DEP_1)
	v_cndmask_b32_e64 v5, 0, v4, s1
	v_add_nc_u32_e32 v5, v5, v34
	s_delay_alu instid0(VALU_DEP_1) | instskip(NEXT) | instid1(VALU_DEP_1)
	v_cndmask_b32_e64 v6, 0, v5, s2
	v_add_nc_u32_e32 v6, v6, v32
	s_delay_alu instid0(VALU_DEP_1) | instskip(NEXT) | instid1(VALU_DEP_1)
	v_cndmask_b32_e64 v7, 0, v6, s3
	v_add_nc_u32_e32 v7, v7, v30
	s_delay_alu instid0(VALU_DEP_1) | instskip(NEXT) | instid1(VALU_DEP_1)
	v_cndmask_b32_e64 v8, 0, v7, s4
	v_add_nc_u32_e32 v8, v8, v28
	s_delay_alu instid0(VALU_DEP_1) | instskip(NEXT) | instid1(VALU_DEP_1)
	v_cndmask_b32_e64 v9, 0, v8, s5
	v_add_nc_u32_e32 v9, v9, v26
	s_delay_alu instid0(VALU_DEP_1) | instskip(NEXT) | instid1(VALU_DEP_1)
	v_cndmask_b32_e64 v10, 0, v9, s6
	v_add_nc_u32_e32 v10, v10, v24
	s_delay_alu instid0(VALU_DEP_1) | instskip(NEXT) | instid1(VALU_DEP_1)
	v_cndmask_b32_e64 v11, 0, v10, s7
	v_add_nc_u32_e32 v11, v11, v22
	s_delay_alu instid0(VALU_DEP_1) | instskip(NEXT) | instid1(VALU_DEP_1)
	v_cndmask_b32_e64 v12, 0, v11, s8
	v_add_nc_u32_e32 v12, v12, v20
	s_delay_alu instid0(VALU_DEP_1) | instskip(NEXT) | instid1(VALU_DEP_1)
	v_cndmask_b32_e64 v13, 0, v12, s9
	v_add_nc_u32_e32 v13, v13, v18
	s_branch .LBB461_113
.LBB461_158:
	s_cmp_eq_u64 s[24:25], 0
	v_mov_b32_e32 v41, s33
	s_cselect_b32 s0, -1, 0
	s_cmp_eq_u64 s[22:23], 0
	s_cselect_b32 s1, -1, 0
	s_delay_alu instid0(SALU_CYCLE_1) | instskip(NEXT) | instid1(SALU_CYCLE_1)
	s_or_b32 s0, s0, s1
	s_and_b32 vcc_lo, exec_lo, s0
	s_cbranch_vccnz .LBB461_160
; %bb.159:
	v_mov_b32_e32 v2, 0
	global_load_b32 v41, v2, s[22:23]
.LBB461_160:
	s_mov_b64 s[10:11], 0x100000000
	v_or3_b32 v3, v40, v27, v29
	v_cmp_gt_u64_e32 vcc_lo, s[10:11], v[36:37]
	v_cmp_gt_u64_e64 s0, s[10:11], v[34:35]
	v_cmp_gt_u64_e64 s9, s[10:11], v[38:39]
	;; [unrolled: 1-line block ×6, first 2 shown]
	s_wait_xcnt 0x0
	v_dual_cndmask_b32 v2, 0, v14, vcc_lo :: v_dual_bitop2_b32 v1, 56, v1 bitop3:0x40
	v_cmp_gt_u64_e64 s5, s[10:11], v[24:25]
	v_cmp_gt_u64_e64 s6, s[10:11], v[22:23]
	;; [unrolled: 1-line block ×3, first 2 shown]
	s_delay_alu instid0(VALU_DEP_4)
	v_add_nc_u32_e32 v2, v2, v36
	v_or3_b32 v3, v3, v31, v33
	v_cmp_gt_u64_e64 s8, s[10:11], v[18:19]
	v_lshl_add_u32 v1, v0, 3, v1
	s_mov_b32 s10, exec_lo
	v_cndmask_b32_e64 v2, 0, v2, s0
	v_or3_b32 v3, v3, v35, v37
	s_delay_alu instid0(VALU_DEP_2) | instskip(NEXT) | instid1(VALU_DEP_2)
	v_add_nc_u32_e32 v2, v2, v34
	v_or3_b32 v3, v39, v17, v3
	s_delay_alu instid0(VALU_DEP_2) | instskip(NEXT) | instid1(VALU_DEP_2)
	v_cndmask_b32_e64 v2, 0, v2, s1
	v_and_b32_e32 v3, 0xff, v3
	s_delay_alu instid0(VALU_DEP_2) | instskip(NEXT) | instid1(VALU_DEP_1)
	v_add_nc_u32_e32 v2, v2, v32
	v_cndmask_b32_e64 v2, 0, v2, s2
	s_delay_alu instid0(VALU_DEP_1) | instskip(NEXT) | instid1(VALU_DEP_1)
	v_add_nc_u32_e32 v2, v2, v30
	v_cndmask_b32_e64 v2, 0, v2, s3
	s_delay_alu instid0(VALU_DEP_1) | instskip(NEXT) | instid1(VALU_DEP_1)
	;; [unrolled: 3-line block ×7, first 2 shown]
	v_dual_add_nc_u32 v4, v2, v18 :: v_dual_mov_b32 v2, 0
	v_cndmask_b32_e64 v4, 0, v4, s9
	s_delay_alu instid0(VALU_DEP_2) | instskip(NEXT) | instid1(VALU_DEP_1)
	v_cmp_eq_u64_e64 s9, 0, v[2:3]
	v_dual_add_nc_u32 v4, v4, v38 :: v_dual_cndmask_b32 v5, 1, v15, s9
	ds_store_b32 v1, v4
	ds_store_b8 v1, v5 offset:4
	s_wait_loadcnt_dscnt 0x0
	s_barrier_signal -1
	s_barrier_wait -1
	v_cmpx_gt_u32_e32 32, v0
	s_cbranch_execz .LBB461_170
; %bb.161:
	v_dual_lshlrev_b32 v1, 1, v0 :: v_dual_lshlrev_b32 v2, 6, v0
	s_mov_b32 s11, exec_lo
	s_delay_alu instid0(VALU_DEP_1) | instskip(NEXT) | instid1(VALU_DEP_1)
	v_and_b32_e32 v1, 0x1f8, v1
	v_add_nc_u32_e32 v1, v1, v2
	ds_load_u8 v12, v1 offset:12
	ds_load_b64 v[2:3], v1
	ds_load_2addr_b32 v[6:7], v1 offset0:2 offset1:4
	ds_load_u8 v13, v1 offset:20
	ds_load_u8 v17, v1 offset:28
	;; [unrolled: 1-line block ×5, first 2 shown]
	ds_load_b32 v25, v1 offset:56
	s_wait_dscnt 0x8
	v_cmp_eq_u16_e64 s9, 0, v12
	s_wait_dscnt 0x7
	s_delay_alu instid0(VALU_DEP_1)
	v_cndmask_b32_e64 v10, 0, v2, s9
	ds_load_2addr_b32 v[8:9], v1 offset0:6 offset1:8
	s_wait_dscnt 0x6
	v_cmp_eq_u16_e64 s9, 0, v13
	v_add_nc_u32_e32 v6, v10, v6
	ds_load_2addr_b32 v[10:11], v1 offset0:10 offset1:12
	v_cndmask_b32_e64 v6, 0, v6, s9
	s_wait_dscnt 0x6
	v_cmp_eq_u16_e64 s9, 0, v17
	s_delay_alu instid0(VALU_DEP_2) | instskip(NEXT) | instid1(VALU_DEP_1)
	v_dual_add_nc_u32 v6, v6, v7 :: v_dual_bitop2_b32 v7, v13, v12 bitop3:0x54
	v_cndmask_b32_e64 v6, 0, v6, s9
	s_wait_dscnt 0x5
	v_cmp_eq_u16_e64 s9, 0, v19
	s_delay_alu instid0(VALU_DEP_3)
	v_bitop3_b16 v7, v7, v19, v17 bitop3:0xfe
	s_wait_dscnt 0x1
	v_add_nc_u32_e32 v6, v6, v8
	ds_load_u8 v8, v1 offset:60
	v_bitop3_b16 v7, v7, v23, v21 bitop3:0xfe
	v_cndmask_b32_e64 v6, 0, v6, s9
	v_cmp_eq_u16_e64 s9, 0, v21
	s_delay_alu instid0(VALU_DEP_2) | instskip(NEXT) | instid1(VALU_DEP_1)
	v_add_nc_u32_e32 v6, v6, v9
	v_dual_cndmask_b32 v9, 0, v6, s9 :: v_dual_bitop2_b32 v6, 1, v3 bitop3:0x40
	v_cmp_eq_u16_e64 s9, 0, v7
	s_wait_dscnt 0x0
	s_delay_alu instid0(VALU_DEP_2) | instskip(NEXT) | instid1(VALU_DEP_2)
	v_dual_add_nc_u32 v9, v9, v10 :: v_dual_bitop2_b32 v10, 1, v8 bitop3:0x40
	v_cndmask_b32_e64 v7, 1, v6, s9
	v_cmp_eq_u16_e64 s9, 0, v23
	s_delay_alu instid0(VALU_DEP_1) | instskip(NEXT) | instid1(VALU_DEP_4)
	v_cndmask_b32_e64 v9, 0, v9, s9
	v_cmp_eq_u32_e64 s9, 1, v10
	s_delay_alu instid0(VALU_DEP_2) | instskip(NEXT) | instid1(VALU_DEP_2)
	v_add_nc_u32_e32 v9, v9, v11
	v_cndmask_b32_e64 v10, v7, 1, s9
	v_cmp_eq_u16_e64 s9, 0, v8
	v_and_b32_e32 v7, 0xffffff00, v3
	s_delay_alu instid0(VALU_DEP_3) | instskip(NEXT) | instid1(VALU_DEP_3)
	v_and_b32_e32 v11, 0xffff, v10
	v_cndmask_b32_e64 v8, 0, v9, s9
	v_mbcnt_lo_u32_b32 v9, -1, 0
	s_delay_alu instid0(VALU_DEP_2) | instskip(NEXT) | instid1(VALU_DEP_2)
	v_dual_add_nc_u32 v8, v8, v25 :: v_dual_bitop2_b32 v12, v7, v11 bitop3:0x54
	v_and_b32_e32 v11, 15, v9
	s_delay_alu instid0(VALU_DEP_2) | instskip(NEXT) | instid1(VALU_DEP_3)
	v_mov_b32_dpp v17, v12 row_shr:1 row_mask:0xf bank_mask:0xf
	v_mov_b32_dpp v13, v8 row_shr:1 row_mask:0xf bank_mask:0xf
	s_delay_alu instid0(VALU_DEP_3)
	v_cmpx_ne_u32_e32 0, v11
	s_cbranch_execz .LBB461_163
; %bb.162:
	v_and_b32_e32 v12, 1, v10
	v_and_b32_e32 v17, 1, v17
	s_delay_alu instid0(VALU_DEP_2) | instskip(NEXT) | instid1(VALU_DEP_1)
	v_cmp_eq_u32_e64 s9, 1, v12
	v_cndmask_b32_e64 v17, v17, 1, s9
	v_cmp_eq_u16_e64 s9, 0, v10
	s_delay_alu instid0(VALU_DEP_2) | instskip(NEXT) | instid1(VALU_DEP_1)
	v_and_b32_e32 v12, 0xffff, v17
	v_dual_cndmask_b32 v10, 0, v13, s9 :: v_dual_bitop2_b32 v12, v7, v12 bitop3:0x54
	s_delay_alu instid0(VALU_DEP_1)
	v_dual_add_nc_u32 v8, v10, v8 :: v_dual_mov_b32 v10, v17
.LBB461_163:
	s_or_b32 exec_lo, exec_lo, s11
	s_delay_alu instid0(VALU_DEP_1) | instskip(NEXT) | instid1(VALU_DEP_3)
	v_mov_b32_dpp v13, v8 row_shr:2 row_mask:0xf bank_mask:0xf
	v_mov_b32_dpp v17, v12 row_shr:2 row_mask:0xf bank_mask:0xf
	s_mov_b32 s11, exec_lo
	v_cmpx_lt_u32_e32 1, v11
	s_cbranch_execz .LBB461_165
; %bb.164:
	v_and_b32_e32 v12, 1, v10
	v_and_b32_e32 v17, 1, v17
	s_delay_alu instid0(VALU_DEP_2) | instskip(NEXT) | instid1(VALU_DEP_1)
	v_cmp_eq_u32_e64 s9, 1, v12
	v_cndmask_b32_e64 v17, v17, 1, s9
	v_cmp_eq_u16_e64 s9, 0, v10
	s_delay_alu instid0(VALU_DEP_2) | instskip(NEXT) | instid1(VALU_DEP_1)
	v_and_b32_e32 v12, 0xffff, v17
	v_dual_cndmask_b32 v10, 0, v13, s9 :: v_dual_bitop2_b32 v12, v7, v12 bitop3:0x54
	s_delay_alu instid0(VALU_DEP_1)
	v_dual_add_nc_u32 v8, v10, v8 :: v_dual_mov_b32 v10, v17
.LBB461_165:
	s_or_b32 exec_lo, exec_lo, s11
	s_delay_alu instid0(VALU_DEP_1) | instskip(NEXT) | instid1(VALU_DEP_3)
	v_mov_b32_dpp v13, v8 row_shr:4 row_mask:0xf bank_mask:0xf
	v_mov_b32_dpp v17, v12 row_shr:4 row_mask:0xf bank_mask:0xf
	s_mov_b32 s11, exec_lo
	v_cmpx_lt_u32_e32 3, v11
	;; [unrolled: 20-line block ×3, first 2 shown]
	s_cbranch_execz .LBB461_169
; %bb.168:
	v_and_b32_e32 v11, 1, v10
	v_and_b32_e32 v12, 1, v17
	s_delay_alu instid0(VALU_DEP_2) | instskip(NEXT) | instid1(VALU_DEP_1)
	v_cmp_eq_u32_e64 s9, 1, v11
	v_cndmask_b32_e64 v11, v12, 1, s9
	v_cmp_eq_u16_e64 s9, 0, v10
	s_delay_alu instid0(VALU_DEP_2) | instskip(NEXT) | instid1(VALU_DEP_1)
	v_and_b32_e32 v12, 0xffff, v11
	v_dual_cndmask_b32 v10, 0, v13, s9 :: v_dual_bitop2_b32 v12, v7, v12 bitop3:0x54
	s_delay_alu instid0(VALU_DEP_1)
	v_dual_add_nc_u32 v8, v10, v8 :: v_dual_mov_b32 v10, v11
.LBB461_169:
	s_or_b32 exec_lo, exec_lo, s11
	ds_swizzle_b32 v11, v12 offset:swizzle(BROADCAST,32,15)
	ds_swizzle_b32 v12, v8 offset:swizzle(BROADCAST,32,15)
	v_and_b32_e32 v13, 1, v10
	v_bfe_i32 v19, v9, 4, 1
	v_and_b32_e32 v3, 0xff, v3
	; wave barrier
	s_delay_alu instid0(VALU_DEP_3) | instskip(SKIP_2) | instid1(VALU_DEP_1)
	v_cmp_eq_u32_e64 s9, 1, v13
	s_wait_dscnt 0x1
	v_dual_add_nc_u32 v13, -1, v9 :: v_dual_bitop2_b32 v11, 1, v11 bitop3:0x40
	v_cndmask_b32_e64 v11, v11, 1, s9
	v_and_b32_e32 v17, 16, v9
	v_cmp_eq_u16_e64 s9, 0, v10
	s_wait_dscnt 0x0
	s_delay_alu instid0(VALU_DEP_1) | instskip(NEXT) | instid1(VALU_DEP_3)
	v_cndmask_b32_e64 v12, 0, v12, s9
	v_cmp_eq_u32_e64 s9, 0, v17
	s_delay_alu instid0(VALU_DEP_1) | instskip(SKIP_1) | instid1(VALU_DEP_4)
	v_cndmask_b32_e64 v10, v11, v10, s9
	v_cmp_gt_i32_e64 s9, 0, v13
	v_and_b32_e32 v11, v19, v12
	s_delay_alu instid0(VALU_DEP_3) | instskip(NEXT) | instid1(VALU_DEP_2)
	v_and_b32_e32 v10, 0xffff, v10
	v_dual_cndmask_b32 v9, v13, v9, s9 :: v_dual_add_nc_u32 v8, v11, v8
	v_cmp_eq_u16_e64 s9, 0, v3
	s_delay_alu instid0(VALU_DEP_2)
	v_lshlrev_b32_e32 v9, 2, v9
	ds_bpermute_b32 v8, v9, v8
	s_wait_dscnt 0x0
	v_dual_cndmask_b32 v3, 0, v8, s9 :: v_dual_bitop2_b32 v7, v7, v10 bitop3:0x54
	ds_bpermute_b32 v7, v9, v7
	v_cmp_eq_u32_e64 s9, 1, v6
	s_wait_dscnt 0x0
	v_dual_add_nc_u32 v2, v3, v2 :: v_dual_bitop2_b32 v7, 1, v7 bitop3:0x40
	s_delay_alu instid0(VALU_DEP_1) | instskip(SKIP_1) | instid1(VALU_DEP_1)
	v_cndmask_b32_e64 v3, v7, 1, s9
	v_cmp_eq_u32_e64 s9, 0, v0
	v_dual_cndmask_b32 v4, v2, v4, s9 :: v_dual_cndmask_b32 v6, v3, v5, s9
	ds_store_b32 v1, v4
	ds_store_b8 v1, v6 offset:4
	; wave barrier
	ds_load_u8 v7, v1 offset:12
	ds_load_2addr_b32 v[2:3], v1 offset0:2 offset1:4
	ds_load_u8 v8, v1 offset:20
	ds_load_u8 v9, v1 offset:28
	ds_load_u8 v10, v1 offset:36
	ds_load_u8 v11, v1 offset:44
	ds_load_u8 v12, v1 offset:52
	ds_load_b32 v13, v1 offset:56
	ds_load_u8 v17, v1 offset:60
	s_wait_dscnt 0x8
	v_cmp_eq_u16_e64 s9, 0, v7
	s_delay_alu instid0(VALU_DEP_1) | instskip(SKIP_4) | instid1(VALU_DEP_1)
	v_cndmask_b32_e64 v19, 0, v4, s9
	ds_load_2addr_b32 v[4:5], v1 offset0:6 offset1:8
	s_wait_dscnt 0x7
	v_cmp_eq_u16_e64 s9, 0, v8
	v_add_nc_u32_e32 v19, v19, v2
	v_cndmask_b32_e64 v2, 0, v19, s9
	s_wait_dscnt 0x6
	v_cmp_eq_u16_e64 s9, 0, v9
	s_delay_alu instid0(VALU_DEP_2)
	v_add_nc_u32_e32 v21, v2, v3
	ds_load_2addr_b32 v[2:3], v1 offset0:10 offset1:12
	v_cndmask_b32_e64 v23, 0, v21, s9
	s_wait_dscnt 0x6
	v_cmp_eq_u16_e64 s9, 0, v10
	ds_store_2addr_b32 v1, v19, v21 offset0:2 offset1:4
	s_wait_dscnt 0x2
	v_dual_add_nc_u32 v4, v23, v4 :: v_dual_bitop2_b32 v7, 1, v7 bitop3:0x40
	s_delay_alu instid0(VALU_DEP_1) | instskip(SKIP_1) | instid1(VALU_DEP_3)
	v_cndmask_b32_e64 v23, 0, v4, s9
	v_and_b32_e32 v8, 1, v8
	v_cmp_eq_u32_e64 s9, 1, v7
	v_and_b32_e32 v7, 1, v9
	s_delay_alu instid0(VALU_DEP_4) | instskip(NEXT) | instid1(VALU_DEP_3)
	v_add_nc_u32_e32 v5, v23, v5
	v_cndmask_b32_e64 v6, v6, 1, s9
	v_cmp_eq_u32_e64 s9, 1, v8
	s_delay_alu instid0(VALU_DEP_1) | instskip(SKIP_1) | instid1(VALU_DEP_1)
	v_cndmask_b32_e64 v8, v6, 1, s9
	v_cmp_eq_u16_e64 s9, 0, v11
	v_dual_cndmask_b32 v10, 0, v5, s9 :: v_dual_bitop2_b32 v9, 1, v10 bitop3:0x40
	s_wait_dscnt 0x1
	s_delay_alu instid0(VALU_DEP_1) | instskip(SKIP_2) | instid1(VALU_DEP_2)
	v_add_nc_u32_e32 v2, v10, v2
	v_cmp_eq_u32_e64 s9, 1, v7
	v_and_b32_e32 v10, 1, v12
	v_cndmask_b32_e64 v7, v8, 1, s9
	v_cmp_eq_u32_e64 s9, 1, v9
	s_delay_alu instid0(VALU_DEP_1) | instskip(SKIP_1) | instid1(VALU_DEP_1)
	v_cndmask_b32_e64 v9, v7, 1, s9
	v_cmp_eq_u16_e64 s9, 0, v12
	v_dual_cndmask_b32 v12, 0, v2, s9 :: v_dual_bitop2_b32 v11, 1, v11 bitop3:0x40
	s_delay_alu instid0(VALU_DEP_1) | instskip(NEXT) | instid1(VALU_DEP_2)
	v_cmp_eq_u32_e64 s9, 1, v11
	v_add_nc_u32_e32 v3, v12, v3
	s_delay_alu instid0(VALU_DEP_2)
	v_cndmask_b32_e64 v11, v9, 1, s9
	v_cmp_eq_u32_e64 s9, 1, v10
	ds_store_2addr_b32 v1, v4, v5 offset0:6 offset1:8
	ds_store_2addr_b32 v1, v2, v3 offset0:10 offset1:12
	v_cndmask_b32_e64 v10, v11, 1, s9
	v_cmp_eq_u16_e64 s9, 0, v17
	s_delay_alu instid0(VALU_DEP_1) | instskip(NEXT) | instid1(VALU_DEP_1)
	v_dual_cndmask_b32 v12, 0, v3, s9 :: v_dual_bitop2_b32 v23, 1, v17 bitop3:0x40
	v_cmp_eq_u32_e64 s9, 1, v23
	s_delay_alu instid0(VALU_DEP_2) | instskip(NEXT) | instid1(VALU_DEP_2)
	v_add_nc_u32_e32 v2, v12, v13
	v_cndmask_b32_e64 v17, v10, 1, s9
	ds_store_b8 v1, v6 offset:12
	ds_store_b8 v1, v8 offset:20
	;; [unrolled: 1-line block ×6, first 2 shown]
	ds_store_b32 v1, v2 offset:56
	ds_store_b8 v1, v17 offset:60
.LBB461_170:
	s_or_b32 exec_lo, exec_lo, s10
	v_cmp_eq_u32_e64 s9, 0, v0
	v_mov_b32_e32 v2, v41
	s_mov_b32 s11, exec_lo
	s_wait_dscnt 0x0
	s_barrier_signal -1
	s_barrier_wait -1
	v_cmpx_ne_u32_e32 0, v0
	s_cbranch_execz .LBB461_172
; %bb.171:
	v_add_nc_u32_e32 v1, -1, v0
	s_delay_alu instid0(VALU_DEP_1) | instskip(NEXT) | instid1(VALU_DEP_1)
	v_lshrrev_b32_e32 v2, 2, v1
	v_and_b32_e32 v2, 0x3ffffff8, v2
	s_delay_alu instid0(VALU_DEP_1) | instskip(SKIP_4) | instid1(VALU_DEP_1)
	v_lshl_add_u32 v1, v1, 3, v2
	ds_load_u8 v2, v1 offset:4
	ds_load_b32 v1, v1
	s_wait_dscnt 0x1
	v_cmp_eq_u16_e64 s10, 0, v2
	v_cndmask_b32_e64 v2, 0, v41, s10
	s_wait_dscnt 0x0
	s_delay_alu instid0(VALU_DEP_1)
	v_add_nc_u32_e32 v2, v2, v1
.LBB461_172:
	s_or_b32 exec_lo, exec_lo, s11
	v_and_b32_e32 v39, 0xff, v15
	v_mov_b32_e32 v38, 0
	s_delay_alu instid0(VALU_DEP_1) | instskip(NEXT) | instid1(VALU_DEP_1)
	v_cmp_eq_u64_e64 s10, 0, v[38:39]
	v_cndmask_b32_e64 v1, 0, v2, s10
	s_delay_alu instid0(VALU_DEP_1) | instskip(NEXT) | instid1(VALU_DEP_1)
	v_add_nc_u32_e32 v3, v1, v14
	v_cndmask_b32_e32 v1, 0, v3, vcc_lo
	s_delay_alu instid0(VALU_DEP_1) | instskip(NEXT) | instid1(VALU_DEP_1)
	v_add_nc_u32_e32 v4, v1, v36
	v_cndmask_b32_e64 v1, 0, v4, s0
	s_delay_alu instid0(VALU_DEP_1) | instskip(NEXT) | instid1(VALU_DEP_1)
	v_add_nc_u32_e32 v5, v1, v34
	v_cndmask_b32_e64 v1, 0, v5, s1
	;; [unrolled: 3-line block ×9, first 2 shown]
	s_delay_alu instid0(VALU_DEP_1)
	v_add_nc_u32_e32 v13, v1, v18
	s_and_saveexec_b32 s0, s9
	s_cbranch_execz .LBB461_174
; %bb.173:
	ds_load_u8 v1, v38 offset:2100
	ds_load_b32 v17, v38 offset:2096
	v_mov_b32_e32 v15, v38
	s_add_nc_u64 s[2:3], s[16:17], 0x200
	v_dual_mov_b32 v20, 2 :: v_dual_mov_b32 v21, v38
	s_wait_dscnt 0x1
	v_and_b32_e32 v14, 0xffff, v1
	s_delay_alu instid0(VALU_DEP_1) | instskip(SKIP_3) | instid1(VALU_DEP_2)
	v_cmp_eq_u64_e32 vcc_lo, 0, v[14:15]
	v_dual_cndmask_b32 v1, 0, v41, vcc_lo :: v_dual_mov_b32 v19, v14
	v_mov_b64_e32 v[14:15], s[2:3]
	s_wait_dscnt 0x0
	v_add_nc_u32_e32 v18, v1, v17
	;;#ASMSTART
	global_store_b128 v[14:15], v[18:21] off scope:SCOPE_DEV	
s_wait_storecnt 0x0
	;;#ASMEND
.LBB461_174:
	s_or_b32 exec_lo, exec_lo, s0
	s_add_nc_u64 s[0:1], s[14:15], s[26:27]
	s_and_b32 vcc_lo, exec_lo, s19
	s_add_nc_u64 s[0:1], s[0:1], s[20:21]
	s_cbranch_vccnz .LBB461_114
.LBB461_175:
	s_mov_b32 s2, 0
                                        ; implicit-def: $vgpr15
	s_cbranch_execz .LBB461_177
; %bb.176:
	v_mul_u32_u24_e32 v1, 48, v0
	v_mul_i32_i24_e32 v14, 0xffffffd4, v0
	s_wait_storecnt_dscnt 0x0
	s_barrier_signal -1
	s_barrier_wait -1
	ds_store_b128 v1, v[2:5]
	ds_store_b128 v1, v[6:9] offset:16
	ds_store_b128 v1, v[10:13] offset:32
	v_mad_u32_u24 v1, v0, 48, v14
	s_wait_dscnt 0x0
	s_barrier_signal -1
	s_barrier_wait -1
	ds_load_2addr_stride64_b32 v[2:3], v1 offset1:4
	ds_load_2addr_stride64_b32 v[4:5], v1 offset0:8 offset1:12
	ds_load_2addr_stride64_b32 v[6:7], v1 offset0:16 offset1:20
	ds_load_2addr_stride64_b32 v[8:9], v1 offset0:24 offset1:28
	ds_load_2addr_stride64_b32 v[10:11], v1 offset0:32 offset1:36
	ds_load_2addr_stride64_b32 v[14:15], v1 offset0:40 offset1:44
	s_or_b32 s2, s2, exec_lo
	s_wait_dscnt 0x5
	s_clause 0x1
	flat_store_b32 v0, v2, s[0:1] scale_offset
	flat_store_b32 v0, v3, s[0:1] offset:1024 scale_offset
	s_wait_dscnt 0x6
	s_clause 0x1
	flat_store_b32 v0, v4, s[0:1] offset:2048 scale_offset
	flat_store_b32 v0, v5, s[0:1] offset:3072 scale_offset
	s_wait_dscnt 0x7
	s_clause 0x1
	flat_store_b32 v0, v6, s[0:1] offset:4096 scale_offset
	flat_store_b32 v0, v7, s[0:1] offset:5120 scale_offset
	s_wait_dscnt 0x8
	s_clause 0x1
	flat_store_b32 v0, v8, s[0:1] offset:6144 scale_offset
	flat_store_b32 v0, v9, s[0:1] offset:7168 scale_offset
	s_wait_dscnt 0x9
	s_clause 0x1
	flat_store_b32 v0, v10, s[0:1] offset:8192 scale_offset
	flat_store_b32 v0, v11, s[0:1] offset:9216 scale_offset
	s_wait_dscnt 0xa
	flat_store_b32 v0, v14, s[0:1] offset:10240 scale_offset
.LBB461_177:
	s_wait_xcnt 0x0
	s_delay_alu instid0(VALU_DEP_1)
	s_and_saveexec_b32 s3, s2
	s_cbranch_execz .LBB461_179
; %bb.178:
	s_wait_dscnt 0x0
	flat_store_b32 v0, v15, s[0:1] offset:11264 scale_offset
	s_endpgm
.LBB461_179:
	s_endpgm
	.section	.rodata,"a",@progbits
	.p2align	6, 0x0
	.amdhsa_kernel _ZN7rocprim17ROCPRIM_400000_NS6detail17trampoline_kernelINS0_14default_configENS1_27scan_by_key_config_selectorIiiEEZZNS1_16scan_by_key_implILNS1_25lookback_scan_determinismE0ELb1ES3_N6thrust23THRUST_200600_302600_NS6detail15normal_iteratorINS9_10device_ptrIiEEEESE_SE_iNS9_4plusIvEENS9_8equal_toIvEEiEE10hipError_tPvRmT2_T3_T4_T5_mT6_T7_P12ihipStream_tbENKUlT_T0_E_clISt17integral_constantIbLb0EESZ_EEDaSU_SV_EUlSU_E_NS1_11comp_targetILNS1_3genE0ELNS1_11target_archE4294967295ELNS1_3gpuE0ELNS1_3repE0EEENS1_30default_config_static_selectorELNS0_4arch9wavefront6targetE0EEEvT1_
		.amdhsa_group_segment_fixed_size 14336
		.amdhsa_private_segment_fixed_size 0
		.amdhsa_kernarg_size 112
		.amdhsa_user_sgpr_count 2
		.amdhsa_user_sgpr_dispatch_ptr 0
		.amdhsa_user_sgpr_queue_ptr 0
		.amdhsa_user_sgpr_kernarg_segment_ptr 1
		.amdhsa_user_sgpr_dispatch_id 0
		.amdhsa_user_sgpr_kernarg_preload_length 0
		.amdhsa_user_sgpr_kernarg_preload_offset 0
		.amdhsa_user_sgpr_private_segment_size 0
		.amdhsa_wavefront_size32 1
		.amdhsa_uses_dynamic_stack 0
		.amdhsa_enable_private_segment 0
		.amdhsa_system_sgpr_workgroup_id_x 1
		.amdhsa_system_sgpr_workgroup_id_y 0
		.amdhsa_system_sgpr_workgroup_id_z 0
		.amdhsa_system_sgpr_workgroup_info 0
		.amdhsa_system_vgpr_workitem_id 0
		.amdhsa_next_free_vgpr 62
		.amdhsa_next_free_sgpr 37
		.amdhsa_named_barrier_count 0
		.amdhsa_reserve_vcc 1
		.amdhsa_float_round_mode_32 0
		.amdhsa_float_round_mode_16_64 0
		.amdhsa_float_denorm_mode_32 3
		.amdhsa_float_denorm_mode_16_64 3
		.amdhsa_fp16_overflow 0
		.amdhsa_memory_ordered 1
		.amdhsa_forward_progress 1
		.amdhsa_inst_pref_size 95
		.amdhsa_round_robin_scheduling 0
		.amdhsa_exception_fp_ieee_invalid_op 0
		.amdhsa_exception_fp_denorm_src 0
		.amdhsa_exception_fp_ieee_div_zero 0
		.amdhsa_exception_fp_ieee_overflow 0
		.amdhsa_exception_fp_ieee_underflow 0
		.amdhsa_exception_fp_ieee_inexact 0
		.amdhsa_exception_int_div_zero 0
	.end_amdhsa_kernel
	.section	.text._ZN7rocprim17ROCPRIM_400000_NS6detail17trampoline_kernelINS0_14default_configENS1_27scan_by_key_config_selectorIiiEEZZNS1_16scan_by_key_implILNS1_25lookback_scan_determinismE0ELb1ES3_N6thrust23THRUST_200600_302600_NS6detail15normal_iteratorINS9_10device_ptrIiEEEESE_SE_iNS9_4plusIvEENS9_8equal_toIvEEiEE10hipError_tPvRmT2_T3_T4_T5_mT6_T7_P12ihipStream_tbENKUlT_T0_E_clISt17integral_constantIbLb0EESZ_EEDaSU_SV_EUlSU_E_NS1_11comp_targetILNS1_3genE0ELNS1_11target_archE4294967295ELNS1_3gpuE0ELNS1_3repE0EEENS1_30default_config_static_selectorELNS0_4arch9wavefront6targetE0EEEvT1_,"axG",@progbits,_ZN7rocprim17ROCPRIM_400000_NS6detail17trampoline_kernelINS0_14default_configENS1_27scan_by_key_config_selectorIiiEEZZNS1_16scan_by_key_implILNS1_25lookback_scan_determinismE0ELb1ES3_N6thrust23THRUST_200600_302600_NS6detail15normal_iteratorINS9_10device_ptrIiEEEESE_SE_iNS9_4plusIvEENS9_8equal_toIvEEiEE10hipError_tPvRmT2_T3_T4_T5_mT6_T7_P12ihipStream_tbENKUlT_T0_E_clISt17integral_constantIbLb0EESZ_EEDaSU_SV_EUlSU_E_NS1_11comp_targetILNS1_3genE0ELNS1_11target_archE4294967295ELNS1_3gpuE0ELNS1_3repE0EEENS1_30default_config_static_selectorELNS0_4arch9wavefront6targetE0EEEvT1_,comdat
.Lfunc_end461:
	.size	_ZN7rocprim17ROCPRIM_400000_NS6detail17trampoline_kernelINS0_14default_configENS1_27scan_by_key_config_selectorIiiEEZZNS1_16scan_by_key_implILNS1_25lookback_scan_determinismE0ELb1ES3_N6thrust23THRUST_200600_302600_NS6detail15normal_iteratorINS9_10device_ptrIiEEEESE_SE_iNS9_4plusIvEENS9_8equal_toIvEEiEE10hipError_tPvRmT2_T3_T4_T5_mT6_T7_P12ihipStream_tbENKUlT_T0_E_clISt17integral_constantIbLb0EESZ_EEDaSU_SV_EUlSU_E_NS1_11comp_targetILNS1_3genE0ELNS1_11target_archE4294967295ELNS1_3gpuE0ELNS1_3repE0EEENS1_30default_config_static_selectorELNS0_4arch9wavefront6targetE0EEEvT1_, .Lfunc_end461-_ZN7rocprim17ROCPRIM_400000_NS6detail17trampoline_kernelINS0_14default_configENS1_27scan_by_key_config_selectorIiiEEZZNS1_16scan_by_key_implILNS1_25lookback_scan_determinismE0ELb1ES3_N6thrust23THRUST_200600_302600_NS6detail15normal_iteratorINS9_10device_ptrIiEEEESE_SE_iNS9_4plusIvEENS9_8equal_toIvEEiEE10hipError_tPvRmT2_T3_T4_T5_mT6_T7_P12ihipStream_tbENKUlT_T0_E_clISt17integral_constantIbLb0EESZ_EEDaSU_SV_EUlSU_E_NS1_11comp_targetILNS1_3genE0ELNS1_11target_archE4294967295ELNS1_3gpuE0ELNS1_3repE0EEENS1_30default_config_static_selectorELNS0_4arch9wavefront6targetE0EEEvT1_
                                        ; -- End function
	.set _ZN7rocprim17ROCPRIM_400000_NS6detail17trampoline_kernelINS0_14default_configENS1_27scan_by_key_config_selectorIiiEEZZNS1_16scan_by_key_implILNS1_25lookback_scan_determinismE0ELb1ES3_N6thrust23THRUST_200600_302600_NS6detail15normal_iteratorINS9_10device_ptrIiEEEESE_SE_iNS9_4plusIvEENS9_8equal_toIvEEiEE10hipError_tPvRmT2_T3_T4_T5_mT6_T7_P12ihipStream_tbENKUlT_T0_E_clISt17integral_constantIbLb0EESZ_EEDaSU_SV_EUlSU_E_NS1_11comp_targetILNS1_3genE0ELNS1_11target_archE4294967295ELNS1_3gpuE0ELNS1_3repE0EEENS1_30default_config_static_selectorELNS0_4arch9wavefront6targetE0EEEvT1_.num_vgpr, 62
	.set _ZN7rocprim17ROCPRIM_400000_NS6detail17trampoline_kernelINS0_14default_configENS1_27scan_by_key_config_selectorIiiEEZZNS1_16scan_by_key_implILNS1_25lookback_scan_determinismE0ELb1ES3_N6thrust23THRUST_200600_302600_NS6detail15normal_iteratorINS9_10device_ptrIiEEEESE_SE_iNS9_4plusIvEENS9_8equal_toIvEEiEE10hipError_tPvRmT2_T3_T4_T5_mT6_T7_P12ihipStream_tbENKUlT_T0_E_clISt17integral_constantIbLb0EESZ_EEDaSU_SV_EUlSU_E_NS1_11comp_targetILNS1_3genE0ELNS1_11target_archE4294967295ELNS1_3gpuE0ELNS1_3repE0EEENS1_30default_config_static_selectorELNS0_4arch9wavefront6targetE0EEEvT1_.num_agpr, 0
	.set _ZN7rocprim17ROCPRIM_400000_NS6detail17trampoline_kernelINS0_14default_configENS1_27scan_by_key_config_selectorIiiEEZZNS1_16scan_by_key_implILNS1_25lookback_scan_determinismE0ELb1ES3_N6thrust23THRUST_200600_302600_NS6detail15normal_iteratorINS9_10device_ptrIiEEEESE_SE_iNS9_4plusIvEENS9_8equal_toIvEEiEE10hipError_tPvRmT2_T3_T4_T5_mT6_T7_P12ihipStream_tbENKUlT_T0_E_clISt17integral_constantIbLb0EESZ_EEDaSU_SV_EUlSU_E_NS1_11comp_targetILNS1_3genE0ELNS1_11target_archE4294967295ELNS1_3gpuE0ELNS1_3repE0EEENS1_30default_config_static_selectorELNS0_4arch9wavefront6targetE0EEEvT1_.numbered_sgpr, 37
	.set _ZN7rocprim17ROCPRIM_400000_NS6detail17trampoline_kernelINS0_14default_configENS1_27scan_by_key_config_selectorIiiEEZZNS1_16scan_by_key_implILNS1_25lookback_scan_determinismE0ELb1ES3_N6thrust23THRUST_200600_302600_NS6detail15normal_iteratorINS9_10device_ptrIiEEEESE_SE_iNS9_4plusIvEENS9_8equal_toIvEEiEE10hipError_tPvRmT2_T3_T4_T5_mT6_T7_P12ihipStream_tbENKUlT_T0_E_clISt17integral_constantIbLb0EESZ_EEDaSU_SV_EUlSU_E_NS1_11comp_targetILNS1_3genE0ELNS1_11target_archE4294967295ELNS1_3gpuE0ELNS1_3repE0EEENS1_30default_config_static_selectorELNS0_4arch9wavefront6targetE0EEEvT1_.num_named_barrier, 0
	.set _ZN7rocprim17ROCPRIM_400000_NS6detail17trampoline_kernelINS0_14default_configENS1_27scan_by_key_config_selectorIiiEEZZNS1_16scan_by_key_implILNS1_25lookback_scan_determinismE0ELb1ES3_N6thrust23THRUST_200600_302600_NS6detail15normal_iteratorINS9_10device_ptrIiEEEESE_SE_iNS9_4plusIvEENS9_8equal_toIvEEiEE10hipError_tPvRmT2_T3_T4_T5_mT6_T7_P12ihipStream_tbENKUlT_T0_E_clISt17integral_constantIbLb0EESZ_EEDaSU_SV_EUlSU_E_NS1_11comp_targetILNS1_3genE0ELNS1_11target_archE4294967295ELNS1_3gpuE0ELNS1_3repE0EEENS1_30default_config_static_selectorELNS0_4arch9wavefront6targetE0EEEvT1_.private_seg_size, 0
	.set _ZN7rocprim17ROCPRIM_400000_NS6detail17trampoline_kernelINS0_14default_configENS1_27scan_by_key_config_selectorIiiEEZZNS1_16scan_by_key_implILNS1_25lookback_scan_determinismE0ELb1ES3_N6thrust23THRUST_200600_302600_NS6detail15normal_iteratorINS9_10device_ptrIiEEEESE_SE_iNS9_4plusIvEENS9_8equal_toIvEEiEE10hipError_tPvRmT2_T3_T4_T5_mT6_T7_P12ihipStream_tbENKUlT_T0_E_clISt17integral_constantIbLb0EESZ_EEDaSU_SV_EUlSU_E_NS1_11comp_targetILNS1_3genE0ELNS1_11target_archE4294967295ELNS1_3gpuE0ELNS1_3repE0EEENS1_30default_config_static_selectorELNS0_4arch9wavefront6targetE0EEEvT1_.uses_vcc, 1
	.set _ZN7rocprim17ROCPRIM_400000_NS6detail17trampoline_kernelINS0_14default_configENS1_27scan_by_key_config_selectorIiiEEZZNS1_16scan_by_key_implILNS1_25lookback_scan_determinismE0ELb1ES3_N6thrust23THRUST_200600_302600_NS6detail15normal_iteratorINS9_10device_ptrIiEEEESE_SE_iNS9_4plusIvEENS9_8equal_toIvEEiEE10hipError_tPvRmT2_T3_T4_T5_mT6_T7_P12ihipStream_tbENKUlT_T0_E_clISt17integral_constantIbLb0EESZ_EEDaSU_SV_EUlSU_E_NS1_11comp_targetILNS1_3genE0ELNS1_11target_archE4294967295ELNS1_3gpuE0ELNS1_3repE0EEENS1_30default_config_static_selectorELNS0_4arch9wavefront6targetE0EEEvT1_.uses_flat_scratch, 1
	.set _ZN7rocprim17ROCPRIM_400000_NS6detail17trampoline_kernelINS0_14default_configENS1_27scan_by_key_config_selectorIiiEEZZNS1_16scan_by_key_implILNS1_25lookback_scan_determinismE0ELb1ES3_N6thrust23THRUST_200600_302600_NS6detail15normal_iteratorINS9_10device_ptrIiEEEESE_SE_iNS9_4plusIvEENS9_8equal_toIvEEiEE10hipError_tPvRmT2_T3_T4_T5_mT6_T7_P12ihipStream_tbENKUlT_T0_E_clISt17integral_constantIbLb0EESZ_EEDaSU_SV_EUlSU_E_NS1_11comp_targetILNS1_3genE0ELNS1_11target_archE4294967295ELNS1_3gpuE0ELNS1_3repE0EEENS1_30default_config_static_selectorELNS0_4arch9wavefront6targetE0EEEvT1_.has_dyn_sized_stack, 0
	.set _ZN7rocprim17ROCPRIM_400000_NS6detail17trampoline_kernelINS0_14default_configENS1_27scan_by_key_config_selectorIiiEEZZNS1_16scan_by_key_implILNS1_25lookback_scan_determinismE0ELb1ES3_N6thrust23THRUST_200600_302600_NS6detail15normal_iteratorINS9_10device_ptrIiEEEESE_SE_iNS9_4plusIvEENS9_8equal_toIvEEiEE10hipError_tPvRmT2_T3_T4_T5_mT6_T7_P12ihipStream_tbENKUlT_T0_E_clISt17integral_constantIbLb0EESZ_EEDaSU_SV_EUlSU_E_NS1_11comp_targetILNS1_3genE0ELNS1_11target_archE4294967295ELNS1_3gpuE0ELNS1_3repE0EEENS1_30default_config_static_selectorELNS0_4arch9wavefront6targetE0EEEvT1_.has_recursion, 0
	.set _ZN7rocprim17ROCPRIM_400000_NS6detail17trampoline_kernelINS0_14default_configENS1_27scan_by_key_config_selectorIiiEEZZNS1_16scan_by_key_implILNS1_25lookback_scan_determinismE0ELb1ES3_N6thrust23THRUST_200600_302600_NS6detail15normal_iteratorINS9_10device_ptrIiEEEESE_SE_iNS9_4plusIvEENS9_8equal_toIvEEiEE10hipError_tPvRmT2_T3_T4_T5_mT6_T7_P12ihipStream_tbENKUlT_T0_E_clISt17integral_constantIbLb0EESZ_EEDaSU_SV_EUlSU_E_NS1_11comp_targetILNS1_3genE0ELNS1_11target_archE4294967295ELNS1_3gpuE0ELNS1_3repE0EEENS1_30default_config_static_selectorELNS0_4arch9wavefront6targetE0EEEvT1_.has_indirect_call, 0
	.section	.AMDGPU.csdata,"",@progbits
; Kernel info:
; codeLenInByte = 12036
; TotalNumSgprs: 39
; NumVgprs: 62
; ScratchSize: 0
; MemoryBound: 0
; FloatMode: 240
; IeeeMode: 1
; LDSByteSize: 14336 bytes/workgroup (compile time only)
; SGPRBlocks: 0
; VGPRBlocks: 3
; NumSGPRsForWavesPerEU: 39
; NumVGPRsForWavesPerEU: 62
; NamedBarCnt: 0
; Occupancy: 16
; WaveLimiterHint : 1
; COMPUTE_PGM_RSRC2:SCRATCH_EN: 0
; COMPUTE_PGM_RSRC2:USER_SGPR: 2
; COMPUTE_PGM_RSRC2:TRAP_HANDLER: 0
; COMPUTE_PGM_RSRC2:TGID_X_EN: 1
; COMPUTE_PGM_RSRC2:TGID_Y_EN: 0
; COMPUTE_PGM_RSRC2:TGID_Z_EN: 0
; COMPUTE_PGM_RSRC2:TIDIG_COMP_CNT: 0
	.section	.text._ZN7rocprim17ROCPRIM_400000_NS6detail17trampoline_kernelINS0_14default_configENS1_27scan_by_key_config_selectorIiiEEZZNS1_16scan_by_key_implILNS1_25lookback_scan_determinismE0ELb1ES3_N6thrust23THRUST_200600_302600_NS6detail15normal_iteratorINS9_10device_ptrIiEEEESE_SE_iNS9_4plusIvEENS9_8equal_toIvEEiEE10hipError_tPvRmT2_T3_T4_T5_mT6_T7_P12ihipStream_tbENKUlT_T0_E_clISt17integral_constantIbLb0EESZ_EEDaSU_SV_EUlSU_E_NS1_11comp_targetILNS1_3genE10ELNS1_11target_archE1201ELNS1_3gpuE5ELNS1_3repE0EEENS1_30default_config_static_selectorELNS0_4arch9wavefront6targetE0EEEvT1_,"axG",@progbits,_ZN7rocprim17ROCPRIM_400000_NS6detail17trampoline_kernelINS0_14default_configENS1_27scan_by_key_config_selectorIiiEEZZNS1_16scan_by_key_implILNS1_25lookback_scan_determinismE0ELb1ES3_N6thrust23THRUST_200600_302600_NS6detail15normal_iteratorINS9_10device_ptrIiEEEESE_SE_iNS9_4plusIvEENS9_8equal_toIvEEiEE10hipError_tPvRmT2_T3_T4_T5_mT6_T7_P12ihipStream_tbENKUlT_T0_E_clISt17integral_constantIbLb0EESZ_EEDaSU_SV_EUlSU_E_NS1_11comp_targetILNS1_3genE10ELNS1_11target_archE1201ELNS1_3gpuE5ELNS1_3repE0EEENS1_30default_config_static_selectorELNS0_4arch9wavefront6targetE0EEEvT1_,comdat
	.protected	_ZN7rocprim17ROCPRIM_400000_NS6detail17trampoline_kernelINS0_14default_configENS1_27scan_by_key_config_selectorIiiEEZZNS1_16scan_by_key_implILNS1_25lookback_scan_determinismE0ELb1ES3_N6thrust23THRUST_200600_302600_NS6detail15normal_iteratorINS9_10device_ptrIiEEEESE_SE_iNS9_4plusIvEENS9_8equal_toIvEEiEE10hipError_tPvRmT2_T3_T4_T5_mT6_T7_P12ihipStream_tbENKUlT_T0_E_clISt17integral_constantIbLb0EESZ_EEDaSU_SV_EUlSU_E_NS1_11comp_targetILNS1_3genE10ELNS1_11target_archE1201ELNS1_3gpuE5ELNS1_3repE0EEENS1_30default_config_static_selectorELNS0_4arch9wavefront6targetE0EEEvT1_ ; -- Begin function _ZN7rocprim17ROCPRIM_400000_NS6detail17trampoline_kernelINS0_14default_configENS1_27scan_by_key_config_selectorIiiEEZZNS1_16scan_by_key_implILNS1_25lookback_scan_determinismE0ELb1ES3_N6thrust23THRUST_200600_302600_NS6detail15normal_iteratorINS9_10device_ptrIiEEEESE_SE_iNS9_4plusIvEENS9_8equal_toIvEEiEE10hipError_tPvRmT2_T3_T4_T5_mT6_T7_P12ihipStream_tbENKUlT_T0_E_clISt17integral_constantIbLb0EESZ_EEDaSU_SV_EUlSU_E_NS1_11comp_targetILNS1_3genE10ELNS1_11target_archE1201ELNS1_3gpuE5ELNS1_3repE0EEENS1_30default_config_static_selectorELNS0_4arch9wavefront6targetE0EEEvT1_
	.globl	_ZN7rocprim17ROCPRIM_400000_NS6detail17trampoline_kernelINS0_14default_configENS1_27scan_by_key_config_selectorIiiEEZZNS1_16scan_by_key_implILNS1_25lookback_scan_determinismE0ELb1ES3_N6thrust23THRUST_200600_302600_NS6detail15normal_iteratorINS9_10device_ptrIiEEEESE_SE_iNS9_4plusIvEENS9_8equal_toIvEEiEE10hipError_tPvRmT2_T3_T4_T5_mT6_T7_P12ihipStream_tbENKUlT_T0_E_clISt17integral_constantIbLb0EESZ_EEDaSU_SV_EUlSU_E_NS1_11comp_targetILNS1_3genE10ELNS1_11target_archE1201ELNS1_3gpuE5ELNS1_3repE0EEENS1_30default_config_static_selectorELNS0_4arch9wavefront6targetE0EEEvT1_
	.p2align	8
	.type	_ZN7rocprim17ROCPRIM_400000_NS6detail17trampoline_kernelINS0_14default_configENS1_27scan_by_key_config_selectorIiiEEZZNS1_16scan_by_key_implILNS1_25lookback_scan_determinismE0ELb1ES3_N6thrust23THRUST_200600_302600_NS6detail15normal_iteratorINS9_10device_ptrIiEEEESE_SE_iNS9_4plusIvEENS9_8equal_toIvEEiEE10hipError_tPvRmT2_T3_T4_T5_mT6_T7_P12ihipStream_tbENKUlT_T0_E_clISt17integral_constantIbLb0EESZ_EEDaSU_SV_EUlSU_E_NS1_11comp_targetILNS1_3genE10ELNS1_11target_archE1201ELNS1_3gpuE5ELNS1_3repE0EEENS1_30default_config_static_selectorELNS0_4arch9wavefront6targetE0EEEvT1_,@function
_ZN7rocprim17ROCPRIM_400000_NS6detail17trampoline_kernelINS0_14default_configENS1_27scan_by_key_config_selectorIiiEEZZNS1_16scan_by_key_implILNS1_25lookback_scan_determinismE0ELb1ES3_N6thrust23THRUST_200600_302600_NS6detail15normal_iteratorINS9_10device_ptrIiEEEESE_SE_iNS9_4plusIvEENS9_8equal_toIvEEiEE10hipError_tPvRmT2_T3_T4_T5_mT6_T7_P12ihipStream_tbENKUlT_T0_E_clISt17integral_constantIbLb0EESZ_EEDaSU_SV_EUlSU_E_NS1_11comp_targetILNS1_3genE10ELNS1_11target_archE1201ELNS1_3gpuE5ELNS1_3repE0EEENS1_30default_config_static_selectorELNS0_4arch9wavefront6targetE0EEEvT1_: ; @_ZN7rocprim17ROCPRIM_400000_NS6detail17trampoline_kernelINS0_14default_configENS1_27scan_by_key_config_selectorIiiEEZZNS1_16scan_by_key_implILNS1_25lookback_scan_determinismE0ELb1ES3_N6thrust23THRUST_200600_302600_NS6detail15normal_iteratorINS9_10device_ptrIiEEEESE_SE_iNS9_4plusIvEENS9_8equal_toIvEEiEE10hipError_tPvRmT2_T3_T4_T5_mT6_T7_P12ihipStream_tbENKUlT_T0_E_clISt17integral_constantIbLb0EESZ_EEDaSU_SV_EUlSU_E_NS1_11comp_targetILNS1_3genE10ELNS1_11target_archE1201ELNS1_3gpuE5ELNS1_3repE0EEENS1_30default_config_static_selectorELNS0_4arch9wavefront6targetE0EEEvT1_
; %bb.0:
	.section	.rodata,"a",@progbits
	.p2align	6, 0x0
	.amdhsa_kernel _ZN7rocprim17ROCPRIM_400000_NS6detail17trampoline_kernelINS0_14default_configENS1_27scan_by_key_config_selectorIiiEEZZNS1_16scan_by_key_implILNS1_25lookback_scan_determinismE0ELb1ES3_N6thrust23THRUST_200600_302600_NS6detail15normal_iteratorINS9_10device_ptrIiEEEESE_SE_iNS9_4plusIvEENS9_8equal_toIvEEiEE10hipError_tPvRmT2_T3_T4_T5_mT6_T7_P12ihipStream_tbENKUlT_T0_E_clISt17integral_constantIbLb0EESZ_EEDaSU_SV_EUlSU_E_NS1_11comp_targetILNS1_3genE10ELNS1_11target_archE1201ELNS1_3gpuE5ELNS1_3repE0EEENS1_30default_config_static_selectorELNS0_4arch9wavefront6targetE0EEEvT1_
		.amdhsa_group_segment_fixed_size 0
		.amdhsa_private_segment_fixed_size 0
		.amdhsa_kernarg_size 112
		.amdhsa_user_sgpr_count 2
		.amdhsa_user_sgpr_dispatch_ptr 0
		.amdhsa_user_sgpr_queue_ptr 0
		.amdhsa_user_sgpr_kernarg_segment_ptr 1
		.amdhsa_user_sgpr_dispatch_id 0
		.amdhsa_user_sgpr_kernarg_preload_length 0
		.amdhsa_user_sgpr_kernarg_preload_offset 0
		.amdhsa_user_sgpr_private_segment_size 0
		.amdhsa_wavefront_size32 1
		.amdhsa_uses_dynamic_stack 0
		.amdhsa_enable_private_segment 0
		.amdhsa_system_sgpr_workgroup_id_x 1
		.amdhsa_system_sgpr_workgroup_id_y 0
		.amdhsa_system_sgpr_workgroup_id_z 0
		.amdhsa_system_sgpr_workgroup_info 0
		.amdhsa_system_vgpr_workitem_id 0
		.amdhsa_next_free_vgpr 1
		.amdhsa_next_free_sgpr 1
		.amdhsa_named_barrier_count 0
		.amdhsa_reserve_vcc 0
		.amdhsa_float_round_mode_32 0
		.amdhsa_float_round_mode_16_64 0
		.amdhsa_float_denorm_mode_32 3
		.amdhsa_float_denorm_mode_16_64 3
		.amdhsa_fp16_overflow 0
		.amdhsa_memory_ordered 1
		.amdhsa_forward_progress 1
		.amdhsa_inst_pref_size 0
		.amdhsa_round_robin_scheduling 0
		.amdhsa_exception_fp_ieee_invalid_op 0
		.amdhsa_exception_fp_denorm_src 0
		.amdhsa_exception_fp_ieee_div_zero 0
		.amdhsa_exception_fp_ieee_overflow 0
		.amdhsa_exception_fp_ieee_underflow 0
		.amdhsa_exception_fp_ieee_inexact 0
		.amdhsa_exception_int_div_zero 0
	.end_amdhsa_kernel
	.section	.text._ZN7rocprim17ROCPRIM_400000_NS6detail17trampoline_kernelINS0_14default_configENS1_27scan_by_key_config_selectorIiiEEZZNS1_16scan_by_key_implILNS1_25lookback_scan_determinismE0ELb1ES3_N6thrust23THRUST_200600_302600_NS6detail15normal_iteratorINS9_10device_ptrIiEEEESE_SE_iNS9_4plusIvEENS9_8equal_toIvEEiEE10hipError_tPvRmT2_T3_T4_T5_mT6_T7_P12ihipStream_tbENKUlT_T0_E_clISt17integral_constantIbLb0EESZ_EEDaSU_SV_EUlSU_E_NS1_11comp_targetILNS1_3genE10ELNS1_11target_archE1201ELNS1_3gpuE5ELNS1_3repE0EEENS1_30default_config_static_selectorELNS0_4arch9wavefront6targetE0EEEvT1_,"axG",@progbits,_ZN7rocprim17ROCPRIM_400000_NS6detail17trampoline_kernelINS0_14default_configENS1_27scan_by_key_config_selectorIiiEEZZNS1_16scan_by_key_implILNS1_25lookback_scan_determinismE0ELb1ES3_N6thrust23THRUST_200600_302600_NS6detail15normal_iteratorINS9_10device_ptrIiEEEESE_SE_iNS9_4plusIvEENS9_8equal_toIvEEiEE10hipError_tPvRmT2_T3_T4_T5_mT6_T7_P12ihipStream_tbENKUlT_T0_E_clISt17integral_constantIbLb0EESZ_EEDaSU_SV_EUlSU_E_NS1_11comp_targetILNS1_3genE10ELNS1_11target_archE1201ELNS1_3gpuE5ELNS1_3repE0EEENS1_30default_config_static_selectorELNS0_4arch9wavefront6targetE0EEEvT1_,comdat
.Lfunc_end462:
	.size	_ZN7rocprim17ROCPRIM_400000_NS6detail17trampoline_kernelINS0_14default_configENS1_27scan_by_key_config_selectorIiiEEZZNS1_16scan_by_key_implILNS1_25lookback_scan_determinismE0ELb1ES3_N6thrust23THRUST_200600_302600_NS6detail15normal_iteratorINS9_10device_ptrIiEEEESE_SE_iNS9_4plusIvEENS9_8equal_toIvEEiEE10hipError_tPvRmT2_T3_T4_T5_mT6_T7_P12ihipStream_tbENKUlT_T0_E_clISt17integral_constantIbLb0EESZ_EEDaSU_SV_EUlSU_E_NS1_11comp_targetILNS1_3genE10ELNS1_11target_archE1201ELNS1_3gpuE5ELNS1_3repE0EEENS1_30default_config_static_selectorELNS0_4arch9wavefront6targetE0EEEvT1_, .Lfunc_end462-_ZN7rocprim17ROCPRIM_400000_NS6detail17trampoline_kernelINS0_14default_configENS1_27scan_by_key_config_selectorIiiEEZZNS1_16scan_by_key_implILNS1_25lookback_scan_determinismE0ELb1ES3_N6thrust23THRUST_200600_302600_NS6detail15normal_iteratorINS9_10device_ptrIiEEEESE_SE_iNS9_4plusIvEENS9_8equal_toIvEEiEE10hipError_tPvRmT2_T3_T4_T5_mT6_T7_P12ihipStream_tbENKUlT_T0_E_clISt17integral_constantIbLb0EESZ_EEDaSU_SV_EUlSU_E_NS1_11comp_targetILNS1_3genE10ELNS1_11target_archE1201ELNS1_3gpuE5ELNS1_3repE0EEENS1_30default_config_static_selectorELNS0_4arch9wavefront6targetE0EEEvT1_
                                        ; -- End function
	.set _ZN7rocprim17ROCPRIM_400000_NS6detail17trampoline_kernelINS0_14default_configENS1_27scan_by_key_config_selectorIiiEEZZNS1_16scan_by_key_implILNS1_25lookback_scan_determinismE0ELb1ES3_N6thrust23THRUST_200600_302600_NS6detail15normal_iteratorINS9_10device_ptrIiEEEESE_SE_iNS9_4plusIvEENS9_8equal_toIvEEiEE10hipError_tPvRmT2_T3_T4_T5_mT6_T7_P12ihipStream_tbENKUlT_T0_E_clISt17integral_constantIbLb0EESZ_EEDaSU_SV_EUlSU_E_NS1_11comp_targetILNS1_3genE10ELNS1_11target_archE1201ELNS1_3gpuE5ELNS1_3repE0EEENS1_30default_config_static_selectorELNS0_4arch9wavefront6targetE0EEEvT1_.num_vgpr, 0
	.set _ZN7rocprim17ROCPRIM_400000_NS6detail17trampoline_kernelINS0_14default_configENS1_27scan_by_key_config_selectorIiiEEZZNS1_16scan_by_key_implILNS1_25lookback_scan_determinismE0ELb1ES3_N6thrust23THRUST_200600_302600_NS6detail15normal_iteratorINS9_10device_ptrIiEEEESE_SE_iNS9_4plusIvEENS9_8equal_toIvEEiEE10hipError_tPvRmT2_T3_T4_T5_mT6_T7_P12ihipStream_tbENKUlT_T0_E_clISt17integral_constantIbLb0EESZ_EEDaSU_SV_EUlSU_E_NS1_11comp_targetILNS1_3genE10ELNS1_11target_archE1201ELNS1_3gpuE5ELNS1_3repE0EEENS1_30default_config_static_selectorELNS0_4arch9wavefront6targetE0EEEvT1_.num_agpr, 0
	.set _ZN7rocprim17ROCPRIM_400000_NS6detail17trampoline_kernelINS0_14default_configENS1_27scan_by_key_config_selectorIiiEEZZNS1_16scan_by_key_implILNS1_25lookback_scan_determinismE0ELb1ES3_N6thrust23THRUST_200600_302600_NS6detail15normal_iteratorINS9_10device_ptrIiEEEESE_SE_iNS9_4plusIvEENS9_8equal_toIvEEiEE10hipError_tPvRmT2_T3_T4_T5_mT6_T7_P12ihipStream_tbENKUlT_T0_E_clISt17integral_constantIbLb0EESZ_EEDaSU_SV_EUlSU_E_NS1_11comp_targetILNS1_3genE10ELNS1_11target_archE1201ELNS1_3gpuE5ELNS1_3repE0EEENS1_30default_config_static_selectorELNS0_4arch9wavefront6targetE0EEEvT1_.numbered_sgpr, 0
	.set _ZN7rocprim17ROCPRIM_400000_NS6detail17trampoline_kernelINS0_14default_configENS1_27scan_by_key_config_selectorIiiEEZZNS1_16scan_by_key_implILNS1_25lookback_scan_determinismE0ELb1ES3_N6thrust23THRUST_200600_302600_NS6detail15normal_iteratorINS9_10device_ptrIiEEEESE_SE_iNS9_4plusIvEENS9_8equal_toIvEEiEE10hipError_tPvRmT2_T3_T4_T5_mT6_T7_P12ihipStream_tbENKUlT_T0_E_clISt17integral_constantIbLb0EESZ_EEDaSU_SV_EUlSU_E_NS1_11comp_targetILNS1_3genE10ELNS1_11target_archE1201ELNS1_3gpuE5ELNS1_3repE0EEENS1_30default_config_static_selectorELNS0_4arch9wavefront6targetE0EEEvT1_.num_named_barrier, 0
	.set _ZN7rocprim17ROCPRIM_400000_NS6detail17trampoline_kernelINS0_14default_configENS1_27scan_by_key_config_selectorIiiEEZZNS1_16scan_by_key_implILNS1_25lookback_scan_determinismE0ELb1ES3_N6thrust23THRUST_200600_302600_NS6detail15normal_iteratorINS9_10device_ptrIiEEEESE_SE_iNS9_4plusIvEENS9_8equal_toIvEEiEE10hipError_tPvRmT2_T3_T4_T5_mT6_T7_P12ihipStream_tbENKUlT_T0_E_clISt17integral_constantIbLb0EESZ_EEDaSU_SV_EUlSU_E_NS1_11comp_targetILNS1_3genE10ELNS1_11target_archE1201ELNS1_3gpuE5ELNS1_3repE0EEENS1_30default_config_static_selectorELNS0_4arch9wavefront6targetE0EEEvT1_.private_seg_size, 0
	.set _ZN7rocprim17ROCPRIM_400000_NS6detail17trampoline_kernelINS0_14default_configENS1_27scan_by_key_config_selectorIiiEEZZNS1_16scan_by_key_implILNS1_25lookback_scan_determinismE0ELb1ES3_N6thrust23THRUST_200600_302600_NS6detail15normal_iteratorINS9_10device_ptrIiEEEESE_SE_iNS9_4plusIvEENS9_8equal_toIvEEiEE10hipError_tPvRmT2_T3_T4_T5_mT6_T7_P12ihipStream_tbENKUlT_T0_E_clISt17integral_constantIbLb0EESZ_EEDaSU_SV_EUlSU_E_NS1_11comp_targetILNS1_3genE10ELNS1_11target_archE1201ELNS1_3gpuE5ELNS1_3repE0EEENS1_30default_config_static_selectorELNS0_4arch9wavefront6targetE0EEEvT1_.uses_vcc, 0
	.set _ZN7rocprim17ROCPRIM_400000_NS6detail17trampoline_kernelINS0_14default_configENS1_27scan_by_key_config_selectorIiiEEZZNS1_16scan_by_key_implILNS1_25lookback_scan_determinismE0ELb1ES3_N6thrust23THRUST_200600_302600_NS6detail15normal_iteratorINS9_10device_ptrIiEEEESE_SE_iNS9_4plusIvEENS9_8equal_toIvEEiEE10hipError_tPvRmT2_T3_T4_T5_mT6_T7_P12ihipStream_tbENKUlT_T0_E_clISt17integral_constantIbLb0EESZ_EEDaSU_SV_EUlSU_E_NS1_11comp_targetILNS1_3genE10ELNS1_11target_archE1201ELNS1_3gpuE5ELNS1_3repE0EEENS1_30default_config_static_selectorELNS0_4arch9wavefront6targetE0EEEvT1_.uses_flat_scratch, 0
	.set _ZN7rocprim17ROCPRIM_400000_NS6detail17trampoline_kernelINS0_14default_configENS1_27scan_by_key_config_selectorIiiEEZZNS1_16scan_by_key_implILNS1_25lookback_scan_determinismE0ELb1ES3_N6thrust23THRUST_200600_302600_NS6detail15normal_iteratorINS9_10device_ptrIiEEEESE_SE_iNS9_4plusIvEENS9_8equal_toIvEEiEE10hipError_tPvRmT2_T3_T4_T5_mT6_T7_P12ihipStream_tbENKUlT_T0_E_clISt17integral_constantIbLb0EESZ_EEDaSU_SV_EUlSU_E_NS1_11comp_targetILNS1_3genE10ELNS1_11target_archE1201ELNS1_3gpuE5ELNS1_3repE0EEENS1_30default_config_static_selectorELNS0_4arch9wavefront6targetE0EEEvT1_.has_dyn_sized_stack, 0
	.set _ZN7rocprim17ROCPRIM_400000_NS6detail17trampoline_kernelINS0_14default_configENS1_27scan_by_key_config_selectorIiiEEZZNS1_16scan_by_key_implILNS1_25lookback_scan_determinismE0ELb1ES3_N6thrust23THRUST_200600_302600_NS6detail15normal_iteratorINS9_10device_ptrIiEEEESE_SE_iNS9_4plusIvEENS9_8equal_toIvEEiEE10hipError_tPvRmT2_T3_T4_T5_mT6_T7_P12ihipStream_tbENKUlT_T0_E_clISt17integral_constantIbLb0EESZ_EEDaSU_SV_EUlSU_E_NS1_11comp_targetILNS1_3genE10ELNS1_11target_archE1201ELNS1_3gpuE5ELNS1_3repE0EEENS1_30default_config_static_selectorELNS0_4arch9wavefront6targetE0EEEvT1_.has_recursion, 0
	.set _ZN7rocprim17ROCPRIM_400000_NS6detail17trampoline_kernelINS0_14default_configENS1_27scan_by_key_config_selectorIiiEEZZNS1_16scan_by_key_implILNS1_25lookback_scan_determinismE0ELb1ES3_N6thrust23THRUST_200600_302600_NS6detail15normal_iteratorINS9_10device_ptrIiEEEESE_SE_iNS9_4plusIvEENS9_8equal_toIvEEiEE10hipError_tPvRmT2_T3_T4_T5_mT6_T7_P12ihipStream_tbENKUlT_T0_E_clISt17integral_constantIbLb0EESZ_EEDaSU_SV_EUlSU_E_NS1_11comp_targetILNS1_3genE10ELNS1_11target_archE1201ELNS1_3gpuE5ELNS1_3repE0EEENS1_30default_config_static_selectorELNS0_4arch9wavefront6targetE0EEEvT1_.has_indirect_call, 0
	.section	.AMDGPU.csdata,"",@progbits
; Kernel info:
; codeLenInByte = 0
; TotalNumSgprs: 0
; NumVgprs: 0
; ScratchSize: 0
; MemoryBound: 0
; FloatMode: 240
; IeeeMode: 1
; LDSByteSize: 0 bytes/workgroup (compile time only)
; SGPRBlocks: 0
; VGPRBlocks: 0
; NumSGPRsForWavesPerEU: 1
; NumVGPRsForWavesPerEU: 1
; NamedBarCnt: 0
; Occupancy: 16
; WaveLimiterHint : 0
; COMPUTE_PGM_RSRC2:SCRATCH_EN: 0
; COMPUTE_PGM_RSRC2:USER_SGPR: 2
; COMPUTE_PGM_RSRC2:TRAP_HANDLER: 0
; COMPUTE_PGM_RSRC2:TGID_X_EN: 1
; COMPUTE_PGM_RSRC2:TGID_Y_EN: 0
; COMPUTE_PGM_RSRC2:TGID_Z_EN: 0
; COMPUTE_PGM_RSRC2:TIDIG_COMP_CNT: 0
	.section	.text._ZN7rocprim17ROCPRIM_400000_NS6detail17trampoline_kernelINS0_14default_configENS1_27scan_by_key_config_selectorIiiEEZZNS1_16scan_by_key_implILNS1_25lookback_scan_determinismE0ELb1ES3_N6thrust23THRUST_200600_302600_NS6detail15normal_iteratorINS9_10device_ptrIiEEEESE_SE_iNS9_4plusIvEENS9_8equal_toIvEEiEE10hipError_tPvRmT2_T3_T4_T5_mT6_T7_P12ihipStream_tbENKUlT_T0_E_clISt17integral_constantIbLb0EESZ_EEDaSU_SV_EUlSU_E_NS1_11comp_targetILNS1_3genE5ELNS1_11target_archE942ELNS1_3gpuE9ELNS1_3repE0EEENS1_30default_config_static_selectorELNS0_4arch9wavefront6targetE0EEEvT1_,"axG",@progbits,_ZN7rocprim17ROCPRIM_400000_NS6detail17trampoline_kernelINS0_14default_configENS1_27scan_by_key_config_selectorIiiEEZZNS1_16scan_by_key_implILNS1_25lookback_scan_determinismE0ELb1ES3_N6thrust23THRUST_200600_302600_NS6detail15normal_iteratorINS9_10device_ptrIiEEEESE_SE_iNS9_4plusIvEENS9_8equal_toIvEEiEE10hipError_tPvRmT2_T3_T4_T5_mT6_T7_P12ihipStream_tbENKUlT_T0_E_clISt17integral_constantIbLb0EESZ_EEDaSU_SV_EUlSU_E_NS1_11comp_targetILNS1_3genE5ELNS1_11target_archE942ELNS1_3gpuE9ELNS1_3repE0EEENS1_30default_config_static_selectorELNS0_4arch9wavefront6targetE0EEEvT1_,comdat
	.protected	_ZN7rocprim17ROCPRIM_400000_NS6detail17trampoline_kernelINS0_14default_configENS1_27scan_by_key_config_selectorIiiEEZZNS1_16scan_by_key_implILNS1_25lookback_scan_determinismE0ELb1ES3_N6thrust23THRUST_200600_302600_NS6detail15normal_iteratorINS9_10device_ptrIiEEEESE_SE_iNS9_4plusIvEENS9_8equal_toIvEEiEE10hipError_tPvRmT2_T3_T4_T5_mT6_T7_P12ihipStream_tbENKUlT_T0_E_clISt17integral_constantIbLb0EESZ_EEDaSU_SV_EUlSU_E_NS1_11comp_targetILNS1_3genE5ELNS1_11target_archE942ELNS1_3gpuE9ELNS1_3repE0EEENS1_30default_config_static_selectorELNS0_4arch9wavefront6targetE0EEEvT1_ ; -- Begin function _ZN7rocprim17ROCPRIM_400000_NS6detail17trampoline_kernelINS0_14default_configENS1_27scan_by_key_config_selectorIiiEEZZNS1_16scan_by_key_implILNS1_25lookback_scan_determinismE0ELb1ES3_N6thrust23THRUST_200600_302600_NS6detail15normal_iteratorINS9_10device_ptrIiEEEESE_SE_iNS9_4plusIvEENS9_8equal_toIvEEiEE10hipError_tPvRmT2_T3_T4_T5_mT6_T7_P12ihipStream_tbENKUlT_T0_E_clISt17integral_constantIbLb0EESZ_EEDaSU_SV_EUlSU_E_NS1_11comp_targetILNS1_3genE5ELNS1_11target_archE942ELNS1_3gpuE9ELNS1_3repE0EEENS1_30default_config_static_selectorELNS0_4arch9wavefront6targetE0EEEvT1_
	.globl	_ZN7rocprim17ROCPRIM_400000_NS6detail17trampoline_kernelINS0_14default_configENS1_27scan_by_key_config_selectorIiiEEZZNS1_16scan_by_key_implILNS1_25lookback_scan_determinismE0ELb1ES3_N6thrust23THRUST_200600_302600_NS6detail15normal_iteratorINS9_10device_ptrIiEEEESE_SE_iNS9_4plusIvEENS9_8equal_toIvEEiEE10hipError_tPvRmT2_T3_T4_T5_mT6_T7_P12ihipStream_tbENKUlT_T0_E_clISt17integral_constantIbLb0EESZ_EEDaSU_SV_EUlSU_E_NS1_11comp_targetILNS1_3genE5ELNS1_11target_archE942ELNS1_3gpuE9ELNS1_3repE0EEENS1_30default_config_static_selectorELNS0_4arch9wavefront6targetE0EEEvT1_
	.p2align	8
	.type	_ZN7rocprim17ROCPRIM_400000_NS6detail17trampoline_kernelINS0_14default_configENS1_27scan_by_key_config_selectorIiiEEZZNS1_16scan_by_key_implILNS1_25lookback_scan_determinismE0ELb1ES3_N6thrust23THRUST_200600_302600_NS6detail15normal_iteratorINS9_10device_ptrIiEEEESE_SE_iNS9_4plusIvEENS9_8equal_toIvEEiEE10hipError_tPvRmT2_T3_T4_T5_mT6_T7_P12ihipStream_tbENKUlT_T0_E_clISt17integral_constantIbLb0EESZ_EEDaSU_SV_EUlSU_E_NS1_11comp_targetILNS1_3genE5ELNS1_11target_archE942ELNS1_3gpuE9ELNS1_3repE0EEENS1_30default_config_static_selectorELNS0_4arch9wavefront6targetE0EEEvT1_,@function
_ZN7rocprim17ROCPRIM_400000_NS6detail17trampoline_kernelINS0_14default_configENS1_27scan_by_key_config_selectorIiiEEZZNS1_16scan_by_key_implILNS1_25lookback_scan_determinismE0ELb1ES3_N6thrust23THRUST_200600_302600_NS6detail15normal_iteratorINS9_10device_ptrIiEEEESE_SE_iNS9_4plusIvEENS9_8equal_toIvEEiEE10hipError_tPvRmT2_T3_T4_T5_mT6_T7_P12ihipStream_tbENKUlT_T0_E_clISt17integral_constantIbLb0EESZ_EEDaSU_SV_EUlSU_E_NS1_11comp_targetILNS1_3genE5ELNS1_11target_archE942ELNS1_3gpuE9ELNS1_3repE0EEENS1_30default_config_static_selectorELNS0_4arch9wavefront6targetE0EEEvT1_: ; @_ZN7rocprim17ROCPRIM_400000_NS6detail17trampoline_kernelINS0_14default_configENS1_27scan_by_key_config_selectorIiiEEZZNS1_16scan_by_key_implILNS1_25lookback_scan_determinismE0ELb1ES3_N6thrust23THRUST_200600_302600_NS6detail15normal_iteratorINS9_10device_ptrIiEEEESE_SE_iNS9_4plusIvEENS9_8equal_toIvEEiEE10hipError_tPvRmT2_T3_T4_T5_mT6_T7_P12ihipStream_tbENKUlT_T0_E_clISt17integral_constantIbLb0EESZ_EEDaSU_SV_EUlSU_E_NS1_11comp_targetILNS1_3genE5ELNS1_11target_archE942ELNS1_3gpuE9ELNS1_3repE0EEENS1_30default_config_static_selectorELNS0_4arch9wavefront6targetE0EEEvT1_
; %bb.0:
	.section	.rodata,"a",@progbits
	.p2align	6, 0x0
	.amdhsa_kernel _ZN7rocprim17ROCPRIM_400000_NS6detail17trampoline_kernelINS0_14default_configENS1_27scan_by_key_config_selectorIiiEEZZNS1_16scan_by_key_implILNS1_25lookback_scan_determinismE0ELb1ES3_N6thrust23THRUST_200600_302600_NS6detail15normal_iteratorINS9_10device_ptrIiEEEESE_SE_iNS9_4plusIvEENS9_8equal_toIvEEiEE10hipError_tPvRmT2_T3_T4_T5_mT6_T7_P12ihipStream_tbENKUlT_T0_E_clISt17integral_constantIbLb0EESZ_EEDaSU_SV_EUlSU_E_NS1_11comp_targetILNS1_3genE5ELNS1_11target_archE942ELNS1_3gpuE9ELNS1_3repE0EEENS1_30default_config_static_selectorELNS0_4arch9wavefront6targetE0EEEvT1_
		.amdhsa_group_segment_fixed_size 0
		.amdhsa_private_segment_fixed_size 0
		.amdhsa_kernarg_size 112
		.amdhsa_user_sgpr_count 2
		.amdhsa_user_sgpr_dispatch_ptr 0
		.amdhsa_user_sgpr_queue_ptr 0
		.amdhsa_user_sgpr_kernarg_segment_ptr 1
		.amdhsa_user_sgpr_dispatch_id 0
		.amdhsa_user_sgpr_kernarg_preload_length 0
		.amdhsa_user_sgpr_kernarg_preload_offset 0
		.amdhsa_user_sgpr_private_segment_size 0
		.amdhsa_wavefront_size32 1
		.amdhsa_uses_dynamic_stack 0
		.amdhsa_enable_private_segment 0
		.amdhsa_system_sgpr_workgroup_id_x 1
		.amdhsa_system_sgpr_workgroup_id_y 0
		.amdhsa_system_sgpr_workgroup_id_z 0
		.amdhsa_system_sgpr_workgroup_info 0
		.amdhsa_system_vgpr_workitem_id 0
		.amdhsa_next_free_vgpr 1
		.amdhsa_next_free_sgpr 1
		.amdhsa_named_barrier_count 0
		.amdhsa_reserve_vcc 0
		.amdhsa_float_round_mode_32 0
		.amdhsa_float_round_mode_16_64 0
		.amdhsa_float_denorm_mode_32 3
		.amdhsa_float_denorm_mode_16_64 3
		.amdhsa_fp16_overflow 0
		.amdhsa_memory_ordered 1
		.amdhsa_forward_progress 1
		.amdhsa_inst_pref_size 0
		.amdhsa_round_robin_scheduling 0
		.amdhsa_exception_fp_ieee_invalid_op 0
		.amdhsa_exception_fp_denorm_src 0
		.amdhsa_exception_fp_ieee_div_zero 0
		.amdhsa_exception_fp_ieee_overflow 0
		.amdhsa_exception_fp_ieee_underflow 0
		.amdhsa_exception_fp_ieee_inexact 0
		.amdhsa_exception_int_div_zero 0
	.end_amdhsa_kernel
	.section	.text._ZN7rocprim17ROCPRIM_400000_NS6detail17trampoline_kernelINS0_14default_configENS1_27scan_by_key_config_selectorIiiEEZZNS1_16scan_by_key_implILNS1_25lookback_scan_determinismE0ELb1ES3_N6thrust23THRUST_200600_302600_NS6detail15normal_iteratorINS9_10device_ptrIiEEEESE_SE_iNS9_4plusIvEENS9_8equal_toIvEEiEE10hipError_tPvRmT2_T3_T4_T5_mT6_T7_P12ihipStream_tbENKUlT_T0_E_clISt17integral_constantIbLb0EESZ_EEDaSU_SV_EUlSU_E_NS1_11comp_targetILNS1_3genE5ELNS1_11target_archE942ELNS1_3gpuE9ELNS1_3repE0EEENS1_30default_config_static_selectorELNS0_4arch9wavefront6targetE0EEEvT1_,"axG",@progbits,_ZN7rocprim17ROCPRIM_400000_NS6detail17trampoline_kernelINS0_14default_configENS1_27scan_by_key_config_selectorIiiEEZZNS1_16scan_by_key_implILNS1_25lookback_scan_determinismE0ELb1ES3_N6thrust23THRUST_200600_302600_NS6detail15normal_iteratorINS9_10device_ptrIiEEEESE_SE_iNS9_4plusIvEENS9_8equal_toIvEEiEE10hipError_tPvRmT2_T3_T4_T5_mT6_T7_P12ihipStream_tbENKUlT_T0_E_clISt17integral_constantIbLb0EESZ_EEDaSU_SV_EUlSU_E_NS1_11comp_targetILNS1_3genE5ELNS1_11target_archE942ELNS1_3gpuE9ELNS1_3repE0EEENS1_30default_config_static_selectorELNS0_4arch9wavefront6targetE0EEEvT1_,comdat
.Lfunc_end463:
	.size	_ZN7rocprim17ROCPRIM_400000_NS6detail17trampoline_kernelINS0_14default_configENS1_27scan_by_key_config_selectorIiiEEZZNS1_16scan_by_key_implILNS1_25lookback_scan_determinismE0ELb1ES3_N6thrust23THRUST_200600_302600_NS6detail15normal_iteratorINS9_10device_ptrIiEEEESE_SE_iNS9_4plusIvEENS9_8equal_toIvEEiEE10hipError_tPvRmT2_T3_T4_T5_mT6_T7_P12ihipStream_tbENKUlT_T0_E_clISt17integral_constantIbLb0EESZ_EEDaSU_SV_EUlSU_E_NS1_11comp_targetILNS1_3genE5ELNS1_11target_archE942ELNS1_3gpuE9ELNS1_3repE0EEENS1_30default_config_static_selectorELNS0_4arch9wavefront6targetE0EEEvT1_, .Lfunc_end463-_ZN7rocprim17ROCPRIM_400000_NS6detail17trampoline_kernelINS0_14default_configENS1_27scan_by_key_config_selectorIiiEEZZNS1_16scan_by_key_implILNS1_25lookback_scan_determinismE0ELb1ES3_N6thrust23THRUST_200600_302600_NS6detail15normal_iteratorINS9_10device_ptrIiEEEESE_SE_iNS9_4plusIvEENS9_8equal_toIvEEiEE10hipError_tPvRmT2_T3_T4_T5_mT6_T7_P12ihipStream_tbENKUlT_T0_E_clISt17integral_constantIbLb0EESZ_EEDaSU_SV_EUlSU_E_NS1_11comp_targetILNS1_3genE5ELNS1_11target_archE942ELNS1_3gpuE9ELNS1_3repE0EEENS1_30default_config_static_selectorELNS0_4arch9wavefront6targetE0EEEvT1_
                                        ; -- End function
	.set _ZN7rocprim17ROCPRIM_400000_NS6detail17trampoline_kernelINS0_14default_configENS1_27scan_by_key_config_selectorIiiEEZZNS1_16scan_by_key_implILNS1_25lookback_scan_determinismE0ELb1ES3_N6thrust23THRUST_200600_302600_NS6detail15normal_iteratorINS9_10device_ptrIiEEEESE_SE_iNS9_4plusIvEENS9_8equal_toIvEEiEE10hipError_tPvRmT2_T3_T4_T5_mT6_T7_P12ihipStream_tbENKUlT_T0_E_clISt17integral_constantIbLb0EESZ_EEDaSU_SV_EUlSU_E_NS1_11comp_targetILNS1_3genE5ELNS1_11target_archE942ELNS1_3gpuE9ELNS1_3repE0EEENS1_30default_config_static_selectorELNS0_4arch9wavefront6targetE0EEEvT1_.num_vgpr, 0
	.set _ZN7rocprim17ROCPRIM_400000_NS6detail17trampoline_kernelINS0_14default_configENS1_27scan_by_key_config_selectorIiiEEZZNS1_16scan_by_key_implILNS1_25lookback_scan_determinismE0ELb1ES3_N6thrust23THRUST_200600_302600_NS6detail15normal_iteratorINS9_10device_ptrIiEEEESE_SE_iNS9_4plusIvEENS9_8equal_toIvEEiEE10hipError_tPvRmT2_T3_T4_T5_mT6_T7_P12ihipStream_tbENKUlT_T0_E_clISt17integral_constantIbLb0EESZ_EEDaSU_SV_EUlSU_E_NS1_11comp_targetILNS1_3genE5ELNS1_11target_archE942ELNS1_3gpuE9ELNS1_3repE0EEENS1_30default_config_static_selectorELNS0_4arch9wavefront6targetE0EEEvT1_.num_agpr, 0
	.set _ZN7rocprim17ROCPRIM_400000_NS6detail17trampoline_kernelINS0_14default_configENS1_27scan_by_key_config_selectorIiiEEZZNS1_16scan_by_key_implILNS1_25lookback_scan_determinismE0ELb1ES3_N6thrust23THRUST_200600_302600_NS6detail15normal_iteratorINS9_10device_ptrIiEEEESE_SE_iNS9_4plusIvEENS9_8equal_toIvEEiEE10hipError_tPvRmT2_T3_T4_T5_mT6_T7_P12ihipStream_tbENKUlT_T0_E_clISt17integral_constantIbLb0EESZ_EEDaSU_SV_EUlSU_E_NS1_11comp_targetILNS1_3genE5ELNS1_11target_archE942ELNS1_3gpuE9ELNS1_3repE0EEENS1_30default_config_static_selectorELNS0_4arch9wavefront6targetE0EEEvT1_.numbered_sgpr, 0
	.set _ZN7rocprim17ROCPRIM_400000_NS6detail17trampoline_kernelINS0_14default_configENS1_27scan_by_key_config_selectorIiiEEZZNS1_16scan_by_key_implILNS1_25lookback_scan_determinismE0ELb1ES3_N6thrust23THRUST_200600_302600_NS6detail15normal_iteratorINS9_10device_ptrIiEEEESE_SE_iNS9_4plusIvEENS9_8equal_toIvEEiEE10hipError_tPvRmT2_T3_T4_T5_mT6_T7_P12ihipStream_tbENKUlT_T0_E_clISt17integral_constantIbLb0EESZ_EEDaSU_SV_EUlSU_E_NS1_11comp_targetILNS1_3genE5ELNS1_11target_archE942ELNS1_3gpuE9ELNS1_3repE0EEENS1_30default_config_static_selectorELNS0_4arch9wavefront6targetE0EEEvT1_.num_named_barrier, 0
	.set _ZN7rocprim17ROCPRIM_400000_NS6detail17trampoline_kernelINS0_14default_configENS1_27scan_by_key_config_selectorIiiEEZZNS1_16scan_by_key_implILNS1_25lookback_scan_determinismE0ELb1ES3_N6thrust23THRUST_200600_302600_NS6detail15normal_iteratorINS9_10device_ptrIiEEEESE_SE_iNS9_4plusIvEENS9_8equal_toIvEEiEE10hipError_tPvRmT2_T3_T4_T5_mT6_T7_P12ihipStream_tbENKUlT_T0_E_clISt17integral_constantIbLb0EESZ_EEDaSU_SV_EUlSU_E_NS1_11comp_targetILNS1_3genE5ELNS1_11target_archE942ELNS1_3gpuE9ELNS1_3repE0EEENS1_30default_config_static_selectorELNS0_4arch9wavefront6targetE0EEEvT1_.private_seg_size, 0
	.set _ZN7rocprim17ROCPRIM_400000_NS6detail17trampoline_kernelINS0_14default_configENS1_27scan_by_key_config_selectorIiiEEZZNS1_16scan_by_key_implILNS1_25lookback_scan_determinismE0ELb1ES3_N6thrust23THRUST_200600_302600_NS6detail15normal_iteratorINS9_10device_ptrIiEEEESE_SE_iNS9_4plusIvEENS9_8equal_toIvEEiEE10hipError_tPvRmT2_T3_T4_T5_mT6_T7_P12ihipStream_tbENKUlT_T0_E_clISt17integral_constantIbLb0EESZ_EEDaSU_SV_EUlSU_E_NS1_11comp_targetILNS1_3genE5ELNS1_11target_archE942ELNS1_3gpuE9ELNS1_3repE0EEENS1_30default_config_static_selectorELNS0_4arch9wavefront6targetE0EEEvT1_.uses_vcc, 0
	.set _ZN7rocprim17ROCPRIM_400000_NS6detail17trampoline_kernelINS0_14default_configENS1_27scan_by_key_config_selectorIiiEEZZNS1_16scan_by_key_implILNS1_25lookback_scan_determinismE0ELb1ES3_N6thrust23THRUST_200600_302600_NS6detail15normal_iteratorINS9_10device_ptrIiEEEESE_SE_iNS9_4plusIvEENS9_8equal_toIvEEiEE10hipError_tPvRmT2_T3_T4_T5_mT6_T7_P12ihipStream_tbENKUlT_T0_E_clISt17integral_constantIbLb0EESZ_EEDaSU_SV_EUlSU_E_NS1_11comp_targetILNS1_3genE5ELNS1_11target_archE942ELNS1_3gpuE9ELNS1_3repE0EEENS1_30default_config_static_selectorELNS0_4arch9wavefront6targetE0EEEvT1_.uses_flat_scratch, 0
	.set _ZN7rocprim17ROCPRIM_400000_NS6detail17trampoline_kernelINS0_14default_configENS1_27scan_by_key_config_selectorIiiEEZZNS1_16scan_by_key_implILNS1_25lookback_scan_determinismE0ELb1ES3_N6thrust23THRUST_200600_302600_NS6detail15normal_iteratorINS9_10device_ptrIiEEEESE_SE_iNS9_4plusIvEENS9_8equal_toIvEEiEE10hipError_tPvRmT2_T3_T4_T5_mT6_T7_P12ihipStream_tbENKUlT_T0_E_clISt17integral_constantIbLb0EESZ_EEDaSU_SV_EUlSU_E_NS1_11comp_targetILNS1_3genE5ELNS1_11target_archE942ELNS1_3gpuE9ELNS1_3repE0EEENS1_30default_config_static_selectorELNS0_4arch9wavefront6targetE0EEEvT1_.has_dyn_sized_stack, 0
	.set _ZN7rocprim17ROCPRIM_400000_NS6detail17trampoline_kernelINS0_14default_configENS1_27scan_by_key_config_selectorIiiEEZZNS1_16scan_by_key_implILNS1_25lookback_scan_determinismE0ELb1ES3_N6thrust23THRUST_200600_302600_NS6detail15normal_iteratorINS9_10device_ptrIiEEEESE_SE_iNS9_4plusIvEENS9_8equal_toIvEEiEE10hipError_tPvRmT2_T3_T4_T5_mT6_T7_P12ihipStream_tbENKUlT_T0_E_clISt17integral_constantIbLb0EESZ_EEDaSU_SV_EUlSU_E_NS1_11comp_targetILNS1_3genE5ELNS1_11target_archE942ELNS1_3gpuE9ELNS1_3repE0EEENS1_30default_config_static_selectorELNS0_4arch9wavefront6targetE0EEEvT1_.has_recursion, 0
	.set _ZN7rocprim17ROCPRIM_400000_NS6detail17trampoline_kernelINS0_14default_configENS1_27scan_by_key_config_selectorIiiEEZZNS1_16scan_by_key_implILNS1_25lookback_scan_determinismE0ELb1ES3_N6thrust23THRUST_200600_302600_NS6detail15normal_iteratorINS9_10device_ptrIiEEEESE_SE_iNS9_4plusIvEENS9_8equal_toIvEEiEE10hipError_tPvRmT2_T3_T4_T5_mT6_T7_P12ihipStream_tbENKUlT_T0_E_clISt17integral_constantIbLb0EESZ_EEDaSU_SV_EUlSU_E_NS1_11comp_targetILNS1_3genE5ELNS1_11target_archE942ELNS1_3gpuE9ELNS1_3repE0EEENS1_30default_config_static_selectorELNS0_4arch9wavefront6targetE0EEEvT1_.has_indirect_call, 0
	.section	.AMDGPU.csdata,"",@progbits
; Kernel info:
; codeLenInByte = 0
; TotalNumSgprs: 0
; NumVgprs: 0
; ScratchSize: 0
; MemoryBound: 0
; FloatMode: 240
; IeeeMode: 1
; LDSByteSize: 0 bytes/workgroup (compile time only)
; SGPRBlocks: 0
; VGPRBlocks: 0
; NumSGPRsForWavesPerEU: 1
; NumVGPRsForWavesPerEU: 1
; NamedBarCnt: 0
; Occupancy: 16
; WaveLimiterHint : 0
; COMPUTE_PGM_RSRC2:SCRATCH_EN: 0
; COMPUTE_PGM_RSRC2:USER_SGPR: 2
; COMPUTE_PGM_RSRC2:TRAP_HANDLER: 0
; COMPUTE_PGM_RSRC2:TGID_X_EN: 1
; COMPUTE_PGM_RSRC2:TGID_Y_EN: 0
; COMPUTE_PGM_RSRC2:TGID_Z_EN: 0
; COMPUTE_PGM_RSRC2:TIDIG_COMP_CNT: 0
	.section	.text._ZN7rocprim17ROCPRIM_400000_NS6detail17trampoline_kernelINS0_14default_configENS1_27scan_by_key_config_selectorIiiEEZZNS1_16scan_by_key_implILNS1_25lookback_scan_determinismE0ELb1ES3_N6thrust23THRUST_200600_302600_NS6detail15normal_iteratorINS9_10device_ptrIiEEEESE_SE_iNS9_4plusIvEENS9_8equal_toIvEEiEE10hipError_tPvRmT2_T3_T4_T5_mT6_T7_P12ihipStream_tbENKUlT_T0_E_clISt17integral_constantIbLb0EESZ_EEDaSU_SV_EUlSU_E_NS1_11comp_targetILNS1_3genE4ELNS1_11target_archE910ELNS1_3gpuE8ELNS1_3repE0EEENS1_30default_config_static_selectorELNS0_4arch9wavefront6targetE0EEEvT1_,"axG",@progbits,_ZN7rocprim17ROCPRIM_400000_NS6detail17trampoline_kernelINS0_14default_configENS1_27scan_by_key_config_selectorIiiEEZZNS1_16scan_by_key_implILNS1_25lookback_scan_determinismE0ELb1ES3_N6thrust23THRUST_200600_302600_NS6detail15normal_iteratorINS9_10device_ptrIiEEEESE_SE_iNS9_4plusIvEENS9_8equal_toIvEEiEE10hipError_tPvRmT2_T3_T4_T5_mT6_T7_P12ihipStream_tbENKUlT_T0_E_clISt17integral_constantIbLb0EESZ_EEDaSU_SV_EUlSU_E_NS1_11comp_targetILNS1_3genE4ELNS1_11target_archE910ELNS1_3gpuE8ELNS1_3repE0EEENS1_30default_config_static_selectorELNS0_4arch9wavefront6targetE0EEEvT1_,comdat
	.protected	_ZN7rocprim17ROCPRIM_400000_NS6detail17trampoline_kernelINS0_14default_configENS1_27scan_by_key_config_selectorIiiEEZZNS1_16scan_by_key_implILNS1_25lookback_scan_determinismE0ELb1ES3_N6thrust23THRUST_200600_302600_NS6detail15normal_iteratorINS9_10device_ptrIiEEEESE_SE_iNS9_4plusIvEENS9_8equal_toIvEEiEE10hipError_tPvRmT2_T3_T4_T5_mT6_T7_P12ihipStream_tbENKUlT_T0_E_clISt17integral_constantIbLb0EESZ_EEDaSU_SV_EUlSU_E_NS1_11comp_targetILNS1_3genE4ELNS1_11target_archE910ELNS1_3gpuE8ELNS1_3repE0EEENS1_30default_config_static_selectorELNS0_4arch9wavefront6targetE0EEEvT1_ ; -- Begin function _ZN7rocprim17ROCPRIM_400000_NS6detail17trampoline_kernelINS0_14default_configENS1_27scan_by_key_config_selectorIiiEEZZNS1_16scan_by_key_implILNS1_25lookback_scan_determinismE0ELb1ES3_N6thrust23THRUST_200600_302600_NS6detail15normal_iteratorINS9_10device_ptrIiEEEESE_SE_iNS9_4plusIvEENS9_8equal_toIvEEiEE10hipError_tPvRmT2_T3_T4_T5_mT6_T7_P12ihipStream_tbENKUlT_T0_E_clISt17integral_constantIbLb0EESZ_EEDaSU_SV_EUlSU_E_NS1_11comp_targetILNS1_3genE4ELNS1_11target_archE910ELNS1_3gpuE8ELNS1_3repE0EEENS1_30default_config_static_selectorELNS0_4arch9wavefront6targetE0EEEvT1_
	.globl	_ZN7rocprim17ROCPRIM_400000_NS6detail17trampoline_kernelINS0_14default_configENS1_27scan_by_key_config_selectorIiiEEZZNS1_16scan_by_key_implILNS1_25lookback_scan_determinismE0ELb1ES3_N6thrust23THRUST_200600_302600_NS6detail15normal_iteratorINS9_10device_ptrIiEEEESE_SE_iNS9_4plusIvEENS9_8equal_toIvEEiEE10hipError_tPvRmT2_T3_T4_T5_mT6_T7_P12ihipStream_tbENKUlT_T0_E_clISt17integral_constantIbLb0EESZ_EEDaSU_SV_EUlSU_E_NS1_11comp_targetILNS1_3genE4ELNS1_11target_archE910ELNS1_3gpuE8ELNS1_3repE0EEENS1_30default_config_static_selectorELNS0_4arch9wavefront6targetE0EEEvT1_
	.p2align	8
	.type	_ZN7rocprim17ROCPRIM_400000_NS6detail17trampoline_kernelINS0_14default_configENS1_27scan_by_key_config_selectorIiiEEZZNS1_16scan_by_key_implILNS1_25lookback_scan_determinismE0ELb1ES3_N6thrust23THRUST_200600_302600_NS6detail15normal_iteratorINS9_10device_ptrIiEEEESE_SE_iNS9_4plusIvEENS9_8equal_toIvEEiEE10hipError_tPvRmT2_T3_T4_T5_mT6_T7_P12ihipStream_tbENKUlT_T0_E_clISt17integral_constantIbLb0EESZ_EEDaSU_SV_EUlSU_E_NS1_11comp_targetILNS1_3genE4ELNS1_11target_archE910ELNS1_3gpuE8ELNS1_3repE0EEENS1_30default_config_static_selectorELNS0_4arch9wavefront6targetE0EEEvT1_,@function
_ZN7rocprim17ROCPRIM_400000_NS6detail17trampoline_kernelINS0_14default_configENS1_27scan_by_key_config_selectorIiiEEZZNS1_16scan_by_key_implILNS1_25lookback_scan_determinismE0ELb1ES3_N6thrust23THRUST_200600_302600_NS6detail15normal_iteratorINS9_10device_ptrIiEEEESE_SE_iNS9_4plusIvEENS9_8equal_toIvEEiEE10hipError_tPvRmT2_T3_T4_T5_mT6_T7_P12ihipStream_tbENKUlT_T0_E_clISt17integral_constantIbLb0EESZ_EEDaSU_SV_EUlSU_E_NS1_11comp_targetILNS1_3genE4ELNS1_11target_archE910ELNS1_3gpuE8ELNS1_3repE0EEENS1_30default_config_static_selectorELNS0_4arch9wavefront6targetE0EEEvT1_: ; @_ZN7rocprim17ROCPRIM_400000_NS6detail17trampoline_kernelINS0_14default_configENS1_27scan_by_key_config_selectorIiiEEZZNS1_16scan_by_key_implILNS1_25lookback_scan_determinismE0ELb1ES3_N6thrust23THRUST_200600_302600_NS6detail15normal_iteratorINS9_10device_ptrIiEEEESE_SE_iNS9_4plusIvEENS9_8equal_toIvEEiEE10hipError_tPvRmT2_T3_T4_T5_mT6_T7_P12ihipStream_tbENKUlT_T0_E_clISt17integral_constantIbLb0EESZ_EEDaSU_SV_EUlSU_E_NS1_11comp_targetILNS1_3genE4ELNS1_11target_archE910ELNS1_3gpuE8ELNS1_3repE0EEENS1_30default_config_static_selectorELNS0_4arch9wavefront6targetE0EEEvT1_
; %bb.0:
	.section	.rodata,"a",@progbits
	.p2align	6, 0x0
	.amdhsa_kernel _ZN7rocprim17ROCPRIM_400000_NS6detail17trampoline_kernelINS0_14default_configENS1_27scan_by_key_config_selectorIiiEEZZNS1_16scan_by_key_implILNS1_25lookback_scan_determinismE0ELb1ES3_N6thrust23THRUST_200600_302600_NS6detail15normal_iteratorINS9_10device_ptrIiEEEESE_SE_iNS9_4plusIvEENS9_8equal_toIvEEiEE10hipError_tPvRmT2_T3_T4_T5_mT6_T7_P12ihipStream_tbENKUlT_T0_E_clISt17integral_constantIbLb0EESZ_EEDaSU_SV_EUlSU_E_NS1_11comp_targetILNS1_3genE4ELNS1_11target_archE910ELNS1_3gpuE8ELNS1_3repE0EEENS1_30default_config_static_selectorELNS0_4arch9wavefront6targetE0EEEvT1_
		.amdhsa_group_segment_fixed_size 0
		.amdhsa_private_segment_fixed_size 0
		.amdhsa_kernarg_size 112
		.amdhsa_user_sgpr_count 2
		.amdhsa_user_sgpr_dispatch_ptr 0
		.amdhsa_user_sgpr_queue_ptr 0
		.amdhsa_user_sgpr_kernarg_segment_ptr 1
		.amdhsa_user_sgpr_dispatch_id 0
		.amdhsa_user_sgpr_kernarg_preload_length 0
		.amdhsa_user_sgpr_kernarg_preload_offset 0
		.amdhsa_user_sgpr_private_segment_size 0
		.amdhsa_wavefront_size32 1
		.amdhsa_uses_dynamic_stack 0
		.amdhsa_enable_private_segment 0
		.amdhsa_system_sgpr_workgroup_id_x 1
		.amdhsa_system_sgpr_workgroup_id_y 0
		.amdhsa_system_sgpr_workgroup_id_z 0
		.amdhsa_system_sgpr_workgroup_info 0
		.amdhsa_system_vgpr_workitem_id 0
		.amdhsa_next_free_vgpr 1
		.amdhsa_next_free_sgpr 1
		.amdhsa_named_barrier_count 0
		.amdhsa_reserve_vcc 0
		.amdhsa_float_round_mode_32 0
		.amdhsa_float_round_mode_16_64 0
		.amdhsa_float_denorm_mode_32 3
		.amdhsa_float_denorm_mode_16_64 3
		.amdhsa_fp16_overflow 0
		.amdhsa_memory_ordered 1
		.amdhsa_forward_progress 1
		.amdhsa_inst_pref_size 0
		.amdhsa_round_robin_scheduling 0
		.amdhsa_exception_fp_ieee_invalid_op 0
		.amdhsa_exception_fp_denorm_src 0
		.amdhsa_exception_fp_ieee_div_zero 0
		.amdhsa_exception_fp_ieee_overflow 0
		.amdhsa_exception_fp_ieee_underflow 0
		.amdhsa_exception_fp_ieee_inexact 0
		.amdhsa_exception_int_div_zero 0
	.end_amdhsa_kernel
	.section	.text._ZN7rocprim17ROCPRIM_400000_NS6detail17trampoline_kernelINS0_14default_configENS1_27scan_by_key_config_selectorIiiEEZZNS1_16scan_by_key_implILNS1_25lookback_scan_determinismE0ELb1ES3_N6thrust23THRUST_200600_302600_NS6detail15normal_iteratorINS9_10device_ptrIiEEEESE_SE_iNS9_4plusIvEENS9_8equal_toIvEEiEE10hipError_tPvRmT2_T3_T4_T5_mT6_T7_P12ihipStream_tbENKUlT_T0_E_clISt17integral_constantIbLb0EESZ_EEDaSU_SV_EUlSU_E_NS1_11comp_targetILNS1_3genE4ELNS1_11target_archE910ELNS1_3gpuE8ELNS1_3repE0EEENS1_30default_config_static_selectorELNS0_4arch9wavefront6targetE0EEEvT1_,"axG",@progbits,_ZN7rocprim17ROCPRIM_400000_NS6detail17trampoline_kernelINS0_14default_configENS1_27scan_by_key_config_selectorIiiEEZZNS1_16scan_by_key_implILNS1_25lookback_scan_determinismE0ELb1ES3_N6thrust23THRUST_200600_302600_NS6detail15normal_iteratorINS9_10device_ptrIiEEEESE_SE_iNS9_4plusIvEENS9_8equal_toIvEEiEE10hipError_tPvRmT2_T3_T4_T5_mT6_T7_P12ihipStream_tbENKUlT_T0_E_clISt17integral_constantIbLb0EESZ_EEDaSU_SV_EUlSU_E_NS1_11comp_targetILNS1_3genE4ELNS1_11target_archE910ELNS1_3gpuE8ELNS1_3repE0EEENS1_30default_config_static_selectorELNS0_4arch9wavefront6targetE0EEEvT1_,comdat
.Lfunc_end464:
	.size	_ZN7rocprim17ROCPRIM_400000_NS6detail17trampoline_kernelINS0_14default_configENS1_27scan_by_key_config_selectorIiiEEZZNS1_16scan_by_key_implILNS1_25lookback_scan_determinismE0ELb1ES3_N6thrust23THRUST_200600_302600_NS6detail15normal_iteratorINS9_10device_ptrIiEEEESE_SE_iNS9_4plusIvEENS9_8equal_toIvEEiEE10hipError_tPvRmT2_T3_T4_T5_mT6_T7_P12ihipStream_tbENKUlT_T0_E_clISt17integral_constantIbLb0EESZ_EEDaSU_SV_EUlSU_E_NS1_11comp_targetILNS1_3genE4ELNS1_11target_archE910ELNS1_3gpuE8ELNS1_3repE0EEENS1_30default_config_static_selectorELNS0_4arch9wavefront6targetE0EEEvT1_, .Lfunc_end464-_ZN7rocprim17ROCPRIM_400000_NS6detail17trampoline_kernelINS0_14default_configENS1_27scan_by_key_config_selectorIiiEEZZNS1_16scan_by_key_implILNS1_25lookback_scan_determinismE0ELb1ES3_N6thrust23THRUST_200600_302600_NS6detail15normal_iteratorINS9_10device_ptrIiEEEESE_SE_iNS9_4plusIvEENS9_8equal_toIvEEiEE10hipError_tPvRmT2_T3_T4_T5_mT6_T7_P12ihipStream_tbENKUlT_T0_E_clISt17integral_constantIbLb0EESZ_EEDaSU_SV_EUlSU_E_NS1_11comp_targetILNS1_3genE4ELNS1_11target_archE910ELNS1_3gpuE8ELNS1_3repE0EEENS1_30default_config_static_selectorELNS0_4arch9wavefront6targetE0EEEvT1_
                                        ; -- End function
	.set _ZN7rocprim17ROCPRIM_400000_NS6detail17trampoline_kernelINS0_14default_configENS1_27scan_by_key_config_selectorIiiEEZZNS1_16scan_by_key_implILNS1_25lookback_scan_determinismE0ELb1ES3_N6thrust23THRUST_200600_302600_NS6detail15normal_iteratorINS9_10device_ptrIiEEEESE_SE_iNS9_4plusIvEENS9_8equal_toIvEEiEE10hipError_tPvRmT2_T3_T4_T5_mT6_T7_P12ihipStream_tbENKUlT_T0_E_clISt17integral_constantIbLb0EESZ_EEDaSU_SV_EUlSU_E_NS1_11comp_targetILNS1_3genE4ELNS1_11target_archE910ELNS1_3gpuE8ELNS1_3repE0EEENS1_30default_config_static_selectorELNS0_4arch9wavefront6targetE0EEEvT1_.num_vgpr, 0
	.set _ZN7rocprim17ROCPRIM_400000_NS6detail17trampoline_kernelINS0_14default_configENS1_27scan_by_key_config_selectorIiiEEZZNS1_16scan_by_key_implILNS1_25lookback_scan_determinismE0ELb1ES3_N6thrust23THRUST_200600_302600_NS6detail15normal_iteratorINS9_10device_ptrIiEEEESE_SE_iNS9_4plusIvEENS9_8equal_toIvEEiEE10hipError_tPvRmT2_T3_T4_T5_mT6_T7_P12ihipStream_tbENKUlT_T0_E_clISt17integral_constantIbLb0EESZ_EEDaSU_SV_EUlSU_E_NS1_11comp_targetILNS1_3genE4ELNS1_11target_archE910ELNS1_3gpuE8ELNS1_3repE0EEENS1_30default_config_static_selectorELNS0_4arch9wavefront6targetE0EEEvT1_.num_agpr, 0
	.set _ZN7rocprim17ROCPRIM_400000_NS6detail17trampoline_kernelINS0_14default_configENS1_27scan_by_key_config_selectorIiiEEZZNS1_16scan_by_key_implILNS1_25lookback_scan_determinismE0ELb1ES3_N6thrust23THRUST_200600_302600_NS6detail15normal_iteratorINS9_10device_ptrIiEEEESE_SE_iNS9_4plusIvEENS9_8equal_toIvEEiEE10hipError_tPvRmT2_T3_T4_T5_mT6_T7_P12ihipStream_tbENKUlT_T0_E_clISt17integral_constantIbLb0EESZ_EEDaSU_SV_EUlSU_E_NS1_11comp_targetILNS1_3genE4ELNS1_11target_archE910ELNS1_3gpuE8ELNS1_3repE0EEENS1_30default_config_static_selectorELNS0_4arch9wavefront6targetE0EEEvT1_.numbered_sgpr, 0
	.set _ZN7rocprim17ROCPRIM_400000_NS6detail17trampoline_kernelINS0_14default_configENS1_27scan_by_key_config_selectorIiiEEZZNS1_16scan_by_key_implILNS1_25lookback_scan_determinismE0ELb1ES3_N6thrust23THRUST_200600_302600_NS6detail15normal_iteratorINS9_10device_ptrIiEEEESE_SE_iNS9_4plusIvEENS9_8equal_toIvEEiEE10hipError_tPvRmT2_T3_T4_T5_mT6_T7_P12ihipStream_tbENKUlT_T0_E_clISt17integral_constantIbLb0EESZ_EEDaSU_SV_EUlSU_E_NS1_11comp_targetILNS1_3genE4ELNS1_11target_archE910ELNS1_3gpuE8ELNS1_3repE0EEENS1_30default_config_static_selectorELNS0_4arch9wavefront6targetE0EEEvT1_.num_named_barrier, 0
	.set _ZN7rocprim17ROCPRIM_400000_NS6detail17trampoline_kernelINS0_14default_configENS1_27scan_by_key_config_selectorIiiEEZZNS1_16scan_by_key_implILNS1_25lookback_scan_determinismE0ELb1ES3_N6thrust23THRUST_200600_302600_NS6detail15normal_iteratorINS9_10device_ptrIiEEEESE_SE_iNS9_4plusIvEENS9_8equal_toIvEEiEE10hipError_tPvRmT2_T3_T4_T5_mT6_T7_P12ihipStream_tbENKUlT_T0_E_clISt17integral_constantIbLb0EESZ_EEDaSU_SV_EUlSU_E_NS1_11comp_targetILNS1_3genE4ELNS1_11target_archE910ELNS1_3gpuE8ELNS1_3repE0EEENS1_30default_config_static_selectorELNS0_4arch9wavefront6targetE0EEEvT1_.private_seg_size, 0
	.set _ZN7rocprim17ROCPRIM_400000_NS6detail17trampoline_kernelINS0_14default_configENS1_27scan_by_key_config_selectorIiiEEZZNS1_16scan_by_key_implILNS1_25lookback_scan_determinismE0ELb1ES3_N6thrust23THRUST_200600_302600_NS6detail15normal_iteratorINS9_10device_ptrIiEEEESE_SE_iNS9_4plusIvEENS9_8equal_toIvEEiEE10hipError_tPvRmT2_T3_T4_T5_mT6_T7_P12ihipStream_tbENKUlT_T0_E_clISt17integral_constantIbLb0EESZ_EEDaSU_SV_EUlSU_E_NS1_11comp_targetILNS1_3genE4ELNS1_11target_archE910ELNS1_3gpuE8ELNS1_3repE0EEENS1_30default_config_static_selectorELNS0_4arch9wavefront6targetE0EEEvT1_.uses_vcc, 0
	.set _ZN7rocprim17ROCPRIM_400000_NS6detail17trampoline_kernelINS0_14default_configENS1_27scan_by_key_config_selectorIiiEEZZNS1_16scan_by_key_implILNS1_25lookback_scan_determinismE0ELb1ES3_N6thrust23THRUST_200600_302600_NS6detail15normal_iteratorINS9_10device_ptrIiEEEESE_SE_iNS9_4plusIvEENS9_8equal_toIvEEiEE10hipError_tPvRmT2_T3_T4_T5_mT6_T7_P12ihipStream_tbENKUlT_T0_E_clISt17integral_constantIbLb0EESZ_EEDaSU_SV_EUlSU_E_NS1_11comp_targetILNS1_3genE4ELNS1_11target_archE910ELNS1_3gpuE8ELNS1_3repE0EEENS1_30default_config_static_selectorELNS0_4arch9wavefront6targetE0EEEvT1_.uses_flat_scratch, 0
	.set _ZN7rocprim17ROCPRIM_400000_NS6detail17trampoline_kernelINS0_14default_configENS1_27scan_by_key_config_selectorIiiEEZZNS1_16scan_by_key_implILNS1_25lookback_scan_determinismE0ELb1ES3_N6thrust23THRUST_200600_302600_NS6detail15normal_iteratorINS9_10device_ptrIiEEEESE_SE_iNS9_4plusIvEENS9_8equal_toIvEEiEE10hipError_tPvRmT2_T3_T4_T5_mT6_T7_P12ihipStream_tbENKUlT_T0_E_clISt17integral_constantIbLb0EESZ_EEDaSU_SV_EUlSU_E_NS1_11comp_targetILNS1_3genE4ELNS1_11target_archE910ELNS1_3gpuE8ELNS1_3repE0EEENS1_30default_config_static_selectorELNS0_4arch9wavefront6targetE0EEEvT1_.has_dyn_sized_stack, 0
	.set _ZN7rocprim17ROCPRIM_400000_NS6detail17trampoline_kernelINS0_14default_configENS1_27scan_by_key_config_selectorIiiEEZZNS1_16scan_by_key_implILNS1_25lookback_scan_determinismE0ELb1ES3_N6thrust23THRUST_200600_302600_NS6detail15normal_iteratorINS9_10device_ptrIiEEEESE_SE_iNS9_4plusIvEENS9_8equal_toIvEEiEE10hipError_tPvRmT2_T3_T4_T5_mT6_T7_P12ihipStream_tbENKUlT_T0_E_clISt17integral_constantIbLb0EESZ_EEDaSU_SV_EUlSU_E_NS1_11comp_targetILNS1_3genE4ELNS1_11target_archE910ELNS1_3gpuE8ELNS1_3repE0EEENS1_30default_config_static_selectorELNS0_4arch9wavefront6targetE0EEEvT1_.has_recursion, 0
	.set _ZN7rocprim17ROCPRIM_400000_NS6detail17trampoline_kernelINS0_14default_configENS1_27scan_by_key_config_selectorIiiEEZZNS1_16scan_by_key_implILNS1_25lookback_scan_determinismE0ELb1ES3_N6thrust23THRUST_200600_302600_NS6detail15normal_iteratorINS9_10device_ptrIiEEEESE_SE_iNS9_4plusIvEENS9_8equal_toIvEEiEE10hipError_tPvRmT2_T3_T4_T5_mT6_T7_P12ihipStream_tbENKUlT_T0_E_clISt17integral_constantIbLb0EESZ_EEDaSU_SV_EUlSU_E_NS1_11comp_targetILNS1_3genE4ELNS1_11target_archE910ELNS1_3gpuE8ELNS1_3repE0EEENS1_30default_config_static_selectorELNS0_4arch9wavefront6targetE0EEEvT1_.has_indirect_call, 0
	.section	.AMDGPU.csdata,"",@progbits
; Kernel info:
; codeLenInByte = 0
; TotalNumSgprs: 0
; NumVgprs: 0
; ScratchSize: 0
; MemoryBound: 0
; FloatMode: 240
; IeeeMode: 1
; LDSByteSize: 0 bytes/workgroup (compile time only)
; SGPRBlocks: 0
; VGPRBlocks: 0
; NumSGPRsForWavesPerEU: 1
; NumVGPRsForWavesPerEU: 1
; NamedBarCnt: 0
; Occupancy: 16
; WaveLimiterHint : 0
; COMPUTE_PGM_RSRC2:SCRATCH_EN: 0
; COMPUTE_PGM_RSRC2:USER_SGPR: 2
; COMPUTE_PGM_RSRC2:TRAP_HANDLER: 0
; COMPUTE_PGM_RSRC2:TGID_X_EN: 1
; COMPUTE_PGM_RSRC2:TGID_Y_EN: 0
; COMPUTE_PGM_RSRC2:TGID_Z_EN: 0
; COMPUTE_PGM_RSRC2:TIDIG_COMP_CNT: 0
	.section	.text._ZN7rocprim17ROCPRIM_400000_NS6detail17trampoline_kernelINS0_14default_configENS1_27scan_by_key_config_selectorIiiEEZZNS1_16scan_by_key_implILNS1_25lookback_scan_determinismE0ELb1ES3_N6thrust23THRUST_200600_302600_NS6detail15normal_iteratorINS9_10device_ptrIiEEEESE_SE_iNS9_4plusIvEENS9_8equal_toIvEEiEE10hipError_tPvRmT2_T3_T4_T5_mT6_T7_P12ihipStream_tbENKUlT_T0_E_clISt17integral_constantIbLb0EESZ_EEDaSU_SV_EUlSU_E_NS1_11comp_targetILNS1_3genE3ELNS1_11target_archE908ELNS1_3gpuE7ELNS1_3repE0EEENS1_30default_config_static_selectorELNS0_4arch9wavefront6targetE0EEEvT1_,"axG",@progbits,_ZN7rocprim17ROCPRIM_400000_NS6detail17trampoline_kernelINS0_14default_configENS1_27scan_by_key_config_selectorIiiEEZZNS1_16scan_by_key_implILNS1_25lookback_scan_determinismE0ELb1ES3_N6thrust23THRUST_200600_302600_NS6detail15normal_iteratorINS9_10device_ptrIiEEEESE_SE_iNS9_4plusIvEENS9_8equal_toIvEEiEE10hipError_tPvRmT2_T3_T4_T5_mT6_T7_P12ihipStream_tbENKUlT_T0_E_clISt17integral_constantIbLb0EESZ_EEDaSU_SV_EUlSU_E_NS1_11comp_targetILNS1_3genE3ELNS1_11target_archE908ELNS1_3gpuE7ELNS1_3repE0EEENS1_30default_config_static_selectorELNS0_4arch9wavefront6targetE0EEEvT1_,comdat
	.protected	_ZN7rocprim17ROCPRIM_400000_NS6detail17trampoline_kernelINS0_14default_configENS1_27scan_by_key_config_selectorIiiEEZZNS1_16scan_by_key_implILNS1_25lookback_scan_determinismE0ELb1ES3_N6thrust23THRUST_200600_302600_NS6detail15normal_iteratorINS9_10device_ptrIiEEEESE_SE_iNS9_4plusIvEENS9_8equal_toIvEEiEE10hipError_tPvRmT2_T3_T4_T5_mT6_T7_P12ihipStream_tbENKUlT_T0_E_clISt17integral_constantIbLb0EESZ_EEDaSU_SV_EUlSU_E_NS1_11comp_targetILNS1_3genE3ELNS1_11target_archE908ELNS1_3gpuE7ELNS1_3repE0EEENS1_30default_config_static_selectorELNS0_4arch9wavefront6targetE0EEEvT1_ ; -- Begin function _ZN7rocprim17ROCPRIM_400000_NS6detail17trampoline_kernelINS0_14default_configENS1_27scan_by_key_config_selectorIiiEEZZNS1_16scan_by_key_implILNS1_25lookback_scan_determinismE0ELb1ES3_N6thrust23THRUST_200600_302600_NS6detail15normal_iteratorINS9_10device_ptrIiEEEESE_SE_iNS9_4plusIvEENS9_8equal_toIvEEiEE10hipError_tPvRmT2_T3_T4_T5_mT6_T7_P12ihipStream_tbENKUlT_T0_E_clISt17integral_constantIbLb0EESZ_EEDaSU_SV_EUlSU_E_NS1_11comp_targetILNS1_3genE3ELNS1_11target_archE908ELNS1_3gpuE7ELNS1_3repE0EEENS1_30default_config_static_selectorELNS0_4arch9wavefront6targetE0EEEvT1_
	.globl	_ZN7rocprim17ROCPRIM_400000_NS6detail17trampoline_kernelINS0_14default_configENS1_27scan_by_key_config_selectorIiiEEZZNS1_16scan_by_key_implILNS1_25lookback_scan_determinismE0ELb1ES3_N6thrust23THRUST_200600_302600_NS6detail15normal_iteratorINS9_10device_ptrIiEEEESE_SE_iNS9_4plusIvEENS9_8equal_toIvEEiEE10hipError_tPvRmT2_T3_T4_T5_mT6_T7_P12ihipStream_tbENKUlT_T0_E_clISt17integral_constantIbLb0EESZ_EEDaSU_SV_EUlSU_E_NS1_11comp_targetILNS1_3genE3ELNS1_11target_archE908ELNS1_3gpuE7ELNS1_3repE0EEENS1_30default_config_static_selectorELNS0_4arch9wavefront6targetE0EEEvT1_
	.p2align	8
	.type	_ZN7rocprim17ROCPRIM_400000_NS6detail17trampoline_kernelINS0_14default_configENS1_27scan_by_key_config_selectorIiiEEZZNS1_16scan_by_key_implILNS1_25lookback_scan_determinismE0ELb1ES3_N6thrust23THRUST_200600_302600_NS6detail15normal_iteratorINS9_10device_ptrIiEEEESE_SE_iNS9_4plusIvEENS9_8equal_toIvEEiEE10hipError_tPvRmT2_T3_T4_T5_mT6_T7_P12ihipStream_tbENKUlT_T0_E_clISt17integral_constantIbLb0EESZ_EEDaSU_SV_EUlSU_E_NS1_11comp_targetILNS1_3genE3ELNS1_11target_archE908ELNS1_3gpuE7ELNS1_3repE0EEENS1_30default_config_static_selectorELNS0_4arch9wavefront6targetE0EEEvT1_,@function
_ZN7rocprim17ROCPRIM_400000_NS6detail17trampoline_kernelINS0_14default_configENS1_27scan_by_key_config_selectorIiiEEZZNS1_16scan_by_key_implILNS1_25lookback_scan_determinismE0ELb1ES3_N6thrust23THRUST_200600_302600_NS6detail15normal_iteratorINS9_10device_ptrIiEEEESE_SE_iNS9_4plusIvEENS9_8equal_toIvEEiEE10hipError_tPvRmT2_T3_T4_T5_mT6_T7_P12ihipStream_tbENKUlT_T0_E_clISt17integral_constantIbLb0EESZ_EEDaSU_SV_EUlSU_E_NS1_11comp_targetILNS1_3genE3ELNS1_11target_archE908ELNS1_3gpuE7ELNS1_3repE0EEENS1_30default_config_static_selectorELNS0_4arch9wavefront6targetE0EEEvT1_: ; @_ZN7rocprim17ROCPRIM_400000_NS6detail17trampoline_kernelINS0_14default_configENS1_27scan_by_key_config_selectorIiiEEZZNS1_16scan_by_key_implILNS1_25lookback_scan_determinismE0ELb1ES3_N6thrust23THRUST_200600_302600_NS6detail15normal_iteratorINS9_10device_ptrIiEEEESE_SE_iNS9_4plusIvEENS9_8equal_toIvEEiEE10hipError_tPvRmT2_T3_T4_T5_mT6_T7_P12ihipStream_tbENKUlT_T0_E_clISt17integral_constantIbLb0EESZ_EEDaSU_SV_EUlSU_E_NS1_11comp_targetILNS1_3genE3ELNS1_11target_archE908ELNS1_3gpuE7ELNS1_3repE0EEENS1_30default_config_static_selectorELNS0_4arch9wavefront6targetE0EEEvT1_
; %bb.0:
	.section	.rodata,"a",@progbits
	.p2align	6, 0x0
	.amdhsa_kernel _ZN7rocprim17ROCPRIM_400000_NS6detail17trampoline_kernelINS0_14default_configENS1_27scan_by_key_config_selectorIiiEEZZNS1_16scan_by_key_implILNS1_25lookback_scan_determinismE0ELb1ES3_N6thrust23THRUST_200600_302600_NS6detail15normal_iteratorINS9_10device_ptrIiEEEESE_SE_iNS9_4plusIvEENS9_8equal_toIvEEiEE10hipError_tPvRmT2_T3_T4_T5_mT6_T7_P12ihipStream_tbENKUlT_T0_E_clISt17integral_constantIbLb0EESZ_EEDaSU_SV_EUlSU_E_NS1_11comp_targetILNS1_3genE3ELNS1_11target_archE908ELNS1_3gpuE7ELNS1_3repE0EEENS1_30default_config_static_selectorELNS0_4arch9wavefront6targetE0EEEvT1_
		.amdhsa_group_segment_fixed_size 0
		.amdhsa_private_segment_fixed_size 0
		.amdhsa_kernarg_size 112
		.amdhsa_user_sgpr_count 2
		.amdhsa_user_sgpr_dispatch_ptr 0
		.amdhsa_user_sgpr_queue_ptr 0
		.amdhsa_user_sgpr_kernarg_segment_ptr 1
		.amdhsa_user_sgpr_dispatch_id 0
		.amdhsa_user_sgpr_kernarg_preload_length 0
		.amdhsa_user_sgpr_kernarg_preload_offset 0
		.amdhsa_user_sgpr_private_segment_size 0
		.amdhsa_wavefront_size32 1
		.amdhsa_uses_dynamic_stack 0
		.amdhsa_enable_private_segment 0
		.amdhsa_system_sgpr_workgroup_id_x 1
		.amdhsa_system_sgpr_workgroup_id_y 0
		.amdhsa_system_sgpr_workgroup_id_z 0
		.amdhsa_system_sgpr_workgroup_info 0
		.amdhsa_system_vgpr_workitem_id 0
		.amdhsa_next_free_vgpr 1
		.amdhsa_next_free_sgpr 1
		.amdhsa_named_barrier_count 0
		.amdhsa_reserve_vcc 0
		.amdhsa_float_round_mode_32 0
		.amdhsa_float_round_mode_16_64 0
		.amdhsa_float_denorm_mode_32 3
		.amdhsa_float_denorm_mode_16_64 3
		.amdhsa_fp16_overflow 0
		.amdhsa_memory_ordered 1
		.amdhsa_forward_progress 1
		.amdhsa_inst_pref_size 0
		.amdhsa_round_robin_scheduling 0
		.amdhsa_exception_fp_ieee_invalid_op 0
		.amdhsa_exception_fp_denorm_src 0
		.amdhsa_exception_fp_ieee_div_zero 0
		.amdhsa_exception_fp_ieee_overflow 0
		.amdhsa_exception_fp_ieee_underflow 0
		.amdhsa_exception_fp_ieee_inexact 0
		.amdhsa_exception_int_div_zero 0
	.end_amdhsa_kernel
	.section	.text._ZN7rocprim17ROCPRIM_400000_NS6detail17trampoline_kernelINS0_14default_configENS1_27scan_by_key_config_selectorIiiEEZZNS1_16scan_by_key_implILNS1_25lookback_scan_determinismE0ELb1ES3_N6thrust23THRUST_200600_302600_NS6detail15normal_iteratorINS9_10device_ptrIiEEEESE_SE_iNS9_4plusIvEENS9_8equal_toIvEEiEE10hipError_tPvRmT2_T3_T4_T5_mT6_T7_P12ihipStream_tbENKUlT_T0_E_clISt17integral_constantIbLb0EESZ_EEDaSU_SV_EUlSU_E_NS1_11comp_targetILNS1_3genE3ELNS1_11target_archE908ELNS1_3gpuE7ELNS1_3repE0EEENS1_30default_config_static_selectorELNS0_4arch9wavefront6targetE0EEEvT1_,"axG",@progbits,_ZN7rocprim17ROCPRIM_400000_NS6detail17trampoline_kernelINS0_14default_configENS1_27scan_by_key_config_selectorIiiEEZZNS1_16scan_by_key_implILNS1_25lookback_scan_determinismE0ELb1ES3_N6thrust23THRUST_200600_302600_NS6detail15normal_iteratorINS9_10device_ptrIiEEEESE_SE_iNS9_4plusIvEENS9_8equal_toIvEEiEE10hipError_tPvRmT2_T3_T4_T5_mT6_T7_P12ihipStream_tbENKUlT_T0_E_clISt17integral_constantIbLb0EESZ_EEDaSU_SV_EUlSU_E_NS1_11comp_targetILNS1_3genE3ELNS1_11target_archE908ELNS1_3gpuE7ELNS1_3repE0EEENS1_30default_config_static_selectorELNS0_4arch9wavefront6targetE0EEEvT1_,comdat
.Lfunc_end465:
	.size	_ZN7rocprim17ROCPRIM_400000_NS6detail17trampoline_kernelINS0_14default_configENS1_27scan_by_key_config_selectorIiiEEZZNS1_16scan_by_key_implILNS1_25lookback_scan_determinismE0ELb1ES3_N6thrust23THRUST_200600_302600_NS6detail15normal_iteratorINS9_10device_ptrIiEEEESE_SE_iNS9_4plusIvEENS9_8equal_toIvEEiEE10hipError_tPvRmT2_T3_T4_T5_mT6_T7_P12ihipStream_tbENKUlT_T0_E_clISt17integral_constantIbLb0EESZ_EEDaSU_SV_EUlSU_E_NS1_11comp_targetILNS1_3genE3ELNS1_11target_archE908ELNS1_3gpuE7ELNS1_3repE0EEENS1_30default_config_static_selectorELNS0_4arch9wavefront6targetE0EEEvT1_, .Lfunc_end465-_ZN7rocprim17ROCPRIM_400000_NS6detail17trampoline_kernelINS0_14default_configENS1_27scan_by_key_config_selectorIiiEEZZNS1_16scan_by_key_implILNS1_25lookback_scan_determinismE0ELb1ES3_N6thrust23THRUST_200600_302600_NS6detail15normal_iteratorINS9_10device_ptrIiEEEESE_SE_iNS9_4plusIvEENS9_8equal_toIvEEiEE10hipError_tPvRmT2_T3_T4_T5_mT6_T7_P12ihipStream_tbENKUlT_T0_E_clISt17integral_constantIbLb0EESZ_EEDaSU_SV_EUlSU_E_NS1_11comp_targetILNS1_3genE3ELNS1_11target_archE908ELNS1_3gpuE7ELNS1_3repE0EEENS1_30default_config_static_selectorELNS0_4arch9wavefront6targetE0EEEvT1_
                                        ; -- End function
	.set _ZN7rocprim17ROCPRIM_400000_NS6detail17trampoline_kernelINS0_14default_configENS1_27scan_by_key_config_selectorIiiEEZZNS1_16scan_by_key_implILNS1_25lookback_scan_determinismE0ELb1ES3_N6thrust23THRUST_200600_302600_NS6detail15normal_iteratorINS9_10device_ptrIiEEEESE_SE_iNS9_4plusIvEENS9_8equal_toIvEEiEE10hipError_tPvRmT2_T3_T4_T5_mT6_T7_P12ihipStream_tbENKUlT_T0_E_clISt17integral_constantIbLb0EESZ_EEDaSU_SV_EUlSU_E_NS1_11comp_targetILNS1_3genE3ELNS1_11target_archE908ELNS1_3gpuE7ELNS1_3repE0EEENS1_30default_config_static_selectorELNS0_4arch9wavefront6targetE0EEEvT1_.num_vgpr, 0
	.set _ZN7rocprim17ROCPRIM_400000_NS6detail17trampoline_kernelINS0_14default_configENS1_27scan_by_key_config_selectorIiiEEZZNS1_16scan_by_key_implILNS1_25lookback_scan_determinismE0ELb1ES3_N6thrust23THRUST_200600_302600_NS6detail15normal_iteratorINS9_10device_ptrIiEEEESE_SE_iNS9_4plusIvEENS9_8equal_toIvEEiEE10hipError_tPvRmT2_T3_T4_T5_mT6_T7_P12ihipStream_tbENKUlT_T0_E_clISt17integral_constantIbLb0EESZ_EEDaSU_SV_EUlSU_E_NS1_11comp_targetILNS1_3genE3ELNS1_11target_archE908ELNS1_3gpuE7ELNS1_3repE0EEENS1_30default_config_static_selectorELNS0_4arch9wavefront6targetE0EEEvT1_.num_agpr, 0
	.set _ZN7rocprim17ROCPRIM_400000_NS6detail17trampoline_kernelINS0_14default_configENS1_27scan_by_key_config_selectorIiiEEZZNS1_16scan_by_key_implILNS1_25lookback_scan_determinismE0ELb1ES3_N6thrust23THRUST_200600_302600_NS6detail15normal_iteratorINS9_10device_ptrIiEEEESE_SE_iNS9_4plusIvEENS9_8equal_toIvEEiEE10hipError_tPvRmT2_T3_T4_T5_mT6_T7_P12ihipStream_tbENKUlT_T0_E_clISt17integral_constantIbLb0EESZ_EEDaSU_SV_EUlSU_E_NS1_11comp_targetILNS1_3genE3ELNS1_11target_archE908ELNS1_3gpuE7ELNS1_3repE0EEENS1_30default_config_static_selectorELNS0_4arch9wavefront6targetE0EEEvT1_.numbered_sgpr, 0
	.set _ZN7rocprim17ROCPRIM_400000_NS6detail17trampoline_kernelINS0_14default_configENS1_27scan_by_key_config_selectorIiiEEZZNS1_16scan_by_key_implILNS1_25lookback_scan_determinismE0ELb1ES3_N6thrust23THRUST_200600_302600_NS6detail15normal_iteratorINS9_10device_ptrIiEEEESE_SE_iNS9_4plusIvEENS9_8equal_toIvEEiEE10hipError_tPvRmT2_T3_T4_T5_mT6_T7_P12ihipStream_tbENKUlT_T0_E_clISt17integral_constantIbLb0EESZ_EEDaSU_SV_EUlSU_E_NS1_11comp_targetILNS1_3genE3ELNS1_11target_archE908ELNS1_3gpuE7ELNS1_3repE0EEENS1_30default_config_static_selectorELNS0_4arch9wavefront6targetE0EEEvT1_.num_named_barrier, 0
	.set _ZN7rocprim17ROCPRIM_400000_NS6detail17trampoline_kernelINS0_14default_configENS1_27scan_by_key_config_selectorIiiEEZZNS1_16scan_by_key_implILNS1_25lookback_scan_determinismE0ELb1ES3_N6thrust23THRUST_200600_302600_NS6detail15normal_iteratorINS9_10device_ptrIiEEEESE_SE_iNS9_4plusIvEENS9_8equal_toIvEEiEE10hipError_tPvRmT2_T3_T4_T5_mT6_T7_P12ihipStream_tbENKUlT_T0_E_clISt17integral_constantIbLb0EESZ_EEDaSU_SV_EUlSU_E_NS1_11comp_targetILNS1_3genE3ELNS1_11target_archE908ELNS1_3gpuE7ELNS1_3repE0EEENS1_30default_config_static_selectorELNS0_4arch9wavefront6targetE0EEEvT1_.private_seg_size, 0
	.set _ZN7rocprim17ROCPRIM_400000_NS6detail17trampoline_kernelINS0_14default_configENS1_27scan_by_key_config_selectorIiiEEZZNS1_16scan_by_key_implILNS1_25lookback_scan_determinismE0ELb1ES3_N6thrust23THRUST_200600_302600_NS6detail15normal_iteratorINS9_10device_ptrIiEEEESE_SE_iNS9_4plusIvEENS9_8equal_toIvEEiEE10hipError_tPvRmT2_T3_T4_T5_mT6_T7_P12ihipStream_tbENKUlT_T0_E_clISt17integral_constantIbLb0EESZ_EEDaSU_SV_EUlSU_E_NS1_11comp_targetILNS1_3genE3ELNS1_11target_archE908ELNS1_3gpuE7ELNS1_3repE0EEENS1_30default_config_static_selectorELNS0_4arch9wavefront6targetE0EEEvT1_.uses_vcc, 0
	.set _ZN7rocprim17ROCPRIM_400000_NS6detail17trampoline_kernelINS0_14default_configENS1_27scan_by_key_config_selectorIiiEEZZNS1_16scan_by_key_implILNS1_25lookback_scan_determinismE0ELb1ES3_N6thrust23THRUST_200600_302600_NS6detail15normal_iteratorINS9_10device_ptrIiEEEESE_SE_iNS9_4plusIvEENS9_8equal_toIvEEiEE10hipError_tPvRmT2_T3_T4_T5_mT6_T7_P12ihipStream_tbENKUlT_T0_E_clISt17integral_constantIbLb0EESZ_EEDaSU_SV_EUlSU_E_NS1_11comp_targetILNS1_3genE3ELNS1_11target_archE908ELNS1_3gpuE7ELNS1_3repE0EEENS1_30default_config_static_selectorELNS0_4arch9wavefront6targetE0EEEvT1_.uses_flat_scratch, 0
	.set _ZN7rocprim17ROCPRIM_400000_NS6detail17trampoline_kernelINS0_14default_configENS1_27scan_by_key_config_selectorIiiEEZZNS1_16scan_by_key_implILNS1_25lookback_scan_determinismE0ELb1ES3_N6thrust23THRUST_200600_302600_NS6detail15normal_iteratorINS9_10device_ptrIiEEEESE_SE_iNS9_4plusIvEENS9_8equal_toIvEEiEE10hipError_tPvRmT2_T3_T4_T5_mT6_T7_P12ihipStream_tbENKUlT_T0_E_clISt17integral_constantIbLb0EESZ_EEDaSU_SV_EUlSU_E_NS1_11comp_targetILNS1_3genE3ELNS1_11target_archE908ELNS1_3gpuE7ELNS1_3repE0EEENS1_30default_config_static_selectorELNS0_4arch9wavefront6targetE0EEEvT1_.has_dyn_sized_stack, 0
	.set _ZN7rocprim17ROCPRIM_400000_NS6detail17trampoline_kernelINS0_14default_configENS1_27scan_by_key_config_selectorIiiEEZZNS1_16scan_by_key_implILNS1_25lookback_scan_determinismE0ELb1ES3_N6thrust23THRUST_200600_302600_NS6detail15normal_iteratorINS9_10device_ptrIiEEEESE_SE_iNS9_4plusIvEENS9_8equal_toIvEEiEE10hipError_tPvRmT2_T3_T4_T5_mT6_T7_P12ihipStream_tbENKUlT_T0_E_clISt17integral_constantIbLb0EESZ_EEDaSU_SV_EUlSU_E_NS1_11comp_targetILNS1_3genE3ELNS1_11target_archE908ELNS1_3gpuE7ELNS1_3repE0EEENS1_30default_config_static_selectorELNS0_4arch9wavefront6targetE0EEEvT1_.has_recursion, 0
	.set _ZN7rocprim17ROCPRIM_400000_NS6detail17trampoline_kernelINS0_14default_configENS1_27scan_by_key_config_selectorIiiEEZZNS1_16scan_by_key_implILNS1_25lookback_scan_determinismE0ELb1ES3_N6thrust23THRUST_200600_302600_NS6detail15normal_iteratorINS9_10device_ptrIiEEEESE_SE_iNS9_4plusIvEENS9_8equal_toIvEEiEE10hipError_tPvRmT2_T3_T4_T5_mT6_T7_P12ihipStream_tbENKUlT_T0_E_clISt17integral_constantIbLb0EESZ_EEDaSU_SV_EUlSU_E_NS1_11comp_targetILNS1_3genE3ELNS1_11target_archE908ELNS1_3gpuE7ELNS1_3repE0EEENS1_30default_config_static_selectorELNS0_4arch9wavefront6targetE0EEEvT1_.has_indirect_call, 0
	.section	.AMDGPU.csdata,"",@progbits
; Kernel info:
; codeLenInByte = 0
; TotalNumSgprs: 0
; NumVgprs: 0
; ScratchSize: 0
; MemoryBound: 0
; FloatMode: 240
; IeeeMode: 1
; LDSByteSize: 0 bytes/workgroup (compile time only)
; SGPRBlocks: 0
; VGPRBlocks: 0
; NumSGPRsForWavesPerEU: 1
; NumVGPRsForWavesPerEU: 1
; NamedBarCnt: 0
; Occupancy: 16
; WaveLimiterHint : 0
; COMPUTE_PGM_RSRC2:SCRATCH_EN: 0
; COMPUTE_PGM_RSRC2:USER_SGPR: 2
; COMPUTE_PGM_RSRC2:TRAP_HANDLER: 0
; COMPUTE_PGM_RSRC2:TGID_X_EN: 1
; COMPUTE_PGM_RSRC2:TGID_Y_EN: 0
; COMPUTE_PGM_RSRC2:TGID_Z_EN: 0
; COMPUTE_PGM_RSRC2:TIDIG_COMP_CNT: 0
	.section	.text._ZN7rocprim17ROCPRIM_400000_NS6detail17trampoline_kernelINS0_14default_configENS1_27scan_by_key_config_selectorIiiEEZZNS1_16scan_by_key_implILNS1_25lookback_scan_determinismE0ELb1ES3_N6thrust23THRUST_200600_302600_NS6detail15normal_iteratorINS9_10device_ptrIiEEEESE_SE_iNS9_4plusIvEENS9_8equal_toIvEEiEE10hipError_tPvRmT2_T3_T4_T5_mT6_T7_P12ihipStream_tbENKUlT_T0_E_clISt17integral_constantIbLb0EESZ_EEDaSU_SV_EUlSU_E_NS1_11comp_targetILNS1_3genE2ELNS1_11target_archE906ELNS1_3gpuE6ELNS1_3repE0EEENS1_30default_config_static_selectorELNS0_4arch9wavefront6targetE0EEEvT1_,"axG",@progbits,_ZN7rocprim17ROCPRIM_400000_NS6detail17trampoline_kernelINS0_14default_configENS1_27scan_by_key_config_selectorIiiEEZZNS1_16scan_by_key_implILNS1_25lookback_scan_determinismE0ELb1ES3_N6thrust23THRUST_200600_302600_NS6detail15normal_iteratorINS9_10device_ptrIiEEEESE_SE_iNS9_4plusIvEENS9_8equal_toIvEEiEE10hipError_tPvRmT2_T3_T4_T5_mT6_T7_P12ihipStream_tbENKUlT_T0_E_clISt17integral_constantIbLb0EESZ_EEDaSU_SV_EUlSU_E_NS1_11comp_targetILNS1_3genE2ELNS1_11target_archE906ELNS1_3gpuE6ELNS1_3repE0EEENS1_30default_config_static_selectorELNS0_4arch9wavefront6targetE0EEEvT1_,comdat
	.protected	_ZN7rocprim17ROCPRIM_400000_NS6detail17trampoline_kernelINS0_14default_configENS1_27scan_by_key_config_selectorIiiEEZZNS1_16scan_by_key_implILNS1_25lookback_scan_determinismE0ELb1ES3_N6thrust23THRUST_200600_302600_NS6detail15normal_iteratorINS9_10device_ptrIiEEEESE_SE_iNS9_4plusIvEENS9_8equal_toIvEEiEE10hipError_tPvRmT2_T3_T4_T5_mT6_T7_P12ihipStream_tbENKUlT_T0_E_clISt17integral_constantIbLb0EESZ_EEDaSU_SV_EUlSU_E_NS1_11comp_targetILNS1_3genE2ELNS1_11target_archE906ELNS1_3gpuE6ELNS1_3repE0EEENS1_30default_config_static_selectorELNS0_4arch9wavefront6targetE0EEEvT1_ ; -- Begin function _ZN7rocprim17ROCPRIM_400000_NS6detail17trampoline_kernelINS0_14default_configENS1_27scan_by_key_config_selectorIiiEEZZNS1_16scan_by_key_implILNS1_25lookback_scan_determinismE0ELb1ES3_N6thrust23THRUST_200600_302600_NS6detail15normal_iteratorINS9_10device_ptrIiEEEESE_SE_iNS9_4plusIvEENS9_8equal_toIvEEiEE10hipError_tPvRmT2_T3_T4_T5_mT6_T7_P12ihipStream_tbENKUlT_T0_E_clISt17integral_constantIbLb0EESZ_EEDaSU_SV_EUlSU_E_NS1_11comp_targetILNS1_3genE2ELNS1_11target_archE906ELNS1_3gpuE6ELNS1_3repE0EEENS1_30default_config_static_selectorELNS0_4arch9wavefront6targetE0EEEvT1_
	.globl	_ZN7rocprim17ROCPRIM_400000_NS6detail17trampoline_kernelINS0_14default_configENS1_27scan_by_key_config_selectorIiiEEZZNS1_16scan_by_key_implILNS1_25lookback_scan_determinismE0ELb1ES3_N6thrust23THRUST_200600_302600_NS6detail15normal_iteratorINS9_10device_ptrIiEEEESE_SE_iNS9_4plusIvEENS9_8equal_toIvEEiEE10hipError_tPvRmT2_T3_T4_T5_mT6_T7_P12ihipStream_tbENKUlT_T0_E_clISt17integral_constantIbLb0EESZ_EEDaSU_SV_EUlSU_E_NS1_11comp_targetILNS1_3genE2ELNS1_11target_archE906ELNS1_3gpuE6ELNS1_3repE0EEENS1_30default_config_static_selectorELNS0_4arch9wavefront6targetE0EEEvT1_
	.p2align	8
	.type	_ZN7rocprim17ROCPRIM_400000_NS6detail17trampoline_kernelINS0_14default_configENS1_27scan_by_key_config_selectorIiiEEZZNS1_16scan_by_key_implILNS1_25lookback_scan_determinismE0ELb1ES3_N6thrust23THRUST_200600_302600_NS6detail15normal_iteratorINS9_10device_ptrIiEEEESE_SE_iNS9_4plusIvEENS9_8equal_toIvEEiEE10hipError_tPvRmT2_T3_T4_T5_mT6_T7_P12ihipStream_tbENKUlT_T0_E_clISt17integral_constantIbLb0EESZ_EEDaSU_SV_EUlSU_E_NS1_11comp_targetILNS1_3genE2ELNS1_11target_archE906ELNS1_3gpuE6ELNS1_3repE0EEENS1_30default_config_static_selectorELNS0_4arch9wavefront6targetE0EEEvT1_,@function
_ZN7rocprim17ROCPRIM_400000_NS6detail17trampoline_kernelINS0_14default_configENS1_27scan_by_key_config_selectorIiiEEZZNS1_16scan_by_key_implILNS1_25lookback_scan_determinismE0ELb1ES3_N6thrust23THRUST_200600_302600_NS6detail15normal_iteratorINS9_10device_ptrIiEEEESE_SE_iNS9_4plusIvEENS9_8equal_toIvEEiEE10hipError_tPvRmT2_T3_T4_T5_mT6_T7_P12ihipStream_tbENKUlT_T0_E_clISt17integral_constantIbLb0EESZ_EEDaSU_SV_EUlSU_E_NS1_11comp_targetILNS1_3genE2ELNS1_11target_archE906ELNS1_3gpuE6ELNS1_3repE0EEENS1_30default_config_static_selectorELNS0_4arch9wavefront6targetE0EEEvT1_: ; @_ZN7rocprim17ROCPRIM_400000_NS6detail17trampoline_kernelINS0_14default_configENS1_27scan_by_key_config_selectorIiiEEZZNS1_16scan_by_key_implILNS1_25lookback_scan_determinismE0ELb1ES3_N6thrust23THRUST_200600_302600_NS6detail15normal_iteratorINS9_10device_ptrIiEEEESE_SE_iNS9_4plusIvEENS9_8equal_toIvEEiEE10hipError_tPvRmT2_T3_T4_T5_mT6_T7_P12ihipStream_tbENKUlT_T0_E_clISt17integral_constantIbLb0EESZ_EEDaSU_SV_EUlSU_E_NS1_11comp_targetILNS1_3genE2ELNS1_11target_archE906ELNS1_3gpuE6ELNS1_3repE0EEENS1_30default_config_static_selectorELNS0_4arch9wavefront6targetE0EEEvT1_
; %bb.0:
	.section	.rodata,"a",@progbits
	.p2align	6, 0x0
	.amdhsa_kernel _ZN7rocprim17ROCPRIM_400000_NS6detail17trampoline_kernelINS0_14default_configENS1_27scan_by_key_config_selectorIiiEEZZNS1_16scan_by_key_implILNS1_25lookback_scan_determinismE0ELb1ES3_N6thrust23THRUST_200600_302600_NS6detail15normal_iteratorINS9_10device_ptrIiEEEESE_SE_iNS9_4plusIvEENS9_8equal_toIvEEiEE10hipError_tPvRmT2_T3_T4_T5_mT6_T7_P12ihipStream_tbENKUlT_T0_E_clISt17integral_constantIbLb0EESZ_EEDaSU_SV_EUlSU_E_NS1_11comp_targetILNS1_3genE2ELNS1_11target_archE906ELNS1_3gpuE6ELNS1_3repE0EEENS1_30default_config_static_selectorELNS0_4arch9wavefront6targetE0EEEvT1_
		.amdhsa_group_segment_fixed_size 0
		.amdhsa_private_segment_fixed_size 0
		.amdhsa_kernarg_size 112
		.amdhsa_user_sgpr_count 2
		.amdhsa_user_sgpr_dispatch_ptr 0
		.amdhsa_user_sgpr_queue_ptr 0
		.amdhsa_user_sgpr_kernarg_segment_ptr 1
		.amdhsa_user_sgpr_dispatch_id 0
		.amdhsa_user_sgpr_kernarg_preload_length 0
		.amdhsa_user_sgpr_kernarg_preload_offset 0
		.amdhsa_user_sgpr_private_segment_size 0
		.amdhsa_wavefront_size32 1
		.amdhsa_uses_dynamic_stack 0
		.amdhsa_enable_private_segment 0
		.amdhsa_system_sgpr_workgroup_id_x 1
		.amdhsa_system_sgpr_workgroup_id_y 0
		.amdhsa_system_sgpr_workgroup_id_z 0
		.amdhsa_system_sgpr_workgroup_info 0
		.amdhsa_system_vgpr_workitem_id 0
		.amdhsa_next_free_vgpr 1
		.amdhsa_next_free_sgpr 1
		.amdhsa_named_barrier_count 0
		.amdhsa_reserve_vcc 0
		.amdhsa_float_round_mode_32 0
		.amdhsa_float_round_mode_16_64 0
		.amdhsa_float_denorm_mode_32 3
		.amdhsa_float_denorm_mode_16_64 3
		.amdhsa_fp16_overflow 0
		.amdhsa_memory_ordered 1
		.amdhsa_forward_progress 1
		.amdhsa_inst_pref_size 0
		.amdhsa_round_robin_scheduling 0
		.amdhsa_exception_fp_ieee_invalid_op 0
		.amdhsa_exception_fp_denorm_src 0
		.amdhsa_exception_fp_ieee_div_zero 0
		.amdhsa_exception_fp_ieee_overflow 0
		.amdhsa_exception_fp_ieee_underflow 0
		.amdhsa_exception_fp_ieee_inexact 0
		.amdhsa_exception_int_div_zero 0
	.end_amdhsa_kernel
	.section	.text._ZN7rocprim17ROCPRIM_400000_NS6detail17trampoline_kernelINS0_14default_configENS1_27scan_by_key_config_selectorIiiEEZZNS1_16scan_by_key_implILNS1_25lookback_scan_determinismE0ELb1ES3_N6thrust23THRUST_200600_302600_NS6detail15normal_iteratorINS9_10device_ptrIiEEEESE_SE_iNS9_4plusIvEENS9_8equal_toIvEEiEE10hipError_tPvRmT2_T3_T4_T5_mT6_T7_P12ihipStream_tbENKUlT_T0_E_clISt17integral_constantIbLb0EESZ_EEDaSU_SV_EUlSU_E_NS1_11comp_targetILNS1_3genE2ELNS1_11target_archE906ELNS1_3gpuE6ELNS1_3repE0EEENS1_30default_config_static_selectorELNS0_4arch9wavefront6targetE0EEEvT1_,"axG",@progbits,_ZN7rocprim17ROCPRIM_400000_NS6detail17trampoline_kernelINS0_14default_configENS1_27scan_by_key_config_selectorIiiEEZZNS1_16scan_by_key_implILNS1_25lookback_scan_determinismE0ELb1ES3_N6thrust23THRUST_200600_302600_NS6detail15normal_iteratorINS9_10device_ptrIiEEEESE_SE_iNS9_4plusIvEENS9_8equal_toIvEEiEE10hipError_tPvRmT2_T3_T4_T5_mT6_T7_P12ihipStream_tbENKUlT_T0_E_clISt17integral_constantIbLb0EESZ_EEDaSU_SV_EUlSU_E_NS1_11comp_targetILNS1_3genE2ELNS1_11target_archE906ELNS1_3gpuE6ELNS1_3repE0EEENS1_30default_config_static_selectorELNS0_4arch9wavefront6targetE0EEEvT1_,comdat
.Lfunc_end466:
	.size	_ZN7rocprim17ROCPRIM_400000_NS6detail17trampoline_kernelINS0_14default_configENS1_27scan_by_key_config_selectorIiiEEZZNS1_16scan_by_key_implILNS1_25lookback_scan_determinismE0ELb1ES3_N6thrust23THRUST_200600_302600_NS6detail15normal_iteratorINS9_10device_ptrIiEEEESE_SE_iNS9_4plusIvEENS9_8equal_toIvEEiEE10hipError_tPvRmT2_T3_T4_T5_mT6_T7_P12ihipStream_tbENKUlT_T0_E_clISt17integral_constantIbLb0EESZ_EEDaSU_SV_EUlSU_E_NS1_11comp_targetILNS1_3genE2ELNS1_11target_archE906ELNS1_3gpuE6ELNS1_3repE0EEENS1_30default_config_static_selectorELNS0_4arch9wavefront6targetE0EEEvT1_, .Lfunc_end466-_ZN7rocprim17ROCPRIM_400000_NS6detail17trampoline_kernelINS0_14default_configENS1_27scan_by_key_config_selectorIiiEEZZNS1_16scan_by_key_implILNS1_25lookback_scan_determinismE0ELb1ES3_N6thrust23THRUST_200600_302600_NS6detail15normal_iteratorINS9_10device_ptrIiEEEESE_SE_iNS9_4plusIvEENS9_8equal_toIvEEiEE10hipError_tPvRmT2_T3_T4_T5_mT6_T7_P12ihipStream_tbENKUlT_T0_E_clISt17integral_constantIbLb0EESZ_EEDaSU_SV_EUlSU_E_NS1_11comp_targetILNS1_3genE2ELNS1_11target_archE906ELNS1_3gpuE6ELNS1_3repE0EEENS1_30default_config_static_selectorELNS0_4arch9wavefront6targetE0EEEvT1_
                                        ; -- End function
	.set _ZN7rocprim17ROCPRIM_400000_NS6detail17trampoline_kernelINS0_14default_configENS1_27scan_by_key_config_selectorIiiEEZZNS1_16scan_by_key_implILNS1_25lookback_scan_determinismE0ELb1ES3_N6thrust23THRUST_200600_302600_NS6detail15normal_iteratorINS9_10device_ptrIiEEEESE_SE_iNS9_4plusIvEENS9_8equal_toIvEEiEE10hipError_tPvRmT2_T3_T4_T5_mT6_T7_P12ihipStream_tbENKUlT_T0_E_clISt17integral_constantIbLb0EESZ_EEDaSU_SV_EUlSU_E_NS1_11comp_targetILNS1_3genE2ELNS1_11target_archE906ELNS1_3gpuE6ELNS1_3repE0EEENS1_30default_config_static_selectorELNS0_4arch9wavefront6targetE0EEEvT1_.num_vgpr, 0
	.set _ZN7rocprim17ROCPRIM_400000_NS6detail17trampoline_kernelINS0_14default_configENS1_27scan_by_key_config_selectorIiiEEZZNS1_16scan_by_key_implILNS1_25lookback_scan_determinismE0ELb1ES3_N6thrust23THRUST_200600_302600_NS6detail15normal_iteratorINS9_10device_ptrIiEEEESE_SE_iNS9_4plusIvEENS9_8equal_toIvEEiEE10hipError_tPvRmT2_T3_T4_T5_mT6_T7_P12ihipStream_tbENKUlT_T0_E_clISt17integral_constantIbLb0EESZ_EEDaSU_SV_EUlSU_E_NS1_11comp_targetILNS1_3genE2ELNS1_11target_archE906ELNS1_3gpuE6ELNS1_3repE0EEENS1_30default_config_static_selectorELNS0_4arch9wavefront6targetE0EEEvT1_.num_agpr, 0
	.set _ZN7rocprim17ROCPRIM_400000_NS6detail17trampoline_kernelINS0_14default_configENS1_27scan_by_key_config_selectorIiiEEZZNS1_16scan_by_key_implILNS1_25lookback_scan_determinismE0ELb1ES3_N6thrust23THRUST_200600_302600_NS6detail15normal_iteratorINS9_10device_ptrIiEEEESE_SE_iNS9_4plusIvEENS9_8equal_toIvEEiEE10hipError_tPvRmT2_T3_T4_T5_mT6_T7_P12ihipStream_tbENKUlT_T0_E_clISt17integral_constantIbLb0EESZ_EEDaSU_SV_EUlSU_E_NS1_11comp_targetILNS1_3genE2ELNS1_11target_archE906ELNS1_3gpuE6ELNS1_3repE0EEENS1_30default_config_static_selectorELNS0_4arch9wavefront6targetE0EEEvT1_.numbered_sgpr, 0
	.set _ZN7rocprim17ROCPRIM_400000_NS6detail17trampoline_kernelINS0_14default_configENS1_27scan_by_key_config_selectorIiiEEZZNS1_16scan_by_key_implILNS1_25lookback_scan_determinismE0ELb1ES3_N6thrust23THRUST_200600_302600_NS6detail15normal_iteratorINS9_10device_ptrIiEEEESE_SE_iNS9_4plusIvEENS9_8equal_toIvEEiEE10hipError_tPvRmT2_T3_T4_T5_mT6_T7_P12ihipStream_tbENKUlT_T0_E_clISt17integral_constantIbLb0EESZ_EEDaSU_SV_EUlSU_E_NS1_11comp_targetILNS1_3genE2ELNS1_11target_archE906ELNS1_3gpuE6ELNS1_3repE0EEENS1_30default_config_static_selectorELNS0_4arch9wavefront6targetE0EEEvT1_.num_named_barrier, 0
	.set _ZN7rocprim17ROCPRIM_400000_NS6detail17trampoline_kernelINS0_14default_configENS1_27scan_by_key_config_selectorIiiEEZZNS1_16scan_by_key_implILNS1_25lookback_scan_determinismE0ELb1ES3_N6thrust23THRUST_200600_302600_NS6detail15normal_iteratorINS9_10device_ptrIiEEEESE_SE_iNS9_4plusIvEENS9_8equal_toIvEEiEE10hipError_tPvRmT2_T3_T4_T5_mT6_T7_P12ihipStream_tbENKUlT_T0_E_clISt17integral_constantIbLb0EESZ_EEDaSU_SV_EUlSU_E_NS1_11comp_targetILNS1_3genE2ELNS1_11target_archE906ELNS1_3gpuE6ELNS1_3repE0EEENS1_30default_config_static_selectorELNS0_4arch9wavefront6targetE0EEEvT1_.private_seg_size, 0
	.set _ZN7rocprim17ROCPRIM_400000_NS6detail17trampoline_kernelINS0_14default_configENS1_27scan_by_key_config_selectorIiiEEZZNS1_16scan_by_key_implILNS1_25lookback_scan_determinismE0ELb1ES3_N6thrust23THRUST_200600_302600_NS6detail15normal_iteratorINS9_10device_ptrIiEEEESE_SE_iNS9_4plusIvEENS9_8equal_toIvEEiEE10hipError_tPvRmT2_T3_T4_T5_mT6_T7_P12ihipStream_tbENKUlT_T0_E_clISt17integral_constantIbLb0EESZ_EEDaSU_SV_EUlSU_E_NS1_11comp_targetILNS1_3genE2ELNS1_11target_archE906ELNS1_3gpuE6ELNS1_3repE0EEENS1_30default_config_static_selectorELNS0_4arch9wavefront6targetE0EEEvT1_.uses_vcc, 0
	.set _ZN7rocprim17ROCPRIM_400000_NS6detail17trampoline_kernelINS0_14default_configENS1_27scan_by_key_config_selectorIiiEEZZNS1_16scan_by_key_implILNS1_25lookback_scan_determinismE0ELb1ES3_N6thrust23THRUST_200600_302600_NS6detail15normal_iteratorINS9_10device_ptrIiEEEESE_SE_iNS9_4plusIvEENS9_8equal_toIvEEiEE10hipError_tPvRmT2_T3_T4_T5_mT6_T7_P12ihipStream_tbENKUlT_T0_E_clISt17integral_constantIbLb0EESZ_EEDaSU_SV_EUlSU_E_NS1_11comp_targetILNS1_3genE2ELNS1_11target_archE906ELNS1_3gpuE6ELNS1_3repE0EEENS1_30default_config_static_selectorELNS0_4arch9wavefront6targetE0EEEvT1_.uses_flat_scratch, 0
	.set _ZN7rocprim17ROCPRIM_400000_NS6detail17trampoline_kernelINS0_14default_configENS1_27scan_by_key_config_selectorIiiEEZZNS1_16scan_by_key_implILNS1_25lookback_scan_determinismE0ELb1ES3_N6thrust23THRUST_200600_302600_NS6detail15normal_iteratorINS9_10device_ptrIiEEEESE_SE_iNS9_4plusIvEENS9_8equal_toIvEEiEE10hipError_tPvRmT2_T3_T4_T5_mT6_T7_P12ihipStream_tbENKUlT_T0_E_clISt17integral_constantIbLb0EESZ_EEDaSU_SV_EUlSU_E_NS1_11comp_targetILNS1_3genE2ELNS1_11target_archE906ELNS1_3gpuE6ELNS1_3repE0EEENS1_30default_config_static_selectorELNS0_4arch9wavefront6targetE0EEEvT1_.has_dyn_sized_stack, 0
	.set _ZN7rocprim17ROCPRIM_400000_NS6detail17trampoline_kernelINS0_14default_configENS1_27scan_by_key_config_selectorIiiEEZZNS1_16scan_by_key_implILNS1_25lookback_scan_determinismE0ELb1ES3_N6thrust23THRUST_200600_302600_NS6detail15normal_iteratorINS9_10device_ptrIiEEEESE_SE_iNS9_4plusIvEENS9_8equal_toIvEEiEE10hipError_tPvRmT2_T3_T4_T5_mT6_T7_P12ihipStream_tbENKUlT_T0_E_clISt17integral_constantIbLb0EESZ_EEDaSU_SV_EUlSU_E_NS1_11comp_targetILNS1_3genE2ELNS1_11target_archE906ELNS1_3gpuE6ELNS1_3repE0EEENS1_30default_config_static_selectorELNS0_4arch9wavefront6targetE0EEEvT1_.has_recursion, 0
	.set _ZN7rocprim17ROCPRIM_400000_NS6detail17trampoline_kernelINS0_14default_configENS1_27scan_by_key_config_selectorIiiEEZZNS1_16scan_by_key_implILNS1_25lookback_scan_determinismE0ELb1ES3_N6thrust23THRUST_200600_302600_NS6detail15normal_iteratorINS9_10device_ptrIiEEEESE_SE_iNS9_4plusIvEENS9_8equal_toIvEEiEE10hipError_tPvRmT2_T3_T4_T5_mT6_T7_P12ihipStream_tbENKUlT_T0_E_clISt17integral_constantIbLb0EESZ_EEDaSU_SV_EUlSU_E_NS1_11comp_targetILNS1_3genE2ELNS1_11target_archE906ELNS1_3gpuE6ELNS1_3repE0EEENS1_30default_config_static_selectorELNS0_4arch9wavefront6targetE0EEEvT1_.has_indirect_call, 0
	.section	.AMDGPU.csdata,"",@progbits
; Kernel info:
; codeLenInByte = 0
; TotalNumSgprs: 0
; NumVgprs: 0
; ScratchSize: 0
; MemoryBound: 0
; FloatMode: 240
; IeeeMode: 1
; LDSByteSize: 0 bytes/workgroup (compile time only)
; SGPRBlocks: 0
; VGPRBlocks: 0
; NumSGPRsForWavesPerEU: 1
; NumVGPRsForWavesPerEU: 1
; NamedBarCnt: 0
; Occupancy: 16
; WaveLimiterHint : 0
; COMPUTE_PGM_RSRC2:SCRATCH_EN: 0
; COMPUTE_PGM_RSRC2:USER_SGPR: 2
; COMPUTE_PGM_RSRC2:TRAP_HANDLER: 0
; COMPUTE_PGM_RSRC2:TGID_X_EN: 1
; COMPUTE_PGM_RSRC2:TGID_Y_EN: 0
; COMPUTE_PGM_RSRC2:TGID_Z_EN: 0
; COMPUTE_PGM_RSRC2:TIDIG_COMP_CNT: 0
	.section	.text._ZN7rocprim17ROCPRIM_400000_NS6detail17trampoline_kernelINS0_14default_configENS1_27scan_by_key_config_selectorIiiEEZZNS1_16scan_by_key_implILNS1_25lookback_scan_determinismE0ELb1ES3_N6thrust23THRUST_200600_302600_NS6detail15normal_iteratorINS9_10device_ptrIiEEEESE_SE_iNS9_4plusIvEENS9_8equal_toIvEEiEE10hipError_tPvRmT2_T3_T4_T5_mT6_T7_P12ihipStream_tbENKUlT_T0_E_clISt17integral_constantIbLb0EESZ_EEDaSU_SV_EUlSU_E_NS1_11comp_targetILNS1_3genE10ELNS1_11target_archE1200ELNS1_3gpuE4ELNS1_3repE0EEENS1_30default_config_static_selectorELNS0_4arch9wavefront6targetE0EEEvT1_,"axG",@progbits,_ZN7rocprim17ROCPRIM_400000_NS6detail17trampoline_kernelINS0_14default_configENS1_27scan_by_key_config_selectorIiiEEZZNS1_16scan_by_key_implILNS1_25lookback_scan_determinismE0ELb1ES3_N6thrust23THRUST_200600_302600_NS6detail15normal_iteratorINS9_10device_ptrIiEEEESE_SE_iNS9_4plusIvEENS9_8equal_toIvEEiEE10hipError_tPvRmT2_T3_T4_T5_mT6_T7_P12ihipStream_tbENKUlT_T0_E_clISt17integral_constantIbLb0EESZ_EEDaSU_SV_EUlSU_E_NS1_11comp_targetILNS1_3genE10ELNS1_11target_archE1200ELNS1_3gpuE4ELNS1_3repE0EEENS1_30default_config_static_selectorELNS0_4arch9wavefront6targetE0EEEvT1_,comdat
	.protected	_ZN7rocprim17ROCPRIM_400000_NS6detail17trampoline_kernelINS0_14default_configENS1_27scan_by_key_config_selectorIiiEEZZNS1_16scan_by_key_implILNS1_25lookback_scan_determinismE0ELb1ES3_N6thrust23THRUST_200600_302600_NS6detail15normal_iteratorINS9_10device_ptrIiEEEESE_SE_iNS9_4plusIvEENS9_8equal_toIvEEiEE10hipError_tPvRmT2_T3_T4_T5_mT6_T7_P12ihipStream_tbENKUlT_T0_E_clISt17integral_constantIbLb0EESZ_EEDaSU_SV_EUlSU_E_NS1_11comp_targetILNS1_3genE10ELNS1_11target_archE1200ELNS1_3gpuE4ELNS1_3repE0EEENS1_30default_config_static_selectorELNS0_4arch9wavefront6targetE0EEEvT1_ ; -- Begin function _ZN7rocprim17ROCPRIM_400000_NS6detail17trampoline_kernelINS0_14default_configENS1_27scan_by_key_config_selectorIiiEEZZNS1_16scan_by_key_implILNS1_25lookback_scan_determinismE0ELb1ES3_N6thrust23THRUST_200600_302600_NS6detail15normal_iteratorINS9_10device_ptrIiEEEESE_SE_iNS9_4plusIvEENS9_8equal_toIvEEiEE10hipError_tPvRmT2_T3_T4_T5_mT6_T7_P12ihipStream_tbENKUlT_T0_E_clISt17integral_constantIbLb0EESZ_EEDaSU_SV_EUlSU_E_NS1_11comp_targetILNS1_3genE10ELNS1_11target_archE1200ELNS1_3gpuE4ELNS1_3repE0EEENS1_30default_config_static_selectorELNS0_4arch9wavefront6targetE0EEEvT1_
	.globl	_ZN7rocprim17ROCPRIM_400000_NS6detail17trampoline_kernelINS0_14default_configENS1_27scan_by_key_config_selectorIiiEEZZNS1_16scan_by_key_implILNS1_25lookback_scan_determinismE0ELb1ES3_N6thrust23THRUST_200600_302600_NS6detail15normal_iteratorINS9_10device_ptrIiEEEESE_SE_iNS9_4plusIvEENS9_8equal_toIvEEiEE10hipError_tPvRmT2_T3_T4_T5_mT6_T7_P12ihipStream_tbENKUlT_T0_E_clISt17integral_constantIbLb0EESZ_EEDaSU_SV_EUlSU_E_NS1_11comp_targetILNS1_3genE10ELNS1_11target_archE1200ELNS1_3gpuE4ELNS1_3repE0EEENS1_30default_config_static_selectorELNS0_4arch9wavefront6targetE0EEEvT1_
	.p2align	8
	.type	_ZN7rocprim17ROCPRIM_400000_NS6detail17trampoline_kernelINS0_14default_configENS1_27scan_by_key_config_selectorIiiEEZZNS1_16scan_by_key_implILNS1_25lookback_scan_determinismE0ELb1ES3_N6thrust23THRUST_200600_302600_NS6detail15normal_iteratorINS9_10device_ptrIiEEEESE_SE_iNS9_4plusIvEENS9_8equal_toIvEEiEE10hipError_tPvRmT2_T3_T4_T5_mT6_T7_P12ihipStream_tbENKUlT_T0_E_clISt17integral_constantIbLb0EESZ_EEDaSU_SV_EUlSU_E_NS1_11comp_targetILNS1_3genE10ELNS1_11target_archE1200ELNS1_3gpuE4ELNS1_3repE0EEENS1_30default_config_static_selectorELNS0_4arch9wavefront6targetE0EEEvT1_,@function
_ZN7rocprim17ROCPRIM_400000_NS6detail17trampoline_kernelINS0_14default_configENS1_27scan_by_key_config_selectorIiiEEZZNS1_16scan_by_key_implILNS1_25lookback_scan_determinismE0ELb1ES3_N6thrust23THRUST_200600_302600_NS6detail15normal_iteratorINS9_10device_ptrIiEEEESE_SE_iNS9_4plusIvEENS9_8equal_toIvEEiEE10hipError_tPvRmT2_T3_T4_T5_mT6_T7_P12ihipStream_tbENKUlT_T0_E_clISt17integral_constantIbLb0EESZ_EEDaSU_SV_EUlSU_E_NS1_11comp_targetILNS1_3genE10ELNS1_11target_archE1200ELNS1_3gpuE4ELNS1_3repE0EEENS1_30default_config_static_selectorELNS0_4arch9wavefront6targetE0EEEvT1_: ; @_ZN7rocprim17ROCPRIM_400000_NS6detail17trampoline_kernelINS0_14default_configENS1_27scan_by_key_config_selectorIiiEEZZNS1_16scan_by_key_implILNS1_25lookback_scan_determinismE0ELb1ES3_N6thrust23THRUST_200600_302600_NS6detail15normal_iteratorINS9_10device_ptrIiEEEESE_SE_iNS9_4plusIvEENS9_8equal_toIvEEiEE10hipError_tPvRmT2_T3_T4_T5_mT6_T7_P12ihipStream_tbENKUlT_T0_E_clISt17integral_constantIbLb0EESZ_EEDaSU_SV_EUlSU_E_NS1_11comp_targetILNS1_3genE10ELNS1_11target_archE1200ELNS1_3gpuE4ELNS1_3repE0EEENS1_30default_config_static_selectorELNS0_4arch9wavefront6targetE0EEEvT1_
; %bb.0:
	.section	.rodata,"a",@progbits
	.p2align	6, 0x0
	.amdhsa_kernel _ZN7rocprim17ROCPRIM_400000_NS6detail17trampoline_kernelINS0_14default_configENS1_27scan_by_key_config_selectorIiiEEZZNS1_16scan_by_key_implILNS1_25lookback_scan_determinismE0ELb1ES3_N6thrust23THRUST_200600_302600_NS6detail15normal_iteratorINS9_10device_ptrIiEEEESE_SE_iNS9_4plusIvEENS9_8equal_toIvEEiEE10hipError_tPvRmT2_T3_T4_T5_mT6_T7_P12ihipStream_tbENKUlT_T0_E_clISt17integral_constantIbLb0EESZ_EEDaSU_SV_EUlSU_E_NS1_11comp_targetILNS1_3genE10ELNS1_11target_archE1200ELNS1_3gpuE4ELNS1_3repE0EEENS1_30default_config_static_selectorELNS0_4arch9wavefront6targetE0EEEvT1_
		.amdhsa_group_segment_fixed_size 0
		.amdhsa_private_segment_fixed_size 0
		.amdhsa_kernarg_size 112
		.amdhsa_user_sgpr_count 2
		.amdhsa_user_sgpr_dispatch_ptr 0
		.amdhsa_user_sgpr_queue_ptr 0
		.amdhsa_user_sgpr_kernarg_segment_ptr 1
		.amdhsa_user_sgpr_dispatch_id 0
		.amdhsa_user_sgpr_kernarg_preload_length 0
		.amdhsa_user_sgpr_kernarg_preload_offset 0
		.amdhsa_user_sgpr_private_segment_size 0
		.amdhsa_wavefront_size32 1
		.amdhsa_uses_dynamic_stack 0
		.amdhsa_enable_private_segment 0
		.amdhsa_system_sgpr_workgroup_id_x 1
		.amdhsa_system_sgpr_workgroup_id_y 0
		.amdhsa_system_sgpr_workgroup_id_z 0
		.amdhsa_system_sgpr_workgroup_info 0
		.amdhsa_system_vgpr_workitem_id 0
		.amdhsa_next_free_vgpr 1
		.amdhsa_next_free_sgpr 1
		.amdhsa_named_barrier_count 0
		.amdhsa_reserve_vcc 0
		.amdhsa_float_round_mode_32 0
		.amdhsa_float_round_mode_16_64 0
		.amdhsa_float_denorm_mode_32 3
		.amdhsa_float_denorm_mode_16_64 3
		.amdhsa_fp16_overflow 0
		.amdhsa_memory_ordered 1
		.amdhsa_forward_progress 1
		.amdhsa_inst_pref_size 0
		.amdhsa_round_robin_scheduling 0
		.amdhsa_exception_fp_ieee_invalid_op 0
		.amdhsa_exception_fp_denorm_src 0
		.amdhsa_exception_fp_ieee_div_zero 0
		.amdhsa_exception_fp_ieee_overflow 0
		.amdhsa_exception_fp_ieee_underflow 0
		.amdhsa_exception_fp_ieee_inexact 0
		.amdhsa_exception_int_div_zero 0
	.end_amdhsa_kernel
	.section	.text._ZN7rocprim17ROCPRIM_400000_NS6detail17trampoline_kernelINS0_14default_configENS1_27scan_by_key_config_selectorIiiEEZZNS1_16scan_by_key_implILNS1_25lookback_scan_determinismE0ELb1ES3_N6thrust23THRUST_200600_302600_NS6detail15normal_iteratorINS9_10device_ptrIiEEEESE_SE_iNS9_4plusIvEENS9_8equal_toIvEEiEE10hipError_tPvRmT2_T3_T4_T5_mT6_T7_P12ihipStream_tbENKUlT_T0_E_clISt17integral_constantIbLb0EESZ_EEDaSU_SV_EUlSU_E_NS1_11comp_targetILNS1_3genE10ELNS1_11target_archE1200ELNS1_3gpuE4ELNS1_3repE0EEENS1_30default_config_static_selectorELNS0_4arch9wavefront6targetE0EEEvT1_,"axG",@progbits,_ZN7rocprim17ROCPRIM_400000_NS6detail17trampoline_kernelINS0_14default_configENS1_27scan_by_key_config_selectorIiiEEZZNS1_16scan_by_key_implILNS1_25lookback_scan_determinismE0ELb1ES3_N6thrust23THRUST_200600_302600_NS6detail15normal_iteratorINS9_10device_ptrIiEEEESE_SE_iNS9_4plusIvEENS9_8equal_toIvEEiEE10hipError_tPvRmT2_T3_T4_T5_mT6_T7_P12ihipStream_tbENKUlT_T0_E_clISt17integral_constantIbLb0EESZ_EEDaSU_SV_EUlSU_E_NS1_11comp_targetILNS1_3genE10ELNS1_11target_archE1200ELNS1_3gpuE4ELNS1_3repE0EEENS1_30default_config_static_selectorELNS0_4arch9wavefront6targetE0EEEvT1_,comdat
.Lfunc_end467:
	.size	_ZN7rocprim17ROCPRIM_400000_NS6detail17trampoline_kernelINS0_14default_configENS1_27scan_by_key_config_selectorIiiEEZZNS1_16scan_by_key_implILNS1_25lookback_scan_determinismE0ELb1ES3_N6thrust23THRUST_200600_302600_NS6detail15normal_iteratorINS9_10device_ptrIiEEEESE_SE_iNS9_4plusIvEENS9_8equal_toIvEEiEE10hipError_tPvRmT2_T3_T4_T5_mT6_T7_P12ihipStream_tbENKUlT_T0_E_clISt17integral_constantIbLb0EESZ_EEDaSU_SV_EUlSU_E_NS1_11comp_targetILNS1_3genE10ELNS1_11target_archE1200ELNS1_3gpuE4ELNS1_3repE0EEENS1_30default_config_static_selectorELNS0_4arch9wavefront6targetE0EEEvT1_, .Lfunc_end467-_ZN7rocprim17ROCPRIM_400000_NS6detail17trampoline_kernelINS0_14default_configENS1_27scan_by_key_config_selectorIiiEEZZNS1_16scan_by_key_implILNS1_25lookback_scan_determinismE0ELb1ES3_N6thrust23THRUST_200600_302600_NS6detail15normal_iteratorINS9_10device_ptrIiEEEESE_SE_iNS9_4plusIvEENS9_8equal_toIvEEiEE10hipError_tPvRmT2_T3_T4_T5_mT6_T7_P12ihipStream_tbENKUlT_T0_E_clISt17integral_constantIbLb0EESZ_EEDaSU_SV_EUlSU_E_NS1_11comp_targetILNS1_3genE10ELNS1_11target_archE1200ELNS1_3gpuE4ELNS1_3repE0EEENS1_30default_config_static_selectorELNS0_4arch9wavefront6targetE0EEEvT1_
                                        ; -- End function
	.set _ZN7rocprim17ROCPRIM_400000_NS6detail17trampoline_kernelINS0_14default_configENS1_27scan_by_key_config_selectorIiiEEZZNS1_16scan_by_key_implILNS1_25lookback_scan_determinismE0ELb1ES3_N6thrust23THRUST_200600_302600_NS6detail15normal_iteratorINS9_10device_ptrIiEEEESE_SE_iNS9_4plusIvEENS9_8equal_toIvEEiEE10hipError_tPvRmT2_T3_T4_T5_mT6_T7_P12ihipStream_tbENKUlT_T0_E_clISt17integral_constantIbLb0EESZ_EEDaSU_SV_EUlSU_E_NS1_11comp_targetILNS1_3genE10ELNS1_11target_archE1200ELNS1_3gpuE4ELNS1_3repE0EEENS1_30default_config_static_selectorELNS0_4arch9wavefront6targetE0EEEvT1_.num_vgpr, 0
	.set _ZN7rocprim17ROCPRIM_400000_NS6detail17trampoline_kernelINS0_14default_configENS1_27scan_by_key_config_selectorIiiEEZZNS1_16scan_by_key_implILNS1_25lookback_scan_determinismE0ELb1ES3_N6thrust23THRUST_200600_302600_NS6detail15normal_iteratorINS9_10device_ptrIiEEEESE_SE_iNS9_4plusIvEENS9_8equal_toIvEEiEE10hipError_tPvRmT2_T3_T4_T5_mT6_T7_P12ihipStream_tbENKUlT_T0_E_clISt17integral_constantIbLb0EESZ_EEDaSU_SV_EUlSU_E_NS1_11comp_targetILNS1_3genE10ELNS1_11target_archE1200ELNS1_3gpuE4ELNS1_3repE0EEENS1_30default_config_static_selectorELNS0_4arch9wavefront6targetE0EEEvT1_.num_agpr, 0
	.set _ZN7rocprim17ROCPRIM_400000_NS6detail17trampoline_kernelINS0_14default_configENS1_27scan_by_key_config_selectorIiiEEZZNS1_16scan_by_key_implILNS1_25lookback_scan_determinismE0ELb1ES3_N6thrust23THRUST_200600_302600_NS6detail15normal_iteratorINS9_10device_ptrIiEEEESE_SE_iNS9_4plusIvEENS9_8equal_toIvEEiEE10hipError_tPvRmT2_T3_T4_T5_mT6_T7_P12ihipStream_tbENKUlT_T0_E_clISt17integral_constantIbLb0EESZ_EEDaSU_SV_EUlSU_E_NS1_11comp_targetILNS1_3genE10ELNS1_11target_archE1200ELNS1_3gpuE4ELNS1_3repE0EEENS1_30default_config_static_selectorELNS0_4arch9wavefront6targetE0EEEvT1_.numbered_sgpr, 0
	.set _ZN7rocprim17ROCPRIM_400000_NS6detail17trampoline_kernelINS0_14default_configENS1_27scan_by_key_config_selectorIiiEEZZNS1_16scan_by_key_implILNS1_25lookback_scan_determinismE0ELb1ES3_N6thrust23THRUST_200600_302600_NS6detail15normal_iteratorINS9_10device_ptrIiEEEESE_SE_iNS9_4plusIvEENS9_8equal_toIvEEiEE10hipError_tPvRmT2_T3_T4_T5_mT6_T7_P12ihipStream_tbENKUlT_T0_E_clISt17integral_constantIbLb0EESZ_EEDaSU_SV_EUlSU_E_NS1_11comp_targetILNS1_3genE10ELNS1_11target_archE1200ELNS1_3gpuE4ELNS1_3repE0EEENS1_30default_config_static_selectorELNS0_4arch9wavefront6targetE0EEEvT1_.num_named_barrier, 0
	.set _ZN7rocprim17ROCPRIM_400000_NS6detail17trampoline_kernelINS0_14default_configENS1_27scan_by_key_config_selectorIiiEEZZNS1_16scan_by_key_implILNS1_25lookback_scan_determinismE0ELb1ES3_N6thrust23THRUST_200600_302600_NS6detail15normal_iteratorINS9_10device_ptrIiEEEESE_SE_iNS9_4plusIvEENS9_8equal_toIvEEiEE10hipError_tPvRmT2_T3_T4_T5_mT6_T7_P12ihipStream_tbENKUlT_T0_E_clISt17integral_constantIbLb0EESZ_EEDaSU_SV_EUlSU_E_NS1_11comp_targetILNS1_3genE10ELNS1_11target_archE1200ELNS1_3gpuE4ELNS1_3repE0EEENS1_30default_config_static_selectorELNS0_4arch9wavefront6targetE0EEEvT1_.private_seg_size, 0
	.set _ZN7rocprim17ROCPRIM_400000_NS6detail17trampoline_kernelINS0_14default_configENS1_27scan_by_key_config_selectorIiiEEZZNS1_16scan_by_key_implILNS1_25lookback_scan_determinismE0ELb1ES3_N6thrust23THRUST_200600_302600_NS6detail15normal_iteratorINS9_10device_ptrIiEEEESE_SE_iNS9_4plusIvEENS9_8equal_toIvEEiEE10hipError_tPvRmT2_T3_T4_T5_mT6_T7_P12ihipStream_tbENKUlT_T0_E_clISt17integral_constantIbLb0EESZ_EEDaSU_SV_EUlSU_E_NS1_11comp_targetILNS1_3genE10ELNS1_11target_archE1200ELNS1_3gpuE4ELNS1_3repE0EEENS1_30default_config_static_selectorELNS0_4arch9wavefront6targetE0EEEvT1_.uses_vcc, 0
	.set _ZN7rocprim17ROCPRIM_400000_NS6detail17trampoline_kernelINS0_14default_configENS1_27scan_by_key_config_selectorIiiEEZZNS1_16scan_by_key_implILNS1_25lookback_scan_determinismE0ELb1ES3_N6thrust23THRUST_200600_302600_NS6detail15normal_iteratorINS9_10device_ptrIiEEEESE_SE_iNS9_4plusIvEENS9_8equal_toIvEEiEE10hipError_tPvRmT2_T3_T4_T5_mT6_T7_P12ihipStream_tbENKUlT_T0_E_clISt17integral_constantIbLb0EESZ_EEDaSU_SV_EUlSU_E_NS1_11comp_targetILNS1_3genE10ELNS1_11target_archE1200ELNS1_3gpuE4ELNS1_3repE0EEENS1_30default_config_static_selectorELNS0_4arch9wavefront6targetE0EEEvT1_.uses_flat_scratch, 0
	.set _ZN7rocprim17ROCPRIM_400000_NS6detail17trampoline_kernelINS0_14default_configENS1_27scan_by_key_config_selectorIiiEEZZNS1_16scan_by_key_implILNS1_25lookback_scan_determinismE0ELb1ES3_N6thrust23THRUST_200600_302600_NS6detail15normal_iteratorINS9_10device_ptrIiEEEESE_SE_iNS9_4plusIvEENS9_8equal_toIvEEiEE10hipError_tPvRmT2_T3_T4_T5_mT6_T7_P12ihipStream_tbENKUlT_T0_E_clISt17integral_constantIbLb0EESZ_EEDaSU_SV_EUlSU_E_NS1_11comp_targetILNS1_3genE10ELNS1_11target_archE1200ELNS1_3gpuE4ELNS1_3repE0EEENS1_30default_config_static_selectorELNS0_4arch9wavefront6targetE0EEEvT1_.has_dyn_sized_stack, 0
	.set _ZN7rocprim17ROCPRIM_400000_NS6detail17trampoline_kernelINS0_14default_configENS1_27scan_by_key_config_selectorIiiEEZZNS1_16scan_by_key_implILNS1_25lookback_scan_determinismE0ELb1ES3_N6thrust23THRUST_200600_302600_NS6detail15normal_iteratorINS9_10device_ptrIiEEEESE_SE_iNS9_4plusIvEENS9_8equal_toIvEEiEE10hipError_tPvRmT2_T3_T4_T5_mT6_T7_P12ihipStream_tbENKUlT_T0_E_clISt17integral_constantIbLb0EESZ_EEDaSU_SV_EUlSU_E_NS1_11comp_targetILNS1_3genE10ELNS1_11target_archE1200ELNS1_3gpuE4ELNS1_3repE0EEENS1_30default_config_static_selectorELNS0_4arch9wavefront6targetE0EEEvT1_.has_recursion, 0
	.set _ZN7rocprim17ROCPRIM_400000_NS6detail17trampoline_kernelINS0_14default_configENS1_27scan_by_key_config_selectorIiiEEZZNS1_16scan_by_key_implILNS1_25lookback_scan_determinismE0ELb1ES3_N6thrust23THRUST_200600_302600_NS6detail15normal_iteratorINS9_10device_ptrIiEEEESE_SE_iNS9_4plusIvEENS9_8equal_toIvEEiEE10hipError_tPvRmT2_T3_T4_T5_mT6_T7_P12ihipStream_tbENKUlT_T0_E_clISt17integral_constantIbLb0EESZ_EEDaSU_SV_EUlSU_E_NS1_11comp_targetILNS1_3genE10ELNS1_11target_archE1200ELNS1_3gpuE4ELNS1_3repE0EEENS1_30default_config_static_selectorELNS0_4arch9wavefront6targetE0EEEvT1_.has_indirect_call, 0
	.section	.AMDGPU.csdata,"",@progbits
; Kernel info:
; codeLenInByte = 0
; TotalNumSgprs: 0
; NumVgprs: 0
; ScratchSize: 0
; MemoryBound: 0
; FloatMode: 240
; IeeeMode: 1
; LDSByteSize: 0 bytes/workgroup (compile time only)
; SGPRBlocks: 0
; VGPRBlocks: 0
; NumSGPRsForWavesPerEU: 1
; NumVGPRsForWavesPerEU: 1
; NamedBarCnt: 0
; Occupancy: 16
; WaveLimiterHint : 0
; COMPUTE_PGM_RSRC2:SCRATCH_EN: 0
; COMPUTE_PGM_RSRC2:USER_SGPR: 2
; COMPUTE_PGM_RSRC2:TRAP_HANDLER: 0
; COMPUTE_PGM_RSRC2:TGID_X_EN: 1
; COMPUTE_PGM_RSRC2:TGID_Y_EN: 0
; COMPUTE_PGM_RSRC2:TGID_Z_EN: 0
; COMPUTE_PGM_RSRC2:TIDIG_COMP_CNT: 0
	.section	.text._ZN7rocprim17ROCPRIM_400000_NS6detail17trampoline_kernelINS0_14default_configENS1_27scan_by_key_config_selectorIiiEEZZNS1_16scan_by_key_implILNS1_25lookback_scan_determinismE0ELb1ES3_N6thrust23THRUST_200600_302600_NS6detail15normal_iteratorINS9_10device_ptrIiEEEESE_SE_iNS9_4plusIvEENS9_8equal_toIvEEiEE10hipError_tPvRmT2_T3_T4_T5_mT6_T7_P12ihipStream_tbENKUlT_T0_E_clISt17integral_constantIbLb0EESZ_EEDaSU_SV_EUlSU_E_NS1_11comp_targetILNS1_3genE9ELNS1_11target_archE1100ELNS1_3gpuE3ELNS1_3repE0EEENS1_30default_config_static_selectorELNS0_4arch9wavefront6targetE0EEEvT1_,"axG",@progbits,_ZN7rocprim17ROCPRIM_400000_NS6detail17trampoline_kernelINS0_14default_configENS1_27scan_by_key_config_selectorIiiEEZZNS1_16scan_by_key_implILNS1_25lookback_scan_determinismE0ELb1ES3_N6thrust23THRUST_200600_302600_NS6detail15normal_iteratorINS9_10device_ptrIiEEEESE_SE_iNS9_4plusIvEENS9_8equal_toIvEEiEE10hipError_tPvRmT2_T3_T4_T5_mT6_T7_P12ihipStream_tbENKUlT_T0_E_clISt17integral_constantIbLb0EESZ_EEDaSU_SV_EUlSU_E_NS1_11comp_targetILNS1_3genE9ELNS1_11target_archE1100ELNS1_3gpuE3ELNS1_3repE0EEENS1_30default_config_static_selectorELNS0_4arch9wavefront6targetE0EEEvT1_,comdat
	.protected	_ZN7rocprim17ROCPRIM_400000_NS6detail17trampoline_kernelINS0_14default_configENS1_27scan_by_key_config_selectorIiiEEZZNS1_16scan_by_key_implILNS1_25lookback_scan_determinismE0ELb1ES3_N6thrust23THRUST_200600_302600_NS6detail15normal_iteratorINS9_10device_ptrIiEEEESE_SE_iNS9_4plusIvEENS9_8equal_toIvEEiEE10hipError_tPvRmT2_T3_T4_T5_mT6_T7_P12ihipStream_tbENKUlT_T0_E_clISt17integral_constantIbLb0EESZ_EEDaSU_SV_EUlSU_E_NS1_11comp_targetILNS1_3genE9ELNS1_11target_archE1100ELNS1_3gpuE3ELNS1_3repE0EEENS1_30default_config_static_selectorELNS0_4arch9wavefront6targetE0EEEvT1_ ; -- Begin function _ZN7rocprim17ROCPRIM_400000_NS6detail17trampoline_kernelINS0_14default_configENS1_27scan_by_key_config_selectorIiiEEZZNS1_16scan_by_key_implILNS1_25lookback_scan_determinismE0ELb1ES3_N6thrust23THRUST_200600_302600_NS6detail15normal_iteratorINS9_10device_ptrIiEEEESE_SE_iNS9_4plusIvEENS9_8equal_toIvEEiEE10hipError_tPvRmT2_T3_T4_T5_mT6_T7_P12ihipStream_tbENKUlT_T0_E_clISt17integral_constantIbLb0EESZ_EEDaSU_SV_EUlSU_E_NS1_11comp_targetILNS1_3genE9ELNS1_11target_archE1100ELNS1_3gpuE3ELNS1_3repE0EEENS1_30default_config_static_selectorELNS0_4arch9wavefront6targetE0EEEvT1_
	.globl	_ZN7rocprim17ROCPRIM_400000_NS6detail17trampoline_kernelINS0_14default_configENS1_27scan_by_key_config_selectorIiiEEZZNS1_16scan_by_key_implILNS1_25lookback_scan_determinismE0ELb1ES3_N6thrust23THRUST_200600_302600_NS6detail15normal_iteratorINS9_10device_ptrIiEEEESE_SE_iNS9_4plusIvEENS9_8equal_toIvEEiEE10hipError_tPvRmT2_T3_T4_T5_mT6_T7_P12ihipStream_tbENKUlT_T0_E_clISt17integral_constantIbLb0EESZ_EEDaSU_SV_EUlSU_E_NS1_11comp_targetILNS1_3genE9ELNS1_11target_archE1100ELNS1_3gpuE3ELNS1_3repE0EEENS1_30default_config_static_selectorELNS0_4arch9wavefront6targetE0EEEvT1_
	.p2align	8
	.type	_ZN7rocprim17ROCPRIM_400000_NS6detail17trampoline_kernelINS0_14default_configENS1_27scan_by_key_config_selectorIiiEEZZNS1_16scan_by_key_implILNS1_25lookback_scan_determinismE0ELb1ES3_N6thrust23THRUST_200600_302600_NS6detail15normal_iteratorINS9_10device_ptrIiEEEESE_SE_iNS9_4plusIvEENS9_8equal_toIvEEiEE10hipError_tPvRmT2_T3_T4_T5_mT6_T7_P12ihipStream_tbENKUlT_T0_E_clISt17integral_constantIbLb0EESZ_EEDaSU_SV_EUlSU_E_NS1_11comp_targetILNS1_3genE9ELNS1_11target_archE1100ELNS1_3gpuE3ELNS1_3repE0EEENS1_30default_config_static_selectorELNS0_4arch9wavefront6targetE0EEEvT1_,@function
_ZN7rocprim17ROCPRIM_400000_NS6detail17trampoline_kernelINS0_14default_configENS1_27scan_by_key_config_selectorIiiEEZZNS1_16scan_by_key_implILNS1_25lookback_scan_determinismE0ELb1ES3_N6thrust23THRUST_200600_302600_NS6detail15normal_iteratorINS9_10device_ptrIiEEEESE_SE_iNS9_4plusIvEENS9_8equal_toIvEEiEE10hipError_tPvRmT2_T3_T4_T5_mT6_T7_P12ihipStream_tbENKUlT_T0_E_clISt17integral_constantIbLb0EESZ_EEDaSU_SV_EUlSU_E_NS1_11comp_targetILNS1_3genE9ELNS1_11target_archE1100ELNS1_3gpuE3ELNS1_3repE0EEENS1_30default_config_static_selectorELNS0_4arch9wavefront6targetE0EEEvT1_: ; @_ZN7rocprim17ROCPRIM_400000_NS6detail17trampoline_kernelINS0_14default_configENS1_27scan_by_key_config_selectorIiiEEZZNS1_16scan_by_key_implILNS1_25lookback_scan_determinismE0ELb1ES3_N6thrust23THRUST_200600_302600_NS6detail15normal_iteratorINS9_10device_ptrIiEEEESE_SE_iNS9_4plusIvEENS9_8equal_toIvEEiEE10hipError_tPvRmT2_T3_T4_T5_mT6_T7_P12ihipStream_tbENKUlT_T0_E_clISt17integral_constantIbLb0EESZ_EEDaSU_SV_EUlSU_E_NS1_11comp_targetILNS1_3genE9ELNS1_11target_archE1100ELNS1_3gpuE3ELNS1_3repE0EEENS1_30default_config_static_selectorELNS0_4arch9wavefront6targetE0EEEvT1_
; %bb.0:
	.section	.rodata,"a",@progbits
	.p2align	6, 0x0
	.amdhsa_kernel _ZN7rocprim17ROCPRIM_400000_NS6detail17trampoline_kernelINS0_14default_configENS1_27scan_by_key_config_selectorIiiEEZZNS1_16scan_by_key_implILNS1_25lookback_scan_determinismE0ELb1ES3_N6thrust23THRUST_200600_302600_NS6detail15normal_iteratorINS9_10device_ptrIiEEEESE_SE_iNS9_4plusIvEENS9_8equal_toIvEEiEE10hipError_tPvRmT2_T3_T4_T5_mT6_T7_P12ihipStream_tbENKUlT_T0_E_clISt17integral_constantIbLb0EESZ_EEDaSU_SV_EUlSU_E_NS1_11comp_targetILNS1_3genE9ELNS1_11target_archE1100ELNS1_3gpuE3ELNS1_3repE0EEENS1_30default_config_static_selectorELNS0_4arch9wavefront6targetE0EEEvT1_
		.amdhsa_group_segment_fixed_size 0
		.amdhsa_private_segment_fixed_size 0
		.amdhsa_kernarg_size 112
		.amdhsa_user_sgpr_count 2
		.amdhsa_user_sgpr_dispatch_ptr 0
		.amdhsa_user_sgpr_queue_ptr 0
		.amdhsa_user_sgpr_kernarg_segment_ptr 1
		.amdhsa_user_sgpr_dispatch_id 0
		.amdhsa_user_sgpr_kernarg_preload_length 0
		.amdhsa_user_sgpr_kernarg_preload_offset 0
		.amdhsa_user_sgpr_private_segment_size 0
		.amdhsa_wavefront_size32 1
		.amdhsa_uses_dynamic_stack 0
		.amdhsa_enable_private_segment 0
		.amdhsa_system_sgpr_workgroup_id_x 1
		.amdhsa_system_sgpr_workgroup_id_y 0
		.amdhsa_system_sgpr_workgroup_id_z 0
		.amdhsa_system_sgpr_workgroup_info 0
		.amdhsa_system_vgpr_workitem_id 0
		.amdhsa_next_free_vgpr 1
		.amdhsa_next_free_sgpr 1
		.amdhsa_named_barrier_count 0
		.amdhsa_reserve_vcc 0
		.amdhsa_float_round_mode_32 0
		.amdhsa_float_round_mode_16_64 0
		.amdhsa_float_denorm_mode_32 3
		.amdhsa_float_denorm_mode_16_64 3
		.amdhsa_fp16_overflow 0
		.amdhsa_memory_ordered 1
		.amdhsa_forward_progress 1
		.amdhsa_inst_pref_size 0
		.amdhsa_round_robin_scheduling 0
		.amdhsa_exception_fp_ieee_invalid_op 0
		.amdhsa_exception_fp_denorm_src 0
		.amdhsa_exception_fp_ieee_div_zero 0
		.amdhsa_exception_fp_ieee_overflow 0
		.amdhsa_exception_fp_ieee_underflow 0
		.amdhsa_exception_fp_ieee_inexact 0
		.amdhsa_exception_int_div_zero 0
	.end_amdhsa_kernel
	.section	.text._ZN7rocprim17ROCPRIM_400000_NS6detail17trampoline_kernelINS0_14default_configENS1_27scan_by_key_config_selectorIiiEEZZNS1_16scan_by_key_implILNS1_25lookback_scan_determinismE0ELb1ES3_N6thrust23THRUST_200600_302600_NS6detail15normal_iteratorINS9_10device_ptrIiEEEESE_SE_iNS9_4plusIvEENS9_8equal_toIvEEiEE10hipError_tPvRmT2_T3_T4_T5_mT6_T7_P12ihipStream_tbENKUlT_T0_E_clISt17integral_constantIbLb0EESZ_EEDaSU_SV_EUlSU_E_NS1_11comp_targetILNS1_3genE9ELNS1_11target_archE1100ELNS1_3gpuE3ELNS1_3repE0EEENS1_30default_config_static_selectorELNS0_4arch9wavefront6targetE0EEEvT1_,"axG",@progbits,_ZN7rocprim17ROCPRIM_400000_NS6detail17trampoline_kernelINS0_14default_configENS1_27scan_by_key_config_selectorIiiEEZZNS1_16scan_by_key_implILNS1_25lookback_scan_determinismE0ELb1ES3_N6thrust23THRUST_200600_302600_NS6detail15normal_iteratorINS9_10device_ptrIiEEEESE_SE_iNS9_4plusIvEENS9_8equal_toIvEEiEE10hipError_tPvRmT2_T3_T4_T5_mT6_T7_P12ihipStream_tbENKUlT_T0_E_clISt17integral_constantIbLb0EESZ_EEDaSU_SV_EUlSU_E_NS1_11comp_targetILNS1_3genE9ELNS1_11target_archE1100ELNS1_3gpuE3ELNS1_3repE0EEENS1_30default_config_static_selectorELNS0_4arch9wavefront6targetE0EEEvT1_,comdat
.Lfunc_end468:
	.size	_ZN7rocprim17ROCPRIM_400000_NS6detail17trampoline_kernelINS0_14default_configENS1_27scan_by_key_config_selectorIiiEEZZNS1_16scan_by_key_implILNS1_25lookback_scan_determinismE0ELb1ES3_N6thrust23THRUST_200600_302600_NS6detail15normal_iteratorINS9_10device_ptrIiEEEESE_SE_iNS9_4plusIvEENS9_8equal_toIvEEiEE10hipError_tPvRmT2_T3_T4_T5_mT6_T7_P12ihipStream_tbENKUlT_T0_E_clISt17integral_constantIbLb0EESZ_EEDaSU_SV_EUlSU_E_NS1_11comp_targetILNS1_3genE9ELNS1_11target_archE1100ELNS1_3gpuE3ELNS1_3repE0EEENS1_30default_config_static_selectorELNS0_4arch9wavefront6targetE0EEEvT1_, .Lfunc_end468-_ZN7rocprim17ROCPRIM_400000_NS6detail17trampoline_kernelINS0_14default_configENS1_27scan_by_key_config_selectorIiiEEZZNS1_16scan_by_key_implILNS1_25lookback_scan_determinismE0ELb1ES3_N6thrust23THRUST_200600_302600_NS6detail15normal_iteratorINS9_10device_ptrIiEEEESE_SE_iNS9_4plusIvEENS9_8equal_toIvEEiEE10hipError_tPvRmT2_T3_T4_T5_mT6_T7_P12ihipStream_tbENKUlT_T0_E_clISt17integral_constantIbLb0EESZ_EEDaSU_SV_EUlSU_E_NS1_11comp_targetILNS1_3genE9ELNS1_11target_archE1100ELNS1_3gpuE3ELNS1_3repE0EEENS1_30default_config_static_selectorELNS0_4arch9wavefront6targetE0EEEvT1_
                                        ; -- End function
	.set _ZN7rocprim17ROCPRIM_400000_NS6detail17trampoline_kernelINS0_14default_configENS1_27scan_by_key_config_selectorIiiEEZZNS1_16scan_by_key_implILNS1_25lookback_scan_determinismE0ELb1ES3_N6thrust23THRUST_200600_302600_NS6detail15normal_iteratorINS9_10device_ptrIiEEEESE_SE_iNS9_4plusIvEENS9_8equal_toIvEEiEE10hipError_tPvRmT2_T3_T4_T5_mT6_T7_P12ihipStream_tbENKUlT_T0_E_clISt17integral_constantIbLb0EESZ_EEDaSU_SV_EUlSU_E_NS1_11comp_targetILNS1_3genE9ELNS1_11target_archE1100ELNS1_3gpuE3ELNS1_3repE0EEENS1_30default_config_static_selectorELNS0_4arch9wavefront6targetE0EEEvT1_.num_vgpr, 0
	.set _ZN7rocprim17ROCPRIM_400000_NS6detail17trampoline_kernelINS0_14default_configENS1_27scan_by_key_config_selectorIiiEEZZNS1_16scan_by_key_implILNS1_25lookback_scan_determinismE0ELb1ES3_N6thrust23THRUST_200600_302600_NS6detail15normal_iteratorINS9_10device_ptrIiEEEESE_SE_iNS9_4plusIvEENS9_8equal_toIvEEiEE10hipError_tPvRmT2_T3_T4_T5_mT6_T7_P12ihipStream_tbENKUlT_T0_E_clISt17integral_constantIbLb0EESZ_EEDaSU_SV_EUlSU_E_NS1_11comp_targetILNS1_3genE9ELNS1_11target_archE1100ELNS1_3gpuE3ELNS1_3repE0EEENS1_30default_config_static_selectorELNS0_4arch9wavefront6targetE0EEEvT1_.num_agpr, 0
	.set _ZN7rocprim17ROCPRIM_400000_NS6detail17trampoline_kernelINS0_14default_configENS1_27scan_by_key_config_selectorIiiEEZZNS1_16scan_by_key_implILNS1_25lookback_scan_determinismE0ELb1ES3_N6thrust23THRUST_200600_302600_NS6detail15normal_iteratorINS9_10device_ptrIiEEEESE_SE_iNS9_4plusIvEENS9_8equal_toIvEEiEE10hipError_tPvRmT2_T3_T4_T5_mT6_T7_P12ihipStream_tbENKUlT_T0_E_clISt17integral_constantIbLb0EESZ_EEDaSU_SV_EUlSU_E_NS1_11comp_targetILNS1_3genE9ELNS1_11target_archE1100ELNS1_3gpuE3ELNS1_3repE0EEENS1_30default_config_static_selectorELNS0_4arch9wavefront6targetE0EEEvT1_.numbered_sgpr, 0
	.set _ZN7rocprim17ROCPRIM_400000_NS6detail17trampoline_kernelINS0_14default_configENS1_27scan_by_key_config_selectorIiiEEZZNS1_16scan_by_key_implILNS1_25lookback_scan_determinismE0ELb1ES3_N6thrust23THRUST_200600_302600_NS6detail15normal_iteratorINS9_10device_ptrIiEEEESE_SE_iNS9_4plusIvEENS9_8equal_toIvEEiEE10hipError_tPvRmT2_T3_T4_T5_mT6_T7_P12ihipStream_tbENKUlT_T0_E_clISt17integral_constantIbLb0EESZ_EEDaSU_SV_EUlSU_E_NS1_11comp_targetILNS1_3genE9ELNS1_11target_archE1100ELNS1_3gpuE3ELNS1_3repE0EEENS1_30default_config_static_selectorELNS0_4arch9wavefront6targetE0EEEvT1_.num_named_barrier, 0
	.set _ZN7rocprim17ROCPRIM_400000_NS6detail17trampoline_kernelINS0_14default_configENS1_27scan_by_key_config_selectorIiiEEZZNS1_16scan_by_key_implILNS1_25lookback_scan_determinismE0ELb1ES3_N6thrust23THRUST_200600_302600_NS6detail15normal_iteratorINS9_10device_ptrIiEEEESE_SE_iNS9_4plusIvEENS9_8equal_toIvEEiEE10hipError_tPvRmT2_T3_T4_T5_mT6_T7_P12ihipStream_tbENKUlT_T0_E_clISt17integral_constantIbLb0EESZ_EEDaSU_SV_EUlSU_E_NS1_11comp_targetILNS1_3genE9ELNS1_11target_archE1100ELNS1_3gpuE3ELNS1_3repE0EEENS1_30default_config_static_selectorELNS0_4arch9wavefront6targetE0EEEvT1_.private_seg_size, 0
	.set _ZN7rocprim17ROCPRIM_400000_NS6detail17trampoline_kernelINS0_14default_configENS1_27scan_by_key_config_selectorIiiEEZZNS1_16scan_by_key_implILNS1_25lookback_scan_determinismE0ELb1ES3_N6thrust23THRUST_200600_302600_NS6detail15normal_iteratorINS9_10device_ptrIiEEEESE_SE_iNS9_4plusIvEENS9_8equal_toIvEEiEE10hipError_tPvRmT2_T3_T4_T5_mT6_T7_P12ihipStream_tbENKUlT_T0_E_clISt17integral_constantIbLb0EESZ_EEDaSU_SV_EUlSU_E_NS1_11comp_targetILNS1_3genE9ELNS1_11target_archE1100ELNS1_3gpuE3ELNS1_3repE0EEENS1_30default_config_static_selectorELNS0_4arch9wavefront6targetE0EEEvT1_.uses_vcc, 0
	.set _ZN7rocprim17ROCPRIM_400000_NS6detail17trampoline_kernelINS0_14default_configENS1_27scan_by_key_config_selectorIiiEEZZNS1_16scan_by_key_implILNS1_25lookback_scan_determinismE0ELb1ES3_N6thrust23THRUST_200600_302600_NS6detail15normal_iteratorINS9_10device_ptrIiEEEESE_SE_iNS9_4plusIvEENS9_8equal_toIvEEiEE10hipError_tPvRmT2_T3_T4_T5_mT6_T7_P12ihipStream_tbENKUlT_T0_E_clISt17integral_constantIbLb0EESZ_EEDaSU_SV_EUlSU_E_NS1_11comp_targetILNS1_3genE9ELNS1_11target_archE1100ELNS1_3gpuE3ELNS1_3repE0EEENS1_30default_config_static_selectorELNS0_4arch9wavefront6targetE0EEEvT1_.uses_flat_scratch, 0
	.set _ZN7rocprim17ROCPRIM_400000_NS6detail17trampoline_kernelINS0_14default_configENS1_27scan_by_key_config_selectorIiiEEZZNS1_16scan_by_key_implILNS1_25lookback_scan_determinismE0ELb1ES3_N6thrust23THRUST_200600_302600_NS6detail15normal_iteratorINS9_10device_ptrIiEEEESE_SE_iNS9_4plusIvEENS9_8equal_toIvEEiEE10hipError_tPvRmT2_T3_T4_T5_mT6_T7_P12ihipStream_tbENKUlT_T0_E_clISt17integral_constantIbLb0EESZ_EEDaSU_SV_EUlSU_E_NS1_11comp_targetILNS1_3genE9ELNS1_11target_archE1100ELNS1_3gpuE3ELNS1_3repE0EEENS1_30default_config_static_selectorELNS0_4arch9wavefront6targetE0EEEvT1_.has_dyn_sized_stack, 0
	.set _ZN7rocprim17ROCPRIM_400000_NS6detail17trampoline_kernelINS0_14default_configENS1_27scan_by_key_config_selectorIiiEEZZNS1_16scan_by_key_implILNS1_25lookback_scan_determinismE0ELb1ES3_N6thrust23THRUST_200600_302600_NS6detail15normal_iteratorINS9_10device_ptrIiEEEESE_SE_iNS9_4plusIvEENS9_8equal_toIvEEiEE10hipError_tPvRmT2_T3_T4_T5_mT6_T7_P12ihipStream_tbENKUlT_T0_E_clISt17integral_constantIbLb0EESZ_EEDaSU_SV_EUlSU_E_NS1_11comp_targetILNS1_3genE9ELNS1_11target_archE1100ELNS1_3gpuE3ELNS1_3repE0EEENS1_30default_config_static_selectorELNS0_4arch9wavefront6targetE0EEEvT1_.has_recursion, 0
	.set _ZN7rocprim17ROCPRIM_400000_NS6detail17trampoline_kernelINS0_14default_configENS1_27scan_by_key_config_selectorIiiEEZZNS1_16scan_by_key_implILNS1_25lookback_scan_determinismE0ELb1ES3_N6thrust23THRUST_200600_302600_NS6detail15normal_iteratorINS9_10device_ptrIiEEEESE_SE_iNS9_4plusIvEENS9_8equal_toIvEEiEE10hipError_tPvRmT2_T3_T4_T5_mT6_T7_P12ihipStream_tbENKUlT_T0_E_clISt17integral_constantIbLb0EESZ_EEDaSU_SV_EUlSU_E_NS1_11comp_targetILNS1_3genE9ELNS1_11target_archE1100ELNS1_3gpuE3ELNS1_3repE0EEENS1_30default_config_static_selectorELNS0_4arch9wavefront6targetE0EEEvT1_.has_indirect_call, 0
	.section	.AMDGPU.csdata,"",@progbits
; Kernel info:
; codeLenInByte = 0
; TotalNumSgprs: 0
; NumVgprs: 0
; ScratchSize: 0
; MemoryBound: 0
; FloatMode: 240
; IeeeMode: 1
; LDSByteSize: 0 bytes/workgroup (compile time only)
; SGPRBlocks: 0
; VGPRBlocks: 0
; NumSGPRsForWavesPerEU: 1
; NumVGPRsForWavesPerEU: 1
; NamedBarCnt: 0
; Occupancy: 16
; WaveLimiterHint : 0
; COMPUTE_PGM_RSRC2:SCRATCH_EN: 0
; COMPUTE_PGM_RSRC2:USER_SGPR: 2
; COMPUTE_PGM_RSRC2:TRAP_HANDLER: 0
; COMPUTE_PGM_RSRC2:TGID_X_EN: 1
; COMPUTE_PGM_RSRC2:TGID_Y_EN: 0
; COMPUTE_PGM_RSRC2:TGID_Z_EN: 0
; COMPUTE_PGM_RSRC2:TIDIG_COMP_CNT: 0
	.section	.text._ZN7rocprim17ROCPRIM_400000_NS6detail17trampoline_kernelINS0_14default_configENS1_27scan_by_key_config_selectorIiiEEZZNS1_16scan_by_key_implILNS1_25lookback_scan_determinismE0ELb1ES3_N6thrust23THRUST_200600_302600_NS6detail15normal_iteratorINS9_10device_ptrIiEEEESE_SE_iNS9_4plusIvEENS9_8equal_toIvEEiEE10hipError_tPvRmT2_T3_T4_T5_mT6_T7_P12ihipStream_tbENKUlT_T0_E_clISt17integral_constantIbLb0EESZ_EEDaSU_SV_EUlSU_E_NS1_11comp_targetILNS1_3genE8ELNS1_11target_archE1030ELNS1_3gpuE2ELNS1_3repE0EEENS1_30default_config_static_selectorELNS0_4arch9wavefront6targetE0EEEvT1_,"axG",@progbits,_ZN7rocprim17ROCPRIM_400000_NS6detail17trampoline_kernelINS0_14default_configENS1_27scan_by_key_config_selectorIiiEEZZNS1_16scan_by_key_implILNS1_25lookback_scan_determinismE0ELb1ES3_N6thrust23THRUST_200600_302600_NS6detail15normal_iteratorINS9_10device_ptrIiEEEESE_SE_iNS9_4plusIvEENS9_8equal_toIvEEiEE10hipError_tPvRmT2_T3_T4_T5_mT6_T7_P12ihipStream_tbENKUlT_T0_E_clISt17integral_constantIbLb0EESZ_EEDaSU_SV_EUlSU_E_NS1_11comp_targetILNS1_3genE8ELNS1_11target_archE1030ELNS1_3gpuE2ELNS1_3repE0EEENS1_30default_config_static_selectorELNS0_4arch9wavefront6targetE0EEEvT1_,comdat
	.protected	_ZN7rocprim17ROCPRIM_400000_NS6detail17trampoline_kernelINS0_14default_configENS1_27scan_by_key_config_selectorIiiEEZZNS1_16scan_by_key_implILNS1_25lookback_scan_determinismE0ELb1ES3_N6thrust23THRUST_200600_302600_NS6detail15normal_iteratorINS9_10device_ptrIiEEEESE_SE_iNS9_4plusIvEENS9_8equal_toIvEEiEE10hipError_tPvRmT2_T3_T4_T5_mT6_T7_P12ihipStream_tbENKUlT_T0_E_clISt17integral_constantIbLb0EESZ_EEDaSU_SV_EUlSU_E_NS1_11comp_targetILNS1_3genE8ELNS1_11target_archE1030ELNS1_3gpuE2ELNS1_3repE0EEENS1_30default_config_static_selectorELNS0_4arch9wavefront6targetE0EEEvT1_ ; -- Begin function _ZN7rocprim17ROCPRIM_400000_NS6detail17trampoline_kernelINS0_14default_configENS1_27scan_by_key_config_selectorIiiEEZZNS1_16scan_by_key_implILNS1_25lookback_scan_determinismE0ELb1ES3_N6thrust23THRUST_200600_302600_NS6detail15normal_iteratorINS9_10device_ptrIiEEEESE_SE_iNS9_4plusIvEENS9_8equal_toIvEEiEE10hipError_tPvRmT2_T3_T4_T5_mT6_T7_P12ihipStream_tbENKUlT_T0_E_clISt17integral_constantIbLb0EESZ_EEDaSU_SV_EUlSU_E_NS1_11comp_targetILNS1_3genE8ELNS1_11target_archE1030ELNS1_3gpuE2ELNS1_3repE0EEENS1_30default_config_static_selectorELNS0_4arch9wavefront6targetE0EEEvT1_
	.globl	_ZN7rocprim17ROCPRIM_400000_NS6detail17trampoline_kernelINS0_14default_configENS1_27scan_by_key_config_selectorIiiEEZZNS1_16scan_by_key_implILNS1_25lookback_scan_determinismE0ELb1ES3_N6thrust23THRUST_200600_302600_NS6detail15normal_iteratorINS9_10device_ptrIiEEEESE_SE_iNS9_4plusIvEENS9_8equal_toIvEEiEE10hipError_tPvRmT2_T3_T4_T5_mT6_T7_P12ihipStream_tbENKUlT_T0_E_clISt17integral_constantIbLb0EESZ_EEDaSU_SV_EUlSU_E_NS1_11comp_targetILNS1_3genE8ELNS1_11target_archE1030ELNS1_3gpuE2ELNS1_3repE0EEENS1_30default_config_static_selectorELNS0_4arch9wavefront6targetE0EEEvT1_
	.p2align	8
	.type	_ZN7rocprim17ROCPRIM_400000_NS6detail17trampoline_kernelINS0_14default_configENS1_27scan_by_key_config_selectorIiiEEZZNS1_16scan_by_key_implILNS1_25lookback_scan_determinismE0ELb1ES3_N6thrust23THRUST_200600_302600_NS6detail15normal_iteratorINS9_10device_ptrIiEEEESE_SE_iNS9_4plusIvEENS9_8equal_toIvEEiEE10hipError_tPvRmT2_T3_T4_T5_mT6_T7_P12ihipStream_tbENKUlT_T0_E_clISt17integral_constantIbLb0EESZ_EEDaSU_SV_EUlSU_E_NS1_11comp_targetILNS1_3genE8ELNS1_11target_archE1030ELNS1_3gpuE2ELNS1_3repE0EEENS1_30default_config_static_selectorELNS0_4arch9wavefront6targetE0EEEvT1_,@function
_ZN7rocprim17ROCPRIM_400000_NS6detail17trampoline_kernelINS0_14default_configENS1_27scan_by_key_config_selectorIiiEEZZNS1_16scan_by_key_implILNS1_25lookback_scan_determinismE0ELb1ES3_N6thrust23THRUST_200600_302600_NS6detail15normal_iteratorINS9_10device_ptrIiEEEESE_SE_iNS9_4plusIvEENS9_8equal_toIvEEiEE10hipError_tPvRmT2_T3_T4_T5_mT6_T7_P12ihipStream_tbENKUlT_T0_E_clISt17integral_constantIbLb0EESZ_EEDaSU_SV_EUlSU_E_NS1_11comp_targetILNS1_3genE8ELNS1_11target_archE1030ELNS1_3gpuE2ELNS1_3repE0EEENS1_30default_config_static_selectorELNS0_4arch9wavefront6targetE0EEEvT1_: ; @_ZN7rocprim17ROCPRIM_400000_NS6detail17trampoline_kernelINS0_14default_configENS1_27scan_by_key_config_selectorIiiEEZZNS1_16scan_by_key_implILNS1_25lookback_scan_determinismE0ELb1ES3_N6thrust23THRUST_200600_302600_NS6detail15normal_iteratorINS9_10device_ptrIiEEEESE_SE_iNS9_4plusIvEENS9_8equal_toIvEEiEE10hipError_tPvRmT2_T3_T4_T5_mT6_T7_P12ihipStream_tbENKUlT_T0_E_clISt17integral_constantIbLb0EESZ_EEDaSU_SV_EUlSU_E_NS1_11comp_targetILNS1_3genE8ELNS1_11target_archE1030ELNS1_3gpuE2ELNS1_3repE0EEENS1_30default_config_static_selectorELNS0_4arch9wavefront6targetE0EEEvT1_
; %bb.0:
	.section	.rodata,"a",@progbits
	.p2align	6, 0x0
	.amdhsa_kernel _ZN7rocprim17ROCPRIM_400000_NS6detail17trampoline_kernelINS0_14default_configENS1_27scan_by_key_config_selectorIiiEEZZNS1_16scan_by_key_implILNS1_25lookback_scan_determinismE0ELb1ES3_N6thrust23THRUST_200600_302600_NS6detail15normal_iteratorINS9_10device_ptrIiEEEESE_SE_iNS9_4plusIvEENS9_8equal_toIvEEiEE10hipError_tPvRmT2_T3_T4_T5_mT6_T7_P12ihipStream_tbENKUlT_T0_E_clISt17integral_constantIbLb0EESZ_EEDaSU_SV_EUlSU_E_NS1_11comp_targetILNS1_3genE8ELNS1_11target_archE1030ELNS1_3gpuE2ELNS1_3repE0EEENS1_30default_config_static_selectorELNS0_4arch9wavefront6targetE0EEEvT1_
		.amdhsa_group_segment_fixed_size 0
		.amdhsa_private_segment_fixed_size 0
		.amdhsa_kernarg_size 112
		.amdhsa_user_sgpr_count 2
		.amdhsa_user_sgpr_dispatch_ptr 0
		.amdhsa_user_sgpr_queue_ptr 0
		.amdhsa_user_sgpr_kernarg_segment_ptr 1
		.amdhsa_user_sgpr_dispatch_id 0
		.amdhsa_user_sgpr_kernarg_preload_length 0
		.amdhsa_user_sgpr_kernarg_preload_offset 0
		.amdhsa_user_sgpr_private_segment_size 0
		.amdhsa_wavefront_size32 1
		.amdhsa_uses_dynamic_stack 0
		.amdhsa_enable_private_segment 0
		.amdhsa_system_sgpr_workgroup_id_x 1
		.amdhsa_system_sgpr_workgroup_id_y 0
		.amdhsa_system_sgpr_workgroup_id_z 0
		.amdhsa_system_sgpr_workgroup_info 0
		.amdhsa_system_vgpr_workitem_id 0
		.amdhsa_next_free_vgpr 1
		.amdhsa_next_free_sgpr 1
		.amdhsa_named_barrier_count 0
		.amdhsa_reserve_vcc 0
		.amdhsa_float_round_mode_32 0
		.amdhsa_float_round_mode_16_64 0
		.amdhsa_float_denorm_mode_32 3
		.amdhsa_float_denorm_mode_16_64 3
		.amdhsa_fp16_overflow 0
		.amdhsa_memory_ordered 1
		.amdhsa_forward_progress 1
		.amdhsa_inst_pref_size 0
		.amdhsa_round_robin_scheduling 0
		.amdhsa_exception_fp_ieee_invalid_op 0
		.amdhsa_exception_fp_denorm_src 0
		.amdhsa_exception_fp_ieee_div_zero 0
		.amdhsa_exception_fp_ieee_overflow 0
		.amdhsa_exception_fp_ieee_underflow 0
		.amdhsa_exception_fp_ieee_inexact 0
		.amdhsa_exception_int_div_zero 0
	.end_amdhsa_kernel
	.section	.text._ZN7rocprim17ROCPRIM_400000_NS6detail17trampoline_kernelINS0_14default_configENS1_27scan_by_key_config_selectorIiiEEZZNS1_16scan_by_key_implILNS1_25lookback_scan_determinismE0ELb1ES3_N6thrust23THRUST_200600_302600_NS6detail15normal_iteratorINS9_10device_ptrIiEEEESE_SE_iNS9_4plusIvEENS9_8equal_toIvEEiEE10hipError_tPvRmT2_T3_T4_T5_mT6_T7_P12ihipStream_tbENKUlT_T0_E_clISt17integral_constantIbLb0EESZ_EEDaSU_SV_EUlSU_E_NS1_11comp_targetILNS1_3genE8ELNS1_11target_archE1030ELNS1_3gpuE2ELNS1_3repE0EEENS1_30default_config_static_selectorELNS0_4arch9wavefront6targetE0EEEvT1_,"axG",@progbits,_ZN7rocprim17ROCPRIM_400000_NS6detail17trampoline_kernelINS0_14default_configENS1_27scan_by_key_config_selectorIiiEEZZNS1_16scan_by_key_implILNS1_25lookback_scan_determinismE0ELb1ES3_N6thrust23THRUST_200600_302600_NS6detail15normal_iteratorINS9_10device_ptrIiEEEESE_SE_iNS9_4plusIvEENS9_8equal_toIvEEiEE10hipError_tPvRmT2_T3_T4_T5_mT6_T7_P12ihipStream_tbENKUlT_T0_E_clISt17integral_constantIbLb0EESZ_EEDaSU_SV_EUlSU_E_NS1_11comp_targetILNS1_3genE8ELNS1_11target_archE1030ELNS1_3gpuE2ELNS1_3repE0EEENS1_30default_config_static_selectorELNS0_4arch9wavefront6targetE0EEEvT1_,comdat
.Lfunc_end469:
	.size	_ZN7rocprim17ROCPRIM_400000_NS6detail17trampoline_kernelINS0_14default_configENS1_27scan_by_key_config_selectorIiiEEZZNS1_16scan_by_key_implILNS1_25lookback_scan_determinismE0ELb1ES3_N6thrust23THRUST_200600_302600_NS6detail15normal_iteratorINS9_10device_ptrIiEEEESE_SE_iNS9_4plusIvEENS9_8equal_toIvEEiEE10hipError_tPvRmT2_T3_T4_T5_mT6_T7_P12ihipStream_tbENKUlT_T0_E_clISt17integral_constantIbLb0EESZ_EEDaSU_SV_EUlSU_E_NS1_11comp_targetILNS1_3genE8ELNS1_11target_archE1030ELNS1_3gpuE2ELNS1_3repE0EEENS1_30default_config_static_selectorELNS0_4arch9wavefront6targetE0EEEvT1_, .Lfunc_end469-_ZN7rocprim17ROCPRIM_400000_NS6detail17trampoline_kernelINS0_14default_configENS1_27scan_by_key_config_selectorIiiEEZZNS1_16scan_by_key_implILNS1_25lookback_scan_determinismE0ELb1ES3_N6thrust23THRUST_200600_302600_NS6detail15normal_iteratorINS9_10device_ptrIiEEEESE_SE_iNS9_4plusIvEENS9_8equal_toIvEEiEE10hipError_tPvRmT2_T3_T4_T5_mT6_T7_P12ihipStream_tbENKUlT_T0_E_clISt17integral_constantIbLb0EESZ_EEDaSU_SV_EUlSU_E_NS1_11comp_targetILNS1_3genE8ELNS1_11target_archE1030ELNS1_3gpuE2ELNS1_3repE0EEENS1_30default_config_static_selectorELNS0_4arch9wavefront6targetE0EEEvT1_
                                        ; -- End function
	.set _ZN7rocprim17ROCPRIM_400000_NS6detail17trampoline_kernelINS0_14default_configENS1_27scan_by_key_config_selectorIiiEEZZNS1_16scan_by_key_implILNS1_25lookback_scan_determinismE0ELb1ES3_N6thrust23THRUST_200600_302600_NS6detail15normal_iteratorINS9_10device_ptrIiEEEESE_SE_iNS9_4plusIvEENS9_8equal_toIvEEiEE10hipError_tPvRmT2_T3_T4_T5_mT6_T7_P12ihipStream_tbENKUlT_T0_E_clISt17integral_constantIbLb0EESZ_EEDaSU_SV_EUlSU_E_NS1_11comp_targetILNS1_3genE8ELNS1_11target_archE1030ELNS1_3gpuE2ELNS1_3repE0EEENS1_30default_config_static_selectorELNS0_4arch9wavefront6targetE0EEEvT1_.num_vgpr, 0
	.set _ZN7rocprim17ROCPRIM_400000_NS6detail17trampoline_kernelINS0_14default_configENS1_27scan_by_key_config_selectorIiiEEZZNS1_16scan_by_key_implILNS1_25lookback_scan_determinismE0ELb1ES3_N6thrust23THRUST_200600_302600_NS6detail15normal_iteratorINS9_10device_ptrIiEEEESE_SE_iNS9_4plusIvEENS9_8equal_toIvEEiEE10hipError_tPvRmT2_T3_T4_T5_mT6_T7_P12ihipStream_tbENKUlT_T0_E_clISt17integral_constantIbLb0EESZ_EEDaSU_SV_EUlSU_E_NS1_11comp_targetILNS1_3genE8ELNS1_11target_archE1030ELNS1_3gpuE2ELNS1_3repE0EEENS1_30default_config_static_selectorELNS0_4arch9wavefront6targetE0EEEvT1_.num_agpr, 0
	.set _ZN7rocprim17ROCPRIM_400000_NS6detail17trampoline_kernelINS0_14default_configENS1_27scan_by_key_config_selectorIiiEEZZNS1_16scan_by_key_implILNS1_25lookback_scan_determinismE0ELb1ES3_N6thrust23THRUST_200600_302600_NS6detail15normal_iteratorINS9_10device_ptrIiEEEESE_SE_iNS9_4plusIvEENS9_8equal_toIvEEiEE10hipError_tPvRmT2_T3_T4_T5_mT6_T7_P12ihipStream_tbENKUlT_T0_E_clISt17integral_constantIbLb0EESZ_EEDaSU_SV_EUlSU_E_NS1_11comp_targetILNS1_3genE8ELNS1_11target_archE1030ELNS1_3gpuE2ELNS1_3repE0EEENS1_30default_config_static_selectorELNS0_4arch9wavefront6targetE0EEEvT1_.numbered_sgpr, 0
	.set _ZN7rocprim17ROCPRIM_400000_NS6detail17trampoline_kernelINS0_14default_configENS1_27scan_by_key_config_selectorIiiEEZZNS1_16scan_by_key_implILNS1_25lookback_scan_determinismE0ELb1ES3_N6thrust23THRUST_200600_302600_NS6detail15normal_iteratorINS9_10device_ptrIiEEEESE_SE_iNS9_4plusIvEENS9_8equal_toIvEEiEE10hipError_tPvRmT2_T3_T4_T5_mT6_T7_P12ihipStream_tbENKUlT_T0_E_clISt17integral_constantIbLb0EESZ_EEDaSU_SV_EUlSU_E_NS1_11comp_targetILNS1_3genE8ELNS1_11target_archE1030ELNS1_3gpuE2ELNS1_3repE0EEENS1_30default_config_static_selectorELNS0_4arch9wavefront6targetE0EEEvT1_.num_named_barrier, 0
	.set _ZN7rocprim17ROCPRIM_400000_NS6detail17trampoline_kernelINS0_14default_configENS1_27scan_by_key_config_selectorIiiEEZZNS1_16scan_by_key_implILNS1_25lookback_scan_determinismE0ELb1ES3_N6thrust23THRUST_200600_302600_NS6detail15normal_iteratorINS9_10device_ptrIiEEEESE_SE_iNS9_4plusIvEENS9_8equal_toIvEEiEE10hipError_tPvRmT2_T3_T4_T5_mT6_T7_P12ihipStream_tbENKUlT_T0_E_clISt17integral_constantIbLb0EESZ_EEDaSU_SV_EUlSU_E_NS1_11comp_targetILNS1_3genE8ELNS1_11target_archE1030ELNS1_3gpuE2ELNS1_3repE0EEENS1_30default_config_static_selectorELNS0_4arch9wavefront6targetE0EEEvT1_.private_seg_size, 0
	.set _ZN7rocprim17ROCPRIM_400000_NS6detail17trampoline_kernelINS0_14default_configENS1_27scan_by_key_config_selectorIiiEEZZNS1_16scan_by_key_implILNS1_25lookback_scan_determinismE0ELb1ES3_N6thrust23THRUST_200600_302600_NS6detail15normal_iteratorINS9_10device_ptrIiEEEESE_SE_iNS9_4plusIvEENS9_8equal_toIvEEiEE10hipError_tPvRmT2_T3_T4_T5_mT6_T7_P12ihipStream_tbENKUlT_T0_E_clISt17integral_constantIbLb0EESZ_EEDaSU_SV_EUlSU_E_NS1_11comp_targetILNS1_3genE8ELNS1_11target_archE1030ELNS1_3gpuE2ELNS1_3repE0EEENS1_30default_config_static_selectorELNS0_4arch9wavefront6targetE0EEEvT1_.uses_vcc, 0
	.set _ZN7rocprim17ROCPRIM_400000_NS6detail17trampoline_kernelINS0_14default_configENS1_27scan_by_key_config_selectorIiiEEZZNS1_16scan_by_key_implILNS1_25lookback_scan_determinismE0ELb1ES3_N6thrust23THRUST_200600_302600_NS6detail15normal_iteratorINS9_10device_ptrIiEEEESE_SE_iNS9_4plusIvEENS9_8equal_toIvEEiEE10hipError_tPvRmT2_T3_T4_T5_mT6_T7_P12ihipStream_tbENKUlT_T0_E_clISt17integral_constantIbLb0EESZ_EEDaSU_SV_EUlSU_E_NS1_11comp_targetILNS1_3genE8ELNS1_11target_archE1030ELNS1_3gpuE2ELNS1_3repE0EEENS1_30default_config_static_selectorELNS0_4arch9wavefront6targetE0EEEvT1_.uses_flat_scratch, 0
	.set _ZN7rocprim17ROCPRIM_400000_NS6detail17trampoline_kernelINS0_14default_configENS1_27scan_by_key_config_selectorIiiEEZZNS1_16scan_by_key_implILNS1_25lookback_scan_determinismE0ELb1ES3_N6thrust23THRUST_200600_302600_NS6detail15normal_iteratorINS9_10device_ptrIiEEEESE_SE_iNS9_4plusIvEENS9_8equal_toIvEEiEE10hipError_tPvRmT2_T3_T4_T5_mT6_T7_P12ihipStream_tbENKUlT_T0_E_clISt17integral_constantIbLb0EESZ_EEDaSU_SV_EUlSU_E_NS1_11comp_targetILNS1_3genE8ELNS1_11target_archE1030ELNS1_3gpuE2ELNS1_3repE0EEENS1_30default_config_static_selectorELNS0_4arch9wavefront6targetE0EEEvT1_.has_dyn_sized_stack, 0
	.set _ZN7rocprim17ROCPRIM_400000_NS6detail17trampoline_kernelINS0_14default_configENS1_27scan_by_key_config_selectorIiiEEZZNS1_16scan_by_key_implILNS1_25lookback_scan_determinismE0ELb1ES3_N6thrust23THRUST_200600_302600_NS6detail15normal_iteratorINS9_10device_ptrIiEEEESE_SE_iNS9_4plusIvEENS9_8equal_toIvEEiEE10hipError_tPvRmT2_T3_T4_T5_mT6_T7_P12ihipStream_tbENKUlT_T0_E_clISt17integral_constantIbLb0EESZ_EEDaSU_SV_EUlSU_E_NS1_11comp_targetILNS1_3genE8ELNS1_11target_archE1030ELNS1_3gpuE2ELNS1_3repE0EEENS1_30default_config_static_selectorELNS0_4arch9wavefront6targetE0EEEvT1_.has_recursion, 0
	.set _ZN7rocprim17ROCPRIM_400000_NS6detail17trampoline_kernelINS0_14default_configENS1_27scan_by_key_config_selectorIiiEEZZNS1_16scan_by_key_implILNS1_25lookback_scan_determinismE0ELb1ES3_N6thrust23THRUST_200600_302600_NS6detail15normal_iteratorINS9_10device_ptrIiEEEESE_SE_iNS9_4plusIvEENS9_8equal_toIvEEiEE10hipError_tPvRmT2_T3_T4_T5_mT6_T7_P12ihipStream_tbENKUlT_T0_E_clISt17integral_constantIbLb0EESZ_EEDaSU_SV_EUlSU_E_NS1_11comp_targetILNS1_3genE8ELNS1_11target_archE1030ELNS1_3gpuE2ELNS1_3repE0EEENS1_30default_config_static_selectorELNS0_4arch9wavefront6targetE0EEEvT1_.has_indirect_call, 0
	.section	.AMDGPU.csdata,"",@progbits
; Kernel info:
; codeLenInByte = 0
; TotalNumSgprs: 0
; NumVgprs: 0
; ScratchSize: 0
; MemoryBound: 0
; FloatMode: 240
; IeeeMode: 1
; LDSByteSize: 0 bytes/workgroup (compile time only)
; SGPRBlocks: 0
; VGPRBlocks: 0
; NumSGPRsForWavesPerEU: 1
; NumVGPRsForWavesPerEU: 1
; NamedBarCnt: 0
; Occupancy: 16
; WaveLimiterHint : 0
; COMPUTE_PGM_RSRC2:SCRATCH_EN: 0
; COMPUTE_PGM_RSRC2:USER_SGPR: 2
; COMPUTE_PGM_RSRC2:TRAP_HANDLER: 0
; COMPUTE_PGM_RSRC2:TGID_X_EN: 1
; COMPUTE_PGM_RSRC2:TGID_Y_EN: 0
; COMPUTE_PGM_RSRC2:TGID_Z_EN: 0
; COMPUTE_PGM_RSRC2:TIDIG_COMP_CNT: 0
	.section	.text._ZN7rocprim17ROCPRIM_400000_NS6detail17trampoline_kernelINS0_14default_configENS1_27scan_by_key_config_selectorIiiEEZZNS1_16scan_by_key_implILNS1_25lookback_scan_determinismE0ELb1ES3_N6thrust23THRUST_200600_302600_NS6detail15normal_iteratorINS9_10device_ptrIiEEEESE_SE_iNS9_4plusIvEENS9_8equal_toIvEEiEE10hipError_tPvRmT2_T3_T4_T5_mT6_T7_P12ihipStream_tbENKUlT_T0_E_clISt17integral_constantIbLb1EESZ_EEDaSU_SV_EUlSU_E_NS1_11comp_targetILNS1_3genE0ELNS1_11target_archE4294967295ELNS1_3gpuE0ELNS1_3repE0EEENS1_30default_config_static_selectorELNS0_4arch9wavefront6targetE0EEEvT1_,"axG",@progbits,_ZN7rocprim17ROCPRIM_400000_NS6detail17trampoline_kernelINS0_14default_configENS1_27scan_by_key_config_selectorIiiEEZZNS1_16scan_by_key_implILNS1_25lookback_scan_determinismE0ELb1ES3_N6thrust23THRUST_200600_302600_NS6detail15normal_iteratorINS9_10device_ptrIiEEEESE_SE_iNS9_4plusIvEENS9_8equal_toIvEEiEE10hipError_tPvRmT2_T3_T4_T5_mT6_T7_P12ihipStream_tbENKUlT_T0_E_clISt17integral_constantIbLb1EESZ_EEDaSU_SV_EUlSU_E_NS1_11comp_targetILNS1_3genE0ELNS1_11target_archE4294967295ELNS1_3gpuE0ELNS1_3repE0EEENS1_30default_config_static_selectorELNS0_4arch9wavefront6targetE0EEEvT1_,comdat
	.protected	_ZN7rocprim17ROCPRIM_400000_NS6detail17trampoline_kernelINS0_14default_configENS1_27scan_by_key_config_selectorIiiEEZZNS1_16scan_by_key_implILNS1_25lookback_scan_determinismE0ELb1ES3_N6thrust23THRUST_200600_302600_NS6detail15normal_iteratorINS9_10device_ptrIiEEEESE_SE_iNS9_4plusIvEENS9_8equal_toIvEEiEE10hipError_tPvRmT2_T3_T4_T5_mT6_T7_P12ihipStream_tbENKUlT_T0_E_clISt17integral_constantIbLb1EESZ_EEDaSU_SV_EUlSU_E_NS1_11comp_targetILNS1_3genE0ELNS1_11target_archE4294967295ELNS1_3gpuE0ELNS1_3repE0EEENS1_30default_config_static_selectorELNS0_4arch9wavefront6targetE0EEEvT1_ ; -- Begin function _ZN7rocprim17ROCPRIM_400000_NS6detail17trampoline_kernelINS0_14default_configENS1_27scan_by_key_config_selectorIiiEEZZNS1_16scan_by_key_implILNS1_25lookback_scan_determinismE0ELb1ES3_N6thrust23THRUST_200600_302600_NS6detail15normal_iteratorINS9_10device_ptrIiEEEESE_SE_iNS9_4plusIvEENS9_8equal_toIvEEiEE10hipError_tPvRmT2_T3_T4_T5_mT6_T7_P12ihipStream_tbENKUlT_T0_E_clISt17integral_constantIbLb1EESZ_EEDaSU_SV_EUlSU_E_NS1_11comp_targetILNS1_3genE0ELNS1_11target_archE4294967295ELNS1_3gpuE0ELNS1_3repE0EEENS1_30default_config_static_selectorELNS0_4arch9wavefront6targetE0EEEvT1_
	.globl	_ZN7rocprim17ROCPRIM_400000_NS6detail17trampoline_kernelINS0_14default_configENS1_27scan_by_key_config_selectorIiiEEZZNS1_16scan_by_key_implILNS1_25lookback_scan_determinismE0ELb1ES3_N6thrust23THRUST_200600_302600_NS6detail15normal_iteratorINS9_10device_ptrIiEEEESE_SE_iNS9_4plusIvEENS9_8equal_toIvEEiEE10hipError_tPvRmT2_T3_T4_T5_mT6_T7_P12ihipStream_tbENKUlT_T0_E_clISt17integral_constantIbLb1EESZ_EEDaSU_SV_EUlSU_E_NS1_11comp_targetILNS1_3genE0ELNS1_11target_archE4294967295ELNS1_3gpuE0ELNS1_3repE0EEENS1_30default_config_static_selectorELNS0_4arch9wavefront6targetE0EEEvT1_
	.p2align	8
	.type	_ZN7rocprim17ROCPRIM_400000_NS6detail17trampoline_kernelINS0_14default_configENS1_27scan_by_key_config_selectorIiiEEZZNS1_16scan_by_key_implILNS1_25lookback_scan_determinismE0ELb1ES3_N6thrust23THRUST_200600_302600_NS6detail15normal_iteratorINS9_10device_ptrIiEEEESE_SE_iNS9_4plusIvEENS9_8equal_toIvEEiEE10hipError_tPvRmT2_T3_T4_T5_mT6_T7_P12ihipStream_tbENKUlT_T0_E_clISt17integral_constantIbLb1EESZ_EEDaSU_SV_EUlSU_E_NS1_11comp_targetILNS1_3genE0ELNS1_11target_archE4294967295ELNS1_3gpuE0ELNS1_3repE0EEENS1_30default_config_static_selectorELNS0_4arch9wavefront6targetE0EEEvT1_,@function
_ZN7rocprim17ROCPRIM_400000_NS6detail17trampoline_kernelINS0_14default_configENS1_27scan_by_key_config_selectorIiiEEZZNS1_16scan_by_key_implILNS1_25lookback_scan_determinismE0ELb1ES3_N6thrust23THRUST_200600_302600_NS6detail15normal_iteratorINS9_10device_ptrIiEEEESE_SE_iNS9_4plusIvEENS9_8equal_toIvEEiEE10hipError_tPvRmT2_T3_T4_T5_mT6_T7_P12ihipStream_tbENKUlT_T0_E_clISt17integral_constantIbLb1EESZ_EEDaSU_SV_EUlSU_E_NS1_11comp_targetILNS1_3genE0ELNS1_11target_archE4294967295ELNS1_3gpuE0ELNS1_3repE0EEENS1_30default_config_static_selectorELNS0_4arch9wavefront6targetE0EEEvT1_: ; @_ZN7rocprim17ROCPRIM_400000_NS6detail17trampoline_kernelINS0_14default_configENS1_27scan_by_key_config_selectorIiiEEZZNS1_16scan_by_key_implILNS1_25lookback_scan_determinismE0ELb1ES3_N6thrust23THRUST_200600_302600_NS6detail15normal_iteratorINS9_10device_ptrIiEEEESE_SE_iNS9_4plusIvEENS9_8equal_toIvEEiEE10hipError_tPvRmT2_T3_T4_T5_mT6_T7_P12ihipStream_tbENKUlT_T0_E_clISt17integral_constantIbLb1EESZ_EEDaSU_SV_EUlSU_E_NS1_11comp_targetILNS1_3genE0ELNS1_11target_archE4294967295ELNS1_3gpuE0ELNS1_3repE0EEENS1_30default_config_static_selectorELNS0_4arch9wavefront6targetE0EEEvT1_
; %bb.0:
	s_endpgm
	.section	.rodata,"a",@progbits
	.p2align	6, 0x0
	.amdhsa_kernel _ZN7rocprim17ROCPRIM_400000_NS6detail17trampoline_kernelINS0_14default_configENS1_27scan_by_key_config_selectorIiiEEZZNS1_16scan_by_key_implILNS1_25lookback_scan_determinismE0ELb1ES3_N6thrust23THRUST_200600_302600_NS6detail15normal_iteratorINS9_10device_ptrIiEEEESE_SE_iNS9_4plusIvEENS9_8equal_toIvEEiEE10hipError_tPvRmT2_T3_T4_T5_mT6_T7_P12ihipStream_tbENKUlT_T0_E_clISt17integral_constantIbLb1EESZ_EEDaSU_SV_EUlSU_E_NS1_11comp_targetILNS1_3genE0ELNS1_11target_archE4294967295ELNS1_3gpuE0ELNS1_3repE0EEENS1_30default_config_static_selectorELNS0_4arch9wavefront6targetE0EEEvT1_
		.amdhsa_group_segment_fixed_size 0
		.amdhsa_private_segment_fixed_size 0
		.amdhsa_kernarg_size 112
		.amdhsa_user_sgpr_count 2
		.amdhsa_user_sgpr_dispatch_ptr 0
		.amdhsa_user_sgpr_queue_ptr 0
		.amdhsa_user_sgpr_kernarg_segment_ptr 1
		.amdhsa_user_sgpr_dispatch_id 0
		.amdhsa_user_sgpr_kernarg_preload_length 0
		.amdhsa_user_sgpr_kernarg_preload_offset 0
		.amdhsa_user_sgpr_private_segment_size 0
		.amdhsa_wavefront_size32 1
		.amdhsa_uses_dynamic_stack 0
		.amdhsa_enable_private_segment 0
		.amdhsa_system_sgpr_workgroup_id_x 1
		.amdhsa_system_sgpr_workgroup_id_y 0
		.amdhsa_system_sgpr_workgroup_id_z 0
		.amdhsa_system_sgpr_workgroup_info 0
		.amdhsa_system_vgpr_workitem_id 0
		.amdhsa_next_free_vgpr 1
		.amdhsa_next_free_sgpr 1
		.amdhsa_named_barrier_count 0
		.amdhsa_reserve_vcc 0
		.amdhsa_float_round_mode_32 0
		.amdhsa_float_round_mode_16_64 0
		.amdhsa_float_denorm_mode_32 3
		.amdhsa_float_denorm_mode_16_64 3
		.amdhsa_fp16_overflow 0
		.amdhsa_memory_ordered 1
		.amdhsa_forward_progress 1
		.amdhsa_inst_pref_size 1
		.amdhsa_round_robin_scheduling 0
		.amdhsa_exception_fp_ieee_invalid_op 0
		.amdhsa_exception_fp_denorm_src 0
		.amdhsa_exception_fp_ieee_div_zero 0
		.amdhsa_exception_fp_ieee_overflow 0
		.amdhsa_exception_fp_ieee_underflow 0
		.amdhsa_exception_fp_ieee_inexact 0
		.amdhsa_exception_int_div_zero 0
	.end_amdhsa_kernel
	.section	.text._ZN7rocprim17ROCPRIM_400000_NS6detail17trampoline_kernelINS0_14default_configENS1_27scan_by_key_config_selectorIiiEEZZNS1_16scan_by_key_implILNS1_25lookback_scan_determinismE0ELb1ES3_N6thrust23THRUST_200600_302600_NS6detail15normal_iteratorINS9_10device_ptrIiEEEESE_SE_iNS9_4plusIvEENS9_8equal_toIvEEiEE10hipError_tPvRmT2_T3_T4_T5_mT6_T7_P12ihipStream_tbENKUlT_T0_E_clISt17integral_constantIbLb1EESZ_EEDaSU_SV_EUlSU_E_NS1_11comp_targetILNS1_3genE0ELNS1_11target_archE4294967295ELNS1_3gpuE0ELNS1_3repE0EEENS1_30default_config_static_selectorELNS0_4arch9wavefront6targetE0EEEvT1_,"axG",@progbits,_ZN7rocprim17ROCPRIM_400000_NS6detail17trampoline_kernelINS0_14default_configENS1_27scan_by_key_config_selectorIiiEEZZNS1_16scan_by_key_implILNS1_25lookback_scan_determinismE0ELb1ES3_N6thrust23THRUST_200600_302600_NS6detail15normal_iteratorINS9_10device_ptrIiEEEESE_SE_iNS9_4plusIvEENS9_8equal_toIvEEiEE10hipError_tPvRmT2_T3_T4_T5_mT6_T7_P12ihipStream_tbENKUlT_T0_E_clISt17integral_constantIbLb1EESZ_EEDaSU_SV_EUlSU_E_NS1_11comp_targetILNS1_3genE0ELNS1_11target_archE4294967295ELNS1_3gpuE0ELNS1_3repE0EEENS1_30default_config_static_selectorELNS0_4arch9wavefront6targetE0EEEvT1_,comdat
.Lfunc_end470:
	.size	_ZN7rocprim17ROCPRIM_400000_NS6detail17trampoline_kernelINS0_14default_configENS1_27scan_by_key_config_selectorIiiEEZZNS1_16scan_by_key_implILNS1_25lookback_scan_determinismE0ELb1ES3_N6thrust23THRUST_200600_302600_NS6detail15normal_iteratorINS9_10device_ptrIiEEEESE_SE_iNS9_4plusIvEENS9_8equal_toIvEEiEE10hipError_tPvRmT2_T3_T4_T5_mT6_T7_P12ihipStream_tbENKUlT_T0_E_clISt17integral_constantIbLb1EESZ_EEDaSU_SV_EUlSU_E_NS1_11comp_targetILNS1_3genE0ELNS1_11target_archE4294967295ELNS1_3gpuE0ELNS1_3repE0EEENS1_30default_config_static_selectorELNS0_4arch9wavefront6targetE0EEEvT1_, .Lfunc_end470-_ZN7rocprim17ROCPRIM_400000_NS6detail17trampoline_kernelINS0_14default_configENS1_27scan_by_key_config_selectorIiiEEZZNS1_16scan_by_key_implILNS1_25lookback_scan_determinismE0ELb1ES3_N6thrust23THRUST_200600_302600_NS6detail15normal_iteratorINS9_10device_ptrIiEEEESE_SE_iNS9_4plusIvEENS9_8equal_toIvEEiEE10hipError_tPvRmT2_T3_T4_T5_mT6_T7_P12ihipStream_tbENKUlT_T0_E_clISt17integral_constantIbLb1EESZ_EEDaSU_SV_EUlSU_E_NS1_11comp_targetILNS1_3genE0ELNS1_11target_archE4294967295ELNS1_3gpuE0ELNS1_3repE0EEENS1_30default_config_static_selectorELNS0_4arch9wavefront6targetE0EEEvT1_
                                        ; -- End function
	.set _ZN7rocprim17ROCPRIM_400000_NS6detail17trampoline_kernelINS0_14default_configENS1_27scan_by_key_config_selectorIiiEEZZNS1_16scan_by_key_implILNS1_25lookback_scan_determinismE0ELb1ES3_N6thrust23THRUST_200600_302600_NS6detail15normal_iteratorINS9_10device_ptrIiEEEESE_SE_iNS9_4plusIvEENS9_8equal_toIvEEiEE10hipError_tPvRmT2_T3_T4_T5_mT6_T7_P12ihipStream_tbENKUlT_T0_E_clISt17integral_constantIbLb1EESZ_EEDaSU_SV_EUlSU_E_NS1_11comp_targetILNS1_3genE0ELNS1_11target_archE4294967295ELNS1_3gpuE0ELNS1_3repE0EEENS1_30default_config_static_selectorELNS0_4arch9wavefront6targetE0EEEvT1_.num_vgpr, 0
	.set _ZN7rocprim17ROCPRIM_400000_NS6detail17trampoline_kernelINS0_14default_configENS1_27scan_by_key_config_selectorIiiEEZZNS1_16scan_by_key_implILNS1_25lookback_scan_determinismE0ELb1ES3_N6thrust23THRUST_200600_302600_NS6detail15normal_iteratorINS9_10device_ptrIiEEEESE_SE_iNS9_4plusIvEENS9_8equal_toIvEEiEE10hipError_tPvRmT2_T3_T4_T5_mT6_T7_P12ihipStream_tbENKUlT_T0_E_clISt17integral_constantIbLb1EESZ_EEDaSU_SV_EUlSU_E_NS1_11comp_targetILNS1_3genE0ELNS1_11target_archE4294967295ELNS1_3gpuE0ELNS1_3repE0EEENS1_30default_config_static_selectorELNS0_4arch9wavefront6targetE0EEEvT1_.num_agpr, 0
	.set _ZN7rocprim17ROCPRIM_400000_NS6detail17trampoline_kernelINS0_14default_configENS1_27scan_by_key_config_selectorIiiEEZZNS1_16scan_by_key_implILNS1_25lookback_scan_determinismE0ELb1ES3_N6thrust23THRUST_200600_302600_NS6detail15normal_iteratorINS9_10device_ptrIiEEEESE_SE_iNS9_4plusIvEENS9_8equal_toIvEEiEE10hipError_tPvRmT2_T3_T4_T5_mT6_T7_P12ihipStream_tbENKUlT_T0_E_clISt17integral_constantIbLb1EESZ_EEDaSU_SV_EUlSU_E_NS1_11comp_targetILNS1_3genE0ELNS1_11target_archE4294967295ELNS1_3gpuE0ELNS1_3repE0EEENS1_30default_config_static_selectorELNS0_4arch9wavefront6targetE0EEEvT1_.numbered_sgpr, 0
	.set _ZN7rocprim17ROCPRIM_400000_NS6detail17trampoline_kernelINS0_14default_configENS1_27scan_by_key_config_selectorIiiEEZZNS1_16scan_by_key_implILNS1_25lookback_scan_determinismE0ELb1ES3_N6thrust23THRUST_200600_302600_NS6detail15normal_iteratorINS9_10device_ptrIiEEEESE_SE_iNS9_4plusIvEENS9_8equal_toIvEEiEE10hipError_tPvRmT2_T3_T4_T5_mT6_T7_P12ihipStream_tbENKUlT_T0_E_clISt17integral_constantIbLb1EESZ_EEDaSU_SV_EUlSU_E_NS1_11comp_targetILNS1_3genE0ELNS1_11target_archE4294967295ELNS1_3gpuE0ELNS1_3repE0EEENS1_30default_config_static_selectorELNS0_4arch9wavefront6targetE0EEEvT1_.num_named_barrier, 0
	.set _ZN7rocprim17ROCPRIM_400000_NS6detail17trampoline_kernelINS0_14default_configENS1_27scan_by_key_config_selectorIiiEEZZNS1_16scan_by_key_implILNS1_25lookback_scan_determinismE0ELb1ES3_N6thrust23THRUST_200600_302600_NS6detail15normal_iteratorINS9_10device_ptrIiEEEESE_SE_iNS9_4plusIvEENS9_8equal_toIvEEiEE10hipError_tPvRmT2_T3_T4_T5_mT6_T7_P12ihipStream_tbENKUlT_T0_E_clISt17integral_constantIbLb1EESZ_EEDaSU_SV_EUlSU_E_NS1_11comp_targetILNS1_3genE0ELNS1_11target_archE4294967295ELNS1_3gpuE0ELNS1_3repE0EEENS1_30default_config_static_selectorELNS0_4arch9wavefront6targetE0EEEvT1_.private_seg_size, 0
	.set _ZN7rocprim17ROCPRIM_400000_NS6detail17trampoline_kernelINS0_14default_configENS1_27scan_by_key_config_selectorIiiEEZZNS1_16scan_by_key_implILNS1_25lookback_scan_determinismE0ELb1ES3_N6thrust23THRUST_200600_302600_NS6detail15normal_iteratorINS9_10device_ptrIiEEEESE_SE_iNS9_4plusIvEENS9_8equal_toIvEEiEE10hipError_tPvRmT2_T3_T4_T5_mT6_T7_P12ihipStream_tbENKUlT_T0_E_clISt17integral_constantIbLb1EESZ_EEDaSU_SV_EUlSU_E_NS1_11comp_targetILNS1_3genE0ELNS1_11target_archE4294967295ELNS1_3gpuE0ELNS1_3repE0EEENS1_30default_config_static_selectorELNS0_4arch9wavefront6targetE0EEEvT1_.uses_vcc, 0
	.set _ZN7rocprim17ROCPRIM_400000_NS6detail17trampoline_kernelINS0_14default_configENS1_27scan_by_key_config_selectorIiiEEZZNS1_16scan_by_key_implILNS1_25lookback_scan_determinismE0ELb1ES3_N6thrust23THRUST_200600_302600_NS6detail15normal_iteratorINS9_10device_ptrIiEEEESE_SE_iNS9_4plusIvEENS9_8equal_toIvEEiEE10hipError_tPvRmT2_T3_T4_T5_mT6_T7_P12ihipStream_tbENKUlT_T0_E_clISt17integral_constantIbLb1EESZ_EEDaSU_SV_EUlSU_E_NS1_11comp_targetILNS1_3genE0ELNS1_11target_archE4294967295ELNS1_3gpuE0ELNS1_3repE0EEENS1_30default_config_static_selectorELNS0_4arch9wavefront6targetE0EEEvT1_.uses_flat_scratch, 0
	.set _ZN7rocprim17ROCPRIM_400000_NS6detail17trampoline_kernelINS0_14default_configENS1_27scan_by_key_config_selectorIiiEEZZNS1_16scan_by_key_implILNS1_25lookback_scan_determinismE0ELb1ES3_N6thrust23THRUST_200600_302600_NS6detail15normal_iteratorINS9_10device_ptrIiEEEESE_SE_iNS9_4plusIvEENS9_8equal_toIvEEiEE10hipError_tPvRmT2_T3_T4_T5_mT6_T7_P12ihipStream_tbENKUlT_T0_E_clISt17integral_constantIbLb1EESZ_EEDaSU_SV_EUlSU_E_NS1_11comp_targetILNS1_3genE0ELNS1_11target_archE4294967295ELNS1_3gpuE0ELNS1_3repE0EEENS1_30default_config_static_selectorELNS0_4arch9wavefront6targetE0EEEvT1_.has_dyn_sized_stack, 0
	.set _ZN7rocprim17ROCPRIM_400000_NS6detail17trampoline_kernelINS0_14default_configENS1_27scan_by_key_config_selectorIiiEEZZNS1_16scan_by_key_implILNS1_25lookback_scan_determinismE0ELb1ES3_N6thrust23THRUST_200600_302600_NS6detail15normal_iteratorINS9_10device_ptrIiEEEESE_SE_iNS9_4plusIvEENS9_8equal_toIvEEiEE10hipError_tPvRmT2_T3_T4_T5_mT6_T7_P12ihipStream_tbENKUlT_T0_E_clISt17integral_constantIbLb1EESZ_EEDaSU_SV_EUlSU_E_NS1_11comp_targetILNS1_3genE0ELNS1_11target_archE4294967295ELNS1_3gpuE0ELNS1_3repE0EEENS1_30default_config_static_selectorELNS0_4arch9wavefront6targetE0EEEvT1_.has_recursion, 0
	.set _ZN7rocprim17ROCPRIM_400000_NS6detail17trampoline_kernelINS0_14default_configENS1_27scan_by_key_config_selectorIiiEEZZNS1_16scan_by_key_implILNS1_25lookback_scan_determinismE0ELb1ES3_N6thrust23THRUST_200600_302600_NS6detail15normal_iteratorINS9_10device_ptrIiEEEESE_SE_iNS9_4plusIvEENS9_8equal_toIvEEiEE10hipError_tPvRmT2_T3_T4_T5_mT6_T7_P12ihipStream_tbENKUlT_T0_E_clISt17integral_constantIbLb1EESZ_EEDaSU_SV_EUlSU_E_NS1_11comp_targetILNS1_3genE0ELNS1_11target_archE4294967295ELNS1_3gpuE0ELNS1_3repE0EEENS1_30default_config_static_selectorELNS0_4arch9wavefront6targetE0EEEvT1_.has_indirect_call, 0
	.section	.AMDGPU.csdata,"",@progbits
; Kernel info:
; codeLenInByte = 4
; TotalNumSgprs: 0
; NumVgprs: 0
; ScratchSize: 0
; MemoryBound: 0
; FloatMode: 240
; IeeeMode: 1
; LDSByteSize: 0 bytes/workgroup (compile time only)
; SGPRBlocks: 0
; VGPRBlocks: 0
; NumSGPRsForWavesPerEU: 1
; NumVGPRsForWavesPerEU: 1
; NamedBarCnt: 0
; Occupancy: 16
; WaveLimiterHint : 0
; COMPUTE_PGM_RSRC2:SCRATCH_EN: 0
; COMPUTE_PGM_RSRC2:USER_SGPR: 2
; COMPUTE_PGM_RSRC2:TRAP_HANDLER: 0
; COMPUTE_PGM_RSRC2:TGID_X_EN: 1
; COMPUTE_PGM_RSRC2:TGID_Y_EN: 0
; COMPUTE_PGM_RSRC2:TGID_Z_EN: 0
; COMPUTE_PGM_RSRC2:TIDIG_COMP_CNT: 0
	.section	.text._ZN7rocprim17ROCPRIM_400000_NS6detail17trampoline_kernelINS0_14default_configENS1_27scan_by_key_config_selectorIiiEEZZNS1_16scan_by_key_implILNS1_25lookback_scan_determinismE0ELb1ES3_N6thrust23THRUST_200600_302600_NS6detail15normal_iteratorINS9_10device_ptrIiEEEESE_SE_iNS9_4plusIvEENS9_8equal_toIvEEiEE10hipError_tPvRmT2_T3_T4_T5_mT6_T7_P12ihipStream_tbENKUlT_T0_E_clISt17integral_constantIbLb1EESZ_EEDaSU_SV_EUlSU_E_NS1_11comp_targetILNS1_3genE10ELNS1_11target_archE1201ELNS1_3gpuE5ELNS1_3repE0EEENS1_30default_config_static_selectorELNS0_4arch9wavefront6targetE0EEEvT1_,"axG",@progbits,_ZN7rocprim17ROCPRIM_400000_NS6detail17trampoline_kernelINS0_14default_configENS1_27scan_by_key_config_selectorIiiEEZZNS1_16scan_by_key_implILNS1_25lookback_scan_determinismE0ELb1ES3_N6thrust23THRUST_200600_302600_NS6detail15normal_iteratorINS9_10device_ptrIiEEEESE_SE_iNS9_4plusIvEENS9_8equal_toIvEEiEE10hipError_tPvRmT2_T3_T4_T5_mT6_T7_P12ihipStream_tbENKUlT_T0_E_clISt17integral_constantIbLb1EESZ_EEDaSU_SV_EUlSU_E_NS1_11comp_targetILNS1_3genE10ELNS1_11target_archE1201ELNS1_3gpuE5ELNS1_3repE0EEENS1_30default_config_static_selectorELNS0_4arch9wavefront6targetE0EEEvT1_,comdat
	.protected	_ZN7rocprim17ROCPRIM_400000_NS6detail17trampoline_kernelINS0_14default_configENS1_27scan_by_key_config_selectorIiiEEZZNS1_16scan_by_key_implILNS1_25lookback_scan_determinismE0ELb1ES3_N6thrust23THRUST_200600_302600_NS6detail15normal_iteratorINS9_10device_ptrIiEEEESE_SE_iNS9_4plusIvEENS9_8equal_toIvEEiEE10hipError_tPvRmT2_T3_T4_T5_mT6_T7_P12ihipStream_tbENKUlT_T0_E_clISt17integral_constantIbLb1EESZ_EEDaSU_SV_EUlSU_E_NS1_11comp_targetILNS1_3genE10ELNS1_11target_archE1201ELNS1_3gpuE5ELNS1_3repE0EEENS1_30default_config_static_selectorELNS0_4arch9wavefront6targetE0EEEvT1_ ; -- Begin function _ZN7rocprim17ROCPRIM_400000_NS6detail17trampoline_kernelINS0_14default_configENS1_27scan_by_key_config_selectorIiiEEZZNS1_16scan_by_key_implILNS1_25lookback_scan_determinismE0ELb1ES3_N6thrust23THRUST_200600_302600_NS6detail15normal_iteratorINS9_10device_ptrIiEEEESE_SE_iNS9_4plusIvEENS9_8equal_toIvEEiEE10hipError_tPvRmT2_T3_T4_T5_mT6_T7_P12ihipStream_tbENKUlT_T0_E_clISt17integral_constantIbLb1EESZ_EEDaSU_SV_EUlSU_E_NS1_11comp_targetILNS1_3genE10ELNS1_11target_archE1201ELNS1_3gpuE5ELNS1_3repE0EEENS1_30default_config_static_selectorELNS0_4arch9wavefront6targetE0EEEvT1_
	.globl	_ZN7rocprim17ROCPRIM_400000_NS6detail17trampoline_kernelINS0_14default_configENS1_27scan_by_key_config_selectorIiiEEZZNS1_16scan_by_key_implILNS1_25lookback_scan_determinismE0ELb1ES3_N6thrust23THRUST_200600_302600_NS6detail15normal_iteratorINS9_10device_ptrIiEEEESE_SE_iNS9_4plusIvEENS9_8equal_toIvEEiEE10hipError_tPvRmT2_T3_T4_T5_mT6_T7_P12ihipStream_tbENKUlT_T0_E_clISt17integral_constantIbLb1EESZ_EEDaSU_SV_EUlSU_E_NS1_11comp_targetILNS1_3genE10ELNS1_11target_archE1201ELNS1_3gpuE5ELNS1_3repE0EEENS1_30default_config_static_selectorELNS0_4arch9wavefront6targetE0EEEvT1_
	.p2align	8
	.type	_ZN7rocprim17ROCPRIM_400000_NS6detail17trampoline_kernelINS0_14default_configENS1_27scan_by_key_config_selectorIiiEEZZNS1_16scan_by_key_implILNS1_25lookback_scan_determinismE0ELb1ES3_N6thrust23THRUST_200600_302600_NS6detail15normal_iteratorINS9_10device_ptrIiEEEESE_SE_iNS9_4plusIvEENS9_8equal_toIvEEiEE10hipError_tPvRmT2_T3_T4_T5_mT6_T7_P12ihipStream_tbENKUlT_T0_E_clISt17integral_constantIbLb1EESZ_EEDaSU_SV_EUlSU_E_NS1_11comp_targetILNS1_3genE10ELNS1_11target_archE1201ELNS1_3gpuE5ELNS1_3repE0EEENS1_30default_config_static_selectorELNS0_4arch9wavefront6targetE0EEEvT1_,@function
_ZN7rocprim17ROCPRIM_400000_NS6detail17trampoline_kernelINS0_14default_configENS1_27scan_by_key_config_selectorIiiEEZZNS1_16scan_by_key_implILNS1_25lookback_scan_determinismE0ELb1ES3_N6thrust23THRUST_200600_302600_NS6detail15normal_iteratorINS9_10device_ptrIiEEEESE_SE_iNS9_4plusIvEENS9_8equal_toIvEEiEE10hipError_tPvRmT2_T3_T4_T5_mT6_T7_P12ihipStream_tbENKUlT_T0_E_clISt17integral_constantIbLb1EESZ_EEDaSU_SV_EUlSU_E_NS1_11comp_targetILNS1_3genE10ELNS1_11target_archE1201ELNS1_3gpuE5ELNS1_3repE0EEENS1_30default_config_static_selectorELNS0_4arch9wavefront6targetE0EEEvT1_: ; @_ZN7rocprim17ROCPRIM_400000_NS6detail17trampoline_kernelINS0_14default_configENS1_27scan_by_key_config_selectorIiiEEZZNS1_16scan_by_key_implILNS1_25lookback_scan_determinismE0ELb1ES3_N6thrust23THRUST_200600_302600_NS6detail15normal_iteratorINS9_10device_ptrIiEEEESE_SE_iNS9_4plusIvEENS9_8equal_toIvEEiEE10hipError_tPvRmT2_T3_T4_T5_mT6_T7_P12ihipStream_tbENKUlT_T0_E_clISt17integral_constantIbLb1EESZ_EEDaSU_SV_EUlSU_E_NS1_11comp_targetILNS1_3genE10ELNS1_11target_archE1201ELNS1_3gpuE5ELNS1_3repE0EEENS1_30default_config_static_selectorELNS0_4arch9wavefront6targetE0EEEvT1_
; %bb.0:
	.section	.rodata,"a",@progbits
	.p2align	6, 0x0
	.amdhsa_kernel _ZN7rocprim17ROCPRIM_400000_NS6detail17trampoline_kernelINS0_14default_configENS1_27scan_by_key_config_selectorIiiEEZZNS1_16scan_by_key_implILNS1_25lookback_scan_determinismE0ELb1ES3_N6thrust23THRUST_200600_302600_NS6detail15normal_iteratorINS9_10device_ptrIiEEEESE_SE_iNS9_4plusIvEENS9_8equal_toIvEEiEE10hipError_tPvRmT2_T3_T4_T5_mT6_T7_P12ihipStream_tbENKUlT_T0_E_clISt17integral_constantIbLb1EESZ_EEDaSU_SV_EUlSU_E_NS1_11comp_targetILNS1_3genE10ELNS1_11target_archE1201ELNS1_3gpuE5ELNS1_3repE0EEENS1_30default_config_static_selectorELNS0_4arch9wavefront6targetE0EEEvT1_
		.amdhsa_group_segment_fixed_size 0
		.amdhsa_private_segment_fixed_size 0
		.amdhsa_kernarg_size 112
		.amdhsa_user_sgpr_count 2
		.amdhsa_user_sgpr_dispatch_ptr 0
		.amdhsa_user_sgpr_queue_ptr 0
		.amdhsa_user_sgpr_kernarg_segment_ptr 1
		.amdhsa_user_sgpr_dispatch_id 0
		.amdhsa_user_sgpr_kernarg_preload_length 0
		.amdhsa_user_sgpr_kernarg_preload_offset 0
		.amdhsa_user_sgpr_private_segment_size 0
		.amdhsa_wavefront_size32 1
		.amdhsa_uses_dynamic_stack 0
		.amdhsa_enable_private_segment 0
		.amdhsa_system_sgpr_workgroup_id_x 1
		.amdhsa_system_sgpr_workgroup_id_y 0
		.amdhsa_system_sgpr_workgroup_id_z 0
		.amdhsa_system_sgpr_workgroup_info 0
		.amdhsa_system_vgpr_workitem_id 0
		.amdhsa_next_free_vgpr 1
		.amdhsa_next_free_sgpr 1
		.amdhsa_named_barrier_count 0
		.amdhsa_reserve_vcc 0
		.amdhsa_float_round_mode_32 0
		.amdhsa_float_round_mode_16_64 0
		.amdhsa_float_denorm_mode_32 3
		.amdhsa_float_denorm_mode_16_64 3
		.amdhsa_fp16_overflow 0
		.amdhsa_memory_ordered 1
		.amdhsa_forward_progress 1
		.amdhsa_inst_pref_size 0
		.amdhsa_round_robin_scheduling 0
		.amdhsa_exception_fp_ieee_invalid_op 0
		.amdhsa_exception_fp_denorm_src 0
		.amdhsa_exception_fp_ieee_div_zero 0
		.amdhsa_exception_fp_ieee_overflow 0
		.amdhsa_exception_fp_ieee_underflow 0
		.amdhsa_exception_fp_ieee_inexact 0
		.amdhsa_exception_int_div_zero 0
	.end_amdhsa_kernel
	.section	.text._ZN7rocprim17ROCPRIM_400000_NS6detail17trampoline_kernelINS0_14default_configENS1_27scan_by_key_config_selectorIiiEEZZNS1_16scan_by_key_implILNS1_25lookback_scan_determinismE0ELb1ES3_N6thrust23THRUST_200600_302600_NS6detail15normal_iteratorINS9_10device_ptrIiEEEESE_SE_iNS9_4plusIvEENS9_8equal_toIvEEiEE10hipError_tPvRmT2_T3_T4_T5_mT6_T7_P12ihipStream_tbENKUlT_T0_E_clISt17integral_constantIbLb1EESZ_EEDaSU_SV_EUlSU_E_NS1_11comp_targetILNS1_3genE10ELNS1_11target_archE1201ELNS1_3gpuE5ELNS1_3repE0EEENS1_30default_config_static_selectorELNS0_4arch9wavefront6targetE0EEEvT1_,"axG",@progbits,_ZN7rocprim17ROCPRIM_400000_NS6detail17trampoline_kernelINS0_14default_configENS1_27scan_by_key_config_selectorIiiEEZZNS1_16scan_by_key_implILNS1_25lookback_scan_determinismE0ELb1ES3_N6thrust23THRUST_200600_302600_NS6detail15normal_iteratorINS9_10device_ptrIiEEEESE_SE_iNS9_4plusIvEENS9_8equal_toIvEEiEE10hipError_tPvRmT2_T3_T4_T5_mT6_T7_P12ihipStream_tbENKUlT_T0_E_clISt17integral_constantIbLb1EESZ_EEDaSU_SV_EUlSU_E_NS1_11comp_targetILNS1_3genE10ELNS1_11target_archE1201ELNS1_3gpuE5ELNS1_3repE0EEENS1_30default_config_static_selectorELNS0_4arch9wavefront6targetE0EEEvT1_,comdat
.Lfunc_end471:
	.size	_ZN7rocprim17ROCPRIM_400000_NS6detail17trampoline_kernelINS0_14default_configENS1_27scan_by_key_config_selectorIiiEEZZNS1_16scan_by_key_implILNS1_25lookback_scan_determinismE0ELb1ES3_N6thrust23THRUST_200600_302600_NS6detail15normal_iteratorINS9_10device_ptrIiEEEESE_SE_iNS9_4plusIvEENS9_8equal_toIvEEiEE10hipError_tPvRmT2_T3_T4_T5_mT6_T7_P12ihipStream_tbENKUlT_T0_E_clISt17integral_constantIbLb1EESZ_EEDaSU_SV_EUlSU_E_NS1_11comp_targetILNS1_3genE10ELNS1_11target_archE1201ELNS1_3gpuE5ELNS1_3repE0EEENS1_30default_config_static_selectorELNS0_4arch9wavefront6targetE0EEEvT1_, .Lfunc_end471-_ZN7rocprim17ROCPRIM_400000_NS6detail17trampoline_kernelINS0_14default_configENS1_27scan_by_key_config_selectorIiiEEZZNS1_16scan_by_key_implILNS1_25lookback_scan_determinismE0ELb1ES3_N6thrust23THRUST_200600_302600_NS6detail15normal_iteratorINS9_10device_ptrIiEEEESE_SE_iNS9_4plusIvEENS9_8equal_toIvEEiEE10hipError_tPvRmT2_T3_T4_T5_mT6_T7_P12ihipStream_tbENKUlT_T0_E_clISt17integral_constantIbLb1EESZ_EEDaSU_SV_EUlSU_E_NS1_11comp_targetILNS1_3genE10ELNS1_11target_archE1201ELNS1_3gpuE5ELNS1_3repE0EEENS1_30default_config_static_selectorELNS0_4arch9wavefront6targetE0EEEvT1_
                                        ; -- End function
	.set _ZN7rocprim17ROCPRIM_400000_NS6detail17trampoline_kernelINS0_14default_configENS1_27scan_by_key_config_selectorIiiEEZZNS1_16scan_by_key_implILNS1_25lookback_scan_determinismE0ELb1ES3_N6thrust23THRUST_200600_302600_NS6detail15normal_iteratorINS9_10device_ptrIiEEEESE_SE_iNS9_4plusIvEENS9_8equal_toIvEEiEE10hipError_tPvRmT2_T3_T4_T5_mT6_T7_P12ihipStream_tbENKUlT_T0_E_clISt17integral_constantIbLb1EESZ_EEDaSU_SV_EUlSU_E_NS1_11comp_targetILNS1_3genE10ELNS1_11target_archE1201ELNS1_3gpuE5ELNS1_3repE0EEENS1_30default_config_static_selectorELNS0_4arch9wavefront6targetE0EEEvT1_.num_vgpr, 0
	.set _ZN7rocprim17ROCPRIM_400000_NS6detail17trampoline_kernelINS0_14default_configENS1_27scan_by_key_config_selectorIiiEEZZNS1_16scan_by_key_implILNS1_25lookback_scan_determinismE0ELb1ES3_N6thrust23THRUST_200600_302600_NS6detail15normal_iteratorINS9_10device_ptrIiEEEESE_SE_iNS9_4plusIvEENS9_8equal_toIvEEiEE10hipError_tPvRmT2_T3_T4_T5_mT6_T7_P12ihipStream_tbENKUlT_T0_E_clISt17integral_constantIbLb1EESZ_EEDaSU_SV_EUlSU_E_NS1_11comp_targetILNS1_3genE10ELNS1_11target_archE1201ELNS1_3gpuE5ELNS1_3repE0EEENS1_30default_config_static_selectorELNS0_4arch9wavefront6targetE0EEEvT1_.num_agpr, 0
	.set _ZN7rocprim17ROCPRIM_400000_NS6detail17trampoline_kernelINS0_14default_configENS1_27scan_by_key_config_selectorIiiEEZZNS1_16scan_by_key_implILNS1_25lookback_scan_determinismE0ELb1ES3_N6thrust23THRUST_200600_302600_NS6detail15normal_iteratorINS9_10device_ptrIiEEEESE_SE_iNS9_4plusIvEENS9_8equal_toIvEEiEE10hipError_tPvRmT2_T3_T4_T5_mT6_T7_P12ihipStream_tbENKUlT_T0_E_clISt17integral_constantIbLb1EESZ_EEDaSU_SV_EUlSU_E_NS1_11comp_targetILNS1_3genE10ELNS1_11target_archE1201ELNS1_3gpuE5ELNS1_3repE0EEENS1_30default_config_static_selectorELNS0_4arch9wavefront6targetE0EEEvT1_.numbered_sgpr, 0
	.set _ZN7rocprim17ROCPRIM_400000_NS6detail17trampoline_kernelINS0_14default_configENS1_27scan_by_key_config_selectorIiiEEZZNS1_16scan_by_key_implILNS1_25lookback_scan_determinismE0ELb1ES3_N6thrust23THRUST_200600_302600_NS6detail15normal_iteratorINS9_10device_ptrIiEEEESE_SE_iNS9_4plusIvEENS9_8equal_toIvEEiEE10hipError_tPvRmT2_T3_T4_T5_mT6_T7_P12ihipStream_tbENKUlT_T0_E_clISt17integral_constantIbLb1EESZ_EEDaSU_SV_EUlSU_E_NS1_11comp_targetILNS1_3genE10ELNS1_11target_archE1201ELNS1_3gpuE5ELNS1_3repE0EEENS1_30default_config_static_selectorELNS0_4arch9wavefront6targetE0EEEvT1_.num_named_barrier, 0
	.set _ZN7rocprim17ROCPRIM_400000_NS6detail17trampoline_kernelINS0_14default_configENS1_27scan_by_key_config_selectorIiiEEZZNS1_16scan_by_key_implILNS1_25lookback_scan_determinismE0ELb1ES3_N6thrust23THRUST_200600_302600_NS6detail15normal_iteratorINS9_10device_ptrIiEEEESE_SE_iNS9_4plusIvEENS9_8equal_toIvEEiEE10hipError_tPvRmT2_T3_T4_T5_mT6_T7_P12ihipStream_tbENKUlT_T0_E_clISt17integral_constantIbLb1EESZ_EEDaSU_SV_EUlSU_E_NS1_11comp_targetILNS1_3genE10ELNS1_11target_archE1201ELNS1_3gpuE5ELNS1_3repE0EEENS1_30default_config_static_selectorELNS0_4arch9wavefront6targetE0EEEvT1_.private_seg_size, 0
	.set _ZN7rocprim17ROCPRIM_400000_NS6detail17trampoline_kernelINS0_14default_configENS1_27scan_by_key_config_selectorIiiEEZZNS1_16scan_by_key_implILNS1_25lookback_scan_determinismE0ELb1ES3_N6thrust23THRUST_200600_302600_NS6detail15normal_iteratorINS9_10device_ptrIiEEEESE_SE_iNS9_4plusIvEENS9_8equal_toIvEEiEE10hipError_tPvRmT2_T3_T4_T5_mT6_T7_P12ihipStream_tbENKUlT_T0_E_clISt17integral_constantIbLb1EESZ_EEDaSU_SV_EUlSU_E_NS1_11comp_targetILNS1_3genE10ELNS1_11target_archE1201ELNS1_3gpuE5ELNS1_3repE0EEENS1_30default_config_static_selectorELNS0_4arch9wavefront6targetE0EEEvT1_.uses_vcc, 0
	.set _ZN7rocprim17ROCPRIM_400000_NS6detail17trampoline_kernelINS0_14default_configENS1_27scan_by_key_config_selectorIiiEEZZNS1_16scan_by_key_implILNS1_25lookback_scan_determinismE0ELb1ES3_N6thrust23THRUST_200600_302600_NS6detail15normal_iteratorINS9_10device_ptrIiEEEESE_SE_iNS9_4plusIvEENS9_8equal_toIvEEiEE10hipError_tPvRmT2_T3_T4_T5_mT6_T7_P12ihipStream_tbENKUlT_T0_E_clISt17integral_constantIbLb1EESZ_EEDaSU_SV_EUlSU_E_NS1_11comp_targetILNS1_3genE10ELNS1_11target_archE1201ELNS1_3gpuE5ELNS1_3repE0EEENS1_30default_config_static_selectorELNS0_4arch9wavefront6targetE0EEEvT1_.uses_flat_scratch, 0
	.set _ZN7rocprim17ROCPRIM_400000_NS6detail17trampoline_kernelINS0_14default_configENS1_27scan_by_key_config_selectorIiiEEZZNS1_16scan_by_key_implILNS1_25lookback_scan_determinismE0ELb1ES3_N6thrust23THRUST_200600_302600_NS6detail15normal_iteratorINS9_10device_ptrIiEEEESE_SE_iNS9_4plusIvEENS9_8equal_toIvEEiEE10hipError_tPvRmT2_T3_T4_T5_mT6_T7_P12ihipStream_tbENKUlT_T0_E_clISt17integral_constantIbLb1EESZ_EEDaSU_SV_EUlSU_E_NS1_11comp_targetILNS1_3genE10ELNS1_11target_archE1201ELNS1_3gpuE5ELNS1_3repE0EEENS1_30default_config_static_selectorELNS0_4arch9wavefront6targetE0EEEvT1_.has_dyn_sized_stack, 0
	.set _ZN7rocprim17ROCPRIM_400000_NS6detail17trampoline_kernelINS0_14default_configENS1_27scan_by_key_config_selectorIiiEEZZNS1_16scan_by_key_implILNS1_25lookback_scan_determinismE0ELb1ES3_N6thrust23THRUST_200600_302600_NS6detail15normal_iteratorINS9_10device_ptrIiEEEESE_SE_iNS9_4plusIvEENS9_8equal_toIvEEiEE10hipError_tPvRmT2_T3_T4_T5_mT6_T7_P12ihipStream_tbENKUlT_T0_E_clISt17integral_constantIbLb1EESZ_EEDaSU_SV_EUlSU_E_NS1_11comp_targetILNS1_3genE10ELNS1_11target_archE1201ELNS1_3gpuE5ELNS1_3repE0EEENS1_30default_config_static_selectorELNS0_4arch9wavefront6targetE0EEEvT1_.has_recursion, 0
	.set _ZN7rocprim17ROCPRIM_400000_NS6detail17trampoline_kernelINS0_14default_configENS1_27scan_by_key_config_selectorIiiEEZZNS1_16scan_by_key_implILNS1_25lookback_scan_determinismE0ELb1ES3_N6thrust23THRUST_200600_302600_NS6detail15normal_iteratorINS9_10device_ptrIiEEEESE_SE_iNS9_4plusIvEENS9_8equal_toIvEEiEE10hipError_tPvRmT2_T3_T4_T5_mT6_T7_P12ihipStream_tbENKUlT_T0_E_clISt17integral_constantIbLb1EESZ_EEDaSU_SV_EUlSU_E_NS1_11comp_targetILNS1_3genE10ELNS1_11target_archE1201ELNS1_3gpuE5ELNS1_3repE0EEENS1_30default_config_static_selectorELNS0_4arch9wavefront6targetE0EEEvT1_.has_indirect_call, 0
	.section	.AMDGPU.csdata,"",@progbits
; Kernel info:
; codeLenInByte = 0
; TotalNumSgprs: 0
; NumVgprs: 0
; ScratchSize: 0
; MemoryBound: 0
; FloatMode: 240
; IeeeMode: 1
; LDSByteSize: 0 bytes/workgroup (compile time only)
; SGPRBlocks: 0
; VGPRBlocks: 0
; NumSGPRsForWavesPerEU: 1
; NumVGPRsForWavesPerEU: 1
; NamedBarCnt: 0
; Occupancy: 16
; WaveLimiterHint : 0
; COMPUTE_PGM_RSRC2:SCRATCH_EN: 0
; COMPUTE_PGM_RSRC2:USER_SGPR: 2
; COMPUTE_PGM_RSRC2:TRAP_HANDLER: 0
; COMPUTE_PGM_RSRC2:TGID_X_EN: 1
; COMPUTE_PGM_RSRC2:TGID_Y_EN: 0
; COMPUTE_PGM_RSRC2:TGID_Z_EN: 0
; COMPUTE_PGM_RSRC2:TIDIG_COMP_CNT: 0
	.section	.text._ZN7rocprim17ROCPRIM_400000_NS6detail17trampoline_kernelINS0_14default_configENS1_27scan_by_key_config_selectorIiiEEZZNS1_16scan_by_key_implILNS1_25lookback_scan_determinismE0ELb1ES3_N6thrust23THRUST_200600_302600_NS6detail15normal_iteratorINS9_10device_ptrIiEEEESE_SE_iNS9_4plusIvEENS9_8equal_toIvEEiEE10hipError_tPvRmT2_T3_T4_T5_mT6_T7_P12ihipStream_tbENKUlT_T0_E_clISt17integral_constantIbLb1EESZ_EEDaSU_SV_EUlSU_E_NS1_11comp_targetILNS1_3genE5ELNS1_11target_archE942ELNS1_3gpuE9ELNS1_3repE0EEENS1_30default_config_static_selectorELNS0_4arch9wavefront6targetE0EEEvT1_,"axG",@progbits,_ZN7rocprim17ROCPRIM_400000_NS6detail17trampoline_kernelINS0_14default_configENS1_27scan_by_key_config_selectorIiiEEZZNS1_16scan_by_key_implILNS1_25lookback_scan_determinismE0ELb1ES3_N6thrust23THRUST_200600_302600_NS6detail15normal_iteratorINS9_10device_ptrIiEEEESE_SE_iNS9_4plusIvEENS9_8equal_toIvEEiEE10hipError_tPvRmT2_T3_T4_T5_mT6_T7_P12ihipStream_tbENKUlT_T0_E_clISt17integral_constantIbLb1EESZ_EEDaSU_SV_EUlSU_E_NS1_11comp_targetILNS1_3genE5ELNS1_11target_archE942ELNS1_3gpuE9ELNS1_3repE0EEENS1_30default_config_static_selectorELNS0_4arch9wavefront6targetE0EEEvT1_,comdat
	.protected	_ZN7rocprim17ROCPRIM_400000_NS6detail17trampoline_kernelINS0_14default_configENS1_27scan_by_key_config_selectorIiiEEZZNS1_16scan_by_key_implILNS1_25lookback_scan_determinismE0ELb1ES3_N6thrust23THRUST_200600_302600_NS6detail15normal_iteratorINS9_10device_ptrIiEEEESE_SE_iNS9_4plusIvEENS9_8equal_toIvEEiEE10hipError_tPvRmT2_T3_T4_T5_mT6_T7_P12ihipStream_tbENKUlT_T0_E_clISt17integral_constantIbLb1EESZ_EEDaSU_SV_EUlSU_E_NS1_11comp_targetILNS1_3genE5ELNS1_11target_archE942ELNS1_3gpuE9ELNS1_3repE0EEENS1_30default_config_static_selectorELNS0_4arch9wavefront6targetE0EEEvT1_ ; -- Begin function _ZN7rocprim17ROCPRIM_400000_NS6detail17trampoline_kernelINS0_14default_configENS1_27scan_by_key_config_selectorIiiEEZZNS1_16scan_by_key_implILNS1_25lookback_scan_determinismE0ELb1ES3_N6thrust23THRUST_200600_302600_NS6detail15normal_iteratorINS9_10device_ptrIiEEEESE_SE_iNS9_4plusIvEENS9_8equal_toIvEEiEE10hipError_tPvRmT2_T3_T4_T5_mT6_T7_P12ihipStream_tbENKUlT_T0_E_clISt17integral_constantIbLb1EESZ_EEDaSU_SV_EUlSU_E_NS1_11comp_targetILNS1_3genE5ELNS1_11target_archE942ELNS1_3gpuE9ELNS1_3repE0EEENS1_30default_config_static_selectorELNS0_4arch9wavefront6targetE0EEEvT1_
	.globl	_ZN7rocprim17ROCPRIM_400000_NS6detail17trampoline_kernelINS0_14default_configENS1_27scan_by_key_config_selectorIiiEEZZNS1_16scan_by_key_implILNS1_25lookback_scan_determinismE0ELb1ES3_N6thrust23THRUST_200600_302600_NS6detail15normal_iteratorINS9_10device_ptrIiEEEESE_SE_iNS9_4plusIvEENS9_8equal_toIvEEiEE10hipError_tPvRmT2_T3_T4_T5_mT6_T7_P12ihipStream_tbENKUlT_T0_E_clISt17integral_constantIbLb1EESZ_EEDaSU_SV_EUlSU_E_NS1_11comp_targetILNS1_3genE5ELNS1_11target_archE942ELNS1_3gpuE9ELNS1_3repE0EEENS1_30default_config_static_selectorELNS0_4arch9wavefront6targetE0EEEvT1_
	.p2align	8
	.type	_ZN7rocprim17ROCPRIM_400000_NS6detail17trampoline_kernelINS0_14default_configENS1_27scan_by_key_config_selectorIiiEEZZNS1_16scan_by_key_implILNS1_25lookback_scan_determinismE0ELb1ES3_N6thrust23THRUST_200600_302600_NS6detail15normal_iteratorINS9_10device_ptrIiEEEESE_SE_iNS9_4plusIvEENS9_8equal_toIvEEiEE10hipError_tPvRmT2_T3_T4_T5_mT6_T7_P12ihipStream_tbENKUlT_T0_E_clISt17integral_constantIbLb1EESZ_EEDaSU_SV_EUlSU_E_NS1_11comp_targetILNS1_3genE5ELNS1_11target_archE942ELNS1_3gpuE9ELNS1_3repE0EEENS1_30default_config_static_selectorELNS0_4arch9wavefront6targetE0EEEvT1_,@function
_ZN7rocprim17ROCPRIM_400000_NS6detail17trampoline_kernelINS0_14default_configENS1_27scan_by_key_config_selectorIiiEEZZNS1_16scan_by_key_implILNS1_25lookback_scan_determinismE0ELb1ES3_N6thrust23THRUST_200600_302600_NS6detail15normal_iteratorINS9_10device_ptrIiEEEESE_SE_iNS9_4plusIvEENS9_8equal_toIvEEiEE10hipError_tPvRmT2_T3_T4_T5_mT6_T7_P12ihipStream_tbENKUlT_T0_E_clISt17integral_constantIbLb1EESZ_EEDaSU_SV_EUlSU_E_NS1_11comp_targetILNS1_3genE5ELNS1_11target_archE942ELNS1_3gpuE9ELNS1_3repE0EEENS1_30default_config_static_selectorELNS0_4arch9wavefront6targetE0EEEvT1_: ; @_ZN7rocprim17ROCPRIM_400000_NS6detail17trampoline_kernelINS0_14default_configENS1_27scan_by_key_config_selectorIiiEEZZNS1_16scan_by_key_implILNS1_25lookback_scan_determinismE0ELb1ES3_N6thrust23THRUST_200600_302600_NS6detail15normal_iteratorINS9_10device_ptrIiEEEESE_SE_iNS9_4plusIvEENS9_8equal_toIvEEiEE10hipError_tPvRmT2_T3_T4_T5_mT6_T7_P12ihipStream_tbENKUlT_T0_E_clISt17integral_constantIbLb1EESZ_EEDaSU_SV_EUlSU_E_NS1_11comp_targetILNS1_3genE5ELNS1_11target_archE942ELNS1_3gpuE9ELNS1_3repE0EEENS1_30default_config_static_selectorELNS0_4arch9wavefront6targetE0EEEvT1_
; %bb.0:
	.section	.rodata,"a",@progbits
	.p2align	6, 0x0
	.amdhsa_kernel _ZN7rocprim17ROCPRIM_400000_NS6detail17trampoline_kernelINS0_14default_configENS1_27scan_by_key_config_selectorIiiEEZZNS1_16scan_by_key_implILNS1_25lookback_scan_determinismE0ELb1ES3_N6thrust23THRUST_200600_302600_NS6detail15normal_iteratorINS9_10device_ptrIiEEEESE_SE_iNS9_4plusIvEENS9_8equal_toIvEEiEE10hipError_tPvRmT2_T3_T4_T5_mT6_T7_P12ihipStream_tbENKUlT_T0_E_clISt17integral_constantIbLb1EESZ_EEDaSU_SV_EUlSU_E_NS1_11comp_targetILNS1_3genE5ELNS1_11target_archE942ELNS1_3gpuE9ELNS1_3repE0EEENS1_30default_config_static_selectorELNS0_4arch9wavefront6targetE0EEEvT1_
		.amdhsa_group_segment_fixed_size 0
		.amdhsa_private_segment_fixed_size 0
		.amdhsa_kernarg_size 112
		.amdhsa_user_sgpr_count 2
		.amdhsa_user_sgpr_dispatch_ptr 0
		.amdhsa_user_sgpr_queue_ptr 0
		.amdhsa_user_sgpr_kernarg_segment_ptr 1
		.amdhsa_user_sgpr_dispatch_id 0
		.amdhsa_user_sgpr_kernarg_preload_length 0
		.amdhsa_user_sgpr_kernarg_preload_offset 0
		.amdhsa_user_sgpr_private_segment_size 0
		.amdhsa_wavefront_size32 1
		.amdhsa_uses_dynamic_stack 0
		.amdhsa_enable_private_segment 0
		.amdhsa_system_sgpr_workgroup_id_x 1
		.amdhsa_system_sgpr_workgroup_id_y 0
		.amdhsa_system_sgpr_workgroup_id_z 0
		.amdhsa_system_sgpr_workgroup_info 0
		.amdhsa_system_vgpr_workitem_id 0
		.amdhsa_next_free_vgpr 1
		.amdhsa_next_free_sgpr 1
		.amdhsa_named_barrier_count 0
		.amdhsa_reserve_vcc 0
		.amdhsa_float_round_mode_32 0
		.amdhsa_float_round_mode_16_64 0
		.amdhsa_float_denorm_mode_32 3
		.amdhsa_float_denorm_mode_16_64 3
		.amdhsa_fp16_overflow 0
		.amdhsa_memory_ordered 1
		.amdhsa_forward_progress 1
		.amdhsa_inst_pref_size 0
		.amdhsa_round_robin_scheduling 0
		.amdhsa_exception_fp_ieee_invalid_op 0
		.amdhsa_exception_fp_denorm_src 0
		.amdhsa_exception_fp_ieee_div_zero 0
		.amdhsa_exception_fp_ieee_overflow 0
		.amdhsa_exception_fp_ieee_underflow 0
		.amdhsa_exception_fp_ieee_inexact 0
		.amdhsa_exception_int_div_zero 0
	.end_amdhsa_kernel
	.section	.text._ZN7rocprim17ROCPRIM_400000_NS6detail17trampoline_kernelINS0_14default_configENS1_27scan_by_key_config_selectorIiiEEZZNS1_16scan_by_key_implILNS1_25lookback_scan_determinismE0ELb1ES3_N6thrust23THRUST_200600_302600_NS6detail15normal_iteratorINS9_10device_ptrIiEEEESE_SE_iNS9_4plusIvEENS9_8equal_toIvEEiEE10hipError_tPvRmT2_T3_T4_T5_mT6_T7_P12ihipStream_tbENKUlT_T0_E_clISt17integral_constantIbLb1EESZ_EEDaSU_SV_EUlSU_E_NS1_11comp_targetILNS1_3genE5ELNS1_11target_archE942ELNS1_3gpuE9ELNS1_3repE0EEENS1_30default_config_static_selectorELNS0_4arch9wavefront6targetE0EEEvT1_,"axG",@progbits,_ZN7rocprim17ROCPRIM_400000_NS6detail17trampoline_kernelINS0_14default_configENS1_27scan_by_key_config_selectorIiiEEZZNS1_16scan_by_key_implILNS1_25lookback_scan_determinismE0ELb1ES3_N6thrust23THRUST_200600_302600_NS6detail15normal_iteratorINS9_10device_ptrIiEEEESE_SE_iNS9_4plusIvEENS9_8equal_toIvEEiEE10hipError_tPvRmT2_T3_T4_T5_mT6_T7_P12ihipStream_tbENKUlT_T0_E_clISt17integral_constantIbLb1EESZ_EEDaSU_SV_EUlSU_E_NS1_11comp_targetILNS1_3genE5ELNS1_11target_archE942ELNS1_3gpuE9ELNS1_3repE0EEENS1_30default_config_static_selectorELNS0_4arch9wavefront6targetE0EEEvT1_,comdat
.Lfunc_end472:
	.size	_ZN7rocprim17ROCPRIM_400000_NS6detail17trampoline_kernelINS0_14default_configENS1_27scan_by_key_config_selectorIiiEEZZNS1_16scan_by_key_implILNS1_25lookback_scan_determinismE0ELb1ES3_N6thrust23THRUST_200600_302600_NS6detail15normal_iteratorINS9_10device_ptrIiEEEESE_SE_iNS9_4plusIvEENS9_8equal_toIvEEiEE10hipError_tPvRmT2_T3_T4_T5_mT6_T7_P12ihipStream_tbENKUlT_T0_E_clISt17integral_constantIbLb1EESZ_EEDaSU_SV_EUlSU_E_NS1_11comp_targetILNS1_3genE5ELNS1_11target_archE942ELNS1_3gpuE9ELNS1_3repE0EEENS1_30default_config_static_selectorELNS0_4arch9wavefront6targetE0EEEvT1_, .Lfunc_end472-_ZN7rocprim17ROCPRIM_400000_NS6detail17trampoline_kernelINS0_14default_configENS1_27scan_by_key_config_selectorIiiEEZZNS1_16scan_by_key_implILNS1_25lookback_scan_determinismE0ELb1ES3_N6thrust23THRUST_200600_302600_NS6detail15normal_iteratorINS9_10device_ptrIiEEEESE_SE_iNS9_4plusIvEENS9_8equal_toIvEEiEE10hipError_tPvRmT2_T3_T4_T5_mT6_T7_P12ihipStream_tbENKUlT_T0_E_clISt17integral_constantIbLb1EESZ_EEDaSU_SV_EUlSU_E_NS1_11comp_targetILNS1_3genE5ELNS1_11target_archE942ELNS1_3gpuE9ELNS1_3repE0EEENS1_30default_config_static_selectorELNS0_4arch9wavefront6targetE0EEEvT1_
                                        ; -- End function
	.set _ZN7rocprim17ROCPRIM_400000_NS6detail17trampoline_kernelINS0_14default_configENS1_27scan_by_key_config_selectorIiiEEZZNS1_16scan_by_key_implILNS1_25lookback_scan_determinismE0ELb1ES3_N6thrust23THRUST_200600_302600_NS6detail15normal_iteratorINS9_10device_ptrIiEEEESE_SE_iNS9_4plusIvEENS9_8equal_toIvEEiEE10hipError_tPvRmT2_T3_T4_T5_mT6_T7_P12ihipStream_tbENKUlT_T0_E_clISt17integral_constantIbLb1EESZ_EEDaSU_SV_EUlSU_E_NS1_11comp_targetILNS1_3genE5ELNS1_11target_archE942ELNS1_3gpuE9ELNS1_3repE0EEENS1_30default_config_static_selectorELNS0_4arch9wavefront6targetE0EEEvT1_.num_vgpr, 0
	.set _ZN7rocprim17ROCPRIM_400000_NS6detail17trampoline_kernelINS0_14default_configENS1_27scan_by_key_config_selectorIiiEEZZNS1_16scan_by_key_implILNS1_25lookback_scan_determinismE0ELb1ES3_N6thrust23THRUST_200600_302600_NS6detail15normal_iteratorINS9_10device_ptrIiEEEESE_SE_iNS9_4plusIvEENS9_8equal_toIvEEiEE10hipError_tPvRmT2_T3_T4_T5_mT6_T7_P12ihipStream_tbENKUlT_T0_E_clISt17integral_constantIbLb1EESZ_EEDaSU_SV_EUlSU_E_NS1_11comp_targetILNS1_3genE5ELNS1_11target_archE942ELNS1_3gpuE9ELNS1_3repE0EEENS1_30default_config_static_selectorELNS0_4arch9wavefront6targetE0EEEvT1_.num_agpr, 0
	.set _ZN7rocprim17ROCPRIM_400000_NS6detail17trampoline_kernelINS0_14default_configENS1_27scan_by_key_config_selectorIiiEEZZNS1_16scan_by_key_implILNS1_25lookback_scan_determinismE0ELb1ES3_N6thrust23THRUST_200600_302600_NS6detail15normal_iteratorINS9_10device_ptrIiEEEESE_SE_iNS9_4plusIvEENS9_8equal_toIvEEiEE10hipError_tPvRmT2_T3_T4_T5_mT6_T7_P12ihipStream_tbENKUlT_T0_E_clISt17integral_constantIbLb1EESZ_EEDaSU_SV_EUlSU_E_NS1_11comp_targetILNS1_3genE5ELNS1_11target_archE942ELNS1_3gpuE9ELNS1_3repE0EEENS1_30default_config_static_selectorELNS0_4arch9wavefront6targetE0EEEvT1_.numbered_sgpr, 0
	.set _ZN7rocprim17ROCPRIM_400000_NS6detail17trampoline_kernelINS0_14default_configENS1_27scan_by_key_config_selectorIiiEEZZNS1_16scan_by_key_implILNS1_25lookback_scan_determinismE0ELb1ES3_N6thrust23THRUST_200600_302600_NS6detail15normal_iteratorINS9_10device_ptrIiEEEESE_SE_iNS9_4plusIvEENS9_8equal_toIvEEiEE10hipError_tPvRmT2_T3_T4_T5_mT6_T7_P12ihipStream_tbENKUlT_T0_E_clISt17integral_constantIbLb1EESZ_EEDaSU_SV_EUlSU_E_NS1_11comp_targetILNS1_3genE5ELNS1_11target_archE942ELNS1_3gpuE9ELNS1_3repE0EEENS1_30default_config_static_selectorELNS0_4arch9wavefront6targetE0EEEvT1_.num_named_barrier, 0
	.set _ZN7rocprim17ROCPRIM_400000_NS6detail17trampoline_kernelINS0_14default_configENS1_27scan_by_key_config_selectorIiiEEZZNS1_16scan_by_key_implILNS1_25lookback_scan_determinismE0ELb1ES3_N6thrust23THRUST_200600_302600_NS6detail15normal_iteratorINS9_10device_ptrIiEEEESE_SE_iNS9_4plusIvEENS9_8equal_toIvEEiEE10hipError_tPvRmT2_T3_T4_T5_mT6_T7_P12ihipStream_tbENKUlT_T0_E_clISt17integral_constantIbLb1EESZ_EEDaSU_SV_EUlSU_E_NS1_11comp_targetILNS1_3genE5ELNS1_11target_archE942ELNS1_3gpuE9ELNS1_3repE0EEENS1_30default_config_static_selectorELNS0_4arch9wavefront6targetE0EEEvT1_.private_seg_size, 0
	.set _ZN7rocprim17ROCPRIM_400000_NS6detail17trampoline_kernelINS0_14default_configENS1_27scan_by_key_config_selectorIiiEEZZNS1_16scan_by_key_implILNS1_25lookback_scan_determinismE0ELb1ES3_N6thrust23THRUST_200600_302600_NS6detail15normal_iteratorINS9_10device_ptrIiEEEESE_SE_iNS9_4plusIvEENS9_8equal_toIvEEiEE10hipError_tPvRmT2_T3_T4_T5_mT6_T7_P12ihipStream_tbENKUlT_T0_E_clISt17integral_constantIbLb1EESZ_EEDaSU_SV_EUlSU_E_NS1_11comp_targetILNS1_3genE5ELNS1_11target_archE942ELNS1_3gpuE9ELNS1_3repE0EEENS1_30default_config_static_selectorELNS0_4arch9wavefront6targetE0EEEvT1_.uses_vcc, 0
	.set _ZN7rocprim17ROCPRIM_400000_NS6detail17trampoline_kernelINS0_14default_configENS1_27scan_by_key_config_selectorIiiEEZZNS1_16scan_by_key_implILNS1_25lookback_scan_determinismE0ELb1ES3_N6thrust23THRUST_200600_302600_NS6detail15normal_iteratorINS9_10device_ptrIiEEEESE_SE_iNS9_4plusIvEENS9_8equal_toIvEEiEE10hipError_tPvRmT2_T3_T4_T5_mT6_T7_P12ihipStream_tbENKUlT_T0_E_clISt17integral_constantIbLb1EESZ_EEDaSU_SV_EUlSU_E_NS1_11comp_targetILNS1_3genE5ELNS1_11target_archE942ELNS1_3gpuE9ELNS1_3repE0EEENS1_30default_config_static_selectorELNS0_4arch9wavefront6targetE0EEEvT1_.uses_flat_scratch, 0
	.set _ZN7rocprim17ROCPRIM_400000_NS6detail17trampoline_kernelINS0_14default_configENS1_27scan_by_key_config_selectorIiiEEZZNS1_16scan_by_key_implILNS1_25lookback_scan_determinismE0ELb1ES3_N6thrust23THRUST_200600_302600_NS6detail15normal_iteratorINS9_10device_ptrIiEEEESE_SE_iNS9_4plusIvEENS9_8equal_toIvEEiEE10hipError_tPvRmT2_T3_T4_T5_mT6_T7_P12ihipStream_tbENKUlT_T0_E_clISt17integral_constantIbLb1EESZ_EEDaSU_SV_EUlSU_E_NS1_11comp_targetILNS1_3genE5ELNS1_11target_archE942ELNS1_3gpuE9ELNS1_3repE0EEENS1_30default_config_static_selectorELNS0_4arch9wavefront6targetE0EEEvT1_.has_dyn_sized_stack, 0
	.set _ZN7rocprim17ROCPRIM_400000_NS6detail17trampoline_kernelINS0_14default_configENS1_27scan_by_key_config_selectorIiiEEZZNS1_16scan_by_key_implILNS1_25lookback_scan_determinismE0ELb1ES3_N6thrust23THRUST_200600_302600_NS6detail15normal_iteratorINS9_10device_ptrIiEEEESE_SE_iNS9_4plusIvEENS9_8equal_toIvEEiEE10hipError_tPvRmT2_T3_T4_T5_mT6_T7_P12ihipStream_tbENKUlT_T0_E_clISt17integral_constantIbLb1EESZ_EEDaSU_SV_EUlSU_E_NS1_11comp_targetILNS1_3genE5ELNS1_11target_archE942ELNS1_3gpuE9ELNS1_3repE0EEENS1_30default_config_static_selectorELNS0_4arch9wavefront6targetE0EEEvT1_.has_recursion, 0
	.set _ZN7rocprim17ROCPRIM_400000_NS6detail17trampoline_kernelINS0_14default_configENS1_27scan_by_key_config_selectorIiiEEZZNS1_16scan_by_key_implILNS1_25lookback_scan_determinismE0ELb1ES3_N6thrust23THRUST_200600_302600_NS6detail15normal_iteratorINS9_10device_ptrIiEEEESE_SE_iNS9_4plusIvEENS9_8equal_toIvEEiEE10hipError_tPvRmT2_T3_T4_T5_mT6_T7_P12ihipStream_tbENKUlT_T0_E_clISt17integral_constantIbLb1EESZ_EEDaSU_SV_EUlSU_E_NS1_11comp_targetILNS1_3genE5ELNS1_11target_archE942ELNS1_3gpuE9ELNS1_3repE0EEENS1_30default_config_static_selectorELNS0_4arch9wavefront6targetE0EEEvT1_.has_indirect_call, 0
	.section	.AMDGPU.csdata,"",@progbits
; Kernel info:
; codeLenInByte = 0
; TotalNumSgprs: 0
; NumVgprs: 0
; ScratchSize: 0
; MemoryBound: 0
; FloatMode: 240
; IeeeMode: 1
; LDSByteSize: 0 bytes/workgroup (compile time only)
; SGPRBlocks: 0
; VGPRBlocks: 0
; NumSGPRsForWavesPerEU: 1
; NumVGPRsForWavesPerEU: 1
; NamedBarCnt: 0
; Occupancy: 16
; WaveLimiterHint : 0
; COMPUTE_PGM_RSRC2:SCRATCH_EN: 0
; COMPUTE_PGM_RSRC2:USER_SGPR: 2
; COMPUTE_PGM_RSRC2:TRAP_HANDLER: 0
; COMPUTE_PGM_RSRC2:TGID_X_EN: 1
; COMPUTE_PGM_RSRC2:TGID_Y_EN: 0
; COMPUTE_PGM_RSRC2:TGID_Z_EN: 0
; COMPUTE_PGM_RSRC2:TIDIG_COMP_CNT: 0
	.section	.text._ZN7rocprim17ROCPRIM_400000_NS6detail17trampoline_kernelINS0_14default_configENS1_27scan_by_key_config_selectorIiiEEZZNS1_16scan_by_key_implILNS1_25lookback_scan_determinismE0ELb1ES3_N6thrust23THRUST_200600_302600_NS6detail15normal_iteratorINS9_10device_ptrIiEEEESE_SE_iNS9_4plusIvEENS9_8equal_toIvEEiEE10hipError_tPvRmT2_T3_T4_T5_mT6_T7_P12ihipStream_tbENKUlT_T0_E_clISt17integral_constantIbLb1EESZ_EEDaSU_SV_EUlSU_E_NS1_11comp_targetILNS1_3genE4ELNS1_11target_archE910ELNS1_3gpuE8ELNS1_3repE0EEENS1_30default_config_static_selectorELNS0_4arch9wavefront6targetE0EEEvT1_,"axG",@progbits,_ZN7rocprim17ROCPRIM_400000_NS6detail17trampoline_kernelINS0_14default_configENS1_27scan_by_key_config_selectorIiiEEZZNS1_16scan_by_key_implILNS1_25lookback_scan_determinismE0ELb1ES3_N6thrust23THRUST_200600_302600_NS6detail15normal_iteratorINS9_10device_ptrIiEEEESE_SE_iNS9_4plusIvEENS9_8equal_toIvEEiEE10hipError_tPvRmT2_T3_T4_T5_mT6_T7_P12ihipStream_tbENKUlT_T0_E_clISt17integral_constantIbLb1EESZ_EEDaSU_SV_EUlSU_E_NS1_11comp_targetILNS1_3genE4ELNS1_11target_archE910ELNS1_3gpuE8ELNS1_3repE0EEENS1_30default_config_static_selectorELNS0_4arch9wavefront6targetE0EEEvT1_,comdat
	.protected	_ZN7rocprim17ROCPRIM_400000_NS6detail17trampoline_kernelINS0_14default_configENS1_27scan_by_key_config_selectorIiiEEZZNS1_16scan_by_key_implILNS1_25lookback_scan_determinismE0ELb1ES3_N6thrust23THRUST_200600_302600_NS6detail15normal_iteratorINS9_10device_ptrIiEEEESE_SE_iNS9_4plusIvEENS9_8equal_toIvEEiEE10hipError_tPvRmT2_T3_T4_T5_mT6_T7_P12ihipStream_tbENKUlT_T0_E_clISt17integral_constantIbLb1EESZ_EEDaSU_SV_EUlSU_E_NS1_11comp_targetILNS1_3genE4ELNS1_11target_archE910ELNS1_3gpuE8ELNS1_3repE0EEENS1_30default_config_static_selectorELNS0_4arch9wavefront6targetE0EEEvT1_ ; -- Begin function _ZN7rocprim17ROCPRIM_400000_NS6detail17trampoline_kernelINS0_14default_configENS1_27scan_by_key_config_selectorIiiEEZZNS1_16scan_by_key_implILNS1_25lookback_scan_determinismE0ELb1ES3_N6thrust23THRUST_200600_302600_NS6detail15normal_iteratorINS9_10device_ptrIiEEEESE_SE_iNS9_4plusIvEENS9_8equal_toIvEEiEE10hipError_tPvRmT2_T3_T4_T5_mT6_T7_P12ihipStream_tbENKUlT_T0_E_clISt17integral_constantIbLb1EESZ_EEDaSU_SV_EUlSU_E_NS1_11comp_targetILNS1_3genE4ELNS1_11target_archE910ELNS1_3gpuE8ELNS1_3repE0EEENS1_30default_config_static_selectorELNS0_4arch9wavefront6targetE0EEEvT1_
	.globl	_ZN7rocprim17ROCPRIM_400000_NS6detail17trampoline_kernelINS0_14default_configENS1_27scan_by_key_config_selectorIiiEEZZNS1_16scan_by_key_implILNS1_25lookback_scan_determinismE0ELb1ES3_N6thrust23THRUST_200600_302600_NS6detail15normal_iteratorINS9_10device_ptrIiEEEESE_SE_iNS9_4plusIvEENS9_8equal_toIvEEiEE10hipError_tPvRmT2_T3_T4_T5_mT6_T7_P12ihipStream_tbENKUlT_T0_E_clISt17integral_constantIbLb1EESZ_EEDaSU_SV_EUlSU_E_NS1_11comp_targetILNS1_3genE4ELNS1_11target_archE910ELNS1_3gpuE8ELNS1_3repE0EEENS1_30default_config_static_selectorELNS0_4arch9wavefront6targetE0EEEvT1_
	.p2align	8
	.type	_ZN7rocprim17ROCPRIM_400000_NS6detail17trampoline_kernelINS0_14default_configENS1_27scan_by_key_config_selectorIiiEEZZNS1_16scan_by_key_implILNS1_25lookback_scan_determinismE0ELb1ES3_N6thrust23THRUST_200600_302600_NS6detail15normal_iteratorINS9_10device_ptrIiEEEESE_SE_iNS9_4plusIvEENS9_8equal_toIvEEiEE10hipError_tPvRmT2_T3_T4_T5_mT6_T7_P12ihipStream_tbENKUlT_T0_E_clISt17integral_constantIbLb1EESZ_EEDaSU_SV_EUlSU_E_NS1_11comp_targetILNS1_3genE4ELNS1_11target_archE910ELNS1_3gpuE8ELNS1_3repE0EEENS1_30default_config_static_selectorELNS0_4arch9wavefront6targetE0EEEvT1_,@function
_ZN7rocprim17ROCPRIM_400000_NS6detail17trampoline_kernelINS0_14default_configENS1_27scan_by_key_config_selectorIiiEEZZNS1_16scan_by_key_implILNS1_25lookback_scan_determinismE0ELb1ES3_N6thrust23THRUST_200600_302600_NS6detail15normal_iteratorINS9_10device_ptrIiEEEESE_SE_iNS9_4plusIvEENS9_8equal_toIvEEiEE10hipError_tPvRmT2_T3_T4_T5_mT6_T7_P12ihipStream_tbENKUlT_T0_E_clISt17integral_constantIbLb1EESZ_EEDaSU_SV_EUlSU_E_NS1_11comp_targetILNS1_3genE4ELNS1_11target_archE910ELNS1_3gpuE8ELNS1_3repE0EEENS1_30default_config_static_selectorELNS0_4arch9wavefront6targetE0EEEvT1_: ; @_ZN7rocprim17ROCPRIM_400000_NS6detail17trampoline_kernelINS0_14default_configENS1_27scan_by_key_config_selectorIiiEEZZNS1_16scan_by_key_implILNS1_25lookback_scan_determinismE0ELb1ES3_N6thrust23THRUST_200600_302600_NS6detail15normal_iteratorINS9_10device_ptrIiEEEESE_SE_iNS9_4plusIvEENS9_8equal_toIvEEiEE10hipError_tPvRmT2_T3_T4_T5_mT6_T7_P12ihipStream_tbENKUlT_T0_E_clISt17integral_constantIbLb1EESZ_EEDaSU_SV_EUlSU_E_NS1_11comp_targetILNS1_3genE4ELNS1_11target_archE910ELNS1_3gpuE8ELNS1_3repE0EEENS1_30default_config_static_selectorELNS0_4arch9wavefront6targetE0EEEvT1_
; %bb.0:
	.section	.rodata,"a",@progbits
	.p2align	6, 0x0
	.amdhsa_kernel _ZN7rocprim17ROCPRIM_400000_NS6detail17trampoline_kernelINS0_14default_configENS1_27scan_by_key_config_selectorIiiEEZZNS1_16scan_by_key_implILNS1_25lookback_scan_determinismE0ELb1ES3_N6thrust23THRUST_200600_302600_NS6detail15normal_iteratorINS9_10device_ptrIiEEEESE_SE_iNS9_4plusIvEENS9_8equal_toIvEEiEE10hipError_tPvRmT2_T3_T4_T5_mT6_T7_P12ihipStream_tbENKUlT_T0_E_clISt17integral_constantIbLb1EESZ_EEDaSU_SV_EUlSU_E_NS1_11comp_targetILNS1_3genE4ELNS1_11target_archE910ELNS1_3gpuE8ELNS1_3repE0EEENS1_30default_config_static_selectorELNS0_4arch9wavefront6targetE0EEEvT1_
		.amdhsa_group_segment_fixed_size 0
		.amdhsa_private_segment_fixed_size 0
		.amdhsa_kernarg_size 112
		.amdhsa_user_sgpr_count 2
		.amdhsa_user_sgpr_dispatch_ptr 0
		.amdhsa_user_sgpr_queue_ptr 0
		.amdhsa_user_sgpr_kernarg_segment_ptr 1
		.amdhsa_user_sgpr_dispatch_id 0
		.amdhsa_user_sgpr_kernarg_preload_length 0
		.amdhsa_user_sgpr_kernarg_preload_offset 0
		.amdhsa_user_sgpr_private_segment_size 0
		.amdhsa_wavefront_size32 1
		.amdhsa_uses_dynamic_stack 0
		.amdhsa_enable_private_segment 0
		.amdhsa_system_sgpr_workgroup_id_x 1
		.amdhsa_system_sgpr_workgroup_id_y 0
		.amdhsa_system_sgpr_workgroup_id_z 0
		.amdhsa_system_sgpr_workgroup_info 0
		.amdhsa_system_vgpr_workitem_id 0
		.amdhsa_next_free_vgpr 1
		.amdhsa_next_free_sgpr 1
		.amdhsa_named_barrier_count 0
		.amdhsa_reserve_vcc 0
		.amdhsa_float_round_mode_32 0
		.amdhsa_float_round_mode_16_64 0
		.amdhsa_float_denorm_mode_32 3
		.amdhsa_float_denorm_mode_16_64 3
		.amdhsa_fp16_overflow 0
		.amdhsa_memory_ordered 1
		.amdhsa_forward_progress 1
		.amdhsa_inst_pref_size 0
		.amdhsa_round_robin_scheduling 0
		.amdhsa_exception_fp_ieee_invalid_op 0
		.amdhsa_exception_fp_denorm_src 0
		.amdhsa_exception_fp_ieee_div_zero 0
		.amdhsa_exception_fp_ieee_overflow 0
		.amdhsa_exception_fp_ieee_underflow 0
		.amdhsa_exception_fp_ieee_inexact 0
		.amdhsa_exception_int_div_zero 0
	.end_amdhsa_kernel
	.section	.text._ZN7rocprim17ROCPRIM_400000_NS6detail17trampoline_kernelINS0_14default_configENS1_27scan_by_key_config_selectorIiiEEZZNS1_16scan_by_key_implILNS1_25lookback_scan_determinismE0ELb1ES3_N6thrust23THRUST_200600_302600_NS6detail15normal_iteratorINS9_10device_ptrIiEEEESE_SE_iNS9_4plusIvEENS9_8equal_toIvEEiEE10hipError_tPvRmT2_T3_T4_T5_mT6_T7_P12ihipStream_tbENKUlT_T0_E_clISt17integral_constantIbLb1EESZ_EEDaSU_SV_EUlSU_E_NS1_11comp_targetILNS1_3genE4ELNS1_11target_archE910ELNS1_3gpuE8ELNS1_3repE0EEENS1_30default_config_static_selectorELNS0_4arch9wavefront6targetE0EEEvT1_,"axG",@progbits,_ZN7rocprim17ROCPRIM_400000_NS6detail17trampoline_kernelINS0_14default_configENS1_27scan_by_key_config_selectorIiiEEZZNS1_16scan_by_key_implILNS1_25lookback_scan_determinismE0ELb1ES3_N6thrust23THRUST_200600_302600_NS6detail15normal_iteratorINS9_10device_ptrIiEEEESE_SE_iNS9_4plusIvEENS9_8equal_toIvEEiEE10hipError_tPvRmT2_T3_T4_T5_mT6_T7_P12ihipStream_tbENKUlT_T0_E_clISt17integral_constantIbLb1EESZ_EEDaSU_SV_EUlSU_E_NS1_11comp_targetILNS1_3genE4ELNS1_11target_archE910ELNS1_3gpuE8ELNS1_3repE0EEENS1_30default_config_static_selectorELNS0_4arch9wavefront6targetE0EEEvT1_,comdat
.Lfunc_end473:
	.size	_ZN7rocprim17ROCPRIM_400000_NS6detail17trampoline_kernelINS0_14default_configENS1_27scan_by_key_config_selectorIiiEEZZNS1_16scan_by_key_implILNS1_25lookback_scan_determinismE0ELb1ES3_N6thrust23THRUST_200600_302600_NS6detail15normal_iteratorINS9_10device_ptrIiEEEESE_SE_iNS9_4plusIvEENS9_8equal_toIvEEiEE10hipError_tPvRmT2_T3_T4_T5_mT6_T7_P12ihipStream_tbENKUlT_T0_E_clISt17integral_constantIbLb1EESZ_EEDaSU_SV_EUlSU_E_NS1_11comp_targetILNS1_3genE4ELNS1_11target_archE910ELNS1_3gpuE8ELNS1_3repE0EEENS1_30default_config_static_selectorELNS0_4arch9wavefront6targetE0EEEvT1_, .Lfunc_end473-_ZN7rocprim17ROCPRIM_400000_NS6detail17trampoline_kernelINS0_14default_configENS1_27scan_by_key_config_selectorIiiEEZZNS1_16scan_by_key_implILNS1_25lookback_scan_determinismE0ELb1ES3_N6thrust23THRUST_200600_302600_NS6detail15normal_iteratorINS9_10device_ptrIiEEEESE_SE_iNS9_4plusIvEENS9_8equal_toIvEEiEE10hipError_tPvRmT2_T3_T4_T5_mT6_T7_P12ihipStream_tbENKUlT_T0_E_clISt17integral_constantIbLb1EESZ_EEDaSU_SV_EUlSU_E_NS1_11comp_targetILNS1_3genE4ELNS1_11target_archE910ELNS1_3gpuE8ELNS1_3repE0EEENS1_30default_config_static_selectorELNS0_4arch9wavefront6targetE0EEEvT1_
                                        ; -- End function
	.set _ZN7rocprim17ROCPRIM_400000_NS6detail17trampoline_kernelINS0_14default_configENS1_27scan_by_key_config_selectorIiiEEZZNS1_16scan_by_key_implILNS1_25lookback_scan_determinismE0ELb1ES3_N6thrust23THRUST_200600_302600_NS6detail15normal_iteratorINS9_10device_ptrIiEEEESE_SE_iNS9_4plusIvEENS9_8equal_toIvEEiEE10hipError_tPvRmT2_T3_T4_T5_mT6_T7_P12ihipStream_tbENKUlT_T0_E_clISt17integral_constantIbLb1EESZ_EEDaSU_SV_EUlSU_E_NS1_11comp_targetILNS1_3genE4ELNS1_11target_archE910ELNS1_3gpuE8ELNS1_3repE0EEENS1_30default_config_static_selectorELNS0_4arch9wavefront6targetE0EEEvT1_.num_vgpr, 0
	.set _ZN7rocprim17ROCPRIM_400000_NS6detail17trampoline_kernelINS0_14default_configENS1_27scan_by_key_config_selectorIiiEEZZNS1_16scan_by_key_implILNS1_25lookback_scan_determinismE0ELb1ES3_N6thrust23THRUST_200600_302600_NS6detail15normal_iteratorINS9_10device_ptrIiEEEESE_SE_iNS9_4plusIvEENS9_8equal_toIvEEiEE10hipError_tPvRmT2_T3_T4_T5_mT6_T7_P12ihipStream_tbENKUlT_T0_E_clISt17integral_constantIbLb1EESZ_EEDaSU_SV_EUlSU_E_NS1_11comp_targetILNS1_3genE4ELNS1_11target_archE910ELNS1_3gpuE8ELNS1_3repE0EEENS1_30default_config_static_selectorELNS0_4arch9wavefront6targetE0EEEvT1_.num_agpr, 0
	.set _ZN7rocprim17ROCPRIM_400000_NS6detail17trampoline_kernelINS0_14default_configENS1_27scan_by_key_config_selectorIiiEEZZNS1_16scan_by_key_implILNS1_25lookback_scan_determinismE0ELb1ES3_N6thrust23THRUST_200600_302600_NS6detail15normal_iteratorINS9_10device_ptrIiEEEESE_SE_iNS9_4plusIvEENS9_8equal_toIvEEiEE10hipError_tPvRmT2_T3_T4_T5_mT6_T7_P12ihipStream_tbENKUlT_T0_E_clISt17integral_constantIbLb1EESZ_EEDaSU_SV_EUlSU_E_NS1_11comp_targetILNS1_3genE4ELNS1_11target_archE910ELNS1_3gpuE8ELNS1_3repE0EEENS1_30default_config_static_selectorELNS0_4arch9wavefront6targetE0EEEvT1_.numbered_sgpr, 0
	.set _ZN7rocprim17ROCPRIM_400000_NS6detail17trampoline_kernelINS0_14default_configENS1_27scan_by_key_config_selectorIiiEEZZNS1_16scan_by_key_implILNS1_25lookback_scan_determinismE0ELb1ES3_N6thrust23THRUST_200600_302600_NS6detail15normal_iteratorINS9_10device_ptrIiEEEESE_SE_iNS9_4plusIvEENS9_8equal_toIvEEiEE10hipError_tPvRmT2_T3_T4_T5_mT6_T7_P12ihipStream_tbENKUlT_T0_E_clISt17integral_constantIbLb1EESZ_EEDaSU_SV_EUlSU_E_NS1_11comp_targetILNS1_3genE4ELNS1_11target_archE910ELNS1_3gpuE8ELNS1_3repE0EEENS1_30default_config_static_selectorELNS0_4arch9wavefront6targetE0EEEvT1_.num_named_barrier, 0
	.set _ZN7rocprim17ROCPRIM_400000_NS6detail17trampoline_kernelINS0_14default_configENS1_27scan_by_key_config_selectorIiiEEZZNS1_16scan_by_key_implILNS1_25lookback_scan_determinismE0ELb1ES3_N6thrust23THRUST_200600_302600_NS6detail15normal_iteratorINS9_10device_ptrIiEEEESE_SE_iNS9_4plusIvEENS9_8equal_toIvEEiEE10hipError_tPvRmT2_T3_T4_T5_mT6_T7_P12ihipStream_tbENKUlT_T0_E_clISt17integral_constantIbLb1EESZ_EEDaSU_SV_EUlSU_E_NS1_11comp_targetILNS1_3genE4ELNS1_11target_archE910ELNS1_3gpuE8ELNS1_3repE0EEENS1_30default_config_static_selectorELNS0_4arch9wavefront6targetE0EEEvT1_.private_seg_size, 0
	.set _ZN7rocprim17ROCPRIM_400000_NS6detail17trampoline_kernelINS0_14default_configENS1_27scan_by_key_config_selectorIiiEEZZNS1_16scan_by_key_implILNS1_25lookback_scan_determinismE0ELb1ES3_N6thrust23THRUST_200600_302600_NS6detail15normal_iteratorINS9_10device_ptrIiEEEESE_SE_iNS9_4plusIvEENS9_8equal_toIvEEiEE10hipError_tPvRmT2_T3_T4_T5_mT6_T7_P12ihipStream_tbENKUlT_T0_E_clISt17integral_constantIbLb1EESZ_EEDaSU_SV_EUlSU_E_NS1_11comp_targetILNS1_3genE4ELNS1_11target_archE910ELNS1_3gpuE8ELNS1_3repE0EEENS1_30default_config_static_selectorELNS0_4arch9wavefront6targetE0EEEvT1_.uses_vcc, 0
	.set _ZN7rocprim17ROCPRIM_400000_NS6detail17trampoline_kernelINS0_14default_configENS1_27scan_by_key_config_selectorIiiEEZZNS1_16scan_by_key_implILNS1_25lookback_scan_determinismE0ELb1ES3_N6thrust23THRUST_200600_302600_NS6detail15normal_iteratorINS9_10device_ptrIiEEEESE_SE_iNS9_4plusIvEENS9_8equal_toIvEEiEE10hipError_tPvRmT2_T3_T4_T5_mT6_T7_P12ihipStream_tbENKUlT_T0_E_clISt17integral_constantIbLb1EESZ_EEDaSU_SV_EUlSU_E_NS1_11comp_targetILNS1_3genE4ELNS1_11target_archE910ELNS1_3gpuE8ELNS1_3repE0EEENS1_30default_config_static_selectorELNS0_4arch9wavefront6targetE0EEEvT1_.uses_flat_scratch, 0
	.set _ZN7rocprim17ROCPRIM_400000_NS6detail17trampoline_kernelINS0_14default_configENS1_27scan_by_key_config_selectorIiiEEZZNS1_16scan_by_key_implILNS1_25lookback_scan_determinismE0ELb1ES3_N6thrust23THRUST_200600_302600_NS6detail15normal_iteratorINS9_10device_ptrIiEEEESE_SE_iNS9_4plusIvEENS9_8equal_toIvEEiEE10hipError_tPvRmT2_T3_T4_T5_mT6_T7_P12ihipStream_tbENKUlT_T0_E_clISt17integral_constantIbLb1EESZ_EEDaSU_SV_EUlSU_E_NS1_11comp_targetILNS1_3genE4ELNS1_11target_archE910ELNS1_3gpuE8ELNS1_3repE0EEENS1_30default_config_static_selectorELNS0_4arch9wavefront6targetE0EEEvT1_.has_dyn_sized_stack, 0
	.set _ZN7rocprim17ROCPRIM_400000_NS6detail17trampoline_kernelINS0_14default_configENS1_27scan_by_key_config_selectorIiiEEZZNS1_16scan_by_key_implILNS1_25lookback_scan_determinismE0ELb1ES3_N6thrust23THRUST_200600_302600_NS6detail15normal_iteratorINS9_10device_ptrIiEEEESE_SE_iNS9_4plusIvEENS9_8equal_toIvEEiEE10hipError_tPvRmT2_T3_T4_T5_mT6_T7_P12ihipStream_tbENKUlT_T0_E_clISt17integral_constantIbLb1EESZ_EEDaSU_SV_EUlSU_E_NS1_11comp_targetILNS1_3genE4ELNS1_11target_archE910ELNS1_3gpuE8ELNS1_3repE0EEENS1_30default_config_static_selectorELNS0_4arch9wavefront6targetE0EEEvT1_.has_recursion, 0
	.set _ZN7rocprim17ROCPRIM_400000_NS6detail17trampoline_kernelINS0_14default_configENS1_27scan_by_key_config_selectorIiiEEZZNS1_16scan_by_key_implILNS1_25lookback_scan_determinismE0ELb1ES3_N6thrust23THRUST_200600_302600_NS6detail15normal_iteratorINS9_10device_ptrIiEEEESE_SE_iNS9_4plusIvEENS9_8equal_toIvEEiEE10hipError_tPvRmT2_T3_T4_T5_mT6_T7_P12ihipStream_tbENKUlT_T0_E_clISt17integral_constantIbLb1EESZ_EEDaSU_SV_EUlSU_E_NS1_11comp_targetILNS1_3genE4ELNS1_11target_archE910ELNS1_3gpuE8ELNS1_3repE0EEENS1_30default_config_static_selectorELNS0_4arch9wavefront6targetE0EEEvT1_.has_indirect_call, 0
	.section	.AMDGPU.csdata,"",@progbits
; Kernel info:
; codeLenInByte = 0
; TotalNumSgprs: 0
; NumVgprs: 0
; ScratchSize: 0
; MemoryBound: 0
; FloatMode: 240
; IeeeMode: 1
; LDSByteSize: 0 bytes/workgroup (compile time only)
; SGPRBlocks: 0
; VGPRBlocks: 0
; NumSGPRsForWavesPerEU: 1
; NumVGPRsForWavesPerEU: 1
; NamedBarCnt: 0
; Occupancy: 16
; WaveLimiterHint : 0
; COMPUTE_PGM_RSRC2:SCRATCH_EN: 0
; COMPUTE_PGM_RSRC2:USER_SGPR: 2
; COMPUTE_PGM_RSRC2:TRAP_HANDLER: 0
; COMPUTE_PGM_RSRC2:TGID_X_EN: 1
; COMPUTE_PGM_RSRC2:TGID_Y_EN: 0
; COMPUTE_PGM_RSRC2:TGID_Z_EN: 0
; COMPUTE_PGM_RSRC2:TIDIG_COMP_CNT: 0
	.section	.text._ZN7rocprim17ROCPRIM_400000_NS6detail17trampoline_kernelINS0_14default_configENS1_27scan_by_key_config_selectorIiiEEZZNS1_16scan_by_key_implILNS1_25lookback_scan_determinismE0ELb1ES3_N6thrust23THRUST_200600_302600_NS6detail15normal_iteratorINS9_10device_ptrIiEEEESE_SE_iNS9_4plusIvEENS9_8equal_toIvEEiEE10hipError_tPvRmT2_T3_T4_T5_mT6_T7_P12ihipStream_tbENKUlT_T0_E_clISt17integral_constantIbLb1EESZ_EEDaSU_SV_EUlSU_E_NS1_11comp_targetILNS1_3genE3ELNS1_11target_archE908ELNS1_3gpuE7ELNS1_3repE0EEENS1_30default_config_static_selectorELNS0_4arch9wavefront6targetE0EEEvT1_,"axG",@progbits,_ZN7rocprim17ROCPRIM_400000_NS6detail17trampoline_kernelINS0_14default_configENS1_27scan_by_key_config_selectorIiiEEZZNS1_16scan_by_key_implILNS1_25lookback_scan_determinismE0ELb1ES3_N6thrust23THRUST_200600_302600_NS6detail15normal_iteratorINS9_10device_ptrIiEEEESE_SE_iNS9_4plusIvEENS9_8equal_toIvEEiEE10hipError_tPvRmT2_T3_T4_T5_mT6_T7_P12ihipStream_tbENKUlT_T0_E_clISt17integral_constantIbLb1EESZ_EEDaSU_SV_EUlSU_E_NS1_11comp_targetILNS1_3genE3ELNS1_11target_archE908ELNS1_3gpuE7ELNS1_3repE0EEENS1_30default_config_static_selectorELNS0_4arch9wavefront6targetE0EEEvT1_,comdat
	.protected	_ZN7rocprim17ROCPRIM_400000_NS6detail17trampoline_kernelINS0_14default_configENS1_27scan_by_key_config_selectorIiiEEZZNS1_16scan_by_key_implILNS1_25lookback_scan_determinismE0ELb1ES3_N6thrust23THRUST_200600_302600_NS6detail15normal_iteratorINS9_10device_ptrIiEEEESE_SE_iNS9_4plusIvEENS9_8equal_toIvEEiEE10hipError_tPvRmT2_T3_T4_T5_mT6_T7_P12ihipStream_tbENKUlT_T0_E_clISt17integral_constantIbLb1EESZ_EEDaSU_SV_EUlSU_E_NS1_11comp_targetILNS1_3genE3ELNS1_11target_archE908ELNS1_3gpuE7ELNS1_3repE0EEENS1_30default_config_static_selectorELNS0_4arch9wavefront6targetE0EEEvT1_ ; -- Begin function _ZN7rocprim17ROCPRIM_400000_NS6detail17trampoline_kernelINS0_14default_configENS1_27scan_by_key_config_selectorIiiEEZZNS1_16scan_by_key_implILNS1_25lookback_scan_determinismE0ELb1ES3_N6thrust23THRUST_200600_302600_NS6detail15normal_iteratorINS9_10device_ptrIiEEEESE_SE_iNS9_4plusIvEENS9_8equal_toIvEEiEE10hipError_tPvRmT2_T3_T4_T5_mT6_T7_P12ihipStream_tbENKUlT_T0_E_clISt17integral_constantIbLb1EESZ_EEDaSU_SV_EUlSU_E_NS1_11comp_targetILNS1_3genE3ELNS1_11target_archE908ELNS1_3gpuE7ELNS1_3repE0EEENS1_30default_config_static_selectorELNS0_4arch9wavefront6targetE0EEEvT1_
	.globl	_ZN7rocprim17ROCPRIM_400000_NS6detail17trampoline_kernelINS0_14default_configENS1_27scan_by_key_config_selectorIiiEEZZNS1_16scan_by_key_implILNS1_25lookback_scan_determinismE0ELb1ES3_N6thrust23THRUST_200600_302600_NS6detail15normal_iteratorINS9_10device_ptrIiEEEESE_SE_iNS9_4plusIvEENS9_8equal_toIvEEiEE10hipError_tPvRmT2_T3_T4_T5_mT6_T7_P12ihipStream_tbENKUlT_T0_E_clISt17integral_constantIbLb1EESZ_EEDaSU_SV_EUlSU_E_NS1_11comp_targetILNS1_3genE3ELNS1_11target_archE908ELNS1_3gpuE7ELNS1_3repE0EEENS1_30default_config_static_selectorELNS0_4arch9wavefront6targetE0EEEvT1_
	.p2align	8
	.type	_ZN7rocprim17ROCPRIM_400000_NS6detail17trampoline_kernelINS0_14default_configENS1_27scan_by_key_config_selectorIiiEEZZNS1_16scan_by_key_implILNS1_25lookback_scan_determinismE0ELb1ES3_N6thrust23THRUST_200600_302600_NS6detail15normal_iteratorINS9_10device_ptrIiEEEESE_SE_iNS9_4plusIvEENS9_8equal_toIvEEiEE10hipError_tPvRmT2_T3_T4_T5_mT6_T7_P12ihipStream_tbENKUlT_T0_E_clISt17integral_constantIbLb1EESZ_EEDaSU_SV_EUlSU_E_NS1_11comp_targetILNS1_3genE3ELNS1_11target_archE908ELNS1_3gpuE7ELNS1_3repE0EEENS1_30default_config_static_selectorELNS0_4arch9wavefront6targetE0EEEvT1_,@function
_ZN7rocprim17ROCPRIM_400000_NS6detail17trampoline_kernelINS0_14default_configENS1_27scan_by_key_config_selectorIiiEEZZNS1_16scan_by_key_implILNS1_25lookback_scan_determinismE0ELb1ES3_N6thrust23THRUST_200600_302600_NS6detail15normal_iteratorINS9_10device_ptrIiEEEESE_SE_iNS9_4plusIvEENS9_8equal_toIvEEiEE10hipError_tPvRmT2_T3_T4_T5_mT6_T7_P12ihipStream_tbENKUlT_T0_E_clISt17integral_constantIbLb1EESZ_EEDaSU_SV_EUlSU_E_NS1_11comp_targetILNS1_3genE3ELNS1_11target_archE908ELNS1_3gpuE7ELNS1_3repE0EEENS1_30default_config_static_selectorELNS0_4arch9wavefront6targetE0EEEvT1_: ; @_ZN7rocprim17ROCPRIM_400000_NS6detail17trampoline_kernelINS0_14default_configENS1_27scan_by_key_config_selectorIiiEEZZNS1_16scan_by_key_implILNS1_25lookback_scan_determinismE0ELb1ES3_N6thrust23THRUST_200600_302600_NS6detail15normal_iteratorINS9_10device_ptrIiEEEESE_SE_iNS9_4plusIvEENS9_8equal_toIvEEiEE10hipError_tPvRmT2_T3_T4_T5_mT6_T7_P12ihipStream_tbENKUlT_T0_E_clISt17integral_constantIbLb1EESZ_EEDaSU_SV_EUlSU_E_NS1_11comp_targetILNS1_3genE3ELNS1_11target_archE908ELNS1_3gpuE7ELNS1_3repE0EEENS1_30default_config_static_selectorELNS0_4arch9wavefront6targetE0EEEvT1_
; %bb.0:
	.section	.rodata,"a",@progbits
	.p2align	6, 0x0
	.amdhsa_kernel _ZN7rocprim17ROCPRIM_400000_NS6detail17trampoline_kernelINS0_14default_configENS1_27scan_by_key_config_selectorIiiEEZZNS1_16scan_by_key_implILNS1_25lookback_scan_determinismE0ELb1ES3_N6thrust23THRUST_200600_302600_NS6detail15normal_iteratorINS9_10device_ptrIiEEEESE_SE_iNS9_4plusIvEENS9_8equal_toIvEEiEE10hipError_tPvRmT2_T3_T4_T5_mT6_T7_P12ihipStream_tbENKUlT_T0_E_clISt17integral_constantIbLb1EESZ_EEDaSU_SV_EUlSU_E_NS1_11comp_targetILNS1_3genE3ELNS1_11target_archE908ELNS1_3gpuE7ELNS1_3repE0EEENS1_30default_config_static_selectorELNS0_4arch9wavefront6targetE0EEEvT1_
		.amdhsa_group_segment_fixed_size 0
		.amdhsa_private_segment_fixed_size 0
		.amdhsa_kernarg_size 112
		.amdhsa_user_sgpr_count 2
		.amdhsa_user_sgpr_dispatch_ptr 0
		.amdhsa_user_sgpr_queue_ptr 0
		.amdhsa_user_sgpr_kernarg_segment_ptr 1
		.amdhsa_user_sgpr_dispatch_id 0
		.amdhsa_user_sgpr_kernarg_preload_length 0
		.amdhsa_user_sgpr_kernarg_preload_offset 0
		.amdhsa_user_sgpr_private_segment_size 0
		.amdhsa_wavefront_size32 1
		.amdhsa_uses_dynamic_stack 0
		.amdhsa_enable_private_segment 0
		.amdhsa_system_sgpr_workgroup_id_x 1
		.amdhsa_system_sgpr_workgroup_id_y 0
		.amdhsa_system_sgpr_workgroup_id_z 0
		.amdhsa_system_sgpr_workgroup_info 0
		.amdhsa_system_vgpr_workitem_id 0
		.amdhsa_next_free_vgpr 1
		.amdhsa_next_free_sgpr 1
		.amdhsa_named_barrier_count 0
		.amdhsa_reserve_vcc 0
		.amdhsa_float_round_mode_32 0
		.amdhsa_float_round_mode_16_64 0
		.amdhsa_float_denorm_mode_32 3
		.amdhsa_float_denorm_mode_16_64 3
		.amdhsa_fp16_overflow 0
		.amdhsa_memory_ordered 1
		.amdhsa_forward_progress 1
		.amdhsa_inst_pref_size 0
		.amdhsa_round_robin_scheduling 0
		.amdhsa_exception_fp_ieee_invalid_op 0
		.amdhsa_exception_fp_denorm_src 0
		.amdhsa_exception_fp_ieee_div_zero 0
		.amdhsa_exception_fp_ieee_overflow 0
		.amdhsa_exception_fp_ieee_underflow 0
		.amdhsa_exception_fp_ieee_inexact 0
		.amdhsa_exception_int_div_zero 0
	.end_amdhsa_kernel
	.section	.text._ZN7rocprim17ROCPRIM_400000_NS6detail17trampoline_kernelINS0_14default_configENS1_27scan_by_key_config_selectorIiiEEZZNS1_16scan_by_key_implILNS1_25lookback_scan_determinismE0ELb1ES3_N6thrust23THRUST_200600_302600_NS6detail15normal_iteratorINS9_10device_ptrIiEEEESE_SE_iNS9_4plusIvEENS9_8equal_toIvEEiEE10hipError_tPvRmT2_T3_T4_T5_mT6_T7_P12ihipStream_tbENKUlT_T0_E_clISt17integral_constantIbLb1EESZ_EEDaSU_SV_EUlSU_E_NS1_11comp_targetILNS1_3genE3ELNS1_11target_archE908ELNS1_3gpuE7ELNS1_3repE0EEENS1_30default_config_static_selectorELNS0_4arch9wavefront6targetE0EEEvT1_,"axG",@progbits,_ZN7rocprim17ROCPRIM_400000_NS6detail17trampoline_kernelINS0_14default_configENS1_27scan_by_key_config_selectorIiiEEZZNS1_16scan_by_key_implILNS1_25lookback_scan_determinismE0ELb1ES3_N6thrust23THRUST_200600_302600_NS6detail15normal_iteratorINS9_10device_ptrIiEEEESE_SE_iNS9_4plusIvEENS9_8equal_toIvEEiEE10hipError_tPvRmT2_T3_T4_T5_mT6_T7_P12ihipStream_tbENKUlT_T0_E_clISt17integral_constantIbLb1EESZ_EEDaSU_SV_EUlSU_E_NS1_11comp_targetILNS1_3genE3ELNS1_11target_archE908ELNS1_3gpuE7ELNS1_3repE0EEENS1_30default_config_static_selectorELNS0_4arch9wavefront6targetE0EEEvT1_,comdat
.Lfunc_end474:
	.size	_ZN7rocprim17ROCPRIM_400000_NS6detail17trampoline_kernelINS0_14default_configENS1_27scan_by_key_config_selectorIiiEEZZNS1_16scan_by_key_implILNS1_25lookback_scan_determinismE0ELb1ES3_N6thrust23THRUST_200600_302600_NS6detail15normal_iteratorINS9_10device_ptrIiEEEESE_SE_iNS9_4plusIvEENS9_8equal_toIvEEiEE10hipError_tPvRmT2_T3_T4_T5_mT6_T7_P12ihipStream_tbENKUlT_T0_E_clISt17integral_constantIbLb1EESZ_EEDaSU_SV_EUlSU_E_NS1_11comp_targetILNS1_3genE3ELNS1_11target_archE908ELNS1_3gpuE7ELNS1_3repE0EEENS1_30default_config_static_selectorELNS0_4arch9wavefront6targetE0EEEvT1_, .Lfunc_end474-_ZN7rocprim17ROCPRIM_400000_NS6detail17trampoline_kernelINS0_14default_configENS1_27scan_by_key_config_selectorIiiEEZZNS1_16scan_by_key_implILNS1_25lookback_scan_determinismE0ELb1ES3_N6thrust23THRUST_200600_302600_NS6detail15normal_iteratorINS9_10device_ptrIiEEEESE_SE_iNS9_4plusIvEENS9_8equal_toIvEEiEE10hipError_tPvRmT2_T3_T4_T5_mT6_T7_P12ihipStream_tbENKUlT_T0_E_clISt17integral_constantIbLb1EESZ_EEDaSU_SV_EUlSU_E_NS1_11comp_targetILNS1_3genE3ELNS1_11target_archE908ELNS1_3gpuE7ELNS1_3repE0EEENS1_30default_config_static_selectorELNS0_4arch9wavefront6targetE0EEEvT1_
                                        ; -- End function
	.set _ZN7rocprim17ROCPRIM_400000_NS6detail17trampoline_kernelINS0_14default_configENS1_27scan_by_key_config_selectorIiiEEZZNS1_16scan_by_key_implILNS1_25lookback_scan_determinismE0ELb1ES3_N6thrust23THRUST_200600_302600_NS6detail15normal_iteratorINS9_10device_ptrIiEEEESE_SE_iNS9_4plusIvEENS9_8equal_toIvEEiEE10hipError_tPvRmT2_T3_T4_T5_mT6_T7_P12ihipStream_tbENKUlT_T0_E_clISt17integral_constantIbLb1EESZ_EEDaSU_SV_EUlSU_E_NS1_11comp_targetILNS1_3genE3ELNS1_11target_archE908ELNS1_3gpuE7ELNS1_3repE0EEENS1_30default_config_static_selectorELNS0_4arch9wavefront6targetE0EEEvT1_.num_vgpr, 0
	.set _ZN7rocprim17ROCPRIM_400000_NS6detail17trampoline_kernelINS0_14default_configENS1_27scan_by_key_config_selectorIiiEEZZNS1_16scan_by_key_implILNS1_25lookback_scan_determinismE0ELb1ES3_N6thrust23THRUST_200600_302600_NS6detail15normal_iteratorINS9_10device_ptrIiEEEESE_SE_iNS9_4plusIvEENS9_8equal_toIvEEiEE10hipError_tPvRmT2_T3_T4_T5_mT6_T7_P12ihipStream_tbENKUlT_T0_E_clISt17integral_constantIbLb1EESZ_EEDaSU_SV_EUlSU_E_NS1_11comp_targetILNS1_3genE3ELNS1_11target_archE908ELNS1_3gpuE7ELNS1_3repE0EEENS1_30default_config_static_selectorELNS0_4arch9wavefront6targetE0EEEvT1_.num_agpr, 0
	.set _ZN7rocprim17ROCPRIM_400000_NS6detail17trampoline_kernelINS0_14default_configENS1_27scan_by_key_config_selectorIiiEEZZNS1_16scan_by_key_implILNS1_25lookback_scan_determinismE0ELb1ES3_N6thrust23THRUST_200600_302600_NS6detail15normal_iteratorINS9_10device_ptrIiEEEESE_SE_iNS9_4plusIvEENS9_8equal_toIvEEiEE10hipError_tPvRmT2_T3_T4_T5_mT6_T7_P12ihipStream_tbENKUlT_T0_E_clISt17integral_constantIbLb1EESZ_EEDaSU_SV_EUlSU_E_NS1_11comp_targetILNS1_3genE3ELNS1_11target_archE908ELNS1_3gpuE7ELNS1_3repE0EEENS1_30default_config_static_selectorELNS0_4arch9wavefront6targetE0EEEvT1_.numbered_sgpr, 0
	.set _ZN7rocprim17ROCPRIM_400000_NS6detail17trampoline_kernelINS0_14default_configENS1_27scan_by_key_config_selectorIiiEEZZNS1_16scan_by_key_implILNS1_25lookback_scan_determinismE0ELb1ES3_N6thrust23THRUST_200600_302600_NS6detail15normal_iteratorINS9_10device_ptrIiEEEESE_SE_iNS9_4plusIvEENS9_8equal_toIvEEiEE10hipError_tPvRmT2_T3_T4_T5_mT6_T7_P12ihipStream_tbENKUlT_T0_E_clISt17integral_constantIbLb1EESZ_EEDaSU_SV_EUlSU_E_NS1_11comp_targetILNS1_3genE3ELNS1_11target_archE908ELNS1_3gpuE7ELNS1_3repE0EEENS1_30default_config_static_selectorELNS0_4arch9wavefront6targetE0EEEvT1_.num_named_barrier, 0
	.set _ZN7rocprim17ROCPRIM_400000_NS6detail17trampoline_kernelINS0_14default_configENS1_27scan_by_key_config_selectorIiiEEZZNS1_16scan_by_key_implILNS1_25lookback_scan_determinismE0ELb1ES3_N6thrust23THRUST_200600_302600_NS6detail15normal_iteratorINS9_10device_ptrIiEEEESE_SE_iNS9_4plusIvEENS9_8equal_toIvEEiEE10hipError_tPvRmT2_T3_T4_T5_mT6_T7_P12ihipStream_tbENKUlT_T0_E_clISt17integral_constantIbLb1EESZ_EEDaSU_SV_EUlSU_E_NS1_11comp_targetILNS1_3genE3ELNS1_11target_archE908ELNS1_3gpuE7ELNS1_3repE0EEENS1_30default_config_static_selectorELNS0_4arch9wavefront6targetE0EEEvT1_.private_seg_size, 0
	.set _ZN7rocprim17ROCPRIM_400000_NS6detail17trampoline_kernelINS0_14default_configENS1_27scan_by_key_config_selectorIiiEEZZNS1_16scan_by_key_implILNS1_25lookback_scan_determinismE0ELb1ES3_N6thrust23THRUST_200600_302600_NS6detail15normal_iteratorINS9_10device_ptrIiEEEESE_SE_iNS9_4plusIvEENS9_8equal_toIvEEiEE10hipError_tPvRmT2_T3_T4_T5_mT6_T7_P12ihipStream_tbENKUlT_T0_E_clISt17integral_constantIbLb1EESZ_EEDaSU_SV_EUlSU_E_NS1_11comp_targetILNS1_3genE3ELNS1_11target_archE908ELNS1_3gpuE7ELNS1_3repE0EEENS1_30default_config_static_selectorELNS0_4arch9wavefront6targetE0EEEvT1_.uses_vcc, 0
	.set _ZN7rocprim17ROCPRIM_400000_NS6detail17trampoline_kernelINS0_14default_configENS1_27scan_by_key_config_selectorIiiEEZZNS1_16scan_by_key_implILNS1_25lookback_scan_determinismE0ELb1ES3_N6thrust23THRUST_200600_302600_NS6detail15normal_iteratorINS9_10device_ptrIiEEEESE_SE_iNS9_4plusIvEENS9_8equal_toIvEEiEE10hipError_tPvRmT2_T3_T4_T5_mT6_T7_P12ihipStream_tbENKUlT_T0_E_clISt17integral_constantIbLb1EESZ_EEDaSU_SV_EUlSU_E_NS1_11comp_targetILNS1_3genE3ELNS1_11target_archE908ELNS1_3gpuE7ELNS1_3repE0EEENS1_30default_config_static_selectorELNS0_4arch9wavefront6targetE0EEEvT1_.uses_flat_scratch, 0
	.set _ZN7rocprim17ROCPRIM_400000_NS6detail17trampoline_kernelINS0_14default_configENS1_27scan_by_key_config_selectorIiiEEZZNS1_16scan_by_key_implILNS1_25lookback_scan_determinismE0ELb1ES3_N6thrust23THRUST_200600_302600_NS6detail15normal_iteratorINS9_10device_ptrIiEEEESE_SE_iNS9_4plusIvEENS9_8equal_toIvEEiEE10hipError_tPvRmT2_T3_T4_T5_mT6_T7_P12ihipStream_tbENKUlT_T0_E_clISt17integral_constantIbLb1EESZ_EEDaSU_SV_EUlSU_E_NS1_11comp_targetILNS1_3genE3ELNS1_11target_archE908ELNS1_3gpuE7ELNS1_3repE0EEENS1_30default_config_static_selectorELNS0_4arch9wavefront6targetE0EEEvT1_.has_dyn_sized_stack, 0
	.set _ZN7rocprim17ROCPRIM_400000_NS6detail17trampoline_kernelINS0_14default_configENS1_27scan_by_key_config_selectorIiiEEZZNS1_16scan_by_key_implILNS1_25lookback_scan_determinismE0ELb1ES3_N6thrust23THRUST_200600_302600_NS6detail15normal_iteratorINS9_10device_ptrIiEEEESE_SE_iNS9_4plusIvEENS9_8equal_toIvEEiEE10hipError_tPvRmT2_T3_T4_T5_mT6_T7_P12ihipStream_tbENKUlT_T0_E_clISt17integral_constantIbLb1EESZ_EEDaSU_SV_EUlSU_E_NS1_11comp_targetILNS1_3genE3ELNS1_11target_archE908ELNS1_3gpuE7ELNS1_3repE0EEENS1_30default_config_static_selectorELNS0_4arch9wavefront6targetE0EEEvT1_.has_recursion, 0
	.set _ZN7rocprim17ROCPRIM_400000_NS6detail17trampoline_kernelINS0_14default_configENS1_27scan_by_key_config_selectorIiiEEZZNS1_16scan_by_key_implILNS1_25lookback_scan_determinismE0ELb1ES3_N6thrust23THRUST_200600_302600_NS6detail15normal_iteratorINS9_10device_ptrIiEEEESE_SE_iNS9_4plusIvEENS9_8equal_toIvEEiEE10hipError_tPvRmT2_T3_T4_T5_mT6_T7_P12ihipStream_tbENKUlT_T0_E_clISt17integral_constantIbLb1EESZ_EEDaSU_SV_EUlSU_E_NS1_11comp_targetILNS1_3genE3ELNS1_11target_archE908ELNS1_3gpuE7ELNS1_3repE0EEENS1_30default_config_static_selectorELNS0_4arch9wavefront6targetE0EEEvT1_.has_indirect_call, 0
	.section	.AMDGPU.csdata,"",@progbits
; Kernel info:
; codeLenInByte = 0
; TotalNumSgprs: 0
; NumVgprs: 0
; ScratchSize: 0
; MemoryBound: 0
; FloatMode: 240
; IeeeMode: 1
; LDSByteSize: 0 bytes/workgroup (compile time only)
; SGPRBlocks: 0
; VGPRBlocks: 0
; NumSGPRsForWavesPerEU: 1
; NumVGPRsForWavesPerEU: 1
; NamedBarCnt: 0
; Occupancy: 16
; WaveLimiterHint : 0
; COMPUTE_PGM_RSRC2:SCRATCH_EN: 0
; COMPUTE_PGM_RSRC2:USER_SGPR: 2
; COMPUTE_PGM_RSRC2:TRAP_HANDLER: 0
; COMPUTE_PGM_RSRC2:TGID_X_EN: 1
; COMPUTE_PGM_RSRC2:TGID_Y_EN: 0
; COMPUTE_PGM_RSRC2:TGID_Z_EN: 0
; COMPUTE_PGM_RSRC2:TIDIG_COMP_CNT: 0
	.section	.text._ZN7rocprim17ROCPRIM_400000_NS6detail17trampoline_kernelINS0_14default_configENS1_27scan_by_key_config_selectorIiiEEZZNS1_16scan_by_key_implILNS1_25lookback_scan_determinismE0ELb1ES3_N6thrust23THRUST_200600_302600_NS6detail15normal_iteratorINS9_10device_ptrIiEEEESE_SE_iNS9_4plusIvEENS9_8equal_toIvEEiEE10hipError_tPvRmT2_T3_T4_T5_mT6_T7_P12ihipStream_tbENKUlT_T0_E_clISt17integral_constantIbLb1EESZ_EEDaSU_SV_EUlSU_E_NS1_11comp_targetILNS1_3genE2ELNS1_11target_archE906ELNS1_3gpuE6ELNS1_3repE0EEENS1_30default_config_static_selectorELNS0_4arch9wavefront6targetE0EEEvT1_,"axG",@progbits,_ZN7rocprim17ROCPRIM_400000_NS6detail17trampoline_kernelINS0_14default_configENS1_27scan_by_key_config_selectorIiiEEZZNS1_16scan_by_key_implILNS1_25lookback_scan_determinismE0ELb1ES3_N6thrust23THRUST_200600_302600_NS6detail15normal_iteratorINS9_10device_ptrIiEEEESE_SE_iNS9_4plusIvEENS9_8equal_toIvEEiEE10hipError_tPvRmT2_T3_T4_T5_mT6_T7_P12ihipStream_tbENKUlT_T0_E_clISt17integral_constantIbLb1EESZ_EEDaSU_SV_EUlSU_E_NS1_11comp_targetILNS1_3genE2ELNS1_11target_archE906ELNS1_3gpuE6ELNS1_3repE0EEENS1_30default_config_static_selectorELNS0_4arch9wavefront6targetE0EEEvT1_,comdat
	.protected	_ZN7rocprim17ROCPRIM_400000_NS6detail17trampoline_kernelINS0_14default_configENS1_27scan_by_key_config_selectorIiiEEZZNS1_16scan_by_key_implILNS1_25lookback_scan_determinismE0ELb1ES3_N6thrust23THRUST_200600_302600_NS6detail15normal_iteratorINS9_10device_ptrIiEEEESE_SE_iNS9_4plusIvEENS9_8equal_toIvEEiEE10hipError_tPvRmT2_T3_T4_T5_mT6_T7_P12ihipStream_tbENKUlT_T0_E_clISt17integral_constantIbLb1EESZ_EEDaSU_SV_EUlSU_E_NS1_11comp_targetILNS1_3genE2ELNS1_11target_archE906ELNS1_3gpuE6ELNS1_3repE0EEENS1_30default_config_static_selectorELNS0_4arch9wavefront6targetE0EEEvT1_ ; -- Begin function _ZN7rocprim17ROCPRIM_400000_NS6detail17trampoline_kernelINS0_14default_configENS1_27scan_by_key_config_selectorIiiEEZZNS1_16scan_by_key_implILNS1_25lookback_scan_determinismE0ELb1ES3_N6thrust23THRUST_200600_302600_NS6detail15normal_iteratorINS9_10device_ptrIiEEEESE_SE_iNS9_4plusIvEENS9_8equal_toIvEEiEE10hipError_tPvRmT2_T3_T4_T5_mT6_T7_P12ihipStream_tbENKUlT_T0_E_clISt17integral_constantIbLb1EESZ_EEDaSU_SV_EUlSU_E_NS1_11comp_targetILNS1_3genE2ELNS1_11target_archE906ELNS1_3gpuE6ELNS1_3repE0EEENS1_30default_config_static_selectorELNS0_4arch9wavefront6targetE0EEEvT1_
	.globl	_ZN7rocprim17ROCPRIM_400000_NS6detail17trampoline_kernelINS0_14default_configENS1_27scan_by_key_config_selectorIiiEEZZNS1_16scan_by_key_implILNS1_25lookback_scan_determinismE0ELb1ES3_N6thrust23THRUST_200600_302600_NS6detail15normal_iteratorINS9_10device_ptrIiEEEESE_SE_iNS9_4plusIvEENS9_8equal_toIvEEiEE10hipError_tPvRmT2_T3_T4_T5_mT6_T7_P12ihipStream_tbENKUlT_T0_E_clISt17integral_constantIbLb1EESZ_EEDaSU_SV_EUlSU_E_NS1_11comp_targetILNS1_3genE2ELNS1_11target_archE906ELNS1_3gpuE6ELNS1_3repE0EEENS1_30default_config_static_selectorELNS0_4arch9wavefront6targetE0EEEvT1_
	.p2align	8
	.type	_ZN7rocprim17ROCPRIM_400000_NS6detail17trampoline_kernelINS0_14default_configENS1_27scan_by_key_config_selectorIiiEEZZNS1_16scan_by_key_implILNS1_25lookback_scan_determinismE0ELb1ES3_N6thrust23THRUST_200600_302600_NS6detail15normal_iteratorINS9_10device_ptrIiEEEESE_SE_iNS9_4plusIvEENS9_8equal_toIvEEiEE10hipError_tPvRmT2_T3_T4_T5_mT6_T7_P12ihipStream_tbENKUlT_T0_E_clISt17integral_constantIbLb1EESZ_EEDaSU_SV_EUlSU_E_NS1_11comp_targetILNS1_3genE2ELNS1_11target_archE906ELNS1_3gpuE6ELNS1_3repE0EEENS1_30default_config_static_selectorELNS0_4arch9wavefront6targetE0EEEvT1_,@function
_ZN7rocprim17ROCPRIM_400000_NS6detail17trampoline_kernelINS0_14default_configENS1_27scan_by_key_config_selectorIiiEEZZNS1_16scan_by_key_implILNS1_25lookback_scan_determinismE0ELb1ES3_N6thrust23THRUST_200600_302600_NS6detail15normal_iteratorINS9_10device_ptrIiEEEESE_SE_iNS9_4plusIvEENS9_8equal_toIvEEiEE10hipError_tPvRmT2_T3_T4_T5_mT6_T7_P12ihipStream_tbENKUlT_T0_E_clISt17integral_constantIbLb1EESZ_EEDaSU_SV_EUlSU_E_NS1_11comp_targetILNS1_3genE2ELNS1_11target_archE906ELNS1_3gpuE6ELNS1_3repE0EEENS1_30default_config_static_selectorELNS0_4arch9wavefront6targetE0EEEvT1_: ; @_ZN7rocprim17ROCPRIM_400000_NS6detail17trampoline_kernelINS0_14default_configENS1_27scan_by_key_config_selectorIiiEEZZNS1_16scan_by_key_implILNS1_25lookback_scan_determinismE0ELb1ES3_N6thrust23THRUST_200600_302600_NS6detail15normal_iteratorINS9_10device_ptrIiEEEESE_SE_iNS9_4plusIvEENS9_8equal_toIvEEiEE10hipError_tPvRmT2_T3_T4_T5_mT6_T7_P12ihipStream_tbENKUlT_T0_E_clISt17integral_constantIbLb1EESZ_EEDaSU_SV_EUlSU_E_NS1_11comp_targetILNS1_3genE2ELNS1_11target_archE906ELNS1_3gpuE6ELNS1_3repE0EEENS1_30default_config_static_selectorELNS0_4arch9wavefront6targetE0EEEvT1_
; %bb.0:
	.section	.rodata,"a",@progbits
	.p2align	6, 0x0
	.amdhsa_kernel _ZN7rocprim17ROCPRIM_400000_NS6detail17trampoline_kernelINS0_14default_configENS1_27scan_by_key_config_selectorIiiEEZZNS1_16scan_by_key_implILNS1_25lookback_scan_determinismE0ELb1ES3_N6thrust23THRUST_200600_302600_NS6detail15normal_iteratorINS9_10device_ptrIiEEEESE_SE_iNS9_4plusIvEENS9_8equal_toIvEEiEE10hipError_tPvRmT2_T3_T4_T5_mT6_T7_P12ihipStream_tbENKUlT_T0_E_clISt17integral_constantIbLb1EESZ_EEDaSU_SV_EUlSU_E_NS1_11comp_targetILNS1_3genE2ELNS1_11target_archE906ELNS1_3gpuE6ELNS1_3repE0EEENS1_30default_config_static_selectorELNS0_4arch9wavefront6targetE0EEEvT1_
		.amdhsa_group_segment_fixed_size 0
		.amdhsa_private_segment_fixed_size 0
		.amdhsa_kernarg_size 112
		.amdhsa_user_sgpr_count 2
		.amdhsa_user_sgpr_dispatch_ptr 0
		.amdhsa_user_sgpr_queue_ptr 0
		.amdhsa_user_sgpr_kernarg_segment_ptr 1
		.amdhsa_user_sgpr_dispatch_id 0
		.amdhsa_user_sgpr_kernarg_preload_length 0
		.amdhsa_user_sgpr_kernarg_preload_offset 0
		.amdhsa_user_sgpr_private_segment_size 0
		.amdhsa_wavefront_size32 1
		.amdhsa_uses_dynamic_stack 0
		.amdhsa_enable_private_segment 0
		.amdhsa_system_sgpr_workgroup_id_x 1
		.amdhsa_system_sgpr_workgroup_id_y 0
		.amdhsa_system_sgpr_workgroup_id_z 0
		.amdhsa_system_sgpr_workgroup_info 0
		.amdhsa_system_vgpr_workitem_id 0
		.amdhsa_next_free_vgpr 1
		.amdhsa_next_free_sgpr 1
		.amdhsa_named_barrier_count 0
		.amdhsa_reserve_vcc 0
		.amdhsa_float_round_mode_32 0
		.amdhsa_float_round_mode_16_64 0
		.amdhsa_float_denorm_mode_32 3
		.amdhsa_float_denorm_mode_16_64 3
		.amdhsa_fp16_overflow 0
		.amdhsa_memory_ordered 1
		.amdhsa_forward_progress 1
		.amdhsa_inst_pref_size 0
		.amdhsa_round_robin_scheduling 0
		.amdhsa_exception_fp_ieee_invalid_op 0
		.amdhsa_exception_fp_denorm_src 0
		.amdhsa_exception_fp_ieee_div_zero 0
		.amdhsa_exception_fp_ieee_overflow 0
		.amdhsa_exception_fp_ieee_underflow 0
		.amdhsa_exception_fp_ieee_inexact 0
		.amdhsa_exception_int_div_zero 0
	.end_amdhsa_kernel
	.section	.text._ZN7rocprim17ROCPRIM_400000_NS6detail17trampoline_kernelINS0_14default_configENS1_27scan_by_key_config_selectorIiiEEZZNS1_16scan_by_key_implILNS1_25lookback_scan_determinismE0ELb1ES3_N6thrust23THRUST_200600_302600_NS6detail15normal_iteratorINS9_10device_ptrIiEEEESE_SE_iNS9_4plusIvEENS9_8equal_toIvEEiEE10hipError_tPvRmT2_T3_T4_T5_mT6_T7_P12ihipStream_tbENKUlT_T0_E_clISt17integral_constantIbLb1EESZ_EEDaSU_SV_EUlSU_E_NS1_11comp_targetILNS1_3genE2ELNS1_11target_archE906ELNS1_3gpuE6ELNS1_3repE0EEENS1_30default_config_static_selectorELNS0_4arch9wavefront6targetE0EEEvT1_,"axG",@progbits,_ZN7rocprim17ROCPRIM_400000_NS6detail17trampoline_kernelINS0_14default_configENS1_27scan_by_key_config_selectorIiiEEZZNS1_16scan_by_key_implILNS1_25lookback_scan_determinismE0ELb1ES3_N6thrust23THRUST_200600_302600_NS6detail15normal_iteratorINS9_10device_ptrIiEEEESE_SE_iNS9_4plusIvEENS9_8equal_toIvEEiEE10hipError_tPvRmT2_T3_T4_T5_mT6_T7_P12ihipStream_tbENKUlT_T0_E_clISt17integral_constantIbLb1EESZ_EEDaSU_SV_EUlSU_E_NS1_11comp_targetILNS1_3genE2ELNS1_11target_archE906ELNS1_3gpuE6ELNS1_3repE0EEENS1_30default_config_static_selectorELNS0_4arch9wavefront6targetE0EEEvT1_,comdat
.Lfunc_end475:
	.size	_ZN7rocprim17ROCPRIM_400000_NS6detail17trampoline_kernelINS0_14default_configENS1_27scan_by_key_config_selectorIiiEEZZNS1_16scan_by_key_implILNS1_25lookback_scan_determinismE0ELb1ES3_N6thrust23THRUST_200600_302600_NS6detail15normal_iteratorINS9_10device_ptrIiEEEESE_SE_iNS9_4plusIvEENS9_8equal_toIvEEiEE10hipError_tPvRmT2_T3_T4_T5_mT6_T7_P12ihipStream_tbENKUlT_T0_E_clISt17integral_constantIbLb1EESZ_EEDaSU_SV_EUlSU_E_NS1_11comp_targetILNS1_3genE2ELNS1_11target_archE906ELNS1_3gpuE6ELNS1_3repE0EEENS1_30default_config_static_selectorELNS0_4arch9wavefront6targetE0EEEvT1_, .Lfunc_end475-_ZN7rocprim17ROCPRIM_400000_NS6detail17trampoline_kernelINS0_14default_configENS1_27scan_by_key_config_selectorIiiEEZZNS1_16scan_by_key_implILNS1_25lookback_scan_determinismE0ELb1ES3_N6thrust23THRUST_200600_302600_NS6detail15normal_iteratorINS9_10device_ptrIiEEEESE_SE_iNS9_4plusIvEENS9_8equal_toIvEEiEE10hipError_tPvRmT2_T3_T4_T5_mT6_T7_P12ihipStream_tbENKUlT_T0_E_clISt17integral_constantIbLb1EESZ_EEDaSU_SV_EUlSU_E_NS1_11comp_targetILNS1_3genE2ELNS1_11target_archE906ELNS1_3gpuE6ELNS1_3repE0EEENS1_30default_config_static_selectorELNS0_4arch9wavefront6targetE0EEEvT1_
                                        ; -- End function
	.set _ZN7rocprim17ROCPRIM_400000_NS6detail17trampoline_kernelINS0_14default_configENS1_27scan_by_key_config_selectorIiiEEZZNS1_16scan_by_key_implILNS1_25lookback_scan_determinismE0ELb1ES3_N6thrust23THRUST_200600_302600_NS6detail15normal_iteratorINS9_10device_ptrIiEEEESE_SE_iNS9_4plusIvEENS9_8equal_toIvEEiEE10hipError_tPvRmT2_T3_T4_T5_mT6_T7_P12ihipStream_tbENKUlT_T0_E_clISt17integral_constantIbLb1EESZ_EEDaSU_SV_EUlSU_E_NS1_11comp_targetILNS1_3genE2ELNS1_11target_archE906ELNS1_3gpuE6ELNS1_3repE0EEENS1_30default_config_static_selectorELNS0_4arch9wavefront6targetE0EEEvT1_.num_vgpr, 0
	.set _ZN7rocprim17ROCPRIM_400000_NS6detail17trampoline_kernelINS0_14default_configENS1_27scan_by_key_config_selectorIiiEEZZNS1_16scan_by_key_implILNS1_25lookback_scan_determinismE0ELb1ES3_N6thrust23THRUST_200600_302600_NS6detail15normal_iteratorINS9_10device_ptrIiEEEESE_SE_iNS9_4plusIvEENS9_8equal_toIvEEiEE10hipError_tPvRmT2_T3_T4_T5_mT6_T7_P12ihipStream_tbENKUlT_T0_E_clISt17integral_constantIbLb1EESZ_EEDaSU_SV_EUlSU_E_NS1_11comp_targetILNS1_3genE2ELNS1_11target_archE906ELNS1_3gpuE6ELNS1_3repE0EEENS1_30default_config_static_selectorELNS0_4arch9wavefront6targetE0EEEvT1_.num_agpr, 0
	.set _ZN7rocprim17ROCPRIM_400000_NS6detail17trampoline_kernelINS0_14default_configENS1_27scan_by_key_config_selectorIiiEEZZNS1_16scan_by_key_implILNS1_25lookback_scan_determinismE0ELb1ES3_N6thrust23THRUST_200600_302600_NS6detail15normal_iteratorINS9_10device_ptrIiEEEESE_SE_iNS9_4plusIvEENS9_8equal_toIvEEiEE10hipError_tPvRmT2_T3_T4_T5_mT6_T7_P12ihipStream_tbENKUlT_T0_E_clISt17integral_constantIbLb1EESZ_EEDaSU_SV_EUlSU_E_NS1_11comp_targetILNS1_3genE2ELNS1_11target_archE906ELNS1_3gpuE6ELNS1_3repE0EEENS1_30default_config_static_selectorELNS0_4arch9wavefront6targetE0EEEvT1_.numbered_sgpr, 0
	.set _ZN7rocprim17ROCPRIM_400000_NS6detail17trampoline_kernelINS0_14default_configENS1_27scan_by_key_config_selectorIiiEEZZNS1_16scan_by_key_implILNS1_25lookback_scan_determinismE0ELb1ES3_N6thrust23THRUST_200600_302600_NS6detail15normal_iteratorINS9_10device_ptrIiEEEESE_SE_iNS9_4plusIvEENS9_8equal_toIvEEiEE10hipError_tPvRmT2_T3_T4_T5_mT6_T7_P12ihipStream_tbENKUlT_T0_E_clISt17integral_constantIbLb1EESZ_EEDaSU_SV_EUlSU_E_NS1_11comp_targetILNS1_3genE2ELNS1_11target_archE906ELNS1_3gpuE6ELNS1_3repE0EEENS1_30default_config_static_selectorELNS0_4arch9wavefront6targetE0EEEvT1_.num_named_barrier, 0
	.set _ZN7rocprim17ROCPRIM_400000_NS6detail17trampoline_kernelINS0_14default_configENS1_27scan_by_key_config_selectorIiiEEZZNS1_16scan_by_key_implILNS1_25lookback_scan_determinismE0ELb1ES3_N6thrust23THRUST_200600_302600_NS6detail15normal_iteratorINS9_10device_ptrIiEEEESE_SE_iNS9_4plusIvEENS9_8equal_toIvEEiEE10hipError_tPvRmT2_T3_T4_T5_mT6_T7_P12ihipStream_tbENKUlT_T0_E_clISt17integral_constantIbLb1EESZ_EEDaSU_SV_EUlSU_E_NS1_11comp_targetILNS1_3genE2ELNS1_11target_archE906ELNS1_3gpuE6ELNS1_3repE0EEENS1_30default_config_static_selectorELNS0_4arch9wavefront6targetE0EEEvT1_.private_seg_size, 0
	.set _ZN7rocprim17ROCPRIM_400000_NS6detail17trampoline_kernelINS0_14default_configENS1_27scan_by_key_config_selectorIiiEEZZNS1_16scan_by_key_implILNS1_25lookback_scan_determinismE0ELb1ES3_N6thrust23THRUST_200600_302600_NS6detail15normal_iteratorINS9_10device_ptrIiEEEESE_SE_iNS9_4plusIvEENS9_8equal_toIvEEiEE10hipError_tPvRmT2_T3_T4_T5_mT6_T7_P12ihipStream_tbENKUlT_T0_E_clISt17integral_constantIbLb1EESZ_EEDaSU_SV_EUlSU_E_NS1_11comp_targetILNS1_3genE2ELNS1_11target_archE906ELNS1_3gpuE6ELNS1_3repE0EEENS1_30default_config_static_selectorELNS0_4arch9wavefront6targetE0EEEvT1_.uses_vcc, 0
	.set _ZN7rocprim17ROCPRIM_400000_NS6detail17trampoline_kernelINS0_14default_configENS1_27scan_by_key_config_selectorIiiEEZZNS1_16scan_by_key_implILNS1_25lookback_scan_determinismE0ELb1ES3_N6thrust23THRUST_200600_302600_NS6detail15normal_iteratorINS9_10device_ptrIiEEEESE_SE_iNS9_4plusIvEENS9_8equal_toIvEEiEE10hipError_tPvRmT2_T3_T4_T5_mT6_T7_P12ihipStream_tbENKUlT_T0_E_clISt17integral_constantIbLb1EESZ_EEDaSU_SV_EUlSU_E_NS1_11comp_targetILNS1_3genE2ELNS1_11target_archE906ELNS1_3gpuE6ELNS1_3repE0EEENS1_30default_config_static_selectorELNS0_4arch9wavefront6targetE0EEEvT1_.uses_flat_scratch, 0
	.set _ZN7rocprim17ROCPRIM_400000_NS6detail17trampoline_kernelINS0_14default_configENS1_27scan_by_key_config_selectorIiiEEZZNS1_16scan_by_key_implILNS1_25lookback_scan_determinismE0ELb1ES3_N6thrust23THRUST_200600_302600_NS6detail15normal_iteratorINS9_10device_ptrIiEEEESE_SE_iNS9_4plusIvEENS9_8equal_toIvEEiEE10hipError_tPvRmT2_T3_T4_T5_mT6_T7_P12ihipStream_tbENKUlT_T0_E_clISt17integral_constantIbLb1EESZ_EEDaSU_SV_EUlSU_E_NS1_11comp_targetILNS1_3genE2ELNS1_11target_archE906ELNS1_3gpuE6ELNS1_3repE0EEENS1_30default_config_static_selectorELNS0_4arch9wavefront6targetE0EEEvT1_.has_dyn_sized_stack, 0
	.set _ZN7rocprim17ROCPRIM_400000_NS6detail17trampoline_kernelINS0_14default_configENS1_27scan_by_key_config_selectorIiiEEZZNS1_16scan_by_key_implILNS1_25lookback_scan_determinismE0ELb1ES3_N6thrust23THRUST_200600_302600_NS6detail15normal_iteratorINS9_10device_ptrIiEEEESE_SE_iNS9_4plusIvEENS9_8equal_toIvEEiEE10hipError_tPvRmT2_T3_T4_T5_mT6_T7_P12ihipStream_tbENKUlT_T0_E_clISt17integral_constantIbLb1EESZ_EEDaSU_SV_EUlSU_E_NS1_11comp_targetILNS1_3genE2ELNS1_11target_archE906ELNS1_3gpuE6ELNS1_3repE0EEENS1_30default_config_static_selectorELNS0_4arch9wavefront6targetE0EEEvT1_.has_recursion, 0
	.set _ZN7rocprim17ROCPRIM_400000_NS6detail17trampoline_kernelINS0_14default_configENS1_27scan_by_key_config_selectorIiiEEZZNS1_16scan_by_key_implILNS1_25lookback_scan_determinismE0ELb1ES3_N6thrust23THRUST_200600_302600_NS6detail15normal_iteratorINS9_10device_ptrIiEEEESE_SE_iNS9_4plusIvEENS9_8equal_toIvEEiEE10hipError_tPvRmT2_T3_T4_T5_mT6_T7_P12ihipStream_tbENKUlT_T0_E_clISt17integral_constantIbLb1EESZ_EEDaSU_SV_EUlSU_E_NS1_11comp_targetILNS1_3genE2ELNS1_11target_archE906ELNS1_3gpuE6ELNS1_3repE0EEENS1_30default_config_static_selectorELNS0_4arch9wavefront6targetE0EEEvT1_.has_indirect_call, 0
	.section	.AMDGPU.csdata,"",@progbits
; Kernel info:
; codeLenInByte = 0
; TotalNumSgprs: 0
; NumVgprs: 0
; ScratchSize: 0
; MemoryBound: 0
; FloatMode: 240
; IeeeMode: 1
; LDSByteSize: 0 bytes/workgroup (compile time only)
; SGPRBlocks: 0
; VGPRBlocks: 0
; NumSGPRsForWavesPerEU: 1
; NumVGPRsForWavesPerEU: 1
; NamedBarCnt: 0
; Occupancy: 16
; WaveLimiterHint : 0
; COMPUTE_PGM_RSRC2:SCRATCH_EN: 0
; COMPUTE_PGM_RSRC2:USER_SGPR: 2
; COMPUTE_PGM_RSRC2:TRAP_HANDLER: 0
; COMPUTE_PGM_RSRC2:TGID_X_EN: 1
; COMPUTE_PGM_RSRC2:TGID_Y_EN: 0
; COMPUTE_PGM_RSRC2:TGID_Z_EN: 0
; COMPUTE_PGM_RSRC2:TIDIG_COMP_CNT: 0
	.section	.text._ZN7rocprim17ROCPRIM_400000_NS6detail17trampoline_kernelINS0_14default_configENS1_27scan_by_key_config_selectorIiiEEZZNS1_16scan_by_key_implILNS1_25lookback_scan_determinismE0ELb1ES3_N6thrust23THRUST_200600_302600_NS6detail15normal_iteratorINS9_10device_ptrIiEEEESE_SE_iNS9_4plusIvEENS9_8equal_toIvEEiEE10hipError_tPvRmT2_T3_T4_T5_mT6_T7_P12ihipStream_tbENKUlT_T0_E_clISt17integral_constantIbLb1EESZ_EEDaSU_SV_EUlSU_E_NS1_11comp_targetILNS1_3genE10ELNS1_11target_archE1200ELNS1_3gpuE4ELNS1_3repE0EEENS1_30default_config_static_selectorELNS0_4arch9wavefront6targetE0EEEvT1_,"axG",@progbits,_ZN7rocprim17ROCPRIM_400000_NS6detail17trampoline_kernelINS0_14default_configENS1_27scan_by_key_config_selectorIiiEEZZNS1_16scan_by_key_implILNS1_25lookback_scan_determinismE0ELb1ES3_N6thrust23THRUST_200600_302600_NS6detail15normal_iteratorINS9_10device_ptrIiEEEESE_SE_iNS9_4plusIvEENS9_8equal_toIvEEiEE10hipError_tPvRmT2_T3_T4_T5_mT6_T7_P12ihipStream_tbENKUlT_T0_E_clISt17integral_constantIbLb1EESZ_EEDaSU_SV_EUlSU_E_NS1_11comp_targetILNS1_3genE10ELNS1_11target_archE1200ELNS1_3gpuE4ELNS1_3repE0EEENS1_30default_config_static_selectorELNS0_4arch9wavefront6targetE0EEEvT1_,comdat
	.protected	_ZN7rocprim17ROCPRIM_400000_NS6detail17trampoline_kernelINS0_14default_configENS1_27scan_by_key_config_selectorIiiEEZZNS1_16scan_by_key_implILNS1_25lookback_scan_determinismE0ELb1ES3_N6thrust23THRUST_200600_302600_NS6detail15normal_iteratorINS9_10device_ptrIiEEEESE_SE_iNS9_4plusIvEENS9_8equal_toIvEEiEE10hipError_tPvRmT2_T3_T4_T5_mT6_T7_P12ihipStream_tbENKUlT_T0_E_clISt17integral_constantIbLb1EESZ_EEDaSU_SV_EUlSU_E_NS1_11comp_targetILNS1_3genE10ELNS1_11target_archE1200ELNS1_3gpuE4ELNS1_3repE0EEENS1_30default_config_static_selectorELNS0_4arch9wavefront6targetE0EEEvT1_ ; -- Begin function _ZN7rocprim17ROCPRIM_400000_NS6detail17trampoline_kernelINS0_14default_configENS1_27scan_by_key_config_selectorIiiEEZZNS1_16scan_by_key_implILNS1_25lookback_scan_determinismE0ELb1ES3_N6thrust23THRUST_200600_302600_NS6detail15normal_iteratorINS9_10device_ptrIiEEEESE_SE_iNS9_4plusIvEENS9_8equal_toIvEEiEE10hipError_tPvRmT2_T3_T4_T5_mT6_T7_P12ihipStream_tbENKUlT_T0_E_clISt17integral_constantIbLb1EESZ_EEDaSU_SV_EUlSU_E_NS1_11comp_targetILNS1_3genE10ELNS1_11target_archE1200ELNS1_3gpuE4ELNS1_3repE0EEENS1_30default_config_static_selectorELNS0_4arch9wavefront6targetE0EEEvT1_
	.globl	_ZN7rocprim17ROCPRIM_400000_NS6detail17trampoline_kernelINS0_14default_configENS1_27scan_by_key_config_selectorIiiEEZZNS1_16scan_by_key_implILNS1_25lookback_scan_determinismE0ELb1ES3_N6thrust23THRUST_200600_302600_NS6detail15normal_iteratorINS9_10device_ptrIiEEEESE_SE_iNS9_4plusIvEENS9_8equal_toIvEEiEE10hipError_tPvRmT2_T3_T4_T5_mT6_T7_P12ihipStream_tbENKUlT_T0_E_clISt17integral_constantIbLb1EESZ_EEDaSU_SV_EUlSU_E_NS1_11comp_targetILNS1_3genE10ELNS1_11target_archE1200ELNS1_3gpuE4ELNS1_3repE0EEENS1_30default_config_static_selectorELNS0_4arch9wavefront6targetE0EEEvT1_
	.p2align	8
	.type	_ZN7rocprim17ROCPRIM_400000_NS6detail17trampoline_kernelINS0_14default_configENS1_27scan_by_key_config_selectorIiiEEZZNS1_16scan_by_key_implILNS1_25lookback_scan_determinismE0ELb1ES3_N6thrust23THRUST_200600_302600_NS6detail15normal_iteratorINS9_10device_ptrIiEEEESE_SE_iNS9_4plusIvEENS9_8equal_toIvEEiEE10hipError_tPvRmT2_T3_T4_T5_mT6_T7_P12ihipStream_tbENKUlT_T0_E_clISt17integral_constantIbLb1EESZ_EEDaSU_SV_EUlSU_E_NS1_11comp_targetILNS1_3genE10ELNS1_11target_archE1200ELNS1_3gpuE4ELNS1_3repE0EEENS1_30default_config_static_selectorELNS0_4arch9wavefront6targetE0EEEvT1_,@function
_ZN7rocprim17ROCPRIM_400000_NS6detail17trampoline_kernelINS0_14default_configENS1_27scan_by_key_config_selectorIiiEEZZNS1_16scan_by_key_implILNS1_25lookback_scan_determinismE0ELb1ES3_N6thrust23THRUST_200600_302600_NS6detail15normal_iteratorINS9_10device_ptrIiEEEESE_SE_iNS9_4plusIvEENS9_8equal_toIvEEiEE10hipError_tPvRmT2_T3_T4_T5_mT6_T7_P12ihipStream_tbENKUlT_T0_E_clISt17integral_constantIbLb1EESZ_EEDaSU_SV_EUlSU_E_NS1_11comp_targetILNS1_3genE10ELNS1_11target_archE1200ELNS1_3gpuE4ELNS1_3repE0EEENS1_30default_config_static_selectorELNS0_4arch9wavefront6targetE0EEEvT1_: ; @_ZN7rocprim17ROCPRIM_400000_NS6detail17trampoline_kernelINS0_14default_configENS1_27scan_by_key_config_selectorIiiEEZZNS1_16scan_by_key_implILNS1_25lookback_scan_determinismE0ELb1ES3_N6thrust23THRUST_200600_302600_NS6detail15normal_iteratorINS9_10device_ptrIiEEEESE_SE_iNS9_4plusIvEENS9_8equal_toIvEEiEE10hipError_tPvRmT2_T3_T4_T5_mT6_T7_P12ihipStream_tbENKUlT_T0_E_clISt17integral_constantIbLb1EESZ_EEDaSU_SV_EUlSU_E_NS1_11comp_targetILNS1_3genE10ELNS1_11target_archE1200ELNS1_3gpuE4ELNS1_3repE0EEENS1_30default_config_static_selectorELNS0_4arch9wavefront6targetE0EEEvT1_
; %bb.0:
	.section	.rodata,"a",@progbits
	.p2align	6, 0x0
	.amdhsa_kernel _ZN7rocprim17ROCPRIM_400000_NS6detail17trampoline_kernelINS0_14default_configENS1_27scan_by_key_config_selectorIiiEEZZNS1_16scan_by_key_implILNS1_25lookback_scan_determinismE0ELb1ES3_N6thrust23THRUST_200600_302600_NS6detail15normal_iteratorINS9_10device_ptrIiEEEESE_SE_iNS9_4plusIvEENS9_8equal_toIvEEiEE10hipError_tPvRmT2_T3_T4_T5_mT6_T7_P12ihipStream_tbENKUlT_T0_E_clISt17integral_constantIbLb1EESZ_EEDaSU_SV_EUlSU_E_NS1_11comp_targetILNS1_3genE10ELNS1_11target_archE1200ELNS1_3gpuE4ELNS1_3repE0EEENS1_30default_config_static_selectorELNS0_4arch9wavefront6targetE0EEEvT1_
		.amdhsa_group_segment_fixed_size 0
		.amdhsa_private_segment_fixed_size 0
		.amdhsa_kernarg_size 112
		.amdhsa_user_sgpr_count 2
		.amdhsa_user_sgpr_dispatch_ptr 0
		.amdhsa_user_sgpr_queue_ptr 0
		.amdhsa_user_sgpr_kernarg_segment_ptr 1
		.amdhsa_user_sgpr_dispatch_id 0
		.amdhsa_user_sgpr_kernarg_preload_length 0
		.amdhsa_user_sgpr_kernarg_preload_offset 0
		.amdhsa_user_sgpr_private_segment_size 0
		.amdhsa_wavefront_size32 1
		.amdhsa_uses_dynamic_stack 0
		.amdhsa_enable_private_segment 0
		.amdhsa_system_sgpr_workgroup_id_x 1
		.amdhsa_system_sgpr_workgroup_id_y 0
		.amdhsa_system_sgpr_workgroup_id_z 0
		.amdhsa_system_sgpr_workgroup_info 0
		.amdhsa_system_vgpr_workitem_id 0
		.amdhsa_next_free_vgpr 1
		.amdhsa_next_free_sgpr 1
		.amdhsa_named_barrier_count 0
		.amdhsa_reserve_vcc 0
		.amdhsa_float_round_mode_32 0
		.amdhsa_float_round_mode_16_64 0
		.amdhsa_float_denorm_mode_32 3
		.amdhsa_float_denorm_mode_16_64 3
		.amdhsa_fp16_overflow 0
		.amdhsa_memory_ordered 1
		.amdhsa_forward_progress 1
		.amdhsa_inst_pref_size 0
		.amdhsa_round_robin_scheduling 0
		.amdhsa_exception_fp_ieee_invalid_op 0
		.amdhsa_exception_fp_denorm_src 0
		.amdhsa_exception_fp_ieee_div_zero 0
		.amdhsa_exception_fp_ieee_overflow 0
		.amdhsa_exception_fp_ieee_underflow 0
		.amdhsa_exception_fp_ieee_inexact 0
		.amdhsa_exception_int_div_zero 0
	.end_amdhsa_kernel
	.section	.text._ZN7rocprim17ROCPRIM_400000_NS6detail17trampoline_kernelINS0_14default_configENS1_27scan_by_key_config_selectorIiiEEZZNS1_16scan_by_key_implILNS1_25lookback_scan_determinismE0ELb1ES3_N6thrust23THRUST_200600_302600_NS6detail15normal_iteratorINS9_10device_ptrIiEEEESE_SE_iNS9_4plusIvEENS9_8equal_toIvEEiEE10hipError_tPvRmT2_T3_T4_T5_mT6_T7_P12ihipStream_tbENKUlT_T0_E_clISt17integral_constantIbLb1EESZ_EEDaSU_SV_EUlSU_E_NS1_11comp_targetILNS1_3genE10ELNS1_11target_archE1200ELNS1_3gpuE4ELNS1_3repE0EEENS1_30default_config_static_selectorELNS0_4arch9wavefront6targetE0EEEvT1_,"axG",@progbits,_ZN7rocprim17ROCPRIM_400000_NS6detail17trampoline_kernelINS0_14default_configENS1_27scan_by_key_config_selectorIiiEEZZNS1_16scan_by_key_implILNS1_25lookback_scan_determinismE0ELb1ES3_N6thrust23THRUST_200600_302600_NS6detail15normal_iteratorINS9_10device_ptrIiEEEESE_SE_iNS9_4plusIvEENS9_8equal_toIvEEiEE10hipError_tPvRmT2_T3_T4_T5_mT6_T7_P12ihipStream_tbENKUlT_T0_E_clISt17integral_constantIbLb1EESZ_EEDaSU_SV_EUlSU_E_NS1_11comp_targetILNS1_3genE10ELNS1_11target_archE1200ELNS1_3gpuE4ELNS1_3repE0EEENS1_30default_config_static_selectorELNS0_4arch9wavefront6targetE0EEEvT1_,comdat
.Lfunc_end476:
	.size	_ZN7rocprim17ROCPRIM_400000_NS6detail17trampoline_kernelINS0_14default_configENS1_27scan_by_key_config_selectorIiiEEZZNS1_16scan_by_key_implILNS1_25lookback_scan_determinismE0ELb1ES3_N6thrust23THRUST_200600_302600_NS6detail15normal_iteratorINS9_10device_ptrIiEEEESE_SE_iNS9_4plusIvEENS9_8equal_toIvEEiEE10hipError_tPvRmT2_T3_T4_T5_mT6_T7_P12ihipStream_tbENKUlT_T0_E_clISt17integral_constantIbLb1EESZ_EEDaSU_SV_EUlSU_E_NS1_11comp_targetILNS1_3genE10ELNS1_11target_archE1200ELNS1_3gpuE4ELNS1_3repE0EEENS1_30default_config_static_selectorELNS0_4arch9wavefront6targetE0EEEvT1_, .Lfunc_end476-_ZN7rocprim17ROCPRIM_400000_NS6detail17trampoline_kernelINS0_14default_configENS1_27scan_by_key_config_selectorIiiEEZZNS1_16scan_by_key_implILNS1_25lookback_scan_determinismE0ELb1ES3_N6thrust23THRUST_200600_302600_NS6detail15normal_iteratorINS9_10device_ptrIiEEEESE_SE_iNS9_4plusIvEENS9_8equal_toIvEEiEE10hipError_tPvRmT2_T3_T4_T5_mT6_T7_P12ihipStream_tbENKUlT_T0_E_clISt17integral_constantIbLb1EESZ_EEDaSU_SV_EUlSU_E_NS1_11comp_targetILNS1_3genE10ELNS1_11target_archE1200ELNS1_3gpuE4ELNS1_3repE0EEENS1_30default_config_static_selectorELNS0_4arch9wavefront6targetE0EEEvT1_
                                        ; -- End function
	.set _ZN7rocprim17ROCPRIM_400000_NS6detail17trampoline_kernelINS0_14default_configENS1_27scan_by_key_config_selectorIiiEEZZNS1_16scan_by_key_implILNS1_25lookback_scan_determinismE0ELb1ES3_N6thrust23THRUST_200600_302600_NS6detail15normal_iteratorINS9_10device_ptrIiEEEESE_SE_iNS9_4plusIvEENS9_8equal_toIvEEiEE10hipError_tPvRmT2_T3_T4_T5_mT6_T7_P12ihipStream_tbENKUlT_T0_E_clISt17integral_constantIbLb1EESZ_EEDaSU_SV_EUlSU_E_NS1_11comp_targetILNS1_3genE10ELNS1_11target_archE1200ELNS1_3gpuE4ELNS1_3repE0EEENS1_30default_config_static_selectorELNS0_4arch9wavefront6targetE0EEEvT1_.num_vgpr, 0
	.set _ZN7rocprim17ROCPRIM_400000_NS6detail17trampoline_kernelINS0_14default_configENS1_27scan_by_key_config_selectorIiiEEZZNS1_16scan_by_key_implILNS1_25lookback_scan_determinismE0ELb1ES3_N6thrust23THRUST_200600_302600_NS6detail15normal_iteratorINS9_10device_ptrIiEEEESE_SE_iNS9_4plusIvEENS9_8equal_toIvEEiEE10hipError_tPvRmT2_T3_T4_T5_mT6_T7_P12ihipStream_tbENKUlT_T0_E_clISt17integral_constantIbLb1EESZ_EEDaSU_SV_EUlSU_E_NS1_11comp_targetILNS1_3genE10ELNS1_11target_archE1200ELNS1_3gpuE4ELNS1_3repE0EEENS1_30default_config_static_selectorELNS0_4arch9wavefront6targetE0EEEvT1_.num_agpr, 0
	.set _ZN7rocprim17ROCPRIM_400000_NS6detail17trampoline_kernelINS0_14default_configENS1_27scan_by_key_config_selectorIiiEEZZNS1_16scan_by_key_implILNS1_25lookback_scan_determinismE0ELb1ES3_N6thrust23THRUST_200600_302600_NS6detail15normal_iteratorINS9_10device_ptrIiEEEESE_SE_iNS9_4plusIvEENS9_8equal_toIvEEiEE10hipError_tPvRmT2_T3_T4_T5_mT6_T7_P12ihipStream_tbENKUlT_T0_E_clISt17integral_constantIbLb1EESZ_EEDaSU_SV_EUlSU_E_NS1_11comp_targetILNS1_3genE10ELNS1_11target_archE1200ELNS1_3gpuE4ELNS1_3repE0EEENS1_30default_config_static_selectorELNS0_4arch9wavefront6targetE0EEEvT1_.numbered_sgpr, 0
	.set _ZN7rocprim17ROCPRIM_400000_NS6detail17trampoline_kernelINS0_14default_configENS1_27scan_by_key_config_selectorIiiEEZZNS1_16scan_by_key_implILNS1_25lookback_scan_determinismE0ELb1ES3_N6thrust23THRUST_200600_302600_NS6detail15normal_iteratorINS9_10device_ptrIiEEEESE_SE_iNS9_4plusIvEENS9_8equal_toIvEEiEE10hipError_tPvRmT2_T3_T4_T5_mT6_T7_P12ihipStream_tbENKUlT_T0_E_clISt17integral_constantIbLb1EESZ_EEDaSU_SV_EUlSU_E_NS1_11comp_targetILNS1_3genE10ELNS1_11target_archE1200ELNS1_3gpuE4ELNS1_3repE0EEENS1_30default_config_static_selectorELNS0_4arch9wavefront6targetE0EEEvT1_.num_named_barrier, 0
	.set _ZN7rocprim17ROCPRIM_400000_NS6detail17trampoline_kernelINS0_14default_configENS1_27scan_by_key_config_selectorIiiEEZZNS1_16scan_by_key_implILNS1_25lookback_scan_determinismE0ELb1ES3_N6thrust23THRUST_200600_302600_NS6detail15normal_iteratorINS9_10device_ptrIiEEEESE_SE_iNS9_4plusIvEENS9_8equal_toIvEEiEE10hipError_tPvRmT2_T3_T4_T5_mT6_T7_P12ihipStream_tbENKUlT_T0_E_clISt17integral_constantIbLb1EESZ_EEDaSU_SV_EUlSU_E_NS1_11comp_targetILNS1_3genE10ELNS1_11target_archE1200ELNS1_3gpuE4ELNS1_3repE0EEENS1_30default_config_static_selectorELNS0_4arch9wavefront6targetE0EEEvT1_.private_seg_size, 0
	.set _ZN7rocprim17ROCPRIM_400000_NS6detail17trampoline_kernelINS0_14default_configENS1_27scan_by_key_config_selectorIiiEEZZNS1_16scan_by_key_implILNS1_25lookback_scan_determinismE0ELb1ES3_N6thrust23THRUST_200600_302600_NS6detail15normal_iteratorINS9_10device_ptrIiEEEESE_SE_iNS9_4plusIvEENS9_8equal_toIvEEiEE10hipError_tPvRmT2_T3_T4_T5_mT6_T7_P12ihipStream_tbENKUlT_T0_E_clISt17integral_constantIbLb1EESZ_EEDaSU_SV_EUlSU_E_NS1_11comp_targetILNS1_3genE10ELNS1_11target_archE1200ELNS1_3gpuE4ELNS1_3repE0EEENS1_30default_config_static_selectorELNS0_4arch9wavefront6targetE0EEEvT1_.uses_vcc, 0
	.set _ZN7rocprim17ROCPRIM_400000_NS6detail17trampoline_kernelINS0_14default_configENS1_27scan_by_key_config_selectorIiiEEZZNS1_16scan_by_key_implILNS1_25lookback_scan_determinismE0ELb1ES3_N6thrust23THRUST_200600_302600_NS6detail15normal_iteratorINS9_10device_ptrIiEEEESE_SE_iNS9_4plusIvEENS9_8equal_toIvEEiEE10hipError_tPvRmT2_T3_T4_T5_mT6_T7_P12ihipStream_tbENKUlT_T0_E_clISt17integral_constantIbLb1EESZ_EEDaSU_SV_EUlSU_E_NS1_11comp_targetILNS1_3genE10ELNS1_11target_archE1200ELNS1_3gpuE4ELNS1_3repE0EEENS1_30default_config_static_selectorELNS0_4arch9wavefront6targetE0EEEvT1_.uses_flat_scratch, 0
	.set _ZN7rocprim17ROCPRIM_400000_NS6detail17trampoline_kernelINS0_14default_configENS1_27scan_by_key_config_selectorIiiEEZZNS1_16scan_by_key_implILNS1_25lookback_scan_determinismE0ELb1ES3_N6thrust23THRUST_200600_302600_NS6detail15normal_iteratorINS9_10device_ptrIiEEEESE_SE_iNS9_4plusIvEENS9_8equal_toIvEEiEE10hipError_tPvRmT2_T3_T4_T5_mT6_T7_P12ihipStream_tbENKUlT_T0_E_clISt17integral_constantIbLb1EESZ_EEDaSU_SV_EUlSU_E_NS1_11comp_targetILNS1_3genE10ELNS1_11target_archE1200ELNS1_3gpuE4ELNS1_3repE0EEENS1_30default_config_static_selectorELNS0_4arch9wavefront6targetE0EEEvT1_.has_dyn_sized_stack, 0
	.set _ZN7rocprim17ROCPRIM_400000_NS6detail17trampoline_kernelINS0_14default_configENS1_27scan_by_key_config_selectorIiiEEZZNS1_16scan_by_key_implILNS1_25lookback_scan_determinismE0ELb1ES3_N6thrust23THRUST_200600_302600_NS6detail15normal_iteratorINS9_10device_ptrIiEEEESE_SE_iNS9_4plusIvEENS9_8equal_toIvEEiEE10hipError_tPvRmT2_T3_T4_T5_mT6_T7_P12ihipStream_tbENKUlT_T0_E_clISt17integral_constantIbLb1EESZ_EEDaSU_SV_EUlSU_E_NS1_11comp_targetILNS1_3genE10ELNS1_11target_archE1200ELNS1_3gpuE4ELNS1_3repE0EEENS1_30default_config_static_selectorELNS0_4arch9wavefront6targetE0EEEvT1_.has_recursion, 0
	.set _ZN7rocprim17ROCPRIM_400000_NS6detail17trampoline_kernelINS0_14default_configENS1_27scan_by_key_config_selectorIiiEEZZNS1_16scan_by_key_implILNS1_25lookback_scan_determinismE0ELb1ES3_N6thrust23THRUST_200600_302600_NS6detail15normal_iteratorINS9_10device_ptrIiEEEESE_SE_iNS9_4plusIvEENS9_8equal_toIvEEiEE10hipError_tPvRmT2_T3_T4_T5_mT6_T7_P12ihipStream_tbENKUlT_T0_E_clISt17integral_constantIbLb1EESZ_EEDaSU_SV_EUlSU_E_NS1_11comp_targetILNS1_3genE10ELNS1_11target_archE1200ELNS1_3gpuE4ELNS1_3repE0EEENS1_30default_config_static_selectorELNS0_4arch9wavefront6targetE0EEEvT1_.has_indirect_call, 0
	.section	.AMDGPU.csdata,"",@progbits
; Kernel info:
; codeLenInByte = 0
; TotalNumSgprs: 0
; NumVgprs: 0
; ScratchSize: 0
; MemoryBound: 0
; FloatMode: 240
; IeeeMode: 1
; LDSByteSize: 0 bytes/workgroup (compile time only)
; SGPRBlocks: 0
; VGPRBlocks: 0
; NumSGPRsForWavesPerEU: 1
; NumVGPRsForWavesPerEU: 1
; NamedBarCnt: 0
; Occupancy: 16
; WaveLimiterHint : 0
; COMPUTE_PGM_RSRC2:SCRATCH_EN: 0
; COMPUTE_PGM_RSRC2:USER_SGPR: 2
; COMPUTE_PGM_RSRC2:TRAP_HANDLER: 0
; COMPUTE_PGM_RSRC2:TGID_X_EN: 1
; COMPUTE_PGM_RSRC2:TGID_Y_EN: 0
; COMPUTE_PGM_RSRC2:TGID_Z_EN: 0
; COMPUTE_PGM_RSRC2:TIDIG_COMP_CNT: 0
	.section	.text._ZN7rocprim17ROCPRIM_400000_NS6detail17trampoline_kernelINS0_14default_configENS1_27scan_by_key_config_selectorIiiEEZZNS1_16scan_by_key_implILNS1_25lookback_scan_determinismE0ELb1ES3_N6thrust23THRUST_200600_302600_NS6detail15normal_iteratorINS9_10device_ptrIiEEEESE_SE_iNS9_4plusIvEENS9_8equal_toIvEEiEE10hipError_tPvRmT2_T3_T4_T5_mT6_T7_P12ihipStream_tbENKUlT_T0_E_clISt17integral_constantIbLb1EESZ_EEDaSU_SV_EUlSU_E_NS1_11comp_targetILNS1_3genE9ELNS1_11target_archE1100ELNS1_3gpuE3ELNS1_3repE0EEENS1_30default_config_static_selectorELNS0_4arch9wavefront6targetE0EEEvT1_,"axG",@progbits,_ZN7rocprim17ROCPRIM_400000_NS6detail17trampoline_kernelINS0_14default_configENS1_27scan_by_key_config_selectorIiiEEZZNS1_16scan_by_key_implILNS1_25lookback_scan_determinismE0ELb1ES3_N6thrust23THRUST_200600_302600_NS6detail15normal_iteratorINS9_10device_ptrIiEEEESE_SE_iNS9_4plusIvEENS9_8equal_toIvEEiEE10hipError_tPvRmT2_T3_T4_T5_mT6_T7_P12ihipStream_tbENKUlT_T0_E_clISt17integral_constantIbLb1EESZ_EEDaSU_SV_EUlSU_E_NS1_11comp_targetILNS1_3genE9ELNS1_11target_archE1100ELNS1_3gpuE3ELNS1_3repE0EEENS1_30default_config_static_selectorELNS0_4arch9wavefront6targetE0EEEvT1_,comdat
	.protected	_ZN7rocprim17ROCPRIM_400000_NS6detail17trampoline_kernelINS0_14default_configENS1_27scan_by_key_config_selectorIiiEEZZNS1_16scan_by_key_implILNS1_25lookback_scan_determinismE0ELb1ES3_N6thrust23THRUST_200600_302600_NS6detail15normal_iteratorINS9_10device_ptrIiEEEESE_SE_iNS9_4plusIvEENS9_8equal_toIvEEiEE10hipError_tPvRmT2_T3_T4_T5_mT6_T7_P12ihipStream_tbENKUlT_T0_E_clISt17integral_constantIbLb1EESZ_EEDaSU_SV_EUlSU_E_NS1_11comp_targetILNS1_3genE9ELNS1_11target_archE1100ELNS1_3gpuE3ELNS1_3repE0EEENS1_30default_config_static_selectorELNS0_4arch9wavefront6targetE0EEEvT1_ ; -- Begin function _ZN7rocprim17ROCPRIM_400000_NS6detail17trampoline_kernelINS0_14default_configENS1_27scan_by_key_config_selectorIiiEEZZNS1_16scan_by_key_implILNS1_25lookback_scan_determinismE0ELb1ES3_N6thrust23THRUST_200600_302600_NS6detail15normal_iteratorINS9_10device_ptrIiEEEESE_SE_iNS9_4plusIvEENS9_8equal_toIvEEiEE10hipError_tPvRmT2_T3_T4_T5_mT6_T7_P12ihipStream_tbENKUlT_T0_E_clISt17integral_constantIbLb1EESZ_EEDaSU_SV_EUlSU_E_NS1_11comp_targetILNS1_3genE9ELNS1_11target_archE1100ELNS1_3gpuE3ELNS1_3repE0EEENS1_30default_config_static_selectorELNS0_4arch9wavefront6targetE0EEEvT1_
	.globl	_ZN7rocprim17ROCPRIM_400000_NS6detail17trampoline_kernelINS0_14default_configENS1_27scan_by_key_config_selectorIiiEEZZNS1_16scan_by_key_implILNS1_25lookback_scan_determinismE0ELb1ES3_N6thrust23THRUST_200600_302600_NS6detail15normal_iteratorINS9_10device_ptrIiEEEESE_SE_iNS9_4plusIvEENS9_8equal_toIvEEiEE10hipError_tPvRmT2_T3_T4_T5_mT6_T7_P12ihipStream_tbENKUlT_T0_E_clISt17integral_constantIbLb1EESZ_EEDaSU_SV_EUlSU_E_NS1_11comp_targetILNS1_3genE9ELNS1_11target_archE1100ELNS1_3gpuE3ELNS1_3repE0EEENS1_30default_config_static_selectorELNS0_4arch9wavefront6targetE0EEEvT1_
	.p2align	8
	.type	_ZN7rocprim17ROCPRIM_400000_NS6detail17trampoline_kernelINS0_14default_configENS1_27scan_by_key_config_selectorIiiEEZZNS1_16scan_by_key_implILNS1_25lookback_scan_determinismE0ELb1ES3_N6thrust23THRUST_200600_302600_NS6detail15normal_iteratorINS9_10device_ptrIiEEEESE_SE_iNS9_4plusIvEENS9_8equal_toIvEEiEE10hipError_tPvRmT2_T3_T4_T5_mT6_T7_P12ihipStream_tbENKUlT_T0_E_clISt17integral_constantIbLb1EESZ_EEDaSU_SV_EUlSU_E_NS1_11comp_targetILNS1_3genE9ELNS1_11target_archE1100ELNS1_3gpuE3ELNS1_3repE0EEENS1_30default_config_static_selectorELNS0_4arch9wavefront6targetE0EEEvT1_,@function
_ZN7rocprim17ROCPRIM_400000_NS6detail17trampoline_kernelINS0_14default_configENS1_27scan_by_key_config_selectorIiiEEZZNS1_16scan_by_key_implILNS1_25lookback_scan_determinismE0ELb1ES3_N6thrust23THRUST_200600_302600_NS6detail15normal_iteratorINS9_10device_ptrIiEEEESE_SE_iNS9_4plusIvEENS9_8equal_toIvEEiEE10hipError_tPvRmT2_T3_T4_T5_mT6_T7_P12ihipStream_tbENKUlT_T0_E_clISt17integral_constantIbLb1EESZ_EEDaSU_SV_EUlSU_E_NS1_11comp_targetILNS1_3genE9ELNS1_11target_archE1100ELNS1_3gpuE3ELNS1_3repE0EEENS1_30default_config_static_selectorELNS0_4arch9wavefront6targetE0EEEvT1_: ; @_ZN7rocprim17ROCPRIM_400000_NS6detail17trampoline_kernelINS0_14default_configENS1_27scan_by_key_config_selectorIiiEEZZNS1_16scan_by_key_implILNS1_25lookback_scan_determinismE0ELb1ES3_N6thrust23THRUST_200600_302600_NS6detail15normal_iteratorINS9_10device_ptrIiEEEESE_SE_iNS9_4plusIvEENS9_8equal_toIvEEiEE10hipError_tPvRmT2_T3_T4_T5_mT6_T7_P12ihipStream_tbENKUlT_T0_E_clISt17integral_constantIbLb1EESZ_EEDaSU_SV_EUlSU_E_NS1_11comp_targetILNS1_3genE9ELNS1_11target_archE1100ELNS1_3gpuE3ELNS1_3repE0EEENS1_30default_config_static_selectorELNS0_4arch9wavefront6targetE0EEEvT1_
; %bb.0:
	.section	.rodata,"a",@progbits
	.p2align	6, 0x0
	.amdhsa_kernel _ZN7rocprim17ROCPRIM_400000_NS6detail17trampoline_kernelINS0_14default_configENS1_27scan_by_key_config_selectorIiiEEZZNS1_16scan_by_key_implILNS1_25lookback_scan_determinismE0ELb1ES3_N6thrust23THRUST_200600_302600_NS6detail15normal_iteratorINS9_10device_ptrIiEEEESE_SE_iNS9_4plusIvEENS9_8equal_toIvEEiEE10hipError_tPvRmT2_T3_T4_T5_mT6_T7_P12ihipStream_tbENKUlT_T0_E_clISt17integral_constantIbLb1EESZ_EEDaSU_SV_EUlSU_E_NS1_11comp_targetILNS1_3genE9ELNS1_11target_archE1100ELNS1_3gpuE3ELNS1_3repE0EEENS1_30default_config_static_selectorELNS0_4arch9wavefront6targetE0EEEvT1_
		.amdhsa_group_segment_fixed_size 0
		.amdhsa_private_segment_fixed_size 0
		.amdhsa_kernarg_size 112
		.amdhsa_user_sgpr_count 2
		.amdhsa_user_sgpr_dispatch_ptr 0
		.amdhsa_user_sgpr_queue_ptr 0
		.amdhsa_user_sgpr_kernarg_segment_ptr 1
		.amdhsa_user_sgpr_dispatch_id 0
		.amdhsa_user_sgpr_kernarg_preload_length 0
		.amdhsa_user_sgpr_kernarg_preload_offset 0
		.amdhsa_user_sgpr_private_segment_size 0
		.amdhsa_wavefront_size32 1
		.amdhsa_uses_dynamic_stack 0
		.amdhsa_enable_private_segment 0
		.amdhsa_system_sgpr_workgroup_id_x 1
		.amdhsa_system_sgpr_workgroup_id_y 0
		.amdhsa_system_sgpr_workgroup_id_z 0
		.amdhsa_system_sgpr_workgroup_info 0
		.amdhsa_system_vgpr_workitem_id 0
		.amdhsa_next_free_vgpr 1
		.amdhsa_next_free_sgpr 1
		.amdhsa_named_barrier_count 0
		.amdhsa_reserve_vcc 0
		.amdhsa_float_round_mode_32 0
		.amdhsa_float_round_mode_16_64 0
		.amdhsa_float_denorm_mode_32 3
		.amdhsa_float_denorm_mode_16_64 3
		.amdhsa_fp16_overflow 0
		.amdhsa_memory_ordered 1
		.amdhsa_forward_progress 1
		.amdhsa_inst_pref_size 0
		.amdhsa_round_robin_scheduling 0
		.amdhsa_exception_fp_ieee_invalid_op 0
		.amdhsa_exception_fp_denorm_src 0
		.amdhsa_exception_fp_ieee_div_zero 0
		.amdhsa_exception_fp_ieee_overflow 0
		.amdhsa_exception_fp_ieee_underflow 0
		.amdhsa_exception_fp_ieee_inexact 0
		.amdhsa_exception_int_div_zero 0
	.end_amdhsa_kernel
	.section	.text._ZN7rocprim17ROCPRIM_400000_NS6detail17trampoline_kernelINS0_14default_configENS1_27scan_by_key_config_selectorIiiEEZZNS1_16scan_by_key_implILNS1_25lookback_scan_determinismE0ELb1ES3_N6thrust23THRUST_200600_302600_NS6detail15normal_iteratorINS9_10device_ptrIiEEEESE_SE_iNS9_4plusIvEENS9_8equal_toIvEEiEE10hipError_tPvRmT2_T3_T4_T5_mT6_T7_P12ihipStream_tbENKUlT_T0_E_clISt17integral_constantIbLb1EESZ_EEDaSU_SV_EUlSU_E_NS1_11comp_targetILNS1_3genE9ELNS1_11target_archE1100ELNS1_3gpuE3ELNS1_3repE0EEENS1_30default_config_static_selectorELNS0_4arch9wavefront6targetE0EEEvT1_,"axG",@progbits,_ZN7rocprim17ROCPRIM_400000_NS6detail17trampoline_kernelINS0_14default_configENS1_27scan_by_key_config_selectorIiiEEZZNS1_16scan_by_key_implILNS1_25lookback_scan_determinismE0ELb1ES3_N6thrust23THRUST_200600_302600_NS6detail15normal_iteratorINS9_10device_ptrIiEEEESE_SE_iNS9_4plusIvEENS9_8equal_toIvEEiEE10hipError_tPvRmT2_T3_T4_T5_mT6_T7_P12ihipStream_tbENKUlT_T0_E_clISt17integral_constantIbLb1EESZ_EEDaSU_SV_EUlSU_E_NS1_11comp_targetILNS1_3genE9ELNS1_11target_archE1100ELNS1_3gpuE3ELNS1_3repE0EEENS1_30default_config_static_selectorELNS0_4arch9wavefront6targetE0EEEvT1_,comdat
.Lfunc_end477:
	.size	_ZN7rocprim17ROCPRIM_400000_NS6detail17trampoline_kernelINS0_14default_configENS1_27scan_by_key_config_selectorIiiEEZZNS1_16scan_by_key_implILNS1_25lookback_scan_determinismE0ELb1ES3_N6thrust23THRUST_200600_302600_NS6detail15normal_iteratorINS9_10device_ptrIiEEEESE_SE_iNS9_4plusIvEENS9_8equal_toIvEEiEE10hipError_tPvRmT2_T3_T4_T5_mT6_T7_P12ihipStream_tbENKUlT_T0_E_clISt17integral_constantIbLb1EESZ_EEDaSU_SV_EUlSU_E_NS1_11comp_targetILNS1_3genE9ELNS1_11target_archE1100ELNS1_3gpuE3ELNS1_3repE0EEENS1_30default_config_static_selectorELNS0_4arch9wavefront6targetE0EEEvT1_, .Lfunc_end477-_ZN7rocprim17ROCPRIM_400000_NS6detail17trampoline_kernelINS0_14default_configENS1_27scan_by_key_config_selectorIiiEEZZNS1_16scan_by_key_implILNS1_25lookback_scan_determinismE0ELb1ES3_N6thrust23THRUST_200600_302600_NS6detail15normal_iteratorINS9_10device_ptrIiEEEESE_SE_iNS9_4plusIvEENS9_8equal_toIvEEiEE10hipError_tPvRmT2_T3_T4_T5_mT6_T7_P12ihipStream_tbENKUlT_T0_E_clISt17integral_constantIbLb1EESZ_EEDaSU_SV_EUlSU_E_NS1_11comp_targetILNS1_3genE9ELNS1_11target_archE1100ELNS1_3gpuE3ELNS1_3repE0EEENS1_30default_config_static_selectorELNS0_4arch9wavefront6targetE0EEEvT1_
                                        ; -- End function
	.set _ZN7rocprim17ROCPRIM_400000_NS6detail17trampoline_kernelINS0_14default_configENS1_27scan_by_key_config_selectorIiiEEZZNS1_16scan_by_key_implILNS1_25lookback_scan_determinismE0ELb1ES3_N6thrust23THRUST_200600_302600_NS6detail15normal_iteratorINS9_10device_ptrIiEEEESE_SE_iNS9_4plusIvEENS9_8equal_toIvEEiEE10hipError_tPvRmT2_T3_T4_T5_mT6_T7_P12ihipStream_tbENKUlT_T0_E_clISt17integral_constantIbLb1EESZ_EEDaSU_SV_EUlSU_E_NS1_11comp_targetILNS1_3genE9ELNS1_11target_archE1100ELNS1_3gpuE3ELNS1_3repE0EEENS1_30default_config_static_selectorELNS0_4arch9wavefront6targetE0EEEvT1_.num_vgpr, 0
	.set _ZN7rocprim17ROCPRIM_400000_NS6detail17trampoline_kernelINS0_14default_configENS1_27scan_by_key_config_selectorIiiEEZZNS1_16scan_by_key_implILNS1_25lookback_scan_determinismE0ELb1ES3_N6thrust23THRUST_200600_302600_NS6detail15normal_iteratorINS9_10device_ptrIiEEEESE_SE_iNS9_4plusIvEENS9_8equal_toIvEEiEE10hipError_tPvRmT2_T3_T4_T5_mT6_T7_P12ihipStream_tbENKUlT_T0_E_clISt17integral_constantIbLb1EESZ_EEDaSU_SV_EUlSU_E_NS1_11comp_targetILNS1_3genE9ELNS1_11target_archE1100ELNS1_3gpuE3ELNS1_3repE0EEENS1_30default_config_static_selectorELNS0_4arch9wavefront6targetE0EEEvT1_.num_agpr, 0
	.set _ZN7rocprim17ROCPRIM_400000_NS6detail17trampoline_kernelINS0_14default_configENS1_27scan_by_key_config_selectorIiiEEZZNS1_16scan_by_key_implILNS1_25lookback_scan_determinismE0ELb1ES3_N6thrust23THRUST_200600_302600_NS6detail15normal_iteratorINS9_10device_ptrIiEEEESE_SE_iNS9_4plusIvEENS9_8equal_toIvEEiEE10hipError_tPvRmT2_T3_T4_T5_mT6_T7_P12ihipStream_tbENKUlT_T0_E_clISt17integral_constantIbLb1EESZ_EEDaSU_SV_EUlSU_E_NS1_11comp_targetILNS1_3genE9ELNS1_11target_archE1100ELNS1_3gpuE3ELNS1_3repE0EEENS1_30default_config_static_selectorELNS0_4arch9wavefront6targetE0EEEvT1_.numbered_sgpr, 0
	.set _ZN7rocprim17ROCPRIM_400000_NS6detail17trampoline_kernelINS0_14default_configENS1_27scan_by_key_config_selectorIiiEEZZNS1_16scan_by_key_implILNS1_25lookback_scan_determinismE0ELb1ES3_N6thrust23THRUST_200600_302600_NS6detail15normal_iteratorINS9_10device_ptrIiEEEESE_SE_iNS9_4plusIvEENS9_8equal_toIvEEiEE10hipError_tPvRmT2_T3_T4_T5_mT6_T7_P12ihipStream_tbENKUlT_T0_E_clISt17integral_constantIbLb1EESZ_EEDaSU_SV_EUlSU_E_NS1_11comp_targetILNS1_3genE9ELNS1_11target_archE1100ELNS1_3gpuE3ELNS1_3repE0EEENS1_30default_config_static_selectorELNS0_4arch9wavefront6targetE0EEEvT1_.num_named_barrier, 0
	.set _ZN7rocprim17ROCPRIM_400000_NS6detail17trampoline_kernelINS0_14default_configENS1_27scan_by_key_config_selectorIiiEEZZNS1_16scan_by_key_implILNS1_25lookback_scan_determinismE0ELb1ES3_N6thrust23THRUST_200600_302600_NS6detail15normal_iteratorINS9_10device_ptrIiEEEESE_SE_iNS9_4plusIvEENS9_8equal_toIvEEiEE10hipError_tPvRmT2_T3_T4_T5_mT6_T7_P12ihipStream_tbENKUlT_T0_E_clISt17integral_constantIbLb1EESZ_EEDaSU_SV_EUlSU_E_NS1_11comp_targetILNS1_3genE9ELNS1_11target_archE1100ELNS1_3gpuE3ELNS1_3repE0EEENS1_30default_config_static_selectorELNS0_4arch9wavefront6targetE0EEEvT1_.private_seg_size, 0
	.set _ZN7rocprim17ROCPRIM_400000_NS6detail17trampoline_kernelINS0_14default_configENS1_27scan_by_key_config_selectorIiiEEZZNS1_16scan_by_key_implILNS1_25lookback_scan_determinismE0ELb1ES3_N6thrust23THRUST_200600_302600_NS6detail15normal_iteratorINS9_10device_ptrIiEEEESE_SE_iNS9_4plusIvEENS9_8equal_toIvEEiEE10hipError_tPvRmT2_T3_T4_T5_mT6_T7_P12ihipStream_tbENKUlT_T0_E_clISt17integral_constantIbLb1EESZ_EEDaSU_SV_EUlSU_E_NS1_11comp_targetILNS1_3genE9ELNS1_11target_archE1100ELNS1_3gpuE3ELNS1_3repE0EEENS1_30default_config_static_selectorELNS0_4arch9wavefront6targetE0EEEvT1_.uses_vcc, 0
	.set _ZN7rocprim17ROCPRIM_400000_NS6detail17trampoline_kernelINS0_14default_configENS1_27scan_by_key_config_selectorIiiEEZZNS1_16scan_by_key_implILNS1_25lookback_scan_determinismE0ELb1ES3_N6thrust23THRUST_200600_302600_NS6detail15normal_iteratorINS9_10device_ptrIiEEEESE_SE_iNS9_4plusIvEENS9_8equal_toIvEEiEE10hipError_tPvRmT2_T3_T4_T5_mT6_T7_P12ihipStream_tbENKUlT_T0_E_clISt17integral_constantIbLb1EESZ_EEDaSU_SV_EUlSU_E_NS1_11comp_targetILNS1_3genE9ELNS1_11target_archE1100ELNS1_3gpuE3ELNS1_3repE0EEENS1_30default_config_static_selectorELNS0_4arch9wavefront6targetE0EEEvT1_.uses_flat_scratch, 0
	.set _ZN7rocprim17ROCPRIM_400000_NS6detail17trampoline_kernelINS0_14default_configENS1_27scan_by_key_config_selectorIiiEEZZNS1_16scan_by_key_implILNS1_25lookback_scan_determinismE0ELb1ES3_N6thrust23THRUST_200600_302600_NS6detail15normal_iteratorINS9_10device_ptrIiEEEESE_SE_iNS9_4plusIvEENS9_8equal_toIvEEiEE10hipError_tPvRmT2_T3_T4_T5_mT6_T7_P12ihipStream_tbENKUlT_T0_E_clISt17integral_constantIbLb1EESZ_EEDaSU_SV_EUlSU_E_NS1_11comp_targetILNS1_3genE9ELNS1_11target_archE1100ELNS1_3gpuE3ELNS1_3repE0EEENS1_30default_config_static_selectorELNS0_4arch9wavefront6targetE0EEEvT1_.has_dyn_sized_stack, 0
	.set _ZN7rocprim17ROCPRIM_400000_NS6detail17trampoline_kernelINS0_14default_configENS1_27scan_by_key_config_selectorIiiEEZZNS1_16scan_by_key_implILNS1_25lookback_scan_determinismE0ELb1ES3_N6thrust23THRUST_200600_302600_NS6detail15normal_iteratorINS9_10device_ptrIiEEEESE_SE_iNS9_4plusIvEENS9_8equal_toIvEEiEE10hipError_tPvRmT2_T3_T4_T5_mT6_T7_P12ihipStream_tbENKUlT_T0_E_clISt17integral_constantIbLb1EESZ_EEDaSU_SV_EUlSU_E_NS1_11comp_targetILNS1_3genE9ELNS1_11target_archE1100ELNS1_3gpuE3ELNS1_3repE0EEENS1_30default_config_static_selectorELNS0_4arch9wavefront6targetE0EEEvT1_.has_recursion, 0
	.set _ZN7rocprim17ROCPRIM_400000_NS6detail17trampoline_kernelINS0_14default_configENS1_27scan_by_key_config_selectorIiiEEZZNS1_16scan_by_key_implILNS1_25lookback_scan_determinismE0ELb1ES3_N6thrust23THRUST_200600_302600_NS6detail15normal_iteratorINS9_10device_ptrIiEEEESE_SE_iNS9_4plusIvEENS9_8equal_toIvEEiEE10hipError_tPvRmT2_T3_T4_T5_mT6_T7_P12ihipStream_tbENKUlT_T0_E_clISt17integral_constantIbLb1EESZ_EEDaSU_SV_EUlSU_E_NS1_11comp_targetILNS1_3genE9ELNS1_11target_archE1100ELNS1_3gpuE3ELNS1_3repE0EEENS1_30default_config_static_selectorELNS0_4arch9wavefront6targetE0EEEvT1_.has_indirect_call, 0
	.section	.AMDGPU.csdata,"",@progbits
; Kernel info:
; codeLenInByte = 0
; TotalNumSgprs: 0
; NumVgprs: 0
; ScratchSize: 0
; MemoryBound: 0
; FloatMode: 240
; IeeeMode: 1
; LDSByteSize: 0 bytes/workgroup (compile time only)
; SGPRBlocks: 0
; VGPRBlocks: 0
; NumSGPRsForWavesPerEU: 1
; NumVGPRsForWavesPerEU: 1
; NamedBarCnt: 0
; Occupancy: 16
; WaveLimiterHint : 0
; COMPUTE_PGM_RSRC2:SCRATCH_EN: 0
; COMPUTE_PGM_RSRC2:USER_SGPR: 2
; COMPUTE_PGM_RSRC2:TRAP_HANDLER: 0
; COMPUTE_PGM_RSRC2:TGID_X_EN: 1
; COMPUTE_PGM_RSRC2:TGID_Y_EN: 0
; COMPUTE_PGM_RSRC2:TGID_Z_EN: 0
; COMPUTE_PGM_RSRC2:TIDIG_COMP_CNT: 0
	.section	.text._ZN7rocprim17ROCPRIM_400000_NS6detail17trampoline_kernelINS0_14default_configENS1_27scan_by_key_config_selectorIiiEEZZNS1_16scan_by_key_implILNS1_25lookback_scan_determinismE0ELb1ES3_N6thrust23THRUST_200600_302600_NS6detail15normal_iteratorINS9_10device_ptrIiEEEESE_SE_iNS9_4plusIvEENS9_8equal_toIvEEiEE10hipError_tPvRmT2_T3_T4_T5_mT6_T7_P12ihipStream_tbENKUlT_T0_E_clISt17integral_constantIbLb1EESZ_EEDaSU_SV_EUlSU_E_NS1_11comp_targetILNS1_3genE8ELNS1_11target_archE1030ELNS1_3gpuE2ELNS1_3repE0EEENS1_30default_config_static_selectorELNS0_4arch9wavefront6targetE0EEEvT1_,"axG",@progbits,_ZN7rocprim17ROCPRIM_400000_NS6detail17trampoline_kernelINS0_14default_configENS1_27scan_by_key_config_selectorIiiEEZZNS1_16scan_by_key_implILNS1_25lookback_scan_determinismE0ELb1ES3_N6thrust23THRUST_200600_302600_NS6detail15normal_iteratorINS9_10device_ptrIiEEEESE_SE_iNS9_4plusIvEENS9_8equal_toIvEEiEE10hipError_tPvRmT2_T3_T4_T5_mT6_T7_P12ihipStream_tbENKUlT_T0_E_clISt17integral_constantIbLb1EESZ_EEDaSU_SV_EUlSU_E_NS1_11comp_targetILNS1_3genE8ELNS1_11target_archE1030ELNS1_3gpuE2ELNS1_3repE0EEENS1_30default_config_static_selectorELNS0_4arch9wavefront6targetE0EEEvT1_,comdat
	.protected	_ZN7rocprim17ROCPRIM_400000_NS6detail17trampoline_kernelINS0_14default_configENS1_27scan_by_key_config_selectorIiiEEZZNS1_16scan_by_key_implILNS1_25lookback_scan_determinismE0ELb1ES3_N6thrust23THRUST_200600_302600_NS6detail15normal_iteratorINS9_10device_ptrIiEEEESE_SE_iNS9_4plusIvEENS9_8equal_toIvEEiEE10hipError_tPvRmT2_T3_T4_T5_mT6_T7_P12ihipStream_tbENKUlT_T0_E_clISt17integral_constantIbLb1EESZ_EEDaSU_SV_EUlSU_E_NS1_11comp_targetILNS1_3genE8ELNS1_11target_archE1030ELNS1_3gpuE2ELNS1_3repE0EEENS1_30default_config_static_selectorELNS0_4arch9wavefront6targetE0EEEvT1_ ; -- Begin function _ZN7rocprim17ROCPRIM_400000_NS6detail17trampoline_kernelINS0_14default_configENS1_27scan_by_key_config_selectorIiiEEZZNS1_16scan_by_key_implILNS1_25lookback_scan_determinismE0ELb1ES3_N6thrust23THRUST_200600_302600_NS6detail15normal_iteratorINS9_10device_ptrIiEEEESE_SE_iNS9_4plusIvEENS9_8equal_toIvEEiEE10hipError_tPvRmT2_T3_T4_T5_mT6_T7_P12ihipStream_tbENKUlT_T0_E_clISt17integral_constantIbLb1EESZ_EEDaSU_SV_EUlSU_E_NS1_11comp_targetILNS1_3genE8ELNS1_11target_archE1030ELNS1_3gpuE2ELNS1_3repE0EEENS1_30default_config_static_selectorELNS0_4arch9wavefront6targetE0EEEvT1_
	.globl	_ZN7rocprim17ROCPRIM_400000_NS6detail17trampoline_kernelINS0_14default_configENS1_27scan_by_key_config_selectorIiiEEZZNS1_16scan_by_key_implILNS1_25lookback_scan_determinismE0ELb1ES3_N6thrust23THRUST_200600_302600_NS6detail15normal_iteratorINS9_10device_ptrIiEEEESE_SE_iNS9_4plusIvEENS9_8equal_toIvEEiEE10hipError_tPvRmT2_T3_T4_T5_mT6_T7_P12ihipStream_tbENKUlT_T0_E_clISt17integral_constantIbLb1EESZ_EEDaSU_SV_EUlSU_E_NS1_11comp_targetILNS1_3genE8ELNS1_11target_archE1030ELNS1_3gpuE2ELNS1_3repE0EEENS1_30default_config_static_selectorELNS0_4arch9wavefront6targetE0EEEvT1_
	.p2align	8
	.type	_ZN7rocprim17ROCPRIM_400000_NS6detail17trampoline_kernelINS0_14default_configENS1_27scan_by_key_config_selectorIiiEEZZNS1_16scan_by_key_implILNS1_25lookback_scan_determinismE0ELb1ES3_N6thrust23THRUST_200600_302600_NS6detail15normal_iteratorINS9_10device_ptrIiEEEESE_SE_iNS9_4plusIvEENS9_8equal_toIvEEiEE10hipError_tPvRmT2_T3_T4_T5_mT6_T7_P12ihipStream_tbENKUlT_T0_E_clISt17integral_constantIbLb1EESZ_EEDaSU_SV_EUlSU_E_NS1_11comp_targetILNS1_3genE8ELNS1_11target_archE1030ELNS1_3gpuE2ELNS1_3repE0EEENS1_30default_config_static_selectorELNS0_4arch9wavefront6targetE0EEEvT1_,@function
_ZN7rocprim17ROCPRIM_400000_NS6detail17trampoline_kernelINS0_14default_configENS1_27scan_by_key_config_selectorIiiEEZZNS1_16scan_by_key_implILNS1_25lookback_scan_determinismE0ELb1ES3_N6thrust23THRUST_200600_302600_NS6detail15normal_iteratorINS9_10device_ptrIiEEEESE_SE_iNS9_4plusIvEENS9_8equal_toIvEEiEE10hipError_tPvRmT2_T3_T4_T5_mT6_T7_P12ihipStream_tbENKUlT_T0_E_clISt17integral_constantIbLb1EESZ_EEDaSU_SV_EUlSU_E_NS1_11comp_targetILNS1_3genE8ELNS1_11target_archE1030ELNS1_3gpuE2ELNS1_3repE0EEENS1_30default_config_static_selectorELNS0_4arch9wavefront6targetE0EEEvT1_: ; @_ZN7rocprim17ROCPRIM_400000_NS6detail17trampoline_kernelINS0_14default_configENS1_27scan_by_key_config_selectorIiiEEZZNS1_16scan_by_key_implILNS1_25lookback_scan_determinismE0ELb1ES3_N6thrust23THRUST_200600_302600_NS6detail15normal_iteratorINS9_10device_ptrIiEEEESE_SE_iNS9_4plusIvEENS9_8equal_toIvEEiEE10hipError_tPvRmT2_T3_T4_T5_mT6_T7_P12ihipStream_tbENKUlT_T0_E_clISt17integral_constantIbLb1EESZ_EEDaSU_SV_EUlSU_E_NS1_11comp_targetILNS1_3genE8ELNS1_11target_archE1030ELNS1_3gpuE2ELNS1_3repE0EEENS1_30default_config_static_selectorELNS0_4arch9wavefront6targetE0EEEvT1_
; %bb.0:
	.section	.rodata,"a",@progbits
	.p2align	6, 0x0
	.amdhsa_kernel _ZN7rocprim17ROCPRIM_400000_NS6detail17trampoline_kernelINS0_14default_configENS1_27scan_by_key_config_selectorIiiEEZZNS1_16scan_by_key_implILNS1_25lookback_scan_determinismE0ELb1ES3_N6thrust23THRUST_200600_302600_NS6detail15normal_iteratorINS9_10device_ptrIiEEEESE_SE_iNS9_4plusIvEENS9_8equal_toIvEEiEE10hipError_tPvRmT2_T3_T4_T5_mT6_T7_P12ihipStream_tbENKUlT_T0_E_clISt17integral_constantIbLb1EESZ_EEDaSU_SV_EUlSU_E_NS1_11comp_targetILNS1_3genE8ELNS1_11target_archE1030ELNS1_3gpuE2ELNS1_3repE0EEENS1_30default_config_static_selectorELNS0_4arch9wavefront6targetE0EEEvT1_
		.amdhsa_group_segment_fixed_size 0
		.amdhsa_private_segment_fixed_size 0
		.amdhsa_kernarg_size 112
		.amdhsa_user_sgpr_count 2
		.amdhsa_user_sgpr_dispatch_ptr 0
		.amdhsa_user_sgpr_queue_ptr 0
		.amdhsa_user_sgpr_kernarg_segment_ptr 1
		.amdhsa_user_sgpr_dispatch_id 0
		.amdhsa_user_sgpr_kernarg_preload_length 0
		.amdhsa_user_sgpr_kernarg_preload_offset 0
		.amdhsa_user_sgpr_private_segment_size 0
		.amdhsa_wavefront_size32 1
		.amdhsa_uses_dynamic_stack 0
		.amdhsa_enable_private_segment 0
		.amdhsa_system_sgpr_workgroup_id_x 1
		.amdhsa_system_sgpr_workgroup_id_y 0
		.amdhsa_system_sgpr_workgroup_id_z 0
		.amdhsa_system_sgpr_workgroup_info 0
		.amdhsa_system_vgpr_workitem_id 0
		.amdhsa_next_free_vgpr 1
		.amdhsa_next_free_sgpr 1
		.amdhsa_named_barrier_count 0
		.amdhsa_reserve_vcc 0
		.amdhsa_float_round_mode_32 0
		.amdhsa_float_round_mode_16_64 0
		.amdhsa_float_denorm_mode_32 3
		.amdhsa_float_denorm_mode_16_64 3
		.amdhsa_fp16_overflow 0
		.amdhsa_memory_ordered 1
		.amdhsa_forward_progress 1
		.amdhsa_inst_pref_size 0
		.amdhsa_round_robin_scheduling 0
		.amdhsa_exception_fp_ieee_invalid_op 0
		.amdhsa_exception_fp_denorm_src 0
		.amdhsa_exception_fp_ieee_div_zero 0
		.amdhsa_exception_fp_ieee_overflow 0
		.amdhsa_exception_fp_ieee_underflow 0
		.amdhsa_exception_fp_ieee_inexact 0
		.amdhsa_exception_int_div_zero 0
	.end_amdhsa_kernel
	.section	.text._ZN7rocprim17ROCPRIM_400000_NS6detail17trampoline_kernelINS0_14default_configENS1_27scan_by_key_config_selectorIiiEEZZNS1_16scan_by_key_implILNS1_25lookback_scan_determinismE0ELb1ES3_N6thrust23THRUST_200600_302600_NS6detail15normal_iteratorINS9_10device_ptrIiEEEESE_SE_iNS9_4plusIvEENS9_8equal_toIvEEiEE10hipError_tPvRmT2_T3_T4_T5_mT6_T7_P12ihipStream_tbENKUlT_T0_E_clISt17integral_constantIbLb1EESZ_EEDaSU_SV_EUlSU_E_NS1_11comp_targetILNS1_3genE8ELNS1_11target_archE1030ELNS1_3gpuE2ELNS1_3repE0EEENS1_30default_config_static_selectorELNS0_4arch9wavefront6targetE0EEEvT1_,"axG",@progbits,_ZN7rocprim17ROCPRIM_400000_NS6detail17trampoline_kernelINS0_14default_configENS1_27scan_by_key_config_selectorIiiEEZZNS1_16scan_by_key_implILNS1_25lookback_scan_determinismE0ELb1ES3_N6thrust23THRUST_200600_302600_NS6detail15normal_iteratorINS9_10device_ptrIiEEEESE_SE_iNS9_4plusIvEENS9_8equal_toIvEEiEE10hipError_tPvRmT2_T3_T4_T5_mT6_T7_P12ihipStream_tbENKUlT_T0_E_clISt17integral_constantIbLb1EESZ_EEDaSU_SV_EUlSU_E_NS1_11comp_targetILNS1_3genE8ELNS1_11target_archE1030ELNS1_3gpuE2ELNS1_3repE0EEENS1_30default_config_static_selectorELNS0_4arch9wavefront6targetE0EEEvT1_,comdat
.Lfunc_end478:
	.size	_ZN7rocprim17ROCPRIM_400000_NS6detail17trampoline_kernelINS0_14default_configENS1_27scan_by_key_config_selectorIiiEEZZNS1_16scan_by_key_implILNS1_25lookback_scan_determinismE0ELb1ES3_N6thrust23THRUST_200600_302600_NS6detail15normal_iteratorINS9_10device_ptrIiEEEESE_SE_iNS9_4plusIvEENS9_8equal_toIvEEiEE10hipError_tPvRmT2_T3_T4_T5_mT6_T7_P12ihipStream_tbENKUlT_T0_E_clISt17integral_constantIbLb1EESZ_EEDaSU_SV_EUlSU_E_NS1_11comp_targetILNS1_3genE8ELNS1_11target_archE1030ELNS1_3gpuE2ELNS1_3repE0EEENS1_30default_config_static_selectorELNS0_4arch9wavefront6targetE0EEEvT1_, .Lfunc_end478-_ZN7rocprim17ROCPRIM_400000_NS6detail17trampoline_kernelINS0_14default_configENS1_27scan_by_key_config_selectorIiiEEZZNS1_16scan_by_key_implILNS1_25lookback_scan_determinismE0ELb1ES3_N6thrust23THRUST_200600_302600_NS6detail15normal_iteratorINS9_10device_ptrIiEEEESE_SE_iNS9_4plusIvEENS9_8equal_toIvEEiEE10hipError_tPvRmT2_T3_T4_T5_mT6_T7_P12ihipStream_tbENKUlT_T0_E_clISt17integral_constantIbLb1EESZ_EEDaSU_SV_EUlSU_E_NS1_11comp_targetILNS1_3genE8ELNS1_11target_archE1030ELNS1_3gpuE2ELNS1_3repE0EEENS1_30default_config_static_selectorELNS0_4arch9wavefront6targetE0EEEvT1_
                                        ; -- End function
	.set _ZN7rocprim17ROCPRIM_400000_NS6detail17trampoline_kernelINS0_14default_configENS1_27scan_by_key_config_selectorIiiEEZZNS1_16scan_by_key_implILNS1_25lookback_scan_determinismE0ELb1ES3_N6thrust23THRUST_200600_302600_NS6detail15normal_iteratorINS9_10device_ptrIiEEEESE_SE_iNS9_4plusIvEENS9_8equal_toIvEEiEE10hipError_tPvRmT2_T3_T4_T5_mT6_T7_P12ihipStream_tbENKUlT_T0_E_clISt17integral_constantIbLb1EESZ_EEDaSU_SV_EUlSU_E_NS1_11comp_targetILNS1_3genE8ELNS1_11target_archE1030ELNS1_3gpuE2ELNS1_3repE0EEENS1_30default_config_static_selectorELNS0_4arch9wavefront6targetE0EEEvT1_.num_vgpr, 0
	.set _ZN7rocprim17ROCPRIM_400000_NS6detail17trampoline_kernelINS0_14default_configENS1_27scan_by_key_config_selectorIiiEEZZNS1_16scan_by_key_implILNS1_25lookback_scan_determinismE0ELb1ES3_N6thrust23THRUST_200600_302600_NS6detail15normal_iteratorINS9_10device_ptrIiEEEESE_SE_iNS9_4plusIvEENS9_8equal_toIvEEiEE10hipError_tPvRmT2_T3_T4_T5_mT6_T7_P12ihipStream_tbENKUlT_T0_E_clISt17integral_constantIbLb1EESZ_EEDaSU_SV_EUlSU_E_NS1_11comp_targetILNS1_3genE8ELNS1_11target_archE1030ELNS1_3gpuE2ELNS1_3repE0EEENS1_30default_config_static_selectorELNS0_4arch9wavefront6targetE0EEEvT1_.num_agpr, 0
	.set _ZN7rocprim17ROCPRIM_400000_NS6detail17trampoline_kernelINS0_14default_configENS1_27scan_by_key_config_selectorIiiEEZZNS1_16scan_by_key_implILNS1_25lookback_scan_determinismE0ELb1ES3_N6thrust23THRUST_200600_302600_NS6detail15normal_iteratorINS9_10device_ptrIiEEEESE_SE_iNS9_4plusIvEENS9_8equal_toIvEEiEE10hipError_tPvRmT2_T3_T4_T5_mT6_T7_P12ihipStream_tbENKUlT_T0_E_clISt17integral_constantIbLb1EESZ_EEDaSU_SV_EUlSU_E_NS1_11comp_targetILNS1_3genE8ELNS1_11target_archE1030ELNS1_3gpuE2ELNS1_3repE0EEENS1_30default_config_static_selectorELNS0_4arch9wavefront6targetE0EEEvT1_.numbered_sgpr, 0
	.set _ZN7rocprim17ROCPRIM_400000_NS6detail17trampoline_kernelINS0_14default_configENS1_27scan_by_key_config_selectorIiiEEZZNS1_16scan_by_key_implILNS1_25lookback_scan_determinismE0ELb1ES3_N6thrust23THRUST_200600_302600_NS6detail15normal_iteratorINS9_10device_ptrIiEEEESE_SE_iNS9_4plusIvEENS9_8equal_toIvEEiEE10hipError_tPvRmT2_T3_T4_T5_mT6_T7_P12ihipStream_tbENKUlT_T0_E_clISt17integral_constantIbLb1EESZ_EEDaSU_SV_EUlSU_E_NS1_11comp_targetILNS1_3genE8ELNS1_11target_archE1030ELNS1_3gpuE2ELNS1_3repE0EEENS1_30default_config_static_selectorELNS0_4arch9wavefront6targetE0EEEvT1_.num_named_barrier, 0
	.set _ZN7rocprim17ROCPRIM_400000_NS6detail17trampoline_kernelINS0_14default_configENS1_27scan_by_key_config_selectorIiiEEZZNS1_16scan_by_key_implILNS1_25lookback_scan_determinismE0ELb1ES3_N6thrust23THRUST_200600_302600_NS6detail15normal_iteratorINS9_10device_ptrIiEEEESE_SE_iNS9_4plusIvEENS9_8equal_toIvEEiEE10hipError_tPvRmT2_T3_T4_T5_mT6_T7_P12ihipStream_tbENKUlT_T0_E_clISt17integral_constantIbLb1EESZ_EEDaSU_SV_EUlSU_E_NS1_11comp_targetILNS1_3genE8ELNS1_11target_archE1030ELNS1_3gpuE2ELNS1_3repE0EEENS1_30default_config_static_selectorELNS0_4arch9wavefront6targetE0EEEvT1_.private_seg_size, 0
	.set _ZN7rocprim17ROCPRIM_400000_NS6detail17trampoline_kernelINS0_14default_configENS1_27scan_by_key_config_selectorIiiEEZZNS1_16scan_by_key_implILNS1_25lookback_scan_determinismE0ELb1ES3_N6thrust23THRUST_200600_302600_NS6detail15normal_iteratorINS9_10device_ptrIiEEEESE_SE_iNS9_4plusIvEENS9_8equal_toIvEEiEE10hipError_tPvRmT2_T3_T4_T5_mT6_T7_P12ihipStream_tbENKUlT_T0_E_clISt17integral_constantIbLb1EESZ_EEDaSU_SV_EUlSU_E_NS1_11comp_targetILNS1_3genE8ELNS1_11target_archE1030ELNS1_3gpuE2ELNS1_3repE0EEENS1_30default_config_static_selectorELNS0_4arch9wavefront6targetE0EEEvT1_.uses_vcc, 0
	.set _ZN7rocprim17ROCPRIM_400000_NS6detail17trampoline_kernelINS0_14default_configENS1_27scan_by_key_config_selectorIiiEEZZNS1_16scan_by_key_implILNS1_25lookback_scan_determinismE0ELb1ES3_N6thrust23THRUST_200600_302600_NS6detail15normal_iteratorINS9_10device_ptrIiEEEESE_SE_iNS9_4plusIvEENS9_8equal_toIvEEiEE10hipError_tPvRmT2_T3_T4_T5_mT6_T7_P12ihipStream_tbENKUlT_T0_E_clISt17integral_constantIbLb1EESZ_EEDaSU_SV_EUlSU_E_NS1_11comp_targetILNS1_3genE8ELNS1_11target_archE1030ELNS1_3gpuE2ELNS1_3repE0EEENS1_30default_config_static_selectorELNS0_4arch9wavefront6targetE0EEEvT1_.uses_flat_scratch, 0
	.set _ZN7rocprim17ROCPRIM_400000_NS6detail17trampoline_kernelINS0_14default_configENS1_27scan_by_key_config_selectorIiiEEZZNS1_16scan_by_key_implILNS1_25lookback_scan_determinismE0ELb1ES3_N6thrust23THRUST_200600_302600_NS6detail15normal_iteratorINS9_10device_ptrIiEEEESE_SE_iNS9_4plusIvEENS9_8equal_toIvEEiEE10hipError_tPvRmT2_T3_T4_T5_mT6_T7_P12ihipStream_tbENKUlT_T0_E_clISt17integral_constantIbLb1EESZ_EEDaSU_SV_EUlSU_E_NS1_11comp_targetILNS1_3genE8ELNS1_11target_archE1030ELNS1_3gpuE2ELNS1_3repE0EEENS1_30default_config_static_selectorELNS0_4arch9wavefront6targetE0EEEvT1_.has_dyn_sized_stack, 0
	.set _ZN7rocprim17ROCPRIM_400000_NS6detail17trampoline_kernelINS0_14default_configENS1_27scan_by_key_config_selectorIiiEEZZNS1_16scan_by_key_implILNS1_25lookback_scan_determinismE0ELb1ES3_N6thrust23THRUST_200600_302600_NS6detail15normal_iteratorINS9_10device_ptrIiEEEESE_SE_iNS9_4plusIvEENS9_8equal_toIvEEiEE10hipError_tPvRmT2_T3_T4_T5_mT6_T7_P12ihipStream_tbENKUlT_T0_E_clISt17integral_constantIbLb1EESZ_EEDaSU_SV_EUlSU_E_NS1_11comp_targetILNS1_3genE8ELNS1_11target_archE1030ELNS1_3gpuE2ELNS1_3repE0EEENS1_30default_config_static_selectorELNS0_4arch9wavefront6targetE0EEEvT1_.has_recursion, 0
	.set _ZN7rocprim17ROCPRIM_400000_NS6detail17trampoline_kernelINS0_14default_configENS1_27scan_by_key_config_selectorIiiEEZZNS1_16scan_by_key_implILNS1_25lookback_scan_determinismE0ELb1ES3_N6thrust23THRUST_200600_302600_NS6detail15normal_iteratorINS9_10device_ptrIiEEEESE_SE_iNS9_4plusIvEENS9_8equal_toIvEEiEE10hipError_tPvRmT2_T3_T4_T5_mT6_T7_P12ihipStream_tbENKUlT_T0_E_clISt17integral_constantIbLb1EESZ_EEDaSU_SV_EUlSU_E_NS1_11comp_targetILNS1_3genE8ELNS1_11target_archE1030ELNS1_3gpuE2ELNS1_3repE0EEENS1_30default_config_static_selectorELNS0_4arch9wavefront6targetE0EEEvT1_.has_indirect_call, 0
	.section	.AMDGPU.csdata,"",@progbits
; Kernel info:
; codeLenInByte = 0
; TotalNumSgprs: 0
; NumVgprs: 0
; ScratchSize: 0
; MemoryBound: 0
; FloatMode: 240
; IeeeMode: 1
; LDSByteSize: 0 bytes/workgroup (compile time only)
; SGPRBlocks: 0
; VGPRBlocks: 0
; NumSGPRsForWavesPerEU: 1
; NumVGPRsForWavesPerEU: 1
; NamedBarCnt: 0
; Occupancy: 16
; WaveLimiterHint : 0
; COMPUTE_PGM_RSRC2:SCRATCH_EN: 0
; COMPUTE_PGM_RSRC2:USER_SGPR: 2
; COMPUTE_PGM_RSRC2:TRAP_HANDLER: 0
; COMPUTE_PGM_RSRC2:TGID_X_EN: 1
; COMPUTE_PGM_RSRC2:TGID_Y_EN: 0
; COMPUTE_PGM_RSRC2:TGID_Z_EN: 0
; COMPUTE_PGM_RSRC2:TIDIG_COMP_CNT: 0
	.section	.text._ZN7rocprim17ROCPRIM_400000_NS6detail17trampoline_kernelINS0_14default_configENS1_27scan_by_key_config_selectorIiiEEZZNS1_16scan_by_key_implILNS1_25lookback_scan_determinismE0ELb1ES3_N6thrust23THRUST_200600_302600_NS6detail15normal_iteratorINS9_10device_ptrIiEEEESE_SE_iNS9_4plusIvEENS9_8equal_toIvEEiEE10hipError_tPvRmT2_T3_T4_T5_mT6_T7_P12ihipStream_tbENKUlT_T0_E_clISt17integral_constantIbLb1EESY_IbLb0EEEEDaSU_SV_EUlSU_E_NS1_11comp_targetILNS1_3genE0ELNS1_11target_archE4294967295ELNS1_3gpuE0ELNS1_3repE0EEENS1_30default_config_static_selectorELNS0_4arch9wavefront6targetE0EEEvT1_,"axG",@progbits,_ZN7rocprim17ROCPRIM_400000_NS6detail17trampoline_kernelINS0_14default_configENS1_27scan_by_key_config_selectorIiiEEZZNS1_16scan_by_key_implILNS1_25lookback_scan_determinismE0ELb1ES3_N6thrust23THRUST_200600_302600_NS6detail15normal_iteratorINS9_10device_ptrIiEEEESE_SE_iNS9_4plusIvEENS9_8equal_toIvEEiEE10hipError_tPvRmT2_T3_T4_T5_mT6_T7_P12ihipStream_tbENKUlT_T0_E_clISt17integral_constantIbLb1EESY_IbLb0EEEEDaSU_SV_EUlSU_E_NS1_11comp_targetILNS1_3genE0ELNS1_11target_archE4294967295ELNS1_3gpuE0ELNS1_3repE0EEENS1_30default_config_static_selectorELNS0_4arch9wavefront6targetE0EEEvT1_,comdat
	.protected	_ZN7rocprim17ROCPRIM_400000_NS6detail17trampoline_kernelINS0_14default_configENS1_27scan_by_key_config_selectorIiiEEZZNS1_16scan_by_key_implILNS1_25lookback_scan_determinismE0ELb1ES3_N6thrust23THRUST_200600_302600_NS6detail15normal_iteratorINS9_10device_ptrIiEEEESE_SE_iNS9_4plusIvEENS9_8equal_toIvEEiEE10hipError_tPvRmT2_T3_T4_T5_mT6_T7_P12ihipStream_tbENKUlT_T0_E_clISt17integral_constantIbLb1EESY_IbLb0EEEEDaSU_SV_EUlSU_E_NS1_11comp_targetILNS1_3genE0ELNS1_11target_archE4294967295ELNS1_3gpuE0ELNS1_3repE0EEENS1_30default_config_static_selectorELNS0_4arch9wavefront6targetE0EEEvT1_ ; -- Begin function _ZN7rocprim17ROCPRIM_400000_NS6detail17trampoline_kernelINS0_14default_configENS1_27scan_by_key_config_selectorIiiEEZZNS1_16scan_by_key_implILNS1_25lookback_scan_determinismE0ELb1ES3_N6thrust23THRUST_200600_302600_NS6detail15normal_iteratorINS9_10device_ptrIiEEEESE_SE_iNS9_4plusIvEENS9_8equal_toIvEEiEE10hipError_tPvRmT2_T3_T4_T5_mT6_T7_P12ihipStream_tbENKUlT_T0_E_clISt17integral_constantIbLb1EESY_IbLb0EEEEDaSU_SV_EUlSU_E_NS1_11comp_targetILNS1_3genE0ELNS1_11target_archE4294967295ELNS1_3gpuE0ELNS1_3repE0EEENS1_30default_config_static_selectorELNS0_4arch9wavefront6targetE0EEEvT1_
	.globl	_ZN7rocprim17ROCPRIM_400000_NS6detail17trampoline_kernelINS0_14default_configENS1_27scan_by_key_config_selectorIiiEEZZNS1_16scan_by_key_implILNS1_25lookback_scan_determinismE0ELb1ES3_N6thrust23THRUST_200600_302600_NS6detail15normal_iteratorINS9_10device_ptrIiEEEESE_SE_iNS9_4plusIvEENS9_8equal_toIvEEiEE10hipError_tPvRmT2_T3_T4_T5_mT6_T7_P12ihipStream_tbENKUlT_T0_E_clISt17integral_constantIbLb1EESY_IbLb0EEEEDaSU_SV_EUlSU_E_NS1_11comp_targetILNS1_3genE0ELNS1_11target_archE4294967295ELNS1_3gpuE0ELNS1_3repE0EEENS1_30default_config_static_selectorELNS0_4arch9wavefront6targetE0EEEvT1_
	.p2align	8
	.type	_ZN7rocprim17ROCPRIM_400000_NS6detail17trampoline_kernelINS0_14default_configENS1_27scan_by_key_config_selectorIiiEEZZNS1_16scan_by_key_implILNS1_25lookback_scan_determinismE0ELb1ES3_N6thrust23THRUST_200600_302600_NS6detail15normal_iteratorINS9_10device_ptrIiEEEESE_SE_iNS9_4plusIvEENS9_8equal_toIvEEiEE10hipError_tPvRmT2_T3_T4_T5_mT6_T7_P12ihipStream_tbENKUlT_T0_E_clISt17integral_constantIbLb1EESY_IbLb0EEEEDaSU_SV_EUlSU_E_NS1_11comp_targetILNS1_3genE0ELNS1_11target_archE4294967295ELNS1_3gpuE0ELNS1_3repE0EEENS1_30default_config_static_selectorELNS0_4arch9wavefront6targetE0EEEvT1_,@function
_ZN7rocprim17ROCPRIM_400000_NS6detail17trampoline_kernelINS0_14default_configENS1_27scan_by_key_config_selectorIiiEEZZNS1_16scan_by_key_implILNS1_25lookback_scan_determinismE0ELb1ES3_N6thrust23THRUST_200600_302600_NS6detail15normal_iteratorINS9_10device_ptrIiEEEESE_SE_iNS9_4plusIvEENS9_8equal_toIvEEiEE10hipError_tPvRmT2_T3_T4_T5_mT6_T7_P12ihipStream_tbENKUlT_T0_E_clISt17integral_constantIbLb1EESY_IbLb0EEEEDaSU_SV_EUlSU_E_NS1_11comp_targetILNS1_3genE0ELNS1_11target_archE4294967295ELNS1_3gpuE0ELNS1_3repE0EEENS1_30default_config_static_selectorELNS0_4arch9wavefront6targetE0EEEvT1_: ; @_ZN7rocprim17ROCPRIM_400000_NS6detail17trampoline_kernelINS0_14default_configENS1_27scan_by_key_config_selectorIiiEEZZNS1_16scan_by_key_implILNS1_25lookback_scan_determinismE0ELb1ES3_N6thrust23THRUST_200600_302600_NS6detail15normal_iteratorINS9_10device_ptrIiEEEESE_SE_iNS9_4plusIvEENS9_8equal_toIvEEiEE10hipError_tPvRmT2_T3_T4_T5_mT6_T7_P12ihipStream_tbENKUlT_T0_E_clISt17integral_constantIbLb1EESY_IbLb0EEEEDaSU_SV_EUlSU_E_NS1_11comp_targetILNS1_3genE0ELNS1_11target_archE4294967295ELNS1_3gpuE0ELNS1_3repE0EEENS1_30default_config_static_selectorELNS0_4arch9wavefront6targetE0EEEvT1_
; %bb.0:
	s_endpgm
	.section	.rodata,"a",@progbits
	.p2align	6, 0x0
	.amdhsa_kernel _ZN7rocprim17ROCPRIM_400000_NS6detail17trampoline_kernelINS0_14default_configENS1_27scan_by_key_config_selectorIiiEEZZNS1_16scan_by_key_implILNS1_25lookback_scan_determinismE0ELb1ES3_N6thrust23THRUST_200600_302600_NS6detail15normal_iteratorINS9_10device_ptrIiEEEESE_SE_iNS9_4plusIvEENS9_8equal_toIvEEiEE10hipError_tPvRmT2_T3_T4_T5_mT6_T7_P12ihipStream_tbENKUlT_T0_E_clISt17integral_constantIbLb1EESY_IbLb0EEEEDaSU_SV_EUlSU_E_NS1_11comp_targetILNS1_3genE0ELNS1_11target_archE4294967295ELNS1_3gpuE0ELNS1_3repE0EEENS1_30default_config_static_selectorELNS0_4arch9wavefront6targetE0EEEvT1_
		.amdhsa_group_segment_fixed_size 0
		.amdhsa_private_segment_fixed_size 0
		.amdhsa_kernarg_size 112
		.amdhsa_user_sgpr_count 2
		.amdhsa_user_sgpr_dispatch_ptr 0
		.amdhsa_user_sgpr_queue_ptr 0
		.amdhsa_user_sgpr_kernarg_segment_ptr 1
		.amdhsa_user_sgpr_dispatch_id 0
		.amdhsa_user_sgpr_kernarg_preload_length 0
		.amdhsa_user_sgpr_kernarg_preload_offset 0
		.amdhsa_user_sgpr_private_segment_size 0
		.amdhsa_wavefront_size32 1
		.amdhsa_uses_dynamic_stack 0
		.amdhsa_enable_private_segment 0
		.amdhsa_system_sgpr_workgroup_id_x 1
		.amdhsa_system_sgpr_workgroup_id_y 0
		.amdhsa_system_sgpr_workgroup_id_z 0
		.amdhsa_system_sgpr_workgroup_info 0
		.amdhsa_system_vgpr_workitem_id 0
		.amdhsa_next_free_vgpr 1
		.amdhsa_next_free_sgpr 1
		.amdhsa_named_barrier_count 0
		.amdhsa_reserve_vcc 0
		.amdhsa_float_round_mode_32 0
		.amdhsa_float_round_mode_16_64 0
		.amdhsa_float_denorm_mode_32 3
		.amdhsa_float_denorm_mode_16_64 3
		.amdhsa_fp16_overflow 0
		.amdhsa_memory_ordered 1
		.amdhsa_forward_progress 1
		.amdhsa_inst_pref_size 1
		.amdhsa_round_robin_scheduling 0
		.amdhsa_exception_fp_ieee_invalid_op 0
		.amdhsa_exception_fp_denorm_src 0
		.amdhsa_exception_fp_ieee_div_zero 0
		.amdhsa_exception_fp_ieee_overflow 0
		.amdhsa_exception_fp_ieee_underflow 0
		.amdhsa_exception_fp_ieee_inexact 0
		.amdhsa_exception_int_div_zero 0
	.end_amdhsa_kernel
	.section	.text._ZN7rocprim17ROCPRIM_400000_NS6detail17trampoline_kernelINS0_14default_configENS1_27scan_by_key_config_selectorIiiEEZZNS1_16scan_by_key_implILNS1_25lookback_scan_determinismE0ELb1ES3_N6thrust23THRUST_200600_302600_NS6detail15normal_iteratorINS9_10device_ptrIiEEEESE_SE_iNS9_4plusIvEENS9_8equal_toIvEEiEE10hipError_tPvRmT2_T3_T4_T5_mT6_T7_P12ihipStream_tbENKUlT_T0_E_clISt17integral_constantIbLb1EESY_IbLb0EEEEDaSU_SV_EUlSU_E_NS1_11comp_targetILNS1_3genE0ELNS1_11target_archE4294967295ELNS1_3gpuE0ELNS1_3repE0EEENS1_30default_config_static_selectorELNS0_4arch9wavefront6targetE0EEEvT1_,"axG",@progbits,_ZN7rocprim17ROCPRIM_400000_NS6detail17trampoline_kernelINS0_14default_configENS1_27scan_by_key_config_selectorIiiEEZZNS1_16scan_by_key_implILNS1_25lookback_scan_determinismE0ELb1ES3_N6thrust23THRUST_200600_302600_NS6detail15normal_iteratorINS9_10device_ptrIiEEEESE_SE_iNS9_4plusIvEENS9_8equal_toIvEEiEE10hipError_tPvRmT2_T3_T4_T5_mT6_T7_P12ihipStream_tbENKUlT_T0_E_clISt17integral_constantIbLb1EESY_IbLb0EEEEDaSU_SV_EUlSU_E_NS1_11comp_targetILNS1_3genE0ELNS1_11target_archE4294967295ELNS1_3gpuE0ELNS1_3repE0EEENS1_30default_config_static_selectorELNS0_4arch9wavefront6targetE0EEEvT1_,comdat
.Lfunc_end479:
	.size	_ZN7rocprim17ROCPRIM_400000_NS6detail17trampoline_kernelINS0_14default_configENS1_27scan_by_key_config_selectorIiiEEZZNS1_16scan_by_key_implILNS1_25lookback_scan_determinismE0ELb1ES3_N6thrust23THRUST_200600_302600_NS6detail15normal_iteratorINS9_10device_ptrIiEEEESE_SE_iNS9_4plusIvEENS9_8equal_toIvEEiEE10hipError_tPvRmT2_T3_T4_T5_mT6_T7_P12ihipStream_tbENKUlT_T0_E_clISt17integral_constantIbLb1EESY_IbLb0EEEEDaSU_SV_EUlSU_E_NS1_11comp_targetILNS1_3genE0ELNS1_11target_archE4294967295ELNS1_3gpuE0ELNS1_3repE0EEENS1_30default_config_static_selectorELNS0_4arch9wavefront6targetE0EEEvT1_, .Lfunc_end479-_ZN7rocprim17ROCPRIM_400000_NS6detail17trampoline_kernelINS0_14default_configENS1_27scan_by_key_config_selectorIiiEEZZNS1_16scan_by_key_implILNS1_25lookback_scan_determinismE0ELb1ES3_N6thrust23THRUST_200600_302600_NS6detail15normal_iteratorINS9_10device_ptrIiEEEESE_SE_iNS9_4plusIvEENS9_8equal_toIvEEiEE10hipError_tPvRmT2_T3_T4_T5_mT6_T7_P12ihipStream_tbENKUlT_T0_E_clISt17integral_constantIbLb1EESY_IbLb0EEEEDaSU_SV_EUlSU_E_NS1_11comp_targetILNS1_3genE0ELNS1_11target_archE4294967295ELNS1_3gpuE0ELNS1_3repE0EEENS1_30default_config_static_selectorELNS0_4arch9wavefront6targetE0EEEvT1_
                                        ; -- End function
	.set _ZN7rocprim17ROCPRIM_400000_NS6detail17trampoline_kernelINS0_14default_configENS1_27scan_by_key_config_selectorIiiEEZZNS1_16scan_by_key_implILNS1_25lookback_scan_determinismE0ELb1ES3_N6thrust23THRUST_200600_302600_NS6detail15normal_iteratorINS9_10device_ptrIiEEEESE_SE_iNS9_4plusIvEENS9_8equal_toIvEEiEE10hipError_tPvRmT2_T3_T4_T5_mT6_T7_P12ihipStream_tbENKUlT_T0_E_clISt17integral_constantIbLb1EESY_IbLb0EEEEDaSU_SV_EUlSU_E_NS1_11comp_targetILNS1_3genE0ELNS1_11target_archE4294967295ELNS1_3gpuE0ELNS1_3repE0EEENS1_30default_config_static_selectorELNS0_4arch9wavefront6targetE0EEEvT1_.num_vgpr, 0
	.set _ZN7rocprim17ROCPRIM_400000_NS6detail17trampoline_kernelINS0_14default_configENS1_27scan_by_key_config_selectorIiiEEZZNS1_16scan_by_key_implILNS1_25lookback_scan_determinismE0ELb1ES3_N6thrust23THRUST_200600_302600_NS6detail15normal_iteratorINS9_10device_ptrIiEEEESE_SE_iNS9_4plusIvEENS9_8equal_toIvEEiEE10hipError_tPvRmT2_T3_T4_T5_mT6_T7_P12ihipStream_tbENKUlT_T0_E_clISt17integral_constantIbLb1EESY_IbLb0EEEEDaSU_SV_EUlSU_E_NS1_11comp_targetILNS1_3genE0ELNS1_11target_archE4294967295ELNS1_3gpuE0ELNS1_3repE0EEENS1_30default_config_static_selectorELNS0_4arch9wavefront6targetE0EEEvT1_.num_agpr, 0
	.set _ZN7rocprim17ROCPRIM_400000_NS6detail17trampoline_kernelINS0_14default_configENS1_27scan_by_key_config_selectorIiiEEZZNS1_16scan_by_key_implILNS1_25lookback_scan_determinismE0ELb1ES3_N6thrust23THRUST_200600_302600_NS6detail15normal_iteratorINS9_10device_ptrIiEEEESE_SE_iNS9_4plusIvEENS9_8equal_toIvEEiEE10hipError_tPvRmT2_T3_T4_T5_mT6_T7_P12ihipStream_tbENKUlT_T0_E_clISt17integral_constantIbLb1EESY_IbLb0EEEEDaSU_SV_EUlSU_E_NS1_11comp_targetILNS1_3genE0ELNS1_11target_archE4294967295ELNS1_3gpuE0ELNS1_3repE0EEENS1_30default_config_static_selectorELNS0_4arch9wavefront6targetE0EEEvT1_.numbered_sgpr, 0
	.set _ZN7rocprim17ROCPRIM_400000_NS6detail17trampoline_kernelINS0_14default_configENS1_27scan_by_key_config_selectorIiiEEZZNS1_16scan_by_key_implILNS1_25lookback_scan_determinismE0ELb1ES3_N6thrust23THRUST_200600_302600_NS6detail15normal_iteratorINS9_10device_ptrIiEEEESE_SE_iNS9_4plusIvEENS9_8equal_toIvEEiEE10hipError_tPvRmT2_T3_T4_T5_mT6_T7_P12ihipStream_tbENKUlT_T0_E_clISt17integral_constantIbLb1EESY_IbLb0EEEEDaSU_SV_EUlSU_E_NS1_11comp_targetILNS1_3genE0ELNS1_11target_archE4294967295ELNS1_3gpuE0ELNS1_3repE0EEENS1_30default_config_static_selectorELNS0_4arch9wavefront6targetE0EEEvT1_.num_named_barrier, 0
	.set _ZN7rocprim17ROCPRIM_400000_NS6detail17trampoline_kernelINS0_14default_configENS1_27scan_by_key_config_selectorIiiEEZZNS1_16scan_by_key_implILNS1_25lookback_scan_determinismE0ELb1ES3_N6thrust23THRUST_200600_302600_NS6detail15normal_iteratorINS9_10device_ptrIiEEEESE_SE_iNS9_4plusIvEENS9_8equal_toIvEEiEE10hipError_tPvRmT2_T3_T4_T5_mT6_T7_P12ihipStream_tbENKUlT_T0_E_clISt17integral_constantIbLb1EESY_IbLb0EEEEDaSU_SV_EUlSU_E_NS1_11comp_targetILNS1_3genE0ELNS1_11target_archE4294967295ELNS1_3gpuE0ELNS1_3repE0EEENS1_30default_config_static_selectorELNS0_4arch9wavefront6targetE0EEEvT1_.private_seg_size, 0
	.set _ZN7rocprim17ROCPRIM_400000_NS6detail17trampoline_kernelINS0_14default_configENS1_27scan_by_key_config_selectorIiiEEZZNS1_16scan_by_key_implILNS1_25lookback_scan_determinismE0ELb1ES3_N6thrust23THRUST_200600_302600_NS6detail15normal_iteratorINS9_10device_ptrIiEEEESE_SE_iNS9_4plusIvEENS9_8equal_toIvEEiEE10hipError_tPvRmT2_T3_T4_T5_mT6_T7_P12ihipStream_tbENKUlT_T0_E_clISt17integral_constantIbLb1EESY_IbLb0EEEEDaSU_SV_EUlSU_E_NS1_11comp_targetILNS1_3genE0ELNS1_11target_archE4294967295ELNS1_3gpuE0ELNS1_3repE0EEENS1_30default_config_static_selectorELNS0_4arch9wavefront6targetE0EEEvT1_.uses_vcc, 0
	.set _ZN7rocprim17ROCPRIM_400000_NS6detail17trampoline_kernelINS0_14default_configENS1_27scan_by_key_config_selectorIiiEEZZNS1_16scan_by_key_implILNS1_25lookback_scan_determinismE0ELb1ES3_N6thrust23THRUST_200600_302600_NS6detail15normal_iteratorINS9_10device_ptrIiEEEESE_SE_iNS9_4plusIvEENS9_8equal_toIvEEiEE10hipError_tPvRmT2_T3_T4_T5_mT6_T7_P12ihipStream_tbENKUlT_T0_E_clISt17integral_constantIbLb1EESY_IbLb0EEEEDaSU_SV_EUlSU_E_NS1_11comp_targetILNS1_3genE0ELNS1_11target_archE4294967295ELNS1_3gpuE0ELNS1_3repE0EEENS1_30default_config_static_selectorELNS0_4arch9wavefront6targetE0EEEvT1_.uses_flat_scratch, 0
	.set _ZN7rocprim17ROCPRIM_400000_NS6detail17trampoline_kernelINS0_14default_configENS1_27scan_by_key_config_selectorIiiEEZZNS1_16scan_by_key_implILNS1_25lookback_scan_determinismE0ELb1ES3_N6thrust23THRUST_200600_302600_NS6detail15normal_iteratorINS9_10device_ptrIiEEEESE_SE_iNS9_4plusIvEENS9_8equal_toIvEEiEE10hipError_tPvRmT2_T3_T4_T5_mT6_T7_P12ihipStream_tbENKUlT_T0_E_clISt17integral_constantIbLb1EESY_IbLb0EEEEDaSU_SV_EUlSU_E_NS1_11comp_targetILNS1_3genE0ELNS1_11target_archE4294967295ELNS1_3gpuE0ELNS1_3repE0EEENS1_30default_config_static_selectorELNS0_4arch9wavefront6targetE0EEEvT1_.has_dyn_sized_stack, 0
	.set _ZN7rocprim17ROCPRIM_400000_NS6detail17trampoline_kernelINS0_14default_configENS1_27scan_by_key_config_selectorIiiEEZZNS1_16scan_by_key_implILNS1_25lookback_scan_determinismE0ELb1ES3_N6thrust23THRUST_200600_302600_NS6detail15normal_iteratorINS9_10device_ptrIiEEEESE_SE_iNS9_4plusIvEENS9_8equal_toIvEEiEE10hipError_tPvRmT2_T3_T4_T5_mT6_T7_P12ihipStream_tbENKUlT_T0_E_clISt17integral_constantIbLb1EESY_IbLb0EEEEDaSU_SV_EUlSU_E_NS1_11comp_targetILNS1_3genE0ELNS1_11target_archE4294967295ELNS1_3gpuE0ELNS1_3repE0EEENS1_30default_config_static_selectorELNS0_4arch9wavefront6targetE0EEEvT1_.has_recursion, 0
	.set _ZN7rocprim17ROCPRIM_400000_NS6detail17trampoline_kernelINS0_14default_configENS1_27scan_by_key_config_selectorIiiEEZZNS1_16scan_by_key_implILNS1_25lookback_scan_determinismE0ELb1ES3_N6thrust23THRUST_200600_302600_NS6detail15normal_iteratorINS9_10device_ptrIiEEEESE_SE_iNS9_4plusIvEENS9_8equal_toIvEEiEE10hipError_tPvRmT2_T3_T4_T5_mT6_T7_P12ihipStream_tbENKUlT_T0_E_clISt17integral_constantIbLb1EESY_IbLb0EEEEDaSU_SV_EUlSU_E_NS1_11comp_targetILNS1_3genE0ELNS1_11target_archE4294967295ELNS1_3gpuE0ELNS1_3repE0EEENS1_30default_config_static_selectorELNS0_4arch9wavefront6targetE0EEEvT1_.has_indirect_call, 0
	.section	.AMDGPU.csdata,"",@progbits
; Kernel info:
; codeLenInByte = 4
; TotalNumSgprs: 0
; NumVgprs: 0
; ScratchSize: 0
; MemoryBound: 0
; FloatMode: 240
; IeeeMode: 1
; LDSByteSize: 0 bytes/workgroup (compile time only)
; SGPRBlocks: 0
; VGPRBlocks: 0
; NumSGPRsForWavesPerEU: 1
; NumVGPRsForWavesPerEU: 1
; NamedBarCnt: 0
; Occupancy: 16
; WaveLimiterHint : 0
; COMPUTE_PGM_RSRC2:SCRATCH_EN: 0
; COMPUTE_PGM_RSRC2:USER_SGPR: 2
; COMPUTE_PGM_RSRC2:TRAP_HANDLER: 0
; COMPUTE_PGM_RSRC2:TGID_X_EN: 1
; COMPUTE_PGM_RSRC2:TGID_Y_EN: 0
; COMPUTE_PGM_RSRC2:TGID_Z_EN: 0
; COMPUTE_PGM_RSRC2:TIDIG_COMP_CNT: 0
	.section	.text._ZN7rocprim17ROCPRIM_400000_NS6detail17trampoline_kernelINS0_14default_configENS1_27scan_by_key_config_selectorIiiEEZZNS1_16scan_by_key_implILNS1_25lookback_scan_determinismE0ELb1ES3_N6thrust23THRUST_200600_302600_NS6detail15normal_iteratorINS9_10device_ptrIiEEEESE_SE_iNS9_4plusIvEENS9_8equal_toIvEEiEE10hipError_tPvRmT2_T3_T4_T5_mT6_T7_P12ihipStream_tbENKUlT_T0_E_clISt17integral_constantIbLb1EESY_IbLb0EEEEDaSU_SV_EUlSU_E_NS1_11comp_targetILNS1_3genE10ELNS1_11target_archE1201ELNS1_3gpuE5ELNS1_3repE0EEENS1_30default_config_static_selectorELNS0_4arch9wavefront6targetE0EEEvT1_,"axG",@progbits,_ZN7rocprim17ROCPRIM_400000_NS6detail17trampoline_kernelINS0_14default_configENS1_27scan_by_key_config_selectorIiiEEZZNS1_16scan_by_key_implILNS1_25lookback_scan_determinismE0ELb1ES3_N6thrust23THRUST_200600_302600_NS6detail15normal_iteratorINS9_10device_ptrIiEEEESE_SE_iNS9_4plusIvEENS9_8equal_toIvEEiEE10hipError_tPvRmT2_T3_T4_T5_mT6_T7_P12ihipStream_tbENKUlT_T0_E_clISt17integral_constantIbLb1EESY_IbLb0EEEEDaSU_SV_EUlSU_E_NS1_11comp_targetILNS1_3genE10ELNS1_11target_archE1201ELNS1_3gpuE5ELNS1_3repE0EEENS1_30default_config_static_selectorELNS0_4arch9wavefront6targetE0EEEvT1_,comdat
	.protected	_ZN7rocprim17ROCPRIM_400000_NS6detail17trampoline_kernelINS0_14default_configENS1_27scan_by_key_config_selectorIiiEEZZNS1_16scan_by_key_implILNS1_25lookback_scan_determinismE0ELb1ES3_N6thrust23THRUST_200600_302600_NS6detail15normal_iteratorINS9_10device_ptrIiEEEESE_SE_iNS9_4plusIvEENS9_8equal_toIvEEiEE10hipError_tPvRmT2_T3_T4_T5_mT6_T7_P12ihipStream_tbENKUlT_T0_E_clISt17integral_constantIbLb1EESY_IbLb0EEEEDaSU_SV_EUlSU_E_NS1_11comp_targetILNS1_3genE10ELNS1_11target_archE1201ELNS1_3gpuE5ELNS1_3repE0EEENS1_30default_config_static_selectorELNS0_4arch9wavefront6targetE0EEEvT1_ ; -- Begin function _ZN7rocprim17ROCPRIM_400000_NS6detail17trampoline_kernelINS0_14default_configENS1_27scan_by_key_config_selectorIiiEEZZNS1_16scan_by_key_implILNS1_25lookback_scan_determinismE0ELb1ES3_N6thrust23THRUST_200600_302600_NS6detail15normal_iteratorINS9_10device_ptrIiEEEESE_SE_iNS9_4plusIvEENS9_8equal_toIvEEiEE10hipError_tPvRmT2_T3_T4_T5_mT6_T7_P12ihipStream_tbENKUlT_T0_E_clISt17integral_constantIbLb1EESY_IbLb0EEEEDaSU_SV_EUlSU_E_NS1_11comp_targetILNS1_3genE10ELNS1_11target_archE1201ELNS1_3gpuE5ELNS1_3repE0EEENS1_30default_config_static_selectorELNS0_4arch9wavefront6targetE0EEEvT1_
	.globl	_ZN7rocprim17ROCPRIM_400000_NS6detail17trampoline_kernelINS0_14default_configENS1_27scan_by_key_config_selectorIiiEEZZNS1_16scan_by_key_implILNS1_25lookback_scan_determinismE0ELb1ES3_N6thrust23THRUST_200600_302600_NS6detail15normal_iteratorINS9_10device_ptrIiEEEESE_SE_iNS9_4plusIvEENS9_8equal_toIvEEiEE10hipError_tPvRmT2_T3_T4_T5_mT6_T7_P12ihipStream_tbENKUlT_T0_E_clISt17integral_constantIbLb1EESY_IbLb0EEEEDaSU_SV_EUlSU_E_NS1_11comp_targetILNS1_3genE10ELNS1_11target_archE1201ELNS1_3gpuE5ELNS1_3repE0EEENS1_30default_config_static_selectorELNS0_4arch9wavefront6targetE0EEEvT1_
	.p2align	8
	.type	_ZN7rocprim17ROCPRIM_400000_NS6detail17trampoline_kernelINS0_14default_configENS1_27scan_by_key_config_selectorIiiEEZZNS1_16scan_by_key_implILNS1_25lookback_scan_determinismE0ELb1ES3_N6thrust23THRUST_200600_302600_NS6detail15normal_iteratorINS9_10device_ptrIiEEEESE_SE_iNS9_4plusIvEENS9_8equal_toIvEEiEE10hipError_tPvRmT2_T3_T4_T5_mT6_T7_P12ihipStream_tbENKUlT_T0_E_clISt17integral_constantIbLb1EESY_IbLb0EEEEDaSU_SV_EUlSU_E_NS1_11comp_targetILNS1_3genE10ELNS1_11target_archE1201ELNS1_3gpuE5ELNS1_3repE0EEENS1_30default_config_static_selectorELNS0_4arch9wavefront6targetE0EEEvT1_,@function
_ZN7rocprim17ROCPRIM_400000_NS6detail17trampoline_kernelINS0_14default_configENS1_27scan_by_key_config_selectorIiiEEZZNS1_16scan_by_key_implILNS1_25lookback_scan_determinismE0ELb1ES3_N6thrust23THRUST_200600_302600_NS6detail15normal_iteratorINS9_10device_ptrIiEEEESE_SE_iNS9_4plusIvEENS9_8equal_toIvEEiEE10hipError_tPvRmT2_T3_T4_T5_mT6_T7_P12ihipStream_tbENKUlT_T0_E_clISt17integral_constantIbLb1EESY_IbLb0EEEEDaSU_SV_EUlSU_E_NS1_11comp_targetILNS1_3genE10ELNS1_11target_archE1201ELNS1_3gpuE5ELNS1_3repE0EEENS1_30default_config_static_selectorELNS0_4arch9wavefront6targetE0EEEvT1_: ; @_ZN7rocprim17ROCPRIM_400000_NS6detail17trampoline_kernelINS0_14default_configENS1_27scan_by_key_config_selectorIiiEEZZNS1_16scan_by_key_implILNS1_25lookback_scan_determinismE0ELb1ES3_N6thrust23THRUST_200600_302600_NS6detail15normal_iteratorINS9_10device_ptrIiEEEESE_SE_iNS9_4plusIvEENS9_8equal_toIvEEiEE10hipError_tPvRmT2_T3_T4_T5_mT6_T7_P12ihipStream_tbENKUlT_T0_E_clISt17integral_constantIbLb1EESY_IbLb0EEEEDaSU_SV_EUlSU_E_NS1_11comp_targetILNS1_3genE10ELNS1_11target_archE1201ELNS1_3gpuE5ELNS1_3repE0EEENS1_30default_config_static_selectorELNS0_4arch9wavefront6targetE0EEEvT1_
; %bb.0:
	.section	.rodata,"a",@progbits
	.p2align	6, 0x0
	.amdhsa_kernel _ZN7rocprim17ROCPRIM_400000_NS6detail17trampoline_kernelINS0_14default_configENS1_27scan_by_key_config_selectorIiiEEZZNS1_16scan_by_key_implILNS1_25lookback_scan_determinismE0ELb1ES3_N6thrust23THRUST_200600_302600_NS6detail15normal_iteratorINS9_10device_ptrIiEEEESE_SE_iNS9_4plusIvEENS9_8equal_toIvEEiEE10hipError_tPvRmT2_T3_T4_T5_mT6_T7_P12ihipStream_tbENKUlT_T0_E_clISt17integral_constantIbLb1EESY_IbLb0EEEEDaSU_SV_EUlSU_E_NS1_11comp_targetILNS1_3genE10ELNS1_11target_archE1201ELNS1_3gpuE5ELNS1_3repE0EEENS1_30default_config_static_selectorELNS0_4arch9wavefront6targetE0EEEvT1_
		.amdhsa_group_segment_fixed_size 0
		.amdhsa_private_segment_fixed_size 0
		.amdhsa_kernarg_size 112
		.amdhsa_user_sgpr_count 2
		.amdhsa_user_sgpr_dispatch_ptr 0
		.amdhsa_user_sgpr_queue_ptr 0
		.amdhsa_user_sgpr_kernarg_segment_ptr 1
		.amdhsa_user_sgpr_dispatch_id 0
		.amdhsa_user_sgpr_kernarg_preload_length 0
		.amdhsa_user_sgpr_kernarg_preload_offset 0
		.amdhsa_user_sgpr_private_segment_size 0
		.amdhsa_wavefront_size32 1
		.amdhsa_uses_dynamic_stack 0
		.amdhsa_enable_private_segment 0
		.amdhsa_system_sgpr_workgroup_id_x 1
		.amdhsa_system_sgpr_workgroup_id_y 0
		.amdhsa_system_sgpr_workgroup_id_z 0
		.amdhsa_system_sgpr_workgroup_info 0
		.amdhsa_system_vgpr_workitem_id 0
		.amdhsa_next_free_vgpr 1
		.amdhsa_next_free_sgpr 1
		.amdhsa_named_barrier_count 0
		.amdhsa_reserve_vcc 0
		.amdhsa_float_round_mode_32 0
		.amdhsa_float_round_mode_16_64 0
		.amdhsa_float_denorm_mode_32 3
		.amdhsa_float_denorm_mode_16_64 3
		.amdhsa_fp16_overflow 0
		.amdhsa_memory_ordered 1
		.amdhsa_forward_progress 1
		.amdhsa_inst_pref_size 0
		.amdhsa_round_robin_scheduling 0
		.amdhsa_exception_fp_ieee_invalid_op 0
		.amdhsa_exception_fp_denorm_src 0
		.amdhsa_exception_fp_ieee_div_zero 0
		.amdhsa_exception_fp_ieee_overflow 0
		.amdhsa_exception_fp_ieee_underflow 0
		.amdhsa_exception_fp_ieee_inexact 0
		.amdhsa_exception_int_div_zero 0
	.end_amdhsa_kernel
	.section	.text._ZN7rocprim17ROCPRIM_400000_NS6detail17trampoline_kernelINS0_14default_configENS1_27scan_by_key_config_selectorIiiEEZZNS1_16scan_by_key_implILNS1_25lookback_scan_determinismE0ELb1ES3_N6thrust23THRUST_200600_302600_NS6detail15normal_iteratorINS9_10device_ptrIiEEEESE_SE_iNS9_4plusIvEENS9_8equal_toIvEEiEE10hipError_tPvRmT2_T3_T4_T5_mT6_T7_P12ihipStream_tbENKUlT_T0_E_clISt17integral_constantIbLb1EESY_IbLb0EEEEDaSU_SV_EUlSU_E_NS1_11comp_targetILNS1_3genE10ELNS1_11target_archE1201ELNS1_3gpuE5ELNS1_3repE0EEENS1_30default_config_static_selectorELNS0_4arch9wavefront6targetE0EEEvT1_,"axG",@progbits,_ZN7rocprim17ROCPRIM_400000_NS6detail17trampoline_kernelINS0_14default_configENS1_27scan_by_key_config_selectorIiiEEZZNS1_16scan_by_key_implILNS1_25lookback_scan_determinismE0ELb1ES3_N6thrust23THRUST_200600_302600_NS6detail15normal_iteratorINS9_10device_ptrIiEEEESE_SE_iNS9_4plusIvEENS9_8equal_toIvEEiEE10hipError_tPvRmT2_T3_T4_T5_mT6_T7_P12ihipStream_tbENKUlT_T0_E_clISt17integral_constantIbLb1EESY_IbLb0EEEEDaSU_SV_EUlSU_E_NS1_11comp_targetILNS1_3genE10ELNS1_11target_archE1201ELNS1_3gpuE5ELNS1_3repE0EEENS1_30default_config_static_selectorELNS0_4arch9wavefront6targetE0EEEvT1_,comdat
.Lfunc_end480:
	.size	_ZN7rocprim17ROCPRIM_400000_NS6detail17trampoline_kernelINS0_14default_configENS1_27scan_by_key_config_selectorIiiEEZZNS1_16scan_by_key_implILNS1_25lookback_scan_determinismE0ELb1ES3_N6thrust23THRUST_200600_302600_NS6detail15normal_iteratorINS9_10device_ptrIiEEEESE_SE_iNS9_4plusIvEENS9_8equal_toIvEEiEE10hipError_tPvRmT2_T3_T4_T5_mT6_T7_P12ihipStream_tbENKUlT_T0_E_clISt17integral_constantIbLb1EESY_IbLb0EEEEDaSU_SV_EUlSU_E_NS1_11comp_targetILNS1_3genE10ELNS1_11target_archE1201ELNS1_3gpuE5ELNS1_3repE0EEENS1_30default_config_static_selectorELNS0_4arch9wavefront6targetE0EEEvT1_, .Lfunc_end480-_ZN7rocprim17ROCPRIM_400000_NS6detail17trampoline_kernelINS0_14default_configENS1_27scan_by_key_config_selectorIiiEEZZNS1_16scan_by_key_implILNS1_25lookback_scan_determinismE0ELb1ES3_N6thrust23THRUST_200600_302600_NS6detail15normal_iteratorINS9_10device_ptrIiEEEESE_SE_iNS9_4plusIvEENS9_8equal_toIvEEiEE10hipError_tPvRmT2_T3_T4_T5_mT6_T7_P12ihipStream_tbENKUlT_T0_E_clISt17integral_constantIbLb1EESY_IbLb0EEEEDaSU_SV_EUlSU_E_NS1_11comp_targetILNS1_3genE10ELNS1_11target_archE1201ELNS1_3gpuE5ELNS1_3repE0EEENS1_30default_config_static_selectorELNS0_4arch9wavefront6targetE0EEEvT1_
                                        ; -- End function
	.set _ZN7rocprim17ROCPRIM_400000_NS6detail17trampoline_kernelINS0_14default_configENS1_27scan_by_key_config_selectorIiiEEZZNS1_16scan_by_key_implILNS1_25lookback_scan_determinismE0ELb1ES3_N6thrust23THRUST_200600_302600_NS6detail15normal_iteratorINS9_10device_ptrIiEEEESE_SE_iNS9_4plusIvEENS9_8equal_toIvEEiEE10hipError_tPvRmT2_T3_T4_T5_mT6_T7_P12ihipStream_tbENKUlT_T0_E_clISt17integral_constantIbLb1EESY_IbLb0EEEEDaSU_SV_EUlSU_E_NS1_11comp_targetILNS1_3genE10ELNS1_11target_archE1201ELNS1_3gpuE5ELNS1_3repE0EEENS1_30default_config_static_selectorELNS0_4arch9wavefront6targetE0EEEvT1_.num_vgpr, 0
	.set _ZN7rocprim17ROCPRIM_400000_NS6detail17trampoline_kernelINS0_14default_configENS1_27scan_by_key_config_selectorIiiEEZZNS1_16scan_by_key_implILNS1_25lookback_scan_determinismE0ELb1ES3_N6thrust23THRUST_200600_302600_NS6detail15normal_iteratorINS9_10device_ptrIiEEEESE_SE_iNS9_4plusIvEENS9_8equal_toIvEEiEE10hipError_tPvRmT2_T3_T4_T5_mT6_T7_P12ihipStream_tbENKUlT_T0_E_clISt17integral_constantIbLb1EESY_IbLb0EEEEDaSU_SV_EUlSU_E_NS1_11comp_targetILNS1_3genE10ELNS1_11target_archE1201ELNS1_3gpuE5ELNS1_3repE0EEENS1_30default_config_static_selectorELNS0_4arch9wavefront6targetE0EEEvT1_.num_agpr, 0
	.set _ZN7rocprim17ROCPRIM_400000_NS6detail17trampoline_kernelINS0_14default_configENS1_27scan_by_key_config_selectorIiiEEZZNS1_16scan_by_key_implILNS1_25lookback_scan_determinismE0ELb1ES3_N6thrust23THRUST_200600_302600_NS6detail15normal_iteratorINS9_10device_ptrIiEEEESE_SE_iNS9_4plusIvEENS9_8equal_toIvEEiEE10hipError_tPvRmT2_T3_T4_T5_mT6_T7_P12ihipStream_tbENKUlT_T0_E_clISt17integral_constantIbLb1EESY_IbLb0EEEEDaSU_SV_EUlSU_E_NS1_11comp_targetILNS1_3genE10ELNS1_11target_archE1201ELNS1_3gpuE5ELNS1_3repE0EEENS1_30default_config_static_selectorELNS0_4arch9wavefront6targetE0EEEvT1_.numbered_sgpr, 0
	.set _ZN7rocprim17ROCPRIM_400000_NS6detail17trampoline_kernelINS0_14default_configENS1_27scan_by_key_config_selectorIiiEEZZNS1_16scan_by_key_implILNS1_25lookback_scan_determinismE0ELb1ES3_N6thrust23THRUST_200600_302600_NS6detail15normal_iteratorINS9_10device_ptrIiEEEESE_SE_iNS9_4plusIvEENS9_8equal_toIvEEiEE10hipError_tPvRmT2_T3_T4_T5_mT6_T7_P12ihipStream_tbENKUlT_T0_E_clISt17integral_constantIbLb1EESY_IbLb0EEEEDaSU_SV_EUlSU_E_NS1_11comp_targetILNS1_3genE10ELNS1_11target_archE1201ELNS1_3gpuE5ELNS1_3repE0EEENS1_30default_config_static_selectorELNS0_4arch9wavefront6targetE0EEEvT1_.num_named_barrier, 0
	.set _ZN7rocprim17ROCPRIM_400000_NS6detail17trampoline_kernelINS0_14default_configENS1_27scan_by_key_config_selectorIiiEEZZNS1_16scan_by_key_implILNS1_25lookback_scan_determinismE0ELb1ES3_N6thrust23THRUST_200600_302600_NS6detail15normal_iteratorINS9_10device_ptrIiEEEESE_SE_iNS9_4plusIvEENS9_8equal_toIvEEiEE10hipError_tPvRmT2_T3_T4_T5_mT6_T7_P12ihipStream_tbENKUlT_T0_E_clISt17integral_constantIbLb1EESY_IbLb0EEEEDaSU_SV_EUlSU_E_NS1_11comp_targetILNS1_3genE10ELNS1_11target_archE1201ELNS1_3gpuE5ELNS1_3repE0EEENS1_30default_config_static_selectorELNS0_4arch9wavefront6targetE0EEEvT1_.private_seg_size, 0
	.set _ZN7rocprim17ROCPRIM_400000_NS6detail17trampoline_kernelINS0_14default_configENS1_27scan_by_key_config_selectorIiiEEZZNS1_16scan_by_key_implILNS1_25lookback_scan_determinismE0ELb1ES3_N6thrust23THRUST_200600_302600_NS6detail15normal_iteratorINS9_10device_ptrIiEEEESE_SE_iNS9_4plusIvEENS9_8equal_toIvEEiEE10hipError_tPvRmT2_T3_T4_T5_mT6_T7_P12ihipStream_tbENKUlT_T0_E_clISt17integral_constantIbLb1EESY_IbLb0EEEEDaSU_SV_EUlSU_E_NS1_11comp_targetILNS1_3genE10ELNS1_11target_archE1201ELNS1_3gpuE5ELNS1_3repE0EEENS1_30default_config_static_selectorELNS0_4arch9wavefront6targetE0EEEvT1_.uses_vcc, 0
	.set _ZN7rocprim17ROCPRIM_400000_NS6detail17trampoline_kernelINS0_14default_configENS1_27scan_by_key_config_selectorIiiEEZZNS1_16scan_by_key_implILNS1_25lookback_scan_determinismE0ELb1ES3_N6thrust23THRUST_200600_302600_NS6detail15normal_iteratorINS9_10device_ptrIiEEEESE_SE_iNS9_4plusIvEENS9_8equal_toIvEEiEE10hipError_tPvRmT2_T3_T4_T5_mT6_T7_P12ihipStream_tbENKUlT_T0_E_clISt17integral_constantIbLb1EESY_IbLb0EEEEDaSU_SV_EUlSU_E_NS1_11comp_targetILNS1_3genE10ELNS1_11target_archE1201ELNS1_3gpuE5ELNS1_3repE0EEENS1_30default_config_static_selectorELNS0_4arch9wavefront6targetE0EEEvT1_.uses_flat_scratch, 0
	.set _ZN7rocprim17ROCPRIM_400000_NS6detail17trampoline_kernelINS0_14default_configENS1_27scan_by_key_config_selectorIiiEEZZNS1_16scan_by_key_implILNS1_25lookback_scan_determinismE0ELb1ES3_N6thrust23THRUST_200600_302600_NS6detail15normal_iteratorINS9_10device_ptrIiEEEESE_SE_iNS9_4plusIvEENS9_8equal_toIvEEiEE10hipError_tPvRmT2_T3_T4_T5_mT6_T7_P12ihipStream_tbENKUlT_T0_E_clISt17integral_constantIbLb1EESY_IbLb0EEEEDaSU_SV_EUlSU_E_NS1_11comp_targetILNS1_3genE10ELNS1_11target_archE1201ELNS1_3gpuE5ELNS1_3repE0EEENS1_30default_config_static_selectorELNS0_4arch9wavefront6targetE0EEEvT1_.has_dyn_sized_stack, 0
	.set _ZN7rocprim17ROCPRIM_400000_NS6detail17trampoline_kernelINS0_14default_configENS1_27scan_by_key_config_selectorIiiEEZZNS1_16scan_by_key_implILNS1_25lookback_scan_determinismE0ELb1ES3_N6thrust23THRUST_200600_302600_NS6detail15normal_iteratorINS9_10device_ptrIiEEEESE_SE_iNS9_4plusIvEENS9_8equal_toIvEEiEE10hipError_tPvRmT2_T3_T4_T5_mT6_T7_P12ihipStream_tbENKUlT_T0_E_clISt17integral_constantIbLb1EESY_IbLb0EEEEDaSU_SV_EUlSU_E_NS1_11comp_targetILNS1_3genE10ELNS1_11target_archE1201ELNS1_3gpuE5ELNS1_3repE0EEENS1_30default_config_static_selectorELNS0_4arch9wavefront6targetE0EEEvT1_.has_recursion, 0
	.set _ZN7rocprim17ROCPRIM_400000_NS6detail17trampoline_kernelINS0_14default_configENS1_27scan_by_key_config_selectorIiiEEZZNS1_16scan_by_key_implILNS1_25lookback_scan_determinismE0ELb1ES3_N6thrust23THRUST_200600_302600_NS6detail15normal_iteratorINS9_10device_ptrIiEEEESE_SE_iNS9_4plusIvEENS9_8equal_toIvEEiEE10hipError_tPvRmT2_T3_T4_T5_mT6_T7_P12ihipStream_tbENKUlT_T0_E_clISt17integral_constantIbLb1EESY_IbLb0EEEEDaSU_SV_EUlSU_E_NS1_11comp_targetILNS1_3genE10ELNS1_11target_archE1201ELNS1_3gpuE5ELNS1_3repE0EEENS1_30default_config_static_selectorELNS0_4arch9wavefront6targetE0EEEvT1_.has_indirect_call, 0
	.section	.AMDGPU.csdata,"",@progbits
; Kernel info:
; codeLenInByte = 0
; TotalNumSgprs: 0
; NumVgprs: 0
; ScratchSize: 0
; MemoryBound: 0
; FloatMode: 240
; IeeeMode: 1
; LDSByteSize: 0 bytes/workgroup (compile time only)
; SGPRBlocks: 0
; VGPRBlocks: 0
; NumSGPRsForWavesPerEU: 1
; NumVGPRsForWavesPerEU: 1
; NamedBarCnt: 0
; Occupancy: 16
; WaveLimiterHint : 0
; COMPUTE_PGM_RSRC2:SCRATCH_EN: 0
; COMPUTE_PGM_RSRC2:USER_SGPR: 2
; COMPUTE_PGM_RSRC2:TRAP_HANDLER: 0
; COMPUTE_PGM_RSRC2:TGID_X_EN: 1
; COMPUTE_PGM_RSRC2:TGID_Y_EN: 0
; COMPUTE_PGM_RSRC2:TGID_Z_EN: 0
; COMPUTE_PGM_RSRC2:TIDIG_COMP_CNT: 0
	.section	.text._ZN7rocprim17ROCPRIM_400000_NS6detail17trampoline_kernelINS0_14default_configENS1_27scan_by_key_config_selectorIiiEEZZNS1_16scan_by_key_implILNS1_25lookback_scan_determinismE0ELb1ES3_N6thrust23THRUST_200600_302600_NS6detail15normal_iteratorINS9_10device_ptrIiEEEESE_SE_iNS9_4plusIvEENS9_8equal_toIvEEiEE10hipError_tPvRmT2_T3_T4_T5_mT6_T7_P12ihipStream_tbENKUlT_T0_E_clISt17integral_constantIbLb1EESY_IbLb0EEEEDaSU_SV_EUlSU_E_NS1_11comp_targetILNS1_3genE5ELNS1_11target_archE942ELNS1_3gpuE9ELNS1_3repE0EEENS1_30default_config_static_selectorELNS0_4arch9wavefront6targetE0EEEvT1_,"axG",@progbits,_ZN7rocprim17ROCPRIM_400000_NS6detail17trampoline_kernelINS0_14default_configENS1_27scan_by_key_config_selectorIiiEEZZNS1_16scan_by_key_implILNS1_25lookback_scan_determinismE0ELb1ES3_N6thrust23THRUST_200600_302600_NS6detail15normal_iteratorINS9_10device_ptrIiEEEESE_SE_iNS9_4plusIvEENS9_8equal_toIvEEiEE10hipError_tPvRmT2_T3_T4_T5_mT6_T7_P12ihipStream_tbENKUlT_T0_E_clISt17integral_constantIbLb1EESY_IbLb0EEEEDaSU_SV_EUlSU_E_NS1_11comp_targetILNS1_3genE5ELNS1_11target_archE942ELNS1_3gpuE9ELNS1_3repE0EEENS1_30default_config_static_selectorELNS0_4arch9wavefront6targetE0EEEvT1_,comdat
	.protected	_ZN7rocprim17ROCPRIM_400000_NS6detail17trampoline_kernelINS0_14default_configENS1_27scan_by_key_config_selectorIiiEEZZNS1_16scan_by_key_implILNS1_25lookback_scan_determinismE0ELb1ES3_N6thrust23THRUST_200600_302600_NS6detail15normal_iteratorINS9_10device_ptrIiEEEESE_SE_iNS9_4plusIvEENS9_8equal_toIvEEiEE10hipError_tPvRmT2_T3_T4_T5_mT6_T7_P12ihipStream_tbENKUlT_T0_E_clISt17integral_constantIbLb1EESY_IbLb0EEEEDaSU_SV_EUlSU_E_NS1_11comp_targetILNS1_3genE5ELNS1_11target_archE942ELNS1_3gpuE9ELNS1_3repE0EEENS1_30default_config_static_selectorELNS0_4arch9wavefront6targetE0EEEvT1_ ; -- Begin function _ZN7rocprim17ROCPRIM_400000_NS6detail17trampoline_kernelINS0_14default_configENS1_27scan_by_key_config_selectorIiiEEZZNS1_16scan_by_key_implILNS1_25lookback_scan_determinismE0ELb1ES3_N6thrust23THRUST_200600_302600_NS6detail15normal_iteratorINS9_10device_ptrIiEEEESE_SE_iNS9_4plusIvEENS9_8equal_toIvEEiEE10hipError_tPvRmT2_T3_T4_T5_mT6_T7_P12ihipStream_tbENKUlT_T0_E_clISt17integral_constantIbLb1EESY_IbLb0EEEEDaSU_SV_EUlSU_E_NS1_11comp_targetILNS1_3genE5ELNS1_11target_archE942ELNS1_3gpuE9ELNS1_3repE0EEENS1_30default_config_static_selectorELNS0_4arch9wavefront6targetE0EEEvT1_
	.globl	_ZN7rocprim17ROCPRIM_400000_NS6detail17trampoline_kernelINS0_14default_configENS1_27scan_by_key_config_selectorIiiEEZZNS1_16scan_by_key_implILNS1_25lookback_scan_determinismE0ELb1ES3_N6thrust23THRUST_200600_302600_NS6detail15normal_iteratorINS9_10device_ptrIiEEEESE_SE_iNS9_4plusIvEENS9_8equal_toIvEEiEE10hipError_tPvRmT2_T3_T4_T5_mT6_T7_P12ihipStream_tbENKUlT_T0_E_clISt17integral_constantIbLb1EESY_IbLb0EEEEDaSU_SV_EUlSU_E_NS1_11comp_targetILNS1_3genE5ELNS1_11target_archE942ELNS1_3gpuE9ELNS1_3repE0EEENS1_30default_config_static_selectorELNS0_4arch9wavefront6targetE0EEEvT1_
	.p2align	8
	.type	_ZN7rocprim17ROCPRIM_400000_NS6detail17trampoline_kernelINS0_14default_configENS1_27scan_by_key_config_selectorIiiEEZZNS1_16scan_by_key_implILNS1_25lookback_scan_determinismE0ELb1ES3_N6thrust23THRUST_200600_302600_NS6detail15normal_iteratorINS9_10device_ptrIiEEEESE_SE_iNS9_4plusIvEENS9_8equal_toIvEEiEE10hipError_tPvRmT2_T3_T4_T5_mT6_T7_P12ihipStream_tbENKUlT_T0_E_clISt17integral_constantIbLb1EESY_IbLb0EEEEDaSU_SV_EUlSU_E_NS1_11comp_targetILNS1_3genE5ELNS1_11target_archE942ELNS1_3gpuE9ELNS1_3repE0EEENS1_30default_config_static_selectorELNS0_4arch9wavefront6targetE0EEEvT1_,@function
_ZN7rocprim17ROCPRIM_400000_NS6detail17trampoline_kernelINS0_14default_configENS1_27scan_by_key_config_selectorIiiEEZZNS1_16scan_by_key_implILNS1_25lookback_scan_determinismE0ELb1ES3_N6thrust23THRUST_200600_302600_NS6detail15normal_iteratorINS9_10device_ptrIiEEEESE_SE_iNS9_4plusIvEENS9_8equal_toIvEEiEE10hipError_tPvRmT2_T3_T4_T5_mT6_T7_P12ihipStream_tbENKUlT_T0_E_clISt17integral_constantIbLb1EESY_IbLb0EEEEDaSU_SV_EUlSU_E_NS1_11comp_targetILNS1_3genE5ELNS1_11target_archE942ELNS1_3gpuE9ELNS1_3repE0EEENS1_30default_config_static_selectorELNS0_4arch9wavefront6targetE0EEEvT1_: ; @_ZN7rocprim17ROCPRIM_400000_NS6detail17trampoline_kernelINS0_14default_configENS1_27scan_by_key_config_selectorIiiEEZZNS1_16scan_by_key_implILNS1_25lookback_scan_determinismE0ELb1ES3_N6thrust23THRUST_200600_302600_NS6detail15normal_iteratorINS9_10device_ptrIiEEEESE_SE_iNS9_4plusIvEENS9_8equal_toIvEEiEE10hipError_tPvRmT2_T3_T4_T5_mT6_T7_P12ihipStream_tbENKUlT_T0_E_clISt17integral_constantIbLb1EESY_IbLb0EEEEDaSU_SV_EUlSU_E_NS1_11comp_targetILNS1_3genE5ELNS1_11target_archE942ELNS1_3gpuE9ELNS1_3repE0EEENS1_30default_config_static_selectorELNS0_4arch9wavefront6targetE0EEEvT1_
; %bb.0:
	.section	.rodata,"a",@progbits
	.p2align	6, 0x0
	.amdhsa_kernel _ZN7rocprim17ROCPRIM_400000_NS6detail17trampoline_kernelINS0_14default_configENS1_27scan_by_key_config_selectorIiiEEZZNS1_16scan_by_key_implILNS1_25lookback_scan_determinismE0ELb1ES3_N6thrust23THRUST_200600_302600_NS6detail15normal_iteratorINS9_10device_ptrIiEEEESE_SE_iNS9_4plusIvEENS9_8equal_toIvEEiEE10hipError_tPvRmT2_T3_T4_T5_mT6_T7_P12ihipStream_tbENKUlT_T0_E_clISt17integral_constantIbLb1EESY_IbLb0EEEEDaSU_SV_EUlSU_E_NS1_11comp_targetILNS1_3genE5ELNS1_11target_archE942ELNS1_3gpuE9ELNS1_3repE0EEENS1_30default_config_static_selectorELNS0_4arch9wavefront6targetE0EEEvT1_
		.amdhsa_group_segment_fixed_size 0
		.amdhsa_private_segment_fixed_size 0
		.amdhsa_kernarg_size 112
		.amdhsa_user_sgpr_count 2
		.amdhsa_user_sgpr_dispatch_ptr 0
		.amdhsa_user_sgpr_queue_ptr 0
		.amdhsa_user_sgpr_kernarg_segment_ptr 1
		.amdhsa_user_sgpr_dispatch_id 0
		.amdhsa_user_sgpr_kernarg_preload_length 0
		.amdhsa_user_sgpr_kernarg_preload_offset 0
		.amdhsa_user_sgpr_private_segment_size 0
		.amdhsa_wavefront_size32 1
		.amdhsa_uses_dynamic_stack 0
		.amdhsa_enable_private_segment 0
		.amdhsa_system_sgpr_workgroup_id_x 1
		.amdhsa_system_sgpr_workgroup_id_y 0
		.amdhsa_system_sgpr_workgroup_id_z 0
		.amdhsa_system_sgpr_workgroup_info 0
		.amdhsa_system_vgpr_workitem_id 0
		.amdhsa_next_free_vgpr 1
		.amdhsa_next_free_sgpr 1
		.amdhsa_named_barrier_count 0
		.amdhsa_reserve_vcc 0
		.amdhsa_float_round_mode_32 0
		.amdhsa_float_round_mode_16_64 0
		.amdhsa_float_denorm_mode_32 3
		.amdhsa_float_denorm_mode_16_64 3
		.amdhsa_fp16_overflow 0
		.amdhsa_memory_ordered 1
		.amdhsa_forward_progress 1
		.amdhsa_inst_pref_size 0
		.amdhsa_round_robin_scheduling 0
		.amdhsa_exception_fp_ieee_invalid_op 0
		.amdhsa_exception_fp_denorm_src 0
		.amdhsa_exception_fp_ieee_div_zero 0
		.amdhsa_exception_fp_ieee_overflow 0
		.amdhsa_exception_fp_ieee_underflow 0
		.amdhsa_exception_fp_ieee_inexact 0
		.amdhsa_exception_int_div_zero 0
	.end_amdhsa_kernel
	.section	.text._ZN7rocprim17ROCPRIM_400000_NS6detail17trampoline_kernelINS0_14default_configENS1_27scan_by_key_config_selectorIiiEEZZNS1_16scan_by_key_implILNS1_25lookback_scan_determinismE0ELb1ES3_N6thrust23THRUST_200600_302600_NS6detail15normal_iteratorINS9_10device_ptrIiEEEESE_SE_iNS9_4plusIvEENS9_8equal_toIvEEiEE10hipError_tPvRmT2_T3_T4_T5_mT6_T7_P12ihipStream_tbENKUlT_T0_E_clISt17integral_constantIbLb1EESY_IbLb0EEEEDaSU_SV_EUlSU_E_NS1_11comp_targetILNS1_3genE5ELNS1_11target_archE942ELNS1_3gpuE9ELNS1_3repE0EEENS1_30default_config_static_selectorELNS0_4arch9wavefront6targetE0EEEvT1_,"axG",@progbits,_ZN7rocprim17ROCPRIM_400000_NS6detail17trampoline_kernelINS0_14default_configENS1_27scan_by_key_config_selectorIiiEEZZNS1_16scan_by_key_implILNS1_25lookback_scan_determinismE0ELb1ES3_N6thrust23THRUST_200600_302600_NS6detail15normal_iteratorINS9_10device_ptrIiEEEESE_SE_iNS9_4plusIvEENS9_8equal_toIvEEiEE10hipError_tPvRmT2_T3_T4_T5_mT6_T7_P12ihipStream_tbENKUlT_T0_E_clISt17integral_constantIbLb1EESY_IbLb0EEEEDaSU_SV_EUlSU_E_NS1_11comp_targetILNS1_3genE5ELNS1_11target_archE942ELNS1_3gpuE9ELNS1_3repE0EEENS1_30default_config_static_selectorELNS0_4arch9wavefront6targetE0EEEvT1_,comdat
.Lfunc_end481:
	.size	_ZN7rocprim17ROCPRIM_400000_NS6detail17trampoline_kernelINS0_14default_configENS1_27scan_by_key_config_selectorIiiEEZZNS1_16scan_by_key_implILNS1_25lookback_scan_determinismE0ELb1ES3_N6thrust23THRUST_200600_302600_NS6detail15normal_iteratorINS9_10device_ptrIiEEEESE_SE_iNS9_4plusIvEENS9_8equal_toIvEEiEE10hipError_tPvRmT2_T3_T4_T5_mT6_T7_P12ihipStream_tbENKUlT_T0_E_clISt17integral_constantIbLb1EESY_IbLb0EEEEDaSU_SV_EUlSU_E_NS1_11comp_targetILNS1_3genE5ELNS1_11target_archE942ELNS1_3gpuE9ELNS1_3repE0EEENS1_30default_config_static_selectorELNS0_4arch9wavefront6targetE0EEEvT1_, .Lfunc_end481-_ZN7rocprim17ROCPRIM_400000_NS6detail17trampoline_kernelINS0_14default_configENS1_27scan_by_key_config_selectorIiiEEZZNS1_16scan_by_key_implILNS1_25lookback_scan_determinismE0ELb1ES3_N6thrust23THRUST_200600_302600_NS6detail15normal_iteratorINS9_10device_ptrIiEEEESE_SE_iNS9_4plusIvEENS9_8equal_toIvEEiEE10hipError_tPvRmT2_T3_T4_T5_mT6_T7_P12ihipStream_tbENKUlT_T0_E_clISt17integral_constantIbLb1EESY_IbLb0EEEEDaSU_SV_EUlSU_E_NS1_11comp_targetILNS1_3genE5ELNS1_11target_archE942ELNS1_3gpuE9ELNS1_3repE0EEENS1_30default_config_static_selectorELNS0_4arch9wavefront6targetE0EEEvT1_
                                        ; -- End function
	.set _ZN7rocprim17ROCPRIM_400000_NS6detail17trampoline_kernelINS0_14default_configENS1_27scan_by_key_config_selectorIiiEEZZNS1_16scan_by_key_implILNS1_25lookback_scan_determinismE0ELb1ES3_N6thrust23THRUST_200600_302600_NS6detail15normal_iteratorINS9_10device_ptrIiEEEESE_SE_iNS9_4plusIvEENS9_8equal_toIvEEiEE10hipError_tPvRmT2_T3_T4_T5_mT6_T7_P12ihipStream_tbENKUlT_T0_E_clISt17integral_constantIbLb1EESY_IbLb0EEEEDaSU_SV_EUlSU_E_NS1_11comp_targetILNS1_3genE5ELNS1_11target_archE942ELNS1_3gpuE9ELNS1_3repE0EEENS1_30default_config_static_selectorELNS0_4arch9wavefront6targetE0EEEvT1_.num_vgpr, 0
	.set _ZN7rocprim17ROCPRIM_400000_NS6detail17trampoline_kernelINS0_14default_configENS1_27scan_by_key_config_selectorIiiEEZZNS1_16scan_by_key_implILNS1_25lookback_scan_determinismE0ELb1ES3_N6thrust23THRUST_200600_302600_NS6detail15normal_iteratorINS9_10device_ptrIiEEEESE_SE_iNS9_4plusIvEENS9_8equal_toIvEEiEE10hipError_tPvRmT2_T3_T4_T5_mT6_T7_P12ihipStream_tbENKUlT_T0_E_clISt17integral_constantIbLb1EESY_IbLb0EEEEDaSU_SV_EUlSU_E_NS1_11comp_targetILNS1_3genE5ELNS1_11target_archE942ELNS1_3gpuE9ELNS1_3repE0EEENS1_30default_config_static_selectorELNS0_4arch9wavefront6targetE0EEEvT1_.num_agpr, 0
	.set _ZN7rocprim17ROCPRIM_400000_NS6detail17trampoline_kernelINS0_14default_configENS1_27scan_by_key_config_selectorIiiEEZZNS1_16scan_by_key_implILNS1_25lookback_scan_determinismE0ELb1ES3_N6thrust23THRUST_200600_302600_NS6detail15normal_iteratorINS9_10device_ptrIiEEEESE_SE_iNS9_4plusIvEENS9_8equal_toIvEEiEE10hipError_tPvRmT2_T3_T4_T5_mT6_T7_P12ihipStream_tbENKUlT_T0_E_clISt17integral_constantIbLb1EESY_IbLb0EEEEDaSU_SV_EUlSU_E_NS1_11comp_targetILNS1_3genE5ELNS1_11target_archE942ELNS1_3gpuE9ELNS1_3repE0EEENS1_30default_config_static_selectorELNS0_4arch9wavefront6targetE0EEEvT1_.numbered_sgpr, 0
	.set _ZN7rocprim17ROCPRIM_400000_NS6detail17trampoline_kernelINS0_14default_configENS1_27scan_by_key_config_selectorIiiEEZZNS1_16scan_by_key_implILNS1_25lookback_scan_determinismE0ELb1ES3_N6thrust23THRUST_200600_302600_NS6detail15normal_iteratorINS9_10device_ptrIiEEEESE_SE_iNS9_4plusIvEENS9_8equal_toIvEEiEE10hipError_tPvRmT2_T3_T4_T5_mT6_T7_P12ihipStream_tbENKUlT_T0_E_clISt17integral_constantIbLb1EESY_IbLb0EEEEDaSU_SV_EUlSU_E_NS1_11comp_targetILNS1_3genE5ELNS1_11target_archE942ELNS1_3gpuE9ELNS1_3repE0EEENS1_30default_config_static_selectorELNS0_4arch9wavefront6targetE0EEEvT1_.num_named_barrier, 0
	.set _ZN7rocprim17ROCPRIM_400000_NS6detail17trampoline_kernelINS0_14default_configENS1_27scan_by_key_config_selectorIiiEEZZNS1_16scan_by_key_implILNS1_25lookback_scan_determinismE0ELb1ES3_N6thrust23THRUST_200600_302600_NS6detail15normal_iteratorINS9_10device_ptrIiEEEESE_SE_iNS9_4plusIvEENS9_8equal_toIvEEiEE10hipError_tPvRmT2_T3_T4_T5_mT6_T7_P12ihipStream_tbENKUlT_T0_E_clISt17integral_constantIbLb1EESY_IbLb0EEEEDaSU_SV_EUlSU_E_NS1_11comp_targetILNS1_3genE5ELNS1_11target_archE942ELNS1_3gpuE9ELNS1_3repE0EEENS1_30default_config_static_selectorELNS0_4arch9wavefront6targetE0EEEvT1_.private_seg_size, 0
	.set _ZN7rocprim17ROCPRIM_400000_NS6detail17trampoline_kernelINS0_14default_configENS1_27scan_by_key_config_selectorIiiEEZZNS1_16scan_by_key_implILNS1_25lookback_scan_determinismE0ELb1ES3_N6thrust23THRUST_200600_302600_NS6detail15normal_iteratorINS9_10device_ptrIiEEEESE_SE_iNS9_4plusIvEENS9_8equal_toIvEEiEE10hipError_tPvRmT2_T3_T4_T5_mT6_T7_P12ihipStream_tbENKUlT_T0_E_clISt17integral_constantIbLb1EESY_IbLb0EEEEDaSU_SV_EUlSU_E_NS1_11comp_targetILNS1_3genE5ELNS1_11target_archE942ELNS1_3gpuE9ELNS1_3repE0EEENS1_30default_config_static_selectorELNS0_4arch9wavefront6targetE0EEEvT1_.uses_vcc, 0
	.set _ZN7rocprim17ROCPRIM_400000_NS6detail17trampoline_kernelINS0_14default_configENS1_27scan_by_key_config_selectorIiiEEZZNS1_16scan_by_key_implILNS1_25lookback_scan_determinismE0ELb1ES3_N6thrust23THRUST_200600_302600_NS6detail15normal_iteratorINS9_10device_ptrIiEEEESE_SE_iNS9_4plusIvEENS9_8equal_toIvEEiEE10hipError_tPvRmT2_T3_T4_T5_mT6_T7_P12ihipStream_tbENKUlT_T0_E_clISt17integral_constantIbLb1EESY_IbLb0EEEEDaSU_SV_EUlSU_E_NS1_11comp_targetILNS1_3genE5ELNS1_11target_archE942ELNS1_3gpuE9ELNS1_3repE0EEENS1_30default_config_static_selectorELNS0_4arch9wavefront6targetE0EEEvT1_.uses_flat_scratch, 0
	.set _ZN7rocprim17ROCPRIM_400000_NS6detail17trampoline_kernelINS0_14default_configENS1_27scan_by_key_config_selectorIiiEEZZNS1_16scan_by_key_implILNS1_25lookback_scan_determinismE0ELb1ES3_N6thrust23THRUST_200600_302600_NS6detail15normal_iteratorINS9_10device_ptrIiEEEESE_SE_iNS9_4plusIvEENS9_8equal_toIvEEiEE10hipError_tPvRmT2_T3_T4_T5_mT6_T7_P12ihipStream_tbENKUlT_T0_E_clISt17integral_constantIbLb1EESY_IbLb0EEEEDaSU_SV_EUlSU_E_NS1_11comp_targetILNS1_3genE5ELNS1_11target_archE942ELNS1_3gpuE9ELNS1_3repE0EEENS1_30default_config_static_selectorELNS0_4arch9wavefront6targetE0EEEvT1_.has_dyn_sized_stack, 0
	.set _ZN7rocprim17ROCPRIM_400000_NS6detail17trampoline_kernelINS0_14default_configENS1_27scan_by_key_config_selectorIiiEEZZNS1_16scan_by_key_implILNS1_25lookback_scan_determinismE0ELb1ES3_N6thrust23THRUST_200600_302600_NS6detail15normal_iteratorINS9_10device_ptrIiEEEESE_SE_iNS9_4plusIvEENS9_8equal_toIvEEiEE10hipError_tPvRmT2_T3_T4_T5_mT6_T7_P12ihipStream_tbENKUlT_T0_E_clISt17integral_constantIbLb1EESY_IbLb0EEEEDaSU_SV_EUlSU_E_NS1_11comp_targetILNS1_3genE5ELNS1_11target_archE942ELNS1_3gpuE9ELNS1_3repE0EEENS1_30default_config_static_selectorELNS0_4arch9wavefront6targetE0EEEvT1_.has_recursion, 0
	.set _ZN7rocprim17ROCPRIM_400000_NS6detail17trampoline_kernelINS0_14default_configENS1_27scan_by_key_config_selectorIiiEEZZNS1_16scan_by_key_implILNS1_25lookback_scan_determinismE0ELb1ES3_N6thrust23THRUST_200600_302600_NS6detail15normal_iteratorINS9_10device_ptrIiEEEESE_SE_iNS9_4plusIvEENS9_8equal_toIvEEiEE10hipError_tPvRmT2_T3_T4_T5_mT6_T7_P12ihipStream_tbENKUlT_T0_E_clISt17integral_constantIbLb1EESY_IbLb0EEEEDaSU_SV_EUlSU_E_NS1_11comp_targetILNS1_3genE5ELNS1_11target_archE942ELNS1_3gpuE9ELNS1_3repE0EEENS1_30default_config_static_selectorELNS0_4arch9wavefront6targetE0EEEvT1_.has_indirect_call, 0
	.section	.AMDGPU.csdata,"",@progbits
; Kernel info:
; codeLenInByte = 0
; TotalNumSgprs: 0
; NumVgprs: 0
; ScratchSize: 0
; MemoryBound: 0
; FloatMode: 240
; IeeeMode: 1
; LDSByteSize: 0 bytes/workgroup (compile time only)
; SGPRBlocks: 0
; VGPRBlocks: 0
; NumSGPRsForWavesPerEU: 1
; NumVGPRsForWavesPerEU: 1
; NamedBarCnt: 0
; Occupancy: 16
; WaveLimiterHint : 0
; COMPUTE_PGM_RSRC2:SCRATCH_EN: 0
; COMPUTE_PGM_RSRC2:USER_SGPR: 2
; COMPUTE_PGM_RSRC2:TRAP_HANDLER: 0
; COMPUTE_PGM_RSRC2:TGID_X_EN: 1
; COMPUTE_PGM_RSRC2:TGID_Y_EN: 0
; COMPUTE_PGM_RSRC2:TGID_Z_EN: 0
; COMPUTE_PGM_RSRC2:TIDIG_COMP_CNT: 0
	.section	.text._ZN7rocprim17ROCPRIM_400000_NS6detail17trampoline_kernelINS0_14default_configENS1_27scan_by_key_config_selectorIiiEEZZNS1_16scan_by_key_implILNS1_25lookback_scan_determinismE0ELb1ES3_N6thrust23THRUST_200600_302600_NS6detail15normal_iteratorINS9_10device_ptrIiEEEESE_SE_iNS9_4plusIvEENS9_8equal_toIvEEiEE10hipError_tPvRmT2_T3_T4_T5_mT6_T7_P12ihipStream_tbENKUlT_T0_E_clISt17integral_constantIbLb1EESY_IbLb0EEEEDaSU_SV_EUlSU_E_NS1_11comp_targetILNS1_3genE4ELNS1_11target_archE910ELNS1_3gpuE8ELNS1_3repE0EEENS1_30default_config_static_selectorELNS0_4arch9wavefront6targetE0EEEvT1_,"axG",@progbits,_ZN7rocprim17ROCPRIM_400000_NS6detail17trampoline_kernelINS0_14default_configENS1_27scan_by_key_config_selectorIiiEEZZNS1_16scan_by_key_implILNS1_25lookback_scan_determinismE0ELb1ES3_N6thrust23THRUST_200600_302600_NS6detail15normal_iteratorINS9_10device_ptrIiEEEESE_SE_iNS9_4plusIvEENS9_8equal_toIvEEiEE10hipError_tPvRmT2_T3_T4_T5_mT6_T7_P12ihipStream_tbENKUlT_T0_E_clISt17integral_constantIbLb1EESY_IbLb0EEEEDaSU_SV_EUlSU_E_NS1_11comp_targetILNS1_3genE4ELNS1_11target_archE910ELNS1_3gpuE8ELNS1_3repE0EEENS1_30default_config_static_selectorELNS0_4arch9wavefront6targetE0EEEvT1_,comdat
	.protected	_ZN7rocprim17ROCPRIM_400000_NS6detail17trampoline_kernelINS0_14default_configENS1_27scan_by_key_config_selectorIiiEEZZNS1_16scan_by_key_implILNS1_25lookback_scan_determinismE0ELb1ES3_N6thrust23THRUST_200600_302600_NS6detail15normal_iteratorINS9_10device_ptrIiEEEESE_SE_iNS9_4plusIvEENS9_8equal_toIvEEiEE10hipError_tPvRmT2_T3_T4_T5_mT6_T7_P12ihipStream_tbENKUlT_T0_E_clISt17integral_constantIbLb1EESY_IbLb0EEEEDaSU_SV_EUlSU_E_NS1_11comp_targetILNS1_3genE4ELNS1_11target_archE910ELNS1_3gpuE8ELNS1_3repE0EEENS1_30default_config_static_selectorELNS0_4arch9wavefront6targetE0EEEvT1_ ; -- Begin function _ZN7rocprim17ROCPRIM_400000_NS6detail17trampoline_kernelINS0_14default_configENS1_27scan_by_key_config_selectorIiiEEZZNS1_16scan_by_key_implILNS1_25lookback_scan_determinismE0ELb1ES3_N6thrust23THRUST_200600_302600_NS6detail15normal_iteratorINS9_10device_ptrIiEEEESE_SE_iNS9_4plusIvEENS9_8equal_toIvEEiEE10hipError_tPvRmT2_T3_T4_T5_mT6_T7_P12ihipStream_tbENKUlT_T0_E_clISt17integral_constantIbLb1EESY_IbLb0EEEEDaSU_SV_EUlSU_E_NS1_11comp_targetILNS1_3genE4ELNS1_11target_archE910ELNS1_3gpuE8ELNS1_3repE0EEENS1_30default_config_static_selectorELNS0_4arch9wavefront6targetE0EEEvT1_
	.globl	_ZN7rocprim17ROCPRIM_400000_NS6detail17trampoline_kernelINS0_14default_configENS1_27scan_by_key_config_selectorIiiEEZZNS1_16scan_by_key_implILNS1_25lookback_scan_determinismE0ELb1ES3_N6thrust23THRUST_200600_302600_NS6detail15normal_iteratorINS9_10device_ptrIiEEEESE_SE_iNS9_4plusIvEENS9_8equal_toIvEEiEE10hipError_tPvRmT2_T3_T4_T5_mT6_T7_P12ihipStream_tbENKUlT_T0_E_clISt17integral_constantIbLb1EESY_IbLb0EEEEDaSU_SV_EUlSU_E_NS1_11comp_targetILNS1_3genE4ELNS1_11target_archE910ELNS1_3gpuE8ELNS1_3repE0EEENS1_30default_config_static_selectorELNS0_4arch9wavefront6targetE0EEEvT1_
	.p2align	8
	.type	_ZN7rocprim17ROCPRIM_400000_NS6detail17trampoline_kernelINS0_14default_configENS1_27scan_by_key_config_selectorIiiEEZZNS1_16scan_by_key_implILNS1_25lookback_scan_determinismE0ELb1ES3_N6thrust23THRUST_200600_302600_NS6detail15normal_iteratorINS9_10device_ptrIiEEEESE_SE_iNS9_4plusIvEENS9_8equal_toIvEEiEE10hipError_tPvRmT2_T3_T4_T5_mT6_T7_P12ihipStream_tbENKUlT_T0_E_clISt17integral_constantIbLb1EESY_IbLb0EEEEDaSU_SV_EUlSU_E_NS1_11comp_targetILNS1_3genE4ELNS1_11target_archE910ELNS1_3gpuE8ELNS1_3repE0EEENS1_30default_config_static_selectorELNS0_4arch9wavefront6targetE0EEEvT1_,@function
_ZN7rocprim17ROCPRIM_400000_NS6detail17trampoline_kernelINS0_14default_configENS1_27scan_by_key_config_selectorIiiEEZZNS1_16scan_by_key_implILNS1_25lookback_scan_determinismE0ELb1ES3_N6thrust23THRUST_200600_302600_NS6detail15normal_iteratorINS9_10device_ptrIiEEEESE_SE_iNS9_4plusIvEENS9_8equal_toIvEEiEE10hipError_tPvRmT2_T3_T4_T5_mT6_T7_P12ihipStream_tbENKUlT_T0_E_clISt17integral_constantIbLb1EESY_IbLb0EEEEDaSU_SV_EUlSU_E_NS1_11comp_targetILNS1_3genE4ELNS1_11target_archE910ELNS1_3gpuE8ELNS1_3repE0EEENS1_30default_config_static_selectorELNS0_4arch9wavefront6targetE0EEEvT1_: ; @_ZN7rocprim17ROCPRIM_400000_NS6detail17trampoline_kernelINS0_14default_configENS1_27scan_by_key_config_selectorIiiEEZZNS1_16scan_by_key_implILNS1_25lookback_scan_determinismE0ELb1ES3_N6thrust23THRUST_200600_302600_NS6detail15normal_iteratorINS9_10device_ptrIiEEEESE_SE_iNS9_4plusIvEENS9_8equal_toIvEEiEE10hipError_tPvRmT2_T3_T4_T5_mT6_T7_P12ihipStream_tbENKUlT_T0_E_clISt17integral_constantIbLb1EESY_IbLb0EEEEDaSU_SV_EUlSU_E_NS1_11comp_targetILNS1_3genE4ELNS1_11target_archE910ELNS1_3gpuE8ELNS1_3repE0EEENS1_30default_config_static_selectorELNS0_4arch9wavefront6targetE0EEEvT1_
; %bb.0:
	.section	.rodata,"a",@progbits
	.p2align	6, 0x0
	.amdhsa_kernel _ZN7rocprim17ROCPRIM_400000_NS6detail17trampoline_kernelINS0_14default_configENS1_27scan_by_key_config_selectorIiiEEZZNS1_16scan_by_key_implILNS1_25lookback_scan_determinismE0ELb1ES3_N6thrust23THRUST_200600_302600_NS6detail15normal_iteratorINS9_10device_ptrIiEEEESE_SE_iNS9_4plusIvEENS9_8equal_toIvEEiEE10hipError_tPvRmT2_T3_T4_T5_mT6_T7_P12ihipStream_tbENKUlT_T0_E_clISt17integral_constantIbLb1EESY_IbLb0EEEEDaSU_SV_EUlSU_E_NS1_11comp_targetILNS1_3genE4ELNS1_11target_archE910ELNS1_3gpuE8ELNS1_3repE0EEENS1_30default_config_static_selectorELNS0_4arch9wavefront6targetE0EEEvT1_
		.amdhsa_group_segment_fixed_size 0
		.amdhsa_private_segment_fixed_size 0
		.amdhsa_kernarg_size 112
		.amdhsa_user_sgpr_count 2
		.amdhsa_user_sgpr_dispatch_ptr 0
		.amdhsa_user_sgpr_queue_ptr 0
		.amdhsa_user_sgpr_kernarg_segment_ptr 1
		.amdhsa_user_sgpr_dispatch_id 0
		.amdhsa_user_sgpr_kernarg_preload_length 0
		.amdhsa_user_sgpr_kernarg_preload_offset 0
		.amdhsa_user_sgpr_private_segment_size 0
		.amdhsa_wavefront_size32 1
		.amdhsa_uses_dynamic_stack 0
		.amdhsa_enable_private_segment 0
		.amdhsa_system_sgpr_workgroup_id_x 1
		.amdhsa_system_sgpr_workgroup_id_y 0
		.amdhsa_system_sgpr_workgroup_id_z 0
		.amdhsa_system_sgpr_workgroup_info 0
		.amdhsa_system_vgpr_workitem_id 0
		.amdhsa_next_free_vgpr 1
		.amdhsa_next_free_sgpr 1
		.amdhsa_named_barrier_count 0
		.amdhsa_reserve_vcc 0
		.amdhsa_float_round_mode_32 0
		.amdhsa_float_round_mode_16_64 0
		.amdhsa_float_denorm_mode_32 3
		.amdhsa_float_denorm_mode_16_64 3
		.amdhsa_fp16_overflow 0
		.amdhsa_memory_ordered 1
		.amdhsa_forward_progress 1
		.amdhsa_inst_pref_size 0
		.amdhsa_round_robin_scheduling 0
		.amdhsa_exception_fp_ieee_invalid_op 0
		.amdhsa_exception_fp_denorm_src 0
		.amdhsa_exception_fp_ieee_div_zero 0
		.amdhsa_exception_fp_ieee_overflow 0
		.amdhsa_exception_fp_ieee_underflow 0
		.amdhsa_exception_fp_ieee_inexact 0
		.amdhsa_exception_int_div_zero 0
	.end_amdhsa_kernel
	.section	.text._ZN7rocprim17ROCPRIM_400000_NS6detail17trampoline_kernelINS0_14default_configENS1_27scan_by_key_config_selectorIiiEEZZNS1_16scan_by_key_implILNS1_25lookback_scan_determinismE0ELb1ES3_N6thrust23THRUST_200600_302600_NS6detail15normal_iteratorINS9_10device_ptrIiEEEESE_SE_iNS9_4plusIvEENS9_8equal_toIvEEiEE10hipError_tPvRmT2_T3_T4_T5_mT6_T7_P12ihipStream_tbENKUlT_T0_E_clISt17integral_constantIbLb1EESY_IbLb0EEEEDaSU_SV_EUlSU_E_NS1_11comp_targetILNS1_3genE4ELNS1_11target_archE910ELNS1_3gpuE8ELNS1_3repE0EEENS1_30default_config_static_selectorELNS0_4arch9wavefront6targetE0EEEvT1_,"axG",@progbits,_ZN7rocprim17ROCPRIM_400000_NS6detail17trampoline_kernelINS0_14default_configENS1_27scan_by_key_config_selectorIiiEEZZNS1_16scan_by_key_implILNS1_25lookback_scan_determinismE0ELb1ES3_N6thrust23THRUST_200600_302600_NS6detail15normal_iteratorINS9_10device_ptrIiEEEESE_SE_iNS9_4plusIvEENS9_8equal_toIvEEiEE10hipError_tPvRmT2_T3_T4_T5_mT6_T7_P12ihipStream_tbENKUlT_T0_E_clISt17integral_constantIbLb1EESY_IbLb0EEEEDaSU_SV_EUlSU_E_NS1_11comp_targetILNS1_3genE4ELNS1_11target_archE910ELNS1_3gpuE8ELNS1_3repE0EEENS1_30default_config_static_selectorELNS0_4arch9wavefront6targetE0EEEvT1_,comdat
.Lfunc_end482:
	.size	_ZN7rocprim17ROCPRIM_400000_NS6detail17trampoline_kernelINS0_14default_configENS1_27scan_by_key_config_selectorIiiEEZZNS1_16scan_by_key_implILNS1_25lookback_scan_determinismE0ELb1ES3_N6thrust23THRUST_200600_302600_NS6detail15normal_iteratorINS9_10device_ptrIiEEEESE_SE_iNS9_4plusIvEENS9_8equal_toIvEEiEE10hipError_tPvRmT2_T3_T4_T5_mT6_T7_P12ihipStream_tbENKUlT_T0_E_clISt17integral_constantIbLb1EESY_IbLb0EEEEDaSU_SV_EUlSU_E_NS1_11comp_targetILNS1_3genE4ELNS1_11target_archE910ELNS1_3gpuE8ELNS1_3repE0EEENS1_30default_config_static_selectorELNS0_4arch9wavefront6targetE0EEEvT1_, .Lfunc_end482-_ZN7rocprim17ROCPRIM_400000_NS6detail17trampoline_kernelINS0_14default_configENS1_27scan_by_key_config_selectorIiiEEZZNS1_16scan_by_key_implILNS1_25lookback_scan_determinismE0ELb1ES3_N6thrust23THRUST_200600_302600_NS6detail15normal_iteratorINS9_10device_ptrIiEEEESE_SE_iNS9_4plusIvEENS9_8equal_toIvEEiEE10hipError_tPvRmT2_T3_T4_T5_mT6_T7_P12ihipStream_tbENKUlT_T0_E_clISt17integral_constantIbLb1EESY_IbLb0EEEEDaSU_SV_EUlSU_E_NS1_11comp_targetILNS1_3genE4ELNS1_11target_archE910ELNS1_3gpuE8ELNS1_3repE0EEENS1_30default_config_static_selectorELNS0_4arch9wavefront6targetE0EEEvT1_
                                        ; -- End function
	.set _ZN7rocprim17ROCPRIM_400000_NS6detail17trampoline_kernelINS0_14default_configENS1_27scan_by_key_config_selectorIiiEEZZNS1_16scan_by_key_implILNS1_25lookback_scan_determinismE0ELb1ES3_N6thrust23THRUST_200600_302600_NS6detail15normal_iteratorINS9_10device_ptrIiEEEESE_SE_iNS9_4plusIvEENS9_8equal_toIvEEiEE10hipError_tPvRmT2_T3_T4_T5_mT6_T7_P12ihipStream_tbENKUlT_T0_E_clISt17integral_constantIbLb1EESY_IbLb0EEEEDaSU_SV_EUlSU_E_NS1_11comp_targetILNS1_3genE4ELNS1_11target_archE910ELNS1_3gpuE8ELNS1_3repE0EEENS1_30default_config_static_selectorELNS0_4arch9wavefront6targetE0EEEvT1_.num_vgpr, 0
	.set _ZN7rocprim17ROCPRIM_400000_NS6detail17trampoline_kernelINS0_14default_configENS1_27scan_by_key_config_selectorIiiEEZZNS1_16scan_by_key_implILNS1_25lookback_scan_determinismE0ELb1ES3_N6thrust23THRUST_200600_302600_NS6detail15normal_iteratorINS9_10device_ptrIiEEEESE_SE_iNS9_4plusIvEENS9_8equal_toIvEEiEE10hipError_tPvRmT2_T3_T4_T5_mT6_T7_P12ihipStream_tbENKUlT_T0_E_clISt17integral_constantIbLb1EESY_IbLb0EEEEDaSU_SV_EUlSU_E_NS1_11comp_targetILNS1_3genE4ELNS1_11target_archE910ELNS1_3gpuE8ELNS1_3repE0EEENS1_30default_config_static_selectorELNS0_4arch9wavefront6targetE0EEEvT1_.num_agpr, 0
	.set _ZN7rocprim17ROCPRIM_400000_NS6detail17trampoline_kernelINS0_14default_configENS1_27scan_by_key_config_selectorIiiEEZZNS1_16scan_by_key_implILNS1_25lookback_scan_determinismE0ELb1ES3_N6thrust23THRUST_200600_302600_NS6detail15normal_iteratorINS9_10device_ptrIiEEEESE_SE_iNS9_4plusIvEENS9_8equal_toIvEEiEE10hipError_tPvRmT2_T3_T4_T5_mT6_T7_P12ihipStream_tbENKUlT_T0_E_clISt17integral_constantIbLb1EESY_IbLb0EEEEDaSU_SV_EUlSU_E_NS1_11comp_targetILNS1_3genE4ELNS1_11target_archE910ELNS1_3gpuE8ELNS1_3repE0EEENS1_30default_config_static_selectorELNS0_4arch9wavefront6targetE0EEEvT1_.numbered_sgpr, 0
	.set _ZN7rocprim17ROCPRIM_400000_NS6detail17trampoline_kernelINS0_14default_configENS1_27scan_by_key_config_selectorIiiEEZZNS1_16scan_by_key_implILNS1_25lookback_scan_determinismE0ELb1ES3_N6thrust23THRUST_200600_302600_NS6detail15normal_iteratorINS9_10device_ptrIiEEEESE_SE_iNS9_4plusIvEENS9_8equal_toIvEEiEE10hipError_tPvRmT2_T3_T4_T5_mT6_T7_P12ihipStream_tbENKUlT_T0_E_clISt17integral_constantIbLb1EESY_IbLb0EEEEDaSU_SV_EUlSU_E_NS1_11comp_targetILNS1_3genE4ELNS1_11target_archE910ELNS1_3gpuE8ELNS1_3repE0EEENS1_30default_config_static_selectorELNS0_4arch9wavefront6targetE0EEEvT1_.num_named_barrier, 0
	.set _ZN7rocprim17ROCPRIM_400000_NS6detail17trampoline_kernelINS0_14default_configENS1_27scan_by_key_config_selectorIiiEEZZNS1_16scan_by_key_implILNS1_25lookback_scan_determinismE0ELb1ES3_N6thrust23THRUST_200600_302600_NS6detail15normal_iteratorINS9_10device_ptrIiEEEESE_SE_iNS9_4plusIvEENS9_8equal_toIvEEiEE10hipError_tPvRmT2_T3_T4_T5_mT6_T7_P12ihipStream_tbENKUlT_T0_E_clISt17integral_constantIbLb1EESY_IbLb0EEEEDaSU_SV_EUlSU_E_NS1_11comp_targetILNS1_3genE4ELNS1_11target_archE910ELNS1_3gpuE8ELNS1_3repE0EEENS1_30default_config_static_selectorELNS0_4arch9wavefront6targetE0EEEvT1_.private_seg_size, 0
	.set _ZN7rocprim17ROCPRIM_400000_NS6detail17trampoline_kernelINS0_14default_configENS1_27scan_by_key_config_selectorIiiEEZZNS1_16scan_by_key_implILNS1_25lookback_scan_determinismE0ELb1ES3_N6thrust23THRUST_200600_302600_NS6detail15normal_iteratorINS9_10device_ptrIiEEEESE_SE_iNS9_4plusIvEENS9_8equal_toIvEEiEE10hipError_tPvRmT2_T3_T4_T5_mT6_T7_P12ihipStream_tbENKUlT_T0_E_clISt17integral_constantIbLb1EESY_IbLb0EEEEDaSU_SV_EUlSU_E_NS1_11comp_targetILNS1_3genE4ELNS1_11target_archE910ELNS1_3gpuE8ELNS1_3repE0EEENS1_30default_config_static_selectorELNS0_4arch9wavefront6targetE0EEEvT1_.uses_vcc, 0
	.set _ZN7rocprim17ROCPRIM_400000_NS6detail17trampoline_kernelINS0_14default_configENS1_27scan_by_key_config_selectorIiiEEZZNS1_16scan_by_key_implILNS1_25lookback_scan_determinismE0ELb1ES3_N6thrust23THRUST_200600_302600_NS6detail15normal_iteratorINS9_10device_ptrIiEEEESE_SE_iNS9_4plusIvEENS9_8equal_toIvEEiEE10hipError_tPvRmT2_T3_T4_T5_mT6_T7_P12ihipStream_tbENKUlT_T0_E_clISt17integral_constantIbLb1EESY_IbLb0EEEEDaSU_SV_EUlSU_E_NS1_11comp_targetILNS1_3genE4ELNS1_11target_archE910ELNS1_3gpuE8ELNS1_3repE0EEENS1_30default_config_static_selectorELNS0_4arch9wavefront6targetE0EEEvT1_.uses_flat_scratch, 0
	.set _ZN7rocprim17ROCPRIM_400000_NS6detail17trampoline_kernelINS0_14default_configENS1_27scan_by_key_config_selectorIiiEEZZNS1_16scan_by_key_implILNS1_25lookback_scan_determinismE0ELb1ES3_N6thrust23THRUST_200600_302600_NS6detail15normal_iteratorINS9_10device_ptrIiEEEESE_SE_iNS9_4plusIvEENS9_8equal_toIvEEiEE10hipError_tPvRmT2_T3_T4_T5_mT6_T7_P12ihipStream_tbENKUlT_T0_E_clISt17integral_constantIbLb1EESY_IbLb0EEEEDaSU_SV_EUlSU_E_NS1_11comp_targetILNS1_3genE4ELNS1_11target_archE910ELNS1_3gpuE8ELNS1_3repE0EEENS1_30default_config_static_selectorELNS0_4arch9wavefront6targetE0EEEvT1_.has_dyn_sized_stack, 0
	.set _ZN7rocprim17ROCPRIM_400000_NS6detail17trampoline_kernelINS0_14default_configENS1_27scan_by_key_config_selectorIiiEEZZNS1_16scan_by_key_implILNS1_25lookback_scan_determinismE0ELb1ES3_N6thrust23THRUST_200600_302600_NS6detail15normal_iteratorINS9_10device_ptrIiEEEESE_SE_iNS9_4plusIvEENS9_8equal_toIvEEiEE10hipError_tPvRmT2_T3_T4_T5_mT6_T7_P12ihipStream_tbENKUlT_T0_E_clISt17integral_constantIbLb1EESY_IbLb0EEEEDaSU_SV_EUlSU_E_NS1_11comp_targetILNS1_3genE4ELNS1_11target_archE910ELNS1_3gpuE8ELNS1_3repE0EEENS1_30default_config_static_selectorELNS0_4arch9wavefront6targetE0EEEvT1_.has_recursion, 0
	.set _ZN7rocprim17ROCPRIM_400000_NS6detail17trampoline_kernelINS0_14default_configENS1_27scan_by_key_config_selectorIiiEEZZNS1_16scan_by_key_implILNS1_25lookback_scan_determinismE0ELb1ES3_N6thrust23THRUST_200600_302600_NS6detail15normal_iteratorINS9_10device_ptrIiEEEESE_SE_iNS9_4plusIvEENS9_8equal_toIvEEiEE10hipError_tPvRmT2_T3_T4_T5_mT6_T7_P12ihipStream_tbENKUlT_T0_E_clISt17integral_constantIbLb1EESY_IbLb0EEEEDaSU_SV_EUlSU_E_NS1_11comp_targetILNS1_3genE4ELNS1_11target_archE910ELNS1_3gpuE8ELNS1_3repE0EEENS1_30default_config_static_selectorELNS0_4arch9wavefront6targetE0EEEvT1_.has_indirect_call, 0
	.section	.AMDGPU.csdata,"",@progbits
; Kernel info:
; codeLenInByte = 0
; TotalNumSgprs: 0
; NumVgprs: 0
; ScratchSize: 0
; MemoryBound: 0
; FloatMode: 240
; IeeeMode: 1
; LDSByteSize: 0 bytes/workgroup (compile time only)
; SGPRBlocks: 0
; VGPRBlocks: 0
; NumSGPRsForWavesPerEU: 1
; NumVGPRsForWavesPerEU: 1
; NamedBarCnt: 0
; Occupancy: 16
; WaveLimiterHint : 0
; COMPUTE_PGM_RSRC2:SCRATCH_EN: 0
; COMPUTE_PGM_RSRC2:USER_SGPR: 2
; COMPUTE_PGM_RSRC2:TRAP_HANDLER: 0
; COMPUTE_PGM_RSRC2:TGID_X_EN: 1
; COMPUTE_PGM_RSRC2:TGID_Y_EN: 0
; COMPUTE_PGM_RSRC2:TGID_Z_EN: 0
; COMPUTE_PGM_RSRC2:TIDIG_COMP_CNT: 0
	.section	.text._ZN7rocprim17ROCPRIM_400000_NS6detail17trampoline_kernelINS0_14default_configENS1_27scan_by_key_config_selectorIiiEEZZNS1_16scan_by_key_implILNS1_25lookback_scan_determinismE0ELb1ES3_N6thrust23THRUST_200600_302600_NS6detail15normal_iteratorINS9_10device_ptrIiEEEESE_SE_iNS9_4plusIvEENS9_8equal_toIvEEiEE10hipError_tPvRmT2_T3_T4_T5_mT6_T7_P12ihipStream_tbENKUlT_T0_E_clISt17integral_constantIbLb1EESY_IbLb0EEEEDaSU_SV_EUlSU_E_NS1_11comp_targetILNS1_3genE3ELNS1_11target_archE908ELNS1_3gpuE7ELNS1_3repE0EEENS1_30default_config_static_selectorELNS0_4arch9wavefront6targetE0EEEvT1_,"axG",@progbits,_ZN7rocprim17ROCPRIM_400000_NS6detail17trampoline_kernelINS0_14default_configENS1_27scan_by_key_config_selectorIiiEEZZNS1_16scan_by_key_implILNS1_25lookback_scan_determinismE0ELb1ES3_N6thrust23THRUST_200600_302600_NS6detail15normal_iteratorINS9_10device_ptrIiEEEESE_SE_iNS9_4plusIvEENS9_8equal_toIvEEiEE10hipError_tPvRmT2_T3_T4_T5_mT6_T7_P12ihipStream_tbENKUlT_T0_E_clISt17integral_constantIbLb1EESY_IbLb0EEEEDaSU_SV_EUlSU_E_NS1_11comp_targetILNS1_3genE3ELNS1_11target_archE908ELNS1_3gpuE7ELNS1_3repE0EEENS1_30default_config_static_selectorELNS0_4arch9wavefront6targetE0EEEvT1_,comdat
	.protected	_ZN7rocprim17ROCPRIM_400000_NS6detail17trampoline_kernelINS0_14default_configENS1_27scan_by_key_config_selectorIiiEEZZNS1_16scan_by_key_implILNS1_25lookback_scan_determinismE0ELb1ES3_N6thrust23THRUST_200600_302600_NS6detail15normal_iteratorINS9_10device_ptrIiEEEESE_SE_iNS9_4plusIvEENS9_8equal_toIvEEiEE10hipError_tPvRmT2_T3_T4_T5_mT6_T7_P12ihipStream_tbENKUlT_T0_E_clISt17integral_constantIbLb1EESY_IbLb0EEEEDaSU_SV_EUlSU_E_NS1_11comp_targetILNS1_3genE3ELNS1_11target_archE908ELNS1_3gpuE7ELNS1_3repE0EEENS1_30default_config_static_selectorELNS0_4arch9wavefront6targetE0EEEvT1_ ; -- Begin function _ZN7rocprim17ROCPRIM_400000_NS6detail17trampoline_kernelINS0_14default_configENS1_27scan_by_key_config_selectorIiiEEZZNS1_16scan_by_key_implILNS1_25lookback_scan_determinismE0ELb1ES3_N6thrust23THRUST_200600_302600_NS6detail15normal_iteratorINS9_10device_ptrIiEEEESE_SE_iNS9_4plusIvEENS9_8equal_toIvEEiEE10hipError_tPvRmT2_T3_T4_T5_mT6_T7_P12ihipStream_tbENKUlT_T0_E_clISt17integral_constantIbLb1EESY_IbLb0EEEEDaSU_SV_EUlSU_E_NS1_11comp_targetILNS1_3genE3ELNS1_11target_archE908ELNS1_3gpuE7ELNS1_3repE0EEENS1_30default_config_static_selectorELNS0_4arch9wavefront6targetE0EEEvT1_
	.globl	_ZN7rocprim17ROCPRIM_400000_NS6detail17trampoline_kernelINS0_14default_configENS1_27scan_by_key_config_selectorIiiEEZZNS1_16scan_by_key_implILNS1_25lookback_scan_determinismE0ELb1ES3_N6thrust23THRUST_200600_302600_NS6detail15normal_iteratorINS9_10device_ptrIiEEEESE_SE_iNS9_4plusIvEENS9_8equal_toIvEEiEE10hipError_tPvRmT2_T3_T4_T5_mT6_T7_P12ihipStream_tbENKUlT_T0_E_clISt17integral_constantIbLb1EESY_IbLb0EEEEDaSU_SV_EUlSU_E_NS1_11comp_targetILNS1_3genE3ELNS1_11target_archE908ELNS1_3gpuE7ELNS1_3repE0EEENS1_30default_config_static_selectorELNS0_4arch9wavefront6targetE0EEEvT1_
	.p2align	8
	.type	_ZN7rocprim17ROCPRIM_400000_NS6detail17trampoline_kernelINS0_14default_configENS1_27scan_by_key_config_selectorIiiEEZZNS1_16scan_by_key_implILNS1_25lookback_scan_determinismE0ELb1ES3_N6thrust23THRUST_200600_302600_NS6detail15normal_iteratorINS9_10device_ptrIiEEEESE_SE_iNS9_4plusIvEENS9_8equal_toIvEEiEE10hipError_tPvRmT2_T3_T4_T5_mT6_T7_P12ihipStream_tbENKUlT_T0_E_clISt17integral_constantIbLb1EESY_IbLb0EEEEDaSU_SV_EUlSU_E_NS1_11comp_targetILNS1_3genE3ELNS1_11target_archE908ELNS1_3gpuE7ELNS1_3repE0EEENS1_30default_config_static_selectorELNS0_4arch9wavefront6targetE0EEEvT1_,@function
_ZN7rocprim17ROCPRIM_400000_NS6detail17trampoline_kernelINS0_14default_configENS1_27scan_by_key_config_selectorIiiEEZZNS1_16scan_by_key_implILNS1_25lookback_scan_determinismE0ELb1ES3_N6thrust23THRUST_200600_302600_NS6detail15normal_iteratorINS9_10device_ptrIiEEEESE_SE_iNS9_4plusIvEENS9_8equal_toIvEEiEE10hipError_tPvRmT2_T3_T4_T5_mT6_T7_P12ihipStream_tbENKUlT_T0_E_clISt17integral_constantIbLb1EESY_IbLb0EEEEDaSU_SV_EUlSU_E_NS1_11comp_targetILNS1_3genE3ELNS1_11target_archE908ELNS1_3gpuE7ELNS1_3repE0EEENS1_30default_config_static_selectorELNS0_4arch9wavefront6targetE0EEEvT1_: ; @_ZN7rocprim17ROCPRIM_400000_NS6detail17trampoline_kernelINS0_14default_configENS1_27scan_by_key_config_selectorIiiEEZZNS1_16scan_by_key_implILNS1_25lookback_scan_determinismE0ELb1ES3_N6thrust23THRUST_200600_302600_NS6detail15normal_iteratorINS9_10device_ptrIiEEEESE_SE_iNS9_4plusIvEENS9_8equal_toIvEEiEE10hipError_tPvRmT2_T3_T4_T5_mT6_T7_P12ihipStream_tbENKUlT_T0_E_clISt17integral_constantIbLb1EESY_IbLb0EEEEDaSU_SV_EUlSU_E_NS1_11comp_targetILNS1_3genE3ELNS1_11target_archE908ELNS1_3gpuE7ELNS1_3repE0EEENS1_30default_config_static_selectorELNS0_4arch9wavefront6targetE0EEEvT1_
; %bb.0:
	.section	.rodata,"a",@progbits
	.p2align	6, 0x0
	.amdhsa_kernel _ZN7rocprim17ROCPRIM_400000_NS6detail17trampoline_kernelINS0_14default_configENS1_27scan_by_key_config_selectorIiiEEZZNS1_16scan_by_key_implILNS1_25lookback_scan_determinismE0ELb1ES3_N6thrust23THRUST_200600_302600_NS6detail15normal_iteratorINS9_10device_ptrIiEEEESE_SE_iNS9_4plusIvEENS9_8equal_toIvEEiEE10hipError_tPvRmT2_T3_T4_T5_mT6_T7_P12ihipStream_tbENKUlT_T0_E_clISt17integral_constantIbLb1EESY_IbLb0EEEEDaSU_SV_EUlSU_E_NS1_11comp_targetILNS1_3genE3ELNS1_11target_archE908ELNS1_3gpuE7ELNS1_3repE0EEENS1_30default_config_static_selectorELNS0_4arch9wavefront6targetE0EEEvT1_
		.amdhsa_group_segment_fixed_size 0
		.amdhsa_private_segment_fixed_size 0
		.amdhsa_kernarg_size 112
		.amdhsa_user_sgpr_count 2
		.amdhsa_user_sgpr_dispatch_ptr 0
		.amdhsa_user_sgpr_queue_ptr 0
		.amdhsa_user_sgpr_kernarg_segment_ptr 1
		.amdhsa_user_sgpr_dispatch_id 0
		.amdhsa_user_sgpr_kernarg_preload_length 0
		.amdhsa_user_sgpr_kernarg_preload_offset 0
		.amdhsa_user_sgpr_private_segment_size 0
		.amdhsa_wavefront_size32 1
		.amdhsa_uses_dynamic_stack 0
		.amdhsa_enable_private_segment 0
		.amdhsa_system_sgpr_workgroup_id_x 1
		.amdhsa_system_sgpr_workgroup_id_y 0
		.amdhsa_system_sgpr_workgroup_id_z 0
		.amdhsa_system_sgpr_workgroup_info 0
		.amdhsa_system_vgpr_workitem_id 0
		.amdhsa_next_free_vgpr 1
		.amdhsa_next_free_sgpr 1
		.amdhsa_named_barrier_count 0
		.amdhsa_reserve_vcc 0
		.amdhsa_float_round_mode_32 0
		.amdhsa_float_round_mode_16_64 0
		.amdhsa_float_denorm_mode_32 3
		.amdhsa_float_denorm_mode_16_64 3
		.amdhsa_fp16_overflow 0
		.amdhsa_memory_ordered 1
		.amdhsa_forward_progress 1
		.amdhsa_inst_pref_size 0
		.amdhsa_round_robin_scheduling 0
		.amdhsa_exception_fp_ieee_invalid_op 0
		.amdhsa_exception_fp_denorm_src 0
		.amdhsa_exception_fp_ieee_div_zero 0
		.amdhsa_exception_fp_ieee_overflow 0
		.amdhsa_exception_fp_ieee_underflow 0
		.amdhsa_exception_fp_ieee_inexact 0
		.amdhsa_exception_int_div_zero 0
	.end_amdhsa_kernel
	.section	.text._ZN7rocprim17ROCPRIM_400000_NS6detail17trampoline_kernelINS0_14default_configENS1_27scan_by_key_config_selectorIiiEEZZNS1_16scan_by_key_implILNS1_25lookback_scan_determinismE0ELb1ES3_N6thrust23THRUST_200600_302600_NS6detail15normal_iteratorINS9_10device_ptrIiEEEESE_SE_iNS9_4plusIvEENS9_8equal_toIvEEiEE10hipError_tPvRmT2_T3_T4_T5_mT6_T7_P12ihipStream_tbENKUlT_T0_E_clISt17integral_constantIbLb1EESY_IbLb0EEEEDaSU_SV_EUlSU_E_NS1_11comp_targetILNS1_3genE3ELNS1_11target_archE908ELNS1_3gpuE7ELNS1_3repE0EEENS1_30default_config_static_selectorELNS0_4arch9wavefront6targetE0EEEvT1_,"axG",@progbits,_ZN7rocprim17ROCPRIM_400000_NS6detail17trampoline_kernelINS0_14default_configENS1_27scan_by_key_config_selectorIiiEEZZNS1_16scan_by_key_implILNS1_25lookback_scan_determinismE0ELb1ES3_N6thrust23THRUST_200600_302600_NS6detail15normal_iteratorINS9_10device_ptrIiEEEESE_SE_iNS9_4plusIvEENS9_8equal_toIvEEiEE10hipError_tPvRmT2_T3_T4_T5_mT6_T7_P12ihipStream_tbENKUlT_T0_E_clISt17integral_constantIbLb1EESY_IbLb0EEEEDaSU_SV_EUlSU_E_NS1_11comp_targetILNS1_3genE3ELNS1_11target_archE908ELNS1_3gpuE7ELNS1_3repE0EEENS1_30default_config_static_selectorELNS0_4arch9wavefront6targetE0EEEvT1_,comdat
.Lfunc_end483:
	.size	_ZN7rocprim17ROCPRIM_400000_NS6detail17trampoline_kernelINS0_14default_configENS1_27scan_by_key_config_selectorIiiEEZZNS1_16scan_by_key_implILNS1_25lookback_scan_determinismE0ELb1ES3_N6thrust23THRUST_200600_302600_NS6detail15normal_iteratorINS9_10device_ptrIiEEEESE_SE_iNS9_4plusIvEENS9_8equal_toIvEEiEE10hipError_tPvRmT2_T3_T4_T5_mT6_T7_P12ihipStream_tbENKUlT_T0_E_clISt17integral_constantIbLb1EESY_IbLb0EEEEDaSU_SV_EUlSU_E_NS1_11comp_targetILNS1_3genE3ELNS1_11target_archE908ELNS1_3gpuE7ELNS1_3repE0EEENS1_30default_config_static_selectorELNS0_4arch9wavefront6targetE0EEEvT1_, .Lfunc_end483-_ZN7rocprim17ROCPRIM_400000_NS6detail17trampoline_kernelINS0_14default_configENS1_27scan_by_key_config_selectorIiiEEZZNS1_16scan_by_key_implILNS1_25lookback_scan_determinismE0ELb1ES3_N6thrust23THRUST_200600_302600_NS6detail15normal_iteratorINS9_10device_ptrIiEEEESE_SE_iNS9_4plusIvEENS9_8equal_toIvEEiEE10hipError_tPvRmT2_T3_T4_T5_mT6_T7_P12ihipStream_tbENKUlT_T0_E_clISt17integral_constantIbLb1EESY_IbLb0EEEEDaSU_SV_EUlSU_E_NS1_11comp_targetILNS1_3genE3ELNS1_11target_archE908ELNS1_3gpuE7ELNS1_3repE0EEENS1_30default_config_static_selectorELNS0_4arch9wavefront6targetE0EEEvT1_
                                        ; -- End function
	.set _ZN7rocprim17ROCPRIM_400000_NS6detail17trampoline_kernelINS0_14default_configENS1_27scan_by_key_config_selectorIiiEEZZNS1_16scan_by_key_implILNS1_25lookback_scan_determinismE0ELb1ES3_N6thrust23THRUST_200600_302600_NS6detail15normal_iteratorINS9_10device_ptrIiEEEESE_SE_iNS9_4plusIvEENS9_8equal_toIvEEiEE10hipError_tPvRmT2_T3_T4_T5_mT6_T7_P12ihipStream_tbENKUlT_T0_E_clISt17integral_constantIbLb1EESY_IbLb0EEEEDaSU_SV_EUlSU_E_NS1_11comp_targetILNS1_3genE3ELNS1_11target_archE908ELNS1_3gpuE7ELNS1_3repE0EEENS1_30default_config_static_selectorELNS0_4arch9wavefront6targetE0EEEvT1_.num_vgpr, 0
	.set _ZN7rocprim17ROCPRIM_400000_NS6detail17trampoline_kernelINS0_14default_configENS1_27scan_by_key_config_selectorIiiEEZZNS1_16scan_by_key_implILNS1_25lookback_scan_determinismE0ELb1ES3_N6thrust23THRUST_200600_302600_NS6detail15normal_iteratorINS9_10device_ptrIiEEEESE_SE_iNS9_4plusIvEENS9_8equal_toIvEEiEE10hipError_tPvRmT2_T3_T4_T5_mT6_T7_P12ihipStream_tbENKUlT_T0_E_clISt17integral_constantIbLb1EESY_IbLb0EEEEDaSU_SV_EUlSU_E_NS1_11comp_targetILNS1_3genE3ELNS1_11target_archE908ELNS1_3gpuE7ELNS1_3repE0EEENS1_30default_config_static_selectorELNS0_4arch9wavefront6targetE0EEEvT1_.num_agpr, 0
	.set _ZN7rocprim17ROCPRIM_400000_NS6detail17trampoline_kernelINS0_14default_configENS1_27scan_by_key_config_selectorIiiEEZZNS1_16scan_by_key_implILNS1_25lookback_scan_determinismE0ELb1ES3_N6thrust23THRUST_200600_302600_NS6detail15normal_iteratorINS9_10device_ptrIiEEEESE_SE_iNS9_4plusIvEENS9_8equal_toIvEEiEE10hipError_tPvRmT2_T3_T4_T5_mT6_T7_P12ihipStream_tbENKUlT_T0_E_clISt17integral_constantIbLb1EESY_IbLb0EEEEDaSU_SV_EUlSU_E_NS1_11comp_targetILNS1_3genE3ELNS1_11target_archE908ELNS1_3gpuE7ELNS1_3repE0EEENS1_30default_config_static_selectorELNS0_4arch9wavefront6targetE0EEEvT1_.numbered_sgpr, 0
	.set _ZN7rocprim17ROCPRIM_400000_NS6detail17trampoline_kernelINS0_14default_configENS1_27scan_by_key_config_selectorIiiEEZZNS1_16scan_by_key_implILNS1_25lookback_scan_determinismE0ELb1ES3_N6thrust23THRUST_200600_302600_NS6detail15normal_iteratorINS9_10device_ptrIiEEEESE_SE_iNS9_4plusIvEENS9_8equal_toIvEEiEE10hipError_tPvRmT2_T3_T4_T5_mT6_T7_P12ihipStream_tbENKUlT_T0_E_clISt17integral_constantIbLb1EESY_IbLb0EEEEDaSU_SV_EUlSU_E_NS1_11comp_targetILNS1_3genE3ELNS1_11target_archE908ELNS1_3gpuE7ELNS1_3repE0EEENS1_30default_config_static_selectorELNS0_4arch9wavefront6targetE0EEEvT1_.num_named_barrier, 0
	.set _ZN7rocprim17ROCPRIM_400000_NS6detail17trampoline_kernelINS0_14default_configENS1_27scan_by_key_config_selectorIiiEEZZNS1_16scan_by_key_implILNS1_25lookback_scan_determinismE0ELb1ES3_N6thrust23THRUST_200600_302600_NS6detail15normal_iteratorINS9_10device_ptrIiEEEESE_SE_iNS9_4plusIvEENS9_8equal_toIvEEiEE10hipError_tPvRmT2_T3_T4_T5_mT6_T7_P12ihipStream_tbENKUlT_T0_E_clISt17integral_constantIbLb1EESY_IbLb0EEEEDaSU_SV_EUlSU_E_NS1_11comp_targetILNS1_3genE3ELNS1_11target_archE908ELNS1_3gpuE7ELNS1_3repE0EEENS1_30default_config_static_selectorELNS0_4arch9wavefront6targetE0EEEvT1_.private_seg_size, 0
	.set _ZN7rocprim17ROCPRIM_400000_NS6detail17trampoline_kernelINS0_14default_configENS1_27scan_by_key_config_selectorIiiEEZZNS1_16scan_by_key_implILNS1_25lookback_scan_determinismE0ELb1ES3_N6thrust23THRUST_200600_302600_NS6detail15normal_iteratorINS9_10device_ptrIiEEEESE_SE_iNS9_4plusIvEENS9_8equal_toIvEEiEE10hipError_tPvRmT2_T3_T4_T5_mT6_T7_P12ihipStream_tbENKUlT_T0_E_clISt17integral_constantIbLb1EESY_IbLb0EEEEDaSU_SV_EUlSU_E_NS1_11comp_targetILNS1_3genE3ELNS1_11target_archE908ELNS1_3gpuE7ELNS1_3repE0EEENS1_30default_config_static_selectorELNS0_4arch9wavefront6targetE0EEEvT1_.uses_vcc, 0
	.set _ZN7rocprim17ROCPRIM_400000_NS6detail17trampoline_kernelINS0_14default_configENS1_27scan_by_key_config_selectorIiiEEZZNS1_16scan_by_key_implILNS1_25lookback_scan_determinismE0ELb1ES3_N6thrust23THRUST_200600_302600_NS6detail15normal_iteratorINS9_10device_ptrIiEEEESE_SE_iNS9_4plusIvEENS9_8equal_toIvEEiEE10hipError_tPvRmT2_T3_T4_T5_mT6_T7_P12ihipStream_tbENKUlT_T0_E_clISt17integral_constantIbLb1EESY_IbLb0EEEEDaSU_SV_EUlSU_E_NS1_11comp_targetILNS1_3genE3ELNS1_11target_archE908ELNS1_3gpuE7ELNS1_3repE0EEENS1_30default_config_static_selectorELNS0_4arch9wavefront6targetE0EEEvT1_.uses_flat_scratch, 0
	.set _ZN7rocprim17ROCPRIM_400000_NS6detail17trampoline_kernelINS0_14default_configENS1_27scan_by_key_config_selectorIiiEEZZNS1_16scan_by_key_implILNS1_25lookback_scan_determinismE0ELb1ES3_N6thrust23THRUST_200600_302600_NS6detail15normal_iteratorINS9_10device_ptrIiEEEESE_SE_iNS9_4plusIvEENS9_8equal_toIvEEiEE10hipError_tPvRmT2_T3_T4_T5_mT6_T7_P12ihipStream_tbENKUlT_T0_E_clISt17integral_constantIbLb1EESY_IbLb0EEEEDaSU_SV_EUlSU_E_NS1_11comp_targetILNS1_3genE3ELNS1_11target_archE908ELNS1_3gpuE7ELNS1_3repE0EEENS1_30default_config_static_selectorELNS0_4arch9wavefront6targetE0EEEvT1_.has_dyn_sized_stack, 0
	.set _ZN7rocprim17ROCPRIM_400000_NS6detail17trampoline_kernelINS0_14default_configENS1_27scan_by_key_config_selectorIiiEEZZNS1_16scan_by_key_implILNS1_25lookback_scan_determinismE0ELb1ES3_N6thrust23THRUST_200600_302600_NS6detail15normal_iteratorINS9_10device_ptrIiEEEESE_SE_iNS9_4plusIvEENS9_8equal_toIvEEiEE10hipError_tPvRmT2_T3_T4_T5_mT6_T7_P12ihipStream_tbENKUlT_T0_E_clISt17integral_constantIbLb1EESY_IbLb0EEEEDaSU_SV_EUlSU_E_NS1_11comp_targetILNS1_3genE3ELNS1_11target_archE908ELNS1_3gpuE7ELNS1_3repE0EEENS1_30default_config_static_selectorELNS0_4arch9wavefront6targetE0EEEvT1_.has_recursion, 0
	.set _ZN7rocprim17ROCPRIM_400000_NS6detail17trampoline_kernelINS0_14default_configENS1_27scan_by_key_config_selectorIiiEEZZNS1_16scan_by_key_implILNS1_25lookback_scan_determinismE0ELb1ES3_N6thrust23THRUST_200600_302600_NS6detail15normal_iteratorINS9_10device_ptrIiEEEESE_SE_iNS9_4plusIvEENS9_8equal_toIvEEiEE10hipError_tPvRmT2_T3_T4_T5_mT6_T7_P12ihipStream_tbENKUlT_T0_E_clISt17integral_constantIbLb1EESY_IbLb0EEEEDaSU_SV_EUlSU_E_NS1_11comp_targetILNS1_3genE3ELNS1_11target_archE908ELNS1_3gpuE7ELNS1_3repE0EEENS1_30default_config_static_selectorELNS0_4arch9wavefront6targetE0EEEvT1_.has_indirect_call, 0
	.section	.AMDGPU.csdata,"",@progbits
; Kernel info:
; codeLenInByte = 0
; TotalNumSgprs: 0
; NumVgprs: 0
; ScratchSize: 0
; MemoryBound: 0
; FloatMode: 240
; IeeeMode: 1
; LDSByteSize: 0 bytes/workgroup (compile time only)
; SGPRBlocks: 0
; VGPRBlocks: 0
; NumSGPRsForWavesPerEU: 1
; NumVGPRsForWavesPerEU: 1
; NamedBarCnt: 0
; Occupancy: 16
; WaveLimiterHint : 0
; COMPUTE_PGM_RSRC2:SCRATCH_EN: 0
; COMPUTE_PGM_RSRC2:USER_SGPR: 2
; COMPUTE_PGM_RSRC2:TRAP_HANDLER: 0
; COMPUTE_PGM_RSRC2:TGID_X_EN: 1
; COMPUTE_PGM_RSRC2:TGID_Y_EN: 0
; COMPUTE_PGM_RSRC2:TGID_Z_EN: 0
; COMPUTE_PGM_RSRC2:TIDIG_COMP_CNT: 0
	.section	.text._ZN7rocprim17ROCPRIM_400000_NS6detail17trampoline_kernelINS0_14default_configENS1_27scan_by_key_config_selectorIiiEEZZNS1_16scan_by_key_implILNS1_25lookback_scan_determinismE0ELb1ES3_N6thrust23THRUST_200600_302600_NS6detail15normal_iteratorINS9_10device_ptrIiEEEESE_SE_iNS9_4plusIvEENS9_8equal_toIvEEiEE10hipError_tPvRmT2_T3_T4_T5_mT6_T7_P12ihipStream_tbENKUlT_T0_E_clISt17integral_constantIbLb1EESY_IbLb0EEEEDaSU_SV_EUlSU_E_NS1_11comp_targetILNS1_3genE2ELNS1_11target_archE906ELNS1_3gpuE6ELNS1_3repE0EEENS1_30default_config_static_selectorELNS0_4arch9wavefront6targetE0EEEvT1_,"axG",@progbits,_ZN7rocprim17ROCPRIM_400000_NS6detail17trampoline_kernelINS0_14default_configENS1_27scan_by_key_config_selectorIiiEEZZNS1_16scan_by_key_implILNS1_25lookback_scan_determinismE0ELb1ES3_N6thrust23THRUST_200600_302600_NS6detail15normal_iteratorINS9_10device_ptrIiEEEESE_SE_iNS9_4plusIvEENS9_8equal_toIvEEiEE10hipError_tPvRmT2_T3_T4_T5_mT6_T7_P12ihipStream_tbENKUlT_T0_E_clISt17integral_constantIbLb1EESY_IbLb0EEEEDaSU_SV_EUlSU_E_NS1_11comp_targetILNS1_3genE2ELNS1_11target_archE906ELNS1_3gpuE6ELNS1_3repE0EEENS1_30default_config_static_selectorELNS0_4arch9wavefront6targetE0EEEvT1_,comdat
	.protected	_ZN7rocprim17ROCPRIM_400000_NS6detail17trampoline_kernelINS0_14default_configENS1_27scan_by_key_config_selectorIiiEEZZNS1_16scan_by_key_implILNS1_25lookback_scan_determinismE0ELb1ES3_N6thrust23THRUST_200600_302600_NS6detail15normal_iteratorINS9_10device_ptrIiEEEESE_SE_iNS9_4plusIvEENS9_8equal_toIvEEiEE10hipError_tPvRmT2_T3_T4_T5_mT6_T7_P12ihipStream_tbENKUlT_T0_E_clISt17integral_constantIbLb1EESY_IbLb0EEEEDaSU_SV_EUlSU_E_NS1_11comp_targetILNS1_3genE2ELNS1_11target_archE906ELNS1_3gpuE6ELNS1_3repE0EEENS1_30default_config_static_selectorELNS0_4arch9wavefront6targetE0EEEvT1_ ; -- Begin function _ZN7rocprim17ROCPRIM_400000_NS6detail17trampoline_kernelINS0_14default_configENS1_27scan_by_key_config_selectorIiiEEZZNS1_16scan_by_key_implILNS1_25lookback_scan_determinismE0ELb1ES3_N6thrust23THRUST_200600_302600_NS6detail15normal_iteratorINS9_10device_ptrIiEEEESE_SE_iNS9_4plusIvEENS9_8equal_toIvEEiEE10hipError_tPvRmT2_T3_T4_T5_mT6_T7_P12ihipStream_tbENKUlT_T0_E_clISt17integral_constantIbLb1EESY_IbLb0EEEEDaSU_SV_EUlSU_E_NS1_11comp_targetILNS1_3genE2ELNS1_11target_archE906ELNS1_3gpuE6ELNS1_3repE0EEENS1_30default_config_static_selectorELNS0_4arch9wavefront6targetE0EEEvT1_
	.globl	_ZN7rocprim17ROCPRIM_400000_NS6detail17trampoline_kernelINS0_14default_configENS1_27scan_by_key_config_selectorIiiEEZZNS1_16scan_by_key_implILNS1_25lookback_scan_determinismE0ELb1ES3_N6thrust23THRUST_200600_302600_NS6detail15normal_iteratorINS9_10device_ptrIiEEEESE_SE_iNS9_4plusIvEENS9_8equal_toIvEEiEE10hipError_tPvRmT2_T3_T4_T5_mT6_T7_P12ihipStream_tbENKUlT_T0_E_clISt17integral_constantIbLb1EESY_IbLb0EEEEDaSU_SV_EUlSU_E_NS1_11comp_targetILNS1_3genE2ELNS1_11target_archE906ELNS1_3gpuE6ELNS1_3repE0EEENS1_30default_config_static_selectorELNS0_4arch9wavefront6targetE0EEEvT1_
	.p2align	8
	.type	_ZN7rocprim17ROCPRIM_400000_NS6detail17trampoline_kernelINS0_14default_configENS1_27scan_by_key_config_selectorIiiEEZZNS1_16scan_by_key_implILNS1_25lookback_scan_determinismE0ELb1ES3_N6thrust23THRUST_200600_302600_NS6detail15normal_iteratorINS9_10device_ptrIiEEEESE_SE_iNS9_4plusIvEENS9_8equal_toIvEEiEE10hipError_tPvRmT2_T3_T4_T5_mT6_T7_P12ihipStream_tbENKUlT_T0_E_clISt17integral_constantIbLb1EESY_IbLb0EEEEDaSU_SV_EUlSU_E_NS1_11comp_targetILNS1_3genE2ELNS1_11target_archE906ELNS1_3gpuE6ELNS1_3repE0EEENS1_30default_config_static_selectorELNS0_4arch9wavefront6targetE0EEEvT1_,@function
_ZN7rocprim17ROCPRIM_400000_NS6detail17trampoline_kernelINS0_14default_configENS1_27scan_by_key_config_selectorIiiEEZZNS1_16scan_by_key_implILNS1_25lookback_scan_determinismE0ELb1ES3_N6thrust23THRUST_200600_302600_NS6detail15normal_iteratorINS9_10device_ptrIiEEEESE_SE_iNS9_4plusIvEENS9_8equal_toIvEEiEE10hipError_tPvRmT2_T3_T4_T5_mT6_T7_P12ihipStream_tbENKUlT_T0_E_clISt17integral_constantIbLb1EESY_IbLb0EEEEDaSU_SV_EUlSU_E_NS1_11comp_targetILNS1_3genE2ELNS1_11target_archE906ELNS1_3gpuE6ELNS1_3repE0EEENS1_30default_config_static_selectorELNS0_4arch9wavefront6targetE0EEEvT1_: ; @_ZN7rocprim17ROCPRIM_400000_NS6detail17trampoline_kernelINS0_14default_configENS1_27scan_by_key_config_selectorIiiEEZZNS1_16scan_by_key_implILNS1_25lookback_scan_determinismE0ELb1ES3_N6thrust23THRUST_200600_302600_NS6detail15normal_iteratorINS9_10device_ptrIiEEEESE_SE_iNS9_4plusIvEENS9_8equal_toIvEEiEE10hipError_tPvRmT2_T3_T4_T5_mT6_T7_P12ihipStream_tbENKUlT_T0_E_clISt17integral_constantIbLb1EESY_IbLb0EEEEDaSU_SV_EUlSU_E_NS1_11comp_targetILNS1_3genE2ELNS1_11target_archE906ELNS1_3gpuE6ELNS1_3repE0EEENS1_30default_config_static_selectorELNS0_4arch9wavefront6targetE0EEEvT1_
; %bb.0:
	.section	.rodata,"a",@progbits
	.p2align	6, 0x0
	.amdhsa_kernel _ZN7rocprim17ROCPRIM_400000_NS6detail17trampoline_kernelINS0_14default_configENS1_27scan_by_key_config_selectorIiiEEZZNS1_16scan_by_key_implILNS1_25lookback_scan_determinismE0ELb1ES3_N6thrust23THRUST_200600_302600_NS6detail15normal_iteratorINS9_10device_ptrIiEEEESE_SE_iNS9_4plusIvEENS9_8equal_toIvEEiEE10hipError_tPvRmT2_T3_T4_T5_mT6_T7_P12ihipStream_tbENKUlT_T0_E_clISt17integral_constantIbLb1EESY_IbLb0EEEEDaSU_SV_EUlSU_E_NS1_11comp_targetILNS1_3genE2ELNS1_11target_archE906ELNS1_3gpuE6ELNS1_3repE0EEENS1_30default_config_static_selectorELNS0_4arch9wavefront6targetE0EEEvT1_
		.amdhsa_group_segment_fixed_size 0
		.amdhsa_private_segment_fixed_size 0
		.amdhsa_kernarg_size 112
		.amdhsa_user_sgpr_count 2
		.amdhsa_user_sgpr_dispatch_ptr 0
		.amdhsa_user_sgpr_queue_ptr 0
		.amdhsa_user_sgpr_kernarg_segment_ptr 1
		.amdhsa_user_sgpr_dispatch_id 0
		.amdhsa_user_sgpr_kernarg_preload_length 0
		.amdhsa_user_sgpr_kernarg_preload_offset 0
		.amdhsa_user_sgpr_private_segment_size 0
		.amdhsa_wavefront_size32 1
		.amdhsa_uses_dynamic_stack 0
		.amdhsa_enable_private_segment 0
		.amdhsa_system_sgpr_workgroup_id_x 1
		.amdhsa_system_sgpr_workgroup_id_y 0
		.amdhsa_system_sgpr_workgroup_id_z 0
		.amdhsa_system_sgpr_workgroup_info 0
		.amdhsa_system_vgpr_workitem_id 0
		.amdhsa_next_free_vgpr 1
		.amdhsa_next_free_sgpr 1
		.amdhsa_named_barrier_count 0
		.amdhsa_reserve_vcc 0
		.amdhsa_float_round_mode_32 0
		.amdhsa_float_round_mode_16_64 0
		.amdhsa_float_denorm_mode_32 3
		.amdhsa_float_denorm_mode_16_64 3
		.amdhsa_fp16_overflow 0
		.amdhsa_memory_ordered 1
		.amdhsa_forward_progress 1
		.amdhsa_inst_pref_size 0
		.amdhsa_round_robin_scheduling 0
		.amdhsa_exception_fp_ieee_invalid_op 0
		.amdhsa_exception_fp_denorm_src 0
		.amdhsa_exception_fp_ieee_div_zero 0
		.amdhsa_exception_fp_ieee_overflow 0
		.amdhsa_exception_fp_ieee_underflow 0
		.amdhsa_exception_fp_ieee_inexact 0
		.amdhsa_exception_int_div_zero 0
	.end_amdhsa_kernel
	.section	.text._ZN7rocprim17ROCPRIM_400000_NS6detail17trampoline_kernelINS0_14default_configENS1_27scan_by_key_config_selectorIiiEEZZNS1_16scan_by_key_implILNS1_25lookback_scan_determinismE0ELb1ES3_N6thrust23THRUST_200600_302600_NS6detail15normal_iteratorINS9_10device_ptrIiEEEESE_SE_iNS9_4plusIvEENS9_8equal_toIvEEiEE10hipError_tPvRmT2_T3_T4_T5_mT6_T7_P12ihipStream_tbENKUlT_T0_E_clISt17integral_constantIbLb1EESY_IbLb0EEEEDaSU_SV_EUlSU_E_NS1_11comp_targetILNS1_3genE2ELNS1_11target_archE906ELNS1_3gpuE6ELNS1_3repE0EEENS1_30default_config_static_selectorELNS0_4arch9wavefront6targetE0EEEvT1_,"axG",@progbits,_ZN7rocprim17ROCPRIM_400000_NS6detail17trampoline_kernelINS0_14default_configENS1_27scan_by_key_config_selectorIiiEEZZNS1_16scan_by_key_implILNS1_25lookback_scan_determinismE0ELb1ES3_N6thrust23THRUST_200600_302600_NS6detail15normal_iteratorINS9_10device_ptrIiEEEESE_SE_iNS9_4plusIvEENS9_8equal_toIvEEiEE10hipError_tPvRmT2_T3_T4_T5_mT6_T7_P12ihipStream_tbENKUlT_T0_E_clISt17integral_constantIbLb1EESY_IbLb0EEEEDaSU_SV_EUlSU_E_NS1_11comp_targetILNS1_3genE2ELNS1_11target_archE906ELNS1_3gpuE6ELNS1_3repE0EEENS1_30default_config_static_selectorELNS0_4arch9wavefront6targetE0EEEvT1_,comdat
.Lfunc_end484:
	.size	_ZN7rocprim17ROCPRIM_400000_NS6detail17trampoline_kernelINS0_14default_configENS1_27scan_by_key_config_selectorIiiEEZZNS1_16scan_by_key_implILNS1_25lookback_scan_determinismE0ELb1ES3_N6thrust23THRUST_200600_302600_NS6detail15normal_iteratorINS9_10device_ptrIiEEEESE_SE_iNS9_4plusIvEENS9_8equal_toIvEEiEE10hipError_tPvRmT2_T3_T4_T5_mT6_T7_P12ihipStream_tbENKUlT_T0_E_clISt17integral_constantIbLb1EESY_IbLb0EEEEDaSU_SV_EUlSU_E_NS1_11comp_targetILNS1_3genE2ELNS1_11target_archE906ELNS1_3gpuE6ELNS1_3repE0EEENS1_30default_config_static_selectorELNS0_4arch9wavefront6targetE0EEEvT1_, .Lfunc_end484-_ZN7rocprim17ROCPRIM_400000_NS6detail17trampoline_kernelINS0_14default_configENS1_27scan_by_key_config_selectorIiiEEZZNS1_16scan_by_key_implILNS1_25lookback_scan_determinismE0ELb1ES3_N6thrust23THRUST_200600_302600_NS6detail15normal_iteratorINS9_10device_ptrIiEEEESE_SE_iNS9_4plusIvEENS9_8equal_toIvEEiEE10hipError_tPvRmT2_T3_T4_T5_mT6_T7_P12ihipStream_tbENKUlT_T0_E_clISt17integral_constantIbLb1EESY_IbLb0EEEEDaSU_SV_EUlSU_E_NS1_11comp_targetILNS1_3genE2ELNS1_11target_archE906ELNS1_3gpuE6ELNS1_3repE0EEENS1_30default_config_static_selectorELNS0_4arch9wavefront6targetE0EEEvT1_
                                        ; -- End function
	.set _ZN7rocprim17ROCPRIM_400000_NS6detail17trampoline_kernelINS0_14default_configENS1_27scan_by_key_config_selectorIiiEEZZNS1_16scan_by_key_implILNS1_25lookback_scan_determinismE0ELb1ES3_N6thrust23THRUST_200600_302600_NS6detail15normal_iteratorINS9_10device_ptrIiEEEESE_SE_iNS9_4plusIvEENS9_8equal_toIvEEiEE10hipError_tPvRmT2_T3_T4_T5_mT6_T7_P12ihipStream_tbENKUlT_T0_E_clISt17integral_constantIbLb1EESY_IbLb0EEEEDaSU_SV_EUlSU_E_NS1_11comp_targetILNS1_3genE2ELNS1_11target_archE906ELNS1_3gpuE6ELNS1_3repE0EEENS1_30default_config_static_selectorELNS0_4arch9wavefront6targetE0EEEvT1_.num_vgpr, 0
	.set _ZN7rocprim17ROCPRIM_400000_NS6detail17trampoline_kernelINS0_14default_configENS1_27scan_by_key_config_selectorIiiEEZZNS1_16scan_by_key_implILNS1_25lookback_scan_determinismE0ELb1ES3_N6thrust23THRUST_200600_302600_NS6detail15normal_iteratorINS9_10device_ptrIiEEEESE_SE_iNS9_4plusIvEENS9_8equal_toIvEEiEE10hipError_tPvRmT2_T3_T4_T5_mT6_T7_P12ihipStream_tbENKUlT_T0_E_clISt17integral_constantIbLb1EESY_IbLb0EEEEDaSU_SV_EUlSU_E_NS1_11comp_targetILNS1_3genE2ELNS1_11target_archE906ELNS1_3gpuE6ELNS1_3repE0EEENS1_30default_config_static_selectorELNS0_4arch9wavefront6targetE0EEEvT1_.num_agpr, 0
	.set _ZN7rocprim17ROCPRIM_400000_NS6detail17trampoline_kernelINS0_14default_configENS1_27scan_by_key_config_selectorIiiEEZZNS1_16scan_by_key_implILNS1_25lookback_scan_determinismE0ELb1ES3_N6thrust23THRUST_200600_302600_NS6detail15normal_iteratorINS9_10device_ptrIiEEEESE_SE_iNS9_4plusIvEENS9_8equal_toIvEEiEE10hipError_tPvRmT2_T3_T4_T5_mT6_T7_P12ihipStream_tbENKUlT_T0_E_clISt17integral_constantIbLb1EESY_IbLb0EEEEDaSU_SV_EUlSU_E_NS1_11comp_targetILNS1_3genE2ELNS1_11target_archE906ELNS1_3gpuE6ELNS1_3repE0EEENS1_30default_config_static_selectorELNS0_4arch9wavefront6targetE0EEEvT1_.numbered_sgpr, 0
	.set _ZN7rocprim17ROCPRIM_400000_NS6detail17trampoline_kernelINS0_14default_configENS1_27scan_by_key_config_selectorIiiEEZZNS1_16scan_by_key_implILNS1_25lookback_scan_determinismE0ELb1ES3_N6thrust23THRUST_200600_302600_NS6detail15normal_iteratorINS9_10device_ptrIiEEEESE_SE_iNS9_4plusIvEENS9_8equal_toIvEEiEE10hipError_tPvRmT2_T3_T4_T5_mT6_T7_P12ihipStream_tbENKUlT_T0_E_clISt17integral_constantIbLb1EESY_IbLb0EEEEDaSU_SV_EUlSU_E_NS1_11comp_targetILNS1_3genE2ELNS1_11target_archE906ELNS1_3gpuE6ELNS1_3repE0EEENS1_30default_config_static_selectorELNS0_4arch9wavefront6targetE0EEEvT1_.num_named_barrier, 0
	.set _ZN7rocprim17ROCPRIM_400000_NS6detail17trampoline_kernelINS0_14default_configENS1_27scan_by_key_config_selectorIiiEEZZNS1_16scan_by_key_implILNS1_25lookback_scan_determinismE0ELb1ES3_N6thrust23THRUST_200600_302600_NS6detail15normal_iteratorINS9_10device_ptrIiEEEESE_SE_iNS9_4plusIvEENS9_8equal_toIvEEiEE10hipError_tPvRmT2_T3_T4_T5_mT6_T7_P12ihipStream_tbENKUlT_T0_E_clISt17integral_constantIbLb1EESY_IbLb0EEEEDaSU_SV_EUlSU_E_NS1_11comp_targetILNS1_3genE2ELNS1_11target_archE906ELNS1_3gpuE6ELNS1_3repE0EEENS1_30default_config_static_selectorELNS0_4arch9wavefront6targetE0EEEvT1_.private_seg_size, 0
	.set _ZN7rocprim17ROCPRIM_400000_NS6detail17trampoline_kernelINS0_14default_configENS1_27scan_by_key_config_selectorIiiEEZZNS1_16scan_by_key_implILNS1_25lookback_scan_determinismE0ELb1ES3_N6thrust23THRUST_200600_302600_NS6detail15normal_iteratorINS9_10device_ptrIiEEEESE_SE_iNS9_4plusIvEENS9_8equal_toIvEEiEE10hipError_tPvRmT2_T3_T4_T5_mT6_T7_P12ihipStream_tbENKUlT_T0_E_clISt17integral_constantIbLb1EESY_IbLb0EEEEDaSU_SV_EUlSU_E_NS1_11comp_targetILNS1_3genE2ELNS1_11target_archE906ELNS1_3gpuE6ELNS1_3repE0EEENS1_30default_config_static_selectorELNS0_4arch9wavefront6targetE0EEEvT1_.uses_vcc, 0
	.set _ZN7rocprim17ROCPRIM_400000_NS6detail17trampoline_kernelINS0_14default_configENS1_27scan_by_key_config_selectorIiiEEZZNS1_16scan_by_key_implILNS1_25lookback_scan_determinismE0ELb1ES3_N6thrust23THRUST_200600_302600_NS6detail15normal_iteratorINS9_10device_ptrIiEEEESE_SE_iNS9_4plusIvEENS9_8equal_toIvEEiEE10hipError_tPvRmT2_T3_T4_T5_mT6_T7_P12ihipStream_tbENKUlT_T0_E_clISt17integral_constantIbLb1EESY_IbLb0EEEEDaSU_SV_EUlSU_E_NS1_11comp_targetILNS1_3genE2ELNS1_11target_archE906ELNS1_3gpuE6ELNS1_3repE0EEENS1_30default_config_static_selectorELNS0_4arch9wavefront6targetE0EEEvT1_.uses_flat_scratch, 0
	.set _ZN7rocprim17ROCPRIM_400000_NS6detail17trampoline_kernelINS0_14default_configENS1_27scan_by_key_config_selectorIiiEEZZNS1_16scan_by_key_implILNS1_25lookback_scan_determinismE0ELb1ES3_N6thrust23THRUST_200600_302600_NS6detail15normal_iteratorINS9_10device_ptrIiEEEESE_SE_iNS9_4plusIvEENS9_8equal_toIvEEiEE10hipError_tPvRmT2_T3_T4_T5_mT6_T7_P12ihipStream_tbENKUlT_T0_E_clISt17integral_constantIbLb1EESY_IbLb0EEEEDaSU_SV_EUlSU_E_NS1_11comp_targetILNS1_3genE2ELNS1_11target_archE906ELNS1_3gpuE6ELNS1_3repE0EEENS1_30default_config_static_selectorELNS0_4arch9wavefront6targetE0EEEvT1_.has_dyn_sized_stack, 0
	.set _ZN7rocprim17ROCPRIM_400000_NS6detail17trampoline_kernelINS0_14default_configENS1_27scan_by_key_config_selectorIiiEEZZNS1_16scan_by_key_implILNS1_25lookback_scan_determinismE0ELb1ES3_N6thrust23THRUST_200600_302600_NS6detail15normal_iteratorINS9_10device_ptrIiEEEESE_SE_iNS9_4plusIvEENS9_8equal_toIvEEiEE10hipError_tPvRmT2_T3_T4_T5_mT6_T7_P12ihipStream_tbENKUlT_T0_E_clISt17integral_constantIbLb1EESY_IbLb0EEEEDaSU_SV_EUlSU_E_NS1_11comp_targetILNS1_3genE2ELNS1_11target_archE906ELNS1_3gpuE6ELNS1_3repE0EEENS1_30default_config_static_selectorELNS0_4arch9wavefront6targetE0EEEvT1_.has_recursion, 0
	.set _ZN7rocprim17ROCPRIM_400000_NS6detail17trampoline_kernelINS0_14default_configENS1_27scan_by_key_config_selectorIiiEEZZNS1_16scan_by_key_implILNS1_25lookback_scan_determinismE0ELb1ES3_N6thrust23THRUST_200600_302600_NS6detail15normal_iteratorINS9_10device_ptrIiEEEESE_SE_iNS9_4plusIvEENS9_8equal_toIvEEiEE10hipError_tPvRmT2_T3_T4_T5_mT6_T7_P12ihipStream_tbENKUlT_T0_E_clISt17integral_constantIbLb1EESY_IbLb0EEEEDaSU_SV_EUlSU_E_NS1_11comp_targetILNS1_3genE2ELNS1_11target_archE906ELNS1_3gpuE6ELNS1_3repE0EEENS1_30default_config_static_selectorELNS0_4arch9wavefront6targetE0EEEvT1_.has_indirect_call, 0
	.section	.AMDGPU.csdata,"",@progbits
; Kernel info:
; codeLenInByte = 0
; TotalNumSgprs: 0
; NumVgprs: 0
; ScratchSize: 0
; MemoryBound: 0
; FloatMode: 240
; IeeeMode: 1
; LDSByteSize: 0 bytes/workgroup (compile time only)
; SGPRBlocks: 0
; VGPRBlocks: 0
; NumSGPRsForWavesPerEU: 1
; NumVGPRsForWavesPerEU: 1
; NamedBarCnt: 0
; Occupancy: 16
; WaveLimiterHint : 0
; COMPUTE_PGM_RSRC2:SCRATCH_EN: 0
; COMPUTE_PGM_RSRC2:USER_SGPR: 2
; COMPUTE_PGM_RSRC2:TRAP_HANDLER: 0
; COMPUTE_PGM_RSRC2:TGID_X_EN: 1
; COMPUTE_PGM_RSRC2:TGID_Y_EN: 0
; COMPUTE_PGM_RSRC2:TGID_Z_EN: 0
; COMPUTE_PGM_RSRC2:TIDIG_COMP_CNT: 0
	.section	.text._ZN7rocprim17ROCPRIM_400000_NS6detail17trampoline_kernelINS0_14default_configENS1_27scan_by_key_config_selectorIiiEEZZNS1_16scan_by_key_implILNS1_25lookback_scan_determinismE0ELb1ES3_N6thrust23THRUST_200600_302600_NS6detail15normal_iteratorINS9_10device_ptrIiEEEESE_SE_iNS9_4plusIvEENS9_8equal_toIvEEiEE10hipError_tPvRmT2_T3_T4_T5_mT6_T7_P12ihipStream_tbENKUlT_T0_E_clISt17integral_constantIbLb1EESY_IbLb0EEEEDaSU_SV_EUlSU_E_NS1_11comp_targetILNS1_3genE10ELNS1_11target_archE1200ELNS1_3gpuE4ELNS1_3repE0EEENS1_30default_config_static_selectorELNS0_4arch9wavefront6targetE0EEEvT1_,"axG",@progbits,_ZN7rocprim17ROCPRIM_400000_NS6detail17trampoline_kernelINS0_14default_configENS1_27scan_by_key_config_selectorIiiEEZZNS1_16scan_by_key_implILNS1_25lookback_scan_determinismE0ELb1ES3_N6thrust23THRUST_200600_302600_NS6detail15normal_iteratorINS9_10device_ptrIiEEEESE_SE_iNS9_4plusIvEENS9_8equal_toIvEEiEE10hipError_tPvRmT2_T3_T4_T5_mT6_T7_P12ihipStream_tbENKUlT_T0_E_clISt17integral_constantIbLb1EESY_IbLb0EEEEDaSU_SV_EUlSU_E_NS1_11comp_targetILNS1_3genE10ELNS1_11target_archE1200ELNS1_3gpuE4ELNS1_3repE0EEENS1_30default_config_static_selectorELNS0_4arch9wavefront6targetE0EEEvT1_,comdat
	.protected	_ZN7rocprim17ROCPRIM_400000_NS6detail17trampoline_kernelINS0_14default_configENS1_27scan_by_key_config_selectorIiiEEZZNS1_16scan_by_key_implILNS1_25lookback_scan_determinismE0ELb1ES3_N6thrust23THRUST_200600_302600_NS6detail15normal_iteratorINS9_10device_ptrIiEEEESE_SE_iNS9_4plusIvEENS9_8equal_toIvEEiEE10hipError_tPvRmT2_T3_T4_T5_mT6_T7_P12ihipStream_tbENKUlT_T0_E_clISt17integral_constantIbLb1EESY_IbLb0EEEEDaSU_SV_EUlSU_E_NS1_11comp_targetILNS1_3genE10ELNS1_11target_archE1200ELNS1_3gpuE4ELNS1_3repE0EEENS1_30default_config_static_selectorELNS0_4arch9wavefront6targetE0EEEvT1_ ; -- Begin function _ZN7rocprim17ROCPRIM_400000_NS6detail17trampoline_kernelINS0_14default_configENS1_27scan_by_key_config_selectorIiiEEZZNS1_16scan_by_key_implILNS1_25lookback_scan_determinismE0ELb1ES3_N6thrust23THRUST_200600_302600_NS6detail15normal_iteratorINS9_10device_ptrIiEEEESE_SE_iNS9_4plusIvEENS9_8equal_toIvEEiEE10hipError_tPvRmT2_T3_T4_T5_mT6_T7_P12ihipStream_tbENKUlT_T0_E_clISt17integral_constantIbLb1EESY_IbLb0EEEEDaSU_SV_EUlSU_E_NS1_11comp_targetILNS1_3genE10ELNS1_11target_archE1200ELNS1_3gpuE4ELNS1_3repE0EEENS1_30default_config_static_selectorELNS0_4arch9wavefront6targetE0EEEvT1_
	.globl	_ZN7rocprim17ROCPRIM_400000_NS6detail17trampoline_kernelINS0_14default_configENS1_27scan_by_key_config_selectorIiiEEZZNS1_16scan_by_key_implILNS1_25lookback_scan_determinismE0ELb1ES3_N6thrust23THRUST_200600_302600_NS6detail15normal_iteratorINS9_10device_ptrIiEEEESE_SE_iNS9_4plusIvEENS9_8equal_toIvEEiEE10hipError_tPvRmT2_T3_T4_T5_mT6_T7_P12ihipStream_tbENKUlT_T0_E_clISt17integral_constantIbLb1EESY_IbLb0EEEEDaSU_SV_EUlSU_E_NS1_11comp_targetILNS1_3genE10ELNS1_11target_archE1200ELNS1_3gpuE4ELNS1_3repE0EEENS1_30default_config_static_selectorELNS0_4arch9wavefront6targetE0EEEvT1_
	.p2align	8
	.type	_ZN7rocprim17ROCPRIM_400000_NS6detail17trampoline_kernelINS0_14default_configENS1_27scan_by_key_config_selectorIiiEEZZNS1_16scan_by_key_implILNS1_25lookback_scan_determinismE0ELb1ES3_N6thrust23THRUST_200600_302600_NS6detail15normal_iteratorINS9_10device_ptrIiEEEESE_SE_iNS9_4plusIvEENS9_8equal_toIvEEiEE10hipError_tPvRmT2_T3_T4_T5_mT6_T7_P12ihipStream_tbENKUlT_T0_E_clISt17integral_constantIbLb1EESY_IbLb0EEEEDaSU_SV_EUlSU_E_NS1_11comp_targetILNS1_3genE10ELNS1_11target_archE1200ELNS1_3gpuE4ELNS1_3repE0EEENS1_30default_config_static_selectorELNS0_4arch9wavefront6targetE0EEEvT1_,@function
_ZN7rocprim17ROCPRIM_400000_NS6detail17trampoline_kernelINS0_14default_configENS1_27scan_by_key_config_selectorIiiEEZZNS1_16scan_by_key_implILNS1_25lookback_scan_determinismE0ELb1ES3_N6thrust23THRUST_200600_302600_NS6detail15normal_iteratorINS9_10device_ptrIiEEEESE_SE_iNS9_4plusIvEENS9_8equal_toIvEEiEE10hipError_tPvRmT2_T3_T4_T5_mT6_T7_P12ihipStream_tbENKUlT_T0_E_clISt17integral_constantIbLb1EESY_IbLb0EEEEDaSU_SV_EUlSU_E_NS1_11comp_targetILNS1_3genE10ELNS1_11target_archE1200ELNS1_3gpuE4ELNS1_3repE0EEENS1_30default_config_static_selectorELNS0_4arch9wavefront6targetE0EEEvT1_: ; @_ZN7rocprim17ROCPRIM_400000_NS6detail17trampoline_kernelINS0_14default_configENS1_27scan_by_key_config_selectorIiiEEZZNS1_16scan_by_key_implILNS1_25lookback_scan_determinismE0ELb1ES3_N6thrust23THRUST_200600_302600_NS6detail15normal_iteratorINS9_10device_ptrIiEEEESE_SE_iNS9_4plusIvEENS9_8equal_toIvEEiEE10hipError_tPvRmT2_T3_T4_T5_mT6_T7_P12ihipStream_tbENKUlT_T0_E_clISt17integral_constantIbLb1EESY_IbLb0EEEEDaSU_SV_EUlSU_E_NS1_11comp_targetILNS1_3genE10ELNS1_11target_archE1200ELNS1_3gpuE4ELNS1_3repE0EEENS1_30default_config_static_selectorELNS0_4arch9wavefront6targetE0EEEvT1_
; %bb.0:
	.section	.rodata,"a",@progbits
	.p2align	6, 0x0
	.amdhsa_kernel _ZN7rocprim17ROCPRIM_400000_NS6detail17trampoline_kernelINS0_14default_configENS1_27scan_by_key_config_selectorIiiEEZZNS1_16scan_by_key_implILNS1_25lookback_scan_determinismE0ELb1ES3_N6thrust23THRUST_200600_302600_NS6detail15normal_iteratorINS9_10device_ptrIiEEEESE_SE_iNS9_4plusIvEENS9_8equal_toIvEEiEE10hipError_tPvRmT2_T3_T4_T5_mT6_T7_P12ihipStream_tbENKUlT_T0_E_clISt17integral_constantIbLb1EESY_IbLb0EEEEDaSU_SV_EUlSU_E_NS1_11comp_targetILNS1_3genE10ELNS1_11target_archE1200ELNS1_3gpuE4ELNS1_3repE0EEENS1_30default_config_static_selectorELNS0_4arch9wavefront6targetE0EEEvT1_
		.amdhsa_group_segment_fixed_size 0
		.amdhsa_private_segment_fixed_size 0
		.amdhsa_kernarg_size 112
		.amdhsa_user_sgpr_count 2
		.amdhsa_user_sgpr_dispatch_ptr 0
		.amdhsa_user_sgpr_queue_ptr 0
		.amdhsa_user_sgpr_kernarg_segment_ptr 1
		.amdhsa_user_sgpr_dispatch_id 0
		.amdhsa_user_sgpr_kernarg_preload_length 0
		.amdhsa_user_sgpr_kernarg_preload_offset 0
		.amdhsa_user_sgpr_private_segment_size 0
		.amdhsa_wavefront_size32 1
		.amdhsa_uses_dynamic_stack 0
		.amdhsa_enable_private_segment 0
		.amdhsa_system_sgpr_workgroup_id_x 1
		.amdhsa_system_sgpr_workgroup_id_y 0
		.amdhsa_system_sgpr_workgroup_id_z 0
		.amdhsa_system_sgpr_workgroup_info 0
		.amdhsa_system_vgpr_workitem_id 0
		.amdhsa_next_free_vgpr 1
		.amdhsa_next_free_sgpr 1
		.amdhsa_named_barrier_count 0
		.amdhsa_reserve_vcc 0
		.amdhsa_float_round_mode_32 0
		.amdhsa_float_round_mode_16_64 0
		.amdhsa_float_denorm_mode_32 3
		.amdhsa_float_denorm_mode_16_64 3
		.amdhsa_fp16_overflow 0
		.amdhsa_memory_ordered 1
		.amdhsa_forward_progress 1
		.amdhsa_inst_pref_size 0
		.amdhsa_round_robin_scheduling 0
		.amdhsa_exception_fp_ieee_invalid_op 0
		.amdhsa_exception_fp_denorm_src 0
		.amdhsa_exception_fp_ieee_div_zero 0
		.amdhsa_exception_fp_ieee_overflow 0
		.amdhsa_exception_fp_ieee_underflow 0
		.amdhsa_exception_fp_ieee_inexact 0
		.amdhsa_exception_int_div_zero 0
	.end_amdhsa_kernel
	.section	.text._ZN7rocprim17ROCPRIM_400000_NS6detail17trampoline_kernelINS0_14default_configENS1_27scan_by_key_config_selectorIiiEEZZNS1_16scan_by_key_implILNS1_25lookback_scan_determinismE0ELb1ES3_N6thrust23THRUST_200600_302600_NS6detail15normal_iteratorINS9_10device_ptrIiEEEESE_SE_iNS9_4plusIvEENS9_8equal_toIvEEiEE10hipError_tPvRmT2_T3_T4_T5_mT6_T7_P12ihipStream_tbENKUlT_T0_E_clISt17integral_constantIbLb1EESY_IbLb0EEEEDaSU_SV_EUlSU_E_NS1_11comp_targetILNS1_3genE10ELNS1_11target_archE1200ELNS1_3gpuE4ELNS1_3repE0EEENS1_30default_config_static_selectorELNS0_4arch9wavefront6targetE0EEEvT1_,"axG",@progbits,_ZN7rocprim17ROCPRIM_400000_NS6detail17trampoline_kernelINS0_14default_configENS1_27scan_by_key_config_selectorIiiEEZZNS1_16scan_by_key_implILNS1_25lookback_scan_determinismE0ELb1ES3_N6thrust23THRUST_200600_302600_NS6detail15normal_iteratorINS9_10device_ptrIiEEEESE_SE_iNS9_4plusIvEENS9_8equal_toIvEEiEE10hipError_tPvRmT2_T3_T4_T5_mT6_T7_P12ihipStream_tbENKUlT_T0_E_clISt17integral_constantIbLb1EESY_IbLb0EEEEDaSU_SV_EUlSU_E_NS1_11comp_targetILNS1_3genE10ELNS1_11target_archE1200ELNS1_3gpuE4ELNS1_3repE0EEENS1_30default_config_static_selectorELNS0_4arch9wavefront6targetE0EEEvT1_,comdat
.Lfunc_end485:
	.size	_ZN7rocprim17ROCPRIM_400000_NS6detail17trampoline_kernelINS0_14default_configENS1_27scan_by_key_config_selectorIiiEEZZNS1_16scan_by_key_implILNS1_25lookback_scan_determinismE0ELb1ES3_N6thrust23THRUST_200600_302600_NS6detail15normal_iteratorINS9_10device_ptrIiEEEESE_SE_iNS9_4plusIvEENS9_8equal_toIvEEiEE10hipError_tPvRmT2_T3_T4_T5_mT6_T7_P12ihipStream_tbENKUlT_T0_E_clISt17integral_constantIbLb1EESY_IbLb0EEEEDaSU_SV_EUlSU_E_NS1_11comp_targetILNS1_3genE10ELNS1_11target_archE1200ELNS1_3gpuE4ELNS1_3repE0EEENS1_30default_config_static_selectorELNS0_4arch9wavefront6targetE0EEEvT1_, .Lfunc_end485-_ZN7rocprim17ROCPRIM_400000_NS6detail17trampoline_kernelINS0_14default_configENS1_27scan_by_key_config_selectorIiiEEZZNS1_16scan_by_key_implILNS1_25lookback_scan_determinismE0ELb1ES3_N6thrust23THRUST_200600_302600_NS6detail15normal_iteratorINS9_10device_ptrIiEEEESE_SE_iNS9_4plusIvEENS9_8equal_toIvEEiEE10hipError_tPvRmT2_T3_T4_T5_mT6_T7_P12ihipStream_tbENKUlT_T0_E_clISt17integral_constantIbLb1EESY_IbLb0EEEEDaSU_SV_EUlSU_E_NS1_11comp_targetILNS1_3genE10ELNS1_11target_archE1200ELNS1_3gpuE4ELNS1_3repE0EEENS1_30default_config_static_selectorELNS0_4arch9wavefront6targetE0EEEvT1_
                                        ; -- End function
	.set _ZN7rocprim17ROCPRIM_400000_NS6detail17trampoline_kernelINS0_14default_configENS1_27scan_by_key_config_selectorIiiEEZZNS1_16scan_by_key_implILNS1_25lookback_scan_determinismE0ELb1ES3_N6thrust23THRUST_200600_302600_NS6detail15normal_iteratorINS9_10device_ptrIiEEEESE_SE_iNS9_4plusIvEENS9_8equal_toIvEEiEE10hipError_tPvRmT2_T3_T4_T5_mT6_T7_P12ihipStream_tbENKUlT_T0_E_clISt17integral_constantIbLb1EESY_IbLb0EEEEDaSU_SV_EUlSU_E_NS1_11comp_targetILNS1_3genE10ELNS1_11target_archE1200ELNS1_3gpuE4ELNS1_3repE0EEENS1_30default_config_static_selectorELNS0_4arch9wavefront6targetE0EEEvT1_.num_vgpr, 0
	.set _ZN7rocprim17ROCPRIM_400000_NS6detail17trampoline_kernelINS0_14default_configENS1_27scan_by_key_config_selectorIiiEEZZNS1_16scan_by_key_implILNS1_25lookback_scan_determinismE0ELb1ES3_N6thrust23THRUST_200600_302600_NS6detail15normal_iteratorINS9_10device_ptrIiEEEESE_SE_iNS9_4plusIvEENS9_8equal_toIvEEiEE10hipError_tPvRmT2_T3_T4_T5_mT6_T7_P12ihipStream_tbENKUlT_T0_E_clISt17integral_constantIbLb1EESY_IbLb0EEEEDaSU_SV_EUlSU_E_NS1_11comp_targetILNS1_3genE10ELNS1_11target_archE1200ELNS1_3gpuE4ELNS1_3repE0EEENS1_30default_config_static_selectorELNS0_4arch9wavefront6targetE0EEEvT1_.num_agpr, 0
	.set _ZN7rocprim17ROCPRIM_400000_NS6detail17trampoline_kernelINS0_14default_configENS1_27scan_by_key_config_selectorIiiEEZZNS1_16scan_by_key_implILNS1_25lookback_scan_determinismE0ELb1ES3_N6thrust23THRUST_200600_302600_NS6detail15normal_iteratorINS9_10device_ptrIiEEEESE_SE_iNS9_4plusIvEENS9_8equal_toIvEEiEE10hipError_tPvRmT2_T3_T4_T5_mT6_T7_P12ihipStream_tbENKUlT_T0_E_clISt17integral_constantIbLb1EESY_IbLb0EEEEDaSU_SV_EUlSU_E_NS1_11comp_targetILNS1_3genE10ELNS1_11target_archE1200ELNS1_3gpuE4ELNS1_3repE0EEENS1_30default_config_static_selectorELNS0_4arch9wavefront6targetE0EEEvT1_.numbered_sgpr, 0
	.set _ZN7rocprim17ROCPRIM_400000_NS6detail17trampoline_kernelINS0_14default_configENS1_27scan_by_key_config_selectorIiiEEZZNS1_16scan_by_key_implILNS1_25lookback_scan_determinismE0ELb1ES3_N6thrust23THRUST_200600_302600_NS6detail15normal_iteratorINS9_10device_ptrIiEEEESE_SE_iNS9_4plusIvEENS9_8equal_toIvEEiEE10hipError_tPvRmT2_T3_T4_T5_mT6_T7_P12ihipStream_tbENKUlT_T0_E_clISt17integral_constantIbLb1EESY_IbLb0EEEEDaSU_SV_EUlSU_E_NS1_11comp_targetILNS1_3genE10ELNS1_11target_archE1200ELNS1_3gpuE4ELNS1_3repE0EEENS1_30default_config_static_selectorELNS0_4arch9wavefront6targetE0EEEvT1_.num_named_barrier, 0
	.set _ZN7rocprim17ROCPRIM_400000_NS6detail17trampoline_kernelINS0_14default_configENS1_27scan_by_key_config_selectorIiiEEZZNS1_16scan_by_key_implILNS1_25lookback_scan_determinismE0ELb1ES3_N6thrust23THRUST_200600_302600_NS6detail15normal_iteratorINS9_10device_ptrIiEEEESE_SE_iNS9_4plusIvEENS9_8equal_toIvEEiEE10hipError_tPvRmT2_T3_T4_T5_mT6_T7_P12ihipStream_tbENKUlT_T0_E_clISt17integral_constantIbLb1EESY_IbLb0EEEEDaSU_SV_EUlSU_E_NS1_11comp_targetILNS1_3genE10ELNS1_11target_archE1200ELNS1_3gpuE4ELNS1_3repE0EEENS1_30default_config_static_selectorELNS0_4arch9wavefront6targetE0EEEvT1_.private_seg_size, 0
	.set _ZN7rocprim17ROCPRIM_400000_NS6detail17trampoline_kernelINS0_14default_configENS1_27scan_by_key_config_selectorIiiEEZZNS1_16scan_by_key_implILNS1_25lookback_scan_determinismE0ELb1ES3_N6thrust23THRUST_200600_302600_NS6detail15normal_iteratorINS9_10device_ptrIiEEEESE_SE_iNS9_4plusIvEENS9_8equal_toIvEEiEE10hipError_tPvRmT2_T3_T4_T5_mT6_T7_P12ihipStream_tbENKUlT_T0_E_clISt17integral_constantIbLb1EESY_IbLb0EEEEDaSU_SV_EUlSU_E_NS1_11comp_targetILNS1_3genE10ELNS1_11target_archE1200ELNS1_3gpuE4ELNS1_3repE0EEENS1_30default_config_static_selectorELNS0_4arch9wavefront6targetE0EEEvT1_.uses_vcc, 0
	.set _ZN7rocprim17ROCPRIM_400000_NS6detail17trampoline_kernelINS0_14default_configENS1_27scan_by_key_config_selectorIiiEEZZNS1_16scan_by_key_implILNS1_25lookback_scan_determinismE0ELb1ES3_N6thrust23THRUST_200600_302600_NS6detail15normal_iteratorINS9_10device_ptrIiEEEESE_SE_iNS9_4plusIvEENS9_8equal_toIvEEiEE10hipError_tPvRmT2_T3_T4_T5_mT6_T7_P12ihipStream_tbENKUlT_T0_E_clISt17integral_constantIbLb1EESY_IbLb0EEEEDaSU_SV_EUlSU_E_NS1_11comp_targetILNS1_3genE10ELNS1_11target_archE1200ELNS1_3gpuE4ELNS1_3repE0EEENS1_30default_config_static_selectorELNS0_4arch9wavefront6targetE0EEEvT1_.uses_flat_scratch, 0
	.set _ZN7rocprim17ROCPRIM_400000_NS6detail17trampoline_kernelINS0_14default_configENS1_27scan_by_key_config_selectorIiiEEZZNS1_16scan_by_key_implILNS1_25lookback_scan_determinismE0ELb1ES3_N6thrust23THRUST_200600_302600_NS6detail15normal_iteratorINS9_10device_ptrIiEEEESE_SE_iNS9_4plusIvEENS9_8equal_toIvEEiEE10hipError_tPvRmT2_T3_T4_T5_mT6_T7_P12ihipStream_tbENKUlT_T0_E_clISt17integral_constantIbLb1EESY_IbLb0EEEEDaSU_SV_EUlSU_E_NS1_11comp_targetILNS1_3genE10ELNS1_11target_archE1200ELNS1_3gpuE4ELNS1_3repE0EEENS1_30default_config_static_selectorELNS0_4arch9wavefront6targetE0EEEvT1_.has_dyn_sized_stack, 0
	.set _ZN7rocprim17ROCPRIM_400000_NS6detail17trampoline_kernelINS0_14default_configENS1_27scan_by_key_config_selectorIiiEEZZNS1_16scan_by_key_implILNS1_25lookback_scan_determinismE0ELb1ES3_N6thrust23THRUST_200600_302600_NS6detail15normal_iteratorINS9_10device_ptrIiEEEESE_SE_iNS9_4plusIvEENS9_8equal_toIvEEiEE10hipError_tPvRmT2_T3_T4_T5_mT6_T7_P12ihipStream_tbENKUlT_T0_E_clISt17integral_constantIbLb1EESY_IbLb0EEEEDaSU_SV_EUlSU_E_NS1_11comp_targetILNS1_3genE10ELNS1_11target_archE1200ELNS1_3gpuE4ELNS1_3repE0EEENS1_30default_config_static_selectorELNS0_4arch9wavefront6targetE0EEEvT1_.has_recursion, 0
	.set _ZN7rocprim17ROCPRIM_400000_NS6detail17trampoline_kernelINS0_14default_configENS1_27scan_by_key_config_selectorIiiEEZZNS1_16scan_by_key_implILNS1_25lookback_scan_determinismE0ELb1ES3_N6thrust23THRUST_200600_302600_NS6detail15normal_iteratorINS9_10device_ptrIiEEEESE_SE_iNS9_4plusIvEENS9_8equal_toIvEEiEE10hipError_tPvRmT2_T3_T4_T5_mT6_T7_P12ihipStream_tbENKUlT_T0_E_clISt17integral_constantIbLb1EESY_IbLb0EEEEDaSU_SV_EUlSU_E_NS1_11comp_targetILNS1_3genE10ELNS1_11target_archE1200ELNS1_3gpuE4ELNS1_3repE0EEENS1_30default_config_static_selectorELNS0_4arch9wavefront6targetE0EEEvT1_.has_indirect_call, 0
	.section	.AMDGPU.csdata,"",@progbits
; Kernel info:
; codeLenInByte = 0
; TotalNumSgprs: 0
; NumVgprs: 0
; ScratchSize: 0
; MemoryBound: 0
; FloatMode: 240
; IeeeMode: 1
; LDSByteSize: 0 bytes/workgroup (compile time only)
; SGPRBlocks: 0
; VGPRBlocks: 0
; NumSGPRsForWavesPerEU: 1
; NumVGPRsForWavesPerEU: 1
; NamedBarCnt: 0
; Occupancy: 16
; WaveLimiterHint : 0
; COMPUTE_PGM_RSRC2:SCRATCH_EN: 0
; COMPUTE_PGM_RSRC2:USER_SGPR: 2
; COMPUTE_PGM_RSRC2:TRAP_HANDLER: 0
; COMPUTE_PGM_RSRC2:TGID_X_EN: 1
; COMPUTE_PGM_RSRC2:TGID_Y_EN: 0
; COMPUTE_PGM_RSRC2:TGID_Z_EN: 0
; COMPUTE_PGM_RSRC2:TIDIG_COMP_CNT: 0
	.section	.text._ZN7rocprim17ROCPRIM_400000_NS6detail17trampoline_kernelINS0_14default_configENS1_27scan_by_key_config_selectorIiiEEZZNS1_16scan_by_key_implILNS1_25lookback_scan_determinismE0ELb1ES3_N6thrust23THRUST_200600_302600_NS6detail15normal_iteratorINS9_10device_ptrIiEEEESE_SE_iNS9_4plusIvEENS9_8equal_toIvEEiEE10hipError_tPvRmT2_T3_T4_T5_mT6_T7_P12ihipStream_tbENKUlT_T0_E_clISt17integral_constantIbLb1EESY_IbLb0EEEEDaSU_SV_EUlSU_E_NS1_11comp_targetILNS1_3genE9ELNS1_11target_archE1100ELNS1_3gpuE3ELNS1_3repE0EEENS1_30default_config_static_selectorELNS0_4arch9wavefront6targetE0EEEvT1_,"axG",@progbits,_ZN7rocprim17ROCPRIM_400000_NS6detail17trampoline_kernelINS0_14default_configENS1_27scan_by_key_config_selectorIiiEEZZNS1_16scan_by_key_implILNS1_25lookback_scan_determinismE0ELb1ES3_N6thrust23THRUST_200600_302600_NS6detail15normal_iteratorINS9_10device_ptrIiEEEESE_SE_iNS9_4plusIvEENS9_8equal_toIvEEiEE10hipError_tPvRmT2_T3_T4_T5_mT6_T7_P12ihipStream_tbENKUlT_T0_E_clISt17integral_constantIbLb1EESY_IbLb0EEEEDaSU_SV_EUlSU_E_NS1_11comp_targetILNS1_3genE9ELNS1_11target_archE1100ELNS1_3gpuE3ELNS1_3repE0EEENS1_30default_config_static_selectorELNS0_4arch9wavefront6targetE0EEEvT1_,comdat
	.protected	_ZN7rocprim17ROCPRIM_400000_NS6detail17trampoline_kernelINS0_14default_configENS1_27scan_by_key_config_selectorIiiEEZZNS1_16scan_by_key_implILNS1_25lookback_scan_determinismE0ELb1ES3_N6thrust23THRUST_200600_302600_NS6detail15normal_iteratorINS9_10device_ptrIiEEEESE_SE_iNS9_4plusIvEENS9_8equal_toIvEEiEE10hipError_tPvRmT2_T3_T4_T5_mT6_T7_P12ihipStream_tbENKUlT_T0_E_clISt17integral_constantIbLb1EESY_IbLb0EEEEDaSU_SV_EUlSU_E_NS1_11comp_targetILNS1_3genE9ELNS1_11target_archE1100ELNS1_3gpuE3ELNS1_3repE0EEENS1_30default_config_static_selectorELNS0_4arch9wavefront6targetE0EEEvT1_ ; -- Begin function _ZN7rocprim17ROCPRIM_400000_NS6detail17trampoline_kernelINS0_14default_configENS1_27scan_by_key_config_selectorIiiEEZZNS1_16scan_by_key_implILNS1_25lookback_scan_determinismE0ELb1ES3_N6thrust23THRUST_200600_302600_NS6detail15normal_iteratorINS9_10device_ptrIiEEEESE_SE_iNS9_4plusIvEENS9_8equal_toIvEEiEE10hipError_tPvRmT2_T3_T4_T5_mT6_T7_P12ihipStream_tbENKUlT_T0_E_clISt17integral_constantIbLb1EESY_IbLb0EEEEDaSU_SV_EUlSU_E_NS1_11comp_targetILNS1_3genE9ELNS1_11target_archE1100ELNS1_3gpuE3ELNS1_3repE0EEENS1_30default_config_static_selectorELNS0_4arch9wavefront6targetE0EEEvT1_
	.globl	_ZN7rocprim17ROCPRIM_400000_NS6detail17trampoline_kernelINS0_14default_configENS1_27scan_by_key_config_selectorIiiEEZZNS1_16scan_by_key_implILNS1_25lookback_scan_determinismE0ELb1ES3_N6thrust23THRUST_200600_302600_NS6detail15normal_iteratorINS9_10device_ptrIiEEEESE_SE_iNS9_4plusIvEENS9_8equal_toIvEEiEE10hipError_tPvRmT2_T3_T4_T5_mT6_T7_P12ihipStream_tbENKUlT_T0_E_clISt17integral_constantIbLb1EESY_IbLb0EEEEDaSU_SV_EUlSU_E_NS1_11comp_targetILNS1_3genE9ELNS1_11target_archE1100ELNS1_3gpuE3ELNS1_3repE0EEENS1_30default_config_static_selectorELNS0_4arch9wavefront6targetE0EEEvT1_
	.p2align	8
	.type	_ZN7rocprim17ROCPRIM_400000_NS6detail17trampoline_kernelINS0_14default_configENS1_27scan_by_key_config_selectorIiiEEZZNS1_16scan_by_key_implILNS1_25lookback_scan_determinismE0ELb1ES3_N6thrust23THRUST_200600_302600_NS6detail15normal_iteratorINS9_10device_ptrIiEEEESE_SE_iNS9_4plusIvEENS9_8equal_toIvEEiEE10hipError_tPvRmT2_T3_T4_T5_mT6_T7_P12ihipStream_tbENKUlT_T0_E_clISt17integral_constantIbLb1EESY_IbLb0EEEEDaSU_SV_EUlSU_E_NS1_11comp_targetILNS1_3genE9ELNS1_11target_archE1100ELNS1_3gpuE3ELNS1_3repE0EEENS1_30default_config_static_selectorELNS0_4arch9wavefront6targetE0EEEvT1_,@function
_ZN7rocprim17ROCPRIM_400000_NS6detail17trampoline_kernelINS0_14default_configENS1_27scan_by_key_config_selectorIiiEEZZNS1_16scan_by_key_implILNS1_25lookback_scan_determinismE0ELb1ES3_N6thrust23THRUST_200600_302600_NS6detail15normal_iteratorINS9_10device_ptrIiEEEESE_SE_iNS9_4plusIvEENS9_8equal_toIvEEiEE10hipError_tPvRmT2_T3_T4_T5_mT6_T7_P12ihipStream_tbENKUlT_T0_E_clISt17integral_constantIbLb1EESY_IbLb0EEEEDaSU_SV_EUlSU_E_NS1_11comp_targetILNS1_3genE9ELNS1_11target_archE1100ELNS1_3gpuE3ELNS1_3repE0EEENS1_30default_config_static_selectorELNS0_4arch9wavefront6targetE0EEEvT1_: ; @_ZN7rocprim17ROCPRIM_400000_NS6detail17trampoline_kernelINS0_14default_configENS1_27scan_by_key_config_selectorIiiEEZZNS1_16scan_by_key_implILNS1_25lookback_scan_determinismE0ELb1ES3_N6thrust23THRUST_200600_302600_NS6detail15normal_iteratorINS9_10device_ptrIiEEEESE_SE_iNS9_4plusIvEENS9_8equal_toIvEEiEE10hipError_tPvRmT2_T3_T4_T5_mT6_T7_P12ihipStream_tbENKUlT_T0_E_clISt17integral_constantIbLb1EESY_IbLb0EEEEDaSU_SV_EUlSU_E_NS1_11comp_targetILNS1_3genE9ELNS1_11target_archE1100ELNS1_3gpuE3ELNS1_3repE0EEENS1_30default_config_static_selectorELNS0_4arch9wavefront6targetE0EEEvT1_
; %bb.0:
	.section	.rodata,"a",@progbits
	.p2align	6, 0x0
	.amdhsa_kernel _ZN7rocprim17ROCPRIM_400000_NS6detail17trampoline_kernelINS0_14default_configENS1_27scan_by_key_config_selectorIiiEEZZNS1_16scan_by_key_implILNS1_25lookback_scan_determinismE0ELb1ES3_N6thrust23THRUST_200600_302600_NS6detail15normal_iteratorINS9_10device_ptrIiEEEESE_SE_iNS9_4plusIvEENS9_8equal_toIvEEiEE10hipError_tPvRmT2_T3_T4_T5_mT6_T7_P12ihipStream_tbENKUlT_T0_E_clISt17integral_constantIbLb1EESY_IbLb0EEEEDaSU_SV_EUlSU_E_NS1_11comp_targetILNS1_3genE9ELNS1_11target_archE1100ELNS1_3gpuE3ELNS1_3repE0EEENS1_30default_config_static_selectorELNS0_4arch9wavefront6targetE0EEEvT1_
		.amdhsa_group_segment_fixed_size 0
		.amdhsa_private_segment_fixed_size 0
		.amdhsa_kernarg_size 112
		.amdhsa_user_sgpr_count 2
		.amdhsa_user_sgpr_dispatch_ptr 0
		.amdhsa_user_sgpr_queue_ptr 0
		.amdhsa_user_sgpr_kernarg_segment_ptr 1
		.amdhsa_user_sgpr_dispatch_id 0
		.amdhsa_user_sgpr_kernarg_preload_length 0
		.amdhsa_user_sgpr_kernarg_preload_offset 0
		.amdhsa_user_sgpr_private_segment_size 0
		.amdhsa_wavefront_size32 1
		.amdhsa_uses_dynamic_stack 0
		.amdhsa_enable_private_segment 0
		.amdhsa_system_sgpr_workgroup_id_x 1
		.amdhsa_system_sgpr_workgroup_id_y 0
		.amdhsa_system_sgpr_workgroup_id_z 0
		.amdhsa_system_sgpr_workgroup_info 0
		.amdhsa_system_vgpr_workitem_id 0
		.amdhsa_next_free_vgpr 1
		.amdhsa_next_free_sgpr 1
		.amdhsa_named_barrier_count 0
		.amdhsa_reserve_vcc 0
		.amdhsa_float_round_mode_32 0
		.amdhsa_float_round_mode_16_64 0
		.amdhsa_float_denorm_mode_32 3
		.amdhsa_float_denorm_mode_16_64 3
		.amdhsa_fp16_overflow 0
		.amdhsa_memory_ordered 1
		.amdhsa_forward_progress 1
		.amdhsa_inst_pref_size 0
		.amdhsa_round_robin_scheduling 0
		.amdhsa_exception_fp_ieee_invalid_op 0
		.amdhsa_exception_fp_denorm_src 0
		.amdhsa_exception_fp_ieee_div_zero 0
		.amdhsa_exception_fp_ieee_overflow 0
		.amdhsa_exception_fp_ieee_underflow 0
		.amdhsa_exception_fp_ieee_inexact 0
		.amdhsa_exception_int_div_zero 0
	.end_amdhsa_kernel
	.section	.text._ZN7rocprim17ROCPRIM_400000_NS6detail17trampoline_kernelINS0_14default_configENS1_27scan_by_key_config_selectorIiiEEZZNS1_16scan_by_key_implILNS1_25lookback_scan_determinismE0ELb1ES3_N6thrust23THRUST_200600_302600_NS6detail15normal_iteratorINS9_10device_ptrIiEEEESE_SE_iNS9_4plusIvEENS9_8equal_toIvEEiEE10hipError_tPvRmT2_T3_T4_T5_mT6_T7_P12ihipStream_tbENKUlT_T0_E_clISt17integral_constantIbLb1EESY_IbLb0EEEEDaSU_SV_EUlSU_E_NS1_11comp_targetILNS1_3genE9ELNS1_11target_archE1100ELNS1_3gpuE3ELNS1_3repE0EEENS1_30default_config_static_selectorELNS0_4arch9wavefront6targetE0EEEvT1_,"axG",@progbits,_ZN7rocprim17ROCPRIM_400000_NS6detail17trampoline_kernelINS0_14default_configENS1_27scan_by_key_config_selectorIiiEEZZNS1_16scan_by_key_implILNS1_25lookback_scan_determinismE0ELb1ES3_N6thrust23THRUST_200600_302600_NS6detail15normal_iteratorINS9_10device_ptrIiEEEESE_SE_iNS9_4plusIvEENS9_8equal_toIvEEiEE10hipError_tPvRmT2_T3_T4_T5_mT6_T7_P12ihipStream_tbENKUlT_T0_E_clISt17integral_constantIbLb1EESY_IbLb0EEEEDaSU_SV_EUlSU_E_NS1_11comp_targetILNS1_3genE9ELNS1_11target_archE1100ELNS1_3gpuE3ELNS1_3repE0EEENS1_30default_config_static_selectorELNS0_4arch9wavefront6targetE0EEEvT1_,comdat
.Lfunc_end486:
	.size	_ZN7rocprim17ROCPRIM_400000_NS6detail17trampoline_kernelINS0_14default_configENS1_27scan_by_key_config_selectorIiiEEZZNS1_16scan_by_key_implILNS1_25lookback_scan_determinismE0ELb1ES3_N6thrust23THRUST_200600_302600_NS6detail15normal_iteratorINS9_10device_ptrIiEEEESE_SE_iNS9_4plusIvEENS9_8equal_toIvEEiEE10hipError_tPvRmT2_T3_T4_T5_mT6_T7_P12ihipStream_tbENKUlT_T0_E_clISt17integral_constantIbLb1EESY_IbLb0EEEEDaSU_SV_EUlSU_E_NS1_11comp_targetILNS1_3genE9ELNS1_11target_archE1100ELNS1_3gpuE3ELNS1_3repE0EEENS1_30default_config_static_selectorELNS0_4arch9wavefront6targetE0EEEvT1_, .Lfunc_end486-_ZN7rocprim17ROCPRIM_400000_NS6detail17trampoline_kernelINS0_14default_configENS1_27scan_by_key_config_selectorIiiEEZZNS1_16scan_by_key_implILNS1_25lookback_scan_determinismE0ELb1ES3_N6thrust23THRUST_200600_302600_NS6detail15normal_iteratorINS9_10device_ptrIiEEEESE_SE_iNS9_4plusIvEENS9_8equal_toIvEEiEE10hipError_tPvRmT2_T3_T4_T5_mT6_T7_P12ihipStream_tbENKUlT_T0_E_clISt17integral_constantIbLb1EESY_IbLb0EEEEDaSU_SV_EUlSU_E_NS1_11comp_targetILNS1_3genE9ELNS1_11target_archE1100ELNS1_3gpuE3ELNS1_3repE0EEENS1_30default_config_static_selectorELNS0_4arch9wavefront6targetE0EEEvT1_
                                        ; -- End function
	.set _ZN7rocprim17ROCPRIM_400000_NS6detail17trampoline_kernelINS0_14default_configENS1_27scan_by_key_config_selectorIiiEEZZNS1_16scan_by_key_implILNS1_25lookback_scan_determinismE0ELb1ES3_N6thrust23THRUST_200600_302600_NS6detail15normal_iteratorINS9_10device_ptrIiEEEESE_SE_iNS9_4plusIvEENS9_8equal_toIvEEiEE10hipError_tPvRmT2_T3_T4_T5_mT6_T7_P12ihipStream_tbENKUlT_T0_E_clISt17integral_constantIbLb1EESY_IbLb0EEEEDaSU_SV_EUlSU_E_NS1_11comp_targetILNS1_3genE9ELNS1_11target_archE1100ELNS1_3gpuE3ELNS1_3repE0EEENS1_30default_config_static_selectorELNS0_4arch9wavefront6targetE0EEEvT1_.num_vgpr, 0
	.set _ZN7rocprim17ROCPRIM_400000_NS6detail17trampoline_kernelINS0_14default_configENS1_27scan_by_key_config_selectorIiiEEZZNS1_16scan_by_key_implILNS1_25lookback_scan_determinismE0ELb1ES3_N6thrust23THRUST_200600_302600_NS6detail15normal_iteratorINS9_10device_ptrIiEEEESE_SE_iNS9_4plusIvEENS9_8equal_toIvEEiEE10hipError_tPvRmT2_T3_T4_T5_mT6_T7_P12ihipStream_tbENKUlT_T0_E_clISt17integral_constantIbLb1EESY_IbLb0EEEEDaSU_SV_EUlSU_E_NS1_11comp_targetILNS1_3genE9ELNS1_11target_archE1100ELNS1_3gpuE3ELNS1_3repE0EEENS1_30default_config_static_selectorELNS0_4arch9wavefront6targetE0EEEvT1_.num_agpr, 0
	.set _ZN7rocprim17ROCPRIM_400000_NS6detail17trampoline_kernelINS0_14default_configENS1_27scan_by_key_config_selectorIiiEEZZNS1_16scan_by_key_implILNS1_25lookback_scan_determinismE0ELb1ES3_N6thrust23THRUST_200600_302600_NS6detail15normal_iteratorINS9_10device_ptrIiEEEESE_SE_iNS9_4plusIvEENS9_8equal_toIvEEiEE10hipError_tPvRmT2_T3_T4_T5_mT6_T7_P12ihipStream_tbENKUlT_T0_E_clISt17integral_constantIbLb1EESY_IbLb0EEEEDaSU_SV_EUlSU_E_NS1_11comp_targetILNS1_3genE9ELNS1_11target_archE1100ELNS1_3gpuE3ELNS1_3repE0EEENS1_30default_config_static_selectorELNS0_4arch9wavefront6targetE0EEEvT1_.numbered_sgpr, 0
	.set _ZN7rocprim17ROCPRIM_400000_NS6detail17trampoline_kernelINS0_14default_configENS1_27scan_by_key_config_selectorIiiEEZZNS1_16scan_by_key_implILNS1_25lookback_scan_determinismE0ELb1ES3_N6thrust23THRUST_200600_302600_NS6detail15normal_iteratorINS9_10device_ptrIiEEEESE_SE_iNS9_4plusIvEENS9_8equal_toIvEEiEE10hipError_tPvRmT2_T3_T4_T5_mT6_T7_P12ihipStream_tbENKUlT_T0_E_clISt17integral_constantIbLb1EESY_IbLb0EEEEDaSU_SV_EUlSU_E_NS1_11comp_targetILNS1_3genE9ELNS1_11target_archE1100ELNS1_3gpuE3ELNS1_3repE0EEENS1_30default_config_static_selectorELNS0_4arch9wavefront6targetE0EEEvT1_.num_named_barrier, 0
	.set _ZN7rocprim17ROCPRIM_400000_NS6detail17trampoline_kernelINS0_14default_configENS1_27scan_by_key_config_selectorIiiEEZZNS1_16scan_by_key_implILNS1_25lookback_scan_determinismE0ELb1ES3_N6thrust23THRUST_200600_302600_NS6detail15normal_iteratorINS9_10device_ptrIiEEEESE_SE_iNS9_4plusIvEENS9_8equal_toIvEEiEE10hipError_tPvRmT2_T3_T4_T5_mT6_T7_P12ihipStream_tbENKUlT_T0_E_clISt17integral_constantIbLb1EESY_IbLb0EEEEDaSU_SV_EUlSU_E_NS1_11comp_targetILNS1_3genE9ELNS1_11target_archE1100ELNS1_3gpuE3ELNS1_3repE0EEENS1_30default_config_static_selectorELNS0_4arch9wavefront6targetE0EEEvT1_.private_seg_size, 0
	.set _ZN7rocprim17ROCPRIM_400000_NS6detail17trampoline_kernelINS0_14default_configENS1_27scan_by_key_config_selectorIiiEEZZNS1_16scan_by_key_implILNS1_25lookback_scan_determinismE0ELb1ES3_N6thrust23THRUST_200600_302600_NS6detail15normal_iteratorINS9_10device_ptrIiEEEESE_SE_iNS9_4plusIvEENS9_8equal_toIvEEiEE10hipError_tPvRmT2_T3_T4_T5_mT6_T7_P12ihipStream_tbENKUlT_T0_E_clISt17integral_constantIbLb1EESY_IbLb0EEEEDaSU_SV_EUlSU_E_NS1_11comp_targetILNS1_3genE9ELNS1_11target_archE1100ELNS1_3gpuE3ELNS1_3repE0EEENS1_30default_config_static_selectorELNS0_4arch9wavefront6targetE0EEEvT1_.uses_vcc, 0
	.set _ZN7rocprim17ROCPRIM_400000_NS6detail17trampoline_kernelINS0_14default_configENS1_27scan_by_key_config_selectorIiiEEZZNS1_16scan_by_key_implILNS1_25lookback_scan_determinismE0ELb1ES3_N6thrust23THRUST_200600_302600_NS6detail15normal_iteratorINS9_10device_ptrIiEEEESE_SE_iNS9_4plusIvEENS9_8equal_toIvEEiEE10hipError_tPvRmT2_T3_T4_T5_mT6_T7_P12ihipStream_tbENKUlT_T0_E_clISt17integral_constantIbLb1EESY_IbLb0EEEEDaSU_SV_EUlSU_E_NS1_11comp_targetILNS1_3genE9ELNS1_11target_archE1100ELNS1_3gpuE3ELNS1_3repE0EEENS1_30default_config_static_selectorELNS0_4arch9wavefront6targetE0EEEvT1_.uses_flat_scratch, 0
	.set _ZN7rocprim17ROCPRIM_400000_NS6detail17trampoline_kernelINS0_14default_configENS1_27scan_by_key_config_selectorIiiEEZZNS1_16scan_by_key_implILNS1_25lookback_scan_determinismE0ELb1ES3_N6thrust23THRUST_200600_302600_NS6detail15normal_iteratorINS9_10device_ptrIiEEEESE_SE_iNS9_4plusIvEENS9_8equal_toIvEEiEE10hipError_tPvRmT2_T3_T4_T5_mT6_T7_P12ihipStream_tbENKUlT_T0_E_clISt17integral_constantIbLb1EESY_IbLb0EEEEDaSU_SV_EUlSU_E_NS1_11comp_targetILNS1_3genE9ELNS1_11target_archE1100ELNS1_3gpuE3ELNS1_3repE0EEENS1_30default_config_static_selectorELNS0_4arch9wavefront6targetE0EEEvT1_.has_dyn_sized_stack, 0
	.set _ZN7rocprim17ROCPRIM_400000_NS6detail17trampoline_kernelINS0_14default_configENS1_27scan_by_key_config_selectorIiiEEZZNS1_16scan_by_key_implILNS1_25lookback_scan_determinismE0ELb1ES3_N6thrust23THRUST_200600_302600_NS6detail15normal_iteratorINS9_10device_ptrIiEEEESE_SE_iNS9_4plusIvEENS9_8equal_toIvEEiEE10hipError_tPvRmT2_T3_T4_T5_mT6_T7_P12ihipStream_tbENKUlT_T0_E_clISt17integral_constantIbLb1EESY_IbLb0EEEEDaSU_SV_EUlSU_E_NS1_11comp_targetILNS1_3genE9ELNS1_11target_archE1100ELNS1_3gpuE3ELNS1_3repE0EEENS1_30default_config_static_selectorELNS0_4arch9wavefront6targetE0EEEvT1_.has_recursion, 0
	.set _ZN7rocprim17ROCPRIM_400000_NS6detail17trampoline_kernelINS0_14default_configENS1_27scan_by_key_config_selectorIiiEEZZNS1_16scan_by_key_implILNS1_25lookback_scan_determinismE0ELb1ES3_N6thrust23THRUST_200600_302600_NS6detail15normal_iteratorINS9_10device_ptrIiEEEESE_SE_iNS9_4plusIvEENS9_8equal_toIvEEiEE10hipError_tPvRmT2_T3_T4_T5_mT6_T7_P12ihipStream_tbENKUlT_T0_E_clISt17integral_constantIbLb1EESY_IbLb0EEEEDaSU_SV_EUlSU_E_NS1_11comp_targetILNS1_3genE9ELNS1_11target_archE1100ELNS1_3gpuE3ELNS1_3repE0EEENS1_30default_config_static_selectorELNS0_4arch9wavefront6targetE0EEEvT1_.has_indirect_call, 0
	.section	.AMDGPU.csdata,"",@progbits
; Kernel info:
; codeLenInByte = 0
; TotalNumSgprs: 0
; NumVgprs: 0
; ScratchSize: 0
; MemoryBound: 0
; FloatMode: 240
; IeeeMode: 1
; LDSByteSize: 0 bytes/workgroup (compile time only)
; SGPRBlocks: 0
; VGPRBlocks: 0
; NumSGPRsForWavesPerEU: 1
; NumVGPRsForWavesPerEU: 1
; NamedBarCnt: 0
; Occupancy: 16
; WaveLimiterHint : 0
; COMPUTE_PGM_RSRC2:SCRATCH_EN: 0
; COMPUTE_PGM_RSRC2:USER_SGPR: 2
; COMPUTE_PGM_RSRC2:TRAP_HANDLER: 0
; COMPUTE_PGM_RSRC2:TGID_X_EN: 1
; COMPUTE_PGM_RSRC2:TGID_Y_EN: 0
; COMPUTE_PGM_RSRC2:TGID_Z_EN: 0
; COMPUTE_PGM_RSRC2:TIDIG_COMP_CNT: 0
	.section	.text._ZN7rocprim17ROCPRIM_400000_NS6detail17trampoline_kernelINS0_14default_configENS1_27scan_by_key_config_selectorIiiEEZZNS1_16scan_by_key_implILNS1_25lookback_scan_determinismE0ELb1ES3_N6thrust23THRUST_200600_302600_NS6detail15normal_iteratorINS9_10device_ptrIiEEEESE_SE_iNS9_4plusIvEENS9_8equal_toIvEEiEE10hipError_tPvRmT2_T3_T4_T5_mT6_T7_P12ihipStream_tbENKUlT_T0_E_clISt17integral_constantIbLb1EESY_IbLb0EEEEDaSU_SV_EUlSU_E_NS1_11comp_targetILNS1_3genE8ELNS1_11target_archE1030ELNS1_3gpuE2ELNS1_3repE0EEENS1_30default_config_static_selectorELNS0_4arch9wavefront6targetE0EEEvT1_,"axG",@progbits,_ZN7rocprim17ROCPRIM_400000_NS6detail17trampoline_kernelINS0_14default_configENS1_27scan_by_key_config_selectorIiiEEZZNS1_16scan_by_key_implILNS1_25lookback_scan_determinismE0ELb1ES3_N6thrust23THRUST_200600_302600_NS6detail15normal_iteratorINS9_10device_ptrIiEEEESE_SE_iNS9_4plusIvEENS9_8equal_toIvEEiEE10hipError_tPvRmT2_T3_T4_T5_mT6_T7_P12ihipStream_tbENKUlT_T0_E_clISt17integral_constantIbLb1EESY_IbLb0EEEEDaSU_SV_EUlSU_E_NS1_11comp_targetILNS1_3genE8ELNS1_11target_archE1030ELNS1_3gpuE2ELNS1_3repE0EEENS1_30default_config_static_selectorELNS0_4arch9wavefront6targetE0EEEvT1_,comdat
	.protected	_ZN7rocprim17ROCPRIM_400000_NS6detail17trampoline_kernelINS0_14default_configENS1_27scan_by_key_config_selectorIiiEEZZNS1_16scan_by_key_implILNS1_25lookback_scan_determinismE0ELb1ES3_N6thrust23THRUST_200600_302600_NS6detail15normal_iteratorINS9_10device_ptrIiEEEESE_SE_iNS9_4plusIvEENS9_8equal_toIvEEiEE10hipError_tPvRmT2_T3_T4_T5_mT6_T7_P12ihipStream_tbENKUlT_T0_E_clISt17integral_constantIbLb1EESY_IbLb0EEEEDaSU_SV_EUlSU_E_NS1_11comp_targetILNS1_3genE8ELNS1_11target_archE1030ELNS1_3gpuE2ELNS1_3repE0EEENS1_30default_config_static_selectorELNS0_4arch9wavefront6targetE0EEEvT1_ ; -- Begin function _ZN7rocprim17ROCPRIM_400000_NS6detail17trampoline_kernelINS0_14default_configENS1_27scan_by_key_config_selectorIiiEEZZNS1_16scan_by_key_implILNS1_25lookback_scan_determinismE0ELb1ES3_N6thrust23THRUST_200600_302600_NS6detail15normal_iteratorINS9_10device_ptrIiEEEESE_SE_iNS9_4plusIvEENS9_8equal_toIvEEiEE10hipError_tPvRmT2_T3_T4_T5_mT6_T7_P12ihipStream_tbENKUlT_T0_E_clISt17integral_constantIbLb1EESY_IbLb0EEEEDaSU_SV_EUlSU_E_NS1_11comp_targetILNS1_3genE8ELNS1_11target_archE1030ELNS1_3gpuE2ELNS1_3repE0EEENS1_30default_config_static_selectorELNS0_4arch9wavefront6targetE0EEEvT1_
	.globl	_ZN7rocprim17ROCPRIM_400000_NS6detail17trampoline_kernelINS0_14default_configENS1_27scan_by_key_config_selectorIiiEEZZNS1_16scan_by_key_implILNS1_25lookback_scan_determinismE0ELb1ES3_N6thrust23THRUST_200600_302600_NS6detail15normal_iteratorINS9_10device_ptrIiEEEESE_SE_iNS9_4plusIvEENS9_8equal_toIvEEiEE10hipError_tPvRmT2_T3_T4_T5_mT6_T7_P12ihipStream_tbENKUlT_T0_E_clISt17integral_constantIbLb1EESY_IbLb0EEEEDaSU_SV_EUlSU_E_NS1_11comp_targetILNS1_3genE8ELNS1_11target_archE1030ELNS1_3gpuE2ELNS1_3repE0EEENS1_30default_config_static_selectorELNS0_4arch9wavefront6targetE0EEEvT1_
	.p2align	8
	.type	_ZN7rocprim17ROCPRIM_400000_NS6detail17trampoline_kernelINS0_14default_configENS1_27scan_by_key_config_selectorIiiEEZZNS1_16scan_by_key_implILNS1_25lookback_scan_determinismE0ELb1ES3_N6thrust23THRUST_200600_302600_NS6detail15normal_iteratorINS9_10device_ptrIiEEEESE_SE_iNS9_4plusIvEENS9_8equal_toIvEEiEE10hipError_tPvRmT2_T3_T4_T5_mT6_T7_P12ihipStream_tbENKUlT_T0_E_clISt17integral_constantIbLb1EESY_IbLb0EEEEDaSU_SV_EUlSU_E_NS1_11comp_targetILNS1_3genE8ELNS1_11target_archE1030ELNS1_3gpuE2ELNS1_3repE0EEENS1_30default_config_static_selectorELNS0_4arch9wavefront6targetE0EEEvT1_,@function
_ZN7rocprim17ROCPRIM_400000_NS6detail17trampoline_kernelINS0_14default_configENS1_27scan_by_key_config_selectorIiiEEZZNS1_16scan_by_key_implILNS1_25lookback_scan_determinismE0ELb1ES3_N6thrust23THRUST_200600_302600_NS6detail15normal_iteratorINS9_10device_ptrIiEEEESE_SE_iNS9_4plusIvEENS9_8equal_toIvEEiEE10hipError_tPvRmT2_T3_T4_T5_mT6_T7_P12ihipStream_tbENKUlT_T0_E_clISt17integral_constantIbLb1EESY_IbLb0EEEEDaSU_SV_EUlSU_E_NS1_11comp_targetILNS1_3genE8ELNS1_11target_archE1030ELNS1_3gpuE2ELNS1_3repE0EEENS1_30default_config_static_selectorELNS0_4arch9wavefront6targetE0EEEvT1_: ; @_ZN7rocprim17ROCPRIM_400000_NS6detail17trampoline_kernelINS0_14default_configENS1_27scan_by_key_config_selectorIiiEEZZNS1_16scan_by_key_implILNS1_25lookback_scan_determinismE0ELb1ES3_N6thrust23THRUST_200600_302600_NS6detail15normal_iteratorINS9_10device_ptrIiEEEESE_SE_iNS9_4plusIvEENS9_8equal_toIvEEiEE10hipError_tPvRmT2_T3_T4_T5_mT6_T7_P12ihipStream_tbENKUlT_T0_E_clISt17integral_constantIbLb1EESY_IbLb0EEEEDaSU_SV_EUlSU_E_NS1_11comp_targetILNS1_3genE8ELNS1_11target_archE1030ELNS1_3gpuE2ELNS1_3repE0EEENS1_30default_config_static_selectorELNS0_4arch9wavefront6targetE0EEEvT1_
; %bb.0:
	.section	.rodata,"a",@progbits
	.p2align	6, 0x0
	.amdhsa_kernel _ZN7rocprim17ROCPRIM_400000_NS6detail17trampoline_kernelINS0_14default_configENS1_27scan_by_key_config_selectorIiiEEZZNS1_16scan_by_key_implILNS1_25lookback_scan_determinismE0ELb1ES3_N6thrust23THRUST_200600_302600_NS6detail15normal_iteratorINS9_10device_ptrIiEEEESE_SE_iNS9_4plusIvEENS9_8equal_toIvEEiEE10hipError_tPvRmT2_T3_T4_T5_mT6_T7_P12ihipStream_tbENKUlT_T0_E_clISt17integral_constantIbLb1EESY_IbLb0EEEEDaSU_SV_EUlSU_E_NS1_11comp_targetILNS1_3genE8ELNS1_11target_archE1030ELNS1_3gpuE2ELNS1_3repE0EEENS1_30default_config_static_selectorELNS0_4arch9wavefront6targetE0EEEvT1_
		.amdhsa_group_segment_fixed_size 0
		.amdhsa_private_segment_fixed_size 0
		.amdhsa_kernarg_size 112
		.amdhsa_user_sgpr_count 2
		.amdhsa_user_sgpr_dispatch_ptr 0
		.amdhsa_user_sgpr_queue_ptr 0
		.amdhsa_user_sgpr_kernarg_segment_ptr 1
		.amdhsa_user_sgpr_dispatch_id 0
		.amdhsa_user_sgpr_kernarg_preload_length 0
		.amdhsa_user_sgpr_kernarg_preload_offset 0
		.amdhsa_user_sgpr_private_segment_size 0
		.amdhsa_wavefront_size32 1
		.amdhsa_uses_dynamic_stack 0
		.amdhsa_enable_private_segment 0
		.amdhsa_system_sgpr_workgroup_id_x 1
		.amdhsa_system_sgpr_workgroup_id_y 0
		.amdhsa_system_sgpr_workgroup_id_z 0
		.amdhsa_system_sgpr_workgroup_info 0
		.amdhsa_system_vgpr_workitem_id 0
		.amdhsa_next_free_vgpr 1
		.amdhsa_next_free_sgpr 1
		.amdhsa_named_barrier_count 0
		.amdhsa_reserve_vcc 0
		.amdhsa_float_round_mode_32 0
		.amdhsa_float_round_mode_16_64 0
		.amdhsa_float_denorm_mode_32 3
		.amdhsa_float_denorm_mode_16_64 3
		.amdhsa_fp16_overflow 0
		.amdhsa_memory_ordered 1
		.amdhsa_forward_progress 1
		.amdhsa_inst_pref_size 0
		.amdhsa_round_robin_scheduling 0
		.amdhsa_exception_fp_ieee_invalid_op 0
		.amdhsa_exception_fp_denorm_src 0
		.amdhsa_exception_fp_ieee_div_zero 0
		.amdhsa_exception_fp_ieee_overflow 0
		.amdhsa_exception_fp_ieee_underflow 0
		.amdhsa_exception_fp_ieee_inexact 0
		.amdhsa_exception_int_div_zero 0
	.end_amdhsa_kernel
	.section	.text._ZN7rocprim17ROCPRIM_400000_NS6detail17trampoline_kernelINS0_14default_configENS1_27scan_by_key_config_selectorIiiEEZZNS1_16scan_by_key_implILNS1_25lookback_scan_determinismE0ELb1ES3_N6thrust23THRUST_200600_302600_NS6detail15normal_iteratorINS9_10device_ptrIiEEEESE_SE_iNS9_4plusIvEENS9_8equal_toIvEEiEE10hipError_tPvRmT2_T3_T4_T5_mT6_T7_P12ihipStream_tbENKUlT_T0_E_clISt17integral_constantIbLb1EESY_IbLb0EEEEDaSU_SV_EUlSU_E_NS1_11comp_targetILNS1_3genE8ELNS1_11target_archE1030ELNS1_3gpuE2ELNS1_3repE0EEENS1_30default_config_static_selectorELNS0_4arch9wavefront6targetE0EEEvT1_,"axG",@progbits,_ZN7rocprim17ROCPRIM_400000_NS6detail17trampoline_kernelINS0_14default_configENS1_27scan_by_key_config_selectorIiiEEZZNS1_16scan_by_key_implILNS1_25lookback_scan_determinismE0ELb1ES3_N6thrust23THRUST_200600_302600_NS6detail15normal_iteratorINS9_10device_ptrIiEEEESE_SE_iNS9_4plusIvEENS9_8equal_toIvEEiEE10hipError_tPvRmT2_T3_T4_T5_mT6_T7_P12ihipStream_tbENKUlT_T0_E_clISt17integral_constantIbLb1EESY_IbLb0EEEEDaSU_SV_EUlSU_E_NS1_11comp_targetILNS1_3genE8ELNS1_11target_archE1030ELNS1_3gpuE2ELNS1_3repE0EEENS1_30default_config_static_selectorELNS0_4arch9wavefront6targetE0EEEvT1_,comdat
.Lfunc_end487:
	.size	_ZN7rocprim17ROCPRIM_400000_NS6detail17trampoline_kernelINS0_14default_configENS1_27scan_by_key_config_selectorIiiEEZZNS1_16scan_by_key_implILNS1_25lookback_scan_determinismE0ELb1ES3_N6thrust23THRUST_200600_302600_NS6detail15normal_iteratorINS9_10device_ptrIiEEEESE_SE_iNS9_4plusIvEENS9_8equal_toIvEEiEE10hipError_tPvRmT2_T3_T4_T5_mT6_T7_P12ihipStream_tbENKUlT_T0_E_clISt17integral_constantIbLb1EESY_IbLb0EEEEDaSU_SV_EUlSU_E_NS1_11comp_targetILNS1_3genE8ELNS1_11target_archE1030ELNS1_3gpuE2ELNS1_3repE0EEENS1_30default_config_static_selectorELNS0_4arch9wavefront6targetE0EEEvT1_, .Lfunc_end487-_ZN7rocprim17ROCPRIM_400000_NS6detail17trampoline_kernelINS0_14default_configENS1_27scan_by_key_config_selectorIiiEEZZNS1_16scan_by_key_implILNS1_25lookback_scan_determinismE0ELb1ES3_N6thrust23THRUST_200600_302600_NS6detail15normal_iteratorINS9_10device_ptrIiEEEESE_SE_iNS9_4plusIvEENS9_8equal_toIvEEiEE10hipError_tPvRmT2_T3_T4_T5_mT6_T7_P12ihipStream_tbENKUlT_T0_E_clISt17integral_constantIbLb1EESY_IbLb0EEEEDaSU_SV_EUlSU_E_NS1_11comp_targetILNS1_3genE8ELNS1_11target_archE1030ELNS1_3gpuE2ELNS1_3repE0EEENS1_30default_config_static_selectorELNS0_4arch9wavefront6targetE0EEEvT1_
                                        ; -- End function
	.set _ZN7rocprim17ROCPRIM_400000_NS6detail17trampoline_kernelINS0_14default_configENS1_27scan_by_key_config_selectorIiiEEZZNS1_16scan_by_key_implILNS1_25lookback_scan_determinismE0ELb1ES3_N6thrust23THRUST_200600_302600_NS6detail15normal_iteratorINS9_10device_ptrIiEEEESE_SE_iNS9_4plusIvEENS9_8equal_toIvEEiEE10hipError_tPvRmT2_T3_T4_T5_mT6_T7_P12ihipStream_tbENKUlT_T0_E_clISt17integral_constantIbLb1EESY_IbLb0EEEEDaSU_SV_EUlSU_E_NS1_11comp_targetILNS1_3genE8ELNS1_11target_archE1030ELNS1_3gpuE2ELNS1_3repE0EEENS1_30default_config_static_selectorELNS0_4arch9wavefront6targetE0EEEvT1_.num_vgpr, 0
	.set _ZN7rocprim17ROCPRIM_400000_NS6detail17trampoline_kernelINS0_14default_configENS1_27scan_by_key_config_selectorIiiEEZZNS1_16scan_by_key_implILNS1_25lookback_scan_determinismE0ELb1ES3_N6thrust23THRUST_200600_302600_NS6detail15normal_iteratorINS9_10device_ptrIiEEEESE_SE_iNS9_4plusIvEENS9_8equal_toIvEEiEE10hipError_tPvRmT2_T3_T4_T5_mT6_T7_P12ihipStream_tbENKUlT_T0_E_clISt17integral_constantIbLb1EESY_IbLb0EEEEDaSU_SV_EUlSU_E_NS1_11comp_targetILNS1_3genE8ELNS1_11target_archE1030ELNS1_3gpuE2ELNS1_3repE0EEENS1_30default_config_static_selectorELNS0_4arch9wavefront6targetE0EEEvT1_.num_agpr, 0
	.set _ZN7rocprim17ROCPRIM_400000_NS6detail17trampoline_kernelINS0_14default_configENS1_27scan_by_key_config_selectorIiiEEZZNS1_16scan_by_key_implILNS1_25lookback_scan_determinismE0ELb1ES3_N6thrust23THRUST_200600_302600_NS6detail15normal_iteratorINS9_10device_ptrIiEEEESE_SE_iNS9_4plusIvEENS9_8equal_toIvEEiEE10hipError_tPvRmT2_T3_T4_T5_mT6_T7_P12ihipStream_tbENKUlT_T0_E_clISt17integral_constantIbLb1EESY_IbLb0EEEEDaSU_SV_EUlSU_E_NS1_11comp_targetILNS1_3genE8ELNS1_11target_archE1030ELNS1_3gpuE2ELNS1_3repE0EEENS1_30default_config_static_selectorELNS0_4arch9wavefront6targetE0EEEvT1_.numbered_sgpr, 0
	.set _ZN7rocprim17ROCPRIM_400000_NS6detail17trampoline_kernelINS0_14default_configENS1_27scan_by_key_config_selectorIiiEEZZNS1_16scan_by_key_implILNS1_25lookback_scan_determinismE0ELb1ES3_N6thrust23THRUST_200600_302600_NS6detail15normal_iteratorINS9_10device_ptrIiEEEESE_SE_iNS9_4plusIvEENS9_8equal_toIvEEiEE10hipError_tPvRmT2_T3_T4_T5_mT6_T7_P12ihipStream_tbENKUlT_T0_E_clISt17integral_constantIbLb1EESY_IbLb0EEEEDaSU_SV_EUlSU_E_NS1_11comp_targetILNS1_3genE8ELNS1_11target_archE1030ELNS1_3gpuE2ELNS1_3repE0EEENS1_30default_config_static_selectorELNS0_4arch9wavefront6targetE0EEEvT1_.num_named_barrier, 0
	.set _ZN7rocprim17ROCPRIM_400000_NS6detail17trampoline_kernelINS0_14default_configENS1_27scan_by_key_config_selectorIiiEEZZNS1_16scan_by_key_implILNS1_25lookback_scan_determinismE0ELb1ES3_N6thrust23THRUST_200600_302600_NS6detail15normal_iteratorINS9_10device_ptrIiEEEESE_SE_iNS9_4plusIvEENS9_8equal_toIvEEiEE10hipError_tPvRmT2_T3_T4_T5_mT6_T7_P12ihipStream_tbENKUlT_T0_E_clISt17integral_constantIbLb1EESY_IbLb0EEEEDaSU_SV_EUlSU_E_NS1_11comp_targetILNS1_3genE8ELNS1_11target_archE1030ELNS1_3gpuE2ELNS1_3repE0EEENS1_30default_config_static_selectorELNS0_4arch9wavefront6targetE0EEEvT1_.private_seg_size, 0
	.set _ZN7rocprim17ROCPRIM_400000_NS6detail17trampoline_kernelINS0_14default_configENS1_27scan_by_key_config_selectorIiiEEZZNS1_16scan_by_key_implILNS1_25lookback_scan_determinismE0ELb1ES3_N6thrust23THRUST_200600_302600_NS6detail15normal_iteratorINS9_10device_ptrIiEEEESE_SE_iNS9_4plusIvEENS9_8equal_toIvEEiEE10hipError_tPvRmT2_T3_T4_T5_mT6_T7_P12ihipStream_tbENKUlT_T0_E_clISt17integral_constantIbLb1EESY_IbLb0EEEEDaSU_SV_EUlSU_E_NS1_11comp_targetILNS1_3genE8ELNS1_11target_archE1030ELNS1_3gpuE2ELNS1_3repE0EEENS1_30default_config_static_selectorELNS0_4arch9wavefront6targetE0EEEvT1_.uses_vcc, 0
	.set _ZN7rocprim17ROCPRIM_400000_NS6detail17trampoline_kernelINS0_14default_configENS1_27scan_by_key_config_selectorIiiEEZZNS1_16scan_by_key_implILNS1_25lookback_scan_determinismE0ELb1ES3_N6thrust23THRUST_200600_302600_NS6detail15normal_iteratorINS9_10device_ptrIiEEEESE_SE_iNS9_4plusIvEENS9_8equal_toIvEEiEE10hipError_tPvRmT2_T3_T4_T5_mT6_T7_P12ihipStream_tbENKUlT_T0_E_clISt17integral_constantIbLb1EESY_IbLb0EEEEDaSU_SV_EUlSU_E_NS1_11comp_targetILNS1_3genE8ELNS1_11target_archE1030ELNS1_3gpuE2ELNS1_3repE0EEENS1_30default_config_static_selectorELNS0_4arch9wavefront6targetE0EEEvT1_.uses_flat_scratch, 0
	.set _ZN7rocprim17ROCPRIM_400000_NS6detail17trampoline_kernelINS0_14default_configENS1_27scan_by_key_config_selectorIiiEEZZNS1_16scan_by_key_implILNS1_25lookback_scan_determinismE0ELb1ES3_N6thrust23THRUST_200600_302600_NS6detail15normal_iteratorINS9_10device_ptrIiEEEESE_SE_iNS9_4plusIvEENS9_8equal_toIvEEiEE10hipError_tPvRmT2_T3_T4_T5_mT6_T7_P12ihipStream_tbENKUlT_T0_E_clISt17integral_constantIbLb1EESY_IbLb0EEEEDaSU_SV_EUlSU_E_NS1_11comp_targetILNS1_3genE8ELNS1_11target_archE1030ELNS1_3gpuE2ELNS1_3repE0EEENS1_30default_config_static_selectorELNS0_4arch9wavefront6targetE0EEEvT1_.has_dyn_sized_stack, 0
	.set _ZN7rocprim17ROCPRIM_400000_NS6detail17trampoline_kernelINS0_14default_configENS1_27scan_by_key_config_selectorIiiEEZZNS1_16scan_by_key_implILNS1_25lookback_scan_determinismE0ELb1ES3_N6thrust23THRUST_200600_302600_NS6detail15normal_iteratorINS9_10device_ptrIiEEEESE_SE_iNS9_4plusIvEENS9_8equal_toIvEEiEE10hipError_tPvRmT2_T3_T4_T5_mT6_T7_P12ihipStream_tbENKUlT_T0_E_clISt17integral_constantIbLb1EESY_IbLb0EEEEDaSU_SV_EUlSU_E_NS1_11comp_targetILNS1_3genE8ELNS1_11target_archE1030ELNS1_3gpuE2ELNS1_3repE0EEENS1_30default_config_static_selectorELNS0_4arch9wavefront6targetE0EEEvT1_.has_recursion, 0
	.set _ZN7rocprim17ROCPRIM_400000_NS6detail17trampoline_kernelINS0_14default_configENS1_27scan_by_key_config_selectorIiiEEZZNS1_16scan_by_key_implILNS1_25lookback_scan_determinismE0ELb1ES3_N6thrust23THRUST_200600_302600_NS6detail15normal_iteratorINS9_10device_ptrIiEEEESE_SE_iNS9_4plusIvEENS9_8equal_toIvEEiEE10hipError_tPvRmT2_T3_T4_T5_mT6_T7_P12ihipStream_tbENKUlT_T0_E_clISt17integral_constantIbLb1EESY_IbLb0EEEEDaSU_SV_EUlSU_E_NS1_11comp_targetILNS1_3genE8ELNS1_11target_archE1030ELNS1_3gpuE2ELNS1_3repE0EEENS1_30default_config_static_selectorELNS0_4arch9wavefront6targetE0EEEvT1_.has_indirect_call, 0
	.section	.AMDGPU.csdata,"",@progbits
; Kernel info:
; codeLenInByte = 0
; TotalNumSgprs: 0
; NumVgprs: 0
; ScratchSize: 0
; MemoryBound: 0
; FloatMode: 240
; IeeeMode: 1
; LDSByteSize: 0 bytes/workgroup (compile time only)
; SGPRBlocks: 0
; VGPRBlocks: 0
; NumSGPRsForWavesPerEU: 1
; NumVGPRsForWavesPerEU: 1
; NamedBarCnt: 0
; Occupancy: 16
; WaveLimiterHint : 0
; COMPUTE_PGM_RSRC2:SCRATCH_EN: 0
; COMPUTE_PGM_RSRC2:USER_SGPR: 2
; COMPUTE_PGM_RSRC2:TRAP_HANDLER: 0
; COMPUTE_PGM_RSRC2:TGID_X_EN: 1
; COMPUTE_PGM_RSRC2:TGID_Y_EN: 0
; COMPUTE_PGM_RSRC2:TGID_Z_EN: 0
; COMPUTE_PGM_RSRC2:TIDIG_COMP_CNT: 0
	.section	.text._ZN7rocprim17ROCPRIM_400000_NS6detail17trampoline_kernelINS0_14default_configENS1_27scan_by_key_config_selectorIiiEEZZNS1_16scan_by_key_implILNS1_25lookback_scan_determinismE0ELb1ES3_N6thrust23THRUST_200600_302600_NS6detail15normal_iteratorINS9_10device_ptrIiEEEESE_SE_iNS9_4plusIvEENS9_8equal_toIvEEiEE10hipError_tPvRmT2_T3_T4_T5_mT6_T7_P12ihipStream_tbENKUlT_T0_E_clISt17integral_constantIbLb0EESY_IbLb1EEEEDaSU_SV_EUlSU_E_NS1_11comp_targetILNS1_3genE0ELNS1_11target_archE4294967295ELNS1_3gpuE0ELNS1_3repE0EEENS1_30default_config_static_selectorELNS0_4arch9wavefront6targetE0EEEvT1_,"axG",@progbits,_ZN7rocprim17ROCPRIM_400000_NS6detail17trampoline_kernelINS0_14default_configENS1_27scan_by_key_config_selectorIiiEEZZNS1_16scan_by_key_implILNS1_25lookback_scan_determinismE0ELb1ES3_N6thrust23THRUST_200600_302600_NS6detail15normal_iteratorINS9_10device_ptrIiEEEESE_SE_iNS9_4plusIvEENS9_8equal_toIvEEiEE10hipError_tPvRmT2_T3_T4_T5_mT6_T7_P12ihipStream_tbENKUlT_T0_E_clISt17integral_constantIbLb0EESY_IbLb1EEEEDaSU_SV_EUlSU_E_NS1_11comp_targetILNS1_3genE0ELNS1_11target_archE4294967295ELNS1_3gpuE0ELNS1_3repE0EEENS1_30default_config_static_selectorELNS0_4arch9wavefront6targetE0EEEvT1_,comdat
	.protected	_ZN7rocprim17ROCPRIM_400000_NS6detail17trampoline_kernelINS0_14default_configENS1_27scan_by_key_config_selectorIiiEEZZNS1_16scan_by_key_implILNS1_25lookback_scan_determinismE0ELb1ES3_N6thrust23THRUST_200600_302600_NS6detail15normal_iteratorINS9_10device_ptrIiEEEESE_SE_iNS9_4plusIvEENS9_8equal_toIvEEiEE10hipError_tPvRmT2_T3_T4_T5_mT6_T7_P12ihipStream_tbENKUlT_T0_E_clISt17integral_constantIbLb0EESY_IbLb1EEEEDaSU_SV_EUlSU_E_NS1_11comp_targetILNS1_3genE0ELNS1_11target_archE4294967295ELNS1_3gpuE0ELNS1_3repE0EEENS1_30default_config_static_selectorELNS0_4arch9wavefront6targetE0EEEvT1_ ; -- Begin function _ZN7rocprim17ROCPRIM_400000_NS6detail17trampoline_kernelINS0_14default_configENS1_27scan_by_key_config_selectorIiiEEZZNS1_16scan_by_key_implILNS1_25lookback_scan_determinismE0ELb1ES3_N6thrust23THRUST_200600_302600_NS6detail15normal_iteratorINS9_10device_ptrIiEEEESE_SE_iNS9_4plusIvEENS9_8equal_toIvEEiEE10hipError_tPvRmT2_T3_T4_T5_mT6_T7_P12ihipStream_tbENKUlT_T0_E_clISt17integral_constantIbLb0EESY_IbLb1EEEEDaSU_SV_EUlSU_E_NS1_11comp_targetILNS1_3genE0ELNS1_11target_archE4294967295ELNS1_3gpuE0ELNS1_3repE0EEENS1_30default_config_static_selectorELNS0_4arch9wavefront6targetE0EEEvT1_
	.globl	_ZN7rocprim17ROCPRIM_400000_NS6detail17trampoline_kernelINS0_14default_configENS1_27scan_by_key_config_selectorIiiEEZZNS1_16scan_by_key_implILNS1_25lookback_scan_determinismE0ELb1ES3_N6thrust23THRUST_200600_302600_NS6detail15normal_iteratorINS9_10device_ptrIiEEEESE_SE_iNS9_4plusIvEENS9_8equal_toIvEEiEE10hipError_tPvRmT2_T3_T4_T5_mT6_T7_P12ihipStream_tbENKUlT_T0_E_clISt17integral_constantIbLb0EESY_IbLb1EEEEDaSU_SV_EUlSU_E_NS1_11comp_targetILNS1_3genE0ELNS1_11target_archE4294967295ELNS1_3gpuE0ELNS1_3repE0EEENS1_30default_config_static_selectorELNS0_4arch9wavefront6targetE0EEEvT1_
	.p2align	8
	.type	_ZN7rocprim17ROCPRIM_400000_NS6detail17trampoline_kernelINS0_14default_configENS1_27scan_by_key_config_selectorIiiEEZZNS1_16scan_by_key_implILNS1_25lookback_scan_determinismE0ELb1ES3_N6thrust23THRUST_200600_302600_NS6detail15normal_iteratorINS9_10device_ptrIiEEEESE_SE_iNS9_4plusIvEENS9_8equal_toIvEEiEE10hipError_tPvRmT2_T3_T4_T5_mT6_T7_P12ihipStream_tbENKUlT_T0_E_clISt17integral_constantIbLb0EESY_IbLb1EEEEDaSU_SV_EUlSU_E_NS1_11comp_targetILNS1_3genE0ELNS1_11target_archE4294967295ELNS1_3gpuE0ELNS1_3repE0EEENS1_30default_config_static_selectorELNS0_4arch9wavefront6targetE0EEEvT1_,@function
_ZN7rocprim17ROCPRIM_400000_NS6detail17trampoline_kernelINS0_14default_configENS1_27scan_by_key_config_selectorIiiEEZZNS1_16scan_by_key_implILNS1_25lookback_scan_determinismE0ELb1ES3_N6thrust23THRUST_200600_302600_NS6detail15normal_iteratorINS9_10device_ptrIiEEEESE_SE_iNS9_4plusIvEENS9_8equal_toIvEEiEE10hipError_tPvRmT2_T3_T4_T5_mT6_T7_P12ihipStream_tbENKUlT_T0_E_clISt17integral_constantIbLb0EESY_IbLb1EEEEDaSU_SV_EUlSU_E_NS1_11comp_targetILNS1_3genE0ELNS1_11target_archE4294967295ELNS1_3gpuE0ELNS1_3repE0EEENS1_30default_config_static_selectorELNS0_4arch9wavefront6targetE0EEEvT1_: ; @_ZN7rocprim17ROCPRIM_400000_NS6detail17trampoline_kernelINS0_14default_configENS1_27scan_by_key_config_selectorIiiEEZZNS1_16scan_by_key_implILNS1_25lookback_scan_determinismE0ELb1ES3_N6thrust23THRUST_200600_302600_NS6detail15normal_iteratorINS9_10device_ptrIiEEEESE_SE_iNS9_4plusIvEENS9_8equal_toIvEEiEE10hipError_tPvRmT2_T3_T4_T5_mT6_T7_P12ihipStream_tbENKUlT_T0_E_clISt17integral_constantIbLb0EESY_IbLb1EEEEDaSU_SV_EUlSU_E_NS1_11comp_targetILNS1_3genE0ELNS1_11target_archE4294967295ELNS1_3gpuE0ELNS1_3repE0EEENS1_30default_config_static_selectorELNS0_4arch9wavefront6targetE0EEEvT1_
; %bb.0:
	s_clause 0x2
	s_load_b32 s33, s[0:1], 0x20
	s_load_b128 s[20:23], s[0:1], 0x28
	s_load_b64 s[30:31], s[0:1], 0x38
	v_cmp_ne_u32_e64 s3, 0, v0
	v_cmp_eq_u32_e64 s2, 0, v0
	s_and_saveexec_b32 s4, s2
	s_cbranch_execz .LBB488_4
; %bb.1:
	s_mov_b32 s6, exec_lo
	s_mov_b32 s5, exec_lo
	v_mbcnt_lo_u32_b32 v1, s6, 0
                                        ; implicit-def: $vgpr2
	s_delay_alu instid0(VALU_DEP_1)
	v_cmpx_eq_u32_e32 0, v1
	s_cbranch_execz .LBB488_3
; %bb.2:
	s_load_b64 s[8:9], s[0:1], 0x68
	s_bcnt1_i32_b32 s6, s6
	s_delay_alu instid0(SALU_CYCLE_1)
	v_dual_mov_b32 v2, 0 :: v_dual_mov_b32 v3, s6
	s_wait_xcnt 0x0
	s_wait_kmcnt 0x0
	global_atomic_add_u32 v2, v2, v3, s[8:9] th:TH_ATOMIC_RETURN scope:SCOPE_DEV
.LBB488_3:
	s_wait_xcnt 0x0
	s_or_b32 exec_lo, exec_lo, s5
	s_wait_loadcnt 0x0
	v_readfirstlane_b32 s5, v2
	s_delay_alu instid0(VALU_DEP_1)
	v_dual_mov_b32 v2, 0 :: v_dual_add_nc_u32 v1, s5, v1
	ds_store_b32 v2, v1
.LBB488_4:
	s_or_b32 exec_lo, exec_lo, s4
	v_mov_b32_e32 v3, 0
	s_clause 0x2
	s_load_b256 s[12:19], s[0:1], 0x0
	s_load_b32 s4, s[0:1], 0x40
	s_load_b128 s[24:27], s[0:1], 0x48
	s_wait_dscnt 0x0
	s_barrier_signal -1
	s_barrier_wait -1
	ds_load_b32 v2, v3
	s_mov_b32 s5, 0
	s_wait_dscnt 0x0
	s_barrier_signal -1
	s_barrier_wait -1
	s_barrier_signal -1
	s_barrier_wait -1
	s_wait_kmcnt 0x0
	s_lshl_b64 s[28:29], s[14:15], 2
	s_mul_u64 s[0:1], s[30:31], s[4:5]
	s_add_nc_u64 s[10:11], s[24:25], -1
	s_add_nc_u64 s[6:7], s[12:13], s[28:29]
	s_add_nc_u64 s[8:9], s[16:17], s[28:29]
	s_mul_i32 s23, s10, 0xfffff400
	v_add_nc_u64_e32 v[4:5], s[0:1], v[2:3]
	v_readfirstlane_b32 s36, v2
	s_mul_i32 s4, s36, 0xc00
	v_cmp_le_u64_e64 s0, s[10:11], v[4:5]
	s_lshl_b64 s[16:17], s[4:5], 2
	s_delay_alu instid0(SALU_CYCLE_1)
	s_add_nc_u64 s[34:35], s[6:7], s[16:17]
	s_add_nc_u64 s[24:25], s[8:9], s[16:17]
	s_and_b32 vcc_lo, exec_lo, s0
	s_cbranch_vccz .LBB488_70
; %bb.5:
	flat_load_b32 v1, v3, s[34:35]
	s_add_co_i32 s15, s23, s22
	s_delay_alu instid0(SALU_CYCLE_1)
	v_cmp_gt_u32_e32 vcc_lo, s15, v0
	s_wait_loadcnt_dscnt 0x0
	v_mov_b32_e32 v2, v1
	s_and_saveexec_b32 s1, vcc_lo
	s_cbranch_execz .LBB488_7
; %bb.6:
	flat_load_b32 v2, v0, s[34:35] scale_offset
.LBB488_7:
	s_wait_xcnt 0x0
	s_or_b32 exec_lo, exec_lo, s1
	v_or_b32_e32 v3, 0x100, v0
	s_delay_alu instid0(VALU_DEP_1)
	v_cmp_gt_u32_e64 s1, s15, v3
	v_mov_b32_e32 v3, v1
	s_and_saveexec_b32 s4, s1
	s_cbranch_execz .LBB488_9
; %bb.8:
	flat_load_b32 v3, v0, s[34:35] offset:1024 scale_offset
.LBB488_9:
	s_wait_xcnt 0x0
	s_or_b32 exec_lo, exec_lo, s4
	v_or_b32_e32 v4, 0x200, v0
	s_delay_alu instid0(VALU_DEP_1)
	v_cmp_gt_u32_e64 s4, s15, v4
	v_mov_b32_e32 v4, v1
	s_and_saveexec_b32 s5, s4
	s_cbranch_execz .LBB488_11
; %bb.10:
	flat_load_b32 v4, v0, s[34:35] offset:2048 scale_offset
.LBB488_11:
	;; [unrolled: 11-line block ×10, first 2 shown]
	s_wait_xcnt 0x0
	s_or_b32 exec_lo, exec_lo, s13
	v_or_b32_e32 v13, 0xb00, v0
	s_delay_alu instid0(VALU_DEP_1) | instskip(SKIP_2) | instid1(SALU_CYCLE_1)
	v_cmp_gt_u32_e64 s13, s15, v13
	v_cmp_le_u32_e64 s14, s15, v13
	s_and_saveexec_b32 s37, s14
	s_xor_b32 s14, exec_lo, s37
	s_delay_alu instid0(SALU_CYCLE_1)
	s_and_not1_saveexec_b32 s14, s14
	s_cbranch_execz .LBB488_29
; %bb.28:
	flat_load_b32 v1, v0, s[34:35] offset:11264 scale_offset
.LBB488_29:
	s_wait_xcnt 0x0
	s_or_b32 exec_lo, exec_lo, s14
	v_lshlrev_b32_e32 v14, 2, v0
	s_mov_b32 s37, exec_lo
	s_wait_loadcnt_dscnt 0x0
	ds_store_2addr_stride64_b32 v14, v2, v3 offset1:4
	ds_store_2addr_stride64_b32 v14, v4, v5 offset0:8 offset1:12
	ds_store_2addr_stride64_b32 v14, v6, v7 offset0:16 offset1:20
	;; [unrolled: 1-line block ×5, first 2 shown]
	v_mov_b32_e32 v1, 0
	s_wait_dscnt 0x0
	s_barrier_signal -1
	s_barrier_wait -1
	flat_load_b32 v38, v1, s[34:35]
	s_wait_xcnt 0x0
	v_mad_u32_u24 v1, v0, 44, v14
	ds_load_b128 v[10:13], v1
	ds_load_b128 v[6:9], v1 offset:16
	ds_load_b128 v[2:5], v1 offset:32
	v_mad_i32_i24 v15, 0xffffffd4, v0, v1
	s_wait_dscnt 0x2
	ds_store_b32 v15, v10 offset:13312
	s_wait_loadcnt_dscnt 0x0
	s_barrier_signal -1
	s_barrier_wait -1
	v_cmpx_ne_u32_e32 0xff, v0
; %bb.30:
	v_mul_i32_i24_e32 v15, 0xffffffd4, v0
	s_delay_alu instid0(VALU_DEP_1)
	v_add_nc_u32_e32 v15, v1, v15
	ds_load_b32 v38, v15 offset:13316
; %bb.31:
	s_or_b32 exec_lo, exec_lo, s37
	s_wait_dscnt 0x0
	s_barrier_signal -1
	s_barrier_wait -1
                                        ; implicit-def: $vgpr15
	s_and_saveexec_b32 s14, vcc_lo
	s_cbranch_execz .LBB488_106
; %bb.32:
	flat_load_b32 v15, v0, s[24:25] scale_offset
	s_wait_xcnt 0x0
	s_or_b32 exec_lo, exec_lo, s14
                                        ; implicit-def: $vgpr16
	s_and_saveexec_b32 s14, s1
	s_cbranch_execnz .LBB488_107
.LBB488_33:
	s_or_b32 exec_lo, exec_lo, s14
                                        ; implicit-def: $vgpr17
	s_and_saveexec_b32 s1, s4
	s_cbranch_execz .LBB488_108
.LBB488_34:
	flat_load_b32 v17, v0, s[24:25] offset:2048 scale_offset
	s_wait_xcnt 0x0
	s_or_b32 exec_lo, exec_lo, s1
                                        ; implicit-def: $vgpr18
	s_and_saveexec_b32 s1, s5
	s_cbranch_execnz .LBB488_109
.LBB488_35:
	s_or_b32 exec_lo, exec_lo, s1
                                        ; implicit-def: $vgpr19
	s_and_saveexec_b32 s1, s6
	s_cbranch_execz .LBB488_110
.LBB488_36:
	flat_load_b32 v19, v0, s[24:25] offset:4096 scale_offset
	s_wait_xcnt 0x0
	s_or_b32 exec_lo, exec_lo, s1
                                        ; implicit-def: $vgpr20
	s_and_saveexec_b32 s1, s7
	s_cbranch_execnz .LBB488_111
.LBB488_37:
	s_or_b32 exec_lo, exec_lo, s1
                                        ; implicit-def: $vgpr21
	s_and_saveexec_b32 s1, s8
	s_cbranch_execz .LBB488_112
.LBB488_38:
	flat_load_b32 v21, v0, s[24:25] offset:6144 scale_offset
	s_wait_xcnt 0x0
	s_or_b32 exec_lo, exec_lo, s1
                                        ; implicit-def: $vgpr22
	s_and_saveexec_b32 s1, s9
	s_cbranch_execnz .LBB488_113
.LBB488_39:
	s_or_b32 exec_lo, exec_lo, s1
                                        ; implicit-def: $vgpr23
	s_and_saveexec_b32 s1, s10
	s_cbranch_execz .LBB488_114
.LBB488_40:
	flat_load_b32 v23, v0, s[24:25] offset:8192 scale_offset
	s_wait_xcnt 0x0
	s_or_b32 exec_lo, exec_lo, s1
                                        ; implicit-def: $vgpr24
	s_and_saveexec_b32 s1, s11
	s_cbranch_execnz .LBB488_115
.LBB488_41:
	s_or_b32 exec_lo, exec_lo, s1
                                        ; implicit-def: $vgpr25
	s_and_saveexec_b32 s1, s12
	s_cbranch_execz .LBB488_43
.LBB488_42:
	flat_load_b32 v25, v0, s[24:25] offset:10240 scale_offset
.LBB488_43:
	s_wait_xcnt 0x0
	s_or_b32 exec_lo, exec_lo, s1
	v_mul_u32_u24_e32 v39, 12, v0
                                        ; implicit-def: $vgpr26
	s_and_saveexec_b32 s1, s13
	s_cbranch_execz .LBB488_45
; %bb.44:
	flat_load_b32 v26, v0, s[24:25] offset:11264 scale_offset
.LBB488_45:
	s_wait_xcnt 0x0
	s_or_b32 exec_lo, exec_lo, s1
	s_wait_loadcnt_dscnt 0x0
	ds_store_2addr_stride64_b32 v14, v15, v16 offset1:4
	ds_store_2addr_stride64_b32 v14, v17, v18 offset0:8 offset1:12
	ds_store_2addr_stride64_b32 v14, v19, v20 offset0:16 offset1:20
	;; [unrolled: 1-line block ×5, first 2 shown]
	v_mov_b64_e32 v[14:15], 0
	v_mov_b64_e32 v[42:43], 0
	;; [unrolled: 1-line block ×21, first 2 shown]
	s_mov_b32 s1, 0
	s_mov_b32 s5, 0
	s_mov_b32 s4, exec_lo
	s_wait_dscnt 0x0
	s_barrier_signal -1
	s_barrier_wait -1
                                        ; implicit-def: $sgpr6
                                        ; implicit-def: $vgpr60
	v_cmpx_gt_u32_e64 s15, v39
	s_cbranch_execz .LBB488_69
; %bb.46:
	ds_load_b32 v14, v1
	v_cmp_eq_u32_e32 vcc_lo, v10, v11
	v_or_b32_e32 v16, 1, v39
	v_mov_b64_e32 v[42:43], 0
	v_mov_b64_e32 v[40:41], 0
	;; [unrolled: 1-line block ×17, first 2 shown]
	s_wait_dscnt 0x0
	v_cndmask_b32_e32 v14, s33, v14, vcc_lo
	v_cmp_ne_u32_e32 vcc_lo, v10, v11
	v_mov_b64_e32 v[20:21], 0
	v_mov_b64_e32 v[18:19], 0
	s_mov_b32 s7, 0
	s_mov_b32 s5, exec_lo
	v_cndmask_b32_e64 v15, 0, 1, vcc_lo
                                        ; implicit-def: $sgpr6
                                        ; implicit-def: $vgpr60
	v_cmpx_gt_u32_e64 s15, v16
	s_cbranch_execz .LBB488_68
; %bb.47:
	ds_load_2addr_b32 v[16:17], v1 offset0:1 offset1:2
	v_cmp_eq_u32_e32 vcc_lo, v11, v12
	v_or_b32_e32 v10, 2, v39
	v_mov_b64_e32 v[40:41], 0
	v_mov_b64_e32 v[44:45], 0
	;; [unrolled: 1-line block ×17, first 2 shown]
	s_wait_dscnt 0x0
	v_cndmask_b32_e32 v42, s33, v16, vcc_lo
	v_cmp_ne_u32_e32 vcc_lo, v11, v12
	s_mov_b32 s8, 0
	s_mov_b32 s7, exec_lo
                                        ; implicit-def: $sgpr6
                                        ; implicit-def: $vgpr60
	v_cndmask_b32_e64 v43, 0, 1, vcc_lo
	v_cmpx_gt_u32_e64 s15, v10
	s_cbranch_execz .LBB488_67
; %bb.48:
	v_cmp_eq_u32_e32 vcc_lo, v12, v13
	v_mov_b64_e32 v[44:45], 0
	v_mov_b64_e32 v[46:47], 0
	;; [unrolled: 1-line block ×4, first 2 shown]
	v_dual_cndmask_b32 v40, s33, v17, vcc_lo :: v_dual_bitop2_b32 v10, 3, v39 bitop3:0x54
	v_cmp_ne_u32_e32 vcc_lo, v12, v13
	v_mov_b64_e32 v[52:53], 0
	v_mov_b64_e32 v[54:55], 0
	;; [unrolled: 1-line block ×11, first 2 shown]
	v_cndmask_b32_e64 v41, 0, 1, vcc_lo
	s_mov_b32 s9, 0
	s_mov_b32 s8, exec_lo
                                        ; implicit-def: $sgpr6
                                        ; implicit-def: $vgpr60
	v_cmpx_gt_u32_e64 s15, v10
	s_cbranch_execz .LBB488_66
; %bb.49:
	ds_load_2addr_b32 v[10:11], v1 offset0:3 offset1:4
	v_cmp_ne_u32_e32 vcc_lo, v13, v6
	v_mov_b64_e32 v[46:47], 0
	v_mov_b64_e32 v[48:49], 0
	;; [unrolled: 1-line block ×4, first 2 shown]
	v_cndmask_b32_e64 v45, 0, 1, vcc_lo
	v_cmp_eq_u32_e32 vcc_lo, v13, v6
	v_mov_b64_e32 v[54:55], 0
	v_mov_b64_e32 v[56:57], 0
	;; [unrolled: 1-line block ×9, first 2 shown]
	v_add_nc_u32_e32 v12, 4, v39
	s_mov_b32 s10, 0
	s_mov_b32 s9, exec_lo
	s_wait_dscnt 0x0
	v_cndmask_b32_e32 v44, s33, v10, vcc_lo
                                        ; implicit-def: $sgpr6
                                        ; implicit-def: $vgpr60
	v_cmpx_gt_u32_e64 s15, v12
	s_cbranch_execz .LBB488_65
; %bb.50:
	v_cmp_eq_u32_e32 vcc_lo, v6, v7
	v_mov_b64_e32 v[48:49], 0
	v_mov_b64_e32 v[50:51], 0
	;; [unrolled: 1-line block ×4, first 2 shown]
	v_cndmask_b32_e32 v46, s33, v11, vcc_lo
	v_cmp_ne_u32_e32 vcc_lo, v6, v7
	v_mov_b64_e32 v[56:57], 0
	v_mov_b64_e32 v[58:59], 0
	;; [unrolled: 1-line block ×7, first 2 shown]
	v_add_nc_u32_e32 v10, 5, v39
	v_cndmask_b32_e64 v47, 0, 1, vcc_lo
	s_mov_b32 s11, 0
	s_mov_b32 s10, exec_lo
                                        ; implicit-def: $sgpr6
                                        ; implicit-def: $vgpr60
	s_delay_alu instid0(VALU_DEP_2)
	v_cmpx_gt_u32_e64 s15, v10
	s_cbranch_execz .LBB488_64
; %bb.51:
	ds_load_2addr_b32 v[10:11], v1 offset0:5 offset1:6
	v_cmp_ne_u32_e32 vcc_lo, v7, v8
	v_mov_b64_e32 v[50:51], 0
	v_mov_b64_e32 v[52:53], 0
	;; [unrolled: 1-line block ×4, first 2 shown]
	v_cndmask_b32_e64 v49, 0, 1, vcc_lo
	v_cmp_eq_u32_e32 vcc_lo, v7, v8
	v_mov_b64_e32 v[58:59], 0
	v_mov_b64_e32 v[24:25], 0
	;; [unrolled: 1-line block ×5, first 2 shown]
	v_add_nc_u32_e32 v6, 6, v39
	s_mov_b32 s12, 0
	s_mov_b32 s11, exec_lo
                                        ; implicit-def: $sgpr6
                                        ; implicit-def: $vgpr60
	s_wait_dscnt 0x0
	v_cndmask_b32_e32 v48, s33, v10, vcc_lo
	v_cmpx_gt_u32_e64 s15, v6
	s_cbranch_execz .LBB488_63
; %bb.52:
	v_cmp_eq_u32_e32 vcc_lo, v8, v9
	v_mov_b64_e32 v[52:53], 0
	v_mov_b64_e32 v[54:55], 0
	;; [unrolled: 1-line block ×4, first 2 shown]
	v_cndmask_b32_e32 v50, s33, v11, vcc_lo
	v_cmp_ne_u32_e32 vcc_lo, v8, v9
	v_mov_b64_e32 v[22:23], 0
	v_mov_b64_e32 v[20:21], 0
	;; [unrolled: 1-line block ×3, first 2 shown]
	v_add_nc_u32_e32 v6, 7, v39
	v_cndmask_b32_e64 v51, 0, 1, vcc_lo
	s_mov_b32 s13, 0
	s_mov_b32 s12, exec_lo
                                        ; implicit-def: $sgpr6
                                        ; implicit-def: $vgpr60
	s_delay_alu instid0(VALU_DEP_2)
	v_cmpx_gt_u32_e64 s15, v6
	s_cbranch_execz .LBB488_62
; %bb.53:
	ds_load_2addr_b32 v[6:7], v1 offset0:7 offset1:8
	v_cmp_ne_u32_e32 vcc_lo, v9, v2
	v_mov_b64_e32 v[54:55], 0
	v_mov_b64_e32 v[56:57], 0
	;; [unrolled: 1-line block ×4, first 2 shown]
	v_cndmask_b32_e64 v53, 0, 1, vcc_lo
	v_cmp_eq_u32_e32 vcc_lo, v9, v2
	v_mov_b64_e32 v[18:19], 0
	v_add_nc_u32_e32 v8, 8, v39
	s_mov_b32 s14, 0
	s_mov_b32 s13, exec_lo
                                        ; implicit-def: $sgpr6
                                        ; implicit-def: $vgpr60
	s_wait_dscnt 0x0
	v_cndmask_b32_e32 v52, s33, v6, vcc_lo
	v_cmpx_gt_u32_e64 s15, v8
	s_cbranch_execz .LBB488_61
; %bb.54:
	v_cmp_eq_u32_e32 vcc_lo, v2, v3
	v_mov_b64_e32 v[56:57], 0
	v_mov_b64_e32 v[58:59], 0
	;; [unrolled: 1-line block ×3, first 2 shown]
	v_add_nc_u32_e32 v6, 9, v39
	v_cndmask_b32_e32 v54, s33, v7, vcc_lo
	v_cmp_ne_u32_e32 vcc_lo, v2, v3
	s_mov_b32 s37, 0
	s_mov_b32 s14, exec_lo
                                        ; implicit-def: $sgpr6
                                        ; implicit-def: $vgpr60
	v_cndmask_b32_e64 v55, 0, 1, vcc_lo
	v_cmpx_gt_u32_e64 s15, v6
	s_cbranch_execz .LBB488_60
; %bb.55:
	ds_load_2addr_b32 v[6:7], v1 offset0:9 offset1:10
	v_cmp_ne_u32_e32 vcc_lo, v3, v4
	v_mov_b64_e32 v[58:59], 0
	s_mov_b32 s38, 0
	s_mov_b32 s37, exec_lo
                                        ; implicit-def: $sgpr6
                                        ; implicit-def: $vgpr60
	v_cndmask_b32_e64 v57, 0, 1, vcc_lo
	v_cmp_eq_u32_e32 vcc_lo, v3, v4
	s_wait_dscnt 0x0
	v_dual_add_nc_u32 v2, 10, v39 :: v_dual_cndmask_b32 v56, s33, v6, vcc_lo
	s_delay_alu instid0(VALU_DEP_1)
	v_cmpx_gt_u32_e64 s15, v2
	s_cbranch_execz .LBB488_59
; %bb.56:
	v_cmp_eq_u32_e32 vcc_lo, v4, v5
	v_add_nc_u32_e32 v2, 11, v39
                                        ; implicit-def: $sgpr6
                                        ; implicit-def: $vgpr60
	v_cndmask_b32_e32 v58, s33, v7, vcc_lo
	v_cmp_ne_u32_e32 vcc_lo, v4, v5
	v_cndmask_b32_e64 v59, 0, 1, vcc_lo
	s_delay_alu instid0(VALU_DEP_4) | instskip(SKIP_2) | instid1(SALU_CYCLE_1)
	v_cmp_gt_u32_e32 vcc_lo, s15, v2
	s_mov_b32 s15, 0
	s_and_saveexec_b32 s38, vcc_lo
	s_xor_b32 s38, exec_lo, s38
	s_cbranch_execz .LBB488_58
; %bb.57:
	ds_load_b32 v1, v1 offset:44
	v_cmp_ne_u32_e64 s6, v5, v38
	s_mov_b32 s15, exec_lo
	s_wait_dscnt 0x0
	v_cndmask_b32_e64 v60, v1, s33, s6
.LBB488_58:
	s_or_b32 exec_lo, exec_lo, s38
	s_delay_alu instid0(SALU_CYCLE_1)
	s_and_b32 s38, s15, exec_lo
.LBB488_59:
	s_or_b32 exec_lo, exec_lo, s37
	v_mov_b64_e32 v[18:19], v[58:59]
	s_and_b32 s37, s38, exec_lo
.LBB488_60:
	s_or_b32 exec_lo, exec_lo, s14
	v_mov_b64_e32 v[20:21], v[56:57]
	s_and_b32 s14, s37, exec_lo
.LBB488_61:
	s_or_b32 exec_lo, exec_lo, s13
	v_mov_b64_e32 v[22:23], v[54:55]
	s_and_b32 s13, s14, exec_lo
.LBB488_62:
	s_or_b32 exec_lo, exec_lo, s12
	v_mov_b64_e32 v[24:25], v[52:53]
	s_and_b32 s12, s13, exec_lo
.LBB488_63:
	s_or_b32 exec_lo, exec_lo, s11
	v_mov_b64_e32 v[26:27], v[50:51]
	s_and_b32 s11, s12, exec_lo
.LBB488_64:
	s_or_b32 exec_lo, exec_lo, s10
	v_mov_b64_e32 v[28:29], v[48:49]
	s_and_b32 s10, s11, exec_lo
.LBB488_65:
	s_or_b32 exec_lo, exec_lo, s9
	v_mov_b64_e32 v[30:31], v[46:47]
	s_and_b32 s9, s10, exec_lo
.LBB488_66:
	s_or_b32 exec_lo, exec_lo, s8
	v_mov_b64_e32 v[32:33], v[44:45]
	s_and_b32 s8, s9, exec_lo
.LBB488_67:
	s_or_b32 exec_lo, exec_lo, s7
	v_mov_b64_e32 v[34:35], v[40:41]
	s_and_b32 s7, s8, exec_lo
.LBB488_68:
	s_or_b32 exec_lo, exec_lo, s5
	v_mov_b64_e32 v[36:37], v[42:43]
	s_and_b32 s5, s7, exec_lo
.LBB488_69:
	s_or_b32 exec_lo, exec_lo, s4
	v_lshlrev_b32_e32 v16, 2, v0
	s_and_b32 vcc_lo, exec_lo, s1
	s_cbranch_vccnz .LBB488_71
	s_branch .LBB488_76
.LBB488_70:
                                        ; implicit-def: $sgpr6
                                        ; implicit-def: $vgpr60
                                        ; implicit-def: $vgpr14_vgpr15
                                        ; implicit-def: $vgpr42_vgpr43
                                        ; implicit-def: $vgpr40_vgpr41
                                        ; implicit-def: $vgpr44_vgpr45
                                        ; implicit-def: $vgpr46_vgpr47
                                        ; implicit-def: $vgpr48_vgpr49
                                        ; implicit-def: $vgpr50_vgpr51
                                        ; implicit-def: $vgpr52_vgpr53
                                        ; implicit-def: $vgpr54_vgpr55
                                        ; implicit-def: $vgpr56_vgpr57
                                        ; implicit-def: $vgpr58_vgpr59
                                        ; implicit-def: $vgpr36_vgpr37
                                        ; implicit-def: $vgpr34_vgpr35
                                        ; implicit-def: $vgpr32_vgpr33
                                        ; implicit-def: $vgpr30_vgpr31
                                        ; implicit-def: $vgpr28_vgpr29
                                        ; implicit-def: $vgpr26_vgpr27
                                        ; implicit-def: $vgpr24_vgpr25
                                        ; implicit-def: $vgpr22_vgpr23
                                        ; implicit-def: $vgpr20_vgpr21
                                        ; implicit-def: $vgpr18_vgpr19
	v_lshlrev_b32_e32 v16, 2, v0
	s_cbranch_execz .LBB488_76
.LBB488_71:
	s_clause 0xb
	flat_load_b32 v1, v0, s[34:35] scale_offset
	flat_load_b32 v2, v0, s[34:35] offset:1024 scale_offset
	flat_load_b32 v3, v0, s[34:35] offset:2048 scale_offset
	;; [unrolled: 1-line block ×11, first 2 shown]
	v_mov_b32_e32 v13, 0
	v_mad_u32_u24 v28, v0, 44, v16
	s_mov_b32 s1, exec_lo
	s_wait_loadcnt_dscnt 0xa0a
	ds_store_2addr_stride64_b32 v16, v1, v2 offset1:4
	s_wait_loadcnt_dscnt 0x809
	ds_store_2addr_stride64_b32 v16, v3, v4 offset0:8 offset1:12
	s_wait_loadcnt_dscnt 0x608
	ds_store_2addr_stride64_b32 v16, v5, v6 offset0:16 offset1:20
	;; [unrolled: 2-line block ×5, first 2 shown]
	s_wait_dscnt 0x0
	s_barrier_signal -1
	s_barrier_wait -1
	flat_load_b32 v1, v13, s[34:35] offset:12288
	s_wait_xcnt 0x0
	ds_load_b128 v[10:13], v28
	ds_load_b128 v[6:9], v28 offset:16
	ds_load_b128 v[2:5], v28 offset:32
	v_mad_i32_i24 v14, 0xffffffd4, v0, v28
	s_wait_dscnt 0x2
	ds_store_b32 v14, v10 offset:13312
	s_wait_loadcnt_dscnt 0x0
	s_barrier_signal -1
	s_barrier_wait -1
	v_cmpx_ne_u32_e32 0xff, v0
; %bb.72:
	v_mul_i32_i24_e32 v1, 0xffffffd4, v0
	s_delay_alu instid0(VALU_DEP_1)
	v_add_nc_u32_e32 v1, v28, v1
	ds_load_b32 v1, v1 offset:13316
; %bb.73:
	s_or_b32 exec_lo, exec_lo, s1
	s_wait_dscnt 0x0
	s_barrier_signal -1
	s_barrier_wait -1
	s_clause 0xb
	flat_load_b32 v14, v0, s[24:25] scale_offset
	flat_load_b32 v15, v0, s[24:25] offset:1024 scale_offset
	flat_load_b32 v17, v0, s[24:25] offset:2048 scale_offset
	;; [unrolled: 1-line block ×11, first 2 shown]
	v_cmp_eq_u32_e32 vcc_lo, v10, v11
	v_mov_b32_e32 v10, s33
	s_wait_loadcnt_dscnt 0xa0a
	ds_store_2addr_stride64_b32 v16, v14, v15 offset1:4
	s_wait_loadcnt_dscnt 0x809
	ds_store_2addr_stride64_b32 v16, v17, v18 offset0:8 offset1:12
	s_wait_loadcnt_dscnt 0x608
	ds_store_2addr_stride64_b32 v16, v19, v20 offset0:16 offset1:20
	;; [unrolled: 2-line block ×5, first 2 shown]
	s_wait_dscnt 0x0
	s_barrier_signal -1
	s_barrier_wait -1
	ds_load_2addr_b32 v[26:27], v28 offset0:1 offset1:2
	ds_load_2addr_b32 v[24:25], v28 offset0:3 offset1:4
	;; [unrolled: 1-line block ×5, first 2 shown]
	ds_load_b32 v17, v28 offset:44
	v_mov_b64_e32 v[14:15], 0x100000000
	s_and_saveexec_b32 s1, vcc_lo
; %bb.74:
	ds_load_b32 v10, v28
	v_mov_b64_e32 v[14:15], 0
; %bb.75:
	s_or_b32 exec_lo, exec_lo, s1
	v_cmp_eq_u32_e32 vcc_lo, v11, v12
	v_cmp_ne_u32_e64 s6, v5, v1
	s_mov_b32 s5, -1
	s_wait_dscnt 0x5
	v_cndmask_b32_e32 v42, s33, v26, vcc_lo
	v_cmp_ne_u32_e32 vcc_lo, v11, v12
	s_wait_dscnt 0x0
	v_cndmask_b32_e64 v60, v17, s33, s6
	v_cndmask_b32_e64 v43, 0, 1, vcc_lo
	v_cmp_eq_u32_e32 vcc_lo, v12, v13
	v_or_b32_e32 v14, v14, v10
	s_delay_alu instid0(VALU_DEP_3) | instskip(SKIP_4) | instid1(VALU_DEP_2)
	v_mov_b64_e32 v[36:37], v[42:43]
	v_cndmask_b32_e32 v40, s33, v27, vcc_lo
	v_cmp_ne_u32_e32 vcc_lo, v12, v13
	v_cndmask_b32_e64 v41, 0, 1, vcc_lo
	v_cmp_eq_u32_e32 vcc_lo, v13, v6
	v_mov_b64_e32 v[34:35], v[40:41]
	v_cndmask_b32_e32 v44, s33, v24, vcc_lo
	v_cmp_ne_u32_e32 vcc_lo, v13, v6
	v_cndmask_b32_e64 v45, 0, 1, vcc_lo
	v_cmp_eq_u32_e32 vcc_lo, v6, v7
	s_delay_alu instid0(VALU_DEP_2) | instskip(SKIP_4) | instid1(VALU_DEP_2)
	v_mov_b64_e32 v[32:33], v[44:45]
	v_cndmask_b32_e32 v46, s33, v25, vcc_lo
	v_cmp_ne_u32_e32 vcc_lo, v6, v7
	v_cndmask_b32_e64 v47, 0, 1, vcc_lo
	v_cmp_eq_u32_e32 vcc_lo, v7, v8
	v_mov_b64_e32 v[30:31], v[46:47]
	v_cndmask_b32_e32 v48, s33, v22, vcc_lo
	v_cmp_ne_u32_e32 vcc_lo, v7, v8
	v_cndmask_b32_e64 v49, 0, 1, vcc_lo
	v_cmp_eq_u32_e32 vcc_lo, v8, v9
	s_delay_alu instid0(VALU_DEP_2) | instskip(SKIP_4) | instid1(VALU_DEP_2)
	;; [unrolled: 11-line block ×3, first 2 shown]
	v_mov_b64_e32 v[24:25], v[52:53]
	v_cndmask_b32_e32 v54, s33, v21, vcc_lo
	v_cmp_ne_u32_e32 vcc_lo, v2, v3
	v_cndmask_b32_e64 v55, 0, 1, vcc_lo
	v_cmp_eq_u32_e32 vcc_lo, v3, v4
	v_mov_b64_e32 v[22:23], v[54:55]
	v_cndmask_b32_e32 v56, s33, v18, vcc_lo
	v_cmp_ne_u32_e32 vcc_lo, v3, v4
	v_cndmask_b32_e64 v57, 0, 1, vcc_lo
	v_cmp_eq_u32_e32 vcc_lo, v4, v5
	s_delay_alu instid0(VALU_DEP_2) | instskip(SKIP_3) | instid1(VALU_DEP_1)
	v_mov_b64_e32 v[20:21], v[56:57]
	v_cndmask_b32_e32 v58, s33, v19, vcc_lo
	v_cmp_ne_u32_e32 vcc_lo, v4, v5
	v_cndmask_b32_e64 v59, 0, 1, vcc_lo
	v_mov_b64_e32 v[18:19], v[58:59]
.LBB488_76:
	v_mov_b64_e32 v[38:39], 0
	s_and_saveexec_b32 s1, s5
	s_cbranch_execz .LBB488_78
; %bb.77:
	v_cndmask_b32_e64 v61, 0, 1, s6
	v_mov_b64_e32 v[18:19], v[58:59]
	v_mov_b64_e32 v[20:21], v[56:57]
	;; [unrolled: 1-line block ×11, first 2 shown]
.LBB488_78:
	s_or_b32 exec_lo, exec_lo, s1
	v_dual_lshrrev_b32 v1, 2, v0 :: v_dual_bitop2_b32 v40, v25, v23 bitop3:0x54
	s_delay_alu instid0(VALU_DEP_3)
	v_or_b32_e32 v17, v21, v19
	s_cmp_lg_u32 s36, 0
	v_cmp_gt_u32_e32 vcc_lo, 32, v0
	s_barrier_signal -1
	s_barrier_wait -1
	s_cbranch_scc0 .LBB488_116
; %bb.79:
	s_mov_b64 s[14:15], 0x100000000
	v_or3_b32 v3, v40, v27, v29
	v_cmp_gt_u64_e64 s1, s[14:15], v[36:37]
	v_cmp_gt_u64_e64 s4, s[14:15], v[34:35]
	v_cmp_gt_u64_e64 s13, s[14:15], v[38:39]
	v_cmp_gt_u64_e64 s5, s[14:15], v[32:33]
	v_cmp_gt_u64_e64 s6, s[14:15], v[30:31]
	v_cmp_gt_u64_e64 s7, s[14:15], v[28:29]
	v_cmp_gt_u64_e64 s8, s[14:15], v[26:27]
	v_dual_cndmask_b32 v2, 0, v14, s1 :: v_dual_bitop2_b32 v5, 56, v1 bitop3:0x40
	v_cmp_gt_u64_e64 s9, s[14:15], v[24:25]
	v_cmp_gt_u64_e64 s10, s[14:15], v[22:23]
	;; [unrolled: 1-line block ×3, first 2 shown]
	s_delay_alu instid0(VALU_DEP_4) | instskip(SKIP_3) | instid1(VALU_DEP_4)
	v_add_nc_u32_e32 v2, v2, v36
	v_or3_b32 v3, v3, v31, v33
	v_cmp_gt_u64_e64 s12, s[14:15], v[18:19]
	v_lshl_add_u32 v5, v0, 3, v5
	v_cndmask_b32_e64 v2, 0, v2, s4
	s_delay_alu instid0(VALU_DEP_4) | instskip(NEXT) | instid1(VALU_DEP_2)
	v_or3_b32 v3, v3, v35, v37
	v_add_nc_u32_e32 v2, v2, v34
	s_delay_alu instid0(VALU_DEP_2) | instskip(NEXT) | instid1(VALU_DEP_2)
	v_or3_b32 v3, v39, v17, v3
	v_cndmask_b32_e64 v2, 0, v2, s5
	s_delay_alu instid0(VALU_DEP_2) | instskip(NEXT) | instid1(VALU_DEP_2)
	v_and_b32_e32 v3, 0xff, v3
	v_add_nc_u32_e32 v2, v2, v32
	s_delay_alu instid0(VALU_DEP_1) | instskip(NEXT) | instid1(VALU_DEP_1)
	v_cndmask_b32_e64 v2, 0, v2, s6
	v_add_nc_u32_e32 v2, v2, v30
	s_delay_alu instid0(VALU_DEP_1) | instskip(NEXT) | instid1(VALU_DEP_1)
	v_cndmask_b32_e64 v2, 0, v2, s7
	;; [unrolled: 3-line block ×7, first 2 shown]
	v_dual_add_nc_u32 v4, v2, v18 :: v_dual_mov_b32 v2, 0
	s_delay_alu instid0(VALU_DEP_1) | instskip(NEXT) | instid1(VALU_DEP_2)
	v_cndmask_b32_e64 v4, 0, v4, s13
	v_cmp_eq_u64_e64 s13, 0, v[2:3]
	s_delay_alu instid0(VALU_DEP_1)
	v_dual_add_nc_u32 v12, v4, v38 :: v_dual_cndmask_b32 v13, 1, v15, s13
	ds_store_b32 v5, v12
	ds_store_b8 v5, v13 offset:4
	s_wait_dscnt 0x0
	s_barrier_signal -1
	s_barrier_wait -1
	s_and_saveexec_b32 s14, vcc_lo
	s_cbranch_execz .LBB488_89
; %bb.80:
	v_dual_lshlrev_b32 v2, 1, v0 :: v_dual_lshlrev_b32 v3, 6, v0
	s_mov_b32 s15, exec_lo
	s_delay_alu instid0(VALU_DEP_1) | instskip(NEXT) | instid1(VALU_DEP_1)
	v_and_b32_e32 v2, 0x1f8, v2
	v_add_nc_u32_e32 v4, v2, v3
	ds_load_u8 v5, v4 offset:12
	ds_load_b64 v[2:3], v4
	ds_load_2addr_b32 v[6:7], v4 offset0:2 offset1:4
	ds_load_u8 v10, v4 offset:20
	ds_load_u8 v11, v4 offset:28
	;; [unrolled: 1-line block ×5, first 2 shown]
	ds_load_b32 v44, v4 offset:56
	s_wait_dscnt 0x8
	v_cmp_eq_u16_e64 s13, 0, v5
	s_wait_dscnt 0x5
	s_delay_alu instid0(VALU_DEP_1)
	v_dual_cndmask_b32 v45, 0, v2, s13 :: v_dual_bitop2_b32 v5, v10, v5 bitop3:0x54
	ds_load_2addr_b32 v[8:9], v4 offset0:6 offset1:8
	v_cmp_eq_u16_e64 s13, 0, v10
	s_wait_dscnt 0x4
	v_bitop3_b16 v5, v5, v41, v11 bitop3:0xfe
	v_add_nc_u32_e32 v6, v45, v6
	s_delay_alu instid0(VALU_DEP_1) | instskip(SKIP_1) | instid1(VALU_DEP_2)
	v_cndmask_b32_e64 v6, 0, v6, s13
	v_cmp_eq_u16_e64 s13, 0, v11
	v_add_nc_u32_e32 v6, v6, v7
	s_delay_alu instid0(VALU_DEP_1)
	v_cndmask_b32_e64 v45, 0, v6, s13
	ds_load_2addr_b32 v[6:7], v4 offset0:10 offset1:12
	v_cmp_eq_u16_e64 s13, 0, v41
	s_wait_dscnt 0x1
	v_add_nc_u32_e32 v8, v45, v8
	ds_load_u8 v45, v4 offset:60
	v_cndmask_b32_e64 v8, 0, v8, s13
	v_cmp_eq_u16_e64 s13, 0, v42
	s_delay_alu instid0(VALU_DEP_2) | instskip(SKIP_1) | instid1(VALU_DEP_2)
	v_add_nc_u32_e32 v8, v8, v9
	v_bitop3_b16 v9, v5, v43, v42 bitop3:0xfe
	v_dual_cndmask_b32 v8, 0, v8, s13 :: v_dual_bitop2_b32 v5, 1, v3 bitop3:0x40
	s_delay_alu instid0(VALU_DEP_2) | instskip(SKIP_1) | instid1(VALU_DEP_2)
	v_cmp_eq_u16_e64 s13, 0, v9
	s_wait_dscnt 0x0
	v_dual_add_nc_u32 v6, v8, v6 :: v_dual_bitop2_b32 v8, 1, v45 bitop3:0x40
	s_delay_alu instid0(VALU_DEP_2) | instskip(SKIP_1) | instid1(VALU_DEP_1)
	v_cndmask_b32_e64 v9, 1, v5, s13
	v_cmp_eq_u16_e64 s13, 0, v43
	v_cndmask_b32_e64 v6, 0, v6, s13
	s_delay_alu instid0(VALU_DEP_4) | instskip(SKIP_1) | instid1(VALU_DEP_2)
	v_cmp_eq_u32_e64 s13, 1, v8
	v_mbcnt_lo_u32_b32 v8, -1, 0
	v_cndmask_b32_e64 v9, v9, 1, s13
	v_cmp_eq_u16_e64 s13, 0, v45
	s_delay_alu instid0(VALU_DEP_2) | instskip(SKIP_2) | instid1(VALU_DEP_1)
	v_and_b32_e32 v10, 0xffff, v9
	v_add_nc_u32_e32 v7, v6, v7
	v_and_b32_e32 v6, 0xffffff00, v3
	v_dual_cndmask_b32 v7, 0, v7, s13 :: v_dual_bitop2_b32 v11, v6, v10 bitop3:0x54
	v_and_b32_e32 v10, 15, v8
	s_delay_alu instid0(VALU_DEP_2) | instskip(NEXT) | instid1(VALU_DEP_3)
	v_mov_b32_dpp v42, v11 row_shr:1 row_mask:0xf bank_mask:0xf
	v_add_nc_u32_e32 v7, v7, v44
	s_delay_alu instid0(VALU_DEP_1) | instskip(NEXT) | instid1(VALU_DEP_4)
	v_mov_b32_dpp v41, v7 row_shr:1 row_mask:0xf bank_mask:0xf
	v_cmpx_ne_u32_e32 0, v10
	s_cbranch_execz .LBB488_82
; %bb.81:
	v_and_b32_e32 v11, 1, v9
	v_and_b32_e32 v42, 1, v42
	s_delay_alu instid0(VALU_DEP_2) | instskip(NEXT) | instid1(VALU_DEP_1)
	v_cmp_eq_u32_e64 s13, 1, v11
	v_cndmask_b32_e64 v42, v42, 1, s13
	v_cmp_eq_u16_e64 s13, 0, v9
	s_delay_alu instid0(VALU_DEP_2) | instskip(NEXT) | instid1(VALU_DEP_1)
	v_and_b32_e32 v11, 0xffff, v42
	v_dual_cndmask_b32 v9, 0, v41, s13 :: v_dual_bitop2_b32 v11, v6, v11 bitop3:0x54
	s_delay_alu instid0(VALU_DEP_1)
	v_dual_add_nc_u32 v7, v9, v7 :: v_dual_mov_b32 v9, v42
.LBB488_82:
	s_or_b32 exec_lo, exec_lo, s15
	s_delay_alu instid0(VALU_DEP_1) | instskip(NEXT) | instid1(VALU_DEP_3)
	v_mov_b32_dpp v41, v7 row_shr:2 row_mask:0xf bank_mask:0xf
	v_mov_b32_dpp v42, v11 row_shr:2 row_mask:0xf bank_mask:0xf
	s_mov_b32 s15, exec_lo
	v_cmpx_lt_u32_e32 1, v10
	s_cbranch_execz .LBB488_84
; %bb.83:
	v_and_b32_e32 v11, 1, v9
	v_and_b32_e32 v42, 1, v42
	s_delay_alu instid0(VALU_DEP_2) | instskip(NEXT) | instid1(VALU_DEP_1)
	v_cmp_eq_u32_e64 s13, 1, v11
	v_cndmask_b32_e64 v42, v42, 1, s13
	v_cmp_eq_u16_e64 s13, 0, v9
	s_delay_alu instid0(VALU_DEP_2) | instskip(NEXT) | instid1(VALU_DEP_1)
	v_and_b32_e32 v11, 0xffff, v42
	v_dual_cndmask_b32 v9, 0, v41, s13 :: v_dual_bitop2_b32 v11, v6, v11 bitop3:0x54
	s_delay_alu instid0(VALU_DEP_1)
	v_dual_add_nc_u32 v7, v9, v7 :: v_dual_mov_b32 v9, v42
.LBB488_84:
	s_or_b32 exec_lo, exec_lo, s15
	s_delay_alu instid0(VALU_DEP_1) | instskip(NEXT) | instid1(VALU_DEP_3)
	v_mov_b32_dpp v41, v7 row_shr:4 row_mask:0xf bank_mask:0xf
	v_mov_b32_dpp v42, v11 row_shr:4 row_mask:0xf bank_mask:0xf
	s_mov_b32 s15, exec_lo
	v_cmpx_lt_u32_e32 3, v10
	;; [unrolled: 20-line block ×3, first 2 shown]
	s_cbranch_execz .LBB488_88
; %bb.87:
	v_and_b32_e32 v10, 1, v9
	v_and_b32_e32 v11, 1, v42
	s_delay_alu instid0(VALU_DEP_2) | instskip(NEXT) | instid1(VALU_DEP_1)
	v_cmp_eq_u32_e64 s13, 1, v10
	v_cndmask_b32_e64 v10, v11, 1, s13
	v_cmp_eq_u16_e64 s13, 0, v9
	s_delay_alu instid0(VALU_DEP_2) | instskip(NEXT) | instid1(VALU_DEP_1)
	v_and_b32_e32 v11, 0xffff, v10
	v_dual_cndmask_b32 v9, 0, v41, s13 :: v_dual_bitop2_b32 v11, v6, v11 bitop3:0x54
	s_delay_alu instid0(VALU_DEP_1)
	v_dual_add_nc_u32 v7, v9, v7 :: v_dual_mov_b32 v9, v10
.LBB488_88:
	s_or_b32 exec_lo, exec_lo, s15
	ds_swizzle_b32 v10, v11 offset:swizzle(BROADCAST,32,15)
	ds_swizzle_b32 v11, v7 offset:swizzle(BROADCAST,32,15)
	v_and_b32_e32 v41, 1, v9
	v_bfe_i32 v43, v8, 4, 1
	v_and_b32_e32 v3, 0xff, v3
	; wave barrier
	s_delay_alu instid0(VALU_DEP_3) | instskip(SKIP_2) | instid1(VALU_DEP_1)
	v_cmp_eq_u32_e64 s13, 1, v41
	s_wait_dscnt 0x1
	v_dual_add_nc_u32 v41, -1, v8 :: v_dual_bitop2_b32 v10, 1, v10 bitop3:0x40
	v_cndmask_b32_e64 v10, v10, 1, s13
	v_and_b32_e32 v42, 16, v8
	v_cmp_eq_u16_e64 s13, 0, v9
	s_wait_dscnt 0x0
	s_delay_alu instid0(VALU_DEP_1) | instskip(NEXT) | instid1(VALU_DEP_3)
	v_cndmask_b32_e64 v11, 0, v11, s13
	v_cmp_eq_u32_e64 s13, 0, v42
	s_delay_alu instid0(VALU_DEP_1) | instskip(SKIP_1) | instid1(VALU_DEP_4)
	v_cndmask_b32_e64 v9, v10, v9, s13
	v_cmp_gt_i32_e64 s13, 0, v41
	v_and_b32_e32 v10, v43, v11
	s_delay_alu instid0(VALU_DEP_3) | instskip(NEXT) | instid1(VALU_DEP_2)
	v_and_b32_e32 v9, 0xffff, v9
	v_dual_cndmask_b32 v8, v41, v8, s13 :: v_dual_add_nc_u32 v7, v10, v7
	v_cmp_eq_u16_e64 s13, 0, v3
	s_delay_alu instid0(VALU_DEP_2)
	v_lshlrev_b32_e32 v8, 2, v8
	ds_bpermute_b32 v7, v8, v7
	s_wait_dscnt 0x0
	v_dual_cndmask_b32 v3, 0, v7, s13 :: v_dual_bitop2_b32 v6, v6, v9 bitop3:0x54
	ds_bpermute_b32 v6, v8, v6
	v_cmp_eq_u32_e64 s13, 1, v5
	v_add_nc_u32_e32 v2, v3, v2
	s_wait_dscnt 0x0
	s_delay_alu instid0(VALU_DEP_1) | instskip(NEXT) | instid1(VALU_DEP_1)
	v_dual_cndmask_b32 v5, v2, v12, s2 :: v_dual_bitop2_b32 v6, 1, v6 bitop3:0x40
	v_cndmask_b32_e64 v3, v6, 1, s13
	s_delay_alu instid0(VALU_DEP_1)
	v_cndmask_b32_e64 v8, v3, v13, s2
	ds_store_b32 v4, v5
	ds_store_b8 v4, v8 offset:4
	; wave barrier
	ds_load_u8 v9, v4 offset:12
	ds_load_2addr_b32 v[2:3], v4 offset0:2 offset1:4
	ds_load_u8 v10, v4 offset:20
	ds_load_u8 v11, v4 offset:28
	;; [unrolled: 1-line block ×5, first 2 shown]
	ds_load_b32 v44, v4 offset:56
	ds_load_u8 v45, v4 offset:60
	ds_load_2addr_b32 v[6:7], v4 offset0:6 offset1:8
	s_wait_dscnt 0x9
	v_cmp_eq_u16_e64 s13, 0, v9
	v_and_b32_e32 v9, 1, v9
	s_delay_alu instid0(VALU_DEP_2) | instskip(SKIP_2) | instid1(VALU_DEP_2)
	v_cndmask_b32_e64 v5, 0, v5, s13
	s_wait_dscnt 0x7
	v_cmp_eq_u16_e64 s13, 0, v10
	v_add_nc_u32_e32 v5, v5, v2
	s_delay_alu instid0(VALU_DEP_1) | instskip(SKIP_2) | instid1(VALU_DEP_2)
	v_cndmask_b32_e64 v2, 0, v5, s13
	s_wait_dscnt 0x6
	v_cmp_eq_u16_e64 s13, 0, v11
	v_add_nc_u32_e32 v46, v2, v3
	ds_load_2addr_b32 v[2:3], v4 offset0:10 offset1:12
	v_cndmask_b32_e64 v47, 0, v46, s13
	s_wait_dscnt 0x6
	v_cmp_eq_u16_e64 s13, 0, v41
	ds_store_2addr_b32 v4, v5, v46 offset0:2 offset1:4
	s_wait_dscnt 0x2
	v_add_nc_u32_e32 v6, v47, v6
	s_delay_alu instid0(VALU_DEP_1) | instskip(SKIP_3) | instid1(VALU_DEP_4)
	v_cndmask_b32_e64 v47, 0, v6, s13
	v_cmp_eq_u32_e64 s13, 1, v9
	v_and_b32_e32 v9, 1, v11
	v_and_b32_e32 v11, 1, v41
	v_dual_add_nc_u32 v7, v47, v7 :: v_dual_bitop2_b32 v10, 1, v10 bitop3:0x40
	s_delay_alu instid0(VALU_DEP_4) | instskip(SKIP_1) | instid1(VALU_DEP_3)
	v_cndmask_b32_e64 v8, v8, 1, s13
	v_and_b32_e32 v47, 1, v45
	v_cmp_eq_u32_e64 s13, 1, v10
	s_delay_alu instid0(VALU_DEP_1) | instskip(SKIP_1) | instid1(VALU_DEP_1)
	v_cndmask_b32_e64 v10, v8, 1, s13
	v_cmp_eq_u16_e64 s13, 0, v42
	v_dual_cndmask_b32 v41, 0, v7, s13 :: v_dual_bitop2_b32 v42, 1, v42 bitop3:0x40
	v_cmp_eq_u32_e64 s13, 1, v9
	s_wait_dscnt 0x1
	s_delay_alu instid0(VALU_DEP_2) | instskip(NEXT) | instid1(VALU_DEP_2)
	v_dual_add_nc_u32 v2, v41, v2 :: v_dual_bitop2_b32 v41, 1, v43 bitop3:0x40
	v_cndmask_b32_e64 v9, v10, 1, s13
	v_cmp_eq_u32_e64 s13, 1, v11
	s_delay_alu instid0(VALU_DEP_1) | instskip(SKIP_1) | instid1(VALU_DEP_1)
	v_cndmask_b32_e64 v11, v9, 1, s13
	v_cmp_eq_u16_e64 s13, 0, v43
	v_cndmask_b32_e64 v43, 0, v2, s13
	v_cmp_eq_u32_e64 s13, 1, v42
	s_delay_alu instid0(VALU_DEP_2) | instskip(NEXT) | instid1(VALU_DEP_2)
	v_add_nc_u32_e32 v3, v43, v3
	v_cndmask_b32_e64 v42, v11, 1, s13
	v_cmp_eq_u32_e64 s13, 1, v41
	ds_store_2addr_b32 v4, v6, v7 offset0:6 offset1:8
	ds_store_2addr_b32 v4, v2, v3 offset0:10 offset1:12
	v_cndmask_b32_e64 v41, v42, 1, s13
	v_cmp_eq_u16_e64 s13, 0, v45
	s_delay_alu instid0(VALU_DEP_1) | instskip(SKIP_1) | instid1(VALU_DEP_2)
	v_cndmask_b32_e64 v5, 0, v3, s13
	v_cmp_eq_u32_e64 s13, 1, v47
	v_add_nc_u32_e32 v2, v5, v44
	s_delay_alu instid0(VALU_DEP_2)
	v_cndmask_b32_e64 v43, v41, 1, s13
	ds_store_b8 v4, v8 offset:12
	ds_store_b8 v4, v10 offset:20
	;; [unrolled: 1-line block ×6, first 2 shown]
	ds_store_b32 v4, v2 offset:56
	ds_store_b8 v4, v43 offset:60
.LBB488_89:
	s_or_b32 exec_lo, exec_lo, s14
	s_wait_dscnt 0x0
	s_barrier_signal -1
	s_barrier_wait -1
	s_and_saveexec_b32 s13, s3
	s_cbranch_execz .LBB488_91
; %bb.90:
	v_add_nc_u32_e32 v2, -1, v0
	s_delay_alu instid0(VALU_DEP_1) | instskip(NEXT) | instid1(VALU_DEP_1)
	v_lshrrev_b32_e32 v3, 2, v2
	v_and_b32_e32 v3, 0x3ffffff8, v3
	s_delay_alu instid0(VALU_DEP_1)
	v_lshl_add_u32 v2, v2, 3, v3
	ds_load_b32 v12, v2
	ds_load_u8 v13, v2 offset:4
.LBB488_91:
	s_or_b32 exec_lo, exec_lo, s13
	s_and_saveexec_b32 s34, vcc_lo
	s_cbranch_execz .LBB488_161
; %bb.92:
	v_mov_b32_e32 v5, 0
	v_mbcnt_lo_u32_b32 v41, -1, 0
	s_mov_b32 s15, 0
	ds_load_b64 v[2:3], v5 offset:2096
	v_cmp_eq_u32_e64 s13, 0, v41
	s_and_saveexec_b32 s24, s13
	s_cbranch_execz .LBB488_94
; %bb.93:
	s_add_co_i32 s14, s36, 32
	v_mov_b32_e32 v4, 1
	s_lshl_b64 s[14:15], s[14:15], 4
	s_delay_alu instid0(SALU_CYCLE_1) | instskip(NEXT) | instid1(SALU_CYCLE_1)
	s_add_nc_u64 s[14:15], s[20:21], s[14:15]
	v_mov_b64_e32 v[6:7], s[14:15]
	s_wait_dscnt 0x0
	;;#ASMSTART
	global_store_b128 v[6:7], v[2:5] off scope:SCOPE_DEV	
s_wait_storecnt 0x0
	;;#ASMEND
.LBB488_94:
	s_or_b32 exec_lo, exec_lo, s24
	v_xad_u32 v8, v41, -1, s36
	s_mov_b32 s14, exec_lo
	s_delay_alu instid0(VALU_DEP_1) | instskip(NEXT) | instid1(VALU_DEP_1)
	v_add_nc_u32_e32 v4, 32, v8
	v_lshl_add_u64 v[10:11], v[4:5], 4, s[20:21]
	;;#ASMSTART
	global_load_b128 v[4:7], v[10:11] off scope:SCOPE_DEV	
s_wait_loadcnt 0x0
	;;#ASMEND
	v_and_b32_e32 v7, 0xff, v6
	v_and_b32_e32 v5, 0xff, v5
	s_delay_alu instid0(VALU_DEP_2)
	v_cmpx_eq_u16_e32 0, v7
	s_cbranch_execz .LBB488_98
; %bb.95:
	s_mov_b32 s15, 0
.LBB488_96:                             ; =>This Inner Loop Header: Depth=1
	;;#ASMSTART
	global_load_b128 v[4:7], v[10:11] off scope:SCOPE_DEV	
s_wait_loadcnt 0x0
	;;#ASMEND
	v_and_b32_e32 v7, 0xff, v6
	s_delay_alu instid0(VALU_DEP_1) | instskip(SKIP_1) | instid1(SALU_CYCLE_1)
	v_cmp_ne_u16_e32 vcc_lo, 0, v7
	s_or_b32 s15, vcc_lo, s15
	s_and_not1_b32 exec_lo, exec_lo, s15
	s_cbranch_execnz .LBB488_96
; %bb.97:
	s_or_b32 exec_lo, exec_lo, s15
	v_and_b32_e32 v5, 0xff, v5
.LBB488_98:
	s_or_b32 exec_lo, exec_lo, s14
	v_cmp_ne_u32_e32 vcc_lo, 31, v41
	v_and_b32_e32 v9, 0xff, v6
	v_lshlrev_b32_e64 v43, v41, -1
	s_mov_b64 s[24:25], 0x100000000
	v_lshl_or_b32 v52, v41, 2, 64
	v_add_co_ci_u32_e64 v7, null, 0, v41, vcc_lo
	v_cmp_eq_u16_e32 vcc_lo, 2, v9
	v_cmp_gt_u64_e64 s14, s[24:25], v[4:5]
	s_delay_alu instid0(VALU_DEP_3) | instskip(SKIP_1) | instid1(VALU_DEP_2)
	v_dual_lshlrev_b32 v42, 2, v7 :: v_dual_bitop2_b32 v10, 1, v5 bitop3:0x40
	v_and_or_b32 v9, vcc_lo, v43, 0x80000000
	v_cmp_eq_u32_e32 vcc_lo, 1, v10
	ds_bpermute_b32 v7, v42, v5
	ds_bpermute_b32 v10, v42, v4
	v_ctz_i32_b32_e32 v9, v9
	s_wait_dscnt 0x1
	v_and_b32_e32 v7, 1, v7
	s_delay_alu instid0(VALU_DEP_1) | instskip(SKIP_1) | instid1(VALU_DEP_2)
	v_cndmask_b32_e64 v7, v7, 1, vcc_lo
	v_cmp_gt_u32_e32 vcc_lo, 30, v41
	v_and_b32_e32 v45, 0xffff, v7
	v_cndmask_b32_e64 v11, 0, 2, vcc_lo
	v_cmp_lt_u32_e32 vcc_lo, v41, v9
	s_delay_alu instid0(VALU_DEP_2) | instskip(NEXT) | instid1(VALU_DEP_4)
	v_add_lshl_u32 v44, v11, v41, 2
	v_dual_cndmask_b32 v11, v5, v45, vcc_lo :: v_dual_cndmask_b32 v7, v5, v7, vcc_lo
	s_and_b32 vcc_lo, vcc_lo, s14
	s_wait_dscnt 0x0
	v_cndmask_b32_e32 v10, 0, v10, vcc_lo
	ds_bpermute_b32 v5, v44, v11
	v_and_b32_e32 v46, 1, v7
	v_and_b32_e32 v48, 0xff, v7
	v_add_nc_u32_e32 v4, v10, v4
	s_delay_alu instid0(VALU_DEP_3) | instskip(NEXT) | instid1(VALU_DEP_3)
	v_cmp_eq_u32_e32 vcc_lo, 1, v46
	v_cmp_eq_u16_e64 s14, 0, v48
	ds_bpermute_b32 v10, v44, v4
	s_wait_dscnt 0x1
	v_and_b32_e32 v5, 1, v5
	s_delay_alu instid0(VALU_DEP_1) | instskip(SKIP_2) | instid1(VALU_DEP_3)
	v_cndmask_b32_e64 v5, v5, 1, vcc_lo
	v_add_nc_u32_e32 v45, 2, v41
	v_cmp_gt_u32_e32 vcc_lo, 28, v41
	v_and_b32_e32 v47, 0xffff, v5
	v_cndmask_b32_e64 v46, 0, 4, vcc_lo
	s_delay_alu instid0(VALU_DEP_4) | instskip(NEXT) | instid1(VALU_DEP_2)
	v_cmp_gt_u32_e32 vcc_lo, v45, v9
	v_add_lshl_u32 v46, v46, v41, 2
	v_cndmask_b32_e32 v5, v5, v7, vcc_lo
	s_wait_dscnt 0x0
	v_dual_cndmask_b32 v7, v47, v11, vcc_lo :: v_dual_cndmask_b32 v10, 0, v10, s14
	s_delay_alu instid0(VALU_DEP_2) | instskip(SKIP_4) | instid1(VALU_DEP_3)
	v_and_b32_e32 v48, 1, v5
	ds_bpermute_b32 v11, v46, v7
	v_cndmask_b32_e64 v10, v10, 0, vcc_lo
	v_cmp_eq_u32_e32 vcc_lo, 1, v48
	v_and_b32_e32 v48, 0xff, v5
	v_add_nc_u32_e32 v4, v10, v4
	s_delay_alu instid0(VALU_DEP_2)
	v_cmp_eq_u16_e64 s14, 0, v48
	s_wait_dscnt 0x0
	v_and_b32_e32 v11, 1, v11
	ds_bpermute_b32 v10, v46, v4
	v_add_nc_u32_e32 v47, 4, v41
	v_cndmask_b32_e64 v11, v11, 1, vcc_lo
	v_cmp_gt_u32_e32 vcc_lo, 24, v41
	s_delay_alu instid0(VALU_DEP_2) | instskip(SKIP_1) | instid1(VALU_DEP_1)
	v_and_b32_e32 v50, 0xffff, v11
	v_cndmask_b32_e64 v49, 0, 8, vcc_lo
	v_add_lshl_u32 v48, v49, v41, 2
	s_wait_dscnt 0x0
	v_dual_add_nc_u32 v49, 8, v41 :: v_dual_cndmask_b32 v10, 0, v10, s14
	v_cmp_gt_u32_e32 vcc_lo, v47, v9
	v_dual_cndmask_b32 v5, v11, v5, vcc_lo :: v_dual_cndmask_b32 v7, v50, v7, vcc_lo
	s_delay_alu instid0(VALU_DEP_3) | instskip(NEXT) | instid1(VALU_DEP_2)
	v_cndmask_b32_e64 v10, v10, 0, vcc_lo
	v_and_b32_e32 v50, 1, v5
	ds_bpermute_b32 v11, v48, v7
	v_add_nc_u32_e32 v4, v10, v4
	v_and_b32_e32 v51, 0xff, v5
	v_cmp_eq_u32_e32 vcc_lo, 1, v50
	ds_bpermute_b32 v10, v48, v4
	s_wait_dscnt 0x1
	v_and_b32_e32 v11, 1, v11
	s_delay_alu instid0(VALU_DEP_1) | instskip(SKIP_1) | instid1(VALU_DEP_2)
	v_cndmask_b32_e64 v11, v11, 1, vcc_lo
	v_cmp_eq_u16_e32 vcc_lo, 0, v51
	v_and_b32_e32 v50, 0xffff, v11
	s_wait_dscnt 0x0
	v_cndmask_b32_e32 v10, 0, v10, vcc_lo
	v_cmp_gt_u32_e32 vcc_lo, v49, v9
	s_delay_alu instid0(VALU_DEP_3) | instskip(NEXT) | instid1(VALU_DEP_3)
	v_dual_cndmask_b32 v5, v11, v5, vcc_lo :: v_dual_cndmask_b32 v7, v50, v7, vcc_lo
	v_cndmask_b32_e64 v10, v10, 0, vcc_lo
	s_delay_alu instid0(VALU_DEP_2) | instskip(SKIP_3) | instid1(VALU_DEP_1)
	v_and_b32_e32 v50, 1, v5
	ds_bpermute_b32 v7, v52, v7
	v_add_nc_u32_e32 v4, v10, v4
	v_and_b32_e32 v11, 0xff, v5
	v_cmp_eq_u16_e32 vcc_lo, 0, v11
	s_wait_dscnt 0x0
	v_and_b32_e32 v7, 1, v7
	ds_bpermute_b32 v10, v52, v4
	s_wait_dscnt 0x0
	v_dual_cndmask_b32 v10, 0, v10 :: v_dual_add_nc_u32 v53, 16, v41
	v_cmp_eq_u32_e32 vcc_lo, 1, v50
	v_cndmask_b32_e64 v7, v7, 1, vcc_lo
	s_delay_alu instid0(VALU_DEP_3) | instskip(NEXT) | instid1(VALU_DEP_2)
	v_cmp_gt_u32_e32 vcc_lo, v53, v9
	v_dual_mov_b32 v9, 0 :: v_dual_cndmask_b32 v5, v7, v5, vcc_lo
	v_cndmask_b32_e64 v7, v10, 0, vcc_lo
	s_delay_alu instid0(VALU_DEP_1)
	v_add_nc_u32_e32 v4, v7, v4
	s_branch .LBB488_102
.LBB488_99:                             ;   in Loop: Header=BB488_102 Depth=1
	s_or_b32 exec_lo, exec_lo, s15
	v_and_b32_e32 v5, 0xff, v5
.LBB488_100:                            ;   in Loop: Header=BB488_102 Depth=1
	s_or_b32 exec_lo, exec_lo, s14
	ds_bpermute_b32 v7, v42, v5
	v_and_b32_e32 v10, 0xff, v6
	v_cmp_gt_u64_e64 s14, s[24:25], v[4:5]
	v_subrev_nc_u32_e32 v8, 32, v8
	s_delay_alu instid0(VALU_DEP_3) | instskip(SKIP_2) | instid1(VALU_DEP_2)
	v_cmp_eq_u16_e32 vcc_lo, 2, v10
	v_and_b32_e32 v10, 1, v5
	v_and_or_b32 v11, vcc_lo, v43, 0x80000000
	v_cmp_eq_u32_e32 vcc_lo, 1, v10
	s_delay_alu instid0(VALU_DEP_2) | instskip(SKIP_3) | instid1(VALU_DEP_1)
	v_ctz_i32_b32_e32 v10, v11
	ds_bpermute_b32 v11, v42, v4
	s_wait_dscnt 0x1
	v_and_b32_e32 v7, 1, v7
	v_cndmask_b32_e64 v7, v7, 1, vcc_lo
	v_cmp_lt_u32_e32 vcc_lo, v41, v10
	s_delay_alu instid0(VALU_DEP_2) | instskip(NEXT) | instid1(VALU_DEP_1)
	v_and_b32_e32 v54, 0xffff, v7
	v_dual_cndmask_b32 v7, v5, v7 :: v_dual_cndmask_b32 v54, v5, v54
	s_and_b32 vcc_lo, vcc_lo, s14
	s_delay_alu instid0(VALU_DEP_1)
	v_and_b32_e32 v56, 0xff, v7
	v_and_b32_e32 v55, 1, v7
	ds_bpermute_b32 v5, v44, v54
	s_wait_dscnt 0x1
	v_cndmask_b32_e32 v11, 0, v11, vcc_lo
	v_cmp_eq_u16_e64 s14, 0, v56
	v_cmp_eq_u32_e32 vcc_lo, 1, v55
	s_wait_dscnt 0x0
	s_delay_alu instid0(VALU_DEP_3) | instskip(NEXT) | instid1(VALU_DEP_1)
	v_dual_add_nc_u32 v4, v11, v4 :: v_dual_bitop2_b32 v5, 1, v5 bitop3:0x40
	v_cndmask_b32_e64 v5, v5, 1, vcc_lo
	ds_bpermute_b32 v11, v44, v4
	v_cmp_gt_u32_e32 vcc_lo, v45, v10
	v_and_b32_e32 v55, 0xffff, v5
	s_delay_alu instid0(VALU_DEP_1) | instskip(NEXT) | instid1(VALU_DEP_1)
	v_dual_cndmask_b32 v5, v5, v7, vcc_lo :: v_dual_cndmask_b32 v7, v55, v54, vcc_lo
	v_and_b32_e32 v55, 1, v5
	ds_bpermute_b32 v54, v46, v7
	s_wait_dscnt 0x1
	v_cndmask_b32_e64 v11, 0, v11, s14
	s_delay_alu instid0(VALU_DEP_1) | instskip(SKIP_2) | instid1(VALU_DEP_3)
	v_cndmask_b32_e64 v11, v11, 0, vcc_lo
	v_cmp_eq_u32_e32 vcc_lo, 1, v55
	v_and_b32_e32 v55, 0xff, v5
	v_add_nc_u32_e32 v4, v11, v4
	s_delay_alu instid0(VALU_DEP_2)
	v_cmp_eq_u16_e64 s14, 0, v55
	s_wait_dscnt 0x0
	v_and_b32_e32 v54, 1, v54
	ds_bpermute_b32 v11, v46, v4
	v_cndmask_b32_e64 v54, v54, 1, vcc_lo
	v_cmp_gt_u32_e32 vcc_lo, v47, v10
	s_delay_alu instid0(VALU_DEP_2) | instskip(SKIP_3) | instid1(VALU_DEP_1)
	v_and_b32_e32 v56, 0xffff, v54
	s_wait_dscnt 0x0
	v_dual_cndmask_b32 v5, v54, v5, vcc_lo :: v_dual_cndmask_b32 v11, 0, v11, s14
	s_mov_b32 s14, 0
	v_cndmask_b32_e64 v11, v11, 0, vcc_lo
	v_cndmask_b32_e32 v7, v56, v7, vcc_lo
	s_delay_alu instid0(VALU_DEP_3) | instskip(NEXT) | instid1(VALU_DEP_3)
	v_and_b32_e32 v56, 0xff, v5
	v_add_nc_u32_e32 v4, v11, v4
	ds_bpermute_b32 v54, v48, v7
	ds_bpermute_b32 v11, v48, v4
	v_and_b32_e32 v55, 1, v5
	s_delay_alu instid0(VALU_DEP_1) | instskip(SKIP_2) | instid1(VALU_DEP_1)
	v_cmp_eq_u32_e32 vcc_lo, 1, v55
	s_wait_dscnt 0x1
	v_and_b32_e32 v54, 1, v54
	v_cndmask_b32_e64 v54, v54, 1, vcc_lo
	v_cmp_eq_u16_e32 vcc_lo, 0, v56
	s_delay_alu instid0(VALU_DEP_2) | instskip(SKIP_3) | instid1(VALU_DEP_2)
	v_and_b32_e32 v55, 0xffff, v54
	s_wait_dscnt 0x0
	v_cndmask_b32_e32 v11, 0, v11, vcc_lo
	v_cmp_gt_u32_e32 vcc_lo, v49, v10
	v_cndmask_b32_e64 v11, v11, 0, vcc_lo
	v_dual_cndmask_b32 v7, v55, v7, vcc_lo :: v_dual_cndmask_b32 v5, v54, v5, vcc_lo
	s_delay_alu instid0(VALU_DEP_2) | instskip(SKIP_4) | instid1(VALU_DEP_1)
	v_add_nc_u32_e32 v4, v11, v4
	ds_bpermute_b32 v7, v52, v7
	v_and_b32_e32 v55, 0xff, v5
	ds_bpermute_b32 v11, v52, v4
	v_and_b32_e32 v54, 1, v5
	v_cmp_eq_u32_e32 vcc_lo, 1, v54
	s_wait_dscnt 0x1
	v_cndmask_b32_e64 v7, v7, 1, vcc_lo
	v_cmp_eq_u16_e32 vcc_lo, 0, v55
	s_wait_dscnt 0x0
	v_cndmask_b32_e32 v11, 0, v11, vcc_lo
	v_cmp_gt_u32_e32 vcc_lo, v53, v10
	v_and_b32_e32 v10, 0xff, v50
	v_cndmask_b32_e32 v5, v7, v5, vcc_lo
	s_delay_alu instid0(VALU_DEP_4) | instskip(NEXT) | instid1(VALU_DEP_3)
	v_cndmask_b32_e64 v7, v11, 0, vcc_lo
	v_cmp_eq_u16_e32 vcc_lo, 0, v10
	s_delay_alu instid0(VALU_DEP_2) | instskip(NEXT) | instid1(VALU_DEP_1)
	v_dual_add_nc_u32 v4, v7, v4 :: v_dual_bitop2_b32 v7, 1, v50 bitop3:0x40
	v_dual_cndmask_b32 v4, 0, v4, vcc_lo :: v_dual_bitop2_b32 v5, 1, v5 bitop3:0x40
	s_delay_alu instid0(VALU_DEP_2) | instskip(NEXT) | instid1(VALU_DEP_2)
	v_cmp_eq_u32_e32 vcc_lo, 1, v7
	v_add_nc_u32_e32 v4, v4, v51
	s_delay_alu instid0(VALU_DEP_3)
	v_cndmask_b32_e64 v5, v5, 1, vcc_lo
.LBB488_101:                            ;   in Loop: Header=BB488_102 Depth=1
	s_and_b32 vcc_lo, exec_lo, s14
	s_cbranch_vccnz .LBB488_157
.LBB488_102:                            ; =>This Loop Header: Depth=1
                                        ;     Child Loop BB488_105 Depth 2
	v_and_b32_e32 v6, 0xff, v6
	s_delay_alu instid0(VALU_DEP_2) | instskip(SKIP_1) | instid1(VALU_DEP_2)
	v_dual_mov_b32 v50, v5 :: v_dual_mov_b32 v51, v4
	s_mov_b32 s14, -1
                                        ; implicit-def: $vgpr5
                                        ; implicit-def: $vgpr4
	v_cmp_ne_u16_e32 vcc_lo, 2, v6
                                        ; implicit-def: $vgpr6
	s_cmp_lg_u32 vcc_lo, exec_lo
	s_cbranch_scc1 .LBB488_101
; %bb.103:                              ;   in Loop: Header=BB488_102 Depth=1
	v_lshl_add_u64 v[10:11], v[8:9], 4, s[20:21]
	;;#ASMSTART
	global_load_b128 v[4:7], v[10:11] off scope:SCOPE_DEV	
s_wait_loadcnt 0x0
	;;#ASMEND
	v_and_b32_e32 v7, 0xff, v6
	v_and_b32_e32 v5, 0xff, v5
	s_mov_b32 s14, exec_lo
	s_delay_alu instid0(VALU_DEP_2)
	v_cmpx_eq_u16_e32 0, v7
	s_cbranch_execz .LBB488_100
; %bb.104:                              ;   in Loop: Header=BB488_102 Depth=1
	s_mov_b32 s15, 0
.LBB488_105:                            ;   Parent Loop BB488_102 Depth=1
                                        ; =>  This Inner Loop Header: Depth=2
	;;#ASMSTART
	global_load_b128 v[4:7], v[10:11] off scope:SCOPE_DEV	
s_wait_loadcnt 0x0
	;;#ASMEND
	v_and_b32_e32 v7, 0xff, v6
	s_delay_alu instid0(VALU_DEP_1) | instskip(SKIP_1) | instid1(SALU_CYCLE_1)
	v_cmp_ne_u16_e32 vcc_lo, 0, v7
	s_or_b32 s15, vcc_lo, s15
	s_and_not1_b32 exec_lo, exec_lo, s15
	s_cbranch_execnz .LBB488_105
	s_branch .LBB488_99
.LBB488_106:
	s_or_b32 exec_lo, exec_lo, s14
                                        ; implicit-def: $vgpr16
	s_and_saveexec_b32 s14, s1
	s_cbranch_execz .LBB488_33
.LBB488_107:
	flat_load_b32 v16, v0, s[24:25] offset:1024 scale_offset
	s_wait_xcnt 0x0
	s_or_b32 exec_lo, exec_lo, s14
                                        ; implicit-def: $vgpr17
	s_and_saveexec_b32 s1, s4
	s_cbranch_execnz .LBB488_34
.LBB488_108:
	s_or_b32 exec_lo, exec_lo, s1
                                        ; implicit-def: $vgpr18
	s_and_saveexec_b32 s1, s5
	s_cbranch_execz .LBB488_35
.LBB488_109:
	flat_load_b32 v18, v0, s[24:25] offset:3072 scale_offset
	s_wait_xcnt 0x0
	s_or_b32 exec_lo, exec_lo, s1
                                        ; implicit-def: $vgpr19
	s_and_saveexec_b32 s1, s6
	s_cbranch_execnz .LBB488_36
.LBB488_110:
	s_or_b32 exec_lo, exec_lo, s1
                                        ; implicit-def: $vgpr20
	s_and_saveexec_b32 s1, s7
	s_cbranch_execz .LBB488_37
.LBB488_111:
	flat_load_b32 v20, v0, s[24:25] offset:5120 scale_offset
	s_wait_xcnt 0x0
	s_or_b32 exec_lo, exec_lo, s1
                                        ; implicit-def: $vgpr21
	s_and_saveexec_b32 s1, s8
	s_cbranch_execnz .LBB488_38
.LBB488_112:
	s_or_b32 exec_lo, exec_lo, s1
                                        ; implicit-def: $vgpr22
	s_and_saveexec_b32 s1, s9
	s_cbranch_execz .LBB488_39
.LBB488_113:
	flat_load_b32 v22, v0, s[24:25] offset:7168 scale_offset
	s_wait_xcnt 0x0
	s_or_b32 exec_lo, exec_lo, s1
                                        ; implicit-def: $vgpr23
	s_and_saveexec_b32 s1, s10
	s_cbranch_execnz .LBB488_40
.LBB488_114:
	s_or_b32 exec_lo, exec_lo, s1
                                        ; implicit-def: $vgpr24
	s_and_saveexec_b32 s1, s11
	s_cbranch_execz .LBB488_41
.LBB488_115:
	flat_load_b32 v24, v0, s[24:25] offset:9216 scale_offset
	s_wait_xcnt 0x0
	s_or_b32 exec_lo, exec_lo, s1
                                        ; implicit-def: $vgpr25
	s_and_saveexec_b32 s1, s12
	s_cbranch_execz .LBB488_43
	s_branch .LBB488_42
.LBB488_116:
                                        ; implicit-def: $vgpr13
                                        ; implicit-def: $vgpr9
                                        ; implicit-def: $vgpr5
	s_cbranch_execnz .LBB488_162
.LBB488_117:
	s_add_nc_u64 s[2:3], s[18:19], s[28:29]
	s_and_b32 vcc_lo, exec_lo, s0
	s_add_nc_u64 s[0:1], s[2:3], s[16:17]
	s_cbranch_vccz .LBB488_179
.LBB488_118:
	v_mul_u32_u24_e32 v1, 12, v0
	s_add_co_i32 s23, s23, s22
	s_mov_b32 s2, exec_lo
	s_delay_alu instid0(VALU_DEP_1)
	v_cmpx_gt_u32_e64 s23, v1
	s_cbranch_execz .LBB488_134
; %bb.119:
	v_or_b32_e32 v14, 1, v1
	s_mov_b32 s3, exec_lo
	s_delay_alu instid0(VALU_DEP_1)
	v_cmpx_gt_u32_e64 s23, v14
	s_cbranch_execz .LBB488_133
; %bb.120:
	v_or_b32_e32 v14, 2, v1
	;; [unrolled: 6-line block ×3, first 2 shown]
	s_mov_b32 s5, exec_lo
	s_delay_alu instid0(VALU_DEP_1)
	v_cmpx_gt_u32_e64 s23, v14
	s_cbranch_execz .LBB488_131
; %bb.122:
	v_add_nc_u32_e32 v14, 4, v1
	s_mov_b32 s6, exec_lo
	s_delay_alu instid0(VALU_DEP_1)
	v_cmpx_gt_u32_e64 s23, v14
	s_cbranch_execz .LBB488_130
; %bb.123:
	v_add_nc_u32_e32 v14, 5, v1
	;; [unrolled: 6-line block ×4, first 2 shown]
	s_mov_b32 s9, exec_lo
	s_delay_alu instid0(VALU_DEP_1)
	v_cmpx_gt_u32_e64 s23, v14
; %bb.126:
	v_add_nc_u32_e32 v14, 8, v1
	s_mov_b32 s10, exec_lo
	s_delay_alu instid0(VALU_DEP_1)
	v_cmpx_gt_u32_e64 s23, v14
	s_or_b32 exec_lo, exec_lo, s10
; %bb.127:
	s_delay_alu instid0(SALU_CYCLE_1)
	s_or_b32 exec_lo, exec_lo, s9
.LBB488_128:
	s_delay_alu instid0(SALU_CYCLE_1)
	s_or_b32 exec_lo, exec_lo, s8
.LBB488_129:
	s_delay_alu instid0(SALU_CYCLE_1)
	s_or_b32 exec_lo, exec_lo, s7
.LBB488_130:
	s_delay_alu instid0(SALU_CYCLE_1)
	s_or_b32 exec_lo, exec_lo, s6
.LBB488_131:
	s_delay_alu instid0(SALU_CYCLE_1)
	s_or_b32 exec_lo, exec_lo, s5
.LBB488_132:
	s_delay_alu instid0(SALU_CYCLE_1)
	s_or_b32 exec_lo, exec_lo, s4
.LBB488_133:
	s_delay_alu instid0(SALU_CYCLE_1)
	s_or_b32 exec_lo, exec_lo, s3
.LBB488_134:
	s_delay_alu instid0(SALU_CYCLE_1) | instskip(SKIP_3) | instid1(VALU_DEP_1)
	s_or_b32 exec_lo, exec_lo, s2
	v_dual_lshlrev_b32 v1, 2, v1 :: v_dual_mov_b32 v17, 0
	s_barrier_signal -1
	s_barrier_wait -1
	v_mad_i32_i24 v14, 0xffffffd4, v0, v1
	ds_store_b128 v1, v[2:5]
	ds_store_b128 v1, v[6:9] offset:16
	ds_store_b128 v1, v[10:13] offset:32
	s_wait_dscnt 0x0
	s_barrier_signal -1
	s_barrier_wait -1
	ds_load_2addr_stride64_b32 v[26:27], v14 offset0:4 offset1:8
	ds_load_2addr_stride64_b32 v[24:25], v14 offset0:12 offset1:16
	;; [unrolled: 1-line block ×5, first 2 shown]
	ds_load_b32 v15, v14 offset:11264
	v_add_nc_u64_e32 v[16:17], s[0:1], v[16:17]
	s_mov_b32 s2, exec_lo
	v_cmpx_gt_u32_e64 s23, v0
	s_cbranch_execz .LBB488_136
; %bb.135:
	v_mul_i32_i24_e32 v14, 0xffffffd4, v0
	s_delay_alu instid0(VALU_DEP_1)
	v_add_nc_u32_e32 v1, v1, v14
	ds_load_b32 v1, v1
	s_wait_dscnt 0x0
	flat_store_b32 v[16:17], v1
.LBB488_136:
	s_wait_xcnt 0x0
	s_or_b32 exec_lo, exec_lo, s2
	v_or_b32_e32 v1, 0x100, v0
	s_mov_b32 s2, exec_lo
	s_delay_alu instid0(VALU_DEP_1)
	v_cmpx_gt_u32_e64 s23, v1
	s_cbranch_execz .LBB488_138
; %bb.137:
	s_wait_dscnt 0x5
	flat_store_b32 v[16:17], v26 offset:1024
.LBB488_138:
	s_wait_xcnt 0x0
	s_or_b32 exec_lo, exec_lo, s2
	v_or_b32_e32 v1, 0x200, v0
	s_mov_b32 s2, exec_lo
	s_delay_alu instid0(VALU_DEP_1)
	v_cmpx_gt_u32_e64 s23, v1
	s_cbranch_execz .LBB488_140
; %bb.139:
	s_wait_dscnt 0x5
	flat_store_b32 v[16:17], v27 offset:2048
.LBB488_140:
	;; [unrolled: 11-line block ×10, first 2 shown]
	s_wait_xcnt 0x0
	s_or_b32 exec_lo, exec_lo, s2
	v_or_b32_e32 v1, 0xb00, v0
	s_delay_alu instid0(VALU_DEP_1)
	v_cmp_gt_u32_e64 s2, s23, v1
	s_branch .LBB488_181
.LBB488_157:
	s_and_saveexec_b32 s14, s13
	s_cbranch_execz .LBB488_159
; %bb.158:
	v_and_b32_e32 v4, 0xff, v3
	s_mov_b32 s25, 0
	s_add_co_i32 s24, s36, 32
	v_and_b32_e32 v5, 1, v50
	s_lshl_b64 s[24:25], s[24:25], 4
	v_cmp_eq_u32_e32 vcc_lo, 0, v4
	s_add_nc_u64 s[24:25], s[20:21], s[24:25]
	s_delay_alu instid0(SALU_CYCLE_1) | instskip(SKIP_1) | instid1(VALU_DEP_1)
	v_mov_b64_e32 v[6:7], s[24:25]
	v_cndmask_b32_e32 v4, 0, v51, vcc_lo
	v_dual_add_nc_u32 v2, v4, v2 :: v_dual_bitop2_b32 v3, 1, v3 bitop3:0x40
	s_delay_alu instid0(VALU_DEP_1)
	v_cmp_eq_u32_e32 vcc_lo, 1, v3
	v_mov_b32_e32 v4, 2
	v_cndmask_b32_e64 v3, v5, 1, vcc_lo
	v_mov_b32_e32 v5, 0
	;;#ASMSTART
	global_store_b128 v[6:7], v[2:5] off scope:SCOPE_DEV	
s_wait_storecnt 0x0
	;;#ASMEND
.LBB488_159:
	s_or_b32 exec_lo, exec_lo, s14
	s_delay_alu instid0(SALU_CYCLE_1)
	s_and_b32 exec_lo, exec_lo, s2
	s_cbranch_execz .LBB488_161
; %bb.160:
	v_mov_b32_e32 v2, 0
	ds_store_b32 v2, v51
	ds_store_b8 v2, v50 offset:4
.LBB488_161:
	s_or_b32 exec_lo, exec_lo, s34
	s_wait_dscnt 0x0
	v_and_b32_e32 v3, 0xff, v13
	s_barrier_signal -1
	s_barrier_wait -1
	s_delay_alu instid0(VALU_DEP_1)
	v_cmp_eq_u16_e32 vcc_lo, 0, v3
	v_mov_b32_e32 v4, 0
	v_and_b32_e32 v5, 0xff, v15
	ds_load_b32 v2, v4
	s_wait_dscnt 0x0
	v_cndmask_b32_e32 v3, 0, v2, vcc_lo
	v_cmp_eq_u64_e32 vcc_lo, 0, v[4:5]
	s_delay_alu instid0(VALU_DEP_2) | instskip(NEXT) | instid1(VALU_DEP_1)
	v_add_nc_u32_e32 v3, v3, v12
	v_cndmask_b32_e64 v2, v3, v2, s2
	s_delay_alu instid0(VALU_DEP_1) | instskip(NEXT) | instid1(VALU_DEP_1)
	v_cndmask_b32_e32 v3, 0, v2, vcc_lo
	v_add_nc_u32_e32 v3, v3, v14
	s_delay_alu instid0(VALU_DEP_1) | instskip(NEXT) | instid1(VALU_DEP_1)
	v_cndmask_b32_e64 v4, 0, v3, s1
	v_add_nc_u32_e32 v4, v4, v36
	s_delay_alu instid0(VALU_DEP_1) | instskip(NEXT) | instid1(VALU_DEP_1)
	v_cndmask_b32_e64 v5, 0, v4, s4
	;; [unrolled: 3-line block ×10, first 2 shown]
	v_add_nc_u32_e32 v13, v13, v18
	s_branch .LBB488_117
.LBB488_162:
	s_cmp_eq_u64 s[30:31], 0
	v_mov_b32_e32 v41, s33
	s_cselect_b32 s1, -1, 0
	s_cmp_eq_u64 s[26:27], 0
	s_cselect_b32 s4, -1, 0
	s_delay_alu instid0(SALU_CYCLE_1) | instskip(NEXT) | instid1(SALU_CYCLE_1)
	s_or_b32 s1, s1, s4
	s_and_b32 vcc_lo, exec_lo, s1
	s_cbranch_vccnz .LBB488_164
; %bb.163:
	v_mov_b32_e32 v2, 0
	global_load_b32 v41, v2, s[26:27]
.LBB488_164:
	s_mov_b64 s[12:13], 0x100000000
	v_or3_b32 v3, v40, v27, v29
	v_cmp_gt_u64_e32 vcc_lo, s[12:13], v[36:37]
	v_cmp_gt_u64_e64 s1, s[12:13], v[34:35]
	v_cmp_gt_u64_e64 s4, s[12:13], v[32:33]
	;; [unrolled: 1-line block ×6, first 2 shown]
	s_wait_xcnt 0x0
	v_dual_cndmask_b32 v2, 0, v14, vcc_lo :: v_dual_bitop2_b32 v1, 56, v1 bitop3:0x40
	v_cmp_gt_u64_e64 s9, s[12:13], v[22:23]
	v_cmp_gt_u64_e64 s10, s[12:13], v[20:21]
	;; [unrolled: 1-line block ×3, first 2 shown]
	s_delay_alu instid0(VALU_DEP_4)
	v_add_nc_u32_e32 v2, v2, v36
	v_cmp_gt_u64_e64 s12, s[12:13], v[38:39]
	v_or3_b32 v3, v3, v31, v33
	v_lshl_add_u32 v1, v0, 3, v1
	s_mov_b32 s13, exec_lo
	v_cndmask_b32_e64 v2, 0, v2, s1
	s_delay_alu instid0(VALU_DEP_3) | instskip(NEXT) | instid1(VALU_DEP_2)
	v_or3_b32 v3, v3, v35, v37
	v_add_nc_u32_e32 v2, v2, v34
	s_delay_alu instid0(VALU_DEP_2) | instskip(NEXT) | instid1(VALU_DEP_2)
	v_or3_b32 v3, v39, v17, v3
	v_cndmask_b32_e64 v2, 0, v2, s4
	s_delay_alu instid0(VALU_DEP_2) | instskip(NEXT) | instid1(VALU_DEP_2)
	v_and_b32_e32 v3, 0xff, v3
	v_add_nc_u32_e32 v2, v2, v32
	s_delay_alu instid0(VALU_DEP_1) | instskip(NEXT) | instid1(VALU_DEP_1)
	v_cndmask_b32_e64 v2, 0, v2, s5
	v_add_nc_u32_e32 v2, v2, v30
	s_delay_alu instid0(VALU_DEP_1) | instskip(NEXT) | instid1(VALU_DEP_1)
	v_cndmask_b32_e64 v2, 0, v2, s6
	;; [unrolled: 3-line block ×7, first 2 shown]
	v_dual_add_nc_u32 v4, v2, v18 :: v_dual_mov_b32 v2, 0
	s_delay_alu instid0(VALU_DEP_1) | instskip(NEXT) | instid1(VALU_DEP_2)
	v_cndmask_b32_e64 v4, 0, v4, s12
	v_cmp_eq_u64_e64 s12, 0, v[2:3]
	s_delay_alu instid0(VALU_DEP_1)
	v_dual_add_nc_u32 v4, v4, v38 :: v_dual_cndmask_b32 v5, 1, v15, s12
	ds_store_b32 v1, v4
	ds_store_b8 v1, v5 offset:4
	s_wait_loadcnt_dscnt 0x0
	s_barrier_signal -1
	s_barrier_wait -1
	v_cmpx_gt_u32_e32 32, v0
	s_cbranch_execz .LBB488_174
; %bb.165:
	v_dual_lshlrev_b32 v1, 1, v0 :: v_dual_lshlrev_b32 v2, 6, v0
	s_mov_b32 s14, exec_lo
	s_delay_alu instid0(VALU_DEP_1) | instskip(NEXT) | instid1(VALU_DEP_1)
	v_and_b32_e32 v1, 0x1f8, v1
	v_add_nc_u32_e32 v1, v1, v2
	ds_load_u8 v12, v1 offset:12
	ds_load_b64 v[2:3], v1
	ds_load_2addr_b32 v[6:7], v1 offset0:2 offset1:4
	ds_load_u8 v13, v1 offset:20
	ds_load_u8 v17, v1 offset:28
	;; [unrolled: 1-line block ×5, first 2 shown]
	ds_load_b32 v25, v1 offset:56
	s_wait_dscnt 0x8
	v_cmp_eq_u16_e64 s12, 0, v12
	s_wait_dscnt 0x7
	s_delay_alu instid0(VALU_DEP_1)
	v_cndmask_b32_e64 v10, 0, v2, s12
	ds_load_2addr_b32 v[8:9], v1 offset0:6 offset1:8
	s_wait_dscnt 0x6
	v_cmp_eq_u16_e64 s12, 0, v13
	v_add_nc_u32_e32 v6, v10, v6
	ds_load_2addr_b32 v[10:11], v1 offset0:10 offset1:12
	v_cndmask_b32_e64 v6, 0, v6, s12
	s_wait_dscnt 0x6
	v_cmp_eq_u16_e64 s12, 0, v17
	s_delay_alu instid0(VALU_DEP_2) | instskip(NEXT) | instid1(VALU_DEP_1)
	v_dual_add_nc_u32 v6, v6, v7 :: v_dual_bitop2_b32 v7, v13, v12 bitop3:0x54
	v_cndmask_b32_e64 v6, 0, v6, s12
	s_wait_dscnt 0x5
	v_cmp_eq_u16_e64 s12, 0, v19
	s_delay_alu instid0(VALU_DEP_3)
	v_bitop3_b16 v7, v7, v19, v17 bitop3:0xfe
	s_wait_dscnt 0x1
	v_add_nc_u32_e32 v6, v6, v8
	ds_load_u8 v8, v1 offset:60
	v_bitop3_b16 v7, v7, v23, v21 bitop3:0xfe
	v_cndmask_b32_e64 v6, 0, v6, s12
	v_cmp_eq_u16_e64 s12, 0, v21
	s_delay_alu instid0(VALU_DEP_2) | instskip(NEXT) | instid1(VALU_DEP_1)
	v_add_nc_u32_e32 v6, v6, v9
	v_dual_cndmask_b32 v9, 0, v6, s12 :: v_dual_bitop2_b32 v6, 1, v3 bitop3:0x40
	v_cmp_eq_u16_e64 s12, 0, v7
	s_wait_dscnt 0x0
	s_delay_alu instid0(VALU_DEP_2) | instskip(NEXT) | instid1(VALU_DEP_2)
	v_dual_add_nc_u32 v9, v9, v10 :: v_dual_bitop2_b32 v10, 1, v8 bitop3:0x40
	v_cndmask_b32_e64 v7, 1, v6, s12
	v_cmp_eq_u16_e64 s12, 0, v23
	s_delay_alu instid0(VALU_DEP_1) | instskip(NEXT) | instid1(VALU_DEP_4)
	v_cndmask_b32_e64 v9, 0, v9, s12
	v_cmp_eq_u32_e64 s12, 1, v10
	s_delay_alu instid0(VALU_DEP_2) | instskip(NEXT) | instid1(VALU_DEP_2)
	v_add_nc_u32_e32 v9, v9, v11
	v_cndmask_b32_e64 v10, v7, 1, s12
	v_cmp_eq_u16_e64 s12, 0, v8
	v_and_b32_e32 v7, 0xffffff00, v3
	s_delay_alu instid0(VALU_DEP_3) | instskip(NEXT) | instid1(VALU_DEP_3)
	v_and_b32_e32 v11, 0xffff, v10
	v_cndmask_b32_e64 v8, 0, v9, s12
	v_mbcnt_lo_u32_b32 v9, -1, 0
	s_delay_alu instid0(VALU_DEP_2) | instskip(NEXT) | instid1(VALU_DEP_2)
	v_dual_add_nc_u32 v8, v8, v25 :: v_dual_bitop2_b32 v12, v7, v11 bitop3:0x54
	v_and_b32_e32 v11, 15, v9
	s_delay_alu instid0(VALU_DEP_2) | instskip(NEXT) | instid1(VALU_DEP_3)
	v_mov_b32_dpp v17, v12 row_shr:1 row_mask:0xf bank_mask:0xf
	v_mov_b32_dpp v13, v8 row_shr:1 row_mask:0xf bank_mask:0xf
	s_delay_alu instid0(VALU_DEP_3)
	v_cmpx_ne_u32_e32 0, v11
	s_cbranch_execz .LBB488_167
; %bb.166:
	v_and_b32_e32 v12, 1, v10
	v_and_b32_e32 v17, 1, v17
	s_delay_alu instid0(VALU_DEP_2) | instskip(NEXT) | instid1(VALU_DEP_1)
	v_cmp_eq_u32_e64 s12, 1, v12
	v_cndmask_b32_e64 v17, v17, 1, s12
	v_cmp_eq_u16_e64 s12, 0, v10
	s_delay_alu instid0(VALU_DEP_2) | instskip(NEXT) | instid1(VALU_DEP_1)
	v_and_b32_e32 v12, 0xffff, v17
	v_dual_cndmask_b32 v10, 0, v13, s12 :: v_dual_bitop2_b32 v12, v7, v12 bitop3:0x54
	s_delay_alu instid0(VALU_DEP_1)
	v_dual_add_nc_u32 v8, v10, v8 :: v_dual_mov_b32 v10, v17
.LBB488_167:
	s_or_b32 exec_lo, exec_lo, s14
	s_delay_alu instid0(VALU_DEP_1) | instskip(NEXT) | instid1(VALU_DEP_3)
	v_mov_b32_dpp v13, v8 row_shr:2 row_mask:0xf bank_mask:0xf
	v_mov_b32_dpp v17, v12 row_shr:2 row_mask:0xf bank_mask:0xf
	s_mov_b32 s14, exec_lo
	v_cmpx_lt_u32_e32 1, v11
	s_cbranch_execz .LBB488_169
; %bb.168:
	v_and_b32_e32 v12, 1, v10
	v_and_b32_e32 v17, 1, v17
	s_delay_alu instid0(VALU_DEP_2) | instskip(NEXT) | instid1(VALU_DEP_1)
	v_cmp_eq_u32_e64 s12, 1, v12
	v_cndmask_b32_e64 v17, v17, 1, s12
	v_cmp_eq_u16_e64 s12, 0, v10
	s_delay_alu instid0(VALU_DEP_2) | instskip(NEXT) | instid1(VALU_DEP_1)
	v_and_b32_e32 v12, 0xffff, v17
	v_dual_cndmask_b32 v10, 0, v13, s12 :: v_dual_bitop2_b32 v12, v7, v12 bitop3:0x54
	s_delay_alu instid0(VALU_DEP_1)
	v_dual_add_nc_u32 v8, v10, v8 :: v_dual_mov_b32 v10, v17
.LBB488_169:
	s_or_b32 exec_lo, exec_lo, s14
	s_delay_alu instid0(VALU_DEP_1) | instskip(NEXT) | instid1(VALU_DEP_3)
	v_mov_b32_dpp v13, v8 row_shr:4 row_mask:0xf bank_mask:0xf
	v_mov_b32_dpp v17, v12 row_shr:4 row_mask:0xf bank_mask:0xf
	s_mov_b32 s14, exec_lo
	v_cmpx_lt_u32_e32 3, v11
	;; [unrolled: 20-line block ×3, first 2 shown]
	s_cbranch_execz .LBB488_173
; %bb.172:
	v_and_b32_e32 v11, 1, v10
	v_and_b32_e32 v12, 1, v17
	s_delay_alu instid0(VALU_DEP_2) | instskip(NEXT) | instid1(VALU_DEP_1)
	v_cmp_eq_u32_e64 s12, 1, v11
	v_cndmask_b32_e64 v11, v12, 1, s12
	v_cmp_eq_u16_e64 s12, 0, v10
	s_delay_alu instid0(VALU_DEP_2) | instskip(NEXT) | instid1(VALU_DEP_1)
	v_and_b32_e32 v12, 0xffff, v11
	v_dual_cndmask_b32 v10, 0, v13, s12 :: v_dual_bitop2_b32 v12, v7, v12 bitop3:0x54
	s_delay_alu instid0(VALU_DEP_1)
	v_dual_add_nc_u32 v8, v10, v8 :: v_dual_mov_b32 v10, v11
.LBB488_173:
	s_or_b32 exec_lo, exec_lo, s14
	ds_swizzle_b32 v11, v12 offset:swizzle(BROADCAST,32,15)
	ds_swizzle_b32 v12, v8 offset:swizzle(BROADCAST,32,15)
	v_and_b32_e32 v13, 1, v10
	v_bfe_i32 v19, v9, 4, 1
	v_and_b32_e32 v3, 0xff, v3
	; wave barrier
	s_delay_alu instid0(VALU_DEP_3) | instskip(SKIP_2) | instid1(VALU_DEP_1)
	v_cmp_eq_u32_e64 s12, 1, v13
	s_wait_dscnt 0x1
	v_dual_add_nc_u32 v13, -1, v9 :: v_dual_bitop2_b32 v11, 1, v11 bitop3:0x40
	v_cndmask_b32_e64 v11, v11, 1, s12
	v_and_b32_e32 v17, 16, v9
	v_cmp_eq_u16_e64 s12, 0, v10
	s_wait_dscnt 0x0
	s_delay_alu instid0(VALU_DEP_1) | instskip(NEXT) | instid1(VALU_DEP_3)
	v_cndmask_b32_e64 v12, 0, v12, s12
	v_cmp_eq_u32_e64 s12, 0, v17
	s_delay_alu instid0(VALU_DEP_1) | instskip(SKIP_1) | instid1(VALU_DEP_4)
	v_cndmask_b32_e64 v10, v11, v10, s12
	v_cmp_gt_i32_e64 s12, 0, v13
	v_and_b32_e32 v11, v19, v12
	s_delay_alu instid0(VALU_DEP_3) | instskip(NEXT) | instid1(VALU_DEP_2)
	v_and_b32_e32 v10, 0xffff, v10
	v_dual_cndmask_b32 v9, v13, v9, s12 :: v_dual_add_nc_u32 v8, v11, v8
	v_cmp_eq_u16_e64 s12, 0, v3
	s_delay_alu instid0(VALU_DEP_2)
	v_lshlrev_b32_e32 v9, 2, v9
	ds_bpermute_b32 v8, v9, v8
	s_wait_dscnt 0x0
	v_dual_cndmask_b32 v3, 0, v8, s12 :: v_dual_bitop2_b32 v7, v7, v10 bitop3:0x54
	ds_bpermute_b32 v7, v9, v7
	v_cmp_eq_u32_e64 s12, 1, v6
	s_wait_dscnt 0x0
	v_dual_add_nc_u32 v2, v3, v2 :: v_dual_bitop2_b32 v7, 1, v7 bitop3:0x40
	s_delay_alu instid0(VALU_DEP_1) | instskip(NEXT) | instid1(VALU_DEP_1)
	v_cndmask_b32_e64 v3, v7, 1, s12
	v_dual_cndmask_b32 v4, v2, v4, s2 :: v_dual_cndmask_b32 v6, v3, v5, s2
	ds_store_b32 v1, v4
	ds_store_b8 v1, v6 offset:4
	; wave barrier
	ds_load_u8 v7, v1 offset:12
	ds_load_2addr_b32 v[2:3], v1 offset0:2 offset1:4
	ds_load_u8 v8, v1 offset:20
	ds_load_u8 v9, v1 offset:28
	;; [unrolled: 1-line block ×5, first 2 shown]
	ds_load_b32 v13, v1 offset:56
	ds_load_u8 v17, v1 offset:60
	s_wait_dscnt 0x8
	v_cmp_eq_u16_e64 s12, 0, v7
	s_delay_alu instid0(VALU_DEP_1) | instskip(SKIP_4) | instid1(VALU_DEP_1)
	v_cndmask_b32_e64 v19, 0, v4, s12
	ds_load_2addr_b32 v[4:5], v1 offset0:6 offset1:8
	s_wait_dscnt 0x7
	v_cmp_eq_u16_e64 s12, 0, v8
	v_add_nc_u32_e32 v19, v19, v2
	v_cndmask_b32_e64 v2, 0, v19, s12
	s_wait_dscnt 0x6
	v_cmp_eq_u16_e64 s12, 0, v9
	s_delay_alu instid0(VALU_DEP_2)
	v_add_nc_u32_e32 v21, v2, v3
	ds_load_2addr_b32 v[2:3], v1 offset0:10 offset1:12
	v_cndmask_b32_e64 v23, 0, v21, s12
	s_wait_dscnt 0x6
	v_cmp_eq_u16_e64 s12, 0, v10
	ds_store_2addr_b32 v1, v19, v21 offset0:2 offset1:4
	s_wait_dscnt 0x2
	v_dual_add_nc_u32 v4, v23, v4 :: v_dual_bitop2_b32 v7, 1, v7 bitop3:0x40
	s_delay_alu instid0(VALU_DEP_1) | instskip(SKIP_1) | instid1(VALU_DEP_3)
	v_cndmask_b32_e64 v23, 0, v4, s12
	v_and_b32_e32 v8, 1, v8
	v_cmp_eq_u32_e64 s12, 1, v7
	v_and_b32_e32 v7, 1, v9
	s_delay_alu instid0(VALU_DEP_4) | instskip(NEXT) | instid1(VALU_DEP_3)
	v_add_nc_u32_e32 v5, v23, v5
	v_cndmask_b32_e64 v6, v6, 1, s12
	v_cmp_eq_u32_e64 s12, 1, v8
	s_delay_alu instid0(VALU_DEP_1) | instskip(SKIP_1) | instid1(VALU_DEP_1)
	v_cndmask_b32_e64 v8, v6, 1, s12
	v_cmp_eq_u16_e64 s12, 0, v11
	v_dual_cndmask_b32 v10, 0, v5, s12 :: v_dual_bitop2_b32 v9, 1, v10 bitop3:0x40
	s_wait_dscnt 0x1
	s_delay_alu instid0(VALU_DEP_1) | instskip(SKIP_2) | instid1(VALU_DEP_2)
	v_add_nc_u32_e32 v2, v10, v2
	v_cmp_eq_u32_e64 s12, 1, v7
	v_and_b32_e32 v10, 1, v12
	v_cndmask_b32_e64 v7, v8, 1, s12
	v_cmp_eq_u32_e64 s12, 1, v9
	s_delay_alu instid0(VALU_DEP_1) | instskip(SKIP_1) | instid1(VALU_DEP_1)
	v_cndmask_b32_e64 v9, v7, 1, s12
	v_cmp_eq_u16_e64 s12, 0, v12
	v_dual_cndmask_b32 v12, 0, v2, s12 :: v_dual_bitop2_b32 v11, 1, v11 bitop3:0x40
	s_delay_alu instid0(VALU_DEP_1) | instskip(NEXT) | instid1(VALU_DEP_2)
	v_cmp_eq_u32_e64 s12, 1, v11
	v_add_nc_u32_e32 v3, v12, v3
	s_delay_alu instid0(VALU_DEP_2)
	v_cndmask_b32_e64 v11, v9, 1, s12
	v_cmp_eq_u32_e64 s12, 1, v10
	ds_store_2addr_b32 v1, v4, v5 offset0:6 offset1:8
	ds_store_2addr_b32 v1, v2, v3 offset0:10 offset1:12
	v_cndmask_b32_e64 v10, v11, 1, s12
	v_cmp_eq_u16_e64 s12, 0, v17
	s_delay_alu instid0(VALU_DEP_1) | instskip(NEXT) | instid1(VALU_DEP_1)
	v_dual_cndmask_b32 v12, 0, v3, s12 :: v_dual_bitop2_b32 v23, 1, v17 bitop3:0x40
	v_cmp_eq_u32_e64 s12, 1, v23
	s_delay_alu instid0(VALU_DEP_2) | instskip(NEXT) | instid1(VALU_DEP_2)
	v_add_nc_u32_e32 v2, v12, v13
	v_cndmask_b32_e64 v17, v10, 1, s12
	ds_store_b8 v1, v6 offset:12
	ds_store_b8 v1, v8 offset:20
	;; [unrolled: 1-line block ×6, first 2 shown]
	ds_store_b32 v1, v2 offset:56
	ds_store_b8 v1, v17 offset:60
.LBB488_174:
	s_or_b32 exec_lo, exec_lo, s13
	v_mov_b32_e32 v2, v41
	s_wait_dscnt 0x0
	s_barrier_signal -1
	s_barrier_wait -1
	s_and_saveexec_b32 s12, s3
	s_cbranch_execz .LBB488_176
; %bb.175:
	v_add_nc_u32_e32 v1, -1, v0
	s_delay_alu instid0(VALU_DEP_1) | instskip(NEXT) | instid1(VALU_DEP_1)
	v_lshrrev_b32_e32 v2, 2, v1
	v_and_b32_e32 v2, 0x3ffffff8, v2
	s_delay_alu instid0(VALU_DEP_1) | instskip(SKIP_4) | instid1(VALU_DEP_1)
	v_lshl_add_u32 v1, v1, 3, v2
	ds_load_u8 v2, v1 offset:4
	ds_load_b32 v1, v1
	s_wait_dscnt 0x1
	v_cmp_eq_u16_e64 s3, 0, v2
	v_cndmask_b32_e64 v2, 0, v41, s3
	s_wait_dscnt 0x0
	s_delay_alu instid0(VALU_DEP_1)
	v_add_nc_u32_e32 v2, v2, v1
.LBB488_176:
	s_or_b32 exec_lo, exec_lo, s12
	v_and_b32_e32 v39, 0xff, v15
	v_mov_b32_e32 v38, 0
	s_delay_alu instid0(VALU_DEP_1) | instskip(NEXT) | instid1(VALU_DEP_1)
	v_cmp_eq_u64_e64 s3, 0, v[38:39]
	v_cndmask_b32_e64 v1, 0, v2, s3
	s_delay_alu instid0(VALU_DEP_1) | instskip(NEXT) | instid1(VALU_DEP_1)
	v_add_nc_u32_e32 v3, v1, v14
	v_cndmask_b32_e32 v1, 0, v3, vcc_lo
	s_delay_alu instid0(VALU_DEP_1) | instskip(NEXT) | instid1(VALU_DEP_1)
	v_add_nc_u32_e32 v4, v1, v36
	v_cndmask_b32_e64 v1, 0, v4, s1
	s_delay_alu instid0(VALU_DEP_1) | instskip(NEXT) | instid1(VALU_DEP_1)
	v_add_nc_u32_e32 v5, v1, v34
	v_cndmask_b32_e64 v1, 0, v5, s4
	;; [unrolled: 3-line block ×9, first 2 shown]
	s_delay_alu instid0(VALU_DEP_1)
	v_add_nc_u32_e32 v13, v1, v18
	s_and_saveexec_b32 s1, s2
	s_cbranch_execz .LBB488_178
; %bb.177:
	ds_load_u8 v1, v38 offset:2100
	ds_load_b32 v17, v38 offset:2096
	v_mov_b32_e32 v15, v38
	s_add_nc_u64 s[2:3], s[20:21], 0x200
	v_dual_mov_b32 v20, 2 :: v_dual_mov_b32 v21, v38
	s_wait_dscnt 0x1
	v_and_b32_e32 v14, 0xffff, v1
	s_delay_alu instid0(VALU_DEP_1) | instskip(SKIP_3) | instid1(VALU_DEP_2)
	v_cmp_eq_u64_e32 vcc_lo, 0, v[14:15]
	v_dual_cndmask_b32 v1, 0, v41, vcc_lo :: v_dual_mov_b32 v19, v14
	v_mov_b64_e32 v[14:15], s[2:3]
	s_wait_dscnt 0x0
	v_add_nc_u32_e32 v18, v1, v17
	;;#ASMSTART
	global_store_b128 v[14:15], v[18:21] off scope:SCOPE_DEV	
s_wait_storecnt 0x0
	;;#ASMEND
.LBB488_178:
	s_or_b32 exec_lo, exec_lo, s1
	s_add_nc_u64 s[2:3], s[18:19], s[28:29]
	s_and_b32 vcc_lo, exec_lo, s0
	s_add_nc_u64 s[0:1], s[2:3], s[16:17]
	s_cbranch_vccnz .LBB488_118
.LBB488_179:
	s_mov_b32 s2, 0
                                        ; implicit-def: $vgpr15
	s_cbranch_execz .LBB488_181
; %bb.180:
	v_mul_u32_u24_e32 v1, 48, v0
	v_mul_i32_i24_e32 v14, 0xffffffd4, v0
	s_wait_storecnt_dscnt 0x0
	s_barrier_signal -1
	s_barrier_wait -1
	ds_store_b128 v1, v[2:5]
	ds_store_b128 v1, v[6:9] offset:16
	ds_store_b128 v1, v[10:13] offset:32
	v_mad_u32_u24 v1, v0, 48, v14
	s_wait_dscnt 0x0
	s_barrier_signal -1
	s_barrier_wait -1
	ds_load_2addr_stride64_b32 v[2:3], v1 offset1:4
	ds_load_2addr_stride64_b32 v[4:5], v1 offset0:8 offset1:12
	ds_load_2addr_stride64_b32 v[6:7], v1 offset0:16 offset1:20
	;; [unrolled: 1-line block ×5, first 2 shown]
	s_or_b32 s2, s2, exec_lo
	s_wait_dscnt 0x5
	s_clause 0x1
	flat_store_b32 v0, v2, s[0:1] scale_offset
	flat_store_b32 v0, v3, s[0:1] offset:1024 scale_offset
	s_wait_dscnt 0x6
	s_clause 0x1
	flat_store_b32 v0, v4, s[0:1] offset:2048 scale_offset
	flat_store_b32 v0, v5, s[0:1] offset:3072 scale_offset
	s_wait_dscnt 0x7
	s_clause 0x1
	flat_store_b32 v0, v6, s[0:1] offset:4096 scale_offset
	;; [unrolled: 4-line block ×4, first 2 shown]
	flat_store_b32 v0, v11, s[0:1] offset:9216 scale_offset
	s_wait_dscnt 0xa
	flat_store_b32 v0, v14, s[0:1] offset:10240 scale_offset
.LBB488_181:
	s_wait_xcnt 0x0
	s_delay_alu instid0(VALU_DEP_1)
	s_and_saveexec_b32 s3, s2
	s_cbranch_execz .LBB488_183
; %bb.182:
	s_wait_dscnt 0x0
	flat_store_b32 v0, v15, s[0:1] offset:11264 scale_offset
	s_endpgm
.LBB488_183:
	s_endpgm
	.section	.rodata,"a",@progbits
	.p2align	6, 0x0
	.amdhsa_kernel _ZN7rocprim17ROCPRIM_400000_NS6detail17trampoline_kernelINS0_14default_configENS1_27scan_by_key_config_selectorIiiEEZZNS1_16scan_by_key_implILNS1_25lookback_scan_determinismE0ELb1ES3_N6thrust23THRUST_200600_302600_NS6detail15normal_iteratorINS9_10device_ptrIiEEEESE_SE_iNS9_4plusIvEENS9_8equal_toIvEEiEE10hipError_tPvRmT2_T3_T4_T5_mT6_T7_P12ihipStream_tbENKUlT_T0_E_clISt17integral_constantIbLb0EESY_IbLb1EEEEDaSU_SV_EUlSU_E_NS1_11comp_targetILNS1_3genE0ELNS1_11target_archE4294967295ELNS1_3gpuE0ELNS1_3repE0EEENS1_30default_config_static_selectorELNS0_4arch9wavefront6targetE0EEEvT1_
		.amdhsa_group_segment_fixed_size 14336
		.amdhsa_private_segment_fixed_size 0
		.amdhsa_kernarg_size 112
		.amdhsa_user_sgpr_count 2
		.amdhsa_user_sgpr_dispatch_ptr 0
		.amdhsa_user_sgpr_queue_ptr 0
		.amdhsa_user_sgpr_kernarg_segment_ptr 1
		.amdhsa_user_sgpr_dispatch_id 0
		.amdhsa_user_sgpr_kernarg_preload_length 0
		.amdhsa_user_sgpr_kernarg_preload_offset 0
		.amdhsa_user_sgpr_private_segment_size 0
		.amdhsa_wavefront_size32 1
		.amdhsa_uses_dynamic_stack 0
		.amdhsa_enable_private_segment 0
		.amdhsa_system_sgpr_workgroup_id_x 1
		.amdhsa_system_sgpr_workgroup_id_y 0
		.amdhsa_system_sgpr_workgroup_id_z 0
		.amdhsa_system_sgpr_workgroup_info 0
		.amdhsa_system_vgpr_workitem_id 0
		.amdhsa_next_free_vgpr 62
		.amdhsa_next_free_sgpr 39
		.amdhsa_named_barrier_count 0
		.amdhsa_reserve_vcc 1
		.amdhsa_float_round_mode_32 0
		.amdhsa_float_round_mode_16_64 0
		.amdhsa_float_denorm_mode_32 3
		.amdhsa_float_denorm_mode_16_64 3
		.amdhsa_fp16_overflow 0
		.amdhsa_memory_ordered 1
		.amdhsa_forward_progress 1
		.amdhsa_inst_pref_size 95
		.amdhsa_round_robin_scheduling 0
		.amdhsa_exception_fp_ieee_invalid_op 0
		.amdhsa_exception_fp_denorm_src 0
		.amdhsa_exception_fp_ieee_div_zero 0
		.amdhsa_exception_fp_ieee_overflow 0
		.amdhsa_exception_fp_ieee_underflow 0
		.amdhsa_exception_fp_ieee_inexact 0
		.amdhsa_exception_int_div_zero 0
	.end_amdhsa_kernel
	.section	.text._ZN7rocprim17ROCPRIM_400000_NS6detail17trampoline_kernelINS0_14default_configENS1_27scan_by_key_config_selectorIiiEEZZNS1_16scan_by_key_implILNS1_25lookback_scan_determinismE0ELb1ES3_N6thrust23THRUST_200600_302600_NS6detail15normal_iteratorINS9_10device_ptrIiEEEESE_SE_iNS9_4plusIvEENS9_8equal_toIvEEiEE10hipError_tPvRmT2_T3_T4_T5_mT6_T7_P12ihipStream_tbENKUlT_T0_E_clISt17integral_constantIbLb0EESY_IbLb1EEEEDaSU_SV_EUlSU_E_NS1_11comp_targetILNS1_3genE0ELNS1_11target_archE4294967295ELNS1_3gpuE0ELNS1_3repE0EEENS1_30default_config_static_selectorELNS0_4arch9wavefront6targetE0EEEvT1_,"axG",@progbits,_ZN7rocprim17ROCPRIM_400000_NS6detail17trampoline_kernelINS0_14default_configENS1_27scan_by_key_config_selectorIiiEEZZNS1_16scan_by_key_implILNS1_25lookback_scan_determinismE0ELb1ES3_N6thrust23THRUST_200600_302600_NS6detail15normal_iteratorINS9_10device_ptrIiEEEESE_SE_iNS9_4plusIvEENS9_8equal_toIvEEiEE10hipError_tPvRmT2_T3_T4_T5_mT6_T7_P12ihipStream_tbENKUlT_T0_E_clISt17integral_constantIbLb0EESY_IbLb1EEEEDaSU_SV_EUlSU_E_NS1_11comp_targetILNS1_3genE0ELNS1_11target_archE4294967295ELNS1_3gpuE0ELNS1_3repE0EEENS1_30default_config_static_selectorELNS0_4arch9wavefront6targetE0EEEvT1_,comdat
.Lfunc_end488:
	.size	_ZN7rocprim17ROCPRIM_400000_NS6detail17trampoline_kernelINS0_14default_configENS1_27scan_by_key_config_selectorIiiEEZZNS1_16scan_by_key_implILNS1_25lookback_scan_determinismE0ELb1ES3_N6thrust23THRUST_200600_302600_NS6detail15normal_iteratorINS9_10device_ptrIiEEEESE_SE_iNS9_4plusIvEENS9_8equal_toIvEEiEE10hipError_tPvRmT2_T3_T4_T5_mT6_T7_P12ihipStream_tbENKUlT_T0_E_clISt17integral_constantIbLb0EESY_IbLb1EEEEDaSU_SV_EUlSU_E_NS1_11comp_targetILNS1_3genE0ELNS1_11target_archE4294967295ELNS1_3gpuE0ELNS1_3repE0EEENS1_30default_config_static_selectorELNS0_4arch9wavefront6targetE0EEEvT1_, .Lfunc_end488-_ZN7rocprim17ROCPRIM_400000_NS6detail17trampoline_kernelINS0_14default_configENS1_27scan_by_key_config_selectorIiiEEZZNS1_16scan_by_key_implILNS1_25lookback_scan_determinismE0ELb1ES3_N6thrust23THRUST_200600_302600_NS6detail15normal_iteratorINS9_10device_ptrIiEEEESE_SE_iNS9_4plusIvEENS9_8equal_toIvEEiEE10hipError_tPvRmT2_T3_T4_T5_mT6_T7_P12ihipStream_tbENKUlT_T0_E_clISt17integral_constantIbLb0EESY_IbLb1EEEEDaSU_SV_EUlSU_E_NS1_11comp_targetILNS1_3genE0ELNS1_11target_archE4294967295ELNS1_3gpuE0ELNS1_3repE0EEENS1_30default_config_static_selectorELNS0_4arch9wavefront6targetE0EEEvT1_
                                        ; -- End function
	.set _ZN7rocprim17ROCPRIM_400000_NS6detail17trampoline_kernelINS0_14default_configENS1_27scan_by_key_config_selectorIiiEEZZNS1_16scan_by_key_implILNS1_25lookback_scan_determinismE0ELb1ES3_N6thrust23THRUST_200600_302600_NS6detail15normal_iteratorINS9_10device_ptrIiEEEESE_SE_iNS9_4plusIvEENS9_8equal_toIvEEiEE10hipError_tPvRmT2_T3_T4_T5_mT6_T7_P12ihipStream_tbENKUlT_T0_E_clISt17integral_constantIbLb0EESY_IbLb1EEEEDaSU_SV_EUlSU_E_NS1_11comp_targetILNS1_3genE0ELNS1_11target_archE4294967295ELNS1_3gpuE0ELNS1_3repE0EEENS1_30default_config_static_selectorELNS0_4arch9wavefront6targetE0EEEvT1_.num_vgpr, 62
	.set _ZN7rocprim17ROCPRIM_400000_NS6detail17trampoline_kernelINS0_14default_configENS1_27scan_by_key_config_selectorIiiEEZZNS1_16scan_by_key_implILNS1_25lookback_scan_determinismE0ELb1ES3_N6thrust23THRUST_200600_302600_NS6detail15normal_iteratorINS9_10device_ptrIiEEEESE_SE_iNS9_4plusIvEENS9_8equal_toIvEEiEE10hipError_tPvRmT2_T3_T4_T5_mT6_T7_P12ihipStream_tbENKUlT_T0_E_clISt17integral_constantIbLb0EESY_IbLb1EEEEDaSU_SV_EUlSU_E_NS1_11comp_targetILNS1_3genE0ELNS1_11target_archE4294967295ELNS1_3gpuE0ELNS1_3repE0EEENS1_30default_config_static_selectorELNS0_4arch9wavefront6targetE0EEEvT1_.num_agpr, 0
	.set _ZN7rocprim17ROCPRIM_400000_NS6detail17trampoline_kernelINS0_14default_configENS1_27scan_by_key_config_selectorIiiEEZZNS1_16scan_by_key_implILNS1_25lookback_scan_determinismE0ELb1ES3_N6thrust23THRUST_200600_302600_NS6detail15normal_iteratorINS9_10device_ptrIiEEEESE_SE_iNS9_4plusIvEENS9_8equal_toIvEEiEE10hipError_tPvRmT2_T3_T4_T5_mT6_T7_P12ihipStream_tbENKUlT_T0_E_clISt17integral_constantIbLb0EESY_IbLb1EEEEDaSU_SV_EUlSU_E_NS1_11comp_targetILNS1_3genE0ELNS1_11target_archE4294967295ELNS1_3gpuE0ELNS1_3repE0EEENS1_30default_config_static_selectorELNS0_4arch9wavefront6targetE0EEEvT1_.numbered_sgpr, 39
	.set _ZN7rocprim17ROCPRIM_400000_NS6detail17trampoline_kernelINS0_14default_configENS1_27scan_by_key_config_selectorIiiEEZZNS1_16scan_by_key_implILNS1_25lookback_scan_determinismE0ELb1ES3_N6thrust23THRUST_200600_302600_NS6detail15normal_iteratorINS9_10device_ptrIiEEEESE_SE_iNS9_4plusIvEENS9_8equal_toIvEEiEE10hipError_tPvRmT2_T3_T4_T5_mT6_T7_P12ihipStream_tbENKUlT_T0_E_clISt17integral_constantIbLb0EESY_IbLb1EEEEDaSU_SV_EUlSU_E_NS1_11comp_targetILNS1_3genE0ELNS1_11target_archE4294967295ELNS1_3gpuE0ELNS1_3repE0EEENS1_30default_config_static_selectorELNS0_4arch9wavefront6targetE0EEEvT1_.num_named_barrier, 0
	.set _ZN7rocprim17ROCPRIM_400000_NS6detail17trampoline_kernelINS0_14default_configENS1_27scan_by_key_config_selectorIiiEEZZNS1_16scan_by_key_implILNS1_25lookback_scan_determinismE0ELb1ES3_N6thrust23THRUST_200600_302600_NS6detail15normal_iteratorINS9_10device_ptrIiEEEESE_SE_iNS9_4plusIvEENS9_8equal_toIvEEiEE10hipError_tPvRmT2_T3_T4_T5_mT6_T7_P12ihipStream_tbENKUlT_T0_E_clISt17integral_constantIbLb0EESY_IbLb1EEEEDaSU_SV_EUlSU_E_NS1_11comp_targetILNS1_3genE0ELNS1_11target_archE4294967295ELNS1_3gpuE0ELNS1_3repE0EEENS1_30default_config_static_selectorELNS0_4arch9wavefront6targetE0EEEvT1_.private_seg_size, 0
	.set _ZN7rocprim17ROCPRIM_400000_NS6detail17trampoline_kernelINS0_14default_configENS1_27scan_by_key_config_selectorIiiEEZZNS1_16scan_by_key_implILNS1_25lookback_scan_determinismE0ELb1ES3_N6thrust23THRUST_200600_302600_NS6detail15normal_iteratorINS9_10device_ptrIiEEEESE_SE_iNS9_4plusIvEENS9_8equal_toIvEEiEE10hipError_tPvRmT2_T3_T4_T5_mT6_T7_P12ihipStream_tbENKUlT_T0_E_clISt17integral_constantIbLb0EESY_IbLb1EEEEDaSU_SV_EUlSU_E_NS1_11comp_targetILNS1_3genE0ELNS1_11target_archE4294967295ELNS1_3gpuE0ELNS1_3repE0EEENS1_30default_config_static_selectorELNS0_4arch9wavefront6targetE0EEEvT1_.uses_vcc, 1
	.set _ZN7rocprim17ROCPRIM_400000_NS6detail17trampoline_kernelINS0_14default_configENS1_27scan_by_key_config_selectorIiiEEZZNS1_16scan_by_key_implILNS1_25lookback_scan_determinismE0ELb1ES3_N6thrust23THRUST_200600_302600_NS6detail15normal_iteratorINS9_10device_ptrIiEEEESE_SE_iNS9_4plusIvEENS9_8equal_toIvEEiEE10hipError_tPvRmT2_T3_T4_T5_mT6_T7_P12ihipStream_tbENKUlT_T0_E_clISt17integral_constantIbLb0EESY_IbLb1EEEEDaSU_SV_EUlSU_E_NS1_11comp_targetILNS1_3genE0ELNS1_11target_archE4294967295ELNS1_3gpuE0ELNS1_3repE0EEENS1_30default_config_static_selectorELNS0_4arch9wavefront6targetE0EEEvT1_.uses_flat_scratch, 1
	.set _ZN7rocprim17ROCPRIM_400000_NS6detail17trampoline_kernelINS0_14default_configENS1_27scan_by_key_config_selectorIiiEEZZNS1_16scan_by_key_implILNS1_25lookback_scan_determinismE0ELb1ES3_N6thrust23THRUST_200600_302600_NS6detail15normal_iteratorINS9_10device_ptrIiEEEESE_SE_iNS9_4plusIvEENS9_8equal_toIvEEiEE10hipError_tPvRmT2_T3_T4_T5_mT6_T7_P12ihipStream_tbENKUlT_T0_E_clISt17integral_constantIbLb0EESY_IbLb1EEEEDaSU_SV_EUlSU_E_NS1_11comp_targetILNS1_3genE0ELNS1_11target_archE4294967295ELNS1_3gpuE0ELNS1_3repE0EEENS1_30default_config_static_selectorELNS0_4arch9wavefront6targetE0EEEvT1_.has_dyn_sized_stack, 0
	.set _ZN7rocprim17ROCPRIM_400000_NS6detail17trampoline_kernelINS0_14default_configENS1_27scan_by_key_config_selectorIiiEEZZNS1_16scan_by_key_implILNS1_25lookback_scan_determinismE0ELb1ES3_N6thrust23THRUST_200600_302600_NS6detail15normal_iteratorINS9_10device_ptrIiEEEESE_SE_iNS9_4plusIvEENS9_8equal_toIvEEiEE10hipError_tPvRmT2_T3_T4_T5_mT6_T7_P12ihipStream_tbENKUlT_T0_E_clISt17integral_constantIbLb0EESY_IbLb1EEEEDaSU_SV_EUlSU_E_NS1_11comp_targetILNS1_3genE0ELNS1_11target_archE4294967295ELNS1_3gpuE0ELNS1_3repE0EEENS1_30default_config_static_selectorELNS0_4arch9wavefront6targetE0EEEvT1_.has_recursion, 0
	.set _ZN7rocprim17ROCPRIM_400000_NS6detail17trampoline_kernelINS0_14default_configENS1_27scan_by_key_config_selectorIiiEEZZNS1_16scan_by_key_implILNS1_25lookback_scan_determinismE0ELb1ES3_N6thrust23THRUST_200600_302600_NS6detail15normal_iteratorINS9_10device_ptrIiEEEESE_SE_iNS9_4plusIvEENS9_8equal_toIvEEiEE10hipError_tPvRmT2_T3_T4_T5_mT6_T7_P12ihipStream_tbENKUlT_T0_E_clISt17integral_constantIbLb0EESY_IbLb1EEEEDaSU_SV_EUlSU_E_NS1_11comp_targetILNS1_3genE0ELNS1_11target_archE4294967295ELNS1_3gpuE0ELNS1_3repE0EEENS1_30default_config_static_selectorELNS0_4arch9wavefront6targetE0EEEvT1_.has_indirect_call, 0
	.section	.AMDGPU.csdata,"",@progbits
; Kernel info:
; codeLenInByte = 12140
; TotalNumSgprs: 41
; NumVgprs: 62
; ScratchSize: 0
; MemoryBound: 0
; FloatMode: 240
; IeeeMode: 1
; LDSByteSize: 14336 bytes/workgroup (compile time only)
; SGPRBlocks: 0
; VGPRBlocks: 3
; NumSGPRsForWavesPerEU: 41
; NumVGPRsForWavesPerEU: 62
; NamedBarCnt: 0
; Occupancy: 16
; WaveLimiterHint : 1
; COMPUTE_PGM_RSRC2:SCRATCH_EN: 0
; COMPUTE_PGM_RSRC2:USER_SGPR: 2
; COMPUTE_PGM_RSRC2:TRAP_HANDLER: 0
; COMPUTE_PGM_RSRC2:TGID_X_EN: 1
; COMPUTE_PGM_RSRC2:TGID_Y_EN: 0
; COMPUTE_PGM_RSRC2:TGID_Z_EN: 0
; COMPUTE_PGM_RSRC2:TIDIG_COMP_CNT: 0
	.section	.text._ZN7rocprim17ROCPRIM_400000_NS6detail17trampoline_kernelINS0_14default_configENS1_27scan_by_key_config_selectorIiiEEZZNS1_16scan_by_key_implILNS1_25lookback_scan_determinismE0ELb1ES3_N6thrust23THRUST_200600_302600_NS6detail15normal_iteratorINS9_10device_ptrIiEEEESE_SE_iNS9_4plusIvEENS9_8equal_toIvEEiEE10hipError_tPvRmT2_T3_T4_T5_mT6_T7_P12ihipStream_tbENKUlT_T0_E_clISt17integral_constantIbLb0EESY_IbLb1EEEEDaSU_SV_EUlSU_E_NS1_11comp_targetILNS1_3genE10ELNS1_11target_archE1201ELNS1_3gpuE5ELNS1_3repE0EEENS1_30default_config_static_selectorELNS0_4arch9wavefront6targetE0EEEvT1_,"axG",@progbits,_ZN7rocprim17ROCPRIM_400000_NS6detail17trampoline_kernelINS0_14default_configENS1_27scan_by_key_config_selectorIiiEEZZNS1_16scan_by_key_implILNS1_25lookback_scan_determinismE0ELb1ES3_N6thrust23THRUST_200600_302600_NS6detail15normal_iteratorINS9_10device_ptrIiEEEESE_SE_iNS9_4plusIvEENS9_8equal_toIvEEiEE10hipError_tPvRmT2_T3_T4_T5_mT6_T7_P12ihipStream_tbENKUlT_T0_E_clISt17integral_constantIbLb0EESY_IbLb1EEEEDaSU_SV_EUlSU_E_NS1_11comp_targetILNS1_3genE10ELNS1_11target_archE1201ELNS1_3gpuE5ELNS1_3repE0EEENS1_30default_config_static_selectorELNS0_4arch9wavefront6targetE0EEEvT1_,comdat
	.protected	_ZN7rocprim17ROCPRIM_400000_NS6detail17trampoline_kernelINS0_14default_configENS1_27scan_by_key_config_selectorIiiEEZZNS1_16scan_by_key_implILNS1_25lookback_scan_determinismE0ELb1ES3_N6thrust23THRUST_200600_302600_NS6detail15normal_iteratorINS9_10device_ptrIiEEEESE_SE_iNS9_4plusIvEENS9_8equal_toIvEEiEE10hipError_tPvRmT2_T3_T4_T5_mT6_T7_P12ihipStream_tbENKUlT_T0_E_clISt17integral_constantIbLb0EESY_IbLb1EEEEDaSU_SV_EUlSU_E_NS1_11comp_targetILNS1_3genE10ELNS1_11target_archE1201ELNS1_3gpuE5ELNS1_3repE0EEENS1_30default_config_static_selectorELNS0_4arch9wavefront6targetE0EEEvT1_ ; -- Begin function _ZN7rocprim17ROCPRIM_400000_NS6detail17trampoline_kernelINS0_14default_configENS1_27scan_by_key_config_selectorIiiEEZZNS1_16scan_by_key_implILNS1_25lookback_scan_determinismE0ELb1ES3_N6thrust23THRUST_200600_302600_NS6detail15normal_iteratorINS9_10device_ptrIiEEEESE_SE_iNS9_4plusIvEENS9_8equal_toIvEEiEE10hipError_tPvRmT2_T3_T4_T5_mT6_T7_P12ihipStream_tbENKUlT_T0_E_clISt17integral_constantIbLb0EESY_IbLb1EEEEDaSU_SV_EUlSU_E_NS1_11comp_targetILNS1_3genE10ELNS1_11target_archE1201ELNS1_3gpuE5ELNS1_3repE0EEENS1_30default_config_static_selectorELNS0_4arch9wavefront6targetE0EEEvT1_
	.globl	_ZN7rocprim17ROCPRIM_400000_NS6detail17trampoline_kernelINS0_14default_configENS1_27scan_by_key_config_selectorIiiEEZZNS1_16scan_by_key_implILNS1_25lookback_scan_determinismE0ELb1ES3_N6thrust23THRUST_200600_302600_NS6detail15normal_iteratorINS9_10device_ptrIiEEEESE_SE_iNS9_4plusIvEENS9_8equal_toIvEEiEE10hipError_tPvRmT2_T3_T4_T5_mT6_T7_P12ihipStream_tbENKUlT_T0_E_clISt17integral_constantIbLb0EESY_IbLb1EEEEDaSU_SV_EUlSU_E_NS1_11comp_targetILNS1_3genE10ELNS1_11target_archE1201ELNS1_3gpuE5ELNS1_3repE0EEENS1_30default_config_static_selectorELNS0_4arch9wavefront6targetE0EEEvT1_
	.p2align	8
	.type	_ZN7rocprim17ROCPRIM_400000_NS6detail17trampoline_kernelINS0_14default_configENS1_27scan_by_key_config_selectorIiiEEZZNS1_16scan_by_key_implILNS1_25lookback_scan_determinismE0ELb1ES3_N6thrust23THRUST_200600_302600_NS6detail15normal_iteratorINS9_10device_ptrIiEEEESE_SE_iNS9_4plusIvEENS9_8equal_toIvEEiEE10hipError_tPvRmT2_T3_T4_T5_mT6_T7_P12ihipStream_tbENKUlT_T0_E_clISt17integral_constantIbLb0EESY_IbLb1EEEEDaSU_SV_EUlSU_E_NS1_11comp_targetILNS1_3genE10ELNS1_11target_archE1201ELNS1_3gpuE5ELNS1_3repE0EEENS1_30default_config_static_selectorELNS0_4arch9wavefront6targetE0EEEvT1_,@function
_ZN7rocprim17ROCPRIM_400000_NS6detail17trampoline_kernelINS0_14default_configENS1_27scan_by_key_config_selectorIiiEEZZNS1_16scan_by_key_implILNS1_25lookback_scan_determinismE0ELb1ES3_N6thrust23THRUST_200600_302600_NS6detail15normal_iteratorINS9_10device_ptrIiEEEESE_SE_iNS9_4plusIvEENS9_8equal_toIvEEiEE10hipError_tPvRmT2_T3_T4_T5_mT6_T7_P12ihipStream_tbENKUlT_T0_E_clISt17integral_constantIbLb0EESY_IbLb1EEEEDaSU_SV_EUlSU_E_NS1_11comp_targetILNS1_3genE10ELNS1_11target_archE1201ELNS1_3gpuE5ELNS1_3repE0EEENS1_30default_config_static_selectorELNS0_4arch9wavefront6targetE0EEEvT1_: ; @_ZN7rocprim17ROCPRIM_400000_NS6detail17trampoline_kernelINS0_14default_configENS1_27scan_by_key_config_selectorIiiEEZZNS1_16scan_by_key_implILNS1_25lookback_scan_determinismE0ELb1ES3_N6thrust23THRUST_200600_302600_NS6detail15normal_iteratorINS9_10device_ptrIiEEEESE_SE_iNS9_4plusIvEENS9_8equal_toIvEEiEE10hipError_tPvRmT2_T3_T4_T5_mT6_T7_P12ihipStream_tbENKUlT_T0_E_clISt17integral_constantIbLb0EESY_IbLb1EEEEDaSU_SV_EUlSU_E_NS1_11comp_targetILNS1_3genE10ELNS1_11target_archE1201ELNS1_3gpuE5ELNS1_3repE0EEENS1_30default_config_static_selectorELNS0_4arch9wavefront6targetE0EEEvT1_
; %bb.0:
	.section	.rodata,"a",@progbits
	.p2align	6, 0x0
	.amdhsa_kernel _ZN7rocprim17ROCPRIM_400000_NS6detail17trampoline_kernelINS0_14default_configENS1_27scan_by_key_config_selectorIiiEEZZNS1_16scan_by_key_implILNS1_25lookback_scan_determinismE0ELb1ES3_N6thrust23THRUST_200600_302600_NS6detail15normal_iteratorINS9_10device_ptrIiEEEESE_SE_iNS9_4plusIvEENS9_8equal_toIvEEiEE10hipError_tPvRmT2_T3_T4_T5_mT6_T7_P12ihipStream_tbENKUlT_T0_E_clISt17integral_constantIbLb0EESY_IbLb1EEEEDaSU_SV_EUlSU_E_NS1_11comp_targetILNS1_3genE10ELNS1_11target_archE1201ELNS1_3gpuE5ELNS1_3repE0EEENS1_30default_config_static_selectorELNS0_4arch9wavefront6targetE0EEEvT1_
		.amdhsa_group_segment_fixed_size 0
		.amdhsa_private_segment_fixed_size 0
		.amdhsa_kernarg_size 112
		.amdhsa_user_sgpr_count 2
		.amdhsa_user_sgpr_dispatch_ptr 0
		.amdhsa_user_sgpr_queue_ptr 0
		.amdhsa_user_sgpr_kernarg_segment_ptr 1
		.amdhsa_user_sgpr_dispatch_id 0
		.amdhsa_user_sgpr_kernarg_preload_length 0
		.amdhsa_user_sgpr_kernarg_preload_offset 0
		.amdhsa_user_sgpr_private_segment_size 0
		.amdhsa_wavefront_size32 1
		.amdhsa_uses_dynamic_stack 0
		.amdhsa_enable_private_segment 0
		.amdhsa_system_sgpr_workgroup_id_x 1
		.amdhsa_system_sgpr_workgroup_id_y 0
		.amdhsa_system_sgpr_workgroup_id_z 0
		.amdhsa_system_sgpr_workgroup_info 0
		.amdhsa_system_vgpr_workitem_id 0
		.amdhsa_next_free_vgpr 1
		.amdhsa_next_free_sgpr 1
		.amdhsa_named_barrier_count 0
		.amdhsa_reserve_vcc 0
		.amdhsa_float_round_mode_32 0
		.amdhsa_float_round_mode_16_64 0
		.amdhsa_float_denorm_mode_32 3
		.amdhsa_float_denorm_mode_16_64 3
		.amdhsa_fp16_overflow 0
		.amdhsa_memory_ordered 1
		.amdhsa_forward_progress 1
		.amdhsa_inst_pref_size 0
		.amdhsa_round_robin_scheduling 0
		.amdhsa_exception_fp_ieee_invalid_op 0
		.amdhsa_exception_fp_denorm_src 0
		.amdhsa_exception_fp_ieee_div_zero 0
		.amdhsa_exception_fp_ieee_overflow 0
		.amdhsa_exception_fp_ieee_underflow 0
		.amdhsa_exception_fp_ieee_inexact 0
		.amdhsa_exception_int_div_zero 0
	.end_amdhsa_kernel
	.section	.text._ZN7rocprim17ROCPRIM_400000_NS6detail17trampoline_kernelINS0_14default_configENS1_27scan_by_key_config_selectorIiiEEZZNS1_16scan_by_key_implILNS1_25lookback_scan_determinismE0ELb1ES3_N6thrust23THRUST_200600_302600_NS6detail15normal_iteratorINS9_10device_ptrIiEEEESE_SE_iNS9_4plusIvEENS9_8equal_toIvEEiEE10hipError_tPvRmT2_T3_T4_T5_mT6_T7_P12ihipStream_tbENKUlT_T0_E_clISt17integral_constantIbLb0EESY_IbLb1EEEEDaSU_SV_EUlSU_E_NS1_11comp_targetILNS1_3genE10ELNS1_11target_archE1201ELNS1_3gpuE5ELNS1_3repE0EEENS1_30default_config_static_selectorELNS0_4arch9wavefront6targetE0EEEvT1_,"axG",@progbits,_ZN7rocprim17ROCPRIM_400000_NS6detail17trampoline_kernelINS0_14default_configENS1_27scan_by_key_config_selectorIiiEEZZNS1_16scan_by_key_implILNS1_25lookback_scan_determinismE0ELb1ES3_N6thrust23THRUST_200600_302600_NS6detail15normal_iteratorINS9_10device_ptrIiEEEESE_SE_iNS9_4plusIvEENS9_8equal_toIvEEiEE10hipError_tPvRmT2_T3_T4_T5_mT6_T7_P12ihipStream_tbENKUlT_T0_E_clISt17integral_constantIbLb0EESY_IbLb1EEEEDaSU_SV_EUlSU_E_NS1_11comp_targetILNS1_3genE10ELNS1_11target_archE1201ELNS1_3gpuE5ELNS1_3repE0EEENS1_30default_config_static_selectorELNS0_4arch9wavefront6targetE0EEEvT1_,comdat
.Lfunc_end489:
	.size	_ZN7rocprim17ROCPRIM_400000_NS6detail17trampoline_kernelINS0_14default_configENS1_27scan_by_key_config_selectorIiiEEZZNS1_16scan_by_key_implILNS1_25lookback_scan_determinismE0ELb1ES3_N6thrust23THRUST_200600_302600_NS6detail15normal_iteratorINS9_10device_ptrIiEEEESE_SE_iNS9_4plusIvEENS9_8equal_toIvEEiEE10hipError_tPvRmT2_T3_T4_T5_mT6_T7_P12ihipStream_tbENKUlT_T0_E_clISt17integral_constantIbLb0EESY_IbLb1EEEEDaSU_SV_EUlSU_E_NS1_11comp_targetILNS1_3genE10ELNS1_11target_archE1201ELNS1_3gpuE5ELNS1_3repE0EEENS1_30default_config_static_selectorELNS0_4arch9wavefront6targetE0EEEvT1_, .Lfunc_end489-_ZN7rocprim17ROCPRIM_400000_NS6detail17trampoline_kernelINS0_14default_configENS1_27scan_by_key_config_selectorIiiEEZZNS1_16scan_by_key_implILNS1_25lookback_scan_determinismE0ELb1ES3_N6thrust23THRUST_200600_302600_NS6detail15normal_iteratorINS9_10device_ptrIiEEEESE_SE_iNS9_4plusIvEENS9_8equal_toIvEEiEE10hipError_tPvRmT2_T3_T4_T5_mT6_T7_P12ihipStream_tbENKUlT_T0_E_clISt17integral_constantIbLb0EESY_IbLb1EEEEDaSU_SV_EUlSU_E_NS1_11comp_targetILNS1_3genE10ELNS1_11target_archE1201ELNS1_3gpuE5ELNS1_3repE0EEENS1_30default_config_static_selectorELNS0_4arch9wavefront6targetE0EEEvT1_
                                        ; -- End function
	.set _ZN7rocprim17ROCPRIM_400000_NS6detail17trampoline_kernelINS0_14default_configENS1_27scan_by_key_config_selectorIiiEEZZNS1_16scan_by_key_implILNS1_25lookback_scan_determinismE0ELb1ES3_N6thrust23THRUST_200600_302600_NS6detail15normal_iteratorINS9_10device_ptrIiEEEESE_SE_iNS9_4plusIvEENS9_8equal_toIvEEiEE10hipError_tPvRmT2_T3_T4_T5_mT6_T7_P12ihipStream_tbENKUlT_T0_E_clISt17integral_constantIbLb0EESY_IbLb1EEEEDaSU_SV_EUlSU_E_NS1_11comp_targetILNS1_3genE10ELNS1_11target_archE1201ELNS1_3gpuE5ELNS1_3repE0EEENS1_30default_config_static_selectorELNS0_4arch9wavefront6targetE0EEEvT1_.num_vgpr, 0
	.set _ZN7rocprim17ROCPRIM_400000_NS6detail17trampoline_kernelINS0_14default_configENS1_27scan_by_key_config_selectorIiiEEZZNS1_16scan_by_key_implILNS1_25lookback_scan_determinismE0ELb1ES3_N6thrust23THRUST_200600_302600_NS6detail15normal_iteratorINS9_10device_ptrIiEEEESE_SE_iNS9_4plusIvEENS9_8equal_toIvEEiEE10hipError_tPvRmT2_T3_T4_T5_mT6_T7_P12ihipStream_tbENKUlT_T0_E_clISt17integral_constantIbLb0EESY_IbLb1EEEEDaSU_SV_EUlSU_E_NS1_11comp_targetILNS1_3genE10ELNS1_11target_archE1201ELNS1_3gpuE5ELNS1_3repE0EEENS1_30default_config_static_selectorELNS0_4arch9wavefront6targetE0EEEvT1_.num_agpr, 0
	.set _ZN7rocprim17ROCPRIM_400000_NS6detail17trampoline_kernelINS0_14default_configENS1_27scan_by_key_config_selectorIiiEEZZNS1_16scan_by_key_implILNS1_25lookback_scan_determinismE0ELb1ES3_N6thrust23THRUST_200600_302600_NS6detail15normal_iteratorINS9_10device_ptrIiEEEESE_SE_iNS9_4plusIvEENS9_8equal_toIvEEiEE10hipError_tPvRmT2_T3_T4_T5_mT6_T7_P12ihipStream_tbENKUlT_T0_E_clISt17integral_constantIbLb0EESY_IbLb1EEEEDaSU_SV_EUlSU_E_NS1_11comp_targetILNS1_3genE10ELNS1_11target_archE1201ELNS1_3gpuE5ELNS1_3repE0EEENS1_30default_config_static_selectorELNS0_4arch9wavefront6targetE0EEEvT1_.numbered_sgpr, 0
	.set _ZN7rocprim17ROCPRIM_400000_NS6detail17trampoline_kernelINS0_14default_configENS1_27scan_by_key_config_selectorIiiEEZZNS1_16scan_by_key_implILNS1_25lookback_scan_determinismE0ELb1ES3_N6thrust23THRUST_200600_302600_NS6detail15normal_iteratorINS9_10device_ptrIiEEEESE_SE_iNS9_4plusIvEENS9_8equal_toIvEEiEE10hipError_tPvRmT2_T3_T4_T5_mT6_T7_P12ihipStream_tbENKUlT_T0_E_clISt17integral_constantIbLb0EESY_IbLb1EEEEDaSU_SV_EUlSU_E_NS1_11comp_targetILNS1_3genE10ELNS1_11target_archE1201ELNS1_3gpuE5ELNS1_3repE0EEENS1_30default_config_static_selectorELNS0_4arch9wavefront6targetE0EEEvT1_.num_named_barrier, 0
	.set _ZN7rocprim17ROCPRIM_400000_NS6detail17trampoline_kernelINS0_14default_configENS1_27scan_by_key_config_selectorIiiEEZZNS1_16scan_by_key_implILNS1_25lookback_scan_determinismE0ELb1ES3_N6thrust23THRUST_200600_302600_NS6detail15normal_iteratorINS9_10device_ptrIiEEEESE_SE_iNS9_4plusIvEENS9_8equal_toIvEEiEE10hipError_tPvRmT2_T3_T4_T5_mT6_T7_P12ihipStream_tbENKUlT_T0_E_clISt17integral_constantIbLb0EESY_IbLb1EEEEDaSU_SV_EUlSU_E_NS1_11comp_targetILNS1_3genE10ELNS1_11target_archE1201ELNS1_3gpuE5ELNS1_3repE0EEENS1_30default_config_static_selectorELNS0_4arch9wavefront6targetE0EEEvT1_.private_seg_size, 0
	.set _ZN7rocprim17ROCPRIM_400000_NS6detail17trampoline_kernelINS0_14default_configENS1_27scan_by_key_config_selectorIiiEEZZNS1_16scan_by_key_implILNS1_25lookback_scan_determinismE0ELb1ES3_N6thrust23THRUST_200600_302600_NS6detail15normal_iteratorINS9_10device_ptrIiEEEESE_SE_iNS9_4plusIvEENS9_8equal_toIvEEiEE10hipError_tPvRmT2_T3_T4_T5_mT6_T7_P12ihipStream_tbENKUlT_T0_E_clISt17integral_constantIbLb0EESY_IbLb1EEEEDaSU_SV_EUlSU_E_NS1_11comp_targetILNS1_3genE10ELNS1_11target_archE1201ELNS1_3gpuE5ELNS1_3repE0EEENS1_30default_config_static_selectorELNS0_4arch9wavefront6targetE0EEEvT1_.uses_vcc, 0
	.set _ZN7rocprim17ROCPRIM_400000_NS6detail17trampoline_kernelINS0_14default_configENS1_27scan_by_key_config_selectorIiiEEZZNS1_16scan_by_key_implILNS1_25lookback_scan_determinismE0ELb1ES3_N6thrust23THRUST_200600_302600_NS6detail15normal_iteratorINS9_10device_ptrIiEEEESE_SE_iNS9_4plusIvEENS9_8equal_toIvEEiEE10hipError_tPvRmT2_T3_T4_T5_mT6_T7_P12ihipStream_tbENKUlT_T0_E_clISt17integral_constantIbLb0EESY_IbLb1EEEEDaSU_SV_EUlSU_E_NS1_11comp_targetILNS1_3genE10ELNS1_11target_archE1201ELNS1_3gpuE5ELNS1_3repE0EEENS1_30default_config_static_selectorELNS0_4arch9wavefront6targetE0EEEvT1_.uses_flat_scratch, 0
	.set _ZN7rocprim17ROCPRIM_400000_NS6detail17trampoline_kernelINS0_14default_configENS1_27scan_by_key_config_selectorIiiEEZZNS1_16scan_by_key_implILNS1_25lookback_scan_determinismE0ELb1ES3_N6thrust23THRUST_200600_302600_NS6detail15normal_iteratorINS9_10device_ptrIiEEEESE_SE_iNS9_4plusIvEENS9_8equal_toIvEEiEE10hipError_tPvRmT2_T3_T4_T5_mT6_T7_P12ihipStream_tbENKUlT_T0_E_clISt17integral_constantIbLb0EESY_IbLb1EEEEDaSU_SV_EUlSU_E_NS1_11comp_targetILNS1_3genE10ELNS1_11target_archE1201ELNS1_3gpuE5ELNS1_3repE0EEENS1_30default_config_static_selectorELNS0_4arch9wavefront6targetE0EEEvT1_.has_dyn_sized_stack, 0
	.set _ZN7rocprim17ROCPRIM_400000_NS6detail17trampoline_kernelINS0_14default_configENS1_27scan_by_key_config_selectorIiiEEZZNS1_16scan_by_key_implILNS1_25lookback_scan_determinismE0ELb1ES3_N6thrust23THRUST_200600_302600_NS6detail15normal_iteratorINS9_10device_ptrIiEEEESE_SE_iNS9_4plusIvEENS9_8equal_toIvEEiEE10hipError_tPvRmT2_T3_T4_T5_mT6_T7_P12ihipStream_tbENKUlT_T0_E_clISt17integral_constantIbLb0EESY_IbLb1EEEEDaSU_SV_EUlSU_E_NS1_11comp_targetILNS1_3genE10ELNS1_11target_archE1201ELNS1_3gpuE5ELNS1_3repE0EEENS1_30default_config_static_selectorELNS0_4arch9wavefront6targetE0EEEvT1_.has_recursion, 0
	.set _ZN7rocprim17ROCPRIM_400000_NS6detail17trampoline_kernelINS0_14default_configENS1_27scan_by_key_config_selectorIiiEEZZNS1_16scan_by_key_implILNS1_25lookback_scan_determinismE0ELb1ES3_N6thrust23THRUST_200600_302600_NS6detail15normal_iteratorINS9_10device_ptrIiEEEESE_SE_iNS9_4plusIvEENS9_8equal_toIvEEiEE10hipError_tPvRmT2_T3_T4_T5_mT6_T7_P12ihipStream_tbENKUlT_T0_E_clISt17integral_constantIbLb0EESY_IbLb1EEEEDaSU_SV_EUlSU_E_NS1_11comp_targetILNS1_3genE10ELNS1_11target_archE1201ELNS1_3gpuE5ELNS1_3repE0EEENS1_30default_config_static_selectorELNS0_4arch9wavefront6targetE0EEEvT1_.has_indirect_call, 0
	.section	.AMDGPU.csdata,"",@progbits
; Kernel info:
; codeLenInByte = 0
; TotalNumSgprs: 0
; NumVgprs: 0
; ScratchSize: 0
; MemoryBound: 0
; FloatMode: 240
; IeeeMode: 1
; LDSByteSize: 0 bytes/workgroup (compile time only)
; SGPRBlocks: 0
; VGPRBlocks: 0
; NumSGPRsForWavesPerEU: 1
; NumVGPRsForWavesPerEU: 1
; NamedBarCnt: 0
; Occupancy: 16
; WaveLimiterHint : 0
; COMPUTE_PGM_RSRC2:SCRATCH_EN: 0
; COMPUTE_PGM_RSRC2:USER_SGPR: 2
; COMPUTE_PGM_RSRC2:TRAP_HANDLER: 0
; COMPUTE_PGM_RSRC2:TGID_X_EN: 1
; COMPUTE_PGM_RSRC2:TGID_Y_EN: 0
; COMPUTE_PGM_RSRC2:TGID_Z_EN: 0
; COMPUTE_PGM_RSRC2:TIDIG_COMP_CNT: 0
	.section	.text._ZN7rocprim17ROCPRIM_400000_NS6detail17trampoline_kernelINS0_14default_configENS1_27scan_by_key_config_selectorIiiEEZZNS1_16scan_by_key_implILNS1_25lookback_scan_determinismE0ELb1ES3_N6thrust23THRUST_200600_302600_NS6detail15normal_iteratorINS9_10device_ptrIiEEEESE_SE_iNS9_4plusIvEENS9_8equal_toIvEEiEE10hipError_tPvRmT2_T3_T4_T5_mT6_T7_P12ihipStream_tbENKUlT_T0_E_clISt17integral_constantIbLb0EESY_IbLb1EEEEDaSU_SV_EUlSU_E_NS1_11comp_targetILNS1_3genE5ELNS1_11target_archE942ELNS1_3gpuE9ELNS1_3repE0EEENS1_30default_config_static_selectorELNS0_4arch9wavefront6targetE0EEEvT1_,"axG",@progbits,_ZN7rocprim17ROCPRIM_400000_NS6detail17trampoline_kernelINS0_14default_configENS1_27scan_by_key_config_selectorIiiEEZZNS1_16scan_by_key_implILNS1_25lookback_scan_determinismE0ELb1ES3_N6thrust23THRUST_200600_302600_NS6detail15normal_iteratorINS9_10device_ptrIiEEEESE_SE_iNS9_4plusIvEENS9_8equal_toIvEEiEE10hipError_tPvRmT2_T3_T4_T5_mT6_T7_P12ihipStream_tbENKUlT_T0_E_clISt17integral_constantIbLb0EESY_IbLb1EEEEDaSU_SV_EUlSU_E_NS1_11comp_targetILNS1_3genE5ELNS1_11target_archE942ELNS1_3gpuE9ELNS1_3repE0EEENS1_30default_config_static_selectorELNS0_4arch9wavefront6targetE0EEEvT1_,comdat
	.protected	_ZN7rocprim17ROCPRIM_400000_NS6detail17trampoline_kernelINS0_14default_configENS1_27scan_by_key_config_selectorIiiEEZZNS1_16scan_by_key_implILNS1_25lookback_scan_determinismE0ELb1ES3_N6thrust23THRUST_200600_302600_NS6detail15normal_iteratorINS9_10device_ptrIiEEEESE_SE_iNS9_4plusIvEENS9_8equal_toIvEEiEE10hipError_tPvRmT2_T3_T4_T5_mT6_T7_P12ihipStream_tbENKUlT_T0_E_clISt17integral_constantIbLb0EESY_IbLb1EEEEDaSU_SV_EUlSU_E_NS1_11comp_targetILNS1_3genE5ELNS1_11target_archE942ELNS1_3gpuE9ELNS1_3repE0EEENS1_30default_config_static_selectorELNS0_4arch9wavefront6targetE0EEEvT1_ ; -- Begin function _ZN7rocprim17ROCPRIM_400000_NS6detail17trampoline_kernelINS0_14default_configENS1_27scan_by_key_config_selectorIiiEEZZNS1_16scan_by_key_implILNS1_25lookback_scan_determinismE0ELb1ES3_N6thrust23THRUST_200600_302600_NS6detail15normal_iteratorINS9_10device_ptrIiEEEESE_SE_iNS9_4plusIvEENS9_8equal_toIvEEiEE10hipError_tPvRmT2_T3_T4_T5_mT6_T7_P12ihipStream_tbENKUlT_T0_E_clISt17integral_constantIbLb0EESY_IbLb1EEEEDaSU_SV_EUlSU_E_NS1_11comp_targetILNS1_3genE5ELNS1_11target_archE942ELNS1_3gpuE9ELNS1_3repE0EEENS1_30default_config_static_selectorELNS0_4arch9wavefront6targetE0EEEvT1_
	.globl	_ZN7rocprim17ROCPRIM_400000_NS6detail17trampoline_kernelINS0_14default_configENS1_27scan_by_key_config_selectorIiiEEZZNS1_16scan_by_key_implILNS1_25lookback_scan_determinismE0ELb1ES3_N6thrust23THRUST_200600_302600_NS6detail15normal_iteratorINS9_10device_ptrIiEEEESE_SE_iNS9_4plusIvEENS9_8equal_toIvEEiEE10hipError_tPvRmT2_T3_T4_T5_mT6_T7_P12ihipStream_tbENKUlT_T0_E_clISt17integral_constantIbLb0EESY_IbLb1EEEEDaSU_SV_EUlSU_E_NS1_11comp_targetILNS1_3genE5ELNS1_11target_archE942ELNS1_3gpuE9ELNS1_3repE0EEENS1_30default_config_static_selectorELNS0_4arch9wavefront6targetE0EEEvT1_
	.p2align	8
	.type	_ZN7rocprim17ROCPRIM_400000_NS6detail17trampoline_kernelINS0_14default_configENS1_27scan_by_key_config_selectorIiiEEZZNS1_16scan_by_key_implILNS1_25lookback_scan_determinismE0ELb1ES3_N6thrust23THRUST_200600_302600_NS6detail15normal_iteratorINS9_10device_ptrIiEEEESE_SE_iNS9_4plusIvEENS9_8equal_toIvEEiEE10hipError_tPvRmT2_T3_T4_T5_mT6_T7_P12ihipStream_tbENKUlT_T0_E_clISt17integral_constantIbLb0EESY_IbLb1EEEEDaSU_SV_EUlSU_E_NS1_11comp_targetILNS1_3genE5ELNS1_11target_archE942ELNS1_3gpuE9ELNS1_3repE0EEENS1_30default_config_static_selectorELNS0_4arch9wavefront6targetE0EEEvT1_,@function
_ZN7rocprim17ROCPRIM_400000_NS6detail17trampoline_kernelINS0_14default_configENS1_27scan_by_key_config_selectorIiiEEZZNS1_16scan_by_key_implILNS1_25lookback_scan_determinismE0ELb1ES3_N6thrust23THRUST_200600_302600_NS6detail15normal_iteratorINS9_10device_ptrIiEEEESE_SE_iNS9_4plusIvEENS9_8equal_toIvEEiEE10hipError_tPvRmT2_T3_T4_T5_mT6_T7_P12ihipStream_tbENKUlT_T0_E_clISt17integral_constantIbLb0EESY_IbLb1EEEEDaSU_SV_EUlSU_E_NS1_11comp_targetILNS1_3genE5ELNS1_11target_archE942ELNS1_3gpuE9ELNS1_3repE0EEENS1_30default_config_static_selectorELNS0_4arch9wavefront6targetE0EEEvT1_: ; @_ZN7rocprim17ROCPRIM_400000_NS6detail17trampoline_kernelINS0_14default_configENS1_27scan_by_key_config_selectorIiiEEZZNS1_16scan_by_key_implILNS1_25lookback_scan_determinismE0ELb1ES3_N6thrust23THRUST_200600_302600_NS6detail15normal_iteratorINS9_10device_ptrIiEEEESE_SE_iNS9_4plusIvEENS9_8equal_toIvEEiEE10hipError_tPvRmT2_T3_T4_T5_mT6_T7_P12ihipStream_tbENKUlT_T0_E_clISt17integral_constantIbLb0EESY_IbLb1EEEEDaSU_SV_EUlSU_E_NS1_11comp_targetILNS1_3genE5ELNS1_11target_archE942ELNS1_3gpuE9ELNS1_3repE0EEENS1_30default_config_static_selectorELNS0_4arch9wavefront6targetE0EEEvT1_
; %bb.0:
	.section	.rodata,"a",@progbits
	.p2align	6, 0x0
	.amdhsa_kernel _ZN7rocprim17ROCPRIM_400000_NS6detail17trampoline_kernelINS0_14default_configENS1_27scan_by_key_config_selectorIiiEEZZNS1_16scan_by_key_implILNS1_25lookback_scan_determinismE0ELb1ES3_N6thrust23THRUST_200600_302600_NS6detail15normal_iteratorINS9_10device_ptrIiEEEESE_SE_iNS9_4plusIvEENS9_8equal_toIvEEiEE10hipError_tPvRmT2_T3_T4_T5_mT6_T7_P12ihipStream_tbENKUlT_T0_E_clISt17integral_constantIbLb0EESY_IbLb1EEEEDaSU_SV_EUlSU_E_NS1_11comp_targetILNS1_3genE5ELNS1_11target_archE942ELNS1_3gpuE9ELNS1_3repE0EEENS1_30default_config_static_selectorELNS0_4arch9wavefront6targetE0EEEvT1_
		.amdhsa_group_segment_fixed_size 0
		.amdhsa_private_segment_fixed_size 0
		.amdhsa_kernarg_size 112
		.amdhsa_user_sgpr_count 2
		.amdhsa_user_sgpr_dispatch_ptr 0
		.amdhsa_user_sgpr_queue_ptr 0
		.amdhsa_user_sgpr_kernarg_segment_ptr 1
		.amdhsa_user_sgpr_dispatch_id 0
		.amdhsa_user_sgpr_kernarg_preload_length 0
		.amdhsa_user_sgpr_kernarg_preload_offset 0
		.amdhsa_user_sgpr_private_segment_size 0
		.amdhsa_wavefront_size32 1
		.amdhsa_uses_dynamic_stack 0
		.amdhsa_enable_private_segment 0
		.amdhsa_system_sgpr_workgroup_id_x 1
		.amdhsa_system_sgpr_workgroup_id_y 0
		.amdhsa_system_sgpr_workgroup_id_z 0
		.amdhsa_system_sgpr_workgroup_info 0
		.amdhsa_system_vgpr_workitem_id 0
		.amdhsa_next_free_vgpr 1
		.amdhsa_next_free_sgpr 1
		.amdhsa_named_barrier_count 0
		.amdhsa_reserve_vcc 0
		.amdhsa_float_round_mode_32 0
		.amdhsa_float_round_mode_16_64 0
		.amdhsa_float_denorm_mode_32 3
		.amdhsa_float_denorm_mode_16_64 3
		.amdhsa_fp16_overflow 0
		.amdhsa_memory_ordered 1
		.amdhsa_forward_progress 1
		.amdhsa_inst_pref_size 0
		.amdhsa_round_robin_scheduling 0
		.amdhsa_exception_fp_ieee_invalid_op 0
		.amdhsa_exception_fp_denorm_src 0
		.amdhsa_exception_fp_ieee_div_zero 0
		.amdhsa_exception_fp_ieee_overflow 0
		.amdhsa_exception_fp_ieee_underflow 0
		.amdhsa_exception_fp_ieee_inexact 0
		.amdhsa_exception_int_div_zero 0
	.end_amdhsa_kernel
	.section	.text._ZN7rocprim17ROCPRIM_400000_NS6detail17trampoline_kernelINS0_14default_configENS1_27scan_by_key_config_selectorIiiEEZZNS1_16scan_by_key_implILNS1_25lookback_scan_determinismE0ELb1ES3_N6thrust23THRUST_200600_302600_NS6detail15normal_iteratorINS9_10device_ptrIiEEEESE_SE_iNS9_4plusIvEENS9_8equal_toIvEEiEE10hipError_tPvRmT2_T3_T4_T5_mT6_T7_P12ihipStream_tbENKUlT_T0_E_clISt17integral_constantIbLb0EESY_IbLb1EEEEDaSU_SV_EUlSU_E_NS1_11comp_targetILNS1_3genE5ELNS1_11target_archE942ELNS1_3gpuE9ELNS1_3repE0EEENS1_30default_config_static_selectorELNS0_4arch9wavefront6targetE0EEEvT1_,"axG",@progbits,_ZN7rocprim17ROCPRIM_400000_NS6detail17trampoline_kernelINS0_14default_configENS1_27scan_by_key_config_selectorIiiEEZZNS1_16scan_by_key_implILNS1_25lookback_scan_determinismE0ELb1ES3_N6thrust23THRUST_200600_302600_NS6detail15normal_iteratorINS9_10device_ptrIiEEEESE_SE_iNS9_4plusIvEENS9_8equal_toIvEEiEE10hipError_tPvRmT2_T3_T4_T5_mT6_T7_P12ihipStream_tbENKUlT_T0_E_clISt17integral_constantIbLb0EESY_IbLb1EEEEDaSU_SV_EUlSU_E_NS1_11comp_targetILNS1_3genE5ELNS1_11target_archE942ELNS1_3gpuE9ELNS1_3repE0EEENS1_30default_config_static_selectorELNS0_4arch9wavefront6targetE0EEEvT1_,comdat
.Lfunc_end490:
	.size	_ZN7rocprim17ROCPRIM_400000_NS6detail17trampoline_kernelINS0_14default_configENS1_27scan_by_key_config_selectorIiiEEZZNS1_16scan_by_key_implILNS1_25lookback_scan_determinismE0ELb1ES3_N6thrust23THRUST_200600_302600_NS6detail15normal_iteratorINS9_10device_ptrIiEEEESE_SE_iNS9_4plusIvEENS9_8equal_toIvEEiEE10hipError_tPvRmT2_T3_T4_T5_mT6_T7_P12ihipStream_tbENKUlT_T0_E_clISt17integral_constantIbLb0EESY_IbLb1EEEEDaSU_SV_EUlSU_E_NS1_11comp_targetILNS1_3genE5ELNS1_11target_archE942ELNS1_3gpuE9ELNS1_3repE0EEENS1_30default_config_static_selectorELNS0_4arch9wavefront6targetE0EEEvT1_, .Lfunc_end490-_ZN7rocprim17ROCPRIM_400000_NS6detail17trampoline_kernelINS0_14default_configENS1_27scan_by_key_config_selectorIiiEEZZNS1_16scan_by_key_implILNS1_25lookback_scan_determinismE0ELb1ES3_N6thrust23THRUST_200600_302600_NS6detail15normal_iteratorINS9_10device_ptrIiEEEESE_SE_iNS9_4plusIvEENS9_8equal_toIvEEiEE10hipError_tPvRmT2_T3_T4_T5_mT6_T7_P12ihipStream_tbENKUlT_T0_E_clISt17integral_constantIbLb0EESY_IbLb1EEEEDaSU_SV_EUlSU_E_NS1_11comp_targetILNS1_3genE5ELNS1_11target_archE942ELNS1_3gpuE9ELNS1_3repE0EEENS1_30default_config_static_selectorELNS0_4arch9wavefront6targetE0EEEvT1_
                                        ; -- End function
	.set _ZN7rocprim17ROCPRIM_400000_NS6detail17trampoline_kernelINS0_14default_configENS1_27scan_by_key_config_selectorIiiEEZZNS1_16scan_by_key_implILNS1_25lookback_scan_determinismE0ELb1ES3_N6thrust23THRUST_200600_302600_NS6detail15normal_iteratorINS9_10device_ptrIiEEEESE_SE_iNS9_4plusIvEENS9_8equal_toIvEEiEE10hipError_tPvRmT2_T3_T4_T5_mT6_T7_P12ihipStream_tbENKUlT_T0_E_clISt17integral_constantIbLb0EESY_IbLb1EEEEDaSU_SV_EUlSU_E_NS1_11comp_targetILNS1_3genE5ELNS1_11target_archE942ELNS1_3gpuE9ELNS1_3repE0EEENS1_30default_config_static_selectorELNS0_4arch9wavefront6targetE0EEEvT1_.num_vgpr, 0
	.set _ZN7rocprim17ROCPRIM_400000_NS6detail17trampoline_kernelINS0_14default_configENS1_27scan_by_key_config_selectorIiiEEZZNS1_16scan_by_key_implILNS1_25lookback_scan_determinismE0ELb1ES3_N6thrust23THRUST_200600_302600_NS6detail15normal_iteratorINS9_10device_ptrIiEEEESE_SE_iNS9_4plusIvEENS9_8equal_toIvEEiEE10hipError_tPvRmT2_T3_T4_T5_mT6_T7_P12ihipStream_tbENKUlT_T0_E_clISt17integral_constantIbLb0EESY_IbLb1EEEEDaSU_SV_EUlSU_E_NS1_11comp_targetILNS1_3genE5ELNS1_11target_archE942ELNS1_3gpuE9ELNS1_3repE0EEENS1_30default_config_static_selectorELNS0_4arch9wavefront6targetE0EEEvT1_.num_agpr, 0
	.set _ZN7rocprim17ROCPRIM_400000_NS6detail17trampoline_kernelINS0_14default_configENS1_27scan_by_key_config_selectorIiiEEZZNS1_16scan_by_key_implILNS1_25lookback_scan_determinismE0ELb1ES3_N6thrust23THRUST_200600_302600_NS6detail15normal_iteratorINS9_10device_ptrIiEEEESE_SE_iNS9_4plusIvEENS9_8equal_toIvEEiEE10hipError_tPvRmT2_T3_T4_T5_mT6_T7_P12ihipStream_tbENKUlT_T0_E_clISt17integral_constantIbLb0EESY_IbLb1EEEEDaSU_SV_EUlSU_E_NS1_11comp_targetILNS1_3genE5ELNS1_11target_archE942ELNS1_3gpuE9ELNS1_3repE0EEENS1_30default_config_static_selectorELNS0_4arch9wavefront6targetE0EEEvT1_.numbered_sgpr, 0
	.set _ZN7rocprim17ROCPRIM_400000_NS6detail17trampoline_kernelINS0_14default_configENS1_27scan_by_key_config_selectorIiiEEZZNS1_16scan_by_key_implILNS1_25lookback_scan_determinismE0ELb1ES3_N6thrust23THRUST_200600_302600_NS6detail15normal_iteratorINS9_10device_ptrIiEEEESE_SE_iNS9_4plusIvEENS9_8equal_toIvEEiEE10hipError_tPvRmT2_T3_T4_T5_mT6_T7_P12ihipStream_tbENKUlT_T0_E_clISt17integral_constantIbLb0EESY_IbLb1EEEEDaSU_SV_EUlSU_E_NS1_11comp_targetILNS1_3genE5ELNS1_11target_archE942ELNS1_3gpuE9ELNS1_3repE0EEENS1_30default_config_static_selectorELNS0_4arch9wavefront6targetE0EEEvT1_.num_named_barrier, 0
	.set _ZN7rocprim17ROCPRIM_400000_NS6detail17trampoline_kernelINS0_14default_configENS1_27scan_by_key_config_selectorIiiEEZZNS1_16scan_by_key_implILNS1_25lookback_scan_determinismE0ELb1ES3_N6thrust23THRUST_200600_302600_NS6detail15normal_iteratorINS9_10device_ptrIiEEEESE_SE_iNS9_4plusIvEENS9_8equal_toIvEEiEE10hipError_tPvRmT2_T3_T4_T5_mT6_T7_P12ihipStream_tbENKUlT_T0_E_clISt17integral_constantIbLb0EESY_IbLb1EEEEDaSU_SV_EUlSU_E_NS1_11comp_targetILNS1_3genE5ELNS1_11target_archE942ELNS1_3gpuE9ELNS1_3repE0EEENS1_30default_config_static_selectorELNS0_4arch9wavefront6targetE0EEEvT1_.private_seg_size, 0
	.set _ZN7rocprim17ROCPRIM_400000_NS6detail17trampoline_kernelINS0_14default_configENS1_27scan_by_key_config_selectorIiiEEZZNS1_16scan_by_key_implILNS1_25lookback_scan_determinismE0ELb1ES3_N6thrust23THRUST_200600_302600_NS6detail15normal_iteratorINS9_10device_ptrIiEEEESE_SE_iNS9_4plusIvEENS9_8equal_toIvEEiEE10hipError_tPvRmT2_T3_T4_T5_mT6_T7_P12ihipStream_tbENKUlT_T0_E_clISt17integral_constantIbLb0EESY_IbLb1EEEEDaSU_SV_EUlSU_E_NS1_11comp_targetILNS1_3genE5ELNS1_11target_archE942ELNS1_3gpuE9ELNS1_3repE0EEENS1_30default_config_static_selectorELNS0_4arch9wavefront6targetE0EEEvT1_.uses_vcc, 0
	.set _ZN7rocprim17ROCPRIM_400000_NS6detail17trampoline_kernelINS0_14default_configENS1_27scan_by_key_config_selectorIiiEEZZNS1_16scan_by_key_implILNS1_25lookback_scan_determinismE0ELb1ES3_N6thrust23THRUST_200600_302600_NS6detail15normal_iteratorINS9_10device_ptrIiEEEESE_SE_iNS9_4plusIvEENS9_8equal_toIvEEiEE10hipError_tPvRmT2_T3_T4_T5_mT6_T7_P12ihipStream_tbENKUlT_T0_E_clISt17integral_constantIbLb0EESY_IbLb1EEEEDaSU_SV_EUlSU_E_NS1_11comp_targetILNS1_3genE5ELNS1_11target_archE942ELNS1_3gpuE9ELNS1_3repE0EEENS1_30default_config_static_selectorELNS0_4arch9wavefront6targetE0EEEvT1_.uses_flat_scratch, 0
	.set _ZN7rocprim17ROCPRIM_400000_NS6detail17trampoline_kernelINS0_14default_configENS1_27scan_by_key_config_selectorIiiEEZZNS1_16scan_by_key_implILNS1_25lookback_scan_determinismE0ELb1ES3_N6thrust23THRUST_200600_302600_NS6detail15normal_iteratorINS9_10device_ptrIiEEEESE_SE_iNS9_4plusIvEENS9_8equal_toIvEEiEE10hipError_tPvRmT2_T3_T4_T5_mT6_T7_P12ihipStream_tbENKUlT_T0_E_clISt17integral_constantIbLb0EESY_IbLb1EEEEDaSU_SV_EUlSU_E_NS1_11comp_targetILNS1_3genE5ELNS1_11target_archE942ELNS1_3gpuE9ELNS1_3repE0EEENS1_30default_config_static_selectorELNS0_4arch9wavefront6targetE0EEEvT1_.has_dyn_sized_stack, 0
	.set _ZN7rocprim17ROCPRIM_400000_NS6detail17trampoline_kernelINS0_14default_configENS1_27scan_by_key_config_selectorIiiEEZZNS1_16scan_by_key_implILNS1_25lookback_scan_determinismE0ELb1ES3_N6thrust23THRUST_200600_302600_NS6detail15normal_iteratorINS9_10device_ptrIiEEEESE_SE_iNS9_4plusIvEENS9_8equal_toIvEEiEE10hipError_tPvRmT2_T3_T4_T5_mT6_T7_P12ihipStream_tbENKUlT_T0_E_clISt17integral_constantIbLb0EESY_IbLb1EEEEDaSU_SV_EUlSU_E_NS1_11comp_targetILNS1_3genE5ELNS1_11target_archE942ELNS1_3gpuE9ELNS1_3repE0EEENS1_30default_config_static_selectorELNS0_4arch9wavefront6targetE0EEEvT1_.has_recursion, 0
	.set _ZN7rocprim17ROCPRIM_400000_NS6detail17trampoline_kernelINS0_14default_configENS1_27scan_by_key_config_selectorIiiEEZZNS1_16scan_by_key_implILNS1_25lookback_scan_determinismE0ELb1ES3_N6thrust23THRUST_200600_302600_NS6detail15normal_iteratorINS9_10device_ptrIiEEEESE_SE_iNS9_4plusIvEENS9_8equal_toIvEEiEE10hipError_tPvRmT2_T3_T4_T5_mT6_T7_P12ihipStream_tbENKUlT_T0_E_clISt17integral_constantIbLb0EESY_IbLb1EEEEDaSU_SV_EUlSU_E_NS1_11comp_targetILNS1_3genE5ELNS1_11target_archE942ELNS1_3gpuE9ELNS1_3repE0EEENS1_30default_config_static_selectorELNS0_4arch9wavefront6targetE0EEEvT1_.has_indirect_call, 0
	.section	.AMDGPU.csdata,"",@progbits
; Kernel info:
; codeLenInByte = 0
; TotalNumSgprs: 0
; NumVgprs: 0
; ScratchSize: 0
; MemoryBound: 0
; FloatMode: 240
; IeeeMode: 1
; LDSByteSize: 0 bytes/workgroup (compile time only)
; SGPRBlocks: 0
; VGPRBlocks: 0
; NumSGPRsForWavesPerEU: 1
; NumVGPRsForWavesPerEU: 1
; NamedBarCnt: 0
; Occupancy: 16
; WaveLimiterHint : 0
; COMPUTE_PGM_RSRC2:SCRATCH_EN: 0
; COMPUTE_PGM_RSRC2:USER_SGPR: 2
; COMPUTE_PGM_RSRC2:TRAP_HANDLER: 0
; COMPUTE_PGM_RSRC2:TGID_X_EN: 1
; COMPUTE_PGM_RSRC2:TGID_Y_EN: 0
; COMPUTE_PGM_RSRC2:TGID_Z_EN: 0
; COMPUTE_PGM_RSRC2:TIDIG_COMP_CNT: 0
	.section	.text._ZN7rocprim17ROCPRIM_400000_NS6detail17trampoline_kernelINS0_14default_configENS1_27scan_by_key_config_selectorIiiEEZZNS1_16scan_by_key_implILNS1_25lookback_scan_determinismE0ELb1ES3_N6thrust23THRUST_200600_302600_NS6detail15normal_iteratorINS9_10device_ptrIiEEEESE_SE_iNS9_4plusIvEENS9_8equal_toIvEEiEE10hipError_tPvRmT2_T3_T4_T5_mT6_T7_P12ihipStream_tbENKUlT_T0_E_clISt17integral_constantIbLb0EESY_IbLb1EEEEDaSU_SV_EUlSU_E_NS1_11comp_targetILNS1_3genE4ELNS1_11target_archE910ELNS1_3gpuE8ELNS1_3repE0EEENS1_30default_config_static_selectorELNS0_4arch9wavefront6targetE0EEEvT1_,"axG",@progbits,_ZN7rocprim17ROCPRIM_400000_NS6detail17trampoline_kernelINS0_14default_configENS1_27scan_by_key_config_selectorIiiEEZZNS1_16scan_by_key_implILNS1_25lookback_scan_determinismE0ELb1ES3_N6thrust23THRUST_200600_302600_NS6detail15normal_iteratorINS9_10device_ptrIiEEEESE_SE_iNS9_4plusIvEENS9_8equal_toIvEEiEE10hipError_tPvRmT2_T3_T4_T5_mT6_T7_P12ihipStream_tbENKUlT_T0_E_clISt17integral_constantIbLb0EESY_IbLb1EEEEDaSU_SV_EUlSU_E_NS1_11comp_targetILNS1_3genE4ELNS1_11target_archE910ELNS1_3gpuE8ELNS1_3repE0EEENS1_30default_config_static_selectorELNS0_4arch9wavefront6targetE0EEEvT1_,comdat
	.protected	_ZN7rocprim17ROCPRIM_400000_NS6detail17trampoline_kernelINS0_14default_configENS1_27scan_by_key_config_selectorIiiEEZZNS1_16scan_by_key_implILNS1_25lookback_scan_determinismE0ELb1ES3_N6thrust23THRUST_200600_302600_NS6detail15normal_iteratorINS9_10device_ptrIiEEEESE_SE_iNS9_4plusIvEENS9_8equal_toIvEEiEE10hipError_tPvRmT2_T3_T4_T5_mT6_T7_P12ihipStream_tbENKUlT_T0_E_clISt17integral_constantIbLb0EESY_IbLb1EEEEDaSU_SV_EUlSU_E_NS1_11comp_targetILNS1_3genE4ELNS1_11target_archE910ELNS1_3gpuE8ELNS1_3repE0EEENS1_30default_config_static_selectorELNS0_4arch9wavefront6targetE0EEEvT1_ ; -- Begin function _ZN7rocprim17ROCPRIM_400000_NS6detail17trampoline_kernelINS0_14default_configENS1_27scan_by_key_config_selectorIiiEEZZNS1_16scan_by_key_implILNS1_25lookback_scan_determinismE0ELb1ES3_N6thrust23THRUST_200600_302600_NS6detail15normal_iteratorINS9_10device_ptrIiEEEESE_SE_iNS9_4plusIvEENS9_8equal_toIvEEiEE10hipError_tPvRmT2_T3_T4_T5_mT6_T7_P12ihipStream_tbENKUlT_T0_E_clISt17integral_constantIbLb0EESY_IbLb1EEEEDaSU_SV_EUlSU_E_NS1_11comp_targetILNS1_3genE4ELNS1_11target_archE910ELNS1_3gpuE8ELNS1_3repE0EEENS1_30default_config_static_selectorELNS0_4arch9wavefront6targetE0EEEvT1_
	.globl	_ZN7rocprim17ROCPRIM_400000_NS6detail17trampoline_kernelINS0_14default_configENS1_27scan_by_key_config_selectorIiiEEZZNS1_16scan_by_key_implILNS1_25lookback_scan_determinismE0ELb1ES3_N6thrust23THRUST_200600_302600_NS6detail15normal_iteratorINS9_10device_ptrIiEEEESE_SE_iNS9_4plusIvEENS9_8equal_toIvEEiEE10hipError_tPvRmT2_T3_T4_T5_mT6_T7_P12ihipStream_tbENKUlT_T0_E_clISt17integral_constantIbLb0EESY_IbLb1EEEEDaSU_SV_EUlSU_E_NS1_11comp_targetILNS1_3genE4ELNS1_11target_archE910ELNS1_3gpuE8ELNS1_3repE0EEENS1_30default_config_static_selectorELNS0_4arch9wavefront6targetE0EEEvT1_
	.p2align	8
	.type	_ZN7rocprim17ROCPRIM_400000_NS6detail17trampoline_kernelINS0_14default_configENS1_27scan_by_key_config_selectorIiiEEZZNS1_16scan_by_key_implILNS1_25lookback_scan_determinismE0ELb1ES3_N6thrust23THRUST_200600_302600_NS6detail15normal_iteratorINS9_10device_ptrIiEEEESE_SE_iNS9_4plusIvEENS9_8equal_toIvEEiEE10hipError_tPvRmT2_T3_T4_T5_mT6_T7_P12ihipStream_tbENKUlT_T0_E_clISt17integral_constantIbLb0EESY_IbLb1EEEEDaSU_SV_EUlSU_E_NS1_11comp_targetILNS1_3genE4ELNS1_11target_archE910ELNS1_3gpuE8ELNS1_3repE0EEENS1_30default_config_static_selectorELNS0_4arch9wavefront6targetE0EEEvT1_,@function
_ZN7rocprim17ROCPRIM_400000_NS6detail17trampoline_kernelINS0_14default_configENS1_27scan_by_key_config_selectorIiiEEZZNS1_16scan_by_key_implILNS1_25lookback_scan_determinismE0ELb1ES3_N6thrust23THRUST_200600_302600_NS6detail15normal_iteratorINS9_10device_ptrIiEEEESE_SE_iNS9_4plusIvEENS9_8equal_toIvEEiEE10hipError_tPvRmT2_T3_T4_T5_mT6_T7_P12ihipStream_tbENKUlT_T0_E_clISt17integral_constantIbLb0EESY_IbLb1EEEEDaSU_SV_EUlSU_E_NS1_11comp_targetILNS1_3genE4ELNS1_11target_archE910ELNS1_3gpuE8ELNS1_3repE0EEENS1_30default_config_static_selectorELNS0_4arch9wavefront6targetE0EEEvT1_: ; @_ZN7rocprim17ROCPRIM_400000_NS6detail17trampoline_kernelINS0_14default_configENS1_27scan_by_key_config_selectorIiiEEZZNS1_16scan_by_key_implILNS1_25lookback_scan_determinismE0ELb1ES3_N6thrust23THRUST_200600_302600_NS6detail15normal_iteratorINS9_10device_ptrIiEEEESE_SE_iNS9_4plusIvEENS9_8equal_toIvEEiEE10hipError_tPvRmT2_T3_T4_T5_mT6_T7_P12ihipStream_tbENKUlT_T0_E_clISt17integral_constantIbLb0EESY_IbLb1EEEEDaSU_SV_EUlSU_E_NS1_11comp_targetILNS1_3genE4ELNS1_11target_archE910ELNS1_3gpuE8ELNS1_3repE0EEENS1_30default_config_static_selectorELNS0_4arch9wavefront6targetE0EEEvT1_
; %bb.0:
	.section	.rodata,"a",@progbits
	.p2align	6, 0x0
	.amdhsa_kernel _ZN7rocprim17ROCPRIM_400000_NS6detail17trampoline_kernelINS0_14default_configENS1_27scan_by_key_config_selectorIiiEEZZNS1_16scan_by_key_implILNS1_25lookback_scan_determinismE0ELb1ES3_N6thrust23THRUST_200600_302600_NS6detail15normal_iteratorINS9_10device_ptrIiEEEESE_SE_iNS9_4plusIvEENS9_8equal_toIvEEiEE10hipError_tPvRmT2_T3_T4_T5_mT6_T7_P12ihipStream_tbENKUlT_T0_E_clISt17integral_constantIbLb0EESY_IbLb1EEEEDaSU_SV_EUlSU_E_NS1_11comp_targetILNS1_3genE4ELNS1_11target_archE910ELNS1_3gpuE8ELNS1_3repE0EEENS1_30default_config_static_selectorELNS0_4arch9wavefront6targetE0EEEvT1_
		.amdhsa_group_segment_fixed_size 0
		.amdhsa_private_segment_fixed_size 0
		.amdhsa_kernarg_size 112
		.amdhsa_user_sgpr_count 2
		.amdhsa_user_sgpr_dispatch_ptr 0
		.amdhsa_user_sgpr_queue_ptr 0
		.amdhsa_user_sgpr_kernarg_segment_ptr 1
		.amdhsa_user_sgpr_dispatch_id 0
		.amdhsa_user_sgpr_kernarg_preload_length 0
		.amdhsa_user_sgpr_kernarg_preload_offset 0
		.amdhsa_user_sgpr_private_segment_size 0
		.amdhsa_wavefront_size32 1
		.amdhsa_uses_dynamic_stack 0
		.amdhsa_enable_private_segment 0
		.amdhsa_system_sgpr_workgroup_id_x 1
		.amdhsa_system_sgpr_workgroup_id_y 0
		.amdhsa_system_sgpr_workgroup_id_z 0
		.amdhsa_system_sgpr_workgroup_info 0
		.amdhsa_system_vgpr_workitem_id 0
		.amdhsa_next_free_vgpr 1
		.amdhsa_next_free_sgpr 1
		.amdhsa_named_barrier_count 0
		.amdhsa_reserve_vcc 0
		.amdhsa_float_round_mode_32 0
		.amdhsa_float_round_mode_16_64 0
		.amdhsa_float_denorm_mode_32 3
		.amdhsa_float_denorm_mode_16_64 3
		.amdhsa_fp16_overflow 0
		.amdhsa_memory_ordered 1
		.amdhsa_forward_progress 1
		.amdhsa_inst_pref_size 0
		.amdhsa_round_robin_scheduling 0
		.amdhsa_exception_fp_ieee_invalid_op 0
		.amdhsa_exception_fp_denorm_src 0
		.amdhsa_exception_fp_ieee_div_zero 0
		.amdhsa_exception_fp_ieee_overflow 0
		.amdhsa_exception_fp_ieee_underflow 0
		.amdhsa_exception_fp_ieee_inexact 0
		.amdhsa_exception_int_div_zero 0
	.end_amdhsa_kernel
	.section	.text._ZN7rocprim17ROCPRIM_400000_NS6detail17trampoline_kernelINS0_14default_configENS1_27scan_by_key_config_selectorIiiEEZZNS1_16scan_by_key_implILNS1_25lookback_scan_determinismE0ELb1ES3_N6thrust23THRUST_200600_302600_NS6detail15normal_iteratorINS9_10device_ptrIiEEEESE_SE_iNS9_4plusIvEENS9_8equal_toIvEEiEE10hipError_tPvRmT2_T3_T4_T5_mT6_T7_P12ihipStream_tbENKUlT_T0_E_clISt17integral_constantIbLb0EESY_IbLb1EEEEDaSU_SV_EUlSU_E_NS1_11comp_targetILNS1_3genE4ELNS1_11target_archE910ELNS1_3gpuE8ELNS1_3repE0EEENS1_30default_config_static_selectorELNS0_4arch9wavefront6targetE0EEEvT1_,"axG",@progbits,_ZN7rocprim17ROCPRIM_400000_NS6detail17trampoline_kernelINS0_14default_configENS1_27scan_by_key_config_selectorIiiEEZZNS1_16scan_by_key_implILNS1_25lookback_scan_determinismE0ELb1ES3_N6thrust23THRUST_200600_302600_NS6detail15normal_iteratorINS9_10device_ptrIiEEEESE_SE_iNS9_4plusIvEENS9_8equal_toIvEEiEE10hipError_tPvRmT2_T3_T4_T5_mT6_T7_P12ihipStream_tbENKUlT_T0_E_clISt17integral_constantIbLb0EESY_IbLb1EEEEDaSU_SV_EUlSU_E_NS1_11comp_targetILNS1_3genE4ELNS1_11target_archE910ELNS1_3gpuE8ELNS1_3repE0EEENS1_30default_config_static_selectorELNS0_4arch9wavefront6targetE0EEEvT1_,comdat
.Lfunc_end491:
	.size	_ZN7rocprim17ROCPRIM_400000_NS6detail17trampoline_kernelINS0_14default_configENS1_27scan_by_key_config_selectorIiiEEZZNS1_16scan_by_key_implILNS1_25lookback_scan_determinismE0ELb1ES3_N6thrust23THRUST_200600_302600_NS6detail15normal_iteratorINS9_10device_ptrIiEEEESE_SE_iNS9_4plusIvEENS9_8equal_toIvEEiEE10hipError_tPvRmT2_T3_T4_T5_mT6_T7_P12ihipStream_tbENKUlT_T0_E_clISt17integral_constantIbLb0EESY_IbLb1EEEEDaSU_SV_EUlSU_E_NS1_11comp_targetILNS1_3genE4ELNS1_11target_archE910ELNS1_3gpuE8ELNS1_3repE0EEENS1_30default_config_static_selectorELNS0_4arch9wavefront6targetE0EEEvT1_, .Lfunc_end491-_ZN7rocprim17ROCPRIM_400000_NS6detail17trampoline_kernelINS0_14default_configENS1_27scan_by_key_config_selectorIiiEEZZNS1_16scan_by_key_implILNS1_25lookback_scan_determinismE0ELb1ES3_N6thrust23THRUST_200600_302600_NS6detail15normal_iteratorINS9_10device_ptrIiEEEESE_SE_iNS9_4plusIvEENS9_8equal_toIvEEiEE10hipError_tPvRmT2_T3_T4_T5_mT6_T7_P12ihipStream_tbENKUlT_T0_E_clISt17integral_constantIbLb0EESY_IbLb1EEEEDaSU_SV_EUlSU_E_NS1_11comp_targetILNS1_3genE4ELNS1_11target_archE910ELNS1_3gpuE8ELNS1_3repE0EEENS1_30default_config_static_selectorELNS0_4arch9wavefront6targetE0EEEvT1_
                                        ; -- End function
	.set _ZN7rocprim17ROCPRIM_400000_NS6detail17trampoline_kernelINS0_14default_configENS1_27scan_by_key_config_selectorIiiEEZZNS1_16scan_by_key_implILNS1_25lookback_scan_determinismE0ELb1ES3_N6thrust23THRUST_200600_302600_NS6detail15normal_iteratorINS9_10device_ptrIiEEEESE_SE_iNS9_4plusIvEENS9_8equal_toIvEEiEE10hipError_tPvRmT2_T3_T4_T5_mT6_T7_P12ihipStream_tbENKUlT_T0_E_clISt17integral_constantIbLb0EESY_IbLb1EEEEDaSU_SV_EUlSU_E_NS1_11comp_targetILNS1_3genE4ELNS1_11target_archE910ELNS1_3gpuE8ELNS1_3repE0EEENS1_30default_config_static_selectorELNS0_4arch9wavefront6targetE0EEEvT1_.num_vgpr, 0
	.set _ZN7rocprim17ROCPRIM_400000_NS6detail17trampoline_kernelINS0_14default_configENS1_27scan_by_key_config_selectorIiiEEZZNS1_16scan_by_key_implILNS1_25lookback_scan_determinismE0ELb1ES3_N6thrust23THRUST_200600_302600_NS6detail15normal_iteratorINS9_10device_ptrIiEEEESE_SE_iNS9_4plusIvEENS9_8equal_toIvEEiEE10hipError_tPvRmT2_T3_T4_T5_mT6_T7_P12ihipStream_tbENKUlT_T0_E_clISt17integral_constantIbLb0EESY_IbLb1EEEEDaSU_SV_EUlSU_E_NS1_11comp_targetILNS1_3genE4ELNS1_11target_archE910ELNS1_3gpuE8ELNS1_3repE0EEENS1_30default_config_static_selectorELNS0_4arch9wavefront6targetE0EEEvT1_.num_agpr, 0
	.set _ZN7rocprim17ROCPRIM_400000_NS6detail17trampoline_kernelINS0_14default_configENS1_27scan_by_key_config_selectorIiiEEZZNS1_16scan_by_key_implILNS1_25lookback_scan_determinismE0ELb1ES3_N6thrust23THRUST_200600_302600_NS6detail15normal_iteratorINS9_10device_ptrIiEEEESE_SE_iNS9_4plusIvEENS9_8equal_toIvEEiEE10hipError_tPvRmT2_T3_T4_T5_mT6_T7_P12ihipStream_tbENKUlT_T0_E_clISt17integral_constantIbLb0EESY_IbLb1EEEEDaSU_SV_EUlSU_E_NS1_11comp_targetILNS1_3genE4ELNS1_11target_archE910ELNS1_3gpuE8ELNS1_3repE0EEENS1_30default_config_static_selectorELNS0_4arch9wavefront6targetE0EEEvT1_.numbered_sgpr, 0
	.set _ZN7rocprim17ROCPRIM_400000_NS6detail17trampoline_kernelINS0_14default_configENS1_27scan_by_key_config_selectorIiiEEZZNS1_16scan_by_key_implILNS1_25lookback_scan_determinismE0ELb1ES3_N6thrust23THRUST_200600_302600_NS6detail15normal_iteratorINS9_10device_ptrIiEEEESE_SE_iNS9_4plusIvEENS9_8equal_toIvEEiEE10hipError_tPvRmT2_T3_T4_T5_mT6_T7_P12ihipStream_tbENKUlT_T0_E_clISt17integral_constantIbLb0EESY_IbLb1EEEEDaSU_SV_EUlSU_E_NS1_11comp_targetILNS1_3genE4ELNS1_11target_archE910ELNS1_3gpuE8ELNS1_3repE0EEENS1_30default_config_static_selectorELNS0_4arch9wavefront6targetE0EEEvT1_.num_named_barrier, 0
	.set _ZN7rocprim17ROCPRIM_400000_NS6detail17trampoline_kernelINS0_14default_configENS1_27scan_by_key_config_selectorIiiEEZZNS1_16scan_by_key_implILNS1_25lookback_scan_determinismE0ELb1ES3_N6thrust23THRUST_200600_302600_NS6detail15normal_iteratorINS9_10device_ptrIiEEEESE_SE_iNS9_4plusIvEENS9_8equal_toIvEEiEE10hipError_tPvRmT2_T3_T4_T5_mT6_T7_P12ihipStream_tbENKUlT_T0_E_clISt17integral_constantIbLb0EESY_IbLb1EEEEDaSU_SV_EUlSU_E_NS1_11comp_targetILNS1_3genE4ELNS1_11target_archE910ELNS1_3gpuE8ELNS1_3repE0EEENS1_30default_config_static_selectorELNS0_4arch9wavefront6targetE0EEEvT1_.private_seg_size, 0
	.set _ZN7rocprim17ROCPRIM_400000_NS6detail17trampoline_kernelINS0_14default_configENS1_27scan_by_key_config_selectorIiiEEZZNS1_16scan_by_key_implILNS1_25lookback_scan_determinismE0ELb1ES3_N6thrust23THRUST_200600_302600_NS6detail15normal_iteratorINS9_10device_ptrIiEEEESE_SE_iNS9_4plusIvEENS9_8equal_toIvEEiEE10hipError_tPvRmT2_T3_T4_T5_mT6_T7_P12ihipStream_tbENKUlT_T0_E_clISt17integral_constantIbLb0EESY_IbLb1EEEEDaSU_SV_EUlSU_E_NS1_11comp_targetILNS1_3genE4ELNS1_11target_archE910ELNS1_3gpuE8ELNS1_3repE0EEENS1_30default_config_static_selectorELNS0_4arch9wavefront6targetE0EEEvT1_.uses_vcc, 0
	.set _ZN7rocprim17ROCPRIM_400000_NS6detail17trampoline_kernelINS0_14default_configENS1_27scan_by_key_config_selectorIiiEEZZNS1_16scan_by_key_implILNS1_25lookback_scan_determinismE0ELb1ES3_N6thrust23THRUST_200600_302600_NS6detail15normal_iteratorINS9_10device_ptrIiEEEESE_SE_iNS9_4plusIvEENS9_8equal_toIvEEiEE10hipError_tPvRmT2_T3_T4_T5_mT6_T7_P12ihipStream_tbENKUlT_T0_E_clISt17integral_constantIbLb0EESY_IbLb1EEEEDaSU_SV_EUlSU_E_NS1_11comp_targetILNS1_3genE4ELNS1_11target_archE910ELNS1_3gpuE8ELNS1_3repE0EEENS1_30default_config_static_selectorELNS0_4arch9wavefront6targetE0EEEvT1_.uses_flat_scratch, 0
	.set _ZN7rocprim17ROCPRIM_400000_NS6detail17trampoline_kernelINS0_14default_configENS1_27scan_by_key_config_selectorIiiEEZZNS1_16scan_by_key_implILNS1_25lookback_scan_determinismE0ELb1ES3_N6thrust23THRUST_200600_302600_NS6detail15normal_iteratorINS9_10device_ptrIiEEEESE_SE_iNS9_4plusIvEENS9_8equal_toIvEEiEE10hipError_tPvRmT2_T3_T4_T5_mT6_T7_P12ihipStream_tbENKUlT_T0_E_clISt17integral_constantIbLb0EESY_IbLb1EEEEDaSU_SV_EUlSU_E_NS1_11comp_targetILNS1_3genE4ELNS1_11target_archE910ELNS1_3gpuE8ELNS1_3repE0EEENS1_30default_config_static_selectorELNS0_4arch9wavefront6targetE0EEEvT1_.has_dyn_sized_stack, 0
	.set _ZN7rocprim17ROCPRIM_400000_NS6detail17trampoline_kernelINS0_14default_configENS1_27scan_by_key_config_selectorIiiEEZZNS1_16scan_by_key_implILNS1_25lookback_scan_determinismE0ELb1ES3_N6thrust23THRUST_200600_302600_NS6detail15normal_iteratorINS9_10device_ptrIiEEEESE_SE_iNS9_4plusIvEENS9_8equal_toIvEEiEE10hipError_tPvRmT2_T3_T4_T5_mT6_T7_P12ihipStream_tbENKUlT_T0_E_clISt17integral_constantIbLb0EESY_IbLb1EEEEDaSU_SV_EUlSU_E_NS1_11comp_targetILNS1_3genE4ELNS1_11target_archE910ELNS1_3gpuE8ELNS1_3repE0EEENS1_30default_config_static_selectorELNS0_4arch9wavefront6targetE0EEEvT1_.has_recursion, 0
	.set _ZN7rocprim17ROCPRIM_400000_NS6detail17trampoline_kernelINS0_14default_configENS1_27scan_by_key_config_selectorIiiEEZZNS1_16scan_by_key_implILNS1_25lookback_scan_determinismE0ELb1ES3_N6thrust23THRUST_200600_302600_NS6detail15normal_iteratorINS9_10device_ptrIiEEEESE_SE_iNS9_4plusIvEENS9_8equal_toIvEEiEE10hipError_tPvRmT2_T3_T4_T5_mT6_T7_P12ihipStream_tbENKUlT_T0_E_clISt17integral_constantIbLb0EESY_IbLb1EEEEDaSU_SV_EUlSU_E_NS1_11comp_targetILNS1_3genE4ELNS1_11target_archE910ELNS1_3gpuE8ELNS1_3repE0EEENS1_30default_config_static_selectorELNS0_4arch9wavefront6targetE0EEEvT1_.has_indirect_call, 0
	.section	.AMDGPU.csdata,"",@progbits
; Kernel info:
; codeLenInByte = 0
; TotalNumSgprs: 0
; NumVgprs: 0
; ScratchSize: 0
; MemoryBound: 0
; FloatMode: 240
; IeeeMode: 1
; LDSByteSize: 0 bytes/workgroup (compile time only)
; SGPRBlocks: 0
; VGPRBlocks: 0
; NumSGPRsForWavesPerEU: 1
; NumVGPRsForWavesPerEU: 1
; NamedBarCnt: 0
; Occupancy: 16
; WaveLimiterHint : 0
; COMPUTE_PGM_RSRC2:SCRATCH_EN: 0
; COMPUTE_PGM_RSRC2:USER_SGPR: 2
; COMPUTE_PGM_RSRC2:TRAP_HANDLER: 0
; COMPUTE_PGM_RSRC2:TGID_X_EN: 1
; COMPUTE_PGM_RSRC2:TGID_Y_EN: 0
; COMPUTE_PGM_RSRC2:TGID_Z_EN: 0
; COMPUTE_PGM_RSRC2:TIDIG_COMP_CNT: 0
	.section	.text._ZN7rocprim17ROCPRIM_400000_NS6detail17trampoline_kernelINS0_14default_configENS1_27scan_by_key_config_selectorIiiEEZZNS1_16scan_by_key_implILNS1_25lookback_scan_determinismE0ELb1ES3_N6thrust23THRUST_200600_302600_NS6detail15normal_iteratorINS9_10device_ptrIiEEEESE_SE_iNS9_4plusIvEENS9_8equal_toIvEEiEE10hipError_tPvRmT2_T3_T4_T5_mT6_T7_P12ihipStream_tbENKUlT_T0_E_clISt17integral_constantIbLb0EESY_IbLb1EEEEDaSU_SV_EUlSU_E_NS1_11comp_targetILNS1_3genE3ELNS1_11target_archE908ELNS1_3gpuE7ELNS1_3repE0EEENS1_30default_config_static_selectorELNS0_4arch9wavefront6targetE0EEEvT1_,"axG",@progbits,_ZN7rocprim17ROCPRIM_400000_NS6detail17trampoline_kernelINS0_14default_configENS1_27scan_by_key_config_selectorIiiEEZZNS1_16scan_by_key_implILNS1_25lookback_scan_determinismE0ELb1ES3_N6thrust23THRUST_200600_302600_NS6detail15normal_iteratorINS9_10device_ptrIiEEEESE_SE_iNS9_4plusIvEENS9_8equal_toIvEEiEE10hipError_tPvRmT2_T3_T4_T5_mT6_T7_P12ihipStream_tbENKUlT_T0_E_clISt17integral_constantIbLb0EESY_IbLb1EEEEDaSU_SV_EUlSU_E_NS1_11comp_targetILNS1_3genE3ELNS1_11target_archE908ELNS1_3gpuE7ELNS1_3repE0EEENS1_30default_config_static_selectorELNS0_4arch9wavefront6targetE0EEEvT1_,comdat
	.protected	_ZN7rocprim17ROCPRIM_400000_NS6detail17trampoline_kernelINS0_14default_configENS1_27scan_by_key_config_selectorIiiEEZZNS1_16scan_by_key_implILNS1_25lookback_scan_determinismE0ELb1ES3_N6thrust23THRUST_200600_302600_NS6detail15normal_iteratorINS9_10device_ptrIiEEEESE_SE_iNS9_4plusIvEENS9_8equal_toIvEEiEE10hipError_tPvRmT2_T3_T4_T5_mT6_T7_P12ihipStream_tbENKUlT_T0_E_clISt17integral_constantIbLb0EESY_IbLb1EEEEDaSU_SV_EUlSU_E_NS1_11comp_targetILNS1_3genE3ELNS1_11target_archE908ELNS1_3gpuE7ELNS1_3repE0EEENS1_30default_config_static_selectorELNS0_4arch9wavefront6targetE0EEEvT1_ ; -- Begin function _ZN7rocprim17ROCPRIM_400000_NS6detail17trampoline_kernelINS0_14default_configENS1_27scan_by_key_config_selectorIiiEEZZNS1_16scan_by_key_implILNS1_25lookback_scan_determinismE0ELb1ES3_N6thrust23THRUST_200600_302600_NS6detail15normal_iteratorINS9_10device_ptrIiEEEESE_SE_iNS9_4plusIvEENS9_8equal_toIvEEiEE10hipError_tPvRmT2_T3_T4_T5_mT6_T7_P12ihipStream_tbENKUlT_T0_E_clISt17integral_constantIbLb0EESY_IbLb1EEEEDaSU_SV_EUlSU_E_NS1_11comp_targetILNS1_3genE3ELNS1_11target_archE908ELNS1_3gpuE7ELNS1_3repE0EEENS1_30default_config_static_selectorELNS0_4arch9wavefront6targetE0EEEvT1_
	.globl	_ZN7rocprim17ROCPRIM_400000_NS6detail17trampoline_kernelINS0_14default_configENS1_27scan_by_key_config_selectorIiiEEZZNS1_16scan_by_key_implILNS1_25lookback_scan_determinismE0ELb1ES3_N6thrust23THRUST_200600_302600_NS6detail15normal_iteratorINS9_10device_ptrIiEEEESE_SE_iNS9_4plusIvEENS9_8equal_toIvEEiEE10hipError_tPvRmT2_T3_T4_T5_mT6_T7_P12ihipStream_tbENKUlT_T0_E_clISt17integral_constantIbLb0EESY_IbLb1EEEEDaSU_SV_EUlSU_E_NS1_11comp_targetILNS1_3genE3ELNS1_11target_archE908ELNS1_3gpuE7ELNS1_3repE0EEENS1_30default_config_static_selectorELNS0_4arch9wavefront6targetE0EEEvT1_
	.p2align	8
	.type	_ZN7rocprim17ROCPRIM_400000_NS6detail17trampoline_kernelINS0_14default_configENS1_27scan_by_key_config_selectorIiiEEZZNS1_16scan_by_key_implILNS1_25lookback_scan_determinismE0ELb1ES3_N6thrust23THRUST_200600_302600_NS6detail15normal_iteratorINS9_10device_ptrIiEEEESE_SE_iNS9_4plusIvEENS9_8equal_toIvEEiEE10hipError_tPvRmT2_T3_T4_T5_mT6_T7_P12ihipStream_tbENKUlT_T0_E_clISt17integral_constantIbLb0EESY_IbLb1EEEEDaSU_SV_EUlSU_E_NS1_11comp_targetILNS1_3genE3ELNS1_11target_archE908ELNS1_3gpuE7ELNS1_3repE0EEENS1_30default_config_static_selectorELNS0_4arch9wavefront6targetE0EEEvT1_,@function
_ZN7rocprim17ROCPRIM_400000_NS6detail17trampoline_kernelINS0_14default_configENS1_27scan_by_key_config_selectorIiiEEZZNS1_16scan_by_key_implILNS1_25lookback_scan_determinismE0ELb1ES3_N6thrust23THRUST_200600_302600_NS6detail15normal_iteratorINS9_10device_ptrIiEEEESE_SE_iNS9_4plusIvEENS9_8equal_toIvEEiEE10hipError_tPvRmT2_T3_T4_T5_mT6_T7_P12ihipStream_tbENKUlT_T0_E_clISt17integral_constantIbLb0EESY_IbLb1EEEEDaSU_SV_EUlSU_E_NS1_11comp_targetILNS1_3genE3ELNS1_11target_archE908ELNS1_3gpuE7ELNS1_3repE0EEENS1_30default_config_static_selectorELNS0_4arch9wavefront6targetE0EEEvT1_: ; @_ZN7rocprim17ROCPRIM_400000_NS6detail17trampoline_kernelINS0_14default_configENS1_27scan_by_key_config_selectorIiiEEZZNS1_16scan_by_key_implILNS1_25lookback_scan_determinismE0ELb1ES3_N6thrust23THRUST_200600_302600_NS6detail15normal_iteratorINS9_10device_ptrIiEEEESE_SE_iNS9_4plusIvEENS9_8equal_toIvEEiEE10hipError_tPvRmT2_T3_T4_T5_mT6_T7_P12ihipStream_tbENKUlT_T0_E_clISt17integral_constantIbLb0EESY_IbLb1EEEEDaSU_SV_EUlSU_E_NS1_11comp_targetILNS1_3genE3ELNS1_11target_archE908ELNS1_3gpuE7ELNS1_3repE0EEENS1_30default_config_static_selectorELNS0_4arch9wavefront6targetE0EEEvT1_
; %bb.0:
	.section	.rodata,"a",@progbits
	.p2align	6, 0x0
	.amdhsa_kernel _ZN7rocprim17ROCPRIM_400000_NS6detail17trampoline_kernelINS0_14default_configENS1_27scan_by_key_config_selectorIiiEEZZNS1_16scan_by_key_implILNS1_25lookback_scan_determinismE0ELb1ES3_N6thrust23THRUST_200600_302600_NS6detail15normal_iteratorINS9_10device_ptrIiEEEESE_SE_iNS9_4plusIvEENS9_8equal_toIvEEiEE10hipError_tPvRmT2_T3_T4_T5_mT6_T7_P12ihipStream_tbENKUlT_T0_E_clISt17integral_constantIbLb0EESY_IbLb1EEEEDaSU_SV_EUlSU_E_NS1_11comp_targetILNS1_3genE3ELNS1_11target_archE908ELNS1_3gpuE7ELNS1_3repE0EEENS1_30default_config_static_selectorELNS0_4arch9wavefront6targetE0EEEvT1_
		.amdhsa_group_segment_fixed_size 0
		.amdhsa_private_segment_fixed_size 0
		.amdhsa_kernarg_size 112
		.amdhsa_user_sgpr_count 2
		.amdhsa_user_sgpr_dispatch_ptr 0
		.amdhsa_user_sgpr_queue_ptr 0
		.amdhsa_user_sgpr_kernarg_segment_ptr 1
		.amdhsa_user_sgpr_dispatch_id 0
		.amdhsa_user_sgpr_kernarg_preload_length 0
		.amdhsa_user_sgpr_kernarg_preload_offset 0
		.amdhsa_user_sgpr_private_segment_size 0
		.amdhsa_wavefront_size32 1
		.amdhsa_uses_dynamic_stack 0
		.amdhsa_enable_private_segment 0
		.amdhsa_system_sgpr_workgroup_id_x 1
		.amdhsa_system_sgpr_workgroup_id_y 0
		.amdhsa_system_sgpr_workgroup_id_z 0
		.amdhsa_system_sgpr_workgroup_info 0
		.amdhsa_system_vgpr_workitem_id 0
		.amdhsa_next_free_vgpr 1
		.amdhsa_next_free_sgpr 1
		.amdhsa_named_barrier_count 0
		.amdhsa_reserve_vcc 0
		.amdhsa_float_round_mode_32 0
		.amdhsa_float_round_mode_16_64 0
		.amdhsa_float_denorm_mode_32 3
		.amdhsa_float_denorm_mode_16_64 3
		.amdhsa_fp16_overflow 0
		.amdhsa_memory_ordered 1
		.amdhsa_forward_progress 1
		.amdhsa_inst_pref_size 0
		.amdhsa_round_robin_scheduling 0
		.amdhsa_exception_fp_ieee_invalid_op 0
		.amdhsa_exception_fp_denorm_src 0
		.amdhsa_exception_fp_ieee_div_zero 0
		.amdhsa_exception_fp_ieee_overflow 0
		.amdhsa_exception_fp_ieee_underflow 0
		.amdhsa_exception_fp_ieee_inexact 0
		.amdhsa_exception_int_div_zero 0
	.end_amdhsa_kernel
	.section	.text._ZN7rocprim17ROCPRIM_400000_NS6detail17trampoline_kernelINS0_14default_configENS1_27scan_by_key_config_selectorIiiEEZZNS1_16scan_by_key_implILNS1_25lookback_scan_determinismE0ELb1ES3_N6thrust23THRUST_200600_302600_NS6detail15normal_iteratorINS9_10device_ptrIiEEEESE_SE_iNS9_4plusIvEENS9_8equal_toIvEEiEE10hipError_tPvRmT2_T3_T4_T5_mT6_T7_P12ihipStream_tbENKUlT_T0_E_clISt17integral_constantIbLb0EESY_IbLb1EEEEDaSU_SV_EUlSU_E_NS1_11comp_targetILNS1_3genE3ELNS1_11target_archE908ELNS1_3gpuE7ELNS1_3repE0EEENS1_30default_config_static_selectorELNS0_4arch9wavefront6targetE0EEEvT1_,"axG",@progbits,_ZN7rocprim17ROCPRIM_400000_NS6detail17trampoline_kernelINS0_14default_configENS1_27scan_by_key_config_selectorIiiEEZZNS1_16scan_by_key_implILNS1_25lookback_scan_determinismE0ELb1ES3_N6thrust23THRUST_200600_302600_NS6detail15normal_iteratorINS9_10device_ptrIiEEEESE_SE_iNS9_4plusIvEENS9_8equal_toIvEEiEE10hipError_tPvRmT2_T3_T4_T5_mT6_T7_P12ihipStream_tbENKUlT_T0_E_clISt17integral_constantIbLb0EESY_IbLb1EEEEDaSU_SV_EUlSU_E_NS1_11comp_targetILNS1_3genE3ELNS1_11target_archE908ELNS1_3gpuE7ELNS1_3repE0EEENS1_30default_config_static_selectorELNS0_4arch9wavefront6targetE0EEEvT1_,comdat
.Lfunc_end492:
	.size	_ZN7rocprim17ROCPRIM_400000_NS6detail17trampoline_kernelINS0_14default_configENS1_27scan_by_key_config_selectorIiiEEZZNS1_16scan_by_key_implILNS1_25lookback_scan_determinismE0ELb1ES3_N6thrust23THRUST_200600_302600_NS6detail15normal_iteratorINS9_10device_ptrIiEEEESE_SE_iNS9_4plusIvEENS9_8equal_toIvEEiEE10hipError_tPvRmT2_T3_T4_T5_mT6_T7_P12ihipStream_tbENKUlT_T0_E_clISt17integral_constantIbLb0EESY_IbLb1EEEEDaSU_SV_EUlSU_E_NS1_11comp_targetILNS1_3genE3ELNS1_11target_archE908ELNS1_3gpuE7ELNS1_3repE0EEENS1_30default_config_static_selectorELNS0_4arch9wavefront6targetE0EEEvT1_, .Lfunc_end492-_ZN7rocprim17ROCPRIM_400000_NS6detail17trampoline_kernelINS0_14default_configENS1_27scan_by_key_config_selectorIiiEEZZNS1_16scan_by_key_implILNS1_25lookback_scan_determinismE0ELb1ES3_N6thrust23THRUST_200600_302600_NS6detail15normal_iteratorINS9_10device_ptrIiEEEESE_SE_iNS9_4plusIvEENS9_8equal_toIvEEiEE10hipError_tPvRmT2_T3_T4_T5_mT6_T7_P12ihipStream_tbENKUlT_T0_E_clISt17integral_constantIbLb0EESY_IbLb1EEEEDaSU_SV_EUlSU_E_NS1_11comp_targetILNS1_3genE3ELNS1_11target_archE908ELNS1_3gpuE7ELNS1_3repE0EEENS1_30default_config_static_selectorELNS0_4arch9wavefront6targetE0EEEvT1_
                                        ; -- End function
	.set _ZN7rocprim17ROCPRIM_400000_NS6detail17trampoline_kernelINS0_14default_configENS1_27scan_by_key_config_selectorIiiEEZZNS1_16scan_by_key_implILNS1_25lookback_scan_determinismE0ELb1ES3_N6thrust23THRUST_200600_302600_NS6detail15normal_iteratorINS9_10device_ptrIiEEEESE_SE_iNS9_4plusIvEENS9_8equal_toIvEEiEE10hipError_tPvRmT2_T3_T4_T5_mT6_T7_P12ihipStream_tbENKUlT_T0_E_clISt17integral_constantIbLb0EESY_IbLb1EEEEDaSU_SV_EUlSU_E_NS1_11comp_targetILNS1_3genE3ELNS1_11target_archE908ELNS1_3gpuE7ELNS1_3repE0EEENS1_30default_config_static_selectorELNS0_4arch9wavefront6targetE0EEEvT1_.num_vgpr, 0
	.set _ZN7rocprim17ROCPRIM_400000_NS6detail17trampoline_kernelINS0_14default_configENS1_27scan_by_key_config_selectorIiiEEZZNS1_16scan_by_key_implILNS1_25lookback_scan_determinismE0ELb1ES3_N6thrust23THRUST_200600_302600_NS6detail15normal_iteratorINS9_10device_ptrIiEEEESE_SE_iNS9_4plusIvEENS9_8equal_toIvEEiEE10hipError_tPvRmT2_T3_T4_T5_mT6_T7_P12ihipStream_tbENKUlT_T0_E_clISt17integral_constantIbLb0EESY_IbLb1EEEEDaSU_SV_EUlSU_E_NS1_11comp_targetILNS1_3genE3ELNS1_11target_archE908ELNS1_3gpuE7ELNS1_3repE0EEENS1_30default_config_static_selectorELNS0_4arch9wavefront6targetE0EEEvT1_.num_agpr, 0
	.set _ZN7rocprim17ROCPRIM_400000_NS6detail17trampoline_kernelINS0_14default_configENS1_27scan_by_key_config_selectorIiiEEZZNS1_16scan_by_key_implILNS1_25lookback_scan_determinismE0ELb1ES3_N6thrust23THRUST_200600_302600_NS6detail15normal_iteratorINS9_10device_ptrIiEEEESE_SE_iNS9_4plusIvEENS9_8equal_toIvEEiEE10hipError_tPvRmT2_T3_T4_T5_mT6_T7_P12ihipStream_tbENKUlT_T0_E_clISt17integral_constantIbLb0EESY_IbLb1EEEEDaSU_SV_EUlSU_E_NS1_11comp_targetILNS1_3genE3ELNS1_11target_archE908ELNS1_3gpuE7ELNS1_3repE0EEENS1_30default_config_static_selectorELNS0_4arch9wavefront6targetE0EEEvT1_.numbered_sgpr, 0
	.set _ZN7rocprim17ROCPRIM_400000_NS6detail17trampoline_kernelINS0_14default_configENS1_27scan_by_key_config_selectorIiiEEZZNS1_16scan_by_key_implILNS1_25lookback_scan_determinismE0ELb1ES3_N6thrust23THRUST_200600_302600_NS6detail15normal_iteratorINS9_10device_ptrIiEEEESE_SE_iNS9_4plusIvEENS9_8equal_toIvEEiEE10hipError_tPvRmT2_T3_T4_T5_mT6_T7_P12ihipStream_tbENKUlT_T0_E_clISt17integral_constantIbLb0EESY_IbLb1EEEEDaSU_SV_EUlSU_E_NS1_11comp_targetILNS1_3genE3ELNS1_11target_archE908ELNS1_3gpuE7ELNS1_3repE0EEENS1_30default_config_static_selectorELNS0_4arch9wavefront6targetE0EEEvT1_.num_named_barrier, 0
	.set _ZN7rocprim17ROCPRIM_400000_NS6detail17trampoline_kernelINS0_14default_configENS1_27scan_by_key_config_selectorIiiEEZZNS1_16scan_by_key_implILNS1_25lookback_scan_determinismE0ELb1ES3_N6thrust23THRUST_200600_302600_NS6detail15normal_iteratorINS9_10device_ptrIiEEEESE_SE_iNS9_4plusIvEENS9_8equal_toIvEEiEE10hipError_tPvRmT2_T3_T4_T5_mT6_T7_P12ihipStream_tbENKUlT_T0_E_clISt17integral_constantIbLb0EESY_IbLb1EEEEDaSU_SV_EUlSU_E_NS1_11comp_targetILNS1_3genE3ELNS1_11target_archE908ELNS1_3gpuE7ELNS1_3repE0EEENS1_30default_config_static_selectorELNS0_4arch9wavefront6targetE0EEEvT1_.private_seg_size, 0
	.set _ZN7rocprim17ROCPRIM_400000_NS6detail17trampoline_kernelINS0_14default_configENS1_27scan_by_key_config_selectorIiiEEZZNS1_16scan_by_key_implILNS1_25lookback_scan_determinismE0ELb1ES3_N6thrust23THRUST_200600_302600_NS6detail15normal_iteratorINS9_10device_ptrIiEEEESE_SE_iNS9_4plusIvEENS9_8equal_toIvEEiEE10hipError_tPvRmT2_T3_T4_T5_mT6_T7_P12ihipStream_tbENKUlT_T0_E_clISt17integral_constantIbLb0EESY_IbLb1EEEEDaSU_SV_EUlSU_E_NS1_11comp_targetILNS1_3genE3ELNS1_11target_archE908ELNS1_3gpuE7ELNS1_3repE0EEENS1_30default_config_static_selectorELNS0_4arch9wavefront6targetE0EEEvT1_.uses_vcc, 0
	.set _ZN7rocprim17ROCPRIM_400000_NS6detail17trampoline_kernelINS0_14default_configENS1_27scan_by_key_config_selectorIiiEEZZNS1_16scan_by_key_implILNS1_25lookback_scan_determinismE0ELb1ES3_N6thrust23THRUST_200600_302600_NS6detail15normal_iteratorINS9_10device_ptrIiEEEESE_SE_iNS9_4plusIvEENS9_8equal_toIvEEiEE10hipError_tPvRmT2_T3_T4_T5_mT6_T7_P12ihipStream_tbENKUlT_T0_E_clISt17integral_constantIbLb0EESY_IbLb1EEEEDaSU_SV_EUlSU_E_NS1_11comp_targetILNS1_3genE3ELNS1_11target_archE908ELNS1_3gpuE7ELNS1_3repE0EEENS1_30default_config_static_selectorELNS0_4arch9wavefront6targetE0EEEvT1_.uses_flat_scratch, 0
	.set _ZN7rocprim17ROCPRIM_400000_NS6detail17trampoline_kernelINS0_14default_configENS1_27scan_by_key_config_selectorIiiEEZZNS1_16scan_by_key_implILNS1_25lookback_scan_determinismE0ELb1ES3_N6thrust23THRUST_200600_302600_NS6detail15normal_iteratorINS9_10device_ptrIiEEEESE_SE_iNS9_4plusIvEENS9_8equal_toIvEEiEE10hipError_tPvRmT2_T3_T4_T5_mT6_T7_P12ihipStream_tbENKUlT_T0_E_clISt17integral_constantIbLb0EESY_IbLb1EEEEDaSU_SV_EUlSU_E_NS1_11comp_targetILNS1_3genE3ELNS1_11target_archE908ELNS1_3gpuE7ELNS1_3repE0EEENS1_30default_config_static_selectorELNS0_4arch9wavefront6targetE0EEEvT1_.has_dyn_sized_stack, 0
	.set _ZN7rocprim17ROCPRIM_400000_NS6detail17trampoline_kernelINS0_14default_configENS1_27scan_by_key_config_selectorIiiEEZZNS1_16scan_by_key_implILNS1_25lookback_scan_determinismE0ELb1ES3_N6thrust23THRUST_200600_302600_NS6detail15normal_iteratorINS9_10device_ptrIiEEEESE_SE_iNS9_4plusIvEENS9_8equal_toIvEEiEE10hipError_tPvRmT2_T3_T4_T5_mT6_T7_P12ihipStream_tbENKUlT_T0_E_clISt17integral_constantIbLb0EESY_IbLb1EEEEDaSU_SV_EUlSU_E_NS1_11comp_targetILNS1_3genE3ELNS1_11target_archE908ELNS1_3gpuE7ELNS1_3repE0EEENS1_30default_config_static_selectorELNS0_4arch9wavefront6targetE0EEEvT1_.has_recursion, 0
	.set _ZN7rocprim17ROCPRIM_400000_NS6detail17trampoline_kernelINS0_14default_configENS1_27scan_by_key_config_selectorIiiEEZZNS1_16scan_by_key_implILNS1_25lookback_scan_determinismE0ELb1ES3_N6thrust23THRUST_200600_302600_NS6detail15normal_iteratorINS9_10device_ptrIiEEEESE_SE_iNS9_4plusIvEENS9_8equal_toIvEEiEE10hipError_tPvRmT2_T3_T4_T5_mT6_T7_P12ihipStream_tbENKUlT_T0_E_clISt17integral_constantIbLb0EESY_IbLb1EEEEDaSU_SV_EUlSU_E_NS1_11comp_targetILNS1_3genE3ELNS1_11target_archE908ELNS1_3gpuE7ELNS1_3repE0EEENS1_30default_config_static_selectorELNS0_4arch9wavefront6targetE0EEEvT1_.has_indirect_call, 0
	.section	.AMDGPU.csdata,"",@progbits
; Kernel info:
; codeLenInByte = 0
; TotalNumSgprs: 0
; NumVgprs: 0
; ScratchSize: 0
; MemoryBound: 0
; FloatMode: 240
; IeeeMode: 1
; LDSByteSize: 0 bytes/workgroup (compile time only)
; SGPRBlocks: 0
; VGPRBlocks: 0
; NumSGPRsForWavesPerEU: 1
; NumVGPRsForWavesPerEU: 1
; NamedBarCnt: 0
; Occupancy: 16
; WaveLimiterHint : 0
; COMPUTE_PGM_RSRC2:SCRATCH_EN: 0
; COMPUTE_PGM_RSRC2:USER_SGPR: 2
; COMPUTE_PGM_RSRC2:TRAP_HANDLER: 0
; COMPUTE_PGM_RSRC2:TGID_X_EN: 1
; COMPUTE_PGM_RSRC2:TGID_Y_EN: 0
; COMPUTE_PGM_RSRC2:TGID_Z_EN: 0
; COMPUTE_PGM_RSRC2:TIDIG_COMP_CNT: 0
	.section	.text._ZN7rocprim17ROCPRIM_400000_NS6detail17trampoline_kernelINS0_14default_configENS1_27scan_by_key_config_selectorIiiEEZZNS1_16scan_by_key_implILNS1_25lookback_scan_determinismE0ELb1ES3_N6thrust23THRUST_200600_302600_NS6detail15normal_iteratorINS9_10device_ptrIiEEEESE_SE_iNS9_4plusIvEENS9_8equal_toIvEEiEE10hipError_tPvRmT2_T3_T4_T5_mT6_T7_P12ihipStream_tbENKUlT_T0_E_clISt17integral_constantIbLb0EESY_IbLb1EEEEDaSU_SV_EUlSU_E_NS1_11comp_targetILNS1_3genE2ELNS1_11target_archE906ELNS1_3gpuE6ELNS1_3repE0EEENS1_30default_config_static_selectorELNS0_4arch9wavefront6targetE0EEEvT1_,"axG",@progbits,_ZN7rocprim17ROCPRIM_400000_NS6detail17trampoline_kernelINS0_14default_configENS1_27scan_by_key_config_selectorIiiEEZZNS1_16scan_by_key_implILNS1_25lookback_scan_determinismE0ELb1ES3_N6thrust23THRUST_200600_302600_NS6detail15normal_iteratorINS9_10device_ptrIiEEEESE_SE_iNS9_4plusIvEENS9_8equal_toIvEEiEE10hipError_tPvRmT2_T3_T4_T5_mT6_T7_P12ihipStream_tbENKUlT_T0_E_clISt17integral_constantIbLb0EESY_IbLb1EEEEDaSU_SV_EUlSU_E_NS1_11comp_targetILNS1_3genE2ELNS1_11target_archE906ELNS1_3gpuE6ELNS1_3repE0EEENS1_30default_config_static_selectorELNS0_4arch9wavefront6targetE0EEEvT1_,comdat
	.protected	_ZN7rocprim17ROCPRIM_400000_NS6detail17trampoline_kernelINS0_14default_configENS1_27scan_by_key_config_selectorIiiEEZZNS1_16scan_by_key_implILNS1_25lookback_scan_determinismE0ELb1ES3_N6thrust23THRUST_200600_302600_NS6detail15normal_iteratorINS9_10device_ptrIiEEEESE_SE_iNS9_4plusIvEENS9_8equal_toIvEEiEE10hipError_tPvRmT2_T3_T4_T5_mT6_T7_P12ihipStream_tbENKUlT_T0_E_clISt17integral_constantIbLb0EESY_IbLb1EEEEDaSU_SV_EUlSU_E_NS1_11comp_targetILNS1_3genE2ELNS1_11target_archE906ELNS1_3gpuE6ELNS1_3repE0EEENS1_30default_config_static_selectorELNS0_4arch9wavefront6targetE0EEEvT1_ ; -- Begin function _ZN7rocprim17ROCPRIM_400000_NS6detail17trampoline_kernelINS0_14default_configENS1_27scan_by_key_config_selectorIiiEEZZNS1_16scan_by_key_implILNS1_25lookback_scan_determinismE0ELb1ES3_N6thrust23THRUST_200600_302600_NS6detail15normal_iteratorINS9_10device_ptrIiEEEESE_SE_iNS9_4plusIvEENS9_8equal_toIvEEiEE10hipError_tPvRmT2_T3_T4_T5_mT6_T7_P12ihipStream_tbENKUlT_T0_E_clISt17integral_constantIbLb0EESY_IbLb1EEEEDaSU_SV_EUlSU_E_NS1_11comp_targetILNS1_3genE2ELNS1_11target_archE906ELNS1_3gpuE6ELNS1_3repE0EEENS1_30default_config_static_selectorELNS0_4arch9wavefront6targetE0EEEvT1_
	.globl	_ZN7rocprim17ROCPRIM_400000_NS6detail17trampoline_kernelINS0_14default_configENS1_27scan_by_key_config_selectorIiiEEZZNS1_16scan_by_key_implILNS1_25lookback_scan_determinismE0ELb1ES3_N6thrust23THRUST_200600_302600_NS6detail15normal_iteratorINS9_10device_ptrIiEEEESE_SE_iNS9_4plusIvEENS9_8equal_toIvEEiEE10hipError_tPvRmT2_T3_T4_T5_mT6_T7_P12ihipStream_tbENKUlT_T0_E_clISt17integral_constantIbLb0EESY_IbLb1EEEEDaSU_SV_EUlSU_E_NS1_11comp_targetILNS1_3genE2ELNS1_11target_archE906ELNS1_3gpuE6ELNS1_3repE0EEENS1_30default_config_static_selectorELNS0_4arch9wavefront6targetE0EEEvT1_
	.p2align	8
	.type	_ZN7rocprim17ROCPRIM_400000_NS6detail17trampoline_kernelINS0_14default_configENS1_27scan_by_key_config_selectorIiiEEZZNS1_16scan_by_key_implILNS1_25lookback_scan_determinismE0ELb1ES3_N6thrust23THRUST_200600_302600_NS6detail15normal_iteratorINS9_10device_ptrIiEEEESE_SE_iNS9_4plusIvEENS9_8equal_toIvEEiEE10hipError_tPvRmT2_T3_T4_T5_mT6_T7_P12ihipStream_tbENKUlT_T0_E_clISt17integral_constantIbLb0EESY_IbLb1EEEEDaSU_SV_EUlSU_E_NS1_11comp_targetILNS1_3genE2ELNS1_11target_archE906ELNS1_3gpuE6ELNS1_3repE0EEENS1_30default_config_static_selectorELNS0_4arch9wavefront6targetE0EEEvT1_,@function
_ZN7rocprim17ROCPRIM_400000_NS6detail17trampoline_kernelINS0_14default_configENS1_27scan_by_key_config_selectorIiiEEZZNS1_16scan_by_key_implILNS1_25lookback_scan_determinismE0ELb1ES3_N6thrust23THRUST_200600_302600_NS6detail15normal_iteratorINS9_10device_ptrIiEEEESE_SE_iNS9_4plusIvEENS9_8equal_toIvEEiEE10hipError_tPvRmT2_T3_T4_T5_mT6_T7_P12ihipStream_tbENKUlT_T0_E_clISt17integral_constantIbLb0EESY_IbLb1EEEEDaSU_SV_EUlSU_E_NS1_11comp_targetILNS1_3genE2ELNS1_11target_archE906ELNS1_3gpuE6ELNS1_3repE0EEENS1_30default_config_static_selectorELNS0_4arch9wavefront6targetE0EEEvT1_: ; @_ZN7rocprim17ROCPRIM_400000_NS6detail17trampoline_kernelINS0_14default_configENS1_27scan_by_key_config_selectorIiiEEZZNS1_16scan_by_key_implILNS1_25lookback_scan_determinismE0ELb1ES3_N6thrust23THRUST_200600_302600_NS6detail15normal_iteratorINS9_10device_ptrIiEEEESE_SE_iNS9_4plusIvEENS9_8equal_toIvEEiEE10hipError_tPvRmT2_T3_T4_T5_mT6_T7_P12ihipStream_tbENKUlT_T0_E_clISt17integral_constantIbLb0EESY_IbLb1EEEEDaSU_SV_EUlSU_E_NS1_11comp_targetILNS1_3genE2ELNS1_11target_archE906ELNS1_3gpuE6ELNS1_3repE0EEENS1_30default_config_static_selectorELNS0_4arch9wavefront6targetE0EEEvT1_
; %bb.0:
	.section	.rodata,"a",@progbits
	.p2align	6, 0x0
	.amdhsa_kernel _ZN7rocprim17ROCPRIM_400000_NS6detail17trampoline_kernelINS0_14default_configENS1_27scan_by_key_config_selectorIiiEEZZNS1_16scan_by_key_implILNS1_25lookback_scan_determinismE0ELb1ES3_N6thrust23THRUST_200600_302600_NS6detail15normal_iteratorINS9_10device_ptrIiEEEESE_SE_iNS9_4plusIvEENS9_8equal_toIvEEiEE10hipError_tPvRmT2_T3_T4_T5_mT6_T7_P12ihipStream_tbENKUlT_T0_E_clISt17integral_constantIbLb0EESY_IbLb1EEEEDaSU_SV_EUlSU_E_NS1_11comp_targetILNS1_3genE2ELNS1_11target_archE906ELNS1_3gpuE6ELNS1_3repE0EEENS1_30default_config_static_selectorELNS0_4arch9wavefront6targetE0EEEvT1_
		.amdhsa_group_segment_fixed_size 0
		.amdhsa_private_segment_fixed_size 0
		.amdhsa_kernarg_size 112
		.amdhsa_user_sgpr_count 2
		.amdhsa_user_sgpr_dispatch_ptr 0
		.amdhsa_user_sgpr_queue_ptr 0
		.amdhsa_user_sgpr_kernarg_segment_ptr 1
		.amdhsa_user_sgpr_dispatch_id 0
		.amdhsa_user_sgpr_kernarg_preload_length 0
		.amdhsa_user_sgpr_kernarg_preload_offset 0
		.amdhsa_user_sgpr_private_segment_size 0
		.amdhsa_wavefront_size32 1
		.amdhsa_uses_dynamic_stack 0
		.amdhsa_enable_private_segment 0
		.amdhsa_system_sgpr_workgroup_id_x 1
		.amdhsa_system_sgpr_workgroup_id_y 0
		.amdhsa_system_sgpr_workgroup_id_z 0
		.amdhsa_system_sgpr_workgroup_info 0
		.amdhsa_system_vgpr_workitem_id 0
		.amdhsa_next_free_vgpr 1
		.amdhsa_next_free_sgpr 1
		.amdhsa_named_barrier_count 0
		.amdhsa_reserve_vcc 0
		.amdhsa_float_round_mode_32 0
		.amdhsa_float_round_mode_16_64 0
		.amdhsa_float_denorm_mode_32 3
		.amdhsa_float_denorm_mode_16_64 3
		.amdhsa_fp16_overflow 0
		.amdhsa_memory_ordered 1
		.amdhsa_forward_progress 1
		.amdhsa_inst_pref_size 0
		.amdhsa_round_robin_scheduling 0
		.amdhsa_exception_fp_ieee_invalid_op 0
		.amdhsa_exception_fp_denorm_src 0
		.amdhsa_exception_fp_ieee_div_zero 0
		.amdhsa_exception_fp_ieee_overflow 0
		.amdhsa_exception_fp_ieee_underflow 0
		.amdhsa_exception_fp_ieee_inexact 0
		.amdhsa_exception_int_div_zero 0
	.end_amdhsa_kernel
	.section	.text._ZN7rocprim17ROCPRIM_400000_NS6detail17trampoline_kernelINS0_14default_configENS1_27scan_by_key_config_selectorIiiEEZZNS1_16scan_by_key_implILNS1_25lookback_scan_determinismE0ELb1ES3_N6thrust23THRUST_200600_302600_NS6detail15normal_iteratorINS9_10device_ptrIiEEEESE_SE_iNS9_4plusIvEENS9_8equal_toIvEEiEE10hipError_tPvRmT2_T3_T4_T5_mT6_T7_P12ihipStream_tbENKUlT_T0_E_clISt17integral_constantIbLb0EESY_IbLb1EEEEDaSU_SV_EUlSU_E_NS1_11comp_targetILNS1_3genE2ELNS1_11target_archE906ELNS1_3gpuE6ELNS1_3repE0EEENS1_30default_config_static_selectorELNS0_4arch9wavefront6targetE0EEEvT1_,"axG",@progbits,_ZN7rocprim17ROCPRIM_400000_NS6detail17trampoline_kernelINS0_14default_configENS1_27scan_by_key_config_selectorIiiEEZZNS1_16scan_by_key_implILNS1_25lookback_scan_determinismE0ELb1ES3_N6thrust23THRUST_200600_302600_NS6detail15normal_iteratorINS9_10device_ptrIiEEEESE_SE_iNS9_4plusIvEENS9_8equal_toIvEEiEE10hipError_tPvRmT2_T3_T4_T5_mT6_T7_P12ihipStream_tbENKUlT_T0_E_clISt17integral_constantIbLb0EESY_IbLb1EEEEDaSU_SV_EUlSU_E_NS1_11comp_targetILNS1_3genE2ELNS1_11target_archE906ELNS1_3gpuE6ELNS1_3repE0EEENS1_30default_config_static_selectorELNS0_4arch9wavefront6targetE0EEEvT1_,comdat
.Lfunc_end493:
	.size	_ZN7rocprim17ROCPRIM_400000_NS6detail17trampoline_kernelINS0_14default_configENS1_27scan_by_key_config_selectorIiiEEZZNS1_16scan_by_key_implILNS1_25lookback_scan_determinismE0ELb1ES3_N6thrust23THRUST_200600_302600_NS6detail15normal_iteratorINS9_10device_ptrIiEEEESE_SE_iNS9_4plusIvEENS9_8equal_toIvEEiEE10hipError_tPvRmT2_T3_T4_T5_mT6_T7_P12ihipStream_tbENKUlT_T0_E_clISt17integral_constantIbLb0EESY_IbLb1EEEEDaSU_SV_EUlSU_E_NS1_11comp_targetILNS1_3genE2ELNS1_11target_archE906ELNS1_3gpuE6ELNS1_3repE0EEENS1_30default_config_static_selectorELNS0_4arch9wavefront6targetE0EEEvT1_, .Lfunc_end493-_ZN7rocprim17ROCPRIM_400000_NS6detail17trampoline_kernelINS0_14default_configENS1_27scan_by_key_config_selectorIiiEEZZNS1_16scan_by_key_implILNS1_25lookback_scan_determinismE0ELb1ES3_N6thrust23THRUST_200600_302600_NS6detail15normal_iteratorINS9_10device_ptrIiEEEESE_SE_iNS9_4plusIvEENS9_8equal_toIvEEiEE10hipError_tPvRmT2_T3_T4_T5_mT6_T7_P12ihipStream_tbENKUlT_T0_E_clISt17integral_constantIbLb0EESY_IbLb1EEEEDaSU_SV_EUlSU_E_NS1_11comp_targetILNS1_3genE2ELNS1_11target_archE906ELNS1_3gpuE6ELNS1_3repE0EEENS1_30default_config_static_selectorELNS0_4arch9wavefront6targetE0EEEvT1_
                                        ; -- End function
	.set _ZN7rocprim17ROCPRIM_400000_NS6detail17trampoline_kernelINS0_14default_configENS1_27scan_by_key_config_selectorIiiEEZZNS1_16scan_by_key_implILNS1_25lookback_scan_determinismE0ELb1ES3_N6thrust23THRUST_200600_302600_NS6detail15normal_iteratorINS9_10device_ptrIiEEEESE_SE_iNS9_4plusIvEENS9_8equal_toIvEEiEE10hipError_tPvRmT2_T3_T4_T5_mT6_T7_P12ihipStream_tbENKUlT_T0_E_clISt17integral_constantIbLb0EESY_IbLb1EEEEDaSU_SV_EUlSU_E_NS1_11comp_targetILNS1_3genE2ELNS1_11target_archE906ELNS1_3gpuE6ELNS1_3repE0EEENS1_30default_config_static_selectorELNS0_4arch9wavefront6targetE0EEEvT1_.num_vgpr, 0
	.set _ZN7rocprim17ROCPRIM_400000_NS6detail17trampoline_kernelINS0_14default_configENS1_27scan_by_key_config_selectorIiiEEZZNS1_16scan_by_key_implILNS1_25lookback_scan_determinismE0ELb1ES3_N6thrust23THRUST_200600_302600_NS6detail15normal_iteratorINS9_10device_ptrIiEEEESE_SE_iNS9_4plusIvEENS9_8equal_toIvEEiEE10hipError_tPvRmT2_T3_T4_T5_mT6_T7_P12ihipStream_tbENKUlT_T0_E_clISt17integral_constantIbLb0EESY_IbLb1EEEEDaSU_SV_EUlSU_E_NS1_11comp_targetILNS1_3genE2ELNS1_11target_archE906ELNS1_3gpuE6ELNS1_3repE0EEENS1_30default_config_static_selectorELNS0_4arch9wavefront6targetE0EEEvT1_.num_agpr, 0
	.set _ZN7rocprim17ROCPRIM_400000_NS6detail17trampoline_kernelINS0_14default_configENS1_27scan_by_key_config_selectorIiiEEZZNS1_16scan_by_key_implILNS1_25lookback_scan_determinismE0ELb1ES3_N6thrust23THRUST_200600_302600_NS6detail15normal_iteratorINS9_10device_ptrIiEEEESE_SE_iNS9_4plusIvEENS9_8equal_toIvEEiEE10hipError_tPvRmT2_T3_T4_T5_mT6_T7_P12ihipStream_tbENKUlT_T0_E_clISt17integral_constantIbLb0EESY_IbLb1EEEEDaSU_SV_EUlSU_E_NS1_11comp_targetILNS1_3genE2ELNS1_11target_archE906ELNS1_3gpuE6ELNS1_3repE0EEENS1_30default_config_static_selectorELNS0_4arch9wavefront6targetE0EEEvT1_.numbered_sgpr, 0
	.set _ZN7rocprim17ROCPRIM_400000_NS6detail17trampoline_kernelINS0_14default_configENS1_27scan_by_key_config_selectorIiiEEZZNS1_16scan_by_key_implILNS1_25lookback_scan_determinismE0ELb1ES3_N6thrust23THRUST_200600_302600_NS6detail15normal_iteratorINS9_10device_ptrIiEEEESE_SE_iNS9_4plusIvEENS9_8equal_toIvEEiEE10hipError_tPvRmT2_T3_T4_T5_mT6_T7_P12ihipStream_tbENKUlT_T0_E_clISt17integral_constantIbLb0EESY_IbLb1EEEEDaSU_SV_EUlSU_E_NS1_11comp_targetILNS1_3genE2ELNS1_11target_archE906ELNS1_3gpuE6ELNS1_3repE0EEENS1_30default_config_static_selectorELNS0_4arch9wavefront6targetE0EEEvT1_.num_named_barrier, 0
	.set _ZN7rocprim17ROCPRIM_400000_NS6detail17trampoline_kernelINS0_14default_configENS1_27scan_by_key_config_selectorIiiEEZZNS1_16scan_by_key_implILNS1_25lookback_scan_determinismE0ELb1ES3_N6thrust23THRUST_200600_302600_NS6detail15normal_iteratorINS9_10device_ptrIiEEEESE_SE_iNS9_4plusIvEENS9_8equal_toIvEEiEE10hipError_tPvRmT2_T3_T4_T5_mT6_T7_P12ihipStream_tbENKUlT_T0_E_clISt17integral_constantIbLb0EESY_IbLb1EEEEDaSU_SV_EUlSU_E_NS1_11comp_targetILNS1_3genE2ELNS1_11target_archE906ELNS1_3gpuE6ELNS1_3repE0EEENS1_30default_config_static_selectorELNS0_4arch9wavefront6targetE0EEEvT1_.private_seg_size, 0
	.set _ZN7rocprim17ROCPRIM_400000_NS6detail17trampoline_kernelINS0_14default_configENS1_27scan_by_key_config_selectorIiiEEZZNS1_16scan_by_key_implILNS1_25lookback_scan_determinismE0ELb1ES3_N6thrust23THRUST_200600_302600_NS6detail15normal_iteratorINS9_10device_ptrIiEEEESE_SE_iNS9_4plusIvEENS9_8equal_toIvEEiEE10hipError_tPvRmT2_T3_T4_T5_mT6_T7_P12ihipStream_tbENKUlT_T0_E_clISt17integral_constantIbLb0EESY_IbLb1EEEEDaSU_SV_EUlSU_E_NS1_11comp_targetILNS1_3genE2ELNS1_11target_archE906ELNS1_3gpuE6ELNS1_3repE0EEENS1_30default_config_static_selectorELNS0_4arch9wavefront6targetE0EEEvT1_.uses_vcc, 0
	.set _ZN7rocprim17ROCPRIM_400000_NS6detail17trampoline_kernelINS0_14default_configENS1_27scan_by_key_config_selectorIiiEEZZNS1_16scan_by_key_implILNS1_25lookback_scan_determinismE0ELb1ES3_N6thrust23THRUST_200600_302600_NS6detail15normal_iteratorINS9_10device_ptrIiEEEESE_SE_iNS9_4plusIvEENS9_8equal_toIvEEiEE10hipError_tPvRmT2_T3_T4_T5_mT6_T7_P12ihipStream_tbENKUlT_T0_E_clISt17integral_constantIbLb0EESY_IbLb1EEEEDaSU_SV_EUlSU_E_NS1_11comp_targetILNS1_3genE2ELNS1_11target_archE906ELNS1_3gpuE6ELNS1_3repE0EEENS1_30default_config_static_selectorELNS0_4arch9wavefront6targetE0EEEvT1_.uses_flat_scratch, 0
	.set _ZN7rocprim17ROCPRIM_400000_NS6detail17trampoline_kernelINS0_14default_configENS1_27scan_by_key_config_selectorIiiEEZZNS1_16scan_by_key_implILNS1_25lookback_scan_determinismE0ELb1ES3_N6thrust23THRUST_200600_302600_NS6detail15normal_iteratorINS9_10device_ptrIiEEEESE_SE_iNS9_4plusIvEENS9_8equal_toIvEEiEE10hipError_tPvRmT2_T3_T4_T5_mT6_T7_P12ihipStream_tbENKUlT_T0_E_clISt17integral_constantIbLb0EESY_IbLb1EEEEDaSU_SV_EUlSU_E_NS1_11comp_targetILNS1_3genE2ELNS1_11target_archE906ELNS1_3gpuE6ELNS1_3repE0EEENS1_30default_config_static_selectorELNS0_4arch9wavefront6targetE0EEEvT1_.has_dyn_sized_stack, 0
	.set _ZN7rocprim17ROCPRIM_400000_NS6detail17trampoline_kernelINS0_14default_configENS1_27scan_by_key_config_selectorIiiEEZZNS1_16scan_by_key_implILNS1_25lookback_scan_determinismE0ELb1ES3_N6thrust23THRUST_200600_302600_NS6detail15normal_iteratorINS9_10device_ptrIiEEEESE_SE_iNS9_4plusIvEENS9_8equal_toIvEEiEE10hipError_tPvRmT2_T3_T4_T5_mT6_T7_P12ihipStream_tbENKUlT_T0_E_clISt17integral_constantIbLb0EESY_IbLb1EEEEDaSU_SV_EUlSU_E_NS1_11comp_targetILNS1_3genE2ELNS1_11target_archE906ELNS1_3gpuE6ELNS1_3repE0EEENS1_30default_config_static_selectorELNS0_4arch9wavefront6targetE0EEEvT1_.has_recursion, 0
	.set _ZN7rocprim17ROCPRIM_400000_NS6detail17trampoline_kernelINS0_14default_configENS1_27scan_by_key_config_selectorIiiEEZZNS1_16scan_by_key_implILNS1_25lookback_scan_determinismE0ELb1ES3_N6thrust23THRUST_200600_302600_NS6detail15normal_iteratorINS9_10device_ptrIiEEEESE_SE_iNS9_4plusIvEENS9_8equal_toIvEEiEE10hipError_tPvRmT2_T3_T4_T5_mT6_T7_P12ihipStream_tbENKUlT_T0_E_clISt17integral_constantIbLb0EESY_IbLb1EEEEDaSU_SV_EUlSU_E_NS1_11comp_targetILNS1_3genE2ELNS1_11target_archE906ELNS1_3gpuE6ELNS1_3repE0EEENS1_30default_config_static_selectorELNS0_4arch9wavefront6targetE0EEEvT1_.has_indirect_call, 0
	.section	.AMDGPU.csdata,"",@progbits
; Kernel info:
; codeLenInByte = 0
; TotalNumSgprs: 0
; NumVgprs: 0
; ScratchSize: 0
; MemoryBound: 0
; FloatMode: 240
; IeeeMode: 1
; LDSByteSize: 0 bytes/workgroup (compile time only)
; SGPRBlocks: 0
; VGPRBlocks: 0
; NumSGPRsForWavesPerEU: 1
; NumVGPRsForWavesPerEU: 1
; NamedBarCnt: 0
; Occupancy: 16
; WaveLimiterHint : 0
; COMPUTE_PGM_RSRC2:SCRATCH_EN: 0
; COMPUTE_PGM_RSRC2:USER_SGPR: 2
; COMPUTE_PGM_RSRC2:TRAP_HANDLER: 0
; COMPUTE_PGM_RSRC2:TGID_X_EN: 1
; COMPUTE_PGM_RSRC2:TGID_Y_EN: 0
; COMPUTE_PGM_RSRC2:TGID_Z_EN: 0
; COMPUTE_PGM_RSRC2:TIDIG_COMP_CNT: 0
	.section	.text._ZN7rocprim17ROCPRIM_400000_NS6detail17trampoline_kernelINS0_14default_configENS1_27scan_by_key_config_selectorIiiEEZZNS1_16scan_by_key_implILNS1_25lookback_scan_determinismE0ELb1ES3_N6thrust23THRUST_200600_302600_NS6detail15normal_iteratorINS9_10device_ptrIiEEEESE_SE_iNS9_4plusIvEENS9_8equal_toIvEEiEE10hipError_tPvRmT2_T3_T4_T5_mT6_T7_P12ihipStream_tbENKUlT_T0_E_clISt17integral_constantIbLb0EESY_IbLb1EEEEDaSU_SV_EUlSU_E_NS1_11comp_targetILNS1_3genE10ELNS1_11target_archE1200ELNS1_3gpuE4ELNS1_3repE0EEENS1_30default_config_static_selectorELNS0_4arch9wavefront6targetE0EEEvT1_,"axG",@progbits,_ZN7rocprim17ROCPRIM_400000_NS6detail17trampoline_kernelINS0_14default_configENS1_27scan_by_key_config_selectorIiiEEZZNS1_16scan_by_key_implILNS1_25lookback_scan_determinismE0ELb1ES3_N6thrust23THRUST_200600_302600_NS6detail15normal_iteratorINS9_10device_ptrIiEEEESE_SE_iNS9_4plusIvEENS9_8equal_toIvEEiEE10hipError_tPvRmT2_T3_T4_T5_mT6_T7_P12ihipStream_tbENKUlT_T0_E_clISt17integral_constantIbLb0EESY_IbLb1EEEEDaSU_SV_EUlSU_E_NS1_11comp_targetILNS1_3genE10ELNS1_11target_archE1200ELNS1_3gpuE4ELNS1_3repE0EEENS1_30default_config_static_selectorELNS0_4arch9wavefront6targetE0EEEvT1_,comdat
	.protected	_ZN7rocprim17ROCPRIM_400000_NS6detail17trampoline_kernelINS0_14default_configENS1_27scan_by_key_config_selectorIiiEEZZNS1_16scan_by_key_implILNS1_25lookback_scan_determinismE0ELb1ES3_N6thrust23THRUST_200600_302600_NS6detail15normal_iteratorINS9_10device_ptrIiEEEESE_SE_iNS9_4plusIvEENS9_8equal_toIvEEiEE10hipError_tPvRmT2_T3_T4_T5_mT6_T7_P12ihipStream_tbENKUlT_T0_E_clISt17integral_constantIbLb0EESY_IbLb1EEEEDaSU_SV_EUlSU_E_NS1_11comp_targetILNS1_3genE10ELNS1_11target_archE1200ELNS1_3gpuE4ELNS1_3repE0EEENS1_30default_config_static_selectorELNS0_4arch9wavefront6targetE0EEEvT1_ ; -- Begin function _ZN7rocprim17ROCPRIM_400000_NS6detail17trampoline_kernelINS0_14default_configENS1_27scan_by_key_config_selectorIiiEEZZNS1_16scan_by_key_implILNS1_25lookback_scan_determinismE0ELb1ES3_N6thrust23THRUST_200600_302600_NS6detail15normal_iteratorINS9_10device_ptrIiEEEESE_SE_iNS9_4plusIvEENS9_8equal_toIvEEiEE10hipError_tPvRmT2_T3_T4_T5_mT6_T7_P12ihipStream_tbENKUlT_T0_E_clISt17integral_constantIbLb0EESY_IbLb1EEEEDaSU_SV_EUlSU_E_NS1_11comp_targetILNS1_3genE10ELNS1_11target_archE1200ELNS1_3gpuE4ELNS1_3repE0EEENS1_30default_config_static_selectorELNS0_4arch9wavefront6targetE0EEEvT1_
	.globl	_ZN7rocprim17ROCPRIM_400000_NS6detail17trampoline_kernelINS0_14default_configENS1_27scan_by_key_config_selectorIiiEEZZNS1_16scan_by_key_implILNS1_25lookback_scan_determinismE0ELb1ES3_N6thrust23THRUST_200600_302600_NS6detail15normal_iteratorINS9_10device_ptrIiEEEESE_SE_iNS9_4plusIvEENS9_8equal_toIvEEiEE10hipError_tPvRmT2_T3_T4_T5_mT6_T7_P12ihipStream_tbENKUlT_T0_E_clISt17integral_constantIbLb0EESY_IbLb1EEEEDaSU_SV_EUlSU_E_NS1_11comp_targetILNS1_3genE10ELNS1_11target_archE1200ELNS1_3gpuE4ELNS1_3repE0EEENS1_30default_config_static_selectorELNS0_4arch9wavefront6targetE0EEEvT1_
	.p2align	8
	.type	_ZN7rocprim17ROCPRIM_400000_NS6detail17trampoline_kernelINS0_14default_configENS1_27scan_by_key_config_selectorIiiEEZZNS1_16scan_by_key_implILNS1_25lookback_scan_determinismE0ELb1ES3_N6thrust23THRUST_200600_302600_NS6detail15normal_iteratorINS9_10device_ptrIiEEEESE_SE_iNS9_4plusIvEENS9_8equal_toIvEEiEE10hipError_tPvRmT2_T3_T4_T5_mT6_T7_P12ihipStream_tbENKUlT_T0_E_clISt17integral_constantIbLb0EESY_IbLb1EEEEDaSU_SV_EUlSU_E_NS1_11comp_targetILNS1_3genE10ELNS1_11target_archE1200ELNS1_3gpuE4ELNS1_3repE0EEENS1_30default_config_static_selectorELNS0_4arch9wavefront6targetE0EEEvT1_,@function
_ZN7rocprim17ROCPRIM_400000_NS6detail17trampoline_kernelINS0_14default_configENS1_27scan_by_key_config_selectorIiiEEZZNS1_16scan_by_key_implILNS1_25lookback_scan_determinismE0ELb1ES3_N6thrust23THRUST_200600_302600_NS6detail15normal_iteratorINS9_10device_ptrIiEEEESE_SE_iNS9_4plusIvEENS9_8equal_toIvEEiEE10hipError_tPvRmT2_T3_T4_T5_mT6_T7_P12ihipStream_tbENKUlT_T0_E_clISt17integral_constantIbLb0EESY_IbLb1EEEEDaSU_SV_EUlSU_E_NS1_11comp_targetILNS1_3genE10ELNS1_11target_archE1200ELNS1_3gpuE4ELNS1_3repE0EEENS1_30default_config_static_selectorELNS0_4arch9wavefront6targetE0EEEvT1_: ; @_ZN7rocprim17ROCPRIM_400000_NS6detail17trampoline_kernelINS0_14default_configENS1_27scan_by_key_config_selectorIiiEEZZNS1_16scan_by_key_implILNS1_25lookback_scan_determinismE0ELb1ES3_N6thrust23THRUST_200600_302600_NS6detail15normal_iteratorINS9_10device_ptrIiEEEESE_SE_iNS9_4plusIvEENS9_8equal_toIvEEiEE10hipError_tPvRmT2_T3_T4_T5_mT6_T7_P12ihipStream_tbENKUlT_T0_E_clISt17integral_constantIbLb0EESY_IbLb1EEEEDaSU_SV_EUlSU_E_NS1_11comp_targetILNS1_3genE10ELNS1_11target_archE1200ELNS1_3gpuE4ELNS1_3repE0EEENS1_30default_config_static_selectorELNS0_4arch9wavefront6targetE0EEEvT1_
; %bb.0:
	.section	.rodata,"a",@progbits
	.p2align	6, 0x0
	.amdhsa_kernel _ZN7rocprim17ROCPRIM_400000_NS6detail17trampoline_kernelINS0_14default_configENS1_27scan_by_key_config_selectorIiiEEZZNS1_16scan_by_key_implILNS1_25lookback_scan_determinismE0ELb1ES3_N6thrust23THRUST_200600_302600_NS6detail15normal_iteratorINS9_10device_ptrIiEEEESE_SE_iNS9_4plusIvEENS9_8equal_toIvEEiEE10hipError_tPvRmT2_T3_T4_T5_mT6_T7_P12ihipStream_tbENKUlT_T0_E_clISt17integral_constantIbLb0EESY_IbLb1EEEEDaSU_SV_EUlSU_E_NS1_11comp_targetILNS1_3genE10ELNS1_11target_archE1200ELNS1_3gpuE4ELNS1_3repE0EEENS1_30default_config_static_selectorELNS0_4arch9wavefront6targetE0EEEvT1_
		.amdhsa_group_segment_fixed_size 0
		.amdhsa_private_segment_fixed_size 0
		.amdhsa_kernarg_size 112
		.amdhsa_user_sgpr_count 2
		.amdhsa_user_sgpr_dispatch_ptr 0
		.amdhsa_user_sgpr_queue_ptr 0
		.amdhsa_user_sgpr_kernarg_segment_ptr 1
		.amdhsa_user_sgpr_dispatch_id 0
		.amdhsa_user_sgpr_kernarg_preload_length 0
		.amdhsa_user_sgpr_kernarg_preload_offset 0
		.amdhsa_user_sgpr_private_segment_size 0
		.amdhsa_wavefront_size32 1
		.amdhsa_uses_dynamic_stack 0
		.amdhsa_enable_private_segment 0
		.amdhsa_system_sgpr_workgroup_id_x 1
		.amdhsa_system_sgpr_workgroup_id_y 0
		.amdhsa_system_sgpr_workgroup_id_z 0
		.amdhsa_system_sgpr_workgroup_info 0
		.amdhsa_system_vgpr_workitem_id 0
		.amdhsa_next_free_vgpr 1
		.amdhsa_next_free_sgpr 1
		.amdhsa_named_barrier_count 0
		.amdhsa_reserve_vcc 0
		.amdhsa_float_round_mode_32 0
		.amdhsa_float_round_mode_16_64 0
		.amdhsa_float_denorm_mode_32 3
		.amdhsa_float_denorm_mode_16_64 3
		.amdhsa_fp16_overflow 0
		.amdhsa_memory_ordered 1
		.amdhsa_forward_progress 1
		.amdhsa_inst_pref_size 0
		.amdhsa_round_robin_scheduling 0
		.amdhsa_exception_fp_ieee_invalid_op 0
		.amdhsa_exception_fp_denorm_src 0
		.amdhsa_exception_fp_ieee_div_zero 0
		.amdhsa_exception_fp_ieee_overflow 0
		.amdhsa_exception_fp_ieee_underflow 0
		.amdhsa_exception_fp_ieee_inexact 0
		.amdhsa_exception_int_div_zero 0
	.end_amdhsa_kernel
	.section	.text._ZN7rocprim17ROCPRIM_400000_NS6detail17trampoline_kernelINS0_14default_configENS1_27scan_by_key_config_selectorIiiEEZZNS1_16scan_by_key_implILNS1_25lookback_scan_determinismE0ELb1ES3_N6thrust23THRUST_200600_302600_NS6detail15normal_iteratorINS9_10device_ptrIiEEEESE_SE_iNS9_4plusIvEENS9_8equal_toIvEEiEE10hipError_tPvRmT2_T3_T4_T5_mT6_T7_P12ihipStream_tbENKUlT_T0_E_clISt17integral_constantIbLb0EESY_IbLb1EEEEDaSU_SV_EUlSU_E_NS1_11comp_targetILNS1_3genE10ELNS1_11target_archE1200ELNS1_3gpuE4ELNS1_3repE0EEENS1_30default_config_static_selectorELNS0_4arch9wavefront6targetE0EEEvT1_,"axG",@progbits,_ZN7rocprim17ROCPRIM_400000_NS6detail17trampoline_kernelINS0_14default_configENS1_27scan_by_key_config_selectorIiiEEZZNS1_16scan_by_key_implILNS1_25lookback_scan_determinismE0ELb1ES3_N6thrust23THRUST_200600_302600_NS6detail15normal_iteratorINS9_10device_ptrIiEEEESE_SE_iNS9_4plusIvEENS9_8equal_toIvEEiEE10hipError_tPvRmT2_T3_T4_T5_mT6_T7_P12ihipStream_tbENKUlT_T0_E_clISt17integral_constantIbLb0EESY_IbLb1EEEEDaSU_SV_EUlSU_E_NS1_11comp_targetILNS1_3genE10ELNS1_11target_archE1200ELNS1_3gpuE4ELNS1_3repE0EEENS1_30default_config_static_selectorELNS0_4arch9wavefront6targetE0EEEvT1_,comdat
.Lfunc_end494:
	.size	_ZN7rocprim17ROCPRIM_400000_NS6detail17trampoline_kernelINS0_14default_configENS1_27scan_by_key_config_selectorIiiEEZZNS1_16scan_by_key_implILNS1_25lookback_scan_determinismE0ELb1ES3_N6thrust23THRUST_200600_302600_NS6detail15normal_iteratorINS9_10device_ptrIiEEEESE_SE_iNS9_4plusIvEENS9_8equal_toIvEEiEE10hipError_tPvRmT2_T3_T4_T5_mT6_T7_P12ihipStream_tbENKUlT_T0_E_clISt17integral_constantIbLb0EESY_IbLb1EEEEDaSU_SV_EUlSU_E_NS1_11comp_targetILNS1_3genE10ELNS1_11target_archE1200ELNS1_3gpuE4ELNS1_3repE0EEENS1_30default_config_static_selectorELNS0_4arch9wavefront6targetE0EEEvT1_, .Lfunc_end494-_ZN7rocprim17ROCPRIM_400000_NS6detail17trampoline_kernelINS0_14default_configENS1_27scan_by_key_config_selectorIiiEEZZNS1_16scan_by_key_implILNS1_25lookback_scan_determinismE0ELb1ES3_N6thrust23THRUST_200600_302600_NS6detail15normal_iteratorINS9_10device_ptrIiEEEESE_SE_iNS9_4plusIvEENS9_8equal_toIvEEiEE10hipError_tPvRmT2_T3_T4_T5_mT6_T7_P12ihipStream_tbENKUlT_T0_E_clISt17integral_constantIbLb0EESY_IbLb1EEEEDaSU_SV_EUlSU_E_NS1_11comp_targetILNS1_3genE10ELNS1_11target_archE1200ELNS1_3gpuE4ELNS1_3repE0EEENS1_30default_config_static_selectorELNS0_4arch9wavefront6targetE0EEEvT1_
                                        ; -- End function
	.set _ZN7rocprim17ROCPRIM_400000_NS6detail17trampoline_kernelINS0_14default_configENS1_27scan_by_key_config_selectorIiiEEZZNS1_16scan_by_key_implILNS1_25lookback_scan_determinismE0ELb1ES3_N6thrust23THRUST_200600_302600_NS6detail15normal_iteratorINS9_10device_ptrIiEEEESE_SE_iNS9_4plusIvEENS9_8equal_toIvEEiEE10hipError_tPvRmT2_T3_T4_T5_mT6_T7_P12ihipStream_tbENKUlT_T0_E_clISt17integral_constantIbLb0EESY_IbLb1EEEEDaSU_SV_EUlSU_E_NS1_11comp_targetILNS1_3genE10ELNS1_11target_archE1200ELNS1_3gpuE4ELNS1_3repE0EEENS1_30default_config_static_selectorELNS0_4arch9wavefront6targetE0EEEvT1_.num_vgpr, 0
	.set _ZN7rocprim17ROCPRIM_400000_NS6detail17trampoline_kernelINS0_14default_configENS1_27scan_by_key_config_selectorIiiEEZZNS1_16scan_by_key_implILNS1_25lookback_scan_determinismE0ELb1ES3_N6thrust23THRUST_200600_302600_NS6detail15normal_iteratorINS9_10device_ptrIiEEEESE_SE_iNS9_4plusIvEENS9_8equal_toIvEEiEE10hipError_tPvRmT2_T3_T4_T5_mT6_T7_P12ihipStream_tbENKUlT_T0_E_clISt17integral_constantIbLb0EESY_IbLb1EEEEDaSU_SV_EUlSU_E_NS1_11comp_targetILNS1_3genE10ELNS1_11target_archE1200ELNS1_3gpuE4ELNS1_3repE0EEENS1_30default_config_static_selectorELNS0_4arch9wavefront6targetE0EEEvT1_.num_agpr, 0
	.set _ZN7rocprim17ROCPRIM_400000_NS6detail17trampoline_kernelINS0_14default_configENS1_27scan_by_key_config_selectorIiiEEZZNS1_16scan_by_key_implILNS1_25lookback_scan_determinismE0ELb1ES3_N6thrust23THRUST_200600_302600_NS6detail15normal_iteratorINS9_10device_ptrIiEEEESE_SE_iNS9_4plusIvEENS9_8equal_toIvEEiEE10hipError_tPvRmT2_T3_T4_T5_mT6_T7_P12ihipStream_tbENKUlT_T0_E_clISt17integral_constantIbLb0EESY_IbLb1EEEEDaSU_SV_EUlSU_E_NS1_11comp_targetILNS1_3genE10ELNS1_11target_archE1200ELNS1_3gpuE4ELNS1_3repE0EEENS1_30default_config_static_selectorELNS0_4arch9wavefront6targetE0EEEvT1_.numbered_sgpr, 0
	.set _ZN7rocprim17ROCPRIM_400000_NS6detail17trampoline_kernelINS0_14default_configENS1_27scan_by_key_config_selectorIiiEEZZNS1_16scan_by_key_implILNS1_25lookback_scan_determinismE0ELb1ES3_N6thrust23THRUST_200600_302600_NS6detail15normal_iteratorINS9_10device_ptrIiEEEESE_SE_iNS9_4plusIvEENS9_8equal_toIvEEiEE10hipError_tPvRmT2_T3_T4_T5_mT6_T7_P12ihipStream_tbENKUlT_T0_E_clISt17integral_constantIbLb0EESY_IbLb1EEEEDaSU_SV_EUlSU_E_NS1_11comp_targetILNS1_3genE10ELNS1_11target_archE1200ELNS1_3gpuE4ELNS1_3repE0EEENS1_30default_config_static_selectorELNS0_4arch9wavefront6targetE0EEEvT1_.num_named_barrier, 0
	.set _ZN7rocprim17ROCPRIM_400000_NS6detail17trampoline_kernelINS0_14default_configENS1_27scan_by_key_config_selectorIiiEEZZNS1_16scan_by_key_implILNS1_25lookback_scan_determinismE0ELb1ES3_N6thrust23THRUST_200600_302600_NS6detail15normal_iteratorINS9_10device_ptrIiEEEESE_SE_iNS9_4plusIvEENS9_8equal_toIvEEiEE10hipError_tPvRmT2_T3_T4_T5_mT6_T7_P12ihipStream_tbENKUlT_T0_E_clISt17integral_constantIbLb0EESY_IbLb1EEEEDaSU_SV_EUlSU_E_NS1_11comp_targetILNS1_3genE10ELNS1_11target_archE1200ELNS1_3gpuE4ELNS1_3repE0EEENS1_30default_config_static_selectorELNS0_4arch9wavefront6targetE0EEEvT1_.private_seg_size, 0
	.set _ZN7rocprim17ROCPRIM_400000_NS6detail17trampoline_kernelINS0_14default_configENS1_27scan_by_key_config_selectorIiiEEZZNS1_16scan_by_key_implILNS1_25lookback_scan_determinismE0ELb1ES3_N6thrust23THRUST_200600_302600_NS6detail15normal_iteratorINS9_10device_ptrIiEEEESE_SE_iNS9_4plusIvEENS9_8equal_toIvEEiEE10hipError_tPvRmT2_T3_T4_T5_mT6_T7_P12ihipStream_tbENKUlT_T0_E_clISt17integral_constantIbLb0EESY_IbLb1EEEEDaSU_SV_EUlSU_E_NS1_11comp_targetILNS1_3genE10ELNS1_11target_archE1200ELNS1_3gpuE4ELNS1_3repE0EEENS1_30default_config_static_selectorELNS0_4arch9wavefront6targetE0EEEvT1_.uses_vcc, 0
	.set _ZN7rocprim17ROCPRIM_400000_NS6detail17trampoline_kernelINS0_14default_configENS1_27scan_by_key_config_selectorIiiEEZZNS1_16scan_by_key_implILNS1_25lookback_scan_determinismE0ELb1ES3_N6thrust23THRUST_200600_302600_NS6detail15normal_iteratorINS9_10device_ptrIiEEEESE_SE_iNS9_4plusIvEENS9_8equal_toIvEEiEE10hipError_tPvRmT2_T3_T4_T5_mT6_T7_P12ihipStream_tbENKUlT_T0_E_clISt17integral_constantIbLb0EESY_IbLb1EEEEDaSU_SV_EUlSU_E_NS1_11comp_targetILNS1_3genE10ELNS1_11target_archE1200ELNS1_3gpuE4ELNS1_3repE0EEENS1_30default_config_static_selectorELNS0_4arch9wavefront6targetE0EEEvT1_.uses_flat_scratch, 0
	.set _ZN7rocprim17ROCPRIM_400000_NS6detail17trampoline_kernelINS0_14default_configENS1_27scan_by_key_config_selectorIiiEEZZNS1_16scan_by_key_implILNS1_25lookback_scan_determinismE0ELb1ES3_N6thrust23THRUST_200600_302600_NS6detail15normal_iteratorINS9_10device_ptrIiEEEESE_SE_iNS9_4plusIvEENS9_8equal_toIvEEiEE10hipError_tPvRmT2_T3_T4_T5_mT6_T7_P12ihipStream_tbENKUlT_T0_E_clISt17integral_constantIbLb0EESY_IbLb1EEEEDaSU_SV_EUlSU_E_NS1_11comp_targetILNS1_3genE10ELNS1_11target_archE1200ELNS1_3gpuE4ELNS1_3repE0EEENS1_30default_config_static_selectorELNS0_4arch9wavefront6targetE0EEEvT1_.has_dyn_sized_stack, 0
	.set _ZN7rocprim17ROCPRIM_400000_NS6detail17trampoline_kernelINS0_14default_configENS1_27scan_by_key_config_selectorIiiEEZZNS1_16scan_by_key_implILNS1_25lookback_scan_determinismE0ELb1ES3_N6thrust23THRUST_200600_302600_NS6detail15normal_iteratorINS9_10device_ptrIiEEEESE_SE_iNS9_4plusIvEENS9_8equal_toIvEEiEE10hipError_tPvRmT2_T3_T4_T5_mT6_T7_P12ihipStream_tbENKUlT_T0_E_clISt17integral_constantIbLb0EESY_IbLb1EEEEDaSU_SV_EUlSU_E_NS1_11comp_targetILNS1_3genE10ELNS1_11target_archE1200ELNS1_3gpuE4ELNS1_3repE0EEENS1_30default_config_static_selectorELNS0_4arch9wavefront6targetE0EEEvT1_.has_recursion, 0
	.set _ZN7rocprim17ROCPRIM_400000_NS6detail17trampoline_kernelINS0_14default_configENS1_27scan_by_key_config_selectorIiiEEZZNS1_16scan_by_key_implILNS1_25lookback_scan_determinismE0ELb1ES3_N6thrust23THRUST_200600_302600_NS6detail15normal_iteratorINS9_10device_ptrIiEEEESE_SE_iNS9_4plusIvEENS9_8equal_toIvEEiEE10hipError_tPvRmT2_T3_T4_T5_mT6_T7_P12ihipStream_tbENKUlT_T0_E_clISt17integral_constantIbLb0EESY_IbLb1EEEEDaSU_SV_EUlSU_E_NS1_11comp_targetILNS1_3genE10ELNS1_11target_archE1200ELNS1_3gpuE4ELNS1_3repE0EEENS1_30default_config_static_selectorELNS0_4arch9wavefront6targetE0EEEvT1_.has_indirect_call, 0
	.section	.AMDGPU.csdata,"",@progbits
; Kernel info:
; codeLenInByte = 0
; TotalNumSgprs: 0
; NumVgprs: 0
; ScratchSize: 0
; MemoryBound: 0
; FloatMode: 240
; IeeeMode: 1
; LDSByteSize: 0 bytes/workgroup (compile time only)
; SGPRBlocks: 0
; VGPRBlocks: 0
; NumSGPRsForWavesPerEU: 1
; NumVGPRsForWavesPerEU: 1
; NamedBarCnt: 0
; Occupancy: 16
; WaveLimiterHint : 0
; COMPUTE_PGM_RSRC2:SCRATCH_EN: 0
; COMPUTE_PGM_RSRC2:USER_SGPR: 2
; COMPUTE_PGM_RSRC2:TRAP_HANDLER: 0
; COMPUTE_PGM_RSRC2:TGID_X_EN: 1
; COMPUTE_PGM_RSRC2:TGID_Y_EN: 0
; COMPUTE_PGM_RSRC2:TGID_Z_EN: 0
; COMPUTE_PGM_RSRC2:TIDIG_COMP_CNT: 0
	.section	.text._ZN7rocprim17ROCPRIM_400000_NS6detail17trampoline_kernelINS0_14default_configENS1_27scan_by_key_config_selectorIiiEEZZNS1_16scan_by_key_implILNS1_25lookback_scan_determinismE0ELb1ES3_N6thrust23THRUST_200600_302600_NS6detail15normal_iteratorINS9_10device_ptrIiEEEESE_SE_iNS9_4plusIvEENS9_8equal_toIvEEiEE10hipError_tPvRmT2_T3_T4_T5_mT6_T7_P12ihipStream_tbENKUlT_T0_E_clISt17integral_constantIbLb0EESY_IbLb1EEEEDaSU_SV_EUlSU_E_NS1_11comp_targetILNS1_3genE9ELNS1_11target_archE1100ELNS1_3gpuE3ELNS1_3repE0EEENS1_30default_config_static_selectorELNS0_4arch9wavefront6targetE0EEEvT1_,"axG",@progbits,_ZN7rocprim17ROCPRIM_400000_NS6detail17trampoline_kernelINS0_14default_configENS1_27scan_by_key_config_selectorIiiEEZZNS1_16scan_by_key_implILNS1_25lookback_scan_determinismE0ELb1ES3_N6thrust23THRUST_200600_302600_NS6detail15normal_iteratorINS9_10device_ptrIiEEEESE_SE_iNS9_4plusIvEENS9_8equal_toIvEEiEE10hipError_tPvRmT2_T3_T4_T5_mT6_T7_P12ihipStream_tbENKUlT_T0_E_clISt17integral_constantIbLb0EESY_IbLb1EEEEDaSU_SV_EUlSU_E_NS1_11comp_targetILNS1_3genE9ELNS1_11target_archE1100ELNS1_3gpuE3ELNS1_3repE0EEENS1_30default_config_static_selectorELNS0_4arch9wavefront6targetE0EEEvT1_,comdat
	.protected	_ZN7rocprim17ROCPRIM_400000_NS6detail17trampoline_kernelINS0_14default_configENS1_27scan_by_key_config_selectorIiiEEZZNS1_16scan_by_key_implILNS1_25lookback_scan_determinismE0ELb1ES3_N6thrust23THRUST_200600_302600_NS6detail15normal_iteratorINS9_10device_ptrIiEEEESE_SE_iNS9_4plusIvEENS9_8equal_toIvEEiEE10hipError_tPvRmT2_T3_T4_T5_mT6_T7_P12ihipStream_tbENKUlT_T0_E_clISt17integral_constantIbLb0EESY_IbLb1EEEEDaSU_SV_EUlSU_E_NS1_11comp_targetILNS1_3genE9ELNS1_11target_archE1100ELNS1_3gpuE3ELNS1_3repE0EEENS1_30default_config_static_selectorELNS0_4arch9wavefront6targetE0EEEvT1_ ; -- Begin function _ZN7rocprim17ROCPRIM_400000_NS6detail17trampoline_kernelINS0_14default_configENS1_27scan_by_key_config_selectorIiiEEZZNS1_16scan_by_key_implILNS1_25lookback_scan_determinismE0ELb1ES3_N6thrust23THRUST_200600_302600_NS6detail15normal_iteratorINS9_10device_ptrIiEEEESE_SE_iNS9_4plusIvEENS9_8equal_toIvEEiEE10hipError_tPvRmT2_T3_T4_T5_mT6_T7_P12ihipStream_tbENKUlT_T0_E_clISt17integral_constantIbLb0EESY_IbLb1EEEEDaSU_SV_EUlSU_E_NS1_11comp_targetILNS1_3genE9ELNS1_11target_archE1100ELNS1_3gpuE3ELNS1_3repE0EEENS1_30default_config_static_selectorELNS0_4arch9wavefront6targetE0EEEvT1_
	.globl	_ZN7rocprim17ROCPRIM_400000_NS6detail17trampoline_kernelINS0_14default_configENS1_27scan_by_key_config_selectorIiiEEZZNS1_16scan_by_key_implILNS1_25lookback_scan_determinismE0ELb1ES3_N6thrust23THRUST_200600_302600_NS6detail15normal_iteratorINS9_10device_ptrIiEEEESE_SE_iNS9_4plusIvEENS9_8equal_toIvEEiEE10hipError_tPvRmT2_T3_T4_T5_mT6_T7_P12ihipStream_tbENKUlT_T0_E_clISt17integral_constantIbLb0EESY_IbLb1EEEEDaSU_SV_EUlSU_E_NS1_11comp_targetILNS1_3genE9ELNS1_11target_archE1100ELNS1_3gpuE3ELNS1_3repE0EEENS1_30default_config_static_selectorELNS0_4arch9wavefront6targetE0EEEvT1_
	.p2align	8
	.type	_ZN7rocprim17ROCPRIM_400000_NS6detail17trampoline_kernelINS0_14default_configENS1_27scan_by_key_config_selectorIiiEEZZNS1_16scan_by_key_implILNS1_25lookback_scan_determinismE0ELb1ES3_N6thrust23THRUST_200600_302600_NS6detail15normal_iteratorINS9_10device_ptrIiEEEESE_SE_iNS9_4plusIvEENS9_8equal_toIvEEiEE10hipError_tPvRmT2_T3_T4_T5_mT6_T7_P12ihipStream_tbENKUlT_T0_E_clISt17integral_constantIbLb0EESY_IbLb1EEEEDaSU_SV_EUlSU_E_NS1_11comp_targetILNS1_3genE9ELNS1_11target_archE1100ELNS1_3gpuE3ELNS1_3repE0EEENS1_30default_config_static_selectorELNS0_4arch9wavefront6targetE0EEEvT1_,@function
_ZN7rocprim17ROCPRIM_400000_NS6detail17trampoline_kernelINS0_14default_configENS1_27scan_by_key_config_selectorIiiEEZZNS1_16scan_by_key_implILNS1_25lookback_scan_determinismE0ELb1ES3_N6thrust23THRUST_200600_302600_NS6detail15normal_iteratorINS9_10device_ptrIiEEEESE_SE_iNS9_4plusIvEENS9_8equal_toIvEEiEE10hipError_tPvRmT2_T3_T4_T5_mT6_T7_P12ihipStream_tbENKUlT_T0_E_clISt17integral_constantIbLb0EESY_IbLb1EEEEDaSU_SV_EUlSU_E_NS1_11comp_targetILNS1_3genE9ELNS1_11target_archE1100ELNS1_3gpuE3ELNS1_3repE0EEENS1_30default_config_static_selectorELNS0_4arch9wavefront6targetE0EEEvT1_: ; @_ZN7rocprim17ROCPRIM_400000_NS6detail17trampoline_kernelINS0_14default_configENS1_27scan_by_key_config_selectorIiiEEZZNS1_16scan_by_key_implILNS1_25lookback_scan_determinismE0ELb1ES3_N6thrust23THRUST_200600_302600_NS6detail15normal_iteratorINS9_10device_ptrIiEEEESE_SE_iNS9_4plusIvEENS9_8equal_toIvEEiEE10hipError_tPvRmT2_T3_T4_T5_mT6_T7_P12ihipStream_tbENKUlT_T0_E_clISt17integral_constantIbLb0EESY_IbLb1EEEEDaSU_SV_EUlSU_E_NS1_11comp_targetILNS1_3genE9ELNS1_11target_archE1100ELNS1_3gpuE3ELNS1_3repE0EEENS1_30default_config_static_selectorELNS0_4arch9wavefront6targetE0EEEvT1_
; %bb.0:
	.section	.rodata,"a",@progbits
	.p2align	6, 0x0
	.amdhsa_kernel _ZN7rocprim17ROCPRIM_400000_NS6detail17trampoline_kernelINS0_14default_configENS1_27scan_by_key_config_selectorIiiEEZZNS1_16scan_by_key_implILNS1_25lookback_scan_determinismE0ELb1ES3_N6thrust23THRUST_200600_302600_NS6detail15normal_iteratorINS9_10device_ptrIiEEEESE_SE_iNS9_4plusIvEENS9_8equal_toIvEEiEE10hipError_tPvRmT2_T3_T4_T5_mT6_T7_P12ihipStream_tbENKUlT_T0_E_clISt17integral_constantIbLb0EESY_IbLb1EEEEDaSU_SV_EUlSU_E_NS1_11comp_targetILNS1_3genE9ELNS1_11target_archE1100ELNS1_3gpuE3ELNS1_3repE0EEENS1_30default_config_static_selectorELNS0_4arch9wavefront6targetE0EEEvT1_
		.amdhsa_group_segment_fixed_size 0
		.amdhsa_private_segment_fixed_size 0
		.amdhsa_kernarg_size 112
		.amdhsa_user_sgpr_count 2
		.amdhsa_user_sgpr_dispatch_ptr 0
		.amdhsa_user_sgpr_queue_ptr 0
		.amdhsa_user_sgpr_kernarg_segment_ptr 1
		.amdhsa_user_sgpr_dispatch_id 0
		.amdhsa_user_sgpr_kernarg_preload_length 0
		.amdhsa_user_sgpr_kernarg_preload_offset 0
		.amdhsa_user_sgpr_private_segment_size 0
		.amdhsa_wavefront_size32 1
		.amdhsa_uses_dynamic_stack 0
		.amdhsa_enable_private_segment 0
		.amdhsa_system_sgpr_workgroup_id_x 1
		.amdhsa_system_sgpr_workgroup_id_y 0
		.amdhsa_system_sgpr_workgroup_id_z 0
		.amdhsa_system_sgpr_workgroup_info 0
		.amdhsa_system_vgpr_workitem_id 0
		.amdhsa_next_free_vgpr 1
		.amdhsa_next_free_sgpr 1
		.amdhsa_named_barrier_count 0
		.amdhsa_reserve_vcc 0
		.amdhsa_float_round_mode_32 0
		.amdhsa_float_round_mode_16_64 0
		.amdhsa_float_denorm_mode_32 3
		.amdhsa_float_denorm_mode_16_64 3
		.amdhsa_fp16_overflow 0
		.amdhsa_memory_ordered 1
		.amdhsa_forward_progress 1
		.amdhsa_inst_pref_size 0
		.amdhsa_round_robin_scheduling 0
		.amdhsa_exception_fp_ieee_invalid_op 0
		.amdhsa_exception_fp_denorm_src 0
		.amdhsa_exception_fp_ieee_div_zero 0
		.amdhsa_exception_fp_ieee_overflow 0
		.amdhsa_exception_fp_ieee_underflow 0
		.amdhsa_exception_fp_ieee_inexact 0
		.amdhsa_exception_int_div_zero 0
	.end_amdhsa_kernel
	.section	.text._ZN7rocprim17ROCPRIM_400000_NS6detail17trampoline_kernelINS0_14default_configENS1_27scan_by_key_config_selectorIiiEEZZNS1_16scan_by_key_implILNS1_25lookback_scan_determinismE0ELb1ES3_N6thrust23THRUST_200600_302600_NS6detail15normal_iteratorINS9_10device_ptrIiEEEESE_SE_iNS9_4plusIvEENS9_8equal_toIvEEiEE10hipError_tPvRmT2_T3_T4_T5_mT6_T7_P12ihipStream_tbENKUlT_T0_E_clISt17integral_constantIbLb0EESY_IbLb1EEEEDaSU_SV_EUlSU_E_NS1_11comp_targetILNS1_3genE9ELNS1_11target_archE1100ELNS1_3gpuE3ELNS1_3repE0EEENS1_30default_config_static_selectorELNS0_4arch9wavefront6targetE0EEEvT1_,"axG",@progbits,_ZN7rocprim17ROCPRIM_400000_NS6detail17trampoline_kernelINS0_14default_configENS1_27scan_by_key_config_selectorIiiEEZZNS1_16scan_by_key_implILNS1_25lookback_scan_determinismE0ELb1ES3_N6thrust23THRUST_200600_302600_NS6detail15normal_iteratorINS9_10device_ptrIiEEEESE_SE_iNS9_4plusIvEENS9_8equal_toIvEEiEE10hipError_tPvRmT2_T3_T4_T5_mT6_T7_P12ihipStream_tbENKUlT_T0_E_clISt17integral_constantIbLb0EESY_IbLb1EEEEDaSU_SV_EUlSU_E_NS1_11comp_targetILNS1_3genE9ELNS1_11target_archE1100ELNS1_3gpuE3ELNS1_3repE0EEENS1_30default_config_static_selectorELNS0_4arch9wavefront6targetE0EEEvT1_,comdat
.Lfunc_end495:
	.size	_ZN7rocprim17ROCPRIM_400000_NS6detail17trampoline_kernelINS0_14default_configENS1_27scan_by_key_config_selectorIiiEEZZNS1_16scan_by_key_implILNS1_25lookback_scan_determinismE0ELb1ES3_N6thrust23THRUST_200600_302600_NS6detail15normal_iteratorINS9_10device_ptrIiEEEESE_SE_iNS9_4plusIvEENS9_8equal_toIvEEiEE10hipError_tPvRmT2_T3_T4_T5_mT6_T7_P12ihipStream_tbENKUlT_T0_E_clISt17integral_constantIbLb0EESY_IbLb1EEEEDaSU_SV_EUlSU_E_NS1_11comp_targetILNS1_3genE9ELNS1_11target_archE1100ELNS1_3gpuE3ELNS1_3repE0EEENS1_30default_config_static_selectorELNS0_4arch9wavefront6targetE0EEEvT1_, .Lfunc_end495-_ZN7rocprim17ROCPRIM_400000_NS6detail17trampoline_kernelINS0_14default_configENS1_27scan_by_key_config_selectorIiiEEZZNS1_16scan_by_key_implILNS1_25lookback_scan_determinismE0ELb1ES3_N6thrust23THRUST_200600_302600_NS6detail15normal_iteratorINS9_10device_ptrIiEEEESE_SE_iNS9_4plusIvEENS9_8equal_toIvEEiEE10hipError_tPvRmT2_T3_T4_T5_mT6_T7_P12ihipStream_tbENKUlT_T0_E_clISt17integral_constantIbLb0EESY_IbLb1EEEEDaSU_SV_EUlSU_E_NS1_11comp_targetILNS1_3genE9ELNS1_11target_archE1100ELNS1_3gpuE3ELNS1_3repE0EEENS1_30default_config_static_selectorELNS0_4arch9wavefront6targetE0EEEvT1_
                                        ; -- End function
	.set _ZN7rocprim17ROCPRIM_400000_NS6detail17trampoline_kernelINS0_14default_configENS1_27scan_by_key_config_selectorIiiEEZZNS1_16scan_by_key_implILNS1_25lookback_scan_determinismE0ELb1ES3_N6thrust23THRUST_200600_302600_NS6detail15normal_iteratorINS9_10device_ptrIiEEEESE_SE_iNS9_4plusIvEENS9_8equal_toIvEEiEE10hipError_tPvRmT2_T3_T4_T5_mT6_T7_P12ihipStream_tbENKUlT_T0_E_clISt17integral_constantIbLb0EESY_IbLb1EEEEDaSU_SV_EUlSU_E_NS1_11comp_targetILNS1_3genE9ELNS1_11target_archE1100ELNS1_3gpuE3ELNS1_3repE0EEENS1_30default_config_static_selectorELNS0_4arch9wavefront6targetE0EEEvT1_.num_vgpr, 0
	.set _ZN7rocprim17ROCPRIM_400000_NS6detail17trampoline_kernelINS0_14default_configENS1_27scan_by_key_config_selectorIiiEEZZNS1_16scan_by_key_implILNS1_25lookback_scan_determinismE0ELb1ES3_N6thrust23THRUST_200600_302600_NS6detail15normal_iteratorINS9_10device_ptrIiEEEESE_SE_iNS9_4plusIvEENS9_8equal_toIvEEiEE10hipError_tPvRmT2_T3_T4_T5_mT6_T7_P12ihipStream_tbENKUlT_T0_E_clISt17integral_constantIbLb0EESY_IbLb1EEEEDaSU_SV_EUlSU_E_NS1_11comp_targetILNS1_3genE9ELNS1_11target_archE1100ELNS1_3gpuE3ELNS1_3repE0EEENS1_30default_config_static_selectorELNS0_4arch9wavefront6targetE0EEEvT1_.num_agpr, 0
	.set _ZN7rocprim17ROCPRIM_400000_NS6detail17trampoline_kernelINS0_14default_configENS1_27scan_by_key_config_selectorIiiEEZZNS1_16scan_by_key_implILNS1_25lookback_scan_determinismE0ELb1ES3_N6thrust23THRUST_200600_302600_NS6detail15normal_iteratorINS9_10device_ptrIiEEEESE_SE_iNS9_4plusIvEENS9_8equal_toIvEEiEE10hipError_tPvRmT2_T3_T4_T5_mT6_T7_P12ihipStream_tbENKUlT_T0_E_clISt17integral_constantIbLb0EESY_IbLb1EEEEDaSU_SV_EUlSU_E_NS1_11comp_targetILNS1_3genE9ELNS1_11target_archE1100ELNS1_3gpuE3ELNS1_3repE0EEENS1_30default_config_static_selectorELNS0_4arch9wavefront6targetE0EEEvT1_.numbered_sgpr, 0
	.set _ZN7rocprim17ROCPRIM_400000_NS6detail17trampoline_kernelINS0_14default_configENS1_27scan_by_key_config_selectorIiiEEZZNS1_16scan_by_key_implILNS1_25lookback_scan_determinismE0ELb1ES3_N6thrust23THRUST_200600_302600_NS6detail15normal_iteratorINS9_10device_ptrIiEEEESE_SE_iNS9_4plusIvEENS9_8equal_toIvEEiEE10hipError_tPvRmT2_T3_T4_T5_mT6_T7_P12ihipStream_tbENKUlT_T0_E_clISt17integral_constantIbLb0EESY_IbLb1EEEEDaSU_SV_EUlSU_E_NS1_11comp_targetILNS1_3genE9ELNS1_11target_archE1100ELNS1_3gpuE3ELNS1_3repE0EEENS1_30default_config_static_selectorELNS0_4arch9wavefront6targetE0EEEvT1_.num_named_barrier, 0
	.set _ZN7rocprim17ROCPRIM_400000_NS6detail17trampoline_kernelINS0_14default_configENS1_27scan_by_key_config_selectorIiiEEZZNS1_16scan_by_key_implILNS1_25lookback_scan_determinismE0ELb1ES3_N6thrust23THRUST_200600_302600_NS6detail15normal_iteratorINS9_10device_ptrIiEEEESE_SE_iNS9_4plusIvEENS9_8equal_toIvEEiEE10hipError_tPvRmT2_T3_T4_T5_mT6_T7_P12ihipStream_tbENKUlT_T0_E_clISt17integral_constantIbLb0EESY_IbLb1EEEEDaSU_SV_EUlSU_E_NS1_11comp_targetILNS1_3genE9ELNS1_11target_archE1100ELNS1_3gpuE3ELNS1_3repE0EEENS1_30default_config_static_selectorELNS0_4arch9wavefront6targetE0EEEvT1_.private_seg_size, 0
	.set _ZN7rocprim17ROCPRIM_400000_NS6detail17trampoline_kernelINS0_14default_configENS1_27scan_by_key_config_selectorIiiEEZZNS1_16scan_by_key_implILNS1_25lookback_scan_determinismE0ELb1ES3_N6thrust23THRUST_200600_302600_NS6detail15normal_iteratorINS9_10device_ptrIiEEEESE_SE_iNS9_4plusIvEENS9_8equal_toIvEEiEE10hipError_tPvRmT2_T3_T4_T5_mT6_T7_P12ihipStream_tbENKUlT_T0_E_clISt17integral_constantIbLb0EESY_IbLb1EEEEDaSU_SV_EUlSU_E_NS1_11comp_targetILNS1_3genE9ELNS1_11target_archE1100ELNS1_3gpuE3ELNS1_3repE0EEENS1_30default_config_static_selectorELNS0_4arch9wavefront6targetE0EEEvT1_.uses_vcc, 0
	.set _ZN7rocprim17ROCPRIM_400000_NS6detail17trampoline_kernelINS0_14default_configENS1_27scan_by_key_config_selectorIiiEEZZNS1_16scan_by_key_implILNS1_25lookback_scan_determinismE0ELb1ES3_N6thrust23THRUST_200600_302600_NS6detail15normal_iteratorINS9_10device_ptrIiEEEESE_SE_iNS9_4plusIvEENS9_8equal_toIvEEiEE10hipError_tPvRmT2_T3_T4_T5_mT6_T7_P12ihipStream_tbENKUlT_T0_E_clISt17integral_constantIbLb0EESY_IbLb1EEEEDaSU_SV_EUlSU_E_NS1_11comp_targetILNS1_3genE9ELNS1_11target_archE1100ELNS1_3gpuE3ELNS1_3repE0EEENS1_30default_config_static_selectorELNS0_4arch9wavefront6targetE0EEEvT1_.uses_flat_scratch, 0
	.set _ZN7rocprim17ROCPRIM_400000_NS6detail17trampoline_kernelINS0_14default_configENS1_27scan_by_key_config_selectorIiiEEZZNS1_16scan_by_key_implILNS1_25lookback_scan_determinismE0ELb1ES3_N6thrust23THRUST_200600_302600_NS6detail15normal_iteratorINS9_10device_ptrIiEEEESE_SE_iNS9_4plusIvEENS9_8equal_toIvEEiEE10hipError_tPvRmT2_T3_T4_T5_mT6_T7_P12ihipStream_tbENKUlT_T0_E_clISt17integral_constantIbLb0EESY_IbLb1EEEEDaSU_SV_EUlSU_E_NS1_11comp_targetILNS1_3genE9ELNS1_11target_archE1100ELNS1_3gpuE3ELNS1_3repE0EEENS1_30default_config_static_selectorELNS0_4arch9wavefront6targetE0EEEvT1_.has_dyn_sized_stack, 0
	.set _ZN7rocprim17ROCPRIM_400000_NS6detail17trampoline_kernelINS0_14default_configENS1_27scan_by_key_config_selectorIiiEEZZNS1_16scan_by_key_implILNS1_25lookback_scan_determinismE0ELb1ES3_N6thrust23THRUST_200600_302600_NS6detail15normal_iteratorINS9_10device_ptrIiEEEESE_SE_iNS9_4plusIvEENS9_8equal_toIvEEiEE10hipError_tPvRmT2_T3_T4_T5_mT6_T7_P12ihipStream_tbENKUlT_T0_E_clISt17integral_constantIbLb0EESY_IbLb1EEEEDaSU_SV_EUlSU_E_NS1_11comp_targetILNS1_3genE9ELNS1_11target_archE1100ELNS1_3gpuE3ELNS1_3repE0EEENS1_30default_config_static_selectorELNS0_4arch9wavefront6targetE0EEEvT1_.has_recursion, 0
	.set _ZN7rocprim17ROCPRIM_400000_NS6detail17trampoline_kernelINS0_14default_configENS1_27scan_by_key_config_selectorIiiEEZZNS1_16scan_by_key_implILNS1_25lookback_scan_determinismE0ELb1ES3_N6thrust23THRUST_200600_302600_NS6detail15normal_iteratorINS9_10device_ptrIiEEEESE_SE_iNS9_4plusIvEENS9_8equal_toIvEEiEE10hipError_tPvRmT2_T3_T4_T5_mT6_T7_P12ihipStream_tbENKUlT_T0_E_clISt17integral_constantIbLb0EESY_IbLb1EEEEDaSU_SV_EUlSU_E_NS1_11comp_targetILNS1_3genE9ELNS1_11target_archE1100ELNS1_3gpuE3ELNS1_3repE0EEENS1_30default_config_static_selectorELNS0_4arch9wavefront6targetE0EEEvT1_.has_indirect_call, 0
	.section	.AMDGPU.csdata,"",@progbits
; Kernel info:
; codeLenInByte = 0
; TotalNumSgprs: 0
; NumVgprs: 0
; ScratchSize: 0
; MemoryBound: 0
; FloatMode: 240
; IeeeMode: 1
; LDSByteSize: 0 bytes/workgroup (compile time only)
; SGPRBlocks: 0
; VGPRBlocks: 0
; NumSGPRsForWavesPerEU: 1
; NumVGPRsForWavesPerEU: 1
; NamedBarCnt: 0
; Occupancy: 16
; WaveLimiterHint : 0
; COMPUTE_PGM_RSRC2:SCRATCH_EN: 0
; COMPUTE_PGM_RSRC2:USER_SGPR: 2
; COMPUTE_PGM_RSRC2:TRAP_HANDLER: 0
; COMPUTE_PGM_RSRC2:TGID_X_EN: 1
; COMPUTE_PGM_RSRC2:TGID_Y_EN: 0
; COMPUTE_PGM_RSRC2:TGID_Z_EN: 0
; COMPUTE_PGM_RSRC2:TIDIG_COMP_CNT: 0
	.section	.text._ZN7rocprim17ROCPRIM_400000_NS6detail17trampoline_kernelINS0_14default_configENS1_27scan_by_key_config_selectorIiiEEZZNS1_16scan_by_key_implILNS1_25lookback_scan_determinismE0ELb1ES3_N6thrust23THRUST_200600_302600_NS6detail15normal_iteratorINS9_10device_ptrIiEEEESE_SE_iNS9_4plusIvEENS9_8equal_toIvEEiEE10hipError_tPvRmT2_T3_T4_T5_mT6_T7_P12ihipStream_tbENKUlT_T0_E_clISt17integral_constantIbLb0EESY_IbLb1EEEEDaSU_SV_EUlSU_E_NS1_11comp_targetILNS1_3genE8ELNS1_11target_archE1030ELNS1_3gpuE2ELNS1_3repE0EEENS1_30default_config_static_selectorELNS0_4arch9wavefront6targetE0EEEvT1_,"axG",@progbits,_ZN7rocprim17ROCPRIM_400000_NS6detail17trampoline_kernelINS0_14default_configENS1_27scan_by_key_config_selectorIiiEEZZNS1_16scan_by_key_implILNS1_25lookback_scan_determinismE0ELb1ES3_N6thrust23THRUST_200600_302600_NS6detail15normal_iteratorINS9_10device_ptrIiEEEESE_SE_iNS9_4plusIvEENS9_8equal_toIvEEiEE10hipError_tPvRmT2_T3_T4_T5_mT6_T7_P12ihipStream_tbENKUlT_T0_E_clISt17integral_constantIbLb0EESY_IbLb1EEEEDaSU_SV_EUlSU_E_NS1_11comp_targetILNS1_3genE8ELNS1_11target_archE1030ELNS1_3gpuE2ELNS1_3repE0EEENS1_30default_config_static_selectorELNS0_4arch9wavefront6targetE0EEEvT1_,comdat
	.protected	_ZN7rocprim17ROCPRIM_400000_NS6detail17trampoline_kernelINS0_14default_configENS1_27scan_by_key_config_selectorIiiEEZZNS1_16scan_by_key_implILNS1_25lookback_scan_determinismE0ELb1ES3_N6thrust23THRUST_200600_302600_NS6detail15normal_iteratorINS9_10device_ptrIiEEEESE_SE_iNS9_4plusIvEENS9_8equal_toIvEEiEE10hipError_tPvRmT2_T3_T4_T5_mT6_T7_P12ihipStream_tbENKUlT_T0_E_clISt17integral_constantIbLb0EESY_IbLb1EEEEDaSU_SV_EUlSU_E_NS1_11comp_targetILNS1_3genE8ELNS1_11target_archE1030ELNS1_3gpuE2ELNS1_3repE0EEENS1_30default_config_static_selectorELNS0_4arch9wavefront6targetE0EEEvT1_ ; -- Begin function _ZN7rocprim17ROCPRIM_400000_NS6detail17trampoline_kernelINS0_14default_configENS1_27scan_by_key_config_selectorIiiEEZZNS1_16scan_by_key_implILNS1_25lookback_scan_determinismE0ELb1ES3_N6thrust23THRUST_200600_302600_NS6detail15normal_iteratorINS9_10device_ptrIiEEEESE_SE_iNS9_4plusIvEENS9_8equal_toIvEEiEE10hipError_tPvRmT2_T3_T4_T5_mT6_T7_P12ihipStream_tbENKUlT_T0_E_clISt17integral_constantIbLb0EESY_IbLb1EEEEDaSU_SV_EUlSU_E_NS1_11comp_targetILNS1_3genE8ELNS1_11target_archE1030ELNS1_3gpuE2ELNS1_3repE0EEENS1_30default_config_static_selectorELNS0_4arch9wavefront6targetE0EEEvT1_
	.globl	_ZN7rocprim17ROCPRIM_400000_NS6detail17trampoline_kernelINS0_14default_configENS1_27scan_by_key_config_selectorIiiEEZZNS1_16scan_by_key_implILNS1_25lookback_scan_determinismE0ELb1ES3_N6thrust23THRUST_200600_302600_NS6detail15normal_iteratorINS9_10device_ptrIiEEEESE_SE_iNS9_4plusIvEENS9_8equal_toIvEEiEE10hipError_tPvRmT2_T3_T4_T5_mT6_T7_P12ihipStream_tbENKUlT_T0_E_clISt17integral_constantIbLb0EESY_IbLb1EEEEDaSU_SV_EUlSU_E_NS1_11comp_targetILNS1_3genE8ELNS1_11target_archE1030ELNS1_3gpuE2ELNS1_3repE0EEENS1_30default_config_static_selectorELNS0_4arch9wavefront6targetE0EEEvT1_
	.p2align	8
	.type	_ZN7rocprim17ROCPRIM_400000_NS6detail17trampoline_kernelINS0_14default_configENS1_27scan_by_key_config_selectorIiiEEZZNS1_16scan_by_key_implILNS1_25lookback_scan_determinismE0ELb1ES3_N6thrust23THRUST_200600_302600_NS6detail15normal_iteratorINS9_10device_ptrIiEEEESE_SE_iNS9_4plusIvEENS9_8equal_toIvEEiEE10hipError_tPvRmT2_T3_T4_T5_mT6_T7_P12ihipStream_tbENKUlT_T0_E_clISt17integral_constantIbLb0EESY_IbLb1EEEEDaSU_SV_EUlSU_E_NS1_11comp_targetILNS1_3genE8ELNS1_11target_archE1030ELNS1_3gpuE2ELNS1_3repE0EEENS1_30default_config_static_selectorELNS0_4arch9wavefront6targetE0EEEvT1_,@function
_ZN7rocprim17ROCPRIM_400000_NS6detail17trampoline_kernelINS0_14default_configENS1_27scan_by_key_config_selectorIiiEEZZNS1_16scan_by_key_implILNS1_25lookback_scan_determinismE0ELb1ES3_N6thrust23THRUST_200600_302600_NS6detail15normal_iteratorINS9_10device_ptrIiEEEESE_SE_iNS9_4plusIvEENS9_8equal_toIvEEiEE10hipError_tPvRmT2_T3_T4_T5_mT6_T7_P12ihipStream_tbENKUlT_T0_E_clISt17integral_constantIbLb0EESY_IbLb1EEEEDaSU_SV_EUlSU_E_NS1_11comp_targetILNS1_3genE8ELNS1_11target_archE1030ELNS1_3gpuE2ELNS1_3repE0EEENS1_30default_config_static_selectorELNS0_4arch9wavefront6targetE0EEEvT1_: ; @_ZN7rocprim17ROCPRIM_400000_NS6detail17trampoline_kernelINS0_14default_configENS1_27scan_by_key_config_selectorIiiEEZZNS1_16scan_by_key_implILNS1_25lookback_scan_determinismE0ELb1ES3_N6thrust23THRUST_200600_302600_NS6detail15normal_iteratorINS9_10device_ptrIiEEEESE_SE_iNS9_4plusIvEENS9_8equal_toIvEEiEE10hipError_tPvRmT2_T3_T4_T5_mT6_T7_P12ihipStream_tbENKUlT_T0_E_clISt17integral_constantIbLb0EESY_IbLb1EEEEDaSU_SV_EUlSU_E_NS1_11comp_targetILNS1_3genE8ELNS1_11target_archE1030ELNS1_3gpuE2ELNS1_3repE0EEENS1_30default_config_static_selectorELNS0_4arch9wavefront6targetE0EEEvT1_
; %bb.0:
	.section	.rodata,"a",@progbits
	.p2align	6, 0x0
	.amdhsa_kernel _ZN7rocprim17ROCPRIM_400000_NS6detail17trampoline_kernelINS0_14default_configENS1_27scan_by_key_config_selectorIiiEEZZNS1_16scan_by_key_implILNS1_25lookback_scan_determinismE0ELb1ES3_N6thrust23THRUST_200600_302600_NS6detail15normal_iteratorINS9_10device_ptrIiEEEESE_SE_iNS9_4plusIvEENS9_8equal_toIvEEiEE10hipError_tPvRmT2_T3_T4_T5_mT6_T7_P12ihipStream_tbENKUlT_T0_E_clISt17integral_constantIbLb0EESY_IbLb1EEEEDaSU_SV_EUlSU_E_NS1_11comp_targetILNS1_3genE8ELNS1_11target_archE1030ELNS1_3gpuE2ELNS1_3repE0EEENS1_30default_config_static_selectorELNS0_4arch9wavefront6targetE0EEEvT1_
		.amdhsa_group_segment_fixed_size 0
		.amdhsa_private_segment_fixed_size 0
		.amdhsa_kernarg_size 112
		.amdhsa_user_sgpr_count 2
		.amdhsa_user_sgpr_dispatch_ptr 0
		.amdhsa_user_sgpr_queue_ptr 0
		.amdhsa_user_sgpr_kernarg_segment_ptr 1
		.amdhsa_user_sgpr_dispatch_id 0
		.amdhsa_user_sgpr_kernarg_preload_length 0
		.amdhsa_user_sgpr_kernarg_preload_offset 0
		.amdhsa_user_sgpr_private_segment_size 0
		.amdhsa_wavefront_size32 1
		.amdhsa_uses_dynamic_stack 0
		.amdhsa_enable_private_segment 0
		.amdhsa_system_sgpr_workgroup_id_x 1
		.amdhsa_system_sgpr_workgroup_id_y 0
		.amdhsa_system_sgpr_workgroup_id_z 0
		.amdhsa_system_sgpr_workgroup_info 0
		.amdhsa_system_vgpr_workitem_id 0
		.amdhsa_next_free_vgpr 1
		.amdhsa_next_free_sgpr 1
		.amdhsa_named_barrier_count 0
		.amdhsa_reserve_vcc 0
		.amdhsa_float_round_mode_32 0
		.amdhsa_float_round_mode_16_64 0
		.amdhsa_float_denorm_mode_32 3
		.amdhsa_float_denorm_mode_16_64 3
		.amdhsa_fp16_overflow 0
		.amdhsa_memory_ordered 1
		.amdhsa_forward_progress 1
		.amdhsa_inst_pref_size 0
		.amdhsa_round_robin_scheduling 0
		.amdhsa_exception_fp_ieee_invalid_op 0
		.amdhsa_exception_fp_denorm_src 0
		.amdhsa_exception_fp_ieee_div_zero 0
		.amdhsa_exception_fp_ieee_overflow 0
		.amdhsa_exception_fp_ieee_underflow 0
		.amdhsa_exception_fp_ieee_inexact 0
		.amdhsa_exception_int_div_zero 0
	.end_amdhsa_kernel
	.section	.text._ZN7rocprim17ROCPRIM_400000_NS6detail17trampoline_kernelINS0_14default_configENS1_27scan_by_key_config_selectorIiiEEZZNS1_16scan_by_key_implILNS1_25lookback_scan_determinismE0ELb1ES3_N6thrust23THRUST_200600_302600_NS6detail15normal_iteratorINS9_10device_ptrIiEEEESE_SE_iNS9_4plusIvEENS9_8equal_toIvEEiEE10hipError_tPvRmT2_T3_T4_T5_mT6_T7_P12ihipStream_tbENKUlT_T0_E_clISt17integral_constantIbLb0EESY_IbLb1EEEEDaSU_SV_EUlSU_E_NS1_11comp_targetILNS1_3genE8ELNS1_11target_archE1030ELNS1_3gpuE2ELNS1_3repE0EEENS1_30default_config_static_selectorELNS0_4arch9wavefront6targetE0EEEvT1_,"axG",@progbits,_ZN7rocprim17ROCPRIM_400000_NS6detail17trampoline_kernelINS0_14default_configENS1_27scan_by_key_config_selectorIiiEEZZNS1_16scan_by_key_implILNS1_25lookback_scan_determinismE0ELb1ES3_N6thrust23THRUST_200600_302600_NS6detail15normal_iteratorINS9_10device_ptrIiEEEESE_SE_iNS9_4plusIvEENS9_8equal_toIvEEiEE10hipError_tPvRmT2_T3_T4_T5_mT6_T7_P12ihipStream_tbENKUlT_T0_E_clISt17integral_constantIbLb0EESY_IbLb1EEEEDaSU_SV_EUlSU_E_NS1_11comp_targetILNS1_3genE8ELNS1_11target_archE1030ELNS1_3gpuE2ELNS1_3repE0EEENS1_30default_config_static_selectorELNS0_4arch9wavefront6targetE0EEEvT1_,comdat
.Lfunc_end496:
	.size	_ZN7rocprim17ROCPRIM_400000_NS6detail17trampoline_kernelINS0_14default_configENS1_27scan_by_key_config_selectorIiiEEZZNS1_16scan_by_key_implILNS1_25lookback_scan_determinismE0ELb1ES3_N6thrust23THRUST_200600_302600_NS6detail15normal_iteratorINS9_10device_ptrIiEEEESE_SE_iNS9_4plusIvEENS9_8equal_toIvEEiEE10hipError_tPvRmT2_T3_T4_T5_mT6_T7_P12ihipStream_tbENKUlT_T0_E_clISt17integral_constantIbLb0EESY_IbLb1EEEEDaSU_SV_EUlSU_E_NS1_11comp_targetILNS1_3genE8ELNS1_11target_archE1030ELNS1_3gpuE2ELNS1_3repE0EEENS1_30default_config_static_selectorELNS0_4arch9wavefront6targetE0EEEvT1_, .Lfunc_end496-_ZN7rocprim17ROCPRIM_400000_NS6detail17trampoline_kernelINS0_14default_configENS1_27scan_by_key_config_selectorIiiEEZZNS1_16scan_by_key_implILNS1_25lookback_scan_determinismE0ELb1ES3_N6thrust23THRUST_200600_302600_NS6detail15normal_iteratorINS9_10device_ptrIiEEEESE_SE_iNS9_4plusIvEENS9_8equal_toIvEEiEE10hipError_tPvRmT2_T3_T4_T5_mT6_T7_P12ihipStream_tbENKUlT_T0_E_clISt17integral_constantIbLb0EESY_IbLb1EEEEDaSU_SV_EUlSU_E_NS1_11comp_targetILNS1_3genE8ELNS1_11target_archE1030ELNS1_3gpuE2ELNS1_3repE0EEENS1_30default_config_static_selectorELNS0_4arch9wavefront6targetE0EEEvT1_
                                        ; -- End function
	.set _ZN7rocprim17ROCPRIM_400000_NS6detail17trampoline_kernelINS0_14default_configENS1_27scan_by_key_config_selectorIiiEEZZNS1_16scan_by_key_implILNS1_25lookback_scan_determinismE0ELb1ES3_N6thrust23THRUST_200600_302600_NS6detail15normal_iteratorINS9_10device_ptrIiEEEESE_SE_iNS9_4plusIvEENS9_8equal_toIvEEiEE10hipError_tPvRmT2_T3_T4_T5_mT6_T7_P12ihipStream_tbENKUlT_T0_E_clISt17integral_constantIbLb0EESY_IbLb1EEEEDaSU_SV_EUlSU_E_NS1_11comp_targetILNS1_3genE8ELNS1_11target_archE1030ELNS1_3gpuE2ELNS1_3repE0EEENS1_30default_config_static_selectorELNS0_4arch9wavefront6targetE0EEEvT1_.num_vgpr, 0
	.set _ZN7rocprim17ROCPRIM_400000_NS6detail17trampoline_kernelINS0_14default_configENS1_27scan_by_key_config_selectorIiiEEZZNS1_16scan_by_key_implILNS1_25lookback_scan_determinismE0ELb1ES3_N6thrust23THRUST_200600_302600_NS6detail15normal_iteratorINS9_10device_ptrIiEEEESE_SE_iNS9_4plusIvEENS9_8equal_toIvEEiEE10hipError_tPvRmT2_T3_T4_T5_mT6_T7_P12ihipStream_tbENKUlT_T0_E_clISt17integral_constantIbLb0EESY_IbLb1EEEEDaSU_SV_EUlSU_E_NS1_11comp_targetILNS1_3genE8ELNS1_11target_archE1030ELNS1_3gpuE2ELNS1_3repE0EEENS1_30default_config_static_selectorELNS0_4arch9wavefront6targetE0EEEvT1_.num_agpr, 0
	.set _ZN7rocprim17ROCPRIM_400000_NS6detail17trampoline_kernelINS0_14default_configENS1_27scan_by_key_config_selectorIiiEEZZNS1_16scan_by_key_implILNS1_25lookback_scan_determinismE0ELb1ES3_N6thrust23THRUST_200600_302600_NS6detail15normal_iteratorINS9_10device_ptrIiEEEESE_SE_iNS9_4plusIvEENS9_8equal_toIvEEiEE10hipError_tPvRmT2_T3_T4_T5_mT6_T7_P12ihipStream_tbENKUlT_T0_E_clISt17integral_constantIbLb0EESY_IbLb1EEEEDaSU_SV_EUlSU_E_NS1_11comp_targetILNS1_3genE8ELNS1_11target_archE1030ELNS1_3gpuE2ELNS1_3repE0EEENS1_30default_config_static_selectorELNS0_4arch9wavefront6targetE0EEEvT1_.numbered_sgpr, 0
	.set _ZN7rocprim17ROCPRIM_400000_NS6detail17trampoline_kernelINS0_14default_configENS1_27scan_by_key_config_selectorIiiEEZZNS1_16scan_by_key_implILNS1_25lookback_scan_determinismE0ELb1ES3_N6thrust23THRUST_200600_302600_NS6detail15normal_iteratorINS9_10device_ptrIiEEEESE_SE_iNS9_4plusIvEENS9_8equal_toIvEEiEE10hipError_tPvRmT2_T3_T4_T5_mT6_T7_P12ihipStream_tbENKUlT_T0_E_clISt17integral_constantIbLb0EESY_IbLb1EEEEDaSU_SV_EUlSU_E_NS1_11comp_targetILNS1_3genE8ELNS1_11target_archE1030ELNS1_3gpuE2ELNS1_3repE0EEENS1_30default_config_static_selectorELNS0_4arch9wavefront6targetE0EEEvT1_.num_named_barrier, 0
	.set _ZN7rocprim17ROCPRIM_400000_NS6detail17trampoline_kernelINS0_14default_configENS1_27scan_by_key_config_selectorIiiEEZZNS1_16scan_by_key_implILNS1_25lookback_scan_determinismE0ELb1ES3_N6thrust23THRUST_200600_302600_NS6detail15normal_iteratorINS9_10device_ptrIiEEEESE_SE_iNS9_4plusIvEENS9_8equal_toIvEEiEE10hipError_tPvRmT2_T3_T4_T5_mT6_T7_P12ihipStream_tbENKUlT_T0_E_clISt17integral_constantIbLb0EESY_IbLb1EEEEDaSU_SV_EUlSU_E_NS1_11comp_targetILNS1_3genE8ELNS1_11target_archE1030ELNS1_3gpuE2ELNS1_3repE0EEENS1_30default_config_static_selectorELNS0_4arch9wavefront6targetE0EEEvT1_.private_seg_size, 0
	.set _ZN7rocprim17ROCPRIM_400000_NS6detail17trampoline_kernelINS0_14default_configENS1_27scan_by_key_config_selectorIiiEEZZNS1_16scan_by_key_implILNS1_25lookback_scan_determinismE0ELb1ES3_N6thrust23THRUST_200600_302600_NS6detail15normal_iteratorINS9_10device_ptrIiEEEESE_SE_iNS9_4plusIvEENS9_8equal_toIvEEiEE10hipError_tPvRmT2_T3_T4_T5_mT6_T7_P12ihipStream_tbENKUlT_T0_E_clISt17integral_constantIbLb0EESY_IbLb1EEEEDaSU_SV_EUlSU_E_NS1_11comp_targetILNS1_3genE8ELNS1_11target_archE1030ELNS1_3gpuE2ELNS1_3repE0EEENS1_30default_config_static_selectorELNS0_4arch9wavefront6targetE0EEEvT1_.uses_vcc, 0
	.set _ZN7rocprim17ROCPRIM_400000_NS6detail17trampoline_kernelINS0_14default_configENS1_27scan_by_key_config_selectorIiiEEZZNS1_16scan_by_key_implILNS1_25lookback_scan_determinismE0ELb1ES3_N6thrust23THRUST_200600_302600_NS6detail15normal_iteratorINS9_10device_ptrIiEEEESE_SE_iNS9_4plusIvEENS9_8equal_toIvEEiEE10hipError_tPvRmT2_T3_T4_T5_mT6_T7_P12ihipStream_tbENKUlT_T0_E_clISt17integral_constantIbLb0EESY_IbLb1EEEEDaSU_SV_EUlSU_E_NS1_11comp_targetILNS1_3genE8ELNS1_11target_archE1030ELNS1_3gpuE2ELNS1_3repE0EEENS1_30default_config_static_selectorELNS0_4arch9wavefront6targetE0EEEvT1_.uses_flat_scratch, 0
	.set _ZN7rocprim17ROCPRIM_400000_NS6detail17trampoline_kernelINS0_14default_configENS1_27scan_by_key_config_selectorIiiEEZZNS1_16scan_by_key_implILNS1_25lookback_scan_determinismE0ELb1ES3_N6thrust23THRUST_200600_302600_NS6detail15normal_iteratorINS9_10device_ptrIiEEEESE_SE_iNS9_4plusIvEENS9_8equal_toIvEEiEE10hipError_tPvRmT2_T3_T4_T5_mT6_T7_P12ihipStream_tbENKUlT_T0_E_clISt17integral_constantIbLb0EESY_IbLb1EEEEDaSU_SV_EUlSU_E_NS1_11comp_targetILNS1_3genE8ELNS1_11target_archE1030ELNS1_3gpuE2ELNS1_3repE0EEENS1_30default_config_static_selectorELNS0_4arch9wavefront6targetE0EEEvT1_.has_dyn_sized_stack, 0
	.set _ZN7rocprim17ROCPRIM_400000_NS6detail17trampoline_kernelINS0_14default_configENS1_27scan_by_key_config_selectorIiiEEZZNS1_16scan_by_key_implILNS1_25lookback_scan_determinismE0ELb1ES3_N6thrust23THRUST_200600_302600_NS6detail15normal_iteratorINS9_10device_ptrIiEEEESE_SE_iNS9_4plusIvEENS9_8equal_toIvEEiEE10hipError_tPvRmT2_T3_T4_T5_mT6_T7_P12ihipStream_tbENKUlT_T0_E_clISt17integral_constantIbLb0EESY_IbLb1EEEEDaSU_SV_EUlSU_E_NS1_11comp_targetILNS1_3genE8ELNS1_11target_archE1030ELNS1_3gpuE2ELNS1_3repE0EEENS1_30default_config_static_selectorELNS0_4arch9wavefront6targetE0EEEvT1_.has_recursion, 0
	.set _ZN7rocprim17ROCPRIM_400000_NS6detail17trampoline_kernelINS0_14default_configENS1_27scan_by_key_config_selectorIiiEEZZNS1_16scan_by_key_implILNS1_25lookback_scan_determinismE0ELb1ES3_N6thrust23THRUST_200600_302600_NS6detail15normal_iteratorINS9_10device_ptrIiEEEESE_SE_iNS9_4plusIvEENS9_8equal_toIvEEiEE10hipError_tPvRmT2_T3_T4_T5_mT6_T7_P12ihipStream_tbENKUlT_T0_E_clISt17integral_constantIbLb0EESY_IbLb1EEEEDaSU_SV_EUlSU_E_NS1_11comp_targetILNS1_3genE8ELNS1_11target_archE1030ELNS1_3gpuE2ELNS1_3repE0EEENS1_30default_config_static_selectorELNS0_4arch9wavefront6targetE0EEEvT1_.has_indirect_call, 0
	.section	.AMDGPU.csdata,"",@progbits
; Kernel info:
; codeLenInByte = 0
; TotalNumSgprs: 0
; NumVgprs: 0
; ScratchSize: 0
; MemoryBound: 0
; FloatMode: 240
; IeeeMode: 1
; LDSByteSize: 0 bytes/workgroup (compile time only)
; SGPRBlocks: 0
; VGPRBlocks: 0
; NumSGPRsForWavesPerEU: 1
; NumVGPRsForWavesPerEU: 1
; NamedBarCnt: 0
; Occupancy: 16
; WaveLimiterHint : 0
; COMPUTE_PGM_RSRC2:SCRATCH_EN: 0
; COMPUTE_PGM_RSRC2:USER_SGPR: 2
; COMPUTE_PGM_RSRC2:TRAP_HANDLER: 0
; COMPUTE_PGM_RSRC2:TGID_X_EN: 1
; COMPUTE_PGM_RSRC2:TGID_Y_EN: 0
; COMPUTE_PGM_RSRC2:TGID_Z_EN: 0
; COMPUTE_PGM_RSRC2:TIDIG_COMP_CNT: 0
	.section	.text._ZN7rocprim17ROCPRIM_400000_NS6detail17trampoline_kernelINS0_14default_configENS1_27scan_by_key_config_selectorIiiEEZZNS1_16scan_by_key_implILNS1_25lookback_scan_determinismE0ELb1ES3_N6thrust23THRUST_200600_302600_NS6detail15normal_iteratorINS9_10device_ptrIiEEEESE_SE_iNS9_10multipliesIiEENS9_8equal_toIiEEiEE10hipError_tPvRmT2_T3_T4_T5_mT6_T7_P12ihipStream_tbENKUlT_T0_E_clISt17integral_constantIbLb0EESZ_EEDaSU_SV_EUlSU_E_NS1_11comp_targetILNS1_3genE0ELNS1_11target_archE4294967295ELNS1_3gpuE0ELNS1_3repE0EEENS1_30default_config_static_selectorELNS0_4arch9wavefront6targetE0EEEvT1_,"axG",@progbits,_ZN7rocprim17ROCPRIM_400000_NS6detail17trampoline_kernelINS0_14default_configENS1_27scan_by_key_config_selectorIiiEEZZNS1_16scan_by_key_implILNS1_25lookback_scan_determinismE0ELb1ES3_N6thrust23THRUST_200600_302600_NS6detail15normal_iteratorINS9_10device_ptrIiEEEESE_SE_iNS9_10multipliesIiEENS9_8equal_toIiEEiEE10hipError_tPvRmT2_T3_T4_T5_mT6_T7_P12ihipStream_tbENKUlT_T0_E_clISt17integral_constantIbLb0EESZ_EEDaSU_SV_EUlSU_E_NS1_11comp_targetILNS1_3genE0ELNS1_11target_archE4294967295ELNS1_3gpuE0ELNS1_3repE0EEENS1_30default_config_static_selectorELNS0_4arch9wavefront6targetE0EEEvT1_,comdat
	.protected	_ZN7rocprim17ROCPRIM_400000_NS6detail17trampoline_kernelINS0_14default_configENS1_27scan_by_key_config_selectorIiiEEZZNS1_16scan_by_key_implILNS1_25lookback_scan_determinismE0ELb1ES3_N6thrust23THRUST_200600_302600_NS6detail15normal_iteratorINS9_10device_ptrIiEEEESE_SE_iNS9_10multipliesIiEENS9_8equal_toIiEEiEE10hipError_tPvRmT2_T3_T4_T5_mT6_T7_P12ihipStream_tbENKUlT_T0_E_clISt17integral_constantIbLb0EESZ_EEDaSU_SV_EUlSU_E_NS1_11comp_targetILNS1_3genE0ELNS1_11target_archE4294967295ELNS1_3gpuE0ELNS1_3repE0EEENS1_30default_config_static_selectorELNS0_4arch9wavefront6targetE0EEEvT1_ ; -- Begin function _ZN7rocprim17ROCPRIM_400000_NS6detail17trampoline_kernelINS0_14default_configENS1_27scan_by_key_config_selectorIiiEEZZNS1_16scan_by_key_implILNS1_25lookback_scan_determinismE0ELb1ES3_N6thrust23THRUST_200600_302600_NS6detail15normal_iteratorINS9_10device_ptrIiEEEESE_SE_iNS9_10multipliesIiEENS9_8equal_toIiEEiEE10hipError_tPvRmT2_T3_T4_T5_mT6_T7_P12ihipStream_tbENKUlT_T0_E_clISt17integral_constantIbLb0EESZ_EEDaSU_SV_EUlSU_E_NS1_11comp_targetILNS1_3genE0ELNS1_11target_archE4294967295ELNS1_3gpuE0ELNS1_3repE0EEENS1_30default_config_static_selectorELNS0_4arch9wavefront6targetE0EEEvT1_
	.globl	_ZN7rocprim17ROCPRIM_400000_NS6detail17trampoline_kernelINS0_14default_configENS1_27scan_by_key_config_selectorIiiEEZZNS1_16scan_by_key_implILNS1_25lookback_scan_determinismE0ELb1ES3_N6thrust23THRUST_200600_302600_NS6detail15normal_iteratorINS9_10device_ptrIiEEEESE_SE_iNS9_10multipliesIiEENS9_8equal_toIiEEiEE10hipError_tPvRmT2_T3_T4_T5_mT6_T7_P12ihipStream_tbENKUlT_T0_E_clISt17integral_constantIbLb0EESZ_EEDaSU_SV_EUlSU_E_NS1_11comp_targetILNS1_3genE0ELNS1_11target_archE4294967295ELNS1_3gpuE0ELNS1_3repE0EEENS1_30default_config_static_selectorELNS0_4arch9wavefront6targetE0EEEvT1_
	.p2align	8
	.type	_ZN7rocprim17ROCPRIM_400000_NS6detail17trampoline_kernelINS0_14default_configENS1_27scan_by_key_config_selectorIiiEEZZNS1_16scan_by_key_implILNS1_25lookback_scan_determinismE0ELb1ES3_N6thrust23THRUST_200600_302600_NS6detail15normal_iteratorINS9_10device_ptrIiEEEESE_SE_iNS9_10multipliesIiEENS9_8equal_toIiEEiEE10hipError_tPvRmT2_T3_T4_T5_mT6_T7_P12ihipStream_tbENKUlT_T0_E_clISt17integral_constantIbLb0EESZ_EEDaSU_SV_EUlSU_E_NS1_11comp_targetILNS1_3genE0ELNS1_11target_archE4294967295ELNS1_3gpuE0ELNS1_3repE0EEENS1_30default_config_static_selectorELNS0_4arch9wavefront6targetE0EEEvT1_,@function
_ZN7rocprim17ROCPRIM_400000_NS6detail17trampoline_kernelINS0_14default_configENS1_27scan_by_key_config_selectorIiiEEZZNS1_16scan_by_key_implILNS1_25lookback_scan_determinismE0ELb1ES3_N6thrust23THRUST_200600_302600_NS6detail15normal_iteratorINS9_10device_ptrIiEEEESE_SE_iNS9_10multipliesIiEENS9_8equal_toIiEEiEE10hipError_tPvRmT2_T3_T4_T5_mT6_T7_P12ihipStream_tbENKUlT_T0_E_clISt17integral_constantIbLb0EESZ_EEDaSU_SV_EUlSU_E_NS1_11comp_targetILNS1_3genE0ELNS1_11target_archE4294967295ELNS1_3gpuE0ELNS1_3repE0EEENS1_30default_config_static_selectorELNS0_4arch9wavefront6targetE0EEEvT1_: ; @_ZN7rocprim17ROCPRIM_400000_NS6detail17trampoline_kernelINS0_14default_configENS1_27scan_by_key_config_selectorIiiEEZZNS1_16scan_by_key_implILNS1_25lookback_scan_determinismE0ELb1ES3_N6thrust23THRUST_200600_302600_NS6detail15normal_iteratorINS9_10device_ptrIiEEEESE_SE_iNS9_10multipliesIiEENS9_8equal_toIiEEiEE10hipError_tPvRmT2_T3_T4_T5_mT6_T7_P12ihipStream_tbENKUlT_T0_E_clISt17integral_constantIbLb0EESZ_EEDaSU_SV_EUlSU_E_NS1_11comp_targetILNS1_3genE0ELNS1_11target_archE4294967295ELNS1_3gpuE0ELNS1_3repE0EEENS1_30default_config_static_selectorELNS0_4arch9wavefront6targetE0EEEvT1_
; %bb.0:
	s_clause 0x2
	s_load_b96 s[24:26], s[0:1], 0x38
	s_load_b256 s[8:15], s[0:1], 0x0
	s_load_b128 s[20:23], s[0:1], 0x48
	s_bfe_u32 s4, ttmp6, 0x4000c
	s_delay_alu instid0(SALU_CYCLE_1)
	s_add_co_i32 s4, s4, 1
	s_clause 0x1
	s_load_b32 s33, s[0:1], 0x20
	s_load_b128 s[16:19], s[0:1], 0x28
	s_and_b32 s2, ttmp6, 15
	s_wait_xcnt 0x0
	s_mul_i32 s0, ttmp9, s4
	s_getreg_b32 s5, hwreg(HW_REG_IB_STS2, 6, 4)
	s_add_co_i32 s6, s2, s0
	s_mov_b32 s3, 0
	s_barrier_signal -1
	s_mov_b32 s29, s3
	s_barrier_wait -1
	s_wait_kmcnt 0x0
	s_mov_b32 s2, s26
	s_lshl_b64 s[26:27], s[10:11], 2
	s_cmp_eq_u32 s5, 0
	s_mul_u64 s[4:5], s[24:25], s[2:3]
	s_cselect_b32 s28, ttmp9, s6
	s_add_nc_u64 s[0:1], s[8:9], s[26:27]
	s_add_nc_u64 s[4:5], s[4:5], s[28:29]
	s_add_nc_u64 s[8:9], s[20:21], -1
	s_mul_i32 s2, s28, 0xc00
	v_cmp_ge_u64_e64 s19, s[4:5], s[8:9]
	s_add_nc_u64 s[6:7], s[12:13], s[26:27]
	s_lshl_b64 s[12:13], s[2:3], 2
	s_mul_i32 s29, s8, 0xfffff400
	s_add_nc_u64 s[30:31], s[0:1], s[12:13]
	s_add_nc_u64 s[20:21], s[6:7], s[12:13]
	s_and_b32 vcc_lo, exec_lo, s19
	s_cbranch_vccz .LBB497_66
; %bb.1:
	v_mov_b32_e32 v1, 0
	s_add_co_i32 s34, s29, s18
	s_delay_alu instid0(SALU_CYCLE_1)
	v_cmp_gt_u32_e32 vcc_lo, s34, v0
	flat_load_b32 v1, v1, s[30:31]
	s_wait_loadcnt_dscnt 0x0
	v_mov_b32_e32 v2, v1
	s_and_saveexec_b32 s0, vcc_lo
	s_cbranch_execz .LBB497_3
; %bb.2:
	flat_load_b32 v2, v0, s[30:31] scale_offset
.LBB497_3:
	s_wait_xcnt 0x0
	s_or_b32 exec_lo, exec_lo, s0
	v_or_b32_e32 v3, 0x100, v0
	s_delay_alu instid0(VALU_DEP_1)
	v_cmp_gt_u32_e64 s0, s34, v3
	v_mov_b32_e32 v3, v1
	s_and_saveexec_b32 s1, s0
	s_cbranch_execz .LBB497_5
; %bb.4:
	flat_load_b32 v3, v0, s[30:31] offset:1024 scale_offset
.LBB497_5:
	s_wait_xcnt 0x0
	s_or_b32 exec_lo, exec_lo, s1
	v_or_b32_e32 v4, 0x200, v0
	s_delay_alu instid0(VALU_DEP_1)
	v_cmp_gt_u32_e64 s1, s34, v4
	v_mov_b32_e32 v4, v1
	s_and_saveexec_b32 s2, s1
	s_cbranch_execz .LBB497_7
; %bb.6:
	flat_load_b32 v4, v0, s[30:31] offset:2048 scale_offset
.LBB497_7:
	;; [unrolled: 11-line block ×10, first 2 shown]
	s_wait_xcnt 0x0
	s_or_b32 exec_lo, exec_lo, s10
	v_or_b32_e32 v13, 0xb00, v0
	s_delay_alu instid0(VALU_DEP_1) | instskip(SKIP_2) | instid1(SALU_CYCLE_1)
	v_cmp_gt_u32_e64 s10, s34, v13
	v_cmp_le_u32_e64 s11, s34, v13
	s_and_saveexec_b32 s35, s11
	s_xor_b32 s11, exec_lo, s35
	s_delay_alu instid0(SALU_CYCLE_1)
	s_and_not1_saveexec_b32 s11, s11
	s_cbranch_execz .LBB497_25
; %bb.24:
	flat_load_b32 v1, v0, s[30:31] offset:11264 scale_offset
.LBB497_25:
	s_wait_xcnt 0x0
	s_or_b32 exec_lo, exec_lo, s11
	v_lshlrev_b32_e32 v14, 2, v0
	s_mov_b32 s35, exec_lo
	s_wait_loadcnt_dscnt 0x0
	ds_store_2addr_stride64_b32 v14, v2, v3 offset1:4
	ds_store_2addr_stride64_b32 v14, v4, v5 offset0:8 offset1:12
	ds_store_2addr_stride64_b32 v14, v6, v7 offset0:16 offset1:20
	;; [unrolled: 1-line block ×5, first 2 shown]
	v_mov_b32_e32 v1, 0
	s_wait_dscnt 0x0
	s_barrier_signal -1
	s_barrier_wait -1
	flat_load_b32 v38, v1, s[30:31]
	s_wait_xcnt 0x0
	v_mad_u32_u24 v1, v0, 44, v14
	ds_load_b128 v[10:13], v1
	ds_load_b128 v[6:9], v1 offset:16
	ds_load_b128 v[2:5], v1 offset:32
	v_mad_i32_i24 v15, 0xffffffd4, v0, v1
	s_wait_dscnt 0x2
	ds_store_b32 v15, v10 offset:13312
	s_wait_loadcnt_dscnt 0x0
	s_barrier_signal -1
	s_barrier_wait -1
	v_cmpx_ne_u32_e32 0xff, v0
; %bb.26:
	v_mul_i32_i24_e32 v15, 0xffffffd4, v0
	s_delay_alu instid0(VALU_DEP_1)
	v_add_nc_u32_e32 v15, v1, v15
	ds_load_b32 v38, v15 offset:13316
; %bb.27:
	s_or_b32 exec_lo, exec_lo, s35
	s_wait_dscnt 0x0
	s_barrier_signal -1
	s_barrier_wait -1
                                        ; implicit-def: $vgpr15
	s_and_saveexec_b32 s11, vcc_lo
	s_cbranch_execz .LBB497_124
; %bb.28:
	flat_load_b32 v15, v0, s[20:21] scale_offset
	s_wait_xcnt 0x0
	s_or_b32 exec_lo, exec_lo, s11
                                        ; implicit-def: $vgpr16
	s_and_saveexec_b32 s11, s0
	s_cbranch_execnz .LBB497_125
.LBB497_29:
	s_or_b32 exec_lo, exec_lo, s11
                                        ; implicit-def: $vgpr17
	s_and_saveexec_b32 s0, s1
	s_cbranch_execz .LBB497_126
.LBB497_30:
	flat_load_b32 v17, v0, s[20:21] offset:2048 scale_offset
	s_wait_xcnt 0x0
	s_or_b32 exec_lo, exec_lo, s0
                                        ; implicit-def: $vgpr18
	s_and_saveexec_b32 s0, s2
	s_cbranch_execnz .LBB497_127
.LBB497_31:
	s_or_b32 exec_lo, exec_lo, s0
                                        ; implicit-def: $vgpr19
	s_and_saveexec_b32 s0, s3
	s_cbranch_execz .LBB497_128
.LBB497_32:
	flat_load_b32 v19, v0, s[20:21] offset:4096 scale_offset
	s_wait_xcnt 0x0
	s_or_b32 exec_lo, exec_lo, s0
                                        ; implicit-def: $vgpr20
	s_and_saveexec_b32 s0, s4
	s_cbranch_execnz .LBB497_129
.LBB497_33:
	s_or_b32 exec_lo, exec_lo, s0
                                        ; implicit-def: $vgpr21
	s_and_saveexec_b32 s0, s5
	s_cbranch_execz .LBB497_130
.LBB497_34:
	flat_load_b32 v21, v0, s[20:21] offset:6144 scale_offset
	s_wait_xcnt 0x0
	s_or_b32 exec_lo, exec_lo, s0
                                        ; implicit-def: $vgpr22
	s_and_saveexec_b32 s0, s6
	s_cbranch_execnz .LBB497_131
.LBB497_35:
	s_or_b32 exec_lo, exec_lo, s0
                                        ; implicit-def: $vgpr23
	s_and_saveexec_b32 s0, s7
	s_cbranch_execz .LBB497_132
.LBB497_36:
	flat_load_b32 v23, v0, s[20:21] offset:8192 scale_offset
	s_wait_xcnt 0x0
	s_or_b32 exec_lo, exec_lo, s0
                                        ; implicit-def: $vgpr24
	s_and_saveexec_b32 s0, s8
	s_cbranch_execnz .LBB497_133
.LBB497_37:
	s_or_b32 exec_lo, exec_lo, s0
                                        ; implicit-def: $vgpr25
	s_and_saveexec_b32 s0, s9
	s_cbranch_execz .LBB497_39
.LBB497_38:
	flat_load_b32 v25, v0, s[20:21] offset:10240 scale_offset
.LBB497_39:
	s_wait_xcnt 0x0
	s_or_b32 exec_lo, exec_lo, s0
	v_mul_u32_u24_e32 v39, 12, v0
                                        ; implicit-def: $vgpr26
	s_and_saveexec_b32 s0, s10
	s_cbranch_execz .LBB497_41
; %bb.40:
	flat_load_b32 v26, v0, s[20:21] offset:11264 scale_offset
.LBB497_41:
	s_wait_xcnt 0x0
	s_or_b32 exec_lo, exec_lo, s0
	s_wait_loadcnt_dscnt 0x0
	ds_store_2addr_stride64_b32 v14, v15, v16 offset1:4
	ds_store_2addr_stride64_b32 v14, v17, v18 offset0:8 offset1:12
	ds_store_2addr_stride64_b32 v14, v19, v20 offset0:16 offset1:20
	;; [unrolled: 1-line block ×5, first 2 shown]
	v_mov_b64_e32 v[14:15], 0
	v_mov_b64_e32 v[42:43], 0
	;; [unrolled: 1-line block ×21, first 2 shown]
	s_mov_b32 s0, 0
	s_mov_b32 s3, 0
	s_mov_b32 s1, exec_lo
	s_wait_dscnt 0x0
	s_barrier_signal -1
	s_barrier_wait -1
                                        ; implicit-def: $sgpr2
                                        ; implicit-def: $vgpr60
	v_cmpx_gt_u32_e64 s34, v39
	s_cbranch_execz .LBB497_65
; %bb.42:
	ds_load_b32 v14, v1
	v_cmp_eq_u32_e32 vcc_lo, v10, v11
	v_or_b32_e32 v16, 1, v39
	v_mov_b64_e32 v[42:43], 0
	v_mov_b64_e32 v[40:41], 0
	;; [unrolled: 1-line block ×17, first 2 shown]
	s_wait_dscnt 0x0
	v_cndmask_b32_e32 v14, s33, v14, vcc_lo
	v_cmp_ne_u32_e32 vcc_lo, v10, v11
	v_mov_b64_e32 v[20:21], 0
	v_mov_b64_e32 v[18:19], 0
	s_mov_b32 s4, 0
	s_mov_b32 s3, exec_lo
	v_cndmask_b32_e64 v15, 0, 1, vcc_lo
                                        ; implicit-def: $sgpr2
                                        ; implicit-def: $vgpr60
	v_cmpx_gt_u32_e64 s34, v16
	s_cbranch_execz .LBB497_64
; %bb.43:
	ds_load_2addr_b32 v[16:17], v1 offset0:1 offset1:2
	v_cmp_eq_u32_e32 vcc_lo, v11, v12
	v_or_b32_e32 v10, 2, v39
	v_mov_b64_e32 v[40:41], 0
	v_mov_b64_e32 v[44:45], 0
	;; [unrolled: 1-line block ×17, first 2 shown]
	s_wait_dscnt 0x0
	v_cndmask_b32_e32 v42, s33, v16, vcc_lo
	v_cmp_ne_u32_e32 vcc_lo, v11, v12
	s_mov_b32 s5, 0
	s_mov_b32 s4, exec_lo
                                        ; implicit-def: $sgpr2
                                        ; implicit-def: $vgpr60
	v_cndmask_b32_e64 v43, 0, 1, vcc_lo
	v_cmpx_gt_u32_e64 s34, v10
	s_cbranch_execz .LBB497_63
; %bb.44:
	v_cmp_eq_u32_e32 vcc_lo, v12, v13
	v_mov_b64_e32 v[44:45], 0
	v_mov_b64_e32 v[46:47], 0
	;; [unrolled: 1-line block ×4, first 2 shown]
	v_dual_cndmask_b32 v40, s33, v17, vcc_lo :: v_dual_bitop2_b32 v10, 3, v39 bitop3:0x54
	v_cmp_ne_u32_e32 vcc_lo, v12, v13
	v_mov_b64_e32 v[52:53], 0
	v_mov_b64_e32 v[54:55], 0
	;; [unrolled: 1-line block ×11, first 2 shown]
	v_cndmask_b32_e64 v41, 0, 1, vcc_lo
	s_mov_b32 s6, 0
	s_mov_b32 s5, exec_lo
                                        ; implicit-def: $sgpr2
                                        ; implicit-def: $vgpr60
	v_cmpx_gt_u32_e64 s34, v10
	s_cbranch_execz .LBB497_62
; %bb.45:
	ds_load_2addr_b32 v[10:11], v1 offset0:3 offset1:4
	v_cmp_ne_u32_e32 vcc_lo, v13, v6
	v_mov_b64_e32 v[46:47], 0
	v_mov_b64_e32 v[48:49], 0
	;; [unrolled: 1-line block ×4, first 2 shown]
	v_cndmask_b32_e64 v45, 0, 1, vcc_lo
	v_cmp_eq_u32_e32 vcc_lo, v13, v6
	v_mov_b64_e32 v[54:55], 0
	v_mov_b64_e32 v[56:57], 0
	;; [unrolled: 1-line block ×9, first 2 shown]
	v_add_nc_u32_e32 v12, 4, v39
	s_mov_b32 s7, 0
	s_mov_b32 s6, exec_lo
	s_wait_dscnt 0x0
	v_cndmask_b32_e32 v44, s33, v10, vcc_lo
                                        ; implicit-def: $sgpr2
                                        ; implicit-def: $vgpr60
	v_cmpx_gt_u32_e64 s34, v12
	s_cbranch_execz .LBB497_61
; %bb.46:
	v_cmp_eq_u32_e32 vcc_lo, v6, v7
	v_mov_b64_e32 v[48:49], 0
	v_mov_b64_e32 v[50:51], 0
	;; [unrolled: 1-line block ×4, first 2 shown]
	v_cndmask_b32_e32 v46, s33, v11, vcc_lo
	v_cmp_ne_u32_e32 vcc_lo, v6, v7
	v_mov_b64_e32 v[56:57], 0
	v_mov_b64_e32 v[58:59], 0
	;; [unrolled: 1-line block ×7, first 2 shown]
	v_add_nc_u32_e32 v10, 5, v39
	v_cndmask_b32_e64 v47, 0, 1, vcc_lo
	s_mov_b32 s8, 0
	s_mov_b32 s7, exec_lo
                                        ; implicit-def: $sgpr2
                                        ; implicit-def: $vgpr60
	s_delay_alu instid0(VALU_DEP_2)
	v_cmpx_gt_u32_e64 s34, v10
	s_cbranch_execz .LBB497_60
; %bb.47:
	ds_load_2addr_b32 v[10:11], v1 offset0:5 offset1:6
	v_cmp_ne_u32_e32 vcc_lo, v7, v8
	v_mov_b64_e32 v[50:51], 0
	v_mov_b64_e32 v[52:53], 0
	;; [unrolled: 1-line block ×4, first 2 shown]
	v_cndmask_b32_e64 v49, 0, 1, vcc_lo
	v_cmp_eq_u32_e32 vcc_lo, v7, v8
	v_mov_b64_e32 v[58:59], 0
	v_mov_b64_e32 v[24:25], 0
	v_mov_b64_e32 v[22:23], 0
	v_mov_b64_e32 v[20:21], 0
	v_mov_b64_e32 v[18:19], 0
	v_add_nc_u32_e32 v6, 6, v39
	s_mov_b32 s9, 0
	s_mov_b32 s8, exec_lo
                                        ; implicit-def: $sgpr2
                                        ; implicit-def: $vgpr60
	s_wait_dscnt 0x0
	v_cndmask_b32_e32 v48, s33, v10, vcc_lo
	v_cmpx_gt_u32_e64 s34, v6
	s_cbranch_execz .LBB497_59
; %bb.48:
	v_cmp_eq_u32_e32 vcc_lo, v8, v9
	v_mov_b64_e32 v[52:53], 0
	v_mov_b64_e32 v[54:55], 0
	;; [unrolled: 1-line block ×4, first 2 shown]
	v_cndmask_b32_e32 v50, s33, v11, vcc_lo
	v_cmp_ne_u32_e32 vcc_lo, v8, v9
	v_mov_b64_e32 v[22:23], 0
	v_mov_b64_e32 v[20:21], 0
	;; [unrolled: 1-line block ×3, first 2 shown]
	v_add_nc_u32_e32 v6, 7, v39
	v_cndmask_b32_e64 v51, 0, 1, vcc_lo
	s_mov_b32 s10, 0
	s_mov_b32 s9, exec_lo
                                        ; implicit-def: $sgpr2
                                        ; implicit-def: $vgpr60
	s_delay_alu instid0(VALU_DEP_2)
	v_cmpx_gt_u32_e64 s34, v6
	s_cbranch_execz .LBB497_58
; %bb.49:
	ds_load_2addr_b32 v[6:7], v1 offset0:7 offset1:8
	v_cmp_ne_u32_e32 vcc_lo, v9, v2
	v_mov_b64_e32 v[54:55], 0
	v_mov_b64_e32 v[56:57], 0
	v_mov_b64_e32 v[58:59], 0
	v_mov_b64_e32 v[20:21], 0
	v_cndmask_b32_e64 v53, 0, 1, vcc_lo
	v_cmp_eq_u32_e32 vcc_lo, v9, v2
	v_mov_b64_e32 v[18:19], 0
	v_add_nc_u32_e32 v8, 8, v39
	s_mov_b32 s11, 0
	s_mov_b32 s10, exec_lo
                                        ; implicit-def: $sgpr2
                                        ; implicit-def: $vgpr60
	s_wait_dscnt 0x0
	v_cndmask_b32_e32 v52, s33, v6, vcc_lo
	v_cmpx_gt_u32_e64 s34, v8
	s_cbranch_execz .LBB497_57
; %bb.50:
	v_cmp_eq_u32_e32 vcc_lo, v2, v3
	v_mov_b64_e32 v[56:57], 0
	v_mov_b64_e32 v[58:59], 0
	;; [unrolled: 1-line block ×3, first 2 shown]
	v_add_nc_u32_e32 v6, 9, v39
	v_cndmask_b32_e32 v54, s33, v7, vcc_lo
	v_cmp_ne_u32_e32 vcc_lo, v2, v3
	s_mov_b32 s35, 0
	s_mov_b32 s11, exec_lo
                                        ; implicit-def: $sgpr2
                                        ; implicit-def: $vgpr60
	v_cndmask_b32_e64 v55, 0, 1, vcc_lo
	v_cmpx_gt_u32_e64 s34, v6
	s_cbranch_execz .LBB497_56
; %bb.51:
	ds_load_2addr_b32 v[6:7], v1 offset0:9 offset1:10
	v_cmp_ne_u32_e32 vcc_lo, v3, v4
	v_mov_b64_e32 v[58:59], 0
	s_mov_b32 s36, 0
	s_mov_b32 s35, exec_lo
                                        ; implicit-def: $sgpr2
                                        ; implicit-def: $vgpr60
	v_cndmask_b32_e64 v57, 0, 1, vcc_lo
	v_cmp_eq_u32_e32 vcc_lo, v3, v4
	s_wait_dscnt 0x0
	v_dual_add_nc_u32 v2, 10, v39 :: v_dual_cndmask_b32 v56, s33, v6, vcc_lo
	s_delay_alu instid0(VALU_DEP_1)
	v_cmpx_gt_u32_e64 s34, v2
	s_cbranch_execz .LBB497_55
; %bb.52:
	v_cmp_eq_u32_e32 vcc_lo, v4, v5
	v_add_nc_u32_e32 v2, 11, v39
                                        ; implicit-def: $sgpr2
                                        ; implicit-def: $vgpr60
	v_cndmask_b32_e32 v58, s33, v7, vcc_lo
	v_cmp_ne_u32_e32 vcc_lo, v4, v5
	v_cndmask_b32_e64 v59, 0, 1, vcc_lo
	s_delay_alu instid0(VALU_DEP_4) | instskip(SKIP_2) | instid1(SALU_CYCLE_1)
	v_cmp_gt_u32_e32 vcc_lo, s34, v2
	s_mov_b32 s34, 0
	s_and_saveexec_b32 s36, vcc_lo
	s_xor_b32 s36, exec_lo, s36
	s_cbranch_execz .LBB497_54
; %bb.53:
	ds_load_b32 v1, v1 offset:44
	v_cmp_ne_u32_e64 s2, v5, v38
	s_mov_b32 s34, exec_lo
	s_wait_dscnt 0x0
	v_cndmask_b32_e64 v60, v1, s33, s2
.LBB497_54:
	s_or_b32 exec_lo, exec_lo, s36
	s_delay_alu instid0(SALU_CYCLE_1)
	s_and_b32 s36, s34, exec_lo
.LBB497_55:
	s_or_b32 exec_lo, exec_lo, s35
	v_mov_b64_e32 v[18:19], v[58:59]
	s_and_b32 s35, s36, exec_lo
.LBB497_56:
	s_or_b32 exec_lo, exec_lo, s11
	v_mov_b64_e32 v[20:21], v[56:57]
	s_and_b32 s11, s35, exec_lo
.LBB497_57:
	s_or_b32 exec_lo, exec_lo, s10
	v_mov_b64_e32 v[22:23], v[54:55]
	s_and_b32 s10, s11, exec_lo
.LBB497_58:
	s_or_b32 exec_lo, exec_lo, s9
	v_mov_b64_e32 v[24:25], v[52:53]
	s_and_b32 s9, s10, exec_lo
.LBB497_59:
	s_or_b32 exec_lo, exec_lo, s8
	v_mov_b64_e32 v[26:27], v[50:51]
	s_and_b32 s8, s9, exec_lo
.LBB497_60:
	s_or_b32 exec_lo, exec_lo, s7
	v_mov_b64_e32 v[28:29], v[48:49]
	s_and_b32 s7, s8, exec_lo
.LBB497_61:
	s_or_b32 exec_lo, exec_lo, s6
	v_mov_b64_e32 v[30:31], v[46:47]
	s_and_b32 s6, s7, exec_lo
.LBB497_62:
	s_or_b32 exec_lo, exec_lo, s5
	v_mov_b64_e32 v[32:33], v[44:45]
	s_and_b32 s5, s6, exec_lo
.LBB497_63:
	s_or_b32 exec_lo, exec_lo, s4
	v_mov_b64_e32 v[34:35], v[40:41]
	s_and_b32 s4, s5, exec_lo
.LBB497_64:
	s_or_b32 exec_lo, exec_lo, s3
	v_mov_b64_e32 v[36:37], v[42:43]
	s_and_b32 s3, s4, exec_lo
.LBB497_65:
	s_or_b32 exec_lo, exec_lo, s1
	v_lshlrev_b32_e32 v16, 2, v0
	s_and_b32 vcc_lo, exec_lo, s0
	s_cbranch_vccnz .LBB497_67
	s_branch .LBB497_72
.LBB497_66:
                                        ; implicit-def: $sgpr2
                                        ; implicit-def: $vgpr60
                                        ; implicit-def: $vgpr14_vgpr15
                                        ; implicit-def: $vgpr42_vgpr43
                                        ; implicit-def: $vgpr40_vgpr41
                                        ; implicit-def: $vgpr44_vgpr45
                                        ; implicit-def: $vgpr46_vgpr47
                                        ; implicit-def: $vgpr48_vgpr49
                                        ; implicit-def: $vgpr50_vgpr51
                                        ; implicit-def: $vgpr52_vgpr53
                                        ; implicit-def: $vgpr54_vgpr55
                                        ; implicit-def: $vgpr56_vgpr57
                                        ; implicit-def: $vgpr58_vgpr59
                                        ; implicit-def: $vgpr36_vgpr37
                                        ; implicit-def: $vgpr34_vgpr35
                                        ; implicit-def: $vgpr32_vgpr33
                                        ; implicit-def: $vgpr30_vgpr31
                                        ; implicit-def: $vgpr28_vgpr29
                                        ; implicit-def: $vgpr26_vgpr27
                                        ; implicit-def: $vgpr24_vgpr25
                                        ; implicit-def: $vgpr22_vgpr23
                                        ; implicit-def: $vgpr20_vgpr21
                                        ; implicit-def: $vgpr18_vgpr19
	v_lshlrev_b32_e32 v16, 2, v0
	s_cbranch_execz .LBB497_72
.LBB497_67:
	s_clause 0xb
	flat_load_b32 v1, v0, s[30:31] scale_offset
	flat_load_b32 v2, v0, s[30:31] offset:1024 scale_offset
	flat_load_b32 v3, v0, s[30:31] offset:2048 scale_offset
	;; [unrolled: 1-line block ×11, first 2 shown]
	v_mov_b32_e32 v13, 0
	v_mad_u32_u24 v28, v0, 44, v16
	s_mov_b32 s0, exec_lo
	s_wait_loadcnt_dscnt 0xa0a
	ds_store_2addr_stride64_b32 v16, v1, v2 offset1:4
	s_wait_loadcnt_dscnt 0x809
	ds_store_2addr_stride64_b32 v16, v3, v4 offset0:8 offset1:12
	s_wait_loadcnt_dscnt 0x608
	ds_store_2addr_stride64_b32 v16, v5, v6 offset0:16 offset1:20
	;; [unrolled: 2-line block ×5, first 2 shown]
	s_wait_dscnt 0x0
	s_barrier_signal -1
	s_barrier_wait -1
	flat_load_b32 v1, v13, s[30:31] offset:12288
	s_wait_xcnt 0x0
	ds_load_b128 v[10:13], v28
	ds_load_b128 v[6:9], v28 offset:16
	ds_load_b128 v[2:5], v28 offset:32
	v_mad_i32_i24 v14, 0xffffffd4, v0, v28
	s_wait_dscnt 0x2
	ds_store_b32 v14, v10 offset:13312
	s_wait_loadcnt_dscnt 0x0
	s_barrier_signal -1
	s_barrier_wait -1
	v_cmpx_ne_u32_e32 0xff, v0
; %bb.68:
	v_mul_i32_i24_e32 v1, 0xffffffd4, v0
	s_delay_alu instid0(VALU_DEP_1)
	v_add_nc_u32_e32 v1, v28, v1
	ds_load_b32 v1, v1 offset:13316
; %bb.69:
	s_or_b32 exec_lo, exec_lo, s0
	s_wait_dscnt 0x0
	s_barrier_signal -1
	s_barrier_wait -1
	s_clause 0xb
	flat_load_b32 v14, v0, s[20:21] scale_offset
	flat_load_b32 v15, v0, s[20:21] offset:1024 scale_offset
	flat_load_b32 v17, v0, s[20:21] offset:2048 scale_offset
	;; [unrolled: 1-line block ×11, first 2 shown]
	v_cmp_eq_u32_e32 vcc_lo, v10, v11
	v_mov_b32_e32 v10, s33
	s_wait_loadcnt_dscnt 0xa0a
	ds_store_2addr_stride64_b32 v16, v14, v15 offset1:4
	s_wait_loadcnt_dscnt 0x809
	ds_store_2addr_stride64_b32 v16, v17, v18 offset0:8 offset1:12
	s_wait_loadcnt_dscnt 0x608
	ds_store_2addr_stride64_b32 v16, v19, v20 offset0:16 offset1:20
	;; [unrolled: 2-line block ×5, first 2 shown]
	s_wait_dscnt 0x0
	s_barrier_signal -1
	s_barrier_wait -1
	ds_load_2addr_b32 v[26:27], v28 offset0:1 offset1:2
	ds_load_2addr_b32 v[24:25], v28 offset0:3 offset1:4
	;; [unrolled: 1-line block ×5, first 2 shown]
	ds_load_b32 v17, v28 offset:44
	v_mov_b64_e32 v[14:15], 0x100000000
	s_and_saveexec_b32 s0, vcc_lo
; %bb.70:
	ds_load_b32 v10, v28
	v_mov_b64_e32 v[14:15], 0
; %bb.71:
	s_or_b32 exec_lo, exec_lo, s0
	v_cmp_eq_u32_e32 vcc_lo, v11, v12
	v_cmp_ne_u32_e64 s2, v5, v1
	s_mov_b32 s3, -1
	s_wait_dscnt 0x5
	v_cndmask_b32_e32 v42, s33, v26, vcc_lo
	v_cmp_ne_u32_e32 vcc_lo, v11, v12
	s_wait_dscnt 0x0
	v_cndmask_b32_e64 v60, v17, s33, s2
	v_cndmask_b32_e64 v43, 0, 1, vcc_lo
	v_cmp_eq_u32_e32 vcc_lo, v12, v13
	v_or_b32_e32 v14, v14, v10
	s_delay_alu instid0(VALU_DEP_3) | instskip(SKIP_4) | instid1(VALU_DEP_2)
	v_mov_b64_e32 v[36:37], v[42:43]
	v_cndmask_b32_e32 v40, s33, v27, vcc_lo
	v_cmp_ne_u32_e32 vcc_lo, v12, v13
	v_cndmask_b32_e64 v41, 0, 1, vcc_lo
	v_cmp_eq_u32_e32 vcc_lo, v13, v6
	v_mov_b64_e32 v[34:35], v[40:41]
	v_cndmask_b32_e32 v44, s33, v24, vcc_lo
	v_cmp_ne_u32_e32 vcc_lo, v13, v6
	v_cndmask_b32_e64 v45, 0, 1, vcc_lo
	v_cmp_eq_u32_e32 vcc_lo, v6, v7
	s_delay_alu instid0(VALU_DEP_2) | instskip(SKIP_4) | instid1(VALU_DEP_2)
	v_mov_b64_e32 v[32:33], v[44:45]
	v_cndmask_b32_e32 v46, s33, v25, vcc_lo
	v_cmp_ne_u32_e32 vcc_lo, v6, v7
	v_cndmask_b32_e64 v47, 0, 1, vcc_lo
	v_cmp_eq_u32_e32 vcc_lo, v7, v8
	v_mov_b64_e32 v[30:31], v[46:47]
	v_cndmask_b32_e32 v48, s33, v22, vcc_lo
	v_cmp_ne_u32_e32 vcc_lo, v7, v8
	v_cndmask_b32_e64 v49, 0, 1, vcc_lo
	v_cmp_eq_u32_e32 vcc_lo, v8, v9
	s_delay_alu instid0(VALU_DEP_2) | instskip(SKIP_4) | instid1(VALU_DEP_2)
	;; [unrolled: 11-line block ×3, first 2 shown]
	v_mov_b64_e32 v[24:25], v[52:53]
	v_cndmask_b32_e32 v54, s33, v21, vcc_lo
	v_cmp_ne_u32_e32 vcc_lo, v2, v3
	v_cndmask_b32_e64 v55, 0, 1, vcc_lo
	v_cmp_eq_u32_e32 vcc_lo, v3, v4
	v_mov_b64_e32 v[22:23], v[54:55]
	v_cndmask_b32_e32 v56, s33, v18, vcc_lo
	v_cmp_ne_u32_e32 vcc_lo, v3, v4
	v_cndmask_b32_e64 v57, 0, 1, vcc_lo
	v_cmp_eq_u32_e32 vcc_lo, v4, v5
	s_delay_alu instid0(VALU_DEP_2) | instskip(SKIP_3) | instid1(VALU_DEP_1)
	v_mov_b64_e32 v[20:21], v[56:57]
	v_cndmask_b32_e32 v58, s33, v19, vcc_lo
	v_cmp_ne_u32_e32 vcc_lo, v4, v5
	v_cndmask_b32_e64 v59, 0, 1, vcc_lo
	v_mov_b64_e32 v[18:19], v[58:59]
.LBB497_72:
	v_mov_b64_e32 v[38:39], 0
	s_and_saveexec_b32 s0, s3
	s_cbranch_execz .LBB497_74
; %bb.73:
	v_cndmask_b32_e64 v61, 0, 1, s2
	v_mov_b64_e32 v[18:19], v[58:59]
	v_mov_b64_e32 v[20:21], v[56:57]
	v_mov_b64_e32 v[22:23], v[54:55]
	v_mov_b64_e32 v[24:25], v[52:53]
	v_mov_b64_e32 v[38:39], v[60:61]
	v_mov_b64_e32 v[26:27], v[50:51]
	v_mov_b64_e32 v[28:29], v[48:49]
	v_mov_b64_e32 v[30:31], v[46:47]
	v_mov_b64_e32 v[32:33], v[44:45]
	v_mov_b64_e32 v[34:35], v[40:41]
	v_mov_b64_e32 v[36:37], v[42:43]
.LBB497_74:
	s_or_b32 exec_lo, exec_lo, s0
	v_dual_lshrrev_b32 v1, 2, v0 :: v_dual_bitop2_b32 v40, v25, v23 bitop3:0x54
	s_delay_alu instid0(VALU_DEP_3)
	v_or_b32_e32 v17, v21, v19
	s_cmp_lg_u32 s28, 0
	v_cmp_gt_u32_e32 vcc_lo, 32, v0
	s_barrier_signal -1
	s_barrier_wait -1
	s_cbranch_scc0 .LBB497_134
; %bb.75:
	s_mov_b64 s[10:11], 0x100000000
	v_or3_b32 v3, v40, v27, v29
	v_cmp_gt_u64_e64 s0, s[10:11], v[36:37]
	v_cmp_gt_u64_e64 s1, s[10:11], v[34:35]
	;; [unrolled: 1-line block ×7, first 2 shown]
	v_dual_cndmask_b32 v2, 1, v14, s0 :: v_dual_bitop2_b32 v5, 56, v1 bitop3:0x40
	v_cmp_gt_u64_e64 s7, s[10:11], v[22:23]
	v_cmp_gt_u64_e64 s8, s[10:11], v[20:21]
	;; [unrolled: 1-line block ×3, first 2 shown]
	s_delay_alu instid0(VALU_DEP_4) | instskip(SKIP_2) | instid1(VALU_DEP_2)
	v_mul_lo_u32 v2, v2, v36
	v_or3_b32 v3, v3, v31, v33
	v_cmp_gt_u64_e64 s10, s[10:11], v[38:39]
	v_or3_b32 v3, v3, v35, v37
	s_delay_alu instid0(VALU_DEP_1) | instskip(SKIP_1) | instid1(VALU_DEP_2)
	v_or3_b32 v3, v39, v17, v3
	v_cndmask_b32_e64 v2, 1, v2, s1
	v_and_b32_e32 v3, 0xff, v3
	s_delay_alu instid0(VALU_DEP_2) | instskip(NEXT) | instid1(VALU_DEP_1)
	v_mul_lo_u32 v2, v2, v34
	v_cndmask_b32_e64 v2, 1, v2, s2
	s_delay_alu instid0(VALU_DEP_1) | instskip(NEXT) | instid1(VALU_DEP_1)
	v_mul_lo_u32 v2, v2, v32
	v_cndmask_b32_e64 v2, 1, v2, s3
	s_delay_alu instid0(VALU_DEP_1) | instskip(NEXT) | instid1(VALU_DEP_1)
	;; [unrolled: 3-line block ×8, first 2 shown]
	v_mul_lo_u32 v2, v2, v18
	v_dual_cndmask_b32 v4, 1, v2, s10 :: v_dual_mov_b32 v2, 0
	s_delay_alu instid0(VALU_DEP_1) | instskip(NEXT) | instid1(VALU_DEP_2)
	v_mul_lo_u32 v12, v4, v38
	v_cmp_eq_u64_e64 s10, 0, v[2:3]
	v_lshl_add_u32 v4, v0, 3, v5
	s_delay_alu instid0(VALU_DEP_2)
	v_cndmask_b32_e64 v13, 1, v15, s10
	ds_store_b32 v4, v12
	ds_store_b8 v4, v13 offset:4
	s_wait_dscnt 0x0
	s_barrier_signal -1
	s_barrier_wait -1
	s_and_saveexec_b32 s11, vcc_lo
	s_cbranch_execz .LBB497_87
; %bb.76:
	v_dual_lshlrev_b32 v2, 1, v0 :: v_dual_lshlrev_b32 v3, 6, v0
	s_mov_b32 s20, exec_lo
	s_delay_alu instid0(VALU_DEP_1) | instskip(NEXT) | instid1(VALU_DEP_1)
	v_and_b32_e32 v2, 0x1f8, v2
	v_add_nc_u32_e32 v4, v2, v3
	ds_load_u8 v5, v4 offset:12
	ds_load_b64 v[2:3], v4
	ds_load_2addr_b32 v[6:7], v4 offset0:2 offset1:4
	ds_load_u8 v10, v4 offset:20
	ds_load_u8 v11, v4 offset:28
	;; [unrolled: 1-line block ×5, first 2 shown]
	ds_load_b32 v44, v4 offset:56
	s_wait_dscnt 0x8
	v_cmp_eq_u16_e64 s10, 0, v5
	s_wait_dscnt 0x5
	s_delay_alu instid0(VALU_DEP_1)
	v_dual_cndmask_b32 v8, 1, v2, s10 :: v_dual_bitop2_b32 v5, v10, v5 bitop3:0x54
	v_cmp_eq_u16_e64 s10, 0, v10
	ds_load_u8 v45, v4 offset:60
	s_wait_dscnt 0x4
	v_bitop3_b16 v5, v5, v41, v11 bitop3:0xfe
	v_mul_lo_u32 v6, v8, v6
	ds_load_2addr_b32 v[8:9], v4 offset0:6 offset1:8
	v_cndmask_b32_e64 v6, 1, v6, s10
	v_cmp_eq_u16_e64 s10, 0, v11
	s_delay_alu instid0(VALU_DEP_2) | instskip(NEXT) | instid1(VALU_DEP_1)
	v_mul_lo_u32 v6, v6, v7
	v_cndmask_b32_e64 v6, 1, v6, s10
	v_cmp_eq_u16_e64 s10, 0, v41
	s_wait_dscnt 0x0
	s_delay_alu instid0(VALU_DEP_2) | instskip(NEXT) | instid1(VALU_DEP_1)
	v_mul_lo_u32 v6, v6, v8
	v_cndmask_b32_e64 v8, 1, v6, s10
	ds_load_2addr_b32 v[6:7], v4 offset0:10 offset1:12
	v_cmp_eq_u16_e64 s10, 0, v42
	v_mul_lo_u32 v8, v8, v9
	s_delay_alu instid0(VALU_DEP_1) | instskip(SKIP_2) | instid1(VALU_DEP_2)
	v_cndmask_b32_e64 v8, 1, v8, s10
	v_cmp_eq_u16_e64 s10, 0, v43
	s_wait_dscnt 0x0
	v_mul_lo_u32 v6, v8, v6
	v_bitop3_b16 v8, v5, v43, v42 bitop3:0xfe
	s_delay_alu instid0(VALU_DEP_2) | instskip(NEXT) | instid1(VALU_DEP_2)
	v_cndmask_b32_e64 v6, 1, v6, s10
	v_cmp_eq_u16_e64 s10, 0, v8
	s_delay_alu instid0(VALU_DEP_2) | instskip(SKIP_2) | instid1(VALU_DEP_2)
	v_mul_lo_u32 v6, v6, v7
	v_and_b32_e32 v5, 1, v3
	v_and_b32_e32 v7, 1, v45
	v_cndmask_b32_e64 v8, 1, v5, s10
	s_delay_alu instid0(VALU_DEP_2) | instskip(NEXT) | instid1(VALU_DEP_1)
	v_cmp_eq_u32_e64 s10, 1, v7
	v_cndmask_b32_e64 v9, v8, 1, s10
	v_cmp_eq_u16_e64 s10, 0, v45
	v_mbcnt_lo_u32_b32 v8, -1, 0
	s_delay_alu instid0(VALU_DEP_3) | instskip(NEXT) | instid1(VALU_DEP_3)
	v_and_b32_e32 v10, 0xffff, v9
	v_cndmask_b32_e64 v7, 1, v6, s10
	v_and_b32_e32 v6, 0xffffff00, v3
	s_delay_alu instid0(VALU_DEP_2) | instskip(NEXT) | instid1(VALU_DEP_2)
	v_mul_lo_u32 v7, v7, v44
	v_or_b32_e32 v11, v6, v10
	v_and_b32_e32 v10, 15, v8
	s_delay_alu instid0(VALU_DEP_2) | instskip(NEXT) | instid1(VALU_DEP_4)
	v_mov_b32_dpp v42, v11 row_shr:1 row_mask:0xf bank_mask:0xf
	v_mov_b32_dpp v41, v7 row_shr:1 row_mask:0xf bank_mask:0xf
	s_delay_alu instid0(VALU_DEP_3)
	v_cmpx_ne_u32_e32 0, v10
	s_cbranch_execz .LBB497_78
; %bb.77:
	v_and_b32_e32 v11, 1, v9
	v_cmp_eq_u16_e64 s10, 0, v9
	s_delay_alu instid0(VALU_DEP_1) | instskip(NEXT) | instid1(VALU_DEP_3)
	v_dual_cndmask_b32 v41, 1, v41, s10 :: v_dual_bitop2_b32 v42, 1, v42 bitop3:0x40
	v_cmp_eq_u32_e64 s10, 1, v11
	s_delay_alu instid0(VALU_DEP_2) | instskip(NEXT) | instid1(VALU_DEP_2)
	v_mul_lo_u32 v7, v41, v7
	v_cndmask_b32_e64 v9, v42, 1, s10
	s_delay_alu instid0(VALU_DEP_1) | instskip(NEXT) | instid1(VALU_DEP_1)
	v_and_b32_e32 v11, 0xffff, v9
	v_or_b32_e32 v11, v6, v11
.LBB497_78:
	s_or_b32 exec_lo, exec_lo, s20
	s_delay_alu instid0(VALU_DEP_2) | instskip(NEXT) | instid1(VALU_DEP_2)
	v_mov_b32_dpp v41, v7 row_shr:2 row_mask:0xf bank_mask:0xf
	v_mov_b32_dpp v42, v11 row_shr:2 row_mask:0xf bank_mask:0xf
	s_mov_b32 s20, exec_lo
	v_cmpx_lt_u32_e32 1, v10
	s_cbranch_execz .LBB497_80
; %bb.79:
	v_and_b32_e32 v11, 1, v9
	v_cmp_eq_u16_e64 s10, 0, v9
	s_delay_alu instid0(VALU_DEP_1) | instskip(NEXT) | instid1(VALU_DEP_3)
	v_dual_cndmask_b32 v41, 1, v41, s10 :: v_dual_bitop2_b32 v42, 1, v42 bitop3:0x40
	v_cmp_eq_u32_e64 s10, 1, v11
	s_delay_alu instid0(VALU_DEP_2) | instskip(NEXT) | instid1(VALU_DEP_2)
	v_mul_lo_u32 v7, v41, v7
	v_cndmask_b32_e64 v9, v42, 1, s10
	s_delay_alu instid0(VALU_DEP_1) | instskip(NEXT) | instid1(VALU_DEP_1)
	v_and_b32_e32 v11, 0xffff, v9
	v_or_b32_e32 v11, v6, v11
.LBB497_80:
	s_or_b32 exec_lo, exec_lo, s20
	s_delay_alu instid0(VALU_DEP_4) | instskip(NEXT) | instid1(VALU_DEP_2)
	v_mov_b32_dpp v41, v7 row_shr:4 row_mask:0xf bank_mask:0xf
	v_mov_b32_dpp v42, v11 row_shr:4 row_mask:0xf bank_mask:0xf
	s_mov_b32 s20, exec_lo
	v_cmpx_lt_u32_e32 3, v10
	s_cbranch_execz .LBB497_82
; %bb.81:
	v_and_b32_e32 v11, 1, v9
	v_cmp_eq_u16_e64 s10, 0, v9
	s_delay_alu instid0(VALU_DEP_1) | instskip(NEXT) | instid1(VALU_DEP_3)
	v_dual_cndmask_b32 v41, 1, v41, s10 :: v_dual_bitop2_b32 v42, 1, v42 bitop3:0x40
	v_cmp_eq_u32_e64 s10, 1, v11
	s_delay_alu instid0(VALU_DEP_2) | instskip(NEXT) | instid1(VALU_DEP_2)
	v_mul_lo_u32 v7, v41, v7
	v_cndmask_b32_e64 v9, v42, 1, s10
	s_delay_alu instid0(VALU_DEP_1) | instskip(NEXT) | instid1(VALU_DEP_1)
	v_and_b32_e32 v11, 0xffff, v9
	v_or_b32_e32 v11, v6, v11
.LBB497_82:
	s_or_b32 exec_lo, exec_lo, s20
	s_delay_alu instid0(VALU_DEP_4) | instskip(NEXT) | instid1(VALU_DEP_2)
	v_mov_b32_dpp v41, v7 row_shr:8 row_mask:0xf bank_mask:0xf
	v_mov_b32_dpp v42, v11 row_shr:8 row_mask:0xf bank_mask:0xf
	s_mov_b32 s20, exec_lo
	v_cmpx_lt_u32_e32 7, v10
	s_cbranch_execz .LBB497_84
; %bb.83:
	v_and_b32_e32 v10, 1, v9
	v_cmp_eq_u16_e64 s10, 0, v9
	s_delay_alu instid0(VALU_DEP_1) | instskip(NEXT) | instid1(VALU_DEP_3)
	v_dual_cndmask_b32 v41, 1, v41, s10 :: v_dual_bitop2_b32 v11, 1, v42 bitop3:0x40
	v_cmp_eq_u32_e64 s10, 1, v10
	s_delay_alu instid0(VALU_DEP_2) | instskip(NEXT) | instid1(VALU_DEP_2)
	v_mul_lo_u32 v7, v41, v7
	v_cndmask_b32_e64 v9, v11, 1, s10
	s_delay_alu instid0(VALU_DEP_1) | instskip(NEXT) | instid1(VALU_DEP_1)
	v_and_b32_e32 v10, 0xffff, v9
	v_or_b32_e32 v11, v6, v10
.LBB497_84:
	s_or_b32 exec_lo, exec_lo, s20
	ds_swizzle_b32 v41, v7 offset:swizzle(BROADCAST,32,15)
	ds_swizzle_b32 v10, v11 offset:swizzle(BROADCAST,32,15)
	v_and_b32_e32 v11, 16, v8
	s_mov_b32 s20, exec_lo
	s_delay_alu instid0(VALU_DEP_1)
	v_cmpx_ne_u32_e32 0, v11
	s_cbranch_execz .LBB497_86
; %bb.85:
	v_cmp_eq_u16_e64 s10, 0, v9
	v_and_b32_e32 v9, 1, v9
	s_wait_dscnt 0x0
	s_delay_alu instid0(VALU_DEP_2) | instskip(NEXT) | instid1(VALU_DEP_2)
	v_dual_cndmask_b32 v11, 1, v41, s10 :: v_dual_bitop2_b32 v10, 1, v10 bitop3:0x40
	v_cmp_eq_u32_e64 s10, 1, v9
	s_delay_alu instid0(VALU_DEP_2) | instskip(NEXT) | instid1(VALU_DEP_2)
	v_mul_lo_u32 v7, v11, v7
	v_cndmask_b32_e64 v9, v10, 1, s10
.LBB497_86:
	s_or_b32 exec_lo, exec_lo, s20
	s_wait_dscnt 0x0
	v_add_nc_u32_e32 v10, -1, v8
	s_delay_alu instid0(VALU_DEP_2) | instskip(SKIP_1) | instid1(VALU_DEP_3)
	v_and_b32_e32 v9, 0xffff, v9
	v_and_b32_e32 v3, 0xff, v3
	; wave barrier
	v_cmp_gt_i32_e64 s10, 0, v10
	s_delay_alu instid0(VALU_DEP_3) | instskip(NEXT) | instid1(VALU_DEP_2)
	v_or_b32_e32 v6, v6, v9
	v_cndmask_b32_e64 v8, v10, v8, s10
	s_delay_alu instid0(VALU_DEP_4) | instskip(NEXT) | instid1(VALU_DEP_2)
	v_cmp_eq_u16_e64 s10, 0, v3
	v_lshlrev_b32_e32 v8, 2, v8
	ds_bpermute_b32 v7, v8, v7
	ds_bpermute_b32 v6, v8, v6
	s_wait_dscnt 0x1
	v_cndmask_b32_e64 v3, 1, v7, s10
	v_cmp_eq_u32_e64 s10, 1, v5
	s_delay_alu instid0(VALU_DEP_2) | instskip(SKIP_2) | instid1(VALU_DEP_1)
	v_mul_lo_u32 v2, v3, v2
	s_wait_dscnt 0x0
	v_and_b32_e32 v3, 1, v6
	v_cndmask_b32_e64 v3, v3, 1, s10
	v_cmp_eq_u32_e64 s10, 0, v0
	s_delay_alu instid0(VALU_DEP_1)
	v_dual_cndmask_b32 v8, v3, v13, s10 :: v_dual_cndmask_b32 v5, v2, v12, s10
	ds_store_b32 v4, v5
	ds_store_b8 v4, v8 offset:4
	; wave barrier
	ds_load_u8 v9, v4 offset:12
	ds_load_2addr_b32 v[2:3], v4 offset0:2 offset1:4
	ds_load_u8 v10, v4 offset:20
	ds_load_u8 v11, v4 offset:28
	;; [unrolled: 1-line block ×5, first 2 shown]
	ds_load_b32 v44, v4 offset:56
	ds_load_u8 v45, v4 offset:60
	ds_load_2addr_b32 v[6:7], v4 offset0:6 offset1:8
	s_wait_dscnt 0x9
	v_cmp_eq_u16_e64 s10, 0, v9
	s_delay_alu instid0(VALU_DEP_1) | instskip(SKIP_3) | instid1(VALU_DEP_3)
	v_cndmask_b32_e64 v5, 1, v5, s10
	s_wait_dscnt 0x7
	v_cmp_eq_u16_e64 s10, 0, v10
	v_and_b32_e32 v10, 1, v10
	v_mul_lo_u32 v5, v5, v2
	s_delay_alu instid0(VALU_DEP_1) | instskip(SKIP_2) | instid1(VALU_DEP_2)
	v_cndmask_b32_e64 v2, 1, v5, s10
	s_wait_dscnt 0x6
	v_cmp_eq_u16_e64 s10, 0, v11
	v_mul_lo_u32 v46, v2, v3
	s_delay_alu instid0(VALU_DEP_1)
	v_cndmask_b32_e64 v2, 1, v46, s10
	s_wait_dscnt 0x5
	v_cmp_eq_u16_e64 s10, 0, v41
	ds_store_2addr_b32 v4, v5, v46 offset0:2 offset1:4
	s_wait_dscnt 0x1
	v_mul_lo_u32 v6, v2, v6
	ds_load_2addr_b32 v[2:3], v4 offset0:10 offset1:12
	v_cndmask_b32_e64 v47, 1, v6, s10
	v_cmp_eq_u16_e64 s10, 0, v42
	s_delay_alu instid0(VALU_DEP_2) | instskip(NEXT) | instid1(VALU_DEP_1)
	v_mul_lo_u32 v7, v47, v7
	v_cndmask_b32_e64 v47, 1, v7, s10
	s_wait_dscnt 0x0
	s_delay_alu instid0(VALU_DEP_1) | instskip(SKIP_1) | instid1(VALU_DEP_1)
	v_mul_lo_u32 v2, v47, v2
	v_and_b32_e32 v9, 1, v9
	v_cmp_eq_u32_e64 s10, 1, v9
	v_and_b32_e32 v9, 1, v11
	s_delay_alu instid0(VALU_DEP_2) | instskip(SKIP_1) | instid1(VALU_DEP_1)
	v_cndmask_b32_e64 v8, v8, 1, s10
	v_cmp_eq_u32_e64 s10, 1, v10
	v_cndmask_b32_e64 v10, v8, 1, s10
	v_cmp_eq_u16_e64 s10, 0, v43
	s_delay_alu instid0(VALU_DEP_1) | instskip(SKIP_1) | instid1(VALU_DEP_2)
	v_cndmask_b32_e64 v11, 1, v2, s10
	v_cmp_eq_u32_e64 s10, 1, v9
	v_mul_lo_u32 v3, v11, v3
	v_and_b32_e32 v41, 1, v41
	s_delay_alu instid0(VALU_DEP_3) | instskip(SKIP_4) | instid1(VALU_DEP_1)
	v_cndmask_b32_e64 v9, v10, 1, s10
	v_and_b32_e32 v11, 1, v42
	v_and_b32_e32 v42, 1, v43
	;; [unrolled: 1-line block ×3, first 2 shown]
	v_cmp_eq_u32_e64 s10, 1, v41
	v_cndmask_b32_e64 v41, v9, 1, s10
	v_cmp_eq_u32_e64 s10, 1, v11
	s_delay_alu instid0(VALU_DEP_1) | instskip(SKIP_1) | instid1(VALU_DEP_1)
	v_cndmask_b32_e64 v11, v41, 1, s10
	v_cmp_eq_u16_e64 s10, 0, v45
	v_cndmask_b32_e64 v45, 1, v3, s10
	v_cmp_eq_u32_e64 s10, 1, v42
	s_delay_alu instid0(VALU_DEP_2) | instskip(NEXT) | instid1(VALU_DEP_2)
	v_mul_lo_u32 v5, v45, v44
	v_cndmask_b32_e64 v42, v11, 1, s10
	v_cmp_eq_u32_e64 s10, 1, v43
	s_delay_alu instid0(VALU_DEP_1)
	v_cndmask_b32_e64 v43, v42, 1, s10
	ds_store_2addr_b32 v4, v6, v7 offset0:6 offset1:8
	ds_store_2addr_b32 v4, v2, v3 offset0:10 offset1:12
	ds_store_b8 v4, v8 offset:12
	ds_store_b8 v4, v10 offset:20
	;; [unrolled: 1-line block ×6, first 2 shown]
	ds_store_b32 v4, v5 offset:56
	ds_store_b8 v4, v43 offset:60
.LBB497_87:
	s_or_b32 exec_lo, exec_lo, s11
	v_cmp_eq_u32_e64 s10, 0, v0
	s_mov_b32 s20, exec_lo
	s_wait_dscnt 0x0
	s_barrier_signal -1
	s_barrier_wait -1
	v_cmpx_ne_u32_e32 0, v0
	s_cbranch_execz .LBB497_89
; %bb.88:
	v_add_nc_u32_e32 v2, -1, v0
	s_delay_alu instid0(VALU_DEP_1) | instskip(NEXT) | instid1(VALU_DEP_1)
	v_lshrrev_b32_e32 v3, 2, v2
	v_and_b32_e32 v3, 0x3ffffff8, v3
	s_delay_alu instid0(VALU_DEP_1)
	v_lshl_add_u32 v2, v2, 3, v3
	ds_load_b32 v12, v2
	ds_load_u8 v13, v2 offset:4
.LBB497_89:
	s_or_b32 exec_lo, exec_lo, s20
	s_and_saveexec_b32 s30, vcc_lo
	s_cbranch_execz .LBB497_179
; %bb.90:
	v_mov_b32_e32 v5, 0
	v_mbcnt_lo_u32_b32 v41, -1, 0
	s_mov_b32 s21, 0
	ds_load_b64 v[2:3], v5 offset:2096
	v_cmp_eq_u32_e64 s11, 0, v41
	s_and_saveexec_b32 s31, s11
	s_cbranch_execz .LBB497_92
; %bb.91:
	s_add_co_i32 s20, s28, 32
	v_mov_b32_e32 v4, 1
	s_lshl_b64 s[20:21], s[20:21], 4
	s_delay_alu instid0(SALU_CYCLE_1) | instskip(NEXT) | instid1(SALU_CYCLE_1)
	s_add_nc_u64 s[20:21], s[16:17], s[20:21]
	v_mov_b64_e32 v[6:7], s[20:21]
	s_wait_dscnt 0x0
	;;#ASMSTART
	global_store_b128 v[6:7], v[2:5] off scope:SCOPE_DEV	
s_wait_storecnt 0x0
	;;#ASMEND
.LBB497_92:
	s_or_b32 exec_lo, exec_lo, s31
	v_xad_u32 v8, v41, -1, s28
	s_mov_b32 s20, exec_lo
	s_delay_alu instid0(VALU_DEP_1) | instskip(NEXT) | instid1(VALU_DEP_1)
	v_add_nc_u32_e32 v4, 32, v8
	v_lshl_add_u64 v[10:11], v[4:5], 4, s[16:17]
	;;#ASMSTART
	global_load_b128 v[4:7], v[10:11] off scope:SCOPE_DEV	
s_wait_loadcnt 0x0
	;;#ASMEND
	v_and_b32_e32 v7, 0xff, v6
	v_and_b32_e32 v5, 0xff, v5
	s_delay_alu instid0(VALU_DEP_2)
	v_cmpx_eq_u16_e32 0, v7
	s_cbranch_execz .LBB497_96
; %bb.93:
	s_mov_b32 s21, 0
.LBB497_94:                             ; =>This Inner Loop Header: Depth=1
	;;#ASMSTART
	global_load_b128 v[4:7], v[10:11] off scope:SCOPE_DEV	
s_wait_loadcnt 0x0
	;;#ASMEND
	v_and_b32_e32 v7, 0xff, v6
	s_delay_alu instid0(VALU_DEP_1) | instskip(SKIP_1) | instid1(SALU_CYCLE_1)
	v_cmp_ne_u16_e32 vcc_lo, 0, v7
	s_or_b32 s21, vcc_lo, s21
	s_and_not1_b32 exec_lo, exec_lo, s21
	s_cbranch_execnz .LBB497_94
; %bb.95:
	s_or_b32 exec_lo, exec_lo, s21
	v_and_b32_e32 v5, 0xff, v5
.LBB497_96:
	s_or_b32 exec_lo, exec_lo, s20
	v_cmp_ne_u32_e32 vcc_lo, 31, v41
	v_and_b32_e32 v9, 0xff, v6
	v_lshlrev_b32_e64 v43, v41, -1
	s_mov_b32 s20, exec_lo
	v_add_co_ci_u32_e64 v7, null, 0, v41, vcc_lo
	s_delay_alu instid0(VALU_DEP_3) | instskip(NEXT) | instid1(VALU_DEP_2)
	v_cmp_eq_u16_e32 vcc_lo, 2, v9
	v_dual_mov_b32 v9, v5 :: v_dual_lshlrev_b32 v42, 2, v7
	v_and_or_b32 v7, vcc_lo, v43, 0x80000000
	ds_bpermute_b32 v11, v42, v4
	ds_bpermute_b32 v10, v42, v5
	v_ctz_i32_b32_e32 v7, v7
	s_delay_alu instid0(VALU_DEP_1)
	v_cmpx_lt_u32_e64 v41, v7
	s_cbranch_execz .LBB497_98
; %bb.97:
	s_mov_b64 s[34:35], 0x100000000
	s_wait_dscnt 0x0
	v_and_b32_e32 v10, 1, v10
	v_cmp_gt_u64_e32 vcc_lo, s[34:35], v[4:5]
	v_dual_cndmask_b32 v9, 1, v11, vcc_lo :: v_dual_bitop2_b32 v5, 1, v5 bitop3:0x40
	s_delay_alu instid0(VALU_DEP_1) | instskip(NEXT) | instid1(VALU_DEP_2)
	v_cmp_eq_u32_e32 vcc_lo, 1, v5
	v_mul_lo_u32 v4, v9, v4
	v_cndmask_b32_e64 v5, v10, 1, vcc_lo
	s_delay_alu instid0(VALU_DEP_1)
	v_and_b32_e32 v9, 0xffff, v5
.LBB497_98:
	s_or_b32 exec_lo, exec_lo, s20
	v_cmp_gt_u32_e32 vcc_lo, 30, v41
	v_add_nc_u32_e32 v45, 2, v41
	s_mov_b32 s20, exec_lo
	s_wait_dscnt 0x0
	v_cndmask_b32_e64 v10, 0, 2, vcc_lo
	s_delay_alu instid0(VALU_DEP_1)
	v_add_lshl_u32 v44, v10, v41, 2
	ds_bpermute_b32 v11, v44, v4
	ds_bpermute_b32 v10, v44, v9
	v_cmpx_le_u32_e64 v45, v7
	s_cbranch_execz .LBB497_100
; %bb.99:
	v_cmp_eq_u16_e32 vcc_lo, 0, v5
	s_wait_dscnt 0x0
	v_and_b32_e32 v10, 1, v10
	v_dual_cndmask_b32 v9, 1, v11, vcc_lo :: v_dual_bitop2_b32 v5, 1, v5 bitop3:0x40
	s_delay_alu instid0(VALU_DEP_1) | instskip(NEXT) | instid1(VALU_DEP_2)
	v_cmp_eq_u32_e32 vcc_lo, 1, v5
	v_mul_lo_u32 v4, v9, v4
	s_delay_alu instid0(VALU_DEP_4) | instskip(NEXT) | instid1(VALU_DEP_1)
	v_cndmask_b32_e64 v5, v10, 1, vcc_lo
	v_and_b32_e32 v9, 0xffff, v5
.LBB497_100:
	s_or_b32 exec_lo, exec_lo, s20
	v_cmp_gt_u32_e32 vcc_lo, 28, v41
	v_add_nc_u32_e32 v47, 4, v41
	s_mov_b32 s20, exec_lo
	s_wait_dscnt 0x0
	v_cndmask_b32_e64 v10, 0, 4, vcc_lo
	s_delay_alu instid0(VALU_DEP_1)
	v_add_lshl_u32 v46, v10, v41, 2
	ds_bpermute_b32 v11, v46, v4
	ds_bpermute_b32 v10, v46, v9
	v_cmpx_le_u32_e64 v47, v7
	s_cbranch_execz .LBB497_102
; %bb.101:
	v_cmp_eq_u16_e32 vcc_lo, 0, v5
	s_wait_dscnt 0x0
	v_and_b32_e32 v10, 1, v10
	v_dual_cndmask_b32 v9, 1, v11, vcc_lo :: v_dual_bitop2_b32 v5, 1, v5 bitop3:0x40
	s_delay_alu instid0(VALU_DEP_1) | instskip(NEXT) | instid1(VALU_DEP_2)
	v_cmp_eq_u32_e32 vcc_lo, 1, v5
	v_mul_lo_u32 v4, v9, v4
	s_delay_alu instid0(VALU_DEP_4) | instskip(NEXT) | instid1(VALU_DEP_1)
	v_cndmask_b32_e64 v5, v10, 1, vcc_lo
	v_and_b32_e32 v9, 0xffff, v5
.LBB497_102:
	;; [unrolled: 24-line block ×3, first 2 shown]
	s_or_b32 exec_lo, exec_lo, s20
	v_lshl_or_b32 v52, v41, 2, 64
	v_add_nc_u32_e32 v53, 16, v41
	s_mov_b32 s20, exec_lo
	s_wait_dscnt 0x0
	ds_bpermute_b32 v10, v52, v4
	ds_bpermute_b32 v9, v52, v9
	v_cmpx_le_u32_e64 v53, v7
	s_cbranch_execz .LBB497_106
; %bb.105:
	v_cmp_eq_u16_e32 vcc_lo, 0, v5
	s_wait_dscnt 0x1
	v_dual_cndmask_b32 v7, 1, v10, vcc_lo :: v_dual_bitop2_b32 v5, 1, v5 bitop3:0x40
	s_delay_alu instid0(VALU_DEP_1) | instskip(NEXT) | instid1(VALU_DEP_2)
	v_cmp_eq_u32_e32 vcc_lo, 1, v5
	v_mul_lo_u32 v4, v7, v4
	s_wait_dscnt 0x0
	v_and_b32_e32 v7, 1, v9
	s_delay_alu instid0(VALU_DEP_1)
	v_cndmask_b32_e64 v5, v7, 1, vcc_lo
.LBB497_106:
	s_or_b32 exec_lo, exec_lo, s20
	s_wait_dscnt 0x0
	v_mov_b32_e32 v9, 0
	s_mov_b64 s[20:21], 0x100000000
	s_branch .LBB497_109
.LBB497_107:                            ;   in Loop: Header=BB497_109 Depth=1
	s_or_b32 exec_lo, exec_lo, s31
	v_and_b32_e32 v7, 0xff, v50
	s_delay_alu instid0(VALU_DEP_2) | instskip(SKIP_2) | instid1(VALU_DEP_3)
	v_and_b32_e32 v5, 1, v5
	v_subrev_nc_u32_e32 v8, 32, v8
	s_mov_b32 s31, 0
	v_cmp_eq_u16_e32 vcc_lo, 0, v7
	v_dual_cndmask_b32 v4, 1, v4, vcc_lo :: v_dual_bitop2_b32 v7, 1, v50 bitop3:0x40
	s_delay_alu instid0(VALU_DEP_1) | instskip(NEXT) | instid1(VALU_DEP_2)
	v_cmp_eq_u32_e32 vcc_lo, 1, v7
	v_mul_lo_u32 v4, v4, v51
	v_cndmask_b32_e64 v5, v5, 1, vcc_lo
.LBB497_108:                            ;   in Loop: Header=BB497_109 Depth=1
	s_and_b32 vcc_lo, exec_lo, s31
	s_cbranch_vccnz .LBB497_175
.LBB497_109:                            ; =>This Loop Header: Depth=1
                                        ;     Child Loop BB497_112 Depth 2
	v_and_b32_e32 v6, 0xff, v6
	s_delay_alu instid0(VALU_DEP_2) | instskip(SKIP_1) | instid1(VALU_DEP_2)
	v_dual_mov_b32 v50, v5 :: v_dual_mov_b32 v51, v4
	s_mov_b32 s31, -1
	v_cmp_ne_u16_e32 vcc_lo, 2, v6
                                        ; implicit-def: $vgpr5
	s_cmp_lg_u32 vcc_lo, exec_lo
	s_cbranch_scc1 .LBB497_108
; %bb.110:                              ;   in Loop: Header=BB497_109 Depth=1
	s_wait_dscnt 0x0
	v_lshl_add_u64 v[10:11], v[8:9], 4, s[16:17]
	;;#ASMSTART
	global_load_b128 v[4:7], v[10:11] off scope:SCOPE_DEV	
s_wait_loadcnt 0x0
	;;#ASMEND
	v_and_b32_e32 v7, 0xff, v6
	v_and_b32_e32 v5, 0xff, v5
	s_mov_b32 s31, exec_lo
	s_delay_alu instid0(VALU_DEP_2)
	v_cmpx_eq_u16_e32 0, v7
	s_cbranch_execz .LBB497_114
; %bb.111:                              ;   in Loop: Header=BB497_109 Depth=1
	s_mov_b32 s34, 0
.LBB497_112:                            ;   Parent Loop BB497_109 Depth=1
                                        ; =>  This Inner Loop Header: Depth=2
	;;#ASMSTART
	global_load_b128 v[4:7], v[10:11] off scope:SCOPE_DEV	
s_wait_loadcnt 0x0
	;;#ASMEND
	v_and_b32_e32 v7, 0xff, v6
	s_delay_alu instid0(VALU_DEP_1) | instskip(SKIP_1) | instid1(SALU_CYCLE_1)
	v_cmp_ne_u16_e32 vcc_lo, 0, v7
	s_or_b32 s34, vcc_lo, s34
	s_and_not1_b32 exec_lo, exec_lo, s34
	s_cbranch_execnz .LBB497_112
; %bb.113:                              ;   in Loop: Header=BB497_109 Depth=1
	s_or_b32 exec_lo, exec_lo, s34
	v_and_b32_e32 v5, 0xff, v5
.LBB497_114:                            ;   in Loop: Header=BB497_109 Depth=1
	s_or_b32 exec_lo, exec_lo, s31
	v_and_b32_e32 v7, 0xff, v6
	ds_bpermute_b32 v54, v42, v4
	ds_bpermute_b32 v11, v42, v5
	v_mov_b32_e32 v10, v5
	s_mov_b32 s31, exec_lo
	v_cmp_eq_u16_e32 vcc_lo, 2, v7
	v_and_or_b32 v7, vcc_lo, v43, 0x80000000
	s_delay_alu instid0(VALU_DEP_1) | instskip(NEXT) | instid1(VALU_DEP_1)
	v_ctz_i32_b32_e32 v7, v7
	v_cmpx_lt_u32_e64 v41, v7
	s_cbranch_execz .LBB497_116
; %bb.115:                              ;   in Loop: Header=BB497_109 Depth=1
	v_cmp_gt_u64_e32 vcc_lo, s[20:21], v[4:5]
	s_wait_dscnt 0x0
	v_and_b32_e32 v11, 1, v11
	v_dual_cndmask_b32 v10, 1, v54, vcc_lo :: v_dual_bitop2_b32 v5, 1, v5 bitop3:0x40
	s_delay_alu instid0(VALU_DEP_1) | instskip(NEXT) | instid1(VALU_DEP_2)
	v_cmp_eq_u32_e32 vcc_lo, 1, v5
	v_mul_lo_u32 v4, v10, v4
	s_delay_alu instid0(VALU_DEP_4) | instskip(NEXT) | instid1(VALU_DEP_1)
	v_cndmask_b32_e64 v5, v11, 1, vcc_lo
	v_and_b32_e32 v10, 0xffff, v5
.LBB497_116:                            ;   in Loop: Header=BB497_109 Depth=1
	s_or_b32 exec_lo, exec_lo, s31
	s_wait_dscnt 0x1
	ds_bpermute_b32 v54, v44, v4
	s_wait_dscnt 0x1
	ds_bpermute_b32 v11, v44, v10
	s_mov_b32 s31, exec_lo
	v_cmpx_le_u32_e64 v45, v7
	s_cbranch_execz .LBB497_118
; %bb.117:                              ;   in Loop: Header=BB497_109 Depth=1
	v_cmp_eq_u16_e32 vcc_lo, 0, v5
	s_wait_dscnt 0x0
	v_and_b32_e32 v11, 1, v11
	v_dual_cndmask_b32 v10, 1, v54, vcc_lo :: v_dual_bitop2_b32 v5, 1, v5 bitop3:0x40
	s_delay_alu instid0(VALU_DEP_1) | instskip(NEXT) | instid1(VALU_DEP_2)
	v_cmp_eq_u32_e32 vcc_lo, 1, v5
	v_mul_lo_u32 v4, v10, v4
	s_delay_alu instid0(VALU_DEP_4) | instskip(NEXT) | instid1(VALU_DEP_1)
	v_cndmask_b32_e64 v5, v11, 1, vcc_lo
	v_and_b32_e32 v10, 0xffff, v5
.LBB497_118:                            ;   in Loop: Header=BB497_109 Depth=1
	s_or_b32 exec_lo, exec_lo, s31
	s_wait_dscnt 0x1
	ds_bpermute_b32 v54, v46, v4
	s_wait_dscnt 0x1
	ds_bpermute_b32 v11, v46, v10
	s_mov_b32 s31, exec_lo
	v_cmpx_le_u32_e64 v47, v7
	s_cbranch_execz .LBB497_120
; %bb.119:                              ;   in Loop: Header=BB497_109 Depth=1
	v_cmp_eq_u16_e32 vcc_lo, 0, v5
	s_wait_dscnt 0x0
	v_and_b32_e32 v11, 1, v11
	v_dual_cndmask_b32 v10, 1, v54, vcc_lo :: v_dual_bitop2_b32 v5, 1, v5 bitop3:0x40
	s_delay_alu instid0(VALU_DEP_1) | instskip(NEXT) | instid1(VALU_DEP_2)
	v_cmp_eq_u32_e32 vcc_lo, 1, v5
	v_mul_lo_u32 v4, v10, v4
	s_delay_alu instid0(VALU_DEP_4) | instskip(NEXT) | instid1(VALU_DEP_1)
	v_cndmask_b32_e64 v5, v11, 1, vcc_lo
	v_and_b32_e32 v10, 0xffff, v5
.LBB497_120:                            ;   in Loop: Header=BB497_109 Depth=1
	;; [unrolled: 20-line block ×3, first 2 shown]
	s_or_b32 exec_lo, exec_lo, s31
	s_wait_dscnt 0x0
	ds_bpermute_b32 v11, v52, v4
	ds_bpermute_b32 v10, v52, v10
	s_mov_b32 s31, exec_lo
	v_cmpx_le_u32_e64 v53, v7
	s_cbranch_execz .LBB497_107
; %bb.123:                              ;   in Loop: Header=BB497_109 Depth=1
	v_cmp_eq_u16_e32 vcc_lo, 0, v5
	s_wait_dscnt 0x1
	v_dual_cndmask_b32 v7, 1, v11, vcc_lo :: v_dual_bitop2_b32 v5, 1, v5 bitop3:0x40
	s_delay_alu instid0(VALU_DEP_1) | instskip(NEXT) | instid1(VALU_DEP_2)
	v_cmp_eq_u32_e32 vcc_lo, 1, v5
	v_mul_lo_u32 v4, v7, v4
	s_wait_dscnt 0x0
	v_cndmask_b32_e64 v5, v10, 1, vcc_lo
	s_branch .LBB497_107
.LBB497_124:
	s_or_b32 exec_lo, exec_lo, s11
                                        ; implicit-def: $vgpr16
	s_and_saveexec_b32 s11, s0
	s_cbranch_execz .LBB497_29
.LBB497_125:
	flat_load_b32 v16, v0, s[20:21] offset:1024 scale_offset
	s_wait_xcnt 0x0
	s_or_b32 exec_lo, exec_lo, s11
                                        ; implicit-def: $vgpr17
	s_and_saveexec_b32 s0, s1
	s_cbranch_execnz .LBB497_30
.LBB497_126:
	s_or_b32 exec_lo, exec_lo, s0
                                        ; implicit-def: $vgpr18
	s_and_saveexec_b32 s0, s2
	s_cbranch_execz .LBB497_31
.LBB497_127:
	flat_load_b32 v18, v0, s[20:21] offset:3072 scale_offset
	s_wait_xcnt 0x0
	s_or_b32 exec_lo, exec_lo, s0
                                        ; implicit-def: $vgpr19
	s_and_saveexec_b32 s0, s3
	s_cbranch_execnz .LBB497_32
.LBB497_128:
	s_or_b32 exec_lo, exec_lo, s0
                                        ; implicit-def: $vgpr20
	s_and_saveexec_b32 s0, s4
	s_cbranch_execz .LBB497_33
.LBB497_129:
	flat_load_b32 v20, v0, s[20:21] offset:5120 scale_offset
	s_wait_xcnt 0x0
	s_or_b32 exec_lo, exec_lo, s0
                                        ; implicit-def: $vgpr21
	s_and_saveexec_b32 s0, s5
	s_cbranch_execnz .LBB497_34
.LBB497_130:
	s_or_b32 exec_lo, exec_lo, s0
                                        ; implicit-def: $vgpr22
	s_and_saveexec_b32 s0, s6
	s_cbranch_execz .LBB497_35
.LBB497_131:
	flat_load_b32 v22, v0, s[20:21] offset:7168 scale_offset
	s_wait_xcnt 0x0
	s_or_b32 exec_lo, exec_lo, s0
                                        ; implicit-def: $vgpr23
	s_and_saveexec_b32 s0, s7
	s_cbranch_execnz .LBB497_36
.LBB497_132:
	s_or_b32 exec_lo, exec_lo, s0
                                        ; implicit-def: $vgpr24
	s_and_saveexec_b32 s0, s8
	s_cbranch_execz .LBB497_37
.LBB497_133:
	flat_load_b32 v24, v0, s[20:21] offset:9216 scale_offset
	s_wait_xcnt 0x0
	s_or_b32 exec_lo, exec_lo, s0
                                        ; implicit-def: $vgpr25
	s_and_saveexec_b32 s0, s9
	s_cbranch_execz .LBB497_39
	s_branch .LBB497_38
.LBB497_134:
                                        ; implicit-def: $vgpr13
                                        ; implicit-def: $vgpr9
                                        ; implicit-def: $vgpr5
	s_cbranch_execnz .LBB497_180
.LBB497_135:
	s_add_nc_u64 s[0:1], s[14:15], s[26:27]
	s_and_b32 vcc_lo, exec_lo, s19
	s_add_nc_u64 s[0:1], s[0:1], s[12:13]
	s_cbranch_vccz .LBB497_199
.LBB497_136:
	v_mul_u32_u24_e32 v1, 12, v0
	s_add_co_i32 s29, s29, s18
	s_mov_b32 s2, exec_lo
	s_delay_alu instid0(VALU_DEP_1)
	v_cmpx_gt_u32_e64 s29, v1
	s_cbranch_execz .LBB497_152
; %bb.137:
	v_or_b32_e32 v14, 1, v1
	s_mov_b32 s3, exec_lo
	s_delay_alu instid0(VALU_DEP_1)
	v_cmpx_gt_u32_e64 s29, v14
	s_cbranch_execz .LBB497_151
; %bb.138:
	v_or_b32_e32 v14, 2, v1
	;; [unrolled: 6-line block ×3, first 2 shown]
	s_mov_b32 s5, exec_lo
	s_delay_alu instid0(VALU_DEP_1)
	v_cmpx_gt_u32_e64 s29, v14
	s_cbranch_execz .LBB497_149
; %bb.140:
	v_add_nc_u32_e32 v14, 4, v1
	s_mov_b32 s6, exec_lo
	s_delay_alu instid0(VALU_DEP_1)
	v_cmpx_gt_u32_e64 s29, v14
	s_cbranch_execz .LBB497_148
; %bb.141:
	v_add_nc_u32_e32 v14, 5, v1
	;; [unrolled: 6-line block ×4, first 2 shown]
	s_mov_b32 s9, exec_lo
	s_delay_alu instid0(VALU_DEP_1)
	v_cmpx_gt_u32_e64 s29, v14
; %bb.144:
	v_add_nc_u32_e32 v14, 8, v1
	s_mov_b32 s10, exec_lo
	s_delay_alu instid0(VALU_DEP_1)
	v_cmpx_gt_u32_e64 s29, v14
	s_or_b32 exec_lo, exec_lo, s10
; %bb.145:
	s_delay_alu instid0(SALU_CYCLE_1)
	s_or_b32 exec_lo, exec_lo, s9
.LBB497_146:
	s_delay_alu instid0(SALU_CYCLE_1)
	s_or_b32 exec_lo, exec_lo, s8
.LBB497_147:
	s_delay_alu instid0(SALU_CYCLE_1)
	s_or_b32 exec_lo, exec_lo, s7
.LBB497_148:
	s_delay_alu instid0(SALU_CYCLE_1)
	s_or_b32 exec_lo, exec_lo, s6
.LBB497_149:
	s_delay_alu instid0(SALU_CYCLE_1)
	s_or_b32 exec_lo, exec_lo, s5
.LBB497_150:
	s_delay_alu instid0(SALU_CYCLE_1)
	s_or_b32 exec_lo, exec_lo, s4
.LBB497_151:
	s_delay_alu instid0(SALU_CYCLE_1)
	s_or_b32 exec_lo, exec_lo, s3
.LBB497_152:
	s_delay_alu instid0(SALU_CYCLE_1) | instskip(SKIP_3) | instid1(VALU_DEP_1)
	s_or_b32 exec_lo, exec_lo, s2
	v_dual_lshlrev_b32 v1, 2, v1 :: v_dual_mov_b32 v17, 0
	s_barrier_signal -1
	s_barrier_wait -1
	v_mad_i32_i24 v14, 0xffffffd4, v0, v1
	ds_store_b128 v1, v[2:5]
	ds_store_b128 v1, v[6:9] offset:16
	ds_store_b128 v1, v[10:13] offset:32
	s_wait_dscnt 0x0
	s_barrier_signal -1
	s_barrier_wait -1
	ds_load_2addr_stride64_b32 v[26:27], v14 offset0:4 offset1:8
	ds_load_2addr_stride64_b32 v[24:25], v14 offset0:12 offset1:16
	;; [unrolled: 1-line block ×5, first 2 shown]
	ds_load_b32 v15, v14 offset:11264
	v_add_nc_u64_e32 v[16:17], s[0:1], v[16:17]
	s_mov_b32 s2, exec_lo
	v_cmpx_gt_u32_e64 s29, v0
	s_cbranch_execz .LBB497_154
; %bb.153:
	v_mul_i32_i24_e32 v14, 0xffffffd4, v0
	s_delay_alu instid0(VALU_DEP_1)
	v_add_nc_u32_e32 v1, v1, v14
	ds_load_b32 v1, v1
	s_wait_dscnt 0x0
	flat_store_b32 v[16:17], v1
.LBB497_154:
	s_wait_xcnt 0x0
	s_or_b32 exec_lo, exec_lo, s2
	v_or_b32_e32 v1, 0x100, v0
	s_mov_b32 s2, exec_lo
	s_delay_alu instid0(VALU_DEP_1)
	v_cmpx_gt_u32_e64 s29, v1
	s_cbranch_execz .LBB497_156
; %bb.155:
	s_wait_dscnt 0x5
	flat_store_b32 v[16:17], v26 offset:1024
.LBB497_156:
	s_wait_xcnt 0x0
	s_or_b32 exec_lo, exec_lo, s2
	v_or_b32_e32 v1, 0x200, v0
	s_mov_b32 s2, exec_lo
	s_delay_alu instid0(VALU_DEP_1)
	v_cmpx_gt_u32_e64 s29, v1
	s_cbranch_execz .LBB497_158
; %bb.157:
	s_wait_dscnt 0x5
	flat_store_b32 v[16:17], v27 offset:2048
.LBB497_158:
	;; [unrolled: 11-line block ×10, first 2 shown]
	s_wait_xcnt 0x0
	s_or_b32 exec_lo, exec_lo, s2
	v_or_b32_e32 v1, 0xb00, v0
	s_delay_alu instid0(VALU_DEP_1)
	v_cmp_gt_u32_e64 s2, s29, v1
	s_branch .LBB497_201
.LBB497_175:
	s_and_saveexec_b32 s20, s11
	s_cbranch_execz .LBB497_177
; %bb.176:
	v_and_b32_e32 v4, 0xff, v3
	v_and_b32_e32 v3, 1, v3
	s_mov_b32 s35, 0
	s_add_co_i32 s34, s28, 32
	v_and_b32_e32 v5, 1, v50
	v_cmp_eq_u32_e32 vcc_lo, 0, v4
	s_lshl_b64 s[34:35], s[34:35], 4
	s_delay_alu instid0(SALU_CYCLE_1) | instskip(SKIP_2) | instid1(VALU_DEP_2)
	s_add_nc_u64 s[34:35], s[16:17], s[34:35]
	v_cndmask_b32_e32 v4, 1, v51, vcc_lo
	v_mov_b64_e32 v[6:7], s[34:35]
	v_mul_lo_u32 v2, v4, v2
	v_mov_b32_e32 v4, 2
	v_cmp_eq_u32_e32 vcc_lo, 1, v3
	v_cndmask_b32_e64 v3, v5, 1, vcc_lo
	v_mov_b32_e32 v5, 0
	;;#ASMSTART
	global_store_b128 v[6:7], v[2:5] off scope:SCOPE_DEV	
s_wait_storecnt 0x0
	;;#ASMEND
.LBB497_177:
	s_or_b32 exec_lo, exec_lo, s20
	s_delay_alu instid0(SALU_CYCLE_1)
	s_and_b32 exec_lo, exec_lo, s10
	s_cbranch_execz .LBB497_179
; %bb.178:
	v_mov_b32_e32 v2, 0
	ds_store_b32 v2, v51
	ds_store_b8 v2, v50 offset:4
.LBB497_179:
	s_or_b32 exec_lo, exec_lo, s30
	s_wait_dscnt 0x0
	v_and_b32_e32 v3, 0xff, v13
	s_barrier_signal -1
	s_barrier_wait -1
	s_delay_alu instid0(VALU_DEP_1)
	v_cmp_eq_u16_e32 vcc_lo, 0, v3
	v_mov_b32_e32 v4, 0
	v_and_b32_e32 v5, 0xff, v15
	ds_load_b32 v2, v4
	s_wait_dscnt 0x0
	v_cndmask_b32_e32 v3, 1, v2, vcc_lo
	v_cmp_eq_u64_e32 vcc_lo, 0, v[4:5]
	s_delay_alu instid0(VALU_DEP_2) | instskip(NEXT) | instid1(VALU_DEP_1)
	v_mul_lo_u32 v3, v3, v12
	v_cndmask_b32_e64 v2, v3, v2, s10
	s_delay_alu instid0(VALU_DEP_1) | instskip(NEXT) | instid1(VALU_DEP_1)
	v_cndmask_b32_e32 v3, 1, v2, vcc_lo
	v_mul_lo_u32 v3, v3, v14
	s_delay_alu instid0(VALU_DEP_1) | instskip(NEXT) | instid1(VALU_DEP_1)
	v_cndmask_b32_e64 v4, 1, v3, s0
	v_mul_lo_u32 v4, v4, v36
	s_delay_alu instid0(VALU_DEP_1) | instskip(NEXT) | instid1(VALU_DEP_1)
	v_cndmask_b32_e64 v5, 1, v4, s1
	;; [unrolled: 3-line block ×10, first 2 shown]
	v_mul_lo_u32 v13, v13, v18
	s_branch .LBB497_135
.LBB497_180:
	s_cmp_eq_u64 s[24:25], 0
	v_mov_b32_e32 v41, s33
	s_cselect_b32 s0, -1, 0
	s_cmp_eq_u64 s[22:23], 0
	s_cselect_b32 s1, -1, 0
	s_delay_alu instid0(SALU_CYCLE_1) | instskip(NEXT) | instid1(SALU_CYCLE_1)
	s_or_b32 s0, s0, s1
	s_and_b32 vcc_lo, exec_lo, s0
	s_cbranch_vccnz .LBB497_182
; %bb.181:
	v_mov_b32_e32 v2, 0
	global_load_b32 v41, v2, s[22:23]
.LBB497_182:
	s_mov_b64 s[10:11], 0x100000000
	v_or3_b32 v3, v40, v27, v29
	v_cmp_gt_u64_e32 vcc_lo, s[10:11], v[36:37]
	v_cmp_gt_u64_e64 s0, s[10:11], v[34:35]
	v_cmp_gt_u64_e64 s1, s[10:11], v[32:33]
	;; [unrolled: 1-line block ×6, first 2 shown]
	s_wait_xcnt 0x0
	v_dual_cndmask_b32 v2, 1, v14, vcc_lo :: v_dual_bitop2_b32 v1, 56, v1 bitop3:0x40
	v_cmp_gt_u64_e64 s6, s[10:11], v[22:23]
	v_cmp_gt_u64_e64 s7, s[10:11], v[20:21]
	v_cmp_gt_u64_e64 s8, s[10:11], v[18:19]
	s_delay_alu instid0(VALU_DEP_4)
	v_mul_lo_u32 v2, v2, v36
	v_or3_b32 v3, v3, v31, v33
	v_cmp_gt_u64_e64 s9, s[10:11], v[38:39]
	v_lshl_add_u32 v1, v0, 3, v1
	s_mov_b32 s10, exec_lo
	v_or3_b32 v3, v3, v35, v37
	s_delay_alu instid0(VALU_DEP_1) | instskip(SKIP_1) | instid1(VALU_DEP_2)
	v_or3_b32 v3, v39, v17, v3
	v_cndmask_b32_e64 v2, 1, v2, s0
	v_and_b32_e32 v3, 0xff, v3
	s_delay_alu instid0(VALU_DEP_2) | instskip(NEXT) | instid1(VALU_DEP_1)
	v_mul_lo_u32 v2, v2, v34
	v_cndmask_b32_e64 v2, 1, v2, s1
	s_delay_alu instid0(VALU_DEP_1) | instskip(NEXT) | instid1(VALU_DEP_1)
	v_mul_lo_u32 v2, v2, v32
	v_cndmask_b32_e64 v2, 1, v2, s2
	s_delay_alu instid0(VALU_DEP_1) | instskip(NEXT) | instid1(VALU_DEP_1)
	;; [unrolled: 3-line block ×8, first 2 shown]
	v_mul_lo_u32 v2, v2, v18
	v_dual_cndmask_b32 v4, 1, v2, s9 :: v_dual_mov_b32 v2, 0
	s_delay_alu instid0(VALU_DEP_1) | instskip(NEXT) | instid1(VALU_DEP_2)
	v_mul_lo_u32 v4, v4, v38
	v_cmp_eq_u64_e64 s9, 0, v[2:3]
	s_delay_alu instid0(VALU_DEP_1)
	v_cndmask_b32_e64 v5, 1, v15, s9
	ds_store_b32 v1, v4
	ds_store_b8 v1, v5 offset:4
	s_wait_loadcnt_dscnt 0x0
	s_barrier_signal -1
	s_barrier_wait -1
	v_cmpx_gt_u32_e32 32, v0
	s_cbranch_execz .LBB497_194
; %bb.183:
	v_dual_lshlrev_b32 v1, 1, v0 :: v_dual_lshlrev_b32 v2, 6, v0
	s_mov_b32 s11, exec_lo
	s_delay_alu instid0(VALU_DEP_1) | instskip(NEXT) | instid1(VALU_DEP_1)
	v_and_b32_e32 v1, 0x1f8, v1
	v_add_nc_u32_e32 v1, v1, v2
	ds_load_u8 v10, v1 offset:12
	ds_load_b64 v[2:3], v1
	ds_load_2addr_b32 v[6:7], v1 offset0:2 offset1:4
	ds_load_u8 v11, v1 offset:20
	ds_load_u8 v12, v1 offset:28
	;; [unrolled: 1-line block ×5, first 2 shown]
	ds_load_b32 v21, v1 offset:56
	s_wait_dscnt 0x8
	v_cmp_eq_u16_e64 s9, 0, v10
	s_wait_dscnt 0x7
	s_delay_alu instid0(VALU_DEP_1) | instskip(SKIP_2) | instid1(VALU_DEP_2)
	v_cndmask_b32_e64 v8, 1, v2, s9
	s_wait_dscnt 0x5
	v_cmp_eq_u16_e64 s9, 0, v11
	v_mul_lo_u32 v6, v8, v6
	ds_load_2addr_b32 v[8:9], v1 offset0:6 offset1:8
	v_cndmask_b32_e64 v6, 1, v6, s9
	s_wait_dscnt 0x5
	v_cmp_eq_u16_e64 s9, 0, v12
	s_delay_alu instid0(VALU_DEP_2) | instskip(NEXT) | instid1(VALU_DEP_1)
	v_mul_lo_u32 v6, v6, v7
	v_cndmask_b32_e64 v6, 1, v6, s9
	s_wait_dscnt 0x4
	v_cmp_eq_u16_e64 s9, 0, v13
	s_wait_dscnt 0x0
	s_delay_alu instid0(VALU_DEP_2) | instskip(NEXT) | instid1(VALU_DEP_1)
	v_mul_lo_u32 v6, v6, v8
	v_cndmask_b32_e64 v8, 1, v6, s9
	ds_load_2addr_b32 v[6:7], v1 offset0:10 offset1:12
	v_cmp_eq_u16_e64 s9, 0, v17
	v_mul_lo_u32 v8, v8, v9
	ds_load_u8 v9, v1 offset:60
	v_cndmask_b32_e64 v8, 1, v8, s9
	v_cmp_eq_u16_e64 s9, 0, v19
	s_wait_dscnt 0x1
	s_delay_alu instid0(VALU_DEP_2) | instskip(SKIP_1) | instid1(VALU_DEP_1)
	v_mul_lo_u32 v6, v8, v6
	v_or_b32_e32 v8, v11, v10
	v_bitop3_b16 v8, v8, v13, v12 bitop3:0xfe
	s_delay_alu instid0(VALU_DEP_1) | instskip(NEXT) | instid1(VALU_DEP_4)
	v_bitop3_b16 v8, v8, v19, v17 bitop3:0xfe
	v_dual_cndmask_b32 v10, 1, v6, s9 :: v_dual_bitop2_b32 v6, 1, v3 bitop3:0x40
	s_delay_alu instid0(VALU_DEP_2) | instskip(NEXT) | instid1(VALU_DEP_2)
	v_cmp_eq_u16_e64 s9, 0, v8
	v_mul_lo_u32 v7, v10, v7
	s_wait_dscnt 0x0
	s_delay_alu instid0(VALU_DEP_2) | instskip(NEXT) | instid1(VALU_DEP_1)
	v_dual_cndmask_b32 v8, 1, v6, s9 :: v_dual_bitop2_b32 v10, 1, v9 bitop3:0x40
	v_cmp_eq_u32_e64 s9, 1, v10
	s_delay_alu instid0(VALU_DEP_1) | instskip(SKIP_2) | instid1(VALU_DEP_3)
	v_cndmask_b32_e64 v10, v8, 1, s9
	v_cmp_eq_u16_e64 s9, 0, v9
	v_mbcnt_lo_u32_b32 v9, -1, 0
	v_and_b32_e32 v11, 0xffff, v10
	s_delay_alu instid0(VALU_DEP_3) | instskip(SKIP_1) | instid1(VALU_DEP_1)
	v_cndmask_b32_e64 v8, 1, v7, s9
	v_and_b32_e32 v7, 0xffffff00, v3
	v_or_b32_e32 v12, v7, v11
	v_and_b32_e32 v11, 15, v9
	s_delay_alu instid0(VALU_DEP_4) | instskip(NEXT) | instid1(VALU_DEP_3)
	v_mul_lo_u32 v8, v8, v21
	v_mov_b32_dpp v17, v12 row_shr:1 row_mask:0xf bank_mask:0xf
	s_delay_alu instid0(VALU_DEP_2) | instskip(NEXT) | instid1(VALU_DEP_4)
	v_mov_b32_dpp v13, v8 row_shr:1 row_mask:0xf bank_mask:0xf
	v_cmpx_ne_u32_e32 0, v11
	s_cbranch_execz .LBB497_185
; %bb.184:
	v_cmp_eq_u16_e64 s9, 0, v10
	v_and_b32_e32 v12, 1, v10
	v_and_b32_e32 v17, 1, v17
	s_delay_alu instid0(VALU_DEP_3) | instskip(NEXT) | instid1(VALU_DEP_3)
	v_cndmask_b32_e64 v13, 1, v13, s9
	v_cmp_eq_u32_e64 s9, 1, v12
	s_delay_alu instid0(VALU_DEP_2) | instskip(NEXT) | instid1(VALU_DEP_2)
	v_mul_lo_u32 v8, v13, v8
	v_cndmask_b32_e64 v10, v17, 1, s9
	s_delay_alu instid0(VALU_DEP_1) | instskip(NEXT) | instid1(VALU_DEP_1)
	v_and_b32_e32 v12, 0xffff, v10
	v_or_b32_e32 v12, v7, v12
.LBB497_185:
	s_or_b32 exec_lo, exec_lo, s11
	s_delay_alu instid0(VALU_DEP_2) | instskip(NEXT) | instid1(VALU_DEP_2)
	v_mov_b32_dpp v13, v8 row_shr:2 row_mask:0xf bank_mask:0xf
	v_mov_b32_dpp v17, v12 row_shr:2 row_mask:0xf bank_mask:0xf
	s_mov_b32 s11, exec_lo
	v_cmpx_lt_u32_e32 1, v11
	s_cbranch_execz .LBB497_187
; %bb.186:
	v_cmp_eq_u16_e64 s9, 0, v10
	v_and_b32_e32 v12, 1, v10
	v_and_b32_e32 v17, 1, v17
	s_delay_alu instid0(VALU_DEP_3) | instskip(NEXT) | instid1(VALU_DEP_3)
	v_cndmask_b32_e64 v13, 1, v13, s9
	v_cmp_eq_u32_e64 s9, 1, v12
	s_delay_alu instid0(VALU_DEP_2) | instskip(NEXT) | instid1(VALU_DEP_2)
	v_mul_lo_u32 v8, v13, v8
	v_cndmask_b32_e64 v10, v17, 1, s9
	s_delay_alu instid0(VALU_DEP_1) | instskip(NEXT) | instid1(VALU_DEP_1)
	v_and_b32_e32 v12, 0xffff, v10
	v_or_b32_e32 v12, v7, v12
.LBB497_187:
	s_or_b32 exec_lo, exec_lo, s11
	s_delay_alu instid0(VALU_DEP_4) | instskip(NEXT) | instid1(VALU_DEP_2)
	v_mov_b32_dpp v13, v8 row_shr:4 row_mask:0xf bank_mask:0xf
	v_mov_b32_dpp v17, v12 row_shr:4 row_mask:0xf bank_mask:0xf
	s_mov_b32 s11, exec_lo
	v_cmpx_lt_u32_e32 3, v11
	s_cbranch_execz .LBB497_189
; %bb.188:
	v_cmp_eq_u16_e64 s9, 0, v10
	v_and_b32_e32 v12, 1, v10
	v_and_b32_e32 v17, 1, v17
	s_delay_alu instid0(VALU_DEP_3) | instskip(NEXT) | instid1(VALU_DEP_3)
	v_cndmask_b32_e64 v13, 1, v13, s9
	v_cmp_eq_u32_e64 s9, 1, v12
	s_delay_alu instid0(VALU_DEP_2) | instskip(NEXT) | instid1(VALU_DEP_2)
	v_mul_lo_u32 v8, v13, v8
	v_cndmask_b32_e64 v10, v17, 1, s9
	s_delay_alu instid0(VALU_DEP_1) | instskip(NEXT) | instid1(VALU_DEP_1)
	v_and_b32_e32 v12, 0xffff, v10
	v_or_b32_e32 v12, v7, v12
.LBB497_189:
	s_or_b32 exec_lo, exec_lo, s11
	s_delay_alu instid0(VALU_DEP_4) | instskip(NEXT) | instid1(VALU_DEP_2)
	v_mov_b32_dpp v13, v8 row_shr:8 row_mask:0xf bank_mask:0xf
	v_mov_b32_dpp v17, v12 row_shr:8 row_mask:0xf bank_mask:0xf
	s_mov_b32 s11, exec_lo
	v_cmpx_lt_u32_e32 7, v11
	s_cbranch_execz .LBB497_191
; %bb.190:
	v_cmp_eq_u16_e64 s9, 0, v10
	v_and_b32_e32 v11, 1, v10
	v_and_b32_e32 v12, 1, v17
	s_delay_alu instid0(VALU_DEP_3) | instskip(NEXT) | instid1(VALU_DEP_3)
	v_cndmask_b32_e64 v13, 1, v13, s9
	v_cmp_eq_u32_e64 s9, 1, v11
	s_delay_alu instid0(VALU_DEP_2) | instskip(NEXT) | instid1(VALU_DEP_2)
	v_mul_lo_u32 v8, v13, v8
	v_cndmask_b32_e64 v10, v12, 1, s9
	s_delay_alu instid0(VALU_DEP_1) | instskip(NEXT) | instid1(VALU_DEP_1)
	v_and_b32_e32 v11, 0xffff, v10
	v_or_b32_e32 v12, v7, v11
.LBB497_191:
	s_or_b32 exec_lo, exec_lo, s11
	ds_swizzle_b32 v13, v8 offset:swizzle(BROADCAST,32,15)
	ds_swizzle_b32 v11, v12 offset:swizzle(BROADCAST,32,15)
	v_and_b32_e32 v12, 16, v9
	s_mov_b32 s11, exec_lo
	s_delay_alu instid0(VALU_DEP_1)
	v_cmpx_ne_u32_e32 0, v12
	s_cbranch_execz .LBB497_193
; %bb.192:
	v_cmp_eq_u16_e64 s9, 0, v10
	s_wait_dscnt 0x0
	v_and_b32_e32 v11, 1, v11
	s_delay_alu instid0(VALU_DEP_2) | instskip(NEXT) | instid1(VALU_DEP_1)
	v_dual_cndmask_b32 v12, 1, v13, s9 :: v_dual_bitop2_b32 v10, 1, v10 bitop3:0x40
	v_cmp_eq_u32_e64 s9, 1, v10
	s_delay_alu instid0(VALU_DEP_2) | instskip(NEXT) | instid1(VALU_DEP_2)
	v_mul_lo_u32 v8, v12, v8
	v_cndmask_b32_e64 v10, v11, 1, s9
.LBB497_193:
	s_or_b32 exec_lo, exec_lo, s11
	s_wait_dscnt 0x0
	v_add_nc_u32_e32 v11, -1, v9
	v_and_b32_e32 v3, 0xff, v3
	v_and_b32_e32 v10, 0xffff, v10
	; wave barrier
	s_delay_alu instid0(VALU_DEP_3) | instskip(NEXT) | instid1(VALU_DEP_1)
	v_cmp_gt_i32_e64 s9, 0, v11
	v_cndmask_b32_e64 v9, v11, v9, s9
	s_delay_alu instid0(VALU_DEP_4) | instskip(NEXT) | instid1(VALU_DEP_2)
	v_cmp_eq_u16_e64 s9, 0, v3
	v_lshlrev_b32_e32 v9, 2, v9
	ds_bpermute_b32 v8, v9, v8
	s_wait_dscnt 0x0
	v_cndmask_b32_e64 v3, 1, v8, s9
	v_cmp_eq_u32_e64 s9, 1, v6
	s_delay_alu instid0(VALU_DEP_2) | instskip(SKIP_4) | instid1(VALU_DEP_1)
	v_mul_lo_u32 v2, v3, v2
	v_or_b32_e32 v7, v7, v10
	ds_bpermute_b32 v7, v9, v7
	s_wait_dscnt 0x0
	v_and_b32_e32 v3, 1, v7
	v_cndmask_b32_e64 v3, v3, 1, s9
	v_cmp_eq_u32_e64 s9, 0, v0
	s_delay_alu instid0(VALU_DEP_1)
	v_dual_cndmask_b32 v4, v2, v4, s9 :: v_dual_cndmask_b32 v6, v3, v5, s9
	ds_store_b32 v1, v4
	ds_store_b8 v1, v6 offset:4
	; wave barrier
	ds_load_u8 v7, v1 offset:12
	ds_load_2addr_b32 v[2:3], v1 offset0:2 offset1:4
	ds_load_u8 v8, v1 offset:20
	ds_load_u8 v9, v1 offset:28
	ds_load_u8 v10, v1 offset:36
	ds_load_u8 v11, v1 offset:44
	ds_load_u8 v12, v1 offset:52
	ds_load_b32 v13, v1 offset:56
	ds_load_u8 v17, v1 offset:60
	s_wait_dscnt 0x8
	v_cmp_eq_u16_e64 s9, 0, v7
	s_delay_alu instid0(VALU_DEP_1) | instskip(SKIP_2) | instid1(VALU_DEP_2)
	v_dual_cndmask_b32 v4, 1, v4, s9 :: v_dual_bitop2_b32 v7, 1, v7 bitop3:0x40
	s_wait_dscnt 0x6
	v_cmp_eq_u16_e64 s9, 0, v8
	v_mul_lo_u32 v19, v4, v2
	ds_load_2addr_b32 v[4:5], v1 offset0:6 offset1:8
	v_cndmask_b32_e64 v2, 1, v19, s9
	s_wait_dscnt 0x6
	v_cmp_eq_u16_e64 s9, 0, v9
	s_delay_alu instid0(VALU_DEP_2) | instskip(NEXT) | instid1(VALU_DEP_1)
	v_mul_lo_u32 v21, v2, v3
	v_cndmask_b32_e64 v2, 1, v21, s9
	s_wait_dscnt 0x5
	v_cmp_eq_u16_e64 s9, 0, v10
	v_and_b32_e32 v10, 1, v10
	ds_store_2addr_b32 v1, v19, v21 offset0:2 offset1:4
	s_wait_dscnt 0x1
	v_mul_lo_u32 v4, v2, v4
	ds_load_2addr_b32 v[2:3], v1 offset0:10 offset1:12
	v_cndmask_b32_e64 v23, 1, v4, s9
	v_cmp_eq_u16_e64 s9, 0, v11
	s_delay_alu instid0(VALU_DEP_2) | instskip(NEXT) | instid1(VALU_DEP_1)
	v_mul_lo_u32 v5, v23, v5
	v_cndmask_b32_e64 v23, 1, v5, s9
	v_cmp_eq_u32_e64 s9, 1, v7
	v_and_b32_e32 v7, 1, v9
	s_wait_dscnt 0x0
	s_delay_alu instid0(VALU_DEP_3) | instskip(SKIP_2) | instid1(VALU_DEP_2)
	v_mul_lo_u32 v2, v23, v2
	v_and_b32_e32 v8, 1, v8
	v_cndmask_b32_e64 v6, v6, 1, s9
	v_cmp_eq_u32_e64 s9, 1, v8
	s_delay_alu instid0(VALU_DEP_1) | instskip(SKIP_1) | instid1(VALU_DEP_1)
	v_cndmask_b32_e64 v8, v6, 1, s9
	v_cmp_eq_u16_e64 s9, 0, v12
	v_cndmask_b32_e64 v9, 1, v2, s9
	v_cmp_eq_u32_e64 s9, 1, v7
	s_delay_alu instid0(VALU_DEP_2) | instskip(NEXT) | instid1(VALU_DEP_2)
	v_mul_lo_u32 v3, v9, v3
	v_cndmask_b32_e64 v7, v8, 1, s9
	v_and_b32_e32 v9, 1, v11
	v_cmp_eq_u32_e64 s9, 1, v10
	v_and_b32_e32 v11, 1, v12
	v_and_b32_e32 v12, 1, v17
	s_delay_alu instid0(VALU_DEP_3) | instskip(SKIP_1) | instid1(VALU_DEP_1)
	v_cndmask_b32_e64 v10, v7, 1, s9
	v_cmp_eq_u32_e64 s9, 1, v9
	v_cndmask_b32_e64 v9, v10, 1, s9
	v_cmp_eq_u16_e64 s9, 0, v17
	s_delay_alu instid0(VALU_DEP_1) | instskip(SKIP_1) | instid1(VALU_DEP_2)
	v_cndmask_b32_e64 v17, 1, v3, s9
	v_cmp_eq_u32_e64 s9, 1, v11
	v_mul_lo_u32 v13, v17, v13
	s_delay_alu instid0(VALU_DEP_2) | instskip(SKIP_1) | instid1(VALU_DEP_1)
	v_cndmask_b32_e64 v11, v9, 1, s9
	v_cmp_eq_u32_e64 s9, 1, v12
	v_cndmask_b32_e64 v12, v11, 1, s9
	ds_store_2addr_b32 v1, v4, v5 offset0:6 offset1:8
	ds_store_2addr_b32 v1, v2, v3 offset0:10 offset1:12
	ds_store_b8 v1, v6 offset:12
	ds_store_b8 v1, v8 offset:20
	ds_store_b8 v1, v7 offset:28
	ds_store_b8 v1, v10 offset:36
	ds_store_b8 v1, v9 offset:44
	ds_store_b8 v1, v11 offset:52
	ds_store_b32 v1, v13 offset:56
	ds_store_b8 v1, v12 offset:60
.LBB497_194:
	s_or_b32 exec_lo, exec_lo, s10
	v_cmp_eq_u32_e64 s9, 0, v0
	v_mov_b32_e32 v2, v41
	s_mov_b32 s11, exec_lo
	s_wait_dscnt 0x0
	s_barrier_signal -1
	s_barrier_wait -1
	v_cmpx_ne_u32_e32 0, v0
	s_cbranch_execz .LBB497_196
; %bb.195:
	v_add_nc_u32_e32 v1, -1, v0
	s_delay_alu instid0(VALU_DEP_1) | instskip(NEXT) | instid1(VALU_DEP_1)
	v_lshrrev_b32_e32 v2, 2, v1
	v_and_b32_e32 v2, 0x3ffffff8, v2
	s_delay_alu instid0(VALU_DEP_1) | instskip(SKIP_4) | instid1(VALU_DEP_1)
	v_lshl_add_u32 v1, v1, 3, v2
	ds_load_u8 v2, v1 offset:4
	ds_load_b32 v1, v1
	s_wait_dscnt 0x1
	v_cmp_eq_u16_e64 s10, 0, v2
	v_cndmask_b32_e64 v2, 1, v41, s10
	s_wait_dscnt 0x0
	s_delay_alu instid0(VALU_DEP_1)
	v_mul_lo_u32 v2, v2, v1
.LBB497_196:
	s_or_b32 exec_lo, exec_lo, s11
	v_and_b32_e32 v39, 0xff, v15
	v_mov_b32_e32 v38, 0
	s_delay_alu instid0(VALU_DEP_1) | instskip(NEXT) | instid1(VALU_DEP_1)
	v_cmp_eq_u64_e64 s10, 0, v[38:39]
	v_cndmask_b32_e64 v1, 1, v2, s10
	s_delay_alu instid0(VALU_DEP_1) | instskip(NEXT) | instid1(VALU_DEP_1)
	v_mul_lo_u32 v3, v1, v14
	v_cndmask_b32_e32 v1, 1, v3, vcc_lo
	s_delay_alu instid0(VALU_DEP_1) | instskip(NEXT) | instid1(VALU_DEP_1)
	v_mul_lo_u32 v4, v1, v36
	v_cndmask_b32_e64 v1, 1, v4, s0
	s_delay_alu instid0(VALU_DEP_1) | instskip(NEXT) | instid1(VALU_DEP_1)
	v_mul_lo_u32 v5, v1, v34
	v_cndmask_b32_e64 v1, 1, v5, s1
	;; [unrolled: 3-line block ×9, first 2 shown]
	s_delay_alu instid0(VALU_DEP_1)
	v_mul_lo_u32 v13, v1, v18
	s_and_saveexec_b32 s0, s9
	s_cbranch_execz .LBB497_198
; %bb.197:
	ds_load_u8 v1, v38 offset:2100
	ds_load_b32 v17, v38 offset:2096
	v_mov_b32_e32 v15, v38
	s_add_nc_u64 s[2:3], s[16:17], 0x200
	v_mov_b32_e32 v21, v38
	s_wait_dscnt 0x1
	v_and_b32_e32 v14, 0xffff, v1
	s_delay_alu instid0(VALU_DEP_1) | instskip(SKIP_4) | instid1(VALU_DEP_1)
	v_dual_mov_b32 v20, 2 :: v_dual_mov_b32 v19, v14
	v_cmp_eq_u64_e32 vcc_lo, 0, v[14:15]
	v_mov_b64_e32 v[14:15], s[2:3]
	v_cndmask_b32_e32 v1, 1, v41, vcc_lo
	s_wait_dscnt 0x0
	v_mul_lo_u32 v18, v1, v17
	;;#ASMSTART
	global_store_b128 v[14:15], v[18:21] off scope:SCOPE_DEV	
s_wait_storecnt 0x0
	;;#ASMEND
.LBB497_198:
	s_or_b32 exec_lo, exec_lo, s0
	s_add_nc_u64 s[0:1], s[14:15], s[26:27]
	s_and_b32 vcc_lo, exec_lo, s19
	s_add_nc_u64 s[0:1], s[0:1], s[12:13]
	s_cbranch_vccnz .LBB497_136
.LBB497_199:
	s_mov_b32 s2, 0
                                        ; implicit-def: $vgpr15
	s_cbranch_execz .LBB497_201
; %bb.200:
	v_mul_u32_u24_e32 v1, 48, v0
	v_mul_i32_i24_e32 v14, 0xffffffd4, v0
	s_wait_storecnt_dscnt 0x0
	s_barrier_signal -1
	s_barrier_wait -1
	ds_store_b128 v1, v[2:5]
	ds_store_b128 v1, v[6:9] offset:16
	ds_store_b128 v1, v[10:13] offset:32
	v_mad_u32_u24 v1, v0, 48, v14
	s_wait_dscnt 0x0
	s_barrier_signal -1
	s_barrier_wait -1
	ds_load_2addr_stride64_b32 v[2:3], v1 offset1:4
	ds_load_2addr_stride64_b32 v[4:5], v1 offset0:8 offset1:12
	ds_load_2addr_stride64_b32 v[6:7], v1 offset0:16 offset1:20
	;; [unrolled: 1-line block ×5, first 2 shown]
	s_or_b32 s2, s2, exec_lo
	s_wait_dscnt 0x5
	s_clause 0x1
	flat_store_b32 v0, v2, s[0:1] scale_offset
	flat_store_b32 v0, v3, s[0:1] offset:1024 scale_offset
	s_wait_dscnt 0x6
	s_clause 0x1
	flat_store_b32 v0, v4, s[0:1] offset:2048 scale_offset
	flat_store_b32 v0, v5, s[0:1] offset:3072 scale_offset
	s_wait_dscnt 0x7
	s_clause 0x1
	flat_store_b32 v0, v6, s[0:1] offset:4096 scale_offset
	;; [unrolled: 4-line block ×4, first 2 shown]
	flat_store_b32 v0, v11, s[0:1] offset:9216 scale_offset
	s_wait_dscnt 0xa
	flat_store_b32 v0, v14, s[0:1] offset:10240 scale_offset
.LBB497_201:
	s_wait_xcnt 0x0
	s_delay_alu instid0(VALU_DEP_1)
	s_and_saveexec_b32 s3, s2
	s_cbranch_execz .LBB497_203
; %bb.202:
	s_wait_dscnt 0x0
	flat_store_b32 v0, v15, s[0:1] offset:11264 scale_offset
	s_endpgm
.LBB497_203:
	s_endpgm
	.section	.rodata,"a",@progbits
	.p2align	6, 0x0
	.amdhsa_kernel _ZN7rocprim17ROCPRIM_400000_NS6detail17trampoline_kernelINS0_14default_configENS1_27scan_by_key_config_selectorIiiEEZZNS1_16scan_by_key_implILNS1_25lookback_scan_determinismE0ELb1ES3_N6thrust23THRUST_200600_302600_NS6detail15normal_iteratorINS9_10device_ptrIiEEEESE_SE_iNS9_10multipliesIiEENS9_8equal_toIiEEiEE10hipError_tPvRmT2_T3_T4_T5_mT6_T7_P12ihipStream_tbENKUlT_T0_E_clISt17integral_constantIbLb0EESZ_EEDaSU_SV_EUlSU_E_NS1_11comp_targetILNS1_3genE0ELNS1_11target_archE4294967295ELNS1_3gpuE0ELNS1_3repE0EEENS1_30default_config_static_selectorELNS0_4arch9wavefront6targetE0EEEvT1_
		.amdhsa_group_segment_fixed_size 14336
		.amdhsa_private_segment_fixed_size 0
		.amdhsa_kernarg_size 112
		.amdhsa_user_sgpr_count 2
		.amdhsa_user_sgpr_dispatch_ptr 0
		.amdhsa_user_sgpr_queue_ptr 0
		.amdhsa_user_sgpr_kernarg_segment_ptr 1
		.amdhsa_user_sgpr_dispatch_id 0
		.amdhsa_user_sgpr_kernarg_preload_length 0
		.amdhsa_user_sgpr_kernarg_preload_offset 0
		.amdhsa_user_sgpr_private_segment_size 0
		.amdhsa_wavefront_size32 1
		.amdhsa_uses_dynamic_stack 0
		.amdhsa_enable_private_segment 0
		.amdhsa_system_sgpr_workgroup_id_x 1
		.amdhsa_system_sgpr_workgroup_id_y 0
		.amdhsa_system_sgpr_workgroup_id_z 0
		.amdhsa_system_sgpr_workgroup_info 0
		.amdhsa_system_vgpr_workitem_id 0
		.amdhsa_next_free_vgpr 62
		.amdhsa_next_free_sgpr 37
		.amdhsa_named_barrier_count 0
		.amdhsa_reserve_vcc 1
		.amdhsa_float_round_mode_32 0
		.amdhsa_float_round_mode_16_64 0
		.amdhsa_float_denorm_mode_32 3
		.amdhsa_float_denorm_mode_16_64 3
		.amdhsa_fp16_overflow 0
		.amdhsa_memory_ordered 1
		.amdhsa_forward_progress 1
		.amdhsa_inst_pref_size 96
		.amdhsa_round_robin_scheduling 0
		.amdhsa_exception_fp_ieee_invalid_op 0
		.amdhsa_exception_fp_denorm_src 0
		.amdhsa_exception_fp_ieee_div_zero 0
		.amdhsa_exception_fp_ieee_overflow 0
		.amdhsa_exception_fp_ieee_underflow 0
		.amdhsa_exception_fp_ieee_inexact 0
		.amdhsa_exception_int_div_zero 0
	.end_amdhsa_kernel
	.section	.text._ZN7rocprim17ROCPRIM_400000_NS6detail17trampoline_kernelINS0_14default_configENS1_27scan_by_key_config_selectorIiiEEZZNS1_16scan_by_key_implILNS1_25lookback_scan_determinismE0ELb1ES3_N6thrust23THRUST_200600_302600_NS6detail15normal_iteratorINS9_10device_ptrIiEEEESE_SE_iNS9_10multipliesIiEENS9_8equal_toIiEEiEE10hipError_tPvRmT2_T3_T4_T5_mT6_T7_P12ihipStream_tbENKUlT_T0_E_clISt17integral_constantIbLb0EESZ_EEDaSU_SV_EUlSU_E_NS1_11comp_targetILNS1_3genE0ELNS1_11target_archE4294967295ELNS1_3gpuE0ELNS1_3repE0EEENS1_30default_config_static_selectorELNS0_4arch9wavefront6targetE0EEEvT1_,"axG",@progbits,_ZN7rocprim17ROCPRIM_400000_NS6detail17trampoline_kernelINS0_14default_configENS1_27scan_by_key_config_selectorIiiEEZZNS1_16scan_by_key_implILNS1_25lookback_scan_determinismE0ELb1ES3_N6thrust23THRUST_200600_302600_NS6detail15normal_iteratorINS9_10device_ptrIiEEEESE_SE_iNS9_10multipliesIiEENS9_8equal_toIiEEiEE10hipError_tPvRmT2_T3_T4_T5_mT6_T7_P12ihipStream_tbENKUlT_T0_E_clISt17integral_constantIbLb0EESZ_EEDaSU_SV_EUlSU_E_NS1_11comp_targetILNS1_3genE0ELNS1_11target_archE4294967295ELNS1_3gpuE0ELNS1_3repE0EEENS1_30default_config_static_selectorELNS0_4arch9wavefront6targetE0EEEvT1_,comdat
.Lfunc_end497:
	.size	_ZN7rocprim17ROCPRIM_400000_NS6detail17trampoline_kernelINS0_14default_configENS1_27scan_by_key_config_selectorIiiEEZZNS1_16scan_by_key_implILNS1_25lookback_scan_determinismE0ELb1ES3_N6thrust23THRUST_200600_302600_NS6detail15normal_iteratorINS9_10device_ptrIiEEEESE_SE_iNS9_10multipliesIiEENS9_8equal_toIiEEiEE10hipError_tPvRmT2_T3_T4_T5_mT6_T7_P12ihipStream_tbENKUlT_T0_E_clISt17integral_constantIbLb0EESZ_EEDaSU_SV_EUlSU_E_NS1_11comp_targetILNS1_3genE0ELNS1_11target_archE4294967295ELNS1_3gpuE0ELNS1_3repE0EEENS1_30default_config_static_selectorELNS0_4arch9wavefront6targetE0EEEvT1_, .Lfunc_end497-_ZN7rocprim17ROCPRIM_400000_NS6detail17trampoline_kernelINS0_14default_configENS1_27scan_by_key_config_selectorIiiEEZZNS1_16scan_by_key_implILNS1_25lookback_scan_determinismE0ELb1ES3_N6thrust23THRUST_200600_302600_NS6detail15normal_iteratorINS9_10device_ptrIiEEEESE_SE_iNS9_10multipliesIiEENS9_8equal_toIiEEiEE10hipError_tPvRmT2_T3_T4_T5_mT6_T7_P12ihipStream_tbENKUlT_T0_E_clISt17integral_constantIbLb0EESZ_EEDaSU_SV_EUlSU_E_NS1_11comp_targetILNS1_3genE0ELNS1_11target_archE4294967295ELNS1_3gpuE0ELNS1_3repE0EEENS1_30default_config_static_selectorELNS0_4arch9wavefront6targetE0EEEvT1_
                                        ; -- End function
	.set _ZN7rocprim17ROCPRIM_400000_NS6detail17trampoline_kernelINS0_14default_configENS1_27scan_by_key_config_selectorIiiEEZZNS1_16scan_by_key_implILNS1_25lookback_scan_determinismE0ELb1ES3_N6thrust23THRUST_200600_302600_NS6detail15normal_iteratorINS9_10device_ptrIiEEEESE_SE_iNS9_10multipliesIiEENS9_8equal_toIiEEiEE10hipError_tPvRmT2_T3_T4_T5_mT6_T7_P12ihipStream_tbENKUlT_T0_E_clISt17integral_constantIbLb0EESZ_EEDaSU_SV_EUlSU_E_NS1_11comp_targetILNS1_3genE0ELNS1_11target_archE4294967295ELNS1_3gpuE0ELNS1_3repE0EEENS1_30default_config_static_selectorELNS0_4arch9wavefront6targetE0EEEvT1_.num_vgpr, 62
	.set _ZN7rocprim17ROCPRIM_400000_NS6detail17trampoline_kernelINS0_14default_configENS1_27scan_by_key_config_selectorIiiEEZZNS1_16scan_by_key_implILNS1_25lookback_scan_determinismE0ELb1ES3_N6thrust23THRUST_200600_302600_NS6detail15normal_iteratorINS9_10device_ptrIiEEEESE_SE_iNS9_10multipliesIiEENS9_8equal_toIiEEiEE10hipError_tPvRmT2_T3_T4_T5_mT6_T7_P12ihipStream_tbENKUlT_T0_E_clISt17integral_constantIbLb0EESZ_EEDaSU_SV_EUlSU_E_NS1_11comp_targetILNS1_3genE0ELNS1_11target_archE4294967295ELNS1_3gpuE0ELNS1_3repE0EEENS1_30default_config_static_selectorELNS0_4arch9wavefront6targetE0EEEvT1_.num_agpr, 0
	.set _ZN7rocprim17ROCPRIM_400000_NS6detail17trampoline_kernelINS0_14default_configENS1_27scan_by_key_config_selectorIiiEEZZNS1_16scan_by_key_implILNS1_25lookback_scan_determinismE0ELb1ES3_N6thrust23THRUST_200600_302600_NS6detail15normal_iteratorINS9_10device_ptrIiEEEESE_SE_iNS9_10multipliesIiEENS9_8equal_toIiEEiEE10hipError_tPvRmT2_T3_T4_T5_mT6_T7_P12ihipStream_tbENKUlT_T0_E_clISt17integral_constantIbLb0EESZ_EEDaSU_SV_EUlSU_E_NS1_11comp_targetILNS1_3genE0ELNS1_11target_archE4294967295ELNS1_3gpuE0ELNS1_3repE0EEENS1_30default_config_static_selectorELNS0_4arch9wavefront6targetE0EEEvT1_.numbered_sgpr, 37
	.set _ZN7rocprim17ROCPRIM_400000_NS6detail17trampoline_kernelINS0_14default_configENS1_27scan_by_key_config_selectorIiiEEZZNS1_16scan_by_key_implILNS1_25lookback_scan_determinismE0ELb1ES3_N6thrust23THRUST_200600_302600_NS6detail15normal_iteratorINS9_10device_ptrIiEEEESE_SE_iNS9_10multipliesIiEENS9_8equal_toIiEEiEE10hipError_tPvRmT2_T3_T4_T5_mT6_T7_P12ihipStream_tbENKUlT_T0_E_clISt17integral_constantIbLb0EESZ_EEDaSU_SV_EUlSU_E_NS1_11comp_targetILNS1_3genE0ELNS1_11target_archE4294967295ELNS1_3gpuE0ELNS1_3repE0EEENS1_30default_config_static_selectorELNS0_4arch9wavefront6targetE0EEEvT1_.num_named_barrier, 0
	.set _ZN7rocprim17ROCPRIM_400000_NS6detail17trampoline_kernelINS0_14default_configENS1_27scan_by_key_config_selectorIiiEEZZNS1_16scan_by_key_implILNS1_25lookback_scan_determinismE0ELb1ES3_N6thrust23THRUST_200600_302600_NS6detail15normal_iteratorINS9_10device_ptrIiEEEESE_SE_iNS9_10multipliesIiEENS9_8equal_toIiEEiEE10hipError_tPvRmT2_T3_T4_T5_mT6_T7_P12ihipStream_tbENKUlT_T0_E_clISt17integral_constantIbLb0EESZ_EEDaSU_SV_EUlSU_E_NS1_11comp_targetILNS1_3genE0ELNS1_11target_archE4294967295ELNS1_3gpuE0ELNS1_3repE0EEENS1_30default_config_static_selectorELNS0_4arch9wavefront6targetE0EEEvT1_.private_seg_size, 0
	.set _ZN7rocprim17ROCPRIM_400000_NS6detail17trampoline_kernelINS0_14default_configENS1_27scan_by_key_config_selectorIiiEEZZNS1_16scan_by_key_implILNS1_25lookback_scan_determinismE0ELb1ES3_N6thrust23THRUST_200600_302600_NS6detail15normal_iteratorINS9_10device_ptrIiEEEESE_SE_iNS9_10multipliesIiEENS9_8equal_toIiEEiEE10hipError_tPvRmT2_T3_T4_T5_mT6_T7_P12ihipStream_tbENKUlT_T0_E_clISt17integral_constantIbLb0EESZ_EEDaSU_SV_EUlSU_E_NS1_11comp_targetILNS1_3genE0ELNS1_11target_archE4294967295ELNS1_3gpuE0ELNS1_3repE0EEENS1_30default_config_static_selectorELNS0_4arch9wavefront6targetE0EEEvT1_.uses_vcc, 1
	.set _ZN7rocprim17ROCPRIM_400000_NS6detail17trampoline_kernelINS0_14default_configENS1_27scan_by_key_config_selectorIiiEEZZNS1_16scan_by_key_implILNS1_25lookback_scan_determinismE0ELb1ES3_N6thrust23THRUST_200600_302600_NS6detail15normal_iteratorINS9_10device_ptrIiEEEESE_SE_iNS9_10multipliesIiEENS9_8equal_toIiEEiEE10hipError_tPvRmT2_T3_T4_T5_mT6_T7_P12ihipStream_tbENKUlT_T0_E_clISt17integral_constantIbLb0EESZ_EEDaSU_SV_EUlSU_E_NS1_11comp_targetILNS1_3genE0ELNS1_11target_archE4294967295ELNS1_3gpuE0ELNS1_3repE0EEENS1_30default_config_static_selectorELNS0_4arch9wavefront6targetE0EEEvT1_.uses_flat_scratch, 1
	.set _ZN7rocprim17ROCPRIM_400000_NS6detail17trampoline_kernelINS0_14default_configENS1_27scan_by_key_config_selectorIiiEEZZNS1_16scan_by_key_implILNS1_25lookback_scan_determinismE0ELb1ES3_N6thrust23THRUST_200600_302600_NS6detail15normal_iteratorINS9_10device_ptrIiEEEESE_SE_iNS9_10multipliesIiEENS9_8equal_toIiEEiEE10hipError_tPvRmT2_T3_T4_T5_mT6_T7_P12ihipStream_tbENKUlT_T0_E_clISt17integral_constantIbLb0EESZ_EEDaSU_SV_EUlSU_E_NS1_11comp_targetILNS1_3genE0ELNS1_11target_archE4294967295ELNS1_3gpuE0ELNS1_3repE0EEENS1_30default_config_static_selectorELNS0_4arch9wavefront6targetE0EEEvT1_.has_dyn_sized_stack, 0
	.set _ZN7rocprim17ROCPRIM_400000_NS6detail17trampoline_kernelINS0_14default_configENS1_27scan_by_key_config_selectorIiiEEZZNS1_16scan_by_key_implILNS1_25lookback_scan_determinismE0ELb1ES3_N6thrust23THRUST_200600_302600_NS6detail15normal_iteratorINS9_10device_ptrIiEEEESE_SE_iNS9_10multipliesIiEENS9_8equal_toIiEEiEE10hipError_tPvRmT2_T3_T4_T5_mT6_T7_P12ihipStream_tbENKUlT_T0_E_clISt17integral_constantIbLb0EESZ_EEDaSU_SV_EUlSU_E_NS1_11comp_targetILNS1_3genE0ELNS1_11target_archE4294967295ELNS1_3gpuE0ELNS1_3repE0EEENS1_30default_config_static_selectorELNS0_4arch9wavefront6targetE0EEEvT1_.has_recursion, 0
	.set _ZN7rocprim17ROCPRIM_400000_NS6detail17trampoline_kernelINS0_14default_configENS1_27scan_by_key_config_selectorIiiEEZZNS1_16scan_by_key_implILNS1_25lookback_scan_determinismE0ELb1ES3_N6thrust23THRUST_200600_302600_NS6detail15normal_iteratorINS9_10device_ptrIiEEEESE_SE_iNS9_10multipliesIiEENS9_8equal_toIiEEiEE10hipError_tPvRmT2_T3_T4_T5_mT6_T7_P12ihipStream_tbENKUlT_T0_E_clISt17integral_constantIbLb0EESZ_EEDaSU_SV_EUlSU_E_NS1_11comp_targetILNS1_3genE0ELNS1_11target_archE4294967295ELNS1_3gpuE0ELNS1_3repE0EEENS1_30default_config_static_selectorELNS0_4arch9wavefront6targetE0EEEvT1_.has_indirect_call, 0
	.section	.AMDGPU.csdata,"",@progbits
; Kernel info:
; codeLenInByte = 12240
; TotalNumSgprs: 39
; NumVgprs: 62
; ScratchSize: 0
; MemoryBound: 0
; FloatMode: 240
; IeeeMode: 1
; LDSByteSize: 14336 bytes/workgroup (compile time only)
; SGPRBlocks: 0
; VGPRBlocks: 3
; NumSGPRsForWavesPerEU: 39
; NumVGPRsForWavesPerEU: 62
; NamedBarCnt: 0
; Occupancy: 16
; WaveLimiterHint : 1
; COMPUTE_PGM_RSRC2:SCRATCH_EN: 0
; COMPUTE_PGM_RSRC2:USER_SGPR: 2
; COMPUTE_PGM_RSRC2:TRAP_HANDLER: 0
; COMPUTE_PGM_RSRC2:TGID_X_EN: 1
; COMPUTE_PGM_RSRC2:TGID_Y_EN: 0
; COMPUTE_PGM_RSRC2:TGID_Z_EN: 0
; COMPUTE_PGM_RSRC2:TIDIG_COMP_CNT: 0
	.section	.text._ZN7rocprim17ROCPRIM_400000_NS6detail17trampoline_kernelINS0_14default_configENS1_27scan_by_key_config_selectorIiiEEZZNS1_16scan_by_key_implILNS1_25lookback_scan_determinismE0ELb1ES3_N6thrust23THRUST_200600_302600_NS6detail15normal_iteratorINS9_10device_ptrIiEEEESE_SE_iNS9_10multipliesIiEENS9_8equal_toIiEEiEE10hipError_tPvRmT2_T3_T4_T5_mT6_T7_P12ihipStream_tbENKUlT_T0_E_clISt17integral_constantIbLb0EESZ_EEDaSU_SV_EUlSU_E_NS1_11comp_targetILNS1_3genE10ELNS1_11target_archE1201ELNS1_3gpuE5ELNS1_3repE0EEENS1_30default_config_static_selectorELNS0_4arch9wavefront6targetE0EEEvT1_,"axG",@progbits,_ZN7rocprim17ROCPRIM_400000_NS6detail17trampoline_kernelINS0_14default_configENS1_27scan_by_key_config_selectorIiiEEZZNS1_16scan_by_key_implILNS1_25lookback_scan_determinismE0ELb1ES3_N6thrust23THRUST_200600_302600_NS6detail15normal_iteratorINS9_10device_ptrIiEEEESE_SE_iNS9_10multipliesIiEENS9_8equal_toIiEEiEE10hipError_tPvRmT2_T3_T4_T5_mT6_T7_P12ihipStream_tbENKUlT_T0_E_clISt17integral_constantIbLb0EESZ_EEDaSU_SV_EUlSU_E_NS1_11comp_targetILNS1_3genE10ELNS1_11target_archE1201ELNS1_3gpuE5ELNS1_3repE0EEENS1_30default_config_static_selectorELNS0_4arch9wavefront6targetE0EEEvT1_,comdat
	.protected	_ZN7rocprim17ROCPRIM_400000_NS6detail17trampoline_kernelINS0_14default_configENS1_27scan_by_key_config_selectorIiiEEZZNS1_16scan_by_key_implILNS1_25lookback_scan_determinismE0ELb1ES3_N6thrust23THRUST_200600_302600_NS6detail15normal_iteratorINS9_10device_ptrIiEEEESE_SE_iNS9_10multipliesIiEENS9_8equal_toIiEEiEE10hipError_tPvRmT2_T3_T4_T5_mT6_T7_P12ihipStream_tbENKUlT_T0_E_clISt17integral_constantIbLb0EESZ_EEDaSU_SV_EUlSU_E_NS1_11comp_targetILNS1_3genE10ELNS1_11target_archE1201ELNS1_3gpuE5ELNS1_3repE0EEENS1_30default_config_static_selectorELNS0_4arch9wavefront6targetE0EEEvT1_ ; -- Begin function _ZN7rocprim17ROCPRIM_400000_NS6detail17trampoline_kernelINS0_14default_configENS1_27scan_by_key_config_selectorIiiEEZZNS1_16scan_by_key_implILNS1_25lookback_scan_determinismE0ELb1ES3_N6thrust23THRUST_200600_302600_NS6detail15normal_iteratorINS9_10device_ptrIiEEEESE_SE_iNS9_10multipliesIiEENS9_8equal_toIiEEiEE10hipError_tPvRmT2_T3_T4_T5_mT6_T7_P12ihipStream_tbENKUlT_T0_E_clISt17integral_constantIbLb0EESZ_EEDaSU_SV_EUlSU_E_NS1_11comp_targetILNS1_3genE10ELNS1_11target_archE1201ELNS1_3gpuE5ELNS1_3repE0EEENS1_30default_config_static_selectorELNS0_4arch9wavefront6targetE0EEEvT1_
	.globl	_ZN7rocprim17ROCPRIM_400000_NS6detail17trampoline_kernelINS0_14default_configENS1_27scan_by_key_config_selectorIiiEEZZNS1_16scan_by_key_implILNS1_25lookback_scan_determinismE0ELb1ES3_N6thrust23THRUST_200600_302600_NS6detail15normal_iteratorINS9_10device_ptrIiEEEESE_SE_iNS9_10multipliesIiEENS9_8equal_toIiEEiEE10hipError_tPvRmT2_T3_T4_T5_mT6_T7_P12ihipStream_tbENKUlT_T0_E_clISt17integral_constantIbLb0EESZ_EEDaSU_SV_EUlSU_E_NS1_11comp_targetILNS1_3genE10ELNS1_11target_archE1201ELNS1_3gpuE5ELNS1_3repE0EEENS1_30default_config_static_selectorELNS0_4arch9wavefront6targetE0EEEvT1_
	.p2align	8
	.type	_ZN7rocprim17ROCPRIM_400000_NS6detail17trampoline_kernelINS0_14default_configENS1_27scan_by_key_config_selectorIiiEEZZNS1_16scan_by_key_implILNS1_25lookback_scan_determinismE0ELb1ES3_N6thrust23THRUST_200600_302600_NS6detail15normal_iteratorINS9_10device_ptrIiEEEESE_SE_iNS9_10multipliesIiEENS9_8equal_toIiEEiEE10hipError_tPvRmT2_T3_T4_T5_mT6_T7_P12ihipStream_tbENKUlT_T0_E_clISt17integral_constantIbLb0EESZ_EEDaSU_SV_EUlSU_E_NS1_11comp_targetILNS1_3genE10ELNS1_11target_archE1201ELNS1_3gpuE5ELNS1_3repE0EEENS1_30default_config_static_selectorELNS0_4arch9wavefront6targetE0EEEvT1_,@function
_ZN7rocprim17ROCPRIM_400000_NS6detail17trampoline_kernelINS0_14default_configENS1_27scan_by_key_config_selectorIiiEEZZNS1_16scan_by_key_implILNS1_25lookback_scan_determinismE0ELb1ES3_N6thrust23THRUST_200600_302600_NS6detail15normal_iteratorINS9_10device_ptrIiEEEESE_SE_iNS9_10multipliesIiEENS9_8equal_toIiEEiEE10hipError_tPvRmT2_T3_T4_T5_mT6_T7_P12ihipStream_tbENKUlT_T0_E_clISt17integral_constantIbLb0EESZ_EEDaSU_SV_EUlSU_E_NS1_11comp_targetILNS1_3genE10ELNS1_11target_archE1201ELNS1_3gpuE5ELNS1_3repE0EEENS1_30default_config_static_selectorELNS0_4arch9wavefront6targetE0EEEvT1_: ; @_ZN7rocprim17ROCPRIM_400000_NS6detail17trampoline_kernelINS0_14default_configENS1_27scan_by_key_config_selectorIiiEEZZNS1_16scan_by_key_implILNS1_25lookback_scan_determinismE0ELb1ES3_N6thrust23THRUST_200600_302600_NS6detail15normal_iteratorINS9_10device_ptrIiEEEESE_SE_iNS9_10multipliesIiEENS9_8equal_toIiEEiEE10hipError_tPvRmT2_T3_T4_T5_mT6_T7_P12ihipStream_tbENKUlT_T0_E_clISt17integral_constantIbLb0EESZ_EEDaSU_SV_EUlSU_E_NS1_11comp_targetILNS1_3genE10ELNS1_11target_archE1201ELNS1_3gpuE5ELNS1_3repE0EEENS1_30default_config_static_selectorELNS0_4arch9wavefront6targetE0EEEvT1_
; %bb.0:
	.section	.rodata,"a",@progbits
	.p2align	6, 0x0
	.amdhsa_kernel _ZN7rocprim17ROCPRIM_400000_NS6detail17trampoline_kernelINS0_14default_configENS1_27scan_by_key_config_selectorIiiEEZZNS1_16scan_by_key_implILNS1_25lookback_scan_determinismE0ELb1ES3_N6thrust23THRUST_200600_302600_NS6detail15normal_iteratorINS9_10device_ptrIiEEEESE_SE_iNS9_10multipliesIiEENS9_8equal_toIiEEiEE10hipError_tPvRmT2_T3_T4_T5_mT6_T7_P12ihipStream_tbENKUlT_T0_E_clISt17integral_constantIbLb0EESZ_EEDaSU_SV_EUlSU_E_NS1_11comp_targetILNS1_3genE10ELNS1_11target_archE1201ELNS1_3gpuE5ELNS1_3repE0EEENS1_30default_config_static_selectorELNS0_4arch9wavefront6targetE0EEEvT1_
		.amdhsa_group_segment_fixed_size 0
		.amdhsa_private_segment_fixed_size 0
		.amdhsa_kernarg_size 112
		.amdhsa_user_sgpr_count 2
		.amdhsa_user_sgpr_dispatch_ptr 0
		.amdhsa_user_sgpr_queue_ptr 0
		.amdhsa_user_sgpr_kernarg_segment_ptr 1
		.amdhsa_user_sgpr_dispatch_id 0
		.amdhsa_user_sgpr_kernarg_preload_length 0
		.amdhsa_user_sgpr_kernarg_preload_offset 0
		.amdhsa_user_sgpr_private_segment_size 0
		.amdhsa_wavefront_size32 1
		.amdhsa_uses_dynamic_stack 0
		.amdhsa_enable_private_segment 0
		.amdhsa_system_sgpr_workgroup_id_x 1
		.amdhsa_system_sgpr_workgroup_id_y 0
		.amdhsa_system_sgpr_workgroup_id_z 0
		.amdhsa_system_sgpr_workgroup_info 0
		.amdhsa_system_vgpr_workitem_id 0
		.amdhsa_next_free_vgpr 1
		.amdhsa_next_free_sgpr 1
		.amdhsa_named_barrier_count 0
		.amdhsa_reserve_vcc 0
		.amdhsa_float_round_mode_32 0
		.amdhsa_float_round_mode_16_64 0
		.amdhsa_float_denorm_mode_32 3
		.amdhsa_float_denorm_mode_16_64 3
		.amdhsa_fp16_overflow 0
		.amdhsa_memory_ordered 1
		.amdhsa_forward_progress 1
		.amdhsa_inst_pref_size 0
		.amdhsa_round_robin_scheduling 0
		.amdhsa_exception_fp_ieee_invalid_op 0
		.amdhsa_exception_fp_denorm_src 0
		.amdhsa_exception_fp_ieee_div_zero 0
		.amdhsa_exception_fp_ieee_overflow 0
		.amdhsa_exception_fp_ieee_underflow 0
		.amdhsa_exception_fp_ieee_inexact 0
		.amdhsa_exception_int_div_zero 0
	.end_amdhsa_kernel
	.section	.text._ZN7rocprim17ROCPRIM_400000_NS6detail17trampoline_kernelINS0_14default_configENS1_27scan_by_key_config_selectorIiiEEZZNS1_16scan_by_key_implILNS1_25lookback_scan_determinismE0ELb1ES3_N6thrust23THRUST_200600_302600_NS6detail15normal_iteratorINS9_10device_ptrIiEEEESE_SE_iNS9_10multipliesIiEENS9_8equal_toIiEEiEE10hipError_tPvRmT2_T3_T4_T5_mT6_T7_P12ihipStream_tbENKUlT_T0_E_clISt17integral_constantIbLb0EESZ_EEDaSU_SV_EUlSU_E_NS1_11comp_targetILNS1_3genE10ELNS1_11target_archE1201ELNS1_3gpuE5ELNS1_3repE0EEENS1_30default_config_static_selectorELNS0_4arch9wavefront6targetE0EEEvT1_,"axG",@progbits,_ZN7rocprim17ROCPRIM_400000_NS6detail17trampoline_kernelINS0_14default_configENS1_27scan_by_key_config_selectorIiiEEZZNS1_16scan_by_key_implILNS1_25lookback_scan_determinismE0ELb1ES3_N6thrust23THRUST_200600_302600_NS6detail15normal_iteratorINS9_10device_ptrIiEEEESE_SE_iNS9_10multipliesIiEENS9_8equal_toIiEEiEE10hipError_tPvRmT2_T3_T4_T5_mT6_T7_P12ihipStream_tbENKUlT_T0_E_clISt17integral_constantIbLb0EESZ_EEDaSU_SV_EUlSU_E_NS1_11comp_targetILNS1_3genE10ELNS1_11target_archE1201ELNS1_3gpuE5ELNS1_3repE0EEENS1_30default_config_static_selectorELNS0_4arch9wavefront6targetE0EEEvT1_,comdat
.Lfunc_end498:
	.size	_ZN7rocprim17ROCPRIM_400000_NS6detail17trampoline_kernelINS0_14default_configENS1_27scan_by_key_config_selectorIiiEEZZNS1_16scan_by_key_implILNS1_25lookback_scan_determinismE0ELb1ES3_N6thrust23THRUST_200600_302600_NS6detail15normal_iteratorINS9_10device_ptrIiEEEESE_SE_iNS9_10multipliesIiEENS9_8equal_toIiEEiEE10hipError_tPvRmT2_T3_T4_T5_mT6_T7_P12ihipStream_tbENKUlT_T0_E_clISt17integral_constantIbLb0EESZ_EEDaSU_SV_EUlSU_E_NS1_11comp_targetILNS1_3genE10ELNS1_11target_archE1201ELNS1_3gpuE5ELNS1_3repE0EEENS1_30default_config_static_selectorELNS0_4arch9wavefront6targetE0EEEvT1_, .Lfunc_end498-_ZN7rocprim17ROCPRIM_400000_NS6detail17trampoline_kernelINS0_14default_configENS1_27scan_by_key_config_selectorIiiEEZZNS1_16scan_by_key_implILNS1_25lookback_scan_determinismE0ELb1ES3_N6thrust23THRUST_200600_302600_NS6detail15normal_iteratorINS9_10device_ptrIiEEEESE_SE_iNS9_10multipliesIiEENS9_8equal_toIiEEiEE10hipError_tPvRmT2_T3_T4_T5_mT6_T7_P12ihipStream_tbENKUlT_T0_E_clISt17integral_constantIbLb0EESZ_EEDaSU_SV_EUlSU_E_NS1_11comp_targetILNS1_3genE10ELNS1_11target_archE1201ELNS1_3gpuE5ELNS1_3repE0EEENS1_30default_config_static_selectorELNS0_4arch9wavefront6targetE0EEEvT1_
                                        ; -- End function
	.set _ZN7rocprim17ROCPRIM_400000_NS6detail17trampoline_kernelINS0_14default_configENS1_27scan_by_key_config_selectorIiiEEZZNS1_16scan_by_key_implILNS1_25lookback_scan_determinismE0ELb1ES3_N6thrust23THRUST_200600_302600_NS6detail15normal_iteratorINS9_10device_ptrIiEEEESE_SE_iNS9_10multipliesIiEENS9_8equal_toIiEEiEE10hipError_tPvRmT2_T3_T4_T5_mT6_T7_P12ihipStream_tbENKUlT_T0_E_clISt17integral_constantIbLb0EESZ_EEDaSU_SV_EUlSU_E_NS1_11comp_targetILNS1_3genE10ELNS1_11target_archE1201ELNS1_3gpuE5ELNS1_3repE0EEENS1_30default_config_static_selectorELNS0_4arch9wavefront6targetE0EEEvT1_.num_vgpr, 0
	.set _ZN7rocprim17ROCPRIM_400000_NS6detail17trampoline_kernelINS0_14default_configENS1_27scan_by_key_config_selectorIiiEEZZNS1_16scan_by_key_implILNS1_25lookback_scan_determinismE0ELb1ES3_N6thrust23THRUST_200600_302600_NS6detail15normal_iteratorINS9_10device_ptrIiEEEESE_SE_iNS9_10multipliesIiEENS9_8equal_toIiEEiEE10hipError_tPvRmT2_T3_T4_T5_mT6_T7_P12ihipStream_tbENKUlT_T0_E_clISt17integral_constantIbLb0EESZ_EEDaSU_SV_EUlSU_E_NS1_11comp_targetILNS1_3genE10ELNS1_11target_archE1201ELNS1_3gpuE5ELNS1_3repE0EEENS1_30default_config_static_selectorELNS0_4arch9wavefront6targetE0EEEvT1_.num_agpr, 0
	.set _ZN7rocprim17ROCPRIM_400000_NS6detail17trampoline_kernelINS0_14default_configENS1_27scan_by_key_config_selectorIiiEEZZNS1_16scan_by_key_implILNS1_25lookback_scan_determinismE0ELb1ES3_N6thrust23THRUST_200600_302600_NS6detail15normal_iteratorINS9_10device_ptrIiEEEESE_SE_iNS9_10multipliesIiEENS9_8equal_toIiEEiEE10hipError_tPvRmT2_T3_T4_T5_mT6_T7_P12ihipStream_tbENKUlT_T0_E_clISt17integral_constantIbLb0EESZ_EEDaSU_SV_EUlSU_E_NS1_11comp_targetILNS1_3genE10ELNS1_11target_archE1201ELNS1_3gpuE5ELNS1_3repE0EEENS1_30default_config_static_selectorELNS0_4arch9wavefront6targetE0EEEvT1_.numbered_sgpr, 0
	.set _ZN7rocprim17ROCPRIM_400000_NS6detail17trampoline_kernelINS0_14default_configENS1_27scan_by_key_config_selectorIiiEEZZNS1_16scan_by_key_implILNS1_25lookback_scan_determinismE0ELb1ES3_N6thrust23THRUST_200600_302600_NS6detail15normal_iteratorINS9_10device_ptrIiEEEESE_SE_iNS9_10multipliesIiEENS9_8equal_toIiEEiEE10hipError_tPvRmT2_T3_T4_T5_mT6_T7_P12ihipStream_tbENKUlT_T0_E_clISt17integral_constantIbLb0EESZ_EEDaSU_SV_EUlSU_E_NS1_11comp_targetILNS1_3genE10ELNS1_11target_archE1201ELNS1_3gpuE5ELNS1_3repE0EEENS1_30default_config_static_selectorELNS0_4arch9wavefront6targetE0EEEvT1_.num_named_barrier, 0
	.set _ZN7rocprim17ROCPRIM_400000_NS6detail17trampoline_kernelINS0_14default_configENS1_27scan_by_key_config_selectorIiiEEZZNS1_16scan_by_key_implILNS1_25lookback_scan_determinismE0ELb1ES3_N6thrust23THRUST_200600_302600_NS6detail15normal_iteratorINS9_10device_ptrIiEEEESE_SE_iNS9_10multipliesIiEENS9_8equal_toIiEEiEE10hipError_tPvRmT2_T3_T4_T5_mT6_T7_P12ihipStream_tbENKUlT_T0_E_clISt17integral_constantIbLb0EESZ_EEDaSU_SV_EUlSU_E_NS1_11comp_targetILNS1_3genE10ELNS1_11target_archE1201ELNS1_3gpuE5ELNS1_3repE0EEENS1_30default_config_static_selectorELNS0_4arch9wavefront6targetE0EEEvT1_.private_seg_size, 0
	.set _ZN7rocprim17ROCPRIM_400000_NS6detail17trampoline_kernelINS0_14default_configENS1_27scan_by_key_config_selectorIiiEEZZNS1_16scan_by_key_implILNS1_25lookback_scan_determinismE0ELb1ES3_N6thrust23THRUST_200600_302600_NS6detail15normal_iteratorINS9_10device_ptrIiEEEESE_SE_iNS9_10multipliesIiEENS9_8equal_toIiEEiEE10hipError_tPvRmT2_T3_T4_T5_mT6_T7_P12ihipStream_tbENKUlT_T0_E_clISt17integral_constantIbLb0EESZ_EEDaSU_SV_EUlSU_E_NS1_11comp_targetILNS1_3genE10ELNS1_11target_archE1201ELNS1_3gpuE5ELNS1_3repE0EEENS1_30default_config_static_selectorELNS0_4arch9wavefront6targetE0EEEvT1_.uses_vcc, 0
	.set _ZN7rocprim17ROCPRIM_400000_NS6detail17trampoline_kernelINS0_14default_configENS1_27scan_by_key_config_selectorIiiEEZZNS1_16scan_by_key_implILNS1_25lookback_scan_determinismE0ELb1ES3_N6thrust23THRUST_200600_302600_NS6detail15normal_iteratorINS9_10device_ptrIiEEEESE_SE_iNS9_10multipliesIiEENS9_8equal_toIiEEiEE10hipError_tPvRmT2_T3_T4_T5_mT6_T7_P12ihipStream_tbENKUlT_T0_E_clISt17integral_constantIbLb0EESZ_EEDaSU_SV_EUlSU_E_NS1_11comp_targetILNS1_3genE10ELNS1_11target_archE1201ELNS1_3gpuE5ELNS1_3repE0EEENS1_30default_config_static_selectorELNS0_4arch9wavefront6targetE0EEEvT1_.uses_flat_scratch, 0
	.set _ZN7rocprim17ROCPRIM_400000_NS6detail17trampoline_kernelINS0_14default_configENS1_27scan_by_key_config_selectorIiiEEZZNS1_16scan_by_key_implILNS1_25lookback_scan_determinismE0ELb1ES3_N6thrust23THRUST_200600_302600_NS6detail15normal_iteratorINS9_10device_ptrIiEEEESE_SE_iNS9_10multipliesIiEENS9_8equal_toIiEEiEE10hipError_tPvRmT2_T3_T4_T5_mT6_T7_P12ihipStream_tbENKUlT_T0_E_clISt17integral_constantIbLb0EESZ_EEDaSU_SV_EUlSU_E_NS1_11comp_targetILNS1_3genE10ELNS1_11target_archE1201ELNS1_3gpuE5ELNS1_3repE0EEENS1_30default_config_static_selectorELNS0_4arch9wavefront6targetE0EEEvT1_.has_dyn_sized_stack, 0
	.set _ZN7rocprim17ROCPRIM_400000_NS6detail17trampoline_kernelINS0_14default_configENS1_27scan_by_key_config_selectorIiiEEZZNS1_16scan_by_key_implILNS1_25lookback_scan_determinismE0ELb1ES3_N6thrust23THRUST_200600_302600_NS6detail15normal_iteratorINS9_10device_ptrIiEEEESE_SE_iNS9_10multipliesIiEENS9_8equal_toIiEEiEE10hipError_tPvRmT2_T3_T4_T5_mT6_T7_P12ihipStream_tbENKUlT_T0_E_clISt17integral_constantIbLb0EESZ_EEDaSU_SV_EUlSU_E_NS1_11comp_targetILNS1_3genE10ELNS1_11target_archE1201ELNS1_3gpuE5ELNS1_3repE0EEENS1_30default_config_static_selectorELNS0_4arch9wavefront6targetE0EEEvT1_.has_recursion, 0
	.set _ZN7rocprim17ROCPRIM_400000_NS6detail17trampoline_kernelINS0_14default_configENS1_27scan_by_key_config_selectorIiiEEZZNS1_16scan_by_key_implILNS1_25lookback_scan_determinismE0ELb1ES3_N6thrust23THRUST_200600_302600_NS6detail15normal_iteratorINS9_10device_ptrIiEEEESE_SE_iNS9_10multipliesIiEENS9_8equal_toIiEEiEE10hipError_tPvRmT2_T3_T4_T5_mT6_T7_P12ihipStream_tbENKUlT_T0_E_clISt17integral_constantIbLb0EESZ_EEDaSU_SV_EUlSU_E_NS1_11comp_targetILNS1_3genE10ELNS1_11target_archE1201ELNS1_3gpuE5ELNS1_3repE0EEENS1_30default_config_static_selectorELNS0_4arch9wavefront6targetE0EEEvT1_.has_indirect_call, 0
	.section	.AMDGPU.csdata,"",@progbits
; Kernel info:
; codeLenInByte = 0
; TotalNumSgprs: 0
; NumVgprs: 0
; ScratchSize: 0
; MemoryBound: 0
; FloatMode: 240
; IeeeMode: 1
; LDSByteSize: 0 bytes/workgroup (compile time only)
; SGPRBlocks: 0
; VGPRBlocks: 0
; NumSGPRsForWavesPerEU: 1
; NumVGPRsForWavesPerEU: 1
; NamedBarCnt: 0
; Occupancy: 16
; WaveLimiterHint : 0
; COMPUTE_PGM_RSRC2:SCRATCH_EN: 0
; COMPUTE_PGM_RSRC2:USER_SGPR: 2
; COMPUTE_PGM_RSRC2:TRAP_HANDLER: 0
; COMPUTE_PGM_RSRC2:TGID_X_EN: 1
; COMPUTE_PGM_RSRC2:TGID_Y_EN: 0
; COMPUTE_PGM_RSRC2:TGID_Z_EN: 0
; COMPUTE_PGM_RSRC2:TIDIG_COMP_CNT: 0
	.section	.text._ZN7rocprim17ROCPRIM_400000_NS6detail17trampoline_kernelINS0_14default_configENS1_27scan_by_key_config_selectorIiiEEZZNS1_16scan_by_key_implILNS1_25lookback_scan_determinismE0ELb1ES3_N6thrust23THRUST_200600_302600_NS6detail15normal_iteratorINS9_10device_ptrIiEEEESE_SE_iNS9_10multipliesIiEENS9_8equal_toIiEEiEE10hipError_tPvRmT2_T3_T4_T5_mT6_T7_P12ihipStream_tbENKUlT_T0_E_clISt17integral_constantIbLb0EESZ_EEDaSU_SV_EUlSU_E_NS1_11comp_targetILNS1_3genE5ELNS1_11target_archE942ELNS1_3gpuE9ELNS1_3repE0EEENS1_30default_config_static_selectorELNS0_4arch9wavefront6targetE0EEEvT1_,"axG",@progbits,_ZN7rocprim17ROCPRIM_400000_NS6detail17trampoline_kernelINS0_14default_configENS1_27scan_by_key_config_selectorIiiEEZZNS1_16scan_by_key_implILNS1_25lookback_scan_determinismE0ELb1ES3_N6thrust23THRUST_200600_302600_NS6detail15normal_iteratorINS9_10device_ptrIiEEEESE_SE_iNS9_10multipliesIiEENS9_8equal_toIiEEiEE10hipError_tPvRmT2_T3_T4_T5_mT6_T7_P12ihipStream_tbENKUlT_T0_E_clISt17integral_constantIbLb0EESZ_EEDaSU_SV_EUlSU_E_NS1_11comp_targetILNS1_3genE5ELNS1_11target_archE942ELNS1_3gpuE9ELNS1_3repE0EEENS1_30default_config_static_selectorELNS0_4arch9wavefront6targetE0EEEvT1_,comdat
	.protected	_ZN7rocprim17ROCPRIM_400000_NS6detail17trampoline_kernelINS0_14default_configENS1_27scan_by_key_config_selectorIiiEEZZNS1_16scan_by_key_implILNS1_25lookback_scan_determinismE0ELb1ES3_N6thrust23THRUST_200600_302600_NS6detail15normal_iteratorINS9_10device_ptrIiEEEESE_SE_iNS9_10multipliesIiEENS9_8equal_toIiEEiEE10hipError_tPvRmT2_T3_T4_T5_mT6_T7_P12ihipStream_tbENKUlT_T0_E_clISt17integral_constantIbLb0EESZ_EEDaSU_SV_EUlSU_E_NS1_11comp_targetILNS1_3genE5ELNS1_11target_archE942ELNS1_3gpuE9ELNS1_3repE0EEENS1_30default_config_static_selectorELNS0_4arch9wavefront6targetE0EEEvT1_ ; -- Begin function _ZN7rocprim17ROCPRIM_400000_NS6detail17trampoline_kernelINS0_14default_configENS1_27scan_by_key_config_selectorIiiEEZZNS1_16scan_by_key_implILNS1_25lookback_scan_determinismE0ELb1ES3_N6thrust23THRUST_200600_302600_NS6detail15normal_iteratorINS9_10device_ptrIiEEEESE_SE_iNS9_10multipliesIiEENS9_8equal_toIiEEiEE10hipError_tPvRmT2_T3_T4_T5_mT6_T7_P12ihipStream_tbENKUlT_T0_E_clISt17integral_constantIbLb0EESZ_EEDaSU_SV_EUlSU_E_NS1_11comp_targetILNS1_3genE5ELNS1_11target_archE942ELNS1_3gpuE9ELNS1_3repE0EEENS1_30default_config_static_selectorELNS0_4arch9wavefront6targetE0EEEvT1_
	.globl	_ZN7rocprim17ROCPRIM_400000_NS6detail17trampoline_kernelINS0_14default_configENS1_27scan_by_key_config_selectorIiiEEZZNS1_16scan_by_key_implILNS1_25lookback_scan_determinismE0ELb1ES3_N6thrust23THRUST_200600_302600_NS6detail15normal_iteratorINS9_10device_ptrIiEEEESE_SE_iNS9_10multipliesIiEENS9_8equal_toIiEEiEE10hipError_tPvRmT2_T3_T4_T5_mT6_T7_P12ihipStream_tbENKUlT_T0_E_clISt17integral_constantIbLb0EESZ_EEDaSU_SV_EUlSU_E_NS1_11comp_targetILNS1_3genE5ELNS1_11target_archE942ELNS1_3gpuE9ELNS1_3repE0EEENS1_30default_config_static_selectorELNS0_4arch9wavefront6targetE0EEEvT1_
	.p2align	8
	.type	_ZN7rocprim17ROCPRIM_400000_NS6detail17trampoline_kernelINS0_14default_configENS1_27scan_by_key_config_selectorIiiEEZZNS1_16scan_by_key_implILNS1_25lookback_scan_determinismE0ELb1ES3_N6thrust23THRUST_200600_302600_NS6detail15normal_iteratorINS9_10device_ptrIiEEEESE_SE_iNS9_10multipliesIiEENS9_8equal_toIiEEiEE10hipError_tPvRmT2_T3_T4_T5_mT6_T7_P12ihipStream_tbENKUlT_T0_E_clISt17integral_constantIbLb0EESZ_EEDaSU_SV_EUlSU_E_NS1_11comp_targetILNS1_3genE5ELNS1_11target_archE942ELNS1_3gpuE9ELNS1_3repE0EEENS1_30default_config_static_selectorELNS0_4arch9wavefront6targetE0EEEvT1_,@function
_ZN7rocprim17ROCPRIM_400000_NS6detail17trampoline_kernelINS0_14default_configENS1_27scan_by_key_config_selectorIiiEEZZNS1_16scan_by_key_implILNS1_25lookback_scan_determinismE0ELb1ES3_N6thrust23THRUST_200600_302600_NS6detail15normal_iteratorINS9_10device_ptrIiEEEESE_SE_iNS9_10multipliesIiEENS9_8equal_toIiEEiEE10hipError_tPvRmT2_T3_T4_T5_mT6_T7_P12ihipStream_tbENKUlT_T0_E_clISt17integral_constantIbLb0EESZ_EEDaSU_SV_EUlSU_E_NS1_11comp_targetILNS1_3genE5ELNS1_11target_archE942ELNS1_3gpuE9ELNS1_3repE0EEENS1_30default_config_static_selectorELNS0_4arch9wavefront6targetE0EEEvT1_: ; @_ZN7rocprim17ROCPRIM_400000_NS6detail17trampoline_kernelINS0_14default_configENS1_27scan_by_key_config_selectorIiiEEZZNS1_16scan_by_key_implILNS1_25lookback_scan_determinismE0ELb1ES3_N6thrust23THRUST_200600_302600_NS6detail15normal_iteratorINS9_10device_ptrIiEEEESE_SE_iNS9_10multipliesIiEENS9_8equal_toIiEEiEE10hipError_tPvRmT2_T3_T4_T5_mT6_T7_P12ihipStream_tbENKUlT_T0_E_clISt17integral_constantIbLb0EESZ_EEDaSU_SV_EUlSU_E_NS1_11comp_targetILNS1_3genE5ELNS1_11target_archE942ELNS1_3gpuE9ELNS1_3repE0EEENS1_30default_config_static_selectorELNS0_4arch9wavefront6targetE0EEEvT1_
; %bb.0:
	.section	.rodata,"a",@progbits
	.p2align	6, 0x0
	.amdhsa_kernel _ZN7rocprim17ROCPRIM_400000_NS6detail17trampoline_kernelINS0_14default_configENS1_27scan_by_key_config_selectorIiiEEZZNS1_16scan_by_key_implILNS1_25lookback_scan_determinismE0ELb1ES3_N6thrust23THRUST_200600_302600_NS6detail15normal_iteratorINS9_10device_ptrIiEEEESE_SE_iNS9_10multipliesIiEENS9_8equal_toIiEEiEE10hipError_tPvRmT2_T3_T4_T5_mT6_T7_P12ihipStream_tbENKUlT_T0_E_clISt17integral_constantIbLb0EESZ_EEDaSU_SV_EUlSU_E_NS1_11comp_targetILNS1_3genE5ELNS1_11target_archE942ELNS1_3gpuE9ELNS1_3repE0EEENS1_30default_config_static_selectorELNS0_4arch9wavefront6targetE0EEEvT1_
		.amdhsa_group_segment_fixed_size 0
		.amdhsa_private_segment_fixed_size 0
		.amdhsa_kernarg_size 112
		.amdhsa_user_sgpr_count 2
		.amdhsa_user_sgpr_dispatch_ptr 0
		.amdhsa_user_sgpr_queue_ptr 0
		.amdhsa_user_sgpr_kernarg_segment_ptr 1
		.amdhsa_user_sgpr_dispatch_id 0
		.amdhsa_user_sgpr_kernarg_preload_length 0
		.amdhsa_user_sgpr_kernarg_preload_offset 0
		.amdhsa_user_sgpr_private_segment_size 0
		.amdhsa_wavefront_size32 1
		.amdhsa_uses_dynamic_stack 0
		.amdhsa_enable_private_segment 0
		.amdhsa_system_sgpr_workgroup_id_x 1
		.amdhsa_system_sgpr_workgroup_id_y 0
		.amdhsa_system_sgpr_workgroup_id_z 0
		.amdhsa_system_sgpr_workgroup_info 0
		.amdhsa_system_vgpr_workitem_id 0
		.amdhsa_next_free_vgpr 1
		.amdhsa_next_free_sgpr 1
		.amdhsa_named_barrier_count 0
		.amdhsa_reserve_vcc 0
		.amdhsa_float_round_mode_32 0
		.amdhsa_float_round_mode_16_64 0
		.amdhsa_float_denorm_mode_32 3
		.amdhsa_float_denorm_mode_16_64 3
		.amdhsa_fp16_overflow 0
		.amdhsa_memory_ordered 1
		.amdhsa_forward_progress 1
		.amdhsa_inst_pref_size 0
		.amdhsa_round_robin_scheduling 0
		.amdhsa_exception_fp_ieee_invalid_op 0
		.amdhsa_exception_fp_denorm_src 0
		.amdhsa_exception_fp_ieee_div_zero 0
		.amdhsa_exception_fp_ieee_overflow 0
		.amdhsa_exception_fp_ieee_underflow 0
		.amdhsa_exception_fp_ieee_inexact 0
		.amdhsa_exception_int_div_zero 0
	.end_amdhsa_kernel
	.section	.text._ZN7rocprim17ROCPRIM_400000_NS6detail17trampoline_kernelINS0_14default_configENS1_27scan_by_key_config_selectorIiiEEZZNS1_16scan_by_key_implILNS1_25lookback_scan_determinismE0ELb1ES3_N6thrust23THRUST_200600_302600_NS6detail15normal_iteratorINS9_10device_ptrIiEEEESE_SE_iNS9_10multipliesIiEENS9_8equal_toIiEEiEE10hipError_tPvRmT2_T3_T4_T5_mT6_T7_P12ihipStream_tbENKUlT_T0_E_clISt17integral_constantIbLb0EESZ_EEDaSU_SV_EUlSU_E_NS1_11comp_targetILNS1_3genE5ELNS1_11target_archE942ELNS1_3gpuE9ELNS1_3repE0EEENS1_30default_config_static_selectorELNS0_4arch9wavefront6targetE0EEEvT1_,"axG",@progbits,_ZN7rocprim17ROCPRIM_400000_NS6detail17trampoline_kernelINS0_14default_configENS1_27scan_by_key_config_selectorIiiEEZZNS1_16scan_by_key_implILNS1_25lookback_scan_determinismE0ELb1ES3_N6thrust23THRUST_200600_302600_NS6detail15normal_iteratorINS9_10device_ptrIiEEEESE_SE_iNS9_10multipliesIiEENS9_8equal_toIiEEiEE10hipError_tPvRmT2_T3_T4_T5_mT6_T7_P12ihipStream_tbENKUlT_T0_E_clISt17integral_constantIbLb0EESZ_EEDaSU_SV_EUlSU_E_NS1_11comp_targetILNS1_3genE5ELNS1_11target_archE942ELNS1_3gpuE9ELNS1_3repE0EEENS1_30default_config_static_selectorELNS0_4arch9wavefront6targetE0EEEvT1_,comdat
.Lfunc_end499:
	.size	_ZN7rocprim17ROCPRIM_400000_NS6detail17trampoline_kernelINS0_14default_configENS1_27scan_by_key_config_selectorIiiEEZZNS1_16scan_by_key_implILNS1_25lookback_scan_determinismE0ELb1ES3_N6thrust23THRUST_200600_302600_NS6detail15normal_iteratorINS9_10device_ptrIiEEEESE_SE_iNS9_10multipliesIiEENS9_8equal_toIiEEiEE10hipError_tPvRmT2_T3_T4_T5_mT6_T7_P12ihipStream_tbENKUlT_T0_E_clISt17integral_constantIbLb0EESZ_EEDaSU_SV_EUlSU_E_NS1_11comp_targetILNS1_3genE5ELNS1_11target_archE942ELNS1_3gpuE9ELNS1_3repE0EEENS1_30default_config_static_selectorELNS0_4arch9wavefront6targetE0EEEvT1_, .Lfunc_end499-_ZN7rocprim17ROCPRIM_400000_NS6detail17trampoline_kernelINS0_14default_configENS1_27scan_by_key_config_selectorIiiEEZZNS1_16scan_by_key_implILNS1_25lookback_scan_determinismE0ELb1ES3_N6thrust23THRUST_200600_302600_NS6detail15normal_iteratorINS9_10device_ptrIiEEEESE_SE_iNS9_10multipliesIiEENS9_8equal_toIiEEiEE10hipError_tPvRmT2_T3_T4_T5_mT6_T7_P12ihipStream_tbENKUlT_T0_E_clISt17integral_constantIbLb0EESZ_EEDaSU_SV_EUlSU_E_NS1_11comp_targetILNS1_3genE5ELNS1_11target_archE942ELNS1_3gpuE9ELNS1_3repE0EEENS1_30default_config_static_selectorELNS0_4arch9wavefront6targetE0EEEvT1_
                                        ; -- End function
	.set _ZN7rocprim17ROCPRIM_400000_NS6detail17trampoline_kernelINS0_14default_configENS1_27scan_by_key_config_selectorIiiEEZZNS1_16scan_by_key_implILNS1_25lookback_scan_determinismE0ELb1ES3_N6thrust23THRUST_200600_302600_NS6detail15normal_iteratorINS9_10device_ptrIiEEEESE_SE_iNS9_10multipliesIiEENS9_8equal_toIiEEiEE10hipError_tPvRmT2_T3_T4_T5_mT6_T7_P12ihipStream_tbENKUlT_T0_E_clISt17integral_constantIbLb0EESZ_EEDaSU_SV_EUlSU_E_NS1_11comp_targetILNS1_3genE5ELNS1_11target_archE942ELNS1_3gpuE9ELNS1_3repE0EEENS1_30default_config_static_selectorELNS0_4arch9wavefront6targetE0EEEvT1_.num_vgpr, 0
	.set _ZN7rocprim17ROCPRIM_400000_NS6detail17trampoline_kernelINS0_14default_configENS1_27scan_by_key_config_selectorIiiEEZZNS1_16scan_by_key_implILNS1_25lookback_scan_determinismE0ELb1ES3_N6thrust23THRUST_200600_302600_NS6detail15normal_iteratorINS9_10device_ptrIiEEEESE_SE_iNS9_10multipliesIiEENS9_8equal_toIiEEiEE10hipError_tPvRmT2_T3_T4_T5_mT6_T7_P12ihipStream_tbENKUlT_T0_E_clISt17integral_constantIbLb0EESZ_EEDaSU_SV_EUlSU_E_NS1_11comp_targetILNS1_3genE5ELNS1_11target_archE942ELNS1_3gpuE9ELNS1_3repE0EEENS1_30default_config_static_selectorELNS0_4arch9wavefront6targetE0EEEvT1_.num_agpr, 0
	.set _ZN7rocprim17ROCPRIM_400000_NS6detail17trampoline_kernelINS0_14default_configENS1_27scan_by_key_config_selectorIiiEEZZNS1_16scan_by_key_implILNS1_25lookback_scan_determinismE0ELb1ES3_N6thrust23THRUST_200600_302600_NS6detail15normal_iteratorINS9_10device_ptrIiEEEESE_SE_iNS9_10multipliesIiEENS9_8equal_toIiEEiEE10hipError_tPvRmT2_T3_T4_T5_mT6_T7_P12ihipStream_tbENKUlT_T0_E_clISt17integral_constantIbLb0EESZ_EEDaSU_SV_EUlSU_E_NS1_11comp_targetILNS1_3genE5ELNS1_11target_archE942ELNS1_3gpuE9ELNS1_3repE0EEENS1_30default_config_static_selectorELNS0_4arch9wavefront6targetE0EEEvT1_.numbered_sgpr, 0
	.set _ZN7rocprim17ROCPRIM_400000_NS6detail17trampoline_kernelINS0_14default_configENS1_27scan_by_key_config_selectorIiiEEZZNS1_16scan_by_key_implILNS1_25lookback_scan_determinismE0ELb1ES3_N6thrust23THRUST_200600_302600_NS6detail15normal_iteratorINS9_10device_ptrIiEEEESE_SE_iNS9_10multipliesIiEENS9_8equal_toIiEEiEE10hipError_tPvRmT2_T3_T4_T5_mT6_T7_P12ihipStream_tbENKUlT_T0_E_clISt17integral_constantIbLb0EESZ_EEDaSU_SV_EUlSU_E_NS1_11comp_targetILNS1_3genE5ELNS1_11target_archE942ELNS1_3gpuE9ELNS1_3repE0EEENS1_30default_config_static_selectorELNS0_4arch9wavefront6targetE0EEEvT1_.num_named_barrier, 0
	.set _ZN7rocprim17ROCPRIM_400000_NS6detail17trampoline_kernelINS0_14default_configENS1_27scan_by_key_config_selectorIiiEEZZNS1_16scan_by_key_implILNS1_25lookback_scan_determinismE0ELb1ES3_N6thrust23THRUST_200600_302600_NS6detail15normal_iteratorINS9_10device_ptrIiEEEESE_SE_iNS9_10multipliesIiEENS9_8equal_toIiEEiEE10hipError_tPvRmT2_T3_T4_T5_mT6_T7_P12ihipStream_tbENKUlT_T0_E_clISt17integral_constantIbLb0EESZ_EEDaSU_SV_EUlSU_E_NS1_11comp_targetILNS1_3genE5ELNS1_11target_archE942ELNS1_3gpuE9ELNS1_3repE0EEENS1_30default_config_static_selectorELNS0_4arch9wavefront6targetE0EEEvT1_.private_seg_size, 0
	.set _ZN7rocprim17ROCPRIM_400000_NS6detail17trampoline_kernelINS0_14default_configENS1_27scan_by_key_config_selectorIiiEEZZNS1_16scan_by_key_implILNS1_25lookback_scan_determinismE0ELb1ES3_N6thrust23THRUST_200600_302600_NS6detail15normal_iteratorINS9_10device_ptrIiEEEESE_SE_iNS9_10multipliesIiEENS9_8equal_toIiEEiEE10hipError_tPvRmT2_T3_T4_T5_mT6_T7_P12ihipStream_tbENKUlT_T0_E_clISt17integral_constantIbLb0EESZ_EEDaSU_SV_EUlSU_E_NS1_11comp_targetILNS1_3genE5ELNS1_11target_archE942ELNS1_3gpuE9ELNS1_3repE0EEENS1_30default_config_static_selectorELNS0_4arch9wavefront6targetE0EEEvT1_.uses_vcc, 0
	.set _ZN7rocprim17ROCPRIM_400000_NS6detail17trampoline_kernelINS0_14default_configENS1_27scan_by_key_config_selectorIiiEEZZNS1_16scan_by_key_implILNS1_25lookback_scan_determinismE0ELb1ES3_N6thrust23THRUST_200600_302600_NS6detail15normal_iteratorINS9_10device_ptrIiEEEESE_SE_iNS9_10multipliesIiEENS9_8equal_toIiEEiEE10hipError_tPvRmT2_T3_T4_T5_mT6_T7_P12ihipStream_tbENKUlT_T0_E_clISt17integral_constantIbLb0EESZ_EEDaSU_SV_EUlSU_E_NS1_11comp_targetILNS1_3genE5ELNS1_11target_archE942ELNS1_3gpuE9ELNS1_3repE0EEENS1_30default_config_static_selectorELNS0_4arch9wavefront6targetE0EEEvT1_.uses_flat_scratch, 0
	.set _ZN7rocprim17ROCPRIM_400000_NS6detail17trampoline_kernelINS0_14default_configENS1_27scan_by_key_config_selectorIiiEEZZNS1_16scan_by_key_implILNS1_25lookback_scan_determinismE0ELb1ES3_N6thrust23THRUST_200600_302600_NS6detail15normal_iteratorINS9_10device_ptrIiEEEESE_SE_iNS9_10multipliesIiEENS9_8equal_toIiEEiEE10hipError_tPvRmT2_T3_T4_T5_mT6_T7_P12ihipStream_tbENKUlT_T0_E_clISt17integral_constantIbLb0EESZ_EEDaSU_SV_EUlSU_E_NS1_11comp_targetILNS1_3genE5ELNS1_11target_archE942ELNS1_3gpuE9ELNS1_3repE0EEENS1_30default_config_static_selectorELNS0_4arch9wavefront6targetE0EEEvT1_.has_dyn_sized_stack, 0
	.set _ZN7rocprim17ROCPRIM_400000_NS6detail17trampoline_kernelINS0_14default_configENS1_27scan_by_key_config_selectorIiiEEZZNS1_16scan_by_key_implILNS1_25lookback_scan_determinismE0ELb1ES3_N6thrust23THRUST_200600_302600_NS6detail15normal_iteratorINS9_10device_ptrIiEEEESE_SE_iNS9_10multipliesIiEENS9_8equal_toIiEEiEE10hipError_tPvRmT2_T3_T4_T5_mT6_T7_P12ihipStream_tbENKUlT_T0_E_clISt17integral_constantIbLb0EESZ_EEDaSU_SV_EUlSU_E_NS1_11comp_targetILNS1_3genE5ELNS1_11target_archE942ELNS1_3gpuE9ELNS1_3repE0EEENS1_30default_config_static_selectorELNS0_4arch9wavefront6targetE0EEEvT1_.has_recursion, 0
	.set _ZN7rocprim17ROCPRIM_400000_NS6detail17trampoline_kernelINS0_14default_configENS1_27scan_by_key_config_selectorIiiEEZZNS1_16scan_by_key_implILNS1_25lookback_scan_determinismE0ELb1ES3_N6thrust23THRUST_200600_302600_NS6detail15normal_iteratorINS9_10device_ptrIiEEEESE_SE_iNS9_10multipliesIiEENS9_8equal_toIiEEiEE10hipError_tPvRmT2_T3_T4_T5_mT6_T7_P12ihipStream_tbENKUlT_T0_E_clISt17integral_constantIbLb0EESZ_EEDaSU_SV_EUlSU_E_NS1_11comp_targetILNS1_3genE5ELNS1_11target_archE942ELNS1_3gpuE9ELNS1_3repE0EEENS1_30default_config_static_selectorELNS0_4arch9wavefront6targetE0EEEvT1_.has_indirect_call, 0
	.section	.AMDGPU.csdata,"",@progbits
; Kernel info:
; codeLenInByte = 0
; TotalNumSgprs: 0
; NumVgprs: 0
; ScratchSize: 0
; MemoryBound: 0
; FloatMode: 240
; IeeeMode: 1
; LDSByteSize: 0 bytes/workgroup (compile time only)
; SGPRBlocks: 0
; VGPRBlocks: 0
; NumSGPRsForWavesPerEU: 1
; NumVGPRsForWavesPerEU: 1
; NamedBarCnt: 0
; Occupancy: 16
; WaveLimiterHint : 0
; COMPUTE_PGM_RSRC2:SCRATCH_EN: 0
; COMPUTE_PGM_RSRC2:USER_SGPR: 2
; COMPUTE_PGM_RSRC2:TRAP_HANDLER: 0
; COMPUTE_PGM_RSRC2:TGID_X_EN: 1
; COMPUTE_PGM_RSRC2:TGID_Y_EN: 0
; COMPUTE_PGM_RSRC2:TGID_Z_EN: 0
; COMPUTE_PGM_RSRC2:TIDIG_COMP_CNT: 0
	.section	.text._ZN7rocprim17ROCPRIM_400000_NS6detail17trampoline_kernelINS0_14default_configENS1_27scan_by_key_config_selectorIiiEEZZNS1_16scan_by_key_implILNS1_25lookback_scan_determinismE0ELb1ES3_N6thrust23THRUST_200600_302600_NS6detail15normal_iteratorINS9_10device_ptrIiEEEESE_SE_iNS9_10multipliesIiEENS9_8equal_toIiEEiEE10hipError_tPvRmT2_T3_T4_T5_mT6_T7_P12ihipStream_tbENKUlT_T0_E_clISt17integral_constantIbLb0EESZ_EEDaSU_SV_EUlSU_E_NS1_11comp_targetILNS1_3genE4ELNS1_11target_archE910ELNS1_3gpuE8ELNS1_3repE0EEENS1_30default_config_static_selectorELNS0_4arch9wavefront6targetE0EEEvT1_,"axG",@progbits,_ZN7rocprim17ROCPRIM_400000_NS6detail17trampoline_kernelINS0_14default_configENS1_27scan_by_key_config_selectorIiiEEZZNS1_16scan_by_key_implILNS1_25lookback_scan_determinismE0ELb1ES3_N6thrust23THRUST_200600_302600_NS6detail15normal_iteratorINS9_10device_ptrIiEEEESE_SE_iNS9_10multipliesIiEENS9_8equal_toIiEEiEE10hipError_tPvRmT2_T3_T4_T5_mT6_T7_P12ihipStream_tbENKUlT_T0_E_clISt17integral_constantIbLb0EESZ_EEDaSU_SV_EUlSU_E_NS1_11comp_targetILNS1_3genE4ELNS1_11target_archE910ELNS1_3gpuE8ELNS1_3repE0EEENS1_30default_config_static_selectorELNS0_4arch9wavefront6targetE0EEEvT1_,comdat
	.protected	_ZN7rocprim17ROCPRIM_400000_NS6detail17trampoline_kernelINS0_14default_configENS1_27scan_by_key_config_selectorIiiEEZZNS1_16scan_by_key_implILNS1_25lookback_scan_determinismE0ELb1ES3_N6thrust23THRUST_200600_302600_NS6detail15normal_iteratorINS9_10device_ptrIiEEEESE_SE_iNS9_10multipliesIiEENS9_8equal_toIiEEiEE10hipError_tPvRmT2_T3_T4_T5_mT6_T7_P12ihipStream_tbENKUlT_T0_E_clISt17integral_constantIbLb0EESZ_EEDaSU_SV_EUlSU_E_NS1_11comp_targetILNS1_3genE4ELNS1_11target_archE910ELNS1_3gpuE8ELNS1_3repE0EEENS1_30default_config_static_selectorELNS0_4arch9wavefront6targetE0EEEvT1_ ; -- Begin function _ZN7rocprim17ROCPRIM_400000_NS6detail17trampoline_kernelINS0_14default_configENS1_27scan_by_key_config_selectorIiiEEZZNS1_16scan_by_key_implILNS1_25lookback_scan_determinismE0ELb1ES3_N6thrust23THRUST_200600_302600_NS6detail15normal_iteratorINS9_10device_ptrIiEEEESE_SE_iNS9_10multipliesIiEENS9_8equal_toIiEEiEE10hipError_tPvRmT2_T3_T4_T5_mT6_T7_P12ihipStream_tbENKUlT_T0_E_clISt17integral_constantIbLb0EESZ_EEDaSU_SV_EUlSU_E_NS1_11comp_targetILNS1_3genE4ELNS1_11target_archE910ELNS1_3gpuE8ELNS1_3repE0EEENS1_30default_config_static_selectorELNS0_4arch9wavefront6targetE0EEEvT1_
	.globl	_ZN7rocprim17ROCPRIM_400000_NS6detail17trampoline_kernelINS0_14default_configENS1_27scan_by_key_config_selectorIiiEEZZNS1_16scan_by_key_implILNS1_25lookback_scan_determinismE0ELb1ES3_N6thrust23THRUST_200600_302600_NS6detail15normal_iteratorINS9_10device_ptrIiEEEESE_SE_iNS9_10multipliesIiEENS9_8equal_toIiEEiEE10hipError_tPvRmT2_T3_T4_T5_mT6_T7_P12ihipStream_tbENKUlT_T0_E_clISt17integral_constantIbLb0EESZ_EEDaSU_SV_EUlSU_E_NS1_11comp_targetILNS1_3genE4ELNS1_11target_archE910ELNS1_3gpuE8ELNS1_3repE0EEENS1_30default_config_static_selectorELNS0_4arch9wavefront6targetE0EEEvT1_
	.p2align	8
	.type	_ZN7rocprim17ROCPRIM_400000_NS6detail17trampoline_kernelINS0_14default_configENS1_27scan_by_key_config_selectorIiiEEZZNS1_16scan_by_key_implILNS1_25lookback_scan_determinismE0ELb1ES3_N6thrust23THRUST_200600_302600_NS6detail15normal_iteratorINS9_10device_ptrIiEEEESE_SE_iNS9_10multipliesIiEENS9_8equal_toIiEEiEE10hipError_tPvRmT2_T3_T4_T5_mT6_T7_P12ihipStream_tbENKUlT_T0_E_clISt17integral_constantIbLb0EESZ_EEDaSU_SV_EUlSU_E_NS1_11comp_targetILNS1_3genE4ELNS1_11target_archE910ELNS1_3gpuE8ELNS1_3repE0EEENS1_30default_config_static_selectorELNS0_4arch9wavefront6targetE0EEEvT1_,@function
_ZN7rocprim17ROCPRIM_400000_NS6detail17trampoline_kernelINS0_14default_configENS1_27scan_by_key_config_selectorIiiEEZZNS1_16scan_by_key_implILNS1_25lookback_scan_determinismE0ELb1ES3_N6thrust23THRUST_200600_302600_NS6detail15normal_iteratorINS9_10device_ptrIiEEEESE_SE_iNS9_10multipliesIiEENS9_8equal_toIiEEiEE10hipError_tPvRmT2_T3_T4_T5_mT6_T7_P12ihipStream_tbENKUlT_T0_E_clISt17integral_constantIbLb0EESZ_EEDaSU_SV_EUlSU_E_NS1_11comp_targetILNS1_3genE4ELNS1_11target_archE910ELNS1_3gpuE8ELNS1_3repE0EEENS1_30default_config_static_selectorELNS0_4arch9wavefront6targetE0EEEvT1_: ; @_ZN7rocprim17ROCPRIM_400000_NS6detail17trampoline_kernelINS0_14default_configENS1_27scan_by_key_config_selectorIiiEEZZNS1_16scan_by_key_implILNS1_25lookback_scan_determinismE0ELb1ES3_N6thrust23THRUST_200600_302600_NS6detail15normal_iteratorINS9_10device_ptrIiEEEESE_SE_iNS9_10multipliesIiEENS9_8equal_toIiEEiEE10hipError_tPvRmT2_T3_T4_T5_mT6_T7_P12ihipStream_tbENKUlT_T0_E_clISt17integral_constantIbLb0EESZ_EEDaSU_SV_EUlSU_E_NS1_11comp_targetILNS1_3genE4ELNS1_11target_archE910ELNS1_3gpuE8ELNS1_3repE0EEENS1_30default_config_static_selectorELNS0_4arch9wavefront6targetE0EEEvT1_
; %bb.0:
	.section	.rodata,"a",@progbits
	.p2align	6, 0x0
	.amdhsa_kernel _ZN7rocprim17ROCPRIM_400000_NS6detail17trampoline_kernelINS0_14default_configENS1_27scan_by_key_config_selectorIiiEEZZNS1_16scan_by_key_implILNS1_25lookback_scan_determinismE0ELb1ES3_N6thrust23THRUST_200600_302600_NS6detail15normal_iteratorINS9_10device_ptrIiEEEESE_SE_iNS9_10multipliesIiEENS9_8equal_toIiEEiEE10hipError_tPvRmT2_T3_T4_T5_mT6_T7_P12ihipStream_tbENKUlT_T0_E_clISt17integral_constantIbLb0EESZ_EEDaSU_SV_EUlSU_E_NS1_11comp_targetILNS1_3genE4ELNS1_11target_archE910ELNS1_3gpuE8ELNS1_3repE0EEENS1_30default_config_static_selectorELNS0_4arch9wavefront6targetE0EEEvT1_
		.amdhsa_group_segment_fixed_size 0
		.amdhsa_private_segment_fixed_size 0
		.amdhsa_kernarg_size 112
		.amdhsa_user_sgpr_count 2
		.amdhsa_user_sgpr_dispatch_ptr 0
		.amdhsa_user_sgpr_queue_ptr 0
		.amdhsa_user_sgpr_kernarg_segment_ptr 1
		.amdhsa_user_sgpr_dispatch_id 0
		.amdhsa_user_sgpr_kernarg_preload_length 0
		.amdhsa_user_sgpr_kernarg_preload_offset 0
		.amdhsa_user_sgpr_private_segment_size 0
		.amdhsa_wavefront_size32 1
		.amdhsa_uses_dynamic_stack 0
		.amdhsa_enable_private_segment 0
		.amdhsa_system_sgpr_workgroup_id_x 1
		.amdhsa_system_sgpr_workgroup_id_y 0
		.amdhsa_system_sgpr_workgroup_id_z 0
		.amdhsa_system_sgpr_workgroup_info 0
		.amdhsa_system_vgpr_workitem_id 0
		.amdhsa_next_free_vgpr 1
		.amdhsa_next_free_sgpr 1
		.amdhsa_named_barrier_count 0
		.amdhsa_reserve_vcc 0
		.amdhsa_float_round_mode_32 0
		.amdhsa_float_round_mode_16_64 0
		.amdhsa_float_denorm_mode_32 3
		.amdhsa_float_denorm_mode_16_64 3
		.amdhsa_fp16_overflow 0
		.amdhsa_memory_ordered 1
		.amdhsa_forward_progress 1
		.amdhsa_inst_pref_size 0
		.amdhsa_round_robin_scheduling 0
		.amdhsa_exception_fp_ieee_invalid_op 0
		.amdhsa_exception_fp_denorm_src 0
		.amdhsa_exception_fp_ieee_div_zero 0
		.amdhsa_exception_fp_ieee_overflow 0
		.amdhsa_exception_fp_ieee_underflow 0
		.amdhsa_exception_fp_ieee_inexact 0
		.amdhsa_exception_int_div_zero 0
	.end_amdhsa_kernel
	.section	.text._ZN7rocprim17ROCPRIM_400000_NS6detail17trampoline_kernelINS0_14default_configENS1_27scan_by_key_config_selectorIiiEEZZNS1_16scan_by_key_implILNS1_25lookback_scan_determinismE0ELb1ES3_N6thrust23THRUST_200600_302600_NS6detail15normal_iteratorINS9_10device_ptrIiEEEESE_SE_iNS9_10multipliesIiEENS9_8equal_toIiEEiEE10hipError_tPvRmT2_T3_T4_T5_mT6_T7_P12ihipStream_tbENKUlT_T0_E_clISt17integral_constantIbLb0EESZ_EEDaSU_SV_EUlSU_E_NS1_11comp_targetILNS1_3genE4ELNS1_11target_archE910ELNS1_3gpuE8ELNS1_3repE0EEENS1_30default_config_static_selectorELNS0_4arch9wavefront6targetE0EEEvT1_,"axG",@progbits,_ZN7rocprim17ROCPRIM_400000_NS6detail17trampoline_kernelINS0_14default_configENS1_27scan_by_key_config_selectorIiiEEZZNS1_16scan_by_key_implILNS1_25lookback_scan_determinismE0ELb1ES3_N6thrust23THRUST_200600_302600_NS6detail15normal_iteratorINS9_10device_ptrIiEEEESE_SE_iNS9_10multipliesIiEENS9_8equal_toIiEEiEE10hipError_tPvRmT2_T3_T4_T5_mT6_T7_P12ihipStream_tbENKUlT_T0_E_clISt17integral_constantIbLb0EESZ_EEDaSU_SV_EUlSU_E_NS1_11comp_targetILNS1_3genE4ELNS1_11target_archE910ELNS1_3gpuE8ELNS1_3repE0EEENS1_30default_config_static_selectorELNS0_4arch9wavefront6targetE0EEEvT1_,comdat
.Lfunc_end500:
	.size	_ZN7rocprim17ROCPRIM_400000_NS6detail17trampoline_kernelINS0_14default_configENS1_27scan_by_key_config_selectorIiiEEZZNS1_16scan_by_key_implILNS1_25lookback_scan_determinismE0ELb1ES3_N6thrust23THRUST_200600_302600_NS6detail15normal_iteratorINS9_10device_ptrIiEEEESE_SE_iNS9_10multipliesIiEENS9_8equal_toIiEEiEE10hipError_tPvRmT2_T3_T4_T5_mT6_T7_P12ihipStream_tbENKUlT_T0_E_clISt17integral_constantIbLb0EESZ_EEDaSU_SV_EUlSU_E_NS1_11comp_targetILNS1_3genE4ELNS1_11target_archE910ELNS1_3gpuE8ELNS1_3repE0EEENS1_30default_config_static_selectorELNS0_4arch9wavefront6targetE0EEEvT1_, .Lfunc_end500-_ZN7rocprim17ROCPRIM_400000_NS6detail17trampoline_kernelINS0_14default_configENS1_27scan_by_key_config_selectorIiiEEZZNS1_16scan_by_key_implILNS1_25lookback_scan_determinismE0ELb1ES3_N6thrust23THRUST_200600_302600_NS6detail15normal_iteratorINS9_10device_ptrIiEEEESE_SE_iNS9_10multipliesIiEENS9_8equal_toIiEEiEE10hipError_tPvRmT2_T3_T4_T5_mT6_T7_P12ihipStream_tbENKUlT_T0_E_clISt17integral_constantIbLb0EESZ_EEDaSU_SV_EUlSU_E_NS1_11comp_targetILNS1_3genE4ELNS1_11target_archE910ELNS1_3gpuE8ELNS1_3repE0EEENS1_30default_config_static_selectorELNS0_4arch9wavefront6targetE0EEEvT1_
                                        ; -- End function
	.set _ZN7rocprim17ROCPRIM_400000_NS6detail17trampoline_kernelINS0_14default_configENS1_27scan_by_key_config_selectorIiiEEZZNS1_16scan_by_key_implILNS1_25lookback_scan_determinismE0ELb1ES3_N6thrust23THRUST_200600_302600_NS6detail15normal_iteratorINS9_10device_ptrIiEEEESE_SE_iNS9_10multipliesIiEENS9_8equal_toIiEEiEE10hipError_tPvRmT2_T3_T4_T5_mT6_T7_P12ihipStream_tbENKUlT_T0_E_clISt17integral_constantIbLb0EESZ_EEDaSU_SV_EUlSU_E_NS1_11comp_targetILNS1_3genE4ELNS1_11target_archE910ELNS1_3gpuE8ELNS1_3repE0EEENS1_30default_config_static_selectorELNS0_4arch9wavefront6targetE0EEEvT1_.num_vgpr, 0
	.set _ZN7rocprim17ROCPRIM_400000_NS6detail17trampoline_kernelINS0_14default_configENS1_27scan_by_key_config_selectorIiiEEZZNS1_16scan_by_key_implILNS1_25lookback_scan_determinismE0ELb1ES3_N6thrust23THRUST_200600_302600_NS6detail15normal_iteratorINS9_10device_ptrIiEEEESE_SE_iNS9_10multipliesIiEENS9_8equal_toIiEEiEE10hipError_tPvRmT2_T3_T4_T5_mT6_T7_P12ihipStream_tbENKUlT_T0_E_clISt17integral_constantIbLb0EESZ_EEDaSU_SV_EUlSU_E_NS1_11comp_targetILNS1_3genE4ELNS1_11target_archE910ELNS1_3gpuE8ELNS1_3repE0EEENS1_30default_config_static_selectorELNS0_4arch9wavefront6targetE0EEEvT1_.num_agpr, 0
	.set _ZN7rocprim17ROCPRIM_400000_NS6detail17trampoline_kernelINS0_14default_configENS1_27scan_by_key_config_selectorIiiEEZZNS1_16scan_by_key_implILNS1_25lookback_scan_determinismE0ELb1ES3_N6thrust23THRUST_200600_302600_NS6detail15normal_iteratorINS9_10device_ptrIiEEEESE_SE_iNS9_10multipliesIiEENS9_8equal_toIiEEiEE10hipError_tPvRmT2_T3_T4_T5_mT6_T7_P12ihipStream_tbENKUlT_T0_E_clISt17integral_constantIbLb0EESZ_EEDaSU_SV_EUlSU_E_NS1_11comp_targetILNS1_3genE4ELNS1_11target_archE910ELNS1_3gpuE8ELNS1_3repE0EEENS1_30default_config_static_selectorELNS0_4arch9wavefront6targetE0EEEvT1_.numbered_sgpr, 0
	.set _ZN7rocprim17ROCPRIM_400000_NS6detail17trampoline_kernelINS0_14default_configENS1_27scan_by_key_config_selectorIiiEEZZNS1_16scan_by_key_implILNS1_25lookback_scan_determinismE0ELb1ES3_N6thrust23THRUST_200600_302600_NS6detail15normal_iteratorINS9_10device_ptrIiEEEESE_SE_iNS9_10multipliesIiEENS9_8equal_toIiEEiEE10hipError_tPvRmT2_T3_T4_T5_mT6_T7_P12ihipStream_tbENKUlT_T0_E_clISt17integral_constantIbLb0EESZ_EEDaSU_SV_EUlSU_E_NS1_11comp_targetILNS1_3genE4ELNS1_11target_archE910ELNS1_3gpuE8ELNS1_3repE0EEENS1_30default_config_static_selectorELNS0_4arch9wavefront6targetE0EEEvT1_.num_named_barrier, 0
	.set _ZN7rocprim17ROCPRIM_400000_NS6detail17trampoline_kernelINS0_14default_configENS1_27scan_by_key_config_selectorIiiEEZZNS1_16scan_by_key_implILNS1_25lookback_scan_determinismE0ELb1ES3_N6thrust23THRUST_200600_302600_NS6detail15normal_iteratorINS9_10device_ptrIiEEEESE_SE_iNS9_10multipliesIiEENS9_8equal_toIiEEiEE10hipError_tPvRmT2_T3_T4_T5_mT6_T7_P12ihipStream_tbENKUlT_T0_E_clISt17integral_constantIbLb0EESZ_EEDaSU_SV_EUlSU_E_NS1_11comp_targetILNS1_3genE4ELNS1_11target_archE910ELNS1_3gpuE8ELNS1_3repE0EEENS1_30default_config_static_selectorELNS0_4arch9wavefront6targetE0EEEvT1_.private_seg_size, 0
	.set _ZN7rocprim17ROCPRIM_400000_NS6detail17trampoline_kernelINS0_14default_configENS1_27scan_by_key_config_selectorIiiEEZZNS1_16scan_by_key_implILNS1_25lookback_scan_determinismE0ELb1ES3_N6thrust23THRUST_200600_302600_NS6detail15normal_iteratorINS9_10device_ptrIiEEEESE_SE_iNS9_10multipliesIiEENS9_8equal_toIiEEiEE10hipError_tPvRmT2_T3_T4_T5_mT6_T7_P12ihipStream_tbENKUlT_T0_E_clISt17integral_constantIbLb0EESZ_EEDaSU_SV_EUlSU_E_NS1_11comp_targetILNS1_3genE4ELNS1_11target_archE910ELNS1_3gpuE8ELNS1_3repE0EEENS1_30default_config_static_selectorELNS0_4arch9wavefront6targetE0EEEvT1_.uses_vcc, 0
	.set _ZN7rocprim17ROCPRIM_400000_NS6detail17trampoline_kernelINS0_14default_configENS1_27scan_by_key_config_selectorIiiEEZZNS1_16scan_by_key_implILNS1_25lookback_scan_determinismE0ELb1ES3_N6thrust23THRUST_200600_302600_NS6detail15normal_iteratorINS9_10device_ptrIiEEEESE_SE_iNS9_10multipliesIiEENS9_8equal_toIiEEiEE10hipError_tPvRmT2_T3_T4_T5_mT6_T7_P12ihipStream_tbENKUlT_T0_E_clISt17integral_constantIbLb0EESZ_EEDaSU_SV_EUlSU_E_NS1_11comp_targetILNS1_3genE4ELNS1_11target_archE910ELNS1_3gpuE8ELNS1_3repE0EEENS1_30default_config_static_selectorELNS0_4arch9wavefront6targetE0EEEvT1_.uses_flat_scratch, 0
	.set _ZN7rocprim17ROCPRIM_400000_NS6detail17trampoline_kernelINS0_14default_configENS1_27scan_by_key_config_selectorIiiEEZZNS1_16scan_by_key_implILNS1_25lookback_scan_determinismE0ELb1ES3_N6thrust23THRUST_200600_302600_NS6detail15normal_iteratorINS9_10device_ptrIiEEEESE_SE_iNS9_10multipliesIiEENS9_8equal_toIiEEiEE10hipError_tPvRmT2_T3_T4_T5_mT6_T7_P12ihipStream_tbENKUlT_T0_E_clISt17integral_constantIbLb0EESZ_EEDaSU_SV_EUlSU_E_NS1_11comp_targetILNS1_3genE4ELNS1_11target_archE910ELNS1_3gpuE8ELNS1_3repE0EEENS1_30default_config_static_selectorELNS0_4arch9wavefront6targetE0EEEvT1_.has_dyn_sized_stack, 0
	.set _ZN7rocprim17ROCPRIM_400000_NS6detail17trampoline_kernelINS0_14default_configENS1_27scan_by_key_config_selectorIiiEEZZNS1_16scan_by_key_implILNS1_25lookback_scan_determinismE0ELb1ES3_N6thrust23THRUST_200600_302600_NS6detail15normal_iteratorINS9_10device_ptrIiEEEESE_SE_iNS9_10multipliesIiEENS9_8equal_toIiEEiEE10hipError_tPvRmT2_T3_T4_T5_mT6_T7_P12ihipStream_tbENKUlT_T0_E_clISt17integral_constantIbLb0EESZ_EEDaSU_SV_EUlSU_E_NS1_11comp_targetILNS1_3genE4ELNS1_11target_archE910ELNS1_3gpuE8ELNS1_3repE0EEENS1_30default_config_static_selectorELNS0_4arch9wavefront6targetE0EEEvT1_.has_recursion, 0
	.set _ZN7rocprim17ROCPRIM_400000_NS6detail17trampoline_kernelINS0_14default_configENS1_27scan_by_key_config_selectorIiiEEZZNS1_16scan_by_key_implILNS1_25lookback_scan_determinismE0ELb1ES3_N6thrust23THRUST_200600_302600_NS6detail15normal_iteratorINS9_10device_ptrIiEEEESE_SE_iNS9_10multipliesIiEENS9_8equal_toIiEEiEE10hipError_tPvRmT2_T3_T4_T5_mT6_T7_P12ihipStream_tbENKUlT_T0_E_clISt17integral_constantIbLb0EESZ_EEDaSU_SV_EUlSU_E_NS1_11comp_targetILNS1_3genE4ELNS1_11target_archE910ELNS1_3gpuE8ELNS1_3repE0EEENS1_30default_config_static_selectorELNS0_4arch9wavefront6targetE0EEEvT1_.has_indirect_call, 0
	.section	.AMDGPU.csdata,"",@progbits
; Kernel info:
; codeLenInByte = 0
; TotalNumSgprs: 0
; NumVgprs: 0
; ScratchSize: 0
; MemoryBound: 0
; FloatMode: 240
; IeeeMode: 1
; LDSByteSize: 0 bytes/workgroup (compile time only)
; SGPRBlocks: 0
; VGPRBlocks: 0
; NumSGPRsForWavesPerEU: 1
; NumVGPRsForWavesPerEU: 1
; NamedBarCnt: 0
; Occupancy: 16
; WaveLimiterHint : 0
; COMPUTE_PGM_RSRC2:SCRATCH_EN: 0
; COMPUTE_PGM_RSRC2:USER_SGPR: 2
; COMPUTE_PGM_RSRC2:TRAP_HANDLER: 0
; COMPUTE_PGM_RSRC2:TGID_X_EN: 1
; COMPUTE_PGM_RSRC2:TGID_Y_EN: 0
; COMPUTE_PGM_RSRC2:TGID_Z_EN: 0
; COMPUTE_PGM_RSRC2:TIDIG_COMP_CNT: 0
	.section	.text._ZN7rocprim17ROCPRIM_400000_NS6detail17trampoline_kernelINS0_14default_configENS1_27scan_by_key_config_selectorIiiEEZZNS1_16scan_by_key_implILNS1_25lookback_scan_determinismE0ELb1ES3_N6thrust23THRUST_200600_302600_NS6detail15normal_iteratorINS9_10device_ptrIiEEEESE_SE_iNS9_10multipliesIiEENS9_8equal_toIiEEiEE10hipError_tPvRmT2_T3_T4_T5_mT6_T7_P12ihipStream_tbENKUlT_T0_E_clISt17integral_constantIbLb0EESZ_EEDaSU_SV_EUlSU_E_NS1_11comp_targetILNS1_3genE3ELNS1_11target_archE908ELNS1_3gpuE7ELNS1_3repE0EEENS1_30default_config_static_selectorELNS0_4arch9wavefront6targetE0EEEvT1_,"axG",@progbits,_ZN7rocprim17ROCPRIM_400000_NS6detail17trampoline_kernelINS0_14default_configENS1_27scan_by_key_config_selectorIiiEEZZNS1_16scan_by_key_implILNS1_25lookback_scan_determinismE0ELb1ES3_N6thrust23THRUST_200600_302600_NS6detail15normal_iteratorINS9_10device_ptrIiEEEESE_SE_iNS9_10multipliesIiEENS9_8equal_toIiEEiEE10hipError_tPvRmT2_T3_T4_T5_mT6_T7_P12ihipStream_tbENKUlT_T0_E_clISt17integral_constantIbLb0EESZ_EEDaSU_SV_EUlSU_E_NS1_11comp_targetILNS1_3genE3ELNS1_11target_archE908ELNS1_3gpuE7ELNS1_3repE0EEENS1_30default_config_static_selectorELNS0_4arch9wavefront6targetE0EEEvT1_,comdat
	.protected	_ZN7rocprim17ROCPRIM_400000_NS6detail17trampoline_kernelINS0_14default_configENS1_27scan_by_key_config_selectorIiiEEZZNS1_16scan_by_key_implILNS1_25lookback_scan_determinismE0ELb1ES3_N6thrust23THRUST_200600_302600_NS6detail15normal_iteratorINS9_10device_ptrIiEEEESE_SE_iNS9_10multipliesIiEENS9_8equal_toIiEEiEE10hipError_tPvRmT2_T3_T4_T5_mT6_T7_P12ihipStream_tbENKUlT_T0_E_clISt17integral_constantIbLb0EESZ_EEDaSU_SV_EUlSU_E_NS1_11comp_targetILNS1_3genE3ELNS1_11target_archE908ELNS1_3gpuE7ELNS1_3repE0EEENS1_30default_config_static_selectorELNS0_4arch9wavefront6targetE0EEEvT1_ ; -- Begin function _ZN7rocprim17ROCPRIM_400000_NS6detail17trampoline_kernelINS0_14default_configENS1_27scan_by_key_config_selectorIiiEEZZNS1_16scan_by_key_implILNS1_25lookback_scan_determinismE0ELb1ES3_N6thrust23THRUST_200600_302600_NS6detail15normal_iteratorINS9_10device_ptrIiEEEESE_SE_iNS9_10multipliesIiEENS9_8equal_toIiEEiEE10hipError_tPvRmT2_T3_T4_T5_mT6_T7_P12ihipStream_tbENKUlT_T0_E_clISt17integral_constantIbLb0EESZ_EEDaSU_SV_EUlSU_E_NS1_11comp_targetILNS1_3genE3ELNS1_11target_archE908ELNS1_3gpuE7ELNS1_3repE0EEENS1_30default_config_static_selectorELNS0_4arch9wavefront6targetE0EEEvT1_
	.globl	_ZN7rocprim17ROCPRIM_400000_NS6detail17trampoline_kernelINS0_14default_configENS1_27scan_by_key_config_selectorIiiEEZZNS1_16scan_by_key_implILNS1_25lookback_scan_determinismE0ELb1ES3_N6thrust23THRUST_200600_302600_NS6detail15normal_iteratorINS9_10device_ptrIiEEEESE_SE_iNS9_10multipliesIiEENS9_8equal_toIiEEiEE10hipError_tPvRmT2_T3_T4_T5_mT6_T7_P12ihipStream_tbENKUlT_T0_E_clISt17integral_constantIbLb0EESZ_EEDaSU_SV_EUlSU_E_NS1_11comp_targetILNS1_3genE3ELNS1_11target_archE908ELNS1_3gpuE7ELNS1_3repE0EEENS1_30default_config_static_selectorELNS0_4arch9wavefront6targetE0EEEvT1_
	.p2align	8
	.type	_ZN7rocprim17ROCPRIM_400000_NS6detail17trampoline_kernelINS0_14default_configENS1_27scan_by_key_config_selectorIiiEEZZNS1_16scan_by_key_implILNS1_25lookback_scan_determinismE0ELb1ES3_N6thrust23THRUST_200600_302600_NS6detail15normal_iteratorINS9_10device_ptrIiEEEESE_SE_iNS9_10multipliesIiEENS9_8equal_toIiEEiEE10hipError_tPvRmT2_T3_T4_T5_mT6_T7_P12ihipStream_tbENKUlT_T0_E_clISt17integral_constantIbLb0EESZ_EEDaSU_SV_EUlSU_E_NS1_11comp_targetILNS1_3genE3ELNS1_11target_archE908ELNS1_3gpuE7ELNS1_3repE0EEENS1_30default_config_static_selectorELNS0_4arch9wavefront6targetE0EEEvT1_,@function
_ZN7rocprim17ROCPRIM_400000_NS6detail17trampoline_kernelINS0_14default_configENS1_27scan_by_key_config_selectorIiiEEZZNS1_16scan_by_key_implILNS1_25lookback_scan_determinismE0ELb1ES3_N6thrust23THRUST_200600_302600_NS6detail15normal_iteratorINS9_10device_ptrIiEEEESE_SE_iNS9_10multipliesIiEENS9_8equal_toIiEEiEE10hipError_tPvRmT2_T3_T4_T5_mT6_T7_P12ihipStream_tbENKUlT_T0_E_clISt17integral_constantIbLb0EESZ_EEDaSU_SV_EUlSU_E_NS1_11comp_targetILNS1_3genE3ELNS1_11target_archE908ELNS1_3gpuE7ELNS1_3repE0EEENS1_30default_config_static_selectorELNS0_4arch9wavefront6targetE0EEEvT1_: ; @_ZN7rocprim17ROCPRIM_400000_NS6detail17trampoline_kernelINS0_14default_configENS1_27scan_by_key_config_selectorIiiEEZZNS1_16scan_by_key_implILNS1_25lookback_scan_determinismE0ELb1ES3_N6thrust23THRUST_200600_302600_NS6detail15normal_iteratorINS9_10device_ptrIiEEEESE_SE_iNS9_10multipliesIiEENS9_8equal_toIiEEiEE10hipError_tPvRmT2_T3_T4_T5_mT6_T7_P12ihipStream_tbENKUlT_T0_E_clISt17integral_constantIbLb0EESZ_EEDaSU_SV_EUlSU_E_NS1_11comp_targetILNS1_3genE3ELNS1_11target_archE908ELNS1_3gpuE7ELNS1_3repE0EEENS1_30default_config_static_selectorELNS0_4arch9wavefront6targetE0EEEvT1_
; %bb.0:
	.section	.rodata,"a",@progbits
	.p2align	6, 0x0
	.amdhsa_kernel _ZN7rocprim17ROCPRIM_400000_NS6detail17trampoline_kernelINS0_14default_configENS1_27scan_by_key_config_selectorIiiEEZZNS1_16scan_by_key_implILNS1_25lookback_scan_determinismE0ELb1ES3_N6thrust23THRUST_200600_302600_NS6detail15normal_iteratorINS9_10device_ptrIiEEEESE_SE_iNS9_10multipliesIiEENS9_8equal_toIiEEiEE10hipError_tPvRmT2_T3_T4_T5_mT6_T7_P12ihipStream_tbENKUlT_T0_E_clISt17integral_constantIbLb0EESZ_EEDaSU_SV_EUlSU_E_NS1_11comp_targetILNS1_3genE3ELNS1_11target_archE908ELNS1_3gpuE7ELNS1_3repE0EEENS1_30default_config_static_selectorELNS0_4arch9wavefront6targetE0EEEvT1_
		.amdhsa_group_segment_fixed_size 0
		.amdhsa_private_segment_fixed_size 0
		.amdhsa_kernarg_size 112
		.amdhsa_user_sgpr_count 2
		.amdhsa_user_sgpr_dispatch_ptr 0
		.amdhsa_user_sgpr_queue_ptr 0
		.amdhsa_user_sgpr_kernarg_segment_ptr 1
		.amdhsa_user_sgpr_dispatch_id 0
		.amdhsa_user_sgpr_kernarg_preload_length 0
		.amdhsa_user_sgpr_kernarg_preload_offset 0
		.amdhsa_user_sgpr_private_segment_size 0
		.amdhsa_wavefront_size32 1
		.amdhsa_uses_dynamic_stack 0
		.amdhsa_enable_private_segment 0
		.amdhsa_system_sgpr_workgroup_id_x 1
		.amdhsa_system_sgpr_workgroup_id_y 0
		.amdhsa_system_sgpr_workgroup_id_z 0
		.amdhsa_system_sgpr_workgroup_info 0
		.amdhsa_system_vgpr_workitem_id 0
		.amdhsa_next_free_vgpr 1
		.amdhsa_next_free_sgpr 1
		.amdhsa_named_barrier_count 0
		.amdhsa_reserve_vcc 0
		.amdhsa_float_round_mode_32 0
		.amdhsa_float_round_mode_16_64 0
		.amdhsa_float_denorm_mode_32 3
		.amdhsa_float_denorm_mode_16_64 3
		.amdhsa_fp16_overflow 0
		.amdhsa_memory_ordered 1
		.amdhsa_forward_progress 1
		.amdhsa_inst_pref_size 0
		.amdhsa_round_robin_scheduling 0
		.amdhsa_exception_fp_ieee_invalid_op 0
		.amdhsa_exception_fp_denorm_src 0
		.amdhsa_exception_fp_ieee_div_zero 0
		.amdhsa_exception_fp_ieee_overflow 0
		.amdhsa_exception_fp_ieee_underflow 0
		.amdhsa_exception_fp_ieee_inexact 0
		.amdhsa_exception_int_div_zero 0
	.end_amdhsa_kernel
	.section	.text._ZN7rocprim17ROCPRIM_400000_NS6detail17trampoline_kernelINS0_14default_configENS1_27scan_by_key_config_selectorIiiEEZZNS1_16scan_by_key_implILNS1_25lookback_scan_determinismE0ELb1ES3_N6thrust23THRUST_200600_302600_NS6detail15normal_iteratorINS9_10device_ptrIiEEEESE_SE_iNS9_10multipliesIiEENS9_8equal_toIiEEiEE10hipError_tPvRmT2_T3_T4_T5_mT6_T7_P12ihipStream_tbENKUlT_T0_E_clISt17integral_constantIbLb0EESZ_EEDaSU_SV_EUlSU_E_NS1_11comp_targetILNS1_3genE3ELNS1_11target_archE908ELNS1_3gpuE7ELNS1_3repE0EEENS1_30default_config_static_selectorELNS0_4arch9wavefront6targetE0EEEvT1_,"axG",@progbits,_ZN7rocprim17ROCPRIM_400000_NS6detail17trampoline_kernelINS0_14default_configENS1_27scan_by_key_config_selectorIiiEEZZNS1_16scan_by_key_implILNS1_25lookback_scan_determinismE0ELb1ES3_N6thrust23THRUST_200600_302600_NS6detail15normal_iteratorINS9_10device_ptrIiEEEESE_SE_iNS9_10multipliesIiEENS9_8equal_toIiEEiEE10hipError_tPvRmT2_T3_T4_T5_mT6_T7_P12ihipStream_tbENKUlT_T0_E_clISt17integral_constantIbLb0EESZ_EEDaSU_SV_EUlSU_E_NS1_11comp_targetILNS1_3genE3ELNS1_11target_archE908ELNS1_3gpuE7ELNS1_3repE0EEENS1_30default_config_static_selectorELNS0_4arch9wavefront6targetE0EEEvT1_,comdat
.Lfunc_end501:
	.size	_ZN7rocprim17ROCPRIM_400000_NS6detail17trampoline_kernelINS0_14default_configENS1_27scan_by_key_config_selectorIiiEEZZNS1_16scan_by_key_implILNS1_25lookback_scan_determinismE0ELb1ES3_N6thrust23THRUST_200600_302600_NS6detail15normal_iteratorINS9_10device_ptrIiEEEESE_SE_iNS9_10multipliesIiEENS9_8equal_toIiEEiEE10hipError_tPvRmT2_T3_T4_T5_mT6_T7_P12ihipStream_tbENKUlT_T0_E_clISt17integral_constantIbLb0EESZ_EEDaSU_SV_EUlSU_E_NS1_11comp_targetILNS1_3genE3ELNS1_11target_archE908ELNS1_3gpuE7ELNS1_3repE0EEENS1_30default_config_static_selectorELNS0_4arch9wavefront6targetE0EEEvT1_, .Lfunc_end501-_ZN7rocprim17ROCPRIM_400000_NS6detail17trampoline_kernelINS0_14default_configENS1_27scan_by_key_config_selectorIiiEEZZNS1_16scan_by_key_implILNS1_25lookback_scan_determinismE0ELb1ES3_N6thrust23THRUST_200600_302600_NS6detail15normal_iteratorINS9_10device_ptrIiEEEESE_SE_iNS9_10multipliesIiEENS9_8equal_toIiEEiEE10hipError_tPvRmT2_T3_T4_T5_mT6_T7_P12ihipStream_tbENKUlT_T0_E_clISt17integral_constantIbLb0EESZ_EEDaSU_SV_EUlSU_E_NS1_11comp_targetILNS1_3genE3ELNS1_11target_archE908ELNS1_3gpuE7ELNS1_3repE0EEENS1_30default_config_static_selectorELNS0_4arch9wavefront6targetE0EEEvT1_
                                        ; -- End function
	.set _ZN7rocprim17ROCPRIM_400000_NS6detail17trampoline_kernelINS0_14default_configENS1_27scan_by_key_config_selectorIiiEEZZNS1_16scan_by_key_implILNS1_25lookback_scan_determinismE0ELb1ES3_N6thrust23THRUST_200600_302600_NS6detail15normal_iteratorINS9_10device_ptrIiEEEESE_SE_iNS9_10multipliesIiEENS9_8equal_toIiEEiEE10hipError_tPvRmT2_T3_T4_T5_mT6_T7_P12ihipStream_tbENKUlT_T0_E_clISt17integral_constantIbLb0EESZ_EEDaSU_SV_EUlSU_E_NS1_11comp_targetILNS1_3genE3ELNS1_11target_archE908ELNS1_3gpuE7ELNS1_3repE0EEENS1_30default_config_static_selectorELNS0_4arch9wavefront6targetE0EEEvT1_.num_vgpr, 0
	.set _ZN7rocprim17ROCPRIM_400000_NS6detail17trampoline_kernelINS0_14default_configENS1_27scan_by_key_config_selectorIiiEEZZNS1_16scan_by_key_implILNS1_25lookback_scan_determinismE0ELb1ES3_N6thrust23THRUST_200600_302600_NS6detail15normal_iteratorINS9_10device_ptrIiEEEESE_SE_iNS9_10multipliesIiEENS9_8equal_toIiEEiEE10hipError_tPvRmT2_T3_T4_T5_mT6_T7_P12ihipStream_tbENKUlT_T0_E_clISt17integral_constantIbLb0EESZ_EEDaSU_SV_EUlSU_E_NS1_11comp_targetILNS1_3genE3ELNS1_11target_archE908ELNS1_3gpuE7ELNS1_3repE0EEENS1_30default_config_static_selectorELNS0_4arch9wavefront6targetE0EEEvT1_.num_agpr, 0
	.set _ZN7rocprim17ROCPRIM_400000_NS6detail17trampoline_kernelINS0_14default_configENS1_27scan_by_key_config_selectorIiiEEZZNS1_16scan_by_key_implILNS1_25lookback_scan_determinismE0ELb1ES3_N6thrust23THRUST_200600_302600_NS6detail15normal_iteratorINS9_10device_ptrIiEEEESE_SE_iNS9_10multipliesIiEENS9_8equal_toIiEEiEE10hipError_tPvRmT2_T3_T4_T5_mT6_T7_P12ihipStream_tbENKUlT_T0_E_clISt17integral_constantIbLb0EESZ_EEDaSU_SV_EUlSU_E_NS1_11comp_targetILNS1_3genE3ELNS1_11target_archE908ELNS1_3gpuE7ELNS1_3repE0EEENS1_30default_config_static_selectorELNS0_4arch9wavefront6targetE0EEEvT1_.numbered_sgpr, 0
	.set _ZN7rocprim17ROCPRIM_400000_NS6detail17trampoline_kernelINS0_14default_configENS1_27scan_by_key_config_selectorIiiEEZZNS1_16scan_by_key_implILNS1_25lookback_scan_determinismE0ELb1ES3_N6thrust23THRUST_200600_302600_NS6detail15normal_iteratorINS9_10device_ptrIiEEEESE_SE_iNS9_10multipliesIiEENS9_8equal_toIiEEiEE10hipError_tPvRmT2_T3_T4_T5_mT6_T7_P12ihipStream_tbENKUlT_T0_E_clISt17integral_constantIbLb0EESZ_EEDaSU_SV_EUlSU_E_NS1_11comp_targetILNS1_3genE3ELNS1_11target_archE908ELNS1_3gpuE7ELNS1_3repE0EEENS1_30default_config_static_selectorELNS0_4arch9wavefront6targetE0EEEvT1_.num_named_barrier, 0
	.set _ZN7rocprim17ROCPRIM_400000_NS6detail17trampoline_kernelINS0_14default_configENS1_27scan_by_key_config_selectorIiiEEZZNS1_16scan_by_key_implILNS1_25lookback_scan_determinismE0ELb1ES3_N6thrust23THRUST_200600_302600_NS6detail15normal_iteratorINS9_10device_ptrIiEEEESE_SE_iNS9_10multipliesIiEENS9_8equal_toIiEEiEE10hipError_tPvRmT2_T3_T4_T5_mT6_T7_P12ihipStream_tbENKUlT_T0_E_clISt17integral_constantIbLb0EESZ_EEDaSU_SV_EUlSU_E_NS1_11comp_targetILNS1_3genE3ELNS1_11target_archE908ELNS1_3gpuE7ELNS1_3repE0EEENS1_30default_config_static_selectorELNS0_4arch9wavefront6targetE0EEEvT1_.private_seg_size, 0
	.set _ZN7rocprim17ROCPRIM_400000_NS6detail17trampoline_kernelINS0_14default_configENS1_27scan_by_key_config_selectorIiiEEZZNS1_16scan_by_key_implILNS1_25lookback_scan_determinismE0ELb1ES3_N6thrust23THRUST_200600_302600_NS6detail15normal_iteratorINS9_10device_ptrIiEEEESE_SE_iNS9_10multipliesIiEENS9_8equal_toIiEEiEE10hipError_tPvRmT2_T3_T4_T5_mT6_T7_P12ihipStream_tbENKUlT_T0_E_clISt17integral_constantIbLb0EESZ_EEDaSU_SV_EUlSU_E_NS1_11comp_targetILNS1_3genE3ELNS1_11target_archE908ELNS1_3gpuE7ELNS1_3repE0EEENS1_30default_config_static_selectorELNS0_4arch9wavefront6targetE0EEEvT1_.uses_vcc, 0
	.set _ZN7rocprim17ROCPRIM_400000_NS6detail17trampoline_kernelINS0_14default_configENS1_27scan_by_key_config_selectorIiiEEZZNS1_16scan_by_key_implILNS1_25lookback_scan_determinismE0ELb1ES3_N6thrust23THRUST_200600_302600_NS6detail15normal_iteratorINS9_10device_ptrIiEEEESE_SE_iNS9_10multipliesIiEENS9_8equal_toIiEEiEE10hipError_tPvRmT2_T3_T4_T5_mT6_T7_P12ihipStream_tbENKUlT_T0_E_clISt17integral_constantIbLb0EESZ_EEDaSU_SV_EUlSU_E_NS1_11comp_targetILNS1_3genE3ELNS1_11target_archE908ELNS1_3gpuE7ELNS1_3repE0EEENS1_30default_config_static_selectorELNS0_4arch9wavefront6targetE0EEEvT1_.uses_flat_scratch, 0
	.set _ZN7rocprim17ROCPRIM_400000_NS6detail17trampoline_kernelINS0_14default_configENS1_27scan_by_key_config_selectorIiiEEZZNS1_16scan_by_key_implILNS1_25lookback_scan_determinismE0ELb1ES3_N6thrust23THRUST_200600_302600_NS6detail15normal_iteratorINS9_10device_ptrIiEEEESE_SE_iNS9_10multipliesIiEENS9_8equal_toIiEEiEE10hipError_tPvRmT2_T3_T4_T5_mT6_T7_P12ihipStream_tbENKUlT_T0_E_clISt17integral_constantIbLb0EESZ_EEDaSU_SV_EUlSU_E_NS1_11comp_targetILNS1_3genE3ELNS1_11target_archE908ELNS1_3gpuE7ELNS1_3repE0EEENS1_30default_config_static_selectorELNS0_4arch9wavefront6targetE0EEEvT1_.has_dyn_sized_stack, 0
	.set _ZN7rocprim17ROCPRIM_400000_NS6detail17trampoline_kernelINS0_14default_configENS1_27scan_by_key_config_selectorIiiEEZZNS1_16scan_by_key_implILNS1_25lookback_scan_determinismE0ELb1ES3_N6thrust23THRUST_200600_302600_NS6detail15normal_iteratorINS9_10device_ptrIiEEEESE_SE_iNS9_10multipliesIiEENS9_8equal_toIiEEiEE10hipError_tPvRmT2_T3_T4_T5_mT6_T7_P12ihipStream_tbENKUlT_T0_E_clISt17integral_constantIbLb0EESZ_EEDaSU_SV_EUlSU_E_NS1_11comp_targetILNS1_3genE3ELNS1_11target_archE908ELNS1_3gpuE7ELNS1_3repE0EEENS1_30default_config_static_selectorELNS0_4arch9wavefront6targetE0EEEvT1_.has_recursion, 0
	.set _ZN7rocprim17ROCPRIM_400000_NS6detail17trampoline_kernelINS0_14default_configENS1_27scan_by_key_config_selectorIiiEEZZNS1_16scan_by_key_implILNS1_25lookback_scan_determinismE0ELb1ES3_N6thrust23THRUST_200600_302600_NS6detail15normal_iteratorINS9_10device_ptrIiEEEESE_SE_iNS9_10multipliesIiEENS9_8equal_toIiEEiEE10hipError_tPvRmT2_T3_T4_T5_mT6_T7_P12ihipStream_tbENKUlT_T0_E_clISt17integral_constantIbLb0EESZ_EEDaSU_SV_EUlSU_E_NS1_11comp_targetILNS1_3genE3ELNS1_11target_archE908ELNS1_3gpuE7ELNS1_3repE0EEENS1_30default_config_static_selectorELNS0_4arch9wavefront6targetE0EEEvT1_.has_indirect_call, 0
	.section	.AMDGPU.csdata,"",@progbits
; Kernel info:
; codeLenInByte = 0
; TotalNumSgprs: 0
; NumVgprs: 0
; ScratchSize: 0
; MemoryBound: 0
; FloatMode: 240
; IeeeMode: 1
; LDSByteSize: 0 bytes/workgroup (compile time only)
; SGPRBlocks: 0
; VGPRBlocks: 0
; NumSGPRsForWavesPerEU: 1
; NumVGPRsForWavesPerEU: 1
; NamedBarCnt: 0
; Occupancy: 16
; WaveLimiterHint : 0
; COMPUTE_PGM_RSRC2:SCRATCH_EN: 0
; COMPUTE_PGM_RSRC2:USER_SGPR: 2
; COMPUTE_PGM_RSRC2:TRAP_HANDLER: 0
; COMPUTE_PGM_RSRC2:TGID_X_EN: 1
; COMPUTE_PGM_RSRC2:TGID_Y_EN: 0
; COMPUTE_PGM_RSRC2:TGID_Z_EN: 0
; COMPUTE_PGM_RSRC2:TIDIG_COMP_CNT: 0
	.section	.text._ZN7rocprim17ROCPRIM_400000_NS6detail17trampoline_kernelINS0_14default_configENS1_27scan_by_key_config_selectorIiiEEZZNS1_16scan_by_key_implILNS1_25lookback_scan_determinismE0ELb1ES3_N6thrust23THRUST_200600_302600_NS6detail15normal_iteratorINS9_10device_ptrIiEEEESE_SE_iNS9_10multipliesIiEENS9_8equal_toIiEEiEE10hipError_tPvRmT2_T3_T4_T5_mT6_T7_P12ihipStream_tbENKUlT_T0_E_clISt17integral_constantIbLb0EESZ_EEDaSU_SV_EUlSU_E_NS1_11comp_targetILNS1_3genE2ELNS1_11target_archE906ELNS1_3gpuE6ELNS1_3repE0EEENS1_30default_config_static_selectorELNS0_4arch9wavefront6targetE0EEEvT1_,"axG",@progbits,_ZN7rocprim17ROCPRIM_400000_NS6detail17trampoline_kernelINS0_14default_configENS1_27scan_by_key_config_selectorIiiEEZZNS1_16scan_by_key_implILNS1_25lookback_scan_determinismE0ELb1ES3_N6thrust23THRUST_200600_302600_NS6detail15normal_iteratorINS9_10device_ptrIiEEEESE_SE_iNS9_10multipliesIiEENS9_8equal_toIiEEiEE10hipError_tPvRmT2_T3_T4_T5_mT6_T7_P12ihipStream_tbENKUlT_T0_E_clISt17integral_constantIbLb0EESZ_EEDaSU_SV_EUlSU_E_NS1_11comp_targetILNS1_3genE2ELNS1_11target_archE906ELNS1_3gpuE6ELNS1_3repE0EEENS1_30default_config_static_selectorELNS0_4arch9wavefront6targetE0EEEvT1_,comdat
	.protected	_ZN7rocprim17ROCPRIM_400000_NS6detail17trampoline_kernelINS0_14default_configENS1_27scan_by_key_config_selectorIiiEEZZNS1_16scan_by_key_implILNS1_25lookback_scan_determinismE0ELb1ES3_N6thrust23THRUST_200600_302600_NS6detail15normal_iteratorINS9_10device_ptrIiEEEESE_SE_iNS9_10multipliesIiEENS9_8equal_toIiEEiEE10hipError_tPvRmT2_T3_T4_T5_mT6_T7_P12ihipStream_tbENKUlT_T0_E_clISt17integral_constantIbLb0EESZ_EEDaSU_SV_EUlSU_E_NS1_11comp_targetILNS1_3genE2ELNS1_11target_archE906ELNS1_3gpuE6ELNS1_3repE0EEENS1_30default_config_static_selectorELNS0_4arch9wavefront6targetE0EEEvT1_ ; -- Begin function _ZN7rocprim17ROCPRIM_400000_NS6detail17trampoline_kernelINS0_14default_configENS1_27scan_by_key_config_selectorIiiEEZZNS1_16scan_by_key_implILNS1_25lookback_scan_determinismE0ELb1ES3_N6thrust23THRUST_200600_302600_NS6detail15normal_iteratorINS9_10device_ptrIiEEEESE_SE_iNS9_10multipliesIiEENS9_8equal_toIiEEiEE10hipError_tPvRmT2_T3_T4_T5_mT6_T7_P12ihipStream_tbENKUlT_T0_E_clISt17integral_constantIbLb0EESZ_EEDaSU_SV_EUlSU_E_NS1_11comp_targetILNS1_3genE2ELNS1_11target_archE906ELNS1_3gpuE6ELNS1_3repE0EEENS1_30default_config_static_selectorELNS0_4arch9wavefront6targetE0EEEvT1_
	.globl	_ZN7rocprim17ROCPRIM_400000_NS6detail17trampoline_kernelINS0_14default_configENS1_27scan_by_key_config_selectorIiiEEZZNS1_16scan_by_key_implILNS1_25lookback_scan_determinismE0ELb1ES3_N6thrust23THRUST_200600_302600_NS6detail15normal_iteratorINS9_10device_ptrIiEEEESE_SE_iNS9_10multipliesIiEENS9_8equal_toIiEEiEE10hipError_tPvRmT2_T3_T4_T5_mT6_T7_P12ihipStream_tbENKUlT_T0_E_clISt17integral_constantIbLb0EESZ_EEDaSU_SV_EUlSU_E_NS1_11comp_targetILNS1_3genE2ELNS1_11target_archE906ELNS1_3gpuE6ELNS1_3repE0EEENS1_30default_config_static_selectorELNS0_4arch9wavefront6targetE0EEEvT1_
	.p2align	8
	.type	_ZN7rocprim17ROCPRIM_400000_NS6detail17trampoline_kernelINS0_14default_configENS1_27scan_by_key_config_selectorIiiEEZZNS1_16scan_by_key_implILNS1_25lookback_scan_determinismE0ELb1ES3_N6thrust23THRUST_200600_302600_NS6detail15normal_iteratorINS9_10device_ptrIiEEEESE_SE_iNS9_10multipliesIiEENS9_8equal_toIiEEiEE10hipError_tPvRmT2_T3_T4_T5_mT6_T7_P12ihipStream_tbENKUlT_T0_E_clISt17integral_constantIbLb0EESZ_EEDaSU_SV_EUlSU_E_NS1_11comp_targetILNS1_3genE2ELNS1_11target_archE906ELNS1_3gpuE6ELNS1_3repE0EEENS1_30default_config_static_selectorELNS0_4arch9wavefront6targetE0EEEvT1_,@function
_ZN7rocprim17ROCPRIM_400000_NS6detail17trampoline_kernelINS0_14default_configENS1_27scan_by_key_config_selectorIiiEEZZNS1_16scan_by_key_implILNS1_25lookback_scan_determinismE0ELb1ES3_N6thrust23THRUST_200600_302600_NS6detail15normal_iteratorINS9_10device_ptrIiEEEESE_SE_iNS9_10multipliesIiEENS9_8equal_toIiEEiEE10hipError_tPvRmT2_T3_T4_T5_mT6_T7_P12ihipStream_tbENKUlT_T0_E_clISt17integral_constantIbLb0EESZ_EEDaSU_SV_EUlSU_E_NS1_11comp_targetILNS1_3genE2ELNS1_11target_archE906ELNS1_3gpuE6ELNS1_3repE0EEENS1_30default_config_static_selectorELNS0_4arch9wavefront6targetE0EEEvT1_: ; @_ZN7rocprim17ROCPRIM_400000_NS6detail17trampoline_kernelINS0_14default_configENS1_27scan_by_key_config_selectorIiiEEZZNS1_16scan_by_key_implILNS1_25lookback_scan_determinismE0ELb1ES3_N6thrust23THRUST_200600_302600_NS6detail15normal_iteratorINS9_10device_ptrIiEEEESE_SE_iNS9_10multipliesIiEENS9_8equal_toIiEEiEE10hipError_tPvRmT2_T3_T4_T5_mT6_T7_P12ihipStream_tbENKUlT_T0_E_clISt17integral_constantIbLb0EESZ_EEDaSU_SV_EUlSU_E_NS1_11comp_targetILNS1_3genE2ELNS1_11target_archE906ELNS1_3gpuE6ELNS1_3repE0EEENS1_30default_config_static_selectorELNS0_4arch9wavefront6targetE0EEEvT1_
; %bb.0:
	.section	.rodata,"a",@progbits
	.p2align	6, 0x0
	.amdhsa_kernel _ZN7rocprim17ROCPRIM_400000_NS6detail17trampoline_kernelINS0_14default_configENS1_27scan_by_key_config_selectorIiiEEZZNS1_16scan_by_key_implILNS1_25lookback_scan_determinismE0ELb1ES3_N6thrust23THRUST_200600_302600_NS6detail15normal_iteratorINS9_10device_ptrIiEEEESE_SE_iNS9_10multipliesIiEENS9_8equal_toIiEEiEE10hipError_tPvRmT2_T3_T4_T5_mT6_T7_P12ihipStream_tbENKUlT_T0_E_clISt17integral_constantIbLb0EESZ_EEDaSU_SV_EUlSU_E_NS1_11comp_targetILNS1_3genE2ELNS1_11target_archE906ELNS1_3gpuE6ELNS1_3repE0EEENS1_30default_config_static_selectorELNS0_4arch9wavefront6targetE0EEEvT1_
		.amdhsa_group_segment_fixed_size 0
		.amdhsa_private_segment_fixed_size 0
		.amdhsa_kernarg_size 112
		.amdhsa_user_sgpr_count 2
		.amdhsa_user_sgpr_dispatch_ptr 0
		.amdhsa_user_sgpr_queue_ptr 0
		.amdhsa_user_sgpr_kernarg_segment_ptr 1
		.amdhsa_user_sgpr_dispatch_id 0
		.amdhsa_user_sgpr_kernarg_preload_length 0
		.amdhsa_user_sgpr_kernarg_preload_offset 0
		.amdhsa_user_sgpr_private_segment_size 0
		.amdhsa_wavefront_size32 1
		.amdhsa_uses_dynamic_stack 0
		.amdhsa_enable_private_segment 0
		.amdhsa_system_sgpr_workgroup_id_x 1
		.amdhsa_system_sgpr_workgroup_id_y 0
		.amdhsa_system_sgpr_workgroup_id_z 0
		.amdhsa_system_sgpr_workgroup_info 0
		.amdhsa_system_vgpr_workitem_id 0
		.amdhsa_next_free_vgpr 1
		.amdhsa_next_free_sgpr 1
		.amdhsa_named_barrier_count 0
		.amdhsa_reserve_vcc 0
		.amdhsa_float_round_mode_32 0
		.amdhsa_float_round_mode_16_64 0
		.amdhsa_float_denorm_mode_32 3
		.amdhsa_float_denorm_mode_16_64 3
		.amdhsa_fp16_overflow 0
		.amdhsa_memory_ordered 1
		.amdhsa_forward_progress 1
		.amdhsa_inst_pref_size 0
		.amdhsa_round_robin_scheduling 0
		.amdhsa_exception_fp_ieee_invalid_op 0
		.amdhsa_exception_fp_denorm_src 0
		.amdhsa_exception_fp_ieee_div_zero 0
		.amdhsa_exception_fp_ieee_overflow 0
		.amdhsa_exception_fp_ieee_underflow 0
		.amdhsa_exception_fp_ieee_inexact 0
		.amdhsa_exception_int_div_zero 0
	.end_amdhsa_kernel
	.section	.text._ZN7rocprim17ROCPRIM_400000_NS6detail17trampoline_kernelINS0_14default_configENS1_27scan_by_key_config_selectorIiiEEZZNS1_16scan_by_key_implILNS1_25lookback_scan_determinismE0ELb1ES3_N6thrust23THRUST_200600_302600_NS6detail15normal_iteratorINS9_10device_ptrIiEEEESE_SE_iNS9_10multipliesIiEENS9_8equal_toIiEEiEE10hipError_tPvRmT2_T3_T4_T5_mT6_T7_P12ihipStream_tbENKUlT_T0_E_clISt17integral_constantIbLb0EESZ_EEDaSU_SV_EUlSU_E_NS1_11comp_targetILNS1_3genE2ELNS1_11target_archE906ELNS1_3gpuE6ELNS1_3repE0EEENS1_30default_config_static_selectorELNS0_4arch9wavefront6targetE0EEEvT1_,"axG",@progbits,_ZN7rocprim17ROCPRIM_400000_NS6detail17trampoline_kernelINS0_14default_configENS1_27scan_by_key_config_selectorIiiEEZZNS1_16scan_by_key_implILNS1_25lookback_scan_determinismE0ELb1ES3_N6thrust23THRUST_200600_302600_NS6detail15normal_iteratorINS9_10device_ptrIiEEEESE_SE_iNS9_10multipliesIiEENS9_8equal_toIiEEiEE10hipError_tPvRmT2_T3_T4_T5_mT6_T7_P12ihipStream_tbENKUlT_T0_E_clISt17integral_constantIbLb0EESZ_EEDaSU_SV_EUlSU_E_NS1_11comp_targetILNS1_3genE2ELNS1_11target_archE906ELNS1_3gpuE6ELNS1_3repE0EEENS1_30default_config_static_selectorELNS0_4arch9wavefront6targetE0EEEvT1_,comdat
.Lfunc_end502:
	.size	_ZN7rocprim17ROCPRIM_400000_NS6detail17trampoline_kernelINS0_14default_configENS1_27scan_by_key_config_selectorIiiEEZZNS1_16scan_by_key_implILNS1_25lookback_scan_determinismE0ELb1ES3_N6thrust23THRUST_200600_302600_NS6detail15normal_iteratorINS9_10device_ptrIiEEEESE_SE_iNS9_10multipliesIiEENS9_8equal_toIiEEiEE10hipError_tPvRmT2_T3_T4_T5_mT6_T7_P12ihipStream_tbENKUlT_T0_E_clISt17integral_constantIbLb0EESZ_EEDaSU_SV_EUlSU_E_NS1_11comp_targetILNS1_3genE2ELNS1_11target_archE906ELNS1_3gpuE6ELNS1_3repE0EEENS1_30default_config_static_selectorELNS0_4arch9wavefront6targetE0EEEvT1_, .Lfunc_end502-_ZN7rocprim17ROCPRIM_400000_NS6detail17trampoline_kernelINS0_14default_configENS1_27scan_by_key_config_selectorIiiEEZZNS1_16scan_by_key_implILNS1_25lookback_scan_determinismE0ELb1ES3_N6thrust23THRUST_200600_302600_NS6detail15normal_iteratorINS9_10device_ptrIiEEEESE_SE_iNS9_10multipliesIiEENS9_8equal_toIiEEiEE10hipError_tPvRmT2_T3_T4_T5_mT6_T7_P12ihipStream_tbENKUlT_T0_E_clISt17integral_constantIbLb0EESZ_EEDaSU_SV_EUlSU_E_NS1_11comp_targetILNS1_3genE2ELNS1_11target_archE906ELNS1_3gpuE6ELNS1_3repE0EEENS1_30default_config_static_selectorELNS0_4arch9wavefront6targetE0EEEvT1_
                                        ; -- End function
	.set _ZN7rocprim17ROCPRIM_400000_NS6detail17trampoline_kernelINS0_14default_configENS1_27scan_by_key_config_selectorIiiEEZZNS1_16scan_by_key_implILNS1_25lookback_scan_determinismE0ELb1ES3_N6thrust23THRUST_200600_302600_NS6detail15normal_iteratorINS9_10device_ptrIiEEEESE_SE_iNS9_10multipliesIiEENS9_8equal_toIiEEiEE10hipError_tPvRmT2_T3_T4_T5_mT6_T7_P12ihipStream_tbENKUlT_T0_E_clISt17integral_constantIbLb0EESZ_EEDaSU_SV_EUlSU_E_NS1_11comp_targetILNS1_3genE2ELNS1_11target_archE906ELNS1_3gpuE6ELNS1_3repE0EEENS1_30default_config_static_selectorELNS0_4arch9wavefront6targetE0EEEvT1_.num_vgpr, 0
	.set _ZN7rocprim17ROCPRIM_400000_NS6detail17trampoline_kernelINS0_14default_configENS1_27scan_by_key_config_selectorIiiEEZZNS1_16scan_by_key_implILNS1_25lookback_scan_determinismE0ELb1ES3_N6thrust23THRUST_200600_302600_NS6detail15normal_iteratorINS9_10device_ptrIiEEEESE_SE_iNS9_10multipliesIiEENS9_8equal_toIiEEiEE10hipError_tPvRmT2_T3_T4_T5_mT6_T7_P12ihipStream_tbENKUlT_T0_E_clISt17integral_constantIbLb0EESZ_EEDaSU_SV_EUlSU_E_NS1_11comp_targetILNS1_3genE2ELNS1_11target_archE906ELNS1_3gpuE6ELNS1_3repE0EEENS1_30default_config_static_selectorELNS0_4arch9wavefront6targetE0EEEvT1_.num_agpr, 0
	.set _ZN7rocprim17ROCPRIM_400000_NS6detail17trampoline_kernelINS0_14default_configENS1_27scan_by_key_config_selectorIiiEEZZNS1_16scan_by_key_implILNS1_25lookback_scan_determinismE0ELb1ES3_N6thrust23THRUST_200600_302600_NS6detail15normal_iteratorINS9_10device_ptrIiEEEESE_SE_iNS9_10multipliesIiEENS9_8equal_toIiEEiEE10hipError_tPvRmT2_T3_T4_T5_mT6_T7_P12ihipStream_tbENKUlT_T0_E_clISt17integral_constantIbLb0EESZ_EEDaSU_SV_EUlSU_E_NS1_11comp_targetILNS1_3genE2ELNS1_11target_archE906ELNS1_3gpuE6ELNS1_3repE0EEENS1_30default_config_static_selectorELNS0_4arch9wavefront6targetE0EEEvT1_.numbered_sgpr, 0
	.set _ZN7rocprim17ROCPRIM_400000_NS6detail17trampoline_kernelINS0_14default_configENS1_27scan_by_key_config_selectorIiiEEZZNS1_16scan_by_key_implILNS1_25lookback_scan_determinismE0ELb1ES3_N6thrust23THRUST_200600_302600_NS6detail15normal_iteratorINS9_10device_ptrIiEEEESE_SE_iNS9_10multipliesIiEENS9_8equal_toIiEEiEE10hipError_tPvRmT2_T3_T4_T5_mT6_T7_P12ihipStream_tbENKUlT_T0_E_clISt17integral_constantIbLb0EESZ_EEDaSU_SV_EUlSU_E_NS1_11comp_targetILNS1_3genE2ELNS1_11target_archE906ELNS1_3gpuE6ELNS1_3repE0EEENS1_30default_config_static_selectorELNS0_4arch9wavefront6targetE0EEEvT1_.num_named_barrier, 0
	.set _ZN7rocprim17ROCPRIM_400000_NS6detail17trampoline_kernelINS0_14default_configENS1_27scan_by_key_config_selectorIiiEEZZNS1_16scan_by_key_implILNS1_25lookback_scan_determinismE0ELb1ES3_N6thrust23THRUST_200600_302600_NS6detail15normal_iteratorINS9_10device_ptrIiEEEESE_SE_iNS9_10multipliesIiEENS9_8equal_toIiEEiEE10hipError_tPvRmT2_T3_T4_T5_mT6_T7_P12ihipStream_tbENKUlT_T0_E_clISt17integral_constantIbLb0EESZ_EEDaSU_SV_EUlSU_E_NS1_11comp_targetILNS1_3genE2ELNS1_11target_archE906ELNS1_3gpuE6ELNS1_3repE0EEENS1_30default_config_static_selectorELNS0_4arch9wavefront6targetE0EEEvT1_.private_seg_size, 0
	.set _ZN7rocprim17ROCPRIM_400000_NS6detail17trampoline_kernelINS0_14default_configENS1_27scan_by_key_config_selectorIiiEEZZNS1_16scan_by_key_implILNS1_25lookback_scan_determinismE0ELb1ES3_N6thrust23THRUST_200600_302600_NS6detail15normal_iteratorINS9_10device_ptrIiEEEESE_SE_iNS9_10multipliesIiEENS9_8equal_toIiEEiEE10hipError_tPvRmT2_T3_T4_T5_mT6_T7_P12ihipStream_tbENKUlT_T0_E_clISt17integral_constantIbLb0EESZ_EEDaSU_SV_EUlSU_E_NS1_11comp_targetILNS1_3genE2ELNS1_11target_archE906ELNS1_3gpuE6ELNS1_3repE0EEENS1_30default_config_static_selectorELNS0_4arch9wavefront6targetE0EEEvT1_.uses_vcc, 0
	.set _ZN7rocprim17ROCPRIM_400000_NS6detail17trampoline_kernelINS0_14default_configENS1_27scan_by_key_config_selectorIiiEEZZNS1_16scan_by_key_implILNS1_25lookback_scan_determinismE0ELb1ES3_N6thrust23THRUST_200600_302600_NS6detail15normal_iteratorINS9_10device_ptrIiEEEESE_SE_iNS9_10multipliesIiEENS9_8equal_toIiEEiEE10hipError_tPvRmT2_T3_T4_T5_mT6_T7_P12ihipStream_tbENKUlT_T0_E_clISt17integral_constantIbLb0EESZ_EEDaSU_SV_EUlSU_E_NS1_11comp_targetILNS1_3genE2ELNS1_11target_archE906ELNS1_3gpuE6ELNS1_3repE0EEENS1_30default_config_static_selectorELNS0_4arch9wavefront6targetE0EEEvT1_.uses_flat_scratch, 0
	.set _ZN7rocprim17ROCPRIM_400000_NS6detail17trampoline_kernelINS0_14default_configENS1_27scan_by_key_config_selectorIiiEEZZNS1_16scan_by_key_implILNS1_25lookback_scan_determinismE0ELb1ES3_N6thrust23THRUST_200600_302600_NS6detail15normal_iteratorINS9_10device_ptrIiEEEESE_SE_iNS9_10multipliesIiEENS9_8equal_toIiEEiEE10hipError_tPvRmT2_T3_T4_T5_mT6_T7_P12ihipStream_tbENKUlT_T0_E_clISt17integral_constantIbLb0EESZ_EEDaSU_SV_EUlSU_E_NS1_11comp_targetILNS1_3genE2ELNS1_11target_archE906ELNS1_3gpuE6ELNS1_3repE0EEENS1_30default_config_static_selectorELNS0_4arch9wavefront6targetE0EEEvT1_.has_dyn_sized_stack, 0
	.set _ZN7rocprim17ROCPRIM_400000_NS6detail17trampoline_kernelINS0_14default_configENS1_27scan_by_key_config_selectorIiiEEZZNS1_16scan_by_key_implILNS1_25lookback_scan_determinismE0ELb1ES3_N6thrust23THRUST_200600_302600_NS6detail15normal_iteratorINS9_10device_ptrIiEEEESE_SE_iNS9_10multipliesIiEENS9_8equal_toIiEEiEE10hipError_tPvRmT2_T3_T4_T5_mT6_T7_P12ihipStream_tbENKUlT_T0_E_clISt17integral_constantIbLb0EESZ_EEDaSU_SV_EUlSU_E_NS1_11comp_targetILNS1_3genE2ELNS1_11target_archE906ELNS1_3gpuE6ELNS1_3repE0EEENS1_30default_config_static_selectorELNS0_4arch9wavefront6targetE0EEEvT1_.has_recursion, 0
	.set _ZN7rocprim17ROCPRIM_400000_NS6detail17trampoline_kernelINS0_14default_configENS1_27scan_by_key_config_selectorIiiEEZZNS1_16scan_by_key_implILNS1_25lookback_scan_determinismE0ELb1ES3_N6thrust23THRUST_200600_302600_NS6detail15normal_iteratorINS9_10device_ptrIiEEEESE_SE_iNS9_10multipliesIiEENS9_8equal_toIiEEiEE10hipError_tPvRmT2_T3_T4_T5_mT6_T7_P12ihipStream_tbENKUlT_T0_E_clISt17integral_constantIbLb0EESZ_EEDaSU_SV_EUlSU_E_NS1_11comp_targetILNS1_3genE2ELNS1_11target_archE906ELNS1_3gpuE6ELNS1_3repE0EEENS1_30default_config_static_selectorELNS0_4arch9wavefront6targetE0EEEvT1_.has_indirect_call, 0
	.section	.AMDGPU.csdata,"",@progbits
; Kernel info:
; codeLenInByte = 0
; TotalNumSgprs: 0
; NumVgprs: 0
; ScratchSize: 0
; MemoryBound: 0
; FloatMode: 240
; IeeeMode: 1
; LDSByteSize: 0 bytes/workgroup (compile time only)
; SGPRBlocks: 0
; VGPRBlocks: 0
; NumSGPRsForWavesPerEU: 1
; NumVGPRsForWavesPerEU: 1
; NamedBarCnt: 0
; Occupancy: 16
; WaveLimiterHint : 0
; COMPUTE_PGM_RSRC2:SCRATCH_EN: 0
; COMPUTE_PGM_RSRC2:USER_SGPR: 2
; COMPUTE_PGM_RSRC2:TRAP_HANDLER: 0
; COMPUTE_PGM_RSRC2:TGID_X_EN: 1
; COMPUTE_PGM_RSRC2:TGID_Y_EN: 0
; COMPUTE_PGM_RSRC2:TGID_Z_EN: 0
; COMPUTE_PGM_RSRC2:TIDIG_COMP_CNT: 0
	.section	.text._ZN7rocprim17ROCPRIM_400000_NS6detail17trampoline_kernelINS0_14default_configENS1_27scan_by_key_config_selectorIiiEEZZNS1_16scan_by_key_implILNS1_25lookback_scan_determinismE0ELb1ES3_N6thrust23THRUST_200600_302600_NS6detail15normal_iteratorINS9_10device_ptrIiEEEESE_SE_iNS9_10multipliesIiEENS9_8equal_toIiEEiEE10hipError_tPvRmT2_T3_T4_T5_mT6_T7_P12ihipStream_tbENKUlT_T0_E_clISt17integral_constantIbLb0EESZ_EEDaSU_SV_EUlSU_E_NS1_11comp_targetILNS1_3genE10ELNS1_11target_archE1200ELNS1_3gpuE4ELNS1_3repE0EEENS1_30default_config_static_selectorELNS0_4arch9wavefront6targetE0EEEvT1_,"axG",@progbits,_ZN7rocprim17ROCPRIM_400000_NS6detail17trampoline_kernelINS0_14default_configENS1_27scan_by_key_config_selectorIiiEEZZNS1_16scan_by_key_implILNS1_25lookback_scan_determinismE0ELb1ES3_N6thrust23THRUST_200600_302600_NS6detail15normal_iteratorINS9_10device_ptrIiEEEESE_SE_iNS9_10multipliesIiEENS9_8equal_toIiEEiEE10hipError_tPvRmT2_T3_T4_T5_mT6_T7_P12ihipStream_tbENKUlT_T0_E_clISt17integral_constantIbLb0EESZ_EEDaSU_SV_EUlSU_E_NS1_11comp_targetILNS1_3genE10ELNS1_11target_archE1200ELNS1_3gpuE4ELNS1_3repE0EEENS1_30default_config_static_selectorELNS0_4arch9wavefront6targetE0EEEvT1_,comdat
	.protected	_ZN7rocprim17ROCPRIM_400000_NS6detail17trampoline_kernelINS0_14default_configENS1_27scan_by_key_config_selectorIiiEEZZNS1_16scan_by_key_implILNS1_25lookback_scan_determinismE0ELb1ES3_N6thrust23THRUST_200600_302600_NS6detail15normal_iteratorINS9_10device_ptrIiEEEESE_SE_iNS9_10multipliesIiEENS9_8equal_toIiEEiEE10hipError_tPvRmT2_T3_T4_T5_mT6_T7_P12ihipStream_tbENKUlT_T0_E_clISt17integral_constantIbLb0EESZ_EEDaSU_SV_EUlSU_E_NS1_11comp_targetILNS1_3genE10ELNS1_11target_archE1200ELNS1_3gpuE4ELNS1_3repE0EEENS1_30default_config_static_selectorELNS0_4arch9wavefront6targetE0EEEvT1_ ; -- Begin function _ZN7rocprim17ROCPRIM_400000_NS6detail17trampoline_kernelINS0_14default_configENS1_27scan_by_key_config_selectorIiiEEZZNS1_16scan_by_key_implILNS1_25lookback_scan_determinismE0ELb1ES3_N6thrust23THRUST_200600_302600_NS6detail15normal_iteratorINS9_10device_ptrIiEEEESE_SE_iNS9_10multipliesIiEENS9_8equal_toIiEEiEE10hipError_tPvRmT2_T3_T4_T5_mT6_T7_P12ihipStream_tbENKUlT_T0_E_clISt17integral_constantIbLb0EESZ_EEDaSU_SV_EUlSU_E_NS1_11comp_targetILNS1_3genE10ELNS1_11target_archE1200ELNS1_3gpuE4ELNS1_3repE0EEENS1_30default_config_static_selectorELNS0_4arch9wavefront6targetE0EEEvT1_
	.globl	_ZN7rocprim17ROCPRIM_400000_NS6detail17trampoline_kernelINS0_14default_configENS1_27scan_by_key_config_selectorIiiEEZZNS1_16scan_by_key_implILNS1_25lookback_scan_determinismE0ELb1ES3_N6thrust23THRUST_200600_302600_NS6detail15normal_iteratorINS9_10device_ptrIiEEEESE_SE_iNS9_10multipliesIiEENS9_8equal_toIiEEiEE10hipError_tPvRmT2_T3_T4_T5_mT6_T7_P12ihipStream_tbENKUlT_T0_E_clISt17integral_constantIbLb0EESZ_EEDaSU_SV_EUlSU_E_NS1_11comp_targetILNS1_3genE10ELNS1_11target_archE1200ELNS1_3gpuE4ELNS1_3repE0EEENS1_30default_config_static_selectorELNS0_4arch9wavefront6targetE0EEEvT1_
	.p2align	8
	.type	_ZN7rocprim17ROCPRIM_400000_NS6detail17trampoline_kernelINS0_14default_configENS1_27scan_by_key_config_selectorIiiEEZZNS1_16scan_by_key_implILNS1_25lookback_scan_determinismE0ELb1ES3_N6thrust23THRUST_200600_302600_NS6detail15normal_iteratorINS9_10device_ptrIiEEEESE_SE_iNS9_10multipliesIiEENS9_8equal_toIiEEiEE10hipError_tPvRmT2_T3_T4_T5_mT6_T7_P12ihipStream_tbENKUlT_T0_E_clISt17integral_constantIbLb0EESZ_EEDaSU_SV_EUlSU_E_NS1_11comp_targetILNS1_3genE10ELNS1_11target_archE1200ELNS1_3gpuE4ELNS1_3repE0EEENS1_30default_config_static_selectorELNS0_4arch9wavefront6targetE0EEEvT1_,@function
_ZN7rocprim17ROCPRIM_400000_NS6detail17trampoline_kernelINS0_14default_configENS1_27scan_by_key_config_selectorIiiEEZZNS1_16scan_by_key_implILNS1_25lookback_scan_determinismE0ELb1ES3_N6thrust23THRUST_200600_302600_NS6detail15normal_iteratorINS9_10device_ptrIiEEEESE_SE_iNS9_10multipliesIiEENS9_8equal_toIiEEiEE10hipError_tPvRmT2_T3_T4_T5_mT6_T7_P12ihipStream_tbENKUlT_T0_E_clISt17integral_constantIbLb0EESZ_EEDaSU_SV_EUlSU_E_NS1_11comp_targetILNS1_3genE10ELNS1_11target_archE1200ELNS1_3gpuE4ELNS1_3repE0EEENS1_30default_config_static_selectorELNS0_4arch9wavefront6targetE0EEEvT1_: ; @_ZN7rocprim17ROCPRIM_400000_NS6detail17trampoline_kernelINS0_14default_configENS1_27scan_by_key_config_selectorIiiEEZZNS1_16scan_by_key_implILNS1_25lookback_scan_determinismE0ELb1ES3_N6thrust23THRUST_200600_302600_NS6detail15normal_iteratorINS9_10device_ptrIiEEEESE_SE_iNS9_10multipliesIiEENS9_8equal_toIiEEiEE10hipError_tPvRmT2_T3_T4_T5_mT6_T7_P12ihipStream_tbENKUlT_T0_E_clISt17integral_constantIbLb0EESZ_EEDaSU_SV_EUlSU_E_NS1_11comp_targetILNS1_3genE10ELNS1_11target_archE1200ELNS1_3gpuE4ELNS1_3repE0EEENS1_30default_config_static_selectorELNS0_4arch9wavefront6targetE0EEEvT1_
; %bb.0:
	.section	.rodata,"a",@progbits
	.p2align	6, 0x0
	.amdhsa_kernel _ZN7rocprim17ROCPRIM_400000_NS6detail17trampoline_kernelINS0_14default_configENS1_27scan_by_key_config_selectorIiiEEZZNS1_16scan_by_key_implILNS1_25lookback_scan_determinismE0ELb1ES3_N6thrust23THRUST_200600_302600_NS6detail15normal_iteratorINS9_10device_ptrIiEEEESE_SE_iNS9_10multipliesIiEENS9_8equal_toIiEEiEE10hipError_tPvRmT2_T3_T4_T5_mT6_T7_P12ihipStream_tbENKUlT_T0_E_clISt17integral_constantIbLb0EESZ_EEDaSU_SV_EUlSU_E_NS1_11comp_targetILNS1_3genE10ELNS1_11target_archE1200ELNS1_3gpuE4ELNS1_3repE0EEENS1_30default_config_static_selectorELNS0_4arch9wavefront6targetE0EEEvT1_
		.amdhsa_group_segment_fixed_size 0
		.amdhsa_private_segment_fixed_size 0
		.amdhsa_kernarg_size 112
		.amdhsa_user_sgpr_count 2
		.amdhsa_user_sgpr_dispatch_ptr 0
		.amdhsa_user_sgpr_queue_ptr 0
		.amdhsa_user_sgpr_kernarg_segment_ptr 1
		.amdhsa_user_sgpr_dispatch_id 0
		.amdhsa_user_sgpr_kernarg_preload_length 0
		.amdhsa_user_sgpr_kernarg_preload_offset 0
		.amdhsa_user_sgpr_private_segment_size 0
		.amdhsa_wavefront_size32 1
		.amdhsa_uses_dynamic_stack 0
		.amdhsa_enable_private_segment 0
		.amdhsa_system_sgpr_workgroup_id_x 1
		.amdhsa_system_sgpr_workgroup_id_y 0
		.amdhsa_system_sgpr_workgroup_id_z 0
		.amdhsa_system_sgpr_workgroup_info 0
		.amdhsa_system_vgpr_workitem_id 0
		.amdhsa_next_free_vgpr 1
		.amdhsa_next_free_sgpr 1
		.amdhsa_named_barrier_count 0
		.amdhsa_reserve_vcc 0
		.amdhsa_float_round_mode_32 0
		.amdhsa_float_round_mode_16_64 0
		.amdhsa_float_denorm_mode_32 3
		.amdhsa_float_denorm_mode_16_64 3
		.amdhsa_fp16_overflow 0
		.amdhsa_memory_ordered 1
		.amdhsa_forward_progress 1
		.amdhsa_inst_pref_size 0
		.amdhsa_round_robin_scheduling 0
		.amdhsa_exception_fp_ieee_invalid_op 0
		.amdhsa_exception_fp_denorm_src 0
		.amdhsa_exception_fp_ieee_div_zero 0
		.amdhsa_exception_fp_ieee_overflow 0
		.amdhsa_exception_fp_ieee_underflow 0
		.amdhsa_exception_fp_ieee_inexact 0
		.amdhsa_exception_int_div_zero 0
	.end_amdhsa_kernel
	.section	.text._ZN7rocprim17ROCPRIM_400000_NS6detail17trampoline_kernelINS0_14default_configENS1_27scan_by_key_config_selectorIiiEEZZNS1_16scan_by_key_implILNS1_25lookback_scan_determinismE0ELb1ES3_N6thrust23THRUST_200600_302600_NS6detail15normal_iteratorINS9_10device_ptrIiEEEESE_SE_iNS9_10multipliesIiEENS9_8equal_toIiEEiEE10hipError_tPvRmT2_T3_T4_T5_mT6_T7_P12ihipStream_tbENKUlT_T0_E_clISt17integral_constantIbLb0EESZ_EEDaSU_SV_EUlSU_E_NS1_11comp_targetILNS1_3genE10ELNS1_11target_archE1200ELNS1_3gpuE4ELNS1_3repE0EEENS1_30default_config_static_selectorELNS0_4arch9wavefront6targetE0EEEvT1_,"axG",@progbits,_ZN7rocprim17ROCPRIM_400000_NS6detail17trampoline_kernelINS0_14default_configENS1_27scan_by_key_config_selectorIiiEEZZNS1_16scan_by_key_implILNS1_25lookback_scan_determinismE0ELb1ES3_N6thrust23THRUST_200600_302600_NS6detail15normal_iteratorINS9_10device_ptrIiEEEESE_SE_iNS9_10multipliesIiEENS9_8equal_toIiEEiEE10hipError_tPvRmT2_T3_T4_T5_mT6_T7_P12ihipStream_tbENKUlT_T0_E_clISt17integral_constantIbLb0EESZ_EEDaSU_SV_EUlSU_E_NS1_11comp_targetILNS1_3genE10ELNS1_11target_archE1200ELNS1_3gpuE4ELNS1_3repE0EEENS1_30default_config_static_selectorELNS0_4arch9wavefront6targetE0EEEvT1_,comdat
.Lfunc_end503:
	.size	_ZN7rocprim17ROCPRIM_400000_NS6detail17trampoline_kernelINS0_14default_configENS1_27scan_by_key_config_selectorIiiEEZZNS1_16scan_by_key_implILNS1_25lookback_scan_determinismE0ELb1ES3_N6thrust23THRUST_200600_302600_NS6detail15normal_iteratorINS9_10device_ptrIiEEEESE_SE_iNS9_10multipliesIiEENS9_8equal_toIiEEiEE10hipError_tPvRmT2_T3_T4_T5_mT6_T7_P12ihipStream_tbENKUlT_T0_E_clISt17integral_constantIbLb0EESZ_EEDaSU_SV_EUlSU_E_NS1_11comp_targetILNS1_3genE10ELNS1_11target_archE1200ELNS1_3gpuE4ELNS1_3repE0EEENS1_30default_config_static_selectorELNS0_4arch9wavefront6targetE0EEEvT1_, .Lfunc_end503-_ZN7rocprim17ROCPRIM_400000_NS6detail17trampoline_kernelINS0_14default_configENS1_27scan_by_key_config_selectorIiiEEZZNS1_16scan_by_key_implILNS1_25lookback_scan_determinismE0ELb1ES3_N6thrust23THRUST_200600_302600_NS6detail15normal_iteratorINS9_10device_ptrIiEEEESE_SE_iNS9_10multipliesIiEENS9_8equal_toIiEEiEE10hipError_tPvRmT2_T3_T4_T5_mT6_T7_P12ihipStream_tbENKUlT_T0_E_clISt17integral_constantIbLb0EESZ_EEDaSU_SV_EUlSU_E_NS1_11comp_targetILNS1_3genE10ELNS1_11target_archE1200ELNS1_3gpuE4ELNS1_3repE0EEENS1_30default_config_static_selectorELNS0_4arch9wavefront6targetE0EEEvT1_
                                        ; -- End function
	.set _ZN7rocprim17ROCPRIM_400000_NS6detail17trampoline_kernelINS0_14default_configENS1_27scan_by_key_config_selectorIiiEEZZNS1_16scan_by_key_implILNS1_25lookback_scan_determinismE0ELb1ES3_N6thrust23THRUST_200600_302600_NS6detail15normal_iteratorINS9_10device_ptrIiEEEESE_SE_iNS9_10multipliesIiEENS9_8equal_toIiEEiEE10hipError_tPvRmT2_T3_T4_T5_mT6_T7_P12ihipStream_tbENKUlT_T0_E_clISt17integral_constantIbLb0EESZ_EEDaSU_SV_EUlSU_E_NS1_11comp_targetILNS1_3genE10ELNS1_11target_archE1200ELNS1_3gpuE4ELNS1_3repE0EEENS1_30default_config_static_selectorELNS0_4arch9wavefront6targetE0EEEvT1_.num_vgpr, 0
	.set _ZN7rocprim17ROCPRIM_400000_NS6detail17trampoline_kernelINS0_14default_configENS1_27scan_by_key_config_selectorIiiEEZZNS1_16scan_by_key_implILNS1_25lookback_scan_determinismE0ELb1ES3_N6thrust23THRUST_200600_302600_NS6detail15normal_iteratorINS9_10device_ptrIiEEEESE_SE_iNS9_10multipliesIiEENS9_8equal_toIiEEiEE10hipError_tPvRmT2_T3_T4_T5_mT6_T7_P12ihipStream_tbENKUlT_T0_E_clISt17integral_constantIbLb0EESZ_EEDaSU_SV_EUlSU_E_NS1_11comp_targetILNS1_3genE10ELNS1_11target_archE1200ELNS1_3gpuE4ELNS1_3repE0EEENS1_30default_config_static_selectorELNS0_4arch9wavefront6targetE0EEEvT1_.num_agpr, 0
	.set _ZN7rocprim17ROCPRIM_400000_NS6detail17trampoline_kernelINS0_14default_configENS1_27scan_by_key_config_selectorIiiEEZZNS1_16scan_by_key_implILNS1_25lookback_scan_determinismE0ELb1ES3_N6thrust23THRUST_200600_302600_NS6detail15normal_iteratorINS9_10device_ptrIiEEEESE_SE_iNS9_10multipliesIiEENS9_8equal_toIiEEiEE10hipError_tPvRmT2_T3_T4_T5_mT6_T7_P12ihipStream_tbENKUlT_T0_E_clISt17integral_constantIbLb0EESZ_EEDaSU_SV_EUlSU_E_NS1_11comp_targetILNS1_3genE10ELNS1_11target_archE1200ELNS1_3gpuE4ELNS1_3repE0EEENS1_30default_config_static_selectorELNS0_4arch9wavefront6targetE0EEEvT1_.numbered_sgpr, 0
	.set _ZN7rocprim17ROCPRIM_400000_NS6detail17trampoline_kernelINS0_14default_configENS1_27scan_by_key_config_selectorIiiEEZZNS1_16scan_by_key_implILNS1_25lookback_scan_determinismE0ELb1ES3_N6thrust23THRUST_200600_302600_NS6detail15normal_iteratorINS9_10device_ptrIiEEEESE_SE_iNS9_10multipliesIiEENS9_8equal_toIiEEiEE10hipError_tPvRmT2_T3_T4_T5_mT6_T7_P12ihipStream_tbENKUlT_T0_E_clISt17integral_constantIbLb0EESZ_EEDaSU_SV_EUlSU_E_NS1_11comp_targetILNS1_3genE10ELNS1_11target_archE1200ELNS1_3gpuE4ELNS1_3repE0EEENS1_30default_config_static_selectorELNS0_4arch9wavefront6targetE0EEEvT1_.num_named_barrier, 0
	.set _ZN7rocprim17ROCPRIM_400000_NS6detail17trampoline_kernelINS0_14default_configENS1_27scan_by_key_config_selectorIiiEEZZNS1_16scan_by_key_implILNS1_25lookback_scan_determinismE0ELb1ES3_N6thrust23THRUST_200600_302600_NS6detail15normal_iteratorINS9_10device_ptrIiEEEESE_SE_iNS9_10multipliesIiEENS9_8equal_toIiEEiEE10hipError_tPvRmT2_T3_T4_T5_mT6_T7_P12ihipStream_tbENKUlT_T0_E_clISt17integral_constantIbLb0EESZ_EEDaSU_SV_EUlSU_E_NS1_11comp_targetILNS1_3genE10ELNS1_11target_archE1200ELNS1_3gpuE4ELNS1_3repE0EEENS1_30default_config_static_selectorELNS0_4arch9wavefront6targetE0EEEvT1_.private_seg_size, 0
	.set _ZN7rocprim17ROCPRIM_400000_NS6detail17trampoline_kernelINS0_14default_configENS1_27scan_by_key_config_selectorIiiEEZZNS1_16scan_by_key_implILNS1_25lookback_scan_determinismE0ELb1ES3_N6thrust23THRUST_200600_302600_NS6detail15normal_iteratorINS9_10device_ptrIiEEEESE_SE_iNS9_10multipliesIiEENS9_8equal_toIiEEiEE10hipError_tPvRmT2_T3_T4_T5_mT6_T7_P12ihipStream_tbENKUlT_T0_E_clISt17integral_constantIbLb0EESZ_EEDaSU_SV_EUlSU_E_NS1_11comp_targetILNS1_3genE10ELNS1_11target_archE1200ELNS1_3gpuE4ELNS1_3repE0EEENS1_30default_config_static_selectorELNS0_4arch9wavefront6targetE0EEEvT1_.uses_vcc, 0
	.set _ZN7rocprim17ROCPRIM_400000_NS6detail17trampoline_kernelINS0_14default_configENS1_27scan_by_key_config_selectorIiiEEZZNS1_16scan_by_key_implILNS1_25lookback_scan_determinismE0ELb1ES3_N6thrust23THRUST_200600_302600_NS6detail15normal_iteratorINS9_10device_ptrIiEEEESE_SE_iNS9_10multipliesIiEENS9_8equal_toIiEEiEE10hipError_tPvRmT2_T3_T4_T5_mT6_T7_P12ihipStream_tbENKUlT_T0_E_clISt17integral_constantIbLb0EESZ_EEDaSU_SV_EUlSU_E_NS1_11comp_targetILNS1_3genE10ELNS1_11target_archE1200ELNS1_3gpuE4ELNS1_3repE0EEENS1_30default_config_static_selectorELNS0_4arch9wavefront6targetE0EEEvT1_.uses_flat_scratch, 0
	.set _ZN7rocprim17ROCPRIM_400000_NS6detail17trampoline_kernelINS0_14default_configENS1_27scan_by_key_config_selectorIiiEEZZNS1_16scan_by_key_implILNS1_25lookback_scan_determinismE0ELb1ES3_N6thrust23THRUST_200600_302600_NS6detail15normal_iteratorINS9_10device_ptrIiEEEESE_SE_iNS9_10multipliesIiEENS9_8equal_toIiEEiEE10hipError_tPvRmT2_T3_T4_T5_mT6_T7_P12ihipStream_tbENKUlT_T0_E_clISt17integral_constantIbLb0EESZ_EEDaSU_SV_EUlSU_E_NS1_11comp_targetILNS1_3genE10ELNS1_11target_archE1200ELNS1_3gpuE4ELNS1_3repE0EEENS1_30default_config_static_selectorELNS0_4arch9wavefront6targetE0EEEvT1_.has_dyn_sized_stack, 0
	.set _ZN7rocprim17ROCPRIM_400000_NS6detail17trampoline_kernelINS0_14default_configENS1_27scan_by_key_config_selectorIiiEEZZNS1_16scan_by_key_implILNS1_25lookback_scan_determinismE0ELb1ES3_N6thrust23THRUST_200600_302600_NS6detail15normal_iteratorINS9_10device_ptrIiEEEESE_SE_iNS9_10multipliesIiEENS9_8equal_toIiEEiEE10hipError_tPvRmT2_T3_T4_T5_mT6_T7_P12ihipStream_tbENKUlT_T0_E_clISt17integral_constantIbLb0EESZ_EEDaSU_SV_EUlSU_E_NS1_11comp_targetILNS1_3genE10ELNS1_11target_archE1200ELNS1_3gpuE4ELNS1_3repE0EEENS1_30default_config_static_selectorELNS0_4arch9wavefront6targetE0EEEvT1_.has_recursion, 0
	.set _ZN7rocprim17ROCPRIM_400000_NS6detail17trampoline_kernelINS0_14default_configENS1_27scan_by_key_config_selectorIiiEEZZNS1_16scan_by_key_implILNS1_25lookback_scan_determinismE0ELb1ES3_N6thrust23THRUST_200600_302600_NS6detail15normal_iteratorINS9_10device_ptrIiEEEESE_SE_iNS9_10multipliesIiEENS9_8equal_toIiEEiEE10hipError_tPvRmT2_T3_T4_T5_mT6_T7_P12ihipStream_tbENKUlT_T0_E_clISt17integral_constantIbLb0EESZ_EEDaSU_SV_EUlSU_E_NS1_11comp_targetILNS1_3genE10ELNS1_11target_archE1200ELNS1_3gpuE4ELNS1_3repE0EEENS1_30default_config_static_selectorELNS0_4arch9wavefront6targetE0EEEvT1_.has_indirect_call, 0
	.section	.AMDGPU.csdata,"",@progbits
; Kernel info:
; codeLenInByte = 0
; TotalNumSgprs: 0
; NumVgprs: 0
; ScratchSize: 0
; MemoryBound: 0
; FloatMode: 240
; IeeeMode: 1
; LDSByteSize: 0 bytes/workgroup (compile time only)
; SGPRBlocks: 0
; VGPRBlocks: 0
; NumSGPRsForWavesPerEU: 1
; NumVGPRsForWavesPerEU: 1
; NamedBarCnt: 0
; Occupancy: 16
; WaveLimiterHint : 0
; COMPUTE_PGM_RSRC2:SCRATCH_EN: 0
; COMPUTE_PGM_RSRC2:USER_SGPR: 2
; COMPUTE_PGM_RSRC2:TRAP_HANDLER: 0
; COMPUTE_PGM_RSRC2:TGID_X_EN: 1
; COMPUTE_PGM_RSRC2:TGID_Y_EN: 0
; COMPUTE_PGM_RSRC2:TGID_Z_EN: 0
; COMPUTE_PGM_RSRC2:TIDIG_COMP_CNT: 0
	.section	.text._ZN7rocprim17ROCPRIM_400000_NS6detail17trampoline_kernelINS0_14default_configENS1_27scan_by_key_config_selectorIiiEEZZNS1_16scan_by_key_implILNS1_25lookback_scan_determinismE0ELb1ES3_N6thrust23THRUST_200600_302600_NS6detail15normal_iteratorINS9_10device_ptrIiEEEESE_SE_iNS9_10multipliesIiEENS9_8equal_toIiEEiEE10hipError_tPvRmT2_T3_T4_T5_mT6_T7_P12ihipStream_tbENKUlT_T0_E_clISt17integral_constantIbLb0EESZ_EEDaSU_SV_EUlSU_E_NS1_11comp_targetILNS1_3genE9ELNS1_11target_archE1100ELNS1_3gpuE3ELNS1_3repE0EEENS1_30default_config_static_selectorELNS0_4arch9wavefront6targetE0EEEvT1_,"axG",@progbits,_ZN7rocprim17ROCPRIM_400000_NS6detail17trampoline_kernelINS0_14default_configENS1_27scan_by_key_config_selectorIiiEEZZNS1_16scan_by_key_implILNS1_25lookback_scan_determinismE0ELb1ES3_N6thrust23THRUST_200600_302600_NS6detail15normal_iteratorINS9_10device_ptrIiEEEESE_SE_iNS9_10multipliesIiEENS9_8equal_toIiEEiEE10hipError_tPvRmT2_T3_T4_T5_mT6_T7_P12ihipStream_tbENKUlT_T0_E_clISt17integral_constantIbLb0EESZ_EEDaSU_SV_EUlSU_E_NS1_11comp_targetILNS1_3genE9ELNS1_11target_archE1100ELNS1_3gpuE3ELNS1_3repE0EEENS1_30default_config_static_selectorELNS0_4arch9wavefront6targetE0EEEvT1_,comdat
	.protected	_ZN7rocprim17ROCPRIM_400000_NS6detail17trampoline_kernelINS0_14default_configENS1_27scan_by_key_config_selectorIiiEEZZNS1_16scan_by_key_implILNS1_25lookback_scan_determinismE0ELb1ES3_N6thrust23THRUST_200600_302600_NS6detail15normal_iteratorINS9_10device_ptrIiEEEESE_SE_iNS9_10multipliesIiEENS9_8equal_toIiEEiEE10hipError_tPvRmT2_T3_T4_T5_mT6_T7_P12ihipStream_tbENKUlT_T0_E_clISt17integral_constantIbLb0EESZ_EEDaSU_SV_EUlSU_E_NS1_11comp_targetILNS1_3genE9ELNS1_11target_archE1100ELNS1_3gpuE3ELNS1_3repE0EEENS1_30default_config_static_selectorELNS0_4arch9wavefront6targetE0EEEvT1_ ; -- Begin function _ZN7rocprim17ROCPRIM_400000_NS6detail17trampoline_kernelINS0_14default_configENS1_27scan_by_key_config_selectorIiiEEZZNS1_16scan_by_key_implILNS1_25lookback_scan_determinismE0ELb1ES3_N6thrust23THRUST_200600_302600_NS6detail15normal_iteratorINS9_10device_ptrIiEEEESE_SE_iNS9_10multipliesIiEENS9_8equal_toIiEEiEE10hipError_tPvRmT2_T3_T4_T5_mT6_T7_P12ihipStream_tbENKUlT_T0_E_clISt17integral_constantIbLb0EESZ_EEDaSU_SV_EUlSU_E_NS1_11comp_targetILNS1_3genE9ELNS1_11target_archE1100ELNS1_3gpuE3ELNS1_3repE0EEENS1_30default_config_static_selectorELNS0_4arch9wavefront6targetE0EEEvT1_
	.globl	_ZN7rocprim17ROCPRIM_400000_NS6detail17trampoline_kernelINS0_14default_configENS1_27scan_by_key_config_selectorIiiEEZZNS1_16scan_by_key_implILNS1_25lookback_scan_determinismE0ELb1ES3_N6thrust23THRUST_200600_302600_NS6detail15normal_iteratorINS9_10device_ptrIiEEEESE_SE_iNS9_10multipliesIiEENS9_8equal_toIiEEiEE10hipError_tPvRmT2_T3_T4_T5_mT6_T7_P12ihipStream_tbENKUlT_T0_E_clISt17integral_constantIbLb0EESZ_EEDaSU_SV_EUlSU_E_NS1_11comp_targetILNS1_3genE9ELNS1_11target_archE1100ELNS1_3gpuE3ELNS1_3repE0EEENS1_30default_config_static_selectorELNS0_4arch9wavefront6targetE0EEEvT1_
	.p2align	8
	.type	_ZN7rocprim17ROCPRIM_400000_NS6detail17trampoline_kernelINS0_14default_configENS1_27scan_by_key_config_selectorIiiEEZZNS1_16scan_by_key_implILNS1_25lookback_scan_determinismE0ELb1ES3_N6thrust23THRUST_200600_302600_NS6detail15normal_iteratorINS9_10device_ptrIiEEEESE_SE_iNS9_10multipliesIiEENS9_8equal_toIiEEiEE10hipError_tPvRmT2_T3_T4_T5_mT6_T7_P12ihipStream_tbENKUlT_T0_E_clISt17integral_constantIbLb0EESZ_EEDaSU_SV_EUlSU_E_NS1_11comp_targetILNS1_3genE9ELNS1_11target_archE1100ELNS1_3gpuE3ELNS1_3repE0EEENS1_30default_config_static_selectorELNS0_4arch9wavefront6targetE0EEEvT1_,@function
_ZN7rocprim17ROCPRIM_400000_NS6detail17trampoline_kernelINS0_14default_configENS1_27scan_by_key_config_selectorIiiEEZZNS1_16scan_by_key_implILNS1_25lookback_scan_determinismE0ELb1ES3_N6thrust23THRUST_200600_302600_NS6detail15normal_iteratorINS9_10device_ptrIiEEEESE_SE_iNS9_10multipliesIiEENS9_8equal_toIiEEiEE10hipError_tPvRmT2_T3_T4_T5_mT6_T7_P12ihipStream_tbENKUlT_T0_E_clISt17integral_constantIbLb0EESZ_EEDaSU_SV_EUlSU_E_NS1_11comp_targetILNS1_3genE9ELNS1_11target_archE1100ELNS1_3gpuE3ELNS1_3repE0EEENS1_30default_config_static_selectorELNS0_4arch9wavefront6targetE0EEEvT1_: ; @_ZN7rocprim17ROCPRIM_400000_NS6detail17trampoline_kernelINS0_14default_configENS1_27scan_by_key_config_selectorIiiEEZZNS1_16scan_by_key_implILNS1_25lookback_scan_determinismE0ELb1ES3_N6thrust23THRUST_200600_302600_NS6detail15normal_iteratorINS9_10device_ptrIiEEEESE_SE_iNS9_10multipliesIiEENS9_8equal_toIiEEiEE10hipError_tPvRmT2_T3_T4_T5_mT6_T7_P12ihipStream_tbENKUlT_T0_E_clISt17integral_constantIbLb0EESZ_EEDaSU_SV_EUlSU_E_NS1_11comp_targetILNS1_3genE9ELNS1_11target_archE1100ELNS1_3gpuE3ELNS1_3repE0EEENS1_30default_config_static_selectorELNS0_4arch9wavefront6targetE0EEEvT1_
; %bb.0:
	.section	.rodata,"a",@progbits
	.p2align	6, 0x0
	.amdhsa_kernel _ZN7rocprim17ROCPRIM_400000_NS6detail17trampoline_kernelINS0_14default_configENS1_27scan_by_key_config_selectorIiiEEZZNS1_16scan_by_key_implILNS1_25lookback_scan_determinismE0ELb1ES3_N6thrust23THRUST_200600_302600_NS6detail15normal_iteratorINS9_10device_ptrIiEEEESE_SE_iNS9_10multipliesIiEENS9_8equal_toIiEEiEE10hipError_tPvRmT2_T3_T4_T5_mT6_T7_P12ihipStream_tbENKUlT_T0_E_clISt17integral_constantIbLb0EESZ_EEDaSU_SV_EUlSU_E_NS1_11comp_targetILNS1_3genE9ELNS1_11target_archE1100ELNS1_3gpuE3ELNS1_3repE0EEENS1_30default_config_static_selectorELNS0_4arch9wavefront6targetE0EEEvT1_
		.amdhsa_group_segment_fixed_size 0
		.amdhsa_private_segment_fixed_size 0
		.amdhsa_kernarg_size 112
		.amdhsa_user_sgpr_count 2
		.amdhsa_user_sgpr_dispatch_ptr 0
		.amdhsa_user_sgpr_queue_ptr 0
		.amdhsa_user_sgpr_kernarg_segment_ptr 1
		.amdhsa_user_sgpr_dispatch_id 0
		.amdhsa_user_sgpr_kernarg_preload_length 0
		.amdhsa_user_sgpr_kernarg_preload_offset 0
		.amdhsa_user_sgpr_private_segment_size 0
		.amdhsa_wavefront_size32 1
		.amdhsa_uses_dynamic_stack 0
		.amdhsa_enable_private_segment 0
		.amdhsa_system_sgpr_workgroup_id_x 1
		.amdhsa_system_sgpr_workgroup_id_y 0
		.amdhsa_system_sgpr_workgroup_id_z 0
		.amdhsa_system_sgpr_workgroup_info 0
		.amdhsa_system_vgpr_workitem_id 0
		.amdhsa_next_free_vgpr 1
		.amdhsa_next_free_sgpr 1
		.amdhsa_named_barrier_count 0
		.amdhsa_reserve_vcc 0
		.amdhsa_float_round_mode_32 0
		.amdhsa_float_round_mode_16_64 0
		.amdhsa_float_denorm_mode_32 3
		.amdhsa_float_denorm_mode_16_64 3
		.amdhsa_fp16_overflow 0
		.amdhsa_memory_ordered 1
		.amdhsa_forward_progress 1
		.amdhsa_inst_pref_size 0
		.amdhsa_round_robin_scheduling 0
		.amdhsa_exception_fp_ieee_invalid_op 0
		.amdhsa_exception_fp_denorm_src 0
		.amdhsa_exception_fp_ieee_div_zero 0
		.amdhsa_exception_fp_ieee_overflow 0
		.amdhsa_exception_fp_ieee_underflow 0
		.amdhsa_exception_fp_ieee_inexact 0
		.amdhsa_exception_int_div_zero 0
	.end_amdhsa_kernel
	.section	.text._ZN7rocprim17ROCPRIM_400000_NS6detail17trampoline_kernelINS0_14default_configENS1_27scan_by_key_config_selectorIiiEEZZNS1_16scan_by_key_implILNS1_25lookback_scan_determinismE0ELb1ES3_N6thrust23THRUST_200600_302600_NS6detail15normal_iteratorINS9_10device_ptrIiEEEESE_SE_iNS9_10multipliesIiEENS9_8equal_toIiEEiEE10hipError_tPvRmT2_T3_T4_T5_mT6_T7_P12ihipStream_tbENKUlT_T0_E_clISt17integral_constantIbLb0EESZ_EEDaSU_SV_EUlSU_E_NS1_11comp_targetILNS1_3genE9ELNS1_11target_archE1100ELNS1_3gpuE3ELNS1_3repE0EEENS1_30default_config_static_selectorELNS0_4arch9wavefront6targetE0EEEvT1_,"axG",@progbits,_ZN7rocprim17ROCPRIM_400000_NS6detail17trampoline_kernelINS0_14default_configENS1_27scan_by_key_config_selectorIiiEEZZNS1_16scan_by_key_implILNS1_25lookback_scan_determinismE0ELb1ES3_N6thrust23THRUST_200600_302600_NS6detail15normal_iteratorINS9_10device_ptrIiEEEESE_SE_iNS9_10multipliesIiEENS9_8equal_toIiEEiEE10hipError_tPvRmT2_T3_T4_T5_mT6_T7_P12ihipStream_tbENKUlT_T0_E_clISt17integral_constantIbLb0EESZ_EEDaSU_SV_EUlSU_E_NS1_11comp_targetILNS1_3genE9ELNS1_11target_archE1100ELNS1_3gpuE3ELNS1_3repE0EEENS1_30default_config_static_selectorELNS0_4arch9wavefront6targetE0EEEvT1_,comdat
.Lfunc_end504:
	.size	_ZN7rocprim17ROCPRIM_400000_NS6detail17trampoline_kernelINS0_14default_configENS1_27scan_by_key_config_selectorIiiEEZZNS1_16scan_by_key_implILNS1_25lookback_scan_determinismE0ELb1ES3_N6thrust23THRUST_200600_302600_NS6detail15normal_iteratorINS9_10device_ptrIiEEEESE_SE_iNS9_10multipliesIiEENS9_8equal_toIiEEiEE10hipError_tPvRmT2_T3_T4_T5_mT6_T7_P12ihipStream_tbENKUlT_T0_E_clISt17integral_constantIbLb0EESZ_EEDaSU_SV_EUlSU_E_NS1_11comp_targetILNS1_3genE9ELNS1_11target_archE1100ELNS1_3gpuE3ELNS1_3repE0EEENS1_30default_config_static_selectorELNS0_4arch9wavefront6targetE0EEEvT1_, .Lfunc_end504-_ZN7rocprim17ROCPRIM_400000_NS6detail17trampoline_kernelINS0_14default_configENS1_27scan_by_key_config_selectorIiiEEZZNS1_16scan_by_key_implILNS1_25lookback_scan_determinismE0ELb1ES3_N6thrust23THRUST_200600_302600_NS6detail15normal_iteratorINS9_10device_ptrIiEEEESE_SE_iNS9_10multipliesIiEENS9_8equal_toIiEEiEE10hipError_tPvRmT2_T3_T4_T5_mT6_T7_P12ihipStream_tbENKUlT_T0_E_clISt17integral_constantIbLb0EESZ_EEDaSU_SV_EUlSU_E_NS1_11comp_targetILNS1_3genE9ELNS1_11target_archE1100ELNS1_3gpuE3ELNS1_3repE0EEENS1_30default_config_static_selectorELNS0_4arch9wavefront6targetE0EEEvT1_
                                        ; -- End function
	.set _ZN7rocprim17ROCPRIM_400000_NS6detail17trampoline_kernelINS0_14default_configENS1_27scan_by_key_config_selectorIiiEEZZNS1_16scan_by_key_implILNS1_25lookback_scan_determinismE0ELb1ES3_N6thrust23THRUST_200600_302600_NS6detail15normal_iteratorINS9_10device_ptrIiEEEESE_SE_iNS9_10multipliesIiEENS9_8equal_toIiEEiEE10hipError_tPvRmT2_T3_T4_T5_mT6_T7_P12ihipStream_tbENKUlT_T0_E_clISt17integral_constantIbLb0EESZ_EEDaSU_SV_EUlSU_E_NS1_11comp_targetILNS1_3genE9ELNS1_11target_archE1100ELNS1_3gpuE3ELNS1_3repE0EEENS1_30default_config_static_selectorELNS0_4arch9wavefront6targetE0EEEvT1_.num_vgpr, 0
	.set _ZN7rocprim17ROCPRIM_400000_NS6detail17trampoline_kernelINS0_14default_configENS1_27scan_by_key_config_selectorIiiEEZZNS1_16scan_by_key_implILNS1_25lookback_scan_determinismE0ELb1ES3_N6thrust23THRUST_200600_302600_NS6detail15normal_iteratorINS9_10device_ptrIiEEEESE_SE_iNS9_10multipliesIiEENS9_8equal_toIiEEiEE10hipError_tPvRmT2_T3_T4_T5_mT6_T7_P12ihipStream_tbENKUlT_T0_E_clISt17integral_constantIbLb0EESZ_EEDaSU_SV_EUlSU_E_NS1_11comp_targetILNS1_3genE9ELNS1_11target_archE1100ELNS1_3gpuE3ELNS1_3repE0EEENS1_30default_config_static_selectorELNS0_4arch9wavefront6targetE0EEEvT1_.num_agpr, 0
	.set _ZN7rocprim17ROCPRIM_400000_NS6detail17trampoline_kernelINS0_14default_configENS1_27scan_by_key_config_selectorIiiEEZZNS1_16scan_by_key_implILNS1_25lookback_scan_determinismE0ELb1ES3_N6thrust23THRUST_200600_302600_NS6detail15normal_iteratorINS9_10device_ptrIiEEEESE_SE_iNS9_10multipliesIiEENS9_8equal_toIiEEiEE10hipError_tPvRmT2_T3_T4_T5_mT6_T7_P12ihipStream_tbENKUlT_T0_E_clISt17integral_constantIbLb0EESZ_EEDaSU_SV_EUlSU_E_NS1_11comp_targetILNS1_3genE9ELNS1_11target_archE1100ELNS1_3gpuE3ELNS1_3repE0EEENS1_30default_config_static_selectorELNS0_4arch9wavefront6targetE0EEEvT1_.numbered_sgpr, 0
	.set _ZN7rocprim17ROCPRIM_400000_NS6detail17trampoline_kernelINS0_14default_configENS1_27scan_by_key_config_selectorIiiEEZZNS1_16scan_by_key_implILNS1_25lookback_scan_determinismE0ELb1ES3_N6thrust23THRUST_200600_302600_NS6detail15normal_iteratorINS9_10device_ptrIiEEEESE_SE_iNS9_10multipliesIiEENS9_8equal_toIiEEiEE10hipError_tPvRmT2_T3_T4_T5_mT6_T7_P12ihipStream_tbENKUlT_T0_E_clISt17integral_constantIbLb0EESZ_EEDaSU_SV_EUlSU_E_NS1_11comp_targetILNS1_3genE9ELNS1_11target_archE1100ELNS1_3gpuE3ELNS1_3repE0EEENS1_30default_config_static_selectorELNS0_4arch9wavefront6targetE0EEEvT1_.num_named_barrier, 0
	.set _ZN7rocprim17ROCPRIM_400000_NS6detail17trampoline_kernelINS0_14default_configENS1_27scan_by_key_config_selectorIiiEEZZNS1_16scan_by_key_implILNS1_25lookback_scan_determinismE0ELb1ES3_N6thrust23THRUST_200600_302600_NS6detail15normal_iteratorINS9_10device_ptrIiEEEESE_SE_iNS9_10multipliesIiEENS9_8equal_toIiEEiEE10hipError_tPvRmT2_T3_T4_T5_mT6_T7_P12ihipStream_tbENKUlT_T0_E_clISt17integral_constantIbLb0EESZ_EEDaSU_SV_EUlSU_E_NS1_11comp_targetILNS1_3genE9ELNS1_11target_archE1100ELNS1_3gpuE3ELNS1_3repE0EEENS1_30default_config_static_selectorELNS0_4arch9wavefront6targetE0EEEvT1_.private_seg_size, 0
	.set _ZN7rocprim17ROCPRIM_400000_NS6detail17trampoline_kernelINS0_14default_configENS1_27scan_by_key_config_selectorIiiEEZZNS1_16scan_by_key_implILNS1_25lookback_scan_determinismE0ELb1ES3_N6thrust23THRUST_200600_302600_NS6detail15normal_iteratorINS9_10device_ptrIiEEEESE_SE_iNS9_10multipliesIiEENS9_8equal_toIiEEiEE10hipError_tPvRmT2_T3_T4_T5_mT6_T7_P12ihipStream_tbENKUlT_T0_E_clISt17integral_constantIbLb0EESZ_EEDaSU_SV_EUlSU_E_NS1_11comp_targetILNS1_3genE9ELNS1_11target_archE1100ELNS1_3gpuE3ELNS1_3repE0EEENS1_30default_config_static_selectorELNS0_4arch9wavefront6targetE0EEEvT1_.uses_vcc, 0
	.set _ZN7rocprim17ROCPRIM_400000_NS6detail17trampoline_kernelINS0_14default_configENS1_27scan_by_key_config_selectorIiiEEZZNS1_16scan_by_key_implILNS1_25lookback_scan_determinismE0ELb1ES3_N6thrust23THRUST_200600_302600_NS6detail15normal_iteratorINS9_10device_ptrIiEEEESE_SE_iNS9_10multipliesIiEENS9_8equal_toIiEEiEE10hipError_tPvRmT2_T3_T4_T5_mT6_T7_P12ihipStream_tbENKUlT_T0_E_clISt17integral_constantIbLb0EESZ_EEDaSU_SV_EUlSU_E_NS1_11comp_targetILNS1_3genE9ELNS1_11target_archE1100ELNS1_3gpuE3ELNS1_3repE0EEENS1_30default_config_static_selectorELNS0_4arch9wavefront6targetE0EEEvT1_.uses_flat_scratch, 0
	.set _ZN7rocprim17ROCPRIM_400000_NS6detail17trampoline_kernelINS0_14default_configENS1_27scan_by_key_config_selectorIiiEEZZNS1_16scan_by_key_implILNS1_25lookback_scan_determinismE0ELb1ES3_N6thrust23THRUST_200600_302600_NS6detail15normal_iteratorINS9_10device_ptrIiEEEESE_SE_iNS9_10multipliesIiEENS9_8equal_toIiEEiEE10hipError_tPvRmT2_T3_T4_T5_mT6_T7_P12ihipStream_tbENKUlT_T0_E_clISt17integral_constantIbLb0EESZ_EEDaSU_SV_EUlSU_E_NS1_11comp_targetILNS1_3genE9ELNS1_11target_archE1100ELNS1_3gpuE3ELNS1_3repE0EEENS1_30default_config_static_selectorELNS0_4arch9wavefront6targetE0EEEvT1_.has_dyn_sized_stack, 0
	.set _ZN7rocprim17ROCPRIM_400000_NS6detail17trampoline_kernelINS0_14default_configENS1_27scan_by_key_config_selectorIiiEEZZNS1_16scan_by_key_implILNS1_25lookback_scan_determinismE0ELb1ES3_N6thrust23THRUST_200600_302600_NS6detail15normal_iteratorINS9_10device_ptrIiEEEESE_SE_iNS9_10multipliesIiEENS9_8equal_toIiEEiEE10hipError_tPvRmT2_T3_T4_T5_mT6_T7_P12ihipStream_tbENKUlT_T0_E_clISt17integral_constantIbLb0EESZ_EEDaSU_SV_EUlSU_E_NS1_11comp_targetILNS1_3genE9ELNS1_11target_archE1100ELNS1_3gpuE3ELNS1_3repE0EEENS1_30default_config_static_selectorELNS0_4arch9wavefront6targetE0EEEvT1_.has_recursion, 0
	.set _ZN7rocprim17ROCPRIM_400000_NS6detail17trampoline_kernelINS0_14default_configENS1_27scan_by_key_config_selectorIiiEEZZNS1_16scan_by_key_implILNS1_25lookback_scan_determinismE0ELb1ES3_N6thrust23THRUST_200600_302600_NS6detail15normal_iteratorINS9_10device_ptrIiEEEESE_SE_iNS9_10multipliesIiEENS9_8equal_toIiEEiEE10hipError_tPvRmT2_T3_T4_T5_mT6_T7_P12ihipStream_tbENKUlT_T0_E_clISt17integral_constantIbLb0EESZ_EEDaSU_SV_EUlSU_E_NS1_11comp_targetILNS1_3genE9ELNS1_11target_archE1100ELNS1_3gpuE3ELNS1_3repE0EEENS1_30default_config_static_selectorELNS0_4arch9wavefront6targetE0EEEvT1_.has_indirect_call, 0
	.section	.AMDGPU.csdata,"",@progbits
; Kernel info:
; codeLenInByte = 0
; TotalNumSgprs: 0
; NumVgprs: 0
; ScratchSize: 0
; MemoryBound: 0
; FloatMode: 240
; IeeeMode: 1
; LDSByteSize: 0 bytes/workgroup (compile time only)
; SGPRBlocks: 0
; VGPRBlocks: 0
; NumSGPRsForWavesPerEU: 1
; NumVGPRsForWavesPerEU: 1
; NamedBarCnt: 0
; Occupancy: 16
; WaveLimiterHint : 0
; COMPUTE_PGM_RSRC2:SCRATCH_EN: 0
; COMPUTE_PGM_RSRC2:USER_SGPR: 2
; COMPUTE_PGM_RSRC2:TRAP_HANDLER: 0
; COMPUTE_PGM_RSRC2:TGID_X_EN: 1
; COMPUTE_PGM_RSRC2:TGID_Y_EN: 0
; COMPUTE_PGM_RSRC2:TGID_Z_EN: 0
; COMPUTE_PGM_RSRC2:TIDIG_COMP_CNT: 0
	.section	.text._ZN7rocprim17ROCPRIM_400000_NS6detail17trampoline_kernelINS0_14default_configENS1_27scan_by_key_config_selectorIiiEEZZNS1_16scan_by_key_implILNS1_25lookback_scan_determinismE0ELb1ES3_N6thrust23THRUST_200600_302600_NS6detail15normal_iteratorINS9_10device_ptrIiEEEESE_SE_iNS9_10multipliesIiEENS9_8equal_toIiEEiEE10hipError_tPvRmT2_T3_T4_T5_mT6_T7_P12ihipStream_tbENKUlT_T0_E_clISt17integral_constantIbLb0EESZ_EEDaSU_SV_EUlSU_E_NS1_11comp_targetILNS1_3genE8ELNS1_11target_archE1030ELNS1_3gpuE2ELNS1_3repE0EEENS1_30default_config_static_selectorELNS0_4arch9wavefront6targetE0EEEvT1_,"axG",@progbits,_ZN7rocprim17ROCPRIM_400000_NS6detail17trampoline_kernelINS0_14default_configENS1_27scan_by_key_config_selectorIiiEEZZNS1_16scan_by_key_implILNS1_25lookback_scan_determinismE0ELb1ES3_N6thrust23THRUST_200600_302600_NS6detail15normal_iteratorINS9_10device_ptrIiEEEESE_SE_iNS9_10multipliesIiEENS9_8equal_toIiEEiEE10hipError_tPvRmT2_T3_T4_T5_mT6_T7_P12ihipStream_tbENKUlT_T0_E_clISt17integral_constantIbLb0EESZ_EEDaSU_SV_EUlSU_E_NS1_11comp_targetILNS1_3genE8ELNS1_11target_archE1030ELNS1_3gpuE2ELNS1_3repE0EEENS1_30default_config_static_selectorELNS0_4arch9wavefront6targetE0EEEvT1_,comdat
	.protected	_ZN7rocprim17ROCPRIM_400000_NS6detail17trampoline_kernelINS0_14default_configENS1_27scan_by_key_config_selectorIiiEEZZNS1_16scan_by_key_implILNS1_25lookback_scan_determinismE0ELb1ES3_N6thrust23THRUST_200600_302600_NS6detail15normal_iteratorINS9_10device_ptrIiEEEESE_SE_iNS9_10multipliesIiEENS9_8equal_toIiEEiEE10hipError_tPvRmT2_T3_T4_T5_mT6_T7_P12ihipStream_tbENKUlT_T0_E_clISt17integral_constantIbLb0EESZ_EEDaSU_SV_EUlSU_E_NS1_11comp_targetILNS1_3genE8ELNS1_11target_archE1030ELNS1_3gpuE2ELNS1_3repE0EEENS1_30default_config_static_selectorELNS0_4arch9wavefront6targetE0EEEvT1_ ; -- Begin function _ZN7rocprim17ROCPRIM_400000_NS6detail17trampoline_kernelINS0_14default_configENS1_27scan_by_key_config_selectorIiiEEZZNS1_16scan_by_key_implILNS1_25lookback_scan_determinismE0ELb1ES3_N6thrust23THRUST_200600_302600_NS6detail15normal_iteratorINS9_10device_ptrIiEEEESE_SE_iNS9_10multipliesIiEENS9_8equal_toIiEEiEE10hipError_tPvRmT2_T3_T4_T5_mT6_T7_P12ihipStream_tbENKUlT_T0_E_clISt17integral_constantIbLb0EESZ_EEDaSU_SV_EUlSU_E_NS1_11comp_targetILNS1_3genE8ELNS1_11target_archE1030ELNS1_3gpuE2ELNS1_3repE0EEENS1_30default_config_static_selectorELNS0_4arch9wavefront6targetE0EEEvT1_
	.globl	_ZN7rocprim17ROCPRIM_400000_NS6detail17trampoline_kernelINS0_14default_configENS1_27scan_by_key_config_selectorIiiEEZZNS1_16scan_by_key_implILNS1_25lookback_scan_determinismE0ELb1ES3_N6thrust23THRUST_200600_302600_NS6detail15normal_iteratorINS9_10device_ptrIiEEEESE_SE_iNS9_10multipliesIiEENS9_8equal_toIiEEiEE10hipError_tPvRmT2_T3_T4_T5_mT6_T7_P12ihipStream_tbENKUlT_T0_E_clISt17integral_constantIbLb0EESZ_EEDaSU_SV_EUlSU_E_NS1_11comp_targetILNS1_3genE8ELNS1_11target_archE1030ELNS1_3gpuE2ELNS1_3repE0EEENS1_30default_config_static_selectorELNS0_4arch9wavefront6targetE0EEEvT1_
	.p2align	8
	.type	_ZN7rocprim17ROCPRIM_400000_NS6detail17trampoline_kernelINS0_14default_configENS1_27scan_by_key_config_selectorIiiEEZZNS1_16scan_by_key_implILNS1_25lookback_scan_determinismE0ELb1ES3_N6thrust23THRUST_200600_302600_NS6detail15normal_iteratorINS9_10device_ptrIiEEEESE_SE_iNS9_10multipliesIiEENS9_8equal_toIiEEiEE10hipError_tPvRmT2_T3_T4_T5_mT6_T7_P12ihipStream_tbENKUlT_T0_E_clISt17integral_constantIbLb0EESZ_EEDaSU_SV_EUlSU_E_NS1_11comp_targetILNS1_3genE8ELNS1_11target_archE1030ELNS1_3gpuE2ELNS1_3repE0EEENS1_30default_config_static_selectorELNS0_4arch9wavefront6targetE0EEEvT1_,@function
_ZN7rocprim17ROCPRIM_400000_NS6detail17trampoline_kernelINS0_14default_configENS1_27scan_by_key_config_selectorIiiEEZZNS1_16scan_by_key_implILNS1_25lookback_scan_determinismE0ELb1ES3_N6thrust23THRUST_200600_302600_NS6detail15normal_iteratorINS9_10device_ptrIiEEEESE_SE_iNS9_10multipliesIiEENS9_8equal_toIiEEiEE10hipError_tPvRmT2_T3_T4_T5_mT6_T7_P12ihipStream_tbENKUlT_T0_E_clISt17integral_constantIbLb0EESZ_EEDaSU_SV_EUlSU_E_NS1_11comp_targetILNS1_3genE8ELNS1_11target_archE1030ELNS1_3gpuE2ELNS1_3repE0EEENS1_30default_config_static_selectorELNS0_4arch9wavefront6targetE0EEEvT1_: ; @_ZN7rocprim17ROCPRIM_400000_NS6detail17trampoline_kernelINS0_14default_configENS1_27scan_by_key_config_selectorIiiEEZZNS1_16scan_by_key_implILNS1_25lookback_scan_determinismE0ELb1ES3_N6thrust23THRUST_200600_302600_NS6detail15normal_iteratorINS9_10device_ptrIiEEEESE_SE_iNS9_10multipliesIiEENS9_8equal_toIiEEiEE10hipError_tPvRmT2_T3_T4_T5_mT6_T7_P12ihipStream_tbENKUlT_T0_E_clISt17integral_constantIbLb0EESZ_EEDaSU_SV_EUlSU_E_NS1_11comp_targetILNS1_3genE8ELNS1_11target_archE1030ELNS1_3gpuE2ELNS1_3repE0EEENS1_30default_config_static_selectorELNS0_4arch9wavefront6targetE0EEEvT1_
; %bb.0:
	.section	.rodata,"a",@progbits
	.p2align	6, 0x0
	.amdhsa_kernel _ZN7rocprim17ROCPRIM_400000_NS6detail17trampoline_kernelINS0_14default_configENS1_27scan_by_key_config_selectorIiiEEZZNS1_16scan_by_key_implILNS1_25lookback_scan_determinismE0ELb1ES3_N6thrust23THRUST_200600_302600_NS6detail15normal_iteratorINS9_10device_ptrIiEEEESE_SE_iNS9_10multipliesIiEENS9_8equal_toIiEEiEE10hipError_tPvRmT2_T3_T4_T5_mT6_T7_P12ihipStream_tbENKUlT_T0_E_clISt17integral_constantIbLb0EESZ_EEDaSU_SV_EUlSU_E_NS1_11comp_targetILNS1_3genE8ELNS1_11target_archE1030ELNS1_3gpuE2ELNS1_3repE0EEENS1_30default_config_static_selectorELNS0_4arch9wavefront6targetE0EEEvT1_
		.amdhsa_group_segment_fixed_size 0
		.amdhsa_private_segment_fixed_size 0
		.amdhsa_kernarg_size 112
		.amdhsa_user_sgpr_count 2
		.amdhsa_user_sgpr_dispatch_ptr 0
		.amdhsa_user_sgpr_queue_ptr 0
		.amdhsa_user_sgpr_kernarg_segment_ptr 1
		.amdhsa_user_sgpr_dispatch_id 0
		.amdhsa_user_sgpr_kernarg_preload_length 0
		.amdhsa_user_sgpr_kernarg_preload_offset 0
		.amdhsa_user_sgpr_private_segment_size 0
		.amdhsa_wavefront_size32 1
		.amdhsa_uses_dynamic_stack 0
		.amdhsa_enable_private_segment 0
		.amdhsa_system_sgpr_workgroup_id_x 1
		.amdhsa_system_sgpr_workgroup_id_y 0
		.amdhsa_system_sgpr_workgroup_id_z 0
		.amdhsa_system_sgpr_workgroup_info 0
		.amdhsa_system_vgpr_workitem_id 0
		.amdhsa_next_free_vgpr 1
		.amdhsa_next_free_sgpr 1
		.amdhsa_named_barrier_count 0
		.amdhsa_reserve_vcc 0
		.amdhsa_float_round_mode_32 0
		.amdhsa_float_round_mode_16_64 0
		.amdhsa_float_denorm_mode_32 3
		.amdhsa_float_denorm_mode_16_64 3
		.amdhsa_fp16_overflow 0
		.amdhsa_memory_ordered 1
		.amdhsa_forward_progress 1
		.amdhsa_inst_pref_size 0
		.amdhsa_round_robin_scheduling 0
		.amdhsa_exception_fp_ieee_invalid_op 0
		.amdhsa_exception_fp_denorm_src 0
		.amdhsa_exception_fp_ieee_div_zero 0
		.amdhsa_exception_fp_ieee_overflow 0
		.amdhsa_exception_fp_ieee_underflow 0
		.amdhsa_exception_fp_ieee_inexact 0
		.amdhsa_exception_int_div_zero 0
	.end_amdhsa_kernel
	.section	.text._ZN7rocprim17ROCPRIM_400000_NS6detail17trampoline_kernelINS0_14default_configENS1_27scan_by_key_config_selectorIiiEEZZNS1_16scan_by_key_implILNS1_25lookback_scan_determinismE0ELb1ES3_N6thrust23THRUST_200600_302600_NS6detail15normal_iteratorINS9_10device_ptrIiEEEESE_SE_iNS9_10multipliesIiEENS9_8equal_toIiEEiEE10hipError_tPvRmT2_T3_T4_T5_mT6_T7_P12ihipStream_tbENKUlT_T0_E_clISt17integral_constantIbLb0EESZ_EEDaSU_SV_EUlSU_E_NS1_11comp_targetILNS1_3genE8ELNS1_11target_archE1030ELNS1_3gpuE2ELNS1_3repE0EEENS1_30default_config_static_selectorELNS0_4arch9wavefront6targetE0EEEvT1_,"axG",@progbits,_ZN7rocprim17ROCPRIM_400000_NS6detail17trampoline_kernelINS0_14default_configENS1_27scan_by_key_config_selectorIiiEEZZNS1_16scan_by_key_implILNS1_25lookback_scan_determinismE0ELb1ES3_N6thrust23THRUST_200600_302600_NS6detail15normal_iteratorINS9_10device_ptrIiEEEESE_SE_iNS9_10multipliesIiEENS9_8equal_toIiEEiEE10hipError_tPvRmT2_T3_T4_T5_mT6_T7_P12ihipStream_tbENKUlT_T0_E_clISt17integral_constantIbLb0EESZ_EEDaSU_SV_EUlSU_E_NS1_11comp_targetILNS1_3genE8ELNS1_11target_archE1030ELNS1_3gpuE2ELNS1_3repE0EEENS1_30default_config_static_selectorELNS0_4arch9wavefront6targetE0EEEvT1_,comdat
.Lfunc_end505:
	.size	_ZN7rocprim17ROCPRIM_400000_NS6detail17trampoline_kernelINS0_14default_configENS1_27scan_by_key_config_selectorIiiEEZZNS1_16scan_by_key_implILNS1_25lookback_scan_determinismE0ELb1ES3_N6thrust23THRUST_200600_302600_NS6detail15normal_iteratorINS9_10device_ptrIiEEEESE_SE_iNS9_10multipliesIiEENS9_8equal_toIiEEiEE10hipError_tPvRmT2_T3_T4_T5_mT6_T7_P12ihipStream_tbENKUlT_T0_E_clISt17integral_constantIbLb0EESZ_EEDaSU_SV_EUlSU_E_NS1_11comp_targetILNS1_3genE8ELNS1_11target_archE1030ELNS1_3gpuE2ELNS1_3repE0EEENS1_30default_config_static_selectorELNS0_4arch9wavefront6targetE0EEEvT1_, .Lfunc_end505-_ZN7rocprim17ROCPRIM_400000_NS6detail17trampoline_kernelINS0_14default_configENS1_27scan_by_key_config_selectorIiiEEZZNS1_16scan_by_key_implILNS1_25lookback_scan_determinismE0ELb1ES3_N6thrust23THRUST_200600_302600_NS6detail15normal_iteratorINS9_10device_ptrIiEEEESE_SE_iNS9_10multipliesIiEENS9_8equal_toIiEEiEE10hipError_tPvRmT2_T3_T4_T5_mT6_T7_P12ihipStream_tbENKUlT_T0_E_clISt17integral_constantIbLb0EESZ_EEDaSU_SV_EUlSU_E_NS1_11comp_targetILNS1_3genE8ELNS1_11target_archE1030ELNS1_3gpuE2ELNS1_3repE0EEENS1_30default_config_static_selectorELNS0_4arch9wavefront6targetE0EEEvT1_
                                        ; -- End function
	.set _ZN7rocprim17ROCPRIM_400000_NS6detail17trampoline_kernelINS0_14default_configENS1_27scan_by_key_config_selectorIiiEEZZNS1_16scan_by_key_implILNS1_25lookback_scan_determinismE0ELb1ES3_N6thrust23THRUST_200600_302600_NS6detail15normal_iteratorINS9_10device_ptrIiEEEESE_SE_iNS9_10multipliesIiEENS9_8equal_toIiEEiEE10hipError_tPvRmT2_T3_T4_T5_mT6_T7_P12ihipStream_tbENKUlT_T0_E_clISt17integral_constantIbLb0EESZ_EEDaSU_SV_EUlSU_E_NS1_11comp_targetILNS1_3genE8ELNS1_11target_archE1030ELNS1_3gpuE2ELNS1_3repE0EEENS1_30default_config_static_selectorELNS0_4arch9wavefront6targetE0EEEvT1_.num_vgpr, 0
	.set _ZN7rocprim17ROCPRIM_400000_NS6detail17trampoline_kernelINS0_14default_configENS1_27scan_by_key_config_selectorIiiEEZZNS1_16scan_by_key_implILNS1_25lookback_scan_determinismE0ELb1ES3_N6thrust23THRUST_200600_302600_NS6detail15normal_iteratorINS9_10device_ptrIiEEEESE_SE_iNS9_10multipliesIiEENS9_8equal_toIiEEiEE10hipError_tPvRmT2_T3_T4_T5_mT6_T7_P12ihipStream_tbENKUlT_T0_E_clISt17integral_constantIbLb0EESZ_EEDaSU_SV_EUlSU_E_NS1_11comp_targetILNS1_3genE8ELNS1_11target_archE1030ELNS1_3gpuE2ELNS1_3repE0EEENS1_30default_config_static_selectorELNS0_4arch9wavefront6targetE0EEEvT1_.num_agpr, 0
	.set _ZN7rocprim17ROCPRIM_400000_NS6detail17trampoline_kernelINS0_14default_configENS1_27scan_by_key_config_selectorIiiEEZZNS1_16scan_by_key_implILNS1_25lookback_scan_determinismE0ELb1ES3_N6thrust23THRUST_200600_302600_NS6detail15normal_iteratorINS9_10device_ptrIiEEEESE_SE_iNS9_10multipliesIiEENS9_8equal_toIiEEiEE10hipError_tPvRmT2_T3_T4_T5_mT6_T7_P12ihipStream_tbENKUlT_T0_E_clISt17integral_constantIbLb0EESZ_EEDaSU_SV_EUlSU_E_NS1_11comp_targetILNS1_3genE8ELNS1_11target_archE1030ELNS1_3gpuE2ELNS1_3repE0EEENS1_30default_config_static_selectorELNS0_4arch9wavefront6targetE0EEEvT1_.numbered_sgpr, 0
	.set _ZN7rocprim17ROCPRIM_400000_NS6detail17trampoline_kernelINS0_14default_configENS1_27scan_by_key_config_selectorIiiEEZZNS1_16scan_by_key_implILNS1_25lookback_scan_determinismE0ELb1ES3_N6thrust23THRUST_200600_302600_NS6detail15normal_iteratorINS9_10device_ptrIiEEEESE_SE_iNS9_10multipliesIiEENS9_8equal_toIiEEiEE10hipError_tPvRmT2_T3_T4_T5_mT6_T7_P12ihipStream_tbENKUlT_T0_E_clISt17integral_constantIbLb0EESZ_EEDaSU_SV_EUlSU_E_NS1_11comp_targetILNS1_3genE8ELNS1_11target_archE1030ELNS1_3gpuE2ELNS1_3repE0EEENS1_30default_config_static_selectorELNS0_4arch9wavefront6targetE0EEEvT1_.num_named_barrier, 0
	.set _ZN7rocprim17ROCPRIM_400000_NS6detail17trampoline_kernelINS0_14default_configENS1_27scan_by_key_config_selectorIiiEEZZNS1_16scan_by_key_implILNS1_25lookback_scan_determinismE0ELb1ES3_N6thrust23THRUST_200600_302600_NS6detail15normal_iteratorINS9_10device_ptrIiEEEESE_SE_iNS9_10multipliesIiEENS9_8equal_toIiEEiEE10hipError_tPvRmT2_T3_T4_T5_mT6_T7_P12ihipStream_tbENKUlT_T0_E_clISt17integral_constantIbLb0EESZ_EEDaSU_SV_EUlSU_E_NS1_11comp_targetILNS1_3genE8ELNS1_11target_archE1030ELNS1_3gpuE2ELNS1_3repE0EEENS1_30default_config_static_selectorELNS0_4arch9wavefront6targetE0EEEvT1_.private_seg_size, 0
	.set _ZN7rocprim17ROCPRIM_400000_NS6detail17trampoline_kernelINS0_14default_configENS1_27scan_by_key_config_selectorIiiEEZZNS1_16scan_by_key_implILNS1_25lookback_scan_determinismE0ELb1ES3_N6thrust23THRUST_200600_302600_NS6detail15normal_iteratorINS9_10device_ptrIiEEEESE_SE_iNS9_10multipliesIiEENS9_8equal_toIiEEiEE10hipError_tPvRmT2_T3_T4_T5_mT6_T7_P12ihipStream_tbENKUlT_T0_E_clISt17integral_constantIbLb0EESZ_EEDaSU_SV_EUlSU_E_NS1_11comp_targetILNS1_3genE8ELNS1_11target_archE1030ELNS1_3gpuE2ELNS1_3repE0EEENS1_30default_config_static_selectorELNS0_4arch9wavefront6targetE0EEEvT1_.uses_vcc, 0
	.set _ZN7rocprim17ROCPRIM_400000_NS6detail17trampoline_kernelINS0_14default_configENS1_27scan_by_key_config_selectorIiiEEZZNS1_16scan_by_key_implILNS1_25lookback_scan_determinismE0ELb1ES3_N6thrust23THRUST_200600_302600_NS6detail15normal_iteratorINS9_10device_ptrIiEEEESE_SE_iNS9_10multipliesIiEENS9_8equal_toIiEEiEE10hipError_tPvRmT2_T3_T4_T5_mT6_T7_P12ihipStream_tbENKUlT_T0_E_clISt17integral_constantIbLb0EESZ_EEDaSU_SV_EUlSU_E_NS1_11comp_targetILNS1_3genE8ELNS1_11target_archE1030ELNS1_3gpuE2ELNS1_3repE0EEENS1_30default_config_static_selectorELNS0_4arch9wavefront6targetE0EEEvT1_.uses_flat_scratch, 0
	.set _ZN7rocprim17ROCPRIM_400000_NS6detail17trampoline_kernelINS0_14default_configENS1_27scan_by_key_config_selectorIiiEEZZNS1_16scan_by_key_implILNS1_25lookback_scan_determinismE0ELb1ES3_N6thrust23THRUST_200600_302600_NS6detail15normal_iteratorINS9_10device_ptrIiEEEESE_SE_iNS9_10multipliesIiEENS9_8equal_toIiEEiEE10hipError_tPvRmT2_T3_T4_T5_mT6_T7_P12ihipStream_tbENKUlT_T0_E_clISt17integral_constantIbLb0EESZ_EEDaSU_SV_EUlSU_E_NS1_11comp_targetILNS1_3genE8ELNS1_11target_archE1030ELNS1_3gpuE2ELNS1_3repE0EEENS1_30default_config_static_selectorELNS0_4arch9wavefront6targetE0EEEvT1_.has_dyn_sized_stack, 0
	.set _ZN7rocprim17ROCPRIM_400000_NS6detail17trampoline_kernelINS0_14default_configENS1_27scan_by_key_config_selectorIiiEEZZNS1_16scan_by_key_implILNS1_25lookback_scan_determinismE0ELb1ES3_N6thrust23THRUST_200600_302600_NS6detail15normal_iteratorINS9_10device_ptrIiEEEESE_SE_iNS9_10multipliesIiEENS9_8equal_toIiEEiEE10hipError_tPvRmT2_T3_T4_T5_mT6_T7_P12ihipStream_tbENKUlT_T0_E_clISt17integral_constantIbLb0EESZ_EEDaSU_SV_EUlSU_E_NS1_11comp_targetILNS1_3genE8ELNS1_11target_archE1030ELNS1_3gpuE2ELNS1_3repE0EEENS1_30default_config_static_selectorELNS0_4arch9wavefront6targetE0EEEvT1_.has_recursion, 0
	.set _ZN7rocprim17ROCPRIM_400000_NS6detail17trampoline_kernelINS0_14default_configENS1_27scan_by_key_config_selectorIiiEEZZNS1_16scan_by_key_implILNS1_25lookback_scan_determinismE0ELb1ES3_N6thrust23THRUST_200600_302600_NS6detail15normal_iteratorINS9_10device_ptrIiEEEESE_SE_iNS9_10multipliesIiEENS9_8equal_toIiEEiEE10hipError_tPvRmT2_T3_T4_T5_mT6_T7_P12ihipStream_tbENKUlT_T0_E_clISt17integral_constantIbLb0EESZ_EEDaSU_SV_EUlSU_E_NS1_11comp_targetILNS1_3genE8ELNS1_11target_archE1030ELNS1_3gpuE2ELNS1_3repE0EEENS1_30default_config_static_selectorELNS0_4arch9wavefront6targetE0EEEvT1_.has_indirect_call, 0
	.section	.AMDGPU.csdata,"",@progbits
; Kernel info:
; codeLenInByte = 0
; TotalNumSgprs: 0
; NumVgprs: 0
; ScratchSize: 0
; MemoryBound: 0
; FloatMode: 240
; IeeeMode: 1
; LDSByteSize: 0 bytes/workgroup (compile time only)
; SGPRBlocks: 0
; VGPRBlocks: 0
; NumSGPRsForWavesPerEU: 1
; NumVGPRsForWavesPerEU: 1
; NamedBarCnt: 0
; Occupancy: 16
; WaveLimiterHint : 0
; COMPUTE_PGM_RSRC2:SCRATCH_EN: 0
; COMPUTE_PGM_RSRC2:USER_SGPR: 2
; COMPUTE_PGM_RSRC2:TRAP_HANDLER: 0
; COMPUTE_PGM_RSRC2:TGID_X_EN: 1
; COMPUTE_PGM_RSRC2:TGID_Y_EN: 0
; COMPUTE_PGM_RSRC2:TGID_Z_EN: 0
; COMPUTE_PGM_RSRC2:TIDIG_COMP_CNT: 0
	.section	.text._ZN7rocprim17ROCPRIM_400000_NS6detail17trampoline_kernelINS0_14default_configENS1_27scan_by_key_config_selectorIiiEEZZNS1_16scan_by_key_implILNS1_25lookback_scan_determinismE0ELb1ES3_N6thrust23THRUST_200600_302600_NS6detail15normal_iteratorINS9_10device_ptrIiEEEESE_SE_iNS9_10multipliesIiEENS9_8equal_toIiEEiEE10hipError_tPvRmT2_T3_T4_T5_mT6_T7_P12ihipStream_tbENKUlT_T0_E_clISt17integral_constantIbLb1EESZ_EEDaSU_SV_EUlSU_E_NS1_11comp_targetILNS1_3genE0ELNS1_11target_archE4294967295ELNS1_3gpuE0ELNS1_3repE0EEENS1_30default_config_static_selectorELNS0_4arch9wavefront6targetE0EEEvT1_,"axG",@progbits,_ZN7rocprim17ROCPRIM_400000_NS6detail17trampoline_kernelINS0_14default_configENS1_27scan_by_key_config_selectorIiiEEZZNS1_16scan_by_key_implILNS1_25lookback_scan_determinismE0ELb1ES3_N6thrust23THRUST_200600_302600_NS6detail15normal_iteratorINS9_10device_ptrIiEEEESE_SE_iNS9_10multipliesIiEENS9_8equal_toIiEEiEE10hipError_tPvRmT2_T3_T4_T5_mT6_T7_P12ihipStream_tbENKUlT_T0_E_clISt17integral_constantIbLb1EESZ_EEDaSU_SV_EUlSU_E_NS1_11comp_targetILNS1_3genE0ELNS1_11target_archE4294967295ELNS1_3gpuE0ELNS1_3repE0EEENS1_30default_config_static_selectorELNS0_4arch9wavefront6targetE0EEEvT1_,comdat
	.protected	_ZN7rocprim17ROCPRIM_400000_NS6detail17trampoline_kernelINS0_14default_configENS1_27scan_by_key_config_selectorIiiEEZZNS1_16scan_by_key_implILNS1_25lookback_scan_determinismE0ELb1ES3_N6thrust23THRUST_200600_302600_NS6detail15normal_iteratorINS9_10device_ptrIiEEEESE_SE_iNS9_10multipliesIiEENS9_8equal_toIiEEiEE10hipError_tPvRmT2_T3_T4_T5_mT6_T7_P12ihipStream_tbENKUlT_T0_E_clISt17integral_constantIbLb1EESZ_EEDaSU_SV_EUlSU_E_NS1_11comp_targetILNS1_3genE0ELNS1_11target_archE4294967295ELNS1_3gpuE0ELNS1_3repE0EEENS1_30default_config_static_selectorELNS0_4arch9wavefront6targetE0EEEvT1_ ; -- Begin function _ZN7rocprim17ROCPRIM_400000_NS6detail17trampoline_kernelINS0_14default_configENS1_27scan_by_key_config_selectorIiiEEZZNS1_16scan_by_key_implILNS1_25lookback_scan_determinismE0ELb1ES3_N6thrust23THRUST_200600_302600_NS6detail15normal_iteratorINS9_10device_ptrIiEEEESE_SE_iNS9_10multipliesIiEENS9_8equal_toIiEEiEE10hipError_tPvRmT2_T3_T4_T5_mT6_T7_P12ihipStream_tbENKUlT_T0_E_clISt17integral_constantIbLb1EESZ_EEDaSU_SV_EUlSU_E_NS1_11comp_targetILNS1_3genE0ELNS1_11target_archE4294967295ELNS1_3gpuE0ELNS1_3repE0EEENS1_30default_config_static_selectorELNS0_4arch9wavefront6targetE0EEEvT1_
	.globl	_ZN7rocprim17ROCPRIM_400000_NS6detail17trampoline_kernelINS0_14default_configENS1_27scan_by_key_config_selectorIiiEEZZNS1_16scan_by_key_implILNS1_25lookback_scan_determinismE0ELb1ES3_N6thrust23THRUST_200600_302600_NS6detail15normal_iteratorINS9_10device_ptrIiEEEESE_SE_iNS9_10multipliesIiEENS9_8equal_toIiEEiEE10hipError_tPvRmT2_T3_T4_T5_mT6_T7_P12ihipStream_tbENKUlT_T0_E_clISt17integral_constantIbLb1EESZ_EEDaSU_SV_EUlSU_E_NS1_11comp_targetILNS1_3genE0ELNS1_11target_archE4294967295ELNS1_3gpuE0ELNS1_3repE0EEENS1_30default_config_static_selectorELNS0_4arch9wavefront6targetE0EEEvT1_
	.p2align	8
	.type	_ZN7rocprim17ROCPRIM_400000_NS6detail17trampoline_kernelINS0_14default_configENS1_27scan_by_key_config_selectorIiiEEZZNS1_16scan_by_key_implILNS1_25lookback_scan_determinismE0ELb1ES3_N6thrust23THRUST_200600_302600_NS6detail15normal_iteratorINS9_10device_ptrIiEEEESE_SE_iNS9_10multipliesIiEENS9_8equal_toIiEEiEE10hipError_tPvRmT2_T3_T4_T5_mT6_T7_P12ihipStream_tbENKUlT_T0_E_clISt17integral_constantIbLb1EESZ_EEDaSU_SV_EUlSU_E_NS1_11comp_targetILNS1_3genE0ELNS1_11target_archE4294967295ELNS1_3gpuE0ELNS1_3repE0EEENS1_30default_config_static_selectorELNS0_4arch9wavefront6targetE0EEEvT1_,@function
_ZN7rocprim17ROCPRIM_400000_NS6detail17trampoline_kernelINS0_14default_configENS1_27scan_by_key_config_selectorIiiEEZZNS1_16scan_by_key_implILNS1_25lookback_scan_determinismE0ELb1ES3_N6thrust23THRUST_200600_302600_NS6detail15normal_iteratorINS9_10device_ptrIiEEEESE_SE_iNS9_10multipliesIiEENS9_8equal_toIiEEiEE10hipError_tPvRmT2_T3_T4_T5_mT6_T7_P12ihipStream_tbENKUlT_T0_E_clISt17integral_constantIbLb1EESZ_EEDaSU_SV_EUlSU_E_NS1_11comp_targetILNS1_3genE0ELNS1_11target_archE4294967295ELNS1_3gpuE0ELNS1_3repE0EEENS1_30default_config_static_selectorELNS0_4arch9wavefront6targetE0EEEvT1_: ; @_ZN7rocprim17ROCPRIM_400000_NS6detail17trampoline_kernelINS0_14default_configENS1_27scan_by_key_config_selectorIiiEEZZNS1_16scan_by_key_implILNS1_25lookback_scan_determinismE0ELb1ES3_N6thrust23THRUST_200600_302600_NS6detail15normal_iteratorINS9_10device_ptrIiEEEESE_SE_iNS9_10multipliesIiEENS9_8equal_toIiEEiEE10hipError_tPvRmT2_T3_T4_T5_mT6_T7_P12ihipStream_tbENKUlT_T0_E_clISt17integral_constantIbLb1EESZ_EEDaSU_SV_EUlSU_E_NS1_11comp_targetILNS1_3genE0ELNS1_11target_archE4294967295ELNS1_3gpuE0ELNS1_3repE0EEENS1_30default_config_static_selectorELNS0_4arch9wavefront6targetE0EEEvT1_
; %bb.0:
	s_endpgm
	.section	.rodata,"a",@progbits
	.p2align	6, 0x0
	.amdhsa_kernel _ZN7rocprim17ROCPRIM_400000_NS6detail17trampoline_kernelINS0_14default_configENS1_27scan_by_key_config_selectorIiiEEZZNS1_16scan_by_key_implILNS1_25lookback_scan_determinismE0ELb1ES3_N6thrust23THRUST_200600_302600_NS6detail15normal_iteratorINS9_10device_ptrIiEEEESE_SE_iNS9_10multipliesIiEENS9_8equal_toIiEEiEE10hipError_tPvRmT2_T3_T4_T5_mT6_T7_P12ihipStream_tbENKUlT_T0_E_clISt17integral_constantIbLb1EESZ_EEDaSU_SV_EUlSU_E_NS1_11comp_targetILNS1_3genE0ELNS1_11target_archE4294967295ELNS1_3gpuE0ELNS1_3repE0EEENS1_30default_config_static_selectorELNS0_4arch9wavefront6targetE0EEEvT1_
		.amdhsa_group_segment_fixed_size 0
		.amdhsa_private_segment_fixed_size 0
		.amdhsa_kernarg_size 112
		.amdhsa_user_sgpr_count 2
		.amdhsa_user_sgpr_dispatch_ptr 0
		.amdhsa_user_sgpr_queue_ptr 0
		.amdhsa_user_sgpr_kernarg_segment_ptr 1
		.amdhsa_user_sgpr_dispatch_id 0
		.amdhsa_user_sgpr_kernarg_preload_length 0
		.amdhsa_user_sgpr_kernarg_preload_offset 0
		.amdhsa_user_sgpr_private_segment_size 0
		.amdhsa_wavefront_size32 1
		.amdhsa_uses_dynamic_stack 0
		.amdhsa_enable_private_segment 0
		.amdhsa_system_sgpr_workgroup_id_x 1
		.amdhsa_system_sgpr_workgroup_id_y 0
		.amdhsa_system_sgpr_workgroup_id_z 0
		.amdhsa_system_sgpr_workgroup_info 0
		.amdhsa_system_vgpr_workitem_id 0
		.amdhsa_next_free_vgpr 1
		.amdhsa_next_free_sgpr 1
		.amdhsa_named_barrier_count 0
		.amdhsa_reserve_vcc 0
		.amdhsa_float_round_mode_32 0
		.amdhsa_float_round_mode_16_64 0
		.amdhsa_float_denorm_mode_32 3
		.amdhsa_float_denorm_mode_16_64 3
		.amdhsa_fp16_overflow 0
		.amdhsa_memory_ordered 1
		.amdhsa_forward_progress 1
		.amdhsa_inst_pref_size 1
		.amdhsa_round_robin_scheduling 0
		.amdhsa_exception_fp_ieee_invalid_op 0
		.amdhsa_exception_fp_denorm_src 0
		.amdhsa_exception_fp_ieee_div_zero 0
		.amdhsa_exception_fp_ieee_overflow 0
		.amdhsa_exception_fp_ieee_underflow 0
		.amdhsa_exception_fp_ieee_inexact 0
		.amdhsa_exception_int_div_zero 0
	.end_amdhsa_kernel
	.section	.text._ZN7rocprim17ROCPRIM_400000_NS6detail17trampoline_kernelINS0_14default_configENS1_27scan_by_key_config_selectorIiiEEZZNS1_16scan_by_key_implILNS1_25lookback_scan_determinismE0ELb1ES3_N6thrust23THRUST_200600_302600_NS6detail15normal_iteratorINS9_10device_ptrIiEEEESE_SE_iNS9_10multipliesIiEENS9_8equal_toIiEEiEE10hipError_tPvRmT2_T3_T4_T5_mT6_T7_P12ihipStream_tbENKUlT_T0_E_clISt17integral_constantIbLb1EESZ_EEDaSU_SV_EUlSU_E_NS1_11comp_targetILNS1_3genE0ELNS1_11target_archE4294967295ELNS1_3gpuE0ELNS1_3repE0EEENS1_30default_config_static_selectorELNS0_4arch9wavefront6targetE0EEEvT1_,"axG",@progbits,_ZN7rocprim17ROCPRIM_400000_NS6detail17trampoline_kernelINS0_14default_configENS1_27scan_by_key_config_selectorIiiEEZZNS1_16scan_by_key_implILNS1_25lookback_scan_determinismE0ELb1ES3_N6thrust23THRUST_200600_302600_NS6detail15normal_iteratorINS9_10device_ptrIiEEEESE_SE_iNS9_10multipliesIiEENS9_8equal_toIiEEiEE10hipError_tPvRmT2_T3_T4_T5_mT6_T7_P12ihipStream_tbENKUlT_T0_E_clISt17integral_constantIbLb1EESZ_EEDaSU_SV_EUlSU_E_NS1_11comp_targetILNS1_3genE0ELNS1_11target_archE4294967295ELNS1_3gpuE0ELNS1_3repE0EEENS1_30default_config_static_selectorELNS0_4arch9wavefront6targetE0EEEvT1_,comdat
.Lfunc_end506:
	.size	_ZN7rocprim17ROCPRIM_400000_NS6detail17trampoline_kernelINS0_14default_configENS1_27scan_by_key_config_selectorIiiEEZZNS1_16scan_by_key_implILNS1_25lookback_scan_determinismE0ELb1ES3_N6thrust23THRUST_200600_302600_NS6detail15normal_iteratorINS9_10device_ptrIiEEEESE_SE_iNS9_10multipliesIiEENS9_8equal_toIiEEiEE10hipError_tPvRmT2_T3_T4_T5_mT6_T7_P12ihipStream_tbENKUlT_T0_E_clISt17integral_constantIbLb1EESZ_EEDaSU_SV_EUlSU_E_NS1_11comp_targetILNS1_3genE0ELNS1_11target_archE4294967295ELNS1_3gpuE0ELNS1_3repE0EEENS1_30default_config_static_selectorELNS0_4arch9wavefront6targetE0EEEvT1_, .Lfunc_end506-_ZN7rocprim17ROCPRIM_400000_NS6detail17trampoline_kernelINS0_14default_configENS1_27scan_by_key_config_selectorIiiEEZZNS1_16scan_by_key_implILNS1_25lookback_scan_determinismE0ELb1ES3_N6thrust23THRUST_200600_302600_NS6detail15normal_iteratorINS9_10device_ptrIiEEEESE_SE_iNS9_10multipliesIiEENS9_8equal_toIiEEiEE10hipError_tPvRmT2_T3_T4_T5_mT6_T7_P12ihipStream_tbENKUlT_T0_E_clISt17integral_constantIbLb1EESZ_EEDaSU_SV_EUlSU_E_NS1_11comp_targetILNS1_3genE0ELNS1_11target_archE4294967295ELNS1_3gpuE0ELNS1_3repE0EEENS1_30default_config_static_selectorELNS0_4arch9wavefront6targetE0EEEvT1_
                                        ; -- End function
	.set _ZN7rocprim17ROCPRIM_400000_NS6detail17trampoline_kernelINS0_14default_configENS1_27scan_by_key_config_selectorIiiEEZZNS1_16scan_by_key_implILNS1_25lookback_scan_determinismE0ELb1ES3_N6thrust23THRUST_200600_302600_NS6detail15normal_iteratorINS9_10device_ptrIiEEEESE_SE_iNS9_10multipliesIiEENS9_8equal_toIiEEiEE10hipError_tPvRmT2_T3_T4_T5_mT6_T7_P12ihipStream_tbENKUlT_T0_E_clISt17integral_constantIbLb1EESZ_EEDaSU_SV_EUlSU_E_NS1_11comp_targetILNS1_3genE0ELNS1_11target_archE4294967295ELNS1_3gpuE0ELNS1_3repE0EEENS1_30default_config_static_selectorELNS0_4arch9wavefront6targetE0EEEvT1_.num_vgpr, 0
	.set _ZN7rocprim17ROCPRIM_400000_NS6detail17trampoline_kernelINS0_14default_configENS1_27scan_by_key_config_selectorIiiEEZZNS1_16scan_by_key_implILNS1_25lookback_scan_determinismE0ELb1ES3_N6thrust23THRUST_200600_302600_NS6detail15normal_iteratorINS9_10device_ptrIiEEEESE_SE_iNS9_10multipliesIiEENS9_8equal_toIiEEiEE10hipError_tPvRmT2_T3_T4_T5_mT6_T7_P12ihipStream_tbENKUlT_T0_E_clISt17integral_constantIbLb1EESZ_EEDaSU_SV_EUlSU_E_NS1_11comp_targetILNS1_3genE0ELNS1_11target_archE4294967295ELNS1_3gpuE0ELNS1_3repE0EEENS1_30default_config_static_selectorELNS0_4arch9wavefront6targetE0EEEvT1_.num_agpr, 0
	.set _ZN7rocprim17ROCPRIM_400000_NS6detail17trampoline_kernelINS0_14default_configENS1_27scan_by_key_config_selectorIiiEEZZNS1_16scan_by_key_implILNS1_25lookback_scan_determinismE0ELb1ES3_N6thrust23THRUST_200600_302600_NS6detail15normal_iteratorINS9_10device_ptrIiEEEESE_SE_iNS9_10multipliesIiEENS9_8equal_toIiEEiEE10hipError_tPvRmT2_T3_T4_T5_mT6_T7_P12ihipStream_tbENKUlT_T0_E_clISt17integral_constantIbLb1EESZ_EEDaSU_SV_EUlSU_E_NS1_11comp_targetILNS1_3genE0ELNS1_11target_archE4294967295ELNS1_3gpuE0ELNS1_3repE0EEENS1_30default_config_static_selectorELNS0_4arch9wavefront6targetE0EEEvT1_.numbered_sgpr, 0
	.set _ZN7rocprim17ROCPRIM_400000_NS6detail17trampoline_kernelINS0_14default_configENS1_27scan_by_key_config_selectorIiiEEZZNS1_16scan_by_key_implILNS1_25lookback_scan_determinismE0ELb1ES3_N6thrust23THRUST_200600_302600_NS6detail15normal_iteratorINS9_10device_ptrIiEEEESE_SE_iNS9_10multipliesIiEENS9_8equal_toIiEEiEE10hipError_tPvRmT2_T3_T4_T5_mT6_T7_P12ihipStream_tbENKUlT_T0_E_clISt17integral_constantIbLb1EESZ_EEDaSU_SV_EUlSU_E_NS1_11comp_targetILNS1_3genE0ELNS1_11target_archE4294967295ELNS1_3gpuE0ELNS1_3repE0EEENS1_30default_config_static_selectorELNS0_4arch9wavefront6targetE0EEEvT1_.num_named_barrier, 0
	.set _ZN7rocprim17ROCPRIM_400000_NS6detail17trampoline_kernelINS0_14default_configENS1_27scan_by_key_config_selectorIiiEEZZNS1_16scan_by_key_implILNS1_25lookback_scan_determinismE0ELb1ES3_N6thrust23THRUST_200600_302600_NS6detail15normal_iteratorINS9_10device_ptrIiEEEESE_SE_iNS9_10multipliesIiEENS9_8equal_toIiEEiEE10hipError_tPvRmT2_T3_T4_T5_mT6_T7_P12ihipStream_tbENKUlT_T0_E_clISt17integral_constantIbLb1EESZ_EEDaSU_SV_EUlSU_E_NS1_11comp_targetILNS1_3genE0ELNS1_11target_archE4294967295ELNS1_3gpuE0ELNS1_3repE0EEENS1_30default_config_static_selectorELNS0_4arch9wavefront6targetE0EEEvT1_.private_seg_size, 0
	.set _ZN7rocprim17ROCPRIM_400000_NS6detail17trampoline_kernelINS0_14default_configENS1_27scan_by_key_config_selectorIiiEEZZNS1_16scan_by_key_implILNS1_25lookback_scan_determinismE0ELb1ES3_N6thrust23THRUST_200600_302600_NS6detail15normal_iteratorINS9_10device_ptrIiEEEESE_SE_iNS9_10multipliesIiEENS9_8equal_toIiEEiEE10hipError_tPvRmT2_T3_T4_T5_mT6_T7_P12ihipStream_tbENKUlT_T0_E_clISt17integral_constantIbLb1EESZ_EEDaSU_SV_EUlSU_E_NS1_11comp_targetILNS1_3genE0ELNS1_11target_archE4294967295ELNS1_3gpuE0ELNS1_3repE0EEENS1_30default_config_static_selectorELNS0_4arch9wavefront6targetE0EEEvT1_.uses_vcc, 0
	.set _ZN7rocprim17ROCPRIM_400000_NS6detail17trampoline_kernelINS0_14default_configENS1_27scan_by_key_config_selectorIiiEEZZNS1_16scan_by_key_implILNS1_25lookback_scan_determinismE0ELb1ES3_N6thrust23THRUST_200600_302600_NS6detail15normal_iteratorINS9_10device_ptrIiEEEESE_SE_iNS9_10multipliesIiEENS9_8equal_toIiEEiEE10hipError_tPvRmT2_T3_T4_T5_mT6_T7_P12ihipStream_tbENKUlT_T0_E_clISt17integral_constantIbLb1EESZ_EEDaSU_SV_EUlSU_E_NS1_11comp_targetILNS1_3genE0ELNS1_11target_archE4294967295ELNS1_3gpuE0ELNS1_3repE0EEENS1_30default_config_static_selectorELNS0_4arch9wavefront6targetE0EEEvT1_.uses_flat_scratch, 0
	.set _ZN7rocprim17ROCPRIM_400000_NS6detail17trampoline_kernelINS0_14default_configENS1_27scan_by_key_config_selectorIiiEEZZNS1_16scan_by_key_implILNS1_25lookback_scan_determinismE0ELb1ES3_N6thrust23THRUST_200600_302600_NS6detail15normal_iteratorINS9_10device_ptrIiEEEESE_SE_iNS9_10multipliesIiEENS9_8equal_toIiEEiEE10hipError_tPvRmT2_T3_T4_T5_mT6_T7_P12ihipStream_tbENKUlT_T0_E_clISt17integral_constantIbLb1EESZ_EEDaSU_SV_EUlSU_E_NS1_11comp_targetILNS1_3genE0ELNS1_11target_archE4294967295ELNS1_3gpuE0ELNS1_3repE0EEENS1_30default_config_static_selectorELNS0_4arch9wavefront6targetE0EEEvT1_.has_dyn_sized_stack, 0
	.set _ZN7rocprim17ROCPRIM_400000_NS6detail17trampoline_kernelINS0_14default_configENS1_27scan_by_key_config_selectorIiiEEZZNS1_16scan_by_key_implILNS1_25lookback_scan_determinismE0ELb1ES3_N6thrust23THRUST_200600_302600_NS6detail15normal_iteratorINS9_10device_ptrIiEEEESE_SE_iNS9_10multipliesIiEENS9_8equal_toIiEEiEE10hipError_tPvRmT2_T3_T4_T5_mT6_T7_P12ihipStream_tbENKUlT_T0_E_clISt17integral_constantIbLb1EESZ_EEDaSU_SV_EUlSU_E_NS1_11comp_targetILNS1_3genE0ELNS1_11target_archE4294967295ELNS1_3gpuE0ELNS1_3repE0EEENS1_30default_config_static_selectorELNS0_4arch9wavefront6targetE0EEEvT1_.has_recursion, 0
	.set _ZN7rocprim17ROCPRIM_400000_NS6detail17trampoline_kernelINS0_14default_configENS1_27scan_by_key_config_selectorIiiEEZZNS1_16scan_by_key_implILNS1_25lookback_scan_determinismE0ELb1ES3_N6thrust23THRUST_200600_302600_NS6detail15normal_iteratorINS9_10device_ptrIiEEEESE_SE_iNS9_10multipliesIiEENS9_8equal_toIiEEiEE10hipError_tPvRmT2_T3_T4_T5_mT6_T7_P12ihipStream_tbENKUlT_T0_E_clISt17integral_constantIbLb1EESZ_EEDaSU_SV_EUlSU_E_NS1_11comp_targetILNS1_3genE0ELNS1_11target_archE4294967295ELNS1_3gpuE0ELNS1_3repE0EEENS1_30default_config_static_selectorELNS0_4arch9wavefront6targetE0EEEvT1_.has_indirect_call, 0
	.section	.AMDGPU.csdata,"",@progbits
; Kernel info:
; codeLenInByte = 4
; TotalNumSgprs: 0
; NumVgprs: 0
; ScratchSize: 0
; MemoryBound: 0
; FloatMode: 240
; IeeeMode: 1
; LDSByteSize: 0 bytes/workgroup (compile time only)
; SGPRBlocks: 0
; VGPRBlocks: 0
; NumSGPRsForWavesPerEU: 1
; NumVGPRsForWavesPerEU: 1
; NamedBarCnt: 0
; Occupancy: 16
; WaveLimiterHint : 0
; COMPUTE_PGM_RSRC2:SCRATCH_EN: 0
; COMPUTE_PGM_RSRC2:USER_SGPR: 2
; COMPUTE_PGM_RSRC2:TRAP_HANDLER: 0
; COMPUTE_PGM_RSRC2:TGID_X_EN: 1
; COMPUTE_PGM_RSRC2:TGID_Y_EN: 0
; COMPUTE_PGM_RSRC2:TGID_Z_EN: 0
; COMPUTE_PGM_RSRC2:TIDIG_COMP_CNT: 0
	.section	.text._ZN7rocprim17ROCPRIM_400000_NS6detail17trampoline_kernelINS0_14default_configENS1_27scan_by_key_config_selectorIiiEEZZNS1_16scan_by_key_implILNS1_25lookback_scan_determinismE0ELb1ES3_N6thrust23THRUST_200600_302600_NS6detail15normal_iteratorINS9_10device_ptrIiEEEESE_SE_iNS9_10multipliesIiEENS9_8equal_toIiEEiEE10hipError_tPvRmT2_T3_T4_T5_mT6_T7_P12ihipStream_tbENKUlT_T0_E_clISt17integral_constantIbLb1EESZ_EEDaSU_SV_EUlSU_E_NS1_11comp_targetILNS1_3genE10ELNS1_11target_archE1201ELNS1_3gpuE5ELNS1_3repE0EEENS1_30default_config_static_selectorELNS0_4arch9wavefront6targetE0EEEvT1_,"axG",@progbits,_ZN7rocprim17ROCPRIM_400000_NS6detail17trampoline_kernelINS0_14default_configENS1_27scan_by_key_config_selectorIiiEEZZNS1_16scan_by_key_implILNS1_25lookback_scan_determinismE0ELb1ES3_N6thrust23THRUST_200600_302600_NS6detail15normal_iteratorINS9_10device_ptrIiEEEESE_SE_iNS9_10multipliesIiEENS9_8equal_toIiEEiEE10hipError_tPvRmT2_T3_T4_T5_mT6_T7_P12ihipStream_tbENKUlT_T0_E_clISt17integral_constantIbLb1EESZ_EEDaSU_SV_EUlSU_E_NS1_11comp_targetILNS1_3genE10ELNS1_11target_archE1201ELNS1_3gpuE5ELNS1_3repE0EEENS1_30default_config_static_selectorELNS0_4arch9wavefront6targetE0EEEvT1_,comdat
	.protected	_ZN7rocprim17ROCPRIM_400000_NS6detail17trampoline_kernelINS0_14default_configENS1_27scan_by_key_config_selectorIiiEEZZNS1_16scan_by_key_implILNS1_25lookback_scan_determinismE0ELb1ES3_N6thrust23THRUST_200600_302600_NS6detail15normal_iteratorINS9_10device_ptrIiEEEESE_SE_iNS9_10multipliesIiEENS9_8equal_toIiEEiEE10hipError_tPvRmT2_T3_T4_T5_mT6_T7_P12ihipStream_tbENKUlT_T0_E_clISt17integral_constantIbLb1EESZ_EEDaSU_SV_EUlSU_E_NS1_11comp_targetILNS1_3genE10ELNS1_11target_archE1201ELNS1_3gpuE5ELNS1_3repE0EEENS1_30default_config_static_selectorELNS0_4arch9wavefront6targetE0EEEvT1_ ; -- Begin function _ZN7rocprim17ROCPRIM_400000_NS6detail17trampoline_kernelINS0_14default_configENS1_27scan_by_key_config_selectorIiiEEZZNS1_16scan_by_key_implILNS1_25lookback_scan_determinismE0ELb1ES3_N6thrust23THRUST_200600_302600_NS6detail15normal_iteratorINS9_10device_ptrIiEEEESE_SE_iNS9_10multipliesIiEENS9_8equal_toIiEEiEE10hipError_tPvRmT2_T3_T4_T5_mT6_T7_P12ihipStream_tbENKUlT_T0_E_clISt17integral_constantIbLb1EESZ_EEDaSU_SV_EUlSU_E_NS1_11comp_targetILNS1_3genE10ELNS1_11target_archE1201ELNS1_3gpuE5ELNS1_3repE0EEENS1_30default_config_static_selectorELNS0_4arch9wavefront6targetE0EEEvT1_
	.globl	_ZN7rocprim17ROCPRIM_400000_NS6detail17trampoline_kernelINS0_14default_configENS1_27scan_by_key_config_selectorIiiEEZZNS1_16scan_by_key_implILNS1_25lookback_scan_determinismE0ELb1ES3_N6thrust23THRUST_200600_302600_NS6detail15normal_iteratorINS9_10device_ptrIiEEEESE_SE_iNS9_10multipliesIiEENS9_8equal_toIiEEiEE10hipError_tPvRmT2_T3_T4_T5_mT6_T7_P12ihipStream_tbENKUlT_T0_E_clISt17integral_constantIbLb1EESZ_EEDaSU_SV_EUlSU_E_NS1_11comp_targetILNS1_3genE10ELNS1_11target_archE1201ELNS1_3gpuE5ELNS1_3repE0EEENS1_30default_config_static_selectorELNS0_4arch9wavefront6targetE0EEEvT1_
	.p2align	8
	.type	_ZN7rocprim17ROCPRIM_400000_NS6detail17trampoline_kernelINS0_14default_configENS1_27scan_by_key_config_selectorIiiEEZZNS1_16scan_by_key_implILNS1_25lookback_scan_determinismE0ELb1ES3_N6thrust23THRUST_200600_302600_NS6detail15normal_iteratorINS9_10device_ptrIiEEEESE_SE_iNS9_10multipliesIiEENS9_8equal_toIiEEiEE10hipError_tPvRmT2_T3_T4_T5_mT6_T7_P12ihipStream_tbENKUlT_T0_E_clISt17integral_constantIbLb1EESZ_EEDaSU_SV_EUlSU_E_NS1_11comp_targetILNS1_3genE10ELNS1_11target_archE1201ELNS1_3gpuE5ELNS1_3repE0EEENS1_30default_config_static_selectorELNS0_4arch9wavefront6targetE0EEEvT1_,@function
_ZN7rocprim17ROCPRIM_400000_NS6detail17trampoline_kernelINS0_14default_configENS1_27scan_by_key_config_selectorIiiEEZZNS1_16scan_by_key_implILNS1_25lookback_scan_determinismE0ELb1ES3_N6thrust23THRUST_200600_302600_NS6detail15normal_iteratorINS9_10device_ptrIiEEEESE_SE_iNS9_10multipliesIiEENS9_8equal_toIiEEiEE10hipError_tPvRmT2_T3_T4_T5_mT6_T7_P12ihipStream_tbENKUlT_T0_E_clISt17integral_constantIbLb1EESZ_EEDaSU_SV_EUlSU_E_NS1_11comp_targetILNS1_3genE10ELNS1_11target_archE1201ELNS1_3gpuE5ELNS1_3repE0EEENS1_30default_config_static_selectorELNS0_4arch9wavefront6targetE0EEEvT1_: ; @_ZN7rocprim17ROCPRIM_400000_NS6detail17trampoline_kernelINS0_14default_configENS1_27scan_by_key_config_selectorIiiEEZZNS1_16scan_by_key_implILNS1_25lookback_scan_determinismE0ELb1ES3_N6thrust23THRUST_200600_302600_NS6detail15normal_iteratorINS9_10device_ptrIiEEEESE_SE_iNS9_10multipliesIiEENS9_8equal_toIiEEiEE10hipError_tPvRmT2_T3_T4_T5_mT6_T7_P12ihipStream_tbENKUlT_T0_E_clISt17integral_constantIbLb1EESZ_EEDaSU_SV_EUlSU_E_NS1_11comp_targetILNS1_3genE10ELNS1_11target_archE1201ELNS1_3gpuE5ELNS1_3repE0EEENS1_30default_config_static_selectorELNS0_4arch9wavefront6targetE0EEEvT1_
; %bb.0:
	.section	.rodata,"a",@progbits
	.p2align	6, 0x0
	.amdhsa_kernel _ZN7rocprim17ROCPRIM_400000_NS6detail17trampoline_kernelINS0_14default_configENS1_27scan_by_key_config_selectorIiiEEZZNS1_16scan_by_key_implILNS1_25lookback_scan_determinismE0ELb1ES3_N6thrust23THRUST_200600_302600_NS6detail15normal_iteratorINS9_10device_ptrIiEEEESE_SE_iNS9_10multipliesIiEENS9_8equal_toIiEEiEE10hipError_tPvRmT2_T3_T4_T5_mT6_T7_P12ihipStream_tbENKUlT_T0_E_clISt17integral_constantIbLb1EESZ_EEDaSU_SV_EUlSU_E_NS1_11comp_targetILNS1_3genE10ELNS1_11target_archE1201ELNS1_3gpuE5ELNS1_3repE0EEENS1_30default_config_static_selectorELNS0_4arch9wavefront6targetE0EEEvT1_
		.amdhsa_group_segment_fixed_size 0
		.amdhsa_private_segment_fixed_size 0
		.amdhsa_kernarg_size 112
		.amdhsa_user_sgpr_count 2
		.amdhsa_user_sgpr_dispatch_ptr 0
		.amdhsa_user_sgpr_queue_ptr 0
		.amdhsa_user_sgpr_kernarg_segment_ptr 1
		.amdhsa_user_sgpr_dispatch_id 0
		.amdhsa_user_sgpr_kernarg_preload_length 0
		.amdhsa_user_sgpr_kernarg_preload_offset 0
		.amdhsa_user_sgpr_private_segment_size 0
		.amdhsa_wavefront_size32 1
		.amdhsa_uses_dynamic_stack 0
		.amdhsa_enable_private_segment 0
		.amdhsa_system_sgpr_workgroup_id_x 1
		.amdhsa_system_sgpr_workgroup_id_y 0
		.amdhsa_system_sgpr_workgroup_id_z 0
		.amdhsa_system_sgpr_workgroup_info 0
		.amdhsa_system_vgpr_workitem_id 0
		.amdhsa_next_free_vgpr 1
		.amdhsa_next_free_sgpr 1
		.amdhsa_named_barrier_count 0
		.amdhsa_reserve_vcc 0
		.amdhsa_float_round_mode_32 0
		.amdhsa_float_round_mode_16_64 0
		.amdhsa_float_denorm_mode_32 3
		.amdhsa_float_denorm_mode_16_64 3
		.amdhsa_fp16_overflow 0
		.amdhsa_memory_ordered 1
		.amdhsa_forward_progress 1
		.amdhsa_inst_pref_size 0
		.amdhsa_round_robin_scheduling 0
		.amdhsa_exception_fp_ieee_invalid_op 0
		.amdhsa_exception_fp_denorm_src 0
		.amdhsa_exception_fp_ieee_div_zero 0
		.amdhsa_exception_fp_ieee_overflow 0
		.amdhsa_exception_fp_ieee_underflow 0
		.amdhsa_exception_fp_ieee_inexact 0
		.amdhsa_exception_int_div_zero 0
	.end_amdhsa_kernel
	.section	.text._ZN7rocprim17ROCPRIM_400000_NS6detail17trampoline_kernelINS0_14default_configENS1_27scan_by_key_config_selectorIiiEEZZNS1_16scan_by_key_implILNS1_25lookback_scan_determinismE0ELb1ES3_N6thrust23THRUST_200600_302600_NS6detail15normal_iteratorINS9_10device_ptrIiEEEESE_SE_iNS9_10multipliesIiEENS9_8equal_toIiEEiEE10hipError_tPvRmT2_T3_T4_T5_mT6_T7_P12ihipStream_tbENKUlT_T0_E_clISt17integral_constantIbLb1EESZ_EEDaSU_SV_EUlSU_E_NS1_11comp_targetILNS1_3genE10ELNS1_11target_archE1201ELNS1_3gpuE5ELNS1_3repE0EEENS1_30default_config_static_selectorELNS0_4arch9wavefront6targetE0EEEvT1_,"axG",@progbits,_ZN7rocprim17ROCPRIM_400000_NS6detail17trampoline_kernelINS0_14default_configENS1_27scan_by_key_config_selectorIiiEEZZNS1_16scan_by_key_implILNS1_25lookback_scan_determinismE0ELb1ES3_N6thrust23THRUST_200600_302600_NS6detail15normal_iteratorINS9_10device_ptrIiEEEESE_SE_iNS9_10multipliesIiEENS9_8equal_toIiEEiEE10hipError_tPvRmT2_T3_T4_T5_mT6_T7_P12ihipStream_tbENKUlT_T0_E_clISt17integral_constantIbLb1EESZ_EEDaSU_SV_EUlSU_E_NS1_11comp_targetILNS1_3genE10ELNS1_11target_archE1201ELNS1_3gpuE5ELNS1_3repE0EEENS1_30default_config_static_selectorELNS0_4arch9wavefront6targetE0EEEvT1_,comdat
.Lfunc_end507:
	.size	_ZN7rocprim17ROCPRIM_400000_NS6detail17trampoline_kernelINS0_14default_configENS1_27scan_by_key_config_selectorIiiEEZZNS1_16scan_by_key_implILNS1_25lookback_scan_determinismE0ELb1ES3_N6thrust23THRUST_200600_302600_NS6detail15normal_iteratorINS9_10device_ptrIiEEEESE_SE_iNS9_10multipliesIiEENS9_8equal_toIiEEiEE10hipError_tPvRmT2_T3_T4_T5_mT6_T7_P12ihipStream_tbENKUlT_T0_E_clISt17integral_constantIbLb1EESZ_EEDaSU_SV_EUlSU_E_NS1_11comp_targetILNS1_3genE10ELNS1_11target_archE1201ELNS1_3gpuE5ELNS1_3repE0EEENS1_30default_config_static_selectorELNS0_4arch9wavefront6targetE0EEEvT1_, .Lfunc_end507-_ZN7rocprim17ROCPRIM_400000_NS6detail17trampoline_kernelINS0_14default_configENS1_27scan_by_key_config_selectorIiiEEZZNS1_16scan_by_key_implILNS1_25lookback_scan_determinismE0ELb1ES3_N6thrust23THRUST_200600_302600_NS6detail15normal_iteratorINS9_10device_ptrIiEEEESE_SE_iNS9_10multipliesIiEENS9_8equal_toIiEEiEE10hipError_tPvRmT2_T3_T4_T5_mT6_T7_P12ihipStream_tbENKUlT_T0_E_clISt17integral_constantIbLb1EESZ_EEDaSU_SV_EUlSU_E_NS1_11comp_targetILNS1_3genE10ELNS1_11target_archE1201ELNS1_3gpuE5ELNS1_3repE0EEENS1_30default_config_static_selectorELNS0_4arch9wavefront6targetE0EEEvT1_
                                        ; -- End function
	.set _ZN7rocprim17ROCPRIM_400000_NS6detail17trampoline_kernelINS0_14default_configENS1_27scan_by_key_config_selectorIiiEEZZNS1_16scan_by_key_implILNS1_25lookback_scan_determinismE0ELb1ES3_N6thrust23THRUST_200600_302600_NS6detail15normal_iteratorINS9_10device_ptrIiEEEESE_SE_iNS9_10multipliesIiEENS9_8equal_toIiEEiEE10hipError_tPvRmT2_T3_T4_T5_mT6_T7_P12ihipStream_tbENKUlT_T0_E_clISt17integral_constantIbLb1EESZ_EEDaSU_SV_EUlSU_E_NS1_11comp_targetILNS1_3genE10ELNS1_11target_archE1201ELNS1_3gpuE5ELNS1_3repE0EEENS1_30default_config_static_selectorELNS0_4arch9wavefront6targetE0EEEvT1_.num_vgpr, 0
	.set _ZN7rocprim17ROCPRIM_400000_NS6detail17trampoline_kernelINS0_14default_configENS1_27scan_by_key_config_selectorIiiEEZZNS1_16scan_by_key_implILNS1_25lookback_scan_determinismE0ELb1ES3_N6thrust23THRUST_200600_302600_NS6detail15normal_iteratorINS9_10device_ptrIiEEEESE_SE_iNS9_10multipliesIiEENS9_8equal_toIiEEiEE10hipError_tPvRmT2_T3_T4_T5_mT6_T7_P12ihipStream_tbENKUlT_T0_E_clISt17integral_constantIbLb1EESZ_EEDaSU_SV_EUlSU_E_NS1_11comp_targetILNS1_3genE10ELNS1_11target_archE1201ELNS1_3gpuE5ELNS1_3repE0EEENS1_30default_config_static_selectorELNS0_4arch9wavefront6targetE0EEEvT1_.num_agpr, 0
	.set _ZN7rocprim17ROCPRIM_400000_NS6detail17trampoline_kernelINS0_14default_configENS1_27scan_by_key_config_selectorIiiEEZZNS1_16scan_by_key_implILNS1_25lookback_scan_determinismE0ELb1ES3_N6thrust23THRUST_200600_302600_NS6detail15normal_iteratorINS9_10device_ptrIiEEEESE_SE_iNS9_10multipliesIiEENS9_8equal_toIiEEiEE10hipError_tPvRmT2_T3_T4_T5_mT6_T7_P12ihipStream_tbENKUlT_T0_E_clISt17integral_constantIbLb1EESZ_EEDaSU_SV_EUlSU_E_NS1_11comp_targetILNS1_3genE10ELNS1_11target_archE1201ELNS1_3gpuE5ELNS1_3repE0EEENS1_30default_config_static_selectorELNS0_4arch9wavefront6targetE0EEEvT1_.numbered_sgpr, 0
	.set _ZN7rocprim17ROCPRIM_400000_NS6detail17trampoline_kernelINS0_14default_configENS1_27scan_by_key_config_selectorIiiEEZZNS1_16scan_by_key_implILNS1_25lookback_scan_determinismE0ELb1ES3_N6thrust23THRUST_200600_302600_NS6detail15normal_iteratorINS9_10device_ptrIiEEEESE_SE_iNS9_10multipliesIiEENS9_8equal_toIiEEiEE10hipError_tPvRmT2_T3_T4_T5_mT6_T7_P12ihipStream_tbENKUlT_T0_E_clISt17integral_constantIbLb1EESZ_EEDaSU_SV_EUlSU_E_NS1_11comp_targetILNS1_3genE10ELNS1_11target_archE1201ELNS1_3gpuE5ELNS1_3repE0EEENS1_30default_config_static_selectorELNS0_4arch9wavefront6targetE0EEEvT1_.num_named_barrier, 0
	.set _ZN7rocprim17ROCPRIM_400000_NS6detail17trampoline_kernelINS0_14default_configENS1_27scan_by_key_config_selectorIiiEEZZNS1_16scan_by_key_implILNS1_25lookback_scan_determinismE0ELb1ES3_N6thrust23THRUST_200600_302600_NS6detail15normal_iteratorINS9_10device_ptrIiEEEESE_SE_iNS9_10multipliesIiEENS9_8equal_toIiEEiEE10hipError_tPvRmT2_T3_T4_T5_mT6_T7_P12ihipStream_tbENKUlT_T0_E_clISt17integral_constantIbLb1EESZ_EEDaSU_SV_EUlSU_E_NS1_11comp_targetILNS1_3genE10ELNS1_11target_archE1201ELNS1_3gpuE5ELNS1_3repE0EEENS1_30default_config_static_selectorELNS0_4arch9wavefront6targetE0EEEvT1_.private_seg_size, 0
	.set _ZN7rocprim17ROCPRIM_400000_NS6detail17trampoline_kernelINS0_14default_configENS1_27scan_by_key_config_selectorIiiEEZZNS1_16scan_by_key_implILNS1_25lookback_scan_determinismE0ELb1ES3_N6thrust23THRUST_200600_302600_NS6detail15normal_iteratorINS9_10device_ptrIiEEEESE_SE_iNS9_10multipliesIiEENS9_8equal_toIiEEiEE10hipError_tPvRmT2_T3_T4_T5_mT6_T7_P12ihipStream_tbENKUlT_T0_E_clISt17integral_constantIbLb1EESZ_EEDaSU_SV_EUlSU_E_NS1_11comp_targetILNS1_3genE10ELNS1_11target_archE1201ELNS1_3gpuE5ELNS1_3repE0EEENS1_30default_config_static_selectorELNS0_4arch9wavefront6targetE0EEEvT1_.uses_vcc, 0
	.set _ZN7rocprim17ROCPRIM_400000_NS6detail17trampoline_kernelINS0_14default_configENS1_27scan_by_key_config_selectorIiiEEZZNS1_16scan_by_key_implILNS1_25lookback_scan_determinismE0ELb1ES3_N6thrust23THRUST_200600_302600_NS6detail15normal_iteratorINS9_10device_ptrIiEEEESE_SE_iNS9_10multipliesIiEENS9_8equal_toIiEEiEE10hipError_tPvRmT2_T3_T4_T5_mT6_T7_P12ihipStream_tbENKUlT_T0_E_clISt17integral_constantIbLb1EESZ_EEDaSU_SV_EUlSU_E_NS1_11comp_targetILNS1_3genE10ELNS1_11target_archE1201ELNS1_3gpuE5ELNS1_3repE0EEENS1_30default_config_static_selectorELNS0_4arch9wavefront6targetE0EEEvT1_.uses_flat_scratch, 0
	.set _ZN7rocprim17ROCPRIM_400000_NS6detail17trampoline_kernelINS0_14default_configENS1_27scan_by_key_config_selectorIiiEEZZNS1_16scan_by_key_implILNS1_25lookback_scan_determinismE0ELb1ES3_N6thrust23THRUST_200600_302600_NS6detail15normal_iteratorINS9_10device_ptrIiEEEESE_SE_iNS9_10multipliesIiEENS9_8equal_toIiEEiEE10hipError_tPvRmT2_T3_T4_T5_mT6_T7_P12ihipStream_tbENKUlT_T0_E_clISt17integral_constantIbLb1EESZ_EEDaSU_SV_EUlSU_E_NS1_11comp_targetILNS1_3genE10ELNS1_11target_archE1201ELNS1_3gpuE5ELNS1_3repE0EEENS1_30default_config_static_selectorELNS0_4arch9wavefront6targetE0EEEvT1_.has_dyn_sized_stack, 0
	.set _ZN7rocprim17ROCPRIM_400000_NS6detail17trampoline_kernelINS0_14default_configENS1_27scan_by_key_config_selectorIiiEEZZNS1_16scan_by_key_implILNS1_25lookback_scan_determinismE0ELb1ES3_N6thrust23THRUST_200600_302600_NS6detail15normal_iteratorINS9_10device_ptrIiEEEESE_SE_iNS9_10multipliesIiEENS9_8equal_toIiEEiEE10hipError_tPvRmT2_T3_T4_T5_mT6_T7_P12ihipStream_tbENKUlT_T0_E_clISt17integral_constantIbLb1EESZ_EEDaSU_SV_EUlSU_E_NS1_11comp_targetILNS1_3genE10ELNS1_11target_archE1201ELNS1_3gpuE5ELNS1_3repE0EEENS1_30default_config_static_selectorELNS0_4arch9wavefront6targetE0EEEvT1_.has_recursion, 0
	.set _ZN7rocprim17ROCPRIM_400000_NS6detail17trampoline_kernelINS0_14default_configENS1_27scan_by_key_config_selectorIiiEEZZNS1_16scan_by_key_implILNS1_25lookback_scan_determinismE0ELb1ES3_N6thrust23THRUST_200600_302600_NS6detail15normal_iteratorINS9_10device_ptrIiEEEESE_SE_iNS9_10multipliesIiEENS9_8equal_toIiEEiEE10hipError_tPvRmT2_T3_T4_T5_mT6_T7_P12ihipStream_tbENKUlT_T0_E_clISt17integral_constantIbLb1EESZ_EEDaSU_SV_EUlSU_E_NS1_11comp_targetILNS1_3genE10ELNS1_11target_archE1201ELNS1_3gpuE5ELNS1_3repE0EEENS1_30default_config_static_selectorELNS0_4arch9wavefront6targetE0EEEvT1_.has_indirect_call, 0
	.section	.AMDGPU.csdata,"",@progbits
; Kernel info:
; codeLenInByte = 0
; TotalNumSgprs: 0
; NumVgprs: 0
; ScratchSize: 0
; MemoryBound: 0
; FloatMode: 240
; IeeeMode: 1
; LDSByteSize: 0 bytes/workgroup (compile time only)
; SGPRBlocks: 0
; VGPRBlocks: 0
; NumSGPRsForWavesPerEU: 1
; NumVGPRsForWavesPerEU: 1
; NamedBarCnt: 0
; Occupancy: 16
; WaveLimiterHint : 0
; COMPUTE_PGM_RSRC2:SCRATCH_EN: 0
; COMPUTE_PGM_RSRC2:USER_SGPR: 2
; COMPUTE_PGM_RSRC2:TRAP_HANDLER: 0
; COMPUTE_PGM_RSRC2:TGID_X_EN: 1
; COMPUTE_PGM_RSRC2:TGID_Y_EN: 0
; COMPUTE_PGM_RSRC2:TGID_Z_EN: 0
; COMPUTE_PGM_RSRC2:TIDIG_COMP_CNT: 0
	.section	.text._ZN7rocprim17ROCPRIM_400000_NS6detail17trampoline_kernelINS0_14default_configENS1_27scan_by_key_config_selectorIiiEEZZNS1_16scan_by_key_implILNS1_25lookback_scan_determinismE0ELb1ES3_N6thrust23THRUST_200600_302600_NS6detail15normal_iteratorINS9_10device_ptrIiEEEESE_SE_iNS9_10multipliesIiEENS9_8equal_toIiEEiEE10hipError_tPvRmT2_T3_T4_T5_mT6_T7_P12ihipStream_tbENKUlT_T0_E_clISt17integral_constantIbLb1EESZ_EEDaSU_SV_EUlSU_E_NS1_11comp_targetILNS1_3genE5ELNS1_11target_archE942ELNS1_3gpuE9ELNS1_3repE0EEENS1_30default_config_static_selectorELNS0_4arch9wavefront6targetE0EEEvT1_,"axG",@progbits,_ZN7rocprim17ROCPRIM_400000_NS6detail17trampoline_kernelINS0_14default_configENS1_27scan_by_key_config_selectorIiiEEZZNS1_16scan_by_key_implILNS1_25lookback_scan_determinismE0ELb1ES3_N6thrust23THRUST_200600_302600_NS6detail15normal_iteratorINS9_10device_ptrIiEEEESE_SE_iNS9_10multipliesIiEENS9_8equal_toIiEEiEE10hipError_tPvRmT2_T3_T4_T5_mT6_T7_P12ihipStream_tbENKUlT_T0_E_clISt17integral_constantIbLb1EESZ_EEDaSU_SV_EUlSU_E_NS1_11comp_targetILNS1_3genE5ELNS1_11target_archE942ELNS1_3gpuE9ELNS1_3repE0EEENS1_30default_config_static_selectorELNS0_4arch9wavefront6targetE0EEEvT1_,comdat
	.protected	_ZN7rocprim17ROCPRIM_400000_NS6detail17trampoline_kernelINS0_14default_configENS1_27scan_by_key_config_selectorIiiEEZZNS1_16scan_by_key_implILNS1_25lookback_scan_determinismE0ELb1ES3_N6thrust23THRUST_200600_302600_NS6detail15normal_iteratorINS9_10device_ptrIiEEEESE_SE_iNS9_10multipliesIiEENS9_8equal_toIiEEiEE10hipError_tPvRmT2_T3_T4_T5_mT6_T7_P12ihipStream_tbENKUlT_T0_E_clISt17integral_constantIbLb1EESZ_EEDaSU_SV_EUlSU_E_NS1_11comp_targetILNS1_3genE5ELNS1_11target_archE942ELNS1_3gpuE9ELNS1_3repE0EEENS1_30default_config_static_selectorELNS0_4arch9wavefront6targetE0EEEvT1_ ; -- Begin function _ZN7rocprim17ROCPRIM_400000_NS6detail17trampoline_kernelINS0_14default_configENS1_27scan_by_key_config_selectorIiiEEZZNS1_16scan_by_key_implILNS1_25lookback_scan_determinismE0ELb1ES3_N6thrust23THRUST_200600_302600_NS6detail15normal_iteratorINS9_10device_ptrIiEEEESE_SE_iNS9_10multipliesIiEENS9_8equal_toIiEEiEE10hipError_tPvRmT2_T3_T4_T5_mT6_T7_P12ihipStream_tbENKUlT_T0_E_clISt17integral_constantIbLb1EESZ_EEDaSU_SV_EUlSU_E_NS1_11comp_targetILNS1_3genE5ELNS1_11target_archE942ELNS1_3gpuE9ELNS1_3repE0EEENS1_30default_config_static_selectorELNS0_4arch9wavefront6targetE0EEEvT1_
	.globl	_ZN7rocprim17ROCPRIM_400000_NS6detail17trampoline_kernelINS0_14default_configENS1_27scan_by_key_config_selectorIiiEEZZNS1_16scan_by_key_implILNS1_25lookback_scan_determinismE0ELb1ES3_N6thrust23THRUST_200600_302600_NS6detail15normal_iteratorINS9_10device_ptrIiEEEESE_SE_iNS9_10multipliesIiEENS9_8equal_toIiEEiEE10hipError_tPvRmT2_T3_T4_T5_mT6_T7_P12ihipStream_tbENKUlT_T0_E_clISt17integral_constantIbLb1EESZ_EEDaSU_SV_EUlSU_E_NS1_11comp_targetILNS1_3genE5ELNS1_11target_archE942ELNS1_3gpuE9ELNS1_3repE0EEENS1_30default_config_static_selectorELNS0_4arch9wavefront6targetE0EEEvT1_
	.p2align	8
	.type	_ZN7rocprim17ROCPRIM_400000_NS6detail17trampoline_kernelINS0_14default_configENS1_27scan_by_key_config_selectorIiiEEZZNS1_16scan_by_key_implILNS1_25lookback_scan_determinismE0ELb1ES3_N6thrust23THRUST_200600_302600_NS6detail15normal_iteratorINS9_10device_ptrIiEEEESE_SE_iNS9_10multipliesIiEENS9_8equal_toIiEEiEE10hipError_tPvRmT2_T3_T4_T5_mT6_T7_P12ihipStream_tbENKUlT_T0_E_clISt17integral_constantIbLb1EESZ_EEDaSU_SV_EUlSU_E_NS1_11comp_targetILNS1_3genE5ELNS1_11target_archE942ELNS1_3gpuE9ELNS1_3repE0EEENS1_30default_config_static_selectorELNS0_4arch9wavefront6targetE0EEEvT1_,@function
_ZN7rocprim17ROCPRIM_400000_NS6detail17trampoline_kernelINS0_14default_configENS1_27scan_by_key_config_selectorIiiEEZZNS1_16scan_by_key_implILNS1_25lookback_scan_determinismE0ELb1ES3_N6thrust23THRUST_200600_302600_NS6detail15normal_iteratorINS9_10device_ptrIiEEEESE_SE_iNS9_10multipliesIiEENS9_8equal_toIiEEiEE10hipError_tPvRmT2_T3_T4_T5_mT6_T7_P12ihipStream_tbENKUlT_T0_E_clISt17integral_constantIbLb1EESZ_EEDaSU_SV_EUlSU_E_NS1_11comp_targetILNS1_3genE5ELNS1_11target_archE942ELNS1_3gpuE9ELNS1_3repE0EEENS1_30default_config_static_selectorELNS0_4arch9wavefront6targetE0EEEvT1_: ; @_ZN7rocprim17ROCPRIM_400000_NS6detail17trampoline_kernelINS0_14default_configENS1_27scan_by_key_config_selectorIiiEEZZNS1_16scan_by_key_implILNS1_25lookback_scan_determinismE0ELb1ES3_N6thrust23THRUST_200600_302600_NS6detail15normal_iteratorINS9_10device_ptrIiEEEESE_SE_iNS9_10multipliesIiEENS9_8equal_toIiEEiEE10hipError_tPvRmT2_T3_T4_T5_mT6_T7_P12ihipStream_tbENKUlT_T0_E_clISt17integral_constantIbLb1EESZ_EEDaSU_SV_EUlSU_E_NS1_11comp_targetILNS1_3genE5ELNS1_11target_archE942ELNS1_3gpuE9ELNS1_3repE0EEENS1_30default_config_static_selectorELNS0_4arch9wavefront6targetE0EEEvT1_
; %bb.0:
	.section	.rodata,"a",@progbits
	.p2align	6, 0x0
	.amdhsa_kernel _ZN7rocprim17ROCPRIM_400000_NS6detail17trampoline_kernelINS0_14default_configENS1_27scan_by_key_config_selectorIiiEEZZNS1_16scan_by_key_implILNS1_25lookback_scan_determinismE0ELb1ES3_N6thrust23THRUST_200600_302600_NS6detail15normal_iteratorINS9_10device_ptrIiEEEESE_SE_iNS9_10multipliesIiEENS9_8equal_toIiEEiEE10hipError_tPvRmT2_T3_T4_T5_mT6_T7_P12ihipStream_tbENKUlT_T0_E_clISt17integral_constantIbLb1EESZ_EEDaSU_SV_EUlSU_E_NS1_11comp_targetILNS1_3genE5ELNS1_11target_archE942ELNS1_3gpuE9ELNS1_3repE0EEENS1_30default_config_static_selectorELNS0_4arch9wavefront6targetE0EEEvT1_
		.amdhsa_group_segment_fixed_size 0
		.amdhsa_private_segment_fixed_size 0
		.amdhsa_kernarg_size 112
		.amdhsa_user_sgpr_count 2
		.amdhsa_user_sgpr_dispatch_ptr 0
		.amdhsa_user_sgpr_queue_ptr 0
		.amdhsa_user_sgpr_kernarg_segment_ptr 1
		.amdhsa_user_sgpr_dispatch_id 0
		.amdhsa_user_sgpr_kernarg_preload_length 0
		.amdhsa_user_sgpr_kernarg_preload_offset 0
		.amdhsa_user_sgpr_private_segment_size 0
		.amdhsa_wavefront_size32 1
		.amdhsa_uses_dynamic_stack 0
		.amdhsa_enable_private_segment 0
		.amdhsa_system_sgpr_workgroup_id_x 1
		.amdhsa_system_sgpr_workgroup_id_y 0
		.amdhsa_system_sgpr_workgroup_id_z 0
		.amdhsa_system_sgpr_workgroup_info 0
		.amdhsa_system_vgpr_workitem_id 0
		.amdhsa_next_free_vgpr 1
		.amdhsa_next_free_sgpr 1
		.amdhsa_named_barrier_count 0
		.amdhsa_reserve_vcc 0
		.amdhsa_float_round_mode_32 0
		.amdhsa_float_round_mode_16_64 0
		.amdhsa_float_denorm_mode_32 3
		.amdhsa_float_denorm_mode_16_64 3
		.amdhsa_fp16_overflow 0
		.amdhsa_memory_ordered 1
		.amdhsa_forward_progress 1
		.amdhsa_inst_pref_size 0
		.amdhsa_round_robin_scheduling 0
		.amdhsa_exception_fp_ieee_invalid_op 0
		.amdhsa_exception_fp_denorm_src 0
		.amdhsa_exception_fp_ieee_div_zero 0
		.amdhsa_exception_fp_ieee_overflow 0
		.amdhsa_exception_fp_ieee_underflow 0
		.amdhsa_exception_fp_ieee_inexact 0
		.amdhsa_exception_int_div_zero 0
	.end_amdhsa_kernel
	.section	.text._ZN7rocprim17ROCPRIM_400000_NS6detail17trampoline_kernelINS0_14default_configENS1_27scan_by_key_config_selectorIiiEEZZNS1_16scan_by_key_implILNS1_25lookback_scan_determinismE0ELb1ES3_N6thrust23THRUST_200600_302600_NS6detail15normal_iteratorINS9_10device_ptrIiEEEESE_SE_iNS9_10multipliesIiEENS9_8equal_toIiEEiEE10hipError_tPvRmT2_T3_T4_T5_mT6_T7_P12ihipStream_tbENKUlT_T0_E_clISt17integral_constantIbLb1EESZ_EEDaSU_SV_EUlSU_E_NS1_11comp_targetILNS1_3genE5ELNS1_11target_archE942ELNS1_3gpuE9ELNS1_3repE0EEENS1_30default_config_static_selectorELNS0_4arch9wavefront6targetE0EEEvT1_,"axG",@progbits,_ZN7rocprim17ROCPRIM_400000_NS6detail17trampoline_kernelINS0_14default_configENS1_27scan_by_key_config_selectorIiiEEZZNS1_16scan_by_key_implILNS1_25lookback_scan_determinismE0ELb1ES3_N6thrust23THRUST_200600_302600_NS6detail15normal_iteratorINS9_10device_ptrIiEEEESE_SE_iNS9_10multipliesIiEENS9_8equal_toIiEEiEE10hipError_tPvRmT2_T3_T4_T5_mT6_T7_P12ihipStream_tbENKUlT_T0_E_clISt17integral_constantIbLb1EESZ_EEDaSU_SV_EUlSU_E_NS1_11comp_targetILNS1_3genE5ELNS1_11target_archE942ELNS1_3gpuE9ELNS1_3repE0EEENS1_30default_config_static_selectorELNS0_4arch9wavefront6targetE0EEEvT1_,comdat
.Lfunc_end508:
	.size	_ZN7rocprim17ROCPRIM_400000_NS6detail17trampoline_kernelINS0_14default_configENS1_27scan_by_key_config_selectorIiiEEZZNS1_16scan_by_key_implILNS1_25lookback_scan_determinismE0ELb1ES3_N6thrust23THRUST_200600_302600_NS6detail15normal_iteratorINS9_10device_ptrIiEEEESE_SE_iNS9_10multipliesIiEENS9_8equal_toIiEEiEE10hipError_tPvRmT2_T3_T4_T5_mT6_T7_P12ihipStream_tbENKUlT_T0_E_clISt17integral_constantIbLb1EESZ_EEDaSU_SV_EUlSU_E_NS1_11comp_targetILNS1_3genE5ELNS1_11target_archE942ELNS1_3gpuE9ELNS1_3repE0EEENS1_30default_config_static_selectorELNS0_4arch9wavefront6targetE0EEEvT1_, .Lfunc_end508-_ZN7rocprim17ROCPRIM_400000_NS6detail17trampoline_kernelINS0_14default_configENS1_27scan_by_key_config_selectorIiiEEZZNS1_16scan_by_key_implILNS1_25lookback_scan_determinismE0ELb1ES3_N6thrust23THRUST_200600_302600_NS6detail15normal_iteratorINS9_10device_ptrIiEEEESE_SE_iNS9_10multipliesIiEENS9_8equal_toIiEEiEE10hipError_tPvRmT2_T3_T4_T5_mT6_T7_P12ihipStream_tbENKUlT_T0_E_clISt17integral_constantIbLb1EESZ_EEDaSU_SV_EUlSU_E_NS1_11comp_targetILNS1_3genE5ELNS1_11target_archE942ELNS1_3gpuE9ELNS1_3repE0EEENS1_30default_config_static_selectorELNS0_4arch9wavefront6targetE0EEEvT1_
                                        ; -- End function
	.set _ZN7rocprim17ROCPRIM_400000_NS6detail17trampoline_kernelINS0_14default_configENS1_27scan_by_key_config_selectorIiiEEZZNS1_16scan_by_key_implILNS1_25lookback_scan_determinismE0ELb1ES3_N6thrust23THRUST_200600_302600_NS6detail15normal_iteratorINS9_10device_ptrIiEEEESE_SE_iNS9_10multipliesIiEENS9_8equal_toIiEEiEE10hipError_tPvRmT2_T3_T4_T5_mT6_T7_P12ihipStream_tbENKUlT_T0_E_clISt17integral_constantIbLb1EESZ_EEDaSU_SV_EUlSU_E_NS1_11comp_targetILNS1_3genE5ELNS1_11target_archE942ELNS1_3gpuE9ELNS1_3repE0EEENS1_30default_config_static_selectorELNS0_4arch9wavefront6targetE0EEEvT1_.num_vgpr, 0
	.set _ZN7rocprim17ROCPRIM_400000_NS6detail17trampoline_kernelINS0_14default_configENS1_27scan_by_key_config_selectorIiiEEZZNS1_16scan_by_key_implILNS1_25lookback_scan_determinismE0ELb1ES3_N6thrust23THRUST_200600_302600_NS6detail15normal_iteratorINS9_10device_ptrIiEEEESE_SE_iNS9_10multipliesIiEENS9_8equal_toIiEEiEE10hipError_tPvRmT2_T3_T4_T5_mT6_T7_P12ihipStream_tbENKUlT_T0_E_clISt17integral_constantIbLb1EESZ_EEDaSU_SV_EUlSU_E_NS1_11comp_targetILNS1_3genE5ELNS1_11target_archE942ELNS1_3gpuE9ELNS1_3repE0EEENS1_30default_config_static_selectorELNS0_4arch9wavefront6targetE0EEEvT1_.num_agpr, 0
	.set _ZN7rocprim17ROCPRIM_400000_NS6detail17trampoline_kernelINS0_14default_configENS1_27scan_by_key_config_selectorIiiEEZZNS1_16scan_by_key_implILNS1_25lookback_scan_determinismE0ELb1ES3_N6thrust23THRUST_200600_302600_NS6detail15normal_iteratorINS9_10device_ptrIiEEEESE_SE_iNS9_10multipliesIiEENS9_8equal_toIiEEiEE10hipError_tPvRmT2_T3_T4_T5_mT6_T7_P12ihipStream_tbENKUlT_T0_E_clISt17integral_constantIbLb1EESZ_EEDaSU_SV_EUlSU_E_NS1_11comp_targetILNS1_3genE5ELNS1_11target_archE942ELNS1_3gpuE9ELNS1_3repE0EEENS1_30default_config_static_selectorELNS0_4arch9wavefront6targetE0EEEvT1_.numbered_sgpr, 0
	.set _ZN7rocprim17ROCPRIM_400000_NS6detail17trampoline_kernelINS0_14default_configENS1_27scan_by_key_config_selectorIiiEEZZNS1_16scan_by_key_implILNS1_25lookback_scan_determinismE0ELb1ES3_N6thrust23THRUST_200600_302600_NS6detail15normal_iteratorINS9_10device_ptrIiEEEESE_SE_iNS9_10multipliesIiEENS9_8equal_toIiEEiEE10hipError_tPvRmT2_T3_T4_T5_mT6_T7_P12ihipStream_tbENKUlT_T0_E_clISt17integral_constantIbLb1EESZ_EEDaSU_SV_EUlSU_E_NS1_11comp_targetILNS1_3genE5ELNS1_11target_archE942ELNS1_3gpuE9ELNS1_3repE0EEENS1_30default_config_static_selectorELNS0_4arch9wavefront6targetE0EEEvT1_.num_named_barrier, 0
	.set _ZN7rocprim17ROCPRIM_400000_NS6detail17trampoline_kernelINS0_14default_configENS1_27scan_by_key_config_selectorIiiEEZZNS1_16scan_by_key_implILNS1_25lookback_scan_determinismE0ELb1ES3_N6thrust23THRUST_200600_302600_NS6detail15normal_iteratorINS9_10device_ptrIiEEEESE_SE_iNS9_10multipliesIiEENS9_8equal_toIiEEiEE10hipError_tPvRmT2_T3_T4_T5_mT6_T7_P12ihipStream_tbENKUlT_T0_E_clISt17integral_constantIbLb1EESZ_EEDaSU_SV_EUlSU_E_NS1_11comp_targetILNS1_3genE5ELNS1_11target_archE942ELNS1_3gpuE9ELNS1_3repE0EEENS1_30default_config_static_selectorELNS0_4arch9wavefront6targetE0EEEvT1_.private_seg_size, 0
	.set _ZN7rocprim17ROCPRIM_400000_NS6detail17trampoline_kernelINS0_14default_configENS1_27scan_by_key_config_selectorIiiEEZZNS1_16scan_by_key_implILNS1_25lookback_scan_determinismE0ELb1ES3_N6thrust23THRUST_200600_302600_NS6detail15normal_iteratorINS9_10device_ptrIiEEEESE_SE_iNS9_10multipliesIiEENS9_8equal_toIiEEiEE10hipError_tPvRmT2_T3_T4_T5_mT6_T7_P12ihipStream_tbENKUlT_T0_E_clISt17integral_constantIbLb1EESZ_EEDaSU_SV_EUlSU_E_NS1_11comp_targetILNS1_3genE5ELNS1_11target_archE942ELNS1_3gpuE9ELNS1_3repE0EEENS1_30default_config_static_selectorELNS0_4arch9wavefront6targetE0EEEvT1_.uses_vcc, 0
	.set _ZN7rocprim17ROCPRIM_400000_NS6detail17trampoline_kernelINS0_14default_configENS1_27scan_by_key_config_selectorIiiEEZZNS1_16scan_by_key_implILNS1_25lookback_scan_determinismE0ELb1ES3_N6thrust23THRUST_200600_302600_NS6detail15normal_iteratorINS9_10device_ptrIiEEEESE_SE_iNS9_10multipliesIiEENS9_8equal_toIiEEiEE10hipError_tPvRmT2_T3_T4_T5_mT6_T7_P12ihipStream_tbENKUlT_T0_E_clISt17integral_constantIbLb1EESZ_EEDaSU_SV_EUlSU_E_NS1_11comp_targetILNS1_3genE5ELNS1_11target_archE942ELNS1_3gpuE9ELNS1_3repE0EEENS1_30default_config_static_selectorELNS0_4arch9wavefront6targetE0EEEvT1_.uses_flat_scratch, 0
	.set _ZN7rocprim17ROCPRIM_400000_NS6detail17trampoline_kernelINS0_14default_configENS1_27scan_by_key_config_selectorIiiEEZZNS1_16scan_by_key_implILNS1_25lookback_scan_determinismE0ELb1ES3_N6thrust23THRUST_200600_302600_NS6detail15normal_iteratorINS9_10device_ptrIiEEEESE_SE_iNS9_10multipliesIiEENS9_8equal_toIiEEiEE10hipError_tPvRmT2_T3_T4_T5_mT6_T7_P12ihipStream_tbENKUlT_T0_E_clISt17integral_constantIbLb1EESZ_EEDaSU_SV_EUlSU_E_NS1_11comp_targetILNS1_3genE5ELNS1_11target_archE942ELNS1_3gpuE9ELNS1_3repE0EEENS1_30default_config_static_selectorELNS0_4arch9wavefront6targetE0EEEvT1_.has_dyn_sized_stack, 0
	.set _ZN7rocprim17ROCPRIM_400000_NS6detail17trampoline_kernelINS0_14default_configENS1_27scan_by_key_config_selectorIiiEEZZNS1_16scan_by_key_implILNS1_25lookback_scan_determinismE0ELb1ES3_N6thrust23THRUST_200600_302600_NS6detail15normal_iteratorINS9_10device_ptrIiEEEESE_SE_iNS9_10multipliesIiEENS9_8equal_toIiEEiEE10hipError_tPvRmT2_T3_T4_T5_mT6_T7_P12ihipStream_tbENKUlT_T0_E_clISt17integral_constantIbLb1EESZ_EEDaSU_SV_EUlSU_E_NS1_11comp_targetILNS1_3genE5ELNS1_11target_archE942ELNS1_3gpuE9ELNS1_3repE0EEENS1_30default_config_static_selectorELNS0_4arch9wavefront6targetE0EEEvT1_.has_recursion, 0
	.set _ZN7rocprim17ROCPRIM_400000_NS6detail17trampoline_kernelINS0_14default_configENS1_27scan_by_key_config_selectorIiiEEZZNS1_16scan_by_key_implILNS1_25lookback_scan_determinismE0ELb1ES3_N6thrust23THRUST_200600_302600_NS6detail15normal_iteratorINS9_10device_ptrIiEEEESE_SE_iNS9_10multipliesIiEENS9_8equal_toIiEEiEE10hipError_tPvRmT2_T3_T4_T5_mT6_T7_P12ihipStream_tbENKUlT_T0_E_clISt17integral_constantIbLb1EESZ_EEDaSU_SV_EUlSU_E_NS1_11comp_targetILNS1_3genE5ELNS1_11target_archE942ELNS1_3gpuE9ELNS1_3repE0EEENS1_30default_config_static_selectorELNS0_4arch9wavefront6targetE0EEEvT1_.has_indirect_call, 0
	.section	.AMDGPU.csdata,"",@progbits
; Kernel info:
; codeLenInByte = 0
; TotalNumSgprs: 0
; NumVgprs: 0
; ScratchSize: 0
; MemoryBound: 0
; FloatMode: 240
; IeeeMode: 1
; LDSByteSize: 0 bytes/workgroup (compile time only)
; SGPRBlocks: 0
; VGPRBlocks: 0
; NumSGPRsForWavesPerEU: 1
; NumVGPRsForWavesPerEU: 1
; NamedBarCnt: 0
; Occupancy: 16
; WaveLimiterHint : 0
; COMPUTE_PGM_RSRC2:SCRATCH_EN: 0
; COMPUTE_PGM_RSRC2:USER_SGPR: 2
; COMPUTE_PGM_RSRC2:TRAP_HANDLER: 0
; COMPUTE_PGM_RSRC2:TGID_X_EN: 1
; COMPUTE_PGM_RSRC2:TGID_Y_EN: 0
; COMPUTE_PGM_RSRC2:TGID_Z_EN: 0
; COMPUTE_PGM_RSRC2:TIDIG_COMP_CNT: 0
	.section	.text._ZN7rocprim17ROCPRIM_400000_NS6detail17trampoline_kernelINS0_14default_configENS1_27scan_by_key_config_selectorIiiEEZZNS1_16scan_by_key_implILNS1_25lookback_scan_determinismE0ELb1ES3_N6thrust23THRUST_200600_302600_NS6detail15normal_iteratorINS9_10device_ptrIiEEEESE_SE_iNS9_10multipliesIiEENS9_8equal_toIiEEiEE10hipError_tPvRmT2_T3_T4_T5_mT6_T7_P12ihipStream_tbENKUlT_T0_E_clISt17integral_constantIbLb1EESZ_EEDaSU_SV_EUlSU_E_NS1_11comp_targetILNS1_3genE4ELNS1_11target_archE910ELNS1_3gpuE8ELNS1_3repE0EEENS1_30default_config_static_selectorELNS0_4arch9wavefront6targetE0EEEvT1_,"axG",@progbits,_ZN7rocprim17ROCPRIM_400000_NS6detail17trampoline_kernelINS0_14default_configENS1_27scan_by_key_config_selectorIiiEEZZNS1_16scan_by_key_implILNS1_25lookback_scan_determinismE0ELb1ES3_N6thrust23THRUST_200600_302600_NS6detail15normal_iteratorINS9_10device_ptrIiEEEESE_SE_iNS9_10multipliesIiEENS9_8equal_toIiEEiEE10hipError_tPvRmT2_T3_T4_T5_mT6_T7_P12ihipStream_tbENKUlT_T0_E_clISt17integral_constantIbLb1EESZ_EEDaSU_SV_EUlSU_E_NS1_11comp_targetILNS1_3genE4ELNS1_11target_archE910ELNS1_3gpuE8ELNS1_3repE0EEENS1_30default_config_static_selectorELNS0_4arch9wavefront6targetE0EEEvT1_,comdat
	.protected	_ZN7rocprim17ROCPRIM_400000_NS6detail17trampoline_kernelINS0_14default_configENS1_27scan_by_key_config_selectorIiiEEZZNS1_16scan_by_key_implILNS1_25lookback_scan_determinismE0ELb1ES3_N6thrust23THRUST_200600_302600_NS6detail15normal_iteratorINS9_10device_ptrIiEEEESE_SE_iNS9_10multipliesIiEENS9_8equal_toIiEEiEE10hipError_tPvRmT2_T3_T4_T5_mT6_T7_P12ihipStream_tbENKUlT_T0_E_clISt17integral_constantIbLb1EESZ_EEDaSU_SV_EUlSU_E_NS1_11comp_targetILNS1_3genE4ELNS1_11target_archE910ELNS1_3gpuE8ELNS1_3repE0EEENS1_30default_config_static_selectorELNS0_4arch9wavefront6targetE0EEEvT1_ ; -- Begin function _ZN7rocprim17ROCPRIM_400000_NS6detail17trampoline_kernelINS0_14default_configENS1_27scan_by_key_config_selectorIiiEEZZNS1_16scan_by_key_implILNS1_25lookback_scan_determinismE0ELb1ES3_N6thrust23THRUST_200600_302600_NS6detail15normal_iteratorINS9_10device_ptrIiEEEESE_SE_iNS9_10multipliesIiEENS9_8equal_toIiEEiEE10hipError_tPvRmT2_T3_T4_T5_mT6_T7_P12ihipStream_tbENKUlT_T0_E_clISt17integral_constantIbLb1EESZ_EEDaSU_SV_EUlSU_E_NS1_11comp_targetILNS1_3genE4ELNS1_11target_archE910ELNS1_3gpuE8ELNS1_3repE0EEENS1_30default_config_static_selectorELNS0_4arch9wavefront6targetE0EEEvT1_
	.globl	_ZN7rocprim17ROCPRIM_400000_NS6detail17trampoline_kernelINS0_14default_configENS1_27scan_by_key_config_selectorIiiEEZZNS1_16scan_by_key_implILNS1_25lookback_scan_determinismE0ELb1ES3_N6thrust23THRUST_200600_302600_NS6detail15normal_iteratorINS9_10device_ptrIiEEEESE_SE_iNS9_10multipliesIiEENS9_8equal_toIiEEiEE10hipError_tPvRmT2_T3_T4_T5_mT6_T7_P12ihipStream_tbENKUlT_T0_E_clISt17integral_constantIbLb1EESZ_EEDaSU_SV_EUlSU_E_NS1_11comp_targetILNS1_3genE4ELNS1_11target_archE910ELNS1_3gpuE8ELNS1_3repE0EEENS1_30default_config_static_selectorELNS0_4arch9wavefront6targetE0EEEvT1_
	.p2align	8
	.type	_ZN7rocprim17ROCPRIM_400000_NS6detail17trampoline_kernelINS0_14default_configENS1_27scan_by_key_config_selectorIiiEEZZNS1_16scan_by_key_implILNS1_25lookback_scan_determinismE0ELb1ES3_N6thrust23THRUST_200600_302600_NS6detail15normal_iteratorINS9_10device_ptrIiEEEESE_SE_iNS9_10multipliesIiEENS9_8equal_toIiEEiEE10hipError_tPvRmT2_T3_T4_T5_mT6_T7_P12ihipStream_tbENKUlT_T0_E_clISt17integral_constantIbLb1EESZ_EEDaSU_SV_EUlSU_E_NS1_11comp_targetILNS1_3genE4ELNS1_11target_archE910ELNS1_3gpuE8ELNS1_3repE0EEENS1_30default_config_static_selectorELNS0_4arch9wavefront6targetE0EEEvT1_,@function
_ZN7rocprim17ROCPRIM_400000_NS6detail17trampoline_kernelINS0_14default_configENS1_27scan_by_key_config_selectorIiiEEZZNS1_16scan_by_key_implILNS1_25lookback_scan_determinismE0ELb1ES3_N6thrust23THRUST_200600_302600_NS6detail15normal_iteratorINS9_10device_ptrIiEEEESE_SE_iNS9_10multipliesIiEENS9_8equal_toIiEEiEE10hipError_tPvRmT2_T3_T4_T5_mT6_T7_P12ihipStream_tbENKUlT_T0_E_clISt17integral_constantIbLb1EESZ_EEDaSU_SV_EUlSU_E_NS1_11comp_targetILNS1_3genE4ELNS1_11target_archE910ELNS1_3gpuE8ELNS1_3repE0EEENS1_30default_config_static_selectorELNS0_4arch9wavefront6targetE0EEEvT1_: ; @_ZN7rocprim17ROCPRIM_400000_NS6detail17trampoline_kernelINS0_14default_configENS1_27scan_by_key_config_selectorIiiEEZZNS1_16scan_by_key_implILNS1_25lookback_scan_determinismE0ELb1ES3_N6thrust23THRUST_200600_302600_NS6detail15normal_iteratorINS9_10device_ptrIiEEEESE_SE_iNS9_10multipliesIiEENS9_8equal_toIiEEiEE10hipError_tPvRmT2_T3_T4_T5_mT6_T7_P12ihipStream_tbENKUlT_T0_E_clISt17integral_constantIbLb1EESZ_EEDaSU_SV_EUlSU_E_NS1_11comp_targetILNS1_3genE4ELNS1_11target_archE910ELNS1_3gpuE8ELNS1_3repE0EEENS1_30default_config_static_selectorELNS0_4arch9wavefront6targetE0EEEvT1_
; %bb.0:
	.section	.rodata,"a",@progbits
	.p2align	6, 0x0
	.amdhsa_kernel _ZN7rocprim17ROCPRIM_400000_NS6detail17trampoline_kernelINS0_14default_configENS1_27scan_by_key_config_selectorIiiEEZZNS1_16scan_by_key_implILNS1_25lookback_scan_determinismE0ELb1ES3_N6thrust23THRUST_200600_302600_NS6detail15normal_iteratorINS9_10device_ptrIiEEEESE_SE_iNS9_10multipliesIiEENS9_8equal_toIiEEiEE10hipError_tPvRmT2_T3_T4_T5_mT6_T7_P12ihipStream_tbENKUlT_T0_E_clISt17integral_constantIbLb1EESZ_EEDaSU_SV_EUlSU_E_NS1_11comp_targetILNS1_3genE4ELNS1_11target_archE910ELNS1_3gpuE8ELNS1_3repE0EEENS1_30default_config_static_selectorELNS0_4arch9wavefront6targetE0EEEvT1_
		.amdhsa_group_segment_fixed_size 0
		.amdhsa_private_segment_fixed_size 0
		.amdhsa_kernarg_size 112
		.amdhsa_user_sgpr_count 2
		.amdhsa_user_sgpr_dispatch_ptr 0
		.amdhsa_user_sgpr_queue_ptr 0
		.amdhsa_user_sgpr_kernarg_segment_ptr 1
		.amdhsa_user_sgpr_dispatch_id 0
		.amdhsa_user_sgpr_kernarg_preload_length 0
		.amdhsa_user_sgpr_kernarg_preload_offset 0
		.amdhsa_user_sgpr_private_segment_size 0
		.amdhsa_wavefront_size32 1
		.amdhsa_uses_dynamic_stack 0
		.amdhsa_enable_private_segment 0
		.amdhsa_system_sgpr_workgroup_id_x 1
		.amdhsa_system_sgpr_workgroup_id_y 0
		.amdhsa_system_sgpr_workgroup_id_z 0
		.amdhsa_system_sgpr_workgroup_info 0
		.amdhsa_system_vgpr_workitem_id 0
		.amdhsa_next_free_vgpr 1
		.amdhsa_next_free_sgpr 1
		.amdhsa_named_barrier_count 0
		.amdhsa_reserve_vcc 0
		.amdhsa_float_round_mode_32 0
		.amdhsa_float_round_mode_16_64 0
		.amdhsa_float_denorm_mode_32 3
		.amdhsa_float_denorm_mode_16_64 3
		.amdhsa_fp16_overflow 0
		.amdhsa_memory_ordered 1
		.amdhsa_forward_progress 1
		.amdhsa_inst_pref_size 0
		.amdhsa_round_robin_scheduling 0
		.amdhsa_exception_fp_ieee_invalid_op 0
		.amdhsa_exception_fp_denorm_src 0
		.amdhsa_exception_fp_ieee_div_zero 0
		.amdhsa_exception_fp_ieee_overflow 0
		.amdhsa_exception_fp_ieee_underflow 0
		.amdhsa_exception_fp_ieee_inexact 0
		.amdhsa_exception_int_div_zero 0
	.end_amdhsa_kernel
	.section	.text._ZN7rocprim17ROCPRIM_400000_NS6detail17trampoline_kernelINS0_14default_configENS1_27scan_by_key_config_selectorIiiEEZZNS1_16scan_by_key_implILNS1_25lookback_scan_determinismE0ELb1ES3_N6thrust23THRUST_200600_302600_NS6detail15normal_iteratorINS9_10device_ptrIiEEEESE_SE_iNS9_10multipliesIiEENS9_8equal_toIiEEiEE10hipError_tPvRmT2_T3_T4_T5_mT6_T7_P12ihipStream_tbENKUlT_T0_E_clISt17integral_constantIbLb1EESZ_EEDaSU_SV_EUlSU_E_NS1_11comp_targetILNS1_3genE4ELNS1_11target_archE910ELNS1_3gpuE8ELNS1_3repE0EEENS1_30default_config_static_selectorELNS0_4arch9wavefront6targetE0EEEvT1_,"axG",@progbits,_ZN7rocprim17ROCPRIM_400000_NS6detail17trampoline_kernelINS0_14default_configENS1_27scan_by_key_config_selectorIiiEEZZNS1_16scan_by_key_implILNS1_25lookback_scan_determinismE0ELb1ES3_N6thrust23THRUST_200600_302600_NS6detail15normal_iteratorINS9_10device_ptrIiEEEESE_SE_iNS9_10multipliesIiEENS9_8equal_toIiEEiEE10hipError_tPvRmT2_T3_T4_T5_mT6_T7_P12ihipStream_tbENKUlT_T0_E_clISt17integral_constantIbLb1EESZ_EEDaSU_SV_EUlSU_E_NS1_11comp_targetILNS1_3genE4ELNS1_11target_archE910ELNS1_3gpuE8ELNS1_3repE0EEENS1_30default_config_static_selectorELNS0_4arch9wavefront6targetE0EEEvT1_,comdat
.Lfunc_end509:
	.size	_ZN7rocprim17ROCPRIM_400000_NS6detail17trampoline_kernelINS0_14default_configENS1_27scan_by_key_config_selectorIiiEEZZNS1_16scan_by_key_implILNS1_25lookback_scan_determinismE0ELb1ES3_N6thrust23THRUST_200600_302600_NS6detail15normal_iteratorINS9_10device_ptrIiEEEESE_SE_iNS9_10multipliesIiEENS9_8equal_toIiEEiEE10hipError_tPvRmT2_T3_T4_T5_mT6_T7_P12ihipStream_tbENKUlT_T0_E_clISt17integral_constantIbLb1EESZ_EEDaSU_SV_EUlSU_E_NS1_11comp_targetILNS1_3genE4ELNS1_11target_archE910ELNS1_3gpuE8ELNS1_3repE0EEENS1_30default_config_static_selectorELNS0_4arch9wavefront6targetE0EEEvT1_, .Lfunc_end509-_ZN7rocprim17ROCPRIM_400000_NS6detail17trampoline_kernelINS0_14default_configENS1_27scan_by_key_config_selectorIiiEEZZNS1_16scan_by_key_implILNS1_25lookback_scan_determinismE0ELb1ES3_N6thrust23THRUST_200600_302600_NS6detail15normal_iteratorINS9_10device_ptrIiEEEESE_SE_iNS9_10multipliesIiEENS9_8equal_toIiEEiEE10hipError_tPvRmT2_T3_T4_T5_mT6_T7_P12ihipStream_tbENKUlT_T0_E_clISt17integral_constantIbLb1EESZ_EEDaSU_SV_EUlSU_E_NS1_11comp_targetILNS1_3genE4ELNS1_11target_archE910ELNS1_3gpuE8ELNS1_3repE0EEENS1_30default_config_static_selectorELNS0_4arch9wavefront6targetE0EEEvT1_
                                        ; -- End function
	.set _ZN7rocprim17ROCPRIM_400000_NS6detail17trampoline_kernelINS0_14default_configENS1_27scan_by_key_config_selectorIiiEEZZNS1_16scan_by_key_implILNS1_25lookback_scan_determinismE0ELb1ES3_N6thrust23THRUST_200600_302600_NS6detail15normal_iteratorINS9_10device_ptrIiEEEESE_SE_iNS9_10multipliesIiEENS9_8equal_toIiEEiEE10hipError_tPvRmT2_T3_T4_T5_mT6_T7_P12ihipStream_tbENKUlT_T0_E_clISt17integral_constantIbLb1EESZ_EEDaSU_SV_EUlSU_E_NS1_11comp_targetILNS1_3genE4ELNS1_11target_archE910ELNS1_3gpuE8ELNS1_3repE0EEENS1_30default_config_static_selectorELNS0_4arch9wavefront6targetE0EEEvT1_.num_vgpr, 0
	.set _ZN7rocprim17ROCPRIM_400000_NS6detail17trampoline_kernelINS0_14default_configENS1_27scan_by_key_config_selectorIiiEEZZNS1_16scan_by_key_implILNS1_25lookback_scan_determinismE0ELb1ES3_N6thrust23THRUST_200600_302600_NS6detail15normal_iteratorINS9_10device_ptrIiEEEESE_SE_iNS9_10multipliesIiEENS9_8equal_toIiEEiEE10hipError_tPvRmT2_T3_T4_T5_mT6_T7_P12ihipStream_tbENKUlT_T0_E_clISt17integral_constantIbLb1EESZ_EEDaSU_SV_EUlSU_E_NS1_11comp_targetILNS1_3genE4ELNS1_11target_archE910ELNS1_3gpuE8ELNS1_3repE0EEENS1_30default_config_static_selectorELNS0_4arch9wavefront6targetE0EEEvT1_.num_agpr, 0
	.set _ZN7rocprim17ROCPRIM_400000_NS6detail17trampoline_kernelINS0_14default_configENS1_27scan_by_key_config_selectorIiiEEZZNS1_16scan_by_key_implILNS1_25lookback_scan_determinismE0ELb1ES3_N6thrust23THRUST_200600_302600_NS6detail15normal_iteratorINS9_10device_ptrIiEEEESE_SE_iNS9_10multipliesIiEENS9_8equal_toIiEEiEE10hipError_tPvRmT2_T3_T4_T5_mT6_T7_P12ihipStream_tbENKUlT_T0_E_clISt17integral_constantIbLb1EESZ_EEDaSU_SV_EUlSU_E_NS1_11comp_targetILNS1_3genE4ELNS1_11target_archE910ELNS1_3gpuE8ELNS1_3repE0EEENS1_30default_config_static_selectorELNS0_4arch9wavefront6targetE0EEEvT1_.numbered_sgpr, 0
	.set _ZN7rocprim17ROCPRIM_400000_NS6detail17trampoline_kernelINS0_14default_configENS1_27scan_by_key_config_selectorIiiEEZZNS1_16scan_by_key_implILNS1_25lookback_scan_determinismE0ELb1ES3_N6thrust23THRUST_200600_302600_NS6detail15normal_iteratorINS9_10device_ptrIiEEEESE_SE_iNS9_10multipliesIiEENS9_8equal_toIiEEiEE10hipError_tPvRmT2_T3_T4_T5_mT6_T7_P12ihipStream_tbENKUlT_T0_E_clISt17integral_constantIbLb1EESZ_EEDaSU_SV_EUlSU_E_NS1_11comp_targetILNS1_3genE4ELNS1_11target_archE910ELNS1_3gpuE8ELNS1_3repE0EEENS1_30default_config_static_selectorELNS0_4arch9wavefront6targetE0EEEvT1_.num_named_barrier, 0
	.set _ZN7rocprim17ROCPRIM_400000_NS6detail17trampoline_kernelINS0_14default_configENS1_27scan_by_key_config_selectorIiiEEZZNS1_16scan_by_key_implILNS1_25lookback_scan_determinismE0ELb1ES3_N6thrust23THRUST_200600_302600_NS6detail15normal_iteratorINS9_10device_ptrIiEEEESE_SE_iNS9_10multipliesIiEENS9_8equal_toIiEEiEE10hipError_tPvRmT2_T3_T4_T5_mT6_T7_P12ihipStream_tbENKUlT_T0_E_clISt17integral_constantIbLb1EESZ_EEDaSU_SV_EUlSU_E_NS1_11comp_targetILNS1_3genE4ELNS1_11target_archE910ELNS1_3gpuE8ELNS1_3repE0EEENS1_30default_config_static_selectorELNS0_4arch9wavefront6targetE0EEEvT1_.private_seg_size, 0
	.set _ZN7rocprim17ROCPRIM_400000_NS6detail17trampoline_kernelINS0_14default_configENS1_27scan_by_key_config_selectorIiiEEZZNS1_16scan_by_key_implILNS1_25lookback_scan_determinismE0ELb1ES3_N6thrust23THRUST_200600_302600_NS6detail15normal_iteratorINS9_10device_ptrIiEEEESE_SE_iNS9_10multipliesIiEENS9_8equal_toIiEEiEE10hipError_tPvRmT2_T3_T4_T5_mT6_T7_P12ihipStream_tbENKUlT_T0_E_clISt17integral_constantIbLb1EESZ_EEDaSU_SV_EUlSU_E_NS1_11comp_targetILNS1_3genE4ELNS1_11target_archE910ELNS1_3gpuE8ELNS1_3repE0EEENS1_30default_config_static_selectorELNS0_4arch9wavefront6targetE0EEEvT1_.uses_vcc, 0
	.set _ZN7rocprim17ROCPRIM_400000_NS6detail17trampoline_kernelINS0_14default_configENS1_27scan_by_key_config_selectorIiiEEZZNS1_16scan_by_key_implILNS1_25lookback_scan_determinismE0ELb1ES3_N6thrust23THRUST_200600_302600_NS6detail15normal_iteratorINS9_10device_ptrIiEEEESE_SE_iNS9_10multipliesIiEENS9_8equal_toIiEEiEE10hipError_tPvRmT2_T3_T4_T5_mT6_T7_P12ihipStream_tbENKUlT_T0_E_clISt17integral_constantIbLb1EESZ_EEDaSU_SV_EUlSU_E_NS1_11comp_targetILNS1_3genE4ELNS1_11target_archE910ELNS1_3gpuE8ELNS1_3repE0EEENS1_30default_config_static_selectorELNS0_4arch9wavefront6targetE0EEEvT1_.uses_flat_scratch, 0
	.set _ZN7rocprim17ROCPRIM_400000_NS6detail17trampoline_kernelINS0_14default_configENS1_27scan_by_key_config_selectorIiiEEZZNS1_16scan_by_key_implILNS1_25lookback_scan_determinismE0ELb1ES3_N6thrust23THRUST_200600_302600_NS6detail15normal_iteratorINS9_10device_ptrIiEEEESE_SE_iNS9_10multipliesIiEENS9_8equal_toIiEEiEE10hipError_tPvRmT2_T3_T4_T5_mT6_T7_P12ihipStream_tbENKUlT_T0_E_clISt17integral_constantIbLb1EESZ_EEDaSU_SV_EUlSU_E_NS1_11comp_targetILNS1_3genE4ELNS1_11target_archE910ELNS1_3gpuE8ELNS1_3repE0EEENS1_30default_config_static_selectorELNS0_4arch9wavefront6targetE0EEEvT1_.has_dyn_sized_stack, 0
	.set _ZN7rocprim17ROCPRIM_400000_NS6detail17trampoline_kernelINS0_14default_configENS1_27scan_by_key_config_selectorIiiEEZZNS1_16scan_by_key_implILNS1_25lookback_scan_determinismE0ELb1ES3_N6thrust23THRUST_200600_302600_NS6detail15normal_iteratorINS9_10device_ptrIiEEEESE_SE_iNS9_10multipliesIiEENS9_8equal_toIiEEiEE10hipError_tPvRmT2_T3_T4_T5_mT6_T7_P12ihipStream_tbENKUlT_T0_E_clISt17integral_constantIbLb1EESZ_EEDaSU_SV_EUlSU_E_NS1_11comp_targetILNS1_3genE4ELNS1_11target_archE910ELNS1_3gpuE8ELNS1_3repE0EEENS1_30default_config_static_selectorELNS0_4arch9wavefront6targetE0EEEvT1_.has_recursion, 0
	.set _ZN7rocprim17ROCPRIM_400000_NS6detail17trampoline_kernelINS0_14default_configENS1_27scan_by_key_config_selectorIiiEEZZNS1_16scan_by_key_implILNS1_25lookback_scan_determinismE0ELb1ES3_N6thrust23THRUST_200600_302600_NS6detail15normal_iteratorINS9_10device_ptrIiEEEESE_SE_iNS9_10multipliesIiEENS9_8equal_toIiEEiEE10hipError_tPvRmT2_T3_T4_T5_mT6_T7_P12ihipStream_tbENKUlT_T0_E_clISt17integral_constantIbLb1EESZ_EEDaSU_SV_EUlSU_E_NS1_11comp_targetILNS1_3genE4ELNS1_11target_archE910ELNS1_3gpuE8ELNS1_3repE0EEENS1_30default_config_static_selectorELNS0_4arch9wavefront6targetE0EEEvT1_.has_indirect_call, 0
	.section	.AMDGPU.csdata,"",@progbits
; Kernel info:
; codeLenInByte = 0
; TotalNumSgprs: 0
; NumVgprs: 0
; ScratchSize: 0
; MemoryBound: 0
; FloatMode: 240
; IeeeMode: 1
; LDSByteSize: 0 bytes/workgroup (compile time only)
; SGPRBlocks: 0
; VGPRBlocks: 0
; NumSGPRsForWavesPerEU: 1
; NumVGPRsForWavesPerEU: 1
; NamedBarCnt: 0
; Occupancy: 16
; WaveLimiterHint : 0
; COMPUTE_PGM_RSRC2:SCRATCH_EN: 0
; COMPUTE_PGM_RSRC2:USER_SGPR: 2
; COMPUTE_PGM_RSRC2:TRAP_HANDLER: 0
; COMPUTE_PGM_RSRC2:TGID_X_EN: 1
; COMPUTE_PGM_RSRC2:TGID_Y_EN: 0
; COMPUTE_PGM_RSRC2:TGID_Z_EN: 0
; COMPUTE_PGM_RSRC2:TIDIG_COMP_CNT: 0
	.section	.text._ZN7rocprim17ROCPRIM_400000_NS6detail17trampoline_kernelINS0_14default_configENS1_27scan_by_key_config_selectorIiiEEZZNS1_16scan_by_key_implILNS1_25lookback_scan_determinismE0ELb1ES3_N6thrust23THRUST_200600_302600_NS6detail15normal_iteratorINS9_10device_ptrIiEEEESE_SE_iNS9_10multipliesIiEENS9_8equal_toIiEEiEE10hipError_tPvRmT2_T3_T4_T5_mT6_T7_P12ihipStream_tbENKUlT_T0_E_clISt17integral_constantIbLb1EESZ_EEDaSU_SV_EUlSU_E_NS1_11comp_targetILNS1_3genE3ELNS1_11target_archE908ELNS1_3gpuE7ELNS1_3repE0EEENS1_30default_config_static_selectorELNS0_4arch9wavefront6targetE0EEEvT1_,"axG",@progbits,_ZN7rocprim17ROCPRIM_400000_NS6detail17trampoline_kernelINS0_14default_configENS1_27scan_by_key_config_selectorIiiEEZZNS1_16scan_by_key_implILNS1_25lookback_scan_determinismE0ELb1ES3_N6thrust23THRUST_200600_302600_NS6detail15normal_iteratorINS9_10device_ptrIiEEEESE_SE_iNS9_10multipliesIiEENS9_8equal_toIiEEiEE10hipError_tPvRmT2_T3_T4_T5_mT6_T7_P12ihipStream_tbENKUlT_T0_E_clISt17integral_constantIbLb1EESZ_EEDaSU_SV_EUlSU_E_NS1_11comp_targetILNS1_3genE3ELNS1_11target_archE908ELNS1_3gpuE7ELNS1_3repE0EEENS1_30default_config_static_selectorELNS0_4arch9wavefront6targetE0EEEvT1_,comdat
	.protected	_ZN7rocprim17ROCPRIM_400000_NS6detail17trampoline_kernelINS0_14default_configENS1_27scan_by_key_config_selectorIiiEEZZNS1_16scan_by_key_implILNS1_25lookback_scan_determinismE0ELb1ES3_N6thrust23THRUST_200600_302600_NS6detail15normal_iteratorINS9_10device_ptrIiEEEESE_SE_iNS9_10multipliesIiEENS9_8equal_toIiEEiEE10hipError_tPvRmT2_T3_T4_T5_mT6_T7_P12ihipStream_tbENKUlT_T0_E_clISt17integral_constantIbLb1EESZ_EEDaSU_SV_EUlSU_E_NS1_11comp_targetILNS1_3genE3ELNS1_11target_archE908ELNS1_3gpuE7ELNS1_3repE0EEENS1_30default_config_static_selectorELNS0_4arch9wavefront6targetE0EEEvT1_ ; -- Begin function _ZN7rocprim17ROCPRIM_400000_NS6detail17trampoline_kernelINS0_14default_configENS1_27scan_by_key_config_selectorIiiEEZZNS1_16scan_by_key_implILNS1_25lookback_scan_determinismE0ELb1ES3_N6thrust23THRUST_200600_302600_NS6detail15normal_iteratorINS9_10device_ptrIiEEEESE_SE_iNS9_10multipliesIiEENS9_8equal_toIiEEiEE10hipError_tPvRmT2_T3_T4_T5_mT6_T7_P12ihipStream_tbENKUlT_T0_E_clISt17integral_constantIbLb1EESZ_EEDaSU_SV_EUlSU_E_NS1_11comp_targetILNS1_3genE3ELNS1_11target_archE908ELNS1_3gpuE7ELNS1_3repE0EEENS1_30default_config_static_selectorELNS0_4arch9wavefront6targetE0EEEvT1_
	.globl	_ZN7rocprim17ROCPRIM_400000_NS6detail17trampoline_kernelINS0_14default_configENS1_27scan_by_key_config_selectorIiiEEZZNS1_16scan_by_key_implILNS1_25lookback_scan_determinismE0ELb1ES3_N6thrust23THRUST_200600_302600_NS6detail15normal_iteratorINS9_10device_ptrIiEEEESE_SE_iNS9_10multipliesIiEENS9_8equal_toIiEEiEE10hipError_tPvRmT2_T3_T4_T5_mT6_T7_P12ihipStream_tbENKUlT_T0_E_clISt17integral_constantIbLb1EESZ_EEDaSU_SV_EUlSU_E_NS1_11comp_targetILNS1_3genE3ELNS1_11target_archE908ELNS1_3gpuE7ELNS1_3repE0EEENS1_30default_config_static_selectorELNS0_4arch9wavefront6targetE0EEEvT1_
	.p2align	8
	.type	_ZN7rocprim17ROCPRIM_400000_NS6detail17trampoline_kernelINS0_14default_configENS1_27scan_by_key_config_selectorIiiEEZZNS1_16scan_by_key_implILNS1_25lookback_scan_determinismE0ELb1ES3_N6thrust23THRUST_200600_302600_NS6detail15normal_iteratorINS9_10device_ptrIiEEEESE_SE_iNS9_10multipliesIiEENS9_8equal_toIiEEiEE10hipError_tPvRmT2_T3_T4_T5_mT6_T7_P12ihipStream_tbENKUlT_T0_E_clISt17integral_constantIbLb1EESZ_EEDaSU_SV_EUlSU_E_NS1_11comp_targetILNS1_3genE3ELNS1_11target_archE908ELNS1_3gpuE7ELNS1_3repE0EEENS1_30default_config_static_selectorELNS0_4arch9wavefront6targetE0EEEvT1_,@function
_ZN7rocprim17ROCPRIM_400000_NS6detail17trampoline_kernelINS0_14default_configENS1_27scan_by_key_config_selectorIiiEEZZNS1_16scan_by_key_implILNS1_25lookback_scan_determinismE0ELb1ES3_N6thrust23THRUST_200600_302600_NS6detail15normal_iteratorINS9_10device_ptrIiEEEESE_SE_iNS9_10multipliesIiEENS9_8equal_toIiEEiEE10hipError_tPvRmT2_T3_T4_T5_mT6_T7_P12ihipStream_tbENKUlT_T0_E_clISt17integral_constantIbLb1EESZ_EEDaSU_SV_EUlSU_E_NS1_11comp_targetILNS1_3genE3ELNS1_11target_archE908ELNS1_3gpuE7ELNS1_3repE0EEENS1_30default_config_static_selectorELNS0_4arch9wavefront6targetE0EEEvT1_: ; @_ZN7rocprim17ROCPRIM_400000_NS6detail17trampoline_kernelINS0_14default_configENS1_27scan_by_key_config_selectorIiiEEZZNS1_16scan_by_key_implILNS1_25lookback_scan_determinismE0ELb1ES3_N6thrust23THRUST_200600_302600_NS6detail15normal_iteratorINS9_10device_ptrIiEEEESE_SE_iNS9_10multipliesIiEENS9_8equal_toIiEEiEE10hipError_tPvRmT2_T3_T4_T5_mT6_T7_P12ihipStream_tbENKUlT_T0_E_clISt17integral_constantIbLb1EESZ_EEDaSU_SV_EUlSU_E_NS1_11comp_targetILNS1_3genE3ELNS1_11target_archE908ELNS1_3gpuE7ELNS1_3repE0EEENS1_30default_config_static_selectorELNS0_4arch9wavefront6targetE0EEEvT1_
; %bb.0:
	.section	.rodata,"a",@progbits
	.p2align	6, 0x0
	.amdhsa_kernel _ZN7rocprim17ROCPRIM_400000_NS6detail17trampoline_kernelINS0_14default_configENS1_27scan_by_key_config_selectorIiiEEZZNS1_16scan_by_key_implILNS1_25lookback_scan_determinismE0ELb1ES3_N6thrust23THRUST_200600_302600_NS6detail15normal_iteratorINS9_10device_ptrIiEEEESE_SE_iNS9_10multipliesIiEENS9_8equal_toIiEEiEE10hipError_tPvRmT2_T3_T4_T5_mT6_T7_P12ihipStream_tbENKUlT_T0_E_clISt17integral_constantIbLb1EESZ_EEDaSU_SV_EUlSU_E_NS1_11comp_targetILNS1_3genE3ELNS1_11target_archE908ELNS1_3gpuE7ELNS1_3repE0EEENS1_30default_config_static_selectorELNS0_4arch9wavefront6targetE0EEEvT1_
		.amdhsa_group_segment_fixed_size 0
		.amdhsa_private_segment_fixed_size 0
		.amdhsa_kernarg_size 112
		.amdhsa_user_sgpr_count 2
		.amdhsa_user_sgpr_dispatch_ptr 0
		.amdhsa_user_sgpr_queue_ptr 0
		.amdhsa_user_sgpr_kernarg_segment_ptr 1
		.amdhsa_user_sgpr_dispatch_id 0
		.amdhsa_user_sgpr_kernarg_preload_length 0
		.amdhsa_user_sgpr_kernarg_preload_offset 0
		.amdhsa_user_sgpr_private_segment_size 0
		.amdhsa_wavefront_size32 1
		.amdhsa_uses_dynamic_stack 0
		.amdhsa_enable_private_segment 0
		.amdhsa_system_sgpr_workgroup_id_x 1
		.amdhsa_system_sgpr_workgroup_id_y 0
		.amdhsa_system_sgpr_workgroup_id_z 0
		.amdhsa_system_sgpr_workgroup_info 0
		.amdhsa_system_vgpr_workitem_id 0
		.amdhsa_next_free_vgpr 1
		.amdhsa_next_free_sgpr 1
		.amdhsa_named_barrier_count 0
		.amdhsa_reserve_vcc 0
		.amdhsa_float_round_mode_32 0
		.amdhsa_float_round_mode_16_64 0
		.amdhsa_float_denorm_mode_32 3
		.amdhsa_float_denorm_mode_16_64 3
		.amdhsa_fp16_overflow 0
		.amdhsa_memory_ordered 1
		.amdhsa_forward_progress 1
		.amdhsa_inst_pref_size 0
		.amdhsa_round_robin_scheduling 0
		.amdhsa_exception_fp_ieee_invalid_op 0
		.amdhsa_exception_fp_denorm_src 0
		.amdhsa_exception_fp_ieee_div_zero 0
		.amdhsa_exception_fp_ieee_overflow 0
		.amdhsa_exception_fp_ieee_underflow 0
		.amdhsa_exception_fp_ieee_inexact 0
		.amdhsa_exception_int_div_zero 0
	.end_amdhsa_kernel
	.section	.text._ZN7rocprim17ROCPRIM_400000_NS6detail17trampoline_kernelINS0_14default_configENS1_27scan_by_key_config_selectorIiiEEZZNS1_16scan_by_key_implILNS1_25lookback_scan_determinismE0ELb1ES3_N6thrust23THRUST_200600_302600_NS6detail15normal_iteratorINS9_10device_ptrIiEEEESE_SE_iNS9_10multipliesIiEENS9_8equal_toIiEEiEE10hipError_tPvRmT2_T3_T4_T5_mT6_T7_P12ihipStream_tbENKUlT_T0_E_clISt17integral_constantIbLb1EESZ_EEDaSU_SV_EUlSU_E_NS1_11comp_targetILNS1_3genE3ELNS1_11target_archE908ELNS1_3gpuE7ELNS1_3repE0EEENS1_30default_config_static_selectorELNS0_4arch9wavefront6targetE0EEEvT1_,"axG",@progbits,_ZN7rocprim17ROCPRIM_400000_NS6detail17trampoline_kernelINS0_14default_configENS1_27scan_by_key_config_selectorIiiEEZZNS1_16scan_by_key_implILNS1_25lookback_scan_determinismE0ELb1ES3_N6thrust23THRUST_200600_302600_NS6detail15normal_iteratorINS9_10device_ptrIiEEEESE_SE_iNS9_10multipliesIiEENS9_8equal_toIiEEiEE10hipError_tPvRmT2_T3_T4_T5_mT6_T7_P12ihipStream_tbENKUlT_T0_E_clISt17integral_constantIbLb1EESZ_EEDaSU_SV_EUlSU_E_NS1_11comp_targetILNS1_3genE3ELNS1_11target_archE908ELNS1_3gpuE7ELNS1_3repE0EEENS1_30default_config_static_selectorELNS0_4arch9wavefront6targetE0EEEvT1_,comdat
.Lfunc_end510:
	.size	_ZN7rocprim17ROCPRIM_400000_NS6detail17trampoline_kernelINS0_14default_configENS1_27scan_by_key_config_selectorIiiEEZZNS1_16scan_by_key_implILNS1_25lookback_scan_determinismE0ELb1ES3_N6thrust23THRUST_200600_302600_NS6detail15normal_iteratorINS9_10device_ptrIiEEEESE_SE_iNS9_10multipliesIiEENS9_8equal_toIiEEiEE10hipError_tPvRmT2_T3_T4_T5_mT6_T7_P12ihipStream_tbENKUlT_T0_E_clISt17integral_constantIbLb1EESZ_EEDaSU_SV_EUlSU_E_NS1_11comp_targetILNS1_3genE3ELNS1_11target_archE908ELNS1_3gpuE7ELNS1_3repE0EEENS1_30default_config_static_selectorELNS0_4arch9wavefront6targetE0EEEvT1_, .Lfunc_end510-_ZN7rocprim17ROCPRIM_400000_NS6detail17trampoline_kernelINS0_14default_configENS1_27scan_by_key_config_selectorIiiEEZZNS1_16scan_by_key_implILNS1_25lookback_scan_determinismE0ELb1ES3_N6thrust23THRUST_200600_302600_NS6detail15normal_iteratorINS9_10device_ptrIiEEEESE_SE_iNS9_10multipliesIiEENS9_8equal_toIiEEiEE10hipError_tPvRmT2_T3_T4_T5_mT6_T7_P12ihipStream_tbENKUlT_T0_E_clISt17integral_constantIbLb1EESZ_EEDaSU_SV_EUlSU_E_NS1_11comp_targetILNS1_3genE3ELNS1_11target_archE908ELNS1_3gpuE7ELNS1_3repE0EEENS1_30default_config_static_selectorELNS0_4arch9wavefront6targetE0EEEvT1_
                                        ; -- End function
	.set _ZN7rocprim17ROCPRIM_400000_NS6detail17trampoline_kernelINS0_14default_configENS1_27scan_by_key_config_selectorIiiEEZZNS1_16scan_by_key_implILNS1_25lookback_scan_determinismE0ELb1ES3_N6thrust23THRUST_200600_302600_NS6detail15normal_iteratorINS9_10device_ptrIiEEEESE_SE_iNS9_10multipliesIiEENS9_8equal_toIiEEiEE10hipError_tPvRmT2_T3_T4_T5_mT6_T7_P12ihipStream_tbENKUlT_T0_E_clISt17integral_constantIbLb1EESZ_EEDaSU_SV_EUlSU_E_NS1_11comp_targetILNS1_3genE3ELNS1_11target_archE908ELNS1_3gpuE7ELNS1_3repE0EEENS1_30default_config_static_selectorELNS0_4arch9wavefront6targetE0EEEvT1_.num_vgpr, 0
	.set _ZN7rocprim17ROCPRIM_400000_NS6detail17trampoline_kernelINS0_14default_configENS1_27scan_by_key_config_selectorIiiEEZZNS1_16scan_by_key_implILNS1_25lookback_scan_determinismE0ELb1ES3_N6thrust23THRUST_200600_302600_NS6detail15normal_iteratorINS9_10device_ptrIiEEEESE_SE_iNS9_10multipliesIiEENS9_8equal_toIiEEiEE10hipError_tPvRmT2_T3_T4_T5_mT6_T7_P12ihipStream_tbENKUlT_T0_E_clISt17integral_constantIbLb1EESZ_EEDaSU_SV_EUlSU_E_NS1_11comp_targetILNS1_3genE3ELNS1_11target_archE908ELNS1_3gpuE7ELNS1_3repE0EEENS1_30default_config_static_selectorELNS0_4arch9wavefront6targetE0EEEvT1_.num_agpr, 0
	.set _ZN7rocprim17ROCPRIM_400000_NS6detail17trampoline_kernelINS0_14default_configENS1_27scan_by_key_config_selectorIiiEEZZNS1_16scan_by_key_implILNS1_25lookback_scan_determinismE0ELb1ES3_N6thrust23THRUST_200600_302600_NS6detail15normal_iteratorINS9_10device_ptrIiEEEESE_SE_iNS9_10multipliesIiEENS9_8equal_toIiEEiEE10hipError_tPvRmT2_T3_T4_T5_mT6_T7_P12ihipStream_tbENKUlT_T0_E_clISt17integral_constantIbLb1EESZ_EEDaSU_SV_EUlSU_E_NS1_11comp_targetILNS1_3genE3ELNS1_11target_archE908ELNS1_3gpuE7ELNS1_3repE0EEENS1_30default_config_static_selectorELNS0_4arch9wavefront6targetE0EEEvT1_.numbered_sgpr, 0
	.set _ZN7rocprim17ROCPRIM_400000_NS6detail17trampoline_kernelINS0_14default_configENS1_27scan_by_key_config_selectorIiiEEZZNS1_16scan_by_key_implILNS1_25lookback_scan_determinismE0ELb1ES3_N6thrust23THRUST_200600_302600_NS6detail15normal_iteratorINS9_10device_ptrIiEEEESE_SE_iNS9_10multipliesIiEENS9_8equal_toIiEEiEE10hipError_tPvRmT2_T3_T4_T5_mT6_T7_P12ihipStream_tbENKUlT_T0_E_clISt17integral_constantIbLb1EESZ_EEDaSU_SV_EUlSU_E_NS1_11comp_targetILNS1_3genE3ELNS1_11target_archE908ELNS1_3gpuE7ELNS1_3repE0EEENS1_30default_config_static_selectorELNS0_4arch9wavefront6targetE0EEEvT1_.num_named_barrier, 0
	.set _ZN7rocprim17ROCPRIM_400000_NS6detail17trampoline_kernelINS0_14default_configENS1_27scan_by_key_config_selectorIiiEEZZNS1_16scan_by_key_implILNS1_25lookback_scan_determinismE0ELb1ES3_N6thrust23THRUST_200600_302600_NS6detail15normal_iteratorINS9_10device_ptrIiEEEESE_SE_iNS9_10multipliesIiEENS9_8equal_toIiEEiEE10hipError_tPvRmT2_T3_T4_T5_mT6_T7_P12ihipStream_tbENKUlT_T0_E_clISt17integral_constantIbLb1EESZ_EEDaSU_SV_EUlSU_E_NS1_11comp_targetILNS1_3genE3ELNS1_11target_archE908ELNS1_3gpuE7ELNS1_3repE0EEENS1_30default_config_static_selectorELNS0_4arch9wavefront6targetE0EEEvT1_.private_seg_size, 0
	.set _ZN7rocprim17ROCPRIM_400000_NS6detail17trampoline_kernelINS0_14default_configENS1_27scan_by_key_config_selectorIiiEEZZNS1_16scan_by_key_implILNS1_25lookback_scan_determinismE0ELb1ES3_N6thrust23THRUST_200600_302600_NS6detail15normal_iteratorINS9_10device_ptrIiEEEESE_SE_iNS9_10multipliesIiEENS9_8equal_toIiEEiEE10hipError_tPvRmT2_T3_T4_T5_mT6_T7_P12ihipStream_tbENKUlT_T0_E_clISt17integral_constantIbLb1EESZ_EEDaSU_SV_EUlSU_E_NS1_11comp_targetILNS1_3genE3ELNS1_11target_archE908ELNS1_3gpuE7ELNS1_3repE0EEENS1_30default_config_static_selectorELNS0_4arch9wavefront6targetE0EEEvT1_.uses_vcc, 0
	.set _ZN7rocprim17ROCPRIM_400000_NS6detail17trampoline_kernelINS0_14default_configENS1_27scan_by_key_config_selectorIiiEEZZNS1_16scan_by_key_implILNS1_25lookback_scan_determinismE0ELb1ES3_N6thrust23THRUST_200600_302600_NS6detail15normal_iteratorINS9_10device_ptrIiEEEESE_SE_iNS9_10multipliesIiEENS9_8equal_toIiEEiEE10hipError_tPvRmT2_T3_T4_T5_mT6_T7_P12ihipStream_tbENKUlT_T0_E_clISt17integral_constantIbLb1EESZ_EEDaSU_SV_EUlSU_E_NS1_11comp_targetILNS1_3genE3ELNS1_11target_archE908ELNS1_3gpuE7ELNS1_3repE0EEENS1_30default_config_static_selectorELNS0_4arch9wavefront6targetE0EEEvT1_.uses_flat_scratch, 0
	.set _ZN7rocprim17ROCPRIM_400000_NS6detail17trampoline_kernelINS0_14default_configENS1_27scan_by_key_config_selectorIiiEEZZNS1_16scan_by_key_implILNS1_25lookback_scan_determinismE0ELb1ES3_N6thrust23THRUST_200600_302600_NS6detail15normal_iteratorINS9_10device_ptrIiEEEESE_SE_iNS9_10multipliesIiEENS9_8equal_toIiEEiEE10hipError_tPvRmT2_T3_T4_T5_mT6_T7_P12ihipStream_tbENKUlT_T0_E_clISt17integral_constantIbLb1EESZ_EEDaSU_SV_EUlSU_E_NS1_11comp_targetILNS1_3genE3ELNS1_11target_archE908ELNS1_3gpuE7ELNS1_3repE0EEENS1_30default_config_static_selectorELNS0_4arch9wavefront6targetE0EEEvT1_.has_dyn_sized_stack, 0
	.set _ZN7rocprim17ROCPRIM_400000_NS6detail17trampoline_kernelINS0_14default_configENS1_27scan_by_key_config_selectorIiiEEZZNS1_16scan_by_key_implILNS1_25lookback_scan_determinismE0ELb1ES3_N6thrust23THRUST_200600_302600_NS6detail15normal_iteratorINS9_10device_ptrIiEEEESE_SE_iNS9_10multipliesIiEENS9_8equal_toIiEEiEE10hipError_tPvRmT2_T3_T4_T5_mT6_T7_P12ihipStream_tbENKUlT_T0_E_clISt17integral_constantIbLb1EESZ_EEDaSU_SV_EUlSU_E_NS1_11comp_targetILNS1_3genE3ELNS1_11target_archE908ELNS1_3gpuE7ELNS1_3repE0EEENS1_30default_config_static_selectorELNS0_4arch9wavefront6targetE0EEEvT1_.has_recursion, 0
	.set _ZN7rocprim17ROCPRIM_400000_NS6detail17trampoline_kernelINS0_14default_configENS1_27scan_by_key_config_selectorIiiEEZZNS1_16scan_by_key_implILNS1_25lookback_scan_determinismE0ELb1ES3_N6thrust23THRUST_200600_302600_NS6detail15normal_iteratorINS9_10device_ptrIiEEEESE_SE_iNS9_10multipliesIiEENS9_8equal_toIiEEiEE10hipError_tPvRmT2_T3_T4_T5_mT6_T7_P12ihipStream_tbENKUlT_T0_E_clISt17integral_constantIbLb1EESZ_EEDaSU_SV_EUlSU_E_NS1_11comp_targetILNS1_3genE3ELNS1_11target_archE908ELNS1_3gpuE7ELNS1_3repE0EEENS1_30default_config_static_selectorELNS0_4arch9wavefront6targetE0EEEvT1_.has_indirect_call, 0
	.section	.AMDGPU.csdata,"",@progbits
; Kernel info:
; codeLenInByte = 0
; TotalNumSgprs: 0
; NumVgprs: 0
; ScratchSize: 0
; MemoryBound: 0
; FloatMode: 240
; IeeeMode: 1
; LDSByteSize: 0 bytes/workgroup (compile time only)
; SGPRBlocks: 0
; VGPRBlocks: 0
; NumSGPRsForWavesPerEU: 1
; NumVGPRsForWavesPerEU: 1
; NamedBarCnt: 0
; Occupancy: 16
; WaveLimiterHint : 0
; COMPUTE_PGM_RSRC2:SCRATCH_EN: 0
; COMPUTE_PGM_RSRC2:USER_SGPR: 2
; COMPUTE_PGM_RSRC2:TRAP_HANDLER: 0
; COMPUTE_PGM_RSRC2:TGID_X_EN: 1
; COMPUTE_PGM_RSRC2:TGID_Y_EN: 0
; COMPUTE_PGM_RSRC2:TGID_Z_EN: 0
; COMPUTE_PGM_RSRC2:TIDIG_COMP_CNT: 0
	.section	.text._ZN7rocprim17ROCPRIM_400000_NS6detail17trampoline_kernelINS0_14default_configENS1_27scan_by_key_config_selectorIiiEEZZNS1_16scan_by_key_implILNS1_25lookback_scan_determinismE0ELb1ES3_N6thrust23THRUST_200600_302600_NS6detail15normal_iteratorINS9_10device_ptrIiEEEESE_SE_iNS9_10multipliesIiEENS9_8equal_toIiEEiEE10hipError_tPvRmT2_T3_T4_T5_mT6_T7_P12ihipStream_tbENKUlT_T0_E_clISt17integral_constantIbLb1EESZ_EEDaSU_SV_EUlSU_E_NS1_11comp_targetILNS1_3genE2ELNS1_11target_archE906ELNS1_3gpuE6ELNS1_3repE0EEENS1_30default_config_static_selectorELNS0_4arch9wavefront6targetE0EEEvT1_,"axG",@progbits,_ZN7rocprim17ROCPRIM_400000_NS6detail17trampoline_kernelINS0_14default_configENS1_27scan_by_key_config_selectorIiiEEZZNS1_16scan_by_key_implILNS1_25lookback_scan_determinismE0ELb1ES3_N6thrust23THRUST_200600_302600_NS6detail15normal_iteratorINS9_10device_ptrIiEEEESE_SE_iNS9_10multipliesIiEENS9_8equal_toIiEEiEE10hipError_tPvRmT2_T3_T4_T5_mT6_T7_P12ihipStream_tbENKUlT_T0_E_clISt17integral_constantIbLb1EESZ_EEDaSU_SV_EUlSU_E_NS1_11comp_targetILNS1_3genE2ELNS1_11target_archE906ELNS1_3gpuE6ELNS1_3repE0EEENS1_30default_config_static_selectorELNS0_4arch9wavefront6targetE0EEEvT1_,comdat
	.protected	_ZN7rocprim17ROCPRIM_400000_NS6detail17trampoline_kernelINS0_14default_configENS1_27scan_by_key_config_selectorIiiEEZZNS1_16scan_by_key_implILNS1_25lookback_scan_determinismE0ELb1ES3_N6thrust23THRUST_200600_302600_NS6detail15normal_iteratorINS9_10device_ptrIiEEEESE_SE_iNS9_10multipliesIiEENS9_8equal_toIiEEiEE10hipError_tPvRmT2_T3_T4_T5_mT6_T7_P12ihipStream_tbENKUlT_T0_E_clISt17integral_constantIbLb1EESZ_EEDaSU_SV_EUlSU_E_NS1_11comp_targetILNS1_3genE2ELNS1_11target_archE906ELNS1_3gpuE6ELNS1_3repE0EEENS1_30default_config_static_selectorELNS0_4arch9wavefront6targetE0EEEvT1_ ; -- Begin function _ZN7rocprim17ROCPRIM_400000_NS6detail17trampoline_kernelINS0_14default_configENS1_27scan_by_key_config_selectorIiiEEZZNS1_16scan_by_key_implILNS1_25lookback_scan_determinismE0ELb1ES3_N6thrust23THRUST_200600_302600_NS6detail15normal_iteratorINS9_10device_ptrIiEEEESE_SE_iNS9_10multipliesIiEENS9_8equal_toIiEEiEE10hipError_tPvRmT2_T3_T4_T5_mT6_T7_P12ihipStream_tbENKUlT_T0_E_clISt17integral_constantIbLb1EESZ_EEDaSU_SV_EUlSU_E_NS1_11comp_targetILNS1_3genE2ELNS1_11target_archE906ELNS1_3gpuE6ELNS1_3repE0EEENS1_30default_config_static_selectorELNS0_4arch9wavefront6targetE0EEEvT1_
	.globl	_ZN7rocprim17ROCPRIM_400000_NS6detail17trampoline_kernelINS0_14default_configENS1_27scan_by_key_config_selectorIiiEEZZNS1_16scan_by_key_implILNS1_25lookback_scan_determinismE0ELb1ES3_N6thrust23THRUST_200600_302600_NS6detail15normal_iteratorINS9_10device_ptrIiEEEESE_SE_iNS9_10multipliesIiEENS9_8equal_toIiEEiEE10hipError_tPvRmT2_T3_T4_T5_mT6_T7_P12ihipStream_tbENKUlT_T0_E_clISt17integral_constantIbLb1EESZ_EEDaSU_SV_EUlSU_E_NS1_11comp_targetILNS1_3genE2ELNS1_11target_archE906ELNS1_3gpuE6ELNS1_3repE0EEENS1_30default_config_static_selectorELNS0_4arch9wavefront6targetE0EEEvT1_
	.p2align	8
	.type	_ZN7rocprim17ROCPRIM_400000_NS6detail17trampoline_kernelINS0_14default_configENS1_27scan_by_key_config_selectorIiiEEZZNS1_16scan_by_key_implILNS1_25lookback_scan_determinismE0ELb1ES3_N6thrust23THRUST_200600_302600_NS6detail15normal_iteratorINS9_10device_ptrIiEEEESE_SE_iNS9_10multipliesIiEENS9_8equal_toIiEEiEE10hipError_tPvRmT2_T3_T4_T5_mT6_T7_P12ihipStream_tbENKUlT_T0_E_clISt17integral_constantIbLb1EESZ_EEDaSU_SV_EUlSU_E_NS1_11comp_targetILNS1_3genE2ELNS1_11target_archE906ELNS1_3gpuE6ELNS1_3repE0EEENS1_30default_config_static_selectorELNS0_4arch9wavefront6targetE0EEEvT1_,@function
_ZN7rocprim17ROCPRIM_400000_NS6detail17trampoline_kernelINS0_14default_configENS1_27scan_by_key_config_selectorIiiEEZZNS1_16scan_by_key_implILNS1_25lookback_scan_determinismE0ELb1ES3_N6thrust23THRUST_200600_302600_NS6detail15normal_iteratorINS9_10device_ptrIiEEEESE_SE_iNS9_10multipliesIiEENS9_8equal_toIiEEiEE10hipError_tPvRmT2_T3_T4_T5_mT6_T7_P12ihipStream_tbENKUlT_T0_E_clISt17integral_constantIbLb1EESZ_EEDaSU_SV_EUlSU_E_NS1_11comp_targetILNS1_3genE2ELNS1_11target_archE906ELNS1_3gpuE6ELNS1_3repE0EEENS1_30default_config_static_selectorELNS0_4arch9wavefront6targetE0EEEvT1_: ; @_ZN7rocprim17ROCPRIM_400000_NS6detail17trampoline_kernelINS0_14default_configENS1_27scan_by_key_config_selectorIiiEEZZNS1_16scan_by_key_implILNS1_25lookback_scan_determinismE0ELb1ES3_N6thrust23THRUST_200600_302600_NS6detail15normal_iteratorINS9_10device_ptrIiEEEESE_SE_iNS9_10multipliesIiEENS9_8equal_toIiEEiEE10hipError_tPvRmT2_T3_T4_T5_mT6_T7_P12ihipStream_tbENKUlT_T0_E_clISt17integral_constantIbLb1EESZ_EEDaSU_SV_EUlSU_E_NS1_11comp_targetILNS1_3genE2ELNS1_11target_archE906ELNS1_3gpuE6ELNS1_3repE0EEENS1_30default_config_static_selectorELNS0_4arch9wavefront6targetE0EEEvT1_
; %bb.0:
	.section	.rodata,"a",@progbits
	.p2align	6, 0x0
	.amdhsa_kernel _ZN7rocprim17ROCPRIM_400000_NS6detail17trampoline_kernelINS0_14default_configENS1_27scan_by_key_config_selectorIiiEEZZNS1_16scan_by_key_implILNS1_25lookback_scan_determinismE0ELb1ES3_N6thrust23THRUST_200600_302600_NS6detail15normal_iteratorINS9_10device_ptrIiEEEESE_SE_iNS9_10multipliesIiEENS9_8equal_toIiEEiEE10hipError_tPvRmT2_T3_T4_T5_mT6_T7_P12ihipStream_tbENKUlT_T0_E_clISt17integral_constantIbLb1EESZ_EEDaSU_SV_EUlSU_E_NS1_11comp_targetILNS1_3genE2ELNS1_11target_archE906ELNS1_3gpuE6ELNS1_3repE0EEENS1_30default_config_static_selectorELNS0_4arch9wavefront6targetE0EEEvT1_
		.amdhsa_group_segment_fixed_size 0
		.amdhsa_private_segment_fixed_size 0
		.amdhsa_kernarg_size 112
		.amdhsa_user_sgpr_count 2
		.amdhsa_user_sgpr_dispatch_ptr 0
		.amdhsa_user_sgpr_queue_ptr 0
		.amdhsa_user_sgpr_kernarg_segment_ptr 1
		.amdhsa_user_sgpr_dispatch_id 0
		.amdhsa_user_sgpr_kernarg_preload_length 0
		.amdhsa_user_sgpr_kernarg_preload_offset 0
		.amdhsa_user_sgpr_private_segment_size 0
		.amdhsa_wavefront_size32 1
		.amdhsa_uses_dynamic_stack 0
		.amdhsa_enable_private_segment 0
		.amdhsa_system_sgpr_workgroup_id_x 1
		.amdhsa_system_sgpr_workgroup_id_y 0
		.amdhsa_system_sgpr_workgroup_id_z 0
		.amdhsa_system_sgpr_workgroup_info 0
		.amdhsa_system_vgpr_workitem_id 0
		.amdhsa_next_free_vgpr 1
		.amdhsa_next_free_sgpr 1
		.amdhsa_named_barrier_count 0
		.amdhsa_reserve_vcc 0
		.amdhsa_float_round_mode_32 0
		.amdhsa_float_round_mode_16_64 0
		.amdhsa_float_denorm_mode_32 3
		.amdhsa_float_denorm_mode_16_64 3
		.amdhsa_fp16_overflow 0
		.amdhsa_memory_ordered 1
		.amdhsa_forward_progress 1
		.amdhsa_inst_pref_size 0
		.amdhsa_round_robin_scheduling 0
		.amdhsa_exception_fp_ieee_invalid_op 0
		.amdhsa_exception_fp_denorm_src 0
		.amdhsa_exception_fp_ieee_div_zero 0
		.amdhsa_exception_fp_ieee_overflow 0
		.amdhsa_exception_fp_ieee_underflow 0
		.amdhsa_exception_fp_ieee_inexact 0
		.amdhsa_exception_int_div_zero 0
	.end_amdhsa_kernel
	.section	.text._ZN7rocprim17ROCPRIM_400000_NS6detail17trampoline_kernelINS0_14default_configENS1_27scan_by_key_config_selectorIiiEEZZNS1_16scan_by_key_implILNS1_25lookback_scan_determinismE0ELb1ES3_N6thrust23THRUST_200600_302600_NS6detail15normal_iteratorINS9_10device_ptrIiEEEESE_SE_iNS9_10multipliesIiEENS9_8equal_toIiEEiEE10hipError_tPvRmT2_T3_T4_T5_mT6_T7_P12ihipStream_tbENKUlT_T0_E_clISt17integral_constantIbLb1EESZ_EEDaSU_SV_EUlSU_E_NS1_11comp_targetILNS1_3genE2ELNS1_11target_archE906ELNS1_3gpuE6ELNS1_3repE0EEENS1_30default_config_static_selectorELNS0_4arch9wavefront6targetE0EEEvT1_,"axG",@progbits,_ZN7rocprim17ROCPRIM_400000_NS6detail17trampoline_kernelINS0_14default_configENS1_27scan_by_key_config_selectorIiiEEZZNS1_16scan_by_key_implILNS1_25lookback_scan_determinismE0ELb1ES3_N6thrust23THRUST_200600_302600_NS6detail15normal_iteratorINS9_10device_ptrIiEEEESE_SE_iNS9_10multipliesIiEENS9_8equal_toIiEEiEE10hipError_tPvRmT2_T3_T4_T5_mT6_T7_P12ihipStream_tbENKUlT_T0_E_clISt17integral_constantIbLb1EESZ_EEDaSU_SV_EUlSU_E_NS1_11comp_targetILNS1_3genE2ELNS1_11target_archE906ELNS1_3gpuE6ELNS1_3repE0EEENS1_30default_config_static_selectorELNS0_4arch9wavefront6targetE0EEEvT1_,comdat
.Lfunc_end511:
	.size	_ZN7rocprim17ROCPRIM_400000_NS6detail17trampoline_kernelINS0_14default_configENS1_27scan_by_key_config_selectorIiiEEZZNS1_16scan_by_key_implILNS1_25lookback_scan_determinismE0ELb1ES3_N6thrust23THRUST_200600_302600_NS6detail15normal_iteratorINS9_10device_ptrIiEEEESE_SE_iNS9_10multipliesIiEENS9_8equal_toIiEEiEE10hipError_tPvRmT2_T3_T4_T5_mT6_T7_P12ihipStream_tbENKUlT_T0_E_clISt17integral_constantIbLb1EESZ_EEDaSU_SV_EUlSU_E_NS1_11comp_targetILNS1_3genE2ELNS1_11target_archE906ELNS1_3gpuE6ELNS1_3repE0EEENS1_30default_config_static_selectorELNS0_4arch9wavefront6targetE0EEEvT1_, .Lfunc_end511-_ZN7rocprim17ROCPRIM_400000_NS6detail17trampoline_kernelINS0_14default_configENS1_27scan_by_key_config_selectorIiiEEZZNS1_16scan_by_key_implILNS1_25lookback_scan_determinismE0ELb1ES3_N6thrust23THRUST_200600_302600_NS6detail15normal_iteratorINS9_10device_ptrIiEEEESE_SE_iNS9_10multipliesIiEENS9_8equal_toIiEEiEE10hipError_tPvRmT2_T3_T4_T5_mT6_T7_P12ihipStream_tbENKUlT_T0_E_clISt17integral_constantIbLb1EESZ_EEDaSU_SV_EUlSU_E_NS1_11comp_targetILNS1_3genE2ELNS1_11target_archE906ELNS1_3gpuE6ELNS1_3repE0EEENS1_30default_config_static_selectorELNS0_4arch9wavefront6targetE0EEEvT1_
                                        ; -- End function
	.set _ZN7rocprim17ROCPRIM_400000_NS6detail17trampoline_kernelINS0_14default_configENS1_27scan_by_key_config_selectorIiiEEZZNS1_16scan_by_key_implILNS1_25lookback_scan_determinismE0ELb1ES3_N6thrust23THRUST_200600_302600_NS6detail15normal_iteratorINS9_10device_ptrIiEEEESE_SE_iNS9_10multipliesIiEENS9_8equal_toIiEEiEE10hipError_tPvRmT2_T3_T4_T5_mT6_T7_P12ihipStream_tbENKUlT_T0_E_clISt17integral_constantIbLb1EESZ_EEDaSU_SV_EUlSU_E_NS1_11comp_targetILNS1_3genE2ELNS1_11target_archE906ELNS1_3gpuE6ELNS1_3repE0EEENS1_30default_config_static_selectorELNS0_4arch9wavefront6targetE0EEEvT1_.num_vgpr, 0
	.set _ZN7rocprim17ROCPRIM_400000_NS6detail17trampoline_kernelINS0_14default_configENS1_27scan_by_key_config_selectorIiiEEZZNS1_16scan_by_key_implILNS1_25lookback_scan_determinismE0ELb1ES3_N6thrust23THRUST_200600_302600_NS6detail15normal_iteratorINS9_10device_ptrIiEEEESE_SE_iNS9_10multipliesIiEENS9_8equal_toIiEEiEE10hipError_tPvRmT2_T3_T4_T5_mT6_T7_P12ihipStream_tbENKUlT_T0_E_clISt17integral_constantIbLb1EESZ_EEDaSU_SV_EUlSU_E_NS1_11comp_targetILNS1_3genE2ELNS1_11target_archE906ELNS1_3gpuE6ELNS1_3repE0EEENS1_30default_config_static_selectorELNS0_4arch9wavefront6targetE0EEEvT1_.num_agpr, 0
	.set _ZN7rocprim17ROCPRIM_400000_NS6detail17trampoline_kernelINS0_14default_configENS1_27scan_by_key_config_selectorIiiEEZZNS1_16scan_by_key_implILNS1_25lookback_scan_determinismE0ELb1ES3_N6thrust23THRUST_200600_302600_NS6detail15normal_iteratorINS9_10device_ptrIiEEEESE_SE_iNS9_10multipliesIiEENS9_8equal_toIiEEiEE10hipError_tPvRmT2_T3_T4_T5_mT6_T7_P12ihipStream_tbENKUlT_T0_E_clISt17integral_constantIbLb1EESZ_EEDaSU_SV_EUlSU_E_NS1_11comp_targetILNS1_3genE2ELNS1_11target_archE906ELNS1_3gpuE6ELNS1_3repE0EEENS1_30default_config_static_selectorELNS0_4arch9wavefront6targetE0EEEvT1_.numbered_sgpr, 0
	.set _ZN7rocprim17ROCPRIM_400000_NS6detail17trampoline_kernelINS0_14default_configENS1_27scan_by_key_config_selectorIiiEEZZNS1_16scan_by_key_implILNS1_25lookback_scan_determinismE0ELb1ES3_N6thrust23THRUST_200600_302600_NS6detail15normal_iteratorINS9_10device_ptrIiEEEESE_SE_iNS9_10multipliesIiEENS9_8equal_toIiEEiEE10hipError_tPvRmT2_T3_T4_T5_mT6_T7_P12ihipStream_tbENKUlT_T0_E_clISt17integral_constantIbLb1EESZ_EEDaSU_SV_EUlSU_E_NS1_11comp_targetILNS1_3genE2ELNS1_11target_archE906ELNS1_3gpuE6ELNS1_3repE0EEENS1_30default_config_static_selectorELNS0_4arch9wavefront6targetE0EEEvT1_.num_named_barrier, 0
	.set _ZN7rocprim17ROCPRIM_400000_NS6detail17trampoline_kernelINS0_14default_configENS1_27scan_by_key_config_selectorIiiEEZZNS1_16scan_by_key_implILNS1_25lookback_scan_determinismE0ELb1ES3_N6thrust23THRUST_200600_302600_NS6detail15normal_iteratorINS9_10device_ptrIiEEEESE_SE_iNS9_10multipliesIiEENS9_8equal_toIiEEiEE10hipError_tPvRmT2_T3_T4_T5_mT6_T7_P12ihipStream_tbENKUlT_T0_E_clISt17integral_constantIbLb1EESZ_EEDaSU_SV_EUlSU_E_NS1_11comp_targetILNS1_3genE2ELNS1_11target_archE906ELNS1_3gpuE6ELNS1_3repE0EEENS1_30default_config_static_selectorELNS0_4arch9wavefront6targetE0EEEvT1_.private_seg_size, 0
	.set _ZN7rocprim17ROCPRIM_400000_NS6detail17trampoline_kernelINS0_14default_configENS1_27scan_by_key_config_selectorIiiEEZZNS1_16scan_by_key_implILNS1_25lookback_scan_determinismE0ELb1ES3_N6thrust23THRUST_200600_302600_NS6detail15normal_iteratorINS9_10device_ptrIiEEEESE_SE_iNS9_10multipliesIiEENS9_8equal_toIiEEiEE10hipError_tPvRmT2_T3_T4_T5_mT6_T7_P12ihipStream_tbENKUlT_T0_E_clISt17integral_constantIbLb1EESZ_EEDaSU_SV_EUlSU_E_NS1_11comp_targetILNS1_3genE2ELNS1_11target_archE906ELNS1_3gpuE6ELNS1_3repE0EEENS1_30default_config_static_selectorELNS0_4arch9wavefront6targetE0EEEvT1_.uses_vcc, 0
	.set _ZN7rocprim17ROCPRIM_400000_NS6detail17trampoline_kernelINS0_14default_configENS1_27scan_by_key_config_selectorIiiEEZZNS1_16scan_by_key_implILNS1_25lookback_scan_determinismE0ELb1ES3_N6thrust23THRUST_200600_302600_NS6detail15normal_iteratorINS9_10device_ptrIiEEEESE_SE_iNS9_10multipliesIiEENS9_8equal_toIiEEiEE10hipError_tPvRmT2_T3_T4_T5_mT6_T7_P12ihipStream_tbENKUlT_T0_E_clISt17integral_constantIbLb1EESZ_EEDaSU_SV_EUlSU_E_NS1_11comp_targetILNS1_3genE2ELNS1_11target_archE906ELNS1_3gpuE6ELNS1_3repE0EEENS1_30default_config_static_selectorELNS0_4arch9wavefront6targetE0EEEvT1_.uses_flat_scratch, 0
	.set _ZN7rocprim17ROCPRIM_400000_NS6detail17trampoline_kernelINS0_14default_configENS1_27scan_by_key_config_selectorIiiEEZZNS1_16scan_by_key_implILNS1_25lookback_scan_determinismE0ELb1ES3_N6thrust23THRUST_200600_302600_NS6detail15normal_iteratorINS9_10device_ptrIiEEEESE_SE_iNS9_10multipliesIiEENS9_8equal_toIiEEiEE10hipError_tPvRmT2_T3_T4_T5_mT6_T7_P12ihipStream_tbENKUlT_T0_E_clISt17integral_constantIbLb1EESZ_EEDaSU_SV_EUlSU_E_NS1_11comp_targetILNS1_3genE2ELNS1_11target_archE906ELNS1_3gpuE6ELNS1_3repE0EEENS1_30default_config_static_selectorELNS0_4arch9wavefront6targetE0EEEvT1_.has_dyn_sized_stack, 0
	.set _ZN7rocprim17ROCPRIM_400000_NS6detail17trampoline_kernelINS0_14default_configENS1_27scan_by_key_config_selectorIiiEEZZNS1_16scan_by_key_implILNS1_25lookback_scan_determinismE0ELb1ES3_N6thrust23THRUST_200600_302600_NS6detail15normal_iteratorINS9_10device_ptrIiEEEESE_SE_iNS9_10multipliesIiEENS9_8equal_toIiEEiEE10hipError_tPvRmT2_T3_T4_T5_mT6_T7_P12ihipStream_tbENKUlT_T0_E_clISt17integral_constantIbLb1EESZ_EEDaSU_SV_EUlSU_E_NS1_11comp_targetILNS1_3genE2ELNS1_11target_archE906ELNS1_3gpuE6ELNS1_3repE0EEENS1_30default_config_static_selectorELNS0_4arch9wavefront6targetE0EEEvT1_.has_recursion, 0
	.set _ZN7rocprim17ROCPRIM_400000_NS6detail17trampoline_kernelINS0_14default_configENS1_27scan_by_key_config_selectorIiiEEZZNS1_16scan_by_key_implILNS1_25lookback_scan_determinismE0ELb1ES3_N6thrust23THRUST_200600_302600_NS6detail15normal_iteratorINS9_10device_ptrIiEEEESE_SE_iNS9_10multipliesIiEENS9_8equal_toIiEEiEE10hipError_tPvRmT2_T3_T4_T5_mT6_T7_P12ihipStream_tbENKUlT_T0_E_clISt17integral_constantIbLb1EESZ_EEDaSU_SV_EUlSU_E_NS1_11comp_targetILNS1_3genE2ELNS1_11target_archE906ELNS1_3gpuE6ELNS1_3repE0EEENS1_30default_config_static_selectorELNS0_4arch9wavefront6targetE0EEEvT1_.has_indirect_call, 0
	.section	.AMDGPU.csdata,"",@progbits
; Kernel info:
; codeLenInByte = 0
; TotalNumSgprs: 0
; NumVgprs: 0
; ScratchSize: 0
; MemoryBound: 0
; FloatMode: 240
; IeeeMode: 1
; LDSByteSize: 0 bytes/workgroup (compile time only)
; SGPRBlocks: 0
; VGPRBlocks: 0
; NumSGPRsForWavesPerEU: 1
; NumVGPRsForWavesPerEU: 1
; NamedBarCnt: 0
; Occupancy: 16
; WaveLimiterHint : 0
; COMPUTE_PGM_RSRC2:SCRATCH_EN: 0
; COMPUTE_PGM_RSRC2:USER_SGPR: 2
; COMPUTE_PGM_RSRC2:TRAP_HANDLER: 0
; COMPUTE_PGM_RSRC2:TGID_X_EN: 1
; COMPUTE_PGM_RSRC2:TGID_Y_EN: 0
; COMPUTE_PGM_RSRC2:TGID_Z_EN: 0
; COMPUTE_PGM_RSRC2:TIDIG_COMP_CNT: 0
	.section	.text._ZN7rocprim17ROCPRIM_400000_NS6detail17trampoline_kernelINS0_14default_configENS1_27scan_by_key_config_selectorIiiEEZZNS1_16scan_by_key_implILNS1_25lookback_scan_determinismE0ELb1ES3_N6thrust23THRUST_200600_302600_NS6detail15normal_iteratorINS9_10device_ptrIiEEEESE_SE_iNS9_10multipliesIiEENS9_8equal_toIiEEiEE10hipError_tPvRmT2_T3_T4_T5_mT6_T7_P12ihipStream_tbENKUlT_T0_E_clISt17integral_constantIbLb1EESZ_EEDaSU_SV_EUlSU_E_NS1_11comp_targetILNS1_3genE10ELNS1_11target_archE1200ELNS1_3gpuE4ELNS1_3repE0EEENS1_30default_config_static_selectorELNS0_4arch9wavefront6targetE0EEEvT1_,"axG",@progbits,_ZN7rocprim17ROCPRIM_400000_NS6detail17trampoline_kernelINS0_14default_configENS1_27scan_by_key_config_selectorIiiEEZZNS1_16scan_by_key_implILNS1_25lookback_scan_determinismE0ELb1ES3_N6thrust23THRUST_200600_302600_NS6detail15normal_iteratorINS9_10device_ptrIiEEEESE_SE_iNS9_10multipliesIiEENS9_8equal_toIiEEiEE10hipError_tPvRmT2_T3_T4_T5_mT6_T7_P12ihipStream_tbENKUlT_T0_E_clISt17integral_constantIbLb1EESZ_EEDaSU_SV_EUlSU_E_NS1_11comp_targetILNS1_3genE10ELNS1_11target_archE1200ELNS1_3gpuE4ELNS1_3repE0EEENS1_30default_config_static_selectorELNS0_4arch9wavefront6targetE0EEEvT1_,comdat
	.protected	_ZN7rocprim17ROCPRIM_400000_NS6detail17trampoline_kernelINS0_14default_configENS1_27scan_by_key_config_selectorIiiEEZZNS1_16scan_by_key_implILNS1_25lookback_scan_determinismE0ELb1ES3_N6thrust23THRUST_200600_302600_NS6detail15normal_iteratorINS9_10device_ptrIiEEEESE_SE_iNS9_10multipliesIiEENS9_8equal_toIiEEiEE10hipError_tPvRmT2_T3_T4_T5_mT6_T7_P12ihipStream_tbENKUlT_T0_E_clISt17integral_constantIbLb1EESZ_EEDaSU_SV_EUlSU_E_NS1_11comp_targetILNS1_3genE10ELNS1_11target_archE1200ELNS1_3gpuE4ELNS1_3repE0EEENS1_30default_config_static_selectorELNS0_4arch9wavefront6targetE0EEEvT1_ ; -- Begin function _ZN7rocprim17ROCPRIM_400000_NS6detail17trampoline_kernelINS0_14default_configENS1_27scan_by_key_config_selectorIiiEEZZNS1_16scan_by_key_implILNS1_25lookback_scan_determinismE0ELb1ES3_N6thrust23THRUST_200600_302600_NS6detail15normal_iteratorINS9_10device_ptrIiEEEESE_SE_iNS9_10multipliesIiEENS9_8equal_toIiEEiEE10hipError_tPvRmT2_T3_T4_T5_mT6_T7_P12ihipStream_tbENKUlT_T0_E_clISt17integral_constantIbLb1EESZ_EEDaSU_SV_EUlSU_E_NS1_11comp_targetILNS1_3genE10ELNS1_11target_archE1200ELNS1_3gpuE4ELNS1_3repE0EEENS1_30default_config_static_selectorELNS0_4arch9wavefront6targetE0EEEvT1_
	.globl	_ZN7rocprim17ROCPRIM_400000_NS6detail17trampoline_kernelINS0_14default_configENS1_27scan_by_key_config_selectorIiiEEZZNS1_16scan_by_key_implILNS1_25lookback_scan_determinismE0ELb1ES3_N6thrust23THRUST_200600_302600_NS6detail15normal_iteratorINS9_10device_ptrIiEEEESE_SE_iNS9_10multipliesIiEENS9_8equal_toIiEEiEE10hipError_tPvRmT2_T3_T4_T5_mT6_T7_P12ihipStream_tbENKUlT_T0_E_clISt17integral_constantIbLb1EESZ_EEDaSU_SV_EUlSU_E_NS1_11comp_targetILNS1_3genE10ELNS1_11target_archE1200ELNS1_3gpuE4ELNS1_3repE0EEENS1_30default_config_static_selectorELNS0_4arch9wavefront6targetE0EEEvT1_
	.p2align	8
	.type	_ZN7rocprim17ROCPRIM_400000_NS6detail17trampoline_kernelINS0_14default_configENS1_27scan_by_key_config_selectorIiiEEZZNS1_16scan_by_key_implILNS1_25lookback_scan_determinismE0ELb1ES3_N6thrust23THRUST_200600_302600_NS6detail15normal_iteratorINS9_10device_ptrIiEEEESE_SE_iNS9_10multipliesIiEENS9_8equal_toIiEEiEE10hipError_tPvRmT2_T3_T4_T5_mT6_T7_P12ihipStream_tbENKUlT_T0_E_clISt17integral_constantIbLb1EESZ_EEDaSU_SV_EUlSU_E_NS1_11comp_targetILNS1_3genE10ELNS1_11target_archE1200ELNS1_3gpuE4ELNS1_3repE0EEENS1_30default_config_static_selectorELNS0_4arch9wavefront6targetE0EEEvT1_,@function
_ZN7rocprim17ROCPRIM_400000_NS6detail17trampoline_kernelINS0_14default_configENS1_27scan_by_key_config_selectorIiiEEZZNS1_16scan_by_key_implILNS1_25lookback_scan_determinismE0ELb1ES3_N6thrust23THRUST_200600_302600_NS6detail15normal_iteratorINS9_10device_ptrIiEEEESE_SE_iNS9_10multipliesIiEENS9_8equal_toIiEEiEE10hipError_tPvRmT2_T3_T4_T5_mT6_T7_P12ihipStream_tbENKUlT_T0_E_clISt17integral_constantIbLb1EESZ_EEDaSU_SV_EUlSU_E_NS1_11comp_targetILNS1_3genE10ELNS1_11target_archE1200ELNS1_3gpuE4ELNS1_3repE0EEENS1_30default_config_static_selectorELNS0_4arch9wavefront6targetE0EEEvT1_: ; @_ZN7rocprim17ROCPRIM_400000_NS6detail17trampoline_kernelINS0_14default_configENS1_27scan_by_key_config_selectorIiiEEZZNS1_16scan_by_key_implILNS1_25lookback_scan_determinismE0ELb1ES3_N6thrust23THRUST_200600_302600_NS6detail15normal_iteratorINS9_10device_ptrIiEEEESE_SE_iNS9_10multipliesIiEENS9_8equal_toIiEEiEE10hipError_tPvRmT2_T3_T4_T5_mT6_T7_P12ihipStream_tbENKUlT_T0_E_clISt17integral_constantIbLb1EESZ_EEDaSU_SV_EUlSU_E_NS1_11comp_targetILNS1_3genE10ELNS1_11target_archE1200ELNS1_3gpuE4ELNS1_3repE0EEENS1_30default_config_static_selectorELNS0_4arch9wavefront6targetE0EEEvT1_
; %bb.0:
	.section	.rodata,"a",@progbits
	.p2align	6, 0x0
	.amdhsa_kernel _ZN7rocprim17ROCPRIM_400000_NS6detail17trampoline_kernelINS0_14default_configENS1_27scan_by_key_config_selectorIiiEEZZNS1_16scan_by_key_implILNS1_25lookback_scan_determinismE0ELb1ES3_N6thrust23THRUST_200600_302600_NS6detail15normal_iteratorINS9_10device_ptrIiEEEESE_SE_iNS9_10multipliesIiEENS9_8equal_toIiEEiEE10hipError_tPvRmT2_T3_T4_T5_mT6_T7_P12ihipStream_tbENKUlT_T0_E_clISt17integral_constantIbLb1EESZ_EEDaSU_SV_EUlSU_E_NS1_11comp_targetILNS1_3genE10ELNS1_11target_archE1200ELNS1_3gpuE4ELNS1_3repE0EEENS1_30default_config_static_selectorELNS0_4arch9wavefront6targetE0EEEvT1_
		.amdhsa_group_segment_fixed_size 0
		.amdhsa_private_segment_fixed_size 0
		.amdhsa_kernarg_size 112
		.amdhsa_user_sgpr_count 2
		.amdhsa_user_sgpr_dispatch_ptr 0
		.amdhsa_user_sgpr_queue_ptr 0
		.amdhsa_user_sgpr_kernarg_segment_ptr 1
		.amdhsa_user_sgpr_dispatch_id 0
		.amdhsa_user_sgpr_kernarg_preload_length 0
		.amdhsa_user_sgpr_kernarg_preload_offset 0
		.amdhsa_user_sgpr_private_segment_size 0
		.amdhsa_wavefront_size32 1
		.amdhsa_uses_dynamic_stack 0
		.amdhsa_enable_private_segment 0
		.amdhsa_system_sgpr_workgroup_id_x 1
		.amdhsa_system_sgpr_workgroup_id_y 0
		.amdhsa_system_sgpr_workgroup_id_z 0
		.amdhsa_system_sgpr_workgroup_info 0
		.amdhsa_system_vgpr_workitem_id 0
		.amdhsa_next_free_vgpr 1
		.amdhsa_next_free_sgpr 1
		.amdhsa_named_barrier_count 0
		.amdhsa_reserve_vcc 0
		.amdhsa_float_round_mode_32 0
		.amdhsa_float_round_mode_16_64 0
		.amdhsa_float_denorm_mode_32 3
		.amdhsa_float_denorm_mode_16_64 3
		.amdhsa_fp16_overflow 0
		.amdhsa_memory_ordered 1
		.amdhsa_forward_progress 1
		.amdhsa_inst_pref_size 0
		.amdhsa_round_robin_scheduling 0
		.amdhsa_exception_fp_ieee_invalid_op 0
		.amdhsa_exception_fp_denorm_src 0
		.amdhsa_exception_fp_ieee_div_zero 0
		.amdhsa_exception_fp_ieee_overflow 0
		.amdhsa_exception_fp_ieee_underflow 0
		.amdhsa_exception_fp_ieee_inexact 0
		.amdhsa_exception_int_div_zero 0
	.end_amdhsa_kernel
	.section	.text._ZN7rocprim17ROCPRIM_400000_NS6detail17trampoline_kernelINS0_14default_configENS1_27scan_by_key_config_selectorIiiEEZZNS1_16scan_by_key_implILNS1_25lookback_scan_determinismE0ELb1ES3_N6thrust23THRUST_200600_302600_NS6detail15normal_iteratorINS9_10device_ptrIiEEEESE_SE_iNS9_10multipliesIiEENS9_8equal_toIiEEiEE10hipError_tPvRmT2_T3_T4_T5_mT6_T7_P12ihipStream_tbENKUlT_T0_E_clISt17integral_constantIbLb1EESZ_EEDaSU_SV_EUlSU_E_NS1_11comp_targetILNS1_3genE10ELNS1_11target_archE1200ELNS1_3gpuE4ELNS1_3repE0EEENS1_30default_config_static_selectorELNS0_4arch9wavefront6targetE0EEEvT1_,"axG",@progbits,_ZN7rocprim17ROCPRIM_400000_NS6detail17trampoline_kernelINS0_14default_configENS1_27scan_by_key_config_selectorIiiEEZZNS1_16scan_by_key_implILNS1_25lookback_scan_determinismE0ELb1ES3_N6thrust23THRUST_200600_302600_NS6detail15normal_iteratorINS9_10device_ptrIiEEEESE_SE_iNS9_10multipliesIiEENS9_8equal_toIiEEiEE10hipError_tPvRmT2_T3_T4_T5_mT6_T7_P12ihipStream_tbENKUlT_T0_E_clISt17integral_constantIbLb1EESZ_EEDaSU_SV_EUlSU_E_NS1_11comp_targetILNS1_3genE10ELNS1_11target_archE1200ELNS1_3gpuE4ELNS1_3repE0EEENS1_30default_config_static_selectorELNS0_4arch9wavefront6targetE0EEEvT1_,comdat
.Lfunc_end512:
	.size	_ZN7rocprim17ROCPRIM_400000_NS6detail17trampoline_kernelINS0_14default_configENS1_27scan_by_key_config_selectorIiiEEZZNS1_16scan_by_key_implILNS1_25lookback_scan_determinismE0ELb1ES3_N6thrust23THRUST_200600_302600_NS6detail15normal_iteratorINS9_10device_ptrIiEEEESE_SE_iNS9_10multipliesIiEENS9_8equal_toIiEEiEE10hipError_tPvRmT2_T3_T4_T5_mT6_T7_P12ihipStream_tbENKUlT_T0_E_clISt17integral_constantIbLb1EESZ_EEDaSU_SV_EUlSU_E_NS1_11comp_targetILNS1_3genE10ELNS1_11target_archE1200ELNS1_3gpuE4ELNS1_3repE0EEENS1_30default_config_static_selectorELNS0_4arch9wavefront6targetE0EEEvT1_, .Lfunc_end512-_ZN7rocprim17ROCPRIM_400000_NS6detail17trampoline_kernelINS0_14default_configENS1_27scan_by_key_config_selectorIiiEEZZNS1_16scan_by_key_implILNS1_25lookback_scan_determinismE0ELb1ES3_N6thrust23THRUST_200600_302600_NS6detail15normal_iteratorINS9_10device_ptrIiEEEESE_SE_iNS9_10multipliesIiEENS9_8equal_toIiEEiEE10hipError_tPvRmT2_T3_T4_T5_mT6_T7_P12ihipStream_tbENKUlT_T0_E_clISt17integral_constantIbLb1EESZ_EEDaSU_SV_EUlSU_E_NS1_11comp_targetILNS1_3genE10ELNS1_11target_archE1200ELNS1_3gpuE4ELNS1_3repE0EEENS1_30default_config_static_selectorELNS0_4arch9wavefront6targetE0EEEvT1_
                                        ; -- End function
	.set _ZN7rocprim17ROCPRIM_400000_NS6detail17trampoline_kernelINS0_14default_configENS1_27scan_by_key_config_selectorIiiEEZZNS1_16scan_by_key_implILNS1_25lookback_scan_determinismE0ELb1ES3_N6thrust23THRUST_200600_302600_NS6detail15normal_iteratorINS9_10device_ptrIiEEEESE_SE_iNS9_10multipliesIiEENS9_8equal_toIiEEiEE10hipError_tPvRmT2_T3_T4_T5_mT6_T7_P12ihipStream_tbENKUlT_T0_E_clISt17integral_constantIbLb1EESZ_EEDaSU_SV_EUlSU_E_NS1_11comp_targetILNS1_3genE10ELNS1_11target_archE1200ELNS1_3gpuE4ELNS1_3repE0EEENS1_30default_config_static_selectorELNS0_4arch9wavefront6targetE0EEEvT1_.num_vgpr, 0
	.set _ZN7rocprim17ROCPRIM_400000_NS6detail17trampoline_kernelINS0_14default_configENS1_27scan_by_key_config_selectorIiiEEZZNS1_16scan_by_key_implILNS1_25lookback_scan_determinismE0ELb1ES3_N6thrust23THRUST_200600_302600_NS6detail15normal_iteratorINS9_10device_ptrIiEEEESE_SE_iNS9_10multipliesIiEENS9_8equal_toIiEEiEE10hipError_tPvRmT2_T3_T4_T5_mT6_T7_P12ihipStream_tbENKUlT_T0_E_clISt17integral_constantIbLb1EESZ_EEDaSU_SV_EUlSU_E_NS1_11comp_targetILNS1_3genE10ELNS1_11target_archE1200ELNS1_3gpuE4ELNS1_3repE0EEENS1_30default_config_static_selectorELNS0_4arch9wavefront6targetE0EEEvT1_.num_agpr, 0
	.set _ZN7rocprim17ROCPRIM_400000_NS6detail17trampoline_kernelINS0_14default_configENS1_27scan_by_key_config_selectorIiiEEZZNS1_16scan_by_key_implILNS1_25lookback_scan_determinismE0ELb1ES3_N6thrust23THRUST_200600_302600_NS6detail15normal_iteratorINS9_10device_ptrIiEEEESE_SE_iNS9_10multipliesIiEENS9_8equal_toIiEEiEE10hipError_tPvRmT2_T3_T4_T5_mT6_T7_P12ihipStream_tbENKUlT_T0_E_clISt17integral_constantIbLb1EESZ_EEDaSU_SV_EUlSU_E_NS1_11comp_targetILNS1_3genE10ELNS1_11target_archE1200ELNS1_3gpuE4ELNS1_3repE0EEENS1_30default_config_static_selectorELNS0_4arch9wavefront6targetE0EEEvT1_.numbered_sgpr, 0
	.set _ZN7rocprim17ROCPRIM_400000_NS6detail17trampoline_kernelINS0_14default_configENS1_27scan_by_key_config_selectorIiiEEZZNS1_16scan_by_key_implILNS1_25lookback_scan_determinismE0ELb1ES3_N6thrust23THRUST_200600_302600_NS6detail15normal_iteratorINS9_10device_ptrIiEEEESE_SE_iNS9_10multipliesIiEENS9_8equal_toIiEEiEE10hipError_tPvRmT2_T3_T4_T5_mT6_T7_P12ihipStream_tbENKUlT_T0_E_clISt17integral_constantIbLb1EESZ_EEDaSU_SV_EUlSU_E_NS1_11comp_targetILNS1_3genE10ELNS1_11target_archE1200ELNS1_3gpuE4ELNS1_3repE0EEENS1_30default_config_static_selectorELNS0_4arch9wavefront6targetE0EEEvT1_.num_named_barrier, 0
	.set _ZN7rocprim17ROCPRIM_400000_NS6detail17trampoline_kernelINS0_14default_configENS1_27scan_by_key_config_selectorIiiEEZZNS1_16scan_by_key_implILNS1_25lookback_scan_determinismE0ELb1ES3_N6thrust23THRUST_200600_302600_NS6detail15normal_iteratorINS9_10device_ptrIiEEEESE_SE_iNS9_10multipliesIiEENS9_8equal_toIiEEiEE10hipError_tPvRmT2_T3_T4_T5_mT6_T7_P12ihipStream_tbENKUlT_T0_E_clISt17integral_constantIbLb1EESZ_EEDaSU_SV_EUlSU_E_NS1_11comp_targetILNS1_3genE10ELNS1_11target_archE1200ELNS1_3gpuE4ELNS1_3repE0EEENS1_30default_config_static_selectorELNS0_4arch9wavefront6targetE0EEEvT1_.private_seg_size, 0
	.set _ZN7rocprim17ROCPRIM_400000_NS6detail17trampoline_kernelINS0_14default_configENS1_27scan_by_key_config_selectorIiiEEZZNS1_16scan_by_key_implILNS1_25lookback_scan_determinismE0ELb1ES3_N6thrust23THRUST_200600_302600_NS6detail15normal_iteratorINS9_10device_ptrIiEEEESE_SE_iNS9_10multipliesIiEENS9_8equal_toIiEEiEE10hipError_tPvRmT2_T3_T4_T5_mT6_T7_P12ihipStream_tbENKUlT_T0_E_clISt17integral_constantIbLb1EESZ_EEDaSU_SV_EUlSU_E_NS1_11comp_targetILNS1_3genE10ELNS1_11target_archE1200ELNS1_3gpuE4ELNS1_3repE0EEENS1_30default_config_static_selectorELNS0_4arch9wavefront6targetE0EEEvT1_.uses_vcc, 0
	.set _ZN7rocprim17ROCPRIM_400000_NS6detail17trampoline_kernelINS0_14default_configENS1_27scan_by_key_config_selectorIiiEEZZNS1_16scan_by_key_implILNS1_25lookback_scan_determinismE0ELb1ES3_N6thrust23THRUST_200600_302600_NS6detail15normal_iteratorINS9_10device_ptrIiEEEESE_SE_iNS9_10multipliesIiEENS9_8equal_toIiEEiEE10hipError_tPvRmT2_T3_T4_T5_mT6_T7_P12ihipStream_tbENKUlT_T0_E_clISt17integral_constantIbLb1EESZ_EEDaSU_SV_EUlSU_E_NS1_11comp_targetILNS1_3genE10ELNS1_11target_archE1200ELNS1_3gpuE4ELNS1_3repE0EEENS1_30default_config_static_selectorELNS0_4arch9wavefront6targetE0EEEvT1_.uses_flat_scratch, 0
	.set _ZN7rocprim17ROCPRIM_400000_NS6detail17trampoline_kernelINS0_14default_configENS1_27scan_by_key_config_selectorIiiEEZZNS1_16scan_by_key_implILNS1_25lookback_scan_determinismE0ELb1ES3_N6thrust23THRUST_200600_302600_NS6detail15normal_iteratorINS9_10device_ptrIiEEEESE_SE_iNS9_10multipliesIiEENS9_8equal_toIiEEiEE10hipError_tPvRmT2_T3_T4_T5_mT6_T7_P12ihipStream_tbENKUlT_T0_E_clISt17integral_constantIbLb1EESZ_EEDaSU_SV_EUlSU_E_NS1_11comp_targetILNS1_3genE10ELNS1_11target_archE1200ELNS1_3gpuE4ELNS1_3repE0EEENS1_30default_config_static_selectorELNS0_4arch9wavefront6targetE0EEEvT1_.has_dyn_sized_stack, 0
	.set _ZN7rocprim17ROCPRIM_400000_NS6detail17trampoline_kernelINS0_14default_configENS1_27scan_by_key_config_selectorIiiEEZZNS1_16scan_by_key_implILNS1_25lookback_scan_determinismE0ELb1ES3_N6thrust23THRUST_200600_302600_NS6detail15normal_iteratorINS9_10device_ptrIiEEEESE_SE_iNS9_10multipliesIiEENS9_8equal_toIiEEiEE10hipError_tPvRmT2_T3_T4_T5_mT6_T7_P12ihipStream_tbENKUlT_T0_E_clISt17integral_constantIbLb1EESZ_EEDaSU_SV_EUlSU_E_NS1_11comp_targetILNS1_3genE10ELNS1_11target_archE1200ELNS1_3gpuE4ELNS1_3repE0EEENS1_30default_config_static_selectorELNS0_4arch9wavefront6targetE0EEEvT1_.has_recursion, 0
	.set _ZN7rocprim17ROCPRIM_400000_NS6detail17trampoline_kernelINS0_14default_configENS1_27scan_by_key_config_selectorIiiEEZZNS1_16scan_by_key_implILNS1_25lookback_scan_determinismE0ELb1ES3_N6thrust23THRUST_200600_302600_NS6detail15normal_iteratorINS9_10device_ptrIiEEEESE_SE_iNS9_10multipliesIiEENS9_8equal_toIiEEiEE10hipError_tPvRmT2_T3_T4_T5_mT6_T7_P12ihipStream_tbENKUlT_T0_E_clISt17integral_constantIbLb1EESZ_EEDaSU_SV_EUlSU_E_NS1_11comp_targetILNS1_3genE10ELNS1_11target_archE1200ELNS1_3gpuE4ELNS1_3repE0EEENS1_30default_config_static_selectorELNS0_4arch9wavefront6targetE0EEEvT1_.has_indirect_call, 0
	.section	.AMDGPU.csdata,"",@progbits
; Kernel info:
; codeLenInByte = 0
; TotalNumSgprs: 0
; NumVgprs: 0
; ScratchSize: 0
; MemoryBound: 0
; FloatMode: 240
; IeeeMode: 1
; LDSByteSize: 0 bytes/workgroup (compile time only)
; SGPRBlocks: 0
; VGPRBlocks: 0
; NumSGPRsForWavesPerEU: 1
; NumVGPRsForWavesPerEU: 1
; NamedBarCnt: 0
; Occupancy: 16
; WaveLimiterHint : 0
; COMPUTE_PGM_RSRC2:SCRATCH_EN: 0
; COMPUTE_PGM_RSRC2:USER_SGPR: 2
; COMPUTE_PGM_RSRC2:TRAP_HANDLER: 0
; COMPUTE_PGM_RSRC2:TGID_X_EN: 1
; COMPUTE_PGM_RSRC2:TGID_Y_EN: 0
; COMPUTE_PGM_RSRC2:TGID_Z_EN: 0
; COMPUTE_PGM_RSRC2:TIDIG_COMP_CNT: 0
	.section	.text._ZN7rocprim17ROCPRIM_400000_NS6detail17trampoline_kernelINS0_14default_configENS1_27scan_by_key_config_selectorIiiEEZZNS1_16scan_by_key_implILNS1_25lookback_scan_determinismE0ELb1ES3_N6thrust23THRUST_200600_302600_NS6detail15normal_iteratorINS9_10device_ptrIiEEEESE_SE_iNS9_10multipliesIiEENS9_8equal_toIiEEiEE10hipError_tPvRmT2_T3_T4_T5_mT6_T7_P12ihipStream_tbENKUlT_T0_E_clISt17integral_constantIbLb1EESZ_EEDaSU_SV_EUlSU_E_NS1_11comp_targetILNS1_3genE9ELNS1_11target_archE1100ELNS1_3gpuE3ELNS1_3repE0EEENS1_30default_config_static_selectorELNS0_4arch9wavefront6targetE0EEEvT1_,"axG",@progbits,_ZN7rocprim17ROCPRIM_400000_NS6detail17trampoline_kernelINS0_14default_configENS1_27scan_by_key_config_selectorIiiEEZZNS1_16scan_by_key_implILNS1_25lookback_scan_determinismE0ELb1ES3_N6thrust23THRUST_200600_302600_NS6detail15normal_iteratorINS9_10device_ptrIiEEEESE_SE_iNS9_10multipliesIiEENS9_8equal_toIiEEiEE10hipError_tPvRmT2_T3_T4_T5_mT6_T7_P12ihipStream_tbENKUlT_T0_E_clISt17integral_constantIbLb1EESZ_EEDaSU_SV_EUlSU_E_NS1_11comp_targetILNS1_3genE9ELNS1_11target_archE1100ELNS1_3gpuE3ELNS1_3repE0EEENS1_30default_config_static_selectorELNS0_4arch9wavefront6targetE0EEEvT1_,comdat
	.protected	_ZN7rocprim17ROCPRIM_400000_NS6detail17trampoline_kernelINS0_14default_configENS1_27scan_by_key_config_selectorIiiEEZZNS1_16scan_by_key_implILNS1_25lookback_scan_determinismE0ELb1ES3_N6thrust23THRUST_200600_302600_NS6detail15normal_iteratorINS9_10device_ptrIiEEEESE_SE_iNS9_10multipliesIiEENS9_8equal_toIiEEiEE10hipError_tPvRmT2_T3_T4_T5_mT6_T7_P12ihipStream_tbENKUlT_T0_E_clISt17integral_constantIbLb1EESZ_EEDaSU_SV_EUlSU_E_NS1_11comp_targetILNS1_3genE9ELNS1_11target_archE1100ELNS1_3gpuE3ELNS1_3repE0EEENS1_30default_config_static_selectorELNS0_4arch9wavefront6targetE0EEEvT1_ ; -- Begin function _ZN7rocprim17ROCPRIM_400000_NS6detail17trampoline_kernelINS0_14default_configENS1_27scan_by_key_config_selectorIiiEEZZNS1_16scan_by_key_implILNS1_25lookback_scan_determinismE0ELb1ES3_N6thrust23THRUST_200600_302600_NS6detail15normal_iteratorINS9_10device_ptrIiEEEESE_SE_iNS9_10multipliesIiEENS9_8equal_toIiEEiEE10hipError_tPvRmT2_T3_T4_T5_mT6_T7_P12ihipStream_tbENKUlT_T0_E_clISt17integral_constantIbLb1EESZ_EEDaSU_SV_EUlSU_E_NS1_11comp_targetILNS1_3genE9ELNS1_11target_archE1100ELNS1_3gpuE3ELNS1_3repE0EEENS1_30default_config_static_selectorELNS0_4arch9wavefront6targetE0EEEvT1_
	.globl	_ZN7rocprim17ROCPRIM_400000_NS6detail17trampoline_kernelINS0_14default_configENS1_27scan_by_key_config_selectorIiiEEZZNS1_16scan_by_key_implILNS1_25lookback_scan_determinismE0ELb1ES3_N6thrust23THRUST_200600_302600_NS6detail15normal_iteratorINS9_10device_ptrIiEEEESE_SE_iNS9_10multipliesIiEENS9_8equal_toIiEEiEE10hipError_tPvRmT2_T3_T4_T5_mT6_T7_P12ihipStream_tbENKUlT_T0_E_clISt17integral_constantIbLb1EESZ_EEDaSU_SV_EUlSU_E_NS1_11comp_targetILNS1_3genE9ELNS1_11target_archE1100ELNS1_3gpuE3ELNS1_3repE0EEENS1_30default_config_static_selectorELNS0_4arch9wavefront6targetE0EEEvT1_
	.p2align	8
	.type	_ZN7rocprim17ROCPRIM_400000_NS6detail17trampoline_kernelINS0_14default_configENS1_27scan_by_key_config_selectorIiiEEZZNS1_16scan_by_key_implILNS1_25lookback_scan_determinismE0ELb1ES3_N6thrust23THRUST_200600_302600_NS6detail15normal_iteratorINS9_10device_ptrIiEEEESE_SE_iNS9_10multipliesIiEENS9_8equal_toIiEEiEE10hipError_tPvRmT2_T3_T4_T5_mT6_T7_P12ihipStream_tbENKUlT_T0_E_clISt17integral_constantIbLb1EESZ_EEDaSU_SV_EUlSU_E_NS1_11comp_targetILNS1_3genE9ELNS1_11target_archE1100ELNS1_3gpuE3ELNS1_3repE0EEENS1_30default_config_static_selectorELNS0_4arch9wavefront6targetE0EEEvT1_,@function
_ZN7rocprim17ROCPRIM_400000_NS6detail17trampoline_kernelINS0_14default_configENS1_27scan_by_key_config_selectorIiiEEZZNS1_16scan_by_key_implILNS1_25lookback_scan_determinismE0ELb1ES3_N6thrust23THRUST_200600_302600_NS6detail15normal_iteratorINS9_10device_ptrIiEEEESE_SE_iNS9_10multipliesIiEENS9_8equal_toIiEEiEE10hipError_tPvRmT2_T3_T4_T5_mT6_T7_P12ihipStream_tbENKUlT_T0_E_clISt17integral_constantIbLb1EESZ_EEDaSU_SV_EUlSU_E_NS1_11comp_targetILNS1_3genE9ELNS1_11target_archE1100ELNS1_3gpuE3ELNS1_3repE0EEENS1_30default_config_static_selectorELNS0_4arch9wavefront6targetE0EEEvT1_: ; @_ZN7rocprim17ROCPRIM_400000_NS6detail17trampoline_kernelINS0_14default_configENS1_27scan_by_key_config_selectorIiiEEZZNS1_16scan_by_key_implILNS1_25lookback_scan_determinismE0ELb1ES3_N6thrust23THRUST_200600_302600_NS6detail15normal_iteratorINS9_10device_ptrIiEEEESE_SE_iNS9_10multipliesIiEENS9_8equal_toIiEEiEE10hipError_tPvRmT2_T3_T4_T5_mT6_T7_P12ihipStream_tbENKUlT_T0_E_clISt17integral_constantIbLb1EESZ_EEDaSU_SV_EUlSU_E_NS1_11comp_targetILNS1_3genE9ELNS1_11target_archE1100ELNS1_3gpuE3ELNS1_3repE0EEENS1_30default_config_static_selectorELNS0_4arch9wavefront6targetE0EEEvT1_
; %bb.0:
	.section	.rodata,"a",@progbits
	.p2align	6, 0x0
	.amdhsa_kernel _ZN7rocprim17ROCPRIM_400000_NS6detail17trampoline_kernelINS0_14default_configENS1_27scan_by_key_config_selectorIiiEEZZNS1_16scan_by_key_implILNS1_25lookback_scan_determinismE0ELb1ES3_N6thrust23THRUST_200600_302600_NS6detail15normal_iteratorINS9_10device_ptrIiEEEESE_SE_iNS9_10multipliesIiEENS9_8equal_toIiEEiEE10hipError_tPvRmT2_T3_T4_T5_mT6_T7_P12ihipStream_tbENKUlT_T0_E_clISt17integral_constantIbLb1EESZ_EEDaSU_SV_EUlSU_E_NS1_11comp_targetILNS1_3genE9ELNS1_11target_archE1100ELNS1_3gpuE3ELNS1_3repE0EEENS1_30default_config_static_selectorELNS0_4arch9wavefront6targetE0EEEvT1_
		.amdhsa_group_segment_fixed_size 0
		.amdhsa_private_segment_fixed_size 0
		.amdhsa_kernarg_size 112
		.amdhsa_user_sgpr_count 2
		.amdhsa_user_sgpr_dispatch_ptr 0
		.amdhsa_user_sgpr_queue_ptr 0
		.amdhsa_user_sgpr_kernarg_segment_ptr 1
		.amdhsa_user_sgpr_dispatch_id 0
		.amdhsa_user_sgpr_kernarg_preload_length 0
		.amdhsa_user_sgpr_kernarg_preload_offset 0
		.amdhsa_user_sgpr_private_segment_size 0
		.amdhsa_wavefront_size32 1
		.amdhsa_uses_dynamic_stack 0
		.amdhsa_enable_private_segment 0
		.amdhsa_system_sgpr_workgroup_id_x 1
		.amdhsa_system_sgpr_workgroup_id_y 0
		.amdhsa_system_sgpr_workgroup_id_z 0
		.amdhsa_system_sgpr_workgroup_info 0
		.amdhsa_system_vgpr_workitem_id 0
		.amdhsa_next_free_vgpr 1
		.amdhsa_next_free_sgpr 1
		.amdhsa_named_barrier_count 0
		.amdhsa_reserve_vcc 0
		.amdhsa_float_round_mode_32 0
		.amdhsa_float_round_mode_16_64 0
		.amdhsa_float_denorm_mode_32 3
		.amdhsa_float_denorm_mode_16_64 3
		.amdhsa_fp16_overflow 0
		.amdhsa_memory_ordered 1
		.amdhsa_forward_progress 1
		.amdhsa_inst_pref_size 0
		.amdhsa_round_robin_scheduling 0
		.amdhsa_exception_fp_ieee_invalid_op 0
		.amdhsa_exception_fp_denorm_src 0
		.amdhsa_exception_fp_ieee_div_zero 0
		.amdhsa_exception_fp_ieee_overflow 0
		.amdhsa_exception_fp_ieee_underflow 0
		.amdhsa_exception_fp_ieee_inexact 0
		.amdhsa_exception_int_div_zero 0
	.end_amdhsa_kernel
	.section	.text._ZN7rocprim17ROCPRIM_400000_NS6detail17trampoline_kernelINS0_14default_configENS1_27scan_by_key_config_selectorIiiEEZZNS1_16scan_by_key_implILNS1_25lookback_scan_determinismE0ELb1ES3_N6thrust23THRUST_200600_302600_NS6detail15normal_iteratorINS9_10device_ptrIiEEEESE_SE_iNS9_10multipliesIiEENS9_8equal_toIiEEiEE10hipError_tPvRmT2_T3_T4_T5_mT6_T7_P12ihipStream_tbENKUlT_T0_E_clISt17integral_constantIbLb1EESZ_EEDaSU_SV_EUlSU_E_NS1_11comp_targetILNS1_3genE9ELNS1_11target_archE1100ELNS1_3gpuE3ELNS1_3repE0EEENS1_30default_config_static_selectorELNS0_4arch9wavefront6targetE0EEEvT1_,"axG",@progbits,_ZN7rocprim17ROCPRIM_400000_NS6detail17trampoline_kernelINS0_14default_configENS1_27scan_by_key_config_selectorIiiEEZZNS1_16scan_by_key_implILNS1_25lookback_scan_determinismE0ELb1ES3_N6thrust23THRUST_200600_302600_NS6detail15normal_iteratorINS9_10device_ptrIiEEEESE_SE_iNS9_10multipliesIiEENS9_8equal_toIiEEiEE10hipError_tPvRmT2_T3_T4_T5_mT6_T7_P12ihipStream_tbENKUlT_T0_E_clISt17integral_constantIbLb1EESZ_EEDaSU_SV_EUlSU_E_NS1_11comp_targetILNS1_3genE9ELNS1_11target_archE1100ELNS1_3gpuE3ELNS1_3repE0EEENS1_30default_config_static_selectorELNS0_4arch9wavefront6targetE0EEEvT1_,comdat
.Lfunc_end513:
	.size	_ZN7rocprim17ROCPRIM_400000_NS6detail17trampoline_kernelINS0_14default_configENS1_27scan_by_key_config_selectorIiiEEZZNS1_16scan_by_key_implILNS1_25lookback_scan_determinismE0ELb1ES3_N6thrust23THRUST_200600_302600_NS6detail15normal_iteratorINS9_10device_ptrIiEEEESE_SE_iNS9_10multipliesIiEENS9_8equal_toIiEEiEE10hipError_tPvRmT2_T3_T4_T5_mT6_T7_P12ihipStream_tbENKUlT_T0_E_clISt17integral_constantIbLb1EESZ_EEDaSU_SV_EUlSU_E_NS1_11comp_targetILNS1_3genE9ELNS1_11target_archE1100ELNS1_3gpuE3ELNS1_3repE0EEENS1_30default_config_static_selectorELNS0_4arch9wavefront6targetE0EEEvT1_, .Lfunc_end513-_ZN7rocprim17ROCPRIM_400000_NS6detail17trampoline_kernelINS0_14default_configENS1_27scan_by_key_config_selectorIiiEEZZNS1_16scan_by_key_implILNS1_25lookback_scan_determinismE0ELb1ES3_N6thrust23THRUST_200600_302600_NS6detail15normal_iteratorINS9_10device_ptrIiEEEESE_SE_iNS9_10multipliesIiEENS9_8equal_toIiEEiEE10hipError_tPvRmT2_T3_T4_T5_mT6_T7_P12ihipStream_tbENKUlT_T0_E_clISt17integral_constantIbLb1EESZ_EEDaSU_SV_EUlSU_E_NS1_11comp_targetILNS1_3genE9ELNS1_11target_archE1100ELNS1_3gpuE3ELNS1_3repE0EEENS1_30default_config_static_selectorELNS0_4arch9wavefront6targetE0EEEvT1_
                                        ; -- End function
	.set _ZN7rocprim17ROCPRIM_400000_NS6detail17trampoline_kernelINS0_14default_configENS1_27scan_by_key_config_selectorIiiEEZZNS1_16scan_by_key_implILNS1_25lookback_scan_determinismE0ELb1ES3_N6thrust23THRUST_200600_302600_NS6detail15normal_iteratorINS9_10device_ptrIiEEEESE_SE_iNS9_10multipliesIiEENS9_8equal_toIiEEiEE10hipError_tPvRmT2_T3_T4_T5_mT6_T7_P12ihipStream_tbENKUlT_T0_E_clISt17integral_constantIbLb1EESZ_EEDaSU_SV_EUlSU_E_NS1_11comp_targetILNS1_3genE9ELNS1_11target_archE1100ELNS1_3gpuE3ELNS1_3repE0EEENS1_30default_config_static_selectorELNS0_4arch9wavefront6targetE0EEEvT1_.num_vgpr, 0
	.set _ZN7rocprim17ROCPRIM_400000_NS6detail17trampoline_kernelINS0_14default_configENS1_27scan_by_key_config_selectorIiiEEZZNS1_16scan_by_key_implILNS1_25lookback_scan_determinismE0ELb1ES3_N6thrust23THRUST_200600_302600_NS6detail15normal_iteratorINS9_10device_ptrIiEEEESE_SE_iNS9_10multipliesIiEENS9_8equal_toIiEEiEE10hipError_tPvRmT2_T3_T4_T5_mT6_T7_P12ihipStream_tbENKUlT_T0_E_clISt17integral_constantIbLb1EESZ_EEDaSU_SV_EUlSU_E_NS1_11comp_targetILNS1_3genE9ELNS1_11target_archE1100ELNS1_3gpuE3ELNS1_3repE0EEENS1_30default_config_static_selectorELNS0_4arch9wavefront6targetE0EEEvT1_.num_agpr, 0
	.set _ZN7rocprim17ROCPRIM_400000_NS6detail17trampoline_kernelINS0_14default_configENS1_27scan_by_key_config_selectorIiiEEZZNS1_16scan_by_key_implILNS1_25lookback_scan_determinismE0ELb1ES3_N6thrust23THRUST_200600_302600_NS6detail15normal_iteratorINS9_10device_ptrIiEEEESE_SE_iNS9_10multipliesIiEENS9_8equal_toIiEEiEE10hipError_tPvRmT2_T3_T4_T5_mT6_T7_P12ihipStream_tbENKUlT_T0_E_clISt17integral_constantIbLb1EESZ_EEDaSU_SV_EUlSU_E_NS1_11comp_targetILNS1_3genE9ELNS1_11target_archE1100ELNS1_3gpuE3ELNS1_3repE0EEENS1_30default_config_static_selectorELNS0_4arch9wavefront6targetE0EEEvT1_.numbered_sgpr, 0
	.set _ZN7rocprim17ROCPRIM_400000_NS6detail17trampoline_kernelINS0_14default_configENS1_27scan_by_key_config_selectorIiiEEZZNS1_16scan_by_key_implILNS1_25lookback_scan_determinismE0ELb1ES3_N6thrust23THRUST_200600_302600_NS6detail15normal_iteratorINS9_10device_ptrIiEEEESE_SE_iNS9_10multipliesIiEENS9_8equal_toIiEEiEE10hipError_tPvRmT2_T3_T4_T5_mT6_T7_P12ihipStream_tbENKUlT_T0_E_clISt17integral_constantIbLb1EESZ_EEDaSU_SV_EUlSU_E_NS1_11comp_targetILNS1_3genE9ELNS1_11target_archE1100ELNS1_3gpuE3ELNS1_3repE0EEENS1_30default_config_static_selectorELNS0_4arch9wavefront6targetE0EEEvT1_.num_named_barrier, 0
	.set _ZN7rocprim17ROCPRIM_400000_NS6detail17trampoline_kernelINS0_14default_configENS1_27scan_by_key_config_selectorIiiEEZZNS1_16scan_by_key_implILNS1_25lookback_scan_determinismE0ELb1ES3_N6thrust23THRUST_200600_302600_NS6detail15normal_iteratorINS9_10device_ptrIiEEEESE_SE_iNS9_10multipliesIiEENS9_8equal_toIiEEiEE10hipError_tPvRmT2_T3_T4_T5_mT6_T7_P12ihipStream_tbENKUlT_T0_E_clISt17integral_constantIbLb1EESZ_EEDaSU_SV_EUlSU_E_NS1_11comp_targetILNS1_3genE9ELNS1_11target_archE1100ELNS1_3gpuE3ELNS1_3repE0EEENS1_30default_config_static_selectorELNS0_4arch9wavefront6targetE0EEEvT1_.private_seg_size, 0
	.set _ZN7rocprim17ROCPRIM_400000_NS6detail17trampoline_kernelINS0_14default_configENS1_27scan_by_key_config_selectorIiiEEZZNS1_16scan_by_key_implILNS1_25lookback_scan_determinismE0ELb1ES3_N6thrust23THRUST_200600_302600_NS6detail15normal_iteratorINS9_10device_ptrIiEEEESE_SE_iNS9_10multipliesIiEENS9_8equal_toIiEEiEE10hipError_tPvRmT2_T3_T4_T5_mT6_T7_P12ihipStream_tbENKUlT_T0_E_clISt17integral_constantIbLb1EESZ_EEDaSU_SV_EUlSU_E_NS1_11comp_targetILNS1_3genE9ELNS1_11target_archE1100ELNS1_3gpuE3ELNS1_3repE0EEENS1_30default_config_static_selectorELNS0_4arch9wavefront6targetE0EEEvT1_.uses_vcc, 0
	.set _ZN7rocprim17ROCPRIM_400000_NS6detail17trampoline_kernelINS0_14default_configENS1_27scan_by_key_config_selectorIiiEEZZNS1_16scan_by_key_implILNS1_25lookback_scan_determinismE0ELb1ES3_N6thrust23THRUST_200600_302600_NS6detail15normal_iteratorINS9_10device_ptrIiEEEESE_SE_iNS9_10multipliesIiEENS9_8equal_toIiEEiEE10hipError_tPvRmT2_T3_T4_T5_mT6_T7_P12ihipStream_tbENKUlT_T0_E_clISt17integral_constantIbLb1EESZ_EEDaSU_SV_EUlSU_E_NS1_11comp_targetILNS1_3genE9ELNS1_11target_archE1100ELNS1_3gpuE3ELNS1_3repE0EEENS1_30default_config_static_selectorELNS0_4arch9wavefront6targetE0EEEvT1_.uses_flat_scratch, 0
	.set _ZN7rocprim17ROCPRIM_400000_NS6detail17trampoline_kernelINS0_14default_configENS1_27scan_by_key_config_selectorIiiEEZZNS1_16scan_by_key_implILNS1_25lookback_scan_determinismE0ELb1ES3_N6thrust23THRUST_200600_302600_NS6detail15normal_iteratorINS9_10device_ptrIiEEEESE_SE_iNS9_10multipliesIiEENS9_8equal_toIiEEiEE10hipError_tPvRmT2_T3_T4_T5_mT6_T7_P12ihipStream_tbENKUlT_T0_E_clISt17integral_constantIbLb1EESZ_EEDaSU_SV_EUlSU_E_NS1_11comp_targetILNS1_3genE9ELNS1_11target_archE1100ELNS1_3gpuE3ELNS1_3repE0EEENS1_30default_config_static_selectorELNS0_4arch9wavefront6targetE0EEEvT1_.has_dyn_sized_stack, 0
	.set _ZN7rocprim17ROCPRIM_400000_NS6detail17trampoline_kernelINS0_14default_configENS1_27scan_by_key_config_selectorIiiEEZZNS1_16scan_by_key_implILNS1_25lookback_scan_determinismE0ELb1ES3_N6thrust23THRUST_200600_302600_NS6detail15normal_iteratorINS9_10device_ptrIiEEEESE_SE_iNS9_10multipliesIiEENS9_8equal_toIiEEiEE10hipError_tPvRmT2_T3_T4_T5_mT6_T7_P12ihipStream_tbENKUlT_T0_E_clISt17integral_constantIbLb1EESZ_EEDaSU_SV_EUlSU_E_NS1_11comp_targetILNS1_3genE9ELNS1_11target_archE1100ELNS1_3gpuE3ELNS1_3repE0EEENS1_30default_config_static_selectorELNS0_4arch9wavefront6targetE0EEEvT1_.has_recursion, 0
	.set _ZN7rocprim17ROCPRIM_400000_NS6detail17trampoline_kernelINS0_14default_configENS1_27scan_by_key_config_selectorIiiEEZZNS1_16scan_by_key_implILNS1_25lookback_scan_determinismE0ELb1ES3_N6thrust23THRUST_200600_302600_NS6detail15normal_iteratorINS9_10device_ptrIiEEEESE_SE_iNS9_10multipliesIiEENS9_8equal_toIiEEiEE10hipError_tPvRmT2_T3_T4_T5_mT6_T7_P12ihipStream_tbENKUlT_T0_E_clISt17integral_constantIbLb1EESZ_EEDaSU_SV_EUlSU_E_NS1_11comp_targetILNS1_3genE9ELNS1_11target_archE1100ELNS1_3gpuE3ELNS1_3repE0EEENS1_30default_config_static_selectorELNS0_4arch9wavefront6targetE0EEEvT1_.has_indirect_call, 0
	.section	.AMDGPU.csdata,"",@progbits
; Kernel info:
; codeLenInByte = 0
; TotalNumSgprs: 0
; NumVgprs: 0
; ScratchSize: 0
; MemoryBound: 0
; FloatMode: 240
; IeeeMode: 1
; LDSByteSize: 0 bytes/workgroup (compile time only)
; SGPRBlocks: 0
; VGPRBlocks: 0
; NumSGPRsForWavesPerEU: 1
; NumVGPRsForWavesPerEU: 1
; NamedBarCnt: 0
; Occupancy: 16
; WaveLimiterHint : 0
; COMPUTE_PGM_RSRC2:SCRATCH_EN: 0
; COMPUTE_PGM_RSRC2:USER_SGPR: 2
; COMPUTE_PGM_RSRC2:TRAP_HANDLER: 0
; COMPUTE_PGM_RSRC2:TGID_X_EN: 1
; COMPUTE_PGM_RSRC2:TGID_Y_EN: 0
; COMPUTE_PGM_RSRC2:TGID_Z_EN: 0
; COMPUTE_PGM_RSRC2:TIDIG_COMP_CNT: 0
	.section	.text._ZN7rocprim17ROCPRIM_400000_NS6detail17trampoline_kernelINS0_14default_configENS1_27scan_by_key_config_selectorIiiEEZZNS1_16scan_by_key_implILNS1_25lookback_scan_determinismE0ELb1ES3_N6thrust23THRUST_200600_302600_NS6detail15normal_iteratorINS9_10device_ptrIiEEEESE_SE_iNS9_10multipliesIiEENS9_8equal_toIiEEiEE10hipError_tPvRmT2_T3_T4_T5_mT6_T7_P12ihipStream_tbENKUlT_T0_E_clISt17integral_constantIbLb1EESZ_EEDaSU_SV_EUlSU_E_NS1_11comp_targetILNS1_3genE8ELNS1_11target_archE1030ELNS1_3gpuE2ELNS1_3repE0EEENS1_30default_config_static_selectorELNS0_4arch9wavefront6targetE0EEEvT1_,"axG",@progbits,_ZN7rocprim17ROCPRIM_400000_NS6detail17trampoline_kernelINS0_14default_configENS1_27scan_by_key_config_selectorIiiEEZZNS1_16scan_by_key_implILNS1_25lookback_scan_determinismE0ELb1ES3_N6thrust23THRUST_200600_302600_NS6detail15normal_iteratorINS9_10device_ptrIiEEEESE_SE_iNS9_10multipliesIiEENS9_8equal_toIiEEiEE10hipError_tPvRmT2_T3_T4_T5_mT6_T7_P12ihipStream_tbENKUlT_T0_E_clISt17integral_constantIbLb1EESZ_EEDaSU_SV_EUlSU_E_NS1_11comp_targetILNS1_3genE8ELNS1_11target_archE1030ELNS1_3gpuE2ELNS1_3repE0EEENS1_30default_config_static_selectorELNS0_4arch9wavefront6targetE0EEEvT1_,comdat
	.protected	_ZN7rocprim17ROCPRIM_400000_NS6detail17trampoline_kernelINS0_14default_configENS1_27scan_by_key_config_selectorIiiEEZZNS1_16scan_by_key_implILNS1_25lookback_scan_determinismE0ELb1ES3_N6thrust23THRUST_200600_302600_NS6detail15normal_iteratorINS9_10device_ptrIiEEEESE_SE_iNS9_10multipliesIiEENS9_8equal_toIiEEiEE10hipError_tPvRmT2_T3_T4_T5_mT6_T7_P12ihipStream_tbENKUlT_T0_E_clISt17integral_constantIbLb1EESZ_EEDaSU_SV_EUlSU_E_NS1_11comp_targetILNS1_3genE8ELNS1_11target_archE1030ELNS1_3gpuE2ELNS1_3repE0EEENS1_30default_config_static_selectorELNS0_4arch9wavefront6targetE0EEEvT1_ ; -- Begin function _ZN7rocprim17ROCPRIM_400000_NS6detail17trampoline_kernelINS0_14default_configENS1_27scan_by_key_config_selectorIiiEEZZNS1_16scan_by_key_implILNS1_25lookback_scan_determinismE0ELb1ES3_N6thrust23THRUST_200600_302600_NS6detail15normal_iteratorINS9_10device_ptrIiEEEESE_SE_iNS9_10multipliesIiEENS9_8equal_toIiEEiEE10hipError_tPvRmT2_T3_T4_T5_mT6_T7_P12ihipStream_tbENKUlT_T0_E_clISt17integral_constantIbLb1EESZ_EEDaSU_SV_EUlSU_E_NS1_11comp_targetILNS1_3genE8ELNS1_11target_archE1030ELNS1_3gpuE2ELNS1_3repE0EEENS1_30default_config_static_selectorELNS0_4arch9wavefront6targetE0EEEvT1_
	.globl	_ZN7rocprim17ROCPRIM_400000_NS6detail17trampoline_kernelINS0_14default_configENS1_27scan_by_key_config_selectorIiiEEZZNS1_16scan_by_key_implILNS1_25lookback_scan_determinismE0ELb1ES3_N6thrust23THRUST_200600_302600_NS6detail15normal_iteratorINS9_10device_ptrIiEEEESE_SE_iNS9_10multipliesIiEENS9_8equal_toIiEEiEE10hipError_tPvRmT2_T3_T4_T5_mT6_T7_P12ihipStream_tbENKUlT_T0_E_clISt17integral_constantIbLb1EESZ_EEDaSU_SV_EUlSU_E_NS1_11comp_targetILNS1_3genE8ELNS1_11target_archE1030ELNS1_3gpuE2ELNS1_3repE0EEENS1_30default_config_static_selectorELNS0_4arch9wavefront6targetE0EEEvT1_
	.p2align	8
	.type	_ZN7rocprim17ROCPRIM_400000_NS6detail17trampoline_kernelINS0_14default_configENS1_27scan_by_key_config_selectorIiiEEZZNS1_16scan_by_key_implILNS1_25lookback_scan_determinismE0ELb1ES3_N6thrust23THRUST_200600_302600_NS6detail15normal_iteratorINS9_10device_ptrIiEEEESE_SE_iNS9_10multipliesIiEENS9_8equal_toIiEEiEE10hipError_tPvRmT2_T3_T4_T5_mT6_T7_P12ihipStream_tbENKUlT_T0_E_clISt17integral_constantIbLb1EESZ_EEDaSU_SV_EUlSU_E_NS1_11comp_targetILNS1_3genE8ELNS1_11target_archE1030ELNS1_3gpuE2ELNS1_3repE0EEENS1_30default_config_static_selectorELNS0_4arch9wavefront6targetE0EEEvT1_,@function
_ZN7rocprim17ROCPRIM_400000_NS6detail17trampoline_kernelINS0_14default_configENS1_27scan_by_key_config_selectorIiiEEZZNS1_16scan_by_key_implILNS1_25lookback_scan_determinismE0ELb1ES3_N6thrust23THRUST_200600_302600_NS6detail15normal_iteratorINS9_10device_ptrIiEEEESE_SE_iNS9_10multipliesIiEENS9_8equal_toIiEEiEE10hipError_tPvRmT2_T3_T4_T5_mT6_T7_P12ihipStream_tbENKUlT_T0_E_clISt17integral_constantIbLb1EESZ_EEDaSU_SV_EUlSU_E_NS1_11comp_targetILNS1_3genE8ELNS1_11target_archE1030ELNS1_3gpuE2ELNS1_3repE0EEENS1_30default_config_static_selectorELNS0_4arch9wavefront6targetE0EEEvT1_: ; @_ZN7rocprim17ROCPRIM_400000_NS6detail17trampoline_kernelINS0_14default_configENS1_27scan_by_key_config_selectorIiiEEZZNS1_16scan_by_key_implILNS1_25lookback_scan_determinismE0ELb1ES3_N6thrust23THRUST_200600_302600_NS6detail15normal_iteratorINS9_10device_ptrIiEEEESE_SE_iNS9_10multipliesIiEENS9_8equal_toIiEEiEE10hipError_tPvRmT2_T3_T4_T5_mT6_T7_P12ihipStream_tbENKUlT_T0_E_clISt17integral_constantIbLb1EESZ_EEDaSU_SV_EUlSU_E_NS1_11comp_targetILNS1_3genE8ELNS1_11target_archE1030ELNS1_3gpuE2ELNS1_3repE0EEENS1_30default_config_static_selectorELNS0_4arch9wavefront6targetE0EEEvT1_
; %bb.0:
	.section	.rodata,"a",@progbits
	.p2align	6, 0x0
	.amdhsa_kernel _ZN7rocprim17ROCPRIM_400000_NS6detail17trampoline_kernelINS0_14default_configENS1_27scan_by_key_config_selectorIiiEEZZNS1_16scan_by_key_implILNS1_25lookback_scan_determinismE0ELb1ES3_N6thrust23THRUST_200600_302600_NS6detail15normal_iteratorINS9_10device_ptrIiEEEESE_SE_iNS9_10multipliesIiEENS9_8equal_toIiEEiEE10hipError_tPvRmT2_T3_T4_T5_mT6_T7_P12ihipStream_tbENKUlT_T0_E_clISt17integral_constantIbLb1EESZ_EEDaSU_SV_EUlSU_E_NS1_11comp_targetILNS1_3genE8ELNS1_11target_archE1030ELNS1_3gpuE2ELNS1_3repE0EEENS1_30default_config_static_selectorELNS0_4arch9wavefront6targetE0EEEvT1_
		.amdhsa_group_segment_fixed_size 0
		.amdhsa_private_segment_fixed_size 0
		.amdhsa_kernarg_size 112
		.amdhsa_user_sgpr_count 2
		.amdhsa_user_sgpr_dispatch_ptr 0
		.amdhsa_user_sgpr_queue_ptr 0
		.amdhsa_user_sgpr_kernarg_segment_ptr 1
		.amdhsa_user_sgpr_dispatch_id 0
		.amdhsa_user_sgpr_kernarg_preload_length 0
		.amdhsa_user_sgpr_kernarg_preload_offset 0
		.amdhsa_user_sgpr_private_segment_size 0
		.amdhsa_wavefront_size32 1
		.amdhsa_uses_dynamic_stack 0
		.amdhsa_enable_private_segment 0
		.amdhsa_system_sgpr_workgroup_id_x 1
		.amdhsa_system_sgpr_workgroup_id_y 0
		.amdhsa_system_sgpr_workgroup_id_z 0
		.amdhsa_system_sgpr_workgroup_info 0
		.amdhsa_system_vgpr_workitem_id 0
		.amdhsa_next_free_vgpr 1
		.amdhsa_next_free_sgpr 1
		.amdhsa_named_barrier_count 0
		.amdhsa_reserve_vcc 0
		.amdhsa_float_round_mode_32 0
		.amdhsa_float_round_mode_16_64 0
		.amdhsa_float_denorm_mode_32 3
		.amdhsa_float_denorm_mode_16_64 3
		.amdhsa_fp16_overflow 0
		.amdhsa_memory_ordered 1
		.amdhsa_forward_progress 1
		.amdhsa_inst_pref_size 0
		.amdhsa_round_robin_scheduling 0
		.amdhsa_exception_fp_ieee_invalid_op 0
		.amdhsa_exception_fp_denorm_src 0
		.amdhsa_exception_fp_ieee_div_zero 0
		.amdhsa_exception_fp_ieee_overflow 0
		.amdhsa_exception_fp_ieee_underflow 0
		.amdhsa_exception_fp_ieee_inexact 0
		.amdhsa_exception_int_div_zero 0
	.end_amdhsa_kernel
	.section	.text._ZN7rocprim17ROCPRIM_400000_NS6detail17trampoline_kernelINS0_14default_configENS1_27scan_by_key_config_selectorIiiEEZZNS1_16scan_by_key_implILNS1_25lookback_scan_determinismE0ELb1ES3_N6thrust23THRUST_200600_302600_NS6detail15normal_iteratorINS9_10device_ptrIiEEEESE_SE_iNS9_10multipliesIiEENS9_8equal_toIiEEiEE10hipError_tPvRmT2_T3_T4_T5_mT6_T7_P12ihipStream_tbENKUlT_T0_E_clISt17integral_constantIbLb1EESZ_EEDaSU_SV_EUlSU_E_NS1_11comp_targetILNS1_3genE8ELNS1_11target_archE1030ELNS1_3gpuE2ELNS1_3repE0EEENS1_30default_config_static_selectorELNS0_4arch9wavefront6targetE0EEEvT1_,"axG",@progbits,_ZN7rocprim17ROCPRIM_400000_NS6detail17trampoline_kernelINS0_14default_configENS1_27scan_by_key_config_selectorIiiEEZZNS1_16scan_by_key_implILNS1_25lookback_scan_determinismE0ELb1ES3_N6thrust23THRUST_200600_302600_NS6detail15normal_iteratorINS9_10device_ptrIiEEEESE_SE_iNS9_10multipliesIiEENS9_8equal_toIiEEiEE10hipError_tPvRmT2_T3_T4_T5_mT6_T7_P12ihipStream_tbENKUlT_T0_E_clISt17integral_constantIbLb1EESZ_EEDaSU_SV_EUlSU_E_NS1_11comp_targetILNS1_3genE8ELNS1_11target_archE1030ELNS1_3gpuE2ELNS1_3repE0EEENS1_30default_config_static_selectorELNS0_4arch9wavefront6targetE0EEEvT1_,comdat
.Lfunc_end514:
	.size	_ZN7rocprim17ROCPRIM_400000_NS6detail17trampoline_kernelINS0_14default_configENS1_27scan_by_key_config_selectorIiiEEZZNS1_16scan_by_key_implILNS1_25lookback_scan_determinismE0ELb1ES3_N6thrust23THRUST_200600_302600_NS6detail15normal_iteratorINS9_10device_ptrIiEEEESE_SE_iNS9_10multipliesIiEENS9_8equal_toIiEEiEE10hipError_tPvRmT2_T3_T4_T5_mT6_T7_P12ihipStream_tbENKUlT_T0_E_clISt17integral_constantIbLb1EESZ_EEDaSU_SV_EUlSU_E_NS1_11comp_targetILNS1_3genE8ELNS1_11target_archE1030ELNS1_3gpuE2ELNS1_3repE0EEENS1_30default_config_static_selectorELNS0_4arch9wavefront6targetE0EEEvT1_, .Lfunc_end514-_ZN7rocprim17ROCPRIM_400000_NS6detail17trampoline_kernelINS0_14default_configENS1_27scan_by_key_config_selectorIiiEEZZNS1_16scan_by_key_implILNS1_25lookback_scan_determinismE0ELb1ES3_N6thrust23THRUST_200600_302600_NS6detail15normal_iteratorINS9_10device_ptrIiEEEESE_SE_iNS9_10multipliesIiEENS9_8equal_toIiEEiEE10hipError_tPvRmT2_T3_T4_T5_mT6_T7_P12ihipStream_tbENKUlT_T0_E_clISt17integral_constantIbLb1EESZ_EEDaSU_SV_EUlSU_E_NS1_11comp_targetILNS1_3genE8ELNS1_11target_archE1030ELNS1_3gpuE2ELNS1_3repE0EEENS1_30default_config_static_selectorELNS0_4arch9wavefront6targetE0EEEvT1_
                                        ; -- End function
	.set _ZN7rocprim17ROCPRIM_400000_NS6detail17trampoline_kernelINS0_14default_configENS1_27scan_by_key_config_selectorIiiEEZZNS1_16scan_by_key_implILNS1_25lookback_scan_determinismE0ELb1ES3_N6thrust23THRUST_200600_302600_NS6detail15normal_iteratorINS9_10device_ptrIiEEEESE_SE_iNS9_10multipliesIiEENS9_8equal_toIiEEiEE10hipError_tPvRmT2_T3_T4_T5_mT6_T7_P12ihipStream_tbENKUlT_T0_E_clISt17integral_constantIbLb1EESZ_EEDaSU_SV_EUlSU_E_NS1_11comp_targetILNS1_3genE8ELNS1_11target_archE1030ELNS1_3gpuE2ELNS1_3repE0EEENS1_30default_config_static_selectorELNS0_4arch9wavefront6targetE0EEEvT1_.num_vgpr, 0
	.set _ZN7rocprim17ROCPRIM_400000_NS6detail17trampoline_kernelINS0_14default_configENS1_27scan_by_key_config_selectorIiiEEZZNS1_16scan_by_key_implILNS1_25lookback_scan_determinismE0ELb1ES3_N6thrust23THRUST_200600_302600_NS6detail15normal_iteratorINS9_10device_ptrIiEEEESE_SE_iNS9_10multipliesIiEENS9_8equal_toIiEEiEE10hipError_tPvRmT2_T3_T4_T5_mT6_T7_P12ihipStream_tbENKUlT_T0_E_clISt17integral_constantIbLb1EESZ_EEDaSU_SV_EUlSU_E_NS1_11comp_targetILNS1_3genE8ELNS1_11target_archE1030ELNS1_3gpuE2ELNS1_3repE0EEENS1_30default_config_static_selectorELNS0_4arch9wavefront6targetE0EEEvT1_.num_agpr, 0
	.set _ZN7rocprim17ROCPRIM_400000_NS6detail17trampoline_kernelINS0_14default_configENS1_27scan_by_key_config_selectorIiiEEZZNS1_16scan_by_key_implILNS1_25lookback_scan_determinismE0ELb1ES3_N6thrust23THRUST_200600_302600_NS6detail15normal_iteratorINS9_10device_ptrIiEEEESE_SE_iNS9_10multipliesIiEENS9_8equal_toIiEEiEE10hipError_tPvRmT2_T3_T4_T5_mT6_T7_P12ihipStream_tbENKUlT_T0_E_clISt17integral_constantIbLb1EESZ_EEDaSU_SV_EUlSU_E_NS1_11comp_targetILNS1_3genE8ELNS1_11target_archE1030ELNS1_3gpuE2ELNS1_3repE0EEENS1_30default_config_static_selectorELNS0_4arch9wavefront6targetE0EEEvT1_.numbered_sgpr, 0
	.set _ZN7rocprim17ROCPRIM_400000_NS6detail17trampoline_kernelINS0_14default_configENS1_27scan_by_key_config_selectorIiiEEZZNS1_16scan_by_key_implILNS1_25lookback_scan_determinismE0ELb1ES3_N6thrust23THRUST_200600_302600_NS6detail15normal_iteratorINS9_10device_ptrIiEEEESE_SE_iNS9_10multipliesIiEENS9_8equal_toIiEEiEE10hipError_tPvRmT2_T3_T4_T5_mT6_T7_P12ihipStream_tbENKUlT_T0_E_clISt17integral_constantIbLb1EESZ_EEDaSU_SV_EUlSU_E_NS1_11comp_targetILNS1_3genE8ELNS1_11target_archE1030ELNS1_3gpuE2ELNS1_3repE0EEENS1_30default_config_static_selectorELNS0_4arch9wavefront6targetE0EEEvT1_.num_named_barrier, 0
	.set _ZN7rocprim17ROCPRIM_400000_NS6detail17trampoline_kernelINS0_14default_configENS1_27scan_by_key_config_selectorIiiEEZZNS1_16scan_by_key_implILNS1_25lookback_scan_determinismE0ELb1ES3_N6thrust23THRUST_200600_302600_NS6detail15normal_iteratorINS9_10device_ptrIiEEEESE_SE_iNS9_10multipliesIiEENS9_8equal_toIiEEiEE10hipError_tPvRmT2_T3_T4_T5_mT6_T7_P12ihipStream_tbENKUlT_T0_E_clISt17integral_constantIbLb1EESZ_EEDaSU_SV_EUlSU_E_NS1_11comp_targetILNS1_3genE8ELNS1_11target_archE1030ELNS1_3gpuE2ELNS1_3repE0EEENS1_30default_config_static_selectorELNS0_4arch9wavefront6targetE0EEEvT1_.private_seg_size, 0
	.set _ZN7rocprim17ROCPRIM_400000_NS6detail17trampoline_kernelINS0_14default_configENS1_27scan_by_key_config_selectorIiiEEZZNS1_16scan_by_key_implILNS1_25lookback_scan_determinismE0ELb1ES3_N6thrust23THRUST_200600_302600_NS6detail15normal_iteratorINS9_10device_ptrIiEEEESE_SE_iNS9_10multipliesIiEENS9_8equal_toIiEEiEE10hipError_tPvRmT2_T3_T4_T5_mT6_T7_P12ihipStream_tbENKUlT_T0_E_clISt17integral_constantIbLb1EESZ_EEDaSU_SV_EUlSU_E_NS1_11comp_targetILNS1_3genE8ELNS1_11target_archE1030ELNS1_3gpuE2ELNS1_3repE0EEENS1_30default_config_static_selectorELNS0_4arch9wavefront6targetE0EEEvT1_.uses_vcc, 0
	.set _ZN7rocprim17ROCPRIM_400000_NS6detail17trampoline_kernelINS0_14default_configENS1_27scan_by_key_config_selectorIiiEEZZNS1_16scan_by_key_implILNS1_25lookback_scan_determinismE0ELb1ES3_N6thrust23THRUST_200600_302600_NS6detail15normal_iteratorINS9_10device_ptrIiEEEESE_SE_iNS9_10multipliesIiEENS9_8equal_toIiEEiEE10hipError_tPvRmT2_T3_T4_T5_mT6_T7_P12ihipStream_tbENKUlT_T0_E_clISt17integral_constantIbLb1EESZ_EEDaSU_SV_EUlSU_E_NS1_11comp_targetILNS1_3genE8ELNS1_11target_archE1030ELNS1_3gpuE2ELNS1_3repE0EEENS1_30default_config_static_selectorELNS0_4arch9wavefront6targetE0EEEvT1_.uses_flat_scratch, 0
	.set _ZN7rocprim17ROCPRIM_400000_NS6detail17trampoline_kernelINS0_14default_configENS1_27scan_by_key_config_selectorIiiEEZZNS1_16scan_by_key_implILNS1_25lookback_scan_determinismE0ELb1ES3_N6thrust23THRUST_200600_302600_NS6detail15normal_iteratorINS9_10device_ptrIiEEEESE_SE_iNS9_10multipliesIiEENS9_8equal_toIiEEiEE10hipError_tPvRmT2_T3_T4_T5_mT6_T7_P12ihipStream_tbENKUlT_T0_E_clISt17integral_constantIbLb1EESZ_EEDaSU_SV_EUlSU_E_NS1_11comp_targetILNS1_3genE8ELNS1_11target_archE1030ELNS1_3gpuE2ELNS1_3repE0EEENS1_30default_config_static_selectorELNS0_4arch9wavefront6targetE0EEEvT1_.has_dyn_sized_stack, 0
	.set _ZN7rocprim17ROCPRIM_400000_NS6detail17trampoline_kernelINS0_14default_configENS1_27scan_by_key_config_selectorIiiEEZZNS1_16scan_by_key_implILNS1_25lookback_scan_determinismE0ELb1ES3_N6thrust23THRUST_200600_302600_NS6detail15normal_iteratorINS9_10device_ptrIiEEEESE_SE_iNS9_10multipliesIiEENS9_8equal_toIiEEiEE10hipError_tPvRmT2_T3_T4_T5_mT6_T7_P12ihipStream_tbENKUlT_T0_E_clISt17integral_constantIbLb1EESZ_EEDaSU_SV_EUlSU_E_NS1_11comp_targetILNS1_3genE8ELNS1_11target_archE1030ELNS1_3gpuE2ELNS1_3repE0EEENS1_30default_config_static_selectorELNS0_4arch9wavefront6targetE0EEEvT1_.has_recursion, 0
	.set _ZN7rocprim17ROCPRIM_400000_NS6detail17trampoline_kernelINS0_14default_configENS1_27scan_by_key_config_selectorIiiEEZZNS1_16scan_by_key_implILNS1_25lookback_scan_determinismE0ELb1ES3_N6thrust23THRUST_200600_302600_NS6detail15normal_iteratorINS9_10device_ptrIiEEEESE_SE_iNS9_10multipliesIiEENS9_8equal_toIiEEiEE10hipError_tPvRmT2_T3_T4_T5_mT6_T7_P12ihipStream_tbENKUlT_T0_E_clISt17integral_constantIbLb1EESZ_EEDaSU_SV_EUlSU_E_NS1_11comp_targetILNS1_3genE8ELNS1_11target_archE1030ELNS1_3gpuE2ELNS1_3repE0EEENS1_30default_config_static_selectorELNS0_4arch9wavefront6targetE0EEEvT1_.has_indirect_call, 0
	.section	.AMDGPU.csdata,"",@progbits
; Kernel info:
; codeLenInByte = 0
; TotalNumSgprs: 0
; NumVgprs: 0
; ScratchSize: 0
; MemoryBound: 0
; FloatMode: 240
; IeeeMode: 1
; LDSByteSize: 0 bytes/workgroup (compile time only)
; SGPRBlocks: 0
; VGPRBlocks: 0
; NumSGPRsForWavesPerEU: 1
; NumVGPRsForWavesPerEU: 1
; NamedBarCnt: 0
; Occupancy: 16
; WaveLimiterHint : 0
; COMPUTE_PGM_RSRC2:SCRATCH_EN: 0
; COMPUTE_PGM_RSRC2:USER_SGPR: 2
; COMPUTE_PGM_RSRC2:TRAP_HANDLER: 0
; COMPUTE_PGM_RSRC2:TGID_X_EN: 1
; COMPUTE_PGM_RSRC2:TGID_Y_EN: 0
; COMPUTE_PGM_RSRC2:TGID_Z_EN: 0
; COMPUTE_PGM_RSRC2:TIDIG_COMP_CNT: 0
	.section	.text._ZN7rocprim17ROCPRIM_400000_NS6detail17trampoline_kernelINS0_14default_configENS1_27scan_by_key_config_selectorIiiEEZZNS1_16scan_by_key_implILNS1_25lookback_scan_determinismE0ELb1ES3_N6thrust23THRUST_200600_302600_NS6detail15normal_iteratorINS9_10device_ptrIiEEEESE_SE_iNS9_10multipliesIiEENS9_8equal_toIiEEiEE10hipError_tPvRmT2_T3_T4_T5_mT6_T7_P12ihipStream_tbENKUlT_T0_E_clISt17integral_constantIbLb1EESY_IbLb0EEEEDaSU_SV_EUlSU_E_NS1_11comp_targetILNS1_3genE0ELNS1_11target_archE4294967295ELNS1_3gpuE0ELNS1_3repE0EEENS1_30default_config_static_selectorELNS0_4arch9wavefront6targetE0EEEvT1_,"axG",@progbits,_ZN7rocprim17ROCPRIM_400000_NS6detail17trampoline_kernelINS0_14default_configENS1_27scan_by_key_config_selectorIiiEEZZNS1_16scan_by_key_implILNS1_25lookback_scan_determinismE0ELb1ES3_N6thrust23THRUST_200600_302600_NS6detail15normal_iteratorINS9_10device_ptrIiEEEESE_SE_iNS9_10multipliesIiEENS9_8equal_toIiEEiEE10hipError_tPvRmT2_T3_T4_T5_mT6_T7_P12ihipStream_tbENKUlT_T0_E_clISt17integral_constantIbLb1EESY_IbLb0EEEEDaSU_SV_EUlSU_E_NS1_11comp_targetILNS1_3genE0ELNS1_11target_archE4294967295ELNS1_3gpuE0ELNS1_3repE0EEENS1_30default_config_static_selectorELNS0_4arch9wavefront6targetE0EEEvT1_,comdat
	.protected	_ZN7rocprim17ROCPRIM_400000_NS6detail17trampoline_kernelINS0_14default_configENS1_27scan_by_key_config_selectorIiiEEZZNS1_16scan_by_key_implILNS1_25lookback_scan_determinismE0ELb1ES3_N6thrust23THRUST_200600_302600_NS6detail15normal_iteratorINS9_10device_ptrIiEEEESE_SE_iNS9_10multipliesIiEENS9_8equal_toIiEEiEE10hipError_tPvRmT2_T3_T4_T5_mT6_T7_P12ihipStream_tbENKUlT_T0_E_clISt17integral_constantIbLb1EESY_IbLb0EEEEDaSU_SV_EUlSU_E_NS1_11comp_targetILNS1_3genE0ELNS1_11target_archE4294967295ELNS1_3gpuE0ELNS1_3repE0EEENS1_30default_config_static_selectorELNS0_4arch9wavefront6targetE0EEEvT1_ ; -- Begin function _ZN7rocprim17ROCPRIM_400000_NS6detail17trampoline_kernelINS0_14default_configENS1_27scan_by_key_config_selectorIiiEEZZNS1_16scan_by_key_implILNS1_25lookback_scan_determinismE0ELb1ES3_N6thrust23THRUST_200600_302600_NS6detail15normal_iteratorINS9_10device_ptrIiEEEESE_SE_iNS9_10multipliesIiEENS9_8equal_toIiEEiEE10hipError_tPvRmT2_T3_T4_T5_mT6_T7_P12ihipStream_tbENKUlT_T0_E_clISt17integral_constantIbLb1EESY_IbLb0EEEEDaSU_SV_EUlSU_E_NS1_11comp_targetILNS1_3genE0ELNS1_11target_archE4294967295ELNS1_3gpuE0ELNS1_3repE0EEENS1_30default_config_static_selectorELNS0_4arch9wavefront6targetE0EEEvT1_
	.globl	_ZN7rocprim17ROCPRIM_400000_NS6detail17trampoline_kernelINS0_14default_configENS1_27scan_by_key_config_selectorIiiEEZZNS1_16scan_by_key_implILNS1_25lookback_scan_determinismE0ELb1ES3_N6thrust23THRUST_200600_302600_NS6detail15normal_iteratorINS9_10device_ptrIiEEEESE_SE_iNS9_10multipliesIiEENS9_8equal_toIiEEiEE10hipError_tPvRmT2_T3_T4_T5_mT6_T7_P12ihipStream_tbENKUlT_T0_E_clISt17integral_constantIbLb1EESY_IbLb0EEEEDaSU_SV_EUlSU_E_NS1_11comp_targetILNS1_3genE0ELNS1_11target_archE4294967295ELNS1_3gpuE0ELNS1_3repE0EEENS1_30default_config_static_selectorELNS0_4arch9wavefront6targetE0EEEvT1_
	.p2align	8
	.type	_ZN7rocprim17ROCPRIM_400000_NS6detail17trampoline_kernelINS0_14default_configENS1_27scan_by_key_config_selectorIiiEEZZNS1_16scan_by_key_implILNS1_25lookback_scan_determinismE0ELb1ES3_N6thrust23THRUST_200600_302600_NS6detail15normal_iteratorINS9_10device_ptrIiEEEESE_SE_iNS9_10multipliesIiEENS9_8equal_toIiEEiEE10hipError_tPvRmT2_T3_T4_T5_mT6_T7_P12ihipStream_tbENKUlT_T0_E_clISt17integral_constantIbLb1EESY_IbLb0EEEEDaSU_SV_EUlSU_E_NS1_11comp_targetILNS1_3genE0ELNS1_11target_archE4294967295ELNS1_3gpuE0ELNS1_3repE0EEENS1_30default_config_static_selectorELNS0_4arch9wavefront6targetE0EEEvT1_,@function
_ZN7rocprim17ROCPRIM_400000_NS6detail17trampoline_kernelINS0_14default_configENS1_27scan_by_key_config_selectorIiiEEZZNS1_16scan_by_key_implILNS1_25lookback_scan_determinismE0ELb1ES3_N6thrust23THRUST_200600_302600_NS6detail15normal_iteratorINS9_10device_ptrIiEEEESE_SE_iNS9_10multipliesIiEENS9_8equal_toIiEEiEE10hipError_tPvRmT2_T3_T4_T5_mT6_T7_P12ihipStream_tbENKUlT_T0_E_clISt17integral_constantIbLb1EESY_IbLb0EEEEDaSU_SV_EUlSU_E_NS1_11comp_targetILNS1_3genE0ELNS1_11target_archE4294967295ELNS1_3gpuE0ELNS1_3repE0EEENS1_30default_config_static_selectorELNS0_4arch9wavefront6targetE0EEEvT1_: ; @_ZN7rocprim17ROCPRIM_400000_NS6detail17trampoline_kernelINS0_14default_configENS1_27scan_by_key_config_selectorIiiEEZZNS1_16scan_by_key_implILNS1_25lookback_scan_determinismE0ELb1ES3_N6thrust23THRUST_200600_302600_NS6detail15normal_iteratorINS9_10device_ptrIiEEEESE_SE_iNS9_10multipliesIiEENS9_8equal_toIiEEiEE10hipError_tPvRmT2_T3_T4_T5_mT6_T7_P12ihipStream_tbENKUlT_T0_E_clISt17integral_constantIbLb1EESY_IbLb0EEEEDaSU_SV_EUlSU_E_NS1_11comp_targetILNS1_3genE0ELNS1_11target_archE4294967295ELNS1_3gpuE0ELNS1_3repE0EEENS1_30default_config_static_selectorELNS0_4arch9wavefront6targetE0EEEvT1_
; %bb.0:
	s_endpgm
	.section	.rodata,"a",@progbits
	.p2align	6, 0x0
	.amdhsa_kernel _ZN7rocprim17ROCPRIM_400000_NS6detail17trampoline_kernelINS0_14default_configENS1_27scan_by_key_config_selectorIiiEEZZNS1_16scan_by_key_implILNS1_25lookback_scan_determinismE0ELb1ES3_N6thrust23THRUST_200600_302600_NS6detail15normal_iteratorINS9_10device_ptrIiEEEESE_SE_iNS9_10multipliesIiEENS9_8equal_toIiEEiEE10hipError_tPvRmT2_T3_T4_T5_mT6_T7_P12ihipStream_tbENKUlT_T0_E_clISt17integral_constantIbLb1EESY_IbLb0EEEEDaSU_SV_EUlSU_E_NS1_11comp_targetILNS1_3genE0ELNS1_11target_archE4294967295ELNS1_3gpuE0ELNS1_3repE0EEENS1_30default_config_static_selectorELNS0_4arch9wavefront6targetE0EEEvT1_
		.amdhsa_group_segment_fixed_size 0
		.amdhsa_private_segment_fixed_size 0
		.amdhsa_kernarg_size 112
		.amdhsa_user_sgpr_count 2
		.amdhsa_user_sgpr_dispatch_ptr 0
		.amdhsa_user_sgpr_queue_ptr 0
		.amdhsa_user_sgpr_kernarg_segment_ptr 1
		.amdhsa_user_sgpr_dispatch_id 0
		.amdhsa_user_sgpr_kernarg_preload_length 0
		.amdhsa_user_sgpr_kernarg_preload_offset 0
		.amdhsa_user_sgpr_private_segment_size 0
		.amdhsa_wavefront_size32 1
		.amdhsa_uses_dynamic_stack 0
		.amdhsa_enable_private_segment 0
		.amdhsa_system_sgpr_workgroup_id_x 1
		.amdhsa_system_sgpr_workgroup_id_y 0
		.amdhsa_system_sgpr_workgroup_id_z 0
		.amdhsa_system_sgpr_workgroup_info 0
		.amdhsa_system_vgpr_workitem_id 0
		.amdhsa_next_free_vgpr 1
		.amdhsa_next_free_sgpr 1
		.amdhsa_named_barrier_count 0
		.amdhsa_reserve_vcc 0
		.amdhsa_float_round_mode_32 0
		.amdhsa_float_round_mode_16_64 0
		.amdhsa_float_denorm_mode_32 3
		.amdhsa_float_denorm_mode_16_64 3
		.amdhsa_fp16_overflow 0
		.amdhsa_memory_ordered 1
		.amdhsa_forward_progress 1
		.amdhsa_inst_pref_size 1
		.amdhsa_round_robin_scheduling 0
		.amdhsa_exception_fp_ieee_invalid_op 0
		.amdhsa_exception_fp_denorm_src 0
		.amdhsa_exception_fp_ieee_div_zero 0
		.amdhsa_exception_fp_ieee_overflow 0
		.amdhsa_exception_fp_ieee_underflow 0
		.amdhsa_exception_fp_ieee_inexact 0
		.amdhsa_exception_int_div_zero 0
	.end_amdhsa_kernel
	.section	.text._ZN7rocprim17ROCPRIM_400000_NS6detail17trampoline_kernelINS0_14default_configENS1_27scan_by_key_config_selectorIiiEEZZNS1_16scan_by_key_implILNS1_25lookback_scan_determinismE0ELb1ES3_N6thrust23THRUST_200600_302600_NS6detail15normal_iteratorINS9_10device_ptrIiEEEESE_SE_iNS9_10multipliesIiEENS9_8equal_toIiEEiEE10hipError_tPvRmT2_T3_T4_T5_mT6_T7_P12ihipStream_tbENKUlT_T0_E_clISt17integral_constantIbLb1EESY_IbLb0EEEEDaSU_SV_EUlSU_E_NS1_11comp_targetILNS1_3genE0ELNS1_11target_archE4294967295ELNS1_3gpuE0ELNS1_3repE0EEENS1_30default_config_static_selectorELNS0_4arch9wavefront6targetE0EEEvT1_,"axG",@progbits,_ZN7rocprim17ROCPRIM_400000_NS6detail17trampoline_kernelINS0_14default_configENS1_27scan_by_key_config_selectorIiiEEZZNS1_16scan_by_key_implILNS1_25lookback_scan_determinismE0ELb1ES3_N6thrust23THRUST_200600_302600_NS6detail15normal_iteratorINS9_10device_ptrIiEEEESE_SE_iNS9_10multipliesIiEENS9_8equal_toIiEEiEE10hipError_tPvRmT2_T3_T4_T5_mT6_T7_P12ihipStream_tbENKUlT_T0_E_clISt17integral_constantIbLb1EESY_IbLb0EEEEDaSU_SV_EUlSU_E_NS1_11comp_targetILNS1_3genE0ELNS1_11target_archE4294967295ELNS1_3gpuE0ELNS1_3repE0EEENS1_30default_config_static_selectorELNS0_4arch9wavefront6targetE0EEEvT1_,comdat
.Lfunc_end515:
	.size	_ZN7rocprim17ROCPRIM_400000_NS6detail17trampoline_kernelINS0_14default_configENS1_27scan_by_key_config_selectorIiiEEZZNS1_16scan_by_key_implILNS1_25lookback_scan_determinismE0ELb1ES3_N6thrust23THRUST_200600_302600_NS6detail15normal_iteratorINS9_10device_ptrIiEEEESE_SE_iNS9_10multipliesIiEENS9_8equal_toIiEEiEE10hipError_tPvRmT2_T3_T4_T5_mT6_T7_P12ihipStream_tbENKUlT_T0_E_clISt17integral_constantIbLb1EESY_IbLb0EEEEDaSU_SV_EUlSU_E_NS1_11comp_targetILNS1_3genE0ELNS1_11target_archE4294967295ELNS1_3gpuE0ELNS1_3repE0EEENS1_30default_config_static_selectorELNS0_4arch9wavefront6targetE0EEEvT1_, .Lfunc_end515-_ZN7rocprim17ROCPRIM_400000_NS6detail17trampoline_kernelINS0_14default_configENS1_27scan_by_key_config_selectorIiiEEZZNS1_16scan_by_key_implILNS1_25lookback_scan_determinismE0ELb1ES3_N6thrust23THRUST_200600_302600_NS6detail15normal_iteratorINS9_10device_ptrIiEEEESE_SE_iNS9_10multipliesIiEENS9_8equal_toIiEEiEE10hipError_tPvRmT2_T3_T4_T5_mT6_T7_P12ihipStream_tbENKUlT_T0_E_clISt17integral_constantIbLb1EESY_IbLb0EEEEDaSU_SV_EUlSU_E_NS1_11comp_targetILNS1_3genE0ELNS1_11target_archE4294967295ELNS1_3gpuE0ELNS1_3repE0EEENS1_30default_config_static_selectorELNS0_4arch9wavefront6targetE0EEEvT1_
                                        ; -- End function
	.set _ZN7rocprim17ROCPRIM_400000_NS6detail17trampoline_kernelINS0_14default_configENS1_27scan_by_key_config_selectorIiiEEZZNS1_16scan_by_key_implILNS1_25lookback_scan_determinismE0ELb1ES3_N6thrust23THRUST_200600_302600_NS6detail15normal_iteratorINS9_10device_ptrIiEEEESE_SE_iNS9_10multipliesIiEENS9_8equal_toIiEEiEE10hipError_tPvRmT2_T3_T4_T5_mT6_T7_P12ihipStream_tbENKUlT_T0_E_clISt17integral_constantIbLb1EESY_IbLb0EEEEDaSU_SV_EUlSU_E_NS1_11comp_targetILNS1_3genE0ELNS1_11target_archE4294967295ELNS1_3gpuE0ELNS1_3repE0EEENS1_30default_config_static_selectorELNS0_4arch9wavefront6targetE0EEEvT1_.num_vgpr, 0
	.set _ZN7rocprim17ROCPRIM_400000_NS6detail17trampoline_kernelINS0_14default_configENS1_27scan_by_key_config_selectorIiiEEZZNS1_16scan_by_key_implILNS1_25lookback_scan_determinismE0ELb1ES3_N6thrust23THRUST_200600_302600_NS6detail15normal_iteratorINS9_10device_ptrIiEEEESE_SE_iNS9_10multipliesIiEENS9_8equal_toIiEEiEE10hipError_tPvRmT2_T3_T4_T5_mT6_T7_P12ihipStream_tbENKUlT_T0_E_clISt17integral_constantIbLb1EESY_IbLb0EEEEDaSU_SV_EUlSU_E_NS1_11comp_targetILNS1_3genE0ELNS1_11target_archE4294967295ELNS1_3gpuE0ELNS1_3repE0EEENS1_30default_config_static_selectorELNS0_4arch9wavefront6targetE0EEEvT1_.num_agpr, 0
	.set _ZN7rocprim17ROCPRIM_400000_NS6detail17trampoline_kernelINS0_14default_configENS1_27scan_by_key_config_selectorIiiEEZZNS1_16scan_by_key_implILNS1_25lookback_scan_determinismE0ELb1ES3_N6thrust23THRUST_200600_302600_NS6detail15normal_iteratorINS9_10device_ptrIiEEEESE_SE_iNS9_10multipliesIiEENS9_8equal_toIiEEiEE10hipError_tPvRmT2_T3_T4_T5_mT6_T7_P12ihipStream_tbENKUlT_T0_E_clISt17integral_constantIbLb1EESY_IbLb0EEEEDaSU_SV_EUlSU_E_NS1_11comp_targetILNS1_3genE0ELNS1_11target_archE4294967295ELNS1_3gpuE0ELNS1_3repE0EEENS1_30default_config_static_selectorELNS0_4arch9wavefront6targetE0EEEvT1_.numbered_sgpr, 0
	.set _ZN7rocprim17ROCPRIM_400000_NS6detail17trampoline_kernelINS0_14default_configENS1_27scan_by_key_config_selectorIiiEEZZNS1_16scan_by_key_implILNS1_25lookback_scan_determinismE0ELb1ES3_N6thrust23THRUST_200600_302600_NS6detail15normal_iteratorINS9_10device_ptrIiEEEESE_SE_iNS9_10multipliesIiEENS9_8equal_toIiEEiEE10hipError_tPvRmT2_T3_T4_T5_mT6_T7_P12ihipStream_tbENKUlT_T0_E_clISt17integral_constantIbLb1EESY_IbLb0EEEEDaSU_SV_EUlSU_E_NS1_11comp_targetILNS1_3genE0ELNS1_11target_archE4294967295ELNS1_3gpuE0ELNS1_3repE0EEENS1_30default_config_static_selectorELNS0_4arch9wavefront6targetE0EEEvT1_.num_named_barrier, 0
	.set _ZN7rocprim17ROCPRIM_400000_NS6detail17trampoline_kernelINS0_14default_configENS1_27scan_by_key_config_selectorIiiEEZZNS1_16scan_by_key_implILNS1_25lookback_scan_determinismE0ELb1ES3_N6thrust23THRUST_200600_302600_NS6detail15normal_iteratorINS9_10device_ptrIiEEEESE_SE_iNS9_10multipliesIiEENS9_8equal_toIiEEiEE10hipError_tPvRmT2_T3_T4_T5_mT6_T7_P12ihipStream_tbENKUlT_T0_E_clISt17integral_constantIbLb1EESY_IbLb0EEEEDaSU_SV_EUlSU_E_NS1_11comp_targetILNS1_3genE0ELNS1_11target_archE4294967295ELNS1_3gpuE0ELNS1_3repE0EEENS1_30default_config_static_selectorELNS0_4arch9wavefront6targetE0EEEvT1_.private_seg_size, 0
	.set _ZN7rocprim17ROCPRIM_400000_NS6detail17trampoline_kernelINS0_14default_configENS1_27scan_by_key_config_selectorIiiEEZZNS1_16scan_by_key_implILNS1_25lookback_scan_determinismE0ELb1ES3_N6thrust23THRUST_200600_302600_NS6detail15normal_iteratorINS9_10device_ptrIiEEEESE_SE_iNS9_10multipliesIiEENS9_8equal_toIiEEiEE10hipError_tPvRmT2_T3_T4_T5_mT6_T7_P12ihipStream_tbENKUlT_T0_E_clISt17integral_constantIbLb1EESY_IbLb0EEEEDaSU_SV_EUlSU_E_NS1_11comp_targetILNS1_3genE0ELNS1_11target_archE4294967295ELNS1_3gpuE0ELNS1_3repE0EEENS1_30default_config_static_selectorELNS0_4arch9wavefront6targetE0EEEvT1_.uses_vcc, 0
	.set _ZN7rocprim17ROCPRIM_400000_NS6detail17trampoline_kernelINS0_14default_configENS1_27scan_by_key_config_selectorIiiEEZZNS1_16scan_by_key_implILNS1_25lookback_scan_determinismE0ELb1ES3_N6thrust23THRUST_200600_302600_NS6detail15normal_iteratorINS9_10device_ptrIiEEEESE_SE_iNS9_10multipliesIiEENS9_8equal_toIiEEiEE10hipError_tPvRmT2_T3_T4_T5_mT6_T7_P12ihipStream_tbENKUlT_T0_E_clISt17integral_constantIbLb1EESY_IbLb0EEEEDaSU_SV_EUlSU_E_NS1_11comp_targetILNS1_3genE0ELNS1_11target_archE4294967295ELNS1_3gpuE0ELNS1_3repE0EEENS1_30default_config_static_selectorELNS0_4arch9wavefront6targetE0EEEvT1_.uses_flat_scratch, 0
	.set _ZN7rocprim17ROCPRIM_400000_NS6detail17trampoline_kernelINS0_14default_configENS1_27scan_by_key_config_selectorIiiEEZZNS1_16scan_by_key_implILNS1_25lookback_scan_determinismE0ELb1ES3_N6thrust23THRUST_200600_302600_NS6detail15normal_iteratorINS9_10device_ptrIiEEEESE_SE_iNS9_10multipliesIiEENS9_8equal_toIiEEiEE10hipError_tPvRmT2_T3_T4_T5_mT6_T7_P12ihipStream_tbENKUlT_T0_E_clISt17integral_constantIbLb1EESY_IbLb0EEEEDaSU_SV_EUlSU_E_NS1_11comp_targetILNS1_3genE0ELNS1_11target_archE4294967295ELNS1_3gpuE0ELNS1_3repE0EEENS1_30default_config_static_selectorELNS0_4arch9wavefront6targetE0EEEvT1_.has_dyn_sized_stack, 0
	.set _ZN7rocprim17ROCPRIM_400000_NS6detail17trampoline_kernelINS0_14default_configENS1_27scan_by_key_config_selectorIiiEEZZNS1_16scan_by_key_implILNS1_25lookback_scan_determinismE0ELb1ES3_N6thrust23THRUST_200600_302600_NS6detail15normal_iteratorINS9_10device_ptrIiEEEESE_SE_iNS9_10multipliesIiEENS9_8equal_toIiEEiEE10hipError_tPvRmT2_T3_T4_T5_mT6_T7_P12ihipStream_tbENKUlT_T0_E_clISt17integral_constantIbLb1EESY_IbLb0EEEEDaSU_SV_EUlSU_E_NS1_11comp_targetILNS1_3genE0ELNS1_11target_archE4294967295ELNS1_3gpuE0ELNS1_3repE0EEENS1_30default_config_static_selectorELNS0_4arch9wavefront6targetE0EEEvT1_.has_recursion, 0
	.set _ZN7rocprim17ROCPRIM_400000_NS6detail17trampoline_kernelINS0_14default_configENS1_27scan_by_key_config_selectorIiiEEZZNS1_16scan_by_key_implILNS1_25lookback_scan_determinismE0ELb1ES3_N6thrust23THRUST_200600_302600_NS6detail15normal_iteratorINS9_10device_ptrIiEEEESE_SE_iNS9_10multipliesIiEENS9_8equal_toIiEEiEE10hipError_tPvRmT2_T3_T4_T5_mT6_T7_P12ihipStream_tbENKUlT_T0_E_clISt17integral_constantIbLb1EESY_IbLb0EEEEDaSU_SV_EUlSU_E_NS1_11comp_targetILNS1_3genE0ELNS1_11target_archE4294967295ELNS1_3gpuE0ELNS1_3repE0EEENS1_30default_config_static_selectorELNS0_4arch9wavefront6targetE0EEEvT1_.has_indirect_call, 0
	.section	.AMDGPU.csdata,"",@progbits
; Kernel info:
; codeLenInByte = 4
; TotalNumSgprs: 0
; NumVgprs: 0
; ScratchSize: 0
; MemoryBound: 0
; FloatMode: 240
; IeeeMode: 1
; LDSByteSize: 0 bytes/workgroup (compile time only)
; SGPRBlocks: 0
; VGPRBlocks: 0
; NumSGPRsForWavesPerEU: 1
; NumVGPRsForWavesPerEU: 1
; NamedBarCnt: 0
; Occupancy: 16
; WaveLimiterHint : 0
; COMPUTE_PGM_RSRC2:SCRATCH_EN: 0
; COMPUTE_PGM_RSRC2:USER_SGPR: 2
; COMPUTE_PGM_RSRC2:TRAP_HANDLER: 0
; COMPUTE_PGM_RSRC2:TGID_X_EN: 1
; COMPUTE_PGM_RSRC2:TGID_Y_EN: 0
; COMPUTE_PGM_RSRC2:TGID_Z_EN: 0
; COMPUTE_PGM_RSRC2:TIDIG_COMP_CNT: 0
	.section	.text._ZN7rocprim17ROCPRIM_400000_NS6detail17trampoline_kernelINS0_14default_configENS1_27scan_by_key_config_selectorIiiEEZZNS1_16scan_by_key_implILNS1_25lookback_scan_determinismE0ELb1ES3_N6thrust23THRUST_200600_302600_NS6detail15normal_iteratorINS9_10device_ptrIiEEEESE_SE_iNS9_10multipliesIiEENS9_8equal_toIiEEiEE10hipError_tPvRmT2_T3_T4_T5_mT6_T7_P12ihipStream_tbENKUlT_T0_E_clISt17integral_constantIbLb1EESY_IbLb0EEEEDaSU_SV_EUlSU_E_NS1_11comp_targetILNS1_3genE10ELNS1_11target_archE1201ELNS1_3gpuE5ELNS1_3repE0EEENS1_30default_config_static_selectorELNS0_4arch9wavefront6targetE0EEEvT1_,"axG",@progbits,_ZN7rocprim17ROCPRIM_400000_NS6detail17trampoline_kernelINS0_14default_configENS1_27scan_by_key_config_selectorIiiEEZZNS1_16scan_by_key_implILNS1_25lookback_scan_determinismE0ELb1ES3_N6thrust23THRUST_200600_302600_NS6detail15normal_iteratorINS9_10device_ptrIiEEEESE_SE_iNS9_10multipliesIiEENS9_8equal_toIiEEiEE10hipError_tPvRmT2_T3_T4_T5_mT6_T7_P12ihipStream_tbENKUlT_T0_E_clISt17integral_constantIbLb1EESY_IbLb0EEEEDaSU_SV_EUlSU_E_NS1_11comp_targetILNS1_3genE10ELNS1_11target_archE1201ELNS1_3gpuE5ELNS1_3repE0EEENS1_30default_config_static_selectorELNS0_4arch9wavefront6targetE0EEEvT1_,comdat
	.protected	_ZN7rocprim17ROCPRIM_400000_NS6detail17trampoline_kernelINS0_14default_configENS1_27scan_by_key_config_selectorIiiEEZZNS1_16scan_by_key_implILNS1_25lookback_scan_determinismE0ELb1ES3_N6thrust23THRUST_200600_302600_NS6detail15normal_iteratorINS9_10device_ptrIiEEEESE_SE_iNS9_10multipliesIiEENS9_8equal_toIiEEiEE10hipError_tPvRmT2_T3_T4_T5_mT6_T7_P12ihipStream_tbENKUlT_T0_E_clISt17integral_constantIbLb1EESY_IbLb0EEEEDaSU_SV_EUlSU_E_NS1_11comp_targetILNS1_3genE10ELNS1_11target_archE1201ELNS1_3gpuE5ELNS1_3repE0EEENS1_30default_config_static_selectorELNS0_4arch9wavefront6targetE0EEEvT1_ ; -- Begin function _ZN7rocprim17ROCPRIM_400000_NS6detail17trampoline_kernelINS0_14default_configENS1_27scan_by_key_config_selectorIiiEEZZNS1_16scan_by_key_implILNS1_25lookback_scan_determinismE0ELb1ES3_N6thrust23THRUST_200600_302600_NS6detail15normal_iteratorINS9_10device_ptrIiEEEESE_SE_iNS9_10multipliesIiEENS9_8equal_toIiEEiEE10hipError_tPvRmT2_T3_T4_T5_mT6_T7_P12ihipStream_tbENKUlT_T0_E_clISt17integral_constantIbLb1EESY_IbLb0EEEEDaSU_SV_EUlSU_E_NS1_11comp_targetILNS1_3genE10ELNS1_11target_archE1201ELNS1_3gpuE5ELNS1_3repE0EEENS1_30default_config_static_selectorELNS0_4arch9wavefront6targetE0EEEvT1_
	.globl	_ZN7rocprim17ROCPRIM_400000_NS6detail17trampoline_kernelINS0_14default_configENS1_27scan_by_key_config_selectorIiiEEZZNS1_16scan_by_key_implILNS1_25lookback_scan_determinismE0ELb1ES3_N6thrust23THRUST_200600_302600_NS6detail15normal_iteratorINS9_10device_ptrIiEEEESE_SE_iNS9_10multipliesIiEENS9_8equal_toIiEEiEE10hipError_tPvRmT2_T3_T4_T5_mT6_T7_P12ihipStream_tbENKUlT_T0_E_clISt17integral_constantIbLb1EESY_IbLb0EEEEDaSU_SV_EUlSU_E_NS1_11comp_targetILNS1_3genE10ELNS1_11target_archE1201ELNS1_3gpuE5ELNS1_3repE0EEENS1_30default_config_static_selectorELNS0_4arch9wavefront6targetE0EEEvT1_
	.p2align	8
	.type	_ZN7rocprim17ROCPRIM_400000_NS6detail17trampoline_kernelINS0_14default_configENS1_27scan_by_key_config_selectorIiiEEZZNS1_16scan_by_key_implILNS1_25lookback_scan_determinismE0ELb1ES3_N6thrust23THRUST_200600_302600_NS6detail15normal_iteratorINS9_10device_ptrIiEEEESE_SE_iNS9_10multipliesIiEENS9_8equal_toIiEEiEE10hipError_tPvRmT2_T3_T4_T5_mT6_T7_P12ihipStream_tbENKUlT_T0_E_clISt17integral_constantIbLb1EESY_IbLb0EEEEDaSU_SV_EUlSU_E_NS1_11comp_targetILNS1_3genE10ELNS1_11target_archE1201ELNS1_3gpuE5ELNS1_3repE0EEENS1_30default_config_static_selectorELNS0_4arch9wavefront6targetE0EEEvT1_,@function
_ZN7rocprim17ROCPRIM_400000_NS6detail17trampoline_kernelINS0_14default_configENS1_27scan_by_key_config_selectorIiiEEZZNS1_16scan_by_key_implILNS1_25lookback_scan_determinismE0ELb1ES3_N6thrust23THRUST_200600_302600_NS6detail15normal_iteratorINS9_10device_ptrIiEEEESE_SE_iNS9_10multipliesIiEENS9_8equal_toIiEEiEE10hipError_tPvRmT2_T3_T4_T5_mT6_T7_P12ihipStream_tbENKUlT_T0_E_clISt17integral_constantIbLb1EESY_IbLb0EEEEDaSU_SV_EUlSU_E_NS1_11comp_targetILNS1_3genE10ELNS1_11target_archE1201ELNS1_3gpuE5ELNS1_3repE0EEENS1_30default_config_static_selectorELNS0_4arch9wavefront6targetE0EEEvT1_: ; @_ZN7rocprim17ROCPRIM_400000_NS6detail17trampoline_kernelINS0_14default_configENS1_27scan_by_key_config_selectorIiiEEZZNS1_16scan_by_key_implILNS1_25lookback_scan_determinismE0ELb1ES3_N6thrust23THRUST_200600_302600_NS6detail15normal_iteratorINS9_10device_ptrIiEEEESE_SE_iNS9_10multipliesIiEENS9_8equal_toIiEEiEE10hipError_tPvRmT2_T3_T4_T5_mT6_T7_P12ihipStream_tbENKUlT_T0_E_clISt17integral_constantIbLb1EESY_IbLb0EEEEDaSU_SV_EUlSU_E_NS1_11comp_targetILNS1_3genE10ELNS1_11target_archE1201ELNS1_3gpuE5ELNS1_3repE0EEENS1_30default_config_static_selectorELNS0_4arch9wavefront6targetE0EEEvT1_
; %bb.0:
	.section	.rodata,"a",@progbits
	.p2align	6, 0x0
	.amdhsa_kernel _ZN7rocprim17ROCPRIM_400000_NS6detail17trampoline_kernelINS0_14default_configENS1_27scan_by_key_config_selectorIiiEEZZNS1_16scan_by_key_implILNS1_25lookback_scan_determinismE0ELb1ES3_N6thrust23THRUST_200600_302600_NS6detail15normal_iteratorINS9_10device_ptrIiEEEESE_SE_iNS9_10multipliesIiEENS9_8equal_toIiEEiEE10hipError_tPvRmT2_T3_T4_T5_mT6_T7_P12ihipStream_tbENKUlT_T0_E_clISt17integral_constantIbLb1EESY_IbLb0EEEEDaSU_SV_EUlSU_E_NS1_11comp_targetILNS1_3genE10ELNS1_11target_archE1201ELNS1_3gpuE5ELNS1_3repE0EEENS1_30default_config_static_selectorELNS0_4arch9wavefront6targetE0EEEvT1_
		.amdhsa_group_segment_fixed_size 0
		.amdhsa_private_segment_fixed_size 0
		.amdhsa_kernarg_size 112
		.amdhsa_user_sgpr_count 2
		.amdhsa_user_sgpr_dispatch_ptr 0
		.amdhsa_user_sgpr_queue_ptr 0
		.amdhsa_user_sgpr_kernarg_segment_ptr 1
		.amdhsa_user_sgpr_dispatch_id 0
		.amdhsa_user_sgpr_kernarg_preload_length 0
		.amdhsa_user_sgpr_kernarg_preload_offset 0
		.amdhsa_user_sgpr_private_segment_size 0
		.amdhsa_wavefront_size32 1
		.amdhsa_uses_dynamic_stack 0
		.amdhsa_enable_private_segment 0
		.amdhsa_system_sgpr_workgroup_id_x 1
		.amdhsa_system_sgpr_workgroup_id_y 0
		.amdhsa_system_sgpr_workgroup_id_z 0
		.amdhsa_system_sgpr_workgroup_info 0
		.amdhsa_system_vgpr_workitem_id 0
		.amdhsa_next_free_vgpr 1
		.amdhsa_next_free_sgpr 1
		.amdhsa_named_barrier_count 0
		.amdhsa_reserve_vcc 0
		.amdhsa_float_round_mode_32 0
		.amdhsa_float_round_mode_16_64 0
		.amdhsa_float_denorm_mode_32 3
		.amdhsa_float_denorm_mode_16_64 3
		.amdhsa_fp16_overflow 0
		.amdhsa_memory_ordered 1
		.amdhsa_forward_progress 1
		.amdhsa_inst_pref_size 0
		.amdhsa_round_robin_scheduling 0
		.amdhsa_exception_fp_ieee_invalid_op 0
		.amdhsa_exception_fp_denorm_src 0
		.amdhsa_exception_fp_ieee_div_zero 0
		.amdhsa_exception_fp_ieee_overflow 0
		.amdhsa_exception_fp_ieee_underflow 0
		.amdhsa_exception_fp_ieee_inexact 0
		.amdhsa_exception_int_div_zero 0
	.end_amdhsa_kernel
	.section	.text._ZN7rocprim17ROCPRIM_400000_NS6detail17trampoline_kernelINS0_14default_configENS1_27scan_by_key_config_selectorIiiEEZZNS1_16scan_by_key_implILNS1_25lookback_scan_determinismE0ELb1ES3_N6thrust23THRUST_200600_302600_NS6detail15normal_iteratorINS9_10device_ptrIiEEEESE_SE_iNS9_10multipliesIiEENS9_8equal_toIiEEiEE10hipError_tPvRmT2_T3_T4_T5_mT6_T7_P12ihipStream_tbENKUlT_T0_E_clISt17integral_constantIbLb1EESY_IbLb0EEEEDaSU_SV_EUlSU_E_NS1_11comp_targetILNS1_3genE10ELNS1_11target_archE1201ELNS1_3gpuE5ELNS1_3repE0EEENS1_30default_config_static_selectorELNS0_4arch9wavefront6targetE0EEEvT1_,"axG",@progbits,_ZN7rocprim17ROCPRIM_400000_NS6detail17trampoline_kernelINS0_14default_configENS1_27scan_by_key_config_selectorIiiEEZZNS1_16scan_by_key_implILNS1_25lookback_scan_determinismE0ELb1ES3_N6thrust23THRUST_200600_302600_NS6detail15normal_iteratorINS9_10device_ptrIiEEEESE_SE_iNS9_10multipliesIiEENS9_8equal_toIiEEiEE10hipError_tPvRmT2_T3_T4_T5_mT6_T7_P12ihipStream_tbENKUlT_T0_E_clISt17integral_constantIbLb1EESY_IbLb0EEEEDaSU_SV_EUlSU_E_NS1_11comp_targetILNS1_3genE10ELNS1_11target_archE1201ELNS1_3gpuE5ELNS1_3repE0EEENS1_30default_config_static_selectorELNS0_4arch9wavefront6targetE0EEEvT1_,comdat
.Lfunc_end516:
	.size	_ZN7rocprim17ROCPRIM_400000_NS6detail17trampoline_kernelINS0_14default_configENS1_27scan_by_key_config_selectorIiiEEZZNS1_16scan_by_key_implILNS1_25lookback_scan_determinismE0ELb1ES3_N6thrust23THRUST_200600_302600_NS6detail15normal_iteratorINS9_10device_ptrIiEEEESE_SE_iNS9_10multipliesIiEENS9_8equal_toIiEEiEE10hipError_tPvRmT2_T3_T4_T5_mT6_T7_P12ihipStream_tbENKUlT_T0_E_clISt17integral_constantIbLb1EESY_IbLb0EEEEDaSU_SV_EUlSU_E_NS1_11comp_targetILNS1_3genE10ELNS1_11target_archE1201ELNS1_3gpuE5ELNS1_3repE0EEENS1_30default_config_static_selectorELNS0_4arch9wavefront6targetE0EEEvT1_, .Lfunc_end516-_ZN7rocprim17ROCPRIM_400000_NS6detail17trampoline_kernelINS0_14default_configENS1_27scan_by_key_config_selectorIiiEEZZNS1_16scan_by_key_implILNS1_25lookback_scan_determinismE0ELb1ES3_N6thrust23THRUST_200600_302600_NS6detail15normal_iteratorINS9_10device_ptrIiEEEESE_SE_iNS9_10multipliesIiEENS9_8equal_toIiEEiEE10hipError_tPvRmT2_T3_T4_T5_mT6_T7_P12ihipStream_tbENKUlT_T0_E_clISt17integral_constantIbLb1EESY_IbLb0EEEEDaSU_SV_EUlSU_E_NS1_11comp_targetILNS1_3genE10ELNS1_11target_archE1201ELNS1_3gpuE5ELNS1_3repE0EEENS1_30default_config_static_selectorELNS0_4arch9wavefront6targetE0EEEvT1_
                                        ; -- End function
	.set _ZN7rocprim17ROCPRIM_400000_NS6detail17trampoline_kernelINS0_14default_configENS1_27scan_by_key_config_selectorIiiEEZZNS1_16scan_by_key_implILNS1_25lookback_scan_determinismE0ELb1ES3_N6thrust23THRUST_200600_302600_NS6detail15normal_iteratorINS9_10device_ptrIiEEEESE_SE_iNS9_10multipliesIiEENS9_8equal_toIiEEiEE10hipError_tPvRmT2_T3_T4_T5_mT6_T7_P12ihipStream_tbENKUlT_T0_E_clISt17integral_constantIbLb1EESY_IbLb0EEEEDaSU_SV_EUlSU_E_NS1_11comp_targetILNS1_3genE10ELNS1_11target_archE1201ELNS1_3gpuE5ELNS1_3repE0EEENS1_30default_config_static_selectorELNS0_4arch9wavefront6targetE0EEEvT1_.num_vgpr, 0
	.set _ZN7rocprim17ROCPRIM_400000_NS6detail17trampoline_kernelINS0_14default_configENS1_27scan_by_key_config_selectorIiiEEZZNS1_16scan_by_key_implILNS1_25lookback_scan_determinismE0ELb1ES3_N6thrust23THRUST_200600_302600_NS6detail15normal_iteratorINS9_10device_ptrIiEEEESE_SE_iNS9_10multipliesIiEENS9_8equal_toIiEEiEE10hipError_tPvRmT2_T3_T4_T5_mT6_T7_P12ihipStream_tbENKUlT_T0_E_clISt17integral_constantIbLb1EESY_IbLb0EEEEDaSU_SV_EUlSU_E_NS1_11comp_targetILNS1_3genE10ELNS1_11target_archE1201ELNS1_3gpuE5ELNS1_3repE0EEENS1_30default_config_static_selectorELNS0_4arch9wavefront6targetE0EEEvT1_.num_agpr, 0
	.set _ZN7rocprim17ROCPRIM_400000_NS6detail17trampoline_kernelINS0_14default_configENS1_27scan_by_key_config_selectorIiiEEZZNS1_16scan_by_key_implILNS1_25lookback_scan_determinismE0ELb1ES3_N6thrust23THRUST_200600_302600_NS6detail15normal_iteratorINS9_10device_ptrIiEEEESE_SE_iNS9_10multipliesIiEENS9_8equal_toIiEEiEE10hipError_tPvRmT2_T3_T4_T5_mT6_T7_P12ihipStream_tbENKUlT_T0_E_clISt17integral_constantIbLb1EESY_IbLb0EEEEDaSU_SV_EUlSU_E_NS1_11comp_targetILNS1_3genE10ELNS1_11target_archE1201ELNS1_3gpuE5ELNS1_3repE0EEENS1_30default_config_static_selectorELNS0_4arch9wavefront6targetE0EEEvT1_.numbered_sgpr, 0
	.set _ZN7rocprim17ROCPRIM_400000_NS6detail17trampoline_kernelINS0_14default_configENS1_27scan_by_key_config_selectorIiiEEZZNS1_16scan_by_key_implILNS1_25lookback_scan_determinismE0ELb1ES3_N6thrust23THRUST_200600_302600_NS6detail15normal_iteratorINS9_10device_ptrIiEEEESE_SE_iNS9_10multipliesIiEENS9_8equal_toIiEEiEE10hipError_tPvRmT2_T3_T4_T5_mT6_T7_P12ihipStream_tbENKUlT_T0_E_clISt17integral_constantIbLb1EESY_IbLb0EEEEDaSU_SV_EUlSU_E_NS1_11comp_targetILNS1_3genE10ELNS1_11target_archE1201ELNS1_3gpuE5ELNS1_3repE0EEENS1_30default_config_static_selectorELNS0_4arch9wavefront6targetE0EEEvT1_.num_named_barrier, 0
	.set _ZN7rocprim17ROCPRIM_400000_NS6detail17trampoline_kernelINS0_14default_configENS1_27scan_by_key_config_selectorIiiEEZZNS1_16scan_by_key_implILNS1_25lookback_scan_determinismE0ELb1ES3_N6thrust23THRUST_200600_302600_NS6detail15normal_iteratorINS9_10device_ptrIiEEEESE_SE_iNS9_10multipliesIiEENS9_8equal_toIiEEiEE10hipError_tPvRmT2_T3_T4_T5_mT6_T7_P12ihipStream_tbENKUlT_T0_E_clISt17integral_constantIbLb1EESY_IbLb0EEEEDaSU_SV_EUlSU_E_NS1_11comp_targetILNS1_3genE10ELNS1_11target_archE1201ELNS1_3gpuE5ELNS1_3repE0EEENS1_30default_config_static_selectorELNS0_4arch9wavefront6targetE0EEEvT1_.private_seg_size, 0
	.set _ZN7rocprim17ROCPRIM_400000_NS6detail17trampoline_kernelINS0_14default_configENS1_27scan_by_key_config_selectorIiiEEZZNS1_16scan_by_key_implILNS1_25lookback_scan_determinismE0ELb1ES3_N6thrust23THRUST_200600_302600_NS6detail15normal_iteratorINS9_10device_ptrIiEEEESE_SE_iNS9_10multipliesIiEENS9_8equal_toIiEEiEE10hipError_tPvRmT2_T3_T4_T5_mT6_T7_P12ihipStream_tbENKUlT_T0_E_clISt17integral_constantIbLb1EESY_IbLb0EEEEDaSU_SV_EUlSU_E_NS1_11comp_targetILNS1_3genE10ELNS1_11target_archE1201ELNS1_3gpuE5ELNS1_3repE0EEENS1_30default_config_static_selectorELNS0_4arch9wavefront6targetE0EEEvT1_.uses_vcc, 0
	.set _ZN7rocprim17ROCPRIM_400000_NS6detail17trampoline_kernelINS0_14default_configENS1_27scan_by_key_config_selectorIiiEEZZNS1_16scan_by_key_implILNS1_25lookback_scan_determinismE0ELb1ES3_N6thrust23THRUST_200600_302600_NS6detail15normal_iteratorINS9_10device_ptrIiEEEESE_SE_iNS9_10multipliesIiEENS9_8equal_toIiEEiEE10hipError_tPvRmT2_T3_T4_T5_mT6_T7_P12ihipStream_tbENKUlT_T0_E_clISt17integral_constantIbLb1EESY_IbLb0EEEEDaSU_SV_EUlSU_E_NS1_11comp_targetILNS1_3genE10ELNS1_11target_archE1201ELNS1_3gpuE5ELNS1_3repE0EEENS1_30default_config_static_selectorELNS0_4arch9wavefront6targetE0EEEvT1_.uses_flat_scratch, 0
	.set _ZN7rocprim17ROCPRIM_400000_NS6detail17trampoline_kernelINS0_14default_configENS1_27scan_by_key_config_selectorIiiEEZZNS1_16scan_by_key_implILNS1_25lookback_scan_determinismE0ELb1ES3_N6thrust23THRUST_200600_302600_NS6detail15normal_iteratorINS9_10device_ptrIiEEEESE_SE_iNS9_10multipliesIiEENS9_8equal_toIiEEiEE10hipError_tPvRmT2_T3_T4_T5_mT6_T7_P12ihipStream_tbENKUlT_T0_E_clISt17integral_constantIbLb1EESY_IbLb0EEEEDaSU_SV_EUlSU_E_NS1_11comp_targetILNS1_3genE10ELNS1_11target_archE1201ELNS1_3gpuE5ELNS1_3repE0EEENS1_30default_config_static_selectorELNS0_4arch9wavefront6targetE0EEEvT1_.has_dyn_sized_stack, 0
	.set _ZN7rocprim17ROCPRIM_400000_NS6detail17trampoline_kernelINS0_14default_configENS1_27scan_by_key_config_selectorIiiEEZZNS1_16scan_by_key_implILNS1_25lookback_scan_determinismE0ELb1ES3_N6thrust23THRUST_200600_302600_NS6detail15normal_iteratorINS9_10device_ptrIiEEEESE_SE_iNS9_10multipliesIiEENS9_8equal_toIiEEiEE10hipError_tPvRmT2_T3_T4_T5_mT6_T7_P12ihipStream_tbENKUlT_T0_E_clISt17integral_constantIbLb1EESY_IbLb0EEEEDaSU_SV_EUlSU_E_NS1_11comp_targetILNS1_3genE10ELNS1_11target_archE1201ELNS1_3gpuE5ELNS1_3repE0EEENS1_30default_config_static_selectorELNS0_4arch9wavefront6targetE0EEEvT1_.has_recursion, 0
	.set _ZN7rocprim17ROCPRIM_400000_NS6detail17trampoline_kernelINS0_14default_configENS1_27scan_by_key_config_selectorIiiEEZZNS1_16scan_by_key_implILNS1_25lookback_scan_determinismE0ELb1ES3_N6thrust23THRUST_200600_302600_NS6detail15normal_iteratorINS9_10device_ptrIiEEEESE_SE_iNS9_10multipliesIiEENS9_8equal_toIiEEiEE10hipError_tPvRmT2_T3_T4_T5_mT6_T7_P12ihipStream_tbENKUlT_T0_E_clISt17integral_constantIbLb1EESY_IbLb0EEEEDaSU_SV_EUlSU_E_NS1_11comp_targetILNS1_3genE10ELNS1_11target_archE1201ELNS1_3gpuE5ELNS1_3repE0EEENS1_30default_config_static_selectorELNS0_4arch9wavefront6targetE0EEEvT1_.has_indirect_call, 0
	.section	.AMDGPU.csdata,"",@progbits
; Kernel info:
; codeLenInByte = 0
; TotalNumSgprs: 0
; NumVgprs: 0
; ScratchSize: 0
; MemoryBound: 0
; FloatMode: 240
; IeeeMode: 1
; LDSByteSize: 0 bytes/workgroup (compile time only)
; SGPRBlocks: 0
; VGPRBlocks: 0
; NumSGPRsForWavesPerEU: 1
; NumVGPRsForWavesPerEU: 1
; NamedBarCnt: 0
; Occupancy: 16
; WaveLimiterHint : 0
; COMPUTE_PGM_RSRC2:SCRATCH_EN: 0
; COMPUTE_PGM_RSRC2:USER_SGPR: 2
; COMPUTE_PGM_RSRC2:TRAP_HANDLER: 0
; COMPUTE_PGM_RSRC2:TGID_X_EN: 1
; COMPUTE_PGM_RSRC2:TGID_Y_EN: 0
; COMPUTE_PGM_RSRC2:TGID_Z_EN: 0
; COMPUTE_PGM_RSRC2:TIDIG_COMP_CNT: 0
	.section	.text._ZN7rocprim17ROCPRIM_400000_NS6detail17trampoline_kernelINS0_14default_configENS1_27scan_by_key_config_selectorIiiEEZZNS1_16scan_by_key_implILNS1_25lookback_scan_determinismE0ELb1ES3_N6thrust23THRUST_200600_302600_NS6detail15normal_iteratorINS9_10device_ptrIiEEEESE_SE_iNS9_10multipliesIiEENS9_8equal_toIiEEiEE10hipError_tPvRmT2_T3_T4_T5_mT6_T7_P12ihipStream_tbENKUlT_T0_E_clISt17integral_constantIbLb1EESY_IbLb0EEEEDaSU_SV_EUlSU_E_NS1_11comp_targetILNS1_3genE5ELNS1_11target_archE942ELNS1_3gpuE9ELNS1_3repE0EEENS1_30default_config_static_selectorELNS0_4arch9wavefront6targetE0EEEvT1_,"axG",@progbits,_ZN7rocprim17ROCPRIM_400000_NS6detail17trampoline_kernelINS0_14default_configENS1_27scan_by_key_config_selectorIiiEEZZNS1_16scan_by_key_implILNS1_25lookback_scan_determinismE0ELb1ES3_N6thrust23THRUST_200600_302600_NS6detail15normal_iteratorINS9_10device_ptrIiEEEESE_SE_iNS9_10multipliesIiEENS9_8equal_toIiEEiEE10hipError_tPvRmT2_T3_T4_T5_mT6_T7_P12ihipStream_tbENKUlT_T0_E_clISt17integral_constantIbLb1EESY_IbLb0EEEEDaSU_SV_EUlSU_E_NS1_11comp_targetILNS1_3genE5ELNS1_11target_archE942ELNS1_3gpuE9ELNS1_3repE0EEENS1_30default_config_static_selectorELNS0_4arch9wavefront6targetE0EEEvT1_,comdat
	.protected	_ZN7rocprim17ROCPRIM_400000_NS6detail17trampoline_kernelINS0_14default_configENS1_27scan_by_key_config_selectorIiiEEZZNS1_16scan_by_key_implILNS1_25lookback_scan_determinismE0ELb1ES3_N6thrust23THRUST_200600_302600_NS6detail15normal_iteratorINS9_10device_ptrIiEEEESE_SE_iNS9_10multipliesIiEENS9_8equal_toIiEEiEE10hipError_tPvRmT2_T3_T4_T5_mT6_T7_P12ihipStream_tbENKUlT_T0_E_clISt17integral_constantIbLb1EESY_IbLb0EEEEDaSU_SV_EUlSU_E_NS1_11comp_targetILNS1_3genE5ELNS1_11target_archE942ELNS1_3gpuE9ELNS1_3repE0EEENS1_30default_config_static_selectorELNS0_4arch9wavefront6targetE0EEEvT1_ ; -- Begin function _ZN7rocprim17ROCPRIM_400000_NS6detail17trampoline_kernelINS0_14default_configENS1_27scan_by_key_config_selectorIiiEEZZNS1_16scan_by_key_implILNS1_25lookback_scan_determinismE0ELb1ES3_N6thrust23THRUST_200600_302600_NS6detail15normal_iteratorINS9_10device_ptrIiEEEESE_SE_iNS9_10multipliesIiEENS9_8equal_toIiEEiEE10hipError_tPvRmT2_T3_T4_T5_mT6_T7_P12ihipStream_tbENKUlT_T0_E_clISt17integral_constantIbLb1EESY_IbLb0EEEEDaSU_SV_EUlSU_E_NS1_11comp_targetILNS1_3genE5ELNS1_11target_archE942ELNS1_3gpuE9ELNS1_3repE0EEENS1_30default_config_static_selectorELNS0_4arch9wavefront6targetE0EEEvT1_
	.globl	_ZN7rocprim17ROCPRIM_400000_NS6detail17trampoline_kernelINS0_14default_configENS1_27scan_by_key_config_selectorIiiEEZZNS1_16scan_by_key_implILNS1_25lookback_scan_determinismE0ELb1ES3_N6thrust23THRUST_200600_302600_NS6detail15normal_iteratorINS9_10device_ptrIiEEEESE_SE_iNS9_10multipliesIiEENS9_8equal_toIiEEiEE10hipError_tPvRmT2_T3_T4_T5_mT6_T7_P12ihipStream_tbENKUlT_T0_E_clISt17integral_constantIbLb1EESY_IbLb0EEEEDaSU_SV_EUlSU_E_NS1_11comp_targetILNS1_3genE5ELNS1_11target_archE942ELNS1_3gpuE9ELNS1_3repE0EEENS1_30default_config_static_selectorELNS0_4arch9wavefront6targetE0EEEvT1_
	.p2align	8
	.type	_ZN7rocprim17ROCPRIM_400000_NS6detail17trampoline_kernelINS0_14default_configENS1_27scan_by_key_config_selectorIiiEEZZNS1_16scan_by_key_implILNS1_25lookback_scan_determinismE0ELb1ES3_N6thrust23THRUST_200600_302600_NS6detail15normal_iteratorINS9_10device_ptrIiEEEESE_SE_iNS9_10multipliesIiEENS9_8equal_toIiEEiEE10hipError_tPvRmT2_T3_T4_T5_mT6_T7_P12ihipStream_tbENKUlT_T0_E_clISt17integral_constantIbLb1EESY_IbLb0EEEEDaSU_SV_EUlSU_E_NS1_11comp_targetILNS1_3genE5ELNS1_11target_archE942ELNS1_3gpuE9ELNS1_3repE0EEENS1_30default_config_static_selectorELNS0_4arch9wavefront6targetE0EEEvT1_,@function
_ZN7rocprim17ROCPRIM_400000_NS6detail17trampoline_kernelINS0_14default_configENS1_27scan_by_key_config_selectorIiiEEZZNS1_16scan_by_key_implILNS1_25lookback_scan_determinismE0ELb1ES3_N6thrust23THRUST_200600_302600_NS6detail15normal_iteratorINS9_10device_ptrIiEEEESE_SE_iNS9_10multipliesIiEENS9_8equal_toIiEEiEE10hipError_tPvRmT2_T3_T4_T5_mT6_T7_P12ihipStream_tbENKUlT_T0_E_clISt17integral_constantIbLb1EESY_IbLb0EEEEDaSU_SV_EUlSU_E_NS1_11comp_targetILNS1_3genE5ELNS1_11target_archE942ELNS1_3gpuE9ELNS1_3repE0EEENS1_30default_config_static_selectorELNS0_4arch9wavefront6targetE0EEEvT1_: ; @_ZN7rocprim17ROCPRIM_400000_NS6detail17trampoline_kernelINS0_14default_configENS1_27scan_by_key_config_selectorIiiEEZZNS1_16scan_by_key_implILNS1_25lookback_scan_determinismE0ELb1ES3_N6thrust23THRUST_200600_302600_NS6detail15normal_iteratorINS9_10device_ptrIiEEEESE_SE_iNS9_10multipliesIiEENS9_8equal_toIiEEiEE10hipError_tPvRmT2_T3_T4_T5_mT6_T7_P12ihipStream_tbENKUlT_T0_E_clISt17integral_constantIbLb1EESY_IbLb0EEEEDaSU_SV_EUlSU_E_NS1_11comp_targetILNS1_3genE5ELNS1_11target_archE942ELNS1_3gpuE9ELNS1_3repE0EEENS1_30default_config_static_selectorELNS0_4arch9wavefront6targetE0EEEvT1_
; %bb.0:
	.section	.rodata,"a",@progbits
	.p2align	6, 0x0
	.amdhsa_kernel _ZN7rocprim17ROCPRIM_400000_NS6detail17trampoline_kernelINS0_14default_configENS1_27scan_by_key_config_selectorIiiEEZZNS1_16scan_by_key_implILNS1_25lookback_scan_determinismE0ELb1ES3_N6thrust23THRUST_200600_302600_NS6detail15normal_iteratorINS9_10device_ptrIiEEEESE_SE_iNS9_10multipliesIiEENS9_8equal_toIiEEiEE10hipError_tPvRmT2_T3_T4_T5_mT6_T7_P12ihipStream_tbENKUlT_T0_E_clISt17integral_constantIbLb1EESY_IbLb0EEEEDaSU_SV_EUlSU_E_NS1_11comp_targetILNS1_3genE5ELNS1_11target_archE942ELNS1_3gpuE9ELNS1_3repE0EEENS1_30default_config_static_selectorELNS0_4arch9wavefront6targetE0EEEvT1_
		.amdhsa_group_segment_fixed_size 0
		.amdhsa_private_segment_fixed_size 0
		.amdhsa_kernarg_size 112
		.amdhsa_user_sgpr_count 2
		.amdhsa_user_sgpr_dispatch_ptr 0
		.amdhsa_user_sgpr_queue_ptr 0
		.amdhsa_user_sgpr_kernarg_segment_ptr 1
		.amdhsa_user_sgpr_dispatch_id 0
		.amdhsa_user_sgpr_kernarg_preload_length 0
		.amdhsa_user_sgpr_kernarg_preload_offset 0
		.amdhsa_user_sgpr_private_segment_size 0
		.amdhsa_wavefront_size32 1
		.amdhsa_uses_dynamic_stack 0
		.amdhsa_enable_private_segment 0
		.amdhsa_system_sgpr_workgroup_id_x 1
		.amdhsa_system_sgpr_workgroup_id_y 0
		.amdhsa_system_sgpr_workgroup_id_z 0
		.amdhsa_system_sgpr_workgroup_info 0
		.amdhsa_system_vgpr_workitem_id 0
		.amdhsa_next_free_vgpr 1
		.amdhsa_next_free_sgpr 1
		.amdhsa_named_barrier_count 0
		.amdhsa_reserve_vcc 0
		.amdhsa_float_round_mode_32 0
		.amdhsa_float_round_mode_16_64 0
		.amdhsa_float_denorm_mode_32 3
		.amdhsa_float_denorm_mode_16_64 3
		.amdhsa_fp16_overflow 0
		.amdhsa_memory_ordered 1
		.amdhsa_forward_progress 1
		.amdhsa_inst_pref_size 0
		.amdhsa_round_robin_scheduling 0
		.amdhsa_exception_fp_ieee_invalid_op 0
		.amdhsa_exception_fp_denorm_src 0
		.amdhsa_exception_fp_ieee_div_zero 0
		.amdhsa_exception_fp_ieee_overflow 0
		.amdhsa_exception_fp_ieee_underflow 0
		.amdhsa_exception_fp_ieee_inexact 0
		.amdhsa_exception_int_div_zero 0
	.end_amdhsa_kernel
	.section	.text._ZN7rocprim17ROCPRIM_400000_NS6detail17trampoline_kernelINS0_14default_configENS1_27scan_by_key_config_selectorIiiEEZZNS1_16scan_by_key_implILNS1_25lookback_scan_determinismE0ELb1ES3_N6thrust23THRUST_200600_302600_NS6detail15normal_iteratorINS9_10device_ptrIiEEEESE_SE_iNS9_10multipliesIiEENS9_8equal_toIiEEiEE10hipError_tPvRmT2_T3_T4_T5_mT6_T7_P12ihipStream_tbENKUlT_T0_E_clISt17integral_constantIbLb1EESY_IbLb0EEEEDaSU_SV_EUlSU_E_NS1_11comp_targetILNS1_3genE5ELNS1_11target_archE942ELNS1_3gpuE9ELNS1_3repE0EEENS1_30default_config_static_selectorELNS0_4arch9wavefront6targetE0EEEvT1_,"axG",@progbits,_ZN7rocprim17ROCPRIM_400000_NS6detail17trampoline_kernelINS0_14default_configENS1_27scan_by_key_config_selectorIiiEEZZNS1_16scan_by_key_implILNS1_25lookback_scan_determinismE0ELb1ES3_N6thrust23THRUST_200600_302600_NS6detail15normal_iteratorINS9_10device_ptrIiEEEESE_SE_iNS9_10multipliesIiEENS9_8equal_toIiEEiEE10hipError_tPvRmT2_T3_T4_T5_mT6_T7_P12ihipStream_tbENKUlT_T0_E_clISt17integral_constantIbLb1EESY_IbLb0EEEEDaSU_SV_EUlSU_E_NS1_11comp_targetILNS1_3genE5ELNS1_11target_archE942ELNS1_3gpuE9ELNS1_3repE0EEENS1_30default_config_static_selectorELNS0_4arch9wavefront6targetE0EEEvT1_,comdat
.Lfunc_end517:
	.size	_ZN7rocprim17ROCPRIM_400000_NS6detail17trampoline_kernelINS0_14default_configENS1_27scan_by_key_config_selectorIiiEEZZNS1_16scan_by_key_implILNS1_25lookback_scan_determinismE0ELb1ES3_N6thrust23THRUST_200600_302600_NS6detail15normal_iteratorINS9_10device_ptrIiEEEESE_SE_iNS9_10multipliesIiEENS9_8equal_toIiEEiEE10hipError_tPvRmT2_T3_T4_T5_mT6_T7_P12ihipStream_tbENKUlT_T0_E_clISt17integral_constantIbLb1EESY_IbLb0EEEEDaSU_SV_EUlSU_E_NS1_11comp_targetILNS1_3genE5ELNS1_11target_archE942ELNS1_3gpuE9ELNS1_3repE0EEENS1_30default_config_static_selectorELNS0_4arch9wavefront6targetE0EEEvT1_, .Lfunc_end517-_ZN7rocprim17ROCPRIM_400000_NS6detail17trampoline_kernelINS0_14default_configENS1_27scan_by_key_config_selectorIiiEEZZNS1_16scan_by_key_implILNS1_25lookback_scan_determinismE0ELb1ES3_N6thrust23THRUST_200600_302600_NS6detail15normal_iteratorINS9_10device_ptrIiEEEESE_SE_iNS9_10multipliesIiEENS9_8equal_toIiEEiEE10hipError_tPvRmT2_T3_T4_T5_mT6_T7_P12ihipStream_tbENKUlT_T0_E_clISt17integral_constantIbLb1EESY_IbLb0EEEEDaSU_SV_EUlSU_E_NS1_11comp_targetILNS1_3genE5ELNS1_11target_archE942ELNS1_3gpuE9ELNS1_3repE0EEENS1_30default_config_static_selectorELNS0_4arch9wavefront6targetE0EEEvT1_
                                        ; -- End function
	.set _ZN7rocprim17ROCPRIM_400000_NS6detail17trampoline_kernelINS0_14default_configENS1_27scan_by_key_config_selectorIiiEEZZNS1_16scan_by_key_implILNS1_25lookback_scan_determinismE0ELb1ES3_N6thrust23THRUST_200600_302600_NS6detail15normal_iteratorINS9_10device_ptrIiEEEESE_SE_iNS9_10multipliesIiEENS9_8equal_toIiEEiEE10hipError_tPvRmT2_T3_T4_T5_mT6_T7_P12ihipStream_tbENKUlT_T0_E_clISt17integral_constantIbLb1EESY_IbLb0EEEEDaSU_SV_EUlSU_E_NS1_11comp_targetILNS1_3genE5ELNS1_11target_archE942ELNS1_3gpuE9ELNS1_3repE0EEENS1_30default_config_static_selectorELNS0_4arch9wavefront6targetE0EEEvT1_.num_vgpr, 0
	.set _ZN7rocprim17ROCPRIM_400000_NS6detail17trampoline_kernelINS0_14default_configENS1_27scan_by_key_config_selectorIiiEEZZNS1_16scan_by_key_implILNS1_25lookback_scan_determinismE0ELb1ES3_N6thrust23THRUST_200600_302600_NS6detail15normal_iteratorINS9_10device_ptrIiEEEESE_SE_iNS9_10multipliesIiEENS9_8equal_toIiEEiEE10hipError_tPvRmT2_T3_T4_T5_mT6_T7_P12ihipStream_tbENKUlT_T0_E_clISt17integral_constantIbLb1EESY_IbLb0EEEEDaSU_SV_EUlSU_E_NS1_11comp_targetILNS1_3genE5ELNS1_11target_archE942ELNS1_3gpuE9ELNS1_3repE0EEENS1_30default_config_static_selectorELNS0_4arch9wavefront6targetE0EEEvT1_.num_agpr, 0
	.set _ZN7rocprim17ROCPRIM_400000_NS6detail17trampoline_kernelINS0_14default_configENS1_27scan_by_key_config_selectorIiiEEZZNS1_16scan_by_key_implILNS1_25lookback_scan_determinismE0ELb1ES3_N6thrust23THRUST_200600_302600_NS6detail15normal_iteratorINS9_10device_ptrIiEEEESE_SE_iNS9_10multipliesIiEENS9_8equal_toIiEEiEE10hipError_tPvRmT2_T3_T4_T5_mT6_T7_P12ihipStream_tbENKUlT_T0_E_clISt17integral_constantIbLb1EESY_IbLb0EEEEDaSU_SV_EUlSU_E_NS1_11comp_targetILNS1_3genE5ELNS1_11target_archE942ELNS1_3gpuE9ELNS1_3repE0EEENS1_30default_config_static_selectorELNS0_4arch9wavefront6targetE0EEEvT1_.numbered_sgpr, 0
	.set _ZN7rocprim17ROCPRIM_400000_NS6detail17trampoline_kernelINS0_14default_configENS1_27scan_by_key_config_selectorIiiEEZZNS1_16scan_by_key_implILNS1_25lookback_scan_determinismE0ELb1ES3_N6thrust23THRUST_200600_302600_NS6detail15normal_iteratorINS9_10device_ptrIiEEEESE_SE_iNS9_10multipliesIiEENS9_8equal_toIiEEiEE10hipError_tPvRmT2_T3_T4_T5_mT6_T7_P12ihipStream_tbENKUlT_T0_E_clISt17integral_constantIbLb1EESY_IbLb0EEEEDaSU_SV_EUlSU_E_NS1_11comp_targetILNS1_3genE5ELNS1_11target_archE942ELNS1_3gpuE9ELNS1_3repE0EEENS1_30default_config_static_selectorELNS0_4arch9wavefront6targetE0EEEvT1_.num_named_barrier, 0
	.set _ZN7rocprim17ROCPRIM_400000_NS6detail17trampoline_kernelINS0_14default_configENS1_27scan_by_key_config_selectorIiiEEZZNS1_16scan_by_key_implILNS1_25lookback_scan_determinismE0ELb1ES3_N6thrust23THRUST_200600_302600_NS6detail15normal_iteratorINS9_10device_ptrIiEEEESE_SE_iNS9_10multipliesIiEENS9_8equal_toIiEEiEE10hipError_tPvRmT2_T3_T4_T5_mT6_T7_P12ihipStream_tbENKUlT_T0_E_clISt17integral_constantIbLb1EESY_IbLb0EEEEDaSU_SV_EUlSU_E_NS1_11comp_targetILNS1_3genE5ELNS1_11target_archE942ELNS1_3gpuE9ELNS1_3repE0EEENS1_30default_config_static_selectorELNS0_4arch9wavefront6targetE0EEEvT1_.private_seg_size, 0
	.set _ZN7rocprim17ROCPRIM_400000_NS6detail17trampoline_kernelINS0_14default_configENS1_27scan_by_key_config_selectorIiiEEZZNS1_16scan_by_key_implILNS1_25lookback_scan_determinismE0ELb1ES3_N6thrust23THRUST_200600_302600_NS6detail15normal_iteratorINS9_10device_ptrIiEEEESE_SE_iNS9_10multipliesIiEENS9_8equal_toIiEEiEE10hipError_tPvRmT2_T3_T4_T5_mT6_T7_P12ihipStream_tbENKUlT_T0_E_clISt17integral_constantIbLb1EESY_IbLb0EEEEDaSU_SV_EUlSU_E_NS1_11comp_targetILNS1_3genE5ELNS1_11target_archE942ELNS1_3gpuE9ELNS1_3repE0EEENS1_30default_config_static_selectorELNS0_4arch9wavefront6targetE0EEEvT1_.uses_vcc, 0
	.set _ZN7rocprim17ROCPRIM_400000_NS6detail17trampoline_kernelINS0_14default_configENS1_27scan_by_key_config_selectorIiiEEZZNS1_16scan_by_key_implILNS1_25lookback_scan_determinismE0ELb1ES3_N6thrust23THRUST_200600_302600_NS6detail15normal_iteratorINS9_10device_ptrIiEEEESE_SE_iNS9_10multipliesIiEENS9_8equal_toIiEEiEE10hipError_tPvRmT2_T3_T4_T5_mT6_T7_P12ihipStream_tbENKUlT_T0_E_clISt17integral_constantIbLb1EESY_IbLb0EEEEDaSU_SV_EUlSU_E_NS1_11comp_targetILNS1_3genE5ELNS1_11target_archE942ELNS1_3gpuE9ELNS1_3repE0EEENS1_30default_config_static_selectorELNS0_4arch9wavefront6targetE0EEEvT1_.uses_flat_scratch, 0
	.set _ZN7rocprim17ROCPRIM_400000_NS6detail17trampoline_kernelINS0_14default_configENS1_27scan_by_key_config_selectorIiiEEZZNS1_16scan_by_key_implILNS1_25lookback_scan_determinismE0ELb1ES3_N6thrust23THRUST_200600_302600_NS6detail15normal_iteratorINS9_10device_ptrIiEEEESE_SE_iNS9_10multipliesIiEENS9_8equal_toIiEEiEE10hipError_tPvRmT2_T3_T4_T5_mT6_T7_P12ihipStream_tbENKUlT_T0_E_clISt17integral_constantIbLb1EESY_IbLb0EEEEDaSU_SV_EUlSU_E_NS1_11comp_targetILNS1_3genE5ELNS1_11target_archE942ELNS1_3gpuE9ELNS1_3repE0EEENS1_30default_config_static_selectorELNS0_4arch9wavefront6targetE0EEEvT1_.has_dyn_sized_stack, 0
	.set _ZN7rocprim17ROCPRIM_400000_NS6detail17trampoline_kernelINS0_14default_configENS1_27scan_by_key_config_selectorIiiEEZZNS1_16scan_by_key_implILNS1_25lookback_scan_determinismE0ELb1ES3_N6thrust23THRUST_200600_302600_NS6detail15normal_iteratorINS9_10device_ptrIiEEEESE_SE_iNS9_10multipliesIiEENS9_8equal_toIiEEiEE10hipError_tPvRmT2_T3_T4_T5_mT6_T7_P12ihipStream_tbENKUlT_T0_E_clISt17integral_constantIbLb1EESY_IbLb0EEEEDaSU_SV_EUlSU_E_NS1_11comp_targetILNS1_3genE5ELNS1_11target_archE942ELNS1_3gpuE9ELNS1_3repE0EEENS1_30default_config_static_selectorELNS0_4arch9wavefront6targetE0EEEvT1_.has_recursion, 0
	.set _ZN7rocprim17ROCPRIM_400000_NS6detail17trampoline_kernelINS0_14default_configENS1_27scan_by_key_config_selectorIiiEEZZNS1_16scan_by_key_implILNS1_25lookback_scan_determinismE0ELb1ES3_N6thrust23THRUST_200600_302600_NS6detail15normal_iteratorINS9_10device_ptrIiEEEESE_SE_iNS9_10multipliesIiEENS9_8equal_toIiEEiEE10hipError_tPvRmT2_T3_T4_T5_mT6_T7_P12ihipStream_tbENKUlT_T0_E_clISt17integral_constantIbLb1EESY_IbLb0EEEEDaSU_SV_EUlSU_E_NS1_11comp_targetILNS1_3genE5ELNS1_11target_archE942ELNS1_3gpuE9ELNS1_3repE0EEENS1_30default_config_static_selectorELNS0_4arch9wavefront6targetE0EEEvT1_.has_indirect_call, 0
	.section	.AMDGPU.csdata,"",@progbits
; Kernel info:
; codeLenInByte = 0
; TotalNumSgprs: 0
; NumVgprs: 0
; ScratchSize: 0
; MemoryBound: 0
; FloatMode: 240
; IeeeMode: 1
; LDSByteSize: 0 bytes/workgroup (compile time only)
; SGPRBlocks: 0
; VGPRBlocks: 0
; NumSGPRsForWavesPerEU: 1
; NumVGPRsForWavesPerEU: 1
; NamedBarCnt: 0
; Occupancy: 16
; WaveLimiterHint : 0
; COMPUTE_PGM_RSRC2:SCRATCH_EN: 0
; COMPUTE_PGM_RSRC2:USER_SGPR: 2
; COMPUTE_PGM_RSRC2:TRAP_HANDLER: 0
; COMPUTE_PGM_RSRC2:TGID_X_EN: 1
; COMPUTE_PGM_RSRC2:TGID_Y_EN: 0
; COMPUTE_PGM_RSRC2:TGID_Z_EN: 0
; COMPUTE_PGM_RSRC2:TIDIG_COMP_CNT: 0
	.section	.text._ZN7rocprim17ROCPRIM_400000_NS6detail17trampoline_kernelINS0_14default_configENS1_27scan_by_key_config_selectorIiiEEZZNS1_16scan_by_key_implILNS1_25lookback_scan_determinismE0ELb1ES3_N6thrust23THRUST_200600_302600_NS6detail15normal_iteratorINS9_10device_ptrIiEEEESE_SE_iNS9_10multipliesIiEENS9_8equal_toIiEEiEE10hipError_tPvRmT2_T3_T4_T5_mT6_T7_P12ihipStream_tbENKUlT_T0_E_clISt17integral_constantIbLb1EESY_IbLb0EEEEDaSU_SV_EUlSU_E_NS1_11comp_targetILNS1_3genE4ELNS1_11target_archE910ELNS1_3gpuE8ELNS1_3repE0EEENS1_30default_config_static_selectorELNS0_4arch9wavefront6targetE0EEEvT1_,"axG",@progbits,_ZN7rocprim17ROCPRIM_400000_NS6detail17trampoline_kernelINS0_14default_configENS1_27scan_by_key_config_selectorIiiEEZZNS1_16scan_by_key_implILNS1_25lookback_scan_determinismE0ELb1ES3_N6thrust23THRUST_200600_302600_NS6detail15normal_iteratorINS9_10device_ptrIiEEEESE_SE_iNS9_10multipliesIiEENS9_8equal_toIiEEiEE10hipError_tPvRmT2_T3_T4_T5_mT6_T7_P12ihipStream_tbENKUlT_T0_E_clISt17integral_constantIbLb1EESY_IbLb0EEEEDaSU_SV_EUlSU_E_NS1_11comp_targetILNS1_3genE4ELNS1_11target_archE910ELNS1_3gpuE8ELNS1_3repE0EEENS1_30default_config_static_selectorELNS0_4arch9wavefront6targetE0EEEvT1_,comdat
	.protected	_ZN7rocprim17ROCPRIM_400000_NS6detail17trampoline_kernelINS0_14default_configENS1_27scan_by_key_config_selectorIiiEEZZNS1_16scan_by_key_implILNS1_25lookback_scan_determinismE0ELb1ES3_N6thrust23THRUST_200600_302600_NS6detail15normal_iteratorINS9_10device_ptrIiEEEESE_SE_iNS9_10multipliesIiEENS9_8equal_toIiEEiEE10hipError_tPvRmT2_T3_T4_T5_mT6_T7_P12ihipStream_tbENKUlT_T0_E_clISt17integral_constantIbLb1EESY_IbLb0EEEEDaSU_SV_EUlSU_E_NS1_11comp_targetILNS1_3genE4ELNS1_11target_archE910ELNS1_3gpuE8ELNS1_3repE0EEENS1_30default_config_static_selectorELNS0_4arch9wavefront6targetE0EEEvT1_ ; -- Begin function _ZN7rocprim17ROCPRIM_400000_NS6detail17trampoline_kernelINS0_14default_configENS1_27scan_by_key_config_selectorIiiEEZZNS1_16scan_by_key_implILNS1_25lookback_scan_determinismE0ELb1ES3_N6thrust23THRUST_200600_302600_NS6detail15normal_iteratorINS9_10device_ptrIiEEEESE_SE_iNS9_10multipliesIiEENS9_8equal_toIiEEiEE10hipError_tPvRmT2_T3_T4_T5_mT6_T7_P12ihipStream_tbENKUlT_T0_E_clISt17integral_constantIbLb1EESY_IbLb0EEEEDaSU_SV_EUlSU_E_NS1_11comp_targetILNS1_3genE4ELNS1_11target_archE910ELNS1_3gpuE8ELNS1_3repE0EEENS1_30default_config_static_selectorELNS0_4arch9wavefront6targetE0EEEvT1_
	.globl	_ZN7rocprim17ROCPRIM_400000_NS6detail17trampoline_kernelINS0_14default_configENS1_27scan_by_key_config_selectorIiiEEZZNS1_16scan_by_key_implILNS1_25lookback_scan_determinismE0ELb1ES3_N6thrust23THRUST_200600_302600_NS6detail15normal_iteratorINS9_10device_ptrIiEEEESE_SE_iNS9_10multipliesIiEENS9_8equal_toIiEEiEE10hipError_tPvRmT2_T3_T4_T5_mT6_T7_P12ihipStream_tbENKUlT_T0_E_clISt17integral_constantIbLb1EESY_IbLb0EEEEDaSU_SV_EUlSU_E_NS1_11comp_targetILNS1_3genE4ELNS1_11target_archE910ELNS1_3gpuE8ELNS1_3repE0EEENS1_30default_config_static_selectorELNS0_4arch9wavefront6targetE0EEEvT1_
	.p2align	8
	.type	_ZN7rocprim17ROCPRIM_400000_NS6detail17trampoline_kernelINS0_14default_configENS1_27scan_by_key_config_selectorIiiEEZZNS1_16scan_by_key_implILNS1_25lookback_scan_determinismE0ELb1ES3_N6thrust23THRUST_200600_302600_NS6detail15normal_iteratorINS9_10device_ptrIiEEEESE_SE_iNS9_10multipliesIiEENS9_8equal_toIiEEiEE10hipError_tPvRmT2_T3_T4_T5_mT6_T7_P12ihipStream_tbENKUlT_T0_E_clISt17integral_constantIbLb1EESY_IbLb0EEEEDaSU_SV_EUlSU_E_NS1_11comp_targetILNS1_3genE4ELNS1_11target_archE910ELNS1_3gpuE8ELNS1_3repE0EEENS1_30default_config_static_selectorELNS0_4arch9wavefront6targetE0EEEvT1_,@function
_ZN7rocprim17ROCPRIM_400000_NS6detail17trampoline_kernelINS0_14default_configENS1_27scan_by_key_config_selectorIiiEEZZNS1_16scan_by_key_implILNS1_25lookback_scan_determinismE0ELb1ES3_N6thrust23THRUST_200600_302600_NS6detail15normal_iteratorINS9_10device_ptrIiEEEESE_SE_iNS9_10multipliesIiEENS9_8equal_toIiEEiEE10hipError_tPvRmT2_T3_T4_T5_mT6_T7_P12ihipStream_tbENKUlT_T0_E_clISt17integral_constantIbLb1EESY_IbLb0EEEEDaSU_SV_EUlSU_E_NS1_11comp_targetILNS1_3genE4ELNS1_11target_archE910ELNS1_3gpuE8ELNS1_3repE0EEENS1_30default_config_static_selectorELNS0_4arch9wavefront6targetE0EEEvT1_: ; @_ZN7rocprim17ROCPRIM_400000_NS6detail17trampoline_kernelINS0_14default_configENS1_27scan_by_key_config_selectorIiiEEZZNS1_16scan_by_key_implILNS1_25lookback_scan_determinismE0ELb1ES3_N6thrust23THRUST_200600_302600_NS6detail15normal_iteratorINS9_10device_ptrIiEEEESE_SE_iNS9_10multipliesIiEENS9_8equal_toIiEEiEE10hipError_tPvRmT2_T3_T4_T5_mT6_T7_P12ihipStream_tbENKUlT_T0_E_clISt17integral_constantIbLb1EESY_IbLb0EEEEDaSU_SV_EUlSU_E_NS1_11comp_targetILNS1_3genE4ELNS1_11target_archE910ELNS1_3gpuE8ELNS1_3repE0EEENS1_30default_config_static_selectorELNS0_4arch9wavefront6targetE0EEEvT1_
; %bb.0:
	.section	.rodata,"a",@progbits
	.p2align	6, 0x0
	.amdhsa_kernel _ZN7rocprim17ROCPRIM_400000_NS6detail17trampoline_kernelINS0_14default_configENS1_27scan_by_key_config_selectorIiiEEZZNS1_16scan_by_key_implILNS1_25lookback_scan_determinismE0ELb1ES3_N6thrust23THRUST_200600_302600_NS6detail15normal_iteratorINS9_10device_ptrIiEEEESE_SE_iNS9_10multipliesIiEENS9_8equal_toIiEEiEE10hipError_tPvRmT2_T3_T4_T5_mT6_T7_P12ihipStream_tbENKUlT_T0_E_clISt17integral_constantIbLb1EESY_IbLb0EEEEDaSU_SV_EUlSU_E_NS1_11comp_targetILNS1_3genE4ELNS1_11target_archE910ELNS1_3gpuE8ELNS1_3repE0EEENS1_30default_config_static_selectorELNS0_4arch9wavefront6targetE0EEEvT1_
		.amdhsa_group_segment_fixed_size 0
		.amdhsa_private_segment_fixed_size 0
		.amdhsa_kernarg_size 112
		.amdhsa_user_sgpr_count 2
		.amdhsa_user_sgpr_dispatch_ptr 0
		.amdhsa_user_sgpr_queue_ptr 0
		.amdhsa_user_sgpr_kernarg_segment_ptr 1
		.amdhsa_user_sgpr_dispatch_id 0
		.amdhsa_user_sgpr_kernarg_preload_length 0
		.amdhsa_user_sgpr_kernarg_preload_offset 0
		.amdhsa_user_sgpr_private_segment_size 0
		.amdhsa_wavefront_size32 1
		.amdhsa_uses_dynamic_stack 0
		.amdhsa_enable_private_segment 0
		.amdhsa_system_sgpr_workgroup_id_x 1
		.amdhsa_system_sgpr_workgroup_id_y 0
		.amdhsa_system_sgpr_workgroup_id_z 0
		.amdhsa_system_sgpr_workgroup_info 0
		.amdhsa_system_vgpr_workitem_id 0
		.amdhsa_next_free_vgpr 1
		.amdhsa_next_free_sgpr 1
		.amdhsa_named_barrier_count 0
		.amdhsa_reserve_vcc 0
		.amdhsa_float_round_mode_32 0
		.amdhsa_float_round_mode_16_64 0
		.amdhsa_float_denorm_mode_32 3
		.amdhsa_float_denorm_mode_16_64 3
		.amdhsa_fp16_overflow 0
		.amdhsa_memory_ordered 1
		.amdhsa_forward_progress 1
		.amdhsa_inst_pref_size 0
		.amdhsa_round_robin_scheduling 0
		.amdhsa_exception_fp_ieee_invalid_op 0
		.amdhsa_exception_fp_denorm_src 0
		.amdhsa_exception_fp_ieee_div_zero 0
		.amdhsa_exception_fp_ieee_overflow 0
		.amdhsa_exception_fp_ieee_underflow 0
		.amdhsa_exception_fp_ieee_inexact 0
		.amdhsa_exception_int_div_zero 0
	.end_amdhsa_kernel
	.section	.text._ZN7rocprim17ROCPRIM_400000_NS6detail17trampoline_kernelINS0_14default_configENS1_27scan_by_key_config_selectorIiiEEZZNS1_16scan_by_key_implILNS1_25lookback_scan_determinismE0ELb1ES3_N6thrust23THRUST_200600_302600_NS6detail15normal_iteratorINS9_10device_ptrIiEEEESE_SE_iNS9_10multipliesIiEENS9_8equal_toIiEEiEE10hipError_tPvRmT2_T3_T4_T5_mT6_T7_P12ihipStream_tbENKUlT_T0_E_clISt17integral_constantIbLb1EESY_IbLb0EEEEDaSU_SV_EUlSU_E_NS1_11comp_targetILNS1_3genE4ELNS1_11target_archE910ELNS1_3gpuE8ELNS1_3repE0EEENS1_30default_config_static_selectorELNS0_4arch9wavefront6targetE0EEEvT1_,"axG",@progbits,_ZN7rocprim17ROCPRIM_400000_NS6detail17trampoline_kernelINS0_14default_configENS1_27scan_by_key_config_selectorIiiEEZZNS1_16scan_by_key_implILNS1_25lookback_scan_determinismE0ELb1ES3_N6thrust23THRUST_200600_302600_NS6detail15normal_iteratorINS9_10device_ptrIiEEEESE_SE_iNS9_10multipliesIiEENS9_8equal_toIiEEiEE10hipError_tPvRmT2_T3_T4_T5_mT6_T7_P12ihipStream_tbENKUlT_T0_E_clISt17integral_constantIbLb1EESY_IbLb0EEEEDaSU_SV_EUlSU_E_NS1_11comp_targetILNS1_3genE4ELNS1_11target_archE910ELNS1_3gpuE8ELNS1_3repE0EEENS1_30default_config_static_selectorELNS0_4arch9wavefront6targetE0EEEvT1_,comdat
.Lfunc_end518:
	.size	_ZN7rocprim17ROCPRIM_400000_NS6detail17trampoline_kernelINS0_14default_configENS1_27scan_by_key_config_selectorIiiEEZZNS1_16scan_by_key_implILNS1_25lookback_scan_determinismE0ELb1ES3_N6thrust23THRUST_200600_302600_NS6detail15normal_iteratorINS9_10device_ptrIiEEEESE_SE_iNS9_10multipliesIiEENS9_8equal_toIiEEiEE10hipError_tPvRmT2_T3_T4_T5_mT6_T7_P12ihipStream_tbENKUlT_T0_E_clISt17integral_constantIbLb1EESY_IbLb0EEEEDaSU_SV_EUlSU_E_NS1_11comp_targetILNS1_3genE4ELNS1_11target_archE910ELNS1_3gpuE8ELNS1_3repE0EEENS1_30default_config_static_selectorELNS0_4arch9wavefront6targetE0EEEvT1_, .Lfunc_end518-_ZN7rocprim17ROCPRIM_400000_NS6detail17trampoline_kernelINS0_14default_configENS1_27scan_by_key_config_selectorIiiEEZZNS1_16scan_by_key_implILNS1_25lookback_scan_determinismE0ELb1ES3_N6thrust23THRUST_200600_302600_NS6detail15normal_iteratorINS9_10device_ptrIiEEEESE_SE_iNS9_10multipliesIiEENS9_8equal_toIiEEiEE10hipError_tPvRmT2_T3_T4_T5_mT6_T7_P12ihipStream_tbENKUlT_T0_E_clISt17integral_constantIbLb1EESY_IbLb0EEEEDaSU_SV_EUlSU_E_NS1_11comp_targetILNS1_3genE4ELNS1_11target_archE910ELNS1_3gpuE8ELNS1_3repE0EEENS1_30default_config_static_selectorELNS0_4arch9wavefront6targetE0EEEvT1_
                                        ; -- End function
	.set _ZN7rocprim17ROCPRIM_400000_NS6detail17trampoline_kernelINS0_14default_configENS1_27scan_by_key_config_selectorIiiEEZZNS1_16scan_by_key_implILNS1_25lookback_scan_determinismE0ELb1ES3_N6thrust23THRUST_200600_302600_NS6detail15normal_iteratorINS9_10device_ptrIiEEEESE_SE_iNS9_10multipliesIiEENS9_8equal_toIiEEiEE10hipError_tPvRmT2_T3_T4_T5_mT6_T7_P12ihipStream_tbENKUlT_T0_E_clISt17integral_constantIbLb1EESY_IbLb0EEEEDaSU_SV_EUlSU_E_NS1_11comp_targetILNS1_3genE4ELNS1_11target_archE910ELNS1_3gpuE8ELNS1_3repE0EEENS1_30default_config_static_selectorELNS0_4arch9wavefront6targetE0EEEvT1_.num_vgpr, 0
	.set _ZN7rocprim17ROCPRIM_400000_NS6detail17trampoline_kernelINS0_14default_configENS1_27scan_by_key_config_selectorIiiEEZZNS1_16scan_by_key_implILNS1_25lookback_scan_determinismE0ELb1ES3_N6thrust23THRUST_200600_302600_NS6detail15normal_iteratorINS9_10device_ptrIiEEEESE_SE_iNS9_10multipliesIiEENS9_8equal_toIiEEiEE10hipError_tPvRmT2_T3_T4_T5_mT6_T7_P12ihipStream_tbENKUlT_T0_E_clISt17integral_constantIbLb1EESY_IbLb0EEEEDaSU_SV_EUlSU_E_NS1_11comp_targetILNS1_3genE4ELNS1_11target_archE910ELNS1_3gpuE8ELNS1_3repE0EEENS1_30default_config_static_selectorELNS0_4arch9wavefront6targetE0EEEvT1_.num_agpr, 0
	.set _ZN7rocprim17ROCPRIM_400000_NS6detail17trampoline_kernelINS0_14default_configENS1_27scan_by_key_config_selectorIiiEEZZNS1_16scan_by_key_implILNS1_25lookback_scan_determinismE0ELb1ES3_N6thrust23THRUST_200600_302600_NS6detail15normal_iteratorINS9_10device_ptrIiEEEESE_SE_iNS9_10multipliesIiEENS9_8equal_toIiEEiEE10hipError_tPvRmT2_T3_T4_T5_mT6_T7_P12ihipStream_tbENKUlT_T0_E_clISt17integral_constantIbLb1EESY_IbLb0EEEEDaSU_SV_EUlSU_E_NS1_11comp_targetILNS1_3genE4ELNS1_11target_archE910ELNS1_3gpuE8ELNS1_3repE0EEENS1_30default_config_static_selectorELNS0_4arch9wavefront6targetE0EEEvT1_.numbered_sgpr, 0
	.set _ZN7rocprim17ROCPRIM_400000_NS6detail17trampoline_kernelINS0_14default_configENS1_27scan_by_key_config_selectorIiiEEZZNS1_16scan_by_key_implILNS1_25lookback_scan_determinismE0ELb1ES3_N6thrust23THRUST_200600_302600_NS6detail15normal_iteratorINS9_10device_ptrIiEEEESE_SE_iNS9_10multipliesIiEENS9_8equal_toIiEEiEE10hipError_tPvRmT2_T3_T4_T5_mT6_T7_P12ihipStream_tbENKUlT_T0_E_clISt17integral_constantIbLb1EESY_IbLb0EEEEDaSU_SV_EUlSU_E_NS1_11comp_targetILNS1_3genE4ELNS1_11target_archE910ELNS1_3gpuE8ELNS1_3repE0EEENS1_30default_config_static_selectorELNS0_4arch9wavefront6targetE0EEEvT1_.num_named_barrier, 0
	.set _ZN7rocprim17ROCPRIM_400000_NS6detail17trampoline_kernelINS0_14default_configENS1_27scan_by_key_config_selectorIiiEEZZNS1_16scan_by_key_implILNS1_25lookback_scan_determinismE0ELb1ES3_N6thrust23THRUST_200600_302600_NS6detail15normal_iteratorINS9_10device_ptrIiEEEESE_SE_iNS9_10multipliesIiEENS9_8equal_toIiEEiEE10hipError_tPvRmT2_T3_T4_T5_mT6_T7_P12ihipStream_tbENKUlT_T0_E_clISt17integral_constantIbLb1EESY_IbLb0EEEEDaSU_SV_EUlSU_E_NS1_11comp_targetILNS1_3genE4ELNS1_11target_archE910ELNS1_3gpuE8ELNS1_3repE0EEENS1_30default_config_static_selectorELNS0_4arch9wavefront6targetE0EEEvT1_.private_seg_size, 0
	.set _ZN7rocprim17ROCPRIM_400000_NS6detail17trampoline_kernelINS0_14default_configENS1_27scan_by_key_config_selectorIiiEEZZNS1_16scan_by_key_implILNS1_25lookback_scan_determinismE0ELb1ES3_N6thrust23THRUST_200600_302600_NS6detail15normal_iteratorINS9_10device_ptrIiEEEESE_SE_iNS9_10multipliesIiEENS9_8equal_toIiEEiEE10hipError_tPvRmT2_T3_T4_T5_mT6_T7_P12ihipStream_tbENKUlT_T0_E_clISt17integral_constantIbLb1EESY_IbLb0EEEEDaSU_SV_EUlSU_E_NS1_11comp_targetILNS1_3genE4ELNS1_11target_archE910ELNS1_3gpuE8ELNS1_3repE0EEENS1_30default_config_static_selectorELNS0_4arch9wavefront6targetE0EEEvT1_.uses_vcc, 0
	.set _ZN7rocprim17ROCPRIM_400000_NS6detail17trampoline_kernelINS0_14default_configENS1_27scan_by_key_config_selectorIiiEEZZNS1_16scan_by_key_implILNS1_25lookback_scan_determinismE0ELb1ES3_N6thrust23THRUST_200600_302600_NS6detail15normal_iteratorINS9_10device_ptrIiEEEESE_SE_iNS9_10multipliesIiEENS9_8equal_toIiEEiEE10hipError_tPvRmT2_T3_T4_T5_mT6_T7_P12ihipStream_tbENKUlT_T0_E_clISt17integral_constantIbLb1EESY_IbLb0EEEEDaSU_SV_EUlSU_E_NS1_11comp_targetILNS1_3genE4ELNS1_11target_archE910ELNS1_3gpuE8ELNS1_3repE0EEENS1_30default_config_static_selectorELNS0_4arch9wavefront6targetE0EEEvT1_.uses_flat_scratch, 0
	.set _ZN7rocprim17ROCPRIM_400000_NS6detail17trampoline_kernelINS0_14default_configENS1_27scan_by_key_config_selectorIiiEEZZNS1_16scan_by_key_implILNS1_25lookback_scan_determinismE0ELb1ES3_N6thrust23THRUST_200600_302600_NS6detail15normal_iteratorINS9_10device_ptrIiEEEESE_SE_iNS9_10multipliesIiEENS9_8equal_toIiEEiEE10hipError_tPvRmT2_T3_T4_T5_mT6_T7_P12ihipStream_tbENKUlT_T0_E_clISt17integral_constantIbLb1EESY_IbLb0EEEEDaSU_SV_EUlSU_E_NS1_11comp_targetILNS1_3genE4ELNS1_11target_archE910ELNS1_3gpuE8ELNS1_3repE0EEENS1_30default_config_static_selectorELNS0_4arch9wavefront6targetE0EEEvT1_.has_dyn_sized_stack, 0
	.set _ZN7rocprim17ROCPRIM_400000_NS6detail17trampoline_kernelINS0_14default_configENS1_27scan_by_key_config_selectorIiiEEZZNS1_16scan_by_key_implILNS1_25lookback_scan_determinismE0ELb1ES3_N6thrust23THRUST_200600_302600_NS6detail15normal_iteratorINS9_10device_ptrIiEEEESE_SE_iNS9_10multipliesIiEENS9_8equal_toIiEEiEE10hipError_tPvRmT2_T3_T4_T5_mT6_T7_P12ihipStream_tbENKUlT_T0_E_clISt17integral_constantIbLb1EESY_IbLb0EEEEDaSU_SV_EUlSU_E_NS1_11comp_targetILNS1_3genE4ELNS1_11target_archE910ELNS1_3gpuE8ELNS1_3repE0EEENS1_30default_config_static_selectorELNS0_4arch9wavefront6targetE0EEEvT1_.has_recursion, 0
	.set _ZN7rocprim17ROCPRIM_400000_NS6detail17trampoline_kernelINS0_14default_configENS1_27scan_by_key_config_selectorIiiEEZZNS1_16scan_by_key_implILNS1_25lookback_scan_determinismE0ELb1ES3_N6thrust23THRUST_200600_302600_NS6detail15normal_iteratorINS9_10device_ptrIiEEEESE_SE_iNS9_10multipliesIiEENS9_8equal_toIiEEiEE10hipError_tPvRmT2_T3_T4_T5_mT6_T7_P12ihipStream_tbENKUlT_T0_E_clISt17integral_constantIbLb1EESY_IbLb0EEEEDaSU_SV_EUlSU_E_NS1_11comp_targetILNS1_3genE4ELNS1_11target_archE910ELNS1_3gpuE8ELNS1_3repE0EEENS1_30default_config_static_selectorELNS0_4arch9wavefront6targetE0EEEvT1_.has_indirect_call, 0
	.section	.AMDGPU.csdata,"",@progbits
; Kernel info:
; codeLenInByte = 0
; TotalNumSgprs: 0
; NumVgprs: 0
; ScratchSize: 0
; MemoryBound: 0
; FloatMode: 240
; IeeeMode: 1
; LDSByteSize: 0 bytes/workgroup (compile time only)
; SGPRBlocks: 0
; VGPRBlocks: 0
; NumSGPRsForWavesPerEU: 1
; NumVGPRsForWavesPerEU: 1
; NamedBarCnt: 0
; Occupancy: 16
; WaveLimiterHint : 0
; COMPUTE_PGM_RSRC2:SCRATCH_EN: 0
; COMPUTE_PGM_RSRC2:USER_SGPR: 2
; COMPUTE_PGM_RSRC2:TRAP_HANDLER: 0
; COMPUTE_PGM_RSRC2:TGID_X_EN: 1
; COMPUTE_PGM_RSRC2:TGID_Y_EN: 0
; COMPUTE_PGM_RSRC2:TGID_Z_EN: 0
; COMPUTE_PGM_RSRC2:TIDIG_COMP_CNT: 0
	.section	.text._ZN7rocprim17ROCPRIM_400000_NS6detail17trampoline_kernelINS0_14default_configENS1_27scan_by_key_config_selectorIiiEEZZNS1_16scan_by_key_implILNS1_25lookback_scan_determinismE0ELb1ES3_N6thrust23THRUST_200600_302600_NS6detail15normal_iteratorINS9_10device_ptrIiEEEESE_SE_iNS9_10multipliesIiEENS9_8equal_toIiEEiEE10hipError_tPvRmT2_T3_T4_T5_mT6_T7_P12ihipStream_tbENKUlT_T0_E_clISt17integral_constantIbLb1EESY_IbLb0EEEEDaSU_SV_EUlSU_E_NS1_11comp_targetILNS1_3genE3ELNS1_11target_archE908ELNS1_3gpuE7ELNS1_3repE0EEENS1_30default_config_static_selectorELNS0_4arch9wavefront6targetE0EEEvT1_,"axG",@progbits,_ZN7rocprim17ROCPRIM_400000_NS6detail17trampoline_kernelINS0_14default_configENS1_27scan_by_key_config_selectorIiiEEZZNS1_16scan_by_key_implILNS1_25lookback_scan_determinismE0ELb1ES3_N6thrust23THRUST_200600_302600_NS6detail15normal_iteratorINS9_10device_ptrIiEEEESE_SE_iNS9_10multipliesIiEENS9_8equal_toIiEEiEE10hipError_tPvRmT2_T3_T4_T5_mT6_T7_P12ihipStream_tbENKUlT_T0_E_clISt17integral_constantIbLb1EESY_IbLb0EEEEDaSU_SV_EUlSU_E_NS1_11comp_targetILNS1_3genE3ELNS1_11target_archE908ELNS1_3gpuE7ELNS1_3repE0EEENS1_30default_config_static_selectorELNS0_4arch9wavefront6targetE0EEEvT1_,comdat
	.protected	_ZN7rocprim17ROCPRIM_400000_NS6detail17trampoline_kernelINS0_14default_configENS1_27scan_by_key_config_selectorIiiEEZZNS1_16scan_by_key_implILNS1_25lookback_scan_determinismE0ELb1ES3_N6thrust23THRUST_200600_302600_NS6detail15normal_iteratorINS9_10device_ptrIiEEEESE_SE_iNS9_10multipliesIiEENS9_8equal_toIiEEiEE10hipError_tPvRmT2_T3_T4_T5_mT6_T7_P12ihipStream_tbENKUlT_T0_E_clISt17integral_constantIbLb1EESY_IbLb0EEEEDaSU_SV_EUlSU_E_NS1_11comp_targetILNS1_3genE3ELNS1_11target_archE908ELNS1_3gpuE7ELNS1_3repE0EEENS1_30default_config_static_selectorELNS0_4arch9wavefront6targetE0EEEvT1_ ; -- Begin function _ZN7rocprim17ROCPRIM_400000_NS6detail17trampoline_kernelINS0_14default_configENS1_27scan_by_key_config_selectorIiiEEZZNS1_16scan_by_key_implILNS1_25lookback_scan_determinismE0ELb1ES3_N6thrust23THRUST_200600_302600_NS6detail15normal_iteratorINS9_10device_ptrIiEEEESE_SE_iNS9_10multipliesIiEENS9_8equal_toIiEEiEE10hipError_tPvRmT2_T3_T4_T5_mT6_T7_P12ihipStream_tbENKUlT_T0_E_clISt17integral_constantIbLb1EESY_IbLb0EEEEDaSU_SV_EUlSU_E_NS1_11comp_targetILNS1_3genE3ELNS1_11target_archE908ELNS1_3gpuE7ELNS1_3repE0EEENS1_30default_config_static_selectorELNS0_4arch9wavefront6targetE0EEEvT1_
	.globl	_ZN7rocprim17ROCPRIM_400000_NS6detail17trampoline_kernelINS0_14default_configENS1_27scan_by_key_config_selectorIiiEEZZNS1_16scan_by_key_implILNS1_25lookback_scan_determinismE0ELb1ES3_N6thrust23THRUST_200600_302600_NS6detail15normal_iteratorINS9_10device_ptrIiEEEESE_SE_iNS9_10multipliesIiEENS9_8equal_toIiEEiEE10hipError_tPvRmT2_T3_T4_T5_mT6_T7_P12ihipStream_tbENKUlT_T0_E_clISt17integral_constantIbLb1EESY_IbLb0EEEEDaSU_SV_EUlSU_E_NS1_11comp_targetILNS1_3genE3ELNS1_11target_archE908ELNS1_3gpuE7ELNS1_3repE0EEENS1_30default_config_static_selectorELNS0_4arch9wavefront6targetE0EEEvT1_
	.p2align	8
	.type	_ZN7rocprim17ROCPRIM_400000_NS6detail17trampoline_kernelINS0_14default_configENS1_27scan_by_key_config_selectorIiiEEZZNS1_16scan_by_key_implILNS1_25lookback_scan_determinismE0ELb1ES3_N6thrust23THRUST_200600_302600_NS6detail15normal_iteratorINS9_10device_ptrIiEEEESE_SE_iNS9_10multipliesIiEENS9_8equal_toIiEEiEE10hipError_tPvRmT2_T3_T4_T5_mT6_T7_P12ihipStream_tbENKUlT_T0_E_clISt17integral_constantIbLb1EESY_IbLb0EEEEDaSU_SV_EUlSU_E_NS1_11comp_targetILNS1_3genE3ELNS1_11target_archE908ELNS1_3gpuE7ELNS1_3repE0EEENS1_30default_config_static_selectorELNS0_4arch9wavefront6targetE0EEEvT1_,@function
_ZN7rocprim17ROCPRIM_400000_NS6detail17trampoline_kernelINS0_14default_configENS1_27scan_by_key_config_selectorIiiEEZZNS1_16scan_by_key_implILNS1_25lookback_scan_determinismE0ELb1ES3_N6thrust23THRUST_200600_302600_NS6detail15normal_iteratorINS9_10device_ptrIiEEEESE_SE_iNS9_10multipliesIiEENS9_8equal_toIiEEiEE10hipError_tPvRmT2_T3_T4_T5_mT6_T7_P12ihipStream_tbENKUlT_T0_E_clISt17integral_constantIbLb1EESY_IbLb0EEEEDaSU_SV_EUlSU_E_NS1_11comp_targetILNS1_3genE3ELNS1_11target_archE908ELNS1_3gpuE7ELNS1_3repE0EEENS1_30default_config_static_selectorELNS0_4arch9wavefront6targetE0EEEvT1_: ; @_ZN7rocprim17ROCPRIM_400000_NS6detail17trampoline_kernelINS0_14default_configENS1_27scan_by_key_config_selectorIiiEEZZNS1_16scan_by_key_implILNS1_25lookback_scan_determinismE0ELb1ES3_N6thrust23THRUST_200600_302600_NS6detail15normal_iteratorINS9_10device_ptrIiEEEESE_SE_iNS9_10multipliesIiEENS9_8equal_toIiEEiEE10hipError_tPvRmT2_T3_T4_T5_mT6_T7_P12ihipStream_tbENKUlT_T0_E_clISt17integral_constantIbLb1EESY_IbLb0EEEEDaSU_SV_EUlSU_E_NS1_11comp_targetILNS1_3genE3ELNS1_11target_archE908ELNS1_3gpuE7ELNS1_3repE0EEENS1_30default_config_static_selectorELNS0_4arch9wavefront6targetE0EEEvT1_
; %bb.0:
	.section	.rodata,"a",@progbits
	.p2align	6, 0x0
	.amdhsa_kernel _ZN7rocprim17ROCPRIM_400000_NS6detail17trampoline_kernelINS0_14default_configENS1_27scan_by_key_config_selectorIiiEEZZNS1_16scan_by_key_implILNS1_25lookback_scan_determinismE0ELb1ES3_N6thrust23THRUST_200600_302600_NS6detail15normal_iteratorINS9_10device_ptrIiEEEESE_SE_iNS9_10multipliesIiEENS9_8equal_toIiEEiEE10hipError_tPvRmT2_T3_T4_T5_mT6_T7_P12ihipStream_tbENKUlT_T0_E_clISt17integral_constantIbLb1EESY_IbLb0EEEEDaSU_SV_EUlSU_E_NS1_11comp_targetILNS1_3genE3ELNS1_11target_archE908ELNS1_3gpuE7ELNS1_3repE0EEENS1_30default_config_static_selectorELNS0_4arch9wavefront6targetE0EEEvT1_
		.amdhsa_group_segment_fixed_size 0
		.amdhsa_private_segment_fixed_size 0
		.amdhsa_kernarg_size 112
		.amdhsa_user_sgpr_count 2
		.amdhsa_user_sgpr_dispatch_ptr 0
		.amdhsa_user_sgpr_queue_ptr 0
		.amdhsa_user_sgpr_kernarg_segment_ptr 1
		.amdhsa_user_sgpr_dispatch_id 0
		.amdhsa_user_sgpr_kernarg_preload_length 0
		.amdhsa_user_sgpr_kernarg_preload_offset 0
		.amdhsa_user_sgpr_private_segment_size 0
		.amdhsa_wavefront_size32 1
		.amdhsa_uses_dynamic_stack 0
		.amdhsa_enable_private_segment 0
		.amdhsa_system_sgpr_workgroup_id_x 1
		.amdhsa_system_sgpr_workgroup_id_y 0
		.amdhsa_system_sgpr_workgroup_id_z 0
		.amdhsa_system_sgpr_workgroup_info 0
		.amdhsa_system_vgpr_workitem_id 0
		.amdhsa_next_free_vgpr 1
		.amdhsa_next_free_sgpr 1
		.amdhsa_named_barrier_count 0
		.amdhsa_reserve_vcc 0
		.amdhsa_float_round_mode_32 0
		.amdhsa_float_round_mode_16_64 0
		.amdhsa_float_denorm_mode_32 3
		.amdhsa_float_denorm_mode_16_64 3
		.amdhsa_fp16_overflow 0
		.amdhsa_memory_ordered 1
		.amdhsa_forward_progress 1
		.amdhsa_inst_pref_size 0
		.amdhsa_round_robin_scheduling 0
		.amdhsa_exception_fp_ieee_invalid_op 0
		.amdhsa_exception_fp_denorm_src 0
		.amdhsa_exception_fp_ieee_div_zero 0
		.amdhsa_exception_fp_ieee_overflow 0
		.amdhsa_exception_fp_ieee_underflow 0
		.amdhsa_exception_fp_ieee_inexact 0
		.amdhsa_exception_int_div_zero 0
	.end_amdhsa_kernel
	.section	.text._ZN7rocprim17ROCPRIM_400000_NS6detail17trampoline_kernelINS0_14default_configENS1_27scan_by_key_config_selectorIiiEEZZNS1_16scan_by_key_implILNS1_25lookback_scan_determinismE0ELb1ES3_N6thrust23THRUST_200600_302600_NS6detail15normal_iteratorINS9_10device_ptrIiEEEESE_SE_iNS9_10multipliesIiEENS9_8equal_toIiEEiEE10hipError_tPvRmT2_T3_T4_T5_mT6_T7_P12ihipStream_tbENKUlT_T0_E_clISt17integral_constantIbLb1EESY_IbLb0EEEEDaSU_SV_EUlSU_E_NS1_11comp_targetILNS1_3genE3ELNS1_11target_archE908ELNS1_3gpuE7ELNS1_3repE0EEENS1_30default_config_static_selectorELNS0_4arch9wavefront6targetE0EEEvT1_,"axG",@progbits,_ZN7rocprim17ROCPRIM_400000_NS6detail17trampoline_kernelINS0_14default_configENS1_27scan_by_key_config_selectorIiiEEZZNS1_16scan_by_key_implILNS1_25lookback_scan_determinismE0ELb1ES3_N6thrust23THRUST_200600_302600_NS6detail15normal_iteratorINS9_10device_ptrIiEEEESE_SE_iNS9_10multipliesIiEENS9_8equal_toIiEEiEE10hipError_tPvRmT2_T3_T4_T5_mT6_T7_P12ihipStream_tbENKUlT_T0_E_clISt17integral_constantIbLb1EESY_IbLb0EEEEDaSU_SV_EUlSU_E_NS1_11comp_targetILNS1_3genE3ELNS1_11target_archE908ELNS1_3gpuE7ELNS1_3repE0EEENS1_30default_config_static_selectorELNS0_4arch9wavefront6targetE0EEEvT1_,comdat
.Lfunc_end519:
	.size	_ZN7rocprim17ROCPRIM_400000_NS6detail17trampoline_kernelINS0_14default_configENS1_27scan_by_key_config_selectorIiiEEZZNS1_16scan_by_key_implILNS1_25lookback_scan_determinismE0ELb1ES3_N6thrust23THRUST_200600_302600_NS6detail15normal_iteratorINS9_10device_ptrIiEEEESE_SE_iNS9_10multipliesIiEENS9_8equal_toIiEEiEE10hipError_tPvRmT2_T3_T4_T5_mT6_T7_P12ihipStream_tbENKUlT_T0_E_clISt17integral_constantIbLb1EESY_IbLb0EEEEDaSU_SV_EUlSU_E_NS1_11comp_targetILNS1_3genE3ELNS1_11target_archE908ELNS1_3gpuE7ELNS1_3repE0EEENS1_30default_config_static_selectorELNS0_4arch9wavefront6targetE0EEEvT1_, .Lfunc_end519-_ZN7rocprim17ROCPRIM_400000_NS6detail17trampoline_kernelINS0_14default_configENS1_27scan_by_key_config_selectorIiiEEZZNS1_16scan_by_key_implILNS1_25lookback_scan_determinismE0ELb1ES3_N6thrust23THRUST_200600_302600_NS6detail15normal_iteratorINS9_10device_ptrIiEEEESE_SE_iNS9_10multipliesIiEENS9_8equal_toIiEEiEE10hipError_tPvRmT2_T3_T4_T5_mT6_T7_P12ihipStream_tbENKUlT_T0_E_clISt17integral_constantIbLb1EESY_IbLb0EEEEDaSU_SV_EUlSU_E_NS1_11comp_targetILNS1_3genE3ELNS1_11target_archE908ELNS1_3gpuE7ELNS1_3repE0EEENS1_30default_config_static_selectorELNS0_4arch9wavefront6targetE0EEEvT1_
                                        ; -- End function
	.set _ZN7rocprim17ROCPRIM_400000_NS6detail17trampoline_kernelINS0_14default_configENS1_27scan_by_key_config_selectorIiiEEZZNS1_16scan_by_key_implILNS1_25lookback_scan_determinismE0ELb1ES3_N6thrust23THRUST_200600_302600_NS6detail15normal_iteratorINS9_10device_ptrIiEEEESE_SE_iNS9_10multipliesIiEENS9_8equal_toIiEEiEE10hipError_tPvRmT2_T3_T4_T5_mT6_T7_P12ihipStream_tbENKUlT_T0_E_clISt17integral_constantIbLb1EESY_IbLb0EEEEDaSU_SV_EUlSU_E_NS1_11comp_targetILNS1_3genE3ELNS1_11target_archE908ELNS1_3gpuE7ELNS1_3repE0EEENS1_30default_config_static_selectorELNS0_4arch9wavefront6targetE0EEEvT1_.num_vgpr, 0
	.set _ZN7rocprim17ROCPRIM_400000_NS6detail17trampoline_kernelINS0_14default_configENS1_27scan_by_key_config_selectorIiiEEZZNS1_16scan_by_key_implILNS1_25lookback_scan_determinismE0ELb1ES3_N6thrust23THRUST_200600_302600_NS6detail15normal_iteratorINS9_10device_ptrIiEEEESE_SE_iNS9_10multipliesIiEENS9_8equal_toIiEEiEE10hipError_tPvRmT2_T3_T4_T5_mT6_T7_P12ihipStream_tbENKUlT_T0_E_clISt17integral_constantIbLb1EESY_IbLb0EEEEDaSU_SV_EUlSU_E_NS1_11comp_targetILNS1_3genE3ELNS1_11target_archE908ELNS1_3gpuE7ELNS1_3repE0EEENS1_30default_config_static_selectorELNS0_4arch9wavefront6targetE0EEEvT1_.num_agpr, 0
	.set _ZN7rocprim17ROCPRIM_400000_NS6detail17trampoline_kernelINS0_14default_configENS1_27scan_by_key_config_selectorIiiEEZZNS1_16scan_by_key_implILNS1_25lookback_scan_determinismE0ELb1ES3_N6thrust23THRUST_200600_302600_NS6detail15normal_iteratorINS9_10device_ptrIiEEEESE_SE_iNS9_10multipliesIiEENS9_8equal_toIiEEiEE10hipError_tPvRmT2_T3_T4_T5_mT6_T7_P12ihipStream_tbENKUlT_T0_E_clISt17integral_constantIbLb1EESY_IbLb0EEEEDaSU_SV_EUlSU_E_NS1_11comp_targetILNS1_3genE3ELNS1_11target_archE908ELNS1_3gpuE7ELNS1_3repE0EEENS1_30default_config_static_selectorELNS0_4arch9wavefront6targetE0EEEvT1_.numbered_sgpr, 0
	.set _ZN7rocprim17ROCPRIM_400000_NS6detail17trampoline_kernelINS0_14default_configENS1_27scan_by_key_config_selectorIiiEEZZNS1_16scan_by_key_implILNS1_25lookback_scan_determinismE0ELb1ES3_N6thrust23THRUST_200600_302600_NS6detail15normal_iteratorINS9_10device_ptrIiEEEESE_SE_iNS9_10multipliesIiEENS9_8equal_toIiEEiEE10hipError_tPvRmT2_T3_T4_T5_mT6_T7_P12ihipStream_tbENKUlT_T0_E_clISt17integral_constantIbLb1EESY_IbLb0EEEEDaSU_SV_EUlSU_E_NS1_11comp_targetILNS1_3genE3ELNS1_11target_archE908ELNS1_3gpuE7ELNS1_3repE0EEENS1_30default_config_static_selectorELNS0_4arch9wavefront6targetE0EEEvT1_.num_named_barrier, 0
	.set _ZN7rocprim17ROCPRIM_400000_NS6detail17trampoline_kernelINS0_14default_configENS1_27scan_by_key_config_selectorIiiEEZZNS1_16scan_by_key_implILNS1_25lookback_scan_determinismE0ELb1ES3_N6thrust23THRUST_200600_302600_NS6detail15normal_iteratorINS9_10device_ptrIiEEEESE_SE_iNS9_10multipliesIiEENS9_8equal_toIiEEiEE10hipError_tPvRmT2_T3_T4_T5_mT6_T7_P12ihipStream_tbENKUlT_T0_E_clISt17integral_constantIbLb1EESY_IbLb0EEEEDaSU_SV_EUlSU_E_NS1_11comp_targetILNS1_3genE3ELNS1_11target_archE908ELNS1_3gpuE7ELNS1_3repE0EEENS1_30default_config_static_selectorELNS0_4arch9wavefront6targetE0EEEvT1_.private_seg_size, 0
	.set _ZN7rocprim17ROCPRIM_400000_NS6detail17trampoline_kernelINS0_14default_configENS1_27scan_by_key_config_selectorIiiEEZZNS1_16scan_by_key_implILNS1_25lookback_scan_determinismE0ELb1ES3_N6thrust23THRUST_200600_302600_NS6detail15normal_iteratorINS9_10device_ptrIiEEEESE_SE_iNS9_10multipliesIiEENS9_8equal_toIiEEiEE10hipError_tPvRmT2_T3_T4_T5_mT6_T7_P12ihipStream_tbENKUlT_T0_E_clISt17integral_constantIbLb1EESY_IbLb0EEEEDaSU_SV_EUlSU_E_NS1_11comp_targetILNS1_3genE3ELNS1_11target_archE908ELNS1_3gpuE7ELNS1_3repE0EEENS1_30default_config_static_selectorELNS0_4arch9wavefront6targetE0EEEvT1_.uses_vcc, 0
	.set _ZN7rocprim17ROCPRIM_400000_NS6detail17trampoline_kernelINS0_14default_configENS1_27scan_by_key_config_selectorIiiEEZZNS1_16scan_by_key_implILNS1_25lookback_scan_determinismE0ELb1ES3_N6thrust23THRUST_200600_302600_NS6detail15normal_iteratorINS9_10device_ptrIiEEEESE_SE_iNS9_10multipliesIiEENS9_8equal_toIiEEiEE10hipError_tPvRmT2_T3_T4_T5_mT6_T7_P12ihipStream_tbENKUlT_T0_E_clISt17integral_constantIbLb1EESY_IbLb0EEEEDaSU_SV_EUlSU_E_NS1_11comp_targetILNS1_3genE3ELNS1_11target_archE908ELNS1_3gpuE7ELNS1_3repE0EEENS1_30default_config_static_selectorELNS0_4arch9wavefront6targetE0EEEvT1_.uses_flat_scratch, 0
	.set _ZN7rocprim17ROCPRIM_400000_NS6detail17trampoline_kernelINS0_14default_configENS1_27scan_by_key_config_selectorIiiEEZZNS1_16scan_by_key_implILNS1_25lookback_scan_determinismE0ELb1ES3_N6thrust23THRUST_200600_302600_NS6detail15normal_iteratorINS9_10device_ptrIiEEEESE_SE_iNS9_10multipliesIiEENS9_8equal_toIiEEiEE10hipError_tPvRmT2_T3_T4_T5_mT6_T7_P12ihipStream_tbENKUlT_T0_E_clISt17integral_constantIbLb1EESY_IbLb0EEEEDaSU_SV_EUlSU_E_NS1_11comp_targetILNS1_3genE3ELNS1_11target_archE908ELNS1_3gpuE7ELNS1_3repE0EEENS1_30default_config_static_selectorELNS0_4arch9wavefront6targetE0EEEvT1_.has_dyn_sized_stack, 0
	.set _ZN7rocprim17ROCPRIM_400000_NS6detail17trampoline_kernelINS0_14default_configENS1_27scan_by_key_config_selectorIiiEEZZNS1_16scan_by_key_implILNS1_25lookback_scan_determinismE0ELb1ES3_N6thrust23THRUST_200600_302600_NS6detail15normal_iteratorINS9_10device_ptrIiEEEESE_SE_iNS9_10multipliesIiEENS9_8equal_toIiEEiEE10hipError_tPvRmT2_T3_T4_T5_mT6_T7_P12ihipStream_tbENKUlT_T0_E_clISt17integral_constantIbLb1EESY_IbLb0EEEEDaSU_SV_EUlSU_E_NS1_11comp_targetILNS1_3genE3ELNS1_11target_archE908ELNS1_3gpuE7ELNS1_3repE0EEENS1_30default_config_static_selectorELNS0_4arch9wavefront6targetE0EEEvT1_.has_recursion, 0
	.set _ZN7rocprim17ROCPRIM_400000_NS6detail17trampoline_kernelINS0_14default_configENS1_27scan_by_key_config_selectorIiiEEZZNS1_16scan_by_key_implILNS1_25lookback_scan_determinismE0ELb1ES3_N6thrust23THRUST_200600_302600_NS6detail15normal_iteratorINS9_10device_ptrIiEEEESE_SE_iNS9_10multipliesIiEENS9_8equal_toIiEEiEE10hipError_tPvRmT2_T3_T4_T5_mT6_T7_P12ihipStream_tbENKUlT_T0_E_clISt17integral_constantIbLb1EESY_IbLb0EEEEDaSU_SV_EUlSU_E_NS1_11comp_targetILNS1_3genE3ELNS1_11target_archE908ELNS1_3gpuE7ELNS1_3repE0EEENS1_30default_config_static_selectorELNS0_4arch9wavefront6targetE0EEEvT1_.has_indirect_call, 0
	.section	.AMDGPU.csdata,"",@progbits
; Kernel info:
; codeLenInByte = 0
; TotalNumSgprs: 0
; NumVgprs: 0
; ScratchSize: 0
; MemoryBound: 0
; FloatMode: 240
; IeeeMode: 1
; LDSByteSize: 0 bytes/workgroup (compile time only)
; SGPRBlocks: 0
; VGPRBlocks: 0
; NumSGPRsForWavesPerEU: 1
; NumVGPRsForWavesPerEU: 1
; NamedBarCnt: 0
; Occupancy: 16
; WaveLimiterHint : 0
; COMPUTE_PGM_RSRC2:SCRATCH_EN: 0
; COMPUTE_PGM_RSRC2:USER_SGPR: 2
; COMPUTE_PGM_RSRC2:TRAP_HANDLER: 0
; COMPUTE_PGM_RSRC2:TGID_X_EN: 1
; COMPUTE_PGM_RSRC2:TGID_Y_EN: 0
; COMPUTE_PGM_RSRC2:TGID_Z_EN: 0
; COMPUTE_PGM_RSRC2:TIDIG_COMP_CNT: 0
	.section	.text._ZN7rocprim17ROCPRIM_400000_NS6detail17trampoline_kernelINS0_14default_configENS1_27scan_by_key_config_selectorIiiEEZZNS1_16scan_by_key_implILNS1_25lookback_scan_determinismE0ELb1ES3_N6thrust23THRUST_200600_302600_NS6detail15normal_iteratorINS9_10device_ptrIiEEEESE_SE_iNS9_10multipliesIiEENS9_8equal_toIiEEiEE10hipError_tPvRmT2_T3_T4_T5_mT6_T7_P12ihipStream_tbENKUlT_T0_E_clISt17integral_constantIbLb1EESY_IbLb0EEEEDaSU_SV_EUlSU_E_NS1_11comp_targetILNS1_3genE2ELNS1_11target_archE906ELNS1_3gpuE6ELNS1_3repE0EEENS1_30default_config_static_selectorELNS0_4arch9wavefront6targetE0EEEvT1_,"axG",@progbits,_ZN7rocprim17ROCPRIM_400000_NS6detail17trampoline_kernelINS0_14default_configENS1_27scan_by_key_config_selectorIiiEEZZNS1_16scan_by_key_implILNS1_25lookback_scan_determinismE0ELb1ES3_N6thrust23THRUST_200600_302600_NS6detail15normal_iteratorINS9_10device_ptrIiEEEESE_SE_iNS9_10multipliesIiEENS9_8equal_toIiEEiEE10hipError_tPvRmT2_T3_T4_T5_mT6_T7_P12ihipStream_tbENKUlT_T0_E_clISt17integral_constantIbLb1EESY_IbLb0EEEEDaSU_SV_EUlSU_E_NS1_11comp_targetILNS1_3genE2ELNS1_11target_archE906ELNS1_3gpuE6ELNS1_3repE0EEENS1_30default_config_static_selectorELNS0_4arch9wavefront6targetE0EEEvT1_,comdat
	.protected	_ZN7rocprim17ROCPRIM_400000_NS6detail17trampoline_kernelINS0_14default_configENS1_27scan_by_key_config_selectorIiiEEZZNS1_16scan_by_key_implILNS1_25lookback_scan_determinismE0ELb1ES3_N6thrust23THRUST_200600_302600_NS6detail15normal_iteratorINS9_10device_ptrIiEEEESE_SE_iNS9_10multipliesIiEENS9_8equal_toIiEEiEE10hipError_tPvRmT2_T3_T4_T5_mT6_T7_P12ihipStream_tbENKUlT_T0_E_clISt17integral_constantIbLb1EESY_IbLb0EEEEDaSU_SV_EUlSU_E_NS1_11comp_targetILNS1_3genE2ELNS1_11target_archE906ELNS1_3gpuE6ELNS1_3repE0EEENS1_30default_config_static_selectorELNS0_4arch9wavefront6targetE0EEEvT1_ ; -- Begin function _ZN7rocprim17ROCPRIM_400000_NS6detail17trampoline_kernelINS0_14default_configENS1_27scan_by_key_config_selectorIiiEEZZNS1_16scan_by_key_implILNS1_25lookback_scan_determinismE0ELb1ES3_N6thrust23THRUST_200600_302600_NS6detail15normal_iteratorINS9_10device_ptrIiEEEESE_SE_iNS9_10multipliesIiEENS9_8equal_toIiEEiEE10hipError_tPvRmT2_T3_T4_T5_mT6_T7_P12ihipStream_tbENKUlT_T0_E_clISt17integral_constantIbLb1EESY_IbLb0EEEEDaSU_SV_EUlSU_E_NS1_11comp_targetILNS1_3genE2ELNS1_11target_archE906ELNS1_3gpuE6ELNS1_3repE0EEENS1_30default_config_static_selectorELNS0_4arch9wavefront6targetE0EEEvT1_
	.globl	_ZN7rocprim17ROCPRIM_400000_NS6detail17trampoline_kernelINS0_14default_configENS1_27scan_by_key_config_selectorIiiEEZZNS1_16scan_by_key_implILNS1_25lookback_scan_determinismE0ELb1ES3_N6thrust23THRUST_200600_302600_NS6detail15normal_iteratorINS9_10device_ptrIiEEEESE_SE_iNS9_10multipliesIiEENS9_8equal_toIiEEiEE10hipError_tPvRmT2_T3_T4_T5_mT6_T7_P12ihipStream_tbENKUlT_T0_E_clISt17integral_constantIbLb1EESY_IbLb0EEEEDaSU_SV_EUlSU_E_NS1_11comp_targetILNS1_3genE2ELNS1_11target_archE906ELNS1_3gpuE6ELNS1_3repE0EEENS1_30default_config_static_selectorELNS0_4arch9wavefront6targetE0EEEvT1_
	.p2align	8
	.type	_ZN7rocprim17ROCPRIM_400000_NS6detail17trampoline_kernelINS0_14default_configENS1_27scan_by_key_config_selectorIiiEEZZNS1_16scan_by_key_implILNS1_25lookback_scan_determinismE0ELb1ES3_N6thrust23THRUST_200600_302600_NS6detail15normal_iteratorINS9_10device_ptrIiEEEESE_SE_iNS9_10multipliesIiEENS9_8equal_toIiEEiEE10hipError_tPvRmT2_T3_T4_T5_mT6_T7_P12ihipStream_tbENKUlT_T0_E_clISt17integral_constantIbLb1EESY_IbLb0EEEEDaSU_SV_EUlSU_E_NS1_11comp_targetILNS1_3genE2ELNS1_11target_archE906ELNS1_3gpuE6ELNS1_3repE0EEENS1_30default_config_static_selectorELNS0_4arch9wavefront6targetE0EEEvT1_,@function
_ZN7rocprim17ROCPRIM_400000_NS6detail17trampoline_kernelINS0_14default_configENS1_27scan_by_key_config_selectorIiiEEZZNS1_16scan_by_key_implILNS1_25lookback_scan_determinismE0ELb1ES3_N6thrust23THRUST_200600_302600_NS6detail15normal_iteratorINS9_10device_ptrIiEEEESE_SE_iNS9_10multipliesIiEENS9_8equal_toIiEEiEE10hipError_tPvRmT2_T3_T4_T5_mT6_T7_P12ihipStream_tbENKUlT_T0_E_clISt17integral_constantIbLb1EESY_IbLb0EEEEDaSU_SV_EUlSU_E_NS1_11comp_targetILNS1_3genE2ELNS1_11target_archE906ELNS1_3gpuE6ELNS1_3repE0EEENS1_30default_config_static_selectorELNS0_4arch9wavefront6targetE0EEEvT1_: ; @_ZN7rocprim17ROCPRIM_400000_NS6detail17trampoline_kernelINS0_14default_configENS1_27scan_by_key_config_selectorIiiEEZZNS1_16scan_by_key_implILNS1_25lookback_scan_determinismE0ELb1ES3_N6thrust23THRUST_200600_302600_NS6detail15normal_iteratorINS9_10device_ptrIiEEEESE_SE_iNS9_10multipliesIiEENS9_8equal_toIiEEiEE10hipError_tPvRmT2_T3_T4_T5_mT6_T7_P12ihipStream_tbENKUlT_T0_E_clISt17integral_constantIbLb1EESY_IbLb0EEEEDaSU_SV_EUlSU_E_NS1_11comp_targetILNS1_3genE2ELNS1_11target_archE906ELNS1_3gpuE6ELNS1_3repE0EEENS1_30default_config_static_selectorELNS0_4arch9wavefront6targetE0EEEvT1_
; %bb.0:
	.section	.rodata,"a",@progbits
	.p2align	6, 0x0
	.amdhsa_kernel _ZN7rocprim17ROCPRIM_400000_NS6detail17trampoline_kernelINS0_14default_configENS1_27scan_by_key_config_selectorIiiEEZZNS1_16scan_by_key_implILNS1_25lookback_scan_determinismE0ELb1ES3_N6thrust23THRUST_200600_302600_NS6detail15normal_iteratorINS9_10device_ptrIiEEEESE_SE_iNS9_10multipliesIiEENS9_8equal_toIiEEiEE10hipError_tPvRmT2_T3_T4_T5_mT6_T7_P12ihipStream_tbENKUlT_T0_E_clISt17integral_constantIbLb1EESY_IbLb0EEEEDaSU_SV_EUlSU_E_NS1_11comp_targetILNS1_3genE2ELNS1_11target_archE906ELNS1_3gpuE6ELNS1_3repE0EEENS1_30default_config_static_selectorELNS0_4arch9wavefront6targetE0EEEvT1_
		.amdhsa_group_segment_fixed_size 0
		.amdhsa_private_segment_fixed_size 0
		.amdhsa_kernarg_size 112
		.amdhsa_user_sgpr_count 2
		.amdhsa_user_sgpr_dispatch_ptr 0
		.amdhsa_user_sgpr_queue_ptr 0
		.amdhsa_user_sgpr_kernarg_segment_ptr 1
		.amdhsa_user_sgpr_dispatch_id 0
		.amdhsa_user_sgpr_kernarg_preload_length 0
		.amdhsa_user_sgpr_kernarg_preload_offset 0
		.amdhsa_user_sgpr_private_segment_size 0
		.amdhsa_wavefront_size32 1
		.amdhsa_uses_dynamic_stack 0
		.amdhsa_enable_private_segment 0
		.amdhsa_system_sgpr_workgroup_id_x 1
		.amdhsa_system_sgpr_workgroup_id_y 0
		.amdhsa_system_sgpr_workgroup_id_z 0
		.amdhsa_system_sgpr_workgroup_info 0
		.amdhsa_system_vgpr_workitem_id 0
		.amdhsa_next_free_vgpr 1
		.amdhsa_next_free_sgpr 1
		.amdhsa_named_barrier_count 0
		.amdhsa_reserve_vcc 0
		.amdhsa_float_round_mode_32 0
		.amdhsa_float_round_mode_16_64 0
		.amdhsa_float_denorm_mode_32 3
		.amdhsa_float_denorm_mode_16_64 3
		.amdhsa_fp16_overflow 0
		.amdhsa_memory_ordered 1
		.amdhsa_forward_progress 1
		.amdhsa_inst_pref_size 0
		.amdhsa_round_robin_scheduling 0
		.amdhsa_exception_fp_ieee_invalid_op 0
		.amdhsa_exception_fp_denorm_src 0
		.amdhsa_exception_fp_ieee_div_zero 0
		.amdhsa_exception_fp_ieee_overflow 0
		.amdhsa_exception_fp_ieee_underflow 0
		.amdhsa_exception_fp_ieee_inexact 0
		.amdhsa_exception_int_div_zero 0
	.end_amdhsa_kernel
	.section	.text._ZN7rocprim17ROCPRIM_400000_NS6detail17trampoline_kernelINS0_14default_configENS1_27scan_by_key_config_selectorIiiEEZZNS1_16scan_by_key_implILNS1_25lookback_scan_determinismE0ELb1ES3_N6thrust23THRUST_200600_302600_NS6detail15normal_iteratorINS9_10device_ptrIiEEEESE_SE_iNS9_10multipliesIiEENS9_8equal_toIiEEiEE10hipError_tPvRmT2_T3_T4_T5_mT6_T7_P12ihipStream_tbENKUlT_T0_E_clISt17integral_constantIbLb1EESY_IbLb0EEEEDaSU_SV_EUlSU_E_NS1_11comp_targetILNS1_3genE2ELNS1_11target_archE906ELNS1_3gpuE6ELNS1_3repE0EEENS1_30default_config_static_selectorELNS0_4arch9wavefront6targetE0EEEvT1_,"axG",@progbits,_ZN7rocprim17ROCPRIM_400000_NS6detail17trampoline_kernelINS0_14default_configENS1_27scan_by_key_config_selectorIiiEEZZNS1_16scan_by_key_implILNS1_25lookback_scan_determinismE0ELb1ES3_N6thrust23THRUST_200600_302600_NS6detail15normal_iteratorINS9_10device_ptrIiEEEESE_SE_iNS9_10multipliesIiEENS9_8equal_toIiEEiEE10hipError_tPvRmT2_T3_T4_T5_mT6_T7_P12ihipStream_tbENKUlT_T0_E_clISt17integral_constantIbLb1EESY_IbLb0EEEEDaSU_SV_EUlSU_E_NS1_11comp_targetILNS1_3genE2ELNS1_11target_archE906ELNS1_3gpuE6ELNS1_3repE0EEENS1_30default_config_static_selectorELNS0_4arch9wavefront6targetE0EEEvT1_,comdat
.Lfunc_end520:
	.size	_ZN7rocprim17ROCPRIM_400000_NS6detail17trampoline_kernelINS0_14default_configENS1_27scan_by_key_config_selectorIiiEEZZNS1_16scan_by_key_implILNS1_25lookback_scan_determinismE0ELb1ES3_N6thrust23THRUST_200600_302600_NS6detail15normal_iteratorINS9_10device_ptrIiEEEESE_SE_iNS9_10multipliesIiEENS9_8equal_toIiEEiEE10hipError_tPvRmT2_T3_T4_T5_mT6_T7_P12ihipStream_tbENKUlT_T0_E_clISt17integral_constantIbLb1EESY_IbLb0EEEEDaSU_SV_EUlSU_E_NS1_11comp_targetILNS1_3genE2ELNS1_11target_archE906ELNS1_3gpuE6ELNS1_3repE0EEENS1_30default_config_static_selectorELNS0_4arch9wavefront6targetE0EEEvT1_, .Lfunc_end520-_ZN7rocprim17ROCPRIM_400000_NS6detail17trampoline_kernelINS0_14default_configENS1_27scan_by_key_config_selectorIiiEEZZNS1_16scan_by_key_implILNS1_25lookback_scan_determinismE0ELb1ES3_N6thrust23THRUST_200600_302600_NS6detail15normal_iteratorINS9_10device_ptrIiEEEESE_SE_iNS9_10multipliesIiEENS9_8equal_toIiEEiEE10hipError_tPvRmT2_T3_T4_T5_mT6_T7_P12ihipStream_tbENKUlT_T0_E_clISt17integral_constantIbLb1EESY_IbLb0EEEEDaSU_SV_EUlSU_E_NS1_11comp_targetILNS1_3genE2ELNS1_11target_archE906ELNS1_3gpuE6ELNS1_3repE0EEENS1_30default_config_static_selectorELNS0_4arch9wavefront6targetE0EEEvT1_
                                        ; -- End function
	.set _ZN7rocprim17ROCPRIM_400000_NS6detail17trampoline_kernelINS0_14default_configENS1_27scan_by_key_config_selectorIiiEEZZNS1_16scan_by_key_implILNS1_25lookback_scan_determinismE0ELb1ES3_N6thrust23THRUST_200600_302600_NS6detail15normal_iteratorINS9_10device_ptrIiEEEESE_SE_iNS9_10multipliesIiEENS9_8equal_toIiEEiEE10hipError_tPvRmT2_T3_T4_T5_mT6_T7_P12ihipStream_tbENKUlT_T0_E_clISt17integral_constantIbLb1EESY_IbLb0EEEEDaSU_SV_EUlSU_E_NS1_11comp_targetILNS1_3genE2ELNS1_11target_archE906ELNS1_3gpuE6ELNS1_3repE0EEENS1_30default_config_static_selectorELNS0_4arch9wavefront6targetE0EEEvT1_.num_vgpr, 0
	.set _ZN7rocprim17ROCPRIM_400000_NS6detail17trampoline_kernelINS0_14default_configENS1_27scan_by_key_config_selectorIiiEEZZNS1_16scan_by_key_implILNS1_25lookback_scan_determinismE0ELb1ES3_N6thrust23THRUST_200600_302600_NS6detail15normal_iteratorINS9_10device_ptrIiEEEESE_SE_iNS9_10multipliesIiEENS9_8equal_toIiEEiEE10hipError_tPvRmT2_T3_T4_T5_mT6_T7_P12ihipStream_tbENKUlT_T0_E_clISt17integral_constantIbLb1EESY_IbLb0EEEEDaSU_SV_EUlSU_E_NS1_11comp_targetILNS1_3genE2ELNS1_11target_archE906ELNS1_3gpuE6ELNS1_3repE0EEENS1_30default_config_static_selectorELNS0_4arch9wavefront6targetE0EEEvT1_.num_agpr, 0
	.set _ZN7rocprim17ROCPRIM_400000_NS6detail17trampoline_kernelINS0_14default_configENS1_27scan_by_key_config_selectorIiiEEZZNS1_16scan_by_key_implILNS1_25lookback_scan_determinismE0ELb1ES3_N6thrust23THRUST_200600_302600_NS6detail15normal_iteratorINS9_10device_ptrIiEEEESE_SE_iNS9_10multipliesIiEENS9_8equal_toIiEEiEE10hipError_tPvRmT2_T3_T4_T5_mT6_T7_P12ihipStream_tbENKUlT_T0_E_clISt17integral_constantIbLb1EESY_IbLb0EEEEDaSU_SV_EUlSU_E_NS1_11comp_targetILNS1_3genE2ELNS1_11target_archE906ELNS1_3gpuE6ELNS1_3repE0EEENS1_30default_config_static_selectorELNS0_4arch9wavefront6targetE0EEEvT1_.numbered_sgpr, 0
	.set _ZN7rocprim17ROCPRIM_400000_NS6detail17trampoline_kernelINS0_14default_configENS1_27scan_by_key_config_selectorIiiEEZZNS1_16scan_by_key_implILNS1_25lookback_scan_determinismE0ELb1ES3_N6thrust23THRUST_200600_302600_NS6detail15normal_iteratorINS9_10device_ptrIiEEEESE_SE_iNS9_10multipliesIiEENS9_8equal_toIiEEiEE10hipError_tPvRmT2_T3_T4_T5_mT6_T7_P12ihipStream_tbENKUlT_T0_E_clISt17integral_constantIbLb1EESY_IbLb0EEEEDaSU_SV_EUlSU_E_NS1_11comp_targetILNS1_3genE2ELNS1_11target_archE906ELNS1_3gpuE6ELNS1_3repE0EEENS1_30default_config_static_selectorELNS0_4arch9wavefront6targetE0EEEvT1_.num_named_barrier, 0
	.set _ZN7rocprim17ROCPRIM_400000_NS6detail17trampoline_kernelINS0_14default_configENS1_27scan_by_key_config_selectorIiiEEZZNS1_16scan_by_key_implILNS1_25lookback_scan_determinismE0ELb1ES3_N6thrust23THRUST_200600_302600_NS6detail15normal_iteratorINS9_10device_ptrIiEEEESE_SE_iNS9_10multipliesIiEENS9_8equal_toIiEEiEE10hipError_tPvRmT2_T3_T4_T5_mT6_T7_P12ihipStream_tbENKUlT_T0_E_clISt17integral_constantIbLb1EESY_IbLb0EEEEDaSU_SV_EUlSU_E_NS1_11comp_targetILNS1_3genE2ELNS1_11target_archE906ELNS1_3gpuE6ELNS1_3repE0EEENS1_30default_config_static_selectorELNS0_4arch9wavefront6targetE0EEEvT1_.private_seg_size, 0
	.set _ZN7rocprim17ROCPRIM_400000_NS6detail17trampoline_kernelINS0_14default_configENS1_27scan_by_key_config_selectorIiiEEZZNS1_16scan_by_key_implILNS1_25lookback_scan_determinismE0ELb1ES3_N6thrust23THRUST_200600_302600_NS6detail15normal_iteratorINS9_10device_ptrIiEEEESE_SE_iNS9_10multipliesIiEENS9_8equal_toIiEEiEE10hipError_tPvRmT2_T3_T4_T5_mT6_T7_P12ihipStream_tbENKUlT_T0_E_clISt17integral_constantIbLb1EESY_IbLb0EEEEDaSU_SV_EUlSU_E_NS1_11comp_targetILNS1_3genE2ELNS1_11target_archE906ELNS1_3gpuE6ELNS1_3repE0EEENS1_30default_config_static_selectorELNS0_4arch9wavefront6targetE0EEEvT1_.uses_vcc, 0
	.set _ZN7rocprim17ROCPRIM_400000_NS6detail17trampoline_kernelINS0_14default_configENS1_27scan_by_key_config_selectorIiiEEZZNS1_16scan_by_key_implILNS1_25lookback_scan_determinismE0ELb1ES3_N6thrust23THRUST_200600_302600_NS6detail15normal_iteratorINS9_10device_ptrIiEEEESE_SE_iNS9_10multipliesIiEENS9_8equal_toIiEEiEE10hipError_tPvRmT2_T3_T4_T5_mT6_T7_P12ihipStream_tbENKUlT_T0_E_clISt17integral_constantIbLb1EESY_IbLb0EEEEDaSU_SV_EUlSU_E_NS1_11comp_targetILNS1_3genE2ELNS1_11target_archE906ELNS1_3gpuE6ELNS1_3repE0EEENS1_30default_config_static_selectorELNS0_4arch9wavefront6targetE0EEEvT1_.uses_flat_scratch, 0
	.set _ZN7rocprim17ROCPRIM_400000_NS6detail17trampoline_kernelINS0_14default_configENS1_27scan_by_key_config_selectorIiiEEZZNS1_16scan_by_key_implILNS1_25lookback_scan_determinismE0ELb1ES3_N6thrust23THRUST_200600_302600_NS6detail15normal_iteratorINS9_10device_ptrIiEEEESE_SE_iNS9_10multipliesIiEENS9_8equal_toIiEEiEE10hipError_tPvRmT2_T3_T4_T5_mT6_T7_P12ihipStream_tbENKUlT_T0_E_clISt17integral_constantIbLb1EESY_IbLb0EEEEDaSU_SV_EUlSU_E_NS1_11comp_targetILNS1_3genE2ELNS1_11target_archE906ELNS1_3gpuE6ELNS1_3repE0EEENS1_30default_config_static_selectorELNS0_4arch9wavefront6targetE0EEEvT1_.has_dyn_sized_stack, 0
	.set _ZN7rocprim17ROCPRIM_400000_NS6detail17trampoline_kernelINS0_14default_configENS1_27scan_by_key_config_selectorIiiEEZZNS1_16scan_by_key_implILNS1_25lookback_scan_determinismE0ELb1ES3_N6thrust23THRUST_200600_302600_NS6detail15normal_iteratorINS9_10device_ptrIiEEEESE_SE_iNS9_10multipliesIiEENS9_8equal_toIiEEiEE10hipError_tPvRmT2_T3_T4_T5_mT6_T7_P12ihipStream_tbENKUlT_T0_E_clISt17integral_constantIbLb1EESY_IbLb0EEEEDaSU_SV_EUlSU_E_NS1_11comp_targetILNS1_3genE2ELNS1_11target_archE906ELNS1_3gpuE6ELNS1_3repE0EEENS1_30default_config_static_selectorELNS0_4arch9wavefront6targetE0EEEvT1_.has_recursion, 0
	.set _ZN7rocprim17ROCPRIM_400000_NS6detail17trampoline_kernelINS0_14default_configENS1_27scan_by_key_config_selectorIiiEEZZNS1_16scan_by_key_implILNS1_25lookback_scan_determinismE0ELb1ES3_N6thrust23THRUST_200600_302600_NS6detail15normal_iteratorINS9_10device_ptrIiEEEESE_SE_iNS9_10multipliesIiEENS9_8equal_toIiEEiEE10hipError_tPvRmT2_T3_T4_T5_mT6_T7_P12ihipStream_tbENKUlT_T0_E_clISt17integral_constantIbLb1EESY_IbLb0EEEEDaSU_SV_EUlSU_E_NS1_11comp_targetILNS1_3genE2ELNS1_11target_archE906ELNS1_3gpuE6ELNS1_3repE0EEENS1_30default_config_static_selectorELNS0_4arch9wavefront6targetE0EEEvT1_.has_indirect_call, 0
	.section	.AMDGPU.csdata,"",@progbits
; Kernel info:
; codeLenInByte = 0
; TotalNumSgprs: 0
; NumVgprs: 0
; ScratchSize: 0
; MemoryBound: 0
; FloatMode: 240
; IeeeMode: 1
; LDSByteSize: 0 bytes/workgroup (compile time only)
; SGPRBlocks: 0
; VGPRBlocks: 0
; NumSGPRsForWavesPerEU: 1
; NumVGPRsForWavesPerEU: 1
; NamedBarCnt: 0
; Occupancy: 16
; WaveLimiterHint : 0
; COMPUTE_PGM_RSRC2:SCRATCH_EN: 0
; COMPUTE_PGM_RSRC2:USER_SGPR: 2
; COMPUTE_PGM_RSRC2:TRAP_HANDLER: 0
; COMPUTE_PGM_RSRC2:TGID_X_EN: 1
; COMPUTE_PGM_RSRC2:TGID_Y_EN: 0
; COMPUTE_PGM_RSRC2:TGID_Z_EN: 0
; COMPUTE_PGM_RSRC2:TIDIG_COMP_CNT: 0
	.section	.text._ZN7rocprim17ROCPRIM_400000_NS6detail17trampoline_kernelINS0_14default_configENS1_27scan_by_key_config_selectorIiiEEZZNS1_16scan_by_key_implILNS1_25lookback_scan_determinismE0ELb1ES3_N6thrust23THRUST_200600_302600_NS6detail15normal_iteratorINS9_10device_ptrIiEEEESE_SE_iNS9_10multipliesIiEENS9_8equal_toIiEEiEE10hipError_tPvRmT2_T3_T4_T5_mT6_T7_P12ihipStream_tbENKUlT_T0_E_clISt17integral_constantIbLb1EESY_IbLb0EEEEDaSU_SV_EUlSU_E_NS1_11comp_targetILNS1_3genE10ELNS1_11target_archE1200ELNS1_3gpuE4ELNS1_3repE0EEENS1_30default_config_static_selectorELNS0_4arch9wavefront6targetE0EEEvT1_,"axG",@progbits,_ZN7rocprim17ROCPRIM_400000_NS6detail17trampoline_kernelINS0_14default_configENS1_27scan_by_key_config_selectorIiiEEZZNS1_16scan_by_key_implILNS1_25lookback_scan_determinismE0ELb1ES3_N6thrust23THRUST_200600_302600_NS6detail15normal_iteratorINS9_10device_ptrIiEEEESE_SE_iNS9_10multipliesIiEENS9_8equal_toIiEEiEE10hipError_tPvRmT2_T3_T4_T5_mT6_T7_P12ihipStream_tbENKUlT_T0_E_clISt17integral_constantIbLb1EESY_IbLb0EEEEDaSU_SV_EUlSU_E_NS1_11comp_targetILNS1_3genE10ELNS1_11target_archE1200ELNS1_3gpuE4ELNS1_3repE0EEENS1_30default_config_static_selectorELNS0_4arch9wavefront6targetE0EEEvT1_,comdat
	.protected	_ZN7rocprim17ROCPRIM_400000_NS6detail17trampoline_kernelINS0_14default_configENS1_27scan_by_key_config_selectorIiiEEZZNS1_16scan_by_key_implILNS1_25lookback_scan_determinismE0ELb1ES3_N6thrust23THRUST_200600_302600_NS6detail15normal_iteratorINS9_10device_ptrIiEEEESE_SE_iNS9_10multipliesIiEENS9_8equal_toIiEEiEE10hipError_tPvRmT2_T3_T4_T5_mT6_T7_P12ihipStream_tbENKUlT_T0_E_clISt17integral_constantIbLb1EESY_IbLb0EEEEDaSU_SV_EUlSU_E_NS1_11comp_targetILNS1_3genE10ELNS1_11target_archE1200ELNS1_3gpuE4ELNS1_3repE0EEENS1_30default_config_static_selectorELNS0_4arch9wavefront6targetE0EEEvT1_ ; -- Begin function _ZN7rocprim17ROCPRIM_400000_NS6detail17trampoline_kernelINS0_14default_configENS1_27scan_by_key_config_selectorIiiEEZZNS1_16scan_by_key_implILNS1_25lookback_scan_determinismE0ELb1ES3_N6thrust23THRUST_200600_302600_NS6detail15normal_iteratorINS9_10device_ptrIiEEEESE_SE_iNS9_10multipliesIiEENS9_8equal_toIiEEiEE10hipError_tPvRmT2_T3_T4_T5_mT6_T7_P12ihipStream_tbENKUlT_T0_E_clISt17integral_constantIbLb1EESY_IbLb0EEEEDaSU_SV_EUlSU_E_NS1_11comp_targetILNS1_3genE10ELNS1_11target_archE1200ELNS1_3gpuE4ELNS1_3repE0EEENS1_30default_config_static_selectorELNS0_4arch9wavefront6targetE0EEEvT1_
	.globl	_ZN7rocprim17ROCPRIM_400000_NS6detail17trampoline_kernelINS0_14default_configENS1_27scan_by_key_config_selectorIiiEEZZNS1_16scan_by_key_implILNS1_25lookback_scan_determinismE0ELb1ES3_N6thrust23THRUST_200600_302600_NS6detail15normal_iteratorINS9_10device_ptrIiEEEESE_SE_iNS9_10multipliesIiEENS9_8equal_toIiEEiEE10hipError_tPvRmT2_T3_T4_T5_mT6_T7_P12ihipStream_tbENKUlT_T0_E_clISt17integral_constantIbLb1EESY_IbLb0EEEEDaSU_SV_EUlSU_E_NS1_11comp_targetILNS1_3genE10ELNS1_11target_archE1200ELNS1_3gpuE4ELNS1_3repE0EEENS1_30default_config_static_selectorELNS0_4arch9wavefront6targetE0EEEvT1_
	.p2align	8
	.type	_ZN7rocprim17ROCPRIM_400000_NS6detail17trampoline_kernelINS0_14default_configENS1_27scan_by_key_config_selectorIiiEEZZNS1_16scan_by_key_implILNS1_25lookback_scan_determinismE0ELb1ES3_N6thrust23THRUST_200600_302600_NS6detail15normal_iteratorINS9_10device_ptrIiEEEESE_SE_iNS9_10multipliesIiEENS9_8equal_toIiEEiEE10hipError_tPvRmT2_T3_T4_T5_mT6_T7_P12ihipStream_tbENKUlT_T0_E_clISt17integral_constantIbLb1EESY_IbLb0EEEEDaSU_SV_EUlSU_E_NS1_11comp_targetILNS1_3genE10ELNS1_11target_archE1200ELNS1_3gpuE4ELNS1_3repE0EEENS1_30default_config_static_selectorELNS0_4arch9wavefront6targetE0EEEvT1_,@function
_ZN7rocprim17ROCPRIM_400000_NS6detail17trampoline_kernelINS0_14default_configENS1_27scan_by_key_config_selectorIiiEEZZNS1_16scan_by_key_implILNS1_25lookback_scan_determinismE0ELb1ES3_N6thrust23THRUST_200600_302600_NS6detail15normal_iteratorINS9_10device_ptrIiEEEESE_SE_iNS9_10multipliesIiEENS9_8equal_toIiEEiEE10hipError_tPvRmT2_T3_T4_T5_mT6_T7_P12ihipStream_tbENKUlT_T0_E_clISt17integral_constantIbLb1EESY_IbLb0EEEEDaSU_SV_EUlSU_E_NS1_11comp_targetILNS1_3genE10ELNS1_11target_archE1200ELNS1_3gpuE4ELNS1_3repE0EEENS1_30default_config_static_selectorELNS0_4arch9wavefront6targetE0EEEvT1_: ; @_ZN7rocprim17ROCPRIM_400000_NS6detail17trampoline_kernelINS0_14default_configENS1_27scan_by_key_config_selectorIiiEEZZNS1_16scan_by_key_implILNS1_25lookback_scan_determinismE0ELb1ES3_N6thrust23THRUST_200600_302600_NS6detail15normal_iteratorINS9_10device_ptrIiEEEESE_SE_iNS9_10multipliesIiEENS9_8equal_toIiEEiEE10hipError_tPvRmT2_T3_T4_T5_mT6_T7_P12ihipStream_tbENKUlT_T0_E_clISt17integral_constantIbLb1EESY_IbLb0EEEEDaSU_SV_EUlSU_E_NS1_11comp_targetILNS1_3genE10ELNS1_11target_archE1200ELNS1_3gpuE4ELNS1_3repE0EEENS1_30default_config_static_selectorELNS0_4arch9wavefront6targetE0EEEvT1_
; %bb.0:
	.section	.rodata,"a",@progbits
	.p2align	6, 0x0
	.amdhsa_kernel _ZN7rocprim17ROCPRIM_400000_NS6detail17trampoline_kernelINS0_14default_configENS1_27scan_by_key_config_selectorIiiEEZZNS1_16scan_by_key_implILNS1_25lookback_scan_determinismE0ELb1ES3_N6thrust23THRUST_200600_302600_NS6detail15normal_iteratorINS9_10device_ptrIiEEEESE_SE_iNS9_10multipliesIiEENS9_8equal_toIiEEiEE10hipError_tPvRmT2_T3_T4_T5_mT6_T7_P12ihipStream_tbENKUlT_T0_E_clISt17integral_constantIbLb1EESY_IbLb0EEEEDaSU_SV_EUlSU_E_NS1_11comp_targetILNS1_3genE10ELNS1_11target_archE1200ELNS1_3gpuE4ELNS1_3repE0EEENS1_30default_config_static_selectorELNS0_4arch9wavefront6targetE0EEEvT1_
		.amdhsa_group_segment_fixed_size 0
		.amdhsa_private_segment_fixed_size 0
		.amdhsa_kernarg_size 112
		.amdhsa_user_sgpr_count 2
		.amdhsa_user_sgpr_dispatch_ptr 0
		.amdhsa_user_sgpr_queue_ptr 0
		.amdhsa_user_sgpr_kernarg_segment_ptr 1
		.amdhsa_user_sgpr_dispatch_id 0
		.amdhsa_user_sgpr_kernarg_preload_length 0
		.amdhsa_user_sgpr_kernarg_preload_offset 0
		.amdhsa_user_sgpr_private_segment_size 0
		.amdhsa_wavefront_size32 1
		.amdhsa_uses_dynamic_stack 0
		.amdhsa_enable_private_segment 0
		.amdhsa_system_sgpr_workgroup_id_x 1
		.amdhsa_system_sgpr_workgroup_id_y 0
		.amdhsa_system_sgpr_workgroup_id_z 0
		.amdhsa_system_sgpr_workgroup_info 0
		.amdhsa_system_vgpr_workitem_id 0
		.amdhsa_next_free_vgpr 1
		.amdhsa_next_free_sgpr 1
		.amdhsa_named_barrier_count 0
		.amdhsa_reserve_vcc 0
		.amdhsa_float_round_mode_32 0
		.amdhsa_float_round_mode_16_64 0
		.amdhsa_float_denorm_mode_32 3
		.amdhsa_float_denorm_mode_16_64 3
		.amdhsa_fp16_overflow 0
		.amdhsa_memory_ordered 1
		.amdhsa_forward_progress 1
		.amdhsa_inst_pref_size 0
		.amdhsa_round_robin_scheduling 0
		.amdhsa_exception_fp_ieee_invalid_op 0
		.amdhsa_exception_fp_denorm_src 0
		.amdhsa_exception_fp_ieee_div_zero 0
		.amdhsa_exception_fp_ieee_overflow 0
		.amdhsa_exception_fp_ieee_underflow 0
		.amdhsa_exception_fp_ieee_inexact 0
		.amdhsa_exception_int_div_zero 0
	.end_amdhsa_kernel
	.section	.text._ZN7rocprim17ROCPRIM_400000_NS6detail17trampoline_kernelINS0_14default_configENS1_27scan_by_key_config_selectorIiiEEZZNS1_16scan_by_key_implILNS1_25lookback_scan_determinismE0ELb1ES3_N6thrust23THRUST_200600_302600_NS6detail15normal_iteratorINS9_10device_ptrIiEEEESE_SE_iNS9_10multipliesIiEENS9_8equal_toIiEEiEE10hipError_tPvRmT2_T3_T4_T5_mT6_T7_P12ihipStream_tbENKUlT_T0_E_clISt17integral_constantIbLb1EESY_IbLb0EEEEDaSU_SV_EUlSU_E_NS1_11comp_targetILNS1_3genE10ELNS1_11target_archE1200ELNS1_3gpuE4ELNS1_3repE0EEENS1_30default_config_static_selectorELNS0_4arch9wavefront6targetE0EEEvT1_,"axG",@progbits,_ZN7rocprim17ROCPRIM_400000_NS6detail17trampoline_kernelINS0_14default_configENS1_27scan_by_key_config_selectorIiiEEZZNS1_16scan_by_key_implILNS1_25lookback_scan_determinismE0ELb1ES3_N6thrust23THRUST_200600_302600_NS6detail15normal_iteratorINS9_10device_ptrIiEEEESE_SE_iNS9_10multipliesIiEENS9_8equal_toIiEEiEE10hipError_tPvRmT2_T3_T4_T5_mT6_T7_P12ihipStream_tbENKUlT_T0_E_clISt17integral_constantIbLb1EESY_IbLb0EEEEDaSU_SV_EUlSU_E_NS1_11comp_targetILNS1_3genE10ELNS1_11target_archE1200ELNS1_3gpuE4ELNS1_3repE0EEENS1_30default_config_static_selectorELNS0_4arch9wavefront6targetE0EEEvT1_,comdat
.Lfunc_end521:
	.size	_ZN7rocprim17ROCPRIM_400000_NS6detail17trampoline_kernelINS0_14default_configENS1_27scan_by_key_config_selectorIiiEEZZNS1_16scan_by_key_implILNS1_25lookback_scan_determinismE0ELb1ES3_N6thrust23THRUST_200600_302600_NS6detail15normal_iteratorINS9_10device_ptrIiEEEESE_SE_iNS9_10multipliesIiEENS9_8equal_toIiEEiEE10hipError_tPvRmT2_T3_T4_T5_mT6_T7_P12ihipStream_tbENKUlT_T0_E_clISt17integral_constantIbLb1EESY_IbLb0EEEEDaSU_SV_EUlSU_E_NS1_11comp_targetILNS1_3genE10ELNS1_11target_archE1200ELNS1_3gpuE4ELNS1_3repE0EEENS1_30default_config_static_selectorELNS0_4arch9wavefront6targetE0EEEvT1_, .Lfunc_end521-_ZN7rocprim17ROCPRIM_400000_NS6detail17trampoline_kernelINS0_14default_configENS1_27scan_by_key_config_selectorIiiEEZZNS1_16scan_by_key_implILNS1_25lookback_scan_determinismE0ELb1ES3_N6thrust23THRUST_200600_302600_NS6detail15normal_iteratorINS9_10device_ptrIiEEEESE_SE_iNS9_10multipliesIiEENS9_8equal_toIiEEiEE10hipError_tPvRmT2_T3_T4_T5_mT6_T7_P12ihipStream_tbENKUlT_T0_E_clISt17integral_constantIbLb1EESY_IbLb0EEEEDaSU_SV_EUlSU_E_NS1_11comp_targetILNS1_3genE10ELNS1_11target_archE1200ELNS1_3gpuE4ELNS1_3repE0EEENS1_30default_config_static_selectorELNS0_4arch9wavefront6targetE0EEEvT1_
                                        ; -- End function
	.set _ZN7rocprim17ROCPRIM_400000_NS6detail17trampoline_kernelINS0_14default_configENS1_27scan_by_key_config_selectorIiiEEZZNS1_16scan_by_key_implILNS1_25lookback_scan_determinismE0ELb1ES3_N6thrust23THRUST_200600_302600_NS6detail15normal_iteratorINS9_10device_ptrIiEEEESE_SE_iNS9_10multipliesIiEENS9_8equal_toIiEEiEE10hipError_tPvRmT2_T3_T4_T5_mT6_T7_P12ihipStream_tbENKUlT_T0_E_clISt17integral_constantIbLb1EESY_IbLb0EEEEDaSU_SV_EUlSU_E_NS1_11comp_targetILNS1_3genE10ELNS1_11target_archE1200ELNS1_3gpuE4ELNS1_3repE0EEENS1_30default_config_static_selectorELNS0_4arch9wavefront6targetE0EEEvT1_.num_vgpr, 0
	.set _ZN7rocprim17ROCPRIM_400000_NS6detail17trampoline_kernelINS0_14default_configENS1_27scan_by_key_config_selectorIiiEEZZNS1_16scan_by_key_implILNS1_25lookback_scan_determinismE0ELb1ES3_N6thrust23THRUST_200600_302600_NS6detail15normal_iteratorINS9_10device_ptrIiEEEESE_SE_iNS9_10multipliesIiEENS9_8equal_toIiEEiEE10hipError_tPvRmT2_T3_T4_T5_mT6_T7_P12ihipStream_tbENKUlT_T0_E_clISt17integral_constantIbLb1EESY_IbLb0EEEEDaSU_SV_EUlSU_E_NS1_11comp_targetILNS1_3genE10ELNS1_11target_archE1200ELNS1_3gpuE4ELNS1_3repE0EEENS1_30default_config_static_selectorELNS0_4arch9wavefront6targetE0EEEvT1_.num_agpr, 0
	.set _ZN7rocprim17ROCPRIM_400000_NS6detail17trampoline_kernelINS0_14default_configENS1_27scan_by_key_config_selectorIiiEEZZNS1_16scan_by_key_implILNS1_25lookback_scan_determinismE0ELb1ES3_N6thrust23THRUST_200600_302600_NS6detail15normal_iteratorINS9_10device_ptrIiEEEESE_SE_iNS9_10multipliesIiEENS9_8equal_toIiEEiEE10hipError_tPvRmT2_T3_T4_T5_mT6_T7_P12ihipStream_tbENKUlT_T0_E_clISt17integral_constantIbLb1EESY_IbLb0EEEEDaSU_SV_EUlSU_E_NS1_11comp_targetILNS1_3genE10ELNS1_11target_archE1200ELNS1_3gpuE4ELNS1_3repE0EEENS1_30default_config_static_selectorELNS0_4arch9wavefront6targetE0EEEvT1_.numbered_sgpr, 0
	.set _ZN7rocprim17ROCPRIM_400000_NS6detail17trampoline_kernelINS0_14default_configENS1_27scan_by_key_config_selectorIiiEEZZNS1_16scan_by_key_implILNS1_25lookback_scan_determinismE0ELb1ES3_N6thrust23THRUST_200600_302600_NS6detail15normal_iteratorINS9_10device_ptrIiEEEESE_SE_iNS9_10multipliesIiEENS9_8equal_toIiEEiEE10hipError_tPvRmT2_T3_T4_T5_mT6_T7_P12ihipStream_tbENKUlT_T0_E_clISt17integral_constantIbLb1EESY_IbLb0EEEEDaSU_SV_EUlSU_E_NS1_11comp_targetILNS1_3genE10ELNS1_11target_archE1200ELNS1_3gpuE4ELNS1_3repE0EEENS1_30default_config_static_selectorELNS0_4arch9wavefront6targetE0EEEvT1_.num_named_barrier, 0
	.set _ZN7rocprim17ROCPRIM_400000_NS6detail17trampoline_kernelINS0_14default_configENS1_27scan_by_key_config_selectorIiiEEZZNS1_16scan_by_key_implILNS1_25lookback_scan_determinismE0ELb1ES3_N6thrust23THRUST_200600_302600_NS6detail15normal_iteratorINS9_10device_ptrIiEEEESE_SE_iNS9_10multipliesIiEENS9_8equal_toIiEEiEE10hipError_tPvRmT2_T3_T4_T5_mT6_T7_P12ihipStream_tbENKUlT_T0_E_clISt17integral_constantIbLb1EESY_IbLb0EEEEDaSU_SV_EUlSU_E_NS1_11comp_targetILNS1_3genE10ELNS1_11target_archE1200ELNS1_3gpuE4ELNS1_3repE0EEENS1_30default_config_static_selectorELNS0_4arch9wavefront6targetE0EEEvT1_.private_seg_size, 0
	.set _ZN7rocprim17ROCPRIM_400000_NS6detail17trampoline_kernelINS0_14default_configENS1_27scan_by_key_config_selectorIiiEEZZNS1_16scan_by_key_implILNS1_25lookback_scan_determinismE0ELb1ES3_N6thrust23THRUST_200600_302600_NS6detail15normal_iteratorINS9_10device_ptrIiEEEESE_SE_iNS9_10multipliesIiEENS9_8equal_toIiEEiEE10hipError_tPvRmT2_T3_T4_T5_mT6_T7_P12ihipStream_tbENKUlT_T0_E_clISt17integral_constantIbLb1EESY_IbLb0EEEEDaSU_SV_EUlSU_E_NS1_11comp_targetILNS1_3genE10ELNS1_11target_archE1200ELNS1_3gpuE4ELNS1_3repE0EEENS1_30default_config_static_selectorELNS0_4arch9wavefront6targetE0EEEvT1_.uses_vcc, 0
	.set _ZN7rocprim17ROCPRIM_400000_NS6detail17trampoline_kernelINS0_14default_configENS1_27scan_by_key_config_selectorIiiEEZZNS1_16scan_by_key_implILNS1_25lookback_scan_determinismE0ELb1ES3_N6thrust23THRUST_200600_302600_NS6detail15normal_iteratorINS9_10device_ptrIiEEEESE_SE_iNS9_10multipliesIiEENS9_8equal_toIiEEiEE10hipError_tPvRmT2_T3_T4_T5_mT6_T7_P12ihipStream_tbENKUlT_T0_E_clISt17integral_constantIbLb1EESY_IbLb0EEEEDaSU_SV_EUlSU_E_NS1_11comp_targetILNS1_3genE10ELNS1_11target_archE1200ELNS1_3gpuE4ELNS1_3repE0EEENS1_30default_config_static_selectorELNS0_4arch9wavefront6targetE0EEEvT1_.uses_flat_scratch, 0
	.set _ZN7rocprim17ROCPRIM_400000_NS6detail17trampoline_kernelINS0_14default_configENS1_27scan_by_key_config_selectorIiiEEZZNS1_16scan_by_key_implILNS1_25lookback_scan_determinismE0ELb1ES3_N6thrust23THRUST_200600_302600_NS6detail15normal_iteratorINS9_10device_ptrIiEEEESE_SE_iNS9_10multipliesIiEENS9_8equal_toIiEEiEE10hipError_tPvRmT2_T3_T4_T5_mT6_T7_P12ihipStream_tbENKUlT_T0_E_clISt17integral_constantIbLb1EESY_IbLb0EEEEDaSU_SV_EUlSU_E_NS1_11comp_targetILNS1_3genE10ELNS1_11target_archE1200ELNS1_3gpuE4ELNS1_3repE0EEENS1_30default_config_static_selectorELNS0_4arch9wavefront6targetE0EEEvT1_.has_dyn_sized_stack, 0
	.set _ZN7rocprim17ROCPRIM_400000_NS6detail17trampoline_kernelINS0_14default_configENS1_27scan_by_key_config_selectorIiiEEZZNS1_16scan_by_key_implILNS1_25lookback_scan_determinismE0ELb1ES3_N6thrust23THRUST_200600_302600_NS6detail15normal_iteratorINS9_10device_ptrIiEEEESE_SE_iNS9_10multipliesIiEENS9_8equal_toIiEEiEE10hipError_tPvRmT2_T3_T4_T5_mT6_T7_P12ihipStream_tbENKUlT_T0_E_clISt17integral_constantIbLb1EESY_IbLb0EEEEDaSU_SV_EUlSU_E_NS1_11comp_targetILNS1_3genE10ELNS1_11target_archE1200ELNS1_3gpuE4ELNS1_3repE0EEENS1_30default_config_static_selectorELNS0_4arch9wavefront6targetE0EEEvT1_.has_recursion, 0
	.set _ZN7rocprim17ROCPRIM_400000_NS6detail17trampoline_kernelINS0_14default_configENS1_27scan_by_key_config_selectorIiiEEZZNS1_16scan_by_key_implILNS1_25lookback_scan_determinismE0ELb1ES3_N6thrust23THRUST_200600_302600_NS6detail15normal_iteratorINS9_10device_ptrIiEEEESE_SE_iNS9_10multipliesIiEENS9_8equal_toIiEEiEE10hipError_tPvRmT2_T3_T4_T5_mT6_T7_P12ihipStream_tbENKUlT_T0_E_clISt17integral_constantIbLb1EESY_IbLb0EEEEDaSU_SV_EUlSU_E_NS1_11comp_targetILNS1_3genE10ELNS1_11target_archE1200ELNS1_3gpuE4ELNS1_3repE0EEENS1_30default_config_static_selectorELNS0_4arch9wavefront6targetE0EEEvT1_.has_indirect_call, 0
	.section	.AMDGPU.csdata,"",@progbits
; Kernel info:
; codeLenInByte = 0
; TotalNumSgprs: 0
; NumVgprs: 0
; ScratchSize: 0
; MemoryBound: 0
; FloatMode: 240
; IeeeMode: 1
; LDSByteSize: 0 bytes/workgroup (compile time only)
; SGPRBlocks: 0
; VGPRBlocks: 0
; NumSGPRsForWavesPerEU: 1
; NumVGPRsForWavesPerEU: 1
; NamedBarCnt: 0
; Occupancy: 16
; WaveLimiterHint : 0
; COMPUTE_PGM_RSRC2:SCRATCH_EN: 0
; COMPUTE_PGM_RSRC2:USER_SGPR: 2
; COMPUTE_PGM_RSRC2:TRAP_HANDLER: 0
; COMPUTE_PGM_RSRC2:TGID_X_EN: 1
; COMPUTE_PGM_RSRC2:TGID_Y_EN: 0
; COMPUTE_PGM_RSRC2:TGID_Z_EN: 0
; COMPUTE_PGM_RSRC2:TIDIG_COMP_CNT: 0
	.section	.text._ZN7rocprim17ROCPRIM_400000_NS6detail17trampoline_kernelINS0_14default_configENS1_27scan_by_key_config_selectorIiiEEZZNS1_16scan_by_key_implILNS1_25lookback_scan_determinismE0ELb1ES3_N6thrust23THRUST_200600_302600_NS6detail15normal_iteratorINS9_10device_ptrIiEEEESE_SE_iNS9_10multipliesIiEENS9_8equal_toIiEEiEE10hipError_tPvRmT2_T3_T4_T5_mT6_T7_P12ihipStream_tbENKUlT_T0_E_clISt17integral_constantIbLb1EESY_IbLb0EEEEDaSU_SV_EUlSU_E_NS1_11comp_targetILNS1_3genE9ELNS1_11target_archE1100ELNS1_3gpuE3ELNS1_3repE0EEENS1_30default_config_static_selectorELNS0_4arch9wavefront6targetE0EEEvT1_,"axG",@progbits,_ZN7rocprim17ROCPRIM_400000_NS6detail17trampoline_kernelINS0_14default_configENS1_27scan_by_key_config_selectorIiiEEZZNS1_16scan_by_key_implILNS1_25lookback_scan_determinismE0ELb1ES3_N6thrust23THRUST_200600_302600_NS6detail15normal_iteratorINS9_10device_ptrIiEEEESE_SE_iNS9_10multipliesIiEENS9_8equal_toIiEEiEE10hipError_tPvRmT2_T3_T4_T5_mT6_T7_P12ihipStream_tbENKUlT_T0_E_clISt17integral_constantIbLb1EESY_IbLb0EEEEDaSU_SV_EUlSU_E_NS1_11comp_targetILNS1_3genE9ELNS1_11target_archE1100ELNS1_3gpuE3ELNS1_3repE0EEENS1_30default_config_static_selectorELNS0_4arch9wavefront6targetE0EEEvT1_,comdat
	.protected	_ZN7rocprim17ROCPRIM_400000_NS6detail17trampoline_kernelINS0_14default_configENS1_27scan_by_key_config_selectorIiiEEZZNS1_16scan_by_key_implILNS1_25lookback_scan_determinismE0ELb1ES3_N6thrust23THRUST_200600_302600_NS6detail15normal_iteratorINS9_10device_ptrIiEEEESE_SE_iNS9_10multipliesIiEENS9_8equal_toIiEEiEE10hipError_tPvRmT2_T3_T4_T5_mT6_T7_P12ihipStream_tbENKUlT_T0_E_clISt17integral_constantIbLb1EESY_IbLb0EEEEDaSU_SV_EUlSU_E_NS1_11comp_targetILNS1_3genE9ELNS1_11target_archE1100ELNS1_3gpuE3ELNS1_3repE0EEENS1_30default_config_static_selectorELNS0_4arch9wavefront6targetE0EEEvT1_ ; -- Begin function _ZN7rocprim17ROCPRIM_400000_NS6detail17trampoline_kernelINS0_14default_configENS1_27scan_by_key_config_selectorIiiEEZZNS1_16scan_by_key_implILNS1_25lookback_scan_determinismE0ELb1ES3_N6thrust23THRUST_200600_302600_NS6detail15normal_iteratorINS9_10device_ptrIiEEEESE_SE_iNS9_10multipliesIiEENS9_8equal_toIiEEiEE10hipError_tPvRmT2_T3_T4_T5_mT6_T7_P12ihipStream_tbENKUlT_T0_E_clISt17integral_constantIbLb1EESY_IbLb0EEEEDaSU_SV_EUlSU_E_NS1_11comp_targetILNS1_3genE9ELNS1_11target_archE1100ELNS1_3gpuE3ELNS1_3repE0EEENS1_30default_config_static_selectorELNS0_4arch9wavefront6targetE0EEEvT1_
	.globl	_ZN7rocprim17ROCPRIM_400000_NS6detail17trampoline_kernelINS0_14default_configENS1_27scan_by_key_config_selectorIiiEEZZNS1_16scan_by_key_implILNS1_25lookback_scan_determinismE0ELb1ES3_N6thrust23THRUST_200600_302600_NS6detail15normal_iteratorINS9_10device_ptrIiEEEESE_SE_iNS9_10multipliesIiEENS9_8equal_toIiEEiEE10hipError_tPvRmT2_T3_T4_T5_mT6_T7_P12ihipStream_tbENKUlT_T0_E_clISt17integral_constantIbLb1EESY_IbLb0EEEEDaSU_SV_EUlSU_E_NS1_11comp_targetILNS1_3genE9ELNS1_11target_archE1100ELNS1_3gpuE3ELNS1_3repE0EEENS1_30default_config_static_selectorELNS0_4arch9wavefront6targetE0EEEvT1_
	.p2align	8
	.type	_ZN7rocprim17ROCPRIM_400000_NS6detail17trampoline_kernelINS0_14default_configENS1_27scan_by_key_config_selectorIiiEEZZNS1_16scan_by_key_implILNS1_25lookback_scan_determinismE0ELb1ES3_N6thrust23THRUST_200600_302600_NS6detail15normal_iteratorINS9_10device_ptrIiEEEESE_SE_iNS9_10multipliesIiEENS9_8equal_toIiEEiEE10hipError_tPvRmT2_T3_T4_T5_mT6_T7_P12ihipStream_tbENKUlT_T0_E_clISt17integral_constantIbLb1EESY_IbLb0EEEEDaSU_SV_EUlSU_E_NS1_11comp_targetILNS1_3genE9ELNS1_11target_archE1100ELNS1_3gpuE3ELNS1_3repE0EEENS1_30default_config_static_selectorELNS0_4arch9wavefront6targetE0EEEvT1_,@function
_ZN7rocprim17ROCPRIM_400000_NS6detail17trampoline_kernelINS0_14default_configENS1_27scan_by_key_config_selectorIiiEEZZNS1_16scan_by_key_implILNS1_25lookback_scan_determinismE0ELb1ES3_N6thrust23THRUST_200600_302600_NS6detail15normal_iteratorINS9_10device_ptrIiEEEESE_SE_iNS9_10multipliesIiEENS9_8equal_toIiEEiEE10hipError_tPvRmT2_T3_T4_T5_mT6_T7_P12ihipStream_tbENKUlT_T0_E_clISt17integral_constantIbLb1EESY_IbLb0EEEEDaSU_SV_EUlSU_E_NS1_11comp_targetILNS1_3genE9ELNS1_11target_archE1100ELNS1_3gpuE3ELNS1_3repE0EEENS1_30default_config_static_selectorELNS0_4arch9wavefront6targetE0EEEvT1_: ; @_ZN7rocprim17ROCPRIM_400000_NS6detail17trampoline_kernelINS0_14default_configENS1_27scan_by_key_config_selectorIiiEEZZNS1_16scan_by_key_implILNS1_25lookback_scan_determinismE0ELb1ES3_N6thrust23THRUST_200600_302600_NS6detail15normal_iteratorINS9_10device_ptrIiEEEESE_SE_iNS9_10multipliesIiEENS9_8equal_toIiEEiEE10hipError_tPvRmT2_T3_T4_T5_mT6_T7_P12ihipStream_tbENKUlT_T0_E_clISt17integral_constantIbLb1EESY_IbLb0EEEEDaSU_SV_EUlSU_E_NS1_11comp_targetILNS1_3genE9ELNS1_11target_archE1100ELNS1_3gpuE3ELNS1_3repE0EEENS1_30default_config_static_selectorELNS0_4arch9wavefront6targetE0EEEvT1_
; %bb.0:
	.section	.rodata,"a",@progbits
	.p2align	6, 0x0
	.amdhsa_kernel _ZN7rocprim17ROCPRIM_400000_NS6detail17trampoline_kernelINS0_14default_configENS1_27scan_by_key_config_selectorIiiEEZZNS1_16scan_by_key_implILNS1_25lookback_scan_determinismE0ELb1ES3_N6thrust23THRUST_200600_302600_NS6detail15normal_iteratorINS9_10device_ptrIiEEEESE_SE_iNS9_10multipliesIiEENS9_8equal_toIiEEiEE10hipError_tPvRmT2_T3_T4_T5_mT6_T7_P12ihipStream_tbENKUlT_T0_E_clISt17integral_constantIbLb1EESY_IbLb0EEEEDaSU_SV_EUlSU_E_NS1_11comp_targetILNS1_3genE9ELNS1_11target_archE1100ELNS1_3gpuE3ELNS1_3repE0EEENS1_30default_config_static_selectorELNS0_4arch9wavefront6targetE0EEEvT1_
		.amdhsa_group_segment_fixed_size 0
		.amdhsa_private_segment_fixed_size 0
		.amdhsa_kernarg_size 112
		.amdhsa_user_sgpr_count 2
		.amdhsa_user_sgpr_dispatch_ptr 0
		.amdhsa_user_sgpr_queue_ptr 0
		.amdhsa_user_sgpr_kernarg_segment_ptr 1
		.amdhsa_user_sgpr_dispatch_id 0
		.amdhsa_user_sgpr_kernarg_preload_length 0
		.amdhsa_user_sgpr_kernarg_preload_offset 0
		.amdhsa_user_sgpr_private_segment_size 0
		.amdhsa_wavefront_size32 1
		.amdhsa_uses_dynamic_stack 0
		.amdhsa_enable_private_segment 0
		.amdhsa_system_sgpr_workgroup_id_x 1
		.amdhsa_system_sgpr_workgroup_id_y 0
		.amdhsa_system_sgpr_workgroup_id_z 0
		.amdhsa_system_sgpr_workgroup_info 0
		.amdhsa_system_vgpr_workitem_id 0
		.amdhsa_next_free_vgpr 1
		.amdhsa_next_free_sgpr 1
		.amdhsa_named_barrier_count 0
		.amdhsa_reserve_vcc 0
		.amdhsa_float_round_mode_32 0
		.amdhsa_float_round_mode_16_64 0
		.amdhsa_float_denorm_mode_32 3
		.amdhsa_float_denorm_mode_16_64 3
		.amdhsa_fp16_overflow 0
		.amdhsa_memory_ordered 1
		.amdhsa_forward_progress 1
		.amdhsa_inst_pref_size 0
		.amdhsa_round_robin_scheduling 0
		.amdhsa_exception_fp_ieee_invalid_op 0
		.amdhsa_exception_fp_denorm_src 0
		.amdhsa_exception_fp_ieee_div_zero 0
		.amdhsa_exception_fp_ieee_overflow 0
		.amdhsa_exception_fp_ieee_underflow 0
		.amdhsa_exception_fp_ieee_inexact 0
		.amdhsa_exception_int_div_zero 0
	.end_amdhsa_kernel
	.section	.text._ZN7rocprim17ROCPRIM_400000_NS6detail17trampoline_kernelINS0_14default_configENS1_27scan_by_key_config_selectorIiiEEZZNS1_16scan_by_key_implILNS1_25lookback_scan_determinismE0ELb1ES3_N6thrust23THRUST_200600_302600_NS6detail15normal_iteratorINS9_10device_ptrIiEEEESE_SE_iNS9_10multipliesIiEENS9_8equal_toIiEEiEE10hipError_tPvRmT2_T3_T4_T5_mT6_T7_P12ihipStream_tbENKUlT_T0_E_clISt17integral_constantIbLb1EESY_IbLb0EEEEDaSU_SV_EUlSU_E_NS1_11comp_targetILNS1_3genE9ELNS1_11target_archE1100ELNS1_3gpuE3ELNS1_3repE0EEENS1_30default_config_static_selectorELNS0_4arch9wavefront6targetE0EEEvT1_,"axG",@progbits,_ZN7rocprim17ROCPRIM_400000_NS6detail17trampoline_kernelINS0_14default_configENS1_27scan_by_key_config_selectorIiiEEZZNS1_16scan_by_key_implILNS1_25lookback_scan_determinismE0ELb1ES3_N6thrust23THRUST_200600_302600_NS6detail15normal_iteratorINS9_10device_ptrIiEEEESE_SE_iNS9_10multipliesIiEENS9_8equal_toIiEEiEE10hipError_tPvRmT2_T3_T4_T5_mT6_T7_P12ihipStream_tbENKUlT_T0_E_clISt17integral_constantIbLb1EESY_IbLb0EEEEDaSU_SV_EUlSU_E_NS1_11comp_targetILNS1_3genE9ELNS1_11target_archE1100ELNS1_3gpuE3ELNS1_3repE0EEENS1_30default_config_static_selectorELNS0_4arch9wavefront6targetE0EEEvT1_,comdat
.Lfunc_end522:
	.size	_ZN7rocprim17ROCPRIM_400000_NS6detail17trampoline_kernelINS0_14default_configENS1_27scan_by_key_config_selectorIiiEEZZNS1_16scan_by_key_implILNS1_25lookback_scan_determinismE0ELb1ES3_N6thrust23THRUST_200600_302600_NS6detail15normal_iteratorINS9_10device_ptrIiEEEESE_SE_iNS9_10multipliesIiEENS9_8equal_toIiEEiEE10hipError_tPvRmT2_T3_T4_T5_mT6_T7_P12ihipStream_tbENKUlT_T0_E_clISt17integral_constantIbLb1EESY_IbLb0EEEEDaSU_SV_EUlSU_E_NS1_11comp_targetILNS1_3genE9ELNS1_11target_archE1100ELNS1_3gpuE3ELNS1_3repE0EEENS1_30default_config_static_selectorELNS0_4arch9wavefront6targetE0EEEvT1_, .Lfunc_end522-_ZN7rocprim17ROCPRIM_400000_NS6detail17trampoline_kernelINS0_14default_configENS1_27scan_by_key_config_selectorIiiEEZZNS1_16scan_by_key_implILNS1_25lookback_scan_determinismE0ELb1ES3_N6thrust23THRUST_200600_302600_NS6detail15normal_iteratorINS9_10device_ptrIiEEEESE_SE_iNS9_10multipliesIiEENS9_8equal_toIiEEiEE10hipError_tPvRmT2_T3_T4_T5_mT6_T7_P12ihipStream_tbENKUlT_T0_E_clISt17integral_constantIbLb1EESY_IbLb0EEEEDaSU_SV_EUlSU_E_NS1_11comp_targetILNS1_3genE9ELNS1_11target_archE1100ELNS1_3gpuE3ELNS1_3repE0EEENS1_30default_config_static_selectorELNS0_4arch9wavefront6targetE0EEEvT1_
                                        ; -- End function
	.set _ZN7rocprim17ROCPRIM_400000_NS6detail17trampoline_kernelINS0_14default_configENS1_27scan_by_key_config_selectorIiiEEZZNS1_16scan_by_key_implILNS1_25lookback_scan_determinismE0ELb1ES3_N6thrust23THRUST_200600_302600_NS6detail15normal_iteratorINS9_10device_ptrIiEEEESE_SE_iNS9_10multipliesIiEENS9_8equal_toIiEEiEE10hipError_tPvRmT2_T3_T4_T5_mT6_T7_P12ihipStream_tbENKUlT_T0_E_clISt17integral_constantIbLb1EESY_IbLb0EEEEDaSU_SV_EUlSU_E_NS1_11comp_targetILNS1_3genE9ELNS1_11target_archE1100ELNS1_3gpuE3ELNS1_3repE0EEENS1_30default_config_static_selectorELNS0_4arch9wavefront6targetE0EEEvT1_.num_vgpr, 0
	.set _ZN7rocprim17ROCPRIM_400000_NS6detail17trampoline_kernelINS0_14default_configENS1_27scan_by_key_config_selectorIiiEEZZNS1_16scan_by_key_implILNS1_25lookback_scan_determinismE0ELb1ES3_N6thrust23THRUST_200600_302600_NS6detail15normal_iteratorINS9_10device_ptrIiEEEESE_SE_iNS9_10multipliesIiEENS9_8equal_toIiEEiEE10hipError_tPvRmT2_T3_T4_T5_mT6_T7_P12ihipStream_tbENKUlT_T0_E_clISt17integral_constantIbLb1EESY_IbLb0EEEEDaSU_SV_EUlSU_E_NS1_11comp_targetILNS1_3genE9ELNS1_11target_archE1100ELNS1_3gpuE3ELNS1_3repE0EEENS1_30default_config_static_selectorELNS0_4arch9wavefront6targetE0EEEvT1_.num_agpr, 0
	.set _ZN7rocprim17ROCPRIM_400000_NS6detail17trampoline_kernelINS0_14default_configENS1_27scan_by_key_config_selectorIiiEEZZNS1_16scan_by_key_implILNS1_25lookback_scan_determinismE0ELb1ES3_N6thrust23THRUST_200600_302600_NS6detail15normal_iteratorINS9_10device_ptrIiEEEESE_SE_iNS9_10multipliesIiEENS9_8equal_toIiEEiEE10hipError_tPvRmT2_T3_T4_T5_mT6_T7_P12ihipStream_tbENKUlT_T0_E_clISt17integral_constantIbLb1EESY_IbLb0EEEEDaSU_SV_EUlSU_E_NS1_11comp_targetILNS1_3genE9ELNS1_11target_archE1100ELNS1_3gpuE3ELNS1_3repE0EEENS1_30default_config_static_selectorELNS0_4arch9wavefront6targetE0EEEvT1_.numbered_sgpr, 0
	.set _ZN7rocprim17ROCPRIM_400000_NS6detail17trampoline_kernelINS0_14default_configENS1_27scan_by_key_config_selectorIiiEEZZNS1_16scan_by_key_implILNS1_25lookback_scan_determinismE0ELb1ES3_N6thrust23THRUST_200600_302600_NS6detail15normal_iteratorINS9_10device_ptrIiEEEESE_SE_iNS9_10multipliesIiEENS9_8equal_toIiEEiEE10hipError_tPvRmT2_T3_T4_T5_mT6_T7_P12ihipStream_tbENKUlT_T0_E_clISt17integral_constantIbLb1EESY_IbLb0EEEEDaSU_SV_EUlSU_E_NS1_11comp_targetILNS1_3genE9ELNS1_11target_archE1100ELNS1_3gpuE3ELNS1_3repE0EEENS1_30default_config_static_selectorELNS0_4arch9wavefront6targetE0EEEvT1_.num_named_barrier, 0
	.set _ZN7rocprim17ROCPRIM_400000_NS6detail17trampoline_kernelINS0_14default_configENS1_27scan_by_key_config_selectorIiiEEZZNS1_16scan_by_key_implILNS1_25lookback_scan_determinismE0ELb1ES3_N6thrust23THRUST_200600_302600_NS6detail15normal_iteratorINS9_10device_ptrIiEEEESE_SE_iNS9_10multipliesIiEENS9_8equal_toIiEEiEE10hipError_tPvRmT2_T3_T4_T5_mT6_T7_P12ihipStream_tbENKUlT_T0_E_clISt17integral_constantIbLb1EESY_IbLb0EEEEDaSU_SV_EUlSU_E_NS1_11comp_targetILNS1_3genE9ELNS1_11target_archE1100ELNS1_3gpuE3ELNS1_3repE0EEENS1_30default_config_static_selectorELNS0_4arch9wavefront6targetE0EEEvT1_.private_seg_size, 0
	.set _ZN7rocprim17ROCPRIM_400000_NS6detail17trampoline_kernelINS0_14default_configENS1_27scan_by_key_config_selectorIiiEEZZNS1_16scan_by_key_implILNS1_25lookback_scan_determinismE0ELb1ES3_N6thrust23THRUST_200600_302600_NS6detail15normal_iteratorINS9_10device_ptrIiEEEESE_SE_iNS9_10multipliesIiEENS9_8equal_toIiEEiEE10hipError_tPvRmT2_T3_T4_T5_mT6_T7_P12ihipStream_tbENKUlT_T0_E_clISt17integral_constantIbLb1EESY_IbLb0EEEEDaSU_SV_EUlSU_E_NS1_11comp_targetILNS1_3genE9ELNS1_11target_archE1100ELNS1_3gpuE3ELNS1_3repE0EEENS1_30default_config_static_selectorELNS0_4arch9wavefront6targetE0EEEvT1_.uses_vcc, 0
	.set _ZN7rocprim17ROCPRIM_400000_NS6detail17trampoline_kernelINS0_14default_configENS1_27scan_by_key_config_selectorIiiEEZZNS1_16scan_by_key_implILNS1_25lookback_scan_determinismE0ELb1ES3_N6thrust23THRUST_200600_302600_NS6detail15normal_iteratorINS9_10device_ptrIiEEEESE_SE_iNS9_10multipliesIiEENS9_8equal_toIiEEiEE10hipError_tPvRmT2_T3_T4_T5_mT6_T7_P12ihipStream_tbENKUlT_T0_E_clISt17integral_constantIbLb1EESY_IbLb0EEEEDaSU_SV_EUlSU_E_NS1_11comp_targetILNS1_3genE9ELNS1_11target_archE1100ELNS1_3gpuE3ELNS1_3repE0EEENS1_30default_config_static_selectorELNS0_4arch9wavefront6targetE0EEEvT1_.uses_flat_scratch, 0
	.set _ZN7rocprim17ROCPRIM_400000_NS6detail17trampoline_kernelINS0_14default_configENS1_27scan_by_key_config_selectorIiiEEZZNS1_16scan_by_key_implILNS1_25lookback_scan_determinismE0ELb1ES3_N6thrust23THRUST_200600_302600_NS6detail15normal_iteratorINS9_10device_ptrIiEEEESE_SE_iNS9_10multipliesIiEENS9_8equal_toIiEEiEE10hipError_tPvRmT2_T3_T4_T5_mT6_T7_P12ihipStream_tbENKUlT_T0_E_clISt17integral_constantIbLb1EESY_IbLb0EEEEDaSU_SV_EUlSU_E_NS1_11comp_targetILNS1_3genE9ELNS1_11target_archE1100ELNS1_3gpuE3ELNS1_3repE0EEENS1_30default_config_static_selectorELNS0_4arch9wavefront6targetE0EEEvT1_.has_dyn_sized_stack, 0
	.set _ZN7rocprim17ROCPRIM_400000_NS6detail17trampoline_kernelINS0_14default_configENS1_27scan_by_key_config_selectorIiiEEZZNS1_16scan_by_key_implILNS1_25lookback_scan_determinismE0ELb1ES3_N6thrust23THRUST_200600_302600_NS6detail15normal_iteratorINS9_10device_ptrIiEEEESE_SE_iNS9_10multipliesIiEENS9_8equal_toIiEEiEE10hipError_tPvRmT2_T3_T4_T5_mT6_T7_P12ihipStream_tbENKUlT_T0_E_clISt17integral_constantIbLb1EESY_IbLb0EEEEDaSU_SV_EUlSU_E_NS1_11comp_targetILNS1_3genE9ELNS1_11target_archE1100ELNS1_3gpuE3ELNS1_3repE0EEENS1_30default_config_static_selectorELNS0_4arch9wavefront6targetE0EEEvT1_.has_recursion, 0
	.set _ZN7rocprim17ROCPRIM_400000_NS6detail17trampoline_kernelINS0_14default_configENS1_27scan_by_key_config_selectorIiiEEZZNS1_16scan_by_key_implILNS1_25lookback_scan_determinismE0ELb1ES3_N6thrust23THRUST_200600_302600_NS6detail15normal_iteratorINS9_10device_ptrIiEEEESE_SE_iNS9_10multipliesIiEENS9_8equal_toIiEEiEE10hipError_tPvRmT2_T3_T4_T5_mT6_T7_P12ihipStream_tbENKUlT_T0_E_clISt17integral_constantIbLb1EESY_IbLb0EEEEDaSU_SV_EUlSU_E_NS1_11comp_targetILNS1_3genE9ELNS1_11target_archE1100ELNS1_3gpuE3ELNS1_3repE0EEENS1_30default_config_static_selectorELNS0_4arch9wavefront6targetE0EEEvT1_.has_indirect_call, 0
	.section	.AMDGPU.csdata,"",@progbits
; Kernel info:
; codeLenInByte = 0
; TotalNumSgprs: 0
; NumVgprs: 0
; ScratchSize: 0
; MemoryBound: 0
; FloatMode: 240
; IeeeMode: 1
; LDSByteSize: 0 bytes/workgroup (compile time only)
; SGPRBlocks: 0
; VGPRBlocks: 0
; NumSGPRsForWavesPerEU: 1
; NumVGPRsForWavesPerEU: 1
; NamedBarCnt: 0
; Occupancy: 16
; WaveLimiterHint : 0
; COMPUTE_PGM_RSRC2:SCRATCH_EN: 0
; COMPUTE_PGM_RSRC2:USER_SGPR: 2
; COMPUTE_PGM_RSRC2:TRAP_HANDLER: 0
; COMPUTE_PGM_RSRC2:TGID_X_EN: 1
; COMPUTE_PGM_RSRC2:TGID_Y_EN: 0
; COMPUTE_PGM_RSRC2:TGID_Z_EN: 0
; COMPUTE_PGM_RSRC2:TIDIG_COMP_CNT: 0
	.section	.text._ZN7rocprim17ROCPRIM_400000_NS6detail17trampoline_kernelINS0_14default_configENS1_27scan_by_key_config_selectorIiiEEZZNS1_16scan_by_key_implILNS1_25lookback_scan_determinismE0ELb1ES3_N6thrust23THRUST_200600_302600_NS6detail15normal_iteratorINS9_10device_ptrIiEEEESE_SE_iNS9_10multipliesIiEENS9_8equal_toIiEEiEE10hipError_tPvRmT2_T3_T4_T5_mT6_T7_P12ihipStream_tbENKUlT_T0_E_clISt17integral_constantIbLb1EESY_IbLb0EEEEDaSU_SV_EUlSU_E_NS1_11comp_targetILNS1_3genE8ELNS1_11target_archE1030ELNS1_3gpuE2ELNS1_3repE0EEENS1_30default_config_static_selectorELNS0_4arch9wavefront6targetE0EEEvT1_,"axG",@progbits,_ZN7rocprim17ROCPRIM_400000_NS6detail17trampoline_kernelINS0_14default_configENS1_27scan_by_key_config_selectorIiiEEZZNS1_16scan_by_key_implILNS1_25lookback_scan_determinismE0ELb1ES3_N6thrust23THRUST_200600_302600_NS6detail15normal_iteratorINS9_10device_ptrIiEEEESE_SE_iNS9_10multipliesIiEENS9_8equal_toIiEEiEE10hipError_tPvRmT2_T3_T4_T5_mT6_T7_P12ihipStream_tbENKUlT_T0_E_clISt17integral_constantIbLb1EESY_IbLb0EEEEDaSU_SV_EUlSU_E_NS1_11comp_targetILNS1_3genE8ELNS1_11target_archE1030ELNS1_3gpuE2ELNS1_3repE0EEENS1_30default_config_static_selectorELNS0_4arch9wavefront6targetE0EEEvT1_,comdat
	.protected	_ZN7rocprim17ROCPRIM_400000_NS6detail17trampoline_kernelINS0_14default_configENS1_27scan_by_key_config_selectorIiiEEZZNS1_16scan_by_key_implILNS1_25lookback_scan_determinismE0ELb1ES3_N6thrust23THRUST_200600_302600_NS6detail15normal_iteratorINS9_10device_ptrIiEEEESE_SE_iNS9_10multipliesIiEENS9_8equal_toIiEEiEE10hipError_tPvRmT2_T3_T4_T5_mT6_T7_P12ihipStream_tbENKUlT_T0_E_clISt17integral_constantIbLb1EESY_IbLb0EEEEDaSU_SV_EUlSU_E_NS1_11comp_targetILNS1_3genE8ELNS1_11target_archE1030ELNS1_3gpuE2ELNS1_3repE0EEENS1_30default_config_static_selectorELNS0_4arch9wavefront6targetE0EEEvT1_ ; -- Begin function _ZN7rocprim17ROCPRIM_400000_NS6detail17trampoline_kernelINS0_14default_configENS1_27scan_by_key_config_selectorIiiEEZZNS1_16scan_by_key_implILNS1_25lookback_scan_determinismE0ELb1ES3_N6thrust23THRUST_200600_302600_NS6detail15normal_iteratorINS9_10device_ptrIiEEEESE_SE_iNS9_10multipliesIiEENS9_8equal_toIiEEiEE10hipError_tPvRmT2_T3_T4_T5_mT6_T7_P12ihipStream_tbENKUlT_T0_E_clISt17integral_constantIbLb1EESY_IbLb0EEEEDaSU_SV_EUlSU_E_NS1_11comp_targetILNS1_3genE8ELNS1_11target_archE1030ELNS1_3gpuE2ELNS1_3repE0EEENS1_30default_config_static_selectorELNS0_4arch9wavefront6targetE0EEEvT1_
	.globl	_ZN7rocprim17ROCPRIM_400000_NS6detail17trampoline_kernelINS0_14default_configENS1_27scan_by_key_config_selectorIiiEEZZNS1_16scan_by_key_implILNS1_25lookback_scan_determinismE0ELb1ES3_N6thrust23THRUST_200600_302600_NS6detail15normal_iteratorINS9_10device_ptrIiEEEESE_SE_iNS9_10multipliesIiEENS9_8equal_toIiEEiEE10hipError_tPvRmT2_T3_T4_T5_mT6_T7_P12ihipStream_tbENKUlT_T0_E_clISt17integral_constantIbLb1EESY_IbLb0EEEEDaSU_SV_EUlSU_E_NS1_11comp_targetILNS1_3genE8ELNS1_11target_archE1030ELNS1_3gpuE2ELNS1_3repE0EEENS1_30default_config_static_selectorELNS0_4arch9wavefront6targetE0EEEvT1_
	.p2align	8
	.type	_ZN7rocprim17ROCPRIM_400000_NS6detail17trampoline_kernelINS0_14default_configENS1_27scan_by_key_config_selectorIiiEEZZNS1_16scan_by_key_implILNS1_25lookback_scan_determinismE0ELb1ES3_N6thrust23THRUST_200600_302600_NS6detail15normal_iteratorINS9_10device_ptrIiEEEESE_SE_iNS9_10multipliesIiEENS9_8equal_toIiEEiEE10hipError_tPvRmT2_T3_T4_T5_mT6_T7_P12ihipStream_tbENKUlT_T0_E_clISt17integral_constantIbLb1EESY_IbLb0EEEEDaSU_SV_EUlSU_E_NS1_11comp_targetILNS1_3genE8ELNS1_11target_archE1030ELNS1_3gpuE2ELNS1_3repE0EEENS1_30default_config_static_selectorELNS0_4arch9wavefront6targetE0EEEvT1_,@function
_ZN7rocprim17ROCPRIM_400000_NS6detail17trampoline_kernelINS0_14default_configENS1_27scan_by_key_config_selectorIiiEEZZNS1_16scan_by_key_implILNS1_25lookback_scan_determinismE0ELb1ES3_N6thrust23THRUST_200600_302600_NS6detail15normal_iteratorINS9_10device_ptrIiEEEESE_SE_iNS9_10multipliesIiEENS9_8equal_toIiEEiEE10hipError_tPvRmT2_T3_T4_T5_mT6_T7_P12ihipStream_tbENKUlT_T0_E_clISt17integral_constantIbLb1EESY_IbLb0EEEEDaSU_SV_EUlSU_E_NS1_11comp_targetILNS1_3genE8ELNS1_11target_archE1030ELNS1_3gpuE2ELNS1_3repE0EEENS1_30default_config_static_selectorELNS0_4arch9wavefront6targetE0EEEvT1_: ; @_ZN7rocprim17ROCPRIM_400000_NS6detail17trampoline_kernelINS0_14default_configENS1_27scan_by_key_config_selectorIiiEEZZNS1_16scan_by_key_implILNS1_25lookback_scan_determinismE0ELb1ES3_N6thrust23THRUST_200600_302600_NS6detail15normal_iteratorINS9_10device_ptrIiEEEESE_SE_iNS9_10multipliesIiEENS9_8equal_toIiEEiEE10hipError_tPvRmT2_T3_T4_T5_mT6_T7_P12ihipStream_tbENKUlT_T0_E_clISt17integral_constantIbLb1EESY_IbLb0EEEEDaSU_SV_EUlSU_E_NS1_11comp_targetILNS1_3genE8ELNS1_11target_archE1030ELNS1_3gpuE2ELNS1_3repE0EEENS1_30default_config_static_selectorELNS0_4arch9wavefront6targetE0EEEvT1_
; %bb.0:
	.section	.rodata,"a",@progbits
	.p2align	6, 0x0
	.amdhsa_kernel _ZN7rocprim17ROCPRIM_400000_NS6detail17trampoline_kernelINS0_14default_configENS1_27scan_by_key_config_selectorIiiEEZZNS1_16scan_by_key_implILNS1_25lookback_scan_determinismE0ELb1ES3_N6thrust23THRUST_200600_302600_NS6detail15normal_iteratorINS9_10device_ptrIiEEEESE_SE_iNS9_10multipliesIiEENS9_8equal_toIiEEiEE10hipError_tPvRmT2_T3_T4_T5_mT6_T7_P12ihipStream_tbENKUlT_T0_E_clISt17integral_constantIbLb1EESY_IbLb0EEEEDaSU_SV_EUlSU_E_NS1_11comp_targetILNS1_3genE8ELNS1_11target_archE1030ELNS1_3gpuE2ELNS1_3repE0EEENS1_30default_config_static_selectorELNS0_4arch9wavefront6targetE0EEEvT1_
		.amdhsa_group_segment_fixed_size 0
		.amdhsa_private_segment_fixed_size 0
		.amdhsa_kernarg_size 112
		.amdhsa_user_sgpr_count 2
		.amdhsa_user_sgpr_dispatch_ptr 0
		.amdhsa_user_sgpr_queue_ptr 0
		.amdhsa_user_sgpr_kernarg_segment_ptr 1
		.amdhsa_user_sgpr_dispatch_id 0
		.amdhsa_user_sgpr_kernarg_preload_length 0
		.amdhsa_user_sgpr_kernarg_preload_offset 0
		.amdhsa_user_sgpr_private_segment_size 0
		.amdhsa_wavefront_size32 1
		.amdhsa_uses_dynamic_stack 0
		.amdhsa_enable_private_segment 0
		.amdhsa_system_sgpr_workgroup_id_x 1
		.amdhsa_system_sgpr_workgroup_id_y 0
		.amdhsa_system_sgpr_workgroup_id_z 0
		.amdhsa_system_sgpr_workgroup_info 0
		.amdhsa_system_vgpr_workitem_id 0
		.amdhsa_next_free_vgpr 1
		.amdhsa_next_free_sgpr 1
		.amdhsa_named_barrier_count 0
		.amdhsa_reserve_vcc 0
		.amdhsa_float_round_mode_32 0
		.amdhsa_float_round_mode_16_64 0
		.amdhsa_float_denorm_mode_32 3
		.amdhsa_float_denorm_mode_16_64 3
		.amdhsa_fp16_overflow 0
		.amdhsa_memory_ordered 1
		.amdhsa_forward_progress 1
		.amdhsa_inst_pref_size 0
		.amdhsa_round_robin_scheduling 0
		.amdhsa_exception_fp_ieee_invalid_op 0
		.amdhsa_exception_fp_denorm_src 0
		.amdhsa_exception_fp_ieee_div_zero 0
		.amdhsa_exception_fp_ieee_overflow 0
		.amdhsa_exception_fp_ieee_underflow 0
		.amdhsa_exception_fp_ieee_inexact 0
		.amdhsa_exception_int_div_zero 0
	.end_amdhsa_kernel
	.section	.text._ZN7rocprim17ROCPRIM_400000_NS6detail17trampoline_kernelINS0_14default_configENS1_27scan_by_key_config_selectorIiiEEZZNS1_16scan_by_key_implILNS1_25lookback_scan_determinismE0ELb1ES3_N6thrust23THRUST_200600_302600_NS6detail15normal_iteratorINS9_10device_ptrIiEEEESE_SE_iNS9_10multipliesIiEENS9_8equal_toIiEEiEE10hipError_tPvRmT2_T3_T4_T5_mT6_T7_P12ihipStream_tbENKUlT_T0_E_clISt17integral_constantIbLb1EESY_IbLb0EEEEDaSU_SV_EUlSU_E_NS1_11comp_targetILNS1_3genE8ELNS1_11target_archE1030ELNS1_3gpuE2ELNS1_3repE0EEENS1_30default_config_static_selectorELNS0_4arch9wavefront6targetE0EEEvT1_,"axG",@progbits,_ZN7rocprim17ROCPRIM_400000_NS6detail17trampoline_kernelINS0_14default_configENS1_27scan_by_key_config_selectorIiiEEZZNS1_16scan_by_key_implILNS1_25lookback_scan_determinismE0ELb1ES3_N6thrust23THRUST_200600_302600_NS6detail15normal_iteratorINS9_10device_ptrIiEEEESE_SE_iNS9_10multipliesIiEENS9_8equal_toIiEEiEE10hipError_tPvRmT2_T3_T4_T5_mT6_T7_P12ihipStream_tbENKUlT_T0_E_clISt17integral_constantIbLb1EESY_IbLb0EEEEDaSU_SV_EUlSU_E_NS1_11comp_targetILNS1_3genE8ELNS1_11target_archE1030ELNS1_3gpuE2ELNS1_3repE0EEENS1_30default_config_static_selectorELNS0_4arch9wavefront6targetE0EEEvT1_,comdat
.Lfunc_end523:
	.size	_ZN7rocprim17ROCPRIM_400000_NS6detail17trampoline_kernelINS0_14default_configENS1_27scan_by_key_config_selectorIiiEEZZNS1_16scan_by_key_implILNS1_25lookback_scan_determinismE0ELb1ES3_N6thrust23THRUST_200600_302600_NS6detail15normal_iteratorINS9_10device_ptrIiEEEESE_SE_iNS9_10multipliesIiEENS9_8equal_toIiEEiEE10hipError_tPvRmT2_T3_T4_T5_mT6_T7_P12ihipStream_tbENKUlT_T0_E_clISt17integral_constantIbLb1EESY_IbLb0EEEEDaSU_SV_EUlSU_E_NS1_11comp_targetILNS1_3genE8ELNS1_11target_archE1030ELNS1_3gpuE2ELNS1_3repE0EEENS1_30default_config_static_selectorELNS0_4arch9wavefront6targetE0EEEvT1_, .Lfunc_end523-_ZN7rocprim17ROCPRIM_400000_NS6detail17trampoline_kernelINS0_14default_configENS1_27scan_by_key_config_selectorIiiEEZZNS1_16scan_by_key_implILNS1_25lookback_scan_determinismE0ELb1ES3_N6thrust23THRUST_200600_302600_NS6detail15normal_iteratorINS9_10device_ptrIiEEEESE_SE_iNS9_10multipliesIiEENS9_8equal_toIiEEiEE10hipError_tPvRmT2_T3_T4_T5_mT6_T7_P12ihipStream_tbENKUlT_T0_E_clISt17integral_constantIbLb1EESY_IbLb0EEEEDaSU_SV_EUlSU_E_NS1_11comp_targetILNS1_3genE8ELNS1_11target_archE1030ELNS1_3gpuE2ELNS1_3repE0EEENS1_30default_config_static_selectorELNS0_4arch9wavefront6targetE0EEEvT1_
                                        ; -- End function
	.set _ZN7rocprim17ROCPRIM_400000_NS6detail17trampoline_kernelINS0_14default_configENS1_27scan_by_key_config_selectorIiiEEZZNS1_16scan_by_key_implILNS1_25lookback_scan_determinismE0ELb1ES3_N6thrust23THRUST_200600_302600_NS6detail15normal_iteratorINS9_10device_ptrIiEEEESE_SE_iNS9_10multipliesIiEENS9_8equal_toIiEEiEE10hipError_tPvRmT2_T3_T4_T5_mT6_T7_P12ihipStream_tbENKUlT_T0_E_clISt17integral_constantIbLb1EESY_IbLb0EEEEDaSU_SV_EUlSU_E_NS1_11comp_targetILNS1_3genE8ELNS1_11target_archE1030ELNS1_3gpuE2ELNS1_3repE0EEENS1_30default_config_static_selectorELNS0_4arch9wavefront6targetE0EEEvT1_.num_vgpr, 0
	.set _ZN7rocprim17ROCPRIM_400000_NS6detail17trampoline_kernelINS0_14default_configENS1_27scan_by_key_config_selectorIiiEEZZNS1_16scan_by_key_implILNS1_25lookback_scan_determinismE0ELb1ES3_N6thrust23THRUST_200600_302600_NS6detail15normal_iteratorINS9_10device_ptrIiEEEESE_SE_iNS9_10multipliesIiEENS9_8equal_toIiEEiEE10hipError_tPvRmT2_T3_T4_T5_mT6_T7_P12ihipStream_tbENKUlT_T0_E_clISt17integral_constantIbLb1EESY_IbLb0EEEEDaSU_SV_EUlSU_E_NS1_11comp_targetILNS1_3genE8ELNS1_11target_archE1030ELNS1_3gpuE2ELNS1_3repE0EEENS1_30default_config_static_selectorELNS0_4arch9wavefront6targetE0EEEvT1_.num_agpr, 0
	.set _ZN7rocprim17ROCPRIM_400000_NS6detail17trampoline_kernelINS0_14default_configENS1_27scan_by_key_config_selectorIiiEEZZNS1_16scan_by_key_implILNS1_25lookback_scan_determinismE0ELb1ES3_N6thrust23THRUST_200600_302600_NS6detail15normal_iteratorINS9_10device_ptrIiEEEESE_SE_iNS9_10multipliesIiEENS9_8equal_toIiEEiEE10hipError_tPvRmT2_T3_T4_T5_mT6_T7_P12ihipStream_tbENKUlT_T0_E_clISt17integral_constantIbLb1EESY_IbLb0EEEEDaSU_SV_EUlSU_E_NS1_11comp_targetILNS1_3genE8ELNS1_11target_archE1030ELNS1_3gpuE2ELNS1_3repE0EEENS1_30default_config_static_selectorELNS0_4arch9wavefront6targetE0EEEvT1_.numbered_sgpr, 0
	.set _ZN7rocprim17ROCPRIM_400000_NS6detail17trampoline_kernelINS0_14default_configENS1_27scan_by_key_config_selectorIiiEEZZNS1_16scan_by_key_implILNS1_25lookback_scan_determinismE0ELb1ES3_N6thrust23THRUST_200600_302600_NS6detail15normal_iteratorINS9_10device_ptrIiEEEESE_SE_iNS9_10multipliesIiEENS9_8equal_toIiEEiEE10hipError_tPvRmT2_T3_T4_T5_mT6_T7_P12ihipStream_tbENKUlT_T0_E_clISt17integral_constantIbLb1EESY_IbLb0EEEEDaSU_SV_EUlSU_E_NS1_11comp_targetILNS1_3genE8ELNS1_11target_archE1030ELNS1_3gpuE2ELNS1_3repE0EEENS1_30default_config_static_selectorELNS0_4arch9wavefront6targetE0EEEvT1_.num_named_barrier, 0
	.set _ZN7rocprim17ROCPRIM_400000_NS6detail17trampoline_kernelINS0_14default_configENS1_27scan_by_key_config_selectorIiiEEZZNS1_16scan_by_key_implILNS1_25lookback_scan_determinismE0ELb1ES3_N6thrust23THRUST_200600_302600_NS6detail15normal_iteratorINS9_10device_ptrIiEEEESE_SE_iNS9_10multipliesIiEENS9_8equal_toIiEEiEE10hipError_tPvRmT2_T3_T4_T5_mT6_T7_P12ihipStream_tbENKUlT_T0_E_clISt17integral_constantIbLb1EESY_IbLb0EEEEDaSU_SV_EUlSU_E_NS1_11comp_targetILNS1_3genE8ELNS1_11target_archE1030ELNS1_3gpuE2ELNS1_3repE0EEENS1_30default_config_static_selectorELNS0_4arch9wavefront6targetE0EEEvT1_.private_seg_size, 0
	.set _ZN7rocprim17ROCPRIM_400000_NS6detail17trampoline_kernelINS0_14default_configENS1_27scan_by_key_config_selectorIiiEEZZNS1_16scan_by_key_implILNS1_25lookback_scan_determinismE0ELb1ES3_N6thrust23THRUST_200600_302600_NS6detail15normal_iteratorINS9_10device_ptrIiEEEESE_SE_iNS9_10multipliesIiEENS9_8equal_toIiEEiEE10hipError_tPvRmT2_T3_T4_T5_mT6_T7_P12ihipStream_tbENKUlT_T0_E_clISt17integral_constantIbLb1EESY_IbLb0EEEEDaSU_SV_EUlSU_E_NS1_11comp_targetILNS1_3genE8ELNS1_11target_archE1030ELNS1_3gpuE2ELNS1_3repE0EEENS1_30default_config_static_selectorELNS0_4arch9wavefront6targetE0EEEvT1_.uses_vcc, 0
	.set _ZN7rocprim17ROCPRIM_400000_NS6detail17trampoline_kernelINS0_14default_configENS1_27scan_by_key_config_selectorIiiEEZZNS1_16scan_by_key_implILNS1_25lookback_scan_determinismE0ELb1ES3_N6thrust23THRUST_200600_302600_NS6detail15normal_iteratorINS9_10device_ptrIiEEEESE_SE_iNS9_10multipliesIiEENS9_8equal_toIiEEiEE10hipError_tPvRmT2_T3_T4_T5_mT6_T7_P12ihipStream_tbENKUlT_T0_E_clISt17integral_constantIbLb1EESY_IbLb0EEEEDaSU_SV_EUlSU_E_NS1_11comp_targetILNS1_3genE8ELNS1_11target_archE1030ELNS1_3gpuE2ELNS1_3repE0EEENS1_30default_config_static_selectorELNS0_4arch9wavefront6targetE0EEEvT1_.uses_flat_scratch, 0
	.set _ZN7rocprim17ROCPRIM_400000_NS6detail17trampoline_kernelINS0_14default_configENS1_27scan_by_key_config_selectorIiiEEZZNS1_16scan_by_key_implILNS1_25lookback_scan_determinismE0ELb1ES3_N6thrust23THRUST_200600_302600_NS6detail15normal_iteratorINS9_10device_ptrIiEEEESE_SE_iNS9_10multipliesIiEENS9_8equal_toIiEEiEE10hipError_tPvRmT2_T3_T4_T5_mT6_T7_P12ihipStream_tbENKUlT_T0_E_clISt17integral_constantIbLb1EESY_IbLb0EEEEDaSU_SV_EUlSU_E_NS1_11comp_targetILNS1_3genE8ELNS1_11target_archE1030ELNS1_3gpuE2ELNS1_3repE0EEENS1_30default_config_static_selectorELNS0_4arch9wavefront6targetE0EEEvT1_.has_dyn_sized_stack, 0
	.set _ZN7rocprim17ROCPRIM_400000_NS6detail17trampoline_kernelINS0_14default_configENS1_27scan_by_key_config_selectorIiiEEZZNS1_16scan_by_key_implILNS1_25lookback_scan_determinismE0ELb1ES3_N6thrust23THRUST_200600_302600_NS6detail15normal_iteratorINS9_10device_ptrIiEEEESE_SE_iNS9_10multipliesIiEENS9_8equal_toIiEEiEE10hipError_tPvRmT2_T3_T4_T5_mT6_T7_P12ihipStream_tbENKUlT_T0_E_clISt17integral_constantIbLb1EESY_IbLb0EEEEDaSU_SV_EUlSU_E_NS1_11comp_targetILNS1_3genE8ELNS1_11target_archE1030ELNS1_3gpuE2ELNS1_3repE0EEENS1_30default_config_static_selectorELNS0_4arch9wavefront6targetE0EEEvT1_.has_recursion, 0
	.set _ZN7rocprim17ROCPRIM_400000_NS6detail17trampoline_kernelINS0_14default_configENS1_27scan_by_key_config_selectorIiiEEZZNS1_16scan_by_key_implILNS1_25lookback_scan_determinismE0ELb1ES3_N6thrust23THRUST_200600_302600_NS6detail15normal_iteratorINS9_10device_ptrIiEEEESE_SE_iNS9_10multipliesIiEENS9_8equal_toIiEEiEE10hipError_tPvRmT2_T3_T4_T5_mT6_T7_P12ihipStream_tbENKUlT_T0_E_clISt17integral_constantIbLb1EESY_IbLb0EEEEDaSU_SV_EUlSU_E_NS1_11comp_targetILNS1_3genE8ELNS1_11target_archE1030ELNS1_3gpuE2ELNS1_3repE0EEENS1_30default_config_static_selectorELNS0_4arch9wavefront6targetE0EEEvT1_.has_indirect_call, 0
	.section	.AMDGPU.csdata,"",@progbits
; Kernel info:
; codeLenInByte = 0
; TotalNumSgprs: 0
; NumVgprs: 0
; ScratchSize: 0
; MemoryBound: 0
; FloatMode: 240
; IeeeMode: 1
; LDSByteSize: 0 bytes/workgroup (compile time only)
; SGPRBlocks: 0
; VGPRBlocks: 0
; NumSGPRsForWavesPerEU: 1
; NumVGPRsForWavesPerEU: 1
; NamedBarCnt: 0
; Occupancy: 16
; WaveLimiterHint : 0
; COMPUTE_PGM_RSRC2:SCRATCH_EN: 0
; COMPUTE_PGM_RSRC2:USER_SGPR: 2
; COMPUTE_PGM_RSRC2:TRAP_HANDLER: 0
; COMPUTE_PGM_RSRC2:TGID_X_EN: 1
; COMPUTE_PGM_RSRC2:TGID_Y_EN: 0
; COMPUTE_PGM_RSRC2:TGID_Z_EN: 0
; COMPUTE_PGM_RSRC2:TIDIG_COMP_CNT: 0
	.section	.text._ZN7rocprim17ROCPRIM_400000_NS6detail17trampoline_kernelINS0_14default_configENS1_27scan_by_key_config_selectorIiiEEZZNS1_16scan_by_key_implILNS1_25lookback_scan_determinismE0ELb1ES3_N6thrust23THRUST_200600_302600_NS6detail15normal_iteratorINS9_10device_ptrIiEEEESE_SE_iNS9_10multipliesIiEENS9_8equal_toIiEEiEE10hipError_tPvRmT2_T3_T4_T5_mT6_T7_P12ihipStream_tbENKUlT_T0_E_clISt17integral_constantIbLb0EESY_IbLb1EEEEDaSU_SV_EUlSU_E_NS1_11comp_targetILNS1_3genE0ELNS1_11target_archE4294967295ELNS1_3gpuE0ELNS1_3repE0EEENS1_30default_config_static_selectorELNS0_4arch9wavefront6targetE0EEEvT1_,"axG",@progbits,_ZN7rocprim17ROCPRIM_400000_NS6detail17trampoline_kernelINS0_14default_configENS1_27scan_by_key_config_selectorIiiEEZZNS1_16scan_by_key_implILNS1_25lookback_scan_determinismE0ELb1ES3_N6thrust23THRUST_200600_302600_NS6detail15normal_iteratorINS9_10device_ptrIiEEEESE_SE_iNS9_10multipliesIiEENS9_8equal_toIiEEiEE10hipError_tPvRmT2_T3_T4_T5_mT6_T7_P12ihipStream_tbENKUlT_T0_E_clISt17integral_constantIbLb0EESY_IbLb1EEEEDaSU_SV_EUlSU_E_NS1_11comp_targetILNS1_3genE0ELNS1_11target_archE4294967295ELNS1_3gpuE0ELNS1_3repE0EEENS1_30default_config_static_selectorELNS0_4arch9wavefront6targetE0EEEvT1_,comdat
	.protected	_ZN7rocprim17ROCPRIM_400000_NS6detail17trampoline_kernelINS0_14default_configENS1_27scan_by_key_config_selectorIiiEEZZNS1_16scan_by_key_implILNS1_25lookback_scan_determinismE0ELb1ES3_N6thrust23THRUST_200600_302600_NS6detail15normal_iteratorINS9_10device_ptrIiEEEESE_SE_iNS9_10multipliesIiEENS9_8equal_toIiEEiEE10hipError_tPvRmT2_T3_T4_T5_mT6_T7_P12ihipStream_tbENKUlT_T0_E_clISt17integral_constantIbLb0EESY_IbLb1EEEEDaSU_SV_EUlSU_E_NS1_11comp_targetILNS1_3genE0ELNS1_11target_archE4294967295ELNS1_3gpuE0ELNS1_3repE0EEENS1_30default_config_static_selectorELNS0_4arch9wavefront6targetE0EEEvT1_ ; -- Begin function _ZN7rocprim17ROCPRIM_400000_NS6detail17trampoline_kernelINS0_14default_configENS1_27scan_by_key_config_selectorIiiEEZZNS1_16scan_by_key_implILNS1_25lookback_scan_determinismE0ELb1ES3_N6thrust23THRUST_200600_302600_NS6detail15normal_iteratorINS9_10device_ptrIiEEEESE_SE_iNS9_10multipliesIiEENS9_8equal_toIiEEiEE10hipError_tPvRmT2_T3_T4_T5_mT6_T7_P12ihipStream_tbENKUlT_T0_E_clISt17integral_constantIbLb0EESY_IbLb1EEEEDaSU_SV_EUlSU_E_NS1_11comp_targetILNS1_3genE0ELNS1_11target_archE4294967295ELNS1_3gpuE0ELNS1_3repE0EEENS1_30default_config_static_selectorELNS0_4arch9wavefront6targetE0EEEvT1_
	.globl	_ZN7rocprim17ROCPRIM_400000_NS6detail17trampoline_kernelINS0_14default_configENS1_27scan_by_key_config_selectorIiiEEZZNS1_16scan_by_key_implILNS1_25lookback_scan_determinismE0ELb1ES3_N6thrust23THRUST_200600_302600_NS6detail15normal_iteratorINS9_10device_ptrIiEEEESE_SE_iNS9_10multipliesIiEENS9_8equal_toIiEEiEE10hipError_tPvRmT2_T3_T4_T5_mT6_T7_P12ihipStream_tbENKUlT_T0_E_clISt17integral_constantIbLb0EESY_IbLb1EEEEDaSU_SV_EUlSU_E_NS1_11comp_targetILNS1_3genE0ELNS1_11target_archE4294967295ELNS1_3gpuE0ELNS1_3repE0EEENS1_30default_config_static_selectorELNS0_4arch9wavefront6targetE0EEEvT1_
	.p2align	8
	.type	_ZN7rocprim17ROCPRIM_400000_NS6detail17trampoline_kernelINS0_14default_configENS1_27scan_by_key_config_selectorIiiEEZZNS1_16scan_by_key_implILNS1_25lookback_scan_determinismE0ELb1ES3_N6thrust23THRUST_200600_302600_NS6detail15normal_iteratorINS9_10device_ptrIiEEEESE_SE_iNS9_10multipliesIiEENS9_8equal_toIiEEiEE10hipError_tPvRmT2_T3_T4_T5_mT6_T7_P12ihipStream_tbENKUlT_T0_E_clISt17integral_constantIbLb0EESY_IbLb1EEEEDaSU_SV_EUlSU_E_NS1_11comp_targetILNS1_3genE0ELNS1_11target_archE4294967295ELNS1_3gpuE0ELNS1_3repE0EEENS1_30default_config_static_selectorELNS0_4arch9wavefront6targetE0EEEvT1_,@function
_ZN7rocprim17ROCPRIM_400000_NS6detail17trampoline_kernelINS0_14default_configENS1_27scan_by_key_config_selectorIiiEEZZNS1_16scan_by_key_implILNS1_25lookback_scan_determinismE0ELb1ES3_N6thrust23THRUST_200600_302600_NS6detail15normal_iteratorINS9_10device_ptrIiEEEESE_SE_iNS9_10multipliesIiEENS9_8equal_toIiEEiEE10hipError_tPvRmT2_T3_T4_T5_mT6_T7_P12ihipStream_tbENKUlT_T0_E_clISt17integral_constantIbLb0EESY_IbLb1EEEEDaSU_SV_EUlSU_E_NS1_11comp_targetILNS1_3genE0ELNS1_11target_archE4294967295ELNS1_3gpuE0ELNS1_3repE0EEENS1_30default_config_static_selectorELNS0_4arch9wavefront6targetE0EEEvT1_: ; @_ZN7rocprim17ROCPRIM_400000_NS6detail17trampoline_kernelINS0_14default_configENS1_27scan_by_key_config_selectorIiiEEZZNS1_16scan_by_key_implILNS1_25lookback_scan_determinismE0ELb1ES3_N6thrust23THRUST_200600_302600_NS6detail15normal_iteratorINS9_10device_ptrIiEEEESE_SE_iNS9_10multipliesIiEENS9_8equal_toIiEEiEE10hipError_tPvRmT2_T3_T4_T5_mT6_T7_P12ihipStream_tbENKUlT_T0_E_clISt17integral_constantIbLb0EESY_IbLb1EEEEDaSU_SV_EUlSU_E_NS1_11comp_targetILNS1_3genE0ELNS1_11target_archE4294967295ELNS1_3gpuE0ELNS1_3repE0EEENS1_30default_config_static_selectorELNS0_4arch9wavefront6targetE0EEEvT1_
; %bb.0:
	s_clause 0x2
	s_load_b32 s33, s[0:1], 0x20
	s_load_b128 s[20:23], s[0:1], 0x28
	s_load_b64 s[30:31], s[0:1], 0x38
	v_cmp_ne_u32_e64 s3, 0, v0
	v_cmp_eq_u32_e64 s2, 0, v0
	s_and_saveexec_b32 s4, s2
	s_cbranch_execz .LBB524_4
; %bb.1:
	s_mov_b32 s6, exec_lo
	s_mov_b32 s5, exec_lo
	v_mbcnt_lo_u32_b32 v1, s6, 0
                                        ; implicit-def: $vgpr2
	s_delay_alu instid0(VALU_DEP_1)
	v_cmpx_eq_u32_e32 0, v1
	s_cbranch_execz .LBB524_3
; %bb.2:
	s_load_b64 s[8:9], s[0:1], 0x68
	s_bcnt1_i32_b32 s6, s6
	s_delay_alu instid0(SALU_CYCLE_1)
	v_dual_mov_b32 v2, 0 :: v_dual_mov_b32 v3, s6
	s_wait_xcnt 0x0
	s_wait_kmcnt 0x0
	global_atomic_add_u32 v2, v2, v3, s[8:9] th:TH_ATOMIC_RETURN scope:SCOPE_DEV
.LBB524_3:
	s_wait_xcnt 0x0
	s_or_b32 exec_lo, exec_lo, s5
	s_wait_loadcnt 0x0
	v_readfirstlane_b32 s5, v2
	s_delay_alu instid0(VALU_DEP_1)
	v_dual_mov_b32 v2, 0 :: v_dual_add_nc_u32 v1, s5, v1
	ds_store_b32 v2, v1
.LBB524_4:
	s_or_b32 exec_lo, exec_lo, s4
	v_mov_b32_e32 v3, 0
	s_clause 0x2
	s_load_b256 s[12:19], s[0:1], 0x0
	s_load_b32 s4, s[0:1], 0x40
	s_load_b128 s[24:27], s[0:1], 0x48
	s_wait_dscnt 0x0
	s_barrier_signal -1
	s_barrier_wait -1
	ds_load_b32 v2, v3
	s_mov_b32 s5, 0
	s_wait_dscnt 0x0
	s_barrier_signal -1
	s_barrier_wait -1
	s_barrier_signal -1
	s_barrier_wait -1
	s_wait_kmcnt 0x0
	s_lshl_b64 s[28:29], s[14:15], 2
	s_mul_u64 s[0:1], s[30:31], s[4:5]
	s_add_nc_u64 s[10:11], s[24:25], -1
	s_add_nc_u64 s[6:7], s[12:13], s[28:29]
	s_add_nc_u64 s[8:9], s[16:17], s[28:29]
	s_mul_i32 s23, s10, 0xfffff400
	v_add_nc_u64_e32 v[4:5], s[0:1], v[2:3]
	v_readfirstlane_b32 s36, v2
	s_mul_i32 s4, s36, 0xc00
	v_cmp_le_u64_e64 s0, s[10:11], v[4:5]
	s_lshl_b64 s[16:17], s[4:5], 2
	s_delay_alu instid0(SALU_CYCLE_1)
	s_add_nc_u64 s[34:35], s[6:7], s[16:17]
	s_add_nc_u64 s[24:25], s[8:9], s[16:17]
	s_and_b32 vcc_lo, exec_lo, s0
	s_cbranch_vccz .LBB524_70
; %bb.5:
	flat_load_b32 v1, v3, s[34:35]
	s_add_co_i32 s15, s23, s22
	s_delay_alu instid0(SALU_CYCLE_1)
	v_cmp_gt_u32_e32 vcc_lo, s15, v0
	s_wait_loadcnt_dscnt 0x0
	v_mov_b32_e32 v2, v1
	s_and_saveexec_b32 s1, vcc_lo
	s_cbranch_execz .LBB524_7
; %bb.6:
	flat_load_b32 v2, v0, s[34:35] scale_offset
.LBB524_7:
	s_wait_xcnt 0x0
	s_or_b32 exec_lo, exec_lo, s1
	v_or_b32_e32 v3, 0x100, v0
	s_delay_alu instid0(VALU_DEP_1)
	v_cmp_gt_u32_e64 s1, s15, v3
	v_mov_b32_e32 v3, v1
	s_and_saveexec_b32 s4, s1
	s_cbranch_execz .LBB524_9
; %bb.8:
	flat_load_b32 v3, v0, s[34:35] offset:1024 scale_offset
.LBB524_9:
	s_wait_xcnt 0x0
	s_or_b32 exec_lo, exec_lo, s4
	v_or_b32_e32 v4, 0x200, v0
	s_delay_alu instid0(VALU_DEP_1)
	v_cmp_gt_u32_e64 s4, s15, v4
	v_mov_b32_e32 v4, v1
	s_and_saveexec_b32 s5, s4
	s_cbranch_execz .LBB524_11
; %bb.10:
	flat_load_b32 v4, v0, s[34:35] offset:2048 scale_offset
.LBB524_11:
	;; [unrolled: 11-line block ×10, first 2 shown]
	s_wait_xcnt 0x0
	s_or_b32 exec_lo, exec_lo, s13
	v_or_b32_e32 v13, 0xb00, v0
	s_delay_alu instid0(VALU_DEP_1) | instskip(SKIP_2) | instid1(SALU_CYCLE_1)
	v_cmp_gt_u32_e64 s13, s15, v13
	v_cmp_le_u32_e64 s14, s15, v13
	s_and_saveexec_b32 s37, s14
	s_xor_b32 s14, exec_lo, s37
	s_delay_alu instid0(SALU_CYCLE_1)
	s_and_not1_saveexec_b32 s14, s14
	s_cbranch_execz .LBB524_29
; %bb.28:
	flat_load_b32 v1, v0, s[34:35] offset:11264 scale_offset
.LBB524_29:
	s_wait_xcnt 0x0
	s_or_b32 exec_lo, exec_lo, s14
	v_lshlrev_b32_e32 v14, 2, v0
	s_mov_b32 s37, exec_lo
	s_wait_loadcnt_dscnt 0x0
	ds_store_2addr_stride64_b32 v14, v2, v3 offset1:4
	ds_store_2addr_stride64_b32 v14, v4, v5 offset0:8 offset1:12
	ds_store_2addr_stride64_b32 v14, v6, v7 offset0:16 offset1:20
	;; [unrolled: 1-line block ×5, first 2 shown]
	v_mov_b32_e32 v1, 0
	s_wait_dscnt 0x0
	s_barrier_signal -1
	s_barrier_wait -1
	flat_load_b32 v38, v1, s[34:35]
	s_wait_xcnt 0x0
	v_mad_u32_u24 v1, v0, 44, v14
	ds_load_b128 v[10:13], v1
	ds_load_b128 v[6:9], v1 offset:16
	ds_load_b128 v[2:5], v1 offset:32
	v_mad_i32_i24 v15, 0xffffffd4, v0, v1
	s_wait_dscnt 0x2
	ds_store_b32 v15, v10 offset:13312
	s_wait_loadcnt_dscnt 0x0
	s_barrier_signal -1
	s_barrier_wait -1
	v_cmpx_ne_u32_e32 0xff, v0
; %bb.30:
	v_mul_i32_i24_e32 v15, 0xffffffd4, v0
	s_delay_alu instid0(VALU_DEP_1)
	v_add_nc_u32_e32 v15, v1, v15
	ds_load_b32 v38, v15 offset:13316
; %bb.31:
	s_or_b32 exec_lo, exec_lo, s37
	s_wait_dscnt 0x0
	s_barrier_signal -1
	s_barrier_wait -1
                                        ; implicit-def: $vgpr15
	s_and_saveexec_b32 s14, vcc_lo
	s_cbranch_execz .LBB524_128
; %bb.32:
	flat_load_b32 v15, v0, s[24:25] scale_offset
	s_wait_xcnt 0x0
	s_or_b32 exec_lo, exec_lo, s14
                                        ; implicit-def: $vgpr16
	s_and_saveexec_b32 s14, s1
	s_cbranch_execnz .LBB524_129
.LBB524_33:
	s_or_b32 exec_lo, exec_lo, s14
                                        ; implicit-def: $vgpr17
	s_and_saveexec_b32 s1, s4
	s_cbranch_execz .LBB524_130
.LBB524_34:
	flat_load_b32 v17, v0, s[24:25] offset:2048 scale_offset
	s_wait_xcnt 0x0
	s_or_b32 exec_lo, exec_lo, s1
                                        ; implicit-def: $vgpr18
	s_and_saveexec_b32 s1, s5
	s_cbranch_execnz .LBB524_131
.LBB524_35:
	s_or_b32 exec_lo, exec_lo, s1
                                        ; implicit-def: $vgpr19
	s_and_saveexec_b32 s1, s6
	s_cbranch_execz .LBB524_132
.LBB524_36:
	flat_load_b32 v19, v0, s[24:25] offset:4096 scale_offset
	s_wait_xcnt 0x0
	s_or_b32 exec_lo, exec_lo, s1
                                        ; implicit-def: $vgpr20
	s_and_saveexec_b32 s1, s7
	s_cbranch_execnz .LBB524_133
.LBB524_37:
	s_or_b32 exec_lo, exec_lo, s1
                                        ; implicit-def: $vgpr21
	s_and_saveexec_b32 s1, s8
	s_cbranch_execz .LBB524_134
.LBB524_38:
	flat_load_b32 v21, v0, s[24:25] offset:6144 scale_offset
	s_wait_xcnt 0x0
	s_or_b32 exec_lo, exec_lo, s1
                                        ; implicit-def: $vgpr22
	s_and_saveexec_b32 s1, s9
	s_cbranch_execnz .LBB524_135
.LBB524_39:
	s_or_b32 exec_lo, exec_lo, s1
                                        ; implicit-def: $vgpr23
	s_and_saveexec_b32 s1, s10
	s_cbranch_execz .LBB524_136
.LBB524_40:
	flat_load_b32 v23, v0, s[24:25] offset:8192 scale_offset
	s_wait_xcnt 0x0
	s_or_b32 exec_lo, exec_lo, s1
                                        ; implicit-def: $vgpr24
	s_and_saveexec_b32 s1, s11
	s_cbranch_execnz .LBB524_137
.LBB524_41:
	s_or_b32 exec_lo, exec_lo, s1
                                        ; implicit-def: $vgpr25
	s_and_saveexec_b32 s1, s12
	s_cbranch_execz .LBB524_43
.LBB524_42:
	flat_load_b32 v25, v0, s[24:25] offset:10240 scale_offset
.LBB524_43:
	s_wait_xcnt 0x0
	s_or_b32 exec_lo, exec_lo, s1
	v_mul_u32_u24_e32 v39, 12, v0
                                        ; implicit-def: $vgpr26
	s_and_saveexec_b32 s1, s13
	s_cbranch_execz .LBB524_45
; %bb.44:
	flat_load_b32 v26, v0, s[24:25] offset:11264 scale_offset
.LBB524_45:
	s_wait_xcnt 0x0
	s_or_b32 exec_lo, exec_lo, s1
	s_wait_loadcnt_dscnt 0x0
	ds_store_2addr_stride64_b32 v14, v15, v16 offset1:4
	ds_store_2addr_stride64_b32 v14, v17, v18 offset0:8 offset1:12
	ds_store_2addr_stride64_b32 v14, v19, v20 offset0:16 offset1:20
	;; [unrolled: 1-line block ×5, first 2 shown]
	v_mov_b64_e32 v[14:15], 0
	v_mov_b64_e32 v[42:43], 0
	;; [unrolled: 1-line block ×21, first 2 shown]
	s_mov_b32 s1, 0
	s_mov_b32 s5, 0
	s_mov_b32 s4, exec_lo
	s_wait_dscnt 0x0
	s_barrier_signal -1
	s_barrier_wait -1
                                        ; implicit-def: $sgpr6
                                        ; implicit-def: $vgpr60
	v_cmpx_gt_u32_e64 s15, v39
	s_cbranch_execz .LBB524_69
; %bb.46:
	ds_load_b32 v14, v1
	v_cmp_eq_u32_e32 vcc_lo, v10, v11
	v_or_b32_e32 v16, 1, v39
	v_mov_b64_e32 v[42:43], 0
	v_mov_b64_e32 v[40:41], 0
	;; [unrolled: 1-line block ×17, first 2 shown]
	s_wait_dscnt 0x0
	v_cndmask_b32_e32 v14, s33, v14, vcc_lo
	v_cmp_ne_u32_e32 vcc_lo, v10, v11
	v_mov_b64_e32 v[20:21], 0
	v_mov_b64_e32 v[18:19], 0
	s_mov_b32 s7, 0
	s_mov_b32 s5, exec_lo
	v_cndmask_b32_e64 v15, 0, 1, vcc_lo
                                        ; implicit-def: $sgpr6
                                        ; implicit-def: $vgpr60
	v_cmpx_gt_u32_e64 s15, v16
	s_cbranch_execz .LBB524_68
; %bb.47:
	ds_load_2addr_b32 v[16:17], v1 offset0:1 offset1:2
	v_cmp_eq_u32_e32 vcc_lo, v11, v12
	v_or_b32_e32 v10, 2, v39
	v_mov_b64_e32 v[40:41], 0
	v_mov_b64_e32 v[44:45], 0
	;; [unrolled: 1-line block ×17, first 2 shown]
	s_wait_dscnt 0x0
	v_cndmask_b32_e32 v42, s33, v16, vcc_lo
	v_cmp_ne_u32_e32 vcc_lo, v11, v12
	s_mov_b32 s8, 0
	s_mov_b32 s7, exec_lo
                                        ; implicit-def: $sgpr6
                                        ; implicit-def: $vgpr60
	v_cndmask_b32_e64 v43, 0, 1, vcc_lo
	v_cmpx_gt_u32_e64 s15, v10
	s_cbranch_execz .LBB524_67
; %bb.48:
	v_cmp_eq_u32_e32 vcc_lo, v12, v13
	v_mov_b64_e32 v[44:45], 0
	v_mov_b64_e32 v[46:47], 0
	;; [unrolled: 1-line block ×4, first 2 shown]
	v_dual_cndmask_b32 v40, s33, v17, vcc_lo :: v_dual_bitop2_b32 v10, 3, v39 bitop3:0x54
	v_cmp_ne_u32_e32 vcc_lo, v12, v13
	v_mov_b64_e32 v[52:53], 0
	v_mov_b64_e32 v[54:55], 0
	;; [unrolled: 1-line block ×11, first 2 shown]
	v_cndmask_b32_e64 v41, 0, 1, vcc_lo
	s_mov_b32 s9, 0
	s_mov_b32 s8, exec_lo
                                        ; implicit-def: $sgpr6
                                        ; implicit-def: $vgpr60
	v_cmpx_gt_u32_e64 s15, v10
	s_cbranch_execz .LBB524_66
; %bb.49:
	ds_load_2addr_b32 v[10:11], v1 offset0:3 offset1:4
	v_cmp_ne_u32_e32 vcc_lo, v13, v6
	v_mov_b64_e32 v[46:47], 0
	v_mov_b64_e32 v[48:49], 0
	;; [unrolled: 1-line block ×4, first 2 shown]
	v_cndmask_b32_e64 v45, 0, 1, vcc_lo
	v_cmp_eq_u32_e32 vcc_lo, v13, v6
	v_mov_b64_e32 v[54:55], 0
	v_mov_b64_e32 v[56:57], 0
	;; [unrolled: 1-line block ×9, first 2 shown]
	v_add_nc_u32_e32 v12, 4, v39
	s_mov_b32 s10, 0
	s_mov_b32 s9, exec_lo
	s_wait_dscnt 0x0
	v_cndmask_b32_e32 v44, s33, v10, vcc_lo
                                        ; implicit-def: $sgpr6
                                        ; implicit-def: $vgpr60
	v_cmpx_gt_u32_e64 s15, v12
	s_cbranch_execz .LBB524_65
; %bb.50:
	v_cmp_eq_u32_e32 vcc_lo, v6, v7
	v_mov_b64_e32 v[48:49], 0
	v_mov_b64_e32 v[50:51], 0
	;; [unrolled: 1-line block ×4, first 2 shown]
	v_cndmask_b32_e32 v46, s33, v11, vcc_lo
	v_cmp_ne_u32_e32 vcc_lo, v6, v7
	v_mov_b64_e32 v[56:57], 0
	v_mov_b64_e32 v[58:59], 0
	;; [unrolled: 1-line block ×7, first 2 shown]
	v_add_nc_u32_e32 v10, 5, v39
	v_cndmask_b32_e64 v47, 0, 1, vcc_lo
	s_mov_b32 s11, 0
	s_mov_b32 s10, exec_lo
                                        ; implicit-def: $sgpr6
                                        ; implicit-def: $vgpr60
	s_delay_alu instid0(VALU_DEP_2)
	v_cmpx_gt_u32_e64 s15, v10
	s_cbranch_execz .LBB524_64
; %bb.51:
	ds_load_2addr_b32 v[10:11], v1 offset0:5 offset1:6
	v_cmp_ne_u32_e32 vcc_lo, v7, v8
	v_mov_b64_e32 v[50:51], 0
	v_mov_b64_e32 v[52:53], 0
	;; [unrolled: 1-line block ×4, first 2 shown]
	v_cndmask_b32_e64 v49, 0, 1, vcc_lo
	v_cmp_eq_u32_e32 vcc_lo, v7, v8
	v_mov_b64_e32 v[58:59], 0
	v_mov_b64_e32 v[24:25], 0
	;; [unrolled: 1-line block ×5, first 2 shown]
	v_add_nc_u32_e32 v6, 6, v39
	s_mov_b32 s12, 0
	s_mov_b32 s11, exec_lo
                                        ; implicit-def: $sgpr6
                                        ; implicit-def: $vgpr60
	s_wait_dscnt 0x0
	v_cndmask_b32_e32 v48, s33, v10, vcc_lo
	v_cmpx_gt_u32_e64 s15, v6
	s_cbranch_execz .LBB524_63
; %bb.52:
	v_cmp_eq_u32_e32 vcc_lo, v8, v9
	v_mov_b64_e32 v[52:53], 0
	v_mov_b64_e32 v[54:55], 0
	;; [unrolled: 1-line block ×4, first 2 shown]
	v_cndmask_b32_e32 v50, s33, v11, vcc_lo
	v_cmp_ne_u32_e32 vcc_lo, v8, v9
	v_mov_b64_e32 v[22:23], 0
	v_mov_b64_e32 v[20:21], 0
	;; [unrolled: 1-line block ×3, first 2 shown]
	v_add_nc_u32_e32 v6, 7, v39
	v_cndmask_b32_e64 v51, 0, 1, vcc_lo
	s_mov_b32 s13, 0
	s_mov_b32 s12, exec_lo
                                        ; implicit-def: $sgpr6
                                        ; implicit-def: $vgpr60
	s_delay_alu instid0(VALU_DEP_2)
	v_cmpx_gt_u32_e64 s15, v6
	s_cbranch_execz .LBB524_62
; %bb.53:
	ds_load_2addr_b32 v[6:7], v1 offset0:7 offset1:8
	v_cmp_ne_u32_e32 vcc_lo, v9, v2
	v_mov_b64_e32 v[54:55], 0
	v_mov_b64_e32 v[56:57], 0
	;; [unrolled: 1-line block ×4, first 2 shown]
	v_cndmask_b32_e64 v53, 0, 1, vcc_lo
	v_cmp_eq_u32_e32 vcc_lo, v9, v2
	v_mov_b64_e32 v[18:19], 0
	v_add_nc_u32_e32 v8, 8, v39
	s_mov_b32 s14, 0
	s_mov_b32 s13, exec_lo
                                        ; implicit-def: $sgpr6
                                        ; implicit-def: $vgpr60
	s_wait_dscnt 0x0
	v_cndmask_b32_e32 v52, s33, v6, vcc_lo
	v_cmpx_gt_u32_e64 s15, v8
	s_cbranch_execz .LBB524_61
; %bb.54:
	v_cmp_eq_u32_e32 vcc_lo, v2, v3
	v_mov_b64_e32 v[56:57], 0
	v_mov_b64_e32 v[58:59], 0
	;; [unrolled: 1-line block ×3, first 2 shown]
	v_add_nc_u32_e32 v6, 9, v39
	v_cndmask_b32_e32 v54, s33, v7, vcc_lo
	v_cmp_ne_u32_e32 vcc_lo, v2, v3
	s_mov_b32 s37, 0
	s_mov_b32 s14, exec_lo
                                        ; implicit-def: $sgpr6
                                        ; implicit-def: $vgpr60
	v_cndmask_b32_e64 v55, 0, 1, vcc_lo
	v_cmpx_gt_u32_e64 s15, v6
	s_cbranch_execz .LBB524_60
; %bb.55:
	ds_load_2addr_b32 v[6:7], v1 offset0:9 offset1:10
	v_cmp_ne_u32_e32 vcc_lo, v3, v4
	v_mov_b64_e32 v[58:59], 0
	s_mov_b32 s38, 0
	s_mov_b32 s37, exec_lo
                                        ; implicit-def: $sgpr6
                                        ; implicit-def: $vgpr60
	v_cndmask_b32_e64 v57, 0, 1, vcc_lo
	v_cmp_eq_u32_e32 vcc_lo, v3, v4
	s_wait_dscnt 0x0
	v_dual_add_nc_u32 v2, 10, v39 :: v_dual_cndmask_b32 v56, s33, v6, vcc_lo
	s_delay_alu instid0(VALU_DEP_1)
	v_cmpx_gt_u32_e64 s15, v2
	s_cbranch_execz .LBB524_59
; %bb.56:
	v_cmp_eq_u32_e32 vcc_lo, v4, v5
	v_add_nc_u32_e32 v2, 11, v39
                                        ; implicit-def: $sgpr6
                                        ; implicit-def: $vgpr60
	v_cndmask_b32_e32 v58, s33, v7, vcc_lo
	v_cmp_ne_u32_e32 vcc_lo, v4, v5
	v_cndmask_b32_e64 v59, 0, 1, vcc_lo
	s_delay_alu instid0(VALU_DEP_4) | instskip(SKIP_2) | instid1(SALU_CYCLE_1)
	v_cmp_gt_u32_e32 vcc_lo, s15, v2
	s_mov_b32 s15, 0
	s_and_saveexec_b32 s38, vcc_lo
	s_xor_b32 s38, exec_lo, s38
	s_cbranch_execz .LBB524_58
; %bb.57:
	ds_load_b32 v1, v1 offset:44
	v_cmp_ne_u32_e64 s6, v5, v38
	s_mov_b32 s15, exec_lo
	s_wait_dscnt 0x0
	v_cndmask_b32_e64 v60, v1, s33, s6
.LBB524_58:
	s_or_b32 exec_lo, exec_lo, s38
	s_delay_alu instid0(SALU_CYCLE_1)
	s_and_b32 s38, s15, exec_lo
.LBB524_59:
	s_or_b32 exec_lo, exec_lo, s37
	v_mov_b64_e32 v[18:19], v[58:59]
	s_and_b32 s37, s38, exec_lo
.LBB524_60:
	s_or_b32 exec_lo, exec_lo, s14
	v_mov_b64_e32 v[20:21], v[56:57]
	s_and_b32 s14, s37, exec_lo
.LBB524_61:
	s_or_b32 exec_lo, exec_lo, s13
	v_mov_b64_e32 v[22:23], v[54:55]
	s_and_b32 s13, s14, exec_lo
.LBB524_62:
	s_or_b32 exec_lo, exec_lo, s12
	v_mov_b64_e32 v[24:25], v[52:53]
	s_and_b32 s12, s13, exec_lo
.LBB524_63:
	s_or_b32 exec_lo, exec_lo, s11
	v_mov_b64_e32 v[26:27], v[50:51]
	s_and_b32 s11, s12, exec_lo
.LBB524_64:
	s_or_b32 exec_lo, exec_lo, s10
	v_mov_b64_e32 v[28:29], v[48:49]
	s_and_b32 s10, s11, exec_lo
.LBB524_65:
	s_or_b32 exec_lo, exec_lo, s9
	v_mov_b64_e32 v[30:31], v[46:47]
	s_and_b32 s9, s10, exec_lo
.LBB524_66:
	s_or_b32 exec_lo, exec_lo, s8
	v_mov_b64_e32 v[32:33], v[44:45]
	s_and_b32 s8, s9, exec_lo
.LBB524_67:
	s_or_b32 exec_lo, exec_lo, s7
	v_mov_b64_e32 v[34:35], v[40:41]
	s_and_b32 s7, s8, exec_lo
.LBB524_68:
	s_or_b32 exec_lo, exec_lo, s5
	v_mov_b64_e32 v[36:37], v[42:43]
	s_and_b32 s5, s7, exec_lo
.LBB524_69:
	s_or_b32 exec_lo, exec_lo, s4
	v_lshlrev_b32_e32 v16, 2, v0
	s_and_b32 vcc_lo, exec_lo, s1
	s_cbranch_vccnz .LBB524_71
	s_branch .LBB524_76
.LBB524_70:
                                        ; implicit-def: $sgpr6
                                        ; implicit-def: $vgpr60
                                        ; implicit-def: $vgpr14_vgpr15
                                        ; implicit-def: $vgpr42_vgpr43
                                        ; implicit-def: $vgpr40_vgpr41
                                        ; implicit-def: $vgpr44_vgpr45
                                        ; implicit-def: $vgpr46_vgpr47
                                        ; implicit-def: $vgpr48_vgpr49
                                        ; implicit-def: $vgpr50_vgpr51
                                        ; implicit-def: $vgpr52_vgpr53
                                        ; implicit-def: $vgpr54_vgpr55
                                        ; implicit-def: $vgpr56_vgpr57
                                        ; implicit-def: $vgpr58_vgpr59
                                        ; implicit-def: $vgpr36_vgpr37
                                        ; implicit-def: $vgpr34_vgpr35
                                        ; implicit-def: $vgpr32_vgpr33
                                        ; implicit-def: $vgpr30_vgpr31
                                        ; implicit-def: $vgpr28_vgpr29
                                        ; implicit-def: $vgpr26_vgpr27
                                        ; implicit-def: $vgpr24_vgpr25
                                        ; implicit-def: $vgpr22_vgpr23
                                        ; implicit-def: $vgpr20_vgpr21
                                        ; implicit-def: $vgpr18_vgpr19
	v_lshlrev_b32_e32 v16, 2, v0
	s_cbranch_execz .LBB524_76
.LBB524_71:
	s_clause 0xb
	flat_load_b32 v1, v0, s[34:35] scale_offset
	flat_load_b32 v2, v0, s[34:35] offset:1024 scale_offset
	flat_load_b32 v3, v0, s[34:35] offset:2048 scale_offset
	;; [unrolled: 1-line block ×11, first 2 shown]
	v_mov_b32_e32 v13, 0
	v_mad_u32_u24 v28, v0, 44, v16
	s_mov_b32 s1, exec_lo
	s_wait_loadcnt_dscnt 0xa0a
	ds_store_2addr_stride64_b32 v16, v1, v2 offset1:4
	s_wait_loadcnt_dscnt 0x809
	ds_store_2addr_stride64_b32 v16, v3, v4 offset0:8 offset1:12
	s_wait_loadcnt_dscnt 0x608
	ds_store_2addr_stride64_b32 v16, v5, v6 offset0:16 offset1:20
	;; [unrolled: 2-line block ×5, first 2 shown]
	s_wait_dscnt 0x0
	s_barrier_signal -1
	s_barrier_wait -1
	flat_load_b32 v1, v13, s[34:35] offset:12288
	s_wait_xcnt 0x0
	ds_load_b128 v[10:13], v28
	ds_load_b128 v[6:9], v28 offset:16
	ds_load_b128 v[2:5], v28 offset:32
	v_mad_i32_i24 v14, 0xffffffd4, v0, v28
	s_wait_dscnt 0x2
	ds_store_b32 v14, v10 offset:13312
	s_wait_loadcnt_dscnt 0x0
	s_barrier_signal -1
	s_barrier_wait -1
	v_cmpx_ne_u32_e32 0xff, v0
; %bb.72:
	v_mul_i32_i24_e32 v1, 0xffffffd4, v0
	s_delay_alu instid0(VALU_DEP_1)
	v_add_nc_u32_e32 v1, v28, v1
	ds_load_b32 v1, v1 offset:13316
; %bb.73:
	s_or_b32 exec_lo, exec_lo, s1
	s_wait_dscnt 0x0
	s_barrier_signal -1
	s_barrier_wait -1
	s_clause 0xb
	flat_load_b32 v14, v0, s[24:25] scale_offset
	flat_load_b32 v15, v0, s[24:25] offset:1024 scale_offset
	flat_load_b32 v17, v0, s[24:25] offset:2048 scale_offset
	flat_load_b32 v18, v0, s[24:25] offset:3072 scale_offset
	flat_load_b32 v19, v0, s[24:25] offset:4096 scale_offset
	flat_load_b32 v20, v0, s[24:25] offset:5120 scale_offset
	flat_load_b32 v21, v0, s[24:25] offset:6144 scale_offset
	flat_load_b32 v22, v0, s[24:25] offset:7168 scale_offset
	flat_load_b32 v23, v0, s[24:25] offset:8192 scale_offset
	flat_load_b32 v24, v0, s[24:25] offset:9216 scale_offset
	flat_load_b32 v25, v0, s[24:25] offset:10240 scale_offset
	flat_load_b32 v26, v0, s[24:25] offset:11264 scale_offset
	v_cmp_eq_u32_e32 vcc_lo, v10, v11
	v_mov_b32_e32 v10, s33
	s_wait_loadcnt_dscnt 0xa0a
	ds_store_2addr_stride64_b32 v16, v14, v15 offset1:4
	s_wait_loadcnt_dscnt 0x809
	ds_store_2addr_stride64_b32 v16, v17, v18 offset0:8 offset1:12
	s_wait_loadcnt_dscnt 0x608
	ds_store_2addr_stride64_b32 v16, v19, v20 offset0:16 offset1:20
	;; [unrolled: 2-line block ×5, first 2 shown]
	s_wait_dscnt 0x0
	s_barrier_signal -1
	s_barrier_wait -1
	ds_load_2addr_b32 v[26:27], v28 offset0:1 offset1:2
	ds_load_2addr_b32 v[24:25], v28 offset0:3 offset1:4
	;; [unrolled: 1-line block ×5, first 2 shown]
	ds_load_b32 v17, v28 offset:44
	v_mov_b64_e32 v[14:15], 0x100000000
	s_and_saveexec_b32 s1, vcc_lo
; %bb.74:
	ds_load_b32 v10, v28
	v_mov_b64_e32 v[14:15], 0
; %bb.75:
	s_or_b32 exec_lo, exec_lo, s1
	v_cmp_eq_u32_e32 vcc_lo, v11, v12
	v_cmp_ne_u32_e64 s6, v5, v1
	s_mov_b32 s5, -1
	s_wait_dscnt 0x5
	v_cndmask_b32_e32 v42, s33, v26, vcc_lo
	v_cmp_ne_u32_e32 vcc_lo, v11, v12
	s_wait_dscnt 0x0
	v_cndmask_b32_e64 v60, v17, s33, s6
	v_cndmask_b32_e64 v43, 0, 1, vcc_lo
	v_cmp_eq_u32_e32 vcc_lo, v12, v13
	v_or_b32_e32 v14, v14, v10
	s_delay_alu instid0(VALU_DEP_3) | instskip(SKIP_4) | instid1(VALU_DEP_2)
	v_mov_b64_e32 v[36:37], v[42:43]
	v_cndmask_b32_e32 v40, s33, v27, vcc_lo
	v_cmp_ne_u32_e32 vcc_lo, v12, v13
	v_cndmask_b32_e64 v41, 0, 1, vcc_lo
	v_cmp_eq_u32_e32 vcc_lo, v13, v6
	v_mov_b64_e32 v[34:35], v[40:41]
	v_cndmask_b32_e32 v44, s33, v24, vcc_lo
	v_cmp_ne_u32_e32 vcc_lo, v13, v6
	v_cndmask_b32_e64 v45, 0, 1, vcc_lo
	v_cmp_eq_u32_e32 vcc_lo, v6, v7
	s_delay_alu instid0(VALU_DEP_2) | instskip(SKIP_4) | instid1(VALU_DEP_2)
	v_mov_b64_e32 v[32:33], v[44:45]
	v_cndmask_b32_e32 v46, s33, v25, vcc_lo
	v_cmp_ne_u32_e32 vcc_lo, v6, v7
	v_cndmask_b32_e64 v47, 0, 1, vcc_lo
	v_cmp_eq_u32_e32 vcc_lo, v7, v8
	v_mov_b64_e32 v[30:31], v[46:47]
	v_cndmask_b32_e32 v48, s33, v22, vcc_lo
	v_cmp_ne_u32_e32 vcc_lo, v7, v8
	v_cndmask_b32_e64 v49, 0, 1, vcc_lo
	v_cmp_eq_u32_e32 vcc_lo, v8, v9
	s_delay_alu instid0(VALU_DEP_2) | instskip(SKIP_4) | instid1(VALU_DEP_2)
	;; [unrolled: 11-line block ×3, first 2 shown]
	v_mov_b64_e32 v[24:25], v[52:53]
	v_cndmask_b32_e32 v54, s33, v21, vcc_lo
	v_cmp_ne_u32_e32 vcc_lo, v2, v3
	v_cndmask_b32_e64 v55, 0, 1, vcc_lo
	v_cmp_eq_u32_e32 vcc_lo, v3, v4
	v_mov_b64_e32 v[22:23], v[54:55]
	v_cndmask_b32_e32 v56, s33, v18, vcc_lo
	v_cmp_ne_u32_e32 vcc_lo, v3, v4
	v_cndmask_b32_e64 v57, 0, 1, vcc_lo
	v_cmp_eq_u32_e32 vcc_lo, v4, v5
	s_delay_alu instid0(VALU_DEP_2) | instskip(SKIP_3) | instid1(VALU_DEP_1)
	v_mov_b64_e32 v[20:21], v[56:57]
	v_cndmask_b32_e32 v58, s33, v19, vcc_lo
	v_cmp_ne_u32_e32 vcc_lo, v4, v5
	v_cndmask_b32_e64 v59, 0, 1, vcc_lo
	v_mov_b64_e32 v[18:19], v[58:59]
.LBB524_76:
	v_mov_b64_e32 v[38:39], 0
	s_and_saveexec_b32 s1, s5
	s_cbranch_execz .LBB524_78
; %bb.77:
	v_cndmask_b32_e64 v61, 0, 1, s6
	v_mov_b64_e32 v[18:19], v[58:59]
	v_mov_b64_e32 v[20:21], v[56:57]
	;; [unrolled: 1-line block ×11, first 2 shown]
.LBB524_78:
	s_or_b32 exec_lo, exec_lo, s1
	v_dual_lshrrev_b32 v1, 2, v0 :: v_dual_bitop2_b32 v40, v25, v23 bitop3:0x54
	s_delay_alu instid0(VALU_DEP_3)
	v_or_b32_e32 v17, v21, v19
	s_cmp_lg_u32 s36, 0
	v_cmp_gt_u32_e32 vcc_lo, 32, v0
	s_barrier_signal -1
	s_barrier_wait -1
	s_cbranch_scc0 .LBB524_138
; %bb.79:
	s_mov_b64 s[14:15], 0x100000000
	v_or3_b32 v3, v40, v27, v29
	v_cmp_gt_u64_e64 s1, s[14:15], v[36:37]
	v_cmp_gt_u64_e64 s4, s[14:15], v[34:35]
	;; [unrolled: 1-line block ×7, first 2 shown]
	v_dual_cndmask_b32 v2, 1, v14, s1 :: v_dual_bitop2_b32 v5, 56, v1 bitop3:0x40
	v_cmp_gt_u64_e64 s10, s[14:15], v[22:23]
	v_cmp_gt_u64_e64 s11, s[14:15], v[20:21]
	;; [unrolled: 1-line block ×3, first 2 shown]
	s_delay_alu instid0(VALU_DEP_4) | instskip(SKIP_2) | instid1(VALU_DEP_2)
	v_mul_lo_u32 v2, v2, v36
	v_or3_b32 v3, v3, v31, v33
	v_cmp_gt_u64_e64 s13, s[14:15], v[38:39]
	v_or3_b32 v3, v3, v35, v37
	s_delay_alu instid0(VALU_DEP_1) | instskip(SKIP_1) | instid1(VALU_DEP_2)
	v_or3_b32 v3, v39, v17, v3
	v_cndmask_b32_e64 v2, 1, v2, s4
	v_and_b32_e32 v3, 0xff, v3
	s_delay_alu instid0(VALU_DEP_2) | instskip(NEXT) | instid1(VALU_DEP_1)
	v_mul_lo_u32 v2, v2, v34
	v_cndmask_b32_e64 v2, 1, v2, s5
	s_delay_alu instid0(VALU_DEP_1) | instskip(NEXT) | instid1(VALU_DEP_1)
	v_mul_lo_u32 v2, v2, v32
	v_cndmask_b32_e64 v2, 1, v2, s6
	s_delay_alu instid0(VALU_DEP_1) | instskip(NEXT) | instid1(VALU_DEP_1)
	;; [unrolled: 3-line block ×8, first 2 shown]
	v_mul_lo_u32 v2, v2, v18
	v_dual_cndmask_b32 v4, 1, v2, s13 :: v_dual_mov_b32 v2, 0
	s_delay_alu instid0(VALU_DEP_1) | instskip(NEXT) | instid1(VALU_DEP_2)
	v_mul_lo_u32 v12, v4, v38
	v_cmp_eq_u64_e64 s13, 0, v[2:3]
	v_lshl_add_u32 v4, v0, 3, v5
	s_delay_alu instid0(VALU_DEP_2)
	v_cndmask_b32_e64 v13, 1, v15, s13
	ds_store_b32 v4, v12
	ds_store_b8 v4, v13 offset:4
	s_wait_dscnt 0x0
	s_barrier_signal -1
	s_barrier_wait -1
	s_and_saveexec_b32 s14, vcc_lo
	s_cbranch_execz .LBB524_91
; %bb.80:
	v_dual_lshlrev_b32 v2, 1, v0 :: v_dual_lshlrev_b32 v3, 6, v0
	s_mov_b32 s15, exec_lo
	s_delay_alu instid0(VALU_DEP_1) | instskip(NEXT) | instid1(VALU_DEP_1)
	v_and_b32_e32 v2, 0x1f8, v2
	v_add_nc_u32_e32 v4, v2, v3
	ds_load_u8 v5, v4 offset:12
	ds_load_b64 v[2:3], v4
	ds_load_2addr_b32 v[6:7], v4 offset0:2 offset1:4
	ds_load_u8 v10, v4 offset:20
	ds_load_u8 v11, v4 offset:28
	;; [unrolled: 1-line block ×5, first 2 shown]
	ds_load_b32 v44, v4 offset:56
	s_wait_dscnt 0x8
	v_cmp_eq_u16_e64 s13, 0, v5
	s_wait_dscnt 0x5
	s_delay_alu instid0(VALU_DEP_1)
	v_dual_cndmask_b32 v8, 1, v2, s13 :: v_dual_bitop2_b32 v5, v10, v5 bitop3:0x54
	v_cmp_eq_u16_e64 s13, 0, v10
	ds_load_u8 v45, v4 offset:60
	s_wait_dscnt 0x4
	v_bitop3_b16 v5, v5, v41, v11 bitop3:0xfe
	v_mul_lo_u32 v6, v8, v6
	ds_load_2addr_b32 v[8:9], v4 offset0:6 offset1:8
	v_cndmask_b32_e64 v6, 1, v6, s13
	v_cmp_eq_u16_e64 s13, 0, v11
	s_delay_alu instid0(VALU_DEP_2) | instskip(NEXT) | instid1(VALU_DEP_1)
	v_mul_lo_u32 v6, v6, v7
	v_cndmask_b32_e64 v6, 1, v6, s13
	v_cmp_eq_u16_e64 s13, 0, v41
	s_wait_dscnt 0x0
	s_delay_alu instid0(VALU_DEP_2) | instskip(NEXT) | instid1(VALU_DEP_1)
	v_mul_lo_u32 v6, v6, v8
	v_cndmask_b32_e64 v8, 1, v6, s13
	ds_load_2addr_b32 v[6:7], v4 offset0:10 offset1:12
	v_cmp_eq_u16_e64 s13, 0, v42
	v_mul_lo_u32 v8, v8, v9
	s_delay_alu instid0(VALU_DEP_1) | instskip(SKIP_2) | instid1(VALU_DEP_2)
	v_cndmask_b32_e64 v8, 1, v8, s13
	v_cmp_eq_u16_e64 s13, 0, v43
	s_wait_dscnt 0x0
	v_mul_lo_u32 v6, v8, v6
	v_bitop3_b16 v8, v5, v43, v42 bitop3:0xfe
	s_delay_alu instid0(VALU_DEP_2) | instskip(NEXT) | instid1(VALU_DEP_2)
	v_cndmask_b32_e64 v6, 1, v6, s13
	v_cmp_eq_u16_e64 s13, 0, v8
	s_delay_alu instid0(VALU_DEP_2) | instskip(SKIP_2) | instid1(VALU_DEP_2)
	v_mul_lo_u32 v6, v6, v7
	v_and_b32_e32 v5, 1, v3
	v_and_b32_e32 v7, 1, v45
	v_cndmask_b32_e64 v8, 1, v5, s13
	s_delay_alu instid0(VALU_DEP_2) | instskip(NEXT) | instid1(VALU_DEP_1)
	v_cmp_eq_u32_e64 s13, 1, v7
	v_cndmask_b32_e64 v9, v8, 1, s13
	v_cmp_eq_u16_e64 s13, 0, v45
	v_mbcnt_lo_u32_b32 v8, -1, 0
	s_delay_alu instid0(VALU_DEP_3) | instskip(NEXT) | instid1(VALU_DEP_3)
	v_and_b32_e32 v10, 0xffff, v9
	v_cndmask_b32_e64 v7, 1, v6, s13
	v_and_b32_e32 v6, 0xffffff00, v3
	s_delay_alu instid0(VALU_DEP_2) | instskip(NEXT) | instid1(VALU_DEP_2)
	v_mul_lo_u32 v7, v7, v44
	v_or_b32_e32 v11, v6, v10
	v_and_b32_e32 v10, 15, v8
	s_delay_alu instid0(VALU_DEP_2) | instskip(NEXT) | instid1(VALU_DEP_4)
	v_mov_b32_dpp v42, v11 row_shr:1 row_mask:0xf bank_mask:0xf
	v_mov_b32_dpp v41, v7 row_shr:1 row_mask:0xf bank_mask:0xf
	s_delay_alu instid0(VALU_DEP_3)
	v_cmpx_ne_u32_e32 0, v10
	s_cbranch_execz .LBB524_82
; %bb.81:
	v_and_b32_e32 v11, 1, v9
	v_cmp_eq_u16_e64 s13, 0, v9
	s_delay_alu instid0(VALU_DEP_1) | instskip(NEXT) | instid1(VALU_DEP_3)
	v_dual_cndmask_b32 v41, 1, v41, s13 :: v_dual_bitop2_b32 v42, 1, v42 bitop3:0x40
	v_cmp_eq_u32_e64 s13, 1, v11
	s_delay_alu instid0(VALU_DEP_2) | instskip(NEXT) | instid1(VALU_DEP_2)
	v_mul_lo_u32 v7, v41, v7
	v_cndmask_b32_e64 v9, v42, 1, s13
	s_delay_alu instid0(VALU_DEP_1) | instskip(NEXT) | instid1(VALU_DEP_1)
	v_and_b32_e32 v11, 0xffff, v9
	v_or_b32_e32 v11, v6, v11
.LBB524_82:
	s_or_b32 exec_lo, exec_lo, s15
	s_delay_alu instid0(VALU_DEP_2) | instskip(NEXT) | instid1(VALU_DEP_2)
	v_mov_b32_dpp v41, v7 row_shr:2 row_mask:0xf bank_mask:0xf
	v_mov_b32_dpp v42, v11 row_shr:2 row_mask:0xf bank_mask:0xf
	s_mov_b32 s15, exec_lo
	v_cmpx_lt_u32_e32 1, v10
	s_cbranch_execz .LBB524_84
; %bb.83:
	v_and_b32_e32 v11, 1, v9
	v_cmp_eq_u16_e64 s13, 0, v9
	s_delay_alu instid0(VALU_DEP_1) | instskip(NEXT) | instid1(VALU_DEP_3)
	v_dual_cndmask_b32 v41, 1, v41, s13 :: v_dual_bitop2_b32 v42, 1, v42 bitop3:0x40
	v_cmp_eq_u32_e64 s13, 1, v11
	s_delay_alu instid0(VALU_DEP_2) | instskip(NEXT) | instid1(VALU_DEP_2)
	v_mul_lo_u32 v7, v41, v7
	v_cndmask_b32_e64 v9, v42, 1, s13
	s_delay_alu instid0(VALU_DEP_1) | instskip(NEXT) | instid1(VALU_DEP_1)
	v_and_b32_e32 v11, 0xffff, v9
	v_or_b32_e32 v11, v6, v11
.LBB524_84:
	s_or_b32 exec_lo, exec_lo, s15
	s_delay_alu instid0(VALU_DEP_4) | instskip(NEXT) | instid1(VALU_DEP_2)
	v_mov_b32_dpp v41, v7 row_shr:4 row_mask:0xf bank_mask:0xf
	v_mov_b32_dpp v42, v11 row_shr:4 row_mask:0xf bank_mask:0xf
	s_mov_b32 s15, exec_lo
	v_cmpx_lt_u32_e32 3, v10
	s_cbranch_execz .LBB524_86
; %bb.85:
	v_and_b32_e32 v11, 1, v9
	v_cmp_eq_u16_e64 s13, 0, v9
	s_delay_alu instid0(VALU_DEP_1) | instskip(NEXT) | instid1(VALU_DEP_3)
	v_dual_cndmask_b32 v41, 1, v41, s13 :: v_dual_bitop2_b32 v42, 1, v42 bitop3:0x40
	v_cmp_eq_u32_e64 s13, 1, v11
	s_delay_alu instid0(VALU_DEP_2) | instskip(NEXT) | instid1(VALU_DEP_2)
	v_mul_lo_u32 v7, v41, v7
	v_cndmask_b32_e64 v9, v42, 1, s13
	s_delay_alu instid0(VALU_DEP_1) | instskip(NEXT) | instid1(VALU_DEP_1)
	v_and_b32_e32 v11, 0xffff, v9
	v_or_b32_e32 v11, v6, v11
.LBB524_86:
	s_or_b32 exec_lo, exec_lo, s15
	s_delay_alu instid0(VALU_DEP_4) | instskip(NEXT) | instid1(VALU_DEP_2)
	v_mov_b32_dpp v41, v7 row_shr:8 row_mask:0xf bank_mask:0xf
	v_mov_b32_dpp v42, v11 row_shr:8 row_mask:0xf bank_mask:0xf
	s_mov_b32 s15, exec_lo
	v_cmpx_lt_u32_e32 7, v10
	s_cbranch_execz .LBB524_88
; %bb.87:
	v_and_b32_e32 v10, 1, v9
	v_cmp_eq_u16_e64 s13, 0, v9
	s_delay_alu instid0(VALU_DEP_1) | instskip(NEXT) | instid1(VALU_DEP_3)
	v_dual_cndmask_b32 v41, 1, v41, s13 :: v_dual_bitop2_b32 v11, 1, v42 bitop3:0x40
	v_cmp_eq_u32_e64 s13, 1, v10
	s_delay_alu instid0(VALU_DEP_2) | instskip(NEXT) | instid1(VALU_DEP_2)
	v_mul_lo_u32 v7, v41, v7
	v_cndmask_b32_e64 v9, v11, 1, s13
	s_delay_alu instid0(VALU_DEP_1) | instskip(NEXT) | instid1(VALU_DEP_1)
	v_and_b32_e32 v10, 0xffff, v9
	v_or_b32_e32 v11, v6, v10
.LBB524_88:
	s_or_b32 exec_lo, exec_lo, s15
	ds_swizzle_b32 v41, v7 offset:swizzle(BROADCAST,32,15)
	ds_swizzle_b32 v10, v11 offset:swizzle(BROADCAST,32,15)
	v_and_b32_e32 v11, 16, v8
	s_mov_b32 s15, exec_lo
	s_delay_alu instid0(VALU_DEP_1)
	v_cmpx_ne_u32_e32 0, v11
	s_cbranch_execz .LBB524_90
; %bb.89:
	v_cmp_eq_u16_e64 s13, 0, v9
	v_and_b32_e32 v9, 1, v9
	s_wait_dscnt 0x0
	s_delay_alu instid0(VALU_DEP_2) | instskip(NEXT) | instid1(VALU_DEP_2)
	v_dual_cndmask_b32 v11, 1, v41, s13 :: v_dual_bitop2_b32 v10, 1, v10 bitop3:0x40
	v_cmp_eq_u32_e64 s13, 1, v9
	s_delay_alu instid0(VALU_DEP_2) | instskip(NEXT) | instid1(VALU_DEP_2)
	v_mul_lo_u32 v7, v11, v7
	v_cndmask_b32_e64 v9, v10, 1, s13
.LBB524_90:
	s_or_b32 exec_lo, exec_lo, s15
	s_wait_dscnt 0x0
	v_add_nc_u32_e32 v10, -1, v8
	s_delay_alu instid0(VALU_DEP_2) | instskip(SKIP_1) | instid1(VALU_DEP_3)
	v_and_b32_e32 v9, 0xffff, v9
	v_and_b32_e32 v3, 0xff, v3
	; wave barrier
	v_cmp_gt_i32_e64 s13, 0, v10
	s_delay_alu instid0(VALU_DEP_3) | instskip(NEXT) | instid1(VALU_DEP_2)
	v_or_b32_e32 v6, v6, v9
	v_cndmask_b32_e64 v8, v10, v8, s13
	s_delay_alu instid0(VALU_DEP_4) | instskip(NEXT) | instid1(VALU_DEP_2)
	v_cmp_eq_u16_e64 s13, 0, v3
	v_lshlrev_b32_e32 v8, 2, v8
	ds_bpermute_b32 v7, v8, v7
	ds_bpermute_b32 v6, v8, v6
	s_wait_dscnt 0x1
	v_cndmask_b32_e64 v3, 1, v7, s13
	v_cmp_eq_u32_e64 s13, 1, v5
	s_delay_alu instid0(VALU_DEP_2) | instskip(SKIP_1) | instid1(VALU_DEP_1)
	v_mul_lo_u32 v2, v3, v2
	s_wait_dscnt 0x0
	v_dual_cndmask_b32 v5, v2, v12, s2 :: v_dual_bitop2_b32 v3, 1, v6 bitop3:0x40
	s_delay_alu instid0(VALU_DEP_1) | instskip(NEXT) | instid1(VALU_DEP_1)
	v_cndmask_b32_e64 v3, v3, 1, s13
	v_cndmask_b32_e64 v8, v3, v13, s2
	ds_store_b32 v4, v5
	ds_store_b8 v4, v8 offset:4
	; wave barrier
	ds_load_u8 v9, v4 offset:12
	ds_load_2addr_b32 v[2:3], v4 offset0:2 offset1:4
	ds_load_u8 v10, v4 offset:20
	ds_load_u8 v11, v4 offset:28
	;; [unrolled: 1-line block ×5, first 2 shown]
	ds_load_b32 v44, v4 offset:56
	ds_load_u8 v45, v4 offset:60
	ds_load_2addr_b32 v[6:7], v4 offset0:6 offset1:8
	s_wait_dscnt 0x9
	v_cmp_eq_u16_e64 s13, 0, v9
	s_delay_alu instid0(VALU_DEP_1) | instskip(SKIP_3) | instid1(VALU_DEP_3)
	v_cndmask_b32_e64 v5, 1, v5, s13
	s_wait_dscnt 0x7
	v_cmp_eq_u16_e64 s13, 0, v10
	v_and_b32_e32 v10, 1, v10
	v_mul_lo_u32 v5, v5, v2
	s_delay_alu instid0(VALU_DEP_1) | instskip(SKIP_2) | instid1(VALU_DEP_2)
	v_cndmask_b32_e64 v2, 1, v5, s13
	s_wait_dscnt 0x6
	v_cmp_eq_u16_e64 s13, 0, v11
	v_mul_lo_u32 v46, v2, v3
	s_delay_alu instid0(VALU_DEP_1)
	v_cndmask_b32_e64 v2, 1, v46, s13
	s_wait_dscnt 0x5
	v_cmp_eq_u16_e64 s13, 0, v41
	ds_store_2addr_b32 v4, v5, v46 offset0:2 offset1:4
	s_wait_dscnt 0x1
	v_mul_lo_u32 v6, v2, v6
	ds_load_2addr_b32 v[2:3], v4 offset0:10 offset1:12
	v_cndmask_b32_e64 v47, 1, v6, s13
	v_cmp_eq_u16_e64 s13, 0, v42
	s_delay_alu instid0(VALU_DEP_2) | instskip(NEXT) | instid1(VALU_DEP_1)
	v_mul_lo_u32 v7, v47, v7
	v_cndmask_b32_e64 v47, 1, v7, s13
	s_wait_dscnt 0x0
	s_delay_alu instid0(VALU_DEP_1) | instskip(SKIP_1) | instid1(VALU_DEP_1)
	v_mul_lo_u32 v2, v47, v2
	v_and_b32_e32 v9, 1, v9
	v_cmp_eq_u32_e64 s13, 1, v9
	v_and_b32_e32 v9, 1, v11
	s_delay_alu instid0(VALU_DEP_2) | instskip(SKIP_1) | instid1(VALU_DEP_1)
	v_cndmask_b32_e64 v8, v8, 1, s13
	v_cmp_eq_u32_e64 s13, 1, v10
	v_cndmask_b32_e64 v10, v8, 1, s13
	v_cmp_eq_u16_e64 s13, 0, v43
	s_delay_alu instid0(VALU_DEP_1) | instskip(SKIP_1) | instid1(VALU_DEP_2)
	v_cndmask_b32_e64 v11, 1, v2, s13
	v_cmp_eq_u32_e64 s13, 1, v9
	v_mul_lo_u32 v3, v11, v3
	v_and_b32_e32 v41, 1, v41
	s_delay_alu instid0(VALU_DEP_3) | instskip(SKIP_4) | instid1(VALU_DEP_1)
	v_cndmask_b32_e64 v9, v10, 1, s13
	v_and_b32_e32 v11, 1, v42
	v_and_b32_e32 v42, 1, v43
	;; [unrolled: 1-line block ×3, first 2 shown]
	v_cmp_eq_u32_e64 s13, 1, v41
	v_cndmask_b32_e64 v41, v9, 1, s13
	v_cmp_eq_u32_e64 s13, 1, v11
	s_delay_alu instid0(VALU_DEP_1) | instskip(SKIP_1) | instid1(VALU_DEP_1)
	v_cndmask_b32_e64 v11, v41, 1, s13
	v_cmp_eq_u16_e64 s13, 0, v45
	v_cndmask_b32_e64 v45, 1, v3, s13
	v_cmp_eq_u32_e64 s13, 1, v42
	s_delay_alu instid0(VALU_DEP_2) | instskip(NEXT) | instid1(VALU_DEP_2)
	v_mul_lo_u32 v5, v45, v44
	v_cndmask_b32_e64 v42, v11, 1, s13
	v_cmp_eq_u32_e64 s13, 1, v43
	s_delay_alu instid0(VALU_DEP_1)
	v_cndmask_b32_e64 v43, v42, 1, s13
	ds_store_2addr_b32 v4, v6, v7 offset0:6 offset1:8
	ds_store_2addr_b32 v4, v2, v3 offset0:10 offset1:12
	ds_store_b8 v4, v8 offset:12
	ds_store_b8 v4, v10 offset:20
	;; [unrolled: 1-line block ×6, first 2 shown]
	ds_store_b32 v4, v5 offset:56
	ds_store_b8 v4, v43 offset:60
.LBB524_91:
	s_or_b32 exec_lo, exec_lo, s14
	s_wait_dscnt 0x0
	s_barrier_signal -1
	s_barrier_wait -1
	s_and_saveexec_b32 s13, s3
	s_cbranch_execz .LBB524_93
; %bb.92:
	v_add_nc_u32_e32 v2, -1, v0
	s_delay_alu instid0(VALU_DEP_1) | instskip(NEXT) | instid1(VALU_DEP_1)
	v_lshrrev_b32_e32 v3, 2, v2
	v_and_b32_e32 v3, 0x3ffffff8, v3
	s_delay_alu instid0(VALU_DEP_1)
	v_lshl_add_u32 v2, v2, 3, v3
	ds_load_b32 v12, v2
	ds_load_u8 v13, v2 offset:4
.LBB524_93:
	s_or_b32 exec_lo, exec_lo, s13
	s_and_saveexec_b32 s24, vcc_lo
	s_cbranch_execz .LBB524_183
; %bb.94:
	v_mov_b32_e32 v5, 0
	v_mbcnt_lo_u32_b32 v41, -1, 0
	s_mov_b32 s15, 0
	ds_load_b64 v[2:3], v5 offset:2096
	v_cmp_eq_u32_e64 s13, 0, v41
	s_and_saveexec_b32 s25, s13
	s_cbranch_execz .LBB524_96
; %bb.95:
	s_add_co_i32 s14, s36, 32
	v_mov_b32_e32 v4, 1
	s_lshl_b64 s[14:15], s[14:15], 4
	s_delay_alu instid0(SALU_CYCLE_1) | instskip(NEXT) | instid1(SALU_CYCLE_1)
	s_add_nc_u64 s[14:15], s[20:21], s[14:15]
	v_mov_b64_e32 v[6:7], s[14:15]
	s_wait_dscnt 0x0
	;;#ASMSTART
	global_store_b128 v[6:7], v[2:5] off scope:SCOPE_DEV	
s_wait_storecnt 0x0
	;;#ASMEND
.LBB524_96:
	s_or_b32 exec_lo, exec_lo, s25
	v_xad_u32 v8, v41, -1, s36
	s_mov_b32 s14, exec_lo
	s_delay_alu instid0(VALU_DEP_1) | instskip(NEXT) | instid1(VALU_DEP_1)
	v_add_nc_u32_e32 v4, 32, v8
	v_lshl_add_u64 v[10:11], v[4:5], 4, s[20:21]
	;;#ASMSTART
	global_load_b128 v[4:7], v[10:11] off scope:SCOPE_DEV	
s_wait_loadcnt 0x0
	;;#ASMEND
	v_and_b32_e32 v7, 0xff, v6
	v_and_b32_e32 v5, 0xff, v5
	s_delay_alu instid0(VALU_DEP_2)
	v_cmpx_eq_u16_e32 0, v7
	s_cbranch_execz .LBB524_100
; %bb.97:
	s_mov_b32 s15, 0
.LBB524_98:                             ; =>This Inner Loop Header: Depth=1
	;;#ASMSTART
	global_load_b128 v[4:7], v[10:11] off scope:SCOPE_DEV	
s_wait_loadcnt 0x0
	;;#ASMEND
	v_and_b32_e32 v7, 0xff, v6
	s_delay_alu instid0(VALU_DEP_1) | instskip(SKIP_1) | instid1(SALU_CYCLE_1)
	v_cmp_ne_u16_e32 vcc_lo, 0, v7
	s_or_b32 s15, vcc_lo, s15
	s_and_not1_b32 exec_lo, exec_lo, s15
	s_cbranch_execnz .LBB524_98
; %bb.99:
	s_or_b32 exec_lo, exec_lo, s15
	v_and_b32_e32 v5, 0xff, v5
.LBB524_100:
	s_or_b32 exec_lo, exec_lo, s14
	v_cmp_ne_u32_e32 vcc_lo, 31, v41
	v_and_b32_e32 v9, 0xff, v6
	v_lshlrev_b32_e64 v43, v41, -1
	s_mov_b32 s14, exec_lo
	v_add_co_ci_u32_e64 v7, null, 0, v41, vcc_lo
	s_delay_alu instid0(VALU_DEP_3) | instskip(NEXT) | instid1(VALU_DEP_2)
	v_cmp_eq_u16_e32 vcc_lo, 2, v9
	v_dual_mov_b32 v9, v5 :: v_dual_lshlrev_b32 v42, 2, v7
	v_and_or_b32 v7, vcc_lo, v43, 0x80000000
	ds_bpermute_b32 v11, v42, v4
	ds_bpermute_b32 v10, v42, v5
	v_ctz_i32_b32_e32 v7, v7
	s_delay_alu instid0(VALU_DEP_1)
	v_cmpx_lt_u32_e64 v41, v7
	s_cbranch_execz .LBB524_102
; %bb.101:
	s_mov_b64 s[34:35], 0x100000000
	s_wait_dscnt 0x0
	v_and_b32_e32 v10, 1, v10
	v_cmp_gt_u64_e32 vcc_lo, s[34:35], v[4:5]
	v_dual_cndmask_b32 v9, 1, v11, vcc_lo :: v_dual_bitop2_b32 v5, 1, v5 bitop3:0x40
	s_delay_alu instid0(VALU_DEP_1) | instskip(NEXT) | instid1(VALU_DEP_2)
	v_cmp_eq_u32_e32 vcc_lo, 1, v5
	v_mul_lo_u32 v4, v9, v4
	v_cndmask_b32_e64 v5, v10, 1, vcc_lo
	s_delay_alu instid0(VALU_DEP_1)
	v_and_b32_e32 v9, 0xffff, v5
.LBB524_102:
	s_or_b32 exec_lo, exec_lo, s14
	v_cmp_gt_u32_e32 vcc_lo, 30, v41
	v_add_nc_u32_e32 v45, 2, v41
	s_mov_b32 s14, exec_lo
	s_wait_dscnt 0x0
	v_cndmask_b32_e64 v10, 0, 2, vcc_lo
	s_delay_alu instid0(VALU_DEP_1)
	v_add_lshl_u32 v44, v10, v41, 2
	ds_bpermute_b32 v11, v44, v4
	ds_bpermute_b32 v10, v44, v9
	v_cmpx_le_u32_e64 v45, v7
	s_cbranch_execz .LBB524_104
; %bb.103:
	v_cmp_eq_u16_e32 vcc_lo, 0, v5
	s_wait_dscnt 0x0
	v_and_b32_e32 v10, 1, v10
	v_dual_cndmask_b32 v9, 1, v11, vcc_lo :: v_dual_bitop2_b32 v5, 1, v5 bitop3:0x40
	s_delay_alu instid0(VALU_DEP_1) | instskip(NEXT) | instid1(VALU_DEP_2)
	v_cmp_eq_u32_e32 vcc_lo, 1, v5
	v_mul_lo_u32 v4, v9, v4
	s_delay_alu instid0(VALU_DEP_4) | instskip(NEXT) | instid1(VALU_DEP_1)
	v_cndmask_b32_e64 v5, v10, 1, vcc_lo
	v_and_b32_e32 v9, 0xffff, v5
.LBB524_104:
	s_or_b32 exec_lo, exec_lo, s14
	v_cmp_gt_u32_e32 vcc_lo, 28, v41
	v_add_nc_u32_e32 v47, 4, v41
	s_mov_b32 s14, exec_lo
	s_wait_dscnt 0x0
	v_cndmask_b32_e64 v10, 0, 4, vcc_lo
	s_delay_alu instid0(VALU_DEP_1)
	v_add_lshl_u32 v46, v10, v41, 2
	ds_bpermute_b32 v11, v46, v4
	ds_bpermute_b32 v10, v46, v9
	v_cmpx_le_u32_e64 v47, v7
	s_cbranch_execz .LBB524_106
; %bb.105:
	v_cmp_eq_u16_e32 vcc_lo, 0, v5
	s_wait_dscnt 0x0
	v_and_b32_e32 v10, 1, v10
	v_dual_cndmask_b32 v9, 1, v11, vcc_lo :: v_dual_bitop2_b32 v5, 1, v5 bitop3:0x40
	s_delay_alu instid0(VALU_DEP_1) | instskip(NEXT) | instid1(VALU_DEP_2)
	v_cmp_eq_u32_e32 vcc_lo, 1, v5
	v_mul_lo_u32 v4, v9, v4
	s_delay_alu instid0(VALU_DEP_4) | instskip(NEXT) | instid1(VALU_DEP_1)
	v_cndmask_b32_e64 v5, v10, 1, vcc_lo
	v_and_b32_e32 v9, 0xffff, v5
.LBB524_106:
	;; [unrolled: 24-line block ×3, first 2 shown]
	s_or_b32 exec_lo, exec_lo, s14
	v_lshl_or_b32 v52, v41, 2, 64
	v_add_nc_u32_e32 v53, 16, v41
	s_mov_b32 s14, exec_lo
	s_wait_dscnt 0x0
	ds_bpermute_b32 v10, v52, v4
	ds_bpermute_b32 v9, v52, v9
	v_cmpx_le_u32_e64 v53, v7
	s_cbranch_execz .LBB524_110
; %bb.109:
	v_cmp_eq_u16_e32 vcc_lo, 0, v5
	s_wait_dscnt 0x1
	v_dual_cndmask_b32 v7, 1, v10, vcc_lo :: v_dual_bitop2_b32 v5, 1, v5 bitop3:0x40
	s_delay_alu instid0(VALU_DEP_1) | instskip(NEXT) | instid1(VALU_DEP_2)
	v_cmp_eq_u32_e32 vcc_lo, 1, v5
	v_mul_lo_u32 v4, v7, v4
	s_wait_dscnt 0x0
	v_and_b32_e32 v7, 1, v9
	s_delay_alu instid0(VALU_DEP_1)
	v_cndmask_b32_e64 v5, v7, 1, vcc_lo
.LBB524_110:
	s_or_b32 exec_lo, exec_lo, s14
	s_wait_dscnt 0x0
	v_mov_b32_e32 v9, 0
	s_mov_b64 s[14:15], 0x100000000
	s_branch .LBB524_113
.LBB524_111:                            ;   in Loop: Header=BB524_113 Depth=1
	s_or_b32 exec_lo, exec_lo, s25
	v_and_b32_e32 v7, 0xff, v50
	s_delay_alu instid0(VALU_DEP_2) | instskip(SKIP_2) | instid1(VALU_DEP_3)
	v_and_b32_e32 v5, 1, v5
	v_subrev_nc_u32_e32 v8, 32, v8
	s_mov_b32 s25, 0
	v_cmp_eq_u16_e32 vcc_lo, 0, v7
	v_dual_cndmask_b32 v4, 1, v4, vcc_lo :: v_dual_bitop2_b32 v7, 1, v50 bitop3:0x40
	s_delay_alu instid0(VALU_DEP_1) | instskip(NEXT) | instid1(VALU_DEP_2)
	v_cmp_eq_u32_e32 vcc_lo, 1, v7
	v_mul_lo_u32 v4, v4, v51
	v_cndmask_b32_e64 v5, v5, 1, vcc_lo
.LBB524_112:                            ;   in Loop: Header=BB524_113 Depth=1
	s_and_b32 vcc_lo, exec_lo, s25
	s_cbranch_vccnz .LBB524_179
.LBB524_113:                            ; =>This Loop Header: Depth=1
                                        ;     Child Loop BB524_116 Depth 2
	v_and_b32_e32 v6, 0xff, v6
	s_delay_alu instid0(VALU_DEP_2) | instskip(SKIP_1) | instid1(VALU_DEP_2)
	v_dual_mov_b32 v50, v5 :: v_dual_mov_b32 v51, v4
	s_mov_b32 s25, -1
	v_cmp_ne_u16_e32 vcc_lo, 2, v6
                                        ; implicit-def: $vgpr5
	s_cmp_lg_u32 vcc_lo, exec_lo
	s_cbranch_scc1 .LBB524_112
; %bb.114:                              ;   in Loop: Header=BB524_113 Depth=1
	s_wait_dscnt 0x0
	v_lshl_add_u64 v[10:11], v[8:9], 4, s[20:21]
	;;#ASMSTART
	global_load_b128 v[4:7], v[10:11] off scope:SCOPE_DEV	
s_wait_loadcnt 0x0
	;;#ASMEND
	v_and_b32_e32 v7, 0xff, v6
	v_and_b32_e32 v5, 0xff, v5
	s_mov_b32 s25, exec_lo
	s_delay_alu instid0(VALU_DEP_2)
	v_cmpx_eq_u16_e32 0, v7
	s_cbranch_execz .LBB524_118
; %bb.115:                              ;   in Loop: Header=BB524_113 Depth=1
	s_mov_b32 s34, 0
.LBB524_116:                            ;   Parent Loop BB524_113 Depth=1
                                        ; =>  This Inner Loop Header: Depth=2
	;;#ASMSTART
	global_load_b128 v[4:7], v[10:11] off scope:SCOPE_DEV	
s_wait_loadcnt 0x0
	;;#ASMEND
	v_and_b32_e32 v7, 0xff, v6
	s_delay_alu instid0(VALU_DEP_1) | instskip(SKIP_1) | instid1(SALU_CYCLE_1)
	v_cmp_ne_u16_e32 vcc_lo, 0, v7
	s_or_b32 s34, vcc_lo, s34
	s_and_not1_b32 exec_lo, exec_lo, s34
	s_cbranch_execnz .LBB524_116
; %bb.117:                              ;   in Loop: Header=BB524_113 Depth=1
	s_or_b32 exec_lo, exec_lo, s34
	v_and_b32_e32 v5, 0xff, v5
.LBB524_118:                            ;   in Loop: Header=BB524_113 Depth=1
	s_or_b32 exec_lo, exec_lo, s25
	v_and_b32_e32 v7, 0xff, v6
	ds_bpermute_b32 v54, v42, v4
	ds_bpermute_b32 v11, v42, v5
	v_mov_b32_e32 v10, v5
	s_mov_b32 s25, exec_lo
	v_cmp_eq_u16_e32 vcc_lo, 2, v7
	v_and_or_b32 v7, vcc_lo, v43, 0x80000000
	s_delay_alu instid0(VALU_DEP_1) | instskip(NEXT) | instid1(VALU_DEP_1)
	v_ctz_i32_b32_e32 v7, v7
	v_cmpx_lt_u32_e64 v41, v7
	s_cbranch_execz .LBB524_120
; %bb.119:                              ;   in Loop: Header=BB524_113 Depth=1
	v_cmp_gt_u64_e32 vcc_lo, s[14:15], v[4:5]
	s_wait_dscnt 0x0
	v_and_b32_e32 v11, 1, v11
	v_dual_cndmask_b32 v10, 1, v54, vcc_lo :: v_dual_bitop2_b32 v5, 1, v5 bitop3:0x40
	s_delay_alu instid0(VALU_DEP_1) | instskip(NEXT) | instid1(VALU_DEP_2)
	v_cmp_eq_u32_e32 vcc_lo, 1, v5
	v_mul_lo_u32 v4, v10, v4
	s_delay_alu instid0(VALU_DEP_4) | instskip(NEXT) | instid1(VALU_DEP_1)
	v_cndmask_b32_e64 v5, v11, 1, vcc_lo
	v_and_b32_e32 v10, 0xffff, v5
.LBB524_120:                            ;   in Loop: Header=BB524_113 Depth=1
	s_or_b32 exec_lo, exec_lo, s25
	s_wait_dscnt 0x1
	ds_bpermute_b32 v54, v44, v4
	s_wait_dscnt 0x1
	ds_bpermute_b32 v11, v44, v10
	s_mov_b32 s25, exec_lo
	v_cmpx_le_u32_e64 v45, v7
	s_cbranch_execz .LBB524_122
; %bb.121:                              ;   in Loop: Header=BB524_113 Depth=1
	v_cmp_eq_u16_e32 vcc_lo, 0, v5
	s_wait_dscnt 0x0
	v_and_b32_e32 v11, 1, v11
	v_dual_cndmask_b32 v10, 1, v54, vcc_lo :: v_dual_bitop2_b32 v5, 1, v5 bitop3:0x40
	s_delay_alu instid0(VALU_DEP_1) | instskip(NEXT) | instid1(VALU_DEP_2)
	v_cmp_eq_u32_e32 vcc_lo, 1, v5
	v_mul_lo_u32 v4, v10, v4
	s_delay_alu instid0(VALU_DEP_4) | instskip(NEXT) | instid1(VALU_DEP_1)
	v_cndmask_b32_e64 v5, v11, 1, vcc_lo
	v_and_b32_e32 v10, 0xffff, v5
.LBB524_122:                            ;   in Loop: Header=BB524_113 Depth=1
	s_or_b32 exec_lo, exec_lo, s25
	s_wait_dscnt 0x1
	ds_bpermute_b32 v54, v46, v4
	s_wait_dscnt 0x1
	ds_bpermute_b32 v11, v46, v10
	s_mov_b32 s25, exec_lo
	v_cmpx_le_u32_e64 v47, v7
	s_cbranch_execz .LBB524_124
; %bb.123:                              ;   in Loop: Header=BB524_113 Depth=1
	v_cmp_eq_u16_e32 vcc_lo, 0, v5
	s_wait_dscnt 0x0
	v_and_b32_e32 v11, 1, v11
	v_dual_cndmask_b32 v10, 1, v54, vcc_lo :: v_dual_bitop2_b32 v5, 1, v5 bitop3:0x40
	s_delay_alu instid0(VALU_DEP_1) | instskip(NEXT) | instid1(VALU_DEP_2)
	v_cmp_eq_u32_e32 vcc_lo, 1, v5
	v_mul_lo_u32 v4, v10, v4
	s_delay_alu instid0(VALU_DEP_4) | instskip(NEXT) | instid1(VALU_DEP_1)
	v_cndmask_b32_e64 v5, v11, 1, vcc_lo
	v_and_b32_e32 v10, 0xffff, v5
.LBB524_124:                            ;   in Loop: Header=BB524_113 Depth=1
	;; [unrolled: 20-line block ×3, first 2 shown]
	s_or_b32 exec_lo, exec_lo, s25
	s_wait_dscnt 0x0
	ds_bpermute_b32 v11, v52, v4
	ds_bpermute_b32 v10, v52, v10
	s_mov_b32 s25, exec_lo
	v_cmpx_le_u32_e64 v53, v7
	s_cbranch_execz .LBB524_111
; %bb.127:                              ;   in Loop: Header=BB524_113 Depth=1
	v_cmp_eq_u16_e32 vcc_lo, 0, v5
	s_wait_dscnt 0x1
	v_dual_cndmask_b32 v7, 1, v11, vcc_lo :: v_dual_bitop2_b32 v5, 1, v5 bitop3:0x40
	s_delay_alu instid0(VALU_DEP_1) | instskip(NEXT) | instid1(VALU_DEP_2)
	v_cmp_eq_u32_e32 vcc_lo, 1, v5
	v_mul_lo_u32 v4, v7, v4
	s_wait_dscnt 0x0
	v_cndmask_b32_e64 v5, v10, 1, vcc_lo
	s_branch .LBB524_111
.LBB524_128:
	s_or_b32 exec_lo, exec_lo, s14
                                        ; implicit-def: $vgpr16
	s_and_saveexec_b32 s14, s1
	s_cbranch_execz .LBB524_33
.LBB524_129:
	flat_load_b32 v16, v0, s[24:25] offset:1024 scale_offset
	s_wait_xcnt 0x0
	s_or_b32 exec_lo, exec_lo, s14
                                        ; implicit-def: $vgpr17
	s_and_saveexec_b32 s1, s4
	s_cbranch_execnz .LBB524_34
.LBB524_130:
	s_or_b32 exec_lo, exec_lo, s1
                                        ; implicit-def: $vgpr18
	s_and_saveexec_b32 s1, s5
	s_cbranch_execz .LBB524_35
.LBB524_131:
	flat_load_b32 v18, v0, s[24:25] offset:3072 scale_offset
	s_wait_xcnt 0x0
	s_or_b32 exec_lo, exec_lo, s1
                                        ; implicit-def: $vgpr19
	s_and_saveexec_b32 s1, s6
	s_cbranch_execnz .LBB524_36
.LBB524_132:
	s_or_b32 exec_lo, exec_lo, s1
                                        ; implicit-def: $vgpr20
	s_and_saveexec_b32 s1, s7
	s_cbranch_execz .LBB524_37
.LBB524_133:
	flat_load_b32 v20, v0, s[24:25] offset:5120 scale_offset
	s_wait_xcnt 0x0
	s_or_b32 exec_lo, exec_lo, s1
                                        ; implicit-def: $vgpr21
	s_and_saveexec_b32 s1, s8
	s_cbranch_execnz .LBB524_38
.LBB524_134:
	s_or_b32 exec_lo, exec_lo, s1
                                        ; implicit-def: $vgpr22
	s_and_saveexec_b32 s1, s9
	s_cbranch_execz .LBB524_39
.LBB524_135:
	flat_load_b32 v22, v0, s[24:25] offset:7168 scale_offset
	s_wait_xcnt 0x0
	s_or_b32 exec_lo, exec_lo, s1
                                        ; implicit-def: $vgpr23
	s_and_saveexec_b32 s1, s10
	s_cbranch_execnz .LBB524_40
.LBB524_136:
	s_or_b32 exec_lo, exec_lo, s1
                                        ; implicit-def: $vgpr24
	s_and_saveexec_b32 s1, s11
	s_cbranch_execz .LBB524_41
.LBB524_137:
	flat_load_b32 v24, v0, s[24:25] offset:9216 scale_offset
	s_wait_xcnt 0x0
	s_or_b32 exec_lo, exec_lo, s1
                                        ; implicit-def: $vgpr25
	s_and_saveexec_b32 s1, s12
	s_cbranch_execz .LBB524_43
	s_branch .LBB524_42
.LBB524_138:
                                        ; implicit-def: $vgpr13
                                        ; implicit-def: $vgpr9
                                        ; implicit-def: $vgpr5
	s_cbranch_execnz .LBB524_184
.LBB524_139:
	s_add_nc_u64 s[2:3], s[18:19], s[28:29]
	s_and_b32 vcc_lo, exec_lo, s0
	s_add_nc_u64 s[0:1], s[2:3], s[16:17]
	s_cbranch_vccz .LBB524_203
.LBB524_140:
	v_mul_u32_u24_e32 v1, 12, v0
	s_add_co_i32 s23, s23, s22
	s_mov_b32 s2, exec_lo
	s_delay_alu instid0(VALU_DEP_1)
	v_cmpx_gt_u32_e64 s23, v1
	s_cbranch_execz .LBB524_156
; %bb.141:
	v_or_b32_e32 v14, 1, v1
	s_mov_b32 s3, exec_lo
	s_delay_alu instid0(VALU_DEP_1)
	v_cmpx_gt_u32_e64 s23, v14
	s_cbranch_execz .LBB524_155
; %bb.142:
	v_or_b32_e32 v14, 2, v1
	;; [unrolled: 6-line block ×3, first 2 shown]
	s_mov_b32 s5, exec_lo
	s_delay_alu instid0(VALU_DEP_1)
	v_cmpx_gt_u32_e64 s23, v14
	s_cbranch_execz .LBB524_153
; %bb.144:
	v_add_nc_u32_e32 v14, 4, v1
	s_mov_b32 s6, exec_lo
	s_delay_alu instid0(VALU_DEP_1)
	v_cmpx_gt_u32_e64 s23, v14
	s_cbranch_execz .LBB524_152
; %bb.145:
	v_add_nc_u32_e32 v14, 5, v1
	;; [unrolled: 6-line block ×4, first 2 shown]
	s_mov_b32 s9, exec_lo
	s_delay_alu instid0(VALU_DEP_1)
	v_cmpx_gt_u32_e64 s23, v14
; %bb.148:
	v_add_nc_u32_e32 v14, 8, v1
	s_mov_b32 s10, exec_lo
	s_delay_alu instid0(VALU_DEP_1)
	v_cmpx_gt_u32_e64 s23, v14
	s_or_b32 exec_lo, exec_lo, s10
; %bb.149:
	s_delay_alu instid0(SALU_CYCLE_1)
	s_or_b32 exec_lo, exec_lo, s9
.LBB524_150:
	s_delay_alu instid0(SALU_CYCLE_1)
	s_or_b32 exec_lo, exec_lo, s8
.LBB524_151:
	s_delay_alu instid0(SALU_CYCLE_1)
	s_or_b32 exec_lo, exec_lo, s7
.LBB524_152:
	s_delay_alu instid0(SALU_CYCLE_1)
	s_or_b32 exec_lo, exec_lo, s6
.LBB524_153:
	s_delay_alu instid0(SALU_CYCLE_1)
	s_or_b32 exec_lo, exec_lo, s5
.LBB524_154:
	s_delay_alu instid0(SALU_CYCLE_1)
	s_or_b32 exec_lo, exec_lo, s4
.LBB524_155:
	s_delay_alu instid0(SALU_CYCLE_1)
	s_or_b32 exec_lo, exec_lo, s3
.LBB524_156:
	s_delay_alu instid0(SALU_CYCLE_1) | instskip(SKIP_3) | instid1(VALU_DEP_1)
	s_or_b32 exec_lo, exec_lo, s2
	v_dual_lshlrev_b32 v1, 2, v1 :: v_dual_mov_b32 v17, 0
	s_barrier_signal -1
	s_barrier_wait -1
	v_mad_i32_i24 v14, 0xffffffd4, v0, v1
	ds_store_b128 v1, v[2:5]
	ds_store_b128 v1, v[6:9] offset:16
	ds_store_b128 v1, v[10:13] offset:32
	s_wait_dscnt 0x0
	s_barrier_signal -1
	s_barrier_wait -1
	ds_load_2addr_stride64_b32 v[26:27], v14 offset0:4 offset1:8
	ds_load_2addr_stride64_b32 v[24:25], v14 offset0:12 offset1:16
	;; [unrolled: 1-line block ×5, first 2 shown]
	ds_load_b32 v15, v14 offset:11264
	v_add_nc_u64_e32 v[16:17], s[0:1], v[16:17]
	s_mov_b32 s2, exec_lo
	v_cmpx_gt_u32_e64 s23, v0
	s_cbranch_execz .LBB524_158
; %bb.157:
	v_mul_i32_i24_e32 v14, 0xffffffd4, v0
	s_delay_alu instid0(VALU_DEP_1)
	v_add_nc_u32_e32 v1, v1, v14
	ds_load_b32 v1, v1
	s_wait_dscnt 0x0
	flat_store_b32 v[16:17], v1
.LBB524_158:
	s_wait_xcnt 0x0
	s_or_b32 exec_lo, exec_lo, s2
	v_or_b32_e32 v1, 0x100, v0
	s_mov_b32 s2, exec_lo
	s_delay_alu instid0(VALU_DEP_1)
	v_cmpx_gt_u32_e64 s23, v1
	s_cbranch_execz .LBB524_160
; %bb.159:
	s_wait_dscnt 0x5
	flat_store_b32 v[16:17], v26 offset:1024
.LBB524_160:
	s_wait_xcnt 0x0
	s_or_b32 exec_lo, exec_lo, s2
	v_or_b32_e32 v1, 0x200, v0
	s_mov_b32 s2, exec_lo
	s_delay_alu instid0(VALU_DEP_1)
	v_cmpx_gt_u32_e64 s23, v1
	s_cbranch_execz .LBB524_162
; %bb.161:
	s_wait_dscnt 0x5
	flat_store_b32 v[16:17], v27 offset:2048
.LBB524_162:
	;; [unrolled: 11-line block ×10, first 2 shown]
	s_wait_xcnt 0x0
	s_or_b32 exec_lo, exec_lo, s2
	v_or_b32_e32 v1, 0xb00, v0
	s_delay_alu instid0(VALU_DEP_1)
	v_cmp_gt_u32_e64 s2, s23, v1
	s_branch .LBB524_205
.LBB524_179:
	s_and_saveexec_b32 s14, s13
	s_cbranch_execz .LBB524_181
; %bb.180:
	v_and_b32_e32 v4, 0xff, v3
	v_and_b32_e32 v3, 1, v3
	s_mov_b32 s35, 0
	s_add_co_i32 s34, s36, 32
	v_and_b32_e32 v5, 1, v50
	v_cmp_eq_u32_e32 vcc_lo, 0, v4
	s_lshl_b64 s[34:35], s[34:35], 4
	s_delay_alu instid0(SALU_CYCLE_1) | instskip(SKIP_2) | instid1(VALU_DEP_2)
	s_add_nc_u64 s[34:35], s[20:21], s[34:35]
	v_cndmask_b32_e32 v4, 1, v51, vcc_lo
	v_mov_b64_e32 v[6:7], s[34:35]
	v_mul_lo_u32 v2, v4, v2
	v_mov_b32_e32 v4, 2
	v_cmp_eq_u32_e32 vcc_lo, 1, v3
	v_cndmask_b32_e64 v3, v5, 1, vcc_lo
	v_mov_b32_e32 v5, 0
	;;#ASMSTART
	global_store_b128 v[6:7], v[2:5] off scope:SCOPE_DEV	
s_wait_storecnt 0x0
	;;#ASMEND
.LBB524_181:
	s_or_b32 exec_lo, exec_lo, s14
	s_delay_alu instid0(SALU_CYCLE_1)
	s_and_b32 exec_lo, exec_lo, s2
	s_cbranch_execz .LBB524_183
; %bb.182:
	v_mov_b32_e32 v2, 0
	ds_store_b32 v2, v51
	ds_store_b8 v2, v50 offset:4
.LBB524_183:
	s_or_b32 exec_lo, exec_lo, s24
	s_wait_dscnt 0x0
	v_and_b32_e32 v3, 0xff, v13
	s_barrier_signal -1
	s_barrier_wait -1
	s_delay_alu instid0(VALU_DEP_1)
	v_cmp_eq_u16_e32 vcc_lo, 0, v3
	v_mov_b32_e32 v4, 0
	v_and_b32_e32 v5, 0xff, v15
	ds_load_b32 v2, v4
	s_wait_dscnt 0x0
	v_cndmask_b32_e32 v3, 1, v2, vcc_lo
	v_cmp_eq_u64_e32 vcc_lo, 0, v[4:5]
	s_delay_alu instid0(VALU_DEP_2) | instskip(NEXT) | instid1(VALU_DEP_1)
	v_mul_lo_u32 v3, v3, v12
	v_cndmask_b32_e64 v2, v3, v2, s2
	s_delay_alu instid0(VALU_DEP_1) | instskip(NEXT) | instid1(VALU_DEP_1)
	v_cndmask_b32_e32 v3, 1, v2, vcc_lo
	v_mul_lo_u32 v3, v3, v14
	s_delay_alu instid0(VALU_DEP_1) | instskip(NEXT) | instid1(VALU_DEP_1)
	v_cndmask_b32_e64 v4, 1, v3, s1
	v_mul_lo_u32 v4, v4, v36
	s_delay_alu instid0(VALU_DEP_1) | instskip(NEXT) | instid1(VALU_DEP_1)
	v_cndmask_b32_e64 v5, 1, v4, s4
	;; [unrolled: 3-line block ×10, first 2 shown]
	v_mul_lo_u32 v13, v13, v18
	s_branch .LBB524_139
.LBB524_184:
	s_cmp_eq_u64 s[30:31], 0
	v_mov_b32_e32 v41, s33
	s_cselect_b32 s1, -1, 0
	s_cmp_eq_u64 s[26:27], 0
	s_cselect_b32 s4, -1, 0
	s_delay_alu instid0(SALU_CYCLE_1) | instskip(NEXT) | instid1(SALU_CYCLE_1)
	s_or_b32 s1, s1, s4
	s_and_b32 vcc_lo, exec_lo, s1
	s_cbranch_vccnz .LBB524_186
; %bb.185:
	v_mov_b32_e32 v2, 0
	global_load_b32 v41, v2, s[26:27]
.LBB524_186:
	s_mov_b64 s[12:13], 0x100000000
	v_or3_b32 v3, v40, v27, v29
	v_cmp_gt_u64_e32 vcc_lo, s[12:13], v[36:37]
	v_cmp_gt_u64_e64 s1, s[12:13], v[34:35]
	v_cmp_gt_u64_e64 s4, s[12:13], v[32:33]
	;; [unrolled: 1-line block ×6, first 2 shown]
	s_wait_xcnt 0x0
	v_dual_cndmask_b32 v2, 1, v14, vcc_lo :: v_dual_bitop2_b32 v1, 56, v1 bitop3:0x40
	v_cmp_gt_u64_e64 s9, s[12:13], v[22:23]
	v_cmp_gt_u64_e64 s10, s[12:13], v[20:21]
	;; [unrolled: 1-line block ×3, first 2 shown]
	s_delay_alu instid0(VALU_DEP_4)
	v_mul_lo_u32 v2, v2, v36
	v_or3_b32 v3, v3, v31, v33
	v_cmp_gt_u64_e64 s12, s[12:13], v[38:39]
	v_lshl_add_u32 v1, v0, 3, v1
	s_mov_b32 s13, exec_lo
	v_or3_b32 v3, v3, v35, v37
	s_delay_alu instid0(VALU_DEP_1) | instskip(SKIP_1) | instid1(VALU_DEP_2)
	v_or3_b32 v3, v39, v17, v3
	v_cndmask_b32_e64 v2, 1, v2, s1
	v_and_b32_e32 v3, 0xff, v3
	s_delay_alu instid0(VALU_DEP_2) | instskip(NEXT) | instid1(VALU_DEP_1)
	v_mul_lo_u32 v2, v2, v34
	v_cndmask_b32_e64 v2, 1, v2, s4
	s_delay_alu instid0(VALU_DEP_1) | instskip(NEXT) | instid1(VALU_DEP_1)
	v_mul_lo_u32 v2, v2, v32
	v_cndmask_b32_e64 v2, 1, v2, s5
	s_delay_alu instid0(VALU_DEP_1) | instskip(NEXT) | instid1(VALU_DEP_1)
	;; [unrolled: 3-line block ×8, first 2 shown]
	v_mul_lo_u32 v2, v2, v18
	v_dual_cndmask_b32 v4, 1, v2, s12 :: v_dual_mov_b32 v2, 0
	s_delay_alu instid0(VALU_DEP_1) | instskip(NEXT) | instid1(VALU_DEP_2)
	v_mul_lo_u32 v4, v4, v38
	v_cmp_eq_u64_e64 s12, 0, v[2:3]
	s_delay_alu instid0(VALU_DEP_1)
	v_cndmask_b32_e64 v5, 1, v15, s12
	ds_store_b32 v1, v4
	ds_store_b8 v1, v5 offset:4
	s_wait_loadcnt_dscnt 0x0
	s_barrier_signal -1
	s_barrier_wait -1
	v_cmpx_gt_u32_e32 32, v0
	s_cbranch_execz .LBB524_198
; %bb.187:
	v_dual_lshlrev_b32 v1, 1, v0 :: v_dual_lshlrev_b32 v2, 6, v0
	s_mov_b32 s14, exec_lo
	s_delay_alu instid0(VALU_DEP_1) | instskip(NEXT) | instid1(VALU_DEP_1)
	v_and_b32_e32 v1, 0x1f8, v1
	v_add_nc_u32_e32 v1, v1, v2
	ds_load_u8 v10, v1 offset:12
	ds_load_b64 v[2:3], v1
	ds_load_2addr_b32 v[6:7], v1 offset0:2 offset1:4
	ds_load_u8 v11, v1 offset:20
	ds_load_u8 v12, v1 offset:28
	ds_load_u8 v13, v1 offset:36
	ds_load_u8 v17, v1 offset:44
	ds_load_u8 v19, v1 offset:52
	ds_load_b32 v21, v1 offset:56
	s_wait_dscnt 0x8
	v_cmp_eq_u16_e64 s12, 0, v10
	s_wait_dscnt 0x7
	s_delay_alu instid0(VALU_DEP_1) | instskip(SKIP_2) | instid1(VALU_DEP_2)
	v_cndmask_b32_e64 v8, 1, v2, s12
	s_wait_dscnt 0x5
	v_cmp_eq_u16_e64 s12, 0, v11
	v_mul_lo_u32 v6, v8, v6
	ds_load_2addr_b32 v[8:9], v1 offset0:6 offset1:8
	v_cndmask_b32_e64 v6, 1, v6, s12
	s_wait_dscnt 0x5
	v_cmp_eq_u16_e64 s12, 0, v12
	s_delay_alu instid0(VALU_DEP_2) | instskip(NEXT) | instid1(VALU_DEP_1)
	v_mul_lo_u32 v6, v6, v7
	v_cndmask_b32_e64 v6, 1, v6, s12
	s_wait_dscnt 0x4
	v_cmp_eq_u16_e64 s12, 0, v13
	s_wait_dscnt 0x0
	s_delay_alu instid0(VALU_DEP_2) | instskip(NEXT) | instid1(VALU_DEP_1)
	v_mul_lo_u32 v6, v6, v8
	v_cndmask_b32_e64 v8, 1, v6, s12
	ds_load_2addr_b32 v[6:7], v1 offset0:10 offset1:12
	v_cmp_eq_u16_e64 s12, 0, v17
	v_mul_lo_u32 v8, v8, v9
	ds_load_u8 v9, v1 offset:60
	v_cndmask_b32_e64 v8, 1, v8, s12
	v_cmp_eq_u16_e64 s12, 0, v19
	s_wait_dscnt 0x1
	s_delay_alu instid0(VALU_DEP_2) | instskip(SKIP_1) | instid1(VALU_DEP_1)
	v_mul_lo_u32 v6, v8, v6
	v_or_b32_e32 v8, v11, v10
	v_bitop3_b16 v8, v8, v13, v12 bitop3:0xfe
	s_delay_alu instid0(VALU_DEP_1) | instskip(NEXT) | instid1(VALU_DEP_4)
	v_bitop3_b16 v8, v8, v19, v17 bitop3:0xfe
	v_dual_cndmask_b32 v10, 1, v6, s12 :: v_dual_bitop2_b32 v6, 1, v3 bitop3:0x40
	s_delay_alu instid0(VALU_DEP_2) | instskip(NEXT) | instid1(VALU_DEP_2)
	v_cmp_eq_u16_e64 s12, 0, v8
	v_mul_lo_u32 v7, v10, v7
	s_wait_dscnt 0x0
	s_delay_alu instid0(VALU_DEP_2) | instskip(NEXT) | instid1(VALU_DEP_1)
	v_dual_cndmask_b32 v8, 1, v6, s12 :: v_dual_bitop2_b32 v10, 1, v9 bitop3:0x40
	v_cmp_eq_u32_e64 s12, 1, v10
	s_delay_alu instid0(VALU_DEP_1) | instskip(SKIP_2) | instid1(VALU_DEP_3)
	v_cndmask_b32_e64 v10, v8, 1, s12
	v_cmp_eq_u16_e64 s12, 0, v9
	v_mbcnt_lo_u32_b32 v9, -1, 0
	v_and_b32_e32 v11, 0xffff, v10
	s_delay_alu instid0(VALU_DEP_3) | instskip(SKIP_1) | instid1(VALU_DEP_1)
	v_cndmask_b32_e64 v8, 1, v7, s12
	v_and_b32_e32 v7, 0xffffff00, v3
	v_or_b32_e32 v12, v7, v11
	v_and_b32_e32 v11, 15, v9
	s_delay_alu instid0(VALU_DEP_4) | instskip(NEXT) | instid1(VALU_DEP_3)
	v_mul_lo_u32 v8, v8, v21
	v_mov_b32_dpp v17, v12 row_shr:1 row_mask:0xf bank_mask:0xf
	s_delay_alu instid0(VALU_DEP_2) | instskip(NEXT) | instid1(VALU_DEP_4)
	v_mov_b32_dpp v13, v8 row_shr:1 row_mask:0xf bank_mask:0xf
	v_cmpx_ne_u32_e32 0, v11
	s_cbranch_execz .LBB524_189
; %bb.188:
	v_cmp_eq_u16_e64 s12, 0, v10
	v_and_b32_e32 v12, 1, v10
	v_and_b32_e32 v17, 1, v17
	s_delay_alu instid0(VALU_DEP_3) | instskip(NEXT) | instid1(VALU_DEP_3)
	v_cndmask_b32_e64 v13, 1, v13, s12
	v_cmp_eq_u32_e64 s12, 1, v12
	s_delay_alu instid0(VALU_DEP_2) | instskip(NEXT) | instid1(VALU_DEP_2)
	v_mul_lo_u32 v8, v13, v8
	v_cndmask_b32_e64 v10, v17, 1, s12
	s_delay_alu instid0(VALU_DEP_1) | instskip(NEXT) | instid1(VALU_DEP_1)
	v_and_b32_e32 v12, 0xffff, v10
	v_or_b32_e32 v12, v7, v12
.LBB524_189:
	s_or_b32 exec_lo, exec_lo, s14
	s_delay_alu instid0(VALU_DEP_2) | instskip(NEXT) | instid1(VALU_DEP_2)
	v_mov_b32_dpp v13, v8 row_shr:2 row_mask:0xf bank_mask:0xf
	v_mov_b32_dpp v17, v12 row_shr:2 row_mask:0xf bank_mask:0xf
	s_mov_b32 s14, exec_lo
	v_cmpx_lt_u32_e32 1, v11
	s_cbranch_execz .LBB524_191
; %bb.190:
	v_cmp_eq_u16_e64 s12, 0, v10
	v_and_b32_e32 v12, 1, v10
	v_and_b32_e32 v17, 1, v17
	s_delay_alu instid0(VALU_DEP_3) | instskip(NEXT) | instid1(VALU_DEP_3)
	v_cndmask_b32_e64 v13, 1, v13, s12
	v_cmp_eq_u32_e64 s12, 1, v12
	s_delay_alu instid0(VALU_DEP_2) | instskip(NEXT) | instid1(VALU_DEP_2)
	v_mul_lo_u32 v8, v13, v8
	v_cndmask_b32_e64 v10, v17, 1, s12
	s_delay_alu instid0(VALU_DEP_1) | instskip(NEXT) | instid1(VALU_DEP_1)
	v_and_b32_e32 v12, 0xffff, v10
	v_or_b32_e32 v12, v7, v12
.LBB524_191:
	s_or_b32 exec_lo, exec_lo, s14
	s_delay_alu instid0(VALU_DEP_4) | instskip(NEXT) | instid1(VALU_DEP_2)
	v_mov_b32_dpp v13, v8 row_shr:4 row_mask:0xf bank_mask:0xf
	v_mov_b32_dpp v17, v12 row_shr:4 row_mask:0xf bank_mask:0xf
	s_mov_b32 s14, exec_lo
	v_cmpx_lt_u32_e32 3, v11
	s_cbranch_execz .LBB524_193
; %bb.192:
	v_cmp_eq_u16_e64 s12, 0, v10
	v_and_b32_e32 v12, 1, v10
	v_and_b32_e32 v17, 1, v17
	s_delay_alu instid0(VALU_DEP_3) | instskip(NEXT) | instid1(VALU_DEP_3)
	v_cndmask_b32_e64 v13, 1, v13, s12
	v_cmp_eq_u32_e64 s12, 1, v12
	s_delay_alu instid0(VALU_DEP_2) | instskip(NEXT) | instid1(VALU_DEP_2)
	v_mul_lo_u32 v8, v13, v8
	v_cndmask_b32_e64 v10, v17, 1, s12
	s_delay_alu instid0(VALU_DEP_1) | instskip(NEXT) | instid1(VALU_DEP_1)
	v_and_b32_e32 v12, 0xffff, v10
	v_or_b32_e32 v12, v7, v12
.LBB524_193:
	s_or_b32 exec_lo, exec_lo, s14
	s_delay_alu instid0(VALU_DEP_4) | instskip(NEXT) | instid1(VALU_DEP_2)
	v_mov_b32_dpp v13, v8 row_shr:8 row_mask:0xf bank_mask:0xf
	v_mov_b32_dpp v17, v12 row_shr:8 row_mask:0xf bank_mask:0xf
	s_mov_b32 s14, exec_lo
	v_cmpx_lt_u32_e32 7, v11
	s_cbranch_execz .LBB524_195
; %bb.194:
	v_cmp_eq_u16_e64 s12, 0, v10
	v_and_b32_e32 v11, 1, v10
	v_and_b32_e32 v12, 1, v17
	s_delay_alu instid0(VALU_DEP_3) | instskip(NEXT) | instid1(VALU_DEP_3)
	v_cndmask_b32_e64 v13, 1, v13, s12
	v_cmp_eq_u32_e64 s12, 1, v11
	s_delay_alu instid0(VALU_DEP_2) | instskip(NEXT) | instid1(VALU_DEP_2)
	v_mul_lo_u32 v8, v13, v8
	v_cndmask_b32_e64 v10, v12, 1, s12
	s_delay_alu instid0(VALU_DEP_1) | instskip(NEXT) | instid1(VALU_DEP_1)
	v_and_b32_e32 v11, 0xffff, v10
	v_or_b32_e32 v12, v7, v11
.LBB524_195:
	s_or_b32 exec_lo, exec_lo, s14
	ds_swizzle_b32 v13, v8 offset:swizzle(BROADCAST,32,15)
	ds_swizzle_b32 v11, v12 offset:swizzle(BROADCAST,32,15)
	v_and_b32_e32 v12, 16, v9
	s_mov_b32 s14, exec_lo
	s_delay_alu instid0(VALU_DEP_1)
	v_cmpx_ne_u32_e32 0, v12
	s_cbranch_execz .LBB524_197
; %bb.196:
	v_cmp_eq_u16_e64 s12, 0, v10
	s_wait_dscnt 0x0
	v_and_b32_e32 v11, 1, v11
	s_delay_alu instid0(VALU_DEP_2) | instskip(NEXT) | instid1(VALU_DEP_1)
	v_dual_cndmask_b32 v12, 1, v13, s12 :: v_dual_bitop2_b32 v10, 1, v10 bitop3:0x40
	v_cmp_eq_u32_e64 s12, 1, v10
	s_delay_alu instid0(VALU_DEP_2) | instskip(NEXT) | instid1(VALU_DEP_2)
	v_mul_lo_u32 v8, v12, v8
	v_cndmask_b32_e64 v10, v11, 1, s12
.LBB524_197:
	s_or_b32 exec_lo, exec_lo, s14
	s_wait_dscnt 0x0
	v_add_nc_u32_e32 v11, -1, v9
	v_and_b32_e32 v3, 0xff, v3
	v_and_b32_e32 v10, 0xffff, v10
	; wave barrier
	s_delay_alu instid0(VALU_DEP_3) | instskip(NEXT) | instid1(VALU_DEP_1)
	v_cmp_gt_i32_e64 s12, 0, v11
	v_cndmask_b32_e64 v9, v11, v9, s12
	s_delay_alu instid0(VALU_DEP_4) | instskip(NEXT) | instid1(VALU_DEP_2)
	v_cmp_eq_u16_e64 s12, 0, v3
	v_lshlrev_b32_e32 v9, 2, v9
	ds_bpermute_b32 v8, v9, v8
	s_wait_dscnt 0x0
	v_cndmask_b32_e64 v3, 1, v8, s12
	v_cmp_eq_u32_e64 s12, 1, v6
	s_delay_alu instid0(VALU_DEP_2) | instskip(NEXT) | instid1(VALU_DEP_1)
	v_mul_lo_u32 v2, v3, v2
	v_dual_cndmask_b32 v4, v2, v4, s2 :: v_dual_bitop2_b32 v7, v7, v10 bitop3:0x54
	ds_bpermute_b32 v7, v9, v7
	s_wait_dscnt 0x0
	v_and_b32_e32 v3, 1, v7
	s_delay_alu instid0(VALU_DEP_1) | instskip(NEXT) | instid1(VALU_DEP_1)
	v_cndmask_b32_e64 v3, v3, 1, s12
	v_cndmask_b32_e64 v6, v3, v5, s2
	ds_store_b32 v1, v4
	ds_store_b8 v1, v6 offset:4
	; wave barrier
	ds_load_u8 v7, v1 offset:12
	ds_load_2addr_b32 v[2:3], v1 offset0:2 offset1:4
	ds_load_u8 v8, v1 offset:20
	ds_load_u8 v9, v1 offset:28
	;; [unrolled: 1-line block ×5, first 2 shown]
	ds_load_b32 v13, v1 offset:56
	ds_load_u8 v17, v1 offset:60
	s_wait_dscnt 0x8
	v_cmp_eq_u16_e64 s12, 0, v7
	s_delay_alu instid0(VALU_DEP_1) | instskip(SKIP_2) | instid1(VALU_DEP_2)
	v_dual_cndmask_b32 v4, 1, v4, s12 :: v_dual_bitop2_b32 v7, 1, v7 bitop3:0x40
	s_wait_dscnt 0x6
	v_cmp_eq_u16_e64 s12, 0, v8
	v_mul_lo_u32 v19, v4, v2
	ds_load_2addr_b32 v[4:5], v1 offset0:6 offset1:8
	v_cndmask_b32_e64 v2, 1, v19, s12
	s_wait_dscnt 0x6
	v_cmp_eq_u16_e64 s12, 0, v9
	s_delay_alu instid0(VALU_DEP_2) | instskip(NEXT) | instid1(VALU_DEP_1)
	v_mul_lo_u32 v21, v2, v3
	v_cndmask_b32_e64 v2, 1, v21, s12
	s_wait_dscnt 0x5
	v_cmp_eq_u16_e64 s12, 0, v10
	v_and_b32_e32 v10, 1, v10
	ds_store_2addr_b32 v1, v19, v21 offset0:2 offset1:4
	s_wait_dscnt 0x1
	v_mul_lo_u32 v4, v2, v4
	ds_load_2addr_b32 v[2:3], v1 offset0:10 offset1:12
	v_cndmask_b32_e64 v23, 1, v4, s12
	v_cmp_eq_u16_e64 s12, 0, v11
	s_delay_alu instid0(VALU_DEP_2) | instskip(NEXT) | instid1(VALU_DEP_1)
	v_mul_lo_u32 v5, v23, v5
	v_cndmask_b32_e64 v23, 1, v5, s12
	v_cmp_eq_u32_e64 s12, 1, v7
	v_and_b32_e32 v7, 1, v9
	s_wait_dscnt 0x0
	s_delay_alu instid0(VALU_DEP_3) | instskip(SKIP_2) | instid1(VALU_DEP_2)
	v_mul_lo_u32 v2, v23, v2
	v_and_b32_e32 v8, 1, v8
	v_cndmask_b32_e64 v6, v6, 1, s12
	v_cmp_eq_u32_e64 s12, 1, v8
	s_delay_alu instid0(VALU_DEP_1) | instskip(SKIP_1) | instid1(VALU_DEP_1)
	v_cndmask_b32_e64 v8, v6, 1, s12
	v_cmp_eq_u16_e64 s12, 0, v12
	v_cndmask_b32_e64 v9, 1, v2, s12
	v_cmp_eq_u32_e64 s12, 1, v7
	s_delay_alu instid0(VALU_DEP_2) | instskip(NEXT) | instid1(VALU_DEP_2)
	v_mul_lo_u32 v3, v9, v3
	v_cndmask_b32_e64 v7, v8, 1, s12
	v_and_b32_e32 v9, 1, v11
	v_cmp_eq_u32_e64 s12, 1, v10
	v_and_b32_e32 v11, 1, v12
	v_and_b32_e32 v12, 1, v17
	s_delay_alu instid0(VALU_DEP_3) | instskip(SKIP_1) | instid1(VALU_DEP_1)
	v_cndmask_b32_e64 v10, v7, 1, s12
	v_cmp_eq_u32_e64 s12, 1, v9
	v_cndmask_b32_e64 v9, v10, 1, s12
	v_cmp_eq_u16_e64 s12, 0, v17
	s_delay_alu instid0(VALU_DEP_1) | instskip(SKIP_1) | instid1(VALU_DEP_2)
	v_cndmask_b32_e64 v17, 1, v3, s12
	v_cmp_eq_u32_e64 s12, 1, v11
	v_mul_lo_u32 v13, v17, v13
	s_delay_alu instid0(VALU_DEP_2) | instskip(SKIP_1) | instid1(VALU_DEP_1)
	v_cndmask_b32_e64 v11, v9, 1, s12
	v_cmp_eq_u32_e64 s12, 1, v12
	v_cndmask_b32_e64 v12, v11, 1, s12
	ds_store_2addr_b32 v1, v4, v5 offset0:6 offset1:8
	ds_store_2addr_b32 v1, v2, v3 offset0:10 offset1:12
	ds_store_b8 v1, v6 offset:12
	ds_store_b8 v1, v8 offset:20
	;; [unrolled: 1-line block ×6, first 2 shown]
	ds_store_b32 v1, v13 offset:56
	ds_store_b8 v1, v12 offset:60
.LBB524_198:
	s_or_b32 exec_lo, exec_lo, s13
	v_mov_b32_e32 v2, v41
	s_wait_dscnt 0x0
	s_barrier_signal -1
	s_barrier_wait -1
	s_and_saveexec_b32 s12, s3
	s_cbranch_execz .LBB524_200
; %bb.199:
	v_add_nc_u32_e32 v1, -1, v0
	s_delay_alu instid0(VALU_DEP_1) | instskip(NEXT) | instid1(VALU_DEP_1)
	v_lshrrev_b32_e32 v2, 2, v1
	v_and_b32_e32 v2, 0x3ffffff8, v2
	s_delay_alu instid0(VALU_DEP_1) | instskip(SKIP_4) | instid1(VALU_DEP_1)
	v_lshl_add_u32 v1, v1, 3, v2
	ds_load_u8 v2, v1 offset:4
	ds_load_b32 v1, v1
	s_wait_dscnt 0x1
	v_cmp_eq_u16_e64 s3, 0, v2
	v_cndmask_b32_e64 v2, 1, v41, s3
	s_wait_dscnt 0x0
	s_delay_alu instid0(VALU_DEP_1)
	v_mul_lo_u32 v2, v2, v1
.LBB524_200:
	s_or_b32 exec_lo, exec_lo, s12
	v_and_b32_e32 v39, 0xff, v15
	v_mov_b32_e32 v38, 0
	s_delay_alu instid0(VALU_DEP_1) | instskip(NEXT) | instid1(VALU_DEP_1)
	v_cmp_eq_u64_e64 s3, 0, v[38:39]
	v_cndmask_b32_e64 v1, 1, v2, s3
	s_delay_alu instid0(VALU_DEP_1) | instskip(NEXT) | instid1(VALU_DEP_1)
	v_mul_lo_u32 v3, v1, v14
	v_cndmask_b32_e32 v1, 1, v3, vcc_lo
	s_delay_alu instid0(VALU_DEP_1) | instskip(NEXT) | instid1(VALU_DEP_1)
	v_mul_lo_u32 v4, v1, v36
	v_cndmask_b32_e64 v1, 1, v4, s1
	s_delay_alu instid0(VALU_DEP_1) | instskip(NEXT) | instid1(VALU_DEP_1)
	v_mul_lo_u32 v5, v1, v34
	v_cndmask_b32_e64 v1, 1, v5, s4
	;; [unrolled: 3-line block ×9, first 2 shown]
	s_delay_alu instid0(VALU_DEP_1)
	v_mul_lo_u32 v13, v1, v18
	s_and_saveexec_b32 s1, s2
	s_cbranch_execz .LBB524_202
; %bb.201:
	ds_load_u8 v1, v38 offset:2100
	ds_load_b32 v17, v38 offset:2096
	v_mov_b32_e32 v15, v38
	s_add_nc_u64 s[2:3], s[20:21], 0x200
	v_mov_b32_e32 v21, v38
	s_wait_dscnt 0x1
	v_and_b32_e32 v14, 0xffff, v1
	s_delay_alu instid0(VALU_DEP_1) | instskip(SKIP_4) | instid1(VALU_DEP_1)
	v_dual_mov_b32 v20, 2 :: v_dual_mov_b32 v19, v14
	v_cmp_eq_u64_e32 vcc_lo, 0, v[14:15]
	v_mov_b64_e32 v[14:15], s[2:3]
	v_cndmask_b32_e32 v1, 1, v41, vcc_lo
	s_wait_dscnt 0x0
	v_mul_lo_u32 v18, v1, v17
	;;#ASMSTART
	global_store_b128 v[14:15], v[18:21] off scope:SCOPE_DEV	
s_wait_storecnt 0x0
	;;#ASMEND
.LBB524_202:
	s_or_b32 exec_lo, exec_lo, s1
	s_add_nc_u64 s[2:3], s[18:19], s[28:29]
	s_and_b32 vcc_lo, exec_lo, s0
	s_add_nc_u64 s[0:1], s[2:3], s[16:17]
	s_cbranch_vccnz .LBB524_140
.LBB524_203:
	s_mov_b32 s2, 0
                                        ; implicit-def: $vgpr15
	s_cbranch_execz .LBB524_205
; %bb.204:
	v_mul_u32_u24_e32 v1, 48, v0
	v_mul_i32_i24_e32 v14, 0xffffffd4, v0
	s_wait_storecnt_dscnt 0x0
	s_barrier_signal -1
	s_barrier_wait -1
	ds_store_b128 v1, v[2:5]
	ds_store_b128 v1, v[6:9] offset:16
	ds_store_b128 v1, v[10:13] offset:32
	v_mad_u32_u24 v1, v0, 48, v14
	s_wait_dscnt 0x0
	s_barrier_signal -1
	s_barrier_wait -1
	ds_load_2addr_stride64_b32 v[2:3], v1 offset1:4
	ds_load_2addr_stride64_b32 v[4:5], v1 offset0:8 offset1:12
	ds_load_2addr_stride64_b32 v[6:7], v1 offset0:16 offset1:20
	;; [unrolled: 1-line block ×5, first 2 shown]
	s_or_b32 s2, s2, exec_lo
	s_wait_dscnt 0x5
	s_clause 0x1
	flat_store_b32 v0, v2, s[0:1] scale_offset
	flat_store_b32 v0, v3, s[0:1] offset:1024 scale_offset
	s_wait_dscnt 0x6
	s_clause 0x1
	flat_store_b32 v0, v4, s[0:1] offset:2048 scale_offset
	flat_store_b32 v0, v5, s[0:1] offset:3072 scale_offset
	s_wait_dscnt 0x7
	s_clause 0x1
	flat_store_b32 v0, v6, s[0:1] offset:4096 scale_offset
	;; [unrolled: 4-line block ×4, first 2 shown]
	flat_store_b32 v0, v11, s[0:1] offset:9216 scale_offset
	s_wait_dscnt 0xa
	flat_store_b32 v0, v14, s[0:1] offset:10240 scale_offset
.LBB524_205:
	s_wait_xcnt 0x0
	s_delay_alu instid0(VALU_DEP_1)
	s_and_saveexec_b32 s3, s2
	s_cbranch_execz .LBB524_207
; %bb.206:
	s_wait_dscnt 0x0
	flat_store_b32 v0, v15, s[0:1] offset:11264 scale_offset
	s_endpgm
.LBB524_207:
	s_endpgm
	.section	.rodata,"a",@progbits
	.p2align	6, 0x0
	.amdhsa_kernel _ZN7rocprim17ROCPRIM_400000_NS6detail17trampoline_kernelINS0_14default_configENS1_27scan_by_key_config_selectorIiiEEZZNS1_16scan_by_key_implILNS1_25lookback_scan_determinismE0ELb1ES3_N6thrust23THRUST_200600_302600_NS6detail15normal_iteratorINS9_10device_ptrIiEEEESE_SE_iNS9_10multipliesIiEENS9_8equal_toIiEEiEE10hipError_tPvRmT2_T3_T4_T5_mT6_T7_P12ihipStream_tbENKUlT_T0_E_clISt17integral_constantIbLb0EESY_IbLb1EEEEDaSU_SV_EUlSU_E_NS1_11comp_targetILNS1_3genE0ELNS1_11target_archE4294967295ELNS1_3gpuE0ELNS1_3repE0EEENS1_30default_config_static_selectorELNS0_4arch9wavefront6targetE0EEEvT1_
		.amdhsa_group_segment_fixed_size 14336
		.amdhsa_private_segment_fixed_size 0
		.amdhsa_kernarg_size 112
		.amdhsa_user_sgpr_count 2
		.amdhsa_user_sgpr_dispatch_ptr 0
		.amdhsa_user_sgpr_queue_ptr 0
		.amdhsa_user_sgpr_kernarg_segment_ptr 1
		.amdhsa_user_sgpr_dispatch_id 0
		.amdhsa_user_sgpr_kernarg_preload_length 0
		.amdhsa_user_sgpr_kernarg_preload_offset 0
		.amdhsa_user_sgpr_private_segment_size 0
		.amdhsa_wavefront_size32 1
		.amdhsa_uses_dynamic_stack 0
		.amdhsa_enable_private_segment 0
		.amdhsa_system_sgpr_workgroup_id_x 1
		.amdhsa_system_sgpr_workgroup_id_y 0
		.amdhsa_system_sgpr_workgroup_id_z 0
		.amdhsa_system_sgpr_workgroup_info 0
		.amdhsa_system_vgpr_workitem_id 0
		.amdhsa_next_free_vgpr 62
		.amdhsa_next_free_sgpr 39
		.amdhsa_named_barrier_count 0
		.amdhsa_reserve_vcc 1
		.amdhsa_float_round_mode_32 0
		.amdhsa_float_round_mode_16_64 0
		.amdhsa_float_denorm_mode_32 3
		.amdhsa_float_denorm_mode_16_64 3
		.amdhsa_fp16_overflow 0
		.amdhsa_memory_ordered 1
		.amdhsa_forward_progress 1
		.amdhsa_inst_pref_size 97
		.amdhsa_round_robin_scheduling 0
		.amdhsa_exception_fp_ieee_invalid_op 0
		.amdhsa_exception_fp_denorm_src 0
		.amdhsa_exception_fp_ieee_div_zero 0
		.amdhsa_exception_fp_ieee_overflow 0
		.amdhsa_exception_fp_ieee_underflow 0
		.amdhsa_exception_fp_ieee_inexact 0
		.amdhsa_exception_int_div_zero 0
	.end_amdhsa_kernel
	.section	.text._ZN7rocprim17ROCPRIM_400000_NS6detail17trampoline_kernelINS0_14default_configENS1_27scan_by_key_config_selectorIiiEEZZNS1_16scan_by_key_implILNS1_25lookback_scan_determinismE0ELb1ES3_N6thrust23THRUST_200600_302600_NS6detail15normal_iteratorINS9_10device_ptrIiEEEESE_SE_iNS9_10multipliesIiEENS9_8equal_toIiEEiEE10hipError_tPvRmT2_T3_T4_T5_mT6_T7_P12ihipStream_tbENKUlT_T0_E_clISt17integral_constantIbLb0EESY_IbLb1EEEEDaSU_SV_EUlSU_E_NS1_11comp_targetILNS1_3genE0ELNS1_11target_archE4294967295ELNS1_3gpuE0ELNS1_3repE0EEENS1_30default_config_static_selectorELNS0_4arch9wavefront6targetE0EEEvT1_,"axG",@progbits,_ZN7rocprim17ROCPRIM_400000_NS6detail17trampoline_kernelINS0_14default_configENS1_27scan_by_key_config_selectorIiiEEZZNS1_16scan_by_key_implILNS1_25lookback_scan_determinismE0ELb1ES3_N6thrust23THRUST_200600_302600_NS6detail15normal_iteratorINS9_10device_ptrIiEEEESE_SE_iNS9_10multipliesIiEENS9_8equal_toIiEEiEE10hipError_tPvRmT2_T3_T4_T5_mT6_T7_P12ihipStream_tbENKUlT_T0_E_clISt17integral_constantIbLb0EESY_IbLb1EEEEDaSU_SV_EUlSU_E_NS1_11comp_targetILNS1_3genE0ELNS1_11target_archE4294967295ELNS1_3gpuE0ELNS1_3repE0EEENS1_30default_config_static_selectorELNS0_4arch9wavefront6targetE0EEEvT1_,comdat
.Lfunc_end524:
	.size	_ZN7rocprim17ROCPRIM_400000_NS6detail17trampoline_kernelINS0_14default_configENS1_27scan_by_key_config_selectorIiiEEZZNS1_16scan_by_key_implILNS1_25lookback_scan_determinismE0ELb1ES3_N6thrust23THRUST_200600_302600_NS6detail15normal_iteratorINS9_10device_ptrIiEEEESE_SE_iNS9_10multipliesIiEENS9_8equal_toIiEEiEE10hipError_tPvRmT2_T3_T4_T5_mT6_T7_P12ihipStream_tbENKUlT_T0_E_clISt17integral_constantIbLb0EESY_IbLb1EEEEDaSU_SV_EUlSU_E_NS1_11comp_targetILNS1_3genE0ELNS1_11target_archE4294967295ELNS1_3gpuE0ELNS1_3repE0EEENS1_30default_config_static_selectorELNS0_4arch9wavefront6targetE0EEEvT1_, .Lfunc_end524-_ZN7rocprim17ROCPRIM_400000_NS6detail17trampoline_kernelINS0_14default_configENS1_27scan_by_key_config_selectorIiiEEZZNS1_16scan_by_key_implILNS1_25lookback_scan_determinismE0ELb1ES3_N6thrust23THRUST_200600_302600_NS6detail15normal_iteratorINS9_10device_ptrIiEEEESE_SE_iNS9_10multipliesIiEENS9_8equal_toIiEEiEE10hipError_tPvRmT2_T3_T4_T5_mT6_T7_P12ihipStream_tbENKUlT_T0_E_clISt17integral_constantIbLb0EESY_IbLb1EEEEDaSU_SV_EUlSU_E_NS1_11comp_targetILNS1_3genE0ELNS1_11target_archE4294967295ELNS1_3gpuE0ELNS1_3repE0EEENS1_30default_config_static_selectorELNS0_4arch9wavefront6targetE0EEEvT1_
                                        ; -- End function
	.set _ZN7rocprim17ROCPRIM_400000_NS6detail17trampoline_kernelINS0_14default_configENS1_27scan_by_key_config_selectorIiiEEZZNS1_16scan_by_key_implILNS1_25lookback_scan_determinismE0ELb1ES3_N6thrust23THRUST_200600_302600_NS6detail15normal_iteratorINS9_10device_ptrIiEEEESE_SE_iNS9_10multipliesIiEENS9_8equal_toIiEEiEE10hipError_tPvRmT2_T3_T4_T5_mT6_T7_P12ihipStream_tbENKUlT_T0_E_clISt17integral_constantIbLb0EESY_IbLb1EEEEDaSU_SV_EUlSU_E_NS1_11comp_targetILNS1_3genE0ELNS1_11target_archE4294967295ELNS1_3gpuE0ELNS1_3repE0EEENS1_30default_config_static_selectorELNS0_4arch9wavefront6targetE0EEEvT1_.num_vgpr, 62
	.set _ZN7rocprim17ROCPRIM_400000_NS6detail17trampoline_kernelINS0_14default_configENS1_27scan_by_key_config_selectorIiiEEZZNS1_16scan_by_key_implILNS1_25lookback_scan_determinismE0ELb1ES3_N6thrust23THRUST_200600_302600_NS6detail15normal_iteratorINS9_10device_ptrIiEEEESE_SE_iNS9_10multipliesIiEENS9_8equal_toIiEEiEE10hipError_tPvRmT2_T3_T4_T5_mT6_T7_P12ihipStream_tbENKUlT_T0_E_clISt17integral_constantIbLb0EESY_IbLb1EEEEDaSU_SV_EUlSU_E_NS1_11comp_targetILNS1_3genE0ELNS1_11target_archE4294967295ELNS1_3gpuE0ELNS1_3repE0EEENS1_30default_config_static_selectorELNS0_4arch9wavefront6targetE0EEEvT1_.num_agpr, 0
	.set _ZN7rocprim17ROCPRIM_400000_NS6detail17trampoline_kernelINS0_14default_configENS1_27scan_by_key_config_selectorIiiEEZZNS1_16scan_by_key_implILNS1_25lookback_scan_determinismE0ELb1ES3_N6thrust23THRUST_200600_302600_NS6detail15normal_iteratorINS9_10device_ptrIiEEEESE_SE_iNS9_10multipliesIiEENS9_8equal_toIiEEiEE10hipError_tPvRmT2_T3_T4_T5_mT6_T7_P12ihipStream_tbENKUlT_T0_E_clISt17integral_constantIbLb0EESY_IbLb1EEEEDaSU_SV_EUlSU_E_NS1_11comp_targetILNS1_3genE0ELNS1_11target_archE4294967295ELNS1_3gpuE0ELNS1_3repE0EEENS1_30default_config_static_selectorELNS0_4arch9wavefront6targetE0EEEvT1_.numbered_sgpr, 39
	.set _ZN7rocprim17ROCPRIM_400000_NS6detail17trampoline_kernelINS0_14default_configENS1_27scan_by_key_config_selectorIiiEEZZNS1_16scan_by_key_implILNS1_25lookback_scan_determinismE0ELb1ES3_N6thrust23THRUST_200600_302600_NS6detail15normal_iteratorINS9_10device_ptrIiEEEESE_SE_iNS9_10multipliesIiEENS9_8equal_toIiEEiEE10hipError_tPvRmT2_T3_T4_T5_mT6_T7_P12ihipStream_tbENKUlT_T0_E_clISt17integral_constantIbLb0EESY_IbLb1EEEEDaSU_SV_EUlSU_E_NS1_11comp_targetILNS1_3genE0ELNS1_11target_archE4294967295ELNS1_3gpuE0ELNS1_3repE0EEENS1_30default_config_static_selectorELNS0_4arch9wavefront6targetE0EEEvT1_.num_named_barrier, 0
	.set _ZN7rocprim17ROCPRIM_400000_NS6detail17trampoline_kernelINS0_14default_configENS1_27scan_by_key_config_selectorIiiEEZZNS1_16scan_by_key_implILNS1_25lookback_scan_determinismE0ELb1ES3_N6thrust23THRUST_200600_302600_NS6detail15normal_iteratorINS9_10device_ptrIiEEEESE_SE_iNS9_10multipliesIiEENS9_8equal_toIiEEiEE10hipError_tPvRmT2_T3_T4_T5_mT6_T7_P12ihipStream_tbENKUlT_T0_E_clISt17integral_constantIbLb0EESY_IbLb1EEEEDaSU_SV_EUlSU_E_NS1_11comp_targetILNS1_3genE0ELNS1_11target_archE4294967295ELNS1_3gpuE0ELNS1_3repE0EEENS1_30default_config_static_selectorELNS0_4arch9wavefront6targetE0EEEvT1_.private_seg_size, 0
	.set _ZN7rocprim17ROCPRIM_400000_NS6detail17trampoline_kernelINS0_14default_configENS1_27scan_by_key_config_selectorIiiEEZZNS1_16scan_by_key_implILNS1_25lookback_scan_determinismE0ELb1ES3_N6thrust23THRUST_200600_302600_NS6detail15normal_iteratorINS9_10device_ptrIiEEEESE_SE_iNS9_10multipliesIiEENS9_8equal_toIiEEiEE10hipError_tPvRmT2_T3_T4_T5_mT6_T7_P12ihipStream_tbENKUlT_T0_E_clISt17integral_constantIbLb0EESY_IbLb1EEEEDaSU_SV_EUlSU_E_NS1_11comp_targetILNS1_3genE0ELNS1_11target_archE4294967295ELNS1_3gpuE0ELNS1_3repE0EEENS1_30default_config_static_selectorELNS0_4arch9wavefront6targetE0EEEvT1_.uses_vcc, 1
	.set _ZN7rocprim17ROCPRIM_400000_NS6detail17trampoline_kernelINS0_14default_configENS1_27scan_by_key_config_selectorIiiEEZZNS1_16scan_by_key_implILNS1_25lookback_scan_determinismE0ELb1ES3_N6thrust23THRUST_200600_302600_NS6detail15normal_iteratorINS9_10device_ptrIiEEEESE_SE_iNS9_10multipliesIiEENS9_8equal_toIiEEiEE10hipError_tPvRmT2_T3_T4_T5_mT6_T7_P12ihipStream_tbENKUlT_T0_E_clISt17integral_constantIbLb0EESY_IbLb1EEEEDaSU_SV_EUlSU_E_NS1_11comp_targetILNS1_3genE0ELNS1_11target_archE4294967295ELNS1_3gpuE0ELNS1_3repE0EEENS1_30default_config_static_selectorELNS0_4arch9wavefront6targetE0EEEvT1_.uses_flat_scratch, 1
	.set _ZN7rocprim17ROCPRIM_400000_NS6detail17trampoline_kernelINS0_14default_configENS1_27scan_by_key_config_selectorIiiEEZZNS1_16scan_by_key_implILNS1_25lookback_scan_determinismE0ELb1ES3_N6thrust23THRUST_200600_302600_NS6detail15normal_iteratorINS9_10device_ptrIiEEEESE_SE_iNS9_10multipliesIiEENS9_8equal_toIiEEiEE10hipError_tPvRmT2_T3_T4_T5_mT6_T7_P12ihipStream_tbENKUlT_T0_E_clISt17integral_constantIbLb0EESY_IbLb1EEEEDaSU_SV_EUlSU_E_NS1_11comp_targetILNS1_3genE0ELNS1_11target_archE4294967295ELNS1_3gpuE0ELNS1_3repE0EEENS1_30default_config_static_selectorELNS0_4arch9wavefront6targetE0EEEvT1_.has_dyn_sized_stack, 0
	.set _ZN7rocprim17ROCPRIM_400000_NS6detail17trampoline_kernelINS0_14default_configENS1_27scan_by_key_config_selectorIiiEEZZNS1_16scan_by_key_implILNS1_25lookback_scan_determinismE0ELb1ES3_N6thrust23THRUST_200600_302600_NS6detail15normal_iteratorINS9_10device_ptrIiEEEESE_SE_iNS9_10multipliesIiEENS9_8equal_toIiEEiEE10hipError_tPvRmT2_T3_T4_T5_mT6_T7_P12ihipStream_tbENKUlT_T0_E_clISt17integral_constantIbLb0EESY_IbLb1EEEEDaSU_SV_EUlSU_E_NS1_11comp_targetILNS1_3genE0ELNS1_11target_archE4294967295ELNS1_3gpuE0ELNS1_3repE0EEENS1_30default_config_static_selectorELNS0_4arch9wavefront6targetE0EEEvT1_.has_recursion, 0
	.set _ZN7rocprim17ROCPRIM_400000_NS6detail17trampoline_kernelINS0_14default_configENS1_27scan_by_key_config_selectorIiiEEZZNS1_16scan_by_key_implILNS1_25lookback_scan_determinismE0ELb1ES3_N6thrust23THRUST_200600_302600_NS6detail15normal_iteratorINS9_10device_ptrIiEEEESE_SE_iNS9_10multipliesIiEENS9_8equal_toIiEEiEE10hipError_tPvRmT2_T3_T4_T5_mT6_T7_P12ihipStream_tbENKUlT_T0_E_clISt17integral_constantIbLb0EESY_IbLb1EEEEDaSU_SV_EUlSU_E_NS1_11comp_targetILNS1_3genE0ELNS1_11target_archE4294967295ELNS1_3gpuE0ELNS1_3repE0EEENS1_30default_config_static_selectorELNS0_4arch9wavefront6targetE0EEEvT1_.has_indirect_call, 0
	.section	.AMDGPU.csdata,"",@progbits
; Kernel info:
; codeLenInByte = 12340
; TotalNumSgprs: 41
; NumVgprs: 62
; ScratchSize: 0
; MemoryBound: 0
; FloatMode: 240
; IeeeMode: 1
; LDSByteSize: 14336 bytes/workgroup (compile time only)
; SGPRBlocks: 0
; VGPRBlocks: 3
; NumSGPRsForWavesPerEU: 41
; NumVGPRsForWavesPerEU: 62
; NamedBarCnt: 0
; Occupancy: 16
; WaveLimiterHint : 1
; COMPUTE_PGM_RSRC2:SCRATCH_EN: 0
; COMPUTE_PGM_RSRC2:USER_SGPR: 2
; COMPUTE_PGM_RSRC2:TRAP_HANDLER: 0
; COMPUTE_PGM_RSRC2:TGID_X_EN: 1
; COMPUTE_PGM_RSRC2:TGID_Y_EN: 0
; COMPUTE_PGM_RSRC2:TGID_Z_EN: 0
; COMPUTE_PGM_RSRC2:TIDIG_COMP_CNT: 0
	.section	.text._ZN7rocprim17ROCPRIM_400000_NS6detail17trampoline_kernelINS0_14default_configENS1_27scan_by_key_config_selectorIiiEEZZNS1_16scan_by_key_implILNS1_25lookback_scan_determinismE0ELb1ES3_N6thrust23THRUST_200600_302600_NS6detail15normal_iteratorINS9_10device_ptrIiEEEESE_SE_iNS9_10multipliesIiEENS9_8equal_toIiEEiEE10hipError_tPvRmT2_T3_T4_T5_mT6_T7_P12ihipStream_tbENKUlT_T0_E_clISt17integral_constantIbLb0EESY_IbLb1EEEEDaSU_SV_EUlSU_E_NS1_11comp_targetILNS1_3genE10ELNS1_11target_archE1201ELNS1_3gpuE5ELNS1_3repE0EEENS1_30default_config_static_selectorELNS0_4arch9wavefront6targetE0EEEvT1_,"axG",@progbits,_ZN7rocprim17ROCPRIM_400000_NS6detail17trampoline_kernelINS0_14default_configENS1_27scan_by_key_config_selectorIiiEEZZNS1_16scan_by_key_implILNS1_25lookback_scan_determinismE0ELb1ES3_N6thrust23THRUST_200600_302600_NS6detail15normal_iteratorINS9_10device_ptrIiEEEESE_SE_iNS9_10multipliesIiEENS9_8equal_toIiEEiEE10hipError_tPvRmT2_T3_T4_T5_mT6_T7_P12ihipStream_tbENKUlT_T0_E_clISt17integral_constantIbLb0EESY_IbLb1EEEEDaSU_SV_EUlSU_E_NS1_11comp_targetILNS1_3genE10ELNS1_11target_archE1201ELNS1_3gpuE5ELNS1_3repE0EEENS1_30default_config_static_selectorELNS0_4arch9wavefront6targetE0EEEvT1_,comdat
	.protected	_ZN7rocprim17ROCPRIM_400000_NS6detail17trampoline_kernelINS0_14default_configENS1_27scan_by_key_config_selectorIiiEEZZNS1_16scan_by_key_implILNS1_25lookback_scan_determinismE0ELb1ES3_N6thrust23THRUST_200600_302600_NS6detail15normal_iteratorINS9_10device_ptrIiEEEESE_SE_iNS9_10multipliesIiEENS9_8equal_toIiEEiEE10hipError_tPvRmT2_T3_T4_T5_mT6_T7_P12ihipStream_tbENKUlT_T0_E_clISt17integral_constantIbLb0EESY_IbLb1EEEEDaSU_SV_EUlSU_E_NS1_11comp_targetILNS1_3genE10ELNS1_11target_archE1201ELNS1_3gpuE5ELNS1_3repE0EEENS1_30default_config_static_selectorELNS0_4arch9wavefront6targetE0EEEvT1_ ; -- Begin function _ZN7rocprim17ROCPRIM_400000_NS6detail17trampoline_kernelINS0_14default_configENS1_27scan_by_key_config_selectorIiiEEZZNS1_16scan_by_key_implILNS1_25lookback_scan_determinismE0ELb1ES3_N6thrust23THRUST_200600_302600_NS6detail15normal_iteratorINS9_10device_ptrIiEEEESE_SE_iNS9_10multipliesIiEENS9_8equal_toIiEEiEE10hipError_tPvRmT2_T3_T4_T5_mT6_T7_P12ihipStream_tbENKUlT_T0_E_clISt17integral_constantIbLb0EESY_IbLb1EEEEDaSU_SV_EUlSU_E_NS1_11comp_targetILNS1_3genE10ELNS1_11target_archE1201ELNS1_3gpuE5ELNS1_3repE0EEENS1_30default_config_static_selectorELNS0_4arch9wavefront6targetE0EEEvT1_
	.globl	_ZN7rocprim17ROCPRIM_400000_NS6detail17trampoline_kernelINS0_14default_configENS1_27scan_by_key_config_selectorIiiEEZZNS1_16scan_by_key_implILNS1_25lookback_scan_determinismE0ELb1ES3_N6thrust23THRUST_200600_302600_NS6detail15normal_iteratorINS9_10device_ptrIiEEEESE_SE_iNS9_10multipliesIiEENS9_8equal_toIiEEiEE10hipError_tPvRmT2_T3_T4_T5_mT6_T7_P12ihipStream_tbENKUlT_T0_E_clISt17integral_constantIbLb0EESY_IbLb1EEEEDaSU_SV_EUlSU_E_NS1_11comp_targetILNS1_3genE10ELNS1_11target_archE1201ELNS1_3gpuE5ELNS1_3repE0EEENS1_30default_config_static_selectorELNS0_4arch9wavefront6targetE0EEEvT1_
	.p2align	8
	.type	_ZN7rocprim17ROCPRIM_400000_NS6detail17trampoline_kernelINS0_14default_configENS1_27scan_by_key_config_selectorIiiEEZZNS1_16scan_by_key_implILNS1_25lookback_scan_determinismE0ELb1ES3_N6thrust23THRUST_200600_302600_NS6detail15normal_iteratorINS9_10device_ptrIiEEEESE_SE_iNS9_10multipliesIiEENS9_8equal_toIiEEiEE10hipError_tPvRmT2_T3_T4_T5_mT6_T7_P12ihipStream_tbENKUlT_T0_E_clISt17integral_constantIbLb0EESY_IbLb1EEEEDaSU_SV_EUlSU_E_NS1_11comp_targetILNS1_3genE10ELNS1_11target_archE1201ELNS1_3gpuE5ELNS1_3repE0EEENS1_30default_config_static_selectorELNS0_4arch9wavefront6targetE0EEEvT1_,@function
_ZN7rocprim17ROCPRIM_400000_NS6detail17trampoline_kernelINS0_14default_configENS1_27scan_by_key_config_selectorIiiEEZZNS1_16scan_by_key_implILNS1_25lookback_scan_determinismE0ELb1ES3_N6thrust23THRUST_200600_302600_NS6detail15normal_iteratorINS9_10device_ptrIiEEEESE_SE_iNS9_10multipliesIiEENS9_8equal_toIiEEiEE10hipError_tPvRmT2_T3_T4_T5_mT6_T7_P12ihipStream_tbENKUlT_T0_E_clISt17integral_constantIbLb0EESY_IbLb1EEEEDaSU_SV_EUlSU_E_NS1_11comp_targetILNS1_3genE10ELNS1_11target_archE1201ELNS1_3gpuE5ELNS1_3repE0EEENS1_30default_config_static_selectorELNS0_4arch9wavefront6targetE0EEEvT1_: ; @_ZN7rocprim17ROCPRIM_400000_NS6detail17trampoline_kernelINS0_14default_configENS1_27scan_by_key_config_selectorIiiEEZZNS1_16scan_by_key_implILNS1_25lookback_scan_determinismE0ELb1ES3_N6thrust23THRUST_200600_302600_NS6detail15normal_iteratorINS9_10device_ptrIiEEEESE_SE_iNS9_10multipliesIiEENS9_8equal_toIiEEiEE10hipError_tPvRmT2_T3_T4_T5_mT6_T7_P12ihipStream_tbENKUlT_T0_E_clISt17integral_constantIbLb0EESY_IbLb1EEEEDaSU_SV_EUlSU_E_NS1_11comp_targetILNS1_3genE10ELNS1_11target_archE1201ELNS1_3gpuE5ELNS1_3repE0EEENS1_30default_config_static_selectorELNS0_4arch9wavefront6targetE0EEEvT1_
; %bb.0:
	.section	.rodata,"a",@progbits
	.p2align	6, 0x0
	.amdhsa_kernel _ZN7rocprim17ROCPRIM_400000_NS6detail17trampoline_kernelINS0_14default_configENS1_27scan_by_key_config_selectorIiiEEZZNS1_16scan_by_key_implILNS1_25lookback_scan_determinismE0ELb1ES3_N6thrust23THRUST_200600_302600_NS6detail15normal_iteratorINS9_10device_ptrIiEEEESE_SE_iNS9_10multipliesIiEENS9_8equal_toIiEEiEE10hipError_tPvRmT2_T3_T4_T5_mT6_T7_P12ihipStream_tbENKUlT_T0_E_clISt17integral_constantIbLb0EESY_IbLb1EEEEDaSU_SV_EUlSU_E_NS1_11comp_targetILNS1_3genE10ELNS1_11target_archE1201ELNS1_3gpuE5ELNS1_3repE0EEENS1_30default_config_static_selectorELNS0_4arch9wavefront6targetE0EEEvT1_
		.amdhsa_group_segment_fixed_size 0
		.amdhsa_private_segment_fixed_size 0
		.amdhsa_kernarg_size 112
		.amdhsa_user_sgpr_count 2
		.amdhsa_user_sgpr_dispatch_ptr 0
		.amdhsa_user_sgpr_queue_ptr 0
		.amdhsa_user_sgpr_kernarg_segment_ptr 1
		.amdhsa_user_sgpr_dispatch_id 0
		.amdhsa_user_sgpr_kernarg_preload_length 0
		.amdhsa_user_sgpr_kernarg_preload_offset 0
		.amdhsa_user_sgpr_private_segment_size 0
		.amdhsa_wavefront_size32 1
		.amdhsa_uses_dynamic_stack 0
		.amdhsa_enable_private_segment 0
		.amdhsa_system_sgpr_workgroup_id_x 1
		.amdhsa_system_sgpr_workgroup_id_y 0
		.amdhsa_system_sgpr_workgroup_id_z 0
		.amdhsa_system_sgpr_workgroup_info 0
		.amdhsa_system_vgpr_workitem_id 0
		.amdhsa_next_free_vgpr 1
		.amdhsa_next_free_sgpr 1
		.amdhsa_named_barrier_count 0
		.amdhsa_reserve_vcc 0
		.amdhsa_float_round_mode_32 0
		.amdhsa_float_round_mode_16_64 0
		.amdhsa_float_denorm_mode_32 3
		.amdhsa_float_denorm_mode_16_64 3
		.amdhsa_fp16_overflow 0
		.amdhsa_memory_ordered 1
		.amdhsa_forward_progress 1
		.amdhsa_inst_pref_size 0
		.amdhsa_round_robin_scheduling 0
		.amdhsa_exception_fp_ieee_invalid_op 0
		.amdhsa_exception_fp_denorm_src 0
		.amdhsa_exception_fp_ieee_div_zero 0
		.amdhsa_exception_fp_ieee_overflow 0
		.amdhsa_exception_fp_ieee_underflow 0
		.amdhsa_exception_fp_ieee_inexact 0
		.amdhsa_exception_int_div_zero 0
	.end_amdhsa_kernel
	.section	.text._ZN7rocprim17ROCPRIM_400000_NS6detail17trampoline_kernelINS0_14default_configENS1_27scan_by_key_config_selectorIiiEEZZNS1_16scan_by_key_implILNS1_25lookback_scan_determinismE0ELb1ES3_N6thrust23THRUST_200600_302600_NS6detail15normal_iteratorINS9_10device_ptrIiEEEESE_SE_iNS9_10multipliesIiEENS9_8equal_toIiEEiEE10hipError_tPvRmT2_T3_T4_T5_mT6_T7_P12ihipStream_tbENKUlT_T0_E_clISt17integral_constantIbLb0EESY_IbLb1EEEEDaSU_SV_EUlSU_E_NS1_11comp_targetILNS1_3genE10ELNS1_11target_archE1201ELNS1_3gpuE5ELNS1_3repE0EEENS1_30default_config_static_selectorELNS0_4arch9wavefront6targetE0EEEvT1_,"axG",@progbits,_ZN7rocprim17ROCPRIM_400000_NS6detail17trampoline_kernelINS0_14default_configENS1_27scan_by_key_config_selectorIiiEEZZNS1_16scan_by_key_implILNS1_25lookback_scan_determinismE0ELb1ES3_N6thrust23THRUST_200600_302600_NS6detail15normal_iteratorINS9_10device_ptrIiEEEESE_SE_iNS9_10multipliesIiEENS9_8equal_toIiEEiEE10hipError_tPvRmT2_T3_T4_T5_mT6_T7_P12ihipStream_tbENKUlT_T0_E_clISt17integral_constantIbLb0EESY_IbLb1EEEEDaSU_SV_EUlSU_E_NS1_11comp_targetILNS1_3genE10ELNS1_11target_archE1201ELNS1_3gpuE5ELNS1_3repE0EEENS1_30default_config_static_selectorELNS0_4arch9wavefront6targetE0EEEvT1_,comdat
.Lfunc_end525:
	.size	_ZN7rocprim17ROCPRIM_400000_NS6detail17trampoline_kernelINS0_14default_configENS1_27scan_by_key_config_selectorIiiEEZZNS1_16scan_by_key_implILNS1_25lookback_scan_determinismE0ELb1ES3_N6thrust23THRUST_200600_302600_NS6detail15normal_iteratorINS9_10device_ptrIiEEEESE_SE_iNS9_10multipliesIiEENS9_8equal_toIiEEiEE10hipError_tPvRmT2_T3_T4_T5_mT6_T7_P12ihipStream_tbENKUlT_T0_E_clISt17integral_constantIbLb0EESY_IbLb1EEEEDaSU_SV_EUlSU_E_NS1_11comp_targetILNS1_3genE10ELNS1_11target_archE1201ELNS1_3gpuE5ELNS1_3repE0EEENS1_30default_config_static_selectorELNS0_4arch9wavefront6targetE0EEEvT1_, .Lfunc_end525-_ZN7rocprim17ROCPRIM_400000_NS6detail17trampoline_kernelINS0_14default_configENS1_27scan_by_key_config_selectorIiiEEZZNS1_16scan_by_key_implILNS1_25lookback_scan_determinismE0ELb1ES3_N6thrust23THRUST_200600_302600_NS6detail15normal_iteratorINS9_10device_ptrIiEEEESE_SE_iNS9_10multipliesIiEENS9_8equal_toIiEEiEE10hipError_tPvRmT2_T3_T4_T5_mT6_T7_P12ihipStream_tbENKUlT_T0_E_clISt17integral_constantIbLb0EESY_IbLb1EEEEDaSU_SV_EUlSU_E_NS1_11comp_targetILNS1_3genE10ELNS1_11target_archE1201ELNS1_3gpuE5ELNS1_3repE0EEENS1_30default_config_static_selectorELNS0_4arch9wavefront6targetE0EEEvT1_
                                        ; -- End function
	.set _ZN7rocprim17ROCPRIM_400000_NS6detail17trampoline_kernelINS0_14default_configENS1_27scan_by_key_config_selectorIiiEEZZNS1_16scan_by_key_implILNS1_25lookback_scan_determinismE0ELb1ES3_N6thrust23THRUST_200600_302600_NS6detail15normal_iteratorINS9_10device_ptrIiEEEESE_SE_iNS9_10multipliesIiEENS9_8equal_toIiEEiEE10hipError_tPvRmT2_T3_T4_T5_mT6_T7_P12ihipStream_tbENKUlT_T0_E_clISt17integral_constantIbLb0EESY_IbLb1EEEEDaSU_SV_EUlSU_E_NS1_11comp_targetILNS1_3genE10ELNS1_11target_archE1201ELNS1_3gpuE5ELNS1_3repE0EEENS1_30default_config_static_selectorELNS0_4arch9wavefront6targetE0EEEvT1_.num_vgpr, 0
	.set _ZN7rocprim17ROCPRIM_400000_NS6detail17trampoline_kernelINS0_14default_configENS1_27scan_by_key_config_selectorIiiEEZZNS1_16scan_by_key_implILNS1_25lookback_scan_determinismE0ELb1ES3_N6thrust23THRUST_200600_302600_NS6detail15normal_iteratorINS9_10device_ptrIiEEEESE_SE_iNS9_10multipliesIiEENS9_8equal_toIiEEiEE10hipError_tPvRmT2_T3_T4_T5_mT6_T7_P12ihipStream_tbENKUlT_T0_E_clISt17integral_constantIbLb0EESY_IbLb1EEEEDaSU_SV_EUlSU_E_NS1_11comp_targetILNS1_3genE10ELNS1_11target_archE1201ELNS1_3gpuE5ELNS1_3repE0EEENS1_30default_config_static_selectorELNS0_4arch9wavefront6targetE0EEEvT1_.num_agpr, 0
	.set _ZN7rocprim17ROCPRIM_400000_NS6detail17trampoline_kernelINS0_14default_configENS1_27scan_by_key_config_selectorIiiEEZZNS1_16scan_by_key_implILNS1_25lookback_scan_determinismE0ELb1ES3_N6thrust23THRUST_200600_302600_NS6detail15normal_iteratorINS9_10device_ptrIiEEEESE_SE_iNS9_10multipliesIiEENS9_8equal_toIiEEiEE10hipError_tPvRmT2_T3_T4_T5_mT6_T7_P12ihipStream_tbENKUlT_T0_E_clISt17integral_constantIbLb0EESY_IbLb1EEEEDaSU_SV_EUlSU_E_NS1_11comp_targetILNS1_3genE10ELNS1_11target_archE1201ELNS1_3gpuE5ELNS1_3repE0EEENS1_30default_config_static_selectorELNS0_4arch9wavefront6targetE0EEEvT1_.numbered_sgpr, 0
	.set _ZN7rocprim17ROCPRIM_400000_NS6detail17trampoline_kernelINS0_14default_configENS1_27scan_by_key_config_selectorIiiEEZZNS1_16scan_by_key_implILNS1_25lookback_scan_determinismE0ELb1ES3_N6thrust23THRUST_200600_302600_NS6detail15normal_iteratorINS9_10device_ptrIiEEEESE_SE_iNS9_10multipliesIiEENS9_8equal_toIiEEiEE10hipError_tPvRmT2_T3_T4_T5_mT6_T7_P12ihipStream_tbENKUlT_T0_E_clISt17integral_constantIbLb0EESY_IbLb1EEEEDaSU_SV_EUlSU_E_NS1_11comp_targetILNS1_3genE10ELNS1_11target_archE1201ELNS1_3gpuE5ELNS1_3repE0EEENS1_30default_config_static_selectorELNS0_4arch9wavefront6targetE0EEEvT1_.num_named_barrier, 0
	.set _ZN7rocprim17ROCPRIM_400000_NS6detail17trampoline_kernelINS0_14default_configENS1_27scan_by_key_config_selectorIiiEEZZNS1_16scan_by_key_implILNS1_25lookback_scan_determinismE0ELb1ES3_N6thrust23THRUST_200600_302600_NS6detail15normal_iteratorINS9_10device_ptrIiEEEESE_SE_iNS9_10multipliesIiEENS9_8equal_toIiEEiEE10hipError_tPvRmT2_T3_T4_T5_mT6_T7_P12ihipStream_tbENKUlT_T0_E_clISt17integral_constantIbLb0EESY_IbLb1EEEEDaSU_SV_EUlSU_E_NS1_11comp_targetILNS1_3genE10ELNS1_11target_archE1201ELNS1_3gpuE5ELNS1_3repE0EEENS1_30default_config_static_selectorELNS0_4arch9wavefront6targetE0EEEvT1_.private_seg_size, 0
	.set _ZN7rocprim17ROCPRIM_400000_NS6detail17trampoline_kernelINS0_14default_configENS1_27scan_by_key_config_selectorIiiEEZZNS1_16scan_by_key_implILNS1_25lookback_scan_determinismE0ELb1ES3_N6thrust23THRUST_200600_302600_NS6detail15normal_iteratorINS9_10device_ptrIiEEEESE_SE_iNS9_10multipliesIiEENS9_8equal_toIiEEiEE10hipError_tPvRmT2_T3_T4_T5_mT6_T7_P12ihipStream_tbENKUlT_T0_E_clISt17integral_constantIbLb0EESY_IbLb1EEEEDaSU_SV_EUlSU_E_NS1_11comp_targetILNS1_3genE10ELNS1_11target_archE1201ELNS1_3gpuE5ELNS1_3repE0EEENS1_30default_config_static_selectorELNS0_4arch9wavefront6targetE0EEEvT1_.uses_vcc, 0
	.set _ZN7rocprim17ROCPRIM_400000_NS6detail17trampoline_kernelINS0_14default_configENS1_27scan_by_key_config_selectorIiiEEZZNS1_16scan_by_key_implILNS1_25lookback_scan_determinismE0ELb1ES3_N6thrust23THRUST_200600_302600_NS6detail15normal_iteratorINS9_10device_ptrIiEEEESE_SE_iNS9_10multipliesIiEENS9_8equal_toIiEEiEE10hipError_tPvRmT2_T3_T4_T5_mT6_T7_P12ihipStream_tbENKUlT_T0_E_clISt17integral_constantIbLb0EESY_IbLb1EEEEDaSU_SV_EUlSU_E_NS1_11comp_targetILNS1_3genE10ELNS1_11target_archE1201ELNS1_3gpuE5ELNS1_3repE0EEENS1_30default_config_static_selectorELNS0_4arch9wavefront6targetE0EEEvT1_.uses_flat_scratch, 0
	.set _ZN7rocprim17ROCPRIM_400000_NS6detail17trampoline_kernelINS0_14default_configENS1_27scan_by_key_config_selectorIiiEEZZNS1_16scan_by_key_implILNS1_25lookback_scan_determinismE0ELb1ES3_N6thrust23THRUST_200600_302600_NS6detail15normal_iteratorINS9_10device_ptrIiEEEESE_SE_iNS9_10multipliesIiEENS9_8equal_toIiEEiEE10hipError_tPvRmT2_T3_T4_T5_mT6_T7_P12ihipStream_tbENKUlT_T0_E_clISt17integral_constantIbLb0EESY_IbLb1EEEEDaSU_SV_EUlSU_E_NS1_11comp_targetILNS1_3genE10ELNS1_11target_archE1201ELNS1_3gpuE5ELNS1_3repE0EEENS1_30default_config_static_selectorELNS0_4arch9wavefront6targetE0EEEvT1_.has_dyn_sized_stack, 0
	.set _ZN7rocprim17ROCPRIM_400000_NS6detail17trampoline_kernelINS0_14default_configENS1_27scan_by_key_config_selectorIiiEEZZNS1_16scan_by_key_implILNS1_25lookback_scan_determinismE0ELb1ES3_N6thrust23THRUST_200600_302600_NS6detail15normal_iteratorINS9_10device_ptrIiEEEESE_SE_iNS9_10multipliesIiEENS9_8equal_toIiEEiEE10hipError_tPvRmT2_T3_T4_T5_mT6_T7_P12ihipStream_tbENKUlT_T0_E_clISt17integral_constantIbLb0EESY_IbLb1EEEEDaSU_SV_EUlSU_E_NS1_11comp_targetILNS1_3genE10ELNS1_11target_archE1201ELNS1_3gpuE5ELNS1_3repE0EEENS1_30default_config_static_selectorELNS0_4arch9wavefront6targetE0EEEvT1_.has_recursion, 0
	.set _ZN7rocprim17ROCPRIM_400000_NS6detail17trampoline_kernelINS0_14default_configENS1_27scan_by_key_config_selectorIiiEEZZNS1_16scan_by_key_implILNS1_25lookback_scan_determinismE0ELb1ES3_N6thrust23THRUST_200600_302600_NS6detail15normal_iteratorINS9_10device_ptrIiEEEESE_SE_iNS9_10multipliesIiEENS9_8equal_toIiEEiEE10hipError_tPvRmT2_T3_T4_T5_mT6_T7_P12ihipStream_tbENKUlT_T0_E_clISt17integral_constantIbLb0EESY_IbLb1EEEEDaSU_SV_EUlSU_E_NS1_11comp_targetILNS1_3genE10ELNS1_11target_archE1201ELNS1_3gpuE5ELNS1_3repE0EEENS1_30default_config_static_selectorELNS0_4arch9wavefront6targetE0EEEvT1_.has_indirect_call, 0
	.section	.AMDGPU.csdata,"",@progbits
; Kernel info:
; codeLenInByte = 0
; TotalNumSgprs: 0
; NumVgprs: 0
; ScratchSize: 0
; MemoryBound: 0
; FloatMode: 240
; IeeeMode: 1
; LDSByteSize: 0 bytes/workgroup (compile time only)
; SGPRBlocks: 0
; VGPRBlocks: 0
; NumSGPRsForWavesPerEU: 1
; NumVGPRsForWavesPerEU: 1
; NamedBarCnt: 0
; Occupancy: 16
; WaveLimiterHint : 0
; COMPUTE_PGM_RSRC2:SCRATCH_EN: 0
; COMPUTE_PGM_RSRC2:USER_SGPR: 2
; COMPUTE_PGM_RSRC2:TRAP_HANDLER: 0
; COMPUTE_PGM_RSRC2:TGID_X_EN: 1
; COMPUTE_PGM_RSRC2:TGID_Y_EN: 0
; COMPUTE_PGM_RSRC2:TGID_Z_EN: 0
; COMPUTE_PGM_RSRC2:TIDIG_COMP_CNT: 0
	.section	.text._ZN7rocprim17ROCPRIM_400000_NS6detail17trampoline_kernelINS0_14default_configENS1_27scan_by_key_config_selectorIiiEEZZNS1_16scan_by_key_implILNS1_25lookback_scan_determinismE0ELb1ES3_N6thrust23THRUST_200600_302600_NS6detail15normal_iteratorINS9_10device_ptrIiEEEESE_SE_iNS9_10multipliesIiEENS9_8equal_toIiEEiEE10hipError_tPvRmT2_T3_T4_T5_mT6_T7_P12ihipStream_tbENKUlT_T0_E_clISt17integral_constantIbLb0EESY_IbLb1EEEEDaSU_SV_EUlSU_E_NS1_11comp_targetILNS1_3genE5ELNS1_11target_archE942ELNS1_3gpuE9ELNS1_3repE0EEENS1_30default_config_static_selectorELNS0_4arch9wavefront6targetE0EEEvT1_,"axG",@progbits,_ZN7rocprim17ROCPRIM_400000_NS6detail17trampoline_kernelINS0_14default_configENS1_27scan_by_key_config_selectorIiiEEZZNS1_16scan_by_key_implILNS1_25lookback_scan_determinismE0ELb1ES3_N6thrust23THRUST_200600_302600_NS6detail15normal_iteratorINS9_10device_ptrIiEEEESE_SE_iNS9_10multipliesIiEENS9_8equal_toIiEEiEE10hipError_tPvRmT2_T3_T4_T5_mT6_T7_P12ihipStream_tbENKUlT_T0_E_clISt17integral_constantIbLb0EESY_IbLb1EEEEDaSU_SV_EUlSU_E_NS1_11comp_targetILNS1_3genE5ELNS1_11target_archE942ELNS1_3gpuE9ELNS1_3repE0EEENS1_30default_config_static_selectorELNS0_4arch9wavefront6targetE0EEEvT1_,comdat
	.protected	_ZN7rocprim17ROCPRIM_400000_NS6detail17trampoline_kernelINS0_14default_configENS1_27scan_by_key_config_selectorIiiEEZZNS1_16scan_by_key_implILNS1_25lookback_scan_determinismE0ELb1ES3_N6thrust23THRUST_200600_302600_NS6detail15normal_iteratorINS9_10device_ptrIiEEEESE_SE_iNS9_10multipliesIiEENS9_8equal_toIiEEiEE10hipError_tPvRmT2_T3_T4_T5_mT6_T7_P12ihipStream_tbENKUlT_T0_E_clISt17integral_constantIbLb0EESY_IbLb1EEEEDaSU_SV_EUlSU_E_NS1_11comp_targetILNS1_3genE5ELNS1_11target_archE942ELNS1_3gpuE9ELNS1_3repE0EEENS1_30default_config_static_selectorELNS0_4arch9wavefront6targetE0EEEvT1_ ; -- Begin function _ZN7rocprim17ROCPRIM_400000_NS6detail17trampoline_kernelINS0_14default_configENS1_27scan_by_key_config_selectorIiiEEZZNS1_16scan_by_key_implILNS1_25lookback_scan_determinismE0ELb1ES3_N6thrust23THRUST_200600_302600_NS6detail15normal_iteratorINS9_10device_ptrIiEEEESE_SE_iNS9_10multipliesIiEENS9_8equal_toIiEEiEE10hipError_tPvRmT2_T3_T4_T5_mT6_T7_P12ihipStream_tbENKUlT_T0_E_clISt17integral_constantIbLb0EESY_IbLb1EEEEDaSU_SV_EUlSU_E_NS1_11comp_targetILNS1_3genE5ELNS1_11target_archE942ELNS1_3gpuE9ELNS1_3repE0EEENS1_30default_config_static_selectorELNS0_4arch9wavefront6targetE0EEEvT1_
	.globl	_ZN7rocprim17ROCPRIM_400000_NS6detail17trampoline_kernelINS0_14default_configENS1_27scan_by_key_config_selectorIiiEEZZNS1_16scan_by_key_implILNS1_25lookback_scan_determinismE0ELb1ES3_N6thrust23THRUST_200600_302600_NS6detail15normal_iteratorINS9_10device_ptrIiEEEESE_SE_iNS9_10multipliesIiEENS9_8equal_toIiEEiEE10hipError_tPvRmT2_T3_T4_T5_mT6_T7_P12ihipStream_tbENKUlT_T0_E_clISt17integral_constantIbLb0EESY_IbLb1EEEEDaSU_SV_EUlSU_E_NS1_11comp_targetILNS1_3genE5ELNS1_11target_archE942ELNS1_3gpuE9ELNS1_3repE0EEENS1_30default_config_static_selectorELNS0_4arch9wavefront6targetE0EEEvT1_
	.p2align	8
	.type	_ZN7rocprim17ROCPRIM_400000_NS6detail17trampoline_kernelINS0_14default_configENS1_27scan_by_key_config_selectorIiiEEZZNS1_16scan_by_key_implILNS1_25lookback_scan_determinismE0ELb1ES3_N6thrust23THRUST_200600_302600_NS6detail15normal_iteratorINS9_10device_ptrIiEEEESE_SE_iNS9_10multipliesIiEENS9_8equal_toIiEEiEE10hipError_tPvRmT2_T3_T4_T5_mT6_T7_P12ihipStream_tbENKUlT_T0_E_clISt17integral_constantIbLb0EESY_IbLb1EEEEDaSU_SV_EUlSU_E_NS1_11comp_targetILNS1_3genE5ELNS1_11target_archE942ELNS1_3gpuE9ELNS1_3repE0EEENS1_30default_config_static_selectorELNS0_4arch9wavefront6targetE0EEEvT1_,@function
_ZN7rocprim17ROCPRIM_400000_NS6detail17trampoline_kernelINS0_14default_configENS1_27scan_by_key_config_selectorIiiEEZZNS1_16scan_by_key_implILNS1_25lookback_scan_determinismE0ELb1ES3_N6thrust23THRUST_200600_302600_NS6detail15normal_iteratorINS9_10device_ptrIiEEEESE_SE_iNS9_10multipliesIiEENS9_8equal_toIiEEiEE10hipError_tPvRmT2_T3_T4_T5_mT6_T7_P12ihipStream_tbENKUlT_T0_E_clISt17integral_constantIbLb0EESY_IbLb1EEEEDaSU_SV_EUlSU_E_NS1_11comp_targetILNS1_3genE5ELNS1_11target_archE942ELNS1_3gpuE9ELNS1_3repE0EEENS1_30default_config_static_selectorELNS0_4arch9wavefront6targetE0EEEvT1_: ; @_ZN7rocprim17ROCPRIM_400000_NS6detail17trampoline_kernelINS0_14default_configENS1_27scan_by_key_config_selectorIiiEEZZNS1_16scan_by_key_implILNS1_25lookback_scan_determinismE0ELb1ES3_N6thrust23THRUST_200600_302600_NS6detail15normal_iteratorINS9_10device_ptrIiEEEESE_SE_iNS9_10multipliesIiEENS9_8equal_toIiEEiEE10hipError_tPvRmT2_T3_T4_T5_mT6_T7_P12ihipStream_tbENKUlT_T0_E_clISt17integral_constantIbLb0EESY_IbLb1EEEEDaSU_SV_EUlSU_E_NS1_11comp_targetILNS1_3genE5ELNS1_11target_archE942ELNS1_3gpuE9ELNS1_3repE0EEENS1_30default_config_static_selectorELNS0_4arch9wavefront6targetE0EEEvT1_
; %bb.0:
	.section	.rodata,"a",@progbits
	.p2align	6, 0x0
	.amdhsa_kernel _ZN7rocprim17ROCPRIM_400000_NS6detail17trampoline_kernelINS0_14default_configENS1_27scan_by_key_config_selectorIiiEEZZNS1_16scan_by_key_implILNS1_25lookback_scan_determinismE0ELb1ES3_N6thrust23THRUST_200600_302600_NS6detail15normal_iteratorINS9_10device_ptrIiEEEESE_SE_iNS9_10multipliesIiEENS9_8equal_toIiEEiEE10hipError_tPvRmT2_T3_T4_T5_mT6_T7_P12ihipStream_tbENKUlT_T0_E_clISt17integral_constantIbLb0EESY_IbLb1EEEEDaSU_SV_EUlSU_E_NS1_11comp_targetILNS1_3genE5ELNS1_11target_archE942ELNS1_3gpuE9ELNS1_3repE0EEENS1_30default_config_static_selectorELNS0_4arch9wavefront6targetE0EEEvT1_
		.amdhsa_group_segment_fixed_size 0
		.amdhsa_private_segment_fixed_size 0
		.amdhsa_kernarg_size 112
		.amdhsa_user_sgpr_count 2
		.amdhsa_user_sgpr_dispatch_ptr 0
		.amdhsa_user_sgpr_queue_ptr 0
		.amdhsa_user_sgpr_kernarg_segment_ptr 1
		.amdhsa_user_sgpr_dispatch_id 0
		.amdhsa_user_sgpr_kernarg_preload_length 0
		.amdhsa_user_sgpr_kernarg_preload_offset 0
		.amdhsa_user_sgpr_private_segment_size 0
		.amdhsa_wavefront_size32 1
		.amdhsa_uses_dynamic_stack 0
		.amdhsa_enable_private_segment 0
		.amdhsa_system_sgpr_workgroup_id_x 1
		.amdhsa_system_sgpr_workgroup_id_y 0
		.amdhsa_system_sgpr_workgroup_id_z 0
		.amdhsa_system_sgpr_workgroup_info 0
		.amdhsa_system_vgpr_workitem_id 0
		.amdhsa_next_free_vgpr 1
		.amdhsa_next_free_sgpr 1
		.amdhsa_named_barrier_count 0
		.amdhsa_reserve_vcc 0
		.amdhsa_float_round_mode_32 0
		.amdhsa_float_round_mode_16_64 0
		.amdhsa_float_denorm_mode_32 3
		.amdhsa_float_denorm_mode_16_64 3
		.amdhsa_fp16_overflow 0
		.amdhsa_memory_ordered 1
		.amdhsa_forward_progress 1
		.amdhsa_inst_pref_size 0
		.amdhsa_round_robin_scheduling 0
		.amdhsa_exception_fp_ieee_invalid_op 0
		.amdhsa_exception_fp_denorm_src 0
		.amdhsa_exception_fp_ieee_div_zero 0
		.amdhsa_exception_fp_ieee_overflow 0
		.amdhsa_exception_fp_ieee_underflow 0
		.amdhsa_exception_fp_ieee_inexact 0
		.amdhsa_exception_int_div_zero 0
	.end_amdhsa_kernel
	.section	.text._ZN7rocprim17ROCPRIM_400000_NS6detail17trampoline_kernelINS0_14default_configENS1_27scan_by_key_config_selectorIiiEEZZNS1_16scan_by_key_implILNS1_25lookback_scan_determinismE0ELb1ES3_N6thrust23THRUST_200600_302600_NS6detail15normal_iteratorINS9_10device_ptrIiEEEESE_SE_iNS9_10multipliesIiEENS9_8equal_toIiEEiEE10hipError_tPvRmT2_T3_T4_T5_mT6_T7_P12ihipStream_tbENKUlT_T0_E_clISt17integral_constantIbLb0EESY_IbLb1EEEEDaSU_SV_EUlSU_E_NS1_11comp_targetILNS1_3genE5ELNS1_11target_archE942ELNS1_3gpuE9ELNS1_3repE0EEENS1_30default_config_static_selectorELNS0_4arch9wavefront6targetE0EEEvT1_,"axG",@progbits,_ZN7rocprim17ROCPRIM_400000_NS6detail17trampoline_kernelINS0_14default_configENS1_27scan_by_key_config_selectorIiiEEZZNS1_16scan_by_key_implILNS1_25lookback_scan_determinismE0ELb1ES3_N6thrust23THRUST_200600_302600_NS6detail15normal_iteratorINS9_10device_ptrIiEEEESE_SE_iNS9_10multipliesIiEENS9_8equal_toIiEEiEE10hipError_tPvRmT2_T3_T4_T5_mT6_T7_P12ihipStream_tbENKUlT_T0_E_clISt17integral_constantIbLb0EESY_IbLb1EEEEDaSU_SV_EUlSU_E_NS1_11comp_targetILNS1_3genE5ELNS1_11target_archE942ELNS1_3gpuE9ELNS1_3repE0EEENS1_30default_config_static_selectorELNS0_4arch9wavefront6targetE0EEEvT1_,comdat
.Lfunc_end526:
	.size	_ZN7rocprim17ROCPRIM_400000_NS6detail17trampoline_kernelINS0_14default_configENS1_27scan_by_key_config_selectorIiiEEZZNS1_16scan_by_key_implILNS1_25lookback_scan_determinismE0ELb1ES3_N6thrust23THRUST_200600_302600_NS6detail15normal_iteratorINS9_10device_ptrIiEEEESE_SE_iNS9_10multipliesIiEENS9_8equal_toIiEEiEE10hipError_tPvRmT2_T3_T4_T5_mT6_T7_P12ihipStream_tbENKUlT_T0_E_clISt17integral_constantIbLb0EESY_IbLb1EEEEDaSU_SV_EUlSU_E_NS1_11comp_targetILNS1_3genE5ELNS1_11target_archE942ELNS1_3gpuE9ELNS1_3repE0EEENS1_30default_config_static_selectorELNS0_4arch9wavefront6targetE0EEEvT1_, .Lfunc_end526-_ZN7rocprim17ROCPRIM_400000_NS6detail17trampoline_kernelINS0_14default_configENS1_27scan_by_key_config_selectorIiiEEZZNS1_16scan_by_key_implILNS1_25lookback_scan_determinismE0ELb1ES3_N6thrust23THRUST_200600_302600_NS6detail15normal_iteratorINS9_10device_ptrIiEEEESE_SE_iNS9_10multipliesIiEENS9_8equal_toIiEEiEE10hipError_tPvRmT2_T3_T4_T5_mT6_T7_P12ihipStream_tbENKUlT_T0_E_clISt17integral_constantIbLb0EESY_IbLb1EEEEDaSU_SV_EUlSU_E_NS1_11comp_targetILNS1_3genE5ELNS1_11target_archE942ELNS1_3gpuE9ELNS1_3repE0EEENS1_30default_config_static_selectorELNS0_4arch9wavefront6targetE0EEEvT1_
                                        ; -- End function
	.set _ZN7rocprim17ROCPRIM_400000_NS6detail17trampoline_kernelINS0_14default_configENS1_27scan_by_key_config_selectorIiiEEZZNS1_16scan_by_key_implILNS1_25lookback_scan_determinismE0ELb1ES3_N6thrust23THRUST_200600_302600_NS6detail15normal_iteratorINS9_10device_ptrIiEEEESE_SE_iNS9_10multipliesIiEENS9_8equal_toIiEEiEE10hipError_tPvRmT2_T3_T4_T5_mT6_T7_P12ihipStream_tbENKUlT_T0_E_clISt17integral_constantIbLb0EESY_IbLb1EEEEDaSU_SV_EUlSU_E_NS1_11comp_targetILNS1_3genE5ELNS1_11target_archE942ELNS1_3gpuE9ELNS1_3repE0EEENS1_30default_config_static_selectorELNS0_4arch9wavefront6targetE0EEEvT1_.num_vgpr, 0
	.set _ZN7rocprim17ROCPRIM_400000_NS6detail17trampoline_kernelINS0_14default_configENS1_27scan_by_key_config_selectorIiiEEZZNS1_16scan_by_key_implILNS1_25lookback_scan_determinismE0ELb1ES3_N6thrust23THRUST_200600_302600_NS6detail15normal_iteratorINS9_10device_ptrIiEEEESE_SE_iNS9_10multipliesIiEENS9_8equal_toIiEEiEE10hipError_tPvRmT2_T3_T4_T5_mT6_T7_P12ihipStream_tbENKUlT_T0_E_clISt17integral_constantIbLb0EESY_IbLb1EEEEDaSU_SV_EUlSU_E_NS1_11comp_targetILNS1_3genE5ELNS1_11target_archE942ELNS1_3gpuE9ELNS1_3repE0EEENS1_30default_config_static_selectorELNS0_4arch9wavefront6targetE0EEEvT1_.num_agpr, 0
	.set _ZN7rocprim17ROCPRIM_400000_NS6detail17trampoline_kernelINS0_14default_configENS1_27scan_by_key_config_selectorIiiEEZZNS1_16scan_by_key_implILNS1_25lookback_scan_determinismE0ELb1ES3_N6thrust23THRUST_200600_302600_NS6detail15normal_iteratorINS9_10device_ptrIiEEEESE_SE_iNS9_10multipliesIiEENS9_8equal_toIiEEiEE10hipError_tPvRmT2_T3_T4_T5_mT6_T7_P12ihipStream_tbENKUlT_T0_E_clISt17integral_constantIbLb0EESY_IbLb1EEEEDaSU_SV_EUlSU_E_NS1_11comp_targetILNS1_3genE5ELNS1_11target_archE942ELNS1_3gpuE9ELNS1_3repE0EEENS1_30default_config_static_selectorELNS0_4arch9wavefront6targetE0EEEvT1_.numbered_sgpr, 0
	.set _ZN7rocprim17ROCPRIM_400000_NS6detail17trampoline_kernelINS0_14default_configENS1_27scan_by_key_config_selectorIiiEEZZNS1_16scan_by_key_implILNS1_25lookback_scan_determinismE0ELb1ES3_N6thrust23THRUST_200600_302600_NS6detail15normal_iteratorINS9_10device_ptrIiEEEESE_SE_iNS9_10multipliesIiEENS9_8equal_toIiEEiEE10hipError_tPvRmT2_T3_T4_T5_mT6_T7_P12ihipStream_tbENKUlT_T0_E_clISt17integral_constantIbLb0EESY_IbLb1EEEEDaSU_SV_EUlSU_E_NS1_11comp_targetILNS1_3genE5ELNS1_11target_archE942ELNS1_3gpuE9ELNS1_3repE0EEENS1_30default_config_static_selectorELNS0_4arch9wavefront6targetE0EEEvT1_.num_named_barrier, 0
	.set _ZN7rocprim17ROCPRIM_400000_NS6detail17trampoline_kernelINS0_14default_configENS1_27scan_by_key_config_selectorIiiEEZZNS1_16scan_by_key_implILNS1_25lookback_scan_determinismE0ELb1ES3_N6thrust23THRUST_200600_302600_NS6detail15normal_iteratorINS9_10device_ptrIiEEEESE_SE_iNS9_10multipliesIiEENS9_8equal_toIiEEiEE10hipError_tPvRmT2_T3_T4_T5_mT6_T7_P12ihipStream_tbENKUlT_T0_E_clISt17integral_constantIbLb0EESY_IbLb1EEEEDaSU_SV_EUlSU_E_NS1_11comp_targetILNS1_3genE5ELNS1_11target_archE942ELNS1_3gpuE9ELNS1_3repE0EEENS1_30default_config_static_selectorELNS0_4arch9wavefront6targetE0EEEvT1_.private_seg_size, 0
	.set _ZN7rocprim17ROCPRIM_400000_NS6detail17trampoline_kernelINS0_14default_configENS1_27scan_by_key_config_selectorIiiEEZZNS1_16scan_by_key_implILNS1_25lookback_scan_determinismE0ELb1ES3_N6thrust23THRUST_200600_302600_NS6detail15normal_iteratorINS9_10device_ptrIiEEEESE_SE_iNS9_10multipliesIiEENS9_8equal_toIiEEiEE10hipError_tPvRmT2_T3_T4_T5_mT6_T7_P12ihipStream_tbENKUlT_T0_E_clISt17integral_constantIbLb0EESY_IbLb1EEEEDaSU_SV_EUlSU_E_NS1_11comp_targetILNS1_3genE5ELNS1_11target_archE942ELNS1_3gpuE9ELNS1_3repE0EEENS1_30default_config_static_selectorELNS0_4arch9wavefront6targetE0EEEvT1_.uses_vcc, 0
	.set _ZN7rocprim17ROCPRIM_400000_NS6detail17trampoline_kernelINS0_14default_configENS1_27scan_by_key_config_selectorIiiEEZZNS1_16scan_by_key_implILNS1_25lookback_scan_determinismE0ELb1ES3_N6thrust23THRUST_200600_302600_NS6detail15normal_iteratorINS9_10device_ptrIiEEEESE_SE_iNS9_10multipliesIiEENS9_8equal_toIiEEiEE10hipError_tPvRmT2_T3_T4_T5_mT6_T7_P12ihipStream_tbENKUlT_T0_E_clISt17integral_constantIbLb0EESY_IbLb1EEEEDaSU_SV_EUlSU_E_NS1_11comp_targetILNS1_3genE5ELNS1_11target_archE942ELNS1_3gpuE9ELNS1_3repE0EEENS1_30default_config_static_selectorELNS0_4arch9wavefront6targetE0EEEvT1_.uses_flat_scratch, 0
	.set _ZN7rocprim17ROCPRIM_400000_NS6detail17trampoline_kernelINS0_14default_configENS1_27scan_by_key_config_selectorIiiEEZZNS1_16scan_by_key_implILNS1_25lookback_scan_determinismE0ELb1ES3_N6thrust23THRUST_200600_302600_NS6detail15normal_iteratorINS9_10device_ptrIiEEEESE_SE_iNS9_10multipliesIiEENS9_8equal_toIiEEiEE10hipError_tPvRmT2_T3_T4_T5_mT6_T7_P12ihipStream_tbENKUlT_T0_E_clISt17integral_constantIbLb0EESY_IbLb1EEEEDaSU_SV_EUlSU_E_NS1_11comp_targetILNS1_3genE5ELNS1_11target_archE942ELNS1_3gpuE9ELNS1_3repE0EEENS1_30default_config_static_selectorELNS0_4arch9wavefront6targetE0EEEvT1_.has_dyn_sized_stack, 0
	.set _ZN7rocprim17ROCPRIM_400000_NS6detail17trampoline_kernelINS0_14default_configENS1_27scan_by_key_config_selectorIiiEEZZNS1_16scan_by_key_implILNS1_25lookback_scan_determinismE0ELb1ES3_N6thrust23THRUST_200600_302600_NS6detail15normal_iteratorINS9_10device_ptrIiEEEESE_SE_iNS9_10multipliesIiEENS9_8equal_toIiEEiEE10hipError_tPvRmT2_T3_T4_T5_mT6_T7_P12ihipStream_tbENKUlT_T0_E_clISt17integral_constantIbLb0EESY_IbLb1EEEEDaSU_SV_EUlSU_E_NS1_11comp_targetILNS1_3genE5ELNS1_11target_archE942ELNS1_3gpuE9ELNS1_3repE0EEENS1_30default_config_static_selectorELNS0_4arch9wavefront6targetE0EEEvT1_.has_recursion, 0
	.set _ZN7rocprim17ROCPRIM_400000_NS6detail17trampoline_kernelINS0_14default_configENS1_27scan_by_key_config_selectorIiiEEZZNS1_16scan_by_key_implILNS1_25lookback_scan_determinismE0ELb1ES3_N6thrust23THRUST_200600_302600_NS6detail15normal_iteratorINS9_10device_ptrIiEEEESE_SE_iNS9_10multipliesIiEENS9_8equal_toIiEEiEE10hipError_tPvRmT2_T3_T4_T5_mT6_T7_P12ihipStream_tbENKUlT_T0_E_clISt17integral_constantIbLb0EESY_IbLb1EEEEDaSU_SV_EUlSU_E_NS1_11comp_targetILNS1_3genE5ELNS1_11target_archE942ELNS1_3gpuE9ELNS1_3repE0EEENS1_30default_config_static_selectorELNS0_4arch9wavefront6targetE0EEEvT1_.has_indirect_call, 0
	.section	.AMDGPU.csdata,"",@progbits
; Kernel info:
; codeLenInByte = 0
; TotalNumSgprs: 0
; NumVgprs: 0
; ScratchSize: 0
; MemoryBound: 0
; FloatMode: 240
; IeeeMode: 1
; LDSByteSize: 0 bytes/workgroup (compile time only)
; SGPRBlocks: 0
; VGPRBlocks: 0
; NumSGPRsForWavesPerEU: 1
; NumVGPRsForWavesPerEU: 1
; NamedBarCnt: 0
; Occupancy: 16
; WaveLimiterHint : 0
; COMPUTE_PGM_RSRC2:SCRATCH_EN: 0
; COMPUTE_PGM_RSRC2:USER_SGPR: 2
; COMPUTE_PGM_RSRC2:TRAP_HANDLER: 0
; COMPUTE_PGM_RSRC2:TGID_X_EN: 1
; COMPUTE_PGM_RSRC2:TGID_Y_EN: 0
; COMPUTE_PGM_RSRC2:TGID_Z_EN: 0
; COMPUTE_PGM_RSRC2:TIDIG_COMP_CNT: 0
	.section	.text._ZN7rocprim17ROCPRIM_400000_NS6detail17trampoline_kernelINS0_14default_configENS1_27scan_by_key_config_selectorIiiEEZZNS1_16scan_by_key_implILNS1_25lookback_scan_determinismE0ELb1ES3_N6thrust23THRUST_200600_302600_NS6detail15normal_iteratorINS9_10device_ptrIiEEEESE_SE_iNS9_10multipliesIiEENS9_8equal_toIiEEiEE10hipError_tPvRmT2_T3_T4_T5_mT6_T7_P12ihipStream_tbENKUlT_T0_E_clISt17integral_constantIbLb0EESY_IbLb1EEEEDaSU_SV_EUlSU_E_NS1_11comp_targetILNS1_3genE4ELNS1_11target_archE910ELNS1_3gpuE8ELNS1_3repE0EEENS1_30default_config_static_selectorELNS0_4arch9wavefront6targetE0EEEvT1_,"axG",@progbits,_ZN7rocprim17ROCPRIM_400000_NS6detail17trampoline_kernelINS0_14default_configENS1_27scan_by_key_config_selectorIiiEEZZNS1_16scan_by_key_implILNS1_25lookback_scan_determinismE0ELb1ES3_N6thrust23THRUST_200600_302600_NS6detail15normal_iteratorINS9_10device_ptrIiEEEESE_SE_iNS9_10multipliesIiEENS9_8equal_toIiEEiEE10hipError_tPvRmT2_T3_T4_T5_mT6_T7_P12ihipStream_tbENKUlT_T0_E_clISt17integral_constantIbLb0EESY_IbLb1EEEEDaSU_SV_EUlSU_E_NS1_11comp_targetILNS1_3genE4ELNS1_11target_archE910ELNS1_3gpuE8ELNS1_3repE0EEENS1_30default_config_static_selectorELNS0_4arch9wavefront6targetE0EEEvT1_,comdat
	.protected	_ZN7rocprim17ROCPRIM_400000_NS6detail17trampoline_kernelINS0_14default_configENS1_27scan_by_key_config_selectorIiiEEZZNS1_16scan_by_key_implILNS1_25lookback_scan_determinismE0ELb1ES3_N6thrust23THRUST_200600_302600_NS6detail15normal_iteratorINS9_10device_ptrIiEEEESE_SE_iNS9_10multipliesIiEENS9_8equal_toIiEEiEE10hipError_tPvRmT2_T3_T4_T5_mT6_T7_P12ihipStream_tbENKUlT_T0_E_clISt17integral_constantIbLb0EESY_IbLb1EEEEDaSU_SV_EUlSU_E_NS1_11comp_targetILNS1_3genE4ELNS1_11target_archE910ELNS1_3gpuE8ELNS1_3repE0EEENS1_30default_config_static_selectorELNS0_4arch9wavefront6targetE0EEEvT1_ ; -- Begin function _ZN7rocprim17ROCPRIM_400000_NS6detail17trampoline_kernelINS0_14default_configENS1_27scan_by_key_config_selectorIiiEEZZNS1_16scan_by_key_implILNS1_25lookback_scan_determinismE0ELb1ES3_N6thrust23THRUST_200600_302600_NS6detail15normal_iteratorINS9_10device_ptrIiEEEESE_SE_iNS9_10multipliesIiEENS9_8equal_toIiEEiEE10hipError_tPvRmT2_T3_T4_T5_mT6_T7_P12ihipStream_tbENKUlT_T0_E_clISt17integral_constantIbLb0EESY_IbLb1EEEEDaSU_SV_EUlSU_E_NS1_11comp_targetILNS1_3genE4ELNS1_11target_archE910ELNS1_3gpuE8ELNS1_3repE0EEENS1_30default_config_static_selectorELNS0_4arch9wavefront6targetE0EEEvT1_
	.globl	_ZN7rocprim17ROCPRIM_400000_NS6detail17trampoline_kernelINS0_14default_configENS1_27scan_by_key_config_selectorIiiEEZZNS1_16scan_by_key_implILNS1_25lookback_scan_determinismE0ELb1ES3_N6thrust23THRUST_200600_302600_NS6detail15normal_iteratorINS9_10device_ptrIiEEEESE_SE_iNS9_10multipliesIiEENS9_8equal_toIiEEiEE10hipError_tPvRmT2_T3_T4_T5_mT6_T7_P12ihipStream_tbENKUlT_T0_E_clISt17integral_constantIbLb0EESY_IbLb1EEEEDaSU_SV_EUlSU_E_NS1_11comp_targetILNS1_3genE4ELNS1_11target_archE910ELNS1_3gpuE8ELNS1_3repE0EEENS1_30default_config_static_selectorELNS0_4arch9wavefront6targetE0EEEvT1_
	.p2align	8
	.type	_ZN7rocprim17ROCPRIM_400000_NS6detail17trampoline_kernelINS0_14default_configENS1_27scan_by_key_config_selectorIiiEEZZNS1_16scan_by_key_implILNS1_25lookback_scan_determinismE0ELb1ES3_N6thrust23THRUST_200600_302600_NS6detail15normal_iteratorINS9_10device_ptrIiEEEESE_SE_iNS9_10multipliesIiEENS9_8equal_toIiEEiEE10hipError_tPvRmT2_T3_T4_T5_mT6_T7_P12ihipStream_tbENKUlT_T0_E_clISt17integral_constantIbLb0EESY_IbLb1EEEEDaSU_SV_EUlSU_E_NS1_11comp_targetILNS1_3genE4ELNS1_11target_archE910ELNS1_3gpuE8ELNS1_3repE0EEENS1_30default_config_static_selectorELNS0_4arch9wavefront6targetE0EEEvT1_,@function
_ZN7rocprim17ROCPRIM_400000_NS6detail17trampoline_kernelINS0_14default_configENS1_27scan_by_key_config_selectorIiiEEZZNS1_16scan_by_key_implILNS1_25lookback_scan_determinismE0ELb1ES3_N6thrust23THRUST_200600_302600_NS6detail15normal_iteratorINS9_10device_ptrIiEEEESE_SE_iNS9_10multipliesIiEENS9_8equal_toIiEEiEE10hipError_tPvRmT2_T3_T4_T5_mT6_T7_P12ihipStream_tbENKUlT_T0_E_clISt17integral_constantIbLb0EESY_IbLb1EEEEDaSU_SV_EUlSU_E_NS1_11comp_targetILNS1_3genE4ELNS1_11target_archE910ELNS1_3gpuE8ELNS1_3repE0EEENS1_30default_config_static_selectorELNS0_4arch9wavefront6targetE0EEEvT1_: ; @_ZN7rocprim17ROCPRIM_400000_NS6detail17trampoline_kernelINS0_14default_configENS1_27scan_by_key_config_selectorIiiEEZZNS1_16scan_by_key_implILNS1_25lookback_scan_determinismE0ELb1ES3_N6thrust23THRUST_200600_302600_NS6detail15normal_iteratorINS9_10device_ptrIiEEEESE_SE_iNS9_10multipliesIiEENS9_8equal_toIiEEiEE10hipError_tPvRmT2_T3_T4_T5_mT6_T7_P12ihipStream_tbENKUlT_T0_E_clISt17integral_constantIbLb0EESY_IbLb1EEEEDaSU_SV_EUlSU_E_NS1_11comp_targetILNS1_3genE4ELNS1_11target_archE910ELNS1_3gpuE8ELNS1_3repE0EEENS1_30default_config_static_selectorELNS0_4arch9wavefront6targetE0EEEvT1_
; %bb.0:
	.section	.rodata,"a",@progbits
	.p2align	6, 0x0
	.amdhsa_kernel _ZN7rocprim17ROCPRIM_400000_NS6detail17trampoline_kernelINS0_14default_configENS1_27scan_by_key_config_selectorIiiEEZZNS1_16scan_by_key_implILNS1_25lookback_scan_determinismE0ELb1ES3_N6thrust23THRUST_200600_302600_NS6detail15normal_iteratorINS9_10device_ptrIiEEEESE_SE_iNS9_10multipliesIiEENS9_8equal_toIiEEiEE10hipError_tPvRmT2_T3_T4_T5_mT6_T7_P12ihipStream_tbENKUlT_T0_E_clISt17integral_constantIbLb0EESY_IbLb1EEEEDaSU_SV_EUlSU_E_NS1_11comp_targetILNS1_3genE4ELNS1_11target_archE910ELNS1_3gpuE8ELNS1_3repE0EEENS1_30default_config_static_selectorELNS0_4arch9wavefront6targetE0EEEvT1_
		.amdhsa_group_segment_fixed_size 0
		.amdhsa_private_segment_fixed_size 0
		.amdhsa_kernarg_size 112
		.amdhsa_user_sgpr_count 2
		.amdhsa_user_sgpr_dispatch_ptr 0
		.amdhsa_user_sgpr_queue_ptr 0
		.amdhsa_user_sgpr_kernarg_segment_ptr 1
		.amdhsa_user_sgpr_dispatch_id 0
		.amdhsa_user_sgpr_kernarg_preload_length 0
		.amdhsa_user_sgpr_kernarg_preload_offset 0
		.amdhsa_user_sgpr_private_segment_size 0
		.amdhsa_wavefront_size32 1
		.amdhsa_uses_dynamic_stack 0
		.amdhsa_enable_private_segment 0
		.amdhsa_system_sgpr_workgroup_id_x 1
		.amdhsa_system_sgpr_workgroup_id_y 0
		.amdhsa_system_sgpr_workgroup_id_z 0
		.amdhsa_system_sgpr_workgroup_info 0
		.amdhsa_system_vgpr_workitem_id 0
		.amdhsa_next_free_vgpr 1
		.amdhsa_next_free_sgpr 1
		.amdhsa_named_barrier_count 0
		.amdhsa_reserve_vcc 0
		.amdhsa_float_round_mode_32 0
		.amdhsa_float_round_mode_16_64 0
		.amdhsa_float_denorm_mode_32 3
		.amdhsa_float_denorm_mode_16_64 3
		.amdhsa_fp16_overflow 0
		.amdhsa_memory_ordered 1
		.amdhsa_forward_progress 1
		.amdhsa_inst_pref_size 0
		.amdhsa_round_robin_scheduling 0
		.amdhsa_exception_fp_ieee_invalid_op 0
		.amdhsa_exception_fp_denorm_src 0
		.amdhsa_exception_fp_ieee_div_zero 0
		.amdhsa_exception_fp_ieee_overflow 0
		.amdhsa_exception_fp_ieee_underflow 0
		.amdhsa_exception_fp_ieee_inexact 0
		.amdhsa_exception_int_div_zero 0
	.end_amdhsa_kernel
	.section	.text._ZN7rocprim17ROCPRIM_400000_NS6detail17trampoline_kernelINS0_14default_configENS1_27scan_by_key_config_selectorIiiEEZZNS1_16scan_by_key_implILNS1_25lookback_scan_determinismE0ELb1ES3_N6thrust23THRUST_200600_302600_NS6detail15normal_iteratorINS9_10device_ptrIiEEEESE_SE_iNS9_10multipliesIiEENS9_8equal_toIiEEiEE10hipError_tPvRmT2_T3_T4_T5_mT6_T7_P12ihipStream_tbENKUlT_T0_E_clISt17integral_constantIbLb0EESY_IbLb1EEEEDaSU_SV_EUlSU_E_NS1_11comp_targetILNS1_3genE4ELNS1_11target_archE910ELNS1_3gpuE8ELNS1_3repE0EEENS1_30default_config_static_selectorELNS0_4arch9wavefront6targetE0EEEvT1_,"axG",@progbits,_ZN7rocprim17ROCPRIM_400000_NS6detail17trampoline_kernelINS0_14default_configENS1_27scan_by_key_config_selectorIiiEEZZNS1_16scan_by_key_implILNS1_25lookback_scan_determinismE0ELb1ES3_N6thrust23THRUST_200600_302600_NS6detail15normal_iteratorINS9_10device_ptrIiEEEESE_SE_iNS9_10multipliesIiEENS9_8equal_toIiEEiEE10hipError_tPvRmT2_T3_T4_T5_mT6_T7_P12ihipStream_tbENKUlT_T0_E_clISt17integral_constantIbLb0EESY_IbLb1EEEEDaSU_SV_EUlSU_E_NS1_11comp_targetILNS1_3genE4ELNS1_11target_archE910ELNS1_3gpuE8ELNS1_3repE0EEENS1_30default_config_static_selectorELNS0_4arch9wavefront6targetE0EEEvT1_,comdat
.Lfunc_end527:
	.size	_ZN7rocprim17ROCPRIM_400000_NS6detail17trampoline_kernelINS0_14default_configENS1_27scan_by_key_config_selectorIiiEEZZNS1_16scan_by_key_implILNS1_25lookback_scan_determinismE0ELb1ES3_N6thrust23THRUST_200600_302600_NS6detail15normal_iteratorINS9_10device_ptrIiEEEESE_SE_iNS9_10multipliesIiEENS9_8equal_toIiEEiEE10hipError_tPvRmT2_T3_T4_T5_mT6_T7_P12ihipStream_tbENKUlT_T0_E_clISt17integral_constantIbLb0EESY_IbLb1EEEEDaSU_SV_EUlSU_E_NS1_11comp_targetILNS1_3genE4ELNS1_11target_archE910ELNS1_3gpuE8ELNS1_3repE0EEENS1_30default_config_static_selectorELNS0_4arch9wavefront6targetE0EEEvT1_, .Lfunc_end527-_ZN7rocprim17ROCPRIM_400000_NS6detail17trampoline_kernelINS0_14default_configENS1_27scan_by_key_config_selectorIiiEEZZNS1_16scan_by_key_implILNS1_25lookback_scan_determinismE0ELb1ES3_N6thrust23THRUST_200600_302600_NS6detail15normal_iteratorINS9_10device_ptrIiEEEESE_SE_iNS9_10multipliesIiEENS9_8equal_toIiEEiEE10hipError_tPvRmT2_T3_T4_T5_mT6_T7_P12ihipStream_tbENKUlT_T0_E_clISt17integral_constantIbLb0EESY_IbLb1EEEEDaSU_SV_EUlSU_E_NS1_11comp_targetILNS1_3genE4ELNS1_11target_archE910ELNS1_3gpuE8ELNS1_3repE0EEENS1_30default_config_static_selectorELNS0_4arch9wavefront6targetE0EEEvT1_
                                        ; -- End function
	.set _ZN7rocprim17ROCPRIM_400000_NS6detail17trampoline_kernelINS0_14default_configENS1_27scan_by_key_config_selectorIiiEEZZNS1_16scan_by_key_implILNS1_25lookback_scan_determinismE0ELb1ES3_N6thrust23THRUST_200600_302600_NS6detail15normal_iteratorINS9_10device_ptrIiEEEESE_SE_iNS9_10multipliesIiEENS9_8equal_toIiEEiEE10hipError_tPvRmT2_T3_T4_T5_mT6_T7_P12ihipStream_tbENKUlT_T0_E_clISt17integral_constantIbLb0EESY_IbLb1EEEEDaSU_SV_EUlSU_E_NS1_11comp_targetILNS1_3genE4ELNS1_11target_archE910ELNS1_3gpuE8ELNS1_3repE0EEENS1_30default_config_static_selectorELNS0_4arch9wavefront6targetE0EEEvT1_.num_vgpr, 0
	.set _ZN7rocprim17ROCPRIM_400000_NS6detail17trampoline_kernelINS0_14default_configENS1_27scan_by_key_config_selectorIiiEEZZNS1_16scan_by_key_implILNS1_25lookback_scan_determinismE0ELb1ES3_N6thrust23THRUST_200600_302600_NS6detail15normal_iteratorINS9_10device_ptrIiEEEESE_SE_iNS9_10multipliesIiEENS9_8equal_toIiEEiEE10hipError_tPvRmT2_T3_T4_T5_mT6_T7_P12ihipStream_tbENKUlT_T0_E_clISt17integral_constantIbLb0EESY_IbLb1EEEEDaSU_SV_EUlSU_E_NS1_11comp_targetILNS1_3genE4ELNS1_11target_archE910ELNS1_3gpuE8ELNS1_3repE0EEENS1_30default_config_static_selectorELNS0_4arch9wavefront6targetE0EEEvT1_.num_agpr, 0
	.set _ZN7rocprim17ROCPRIM_400000_NS6detail17trampoline_kernelINS0_14default_configENS1_27scan_by_key_config_selectorIiiEEZZNS1_16scan_by_key_implILNS1_25lookback_scan_determinismE0ELb1ES3_N6thrust23THRUST_200600_302600_NS6detail15normal_iteratorINS9_10device_ptrIiEEEESE_SE_iNS9_10multipliesIiEENS9_8equal_toIiEEiEE10hipError_tPvRmT2_T3_T4_T5_mT6_T7_P12ihipStream_tbENKUlT_T0_E_clISt17integral_constantIbLb0EESY_IbLb1EEEEDaSU_SV_EUlSU_E_NS1_11comp_targetILNS1_3genE4ELNS1_11target_archE910ELNS1_3gpuE8ELNS1_3repE0EEENS1_30default_config_static_selectorELNS0_4arch9wavefront6targetE0EEEvT1_.numbered_sgpr, 0
	.set _ZN7rocprim17ROCPRIM_400000_NS6detail17trampoline_kernelINS0_14default_configENS1_27scan_by_key_config_selectorIiiEEZZNS1_16scan_by_key_implILNS1_25lookback_scan_determinismE0ELb1ES3_N6thrust23THRUST_200600_302600_NS6detail15normal_iteratorINS9_10device_ptrIiEEEESE_SE_iNS9_10multipliesIiEENS9_8equal_toIiEEiEE10hipError_tPvRmT2_T3_T4_T5_mT6_T7_P12ihipStream_tbENKUlT_T0_E_clISt17integral_constantIbLb0EESY_IbLb1EEEEDaSU_SV_EUlSU_E_NS1_11comp_targetILNS1_3genE4ELNS1_11target_archE910ELNS1_3gpuE8ELNS1_3repE0EEENS1_30default_config_static_selectorELNS0_4arch9wavefront6targetE0EEEvT1_.num_named_barrier, 0
	.set _ZN7rocprim17ROCPRIM_400000_NS6detail17trampoline_kernelINS0_14default_configENS1_27scan_by_key_config_selectorIiiEEZZNS1_16scan_by_key_implILNS1_25lookback_scan_determinismE0ELb1ES3_N6thrust23THRUST_200600_302600_NS6detail15normal_iteratorINS9_10device_ptrIiEEEESE_SE_iNS9_10multipliesIiEENS9_8equal_toIiEEiEE10hipError_tPvRmT2_T3_T4_T5_mT6_T7_P12ihipStream_tbENKUlT_T0_E_clISt17integral_constantIbLb0EESY_IbLb1EEEEDaSU_SV_EUlSU_E_NS1_11comp_targetILNS1_3genE4ELNS1_11target_archE910ELNS1_3gpuE8ELNS1_3repE0EEENS1_30default_config_static_selectorELNS0_4arch9wavefront6targetE0EEEvT1_.private_seg_size, 0
	.set _ZN7rocprim17ROCPRIM_400000_NS6detail17trampoline_kernelINS0_14default_configENS1_27scan_by_key_config_selectorIiiEEZZNS1_16scan_by_key_implILNS1_25lookback_scan_determinismE0ELb1ES3_N6thrust23THRUST_200600_302600_NS6detail15normal_iteratorINS9_10device_ptrIiEEEESE_SE_iNS9_10multipliesIiEENS9_8equal_toIiEEiEE10hipError_tPvRmT2_T3_T4_T5_mT6_T7_P12ihipStream_tbENKUlT_T0_E_clISt17integral_constantIbLb0EESY_IbLb1EEEEDaSU_SV_EUlSU_E_NS1_11comp_targetILNS1_3genE4ELNS1_11target_archE910ELNS1_3gpuE8ELNS1_3repE0EEENS1_30default_config_static_selectorELNS0_4arch9wavefront6targetE0EEEvT1_.uses_vcc, 0
	.set _ZN7rocprim17ROCPRIM_400000_NS6detail17trampoline_kernelINS0_14default_configENS1_27scan_by_key_config_selectorIiiEEZZNS1_16scan_by_key_implILNS1_25lookback_scan_determinismE0ELb1ES3_N6thrust23THRUST_200600_302600_NS6detail15normal_iteratorINS9_10device_ptrIiEEEESE_SE_iNS9_10multipliesIiEENS9_8equal_toIiEEiEE10hipError_tPvRmT2_T3_T4_T5_mT6_T7_P12ihipStream_tbENKUlT_T0_E_clISt17integral_constantIbLb0EESY_IbLb1EEEEDaSU_SV_EUlSU_E_NS1_11comp_targetILNS1_3genE4ELNS1_11target_archE910ELNS1_3gpuE8ELNS1_3repE0EEENS1_30default_config_static_selectorELNS0_4arch9wavefront6targetE0EEEvT1_.uses_flat_scratch, 0
	.set _ZN7rocprim17ROCPRIM_400000_NS6detail17trampoline_kernelINS0_14default_configENS1_27scan_by_key_config_selectorIiiEEZZNS1_16scan_by_key_implILNS1_25lookback_scan_determinismE0ELb1ES3_N6thrust23THRUST_200600_302600_NS6detail15normal_iteratorINS9_10device_ptrIiEEEESE_SE_iNS9_10multipliesIiEENS9_8equal_toIiEEiEE10hipError_tPvRmT2_T3_T4_T5_mT6_T7_P12ihipStream_tbENKUlT_T0_E_clISt17integral_constantIbLb0EESY_IbLb1EEEEDaSU_SV_EUlSU_E_NS1_11comp_targetILNS1_3genE4ELNS1_11target_archE910ELNS1_3gpuE8ELNS1_3repE0EEENS1_30default_config_static_selectorELNS0_4arch9wavefront6targetE0EEEvT1_.has_dyn_sized_stack, 0
	.set _ZN7rocprim17ROCPRIM_400000_NS6detail17trampoline_kernelINS0_14default_configENS1_27scan_by_key_config_selectorIiiEEZZNS1_16scan_by_key_implILNS1_25lookback_scan_determinismE0ELb1ES3_N6thrust23THRUST_200600_302600_NS6detail15normal_iteratorINS9_10device_ptrIiEEEESE_SE_iNS9_10multipliesIiEENS9_8equal_toIiEEiEE10hipError_tPvRmT2_T3_T4_T5_mT6_T7_P12ihipStream_tbENKUlT_T0_E_clISt17integral_constantIbLb0EESY_IbLb1EEEEDaSU_SV_EUlSU_E_NS1_11comp_targetILNS1_3genE4ELNS1_11target_archE910ELNS1_3gpuE8ELNS1_3repE0EEENS1_30default_config_static_selectorELNS0_4arch9wavefront6targetE0EEEvT1_.has_recursion, 0
	.set _ZN7rocprim17ROCPRIM_400000_NS6detail17trampoline_kernelINS0_14default_configENS1_27scan_by_key_config_selectorIiiEEZZNS1_16scan_by_key_implILNS1_25lookback_scan_determinismE0ELb1ES3_N6thrust23THRUST_200600_302600_NS6detail15normal_iteratorINS9_10device_ptrIiEEEESE_SE_iNS9_10multipliesIiEENS9_8equal_toIiEEiEE10hipError_tPvRmT2_T3_T4_T5_mT6_T7_P12ihipStream_tbENKUlT_T0_E_clISt17integral_constantIbLb0EESY_IbLb1EEEEDaSU_SV_EUlSU_E_NS1_11comp_targetILNS1_3genE4ELNS1_11target_archE910ELNS1_3gpuE8ELNS1_3repE0EEENS1_30default_config_static_selectorELNS0_4arch9wavefront6targetE0EEEvT1_.has_indirect_call, 0
	.section	.AMDGPU.csdata,"",@progbits
; Kernel info:
; codeLenInByte = 0
; TotalNumSgprs: 0
; NumVgprs: 0
; ScratchSize: 0
; MemoryBound: 0
; FloatMode: 240
; IeeeMode: 1
; LDSByteSize: 0 bytes/workgroup (compile time only)
; SGPRBlocks: 0
; VGPRBlocks: 0
; NumSGPRsForWavesPerEU: 1
; NumVGPRsForWavesPerEU: 1
; NamedBarCnt: 0
; Occupancy: 16
; WaveLimiterHint : 0
; COMPUTE_PGM_RSRC2:SCRATCH_EN: 0
; COMPUTE_PGM_RSRC2:USER_SGPR: 2
; COMPUTE_PGM_RSRC2:TRAP_HANDLER: 0
; COMPUTE_PGM_RSRC2:TGID_X_EN: 1
; COMPUTE_PGM_RSRC2:TGID_Y_EN: 0
; COMPUTE_PGM_RSRC2:TGID_Z_EN: 0
; COMPUTE_PGM_RSRC2:TIDIG_COMP_CNT: 0
	.section	.text._ZN7rocprim17ROCPRIM_400000_NS6detail17trampoline_kernelINS0_14default_configENS1_27scan_by_key_config_selectorIiiEEZZNS1_16scan_by_key_implILNS1_25lookback_scan_determinismE0ELb1ES3_N6thrust23THRUST_200600_302600_NS6detail15normal_iteratorINS9_10device_ptrIiEEEESE_SE_iNS9_10multipliesIiEENS9_8equal_toIiEEiEE10hipError_tPvRmT2_T3_T4_T5_mT6_T7_P12ihipStream_tbENKUlT_T0_E_clISt17integral_constantIbLb0EESY_IbLb1EEEEDaSU_SV_EUlSU_E_NS1_11comp_targetILNS1_3genE3ELNS1_11target_archE908ELNS1_3gpuE7ELNS1_3repE0EEENS1_30default_config_static_selectorELNS0_4arch9wavefront6targetE0EEEvT1_,"axG",@progbits,_ZN7rocprim17ROCPRIM_400000_NS6detail17trampoline_kernelINS0_14default_configENS1_27scan_by_key_config_selectorIiiEEZZNS1_16scan_by_key_implILNS1_25lookback_scan_determinismE0ELb1ES3_N6thrust23THRUST_200600_302600_NS6detail15normal_iteratorINS9_10device_ptrIiEEEESE_SE_iNS9_10multipliesIiEENS9_8equal_toIiEEiEE10hipError_tPvRmT2_T3_T4_T5_mT6_T7_P12ihipStream_tbENKUlT_T0_E_clISt17integral_constantIbLb0EESY_IbLb1EEEEDaSU_SV_EUlSU_E_NS1_11comp_targetILNS1_3genE3ELNS1_11target_archE908ELNS1_3gpuE7ELNS1_3repE0EEENS1_30default_config_static_selectorELNS0_4arch9wavefront6targetE0EEEvT1_,comdat
	.protected	_ZN7rocprim17ROCPRIM_400000_NS6detail17trampoline_kernelINS0_14default_configENS1_27scan_by_key_config_selectorIiiEEZZNS1_16scan_by_key_implILNS1_25lookback_scan_determinismE0ELb1ES3_N6thrust23THRUST_200600_302600_NS6detail15normal_iteratorINS9_10device_ptrIiEEEESE_SE_iNS9_10multipliesIiEENS9_8equal_toIiEEiEE10hipError_tPvRmT2_T3_T4_T5_mT6_T7_P12ihipStream_tbENKUlT_T0_E_clISt17integral_constantIbLb0EESY_IbLb1EEEEDaSU_SV_EUlSU_E_NS1_11comp_targetILNS1_3genE3ELNS1_11target_archE908ELNS1_3gpuE7ELNS1_3repE0EEENS1_30default_config_static_selectorELNS0_4arch9wavefront6targetE0EEEvT1_ ; -- Begin function _ZN7rocprim17ROCPRIM_400000_NS6detail17trampoline_kernelINS0_14default_configENS1_27scan_by_key_config_selectorIiiEEZZNS1_16scan_by_key_implILNS1_25lookback_scan_determinismE0ELb1ES3_N6thrust23THRUST_200600_302600_NS6detail15normal_iteratorINS9_10device_ptrIiEEEESE_SE_iNS9_10multipliesIiEENS9_8equal_toIiEEiEE10hipError_tPvRmT2_T3_T4_T5_mT6_T7_P12ihipStream_tbENKUlT_T0_E_clISt17integral_constantIbLb0EESY_IbLb1EEEEDaSU_SV_EUlSU_E_NS1_11comp_targetILNS1_3genE3ELNS1_11target_archE908ELNS1_3gpuE7ELNS1_3repE0EEENS1_30default_config_static_selectorELNS0_4arch9wavefront6targetE0EEEvT1_
	.globl	_ZN7rocprim17ROCPRIM_400000_NS6detail17trampoline_kernelINS0_14default_configENS1_27scan_by_key_config_selectorIiiEEZZNS1_16scan_by_key_implILNS1_25lookback_scan_determinismE0ELb1ES3_N6thrust23THRUST_200600_302600_NS6detail15normal_iteratorINS9_10device_ptrIiEEEESE_SE_iNS9_10multipliesIiEENS9_8equal_toIiEEiEE10hipError_tPvRmT2_T3_T4_T5_mT6_T7_P12ihipStream_tbENKUlT_T0_E_clISt17integral_constantIbLb0EESY_IbLb1EEEEDaSU_SV_EUlSU_E_NS1_11comp_targetILNS1_3genE3ELNS1_11target_archE908ELNS1_3gpuE7ELNS1_3repE0EEENS1_30default_config_static_selectorELNS0_4arch9wavefront6targetE0EEEvT1_
	.p2align	8
	.type	_ZN7rocprim17ROCPRIM_400000_NS6detail17trampoline_kernelINS0_14default_configENS1_27scan_by_key_config_selectorIiiEEZZNS1_16scan_by_key_implILNS1_25lookback_scan_determinismE0ELb1ES3_N6thrust23THRUST_200600_302600_NS6detail15normal_iteratorINS9_10device_ptrIiEEEESE_SE_iNS9_10multipliesIiEENS9_8equal_toIiEEiEE10hipError_tPvRmT2_T3_T4_T5_mT6_T7_P12ihipStream_tbENKUlT_T0_E_clISt17integral_constantIbLb0EESY_IbLb1EEEEDaSU_SV_EUlSU_E_NS1_11comp_targetILNS1_3genE3ELNS1_11target_archE908ELNS1_3gpuE7ELNS1_3repE0EEENS1_30default_config_static_selectorELNS0_4arch9wavefront6targetE0EEEvT1_,@function
_ZN7rocprim17ROCPRIM_400000_NS6detail17trampoline_kernelINS0_14default_configENS1_27scan_by_key_config_selectorIiiEEZZNS1_16scan_by_key_implILNS1_25lookback_scan_determinismE0ELb1ES3_N6thrust23THRUST_200600_302600_NS6detail15normal_iteratorINS9_10device_ptrIiEEEESE_SE_iNS9_10multipliesIiEENS9_8equal_toIiEEiEE10hipError_tPvRmT2_T3_T4_T5_mT6_T7_P12ihipStream_tbENKUlT_T0_E_clISt17integral_constantIbLb0EESY_IbLb1EEEEDaSU_SV_EUlSU_E_NS1_11comp_targetILNS1_3genE3ELNS1_11target_archE908ELNS1_3gpuE7ELNS1_3repE0EEENS1_30default_config_static_selectorELNS0_4arch9wavefront6targetE0EEEvT1_: ; @_ZN7rocprim17ROCPRIM_400000_NS6detail17trampoline_kernelINS0_14default_configENS1_27scan_by_key_config_selectorIiiEEZZNS1_16scan_by_key_implILNS1_25lookback_scan_determinismE0ELb1ES3_N6thrust23THRUST_200600_302600_NS6detail15normal_iteratorINS9_10device_ptrIiEEEESE_SE_iNS9_10multipliesIiEENS9_8equal_toIiEEiEE10hipError_tPvRmT2_T3_T4_T5_mT6_T7_P12ihipStream_tbENKUlT_T0_E_clISt17integral_constantIbLb0EESY_IbLb1EEEEDaSU_SV_EUlSU_E_NS1_11comp_targetILNS1_3genE3ELNS1_11target_archE908ELNS1_3gpuE7ELNS1_3repE0EEENS1_30default_config_static_selectorELNS0_4arch9wavefront6targetE0EEEvT1_
; %bb.0:
	.section	.rodata,"a",@progbits
	.p2align	6, 0x0
	.amdhsa_kernel _ZN7rocprim17ROCPRIM_400000_NS6detail17trampoline_kernelINS0_14default_configENS1_27scan_by_key_config_selectorIiiEEZZNS1_16scan_by_key_implILNS1_25lookback_scan_determinismE0ELb1ES3_N6thrust23THRUST_200600_302600_NS6detail15normal_iteratorINS9_10device_ptrIiEEEESE_SE_iNS9_10multipliesIiEENS9_8equal_toIiEEiEE10hipError_tPvRmT2_T3_T4_T5_mT6_T7_P12ihipStream_tbENKUlT_T0_E_clISt17integral_constantIbLb0EESY_IbLb1EEEEDaSU_SV_EUlSU_E_NS1_11comp_targetILNS1_3genE3ELNS1_11target_archE908ELNS1_3gpuE7ELNS1_3repE0EEENS1_30default_config_static_selectorELNS0_4arch9wavefront6targetE0EEEvT1_
		.amdhsa_group_segment_fixed_size 0
		.amdhsa_private_segment_fixed_size 0
		.amdhsa_kernarg_size 112
		.amdhsa_user_sgpr_count 2
		.amdhsa_user_sgpr_dispatch_ptr 0
		.amdhsa_user_sgpr_queue_ptr 0
		.amdhsa_user_sgpr_kernarg_segment_ptr 1
		.amdhsa_user_sgpr_dispatch_id 0
		.amdhsa_user_sgpr_kernarg_preload_length 0
		.amdhsa_user_sgpr_kernarg_preload_offset 0
		.amdhsa_user_sgpr_private_segment_size 0
		.amdhsa_wavefront_size32 1
		.amdhsa_uses_dynamic_stack 0
		.amdhsa_enable_private_segment 0
		.amdhsa_system_sgpr_workgroup_id_x 1
		.amdhsa_system_sgpr_workgroup_id_y 0
		.amdhsa_system_sgpr_workgroup_id_z 0
		.amdhsa_system_sgpr_workgroup_info 0
		.amdhsa_system_vgpr_workitem_id 0
		.amdhsa_next_free_vgpr 1
		.amdhsa_next_free_sgpr 1
		.amdhsa_named_barrier_count 0
		.amdhsa_reserve_vcc 0
		.amdhsa_float_round_mode_32 0
		.amdhsa_float_round_mode_16_64 0
		.amdhsa_float_denorm_mode_32 3
		.amdhsa_float_denorm_mode_16_64 3
		.amdhsa_fp16_overflow 0
		.amdhsa_memory_ordered 1
		.amdhsa_forward_progress 1
		.amdhsa_inst_pref_size 0
		.amdhsa_round_robin_scheduling 0
		.amdhsa_exception_fp_ieee_invalid_op 0
		.amdhsa_exception_fp_denorm_src 0
		.amdhsa_exception_fp_ieee_div_zero 0
		.amdhsa_exception_fp_ieee_overflow 0
		.amdhsa_exception_fp_ieee_underflow 0
		.amdhsa_exception_fp_ieee_inexact 0
		.amdhsa_exception_int_div_zero 0
	.end_amdhsa_kernel
	.section	.text._ZN7rocprim17ROCPRIM_400000_NS6detail17trampoline_kernelINS0_14default_configENS1_27scan_by_key_config_selectorIiiEEZZNS1_16scan_by_key_implILNS1_25lookback_scan_determinismE0ELb1ES3_N6thrust23THRUST_200600_302600_NS6detail15normal_iteratorINS9_10device_ptrIiEEEESE_SE_iNS9_10multipliesIiEENS9_8equal_toIiEEiEE10hipError_tPvRmT2_T3_T4_T5_mT6_T7_P12ihipStream_tbENKUlT_T0_E_clISt17integral_constantIbLb0EESY_IbLb1EEEEDaSU_SV_EUlSU_E_NS1_11comp_targetILNS1_3genE3ELNS1_11target_archE908ELNS1_3gpuE7ELNS1_3repE0EEENS1_30default_config_static_selectorELNS0_4arch9wavefront6targetE0EEEvT1_,"axG",@progbits,_ZN7rocprim17ROCPRIM_400000_NS6detail17trampoline_kernelINS0_14default_configENS1_27scan_by_key_config_selectorIiiEEZZNS1_16scan_by_key_implILNS1_25lookback_scan_determinismE0ELb1ES3_N6thrust23THRUST_200600_302600_NS6detail15normal_iteratorINS9_10device_ptrIiEEEESE_SE_iNS9_10multipliesIiEENS9_8equal_toIiEEiEE10hipError_tPvRmT2_T3_T4_T5_mT6_T7_P12ihipStream_tbENKUlT_T0_E_clISt17integral_constantIbLb0EESY_IbLb1EEEEDaSU_SV_EUlSU_E_NS1_11comp_targetILNS1_3genE3ELNS1_11target_archE908ELNS1_3gpuE7ELNS1_3repE0EEENS1_30default_config_static_selectorELNS0_4arch9wavefront6targetE0EEEvT1_,comdat
.Lfunc_end528:
	.size	_ZN7rocprim17ROCPRIM_400000_NS6detail17trampoline_kernelINS0_14default_configENS1_27scan_by_key_config_selectorIiiEEZZNS1_16scan_by_key_implILNS1_25lookback_scan_determinismE0ELb1ES3_N6thrust23THRUST_200600_302600_NS6detail15normal_iteratorINS9_10device_ptrIiEEEESE_SE_iNS9_10multipliesIiEENS9_8equal_toIiEEiEE10hipError_tPvRmT2_T3_T4_T5_mT6_T7_P12ihipStream_tbENKUlT_T0_E_clISt17integral_constantIbLb0EESY_IbLb1EEEEDaSU_SV_EUlSU_E_NS1_11comp_targetILNS1_3genE3ELNS1_11target_archE908ELNS1_3gpuE7ELNS1_3repE0EEENS1_30default_config_static_selectorELNS0_4arch9wavefront6targetE0EEEvT1_, .Lfunc_end528-_ZN7rocprim17ROCPRIM_400000_NS6detail17trampoline_kernelINS0_14default_configENS1_27scan_by_key_config_selectorIiiEEZZNS1_16scan_by_key_implILNS1_25lookback_scan_determinismE0ELb1ES3_N6thrust23THRUST_200600_302600_NS6detail15normal_iteratorINS9_10device_ptrIiEEEESE_SE_iNS9_10multipliesIiEENS9_8equal_toIiEEiEE10hipError_tPvRmT2_T3_T4_T5_mT6_T7_P12ihipStream_tbENKUlT_T0_E_clISt17integral_constantIbLb0EESY_IbLb1EEEEDaSU_SV_EUlSU_E_NS1_11comp_targetILNS1_3genE3ELNS1_11target_archE908ELNS1_3gpuE7ELNS1_3repE0EEENS1_30default_config_static_selectorELNS0_4arch9wavefront6targetE0EEEvT1_
                                        ; -- End function
	.set _ZN7rocprim17ROCPRIM_400000_NS6detail17trampoline_kernelINS0_14default_configENS1_27scan_by_key_config_selectorIiiEEZZNS1_16scan_by_key_implILNS1_25lookback_scan_determinismE0ELb1ES3_N6thrust23THRUST_200600_302600_NS6detail15normal_iteratorINS9_10device_ptrIiEEEESE_SE_iNS9_10multipliesIiEENS9_8equal_toIiEEiEE10hipError_tPvRmT2_T3_T4_T5_mT6_T7_P12ihipStream_tbENKUlT_T0_E_clISt17integral_constantIbLb0EESY_IbLb1EEEEDaSU_SV_EUlSU_E_NS1_11comp_targetILNS1_3genE3ELNS1_11target_archE908ELNS1_3gpuE7ELNS1_3repE0EEENS1_30default_config_static_selectorELNS0_4arch9wavefront6targetE0EEEvT1_.num_vgpr, 0
	.set _ZN7rocprim17ROCPRIM_400000_NS6detail17trampoline_kernelINS0_14default_configENS1_27scan_by_key_config_selectorIiiEEZZNS1_16scan_by_key_implILNS1_25lookback_scan_determinismE0ELb1ES3_N6thrust23THRUST_200600_302600_NS6detail15normal_iteratorINS9_10device_ptrIiEEEESE_SE_iNS9_10multipliesIiEENS9_8equal_toIiEEiEE10hipError_tPvRmT2_T3_T4_T5_mT6_T7_P12ihipStream_tbENKUlT_T0_E_clISt17integral_constantIbLb0EESY_IbLb1EEEEDaSU_SV_EUlSU_E_NS1_11comp_targetILNS1_3genE3ELNS1_11target_archE908ELNS1_3gpuE7ELNS1_3repE0EEENS1_30default_config_static_selectorELNS0_4arch9wavefront6targetE0EEEvT1_.num_agpr, 0
	.set _ZN7rocprim17ROCPRIM_400000_NS6detail17trampoline_kernelINS0_14default_configENS1_27scan_by_key_config_selectorIiiEEZZNS1_16scan_by_key_implILNS1_25lookback_scan_determinismE0ELb1ES3_N6thrust23THRUST_200600_302600_NS6detail15normal_iteratorINS9_10device_ptrIiEEEESE_SE_iNS9_10multipliesIiEENS9_8equal_toIiEEiEE10hipError_tPvRmT2_T3_T4_T5_mT6_T7_P12ihipStream_tbENKUlT_T0_E_clISt17integral_constantIbLb0EESY_IbLb1EEEEDaSU_SV_EUlSU_E_NS1_11comp_targetILNS1_3genE3ELNS1_11target_archE908ELNS1_3gpuE7ELNS1_3repE0EEENS1_30default_config_static_selectorELNS0_4arch9wavefront6targetE0EEEvT1_.numbered_sgpr, 0
	.set _ZN7rocprim17ROCPRIM_400000_NS6detail17trampoline_kernelINS0_14default_configENS1_27scan_by_key_config_selectorIiiEEZZNS1_16scan_by_key_implILNS1_25lookback_scan_determinismE0ELb1ES3_N6thrust23THRUST_200600_302600_NS6detail15normal_iteratorINS9_10device_ptrIiEEEESE_SE_iNS9_10multipliesIiEENS9_8equal_toIiEEiEE10hipError_tPvRmT2_T3_T4_T5_mT6_T7_P12ihipStream_tbENKUlT_T0_E_clISt17integral_constantIbLb0EESY_IbLb1EEEEDaSU_SV_EUlSU_E_NS1_11comp_targetILNS1_3genE3ELNS1_11target_archE908ELNS1_3gpuE7ELNS1_3repE0EEENS1_30default_config_static_selectorELNS0_4arch9wavefront6targetE0EEEvT1_.num_named_barrier, 0
	.set _ZN7rocprim17ROCPRIM_400000_NS6detail17trampoline_kernelINS0_14default_configENS1_27scan_by_key_config_selectorIiiEEZZNS1_16scan_by_key_implILNS1_25lookback_scan_determinismE0ELb1ES3_N6thrust23THRUST_200600_302600_NS6detail15normal_iteratorINS9_10device_ptrIiEEEESE_SE_iNS9_10multipliesIiEENS9_8equal_toIiEEiEE10hipError_tPvRmT2_T3_T4_T5_mT6_T7_P12ihipStream_tbENKUlT_T0_E_clISt17integral_constantIbLb0EESY_IbLb1EEEEDaSU_SV_EUlSU_E_NS1_11comp_targetILNS1_3genE3ELNS1_11target_archE908ELNS1_3gpuE7ELNS1_3repE0EEENS1_30default_config_static_selectorELNS0_4arch9wavefront6targetE0EEEvT1_.private_seg_size, 0
	.set _ZN7rocprim17ROCPRIM_400000_NS6detail17trampoline_kernelINS0_14default_configENS1_27scan_by_key_config_selectorIiiEEZZNS1_16scan_by_key_implILNS1_25lookback_scan_determinismE0ELb1ES3_N6thrust23THRUST_200600_302600_NS6detail15normal_iteratorINS9_10device_ptrIiEEEESE_SE_iNS9_10multipliesIiEENS9_8equal_toIiEEiEE10hipError_tPvRmT2_T3_T4_T5_mT6_T7_P12ihipStream_tbENKUlT_T0_E_clISt17integral_constantIbLb0EESY_IbLb1EEEEDaSU_SV_EUlSU_E_NS1_11comp_targetILNS1_3genE3ELNS1_11target_archE908ELNS1_3gpuE7ELNS1_3repE0EEENS1_30default_config_static_selectorELNS0_4arch9wavefront6targetE0EEEvT1_.uses_vcc, 0
	.set _ZN7rocprim17ROCPRIM_400000_NS6detail17trampoline_kernelINS0_14default_configENS1_27scan_by_key_config_selectorIiiEEZZNS1_16scan_by_key_implILNS1_25lookback_scan_determinismE0ELb1ES3_N6thrust23THRUST_200600_302600_NS6detail15normal_iteratorINS9_10device_ptrIiEEEESE_SE_iNS9_10multipliesIiEENS9_8equal_toIiEEiEE10hipError_tPvRmT2_T3_T4_T5_mT6_T7_P12ihipStream_tbENKUlT_T0_E_clISt17integral_constantIbLb0EESY_IbLb1EEEEDaSU_SV_EUlSU_E_NS1_11comp_targetILNS1_3genE3ELNS1_11target_archE908ELNS1_3gpuE7ELNS1_3repE0EEENS1_30default_config_static_selectorELNS0_4arch9wavefront6targetE0EEEvT1_.uses_flat_scratch, 0
	.set _ZN7rocprim17ROCPRIM_400000_NS6detail17trampoline_kernelINS0_14default_configENS1_27scan_by_key_config_selectorIiiEEZZNS1_16scan_by_key_implILNS1_25lookback_scan_determinismE0ELb1ES3_N6thrust23THRUST_200600_302600_NS6detail15normal_iteratorINS9_10device_ptrIiEEEESE_SE_iNS9_10multipliesIiEENS9_8equal_toIiEEiEE10hipError_tPvRmT2_T3_T4_T5_mT6_T7_P12ihipStream_tbENKUlT_T0_E_clISt17integral_constantIbLb0EESY_IbLb1EEEEDaSU_SV_EUlSU_E_NS1_11comp_targetILNS1_3genE3ELNS1_11target_archE908ELNS1_3gpuE7ELNS1_3repE0EEENS1_30default_config_static_selectorELNS0_4arch9wavefront6targetE0EEEvT1_.has_dyn_sized_stack, 0
	.set _ZN7rocprim17ROCPRIM_400000_NS6detail17trampoline_kernelINS0_14default_configENS1_27scan_by_key_config_selectorIiiEEZZNS1_16scan_by_key_implILNS1_25lookback_scan_determinismE0ELb1ES3_N6thrust23THRUST_200600_302600_NS6detail15normal_iteratorINS9_10device_ptrIiEEEESE_SE_iNS9_10multipliesIiEENS9_8equal_toIiEEiEE10hipError_tPvRmT2_T3_T4_T5_mT6_T7_P12ihipStream_tbENKUlT_T0_E_clISt17integral_constantIbLb0EESY_IbLb1EEEEDaSU_SV_EUlSU_E_NS1_11comp_targetILNS1_3genE3ELNS1_11target_archE908ELNS1_3gpuE7ELNS1_3repE0EEENS1_30default_config_static_selectorELNS0_4arch9wavefront6targetE0EEEvT1_.has_recursion, 0
	.set _ZN7rocprim17ROCPRIM_400000_NS6detail17trampoline_kernelINS0_14default_configENS1_27scan_by_key_config_selectorIiiEEZZNS1_16scan_by_key_implILNS1_25lookback_scan_determinismE0ELb1ES3_N6thrust23THRUST_200600_302600_NS6detail15normal_iteratorINS9_10device_ptrIiEEEESE_SE_iNS9_10multipliesIiEENS9_8equal_toIiEEiEE10hipError_tPvRmT2_T3_T4_T5_mT6_T7_P12ihipStream_tbENKUlT_T0_E_clISt17integral_constantIbLb0EESY_IbLb1EEEEDaSU_SV_EUlSU_E_NS1_11comp_targetILNS1_3genE3ELNS1_11target_archE908ELNS1_3gpuE7ELNS1_3repE0EEENS1_30default_config_static_selectorELNS0_4arch9wavefront6targetE0EEEvT1_.has_indirect_call, 0
	.section	.AMDGPU.csdata,"",@progbits
; Kernel info:
; codeLenInByte = 0
; TotalNumSgprs: 0
; NumVgprs: 0
; ScratchSize: 0
; MemoryBound: 0
; FloatMode: 240
; IeeeMode: 1
; LDSByteSize: 0 bytes/workgroup (compile time only)
; SGPRBlocks: 0
; VGPRBlocks: 0
; NumSGPRsForWavesPerEU: 1
; NumVGPRsForWavesPerEU: 1
; NamedBarCnt: 0
; Occupancy: 16
; WaveLimiterHint : 0
; COMPUTE_PGM_RSRC2:SCRATCH_EN: 0
; COMPUTE_PGM_RSRC2:USER_SGPR: 2
; COMPUTE_PGM_RSRC2:TRAP_HANDLER: 0
; COMPUTE_PGM_RSRC2:TGID_X_EN: 1
; COMPUTE_PGM_RSRC2:TGID_Y_EN: 0
; COMPUTE_PGM_RSRC2:TGID_Z_EN: 0
; COMPUTE_PGM_RSRC2:TIDIG_COMP_CNT: 0
	.section	.text._ZN7rocprim17ROCPRIM_400000_NS6detail17trampoline_kernelINS0_14default_configENS1_27scan_by_key_config_selectorIiiEEZZNS1_16scan_by_key_implILNS1_25lookback_scan_determinismE0ELb1ES3_N6thrust23THRUST_200600_302600_NS6detail15normal_iteratorINS9_10device_ptrIiEEEESE_SE_iNS9_10multipliesIiEENS9_8equal_toIiEEiEE10hipError_tPvRmT2_T3_T4_T5_mT6_T7_P12ihipStream_tbENKUlT_T0_E_clISt17integral_constantIbLb0EESY_IbLb1EEEEDaSU_SV_EUlSU_E_NS1_11comp_targetILNS1_3genE2ELNS1_11target_archE906ELNS1_3gpuE6ELNS1_3repE0EEENS1_30default_config_static_selectorELNS0_4arch9wavefront6targetE0EEEvT1_,"axG",@progbits,_ZN7rocprim17ROCPRIM_400000_NS6detail17trampoline_kernelINS0_14default_configENS1_27scan_by_key_config_selectorIiiEEZZNS1_16scan_by_key_implILNS1_25lookback_scan_determinismE0ELb1ES3_N6thrust23THRUST_200600_302600_NS6detail15normal_iteratorINS9_10device_ptrIiEEEESE_SE_iNS9_10multipliesIiEENS9_8equal_toIiEEiEE10hipError_tPvRmT2_T3_T4_T5_mT6_T7_P12ihipStream_tbENKUlT_T0_E_clISt17integral_constantIbLb0EESY_IbLb1EEEEDaSU_SV_EUlSU_E_NS1_11comp_targetILNS1_3genE2ELNS1_11target_archE906ELNS1_3gpuE6ELNS1_3repE0EEENS1_30default_config_static_selectorELNS0_4arch9wavefront6targetE0EEEvT1_,comdat
	.protected	_ZN7rocprim17ROCPRIM_400000_NS6detail17trampoline_kernelINS0_14default_configENS1_27scan_by_key_config_selectorIiiEEZZNS1_16scan_by_key_implILNS1_25lookback_scan_determinismE0ELb1ES3_N6thrust23THRUST_200600_302600_NS6detail15normal_iteratorINS9_10device_ptrIiEEEESE_SE_iNS9_10multipliesIiEENS9_8equal_toIiEEiEE10hipError_tPvRmT2_T3_T4_T5_mT6_T7_P12ihipStream_tbENKUlT_T0_E_clISt17integral_constantIbLb0EESY_IbLb1EEEEDaSU_SV_EUlSU_E_NS1_11comp_targetILNS1_3genE2ELNS1_11target_archE906ELNS1_3gpuE6ELNS1_3repE0EEENS1_30default_config_static_selectorELNS0_4arch9wavefront6targetE0EEEvT1_ ; -- Begin function _ZN7rocprim17ROCPRIM_400000_NS6detail17trampoline_kernelINS0_14default_configENS1_27scan_by_key_config_selectorIiiEEZZNS1_16scan_by_key_implILNS1_25lookback_scan_determinismE0ELb1ES3_N6thrust23THRUST_200600_302600_NS6detail15normal_iteratorINS9_10device_ptrIiEEEESE_SE_iNS9_10multipliesIiEENS9_8equal_toIiEEiEE10hipError_tPvRmT2_T3_T4_T5_mT6_T7_P12ihipStream_tbENKUlT_T0_E_clISt17integral_constantIbLb0EESY_IbLb1EEEEDaSU_SV_EUlSU_E_NS1_11comp_targetILNS1_3genE2ELNS1_11target_archE906ELNS1_3gpuE6ELNS1_3repE0EEENS1_30default_config_static_selectorELNS0_4arch9wavefront6targetE0EEEvT1_
	.globl	_ZN7rocprim17ROCPRIM_400000_NS6detail17trampoline_kernelINS0_14default_configENS1_27scan_by_key_config_selectorIiiEEZZNS1_16scan_by_key_implILNS1_25lookback_scan_determinismE0ELb1ES3_N6thrust23THRUST_200600_302600_NS6detail15normal_iteratorINS9_10device_ptrIiEEEESE_SE_iNS9_10multipliesIiEENS9_8equal_toIiEEiEE10hipError_tPvRmT2_T3_T4_T5_mT6_T7_P12ihipStream_tbENKUlT_T0_E_clISt17integral_constantIbLb0EESY_IbLb1EEEEDaSU_SV_EUlSU_E_NS1_11comp_targetILNS1_3genE2ELNS1_11target_archE906ELNS1_3gpuE6ELNS1_3repE0EEENS1_30default_config_static_selectorELNS0_4arch9wavefront6targetE0EEEvT1_
	.p2align	8
	.type	_ZN7rocprim17ROCPRIM_400000_NS6detail17trampoline_kernelINS0_14default_configENS1_27scan_by_key_config_selectorIiiEEZZNS1_16scan_by_key_implILNS1_25lookback_scan_determinismE0ELb1ES3_N6thrust23THRUST_200600_302600_NS6detail15normal_iteratorINS9_10device_ptrIiEEEESE_SE_iNS9_10multipliesIiEENS9_8equal_toIiEEiEE10hipError_tPvRmT2_T3_T4_T5_mT6_T7_P12ihipStream_tbENKUlT_T0_E_clISt17integral_constantIbLb0EESY_IbLb1EEEEDaSU_SV_EUlSU_E_NS1_11comp_targetILNS1_3genE2ELNS1_11target_archE906ELNS1_3gpuE6ELNS1_3repE0EEENS1_30default_config_static_selectorELNS0_4arch9wavefront6targetE0EEEvT1_,@function
_ZN7rocprim17ROCPRIM_400000_NS6detail17trampoline_kernelINS0_14default_configENS1_27scan_by_key_config_selectorIiiEEZZNS1_16scan_by_key_implILNS1_25lookback_scan_determinismE0ELb1ES3_N6thrust23THRUST_200600_302600_NS6detail15normal_iteratorINS9_10device_ptrIiEEEESE_SE_iNS9_10multipliesIiEENS9_8equal_toIiEEiEE10hipError_tPvRmT2_T3_T4_T5_mT6_T7_P12ihipStream_tbENKUlT_T0_E_clISt17integral_constantIbLb0EESY_IbLb1EEEEDaSU_SV_EUlSU_E_NS1_11comp_targetILNS1_3genE2ELNS1_11target_archE906ELNS1_3gpuE6ELNS1_3repE0EEENS1_30default_config_static_selectorELNS0_4arch9wavefront6targetE0EEEvT1_: ; @_ZN7rocprim17ROCPRIM_400000_NS6detail17trampoline_kernelINS0_14default_configENS1_27scan_by_key_config_selectorIiiEEZZNS1_16scan_by_key_implILNS1_25lookback_scan_determinismE0ELb1ES3_N6thrust23THRUST_200600_302600_NS6detail15normal_iteratorINS9_10device_ptrIiEEEESE_SE_iNS9_10multipliesIiEENS9_8equal_toIiEEiEE10hipError_tPvRmT2_T3_T4_T5_mT6_T7_P12ihipStream_tbENKUlT_T0_E_clISt17integral_constantIbLb0EESY_IbLb1EEEEDaSU_SV_EUlSU_E_NS1_11comp_targetILNS1_3genE2ELNS1_11target_archE906ELNS1_3gpuE6ELNS1_3repE0EEENS1_30default_config_static_selectorELNS0_4arch9wavefront6targetE0EEEvT1_
; %bb.0:
	.section	.rodata,"a",@progbits
	.p2align	6, 0x0
	.amdhsa_kernel _ZN7rocprim17ROCPRIM_400000_NS6detail17trampoline_kernelINS0_14default_configENS1_27scan_by_key_config_selectorIiiEEZZNS1_16scan_by_key_implILNS1_25lookback_scan_determinismE0ELb1ES3_N6thrust23THRUST_200600_302600_NS6detail15normal_iteratorINS9_10device_ptrIiEEEESE_SE_iNS9_10multipliesIiEENS9_8equal_toIiEEiEE10hipError_tPvRmT2_T3_T4_T5_mT6_T7_P12ihipStream_tbENKUlT_T0_E_clISt17integral_constantIbLb0EESY_IbLb1EEEEDaSU_SV_EUlSU_E_NS1_11comp_targetILNS1_3genE2ELNS1_11target_archE906ELNS1_3gpuE6ELNS1_3repE0EEENS1_30default_config_static_selectorELNS0_4arch9wavefront6targetE0EEEvT1_
		.amdhsa_group_segment_fixed_size 0
		.amdhsa_private_segment_fixed_size 0
		.amdhsa_kernarg_size 112
		.amdhsa_user_sgpr_count 2
		.amdhsa_user_sgpr_dispatch_ptr 0
		.amdhsa_user_sgpr_queue_ptr 0
		.amdhsa_user_sgpr_kernarg_segment_ptr 1
		.amdhsa_user_sgpr_dispatch_id 0
		.amdhsa_user_sgpr_kernarg_preload_length 0
		.amdhsa_user_sgpr_kernarg_preload_offset 0
		.amdhsa_user_sgpr_private_segment_size 0
		.amdhsa_wavefront_size32 1
		.amdhsa_uses_dynamic_stack 0
		.amdhsa_enable_private_segment 0
		.amdhsa_system_sgpr_workgroup_id_x 1
		.amdhsa_system_sgpr_workgroup_id_y 0
		.amdhsa_system_sgpr_workgroup_id_z 0
		.amdhsa_system_sgpr_workgroup_info 0
		.amdhsa_system_vgpr_workitem_id 0
		.amdhsa_next_free_vgpr 1
		.amdhsa_next_free_sgpr 1
		.amdhsa_named_barrier_count 0
		.amdhsa_reserve_vcc 0
		.amdhsa_float_round_mode_32 0
		.amdhsa_float_round_mode_16_64 0
		.amdhsa_float_denorm_mode_32 3
		.amdhsa_float_denorm_mode_16_64 3
		.amdhsa_fp16_overflow 0
		.amdhsa_memory_ordered 1
		.amdhsa_forward_progress 1
		.amdhsa_inst_pref_size 0
		.amdhsa_round_robin_scheduling 0
		.amdhsa_exception_fp_ieee_invalid_op 0
		.amdhsa_exception_fp_denorm_src 0
		.amdhsa_exception_fp_ieee_div_zero 0
		.amdhsa_exception_fp_ieee_overflow 0
		.amdhsa_exception_fp_ieee_underflow 0
		.amdhsa_exception_fp_ieee_inexact 0
		.amdhsa_exception_int_div_zero 0
	.end_amdhsa_kernel
	.section	.text._ZN7rocprim17ROCPRIM_400000_NS6detail17trampoline_kernelINS0_14default_configENS1_27scan_by_key_config_selectorIiiEEZZNS1_16scan_by_key_implILNS1_25lookback_scan_determinismE0ELb1ES3_N6thrust23THRUST_200600_302600_NS6detail15normal_iteratorINS9_10device_ptrIiEEEESE_SE_iNS9_10multipliesIiEENS9_8equal_toIiEEiEE10hipError_tPvRmT2_T3_T4_T5_mT6_T7_P12ihipStream_tbENKUlT_T0_E_clISt17integral_constantIbLb0EESY_IbLb1EEEEDaSU_SV_EUlSU_E_NS1_11comp_targetILNS1_3genE2ELNS1_11target_archE906ELNS1_3gpuE6ELNS1_3repE0EEENS1_30default_config_static_selectorELNS0_4arch9wavefront6targetE0EEEvT1_,"axG",@progbits,_ZN7rocprim17ROCPRIM_400000_NS6detail17trampoline_kernelINS0_14default_configENS1_27scan_by_key_config_selectorIiiEEZZNS1_16scan_by_key_implILNS1_25lookback_scan_determinismE0ELb1ES3_N6thrust23THRUST_200600_302600_NS6detail15normal_iteratorINS9_10device_ptrIiEEEESE_SE_iNS9_10multipliesIiEENS9_8equal_toIiEEiEE10hipError_tPvRmT2_T3_T4_T5_mT6_T7_P12ihipStream_tbENKUlT_T0_E_clISt17integral_constantIbLb0EESY_IbLb1EEEEDaSU_SV_EUlSU_E_NS1_11comp_targetILNS1_3genE2ELNS1_11target_archE906ELNS1_3gpuE6ELNS1_3repE0EEENS1_30default_config_static_selectorELNS0_4arch9wavefront6targetE0EEEvT1_,comdat
.Lfunc_end529:
	.size	_ZN7rocprim17ROCPRIM_400000_NS6detail17trampoline_kernelINS0_14default_configENS1_27scan_by_key_config_selectorIiiEEZZNS1_16scan_by_key_implILNS1_25lookback_scan_determinismE0ELb1ES3_N6thrust23THRUST_200600_302600_NS6detail15normal_iteratorINS9_10device_ptrIiEEEESE_SE_iNS9_10multipliesIiEENS9_8equal_toIiEEiEE10hipError_tPvRmT2_T3_T4_T5_mT6_T7_P12ihipStream_tbENKUlT_T0_E_clISt17integral_constantIbLb0EESY_IbLb1EEEEDaSU_SV_EUlSU_E_NS1_11comp_targetILNS1_3genE2ELNS1_11target_archE906ELNS1_3gpuE6ELNS1_3repE0EEENS1_30default_config_static_selectorELNS0_4arch9wavefront6targetE0EEEvT1_, .Lfunc_end529-_ZN7rocprim17ROCPRIM_400000_NS6detail17trampoline_kernelINS0_14default_configENS1_27scan_by_key_config_selectorIiiEEZZNS1_16scan_by_key_implILNS1_25lookback_scan_determinismE0ELb1ES3_N6thrust23THRUST_200600_302600_NS6detail15normal_iteratorINS9_10device_ptrIiEEEESE_SE_iNS9_10multipliesIiEENS9_8equal_toIiEEiEE10hipError_tPvRmT2_T3_T4_T5_mT6_T7_P12ihipStream_tbENKUlT_T0_E_clISt17integral_constantIbLb0EESY_IbLb1EEEEDaSU_SV_EUlSU_E_NS1_11comp_targetILNS1_3genE2ELNS1_11target_archE906ELNS1_3gpuE6ELNS1_3repE0EEENS1_30default_config_static_selectorELNS0_4arch9wavefront6targetE0EEEvT1_
                                        ; -- End function
	.set _ZN7rocprim17ROCPRIM_400000_NS6detail17trampoline_kernelINS0_14default_configENS1_27scan_by_key_config_selectorIiiEEZZNS1_16scan_by_key_implILNS1_25lookback_scan_determinismE0ELb1ES3_N6thrust23THRUST_200600_302600_NS6detail15normal_iteratorINS9_10device_ptrIiEEEESE_SE_iNS9_10multipliesIiEENS9_8equal_toIiEEiEE10hipError_tPvRmT2_T3_T4_T5_mT6_T7_P12ihipStream_tbENKUlT_T0_E_clISt17integral_constantIbLb0EESY_IbLb1EEEEDaSU_SV_EUlSU_E_NS1_11comp_targetILNS1_3genE2ELNS1_11target_archE906ELNS1_3gpuE6ELNS1_3repE0EEENS1_30default_config_static_selectorELNS0_4arch9wavefront6targetE0EEEvT1_.num_vgpr, 0
	.set _ZN7rocprim17ROCPRIM_400000_NS6detail17trampoline_kernelINS0_14default_configENS1_27scan_by_key_config_selectorIiiEEZZNS1_16scan_by_key_implILNS1_25lookback_scan_determinismE0ELb1ES3_N6thrust23THRUST_200600_302600_NS6detail15normal_iteratorINS9_10device_ptrIiEEEESE_SE_iNS9_10multipliesIiEENS9_8equal_toIiEEiEE10hipError_tPvRmT2_T3_T4_T5_mT6_T7_P12ihipStream_tbENKUlT_T0_E_clISt17integral_constantIbLb0EESY_IbLb1EEEEDaSU_SV_EUlSU_E_NS1_11comp_targetILNS1_3genE2ELNS1_11target_archE906ELNS1_3gpuE6ELNS1_3repE0EEENS1_30default_config_static_selectorELNS0_4arch9wavefront6targetE0EEEvT1_.num_agpr, 0
	.set _ZN7rocprim17ROCPRIM_400000_NS6detail17trampoline_kernelINS0_14default_configENS1_27scan_by_key_config_selectorIiiEEZZNS1_16scan_by_key_implILNS1_25lookback_scan_determinismE0ELb1ES3_N6thrust23THRUST_200600_302600_NS6detail15normal_iteratorINS9_10device_ptrIiEEEESE_SE_iNS9_10multipliesIiEENS9_8equal_toIiEEiEE10hipError_tPvRmT2_T3_T4_T5_mT6_T7_P12ihipStream_tbENKUlT_T0_E_clISt17integral_constantIbLb0EESY_IbLb1EEEEDaSU_SV_EUlSU_E_NS1_11comp_targetILNS1_3genE2ELNS1_11target_archE906ELNS1_3gpuE6ELNS1_3repE0EEENS1_30default_config_static_selectorELNS0_4arch9wavefront6targetE0EEEvT1_.numbered_sgpr, 0
	.set _ZN7rocprim17ROCPRIM_400000_NS6detail17trampoline_kernelINS0_14default_configENS1_27scan_by_key_config_selectorIiiEEZZNS1_16scan_by_key_implILNS1_25lookback_scan_determinismE0ELb1ES3_N6thrust23THRUST_200600_302600_NS6detail15normal_iteratorINS9_10device_ptrIiEEEESE_SE_iNS9_10multipliesIiEENS9_8equal_toIiEEiEE10hipError_tPvRmT2_T3_T4_T5_mT6_T7_P12ihipStream_tbENKUlT_T0_E_clISt17integral_constantIbLb0EESY_IbLb1EEEEDaSU_SV_EUlSU_E_NS1_11comp_targetILNS1_3genE2ELNS1_11target_archE906ELNS1_3gpuE6ELNS1_3repE0EEENS1_30default_config_static_selectorELNS0_4arch9wavefront6targetE0EEEvT1_.num_named_barrier, 0
	.set _ZN7rocprim17ROCPRIM_400000_NS6detail17trampoline_kernelINS0_14default_configENS1_27scan_by_key_config_selectorIiiEEZZNS1_16scan_by_key_implILNS1_25lookback_scan_determinismE0ELb1ES3_N6thrust23THRUST_200600_302600_NS6detail15normal_iteratorINS9_10device_ptrIiEEEESE_SE_iNS9_10multipliesIiEENS9_8equal_toIiEEiEE10hipError_tPvRmT2_T3_T4_T5_mT6_T7_P12ihipStream_tbENKUlT_T0_E_clISt17integral_constantIbLb0EESY_IbLb1EEEEDaSU_SV_EUlSU_E_NS1_11comp_targetILNS1_3genE2ELNS1_11target_archE906ELNS1_3gpuE6ELNS1_3repE0EEENS1_30default_config_static_selectorELNS0_4arch9wavefront6targetE0EEEvT1_.private_seg_size, 0
	.set _ZN7rocprim17ROCPRIM_400000_NS6detail17trampoline_kernelINS0_14default_configENS1_27scan_by_key_config_selectorIiiEEZZNS1_16scan_by_key_implILNS1_25lookback_scan_determinismE0ELb1ES3_N6thrust23THRUST_200600_302600_NS6detail15normal_iteratorINS9_10device_ptrIiEEEESE_SE_iNS9_10multipliesIiEENS9_8equal_toIiEEiEE10hipError_tPvRmT2_T3_T4_T5_mT6_T7_P12ihipStream_tbENKUlT_T0_E_clISt17integral_constantIbLb0EESY_IbLb1EEEEDaSU_SV_EUlSU_E_NS1_11comp_targetILNS1_3genE2ELNS1_11target_archE906ELNS1_3gpuE6ELNS1_3repE0EEENS1_30default_config_static_selectorELNS0_4arch9wavefront6targetE0EEEvT1_.uses_vcc, 0
	.set _ZN7rocprim17ROCPRIM_400000_NS6detail17trampoline_kernelINS0_14default_configENS1_27scan_by_key_config_selectorIiiEEZZNS1_16scan_by_key_implILNS1_25lookback_scan_determinismE0ELb1ES3_N6thrust23THRUST_200600_302600_NS6detail15normal_iteratorINS9_10device_ptrIiEEEESE_SE_iNS9_10multipliesIiEENS9_8equal_toIiEEiEE10hipError_tPvRmT2_T3_T4_T5_mT6_T7_P12ihipStream_tbENKUlT_T0_E_clISt17integral_constantIbLb0EESY_IbLb1EEEEDaSU_SV_EUlSU_E_NS1_11comp_targetILNS1_3genE2ELNS1_11target_archE906ELNS1_3gpuE6ELNS1_3repE0EEENS1_30default_config_static_selectorELNS0_4arch9wavefront6targetE0EEEvT1_.uses_flat_scratch, 0
	.set _ZN7rocprim17ROCPRIM_400000_NS6detail17trampoline_kernelINS0_14default_configENS1_27scan_by_key_config_selectorIiiEEZZNS1_16scan_by_key_implILNS1_25lookback_scan_determinismE0ELb1ES3_N6thrust23THRUST_200600_302600_NS6detail15normal_iteratorINS9_10device_ptrIiEEEESE_SE_iNS9_10multipliesIiEENS9_8equal_toIiEEiEE10hipError_tPvRmT2_T3_T4_T5_mT6_T7_P12ihipStream_tbENKUlT_T0_E_clISt17integral_constantIbLb0EESY_IbLb1EEEEDaSU_SV_EUlSU_E_NS1_11comp_targetILNS1_3genE2ELNS1_11target_archE906ELNS1_3gpuE6ELNS1_3repE0EEENS1_30default_config_static_selectorELNS0_4arch9wavefront6targetE0EEEvT1_.has_dyn_sized_stack, 0
	.set _ZN7rocprim17ROCPRIM_400000_NS6detail17trampoline_kernelINS0_14default_configENS1_27scan_by_key_config_selectorIiiEEZZNS1_16scan_by_key_implILNS1_25lookback_scan_determinismE0ELb1ES3_N6thrust23THRUST_200600_302600_NS6detail15normal_iteratorINS9_10device_ptrIiEEEESE_SE_iNS9_10multipliesIiEENS9_8equal_toIiEEiEE10hipError_tPvRmT2_T3_T4_T5_mT6_T7_P12ihipStream_tbENKUlT_T0_E_clISt17integral_constantIbLb0EESY_IbLb1EEEEDaSU_SV_EUlSU_E_NS1_11comp_targetILNS1_3genE2ELNS1_11target_archE906ELNS1_3gpuE6ELNS1_3repE0EEENS1_30default_config_static_selectorELNS0_4arch9wavefront6targetE0EEEvT1_.has_recursion, 0
	.set _ZN7rocprim17ROCPRIM_400000_NS6detail17trampoline_kernelINS0_14default_configENS1_27scan_by_key_config_selectorIiiEEZZNS1_16scan_by_key_implILNS1_25lookback_scan_determinismE0ELb1ES3_N6thrust23THRUST_200600_302600_NS6detail15normal_iteratorINS9_10device_ptrIiEEEESE_SE_iNS9_10multipliesIiEENS9_8equal_toIiEEiEE10hipError_tPvRmT2_T3_T4_T5_mT6_T7_P12ihipStream_tbENKUlT_T0_E_clISt17integral_constantIbLb0EESY_IbLb1EEEEDaSU_SV_EUlSU_E_NS1_11comp_targetILNS1_3genE2ELNS1_11target_archE906ELNS1_3gpuE6ELNS1_3repE0EEENS1_30default_config_static_selectorELNS0_4arch9wavefront6targetE0EEEvT1_.has_indirect_call, 0
	.section	.AMDGPU.csdata,"",@progbits
; Kernel info:
; codeLenInByte = 0
; TotalNumSgprs: 0
; NumVgprs: 0
; ScratchSize: 0
; MemoryBound: 0
; FloatMode: 240
; IeeeMode: 1
; LDSByteSize: 0 bytes/workgroup (compile time only)
; SGPRBlocks: 0
; VGPRBlocks: 0
; NumSGPRsForWavesPerEU: 1
; NumVGPRsForWavesPerEU: 1
; NamedBarCnt: 0
; Occupancy: 16
; WaveLimiterHint : 0
; COMPUTE_PGM_RSRC2:SCRATCH_EN: 0
; COMPUTE_PGM_RSRC2:USER_SGPR: 2
; COMPUTE_PGM_RSRC2:TRAP_HANDLER: 0
; COMPUTE_PGM_RSRC2:TGID_X_EN: 1
; COMPUTE_PGM_RSRC2:TGID_Y_EN: 0
; COMPUTE_PGM_RSRC2:TGID_Z_EN: 0
; COMPUTE_PGM_RSRC2:TIDIG_COMP_CNT: 0
	.section	.text._ZN7rocprim17ROCPRIM_400000_NS6detail17trampoline_kernelINS0_14default_configENS1_27scan_by_key_config_selectorIiiEEZZNS1_16scan_by_key_implILNS1_25lookback_scan_determinismE0ELb1ES3_N6thrust23THRUST_200600_302600_NS6detail15normal_iteratorINS9_10device_ptrIiEEEESE_SE_iNS9_10multipliesIiEENS9_8equal_toIiEEiEE10hipError_tPvRmT2_T3_T4_T5_mT6_T7_P12ihipStream_tbENKUlT_T0_E_clISt17integral_constantIbLb0EESY_IbLb1EEEEDaSU_SV_EUlSU_E_NS1_11comp_targetILNS1_3genE10ELNS1_11target_archE1200ELNS1_3gpuE4ELNS1_3repE0EEENS1_30default_config_static_selectorELNS0_4arch9wavefront6targetE0EEEvT1_,"axG",@progbits,_ZN7rocprim17ROCPRIM_400000_NS6detail17trampoline_kernelINS0_14default_configENS1_27scan_by_key_config_selectorIiiEEZZNS1_16scan_by_key_implILNS1_25lookback_scan_determinismE0ELb1ES3_N6thrust23THRUST_200600_302600_NS6detail15normal_iteratorINS9_10device_ptrIiEEEESE_SE_iNS9_10multipliesIiEENS9_8equal_toIiEEiEE10hipError_tPvRmT2_T3_T4_T5_mT6_T7_P12ihipStream_tbENKUlT_T0_E_clISt17integral_constantIbLb0EESY_IbLb1EEEEDaSU_SV_EUlSU_E_NS1_11comp_targetILNS1_3genE10ELNS1_11target_archE1200ELNS1_3gpuE4ELNS1_3repE0EEENS1_30default_config_static_selectorELNS0_4arch9wavefront6targetE0EEEvT1_,comdat
	.protected	_ZN7rocprim17ROCPRIM_400000_NS6detail17trampoline_kernelINS0_14default_configENS1_27scan_by_key_config_selectorIiiEEZZNS1_16scan_by_key_implILNS1_25lookback_scan_determinismE0ELb1ES3_N6thrust23THRUST_200600_302600_NS6detail15normal_iteratorINS9_10device_ptrIiEEEESE_SE_iNS9_10multipliesIiEENS9_8equal_toIiEEiEE10hipError_tPvRmT2_T3_T4_T5_mT6_T7_P12ihipStream_tbENKUlT_T0_E_clISt17integral_constantIbLb0EESY_IbLb1EEEEDaSU_SV_EUlSU_E_NS1_11comp_targetILNS1_3genE10ELNS1_11target_archE1200ELNS1_3gpuE4ELNS1_3repE0EEENS1_30default_config_static_selectorELNS0_4arch9wavefront6targetE0EEEvT1_ ; -- Begin function _ZN7rocprim17ROCPRIM_400000_NS6detail17trampoline_kernelINS0_14default_configENS1_27scan_by_key_config_selectorIiiEEZZNS1_16scan_by_key_implILNS1_25lookback_scan_determinismE0ELb1ES3_N6thrust23THRUST_200600_302600_NS6detail15normal_iteratorINS9_10device_ptrIiEEEESE_SE_iNS9_10multipliesIiEENS9_8equal_toIiEEiEE10hipError_tPvRmT2_T3_T4_T5_mT6_T7_P12ihipStream_tbENKUlT_T0_E_clISt17integral_constantIbLb0EESY_IbLb1EEEEDaSU_SV_EUlSU_E_NS1_11comp_targetILNS1_3genE10ELNS1_11target_archE1200ELNS1_3gpuE4ELNS1_3repE0EEENS1_30default_config_static_selectorELNS0_4arch9wavefront6targetE0EEEvT1_
	.globl	_ZN7rocprim17ROCPRIM_400000_NS6detail17trampoline_kernelINS0_14default_configENS1_27scan_by_key_config_selectorIiiEEZZNS1_16scan_by_key_implILNS1_25lookback_scan_determinismE0ELb1ES3_N6thrust23THRUST_200600_302600_NS6detail15normal_iteratorINS9_10device_ptrIiEEEESE_SE_iNS9_10multipliesIiEENS9_8equal_toIiEEiEE10hipError_tPvRmT2_T3_T4_T5_mT6_T7_P12ihipStream_tbENKUlT_T0_E_clISt17integral_constantIbLb0EESY_IbLb1EEEEDaSU_SV_EUlSU_E_NS1_11comp_targetILNS1_3genE10ELNS1_11target_archE1200ELNS1_3gpuE4ELNS1_3repE0EEENS1_30default_config_static_selectorELNS0_4arch9wavefront6targetE0EEEvT1_
	.p2align	8
	.type	_ZN7rocprim17ROCPRIM_400000_NS6detail17trampoline_kernelINS0_14default_configENS1_27scan_by_key_config_selectorIiiEEZZNS1_16scan_by_key_implILNS1_25lookback_scan_determinismE0ELb1ES3_N6thrust23THRUST_200600_302600_NS6detail15normal_iteratorINS9_10device_ptrIiEEEESE_SE_iNS9_10multipliesIiEENS9_8equal_toIiEEiEE10hipError_tPvRmT2_T3_T4_T5_mT6_T7_P12ihipStream_tbENKUlT_T0_E_clISt17integral_constantIbLb0EESY_IbLb1EEEEDaSU_SV_EUlSU_E_NS1_11comp_targetILNS1_3genE10ELNS1_11target_archE1200ELNS1_3gpuE4ELNS1_3repE0EEENS1_30default_config_static_selectorELNS0_4arch9wavefront6targetE0EEEvT1_,@function
_ZN7rocprim17ROCPRIM_400000_NS6detail17trampoline_kernelINS0_14default_configENS1_27scan_by_key_config_selectorIiiEEZZNS1_16scan_by_key_implILNS1_25lookback_scan_determinismE0ELb1ES3_N6thrust23THRUST_200600_302600_NS6detail15normal_iteratorINS9_10device_ptrIiEEEESE_SE_iNS9_10multipliesIiEENS9_8equal_toIiEEiEE10hipError_tPvRmT2_T3_T4_T5_mT6_T7_P12ihipStream_tbENKUlT_T0_E_clISt17integral_constantIbLb0EESY_IbLb1EEEEDaSU_SV_EUlSU_E_NS1_11comp_targetILNS1_3genE10ELNS1_11target_archE1200ELNS1_3gpuE4ELNS1_3repE0EEENS1_30default_config_static_selectorELNS0_4arch9wavefront6targetE0EEEvT1_: ; @_ZN7rocprim17ROCPRIM_400000_NS6detail17trampoline_kernelINS0_14default_configENS1_27scan_by_key_config_selectorIiiEEZZNS1_16scan_by_key_implILNS1_25lookback_scan_determinismE0ELb1ES3_N6thrust23THRUST_200600_302600_NS6detail15normal_iteratorINS9_10device_ptrIiEEEESE_SE_iNS9_10multipliesIiEENS9_8equal_toIiEEiEE10hipError_tPvRmT2_T3_T4_T5_mT6_T7_P12ihipStream_tbENKUlT_T0_E_clISt17integral_constantIbLb0EESY_IbLb1EEEEDaSU_SV_EUlSU_E_NS1_11comp_targetILNS1_3genE10ELNS1_11target_archE1200ELNS1_3gpuE4ELNS1_3repE0EEENS1_30default_config_static_selectorELNS0_4arch9wavefront6targetE0EEEvT1_
; %bb.0:
	.section	.rodata,"a",@progbits
	.p2align	6, 0x0
	.amdhsa_kernel _ZN7rocprim17ROCPRIM_400000_NS6detail17trampoline_kernelINS0_14default_configENS1_27scan_by_key_config_selectorIiiEEZZNS1_16scan_by_key_implILNS1_25lookback_scan_determinismE0ELb1ES3_N6thrust23THRUST_200600_302600_NS6detail15normal_iteratorINS9_10device_ptrIiEEEESE_SE_iNS9_10multipliesIiEENS9_8equal_toIiEEiEE10hipError_tPvRmT2_T3_T4_T5_mT6_T7_P12ihipStream_tbENKUlT_T0_E_clISt17integral_constantIbLb0EESY_IbLb1EEEEDaSU_SV_EUlSU_E_NS1_11comp_targetILNS1_3genE10ELNS1_11target_archE1200ELNS1_3gpuE4ELNS1_3repE0EEENS1_30default_config_static_selectorELNS0_4arch9wavefront6targetE0EEEvT1_
		.amdhsa_group_segment_fixed_size 0
		.amdhsa_private_segment_fixed_size 0
		.amdhsa_kernarg_size 112
		.amdhsa_user_sgpr_count 2
		.amdhsa_user_sgpr_dispatch_ptr 0
		.amdhsa_user_sgpr_queue_ptr 0
		.amdhsa_user_sgpr_kernarg_segment_ptr 1
		.amdhsa_user_sgpr_dispatch_id 0
		.amdhsa_user_sgpr_kernarg_preload_length 0
		.amdhsa_user_sgpr_kernarg_preload_offset 0
		.amdhsa_user_sgpr_private_segment_size 0
		.amdhsa_wavefront_size32 1
		.amdhsa_uses_dynamic_stack 0
		.amdhsa_enable_private_segment 0
		.amdhsa_system_sgpr_workgroup_id_x 1
		.amdhsa_system_sgpr_workgroup_id_y 0
		.amdhsa_system_sgpr_workgroup_id_z 0
		.amdhsa_system_sgpr_workgroup_info 0
		.amdhsa_system_vgpr_workitem_id 0
		.amdhsa_next_free_vgpr 1
		.amdhsa_next_free_sgpr 1
		.amdhsa_named_barrier_count 0
		.amdhsa_reserve_vcc 0
		.amdhsa_float_round_mode_32 0
		.amdhsa_float_round_mode_16_64 0
		.amdhsa_float_denorm_mode_32 3
		.amdhsa_float_denorm_mode_16_64 3
		.amdhsa_fp16_overflow 0
		.amdhsa_memory_ordered 1
		.amdhsa_forward_progress 1
		.amdhsa_inst_pref_size 0
		.amdhsa_round_robin_scheduling 0
		.amdhsa_exception_fp_ieee_invalid_op 0
		.amdhsa_exception_fp_denorm_src 0
		.amdhsa_exception_fp_ieee_div_zero 0
		.amdhsa_exception_fp_ieee_overflow 0
		.amdhsa_exception_fp_ieee_underflow 0
		.amdhsa_exception_fp_ieee_inexact 0
		.amdhsa_exception_int_div_zero 0
	.end_amdhsa_kernel
	.section	.text._ZN7rocprim17ROCPRIM_400000_NS6detail17trampoline_kernelINS0_14default_configENS1_27scan_by_key_config_selectorIiiEEZZNS1_16scan_by_key_implILNS1_25lookback_scan_determinismE0ELb1ES3_N6thrust23THRUST_200600_302600_NS6detail15normal_iteratorINS9_10device_ptrIiEEEESE_SE_iNS9_10multipliesIiEENS9_8equal_toIiEEiEE10hipError_tPvRmT2_T3_T4_T5_mT6_T7_P12ihipStream_tbENKUlT_T0_E_clISt17integral_constantIbLb0EESY_IbLb1EEEEDaSU_SV_EUlSU_E_NS1_11comp_targetILNS1_3genE10ELNS1_11target_archE1200ELNS1_3gpuE4ELNS1_3repE0EEENS1_30default_config_static_selectorELNS0_4arch9wavefront6targetE0EEEvT1_,"axG",@progbits,_ZN7rocprim17ROCPRIM_400000_NS6detail17trampoline_kernelINS0_14default_configENS1_27scan_by_key_config_selectorIiiEEZZNS1_16scan_by_key_implILNS1_25lookback_scan_determinismE0ELb1ES3_N6thrust23THRUST_200600_302600_NS6detail15normal_iteratorINS9_10device_ptrIiEEEESE_SE_iNS9_10multipliesIiEENS9_8equal_toIiEEiEE10hipError_tPvRmT2_T3_T4_T5_mT6_T7_P12ihipStream_tbENKUlT_T0_E_clISt17integral_constantIbLb0EESY_IbLb1EEEEDaSU_SV_EUlSU_E_NS1_11comp_targetILNS1_3genE10ELNS1_11target_archE1200ELNS1_3gpuE4ELNS1_3repE0EEENS1_30default_config_static_selectorELNS0_4arch9wavefront6targetE0EEEvT1_,comdat
.Lfunc_end530:
	.size	_ZN7rocprim17ROCPRIM_400000_NS6detail17trampoline_kernelINS0_14default_configENS1_27scan_by_key_config_selectorIiiEEZZNS1_16scan_by_key_implILNS1_25lookback_scan_determinismE0ELb1ES3_N6thrust23THRUST_200600_302600_NS6detail15normal_iteratorINS9_10device_ptrIiEEEESE_SE_iNS9_10multipliesIiEENS9_8equal_toIiEEiEE10hipError_tPvRmT2_T3_T4_T5_mT6_T7_P12ihipStream_tbENKUlT_T0_E_clISt17integral_constantIbLb0EESY_IbLb1EEEEDaSU_SV_EUlSU_E_NS1_11comp_targetILNS1_3genE10ELNS1_11target_archE1200ELNS1_3gpuE4ELNS1_3repE0EEENS1_30default_config_static_selectorELNS0_4arch9wavefront6targetE0EEEvT1_, .Lfunc_end530-_ZN7rocprim17ROCPRIM_400000_NS6detail17trampoline_kernelINS0_14default_configENS1_27scan_by_key_config_selectorIiiEEZZNS1_16scan_by_key_implILNS1_25lookback_scan_determinismE0ELb1ES3_N6thrust23THRUST_200600_302600_NS6detail15normal_iteratorINS9_10device_ptrIiEEEESE_SE_iNS9_10multipliesIiEENS9_8equal_toIiEEiEE10hipError_tPvRmT2_T3_T4_T5_mT6_T7_P12ihipStream_tbENKUlT_T0_E_clISt17integral_constantIbLb0EESY_IbLb1EEEEDaSU_SV_EUlSU_E_NS1_11comp_targetILNS1_3genE10ELNS1_11target_archE1200ELNS1_3gpuE4ELNS1_3repE0EEENS1_30default_config_static_selectorELNS0_4arch9wavefront6targetE0EEEvT1_
                                        ; -- End function
	.set _ZN7rocprim17ROCPRIM_400000_NS6detail17trampoline_kernelINS0_14default_configENS1_27scan_by_key_config_selectorIiiEEZZNS1_16scan_by_key_implILNS1_25lookback_scan_determinismE0ELb1ES3_N6thrust23THRUST_200600_302600_NS6detail15normal_iteratorINS9_10device_ptrIiEEEESE_SE_iNS9_10multipliesIiEENS9_8equal_toIiEEiEE10hipError_tPvRmT2_T3_T4_T5_mT6_T7_P12ihipStream_tbENKUlT_T0_E_clISt17integral_constantIbLb0EESY_IbLb1EEEEDaSU_SV_EUlSU_E_NS1_11comp_targetILNS1_3genE10ELNS1_11target_archE1200ELNS1_3gpuE4ELNS1_3repE0EEENS1_30default_config_static_selectorELNS0_4arch9wavefront6targetE0EEEvT1_.num_vgpr, 0
	.set _ZN7rocprim17ROCPRIM_400000_NS6detail17trampoline_kernelINS0_14default_configENS1_27scan_by_key_config_selectorIiiEEZZNS1_16scan_by_key_implILNS1_25lookback_scan_determinismE0ELb1ES3_N6thrust23THRUST_200600_302600_NS6detail15normal_iteratorINS9_10device_ptrIiEEEESE_SE_iNS9_10multipliesIiEENS9_8equal_toIiEEiEE10hipError_tPvRmT2_T3_T4_T5_mT6_T7_P12ihipStream_tbENKUlT_T0_E_clISt17integral_constantIbLb0EESY_IbLb1EEEEDaSU_SV_EUlSU_E_NS1_11comp_targetILNS1_3genE10ELNS1_11target_archE1200ELNS1_3gpuE4ELNS1_3repE0EEENS1_30default_config_static_selectorELNS0_4arch9wavefront6targetE0EEEvT1_.num_agpr, 0
	.set _ZN7rocprim17ROCPRIM_400000_NS6detail17trampoline_kernelINS0_14default_configENS1_27scan_by_key_config_selectorIiiEEZZNS1_16scan_by_key_implILNS1_25lookback_scan_determinismE0ELb1ES3_N6thrust23THRUST_200600_302600_NS6detail15normal_iteratorINS9_10device_ptrIiEEEESE_SE_iNS9_10multipliesIiEENS9_8equal_toIiEEiEE10hipError_tPvRmT2_T3_T4_T5_mT6_T7_P12ihipStream_tbENKUlT_T0_E_clISt17integral_constantIbLb0EESY_IbLb1EEEEDaSU_SV_EUlSU_E_NS1_11comp_targetILNS1_3genE10ELNS1_11target_archE1200ELNS1_3gpuE4ELNS1_3repE0EEENS1_30default_config_static_selectorELNS0_4arch9wavefront6targetE0EEEvT1_.numbered_sgpr, 0
	.set _ZN7rocprim17ROCPRIM_400000_NS6detail17trampoline_kernelINS0_14default_configENS1_27scan_by_key_config_selectorIiiEEZZNS1_16scan_by_key_implILNS1_25lookback_scan_determinismE0ELb1ES3_N6thrust23THRUST_200600_302600_NS6detail15normal_iteratorINS9_10device_ptrIiEEEESE_SE_iNS9_10multipliesIiEENS9_8equal_toIiEEiEE10hipError_tPvRmT2_T3_T4_T5_mT6_T7_P12ihipStream_tbENKUlT_T0_E_clISt17integral_constantIbLb0EESY_IbLb1EEEEDaSU_SV_EUlSU_E_NS1_11comp_targetILNS1_3genE10ELNS1_11target_archE1200ELNS1_3gpuE4ELNS1_3repE0EEENS1_30default_config_static_selectorELNS0_4arch9wavefront6targetE0EEEvT1_.num_named_barrier, 0
	.set _ZN7rocprim17ROCPRIM_400000_NS6detail17trampoline_kernelINS0_14default_configENS1_27scan_by_key_config_selectorIiiEEZZNS1_16scan_by_key_implILNS1_25lookback_scan_determinismE0ELb1ES3_N6thrust23THRUST_200600_302600_NS6detail15normal_iteratorINS9_10device_ptrIiEEEESE_SE_iNS9_10multipliesIiEENS9_8equal_toIiEEiEE10hipError_tPvRmT2_T3_T4_T5_mT6_T7_P12ihipStream_tbENKUlT_T0_E_clISt17integral_constantIbLb0EESY_IbLb1EEEEDaSU_SV_EUlSU_E_NS1_11comp_targetILNS1_3genE10ELNS1_11target_archE1200ELNS1_3gpuE4ELNS1_3repE0EEENS1_30default_config_static_selectorELNS0_4arch9wavefront6targetE0EEEvT1_.private_seg_size, 0
	.set _ZN7rocprim17ROCPRIM_400000_NS6detail17trampoline_kernelINS0_14default_configENS1_27scan_by_key_config_selectorIiiEEZZNS1_16scan_by_key_implILNS1_25lookback_scan_determinismE0ELb1ES3_N6thrust23THRUST_200600_302600_NS6detail15normal_iteratorINS9_10device_ptrIiEEEESE_SE_iNS9_10multipliesIiEENS9_8equal_toIiEEiEE10hipError_tPvRmT2_T3_T4_T5_mT6_T7_P12ihipStream_tbENKUlT_T0_E_clISt17integral_constantIbLb0EESY_IbLb1EEEEDaSU_SV_EUlSU_E_NS1_11comp_targetILNS1_3genE10ELNS1_11target_archE1200ELNS1_3gpuE4ELNS1_3repE0EEENS1_30default_config_static_selectorELNS0_4arch9wavefront6targetE0EEEvT1_.uses_vcc, 0
	.set _ZN7rocprim17ROCPRIM_400000_NS6detail17trampoline_kernelINS0_14default_configENS1_27scan_by_key_config_selectorIiiEEZZNS1_16scan_by_key_implILNS1_25lookback_scan_determinismE0ELb1ES3_N6thrust23THRUST_200600_302600_NS6detail15normal_iteratorINS9_10device_ptrIiEEEESE_SE_iNS9_10multipliesIiEENS9_8equal_toIiEEiEE10hipError_tPvRmT2_T3_T4_T5_mT6_T7_P12ihipStream_tbENKUlT_T0_E_clISt17integral_constantIbLb0EESY_IbLb1EEEEDaSU_SV_EUlSU_E_NS1_11comp_targetILNS1_3genE10ELNS1_11target_archE1200ELNS1_3gpuE4ELNS1_3repE0EEENS1_30default_config_static_selectorELNS0_4arch9wavefront6targetE0EEEvT1_.uses_flat_scratch, 0
	.set _ZN7rocprim17ROCPRIM_400000_NS6detail17trampoline_kernelINS0_14default_configENS1_27scan_by_key_config_selectorIiiEEZZNS1_16scan_by_key_implILNS1_25lookback_scan_determinismE0ELb1ES3_N6thrust23THRUST_200600_302600_NS6detail15normal_iteratorINS9_10device_ptrIiEEEESE_SE_iNS9_10multipliesIiEENS9_8equal_toIiEEiEE10hipError_tPvRmT2_T3_T4_T5_mT6_T7_P12ihipStream_tbENKUlT_T0_E_clISt17integral_constantIbLb0EESY_IbLb1EEEEDaSU_SV_EUlSU_E_NS1_11comp_targetILNS1_3genE10ELNS1_11target_archE1200ELNS1_3gpuE4ELNS1_3repE0EEENS1_30default_config_static_selectorELNS0_4arch9wavefront6targetE0EEEvT1_.has_dyn_sized_stack, 0
	.set _ZN7rocprim17ROCPRIM_400000_NS6detail17trampoline_kernelINS0_14default_configENS1_27scan_by_key_config_selectorIiiEEZZNS1_16scan_by_key_implILNS1_25lookback_scan_determinismE0ELb1ES3_N6thrust23THRUST_200600_302600_NS6detail15normal_iteratorINS9_10device_ptrIiEEEESE_SE_iNS9_10multipliesIiEENS9_8equal_toIiEEiEE10hipError_tPvRmT2_T3_T4_T5_mT6_T7_P12ihipStream_tbENKUlT_T0_E_clISt17integral_constantIbLb0EESY_IbLb1EEEEDaSU_SV_EUlSU_E_NS1_11comp_targetILNS1_3genE10ELNS1_11target_archE1200ELNS1_3gpuE4ELNS1_3repE0EEENS1_30default_config_static_selectorELNS0_4arch9wavefront6targetE0EEEvT1_.has_recursion, 0
	.set _ZN7rocprim17ROCPRIM_400000_NS6detail17trampoline_kernelINS0_14default_configENS1_27scan_by_key_config_selectorIiiEEZZNS1_16scan_by_key_implILNS1_25lookback_scan_determinismE0ELb1ES3_N6thrust23THRUST_200600_302600_NS6detail15normal_iteratorINS9_10device_ptrIiEEEESE_SE_iNS9_10multipliesIiEENS9_8equal_toIiEEiEE10hipError_tPvRmT2_T3_T4_T5_mT6_T7_P12ihipStream_tbENKUlT_T0_E_clISt17integral_constantIbLb0EESY_IbLb1EEEEDaSU_SV_EUlSU_E_NS1_11comp_targetILNS1_3genE10ELNS1_11target_archE1200ELNS1_3gpuE4ELNS1_3repE0EEENS1_30default_config_static_selectorELNS0_4arch9wavefront6targetE0EEEvT1_.has_indirect_call, 0
	.section	.AMDGPU.csdata,"",@progbits
; Kernel info:
; codeLenInByte = 0
; TotalNumSgprs: 0
; NumVgprs: 0
; ScratchSize: 0
; MemoryBound: 0
; FloatMode: 240
; IeeeMode: 1
; LDSByteSize: 0 bytes/workgroup (compile time only)
; SGPRBlocks: 0
; VGPRBlocks: 0
; NumSGPRsForWavesPerEU: 1
; NumVGPRsForWavesPerEU: 1
; NamedBarCnt: 0
; Occupancy: 16
; WaveLimiterHint : 0
; COMPUTE_PGM_RSRC2:SCRATCH_EN: 0
; COMPUTE_PGM_RSRC2:USER_SGPR: 2
; COMPUTE_PGM_RSRC2:TRAP_HANDLER: 0
; COMPUTE_PGM_RSRC2:TGID_X_EN: 1
; COMPUTE_PGM_RSRC2:TGID_Y_EN: 0
; COMPUTE_PGM_RSRC2:TGID_Z_EN: 0
; COMPUTE_PGM_RSRC2:TIDIG_COMP_CNT: 0
	.section	.text._ZN7rocprim17ROCPRIM_400000_NS6detail17trampoline_kernelINS0_14default_configENS1_27scan_by_key_config_selectorIiiEEZZNS1_16scan_by_key_implILNS1_25lookback_scan_determinismE0ELb1ES3_N6thrust23THRUST_200600_302600_NS6detail15normal_iteratorINS9_10device_ptrIiEEEESE_SE_iNS9_10multipliesIiEENS9_8equal_toIiEEiEE10hipError_tPvRmT2_T3_T4_T5_mT6_T7_P12ihipStream_tbENKUlT_T0_E_clISt17integral_constantIbLb0EESY_IbLb1EEEEDaSU_SV_EUlSU_E_NS1_11comp_targetILNS1_3genE9ELNS1_11target_archE1100ELNS1_3gpuE3ELNS1_3repE0EEENS1_30default_config_static_selectorELNS0_4arch9wavefront6targetE0EEEvT1_,"axG",@progbits,_ZN7rocprim17ROCPRIM_400000_NS6detail17trampoline_kernelINS0_14default_configENS1_27scan_by_key_config_selectorIiiEEZZNS1_16scan_by_key_implILNS1_25lookback_scan_determinismE0ELb1ES3_N6thrust23THRUST_200600_302600_NS6detail15normal_iteratorINS9_10device_ptrIiEEEESE_SE_iNS9_10multipliesIiEENS9_8equal_toIiEEiEE10hipError_tPvRmT2_T3_T4_T5_mT6_T7_P12ihipStream_tbENKUlT_T0_E_clISt17integral_constantIbLb0EESY_IbLb1EEEEDaSU_SV_EUlSU_E_NS1_11comp_targetILNS1_3genE9ELNS1_11target_archE1100ELNS1_3gpuE3ELNS1_3repE0EEENS1_30default_config_static_selectorELNS0_4arch9wavefront6targetE0EEEvT1_,comdat
	.protected	_ZN7rocprim17ROCPRIM_400000_NS6detail17trampoline_kernelINS0_14default_configENS1_27scan_by_key_config_selectorIiiEEZZNS1_16scan_by_key_implILNS1_25lookback_scan_determinismE0ELb1ES3_N6thrust23THRUST_200600_302600_NS6detail15normal_iteratorINS9_10device_ptrIiEEEESE_SE_iNS9_10multipliesIiEENS9_8equal_toIiEEiEE10hipError_tPvRmT2_T3_T4_T5_mT6_T7_P12ihipStream_tbENKUlT_T0_E_clISt17integral_constantIbLb0EESY_IbLb1EEEEDaSU_SV_EUlSU_E_NS1_11comp_targetILNS1_3genE9ELNS1_11target_archE1100ELNS1_3gpuE3ELNS1_3repE0EEENS1_30default_config_static_selectorELNS0_4arch9wavefront6targetE0EEEvT1_ ; -- Begin function _ZN7rocprim17ROCPRIM_400000_NS6detail17trampoline_kernelINS0_14default_configENS1_27scan_by_key_config_selectorIiiEEZZNS1_16scan_by_key_implILNS1_25lookback_scan_determinismE0ELb1ES3_N6thrust23THRUST_200600_302600_NS6detail15normal_iteratorINS9_10device_ptrIiEEEESE_SE_iNS9_10multipliesIiEENS9_8equal_toIiEEiEE10hipError_tPvRmT2_T3_T4_T5_mT6_T7_P12ihipStream_tbENKUlT_T0_E_clISt17integral_constantIbLb0EESY_IbLb1EEEEDaSU_SV_EUlSU_E_NS1_11comp_targetILNS1_3genE9ELNS1_11target_archE1100ELNS1_3gpuE3ELNS1_3repE0EEENS1_30default_config_static_selectorELNS0_4arch9wavefront6targetE0EEEvT1_
	.globl	_ZN7rocprim17ROCPRIM_400000_NS6detail17trampoline_kernelINS0_14default_configENS1_27scan_by_key_config_selectorIiiEEZZNS1_16scan_by_key_implILNS1_25lookback_scan_determinismE0ELb1ES3_N6thrust23THRUST_200600_302600_NS6detail15normal_iteratorINS9_10device_ptrIiEEEESE_SE_iNS9_10multipliesIiEENS9_8equal_toIiEEiEE10hipError_tPvRmT2_T3_T4_T5_mT6_T7_P12ihipStream_tbENKUlT_T0_E_clISt17integral_constantIbLb0EESY_IbLb1EEEEDaSU_SV_EUlSU_E_NS1_11comp_targetILNS1_3genE9ELNS1_11target_archE1100ELNS1_3gpuE3ELNS1_3repE0EEENS1_30default_config_static_selectorELNS0_4arch9wavefront6targetE0EEEvT1_
	.p2align	8
	.type	_ZN7rocprim17ROCPRIM_400000_NS6detail17trampoline_kernelINS0_14default_configENS1_27scan_by_key_config_selectorIiiEEZZNS1_16scan_by_key_implILNS1_25lookback_scan_determinismE0ELb1ES3_N6thrust23THRUST_200600_302600_NS6detail15normal_iteratorINS9_10device_ptrIiEEEESE_SE_iNS9_10multipliesIiEENS9_8equal_toIiEEiEE10hipError_tPvRmT2_T3_T4_T5_mT6_T7_P12ihipStream_tbENKUlT_T0_E_clISt17integral_constantIbLb0EESY_IbLb1EEEEDaSU_SV_EUlSU_E_NS1_11comp_targetILNS1_3genE9ELNS1_11target_archE1100ELNS1_3gpuE3ELNS1_3repE0EEENS1_30default_config_static_selectorELNS0_4arch9wavefront6targetE0EEEvT1_,@function
_ZN7rocprim17ROCPRIM_400000_NS6detail17trampoline_kernelINS0_14default_configENS1_27scan_by_key_config_selectorIiiEEZZNS1_16scan_by_key_implILNS1_25lookback_scan_determinismE0ELb1ES3_N6thrust23THRUST_200600_302600_NS6detail15normal_iteratorINS9_10device_ptrIiEEEESE_SE_iNS9_10multipliesIiEENS9_8equal_toIiEEiEE10hipError_tPvRmT2_T3_T4_T5_mT6_T7_P12ihipStream_tbENKUlT_T0_E_clISt17integral_constantIbLb0EESY_IbLb1EEEEDaSU_SV_EUlSU_E_NS1_11comp_targetILNS1_3genE9ELNS1_11target_archE1100ELNS1_3gpuE3ELNS1_3repE0EEENS1_30default_config_static_selectorELNS0_4arch9wavefront6targetE0EEEvT1_: ; @_ZN7rocprim17ROCPRIM_400000_NS6detail17trampoline_kernelINS0_14default_configENS1_27scan_by_key_config_selectorIiiEEZZNS1_16scan_by_key_implILNS1_25lookback_scan_determinismE0ELb1ES3_N6thrust23THRUST_200600_302600_NS6detail15normal_iteratorINS9_10device_ptrIiEEEESE_SE_iNS9_10multipliesIiEENS9_8equal_toIiEEiEE10hipError_tPvRmT2_T3_T4_T5_mT6_T7_P12ihipStream_tbENKUlT_T0_E_clISt17integral_constantIbLb0EESY_IbLb1EEEEDaSU_SV_EUlSU_E_NS1_11comp_targetILNS1_3genE9ELNS1_11target_archE1100ELNS1_3gpuE3ELNS1_3repE0EEENS1_30default_config_static_selectorELNS0_4arch9wavefront6targetE0EEEvT1_
; %bb.0:
	.section	.rodata,"a",@progbits
	.p2align	6, 0x0
	.amdhsa_kernel _ZN7rocprim17ROCPRIM_400000_NS6detail17trampoline_kernelINS0_14default_configENS1_27scan_by_key_config_selectorIiiEEZZNS1_16scan_by_key_implILNS1_25lookback_scan_determinismE0ELb1ES3_N6thrust23THRUST_200600_302600_NS6detail15normal_iteratorINS9_10device_ptrIiEEEESE_SE_iNS9_10multipliesIiEENS9_8equal_toIiEEiEE10hipError_tPvRmT2_T3_T4_T5_mT6_T7_P12ihipStream_tbENKUlT_T0_E_clISt17integral_constantIbLb0EESY_IbLb1EEEEDaSU_SV_EUlSU_E_NS1_11comp_targetILNS1_3genE9ELNS1_11target_archE1100ELNS1_3gpuE3ELNS1_3repE0EEENS1_30default_config_static_selectorELNS0_4arch9wavefront6targetE0EEEvT1_
		.amdhsa_group_segment_fixed_size 0
		.amdhsa_private_segment_fixed_size 0
		.amdhsa_kernarg_size 112
		.amdhsa_user_sgpr_count 2
		.amdhsa_user_sgpr_dispatch_ptr 0
		.amdhsa_user_sgpr_queue_ptr 0
		.amdhsa_user_sgpr_kernarg_segment_ptr 1
		.amdhsa_user_sgpr_dispatch_id 0
		.amdhsa_user_sgpr_kernarg_preload_length 0
		.amdhsa_user_sgpr_kernarg_preload_offset 0
		.amdhsa_user_sgpr_private_segment_size 0
		.amdhsa_wavefront_size32 1
		.amdhsa_uses_dynamic_stack 0
		.amdhsa_enable_private_segment 0
		.amdhsa_system_sgpr_workgroup_id_x 1
		.amdhsa_system_sgpr_workgroup_id_y 0
		.amdhsa_system_sgpr_workgroup_id_z 0
		.amdhsa_system_sgpr_workgroup_info 0
		.amdhsa_system_vgpr_workitem_id 0
		.amdhsa_next_free_vgpr 1
		.amdhsa_next_free_sgpr 1
		.amdhsa_named_barrier_count 0
		.amdhsa_reserve_vcc 0
		.amdhsa_float_round_mode_32 0
		.amdhsa_float_round_mode_16_64 0
		.amdhsa_float_denorm_mode_32 3
		.amdhsa_float_denorm_mode_16_64 3
		.amdhsa_fp16_overflow 0
		.amdhsa_memory_ordered 1
		.amdhsa_forward_progress 1
		.amdhsa_inst_pref_size 0
		.amdhsa_round_robin_scheduling 0
		.amdhsa_exception_fp_ieee_invalid_op 0
		.amdhsa_exception_fp_denorm_src 0
		.amdhsa_exception_fp_ieee_div_zero 0
		.amdhsa_exception_fp_ieee_overflow 0
		.amdhsa_exception_fp_ieee_underflow 0
		.amdhsa_exception_fp_ieee_inexact 0
		.amdhsa_exception_int_div_zero 0
	.end_amdhsa_kernel
	.section	.text._ZN7rocprim17ROCPRIM_400000_NS6detail17trampoline_kernelINS0_14default_configENS1_27scan_by_key_config_selectorIiiEEZZNS1_16scan_by_key_implILNS1_25lookback_scan_determinismE0ELb1ES3_N6thrust23THRUST_200600_302600_NS6detail15normal_iteratorINS9_10device_ptrIiEEEESE_SE_iNS9_10multipliesIiEENS9_8equal_toIiEEiEE10hipError_tPvRmT2_T3_T4_T5_mT6_T7_P12ihipStream_tbENKUlT_T0_E_clISt17integral_constantIbLb0EESY_IbLb1EEEEDaSU_SV_EUlSU_E_NS1_11comp_targetILNS1_3genE9ELNS1_11target_archE1100ELNS1_3gpuE3ELNS1_3repE0EEENS1_30default_config_static_selectorELNS0_4arch9wavefront6targetE0EEEvT1_,"axG",@progbits,_ZN7rocprim17ROCPRIM_400000_NS6detail17trampoline_kernelINS0_14default_configENS1_27scan_by_key_config_selectorIiiEEZZNS1_16scan_by_key_implILNS1_25lookback_scan_determinismE0ELb1ES3_N6thrust23THRUST_200600_302600_NS6detail15normal_iteratorINS9_10device_ptrIiEEEESE_SE_iNS9_10multipliesIiEENS9_8equal_toIiEEiEE10hipError_tPvRmT2_T3_T4_T5_mT6_T7_P12ihipStream_tbENKUlT_T0_E_clISt17integral_constantIbLb0EESY_IbLb1EEEEDaSU_SV_EUlSU_E_NS1_11comp_targetILNS1_3genE9ELNS1_11target_archE1100ELNS1_3gpuE3ELNS1_3repE0EEENS1_30default_config_static_selectorELNS0_4arch9wavefront6targetE0EEEvT1_,comdat
.Lfunc_end531:
	.size	_ZN7rocprim17ROCPRIM_400000_NS6detail17trampoline_kernelINS0_14default_configENS1_27scan_by_key_config_selectorIiiEEZZNS1_16scan_by_key_implILNS1_25lookback_scan_determinismE0ELb1ES3_N6thrust23THRUST_200600_302600_NS6detail15normal_iteratorINS9_10device_ptrIiEEEESE_SE_iNS9_10multipliesIiEENS9_8equal_toIiEEiEE10hipError_tPvRmT2_T3_T4_T5_mT6_T7_P12ihipStream_tbENKUlT_T0_E_clISt17integral_constantIbLb0EESY_IbLb1EEEEDaSU_SV_EUlSU_E_NS1_11comp_targetILNS1_3genE9ELNS1_11target_archE1100ELNS1_3gpuE3ELNS1_3repE0EEENS1_30default_config_static_selectorELNS0_4arch9wavefront6targetE0EEEvT1_, .Lfunc_end531-_ZN7rocprim17ROCPRIM_400000_NS6detail17trampoline_kernelINS0_14default_configENS1_27scan_by_key_config_selectorIiiEEZZNS1_16scan_by_key_implILNS1_25lookback_scan_determinismE0ELb1ES3_N6thrust23THRUST_200600_302600_NS6detail15normal_iteratorINS9_10device_ptrIiEEEESE_SE_iNS9_10multipliesIiEENS9_8equal_toIiEEiEE10hipError_tPvRmT2_T3_T4_T5_mT6_T7_P12ihipStream_tbENKUlT_T0_E_clISt17integral_constantIbLb0EESY_IbLb1EEEEDaSU_SV_EUlSU_E_NS1_11comp_targetILNS1_3genE9ELNS1_11target_archE1100ELNS1_3gpuE3ELNS1_3repE0EEENS1_30default_config_static_selectorELNS0_4arch9wavefront6targetE0EEEvT1_
                                        ; -- End function
	.set _ZN7rocprim17ROCPRIM_400000_NS6detail17trampoline_kernelINS0_14default_configENS1_27scan_by_key_config_selectorIiiEEZZNS1_16scan_by_key_implILNS1_25lookback_scan_determinismE0ELb1ES3_N6thrust23THRUST_200600_302600_NS6detail15normal_iteratorINS9_10device_ptrIiEEEESE_SE_iNS9_10multipliesIiEENS9_8equal_toIiEEiEE10hipError_tPvRmT2_T3_T4_T5_mT6_T7_P12ihipStream_tbENKUlT_T0_E_clISt17integral_constantIbLb0EESY_IbLb1EEEEDaSU_SV_EUlSU_E_NS1_11comp_targetILNS1_3genE9ELNS1_11target_archE1100ELNS1_3gpuE3ELNS1_3repE0EEENS1_30default_config_static_selectorELNS0_4arch9wavefront6targetE0EEEvT1_.num_vgpr, 0
	.set _ZN7rocprim17ROCPRIM_400000_NS6detail17trampoline_kernelINS0_14default_configENS1_27scan_by_key_config_selectorIiiEEZZNS1_16scan_by_key_implILNS1_25lookback_scan_determinismE0ELb1ES3_N6thrust23THRUST_200600_302600_NS6detail15normal_iteratorINS9_10device_ptrIiEEEESE_SE_iNS9_10multipliesIiEENS9_8equal_toIiEEiEE10hipError_tPvRmT2_T3_T4_T5_mT6_T7_P12ihipStream_tbENKUlT_T0_E_clISt17integral_constantIbLb0EESY_IbLb1EEEEDaSU_SV_EUlSU_E_NS1_11comp_targetILNS1_3genE9ELNS1_11target_archE1100ELNS1_3gpuE3ELNS1_3repE0EEENS1_30default_config_static_selectorELNS0_4arch9wavefront6targetE0EEEvT1_.num_agpr, 0
	.set _ZN7rocprim17ROCPRIM_400000_NS6detail17trampoline_kernelINS0_14default_configENS1_27scan_by_key_config_selectorIiiEEZZNS1_16scan_by_key_implILNS1_25lookback_scan_determinismE0ELb1ES3_N6thrust23THRUST_200600_302600_NS6detail15normal_iteratorINS9_10device_ptrIiEEEESE_SE_iNS9_10multipliesIiEENS9_8equal_toIiEEiEE10hipError_tPvRmT2_T3_T4_T5_mT6_T7_P12ihipStream_tbENKUlT_T0_E_clISt17integral_constantIbLb0EESY_IbLb1EEEEDaSU_SV_EUlSU_E_NS1_11comp_targetILNS1_3genE9ELNS1_11target_archE1100ELNS1_3gpuE3ELNS1_3repE0EEENS1_30default_config_static_selectorELNS0_4arch9wavefront6targetE0EEEvT1_.numbered_sgpr, 0
	.set _ZN7rocprim17ROCPRIM_400000_NS6detail17trampoline_kernelINS0_14default_configENS1_27scan_by_key_config_selectorIiiEEZZNS1_16scan_by_key_implILNS1_25lookback_scan_determinismE0ELb1ES3_N6thrust23THRUST_200600_302600_NS6detail15normal_iteratorINS9_10device_ptrIiEEEESE_SE_iNS9_10multipliesIiEENS9_8equal_toIiEEiEE10hipError_tPvRmT2_T3_T4_T5_mT6_T7_P12ihipStream_tbENKUlT_T0_E_clISt17integral_constantIbLb0EESY_IbLb1EEEEDaSU_SV_EUlSU_E_NS1_11comp_targetILNS1_3genE9ELNS1_11target_archE1100ELNS1_3gpuE3ELNS1_3repE0EEENS1_30default_config_static_selectorELNS0_4arch9wavefront6targetE0EEEvT1_.num_named_barrier, 0
	.set _ZN7rocprim17ROCPRIM_400000_NS6detail17trampoline_kernelINS0_14default_configENS1_27scan_by_key_config_selectorIiiEEZZNS1_16scan_by_key_implILNS1_25lookback_scan_determinismE0ELb1ES3_N6thrust23THRUST_200600_302600_NS6detail15normal_iteratorINS9_10device_ptrIiEEEESE_SE_iNS9_10multipliesIiEENS9_8equal_toIiEEiEE10hipError_tPvRmT2_T3_T4_T5_mT6_T7_P12ihipStream_tbENKUlT_T0_E_clISt17integral_constantIbLb0EESY_IbLb1EEEEDaSU_SV_EUlSU_E_NS1_11comp_targetILNS1_3genE9ELNS1_11target_archE1100ELNS1_3gpuE3ELNS1_3repE0EEENS1_30default_config_static_selectorELNS0_4arch9wavefront6targetE0EEEvT1_.private_seg_size, 0
	.set _ZN7rocprim17ROCPRIM_400000_NS6detail17trampoline_kernelINS0_14default_configENS1_27scan_by_key_config_selectorIiiEEZZNS1_16scan_by_key_implILNS1_25lookback_scan_determinismE0ELb1ES3_N6thrust23THRUST_200600_302600_NS6detail15normal_iteratorINS9_10device_ptrIiEEEESE_SE_iNS9_10multipliesIiEENS9_8equal_toIiEEiEE10hipError_tPvRmT2_T3_T4_T5_mT6_T7_P12ihipStream_tbENKUlT_T0_E_clISt17integral_constantIbLb0EESY_IbLb1EEEEDaSU_SV_EUlSU_E_NS1_11comp_targetILNS1_3genE9ELNS1_11target_archE1100ELNS1_3gpuE3ELNS1_3repE0EEENS1_30default_config_static_selectorELNS0_4arch9wavefront6targetE0EEEvT1_.uses_vcc, 0
	.set _ZN7rocprim17ROCPRIM_400000_NS6detail17trampoline_kernelINS0_14default_configENS1_27scan_by_key_config_selectorIiiEEZZNS1_16scan_by_key_implILNS1_25lookback_scan_determinismE0ELb1ES3_N6thrust23THRUST_200600_302600_NS6detail15normal_iteratorINS9_10device_ptrIiEEEESE_SE_iNS9_10multipliesIiEENS9_8equal_toIiEEiEE10hipError_tPvRmT2_T3_T4_T5_mT6_T7_P12ihipStream_tbENKUlT_T0_E_clISt17integral_constantIbLb0EESY_IbLb1EEEEDaSU_SV_EUlSU_E_NS1_11comp_targetILNS1_3genE9ELNS1_11target_archE1100ELNS1_3gpuE3ELNS1_3repE0EEENS1_30default_config_static_selectorELNS0_4arch9wavefront6targetE0EEEvT1_.uses_flat_scratch, 0
	.set _ZN7rocprim17ROCPRIM_400000_NS6detail17trampoline_kernelINS0_14default_configENS1_27scan_by_key_config_selectorIiiEEZZNS1_16scan_by_key_implILNS1_25lookback_scan_determinismE0ELb1ES3_N6thrust23THRUST_200600_302600_NS6detail15normal_iteratorINS9_10device_ptrIiEEEESE_SE_iNS9_10multipliesIiEENS9_8equal_toIiEEiEE10hipError_tPvRmT2_T3_T4_T5_mT6_T7_P12ihipStream_tbENKUlT_T0_E_clISt17integral_constantIbLb0EESY_IbLb1EEEEDaSU_SV_EUlSU_E_NS1_11comp_targetILNS1_3genE9ELNS1_11target_archE1100ELNS1_3gpuE3ELNS1_3repE0EEENS1_30default_config_static_selectorELNS0_4arch9wavefront6targetE0EEEvT1_.has_dyn_sized_stack, 0
	.set _ZN7rocprim17ROCPRIM_400000_NS6detail17trampoline_kernelINS0_14default_configENS1_27scan_by_key_config_selectorIiiEEZZNS1_16scan_by_key_implILNS1_25lookback_scan_determinismE0ELb1ES3_N6thrust23THRUST_200600_302600_NS6detail15normal_iteratorINS9_10device_ptrIiEEEESE_SE_iNS9_10multipliesIiEENS9_8equal_toIiEEiEE10hipError_tPvRmT2_T3_T4_T5_mT6_T7_P12ihipStream_tbENKUlT_T0_E_clISt17integral_constantIbLb0EESY_IbLb1EEEEDaSU_SV_EUlSU_E_NS1_11comp_targetILNS1_3genE9ELNS1_11target_archE1100ELNS1_3gpuE3ELNS1_3repE0EEENS1_30default_config_static_selectorELNS0_4arch9wavefront6targetE0EEEvT1_.has_recursion, 0
	.set _ZN7rocprim17ROCPRIM_400000_NS6detail17trampoline_kernelINS0_14default_configENS1_27scan_by_key_config_selectorIiiEEZZNS1_16scan_by_key_implILNS1_25lookback_scan_determinismE0ELb1ES3_N6thrust23THRUST_200600_302600_NS6detail15normal_iteratorINS9_10device_ptrIiEEEESE_SE_iNS9_10multipliesIiEENS9_8equal_toIiEEiEE10hipError_tPvRmT2_T3_T4_T5_mT6_T7_P12ihipStream_tbENKUlT_T0_E_clISt17integral_constantIbLb0EESY_IbLb1EEEEDaSU_SV_EUlSU_E_NS1_11comp_targetILNS1_3genE9ELNS1_11target_archE1100ELNS1_3gpuE3ELNS1_3repE0EEENS1_30default_config_static_selectorELNS0_4arch9wavefront6targetE0EEEvT1_.has_indirect_call, 0
	.section	.AMDGPU.csdata,"",@progbits
; Kernel info:
; codeLenInByte = 0
; TotalNumSgprs: 0
; NumVgprs: 0
; ScratchSize: 0
; MemoryBound: 0
; FloatMode: 240
; IeeeMode: 1
; LDSByteSize: 0 bytes/workgroup (compile time only)
; SGPRBlocks: 0
; VGPRBlocks: 0
; NumSGPRsForWavesPerEU: 1
; NumVGPRsForWavesPerEU: 1
; NamedBarCnt: 0
; Occupancy: 16
; WaveLimiterHint : 0
; COMPUTE_PGM_RSRC2:SCRATCH_EN: 0
; COMPUTE_PGM_RSRC2:USER_SGPR: 2
; COMPUTE_PGM_RSRC2:TRAP_HANDLER: 0
; COMPUTE_PGM_RSRC2:TGID_X_EN: 1
; COMPUTE_PGM_RSRC2:TGID_Y_EN: 0
; COMPUTE_PGM_RSRC2:TGID_Z_EN: 0
; COMPUTE_PGM_RSRC2:TIDIG_COMP_CNT: 0
	.section	.text._ZN7rocprim17ROCPRIM_400000_NS6detail17trampoline_kernelINS0_14default_configENS1_27scan_by_key_config_selectorIiiEEZZNS1_16scan_by_key_implILNS1_25lookback_scan_determinismE0ELb1ES3_N6thrust23THRUST_200600_302600_NS6detail15normal_iteratorINS9_10device_ptrIiEEEESE_SE_iNS9_10multipliesIiEENS9_8equal_toIiEEiEE10hipError_tPvRmT2_T3_T4_T5_mT6_T7_P12ihipStream_tbENKUlT_T0_E_clISt17integral_constantIbLb0EESY_IbLb1EEEEDaSU_SV_EUlSU_E_NS1_11comp_targetILNS1_3genE8ELNS1_11target_archE1030ELNS1_3gpuE2ELNS1_3repE0EEENS1_30default_config_static_selectorELNS0_4arch9wavefront6targetE0EEEvT1_,"axG",@progbits,_ZN7rocprim17ROCPRIM_400000_NS6detail17trampoline_kernelINS0_14default_configENS1_27scan_by_key_config_selectorIiiEEZZNS1_16scan_by_key_implILNS1_25lookback_scan_determinismE0ELb1ES3_N6thrust23THRUST_200600_302600_NS6detail15normal_iteratorINS9_10device_ptrIiEEEESE_SE_iNS9_10multipliesIiEENS9_8equal_toIiEEiEE10hipError_tPvRmT2_T3_T4_T5_mT6_T7_P12ihipStream_tbENKUlT_T0_E_clISt17integral_constantIbLb0EESY_IbLb1EEEEDaSU_SV_EUlSU_E_NS1_11comp_targetILNS1_3genE8ELNS1_11target_archE1030ELNS1_3gpuE2ELNS1_3repE0EEENS1_30default_config_static_selectorELNS0_4arch9wavefront6targetE0EEEvT1_,comdat
	.protected	_ZN7rocprim17ROCPRIM_400000_NS6detail17trampoline_kernelINS0_14default_configENS1_27scan_by_key_config_selectorIiiEEZZNS1_16scan_by_key_implILNS1_25lookback_scan_determinismE0ELb1ES3_N6thrust23THRUST_200600_302600_NS6detail15normal_iteratorINS9_10device_ptrIiEEEESE_SE_iNS9_10multipliesIiEENS9_8equal_toIiEEiEE10hipError_tPvRmT2_T3_T4_T5_mT6_T7_P12ihipStream_tbENKUlT_T0_E_clISt17integral_constantIbLb0EESY_IbLb1EEEEDaSU_SV_EUlSU_E_NS1_11comp_targetILNS1_3genE8ELNS1_11target_archE1030ELNS1_3gpuE2ELNS1_3repE0EEENS1_30default_config_static_selectorELNS0_4arch9wavefront6targetE0EEEvT1_ ; -- Begin function _ZN7rocprim17ROCPRIM_400000_NS6detail17trampoline_kernelINS0_14default_configENS1_27scan_by_key_config_selectorIiiEEZZNS1_16scan_by_key_implILNS1_25lookback_scan_determinismE0ELb1ES3_N6thrust23THRUST_200600_302600_NS6detail15normal_iteratorINS9_10device_ptrIiEEEESE_SE_iNS9_10multipliesIiEENS9_8equal_toIiEEiEE10hipError_tPvRmT2_T3_T4_T5_mT6_T7_P12ihipStream_tbENKUlT_T0_E_clISt17integral_constantIbLb0EESY_IbLb1EEEEDaSU_SV_EUlSU_E_NS1_11comp_targetILNS1_3genE8ELNS1_11target_archE1030ELNS1_3gpuE2ELNS1_3repE0EEENS1_30default_config_static_selectorELNS0_4arch9wavefront6targetE0EEEvT1_
	.globl	_ZN7rocprim17ROCPRIM_400000_NS6detail17trampoline_kernelINS0_14default_configENS1_27scan_by_key_config_selectorIiiEEZZNS1_16scan_by_key_implILNS1_25lookback_scan_determinismE0ELb1ES3_N6thrust23THRUST_200600_302600_NS6detail15normal_iteratorINS9_10device_ptrIiEEEESE_SE_iNS9_10multipliesIiEENS9_8equal_toIiEEiEE10hipError_tPvRmT2_T3_T4_T5_mT6_T7_P12ihipStream_tbENKUlT_T0_E_clISt17integral_constantIbLb0EESY_IbLb1EEEEDaSU_SV_EUlSU_E_NS1_11comp_targetILNS1_3genE8ELNS1_11target_archE1030ELNS1_3gpuE2ELNS1_3repE0EEENS1_30default_config_static_selectorELNS0_4arch9wavefront6targetE0EEEvT1_
	.p2align	8
	.type	_ZN7rocprim17ROCPRIM_400000_NS6detail17trampoline_kernelINS0_14default_configENS1_27scan_by_key_config_selectorIiiEEZZNS1_16scan_by_key_implILNS1_25lookback_scan_determinismE0ELb1ES3_N6thrust23THRUST_200600_302600_NS6detail15normal_iteratorINS9_10device_ptrIiEEEESE_SE_iNS9_10multipliesIiEENS9_8equal_toIiEEiEE10hipError_tPvRmT2_T3_T4_T5_mT6_T7_P12ihipStream_tbENKUlT_T0_E_clISt17integral_constantIbLb0EESY_IbLb1EEEEDaSU_SV_EUlSU_E_NS1_11comp_targetILNS1_3genE8ELNS1_11target_archE1030ELNS1_3gpuE2ELNS1_3repE0EEENS1_30default_config_static_selectorELNS0_4arch9wavefront6targetE0EEEvT1_,@function
_ZN7rocprim17ROCPRIM_400000_NS6detail17trampoline_kernelINS0_14default_configENS1_27scan_by_key_config_selectorIiiEEZZNS1_16scan_by_key_implILNS1_25lookback_scan_determinismE0ELb1ES3_N6thrust23THRUST_200600_302600_NS6detail15normal_iteratorINS9_10device_ptrIiEEEESE_SE_iNS9_10multipliesIiEENS9_8equal_toIiEEiEE10hipError_tPvRmT2_T3_T4_T5_mT6_T7_P12ihipStream_tbENKUlT_T0_E_clISt17integral_constantIbLb0EESY_IbLb1EEEEDaSU_SV_EUlSU_E_NS1_11comp_targetILNS1_3genE8ELNS1_11target_archE1030ELNS1_3gpuE2ELNS1_3repE0EEENS1_30default_config_static_selectorELNS0_4arch9wavefront6targetE0EEEvT1_: ; @_ZN7rocprim17ROCPRIM_400000_NS6detail17trampoline_kernelINS0_14default_configENS1_27scan_by_key_config_selectorIiiEEZZNS1_16scan_by_key_implILNS1_25lookback_scan_determinismE0ELb1ES3_N6thrust23THRUST_200600_302600_NS6detail15normal_iteratorINS9_10device_ptrIiEEEESE_SE_iNS9_10multipliesIiEENS9_8equal_toIiEEiEE10hipError_tPvRmT2_T3_T4_T5_mT6_T7_P12ihipStream_tbENKUlT_T0_E_clISt17integral_constantIbLb0EESY_IbLb1EEEEDaSU_SV_EUlSU_E_NS1_11comp_targetILNS1_3genE8ELNS1_11target_archE1030ELNS1_3gpuE2ELNS1_3repE0EEENS1_30default_config_static_selectorELNS0_4arch9wavefront6targetE0EEEvT1_
; %bb.0:
	.section	.rodata,"a",@progbits
	.p2align	6, 0x0
	.amdhsa_kernel _ZN7rocprim17ROCPRIM_400000_NS6detail17trampoline_kernelINS0_14default_configENS1_27scan_by_key_config_selectorIiiEEZZNS1_16scan_by_key_implILNS1_25lookback_scan_determinismE0ELb1ES3_N6thrust23THRUST_200600_302600_NS6detail15normal_iteratorINS9_10device_ptrIiEEEESE_SE_iNS9_10multipliesIiEENS9_8equal_toIiEEiEE10hipError_tPvRmT2_T3_T4_T5_mT6_T7_P12ihipStream_tbENKUlT_T0_E_clISt17integral_constantIbLb0EESY_IbLb1EEEEDaSU_SV_EUlSU_E_NS1_11comp_targetILNS1_3genE8ELNS1_11target_archE1030ELNS1_3gpuE2ELNS1_3repE0EEENS1_30default_config_static_selectorELNS0_4arch9wavefront6targetE0EEEvT1_
		.amdhsa_group_segment_fixed_size 0
		.amdhsa_private_segment_fixed_size 0
		.amdhsa_kernarg_size 112
		.amdhsa_user_sgpr_count 2
		.amdhsa_user_sgpr_dispatch_ptr 0
		.amdhsa_user_sgpr_queue_ptr 0
		.amdhsa_user_sgpr_kernarg_segment_ptr 1
		.amdhsa_user_sgpr_dispatch_id 0
		.amdhsa_user_sgpr_kernarg_preload_length 0
		.amdhsa_user_sgpr_kernarg_preload_offset 0
		.amdhsa_user_sgpr_private_segment_size 0
		.amdhsa_wavefront_size32 1
		.amdhsa_uses_dynamic_stack 0
		.amdhsa_enable_private_segment 0
		.amdhsa_system_sgpr_workgroup_id_x 1
		.amdhsa_system_sgpr_workgroup_id_y 0
		.amdhsa_system_sgpr_workgroup_id_z 0
		.amdhsa_system_sgpr_workgroup_info 0
		.amdhsa_system_vgpr_workitem_id 0
		.amdhsa_next_free_vgpr 1
		.amdhsa_next_free_sgpr 1
		.amdhsa_named_barrier_count 0
		.amdhsa_reserve_vcc 0
		.amdhsa_float_round_mode_32 0
		.amdhsa_float_round_mode_16_64 0
		.amdhsa_float_denorm_mode_32 3
		.amdhsa_float_denorm_mode_16_64 3
		.amdhsa_fp16_overflow 0
		.amdhsa_memory_ordered 1
		.amdhsa_forward_progress 1
		.amdhsa_inst_pref_size 0
		.amdhsa_round_robin_scheduling 0
		.amdhsa_exception_fp_ieee_invalid_op 0
		.amdhsa_exception_fp_denorm_src 0
		.amdhsa_exception_fp_ieee_div_zero 0
		.amdhsa_exception_fp_ieee_overflow 0
		.amdhsa_exception_fp_ieee_underflow 0
		.amdhsa_exception_fp_ieee_inexact 0
		.amdhsa_exception_int_div_zero 0
	.end_amdhsa_kernel
	.section	.text._ZN7rocprim17ROCPRIM_400000_NS6detail17trampoline_kernelINS0_14default_configENS1_27scan_by_key_config_selectorIiiEEZZNS1_16scan_by_key_implILNS1_25lookback_scan_determinismE0ELb1ES3_N6thrust23THRUST_200600_302600_NS6detail15normal_iteratorINS9_10device_ptrIiEEEESE_SE_iNS9_10multipliesIiEENS9_8equal_toIiEEiEE10hipError_tPvRmT2_T3_T4_T5_mT6_T7_P12ihipStream_tbENKUlT_T0_E_clISt17integral_constantIbLb0EESY_IbLb1EEEEDaSU_SV_EUlSU_E_NS1_11comp_targetILNS1_3genE8ELNS1_11target_archE1030ELNS1_3gpuE2ELNS1_3repE0EEENS1_30default_config_static_selectorELNS0_4arch9wavefront6targetE0EEEvT1_,"axG",@progbits,_ZN7rocprim17ROCPRIM_400000_NS6detail17trampoline_kernelINS0_14default_configENS1_27scan_by_key_config_selectorIiiEEZZNS1_16scan_by_key_implILNS1_25lookback_scan_determinismE0ELb1ES3_N6thrust23THRUST_200600_302600_NS6detail15normal_iteratorINS9_10device_ptrIiEEEESE_SE_iNS9_10multipliesIiEENS9_8equal_toIiEEiEE10hipError_tPvRmT2_T3_T4_T5_mT6_T7_P12ihipStream_tbENKUlT_T0_E_clISt17integral_constantIbLb0EESY_IbLb1EEEEDaSU_SV_EUlSU_E_NS1_11comp_targetILNS1_3genE8ELNS1_11target_archE1030ELNS1_3gpuE2ELNS1_3repE0EEENS1_30default_config_static_selectorELNS0_4arch9wavefront6targetE0EEEvT1_,comdat
.Lfunc_end532:
	.size	_ZN7rocprim17ROCPRIM_400000_NS6detail17trampoline_kernelINS0_14default_configENS1_27scan_by_key_config_selectorIiiEEZZNS1_16scan_by_key_implILNS1_25lookback_scan_determinismE0ELb1ES3_N6thrust23THRUST_200600_302600_NS6detail15normal_iteratorINS9_10device_ptrIiEEEESE_SE_iNS9_10multipliesIiEENS9_8equal_toIiEEiEE10hipError_tPvRmT2_T3_T4_T5_mT6_T7_P12ihipStream_tbENKUlT_T0_E_clISt17integral_constantIbLb0EESY_IbLb1EEEEDaSU_SV_EUlSU_E_NS1_11comp_targetILNS1_3genE8ELNS1_11target_archE1030ELNS1_3gpuE2ELNS1_3repE0EEENS1_30default_config_static_selectorELNS0_4arch9wavefront6targetE0EEEvT1_, .Lfunc_end532-_ZN7rocprim17ROCPRIM_400000_NS6detail17trampoline_kernelINS0_14default_configENS1_27scan_by_key_config_selectorIiiEEZZNS1_16scan_by_key_implILNS1_25lookback_scan_determinismE0ELb1ES3_N6thrust23THRUST_200600_302600_NS6detail15normal_iteratorINS9_10device_ptrIiEEEESE_SE_iNS9_10multipliesIiEENS9_8equal_toIiEEiEE10hipError_tPvRmT2_T3_T4_T5_mT6_T7_P12ihipStream_tbENKUlT_T0_E_clISt17integral_constantIbLb0EESY_IbLb1EEEEDaSU_SV_EUlSU_E_NS1_11comp_targetILNS1_3genE8ELNS1_11target_archE1030ELNS1_3gpuE2ELNS1_3repE0EEENS1_30default_config_static_selectorELNS0_4arch9wavefront6targetE0EEEvT1_
                                        ; -- End function
	.set _ZN7rocprim17ROCPRIM_400000_NS6detail17trampoline_kernelINS0_14default_configENS1_27scan_by_key_config_selectorIiiEEZZNS1_16scan_by_key_implILNS1_25lookback_scan_determinismE0ELb1ES3_N6thrust23THRUST_200600_302600_NS6detail15normal_iteratorINS9_10device_ptrIiEEEESE_SE_iNS9_10multipliesIiEENS9_8equal_toIiEEiEE10hipError_tPvRmT2_T3_T4_T5_mT6_T7_P12ihipStream_tbENKUlT_T0_E_clISt17integral_constantIbLb0EESY_IbLb1EEEEDaSU_SV_EUlSU_E_NS1_11comp_targetILNS1_3genE8ELNS1_11target_archE1030ELNS1_3gpuE2ELNS1_3repE0EEENS1_30default_config_static_selectorELNS0_4arch9wavefront6targetE0EEEvT1_.num_vgpr, 0
	.set _ZN7rocprim17ROCPRIM_400000_NS6detail17trampoline_kernelINS0_14default_configENS1_27scan_by_key_config_selectorIiiEEZZNS1_16scan_by_key_implILNS1_25lookback_scan_determinismE0ELb1ES3_N6thrust23THRUST_200600_302600_NS6detail15normal_iteratorINS9_10device_ptrIiEEEESE_SE_iNS9_10multipliesIiEENS9_8equal_toIiEEiEE10hipError_tPvRmT2_T3_T4_T5_mT6_T7_P12ihipStream_tbENKUlT_T0_E_clISt17integral_constantIbLb0EESY_IbLb1EEEEDaSU_SV_EUlSU_E_NS1_11comp_targetILNS1_3genE8ELNS1_11target_archE1030ELNS1_3gpuE2ELNS1_3repE0EEENS1_30default_config_static_selectorELNS0_4arch9wavefront6targetE0EEEvT1_.num_agpr, 0
	.set _ZN7rocprim17ROCPRIM_400000_NS6detail17trampoline_kernelINS0_14default_configENS1_27scan_by_key_config_selectorIiiEEZZNS1_16scan_by_key_implILNS1_25lookback_scan_determinismE0ELb1ES3_N6thrust23THRUST_200600_302600_NS6detail15normal_iteratorINS9_10device_ptrIiEEEESE_SE_iNS9_10multipliesIiEENS9_8equal_toIiEEiEE10hipError_tPvRmT2_T3_T4_T5_mT6_T7_P12ihipStream_tbENKUlT_T0_E_clISt17integral_constantIbLb0EESY_IbLb1EEEEDaSU_SV_EUlSU_E_NS1_11comp_targetILNS1_3genE8ELNS1_11target_archE1030ELNS1_3gpuE2ELNS1_3repE0EEENS1_30default_config_static_selectorELNS0_4arch9wavefront6targetE0EEEvT1_.numbered_sgpr, 0
	.set _ZN7rocprim17ROCPRIM_400000_NS6detail17trampoline_kernelINS0_14default_configENS1_27scan_by_key_config_selectorIiiEEZZNS1_16scan_by_key_implILNS1_25lookback_scan_determinismE0ELb1ES3_N6thrust23THRUST_200600_302600_NS6detail15normal_iteratorINS9_10device_ptrIiEEEESE_SE_iNS9_10multipliesIiEENS9_8equal_toIiEEiEE10hipError_tPvRmT2_T3_T4_T5_mT6_T7_P12ihipStream_tbENKUlT_T0_E_clISt17integral_constantIbLb0EESY_IbLb1EEEEDaSU_SV_EUlSU_E_NS1_11comp_targetILNS1_3genE8ELNS1_11target_archE1030ELNS1_3gpuE2ELNS1_3repE0EEENS1_30default_config_static_selectorELNS0_4arch9wavefront6targetE0EEEvT1_.num_named_barrier, 0
	.set _ZN7rocprim17ROCPRIM_400000_NS6detail17trampoline_kernelINS0_14default_configENS1_27scan_by_key_config_selectorIiiEEZZNS1_16scan_by_key_implILNS1_25lookback_scan_determinismE0ELb1ES3_N6thrust23THRUST_200600_302600_NS6detail15normal_iteratorINS9_10device_ptrIiEEEESE_SE_iNS9_10multipliesIiEENS9_8equal_toIiEEiEE10hipError_tPvRmT2_T3_T4_T5_mT6_T7_P12ihipStream_tbENKUlT_T0_E_clISt17integral_constantIbLb0EESY_IbLb1EEEEDaSU_SV_EUlSU_E_NS1_11comp_targetILNS1_3genE8ELNS1_11target_archE1030ELNS1_3gpuE2ELNS1_3repE0EEENS1_30default_config_static_selectorELNS0_4arch9wavefront6targetE0EEEvT1_.private_seg_size, 0
	.set _ZN7rocprim17ROCPRIM_400000_NS6detail17trampoline_kernelINS0_14default_configENS1_27scan_by_key_config_selectorIiiEEZZNS1_16scan_by_key_implILNS1_25lookback_scan_determinismE0ELb1ES3_N6thrust23THRUST_200600_302600_NS6detail15normal_iteratorINS9_10device_ptrIiEEEESE_SE_iNS9_10multipliesIiEENS9_8equal_toIiEEiEE10hipError_tPvRmT2_T3_T4_T5_mT6_T7_P12ihipStream_tbENKUlT_T0_E_clISt17integral_constantIbLb0EESY_IbLb1EEEEDaSU_SV_EUlSU_E_NS1_11comp_targetILNS1_3genE8ELNS1_11target_archE1030ELNS1_3gpuE2ELNS1_3repE0EEENS1_30default_config_static_selectorELNS0_4arch9wavefront6targetE0EEEvT1_.uses_vcc, 0
	.set _ZN7rocprim17ROCPRIM_400000_NS6detail17trampoline_kernelINS0_14default_configENS1_27scan_by_key_config_selectorIiiEEZZNS1_16scan_by_key_implILNS1_25lookback_scan_determinismE0ELb1ES3_N6thrust23THRUST_200600_302600_NS6detail15normal_iteratorINS9_10device_ptrIiEEEESE_SE_iNS9_10multipliesIiEENS9_8equal_toIiEEiEE10hipError_tPvRmT2_T3_T4_T5_mT6_T7_P12ihipStream_tbENKUlT_T0_E_clISt17integral_constantIbLb0EESY_IbLb1EEEEDaSU_SV_EUlSU_E_NS1_11comp_targetILNS1_3genE8ELNS1_11target_archE1030ELNS1_3gpuE2ELNS1_3repE0EEENS1_30default_config_static_selectorELNS0_4arch9wavefront6targetE0EEEvT1_.uses_flat_scratch, 0
	.set _ZN7rocprim17ROCPRIM_400000_NS6detail17trampoline_kernelINS0_14default_configENS1_27scan_by_key_config_selectorIiiEEZZNS1_16scan_by_key_implILNS1_25lookback_scan_determinismE0ELb1ES3_N6thrust23THRUST_200600_302600_NS6detail15normal_iteratorINS9_10device_ptrIiEEEESE_SE_iNS9_10multipliesIiEENS9_8equal_toIiEEiEE10hipError_tPvRmT2_T3_T4_T5_mT6_T7_P12ihipStream_tbENKUlT_T0_E_clISt17integral_constantIbLb0EESY_IbLb1EEEEDaSU_SV_EUlSU_E_NS1_11comp_targetILNS1_3genE8ELNS1_11target_archE1030ELNS1_3gpuE2ELNS1_3repE0EEENS1_30default_config_static_selectorELNS0_4arch9wavefront6targetE0EEEvT1_.has_dyn_sized_stack, 0
	.set _ZN7rocprim17ROCPRIM_400000_NS6detail17trampoline_kernelINS0_14default_configENS1_27scan_by_key_config_selectorIiiEEZZNS1_16scan_by_key_implILNS1_25lookback_scan_determinismE0ELb1ES3_N6thrust23THRUST_200600_302600_NS6detail15normal_iteratorINS9_10device_ptrIiEEEESE_SE_iNS9_10multipliesIiEENS9_8equal_toIiEEiEE10hipError_tPvRmT2_T3_T4_T5_mT6_T7_P12ihipStream_tbENKUlT_T0_E_clISt17integral_constantIbLb0EESY_IbLb1EEEEDaSU_SV_EUlSU_E_NS1_11comp_targetILNS1_3genE8ELNS1_11target_archE1030ELNS1_3gpuE2ELNS1_3repE0EEENS1_30default_config_static_selectorELNS0_4arch9wavefront6targetE0EEEvT1_.has_recursion, 0
	.set _ZN7rocprim17ROCPRIM_400000_NS6detail17trampoline_kernelINS0_14default_configENS1_27scan_by_key_config_selectorIiiEEZZNS1_16scan_by_key_implILNS1_25lookback_scan_determinismE0ELb1ES3_N6thrust23THRUST_200600_302600_NS6detail15normal_iteratorINS9_10device_ptrIiEEEESE_SE_iNS9_10multipliesIiEENS9_8equal_toIiEEiEE10hipError_tPvRmT2_T3_T4_T5_mT6_T7_P12ihipStream_tbENKUlT_T0_E_clISt17integral_constantIbLb0EESY_IbLb1EEEEDaSU_SV_EUlSU_E_NS1_11comp_targetILNS1_3genE8ELNS1_11target_archE1030ELNS1_3gpuE2ELNS1_3repE0EEENS1_30default_config_static_selectorELNS0_4arch9wavefront6targetE0EEEvT1_.has_indirect_call, 0
	.section	.AMDGPU.csdata,"",@progbits
; Kernel info:
; codeLenInByte = 0
; TotalNumSgprs: 0
; NumVgprs: 0
; ScratchSize: 0
; MemoryBound: 0
; FloatMode: 240
; IeeeMode: 1
; LDSByteSize: 0 bytes/workgroup (compile time only)
; SGPRBlocks: 0
; VGPRBlocks: 0
; NumSGPRsForWavesPerEU: 1
; NumVGPRsForWavesPerEU: 1
; NamedBarCnt: 0
; Occupancy: 16
; WaveLimiterHint : 0
; COMPUTE_PGM_RSRC2:SCRATCH_EN: 0
; COMPUTE_PGM_RSRC2:USER_SGPR: 2
; COMPUTE_PGM_RSRC2:TRAP_HANDLER: 0
; COMPUTE_PGM_RSRC2:TGID_X_EN: 1
; COMPUTE_PGM_RSRC2:TGID_Y_EN: 0
; COMPUTE_PGM_RSRC2:TGID_Z_EN: 0
; COMPUTE_PGM_RSRC2:TIDIG_COMP_CNT: 0
	.section	.text._ZN7rocprim17ROCPRIM_400000_NS6detail17trampoline_kernelINS0_14default_configENS1_27scan_by_key_config_selectorIiiEEZZNS1_16scan_by_key_implILNS1_25lookback_scan_determinismE0ELb1ES3_N6thrust23THRUST_200600_302600_NS6detail15normal_iteratorINS9_10device_ptrIiEEEESE_SE_iNS9_4plusIvEENS9_8equal_toIiEEiEE10hipError_tPvRmT2_T3_T4_T5_mT6_T7_P12ihipStream_tbENKUlT_T0_E_clISt17integral_constantIbLb0EESZ_EEDaSU_SV_EUlSU_E_NS1_11comp_targetILNS1_3genE0ELNS1_11target_archE4294967295ELNS1_3gpuE0ELNS1_3repE0EEENS1_30default_config_static_selectorELNS0_4arch9wavefront6targetE0EEEvT1_,"axG",@progbits,_ZN7rocprim17ROCPRIM_400000_NS6detail17trampoline_kernelINS0_14default_configENS1_27scan_by_key_config_selectorIiiEEZZNS1_16scan_by_key_implILNS1_25lookback_scan_determinismE0ELb1ES3_N6thrust23THRUST_200600_302600_NS6detail15normal_iteratorINS9_10device_ptrIiEEEESE_SE_iNS9_4plusIvEENS9_8equal_toIiEEiEE10hipError_tPvRmT2_T3_T4_T5_mT6_T7_P12ihipStream_tbENKUlT_T0_E_clISt17integral_constantIbLb0EESZ_EEDaSU_SV_EUlSU_E_NS1_11comp_targetILNS1_3genE0ELNS1_11target_archE4294967295ELNS1_3gpuE0ELNS1_3repE0EEENS1_30default_config_static_selectorELNS0_4arch9wavefront6targetE0EEEvT1_,comdat
	.protected	_ZN7rocprim17ROCPRIM_400000_NS6detail17trampoline_kernelINS0_14default_configENS1_27scan_by_key_config_selectorIiiEEZZNS1_16scan_by_key_implILNS1_25lookback_scan_determinismE0ELb1ES3_N6thrust23THRUST_200600_302600_NS6detail15normal_iteratorINS9_10device_ptrIiEEEESE_SE_iNS9_4plusIvEENS9_8equal_toIiEEiEE10hipError_tPvRmT2_T3_T4_T5_mT6_T7_P12ihipStream_tbENKUlT_T0_E_clISt17integral_constantIbLb0EESZ_EEDaSU_SV_EUlSU_E_NS1_11comp_targetILNS1_3genE0ELNS1_11target_archE4294967295ELNS1_3gpuE0ELNS1_3repE0EEENS1_30default_config_static_selectorELNS0_4arch9wavefront6targetE0EEEvT1_ ; -- Begin function _ZN7rocprim17ROCPRIM_400000_NS6detail17trampoline_kernelINS0_14default_configENS1_27scan_by_key_config_selectorIiiEEZZNS1_16scan_by_key_implILNS1_25lookback_scan_determinismE0ELb1ES3_N6thrust23THRUST_200600_302600_NS6detail15normal_iteratorINS9_10device_ptrIiEEEESE_SE_iNS9_4plusIvEENS9_8equal_toIiEEiEE10hipError_tPvRmT2_T3_T4_T5_mT6_T7_P12ihipStream_tbENKUlT_T0_E_clISt17integral_constantIbLb0EESZ_EEDaSU_SV_EUlSU_E_NS1_11comp_targetILNS1_3genE0ELNS1_11target_archE4294967295ELNS1_3gpuE0ELNS1_3repE0EEENS1_30default_config_static_selectorELNS0_4arch9wavefront6targetE0EEEvT1_
	.globl	_ZN7rocprim17ROCPRIM_400000_NS6detail17trampoline_kernelINS0_14default_configENS1_27scan_by_key_config_selectorIiiEEZZNS1_16scan_by_key_implILNS1_25lookback_scan_determinismE0ELb1ES3_N6thrust23THRUST_200600_302600_NS6detail15normal_iteratorINS9_10device_ptrIiEEEESE_SE_iNS9_4plusIvEENS9_8equal_toIiEEiEE10hipError_tPvRmT2_T3_T4_T5_mT6_T7_P12ihipStream_tbENKUlT_T0_E_clISt17integral_constantIbLb0EESZ_EEDaSU_SV_EUlSU_E_NS1_11comp_targetILNS1_3genE0ELNS1_11target_archE4294967295ELNS1_3gpuE0ELNS1_3repE0EEENS1_30default_config_static_selectorELNS0_4arch9wavefront6targetE0EEEvT1_
	.p2align	8
	.type	_ZN7rocprim17ROCPRIM_400000_NS6detail17trampoline_kernelINS0_14default_configENS1_27scan_by_key_config_selectorIiiEEZZNS1_16scan_by_key_implILNS1_25lookback_scan_determinismE0ELb1ES3_N6thrust23THRUST_200600_302600_NS6detail15normal_iteratorINS9_10device_ptrIiEEEESE_SE_iNS9_4plusIvEENS9_8equal_toIiEEiEE10hipError_tPvRmT2_T3_T4_T5_mT6_T7_P12ihipStream_tbENKUlT_T0_E_clISt17integral_constantIbLb0EESZ_EEDaSU_SV_EUlSU_E_NS1_11comp_targetILNS1_3genE0ELNS1_11target_archE4294967295ELNS1_3gpuE0ELNS1_3repE0EEENS1_30default_config_static_selectorELNS0_4arch9wavefront6targetE0EEEvT1_,@function
_ZN7rocprim17ROCPRIM_400000_NS6detail17trampoline_kernelINS0_14default_configENS1_27scan_by_key_config_selectorIiiEEZZNS1_16scan_by_key_implILNS1_25lookback_scan_determinismE0ELb1ES3_N6thrust23THRUST_200600_302600_NS6detail15normal_iteratorINS9_10device_ptrIiEEEESE_SE_iNS9_4plusIvEENS9_8equal_toIiEEiEE10hipError_tPvRmT2_T3_T4_T5_mT6_T7_P12ihipStream_tbENKUlT_T0_E_clISt17integral_constantIbLb0EESZ_EEDaSU_SV_EUlSU_E_NS1_11comp_targetILNS1_3genE0ELNS1_11target_archE4294967295ELNS1_3gpuE0ELNS1_3repE0EEENS1_30default_config_static_selectorELNS0_4arch9wavefront6targetE0EEEvT1_: ; @_ZN7rocprim17ROCPRIM_400000_NS6detail17trampoline_kernelINS0_14default_configENS1_27scan_by_key_config_selectorIiiEEZZNS1_16scan_by_key_implILNS1_25lookback_scan_determinismE0ELb1ES3_N6thrust23THRUST_200600_302600_NS6detail15normal_iteratorINS9_10device_ptrIiEEEESE_SE_iNS9_4plusIvEENS9_8equal_toIiEEiEE10hipError_tPvRmT2_T3_T4_T5_mT6_T7_P12ihipStream_tbENKUlT_T0_E_clISt17integral_constantIbLb0EESZ_EEDaSU_SV_EUlSU_E_NS1_11comp_targetILNS1_3genE0ELNS1_11target_archE4294967295ELNS1_3gpuE0ELNS1_3repE0EEENS1_30default_config_static_selectorELNS0_4arch9wavefront6targetE0EEEvT1_
; %bb.0:
	s_clause 0x2
	s_load_b96 s[24:26], s[0:1], 0x38
	s_load_b256 s[8:15], s[0:1], 0x0
	s_load_b128 s[20:23], s[0:1], 0x48
	s_bfe_u32 s4, ttmp6, 0x4000c
	s_delay_alu instid0(SALU_CYCLE_1)
	s_add_co_i32 s4, s4, 1
	s_clause 0x1
	s_load_b32 s33, s[0:1], 0x20
	s_load_b128 s[16:19], s[0:1], 0x28
	s_and_b32 s2, ttmp6, 15
	s_wait_xcnt 0x0
	s_mul_i32 s0, ttmp9, s4
	s_getreg_b32 s5, hwreg(HW_REG_IB_STS2, 6, 4)
	s_add_co_i32 s6, s2, s0
	s_mov_b32 s3, 0
	s_barrier_signal -1
	s_mov_b32 s29, s3
	s_barrier_wait -1
	s_wait_kmcnt 0x0
	s_mov_b32 s2, s26
	s_lshl_b64 s[26:27], s[10:11], 2
	s_cmp_eq_u32 s5, 0
	s_mul_u64 s[4:5], s[24:25], s[2:3]
	s_cselect_b32 s28, ttmp9, s6
	s_add_nc_u64 s[0:1], s[8:9], s[26:27]
	s_add_nc_u64 s[4:5], s[4:5], s[28:29]
	s_add_nc_u64 s[8:9], s[20:21], -1
	s_mul_i32 s2, s28, 0xc00
	v_cmp_ge_u64_e64 s19, s[4:5], s[8:9]
	s_add_nc_u64 s[6:7], s[12:13], s[26:27]
	s_lshl_b64 s[20:21], s[2:3], 2
	s_mul_i32 s29, s8, 0xfffff400
	s_add_nc_u64 s[30:31], s[0:1], s[20:21]
	s_add_nc_u64 s[12:13], s[6:7], s[20:21]
	s_and_b32 vcc_lo, exec_lo, s19
	s_cbranch_vccz .LBB533_66
; %bb.1:
	v_mov_b32_e32 v1, 0
	s_add_co_i32 s34, s29, s18
	s_delay_alu instid0(SALU_CYCLE_1)
	v_cmp_gt_u32_e32 vcc_lo, s34, v0
	flat_load_b32 v1, v1, s[30:31]
	s_wait_loadcnt_dscnt 0x0
	v_mov_b32_e32 v2, v1
	s_and_saveexec_b32 s0, vcc_lo
	s_cbranch_execz .LBB533_3
; %bb.2:
	flat_load_b32 v2, v0, s[30:31] scale_offset
.LBB533_3:
	s_wait_xcnt 0x0
	s_or_b32 exec_lo, exec_lo, s0
	v_or_b32_e32 v3, 0x100, v0
	s_delay_alu instid0(VALU_DEP_1)
	v_cmp_gt_u32_e64 s0, s34, v3
	v_mov_b32_e32 v3, v1
	s_and_saveexec_b32 s1, s0
	s_cbranch_execz .LBB533_5
; %bb.4:
	flat_load_b32 v3, v0, s[30:31] offset:1024 scale_offset
.LBB533_5:
	s_wait_xcnt 0x0
	s_or_b32 exec_lo, exec_lo, s1
	v_or_b32_e32 v4, 0x200, v0
	s_delay_alu instid0(VALU_DEP_1)
	v_cmp_gt_u32_e64 s1, s34, v4
	v_mov_b32_e32 v4, v1
	s_and_saveexec_b32 s2, s1
	s_cbranch_execz .LBB533_7
; %bb.6:
	flat_load_b32 v4, v0, s[30:31] offset:2048 scale_offset
.LBB533_7:
	s_wait_xcnt 0x0
	s_or_b32 exec_lo, exec_lo, s2
	v_or_b32_e32 v5, 0x300, v0
	s_delay_alu instid0(VALU_DEP_1)
	v_cmp_gt_u32_e64 s2, s34, v5
	v_mov_b32_e32 v5, v1
	s_and_saveexec_b32 s3, s2
	s_cbranch_execz .LBB533_9
; %bb.8:
	flat_load_b32 v5, v0, s[30:31] offset:3072 scale_offset
.LBB533_9:
	s_wait_xcnt 0x0
	s_or_b32 exec_lo, exec_lo, s3
	v_or_b32_e32 v6, 0x400, v0
	s_delay_alu instid0(VALU_DEP_1)
	v_cmp_gt_u32_e64 s3, s34, v6
	v_mov_b32_e32 v6, v1
	s_and_saveexec_b32 s4, s3
	s_cbranch_execz .LBB533_11
; %bb.10:
	flat_load_b32 v6, v0, s[30:31] offset:4096 scale_offset
.LBB533_11:
	s_wait_xcnt 0x0
	s_or_b32 exec_lo, exec_lo, s4
	v_or_b32_e32 v7, 0x500, v0
	s_delay_alu instid0(VALU_DEP_1)
	v_cmp_gt_u32_e64 s4, s34, v7
	v_mov_b32_e32 v7, v1
	s_and_saveexec_b32 s5, s4
	s_cbranch_execz .LBB533_13
; %bb.12:
	flat_load_b32 v7, v0, s[30:31] offset:5120 scale_offset
.LBB533_13:
	s_wait_xcnt 0x0
	s_or_b32 exec_lo, exec_lo, s5
	v_or_b32_e32 v8, 0x600, v0
	s_delay_alu instid0(VALU_DEP_1)
	v_cmp_gt_u32_e64 s5, s34, v8
	v_mov_b32_e32 v8, v1
	s_and_saveexec_b32 s6, s5
	s_cbranch_execz .LBB533_15
; %bb.14:
	flat_load_b32 v8, v0, s[30:31] offset:6144 scale_offset
.LBB533_15:
	s_wait_xcnt 0x0
	s_or_b32 exec_lo, exec_lo, s6
	v_or_b32_e32 v9, 0x700, v0
	s_delay_alu instid0(VALU_DEP_1)
	v_cmp_gt_u32_e64 s6, s34, v9
	v_mov_b32_e32 v9, v1
	s_and_saveexec_b32 s7, s6
	s_cbranch_execz .LBB533_17
; %bb.16:
	flat_load_b32 v9, v0, s[30:31] offset:7168 scale_offset
.LBB533_17:
	s_wait_xcnt 0x0
	s_or_b32 exec_lo, exec_lo, s7
	v_or_b32_e32 v10, 0x800, v0
	s_delay_alu instid0(VALU_DEP_1)
	v_cmp_gt_u32_e64 s7, s34, v10
	v_mov_b32_e32 v10, v1
	s_and_saveexec_b32 s8, s7
	s_cbranch_execz .LBB533_19
; %bb.18:
	flat_load_b32 v10, v0, s[30:31] offset:8192 scale_offset
.LBB533_19:
	s_wait_xcnt 0x0
	s_or_b32 exec_lo, exec_lo, s8
	v_or_b32_e32 v11, 0x900, v0
	s_delay_alu instid0(VALU_DEP_1)
	v_cmp_gt_u32_e64 s8, s34, v11
	v_mov_b32_e32 v11, v1
	s_and_saveexec_b32 s9, s8
	s_cbranch_execz .LBB533_21
; %bb.20:
	flat_load_b32 v11, v0, s[30:31] offset:9216 scale_offset
.LBB533_21:
	s_wait_xcnt 0x0
	s_or_b32 exec_lo, exec_lo, s9
	v_or_b32_e32 v12, 0xa00, v0
	s_delay_alu instid0(VALU_DEP_1)
	v_cmp_gt_u32_e64 s9, s34, v12
	v_mov_b32_e32 v12, v1
	s_and_saveexec_b32 s10, s9
	s_cbranch_execz .LBB533_23
; %bb.22:
	flat_load_b32 v12, v0, s[30:31] offset:10240 scale_offset
.LBB533_23:
	s_wait_xcnt 0x0
	s_or_b32 exec_lo, exec_lo, s10
	v_or_b32_e32 v13, 0xb00, v0
	s_delay_alu instid0(VALU_DEP_1) | instskip(SKIP_2) | instid1(SALU_CYCLE_1)
	v_cmp_gt_u32_e64 s10, s34, v13
	v_cmp_le_u32_e64 s11, s34, v13
	s_and_saveexec_b32 s35, s11
	s_xor_b32 s11, exec_lo, s35
	s_delay_alu instid0(SALU_CYCLE_1)
	s_and_not1_saveexec_b32 s11, s11
	s_cbranch_execz .LBB533_25
; %bb.24:
	flat_load_b32 v1, v0, s[30:31] offset:11264 scale_offset
.LBB533_25:
	s_wait_xcnt 0x0
	s_or_b32 exec_lo, exec_lo, s11
	v_lshlrev_b32_e32 v14, 2, v0
	s_mov_b32 s35, exec_lo
	s_wait_loadcnt_dscnt 0x0
	ds_store_2addr_stride64_b32 v14, v2, v3 offset1:4
	ds_store_2addr_stride64_b32 v14, v4, v5 offset0:8 offset1:12
	ds_store_2addr_stride64_b32 v14, v6, v7 offset0:16 offset1:20
	;; [unrolled: 1-line block ×5, first 2 shown]
	v_mov_b32_e32 v1, 0
	s_wait_dscnt 0x0
	s_barrier_signal -1
	s_barrier_wait -1
	flat_load_b32 v38, v1, s[30:31]
	s_wait_xcnt 0x0
	v_mad_u32_u24 v1, v0, 44, v14
	ds_load_b128 v[10:13], v1
	ds_load_b128 v[6:9], v1 offset:16
	ds_load_b128 v[2:5], v1 offset:32
	v_mad_i32_i24 v15, 0xffffffd4, v0, v1
	s_wait_dscnt 0x2
	ds_store_b32 v15, v10 offset:13312
	s_wait_loadcnt_dscnt 0x0
	s_barrier_signal -1
	s_barrier_wait -1
	v_cmpx_ne_u32_e32 0xff, v0
; %bb.26:
	v_mul_i32_i24_e32 v15, 0xffffffd4, v0
	s_delay_alu instid0(VALU_DEP_1)
	v_add_nc_u32_e32 v15, v1, v15
	ds_load_b32 v38, v15 offset:13316
; %bb.27:
	s_or_b32 exec_lo, exec_lo, s35
	s_wait_dscnt 0x0
	s_barrier_signal -1
	s_barrier_wait -1
                                        ; implicit-def: $vgpr15
	s_and_saveexec_b32 s11, vcc_lo
	s_cbranch_execz .LBB533_102
; %bb.28:
	flat_load_b32 v15, v0, s[12:13] scale_offset
	s_wait_xcnt 0x0
	s_or_b32 exec_lo, exec_lo, s11
                                        ; implicit-def: $vgpr16
	s_and_saveexec_b32 s11, s0
	s_cbranch_execnz .LBB533_103
.LBB533_29:
	s_or_b32 exec_lo, exec_lo, s11
                                        ; implicit-def: $vgpr17
	s_and_saveexec_b32 s0, s1
	s_cbranch_execz .LBB533_104
.LBB533_30:
	flat_load_b32 v17, v0, s[12:13] offset:2048 scale_offset
	s_wait_xcnt 0x0
	s_or_b32 exec_lo, exec_lo, s0
                                        ; implicit-def: $vgpr18
	s_and_saveexec_b32 s0, s2
	s_cbranch_execnz .LBB533_105
.LBB533_31:
	s_or_b32 exec_lo, exec_lo, s0
                                        ; implicit-def: $vgpr19
	s_and_saveexec_b32 s0, s3
	s_cbranch_execz .LBB533_106
.LBB533_32:
	flat_load_b32 v19, v0, s[12:13] offset:4096 scale_offset
	s_wait_xcnt 0x0
	s_or_b32 exec_lo, exec_lo, s0
                                        ; implicit-def: $vgpr20
	s_and_saveexec_b32 s0, s4
	s_cbranch_execnz .LBB533_107
.LBB533_33:
	s_or_b32 exec_lo, exec_lo, s0
                                        ; implicit-def: $vgpr21
	s_and_saveexec_b32 s0, s5
	s_cbranch_execz .LBB533_108
.LBB533_34:
	flat_load_b32 v21, v0, s[12:13] offset:6144 scale_offset
	s_wait_xcnt 0x0
	s_or_b32 exec_lo, exec_lo, s0
                                        ; implicit-def: $vgpr22
	s_and_saveexec_b32 s0, s6
	s_cbranch_execnz .LBB533_109
.LBB533_35:
	s_or_b32 exec_lo, exec_lo, s0
                                        ; implicit-def: $vgpr23
	s_and_saveexec_b32 s0, s7
	s_cbranch_execz .LBB533_110
.LBB533_36:
	flat_load_b32 v23, v0, s[12:13] offset:8192 scale_offset
	s_wait_xcnt 0x0
	s_or_b32 exec_lo, exec_lo, s0
                                        ; implicit-def: $vgpr24
	s_and_saveexec_b32 s0, s8
	s_cbranch_execnz .LBB533_111
.LBB533_37:
	s_or_b32 exec_lo, exec_lo, s0
                                        ; implicit-def: $vgpr25
	s_and_saveexec_b32 s0, s9
	s_cbranch_execz .LBB533_39
.LBB533_38:
	flat_load_b32 v25, v0, s[12:13] offset:10240 scale_offset
.LBB533_39:
	s_wait_xcnt 0x0
	s_or_b32 exec_lo, exec_lo, s0
	v_mul_u32_u24_e32 v39, 12, v0
                                        ; implicit-def: $vgpr26
	s_and_saveexec_b32 s0, s10
	s_cbranch_execz .LBB533_41
; %bb.40:
	flat_load_b32 v26, v0, s[12:13] offset:11264 scale_offset
.LBB533_41:
	s_wait_xcnt 0x0
	s_or_b32 exec_lo, exec_lo, s0
	s_wait_loadcnt_dscnt 0x0
	ds_store_2addr_stride64_b32 v14, v15, v16 offset1:4
	ds_store_2addr_stride64_b32 v14, v17, v18 offset0:8 offset1:12
	ds_store_2addr_stride64_b32 v14, v19, v20 offset0:16 offset1:20
	;; [unrolled: 1-line block ×5, first 2 shown]
	v_mov_b64_e32 v[14:15], 0
	v_mov_b64_e32 v[42:43], 0
	;; [unrolled: 1-line block ×21, first 2 shown]
	s_mov_b32 s0, 0
	s_mov_b32 s3, 0
	s_mov_b32 s1, exec_lo
	s_wait_dscnt 0x0
	s_barrier_signal -1
	s_barrier_wait -1
                                        ; implicit-def: $sgpr2
                                        ; implicit-def: $vgpr60
	v_cmpx_gt_u32_e64 s34, v39
	s_cbranch_execz .LBB533_65
; %bb.42:
	ds_load_b32 v14, v1
	v_cmp_eq_u32_e32 vcc_lo, v10, v11
	v_or_b32_e32 v16, 1, v39
	v_mov_b64_e32 v[42:43], 0
	v_mov_b64_e32 v[40:41], 0
	;; [unrolled: 1-line block ×17, first 2 shown]
	s_wait_dscnt 0x0
	v_cndmask_b32_e32 v14, s33, v14, vcc_lo
	v_cmp_ne_u32_e32 vcc_lo, v10, v11
	v_mov_b64_e32 v[20:21], 0
	v_mov_b64_e32 v[18:19], 0
	s_mov_b32 s4, 0
	s_mov_b32 s3, exec_lo
	v_cndmask_b32_e64 v15, 0, 1, vcc_lo
                                        ; implicit-def: $sgpr2
                                        ; implicit-def: $vgpr60
	v_cmpx_gt_u32_e64 s34, v16
	s_cbranch_execz .LBB533_64
; %bb.43:
	ds_load_2addr_b32 v[16:17], v1 offset0:1 offset1:2
	v_cmp_eq_u32_e32 vcc_lo, v11, v12
	v_or_b32_e32 v10, 2, v39
	v_mov_b64_e32 v[40:41], 0
	v_mov_b64_e32 v[44:45], 0
	;; [unrolled: 1-line block ×17, first 2 shown]
	s_wait_dscnt 0x0
	v_cndmask_b32_e32 v42, s33, v16, vcc_lo
	v_cmp_ne_u32_e32 vcc_lo, v11, v12
	s_mov_b32 s5, 0
	s_mov_b32 s4, exec_lo
                                        ; implicit-def: $sgpr2
                                        ; implicit-def: $vgpr60
	v_cndmask_b32_e64 v43, 0, 1, vcc_lo
	v_cmpx_gt_u32_e64 s34, v10
	s_cbranch_execz .LBB533_63
; %bb.44:
	v_cmp_eq_u32_e32 vcc_lo, v12, v13
	v_mov_b64_e32 v[44:45], 0
	v_mov_b64_e32 v[46:47], 0
	;; [unrolled: 1-line block ×4, first 2 shown]
	v_dual_cndmask_b32 v40, s33, v17, vcc_lo :: v_dual_bitop2_b32 v10, 3, v39 bitop3:0x54
	v_cmp_ne_u32_e32 vcc_lo, v12, v13
	v_mov_b64_e32 v[52:53], 0
	v_mov_b64_e32 v[54:55], 0
	;; [unrolled: 1-line block ×11, first 2 shown]
	v_cndmask_b32_e64 v41, 0, 1, vcc_lo
	s_mov_b32 s6, 0
	s_mov_b32 s5, exec_lo
                                        ; implicit-def: $sgpr2
                                        ; implicit-def: $vgpr60
	v_cmpx_gt_u32_e64 s34, v10
	s_cbranch_execz .LBB533_62
; %bb.45:
	ds_load_2addr_b32 v[10:11], v1 offset0:3 offset1:4
	v_cmp_ne_u32_e32 vcc_lo, v13, v6
	v_mov_b64_e32 v[46:47], 0
	v_mov_b64_e32 v[48:49], 0
	;; [unrolled: 1-line block ×4, first 2 shown]
	v_cndmask_b32_e64 v45, 0, 1, vcc_lo
	v_cmp_eq_u32_e32 vcc_lo, v13, v6
	v_mov_b64_e32 v[54:55], 0
	v_mov_b64_e32 v[56:57], 0
	;; [unrolled: 1-line block ×9, first 2 shown]
	v_add_nc_u32_e32 v12, 4, v39
	s_mov_b32 s7, 0
	s_mov_b32 s6, exec_lo
	s_wait_dscnt 0x0
	v_cndmask_b32_e32 v44, s33, v10, vcc_lo
                                        ; implicit-def: $sgpr2
                                        ; implicit-def: $vgpr60
	v_cmpx_gt_u32_e64 s34, v12
	s_cbranch_execz .LBB533_61
; %bb.46:
	v_cmp_eq_u32_e32 vcc_lo, v6, v7
	v_mov_b64_e32 v[48:49], 0
	v_mov_b64_e32 v[50:51], 0
	;; [unrolled: 1-line block ×4, first 2 shown]
	v_cndmask_b32_e32 v46, s33, v11, vcc_lo
	v_cmp_ne_u32_e32 vcc_lo, v6, v7
	v_mov_b64_e32 v[56:57], 0
	v_mov_b64_e32 v[58:59], 0
	;; [unrolled: 1-line block ×7, first 2 shown]
	v_add_nc_u32_e32 v10, 5, v39
	v_cndmask_b32_e64 v47, 0, 1, vcc_lo
	s_mov_b32 s8, 0
	s_mov_b32 s7, exec_lo
                                        ; implicit-def: $sgpr2
                                        ; implicit-def: $vgpr60
	s_delay_alu instid0(VALU_DEP_2)
	v_cmpx_gt_u32_e64 s34, v10
	s_cbranch_execz .LBB533_60
; %bb.47:
	ds_load_2addr_b32 v[10:11], v1 offset0:5 offset1:6
	v_cmp_ne_u32_e32 vcc_lo, v7, v8
	v_mov_b64_e32 v[50:51], 0
	v_mov_b64_e32 v[52:53], 0
	;; [unrolled: 1-line block ×4, first 2 shown]
	v_cndmask_b32_e64 v49, 0, 1, vcc_lo
	v_cmp_eq_u32_e32 vcc_lo, v7, v8
	v_mov_b64_e32 v[58:59], 0
	v_mov_b64_e32 v[24:25], 0
	;; [unrolled: 1-line block ×5, first 2 shown]
	v_add_nc_u32_e32 v6, 6, v39
	s_mov_b32 s9, 0
	s_mov_b32 s8, exec_lo
                                        ; implicit-def: $sgpr2
                                        ; implicit-def: $vgpr60
	s_wait_dscnt 0x0
	v_cndmask_b32_e32 v48, s33, v10, vcc_lo
	v_cmpx_gt_u32_e64 s34, v6
	s_cbranch_execz .LBB533_59
; %bb.48:
	v_cmp_eq_u32_e32 vcc_lo, v8, v9
	v_mov_b64_e32 v[52:53], 0
	v_mov_b64_e32 v[54:55], 0
	;; [unrolled: 1-line block ×4, first 2 shown]
	v_cndmask_b32_e32 v50, s33, v11, vcc_lo
	v_cmp_ne_u32_e32 vcc_lo, v8, v9
	v_mov_b64_e32 v[22:23], 0
	v_mov_b64_e32 v[20:21], 0
	;; [unrolled: 1-line block ×3, first 2 shown]
	v_add_nc_u32_e32 v6, 7, v39
	v_cndmask_b32_e64 v51, 0, 1, vcc_lo
	s_mov_b32 s10, 0
	s_mov_b32 s9, exec_lo
                                        ; implicit-def: $sgpr2
                                        ; implicit-def: $vgpr60
	s_delay_alu instid0(VALU_DEP_2)
	v_cmpx_gt_u32_e64 s34, v6
	s_cbranch_execz .LBB533_58
; %bb.49:
	ds_load_2addr_b32 v[6:7], v1 offset0:7 offset1:8
	v_cmp_ne_u32_e32 vcc_lo, v9, v2
	v_mov_b64_e32 v[54:55], 0
	v_mov_b64_e32 v[56:57], 0
	v_mov_b64_e32 v[58:59], 0
	v_mov_b64_e32 v[20:21], 0
	v_cndmask_b32_e64 v53, 0, 1, vcc_lo
	v_cmp_eq_u32_e32 vcc_lo, v9, v2
	v_mov_b64_e32 v[18:19], 0
	v_add_nc_u32_e32 v8, 8, v39
	s_mov_b32 s11, 0
	s_mov_b32 s10, exec_lo
                                        ; implicit-def: $sgpr2
                                        ; implicit-def: $vgpr60
	s_wait_dscnt 0x0
	v_cndmask_b32_e32 v52, s33, v6, vcc_lo
	v_cmpx_gt_u32_e64 s34, v8
	s_cbranch_execz .LBB533_57
; %bb.50:
	v_cmp_eq_u32_e32 vcc_lo, v2, v3
	v_mov_b64_e32 v[56:57], 0
	v_mov_b64_e32 v[58:59], 0
	;; [unrolled: 1-line block ×3, first 2 shown]
	v_add_nc_u32_e32 v6, 9, v39
	v_cndmask_b32_e32 v54, s33, v7, vcc_lo
	v_cmp_ne_u32_e32 vcc_lo, v2, v3
	s_mov_b32 s35, 0
	s_mov_b32 s11, exec_lo
                                        ; implicit-def: $sgpr2
                                        ; implicit-def: $vgpr60
	v_cndmask_b32_e64 v55, 0, 1, vcc_lo
	v_cmpx_gt_u32_e64 s34, v6
	s_cbranch_execz .LBB533_56
; %bb.51:
	ds_load_2addr_b32 v[6:7], v1 offset0:9 offset1:10
	v_cmp_ne_u32_e32 vcc_lo, v3, v4
	v_mov_b64_e32 v[58:59], 0
	s_mov_b32 s36, 0
	s_mov_b32 s35, exec_lo
                                        ; implicit-def: $sgpr2
                                        ; implicit-def: $vgpr60
	v_cndmask_b32_e64 v57, 0, 1, vcc_lo
	v_cmp_eq_u32_e32 vcc_lo, v3, v4
	s_wait_dscnt 0x0
	v_dual_add_nc_u32 v2, 10, v39 :: v_dual_cndmask_b32 v56, s33, v6, vcc_lo
	s_delay_alu instid0(VALU_DEP_1)
	v_cmpx_gt_u32_e64 s34, v2
	s_cbranch_execz .LBB533_55
; %bb.52:
	v_cmp_eq_u32_e32 vcc_lo, v4, v5
	v_add_nc_u32_e32 v2, 11, v39
                                        ; implicit-def: $sgpr2
                                        ; implicit-def: $vgpr60
	v_cndmask_b32_e32 v58, s33, v7, vcc_lo
	v_cmp_ne_u32_e32 vcc_lo, v4, v5
	v_cndmask_b32_e64 v59, 0, 1, vcc_lo
	s_delay_alu instid0(VALU_DEP_4) | instskip(SKIP_2) | instid1(SALU_CYCLE_1)
	v_cmp_gt_u32_e32 vcc_lo, s34, v2
	s_mov_b32 s34, 0
	s_and_saveexec_b32 s36, vcc_lo
	s_xor_b32 s36, exec_lo, s36
	s_cbranch_execz .LBB533_54
; %bb.53:
	ds_load_b32 v1, v1 offset:44
	v_cmp_ne_u32_e64 s2, v5, v38
	s_mov_b32 s34, exec_lo
	s_wait_dscnt 0x0
	v_cndmask_b32_e64 v60, v1, s33, s2
.LBB533_54:
	s_or_b32 exec_lo, exec_lo, s36
	s_delay_alu instid0(SALU_CYCLE_1)
	s_and_b32 s36, s34, exec_lo
.LBB533_55:
	s_or_b32 exec_lo, exec_lo, s35
	v_mov_b64_e32 v[18:19], v[58:59]
	s_and_b32 s35, s36, exec_lo
.LBB533_56:
	s_or_b32 exec_lo, exec_lo, s11
	v_mov_b64_e32 v[20:21], v[56:57]
	s_and_b32 s11, s35, exec_lo
.LBB533_57:
	s_or_b32 exec_lo, exec_lo, s10
	v_mov_b64_e32 v[22:23], v[54:55]
	s_and_b32 s10, s11, exec_lo
.LBB533_58:
	s_or_b32 exec_lo, exec_lo, s9
	v_mov_b64_e32 v[24:25], v[52:53]
	s_and_b32 s9, s10, exec_lo
.LBB533_59:
	s_or_b32 exec_lo, exec_lo, s8
	v_mov_b64_e32 v[26:27], v[50:51]
	s_and_b32 s8, s9, exec_lo
.LBB533_60:
	s_or_b32 exec_lo, exec_lo, s7
	v_mov_b64_e32 v[28:29], v[48:49]
	s_and_b32 s7, s8, exec_lo
.LBB533_61:
	s_or_b32 exec_lo, exec_lo, s6
	v_mov_b64_e32 v[30:31], v[46:47]
	s_and_b32 s6, s7, exec_lo
.LBB533_62:
	s_or_b32 exec_lo, exec_lo, s5
	v_mov_b64_e32 v[32:33], v[44:45]
	s_and_b32 s5, s6, exec_lo
.LBB533_63:
	s_or_b32 exec_lo, exec_lo, s4
	v_mov_b64_e32 v[34:35], v[40:41]
	s_and_b32 s4, s5, exec_lo
.LBB533_64:
	s_or_b32 exec_lo, exec_lo, s3
	v_mov_b64_e32 v[36:37], v[42:43]
	s_and_b32 s3, s4, exec_lo
.LBB533_65:
	s_or_b32 exec_lo, exec_lo, s1
	v_lshlrev_b32_e32 v16, 2, v0
	s_and_b32 vcc_lo, exec_lo, s0
	s_cbranch_vccnz .LBB533_67
	s_branch .LBB533_72
.LBB533_66:
                                        ; implicit-def: $sgpr2
                                        ; implicit-def: $vgpr60
                                        ; implicit-def: $vgpr14_vgpr15
                                        ; implicit-def: $vgpr42_vgpr43
                                        ; implicit-def: $vgpr40_vgpr41
                                        ; implicit-def: $vgpr44_vgpr45
                                        ; implicit-def: $vgpr46_vgpr47
                                        ; implicit-def: $vgpr48_vgpr49
                                        ; implicit-def: $vgpr50_vgpr51
                                        ; implicit-def: $vgpr52_vgpr53
                                        ; implicit-def: $vgpr54_vgpr55
                                        ; implicit-def: $vgpr56_vgpr57
                                        ; implicit-def: $vgpr58_vgpr59
                                        ; implicit-def: $vgpr36_vgpr37
                                        ; implicit-def: $vgpr34_vgpr35
                                        ; implicit-def: $vgpr32_vgpr33
                                        ; implicit-def: $vgpr30_vgpr31
                                        ; implicit-def: $vgpr28_vgpr29
                                        ; implicit-def: $vgpr26_vgpr27
                                        ; implicit-def: $vgpr24_vgpr25
                                        ; implicit-def: $vgpr22_vgpr23
                                        ; implicit-def: $vgpr20_vgpr21
                                        ; implicit-def: $vgpr18_vgpr19
	v_lshlrev_b32_e32 v16, 2, v0
	s_cbranch_execz .LBB533_72
.LBB533_67:
	s_clause 0xb
	flat_load_b32 v1, v0, s[30:31] scale_offset
	flat_load_b32 v2, v0, s[30:31] offset:1024 scale_offset
	flat_load_b32 v3, v0, s[30:31] offset:2048 scale_offset
	;; [unrolled: 1-line block ×11, first 2 shown]
	v_mov_b32_e32 v13, 0
	v_mad_u32_u24 v28, v0, 44, v16
	s_mov_b32 s0, exec_lo
	s_wait_loadcnt_dscnt 0xa0a
	ds_store_2addr_stride64_b32 v16, v1, v2 offset1:4
	s_wait_loadcnt_dscnt 0x809
	ds_store_2addr_stride64_b32 v16, v3, v4 offset0:8 offset1:12
	s_wait_loadcnt_dscnt 0x608
	ds_store_2addr_stride64_b32 v16, v5, v6 offset0:16 offset1:20
	;; [unrolled: 2-line block ×5, first 2 shown]
	s_wait_dscnt 0x0
	s_barrier_signal -1
	s_barrier_wait -1
	flat_load_b32 v1, v13, s[30:31] offset:12288
	s_wait_xcnt 0x0
	ds_load_b128 v[10:13], v28
	ds_load_b128 v[6:9], v28 offset:16
	ds_load_b128 v[2:5], v28 offset:32
	v_mad_i32_i24 v14, 0xffffffd4, v0, v28
	s_wait_dscnt 0x2
	ds_store_b32 v14, v10 offset:13312
	s_wait_loadcnt_dscnt 0x0
	s_barrier_signal -1
	s_barrier_wait -1
	v_cmpx_ne_u32_e32 0xff, v0
; %bb.68:
	v_mul_i32_i24_e32 v1, 0xffffffd4, v0
	s_delay_alu instid0(VALU_DEP_1)
	v_add_nc_u32_e32 v1, v28, v1
	ds_load_b32 v1, v1 offset:13316
; %bb.69:
	s_or_b32 exec_lo, exec_lo, s0
	s_wait_dscnt 0x0
	s_barrier_signal -1
	s_barrier_wait -1
	s_clause 0xb
	flat_load_b32 v14, v0, s[12:13] scale_offset
	flat_load_b32 v15, v0, s[12:13] offset:1024 scale_offset
	flat_load_b32 v17, v0, s[12:13] offset:2048 scale_offset
	;; [unrolled: 1-line block ×11, first 2 shown]
	v_cmp_eq_u32_e32 vcc_lo, v10, v11
	v_mov_b32_e32 v10, s33
	s_wait_loadcnt_dscnt 0xa0a
	ds_store_2addr_stride64_b32 v16, v14, v15 offset1:4
	s_wait_loadcnt_dscnt 0x809
	ds_store_2addr_stride64_b32 v16, v17, v18 offset0:8 offset1:12
	s_wait_loadcnt_dscnt 0x608
	ds_store_2addr_stride64_b32 v16, v19, v20 offset0:16 offset1:20
	;; [unrolled: 2-line block ×5, first 2 shown]
	s_wait_dscnt 0x0
	s_barrier_signal -1
	s_barrier_wait -1
	ds_load_2addr_b32 v[26:27], v28 offset0:1 offset1:2
	ds_load_2addr_b32 v[24:25], v28 offset0:3 offset1:4
	;; [unrolled: 1-line block ×5, first 2 shown]
	ds_load_b32 v17, v28 offset:44
	v_mov_b64_e32 v[14:15], 0x100000000
	s_and_saveexec_b32 s0, vcc_lo
; %bb.70:
	ds_load_b32 v10, v28
	v_mov_b64_e32 v[14:15], 0
; %bb.71:
	s_or_b32 exec_lo, exec_lo, s0
	v_cmp_eq_u32_e32 vcc_lo, v11, v12
	v_cmp_ne_u32_e64 s2, v5, v1
	s_mov_b32 s3, -1
	s_wait_dscnt 0x5
	v_cndmask_b32_e32 v42, s33, v26, vcc_lo
	v_cmp_ne_u32_e32 vcc_lo, v11, v12
	s_wait_dscnt 0x0
	v_cndmask_b32_e64 v60, v17, s33, s2
	v_cndmask_b32_e64 v43, 0, 1, vcc_lo
	v_cmp_eq_u32_e32 vcc_lo, v12, v13
	v_or_b32_e32 v14, v14, v10
	s_delay_alu instid0(VALU_DEP_3) | instskip(SKIP_4) | instid1(VALU_DEP_2)
	v_mov_b64_e32 v[36:37], v[42:43]
	v_cndmask_b32_e32 v40, s33, v27, vcc_lo
	v_cmp_ne_u32_e32 vcc_lo, v12, v13
	v_cndmask_b32_e64 v41, 0, 1, vcc_lo
	v_cmp_eq_u32_e32 vcc_lo, v13, v6
	v_mov_b64_e32 v[34:35], v[40:41]
	v_cndmask_b32_e32 v44, s33, v24, vcc_lo
	v_cmp_ne_u32_e32 vcc_lo, v13, v6
	v_cndmask_b32_e64 v45, 0, 1, vcc_lo
	v_cmp_eq_u32_e32 vcc_lo, v6, v7
	s_delay_alu instid0(VALU_DEP_2) | instskip(SKIP_4) | instid1(VALU_DEP_2)
	v_mov_b64_e32 v[32:33], v[44:45]
	v_cndmask_b32_e32 v46, s33, v25, vcc_lo
	v_cmp_ne_u32_e32 vcc_lo, v6, v7
	v_cndmask_b32_e64 v47, 0, 1, vcc_lo
	v_cmp_eq_u32_e32 vcc_lo, v7, v8
	v_mov_b64_e32 v[30:31], v[46:47]
	v_cndmask_b32_e32 v48, s33, v22, vcc_lo
	v_cmp_ne_u32_e32 vcc_lo, v7, v8
	v_cndmask_b32_e64 v49, 0, 1, vcc_lo
	v_cmp_eq_u32_e32 vcc_lo, v8, v9
	s_delay_alu instid0(VALU_DEP_2) | instskip(SKIP_4) | instid1(VALU_DEP_2)
	;; [unrolled: 11-line block ×3, first 2 shown]
	v_mov_b64_e32 v[24:25], v[52:53]
	v_cndmask_b32_e32 v54, s33, v21, vcc_lo
	v_cmp_ne_u32_e32 vcc_lo, v2, v3
	v_cndmask_b32_e64 v55, 0, 1, vcc_lo
	v_cmp_eq_u32_e32 vcc_lo, v3, v4
	v_mov_b64_e32 v[22:23], v[54:55]
	v_cndmask_b32_e32 v56, s33, v18, vcc_lo
	v_cmp_ne_u32_e32 vcc_lo, v3, v4
	v_cndmask_b32_e64 v57, 0, 1, vcc_lo
	v_cmp_eq_u32_e32 vcc_lo, v4, v5
	s_delay_alu instid0(VALU_DEP_2) | instskip(SKIP_3) | instid1(VALU_DEP_1)
	v_mov_b64_e32 v[20:21], v[56:57]
	v_cndmask_b32_e32 v58, s33, v19, vcc_lo
	v_cmp_ne_u32_e32 vcc_lo, v4, v5
	v_cndmask_b32_e64 v59, 0, 1, vcc_lo
	v_mov_b64_e32 v[18:19], v[58:59]
.LBB533_72:
	v_mov_b64_e32 v[38:39], 0
	s_and_saveexec_b32 s0, s3
	s_cbranch_execz .LBB533_74
; %bb.73:
	v_cndmask_b32_e64 v61, 0, 1, s2
	v_mov_b64_e32 v[18:19], v[58:59]
	v_mov_b64_e32 v[20:21], v[56:57]
	;; [unrolled: 1-line block ×11, first 2 shown]
.LBB533_74:
	s_or_b32 exec_lo, exec_lo, s0
	v_dual_lshrrev_b32 v1, 2, v0 :: v_dual_bitop2_b32 v40, v25, v23 bitop3:0x54
	s_delay_alu instid0(VALU_DEP_3)
	v_or_b32_e32 v17, v21, v19
	s_cmp_lg_u32 s28, 0
	v_cmp_gt_u32_e32 vcc_lo, 32, v0
	s_barrier_signal -1
	s_barrier_wait -1
	s_cbranch_scc0 .LBB533_112
; %bb.75:
	s_mov_b64 s[10:11], 0x100000000
	v_or3_b32 v3, v40, v27, v29
	v_cmp_gt_u64_e64 s0, s[10:11], v[36:37]
	v_cmp_gt_u64_e64 s1, s[10:11], v[34:35]
	;; [unrolled: 1-line block ×7, first 2 shown]
	v_dual_cndmask_b32 v2, 0, v14, s0 :: v_dual_bitop2_b32 v5, 56, v1 bitop3:0x40
	v_cmp_gt_u64_e64 s7, s[10:11], v[22:23]
	v_cmp_gt_u64_e64 s8, s[10:11], v[20:21]
	;; [unrolled: 1-line block ×3, first 2 shown]
	s_delay_alu instid0(VALU_DEP_4) | instskip(SKIP_3) | instid1(VALU_DEP_4)
	v_add_nc_u32_e32 v2, v2, v36
	v_cmp_gt_u64_e64 s10, s[10:11], v[38:39]
	v_or3_b32 v3, v3, v31, v33
	v_lshl_add_u32 v5, v0, 3, v5
	v_cndmask_b32_e64 v2, 0, v2, s1
	s_delay_alu instid0(VALU_DEP_3) | instskip(NEXT) | instid1(VALU_DEP_2)
	v_or3_b32 v3, v3, v35, v37
	v_add_nc_u32_e32 v2, v2, v34
	s_delay_alu instid0(VALU_DEP_2) | instskip(NEXT) | instid1(VALU_DEP_2)
	v_or3_b32 v3, v39, v17, v3
	v_cndmask_b32_e64 v2, 0, v2, s2
	s_delay_alu instid0(VALU_DEP_2) | instskip(NEXT) | instid1(VALU_DEP_2)
	v_and_b32_e32 v3, 0xff, v3
	v_add_nc_u32_e32 v2, v2, v32
	s_delay_alu instid0(VALU_DEP_1) | instskip(NEXT) | instid1(VALU_DEP_1)
	v_cndmask_b32_e64 v2, 0, v2, s3
	v_add_nc_u32_e32 v2, v2, v30
	s_delay_alu instid0(VALU_DEP_1) | instskip(NEXT) | instid1(VALU_DEP_1)
	v_cndmask_b32_e64 v2, 0, v2, s4
	;; [unrolled: 3-line block ×7, first 2 shown]
	v_dual_add_nc_u32 v4, v2, v18 :: v_dual_mov_b32 v2, 0
	s_delay_alu instid0(VALU_DEP_1) | instskip(NEXT) | instid1(VALU_DEP_2)
	v_cndmask_b32_e64 v4, 0, v4, s10
	v_cmp_eq_u64_e64 s10, 0, v[2:3]
	s_delay_alu instid0(VALU_DEP_1)
	v_dual_add_nc_u32 v12, v4, v38 :: v_dual_cndmask_b32 v13, 1, v15, s10
	ds_store_b32 v5, v12
	ds_store_b8 v5, v13 offset:4
	s_wait_dscnt 0x0
	s_barrier_signal -1
	s_barrier_wait -1
	s_and_saveexec_b32 s11, vcc_lo
	s_cbranch_execz .LBB533_85
; %bb.76:
	v_dual_lshlrev_b32 v2, 1, v0 :: v_dual_lshlrev_b32 v3, 6, v0
	s_mov_b32 s12, exec_lo
	s_delay_alu instid0(VALU_DEP_1) | instskip(NEXT) | instid1(VALU_DEP_1)
	v_and_b32_e32 v2, 0x1f8, v2
	v_add_nc_u32_e32 v4, v2, v3
	ds_load_u8 v5, v4 offset:12
	ds_load_b64 v[2:3], v4
	ds_load_2addr_b32 v[6:7], v4 offset0:2 offset1:4
	ds_load_u8 v10, v4 offset:20
	ds_load_u8 v11, v4 offset:28
	;; [unrolled: 1-line block ×5, first 2 shown]
	ds_load_b32 v44, v4 offset:56
	s_wait_dscnt 0x8
	v_cmp_eq_u16_e64 s10, 0, v5
	s_wait_dscnt 0x5
	s_delay_alu instid0(VALU_DEP_1)
	v_dual_cndmask_b32 v45, 0, v2, s10 :: v_dual_bitop2_b32 v5, v10, v5 bitop3:0x54
	ds_load_2addr_b32 v[8:9], v4 offset0:6 offset1:8
	v_cmp_eq_u16_e64 s10, 0, v10
	s_wait_dscnt 0x4
	v_bitop3_b16 v5, v5, v41, v11 bitop3:0xfe
	v_add_nc_u32_e32 v6, v45, v6
	s_delay_alu instid0(VALU_DEP_1) | instskip(SKIP_1) | instid1(VALU_DEP_2)
	v_cndmask_b32_e64 v6, 0, v6, s10
	v_cmp_eq_u16_e64 s10, 0, v11
	v_add_nc_u32_e32 v6, v6, v7
	s_delay_alu instid0(VALU_DEP_1)
	v_cndmask_b32_e64 v45, 0, v6, s10
	ds_load_2addr_b32 v[6:7], v4 offset0:10 offset1:12
	v_cmp_eq_u16_e64 s10, 0, v41
	s_wait_dscnt 0x1
	v_add_nc_u32_e32 v8, v45, v8
	ds_load_u8 v45, v4 offset:60
	v_cndmask_b32_e64 v8, 0, v8, s10
	v_cmp_eq_u16_e64 s10, 0, v42
	s_delay_alu instid0(VALU_DEP_2) | instskip(SKIP_1) | instid1(VALU_DEP_2)
	v_add_nc_u32_e32 v8, v8, v9
	v_bitop3_b16 v9, v5, v43, v42 bitop3:0xfe
	v_dual_cndmask_b32 v8, 0, v8, s10 :: v_dual_bitop2_b32 v5, 1, v3 bitop3:0x40
	s_delay_alu instid0(VALU_DEP_2) | instskip(SKIP_1) | instid1(VALU_DEP_2)
	v_cmp_eq_u16_e64 s10, 0, v9
	s_wait_dscnt 0x0
	v_dual_add_nc_u32 v6, v8, v6 :: v_dual_bitop2_b32 v8, 1, v45 bitop3:0x40
	s_delay_alu instid0(VALU_DEP_2) | instskip(SKIP_1) | instid1(VALU_DEP_1)
	v_cndmask_b32_e64 v9, 1, v5, s10
	v_cmp_eq_u16_e64 s10, 0, v43
	v_cndmask_b32_e64 v6, 0, v6, s10
	s_delay_alu instid0(VALU_DEP_4) | instskip(SKIP_1) | instid1(VALU_DEP_2)
	v_cmp_eq_u32_e64 s10, 1, v8
	v_mbcnt_lo_u32_b32 v8, -1, 0
	v_cndmask_b32_e64 v9, v9, 1, s10
	v_cmp_eq_u16_e64 s10, 0, v45
	s_delay_alu instid0(VALU_DEP_2) | instskip(SKIP_2) | instid1(VALU_DEP_1)
	v_and_b32_e32 v10, 0xffff, v9
	v_add_nc_u32_e32 v7, v6, v7
	v_and_b32_e32 v6, 0xffffff00, v3
	v_dual_cndmask_b32 v7, 0, v7, s10 :: v_dual_bitop2_b32 v11, v6, v10 bitop3:0x54
	v_and_b32_e32 v10, 15, v8
	s_delay_alu instid0(VALU_DEP_2) | instskip(NEXT) | instid1(VALU_DEP_3)
	v_mov_b32_dpp v42, v11 row_shr:1 row_mask:0xf bank_mask:0xf
	v_add_nc_u32_e32 v7, v7, v44
	s_delay_alu instid0(VALU_DEP_1) | instskip(NEXT) | instid1(VALU_DEP_4)
	v_mov_b32_dpp v41, v7 row_shr:1 row_mask:0xf bank_mask:0xf
	v_cmpx_ne_u32_e32 0, v10
	s_cbranch_execz .LBB533_78
; %bb.77:
	v_and_b32_e32 v11, 1, v9
	v_and_b32_e32 v42, 1, v42
	s_delay_alu instid0(VALU_DEP_2) | instskip(NEXT) | instid1(VALU_DEP_1)
	v_cmp_eq_u32_e64 s10, 1, v11
	v_cndmask_b32_e64 v42, v42, 1, s10
	v_cmp_eq_u16_e64 s10, 0, v9
	s_delay_alu instid0(VALU_DEP_2) | instskip(NEXT) | instid1(VALU_DEP_1)
	v_and_b32_e32 v11, 0xffff, v42
	v_dual_cndmask_b32 v9, 0, v41, s10 :: v_dual_bitop2_b32 v11, v6, v11 bitop3:0x54
	s_delay_alu instid0(VALU_DEP_1)
	v_dual_add_nc_u32 v7, v9, v7 :: v_dual_mov_b32 v9, v42
.LBB533_78:
	s_or_b32 exec_lo, exec_lo, s12
	s_delay_alu instid0(VALU_DEP_1) | instskip(NEXT) | instid1(VALU_DEP_3)
	v_mov_b32_dpp v41, v7 row_shr:2 row_mask:0xf bank_mask:0xf
	v_mov_b32_dpp v42, v11 row_shr:2 row_mask:0xf bank_mask:0xf
	s_mov_b32 s12, exec_lo
	v_cmpx_lt_u32_e32 1, v10
	s_cbranch_execz .LBB533_80
; %bb.79:
	v_and_b32_e32 v11, 1, v9
	v_and_b32_e32 v42, 1, v42
	s_delay_alu instid0(VALU_DEP_2) | instskip(NEXT) | instid1(VALU_DEP_1)
	v_cmp_eq_u32_e64 s10, 1, v11
	v_cndmask_b32_e64 v42, v42, 1, s10
	v_cmp_eq_u16_e64 s10, 0, v9
	s_delay_alu instid0(VALU_DEP_2) | instskip(NEXT) | instid1(VALU_DEP_1)
	v_and_b32_e32 v11, 0xffff, v42
	v_dual_cndmask_b32 v9, 0, v41, s10 :: v_dual_bitop2_b32 v11, v6, v11 bitop3:0x54
	s_delay_alu instid0(VALU_DEP_1)
	v_dual_add_nc_u32 v7, v9, v7 :: v_dual_mov_b32 v9, v42
.LBB533_80:
	s_or_b32 exec_lo, exec_lo, s12
	s_delay_alu instid0(VALU_DEP_1) | instskip(NEXT) | instid1(VALU_DEP_3)
	v_mov_b32_dpp v41, v7 row_shr:4 row_mask:0xf bank_mask:0xf
	v_mov_b32_dpp v42, v11 row_shr:4 row_mask:0xf bank_mask:0xf
	s_mov_b32 s12, exec_lo
	v_cmpx_lt_u32_e32 3, v10
	;; [unrolled: 20-line block ×3, first 2 shown]
	s_cbranch_execz .LBB533_84
; %bb.83:
	v_and_b32_e32 v10, 1, v9
	v_and_b32_e32 v11, 1, v42
	s_delay_alu instid0(VALU_DEP_2) | instskip(NEXT) | instid1(VALU_DEP_1)
	v_cmp_eq_u32_e64 s10, 1, v10
	v_cndmask_b32_e64 v10, v11, 1, s10
	v_cmp_eq_u16_e64 s10, 0, v9
	s_delay_alu instid0(VALU_DEP_2) | instskip(NEXT) | instid1(VALU_DEP_1)
	v_and_b32_e32 v11, 0xffff, v10
	v_dual_cndmask_b32 v9, 0, v41, s10 :: v_dual_bitop2_b32 v11, v6, v11 bitop3:0x54
	s_delay_alu instid0(VALU_DEP_1)
	v_dual_add_nc_u32 v7, v9, v7 :: v_dual_mov_b32 v9, v10
.LBB533_84:
	s_or_b32 exec_lo, exec_lo, s12
	ds_swizzle_b32 v10, v11 offset:swizzle(BROADCAST,32,15)
	ds_swizzle_b32 v11, v7 offset:swizzle(BROADCAST,32,15)
	v_and_b32_e32 v41, 1, v9
	v_bfe_i32 v43, v8, 4, 1
	v_and_b32_e32 v3, 0xff, v3
	; wave barrier
	s_delay_alu instid0(VALU_DEP_3) | instskip(SKIP_2) | instid1(VALU_DEP_1)
	v_cmp_eq_u32_e64 s10, 1, v41
	s_wait_dscnt 0x1
	v_dual_add_nc_u32 v41, -1, v8 :: v_dual_bitop2_b32 v10, 1, v10 bitop3:0x40
	v_cndmask_b32_e64 v10, v10, 1, s10
	v_and_b32_e32 v42, 16, v8
	v_cmp_eq_u16_e64 s10, 0, v9
	s_wait_dscnt 0x0
	s_delay_alu instid0(VALU_DEP_1) | instskip(NEXT) | instid1(VALU_DEP_3)
	v_cndmask_b32_e64 v11, 0, v11, s10
	v_cmp_eq_u32_e64 s10, 0, v42
	s_delay_alu instid0(VALU_DEP_1) | instskip(SKIP_1) | instid1(VALU_DEP_4)
	v_cndmask_b32_e64 v9, v10, v9, s10
	v_cmp_gt_i32_e64 s10, 0, v41
	v_and_b32_e32 v10, v43, v11
	s_delay_alu instid0(VALU_DEP_3) | instskip(NEXT) | instid1(VALU_DEP_2)
	v_and_b32_e32 v9, 0xffff, v9
	v_dual_cndmask_b32 v8, v41, v8, s10 :: v_dual_add_nc_u32 v7, v10, v7
	v_cmp_eq_u16_e64 s10, 0, v3
	s_delay_alu instid0(VALU_DEP_2)
	v_lshlrev_b32_e32 v8, 2, v8
	ds_bpermute_b32 v7, v8, v7
	s_wait_dscnt 0x0
	v_dual_cndmask_b32 v3, 0, v7, s10 :: v_dual_bitop2_b32 v6, v6, v9 bitop3:0x54
	ds_bpermute_b32 v6, v8, v6
	v_cmp_eq_u32_e64 s10, 1, v5
	v_add_nc_u32_e32 v2, v3, v2
	s_wait_dscnt 0x0
	v_and_b32_e32 v6, 1, v6
	s_delay_alu instid0(VALU_DEP_1) | instskip(SKIP_1) | instid1(VALU_DEP_1)
	v_cndmask_b32_e64 v3, v6, 1, s10
	v_cmp_eq_u32_e64 s10, 0, v0
	v_dual_cndmask_b32 v8, v3, v13, s10 :: v_dual_cndmask_b32 v5, v2, v12, s10
	ds_store_b32 v4, v5
	ds_store_b8 v4, v8 offset:4
	; wave barrier
	ds_load_u8 v9, v4 offset:12
	ds_load_2addr_b32 v[2:3], v4 offset0:2 offset1:4
	ds_load_u8 v10, v4 offset:20
	ds_load_u8 v11, v4 offset:28
	;; [unrolled: 1-line block ×5, first 2 shown]
	ds_load_b32 v44, v4 offset:56
	ds_load_u8 v45, v4 offset:60
	ds_load_2addr_b32 v[6:7], v4 offset0:6 offset1:8
	s_wait_dscnt 0x9
	v_cmp_eq_u16_e64 s10, 0, v9
	v_and_b32_e32 v9, 1, v9
	s_delay_alu instid0(VALU_DEP_2) | instskip(SKIP_2) | instid1(VALU_DEP_2)
	v_cndmask_b32_e64 v5, 0, v5, s10
	s_wait_dscnt 0x7
	v_cmp_eq_u16_e64 s10, 0, v10
	v_add_nc_u32_e32 v5, v5, v2
	s_delay_alu instid0(VALU_DEP_1) | instskip(SKIP_2) | instid1(VALU_DEP_2)
	v_cndmask_b32_e64 v2, 0, v5, s10
	s_wait_dscnt 0x6
	v_cmp_eq_u16_e64 s10, 0, v11
	v_add_nc_u32_e32 v46, v2, v3
	ds_load_2addr_b32 v[2:3], v4 offset0:10 offset1:12
	v_cndmask_b32_e64 v47, 0, v46, s10
	s_wait_dscnt 0x6
	v_cmp_eq_u16_e64 s10, 0, v41
	ds_store_2addr_b32 v4, v5, v46 offset0:2 offset1:4
	s_wait_dscnt 0x2
	v_add_nc_u32_e32 v6, v47, v6
	s_delay_alu instid0(VALU_DEP_1) | instskip(SKIP_3) | instid1(VALU_DEP_4)
	v_cndmask_b32_e64 v47, 0, v6, s10
	v_cmp_eq_u32_e64 s10, 1, v9
	v_and_b32_e32 v9, 1, v11
	v_and_b32_e32 v11, 1, v41
	v_dual_add_nc_u32 v7, v47, v7 :: v_dual_bitop2_b32 v10, 1, v10 bitop3:0x40
	s_delay_alu instid0(VALU_DEP_4) | instskip(SKIP_1) | instid1(VALU_DEP_3)
	v_cndmask_b32_e64 v8, v8, 1, s10
	v_and_b32_e32 v47, 1, v45
	v_cmp_eq_u32_e64 s10, 1, v10
	s_delay_alu instid0(VALU_DEP_1) | instskip(SKIP_1) | instid1(VALU_DEP_1)
	v_cndmask_b32_e64 v10, v8, 1, s10
	v_cmp_eq_u16_e64 s10, 0, v42
	v_dual_cndmask_b32 v41, 0, v7, s10 :: v_dual_bitop2_b32 v42, 1, v42 bitop3:0x40
	v_cmp_eq_u32_e64 s10, 1, v9
	s_wait_dscnt 0x1
	s_delay_alu instid0(VALU_DEP_2) | instskip(NEXT) | instid1(VALU_DEP_2)
	v_dual_add_nc_u32 v2, v41, v2 :: v_dual_bitop2_b32 v41, 1, v43 bitop3:0x40
	v_cndmask_b32_e64 v9, v10, 1, s10
	v_cmp_eq_u32_e64 s10, 1, v11
	s_delay_alu instid0(VALU_DEP_1) | instskip(SKIP_1) | instid1(VALU_DEP_1)
	v_cndmask_b32_e64 v11, v9, 1, s10
	v_cmp_eq_u16_e64 s10, 0, v43
	v_cndmask_b32_e64 v43, 0, v2, s10
	v_cmp_eq_u32_e64 s10, 1, v42
	s_delay_alu instid0(VALU_DEP_2) | instskip(NEXT) | instid1(VALU_DEP_2)
	v_add_nc_u32_e32 v3, v43, v3
	v_cndmask_b32_e64 v42, v11, 1, s10
	v_cmp_eq_u32_e64 s10, 1, v41
	ds_store_2addr_b32 v4, v6, v7 offset0:6 offset1:8
	ds_store_2addr_b32 v4, v2, v3 offset0:10 offset1:12
	v_cndmask_b32_e64 v41, v42, 1, s10
	v_cmp_eq_u16_e64 s10, 0, v45
	s_delay_alu instid0(VALU_DEP_1) | instskip(SKIP_1) | instid1(VALU_DEP_2)
	v_cndmask_b32_e64 v5, 0, v3, s10
	v_cmp_eq_u32_e64 s10, 1, v47
	v_add_nc_u32_e32 v2, v5, v44
	s_delay_alu instid0(VALU_DEP_2)
	v_cndmask_b32_e64 v43, v41, 1, s10
	ds_store_b8 v4, v8 offset:12
	ds_store_b8 v4, v10 offset:20
	;; [unrolled: 1-line block ×6, first 2 shown]
	ds_store_b32 v4, v2 offset:56
	ds_store_b8 v4, v43 offset:60
.LBB533_85:
	s_or_b32 exec_lo, exec_lo, s11
	v_cmp_eq_u32_e64 s10, 0, v0
	s_mov_b32 s12, exec_lo
	s_wait_dscnt 0x0
	s_barrier_signal -1
	s_barrier_wait -1
	v_cmpx_ne_u32_e32 0, v0
	s_cbranch_execz .LBB533_87
; %bb.86:
	v_add_nc_u32_e32 v2, -1, v0
	s_delay_alu instid0(VALU_DEP_1) | instskip(NEXT) | instid1(VALU_DEP_1)
	v_lshrrev_b32_e32 v3, 2, v2
	v_and_b32_e32 v3, 0x3ffffff8, v3
	s_delay_alu instid0(VALU_DEP_1)
	v_lshl_add_u32 v2, v2, 3, v3
	ds_load_b32 v12, v2
	ds_load_u8 v13, v2 offset:4
.LBB533_87:
	s_or_b32 exec_lo, exec_lo, s12
	s_and_saveexec_b32 s34, vcc_lo
	s_cbranch_execz .LBB533_157
; %bb.88:
	v_mov_b32_e32 v5, 0
	v_mbcnt_lo_u32_b32 v41, -1, 0
	s_mov_b32 s13, 0
	ds_load_b64 v[2:3], v5 offset:2096
	v_cmp_eq_u32_e64 s11, 0, v41
	s_and_saveexec_b32 s30, s11
	s_cbranch_execz .LBB533_90
; %bb.89:
	s_add_co_i32 s12, s28, 32
	v_mov_b32_e32 v4, 1
	s_lshl_b64 s[12:13], s[12:13], 4
	s_delay_alu instid0(SALU_CYCLE_1) | instskip(NEXT) | instid1(SALU_CYCLE_1)
	s_add_nc_u64 s[12:13], s[16:17], s[12:13]
	v_mov_b64_e32 v[6:7], s[12:13]
	s_wait_dscnt 0x0
	;;#ASMSTART
	global_store_b128 v[6:7], v[2:5] off scope:SCOPE_DEV	
s_wait_storecnt 0x0
	;;#ASMEND
.LBB533_90:
	s_or_b32 exec_lo, exec_lo, s30
	v_xad_u32 v8, v41, -1, s28
	s_mov_b32 s12, exec_lo
	s_delay_alu instid0(VALU_DEP_1) | instskip(NEXT) | instid1(VALU_DEP_1)
	v_add_nc_u32_e32 v4, 32, v8
	v_lshl_add_u64 v[10:11], v[4:5], 4, s[16:17]
	;;#ASMSTART
	global_load_b128 v[4:7], v[10:11] off scope:SCOPE_DEV	
s_wait_loadcnt 0x0
	;;#ASMEND
	v_and_b32_e32 v7, 0xff, v6
	v_and_b32_e32 v5, 0xff, v5
	s_delay_alu instid0(VALU_DEP_2)
	v_cmpx_eq_u16_e32 0, v7
	s_cbranch_execz .LBB533_94
; %bb.91:
	s_mov_b32 s13, 0
.LBB533_92:                             ; =>This Inner Loop Header: Depth=1
	;;#ASMSTART
	global_load_b128 v[4:7], v[10:11] off scope:SCOPE_DEV	
s_wait_loadcnt 0x0
	;;#ASMEND
	v_and_b32_e32 v7, 0xff, v6
	s_delay_alu instid0(VALU_DEP_1) | instskip(SKIP_1) | instid1(SALU_CYCLE_1)
	v_cmp_ne_u16_e32 vcc_lo, 0, v7
	s_or_b32 s13, vcc_lo, s13
	s_and_not1_b32 exec_lo, exec_lo, s13
	s_cbranch_execnz .LBB533_92
; %bb.93:
	s_or_b32 exec_lo, exec_lo, s13
	v_and_b32_e32 v5, 0xff, v5
.LBB533_94:
	s_or_b32 exec_lo, exec_lo, s12
	v_cmp_ne_u32_e32 vcc_lo, 31, v41
	v_and_b32_e32 v9, 0xff, v6
	v_lshlrev_b32_e64 v43, v41, -1
	s_mov_b64 s[30:31], 0x100000000
	v_lshl_or_b32 v52, v41, 2, 64
	v_add_co_ci_u32_e64 v7, null, 0, v41, vcc_lo
	v_cmp_eq_u16_e32 vcc_lo, 2, v9
	v_cmp_gt_u64_e64 s12, s[30:31], v[4:5]
	s_delay_alu instid0(VALU_DEP_3) | instskip(SKIP_1) | instid1(VALU_DEP_2)
	v_dual_lshlrev_b32 v42, 2, v7 :: v_dual_bitop2_b32 v10, 1, v5 bitop3:0x40
	v_and_or_b32 v9, vcc_lo, v43, 0x80000000
	v_cmp_eq_u32_e32 vcc_lo, 1, v10
	ds_bpermute_b32 v7, v42, v5
	ds_bpermute_b32 v10, v42, v4
	v_ctz_i32_b32_e32 v9, v9
	s_wait_dscnt 0x1
	v_and_b32_e32 v7, 1, v7
	s_delay_alu instid0(VALU_DEP_1) | instskip(SKIP_1) | instid1(VALU_DEP_2)
	v_cndmask_b32_e64 v7, v7, 1, vcc_lo
	v_cmp_gt_u32_e32 vcc_lo, 30, v41
	v_and_b32_e32 v45, 0xffff, v7
	v_cndmask_b32_e64 v11, 0, 2, vcc_lo
	v_cmp_lt_u32_e32 vcc_lo, v41, v9
	s_delay_alu instid0(VALU_DEP_2) | instskip(NEXT) | instid1(VALU_DEP_4)
	v_add_lshl_u32 v44, v11, v41, 2
	v_dual_cndmask_b32 v11, v5, v45, vcc_lo :: v_dual_cndmask_b32 v7, v5, v7, vcc_lo
	s_and_b32 vcc_lo, vcc_lo, s12
	s_wait_dscnt 0x0
	v_cndmask_b32_e32 v10, 0, v10, vcc_lo
	ds_bpermute_b32 v5, v44, v11
	v_and_b32_e32 v46, 1, v7
	v_and_b32_e32 v48, 0xff, v7
	v_add_nc_u32_e32 v4, v10, v4
	s_delay_alu instid0(VALU_DEP_3) | instskip(NEXT) | instid1(VALU_DEP_3)
	v_cmp_eq_u32_e32 vcc_lo, 1, v46
	v_cmp_eq_u16_e64 s12, 0, v48
	ds_bpermute_b32 v10, v44, v4
	s_wait_dscnt 0x1
	v_and_b32_e32 v5, 1, v5
	s_delay_alu instid0(VALU_DEP_1) | instskip(SKIP_2) | instid1(VALU_DEP_3)
	v_cndmask_b32_e64 v5, v5, 1, vcc_lo
	v_add_nc_u32_e32 v45, 2, v41
	v_cmp_gt_u32_e32 vcc_lo, 28, v41
	v_and_b32_e32 v47, 0xffff, v5
	v_cndmask_b32_e64 v46, 0, 4, vcc_lo
	s_delay_alu instid0(VALU_DEP_4) | instskip(NEXT) | instid1(VALU_DEP_2)
	v_cmp_gt_u32_e32 vcc_lo, v45, v9
	v_add_lshl_u32 v46, v46, v41, 2
	v_cndmask_b32_e32 v5, v5, v7, vcc_lo
	s_wait_dscnt 0x0
	v_dual_cndmask_b32 v7, v47, v11, vcc_lo :: v_dual_cndmask_b32 v10, 0, v10, s12
	s_delay_alu instid0(VALU_DEP_2) | instskip(SKIP_4) | instid1(VALU_DEP_3)
	v_and_b32_e32 v48, 1, v5
	ds_bpermute_b32 v11, v46, v7
	v_cndmask_b32_e64 v10, v10, 0, vcc_lo
	v_cmp_eq_u32_e32 vcc_lo, 1, v48
	v_and_b32_e32 v48, 0xff, v5
	v_add_nc_u32_e32 v4, v10, v4
	s_delay_alu instid0(VALU_DEP_2)
	v_cmp_eq_u16_e64 s12, 0, v48
	s_wait_dscnt 0x0
	v_and_b32_e32 v11, 1, v11
	ds_bpermute_b32 v10, v46, v4
	v_add_nc_u32_e32 v47, 4, v41
	v_cndmask_b32_e64 v11, v11, 1, vcc_lo
	v_cmp_gt_u32_e32 vcc_lo, 24, v41
	s_delay_alu instid0(VALU_DEP_2) | instskip(SKIP_1) | instid1(VALU_DEP_1)
	v_and_b32_e32 v50, 0xffff, v11
	v_cndmask_b32_e64 v49, 0, 8, vcc_lo
	v_add_lshl_u32 v48, v49, v41, 2
	s_wait_dscnt 0x0
	v_dual_add_nc_u32 v49, 8, v41 :: v_dual_cndmask_b32 v10, 0, v10, s12
	v_cmp_gt_u32_e32 vcc_lo, v47, v9
	v_dual_cndmask_b32 v5, v11, v5, vcc_lo :: v_dual_cndmask_b32 v7, v50, v7, vcc_lo
	s_delay_alu instid0(VALU_DEP_3) | instskip(NEXT) | instid1(VALU_DEP_2)
	v_cndmask_b32_e64 v10, v10, 0, vcc_lo
	v_and_b32_e32 v50, 1, v5
	ds_bpermute_b32 v11, v48, v7
	v_add_nc_u32_e32 v4, v10, v4
	v_and_b32_e32 v51, 0xff, v5
	v_cmp_eq_u32_e32 vcc_lo, 1, v50
	ds_bpermute_b32 v10, v48, v4
	s_wait_dscnt 0x1
	v_and_b32_e32 v11, 1, v11
	s_delay_alu instid0(VALU_DEP_1) | instskip(SKIP_1) | instid1(VALU_DEP_2)
	v_cndmask_b32_e64 v11, v11, 1, vcc_lo
	v_cmp_eq_u16_e32 vcc_lo, 0, v51
	v_and_b32_e32 v50, 0xffff, v11
	s_wait_dscnt 0x0
	v_cndmask_b32_e32 v10, 0, v10, vcc_lo
	v_cmp_gt_u32_e32 vcc_lo, v49, v9
	s_delay_alu instid0(VALU_DEP_3) | instskip(NEXT) | instid1(VALU_DEP_3)
	v_dual_cndmask_b32 v5, v11, v5, vcc_lo :: v_dual_cndmask_b32 v7, v50, v7, vcc_lo
	v_cndmask_b32_e64 v10, v10, 0, vcc_lo
	s_delay_alu instid0(VALU_DEP_2) | instskip(SKIP_3) | instid1(VALU_DEP_1)
	v_and_b32_e32 v50, 1, v5
	ds_bpermute_b32 v7, v52, v7
	v_add_nc_u32_e32 v4, v10, v4
	v_and_b32_e32 v11, 0xff, v5
	v_cmp_eq_u16_e32 vcc_lo, 0, v11
	s_wait_dscnt 0x0
	v_and_b32_e32 v7, 1, v7
	ds_bpermute_b32 v10, v52, v4
	s_wait_dscnt 0x0
	v_dual_cndmask_b32 v10, 0, v10 :: v_dual_add_nc_u32 v53, 16, v41
	v_cmp_eq_u32_e32 vcc_lo, 1, v50
	v_cndmask_b32_e64 v7, v7, 1, vcc_lo
	s_delay_alu instid0(VALU_DEP_3) | instskip(NEXT) | instid1(VALU_DEP_2)
	v_cmp_gt_u32_e32 vcc_lo, v53, v9
	v_dual_mov_b32 v9, 0 :: v_dual_cndmask_b32 v5, v7, v5, vcc_lo
	v_cndmask_b32_e64 v7, v10, 0, vcc_lo
	s_delay_alu instid0(VALU_DEP_1)
	v_add_nc_u32_e32 v4, v7, v4
	s_branch .LBB533_98
.LBB533_95:                             ;   in Loop: Header=BB533_98 Depth=1
	s_or_b32 exec_lo, exec_lo, s13
	v_and_b32_e32 v5, 0xff, v5
.LBB533_96:                             ;   in Loop: Header=BB533_98 Depth=1
	s_or_b32 exec_lo, exec_lo, s12
	ds_bpermute_b32 v7, v42, v5
	v_and_b32_e32 v10, 0xff, v6
	v_cmp_gt_u64_e64 s12, s[30:31], v[4:5]
	v_subrev_nc_u32_e32 v8, 32, v8
	s_delay_alu instid0(VALU_DEP_3) | instskip(SKIP_2) | instid1(VALU_DEP_2)
	v_cmp_eq_u16_e32 vcc_lo, 2, v10
	v_and_b32_e32 v10, 1, v5
	v_and_or_b32 v11, vcc_lo, v43, 0x80000000
	v_cmp_eq_u32_e32 vcc_lo, 1, v10
	s_delay_alu instid0(VALU_DEP_2) | instskip(SKIP_3) | instid1(VALU_DEP_1)
	v_ctz_i32_b32_e32 v10, v11
	ds_bpermute_b32 v11, v42, v4
	s_wait_dscnt 0x1
	v_and_b32_e32 v7, 1, v7
	v_cndmask_b32_e64 v7, v7, 1, vcc_lo
	v_cmp_lt_u32_e32 vcc_lo, v41, v10
	s_delay_alu instid0(VALU_DEP_2) | instskip(NEXT) | instid1(VALU_DEP_1)
	v_and_b32_e32 v54, 0xffff, v7
	v_dual_cndmask_b32 v7, v5, v7 :: v_dual_cndmask_b32 v54, v5, v54
	s_and_b32 vcc_lo, vcc_lo, s12
	s_delay_alu instid0(VALU_DEP_1)
	v_and_b32_e32 v56, 0xff, v7
	v_and_b32_e32 v55, 1, v7
	ds_bpermute_b32 v5, v44, v54
	s_wait_dscnt 0x1
	v_cndmask_b32_e32 v11, 0, v11, vcc_lo
	v_cmp_eq_u16_e64 s12, 0, v56
	v_cmp_eq_u32_e32 vcc_lo, 1, v55
	s_wait_dscnt 0x0
	s_delay_alu instid0(VALU_DEP_3) | instskip(NEXT) | instid1(VALU_DEP_1)
	v_dual_add_nc_u32 v4, v11, v4 :: v_dual_bitop2_b32 v5, 1, v5 bitop3:0x40
	v_cndmask_b32_e64 v5, v5, 1, vcc_lo
	ds_bpermute_b32 v11, v44, v4
	v_cmp_gt_u32_e32 vcc_lo, v45, v10
	v_and_b32_e32 v55, 0xffff, v5
	s_delay_alu instid0(VALU_DEP_1) | instskip(NEXT) | instid1(VALU_DEP_1)
	v_dual_cndmask_b32 v5, v5, v7, vcc_lo :: v_dual_cndmask_b32 v7, v55, v54, vcc_lo
	v_and_b32_e32 v55, 1, v5
	ds_bpermute_b32 v54, v46, v7
	s_wait_dscnt 0x1
	v_cndmask_b32_e64 v11, 0, v11, s12
	s_delay_alu instid0(VALU_DEP_1) | instskip(SKIP_2) | instid1(VALU_DEP_3)
	v_cndmask_b32_e64 v11, v11, 0, vcc_lo
	v_cmp_eq_u32_e32 vcc_lo, 1, v55
	v_and_b32_e32 v55, 0xff, v5
	v_add_nc_u32_e32 v4, v11, v4
	s_delay_alu instid0(VALU_DEP_2)
	v_cmp_eq_u16_e64 s12, 0, v55
	s_wait_dscnt 0x0
	v_and_b32_e32 v54, 1, v54
	ds_bpermute_b32 v11, v46, v4
	v_cndmask_b32_e64 v54, v54, 1, vcc_lo
	v_cmp_gt_u32_e32 vcc_lo, v47, v10
	s_delay_alu instid0(VALU_DEP_2) | instskip(SKIP_3) | instid1(VALU_DEP_1)
	v_and_b32_e32 v56, 0xffff, v54
	s_wait_dscnt 0x0
	v_dual_cndmask_b32 v5, v54, v5, vcc_lo :: v_dual_cndmask_b32 v11, 0, v11, s12
	s_mov_b32 s12, 0
	v_cndmask_b32_e64 v11, v11, 0, vcc_lo
	v_cndmask_b32_e32 v7, v56, v7, vcc_lo
	s_delay_alu instid0(VALU_DEP_3) | instskip(NEXT) | instid1(VALU_DEP_3)
	v_and_b32_e32 v56, 0xff, v5
	v_add_nc_u32_e32 v4, v11, v4
	ds_bpermute_b32 v54, v48, v7
	ds_bpermute_b32 v11, v48, v4
	v_and_b32_e32 v55, 1, v5
	s_delay_alu instid0(VALU_DEP_1) | instskip(SKIP_2) | instid1(VALU_DEP_1)
	v_cmp_eq_u32_e32 vcc_lo, 1, v55
	s_wait_dscnt 0x1
	v_and_b32_e32 v54, 1, v54
	v_cndmask_b32_e64 v54, v54, 1, vcc_lo
	v_cmp_eq_u16_e32 vcc_lo, 0, v56
	s_delay_alu instid0(VALU_DEP_2) | instskip(SKIP_3) | instid1(VALU_DEP_2)
	v_and_b32_e32 v55, 0xffff, v54
	s_wait_dscnt 0x0
	v_cndmask_b32_e32 v11, 0, v11, vcc_lo
	v_cmp_gt_u32_e32 vcc_lo, v49, v10
	v_cndmask_b32_e64 v11, v11, 0, vcc_lo
	v_dual_cndmask_b32 v7, v55, v7, vcc_lo :: v_dual_cndmask_b32 v5, v54, v5, vcc_lo
	s_delay_alu instid0(VALU_DEP_2) | instskip(SKIP_4) | instid1(VALU_DEP_1)
	v_add_nc_u32_e32 v4, v11, v4
	ds_bpermute_b32 v7, v52, v7
	v_and_b32_e32 v55, 0xff, v5
	ds_bpermute_b32 v11, v52, v4
	v_and_b32_e32 v54, 1, v5
	v_cmp_eq_u32_e32 vcc_lo, 1, v54
	s_wait_dscnt 0x1
	v_cndmask_b32_e64 v7, v7, 1, vcc_lo
	v_cmp_eq_u16_e32 vcc_lo, 0, v55
	s_wait_dscnt 0x0
	v_cndmask_b32_e32 v11, 0, v11, vcc_lo
	v_cmp_gt_u32_e32 vcc_lo, v53, v10
	v_and_b32_e32 v10, 0xff, v50
	v_cndmask_b32_e32 v5, v7, v5, vcc_lo
	s_delay_alu instid0(VALU_DEP_4) | instskip(NEXT) | instid1(VALU_DEP_3)
	v_cndmask_b32_e64 v7, v11, 0, vcc_lo
	v_cmp_eq_u16_e32 vcc_lo, 0, v10
	s_delay_alu instid0(VALU_DEP_2) | instskip(NEXT) | instid1(VALU_DEP_1)
	v_dual_add_nc_u32 v4, v7, v4 :: v_dual_bitop2_b32 v7, 1, v50 bitop3:0x40
	v_dual_cndmask_b32 v4, 0, v4, vcc_lo :: v_dual_bitop2_b32 v5, 1, v5 bitop3:0x40
	s_delay_alu instid0(VALU_DEP_2) | instskip(NEXT) | instid1(VALU_DEP_2)
	v_cmp_eq_u32_e32 vcc_lo, 1, v7
	v_add_nc_u32_e32 v4, v4, v51
	s_delay_alu instid0(VALU_DEP_3)
	v_cndmask_b32_e64 v5, v5, 1, vcc_lo
.LBB533_97:                             ;   in Loop: Header=BB533_98 Depth=1
	s_and_b32 vcc_lo, exec_lo, s12
	s_cbranch_vccnz .LBB533_153
.LBB533_98:                             ; =>This Loop Header: Depth=1
                                        ;     Child Loop BB533_101 Depth 2
	v_and_b32_e32 v6, 0xff, v6
	s_delay_alu instid0(VALU_DEP_2) | instskip(SKIP_1) | instid1(VALU_DEP_2)
	v_dual_mov_b32 v50, v5 :: v_dual_mov_b32 v51, v4
	s_mov_b32 s12, -1
                                        ; implicit-def: $vgpr5
                                        ; implicit-def: $vgpr4
	v_cmp_ne_u16_e32 vcc_lo, 2, v6
                                        ; implicit-def: $vgpr6
	s_cmp_lg_u32 vcc_lo, exec_lo
	s_cbranch_scc1 .LBB533_97
; %bb.99:                               ;   in Loop: Header=BB533_98 Depth=1
	v_lshl_add_u64 v[10:11], v[8:9], 4, s[16:17]
	;;#ASMSTART
	global_load_b128 v[4:7], v[10:11] off scope:SCOPE_DEV	
s_wait_loadcnt 0x0
	;;#ASMEND
	v_and_b32_e32 v7, 0xff, v6
	v_and_b32_e32 v5, 0xff, v5
	s_mov_b32 s12, exec_lo
	s_delay_alu instid0(VALU_DEP_2)
	v_cmpx_eq_u16_e32 0, v7
	s_cbranch_execz .LBB533_96
; %bb.100:                              ;   in Loop: Header=BB533_98 Depth=1
	s_mov_b32 s13, 0
.LBB533_101:                            ;   Parent Loop BB533_98 Depth=1
                                        ; =>  This Inner Loop Header: Depth=2
	;;#ASMSTART
	global_load_b128 v[4:7], v[10:11] off scope:SCOPE_DEV	
s_wait_loadcnt 0x0
	;;#ASMEND
	v_and_b32_e32 v7, 0xff, v6
	s_delay_alu instid0(VALU_DEP_1) | instskip(SKIP_1) | instid1(SALU_CYCLE_1)
	v_cmp_ne_u16_e32 vcc_lo, 0, v7
	s_or_b32 s13, vcc_lo, s13
	s_and_not1_b32 exec_lo, exec_lo, s13
	s_cbranch_execnz .LBB533_101
	s_branch .LBB533_95
.LBB533_102:
	s_or_b32 exec_lo, exec_lo, s11
                                        ; implicit-def: $vgpr16
	s_and_saveexec_b32 s11, s0
	s_cbranch_execz .LBB533_29
.LBB533_103:
	flat_load_b32 v16, v0, s[12:13] offset:1024 scale_offset
	s_wait_xcnt 0x0
	s_or_b32 exec_lo, exec_lo, s11
                                        ; implicit-def: $vgpr17
	s_and_saveexec_b32 s0, s1
	s_cbranch_execnz .LBB533_30
.LBB533_104:
	s_or_b32 exec_lo, exec_lo, s0
                                        ; implicit-def: $vgpr18
	s_and_saveexec_b32 s0, s2
	s_cbranch_execz .LBB533_31
.LBB533_105:
	flat_load_b32 v18, v0, s[12:13] offset:3072 scale_offset
	s_wait_xcnt 0x0
	s_or_b32 exec_lo, exec_lo, s0
                                        ; implicit-def: $vgpr19
	s_and_saveexec_b32 s0, s3
	s_cbranch_execnz .LBB533_32
.LBB533_106:
	s_or_b32 exec_lo, exec_lo, s0
                                        ; implicit-def: $vgpr20
	s_and_saveexec_b32 s0, s4
	s_cbranch_execz .LBB533_33
.LBB533_107:
	flat_load_b32 v20, v0, s[12:13] offset:5120 scale_offset
	s_wait_xcnt 0x0
	s_or_b32 exec_lo, exec_lo, s0
                                        ; implicit-def: $vgpr21
	s_and_saveexec_b32 s0, s5
	s_cbranch_execnz .LBB533_34
.LBB533_108:
	s_or_b32 exec_lo, exec_lo, s0
                                        ; implicit-def: $vgpr22
	s_and_saveexec_b32 s0, s6
	s_cbranch_execz .LBB533_35
.LBB533_109:
	flat_load_b32 v22, v0, s[12:13] offset:7168 scale_offset
	s_wait_xcnt 0x0
	s_or_b32 exec_lo, exec_lo, s0
                                        ; implicit-def: $vgpr23
	s_and_saveexec_b32 s0, s7
	s_cbranch_execnz .LBB533_36
.LBB533_110:
	s_or_b32 exec_lo, exec_lo, s0
                                        ; implicit-def: $vgpr24
	s_and_saveexec_b32 s0, s8
	s_cbranch_execz .LBB533_37
.LBB533_111:
	flat_load_b32 v24, v0, s[12:13] offset:9216 scale_offset
	s_wait_xcnt 0x0
	s_or_b32 exec_lo, exec_lo, s0
                                        ; implicit-def: $vgpr25
	s_and_saveexec_b32 s0, s9
	s_cbranch_execz .LBB533_39
	s_branch .LBB533_38
.LBB533_112:
                                        ; implicit-def: $vgpr13
                                        ; implicit-def: $vgpr9
                                        ; implicit-def: $vgpr5
	s_cbranch_execnz .LBB533_158
.LBB533_113:
	s_add_nc_u64 s[0:1], s[14:15], s[26:27]
	s_and_b32 vcc_lo, exec_lo, s19
	s_add_nc_u64 s[0:1], s[0:1], s[20:21]
	s_cbranch_vccz .LBB533_175
.LBB533_114:
	v_mul_u32_u24_e32 v1, 12, v0
	s_add_co_i32 s29, s29, s18
	s_mov_b32 s2, exec_lo
	s_delay_alu instid0(VALU_DEP_1)
	v_cmpx_gt_u32_e64 s29, v1
	s_cbranch_execz .LBB533_130
; %bb.115:
	v_or_b32_e32 v14, 1, v1
	s_mov_b32 s3, exec_lo
	s_delay_alu instid0(VALU_DEP_1)
	v_cmpx_gt_u32_e64 s29, v14
	s_cbranch_execz .LBB533_129
; %bb.116:
	v_or_b32_e32 v14, 2, v1
	;; [unrolled: 6-line block ×3, first 2 shown]
	s_mov_b32 s5, exec_lo
	s_delay_alu instid0(VALU_DEP_1)
	v_cmpx_gt_u32_e64 s29, v14
	s_cbranch_execz .LBB533_127
; %bb.118:
	v_add_nc_u32_e32 v14, 4, v1
	s_mov_b32 s6, exec_lo
	s_delay_alu instid0(VALU_DEP_1)
	v_cmpx_gt_u32_e64 s29, v14
	s_cbranch_execz .LBB533_126
; %bb.119:
	v_add_nc_u32_e32 v14, 5, v1
	;; [unrolled: 6-line block ×4, first 2 shown]
	s_mov_b32 s9, exec_lo
	s_delay_alu instid0(VALU_DEP_1)
	v_cmpx_gt_u32_e64 s29, v14
; %bb.122:
	v_add_nc_u32_e32 v14, 8, v1
	s_mov_b32 s10, exec_lo
	s_delay_alu instid0(VALU_DEP_1)
	v_cmpx_gt_u32_e64 s29, v14
	s_or_b32 exec_lo, exec_lo, s10
; %bb.123:
	s_delay_alu instid0(SALU_CYCLE_1)
	s_or_b32 exec_lo, exec_lo, s9
.LBB533_124:
	s_delay_alu instid0(SALU_CYCLE_1)
	s_or_b32 exec_lo, exec_lo, s8
.LBB533_125:
	s_delay_alu instid0(SALU_CYCLE_1)
	s_or_b32 exec_lo, exec_lo, s7
.LBB533_126:
	s_delay_alu instid0(SALU_CYCLE_1)
	s_or_b32 exec_lo, exec_lo, s6
.LBB533_127:
	s_delay_alu instid0(SALU_CYCLE_1)
	s_or_b32 exec_lo, exec_lo, s5
.LBB533_128:
	s_delay_alu instid0(SALU_CYCLE_1)
	s_or_b32 exec_lo, exec_lo, s4
.LBB533_129:
	s_delay_alu instid0(SALU_CYCLE_1)
	s_or_b32 exec_lo, exec_lo, s3
.LBB533_130:
	s_delay_alu instid0(SALU_CYCLE_1) | instskip(SKIP_3) | instid1(VALU_DEP_1)
	s_or_b32 exec_lo, exec_lo, s2
	v_dual_lshlrev_b32 v1, 2, v1 :: v_dual_mov_b32 v17, 0
	s_barrier_signal -1
	s_barrier_wait -1
	v_mad_i32_i24 v14, 0xffffffd4, v0, v1
	ds_store_b128 v1, v[2:5]
	ds_store_b128 v1, v[6:9] offset:16
	ds_store_b128 v1, v[10:13] offset:32
	s_wait_dscnt 0x0
	s_barrier_signal -1
	s_barrier_wait -1
	ds_load_2addr_stride64_b32 v[26:27], v14 offset0:4 offset1:8
	ds_load_2addr_stride64_b32 v[24:25], v14 offset0:12 offset1:16
	;; [unrolled: 1-line block ×5, first 2 shown]
	ds_load_b32 v15, v14 offset:11264
	v_add_nc_u64_e32 v[16:17], s[0:1], v[16:17]
	s_mov_b32 s2, exec_lo
	v_cmpx_gt_u32_e64 s29, v0
	s_cbranch_execz .LBB533_132
; %bb.131:
	v_mul_i32_i24_e32 v14, 0xffffffd4, v0
	s_delay_alu instid0(VALU_DEP_1)
	v_add_nc_u32_e32 v1, v1, v14
	ds_load_b32 v1, v1
	s_wait_dscnt 0x0
	flat_store_b32 v[16:17], v1
.LBB533_132:
	s_wait_xcnt 0x0
	s_or_b32 exec_lo, exec_lo, s2
	v_or_b32_e32 v1, 0x100, v0
	s_mov_b32 s2, exec_lo
	s_delay_alu instid0(VALU_DEP_1)
	v_cmpx_gt_u32_e64 s29, v1
	s_cbranch_execz .LBB533_134
; %bb.133:
	s_wait_dscnt 0x5
	flat_store_b32 v[16:17], v26 offset:1024
.LBB533_134:
	s_wait_xcnt 0x0
	s_or_b32 exec_lo, exec_lo, s2
	v_or_b32_e32 v1, 0x200, v0
	s_mov_b32 s2, exec_lo
	s_delay_alu instid0(VALU_DEP_1)
	v_cmpx_gt_u32_e64 s29, v1
	s_cbranch_execz .LBB533_136
; %bb.135:
	s_wait_dscnt 0x5
	flat_store_b32 v[16:17], v27 offset:2048
.LBB533_136:
	;; [unrolled: 11-line block ×10, first 2 shown]
	s_wait_xcnt 0x0
	s_or_b32 exec_lo, exec_lo, s2
	v_or_b32_e32 v1, 0xb00, v0
	s_delay_alu instid0(VALU_DEP_1)
	v_cmp_gt_u32_e64 s2, s29, v1
	s_branch .LBB533_177
.LBB533_153:
	s_and_saveexec_b32 s12, s11
	s_cbranch_execz .LBB533_155
; %bb.154:
	v_and_b32_e32 v4, 0xff, v3
	s_mov_b32 s31, 0
	s_add_co_i32 s30, s28, 32
	v_and_b32_e32 v5, 1, v50
	s_lshl_b64 s[30:31], s[30:31], 4
	v_cmp_eq_u32_e32 vcc_lo, 0, v4
	s_add_nc_u64 s[30:31], s[16:17], s[30:31]
	s_delay_alu instid0(SALU_CYCLE_1) | instskip(SKIP_1) | instid1(VALU_DEP_1)
	v_mov_b64_e32 v[6:7], s[30:31]
	v_cndmask_b32_e32 v4, 0, v51, vcc_lo
	v_dual_add_nc_u32 v2, v4, v2 :: v_dual_bitop2_b32 v3, 1, v3 bitop3:0x40
	s_delay_alu instid0(VALU_DEP_1)
	v_cmp_eq_u32_e32 vcc_lo, 1, v3
	v_mov_b32_e32 v4, 2
	v_cndmask_b32_e64 v3, v5, 1, vcc_lo
	v_mov_b32_e32 v5, 0
	;;#ASMSTART
	global_store_b128 v[6:7], v[2:5] off scope:SCOPE_DEV	
s_wait_storecnt 0x0
	;;#ASMEND
.LBB533_155:
	s_or_b32 exec_lo, exec_lo, s12
	s_delay_alu instid0(SALU_CYCLE_1)
	s_and_b32 exec_lo, exec_lo, s10
	s_cbranch_execz .LBB533_157
; %bb.156:
	v_mov_b32_e32 v2, 0
	ds_store_b32 v2, v51
	ds_store_b8 v2, v50 offset:4
.LBB533_157:
	s_or_b32 exec_lo, exec_lo, s34
	s_wait_dscnt 0x0
	v_and_b32_e32 v3, 0xff, v13
	s_barrier_signal -1
	s_barrier_wait -1
	s_delay_alu instid0(VALU_DEP_1)
	v_cmp_eq_u16_e32 vcc_lo, 0, v3
	v_mov_b32_e32 v4, 0
	v_and_b32_e32 v5, 0xff, v15
	ds_load_b32 v2, v4
	s_wait_dscnt 0x0
	v_cndmask_b32_e32 v3, 0, v2, vcc_lo
	v_cmp_eq_u64_e32 vcc_lo, 0, v[4:5]
	s_delay_alu instid0(VALU_DEP_2) | instskip(NEXT) | instid1(VALU_DEP_1)
	v_add_nc_u32_e32 v3, v3, v12
	v_cndmask_b32_e64 v2, v3, v2, s10
	s_delay_alu instid0(VALU_DEP_1) | instskip(NEXT) | instid1(VALU_DEP_1)
	v_cndmask_b32_e32 v3, 0, v2, vcc_lo
	v_add_nc_u32_e32 v3, v3, v14
	s_delay_alu instid0(VALU_DEP_1) | instskip(NEXT) | instid1(VALU_DEP_1)
	v_cndmask_b32_e64 v4, 0, v3, s0
	v_add_nc_u32_e32 v4, v4, v36
	s_delay_alu instid0(VALU_DEP_1) | instskip(NEXT) | instid1(VALU_DEP_1)
	v_cndmask_b32_e64 v5, 0, v4, s1
	;; [unrolled: 3-line block ×10, first 2 shown]
	v_add_nc_u32_e32 v13, v13, v18
	s_branch .LBB533_113
.LBB533_158:
	s_cmp_eq_u64 s[24:25], 0
	v_mov_b32_e32 v41, s33
	s_cselect_b32 s0, -1, 0
	s_cmp_eq_u64 s[22:23], 0
	s_cselect_b32 s1, -1, 0
	s_delay_alu instid0(SALU_CYCLE_1) | instskip(NEXT) | instid1(SALU_CYCLE_1)
	s_or_b32 s0, s0, s1
	s_and_b32 vcc_lo, exec_lo, s0
	s_cbranch_vccnz .LBB533_160
; %bb.159:
	v_mov_b32_e32 v2, 0
	global_load_b32 v41, v2, s[22:23]
.LBB533_160:
	s_mov_b64 s[10:11], 0x100000000
	v_or3_b32 v3, v40, v27, v29
	v_cmp_gt_u64_e32 vcc_lo, s[10:11], v[36:37]
	v_cmp_gt_u64_e64 s0, s[10:11], v[34:35]
	v_cmp_gt_u64_e64 s9, s[10:11], v[38:39]
	;; [unrolled: 1-line block ×6, first 2 shown]
	s_wait_xcnt 0x0
	v_dual_cndmask_b32 v2, 0, v14, vcc_lo :: v_dual_bitop2_b32 v1, 56, v1 bitop3:0x40
	v_cmp_gt_u64_e64 s5, s[10:11], v[24:25]
	v_cmp_gt_u64_e64 s6, s[10:11], v[22:23]
	;; [unrolled: 1-line block ×3, first 2 shown]
	s_delay_alu instid0(VALU_DEP_4)
	v_add_nc_u32_e32 v2, v2, v36
	v_or3_b32 v3, v3, v31, v33
	v_cmp_gt_u64_e64 s8, s[10:11], v[18:19]
	v_lshl_add_u32 v1, v0, 3, v1
	s_mov_b32 s10, exec_lo
	v_cndmask_b32_e64 v2, 0, v2, s0
	v_or3_b32 v3, v3, v35, v37
	s_delay_alu instid0(VALU_DEP_2) | instskip(NEXT) | instid1(VALU_DEP_2)
	v_add_nc_u32_e32 v2, v2, v34
	v_or3_b32 v3, v39, v17, v3
	s_delay_alu instid0(VALU_DEP_2) | instskip(NEXT) | instid1(VALU_DEP_2)
	v_cndmask_b32_e64 v2, 0, v2, s1
	v_and_b32_e32 v3, 0xff, v3
	s_delay_alu instid0(VALU_DEP_2) | instskip(NEXT) | instid1(VALU_DEP_1)
	v_add_nc_u32_e32 v2, v2, v32
	v_cndmask_b32_e64 v2, 0, v2, s2
	s_delay_alu instid0(VALU_DEP_1) | instskip(NEXT) | instid1(VALU_DEP_1)
	v_add_nc_u32_e32 v2, v2, v30
	v_cndmask_b32_e64 v2, 0, v2, s3
	s_delay_alu instid0(VALU_DEP_1) | instskip(NEXT) | instid1(VALU_DEP_1)
	;; [unrolled: 3-line block ×7, first 2 shown]
	v_dual_add_nc_u32 v4, v2, v18 :: v_dual_mov_b32 v2, 0
	v_cndmask_b32_e64 v4, 0, v4, s9
	s_delay_alu instid0(VALU_DEP_2) | instskip(NEXT) | instid1(VALU_DEP_1)
	v_cmp_eq_u64_e64 s9, 0, v[2:3]
	v_dual_add_nc_u32 v4, v4, v38 :: v_dual_cndmask_b32 v5, 1, v15, s9
	ds_store_b32 v1, v4
	ds_store_b8 v1, v5 offset:4
	s_wait_loadcnt_dscnt 0x0
	s_barrier_signal -1
	s_barrier_wait -1
	v_cmpx_gt_u32_e32 32, v0
	s_cbranch_execz .LBB533_170
; %bb.161:
	v_dual_lshlrev_b32 v1, 1, v0 :: v_dual_lshlrev_b32 v2, 6, v0
	s_mov_b32 s11, exec_lo
	s_delay_alu instid0(VALU_DEP_1) | instskip(NEXT) | instid1(VALU_DEP_1)
	v_and_b32_e32 v1, 0x1f8, v1
	v_add_nc_u32_e32 v1, v1, v2
	ds_load_u8 v12, v1 offset:12
	ds_load_b64 v[2:3], v1
	ds_load_2addr_b32 v[6:7], v1 offset0:2 offset1:4
	ds_load_u8 v13, v1 offset:20
	ds_load_u8 v17, v1 offset:28
	;; [unrolled: 1-line block ×5, first 2 shown]
	ds_load_b32 v25, v1 offset:56
	s_wait_dscnt 0x8
	v_cmp_eq_u16_e64 s9, 0, v12
	s_wait_dscnt 0x7
	s_delay_alu instid0(VALU_DEP_1)
	v_cndmask_b32_e64 v10, 0, v2, s9
	ds_load_2addr_b32 v[8:9], v1 offset0:6 offset1:8
	s_wait_dscnt 0x6
	v_cmp_eq_u16_e64 s9, 0, v13
	v_add_nc_u32_e32 v6, v10, v6
	ds_load_2addr_b32 v[10:11], v1 offset0:10 offset1:12
	v_cndmask_b32_e64 v6, 0, v6, s9
	s_wait_dscnt 0x6
	v_cmp_eq_u16_e64 s9, 0, v17
	s_delay_alu instid0(VALU_DEP_2) | instskip(NEXT) | instid1(VALU_DEP_1)
	v_dual_add_nc_u32 v6, v6, v7 :: v_dual_bitop2_b32 v7, v13, v12 bitop3:0x54
	v_cndmask_b32_e64 v6, 0, v6, s9
	s_wait_dscnt 0x5
	v_cmp_eq_u16_e64 s9, 0, v19
	s_delay_alu instid0(VALU_DEP_3)
	v_bitop3_b16 v7, v7, v19, v17 bitop3:0xfe
	s_wait_dscnt 0x1
	v_add_nc_u32_e32 v6, v6, v8
	ds_load_u8 v8, v1 offset:60
	v_bitop3_b16 v7, v7, v23, v21 bitop3:0xfe
	v_cndmask_b32_e64 v6, 0, v6, s9
	v_cmp_eq_u16_e64 s9, 0, v21
	s_delay_alu instid0(VALU_DEP_2) | instskip(NEXT) | instid1(VALU_DEP_1)
	v_add_nc_u32_e32 v6, v6, v9
	v_dual_cndmask_b32 v9, 0, v6, s9 :: v_dual_bitop2_b32 v6, 1, v3 bitop3:0x40
	v_cmp_eq_u16_e64 s9, 0, v7
	s_wait_dscnt 0x0
	s_delay_alu instid0(VALU_DEP_2) | instskip(NEXT) | instid1(VALU_DEP_2)
	v_dual_add_nc_u32 v9, v9, v10 :: v_dual_bitop2_b32 v10, 1, v8 bitop3:0x40
	v_cndmask_b32_e64 v7, 1, v6, s9
	v_cmp_eq_u16_e64 s9, 0, v23
	s_delay_alu instid0(VALU_DEP_1) | instskip(NEXT) | instid1(VALU_DEP_4)
	v_cndmask_b32_e64 v9, 0, v9, s9
	v_cmp_eq_u32_e64 s9, 1, v10
	s_delay_alu instid0(VALU_DEP_2) | instskip(NEXT) | instid1(VALU_DEP_2)
	v_add_nc_u32_e32 v9, v9, v11
	v_cndmask_b32_e64 v10, v7, 1, s9
	v_cmp_eq_u16_e64 s9, 0, v8
	v_and_b32_e32 v7, 0xffffff00, v3
	s_delay_alu instid0(VALU_DEP_3) | instskip(NEXT) | instid1(VALU_DEP_3)
	v_and_b32_e32 v11, 0xffff, v10
	v_cndmask_b32_e64 v8, 0, v9, s9
	v_mbcnt_lo_u32_b32 v9, -1, 0
	s_delay_alu instid0(VALU_DEP_2) | instskip(NEXT) | instid1(VALU_DEP_2)
	v_dual_add_nc_u32 v8, v8, v25 :: v_dual_bitop2_b32 v12, v7, v11 bitop3:0x54
	v_and_b32_e32 v11, 15, v9
	s_delay_alu instid0(VALU_DEP_2) | instskip(NEXT) | instid1(VALU_DEP_3)
	v_mov_b32_dpp v17, v12 row_shr:1 row_mask:0xf bank_mask:0xf
	v_mov_b32_dpp v13, v8 row_shr:1 row_mask:0xf bank_mask:0xf
	s_delay_alu instid0(VALU_DEP_3)
	v_cmpx_ne_u32_e32 0, v11
	s_cbranch_execz .LBB533_163
; %bb.162:
	v_and_b32_e32 v12, 1, v10
	v_and_b32_e32 v17, 1, v17
	s_delay_alu instid0(VALU_DEP_2) | instskip(NEXT) | instid1(VALU_DEP_1)
	v_cmp_eq_u32_e64 s9, 1, v12
	v_cndmask_b32_e64 v17, v17, 1, s9
	v_cmp_eq_u16_e64 s9, 0, v10
	s_delay_alu instid0(VALU_DEP_2) | instskip(NEXT) | instid1(VALU_DEP_1)
	v_and_b32_e32 v12, 0xffff, v17
	v_dual_cndmask_b32 v10, 0, v13, s9 :: v_dual_bitop2_b32 v12, v7, v12 bitop3:0x54
	s_delay_alu instid0(VALU_DEP_1)
	v_dual_add_nc_u32 v8, v10, v8 :: v_dual_mov_b32 v10, v17
.LBB533_163:
	s_or_b32 exec_lo, exec_lo, s11
	s_delay_alu instid0(VALU_DEP_1) | instskip(NEXT) | instid1(VALU_DEP_3)
	v_mov_b32_dpp v13, v8 row_shr:2 row_mask:0xf bank_mask:0xf
	v_mov_b32_dpp v17, v12 row_shr:2 row_mask:0xf bank_mask:0xf
	s_mov_b32 s11, exec_lo
	v_cmpx_lt_u32_e32 1, v11
	s_cbranch_execz .LBB533_165
; %bb.164:
	v_and_b32_e32 v12, 1, v10
	v_and_b32_e32 v17, 1, v17
	s_delay_alu instid0(VALU_DEP_2) | instskip(NEXT) | instid1(VALU_DEP_1)
	v_cmp_eq_u32_e64 s9, 1, v12
	v_cndmask_b32_e64 v17, v17, 1, s9
	v_cmp_eq_u16_e64 s9, 0, v10
	s_delay_alu instid0(VALU_DEP_2) | instskip(NEXT) | instid1(VALU_DEP_1)
	v_and_b32_e32 v12, 0xffff, v17
	v_dual_cndmask_b32 v10, 0, v13, s9 :: v_dual_bitop2_b32 v12, v7, v12 bitop3:0x54
	s_delay_alu instid0(VALU_DEP_1)
	v_dual_add_nc_u32 v8, v10, v8 :: v_dual_mov_b32 v10, v17
.LBB533_165:
	s_or_b32 exec_lo, exec_lo, s11
	s_delay_alu instid0(VALU_DEP_1) | instskip(NEXT) | instid1(VALU_DEP_3)
	v_mov_b32_dpp v13, v8 row_shr:4 row_mask:0xf bank_mask:0xf
	v_mov_b32_dpp v17, v12 row_shr:4 row_mask:0xf bank_mask:0xf
	s_mov_b32 s11, exec_lo
	v_cmpx_lt_u32_e32 3, v11
	s_cbranch_execz .LBB533_167
; %bb.166:
	v_and_b32_e32 v12, 1, v10
	v_and_b32_e32 v17, 1, v17
	s_delay_alu instid0(VALU_DEP_2) | instskip(NEXT) | instid1(VALU_DEP_1)
	v_cmp_eq_u32_e64 s9, 1, v12
	v_cndmask_b32_e64 v17, v17, 1, s9
	v_cmp_eq_u16_e64 s9, 0, v10
	s_delay_alu instid0(VALU_DEP_2) | instskip(NEXT) | instid1(VALU_DEP_1)
	v_and_b32_e32 v12, 0xffff, v17
	v_dual_cndmask_b32 v10, 0, v13, s9 :: v_dual_bitop2_b32 v12, v7, v12 bitop3:0x54
	s_delay_alu instid0(VALU_DEP_1)
	v_dual_add_nc_u32 v8, v10, v8 :: v_dual_mov_b32 v10, v17
.LBB533_167:
	s_or_b32 exec_lo, exec_lo, s11
	s_delay_alu instid0(VALU_DEP_1) | instskip(NEXT) | instid1(VALU_DEP_3)
	v_mov_b32_dpp v13, v8 row_shr:8 row_mask:0xf bank_mask:0xf
	v_mov_b32_dpp v17, v12 row_shr:8 row_mask:0xf bank_mask:0xf
	s_mov_b32 s11, exec_lo
	v_cmpx_lt_u32_e32 7, v11
	s_cbranch_execz .LBB533_169
; %bb.168:
	v_and_b32_e32 v11, 1, v10
	v_and_b32_e32 v12, 1, v17
	s_delay_alu instid0(VALU_DEP_2) | instskip(NEXT) | instid1(VALU_DEP_1)
	v_cmp_eq_u32_e64 s9, 1, v11
	v_cndmask_b32_e64 v11, v12, 1, s9
	v_cmp_eq_u16_e64 s9, 0, v10
	s_delay_alu instid0(VALU_DEP_2) | instskip(NEXT) | instid1(VALU_DEP_1)
	v_and_b32_e32 v12, 0xffff, v11
	v_dual_cndmask_b32 v10, 0, v13, s9 :: v_dual_bitop2_b32 v12, v7, v12 bitop3:0x54
	s_delay_alu instid0(VALU_DEP_1)
	v_dual_add_nc_u32 v8, v10, v8 :: v_dual_mov_b32 v10, v11
.LBB533_169:
	s_or_b32 exec_lo, exec_lo, s11
	ds_swizzle_b32 v11, v12 offset:swizzle(BROADCAST,32,15)
	ds_swizzle_b32 v12, v8 offset:swizzle(BROADCAST,32,15)
	v_and_b32_e32 v13, 1, v10
	v_bfe_i32 v19, v9, 4, 1
	v_and_b32_e32 v3, 0xff, v3
	; wave barrier
	s_delay_alu instid0(VALU_DEP_3) | instskip(SKIP_2) | instid1(VALU_DEP_1)
	v_cmp_eq_u32_e64 s9, 1, v13
	s_wait_dscnt 0x1
	v_dual_add_nc_u32 v13, -1, v9 :: v_dual_bitop2_b32 v11, 1, v11 bitop3:0x40
	v_cndmask_b32_e64 v11, v11, 1, s9
	v_and_b32_e32 v17, 16, v9
	v_cmp_eq_u16_e64 s9, 0, v10
	s_wait_dscnt 0x0
	s_delay_alu instid0(VALU_DEP_1) | instskip(NEXT) | instid1(VALU_DEP_3)
	v_cndmask_b32_e64 v12, 0, v12, s9
	v_cmp_eq_u32_e64 s9, 0, v17
	s_delay_alu instid0(VALU_DEP_1) | instskip(SKIP_1) | instid1(VALU_DEP_4)
	v_cndmask_b32_e64 v10, v11, v10, s9
	v_cmp_gt_i32_e64 s9, 0, v13
	v_and_b32_e32 v11, v19, v12
	s_delay_alu instid0(VALU_DEP_3) | instskip(NEXT) | instid1(VALU_DEP_2)
	v_and_b32_e32 v10, 0xffff, v10
	v_dual_cndmask_b32 v9, v13, v9, s9 :: v_dual_add_nc_u32 v8, v11, v8
	v_cmp_eq_u16_e64 s9, 0, v3
	s_delay_alu instid0(VALU_DEP_2)
	v_lshlrev_b32_e32 v9, 2, v9
	ds_bpermute_b32 v8, v9, v8
	s_wait_dscnt 0x0
	v_dual_cndmask_b32 v3, 0, v8, s9 :: v_dual_bitop2_b32 v7, v7, v10 bitop3:0x54
	ds_bpermute_b32 v7, v9, v7
	v_cmp_eq_u32_e64 s9, 1, v6
	s_wait_dscnt 0x0
	v_dual_add_nc_u32 v2, v3, v2 :: v_dual_bitop2_b32 v7, 1, v7 bitop3:0x40
	s_delay_alu instid0(VALU_DEP_1) | instskip(SKIP_1) | instid1(VALU_DEP_1)
	v_cndmask_b32_e64 v3, v7, 1, s9
	v_cmp_eq_u32_e64 s9, 0, v0
	v_dual_cndmask_b32 v4, v2, v4, s9 :: v_dual_cndmask_b32 v6, v3, v5, s9
	ds_store_b32 v1, v4
	ds_store_b8 v1, v6 offset:4
	; wave barrier
	ds_load_u8 v7, v1 offset:12
	ds_load_2addr_b32 v[2:3], v1 offset0:2 offset1:4
	ds_load_u8 v8, v1 offset:20
	ds_load_u8 v9, v1 offset:28
	;; [unrolled: 1-line block ×5, first 2 shown]
	ds_load_b32 v13, v1 offset:56
	ds_load_u8 v17, v1 offset:60
	s_wait_dscnt 0x8
	v_cmp_eq_u16_e64 s9, 0, v7
	s_delay_alu instid0(VALU_DEP_1) | instskip(SKIP_4) | instid1(VALU_DEP_1)
	v_cndmask_b32_e64 v19, 0, v4, s9
	ds_load_2addr_b32 v[4:5], v1 offset0:6 offset1:8
	s_wait_dscnt 0x7
	v_cmp_eq_u16_e64 s9, 0, v8
	v_add_nc_u32_e32 v19, v19, v2
	v_cndmask_b32_e64 v2, 0, v19, s9
	s_wait_dscnt 0x6
	v_cmp_eq_u16_e64 s9, 0, v9
	s_delay_alu instid0(VALU_DEP_2)
	v_add_nc_u32_e32 v21, v2, v3
	ds_load_2addr_b32 v[2:3], v1 offset0:10 offset1:12
	v_cndmask_b32_e64 v23, 0, v21, s9
	s_wait_dscnt 0x6
	v_cmp_eq_u16_e64 s9, 0, v10
	ds_store_2addr_b32 v1, v19, v21 offset0:2 offset1:4
	s_wait_dscnt 0x2
	v_dual_add_nc_u32 v4, v23, v4 :: v_dual_bitop2_b32 v7, 1, v7 bitop3:0x40
	s_delay_alu instid0(VALU_DEP_1) | instskip(SKIP_1) | instid1(VALU_DEP_3)
	v_cndmask_b32_e64 v23, 0, v4, s9
	v_and_b32_e32 v8, 1, v8
	v_cmp_eq_u32_e64 s9, 1, v7
	v_and_b32_e32 v7, 1, v9
	s_delay_alu instid0(VALU_DEP_4) | instskip(NEXT) | instid1(VALU_DEP_3)
	v_add_nc_u32_e32 v5, v23, v5
	v_cndmask_b32_e64 v6, v6, 1, s9
	v_cmp_eq_u32_e64 s9, 1, v8
	s_delay_alu instid0(VALU_DEP_1) | instskip(SKIP_1) | instid1(VALU_DEP_1)
	v_cndmask_b32_e64 v8, v6, 1, s9
	v_cmp_eq_u16_e64 s9, 0, v11
	v_dual_cndmask_b32 v10, 0, v5, s9 :: v_dual_bitop2_b32 v9, 1, v10 bitop3:0x40
	s_wait_dscnt 0x1
	s_delay_alu instid0(VALU_DEP_1) | instskip(SKIP_2) | instid1(VALU_DEP_2)
	v_add_nc_u32_e32 v2, v10, v2
	v_cmp_eq_u32_e64 s9, 1, v7
	v_and_b32_e32 v10, 1, v12
	v_cndmask_b32_e64 v7, v8, 1, s9
	v_cmp_eq_u32_e64 s9, 1, v9
	s_delay_alu instid0(VALU_DEP_1) | instskip(SKIP_1) | instid1(VALU_DEP_1)
	v_cndmask_b32_e64 v9, v7, 1, s9
	v_cmp_eq_u16_e64 s9, 0, v12
	v_dual_cndmask_b32 v12, 0, v2, s9 :: v_dual_bitop2_b32 v11, 1, v11 bitop3:0x40
	s_delay_alu instid0(VALU_DEP_1) | instskip(NEXT) | instid1(VALU_DEP_2)
	v_cmp_eq_u32_e64 s9, 1, v11
	v_add_nc_u32_e32 v3, v12, v3
	s_delay_alu instid0(VALU_DEP_2)
	v_cndmask_b32_e64 v11, v9, 1, s9
	v_cmp_eq_u32_e64 s9, 1, v10
	ds_store_2addr_b32 v1, v4, v5 offset0:6 offset1:8
	ds_store_2addr_b32 v1, v2, v3 offset0:10 offset1:12
	v_cndmask_b32_e64 v10, v11, 1, s9
	v_cmp_eq_u16_e64 s9, 0, v17
	s_delay_alu instid0(VALU_DEP_1) | instskip(NEXT) | instid1(VALU_DEP_1)
	v_dual_cndmask_b32 v12, 0, v3, s9 :: v_dual_bitop2_b32 v23, 1, v17 bitop3:0x40
	v_cmp_eq_u32_e64 s9, 1, v23
	s_delay_alu instid0(VALU_DEP_2) | instskip(NEXT) | instid1(VALU_DEP_2)
	v_add_nc_u32_e32 v2, v12, v13
	v_cndmask_b32_e64 v17, v10, 1, s9
	ds_store_b8 v1, v6 offset:12
	ds_store_b8 v1, v8 offset:20
	;; [unrolled: 1-line block ×6, first 2 shown]
	ds_store_b32 v1, v2 offset:56
	ds_store_b8 v1, v17 offset:60
.LBB533_170:
	s_or_b32 exec_lo, exec_lo, s10
	v_cmp_eq_u32_e64 s9, 0, v0
	v_mov_b32_e32 v2, v41
	s_mov_b32 s11, exec_lo
	s_wait_dscnt 0x0
	s_barrier_signal -1
	s_barrier_wait -1
	v_cmpx_ne_u32_e32 0, v0
	s_cbranch_execz .LBB533_172
; %bb.171:
	v_add_nc_u32_e32 v1, -1, v0
	s_delay_alu instid0(VALU_DEP_1) | instskip(NEXT) | instid1(VALU_DEP_1)
	v_lshrrev_b32_e32 v2, 2, v1
	v_and_b32_e32 v2, 0x3ffffff8, v2
	s_delay_alu instid0(VALU_DEP_1) | instskip(SKIP_4) | instid1(VALU_DEP_1)
	v_lshl_add_u32 v1, v1, 3, v2
	ds_load_u8 v2, v1 offset:4
	ds_load_b32 v1, v1
	s_wait_dscnt 0x1
	v_cmp_eq_u16_e64 s10, 0, v2
	v_cndmask_b32_e64 v2, 0, v41, s10
	s_wait_dscnt 0x0
	s_delay_alu instid0(VALU_DEP_1)
	v_add_nc_u32_e32 v2, v2, v1
.LBB533_172:
	s_or_b32 exec_lo, exec_lo, s11
	v_and_b32_e32 v39, 0xff, v15
	v_mov_b32_e32 v38, 0
	s_delay_alu instid0(VALU_DEP_1) | instskip(NEXT) | instid1(VALU_DEP_1)
	v_cmp_eq_u64_e64 s10, 0, v[38:39]
	v_cndmask_b32_e64 v1, 0, v2, s10
	s_delay_alu instid0(VALU_DEP_1) | instskip(NEXT) | instid1(VALU_DEP_1)
	v_add_nc_u32_e32 v3, v1, v14
	v_cndmask_b32_e32 v1, 0, v3, vcc_lo
	s_delay_alu instid0(VALU_DEP_1) | instskip(NEXT) | instid1(VALU_DEP_1)
	v_add_nc_u32_e32 v4, v1, v36
	v_cndmask_b32_e64 v1, 0, v4, s0
	s_delay_alu instid0(VALU_DEP_1) | instskip(NEXT) | instid1(VALU_DEP_1)
	v_add_nc_u32_e32 v5, v1, v34
	v_cndmask_b32_e64 v1, 0, v5, s1
	;; [unrolled: 3-line block ×9, first 2 shown]
	s_delay_alu instid0(VALU_DEP_1)
	v_add_nc_u32_e32 v13, v1, v18
	s_and_saveexec_b32 s0, s9
	s_cbranch_execz .LBB533_174
; %bb.173:
	ds_load_u8 v1, v38 offset:2100
	ds_load_b32 v17, v38 offset:2096
	v_mov_b32_e32 v15, v38
	s_add_nc_u64 s[2:3], s[16:17], 0x200
	v_dual_mov_b32 v20, 2 :: v_dual_mov_b32 v21, v38
	s_wait_dscnt 0x1
	v_and_b32_e32 v14, 0xffff, v1
	s_delay_alu instid0(VALU_DEP_1) | instskip(SKIP_3) | instid1(VALU_DEP_2)
	v_cmp_eq_u64_e32 vcc_lo, 0, v[14:15]
	v_dual_cndmask_b32 v1, 0, v41, vcc_lo :: v_dual_mov_b32 v19, v14
	v_mov_b64_e32 v[14:15], s[2:3]
	s_wait_dscnt 0x0
	v_add_nc_u32_e32 v18, v1, v17
	;;#ASMSTART
	global_store_b128 v[14:15], v[18:21] off scope:SCOPE_DEV	
s_wait_storecnt 0x0
	;;#ASMEND
.LBB533_174:
	s_or_b32 exec_lo, exec_lo, s0
	s_add_nc_u64 s[0:1], s[14:15], s[26:27]
	s_and_b32 vcc_lo, exec_lo, s19
	s_add_nc_u64 s[0:1], s[0:1], s[20:21]
	s_cbranch_vccnz .LBB533_114
.LBB533_175:
	s_mov_b32 s2, 0
                                        ; implicit-def: $vgpr15
	s_cbranch_execz .LBB533_177
; %bb.176:
	v_mul_u32_u24_e32 v1, 48, v0
	v_mul_i32_i24_e32 v14, 0xffffffd4, v0
	s_wait_storecnt_dscnt 0x0
	s_barrier_signal -1
	s_barrier_wait -1
	ds_store_b128 v1, v[2:5]
	ds_store_b128 v1, v[6:9] offset:16
	ds_store_b128 v1, v[10:13] offset:32
	v_mad_u32_u24 v1, v0, 48, v14
	s_wait_dscnt 0x0
	s_barrier_signal -1
	s_barrier_wait -1
	ds_load_2addr_stride64_b32 v[2:3], v1 offset1:4
	ds_load_2addr_stride64_b32 v[4:5], v1 offset0:8 offset1:12
	ds_load_2addr_stride64_b32 v[6:7], v1 offset0:16 offset1:20
	;; [unrolled: 1-line block ×5, first 2 shown]
	s_or_b32 s2, s2, exec_lo
	s_wait_dscnt 0x5
	s_clause 0x1
	flat_store_b32 v0, v2, s[0:1] scale_offset
	flat_store_b32 v0, v3, s[0:1] offset:1024 scale_offset
	s_wait_dscnt 0x6
	s_clause 0x1
	flat_store_b32 v0, v4, s[0:1] offset:2048 scale_offset
	flat_store_b32 v0, v5, s[0:1] offset:3072 scale_offset
	s_wait_dscnt 0x7
	s_clause 0x1
	flat_store_b32 v0, v6, s[0:1] offset:4096 scale_offset
	;; [unrolled: 4-line block ×4, first 2 shown]
	flat_store_b32 v0, v11, s[0:1] offset:9216 scale_offset
	s_wait_dscnt 0xa
	flat_store_b32 v0, v14, s[0:1] offset:10240 scale_offset
.LBB533_177:
	s_wait_xcnt 0x0
	s_delay_alu instid0(VALU_DEP_1)
	s_and_saveexec_b32 s3, s2
	s_cbranch_execz .LBB533_179
; %bb.178:
	s_wait_dscnt 0x0
	flat_store_b32 v0, v15, s[0:1] offset:11264 scale_offset
	s_endpgm
.LBB533_179:
	s_endpgm
	.section	.rodata,"a",@progbits
	.p2align	6, 0x0
	.amdhsa_kernel _ZN7rocprim17ROCPRIM_400000_NS6detail17trampoline_kernelINS0_14default_configENS1_27scan_by_key_config_selectorIiiEEZZNS1_16scan_by_key_implILNS1_25lookback_scan_determinismE0ELb1ES3_N6thrust23THRUST_200600_302600_NS6detail15normal_iteratorINS9_10device_ptrIiEEEESE_SE_iNS9_4plusIvEENS9_8equal_toIiEEiEE10hipError_tPvRmT2_T3_T4_T5_mT6_T7_P12ihipStream_tbENKUlT_T0_E_clISt17integral_constantIbLb0EESZ_EEDaSU_SV_EUlSU_E_NS1_11comp_targetILNS1_3genE0ELNS1_11target_archE4294967295ELNS1_3gpuE0ELNS1_3repE0EEENS1_30default_config_static_selectorELNS0_4arch9wavefront6targetE0EEEvT1_
		.amdhsa_group_segment_fixed_size 14336
		.amdhsa_private_segment_fixed_size 0
		.amdhsa_kernarg_size 112
		.amdhsa_user_sgpr_count 2
		.amdhsa_user_sgpr_dispatch_ptr 0
		.amdhsa_user_sgpr_queue_ptr 0
		.amdhsa_user_sgpr_kernarg_segment_ptr 1
		.amdhsa_user_sgpr_dispatch_id 0
		.amdhsa_user_sgpr_kernarg_preload_length 0
		.amdhsa_user_sgpr_kernarg_preload_offset 0
		.amdhsa_user_sgpr_private_segment_size 0
		.amdhsa_wavefront_size32 1
		.amdhsa_uses_dynamic_stack 0
		.amdhsa_enable_private_segment 0
		.amdhsa_system_sgpr_workgroup_id_x 1
		.amdhsa_system_sgpr_workgroup_id_y 0
		.amdhsa_system_sgpr_workgroup_id_z 0
		.amdhsa_system_sgpr_workgroup_info 0
		.amdhsa_system_vgpr_workitem_id 0
		.amdhsa_next_free_vgpr 62
		.amdhsa_next_free_sgpr 37
		.amdhsa_named_barrier_count 0
		.amdhsa_reserve_vcc 1
		.amdhsa_float_round_mode_32 0
		.amdhsa_float_round_mode_16_64 0
		.amdhsa_float_denorm_mode_32 3
		.amdhsa_float_denorm_mode_16_64 3
		.amdhsa_fp16_overflow 0
		.amdhsa_memory_ordered 1
		.amdhsa_forward_progress 1
		.amdhsa_inst_pref_size 95
		.amdhsa_round_robin_scheduling 0
		.amdhsa_exception_fp_ieee_invalid_op 0
		.amdhsa_exception_fp_denorm_src 0
		.amdhsa_exception_fp_ieee_div_zero 0
		.amdhsa_exception_fp_ieee_overflow 0
		.amdhsa_exception_fp_ieee_underflow 0
		.amdhsa_exception_fp_ieee_inexact 0
		.amdhsa_exception_int_div_zero 0
	.end_amdhsa_kernel
	.section	.text._ZN7rocprim17ROCPRIM_400000_NS6detail17trampoline_kernelINS0_14default_configENS1_27scan_by_key_config_selectorIiiEEZZNS1_16scan_by_key_implILNS1_25lookback_scan_determinismE0ELb1ES3_N6thrust23THRUST_200600_302600_NS6detail15normal_iteratorINS9_10device_ptrIiEEEESE_SE_iNS9_4plusIvEENS9_8equal_toIiEEiEE10hipError_tPvRmT2_T3_T4_T5_mT6_T7_P12ihipStream_tbENKUlT_T0_E_clISt17integral_constantIbLb0EESZ_EEDaSU_SV_EUlSU_E_NS1_11comp_targetILNS1_3genE0ELNS1_11target_archE4294967295ELNS1_3gpuE0ELNS1_3repE0EEENS1_30default_config_static_selectorELNS0_4arch9wavefront6targetE0EEEvT1_,"axG",@progbits,_ZN7rocprim17ROCPRIM_400000_NS6detail17trampoline_kernelINS0_14default_configENS1_27scan_by_key_config_selectorIiiEEZZNS1_16scan_by_key_implILNS1_25lookback_scan_determinismE0ELb1ES3_N6thrust23THRUST_200600_302600_NS6detail15normal_iteratorINS9_10device_ptrIiEEEESE_SE_iNS9_4plusIvEENS9_8equal_toIiEEiEE10hipError_tPvRmT2_T3_T4_T5_mT6_T7_P12ihipStream_tbENKUlT_T0_E_clISt17integral_constantIbLb0EESZ_EEDaSU_SV_EUlSU_E_NS1_11comp_targetILNS1_3genE0ELNS1_11target_archE4294967295ELNS1_3gpuE0ELNS1_3repE0EEENS1_30default_config_static_selectorELNS0_4arch9wavefront6targetE0EEEvT1_,comdat
.Lfunc_end533:
	.size	_ZN7rocprim17ROCPRIM_400000_NS6detail17trampoline_kernelINS0_14default_configENS1_27scan_by_key_config_selectorIiiEEZZNS1_16scan_by_key_implILNS1_25lookback_scan_determinismE0ELb1ES3_N6thrust23THRUST_200600_302600_NS6detail15normal_iteratorINS9_10device_ptrIiEEEESE_SE_iNS9_4plusIvEENS9_8equal_toIiEEiEE10hipError_tPvRmT2_T3_T4_T5_mT6_T7_P12ihipStream_tbENKUlT_T0_E_clISt17integral_constantIbLb0EESZ_EEDaSU_SV_EUlSU_E_NS1_11comp_targetILNS1_3genE0ELNS1_11target_archE4294967295ELNS1_3gpuE0ELNS1_3repE0EEENS1_30default_config_static_selectorELNS0_4arch9wavefront6targetE0EEEvT1_, .Lfunc_end533-_ZN7rocprim17ROCPRIM_400000_NS6detail17trampoline_kernelINS0_14default_configENS1_27scan_by_key_config_selectorIiiEEZZNS1_16scan_by_key_implILNS1_25lookback_scan_determinismE0ELb1ES3_N6thrust23THRUST_200600_302600_NS6detail15normal_iteratorINS9_10device_ptrIiEEEESE_SE_iNS9_4plusIvEENS9_8equal_toIiEEiEE10hipError_tPvRmT2_T3_T4_T5_mT6_T7_P12ihipStream_tbENKUlT_T0_E_clISt17integral_constantIbLb0EESZ_EEDaSU_SV_EUlSU_E_NS1_11comp_targetILNS1_3genE0ELNS1_11target_archE4294967295ELNS1_3gpuE0ELNS1_3repE0EEENS1_30default_config_static_selectorELNS0_4arch9wavefront6targetE0EEEvT1_
                                        ; -- End function
	.set _ZN7rocprim17ROCPRIM_400000_NS6detail17trampoline_kernelINS0_14default_configENS1_27scan_by_key_config_selectorIiiEEZZNS1_16scan_by_key_implILNS1_25lookback_scan_determinismE0ELb1ES3_N6thrust23THRUST_200600_302600_NS6detail15normal_iteratorINS9_10device_ptrIiEEEESE_SE_iNS9_4plusIvEENS9_8equal_toIiEEiEE10hipError_tPvRmT2_T3_T4_T5_mT6_T7_P12ihipStream_tbENKUlT_T0_E_clISt17integral_constantIbLb0EESZ_EEDaSU_SV_EUlSU_E_NS1_11comp_targetILNS1_3genE0ELNS1_11target_archE4294967295ELNS1_3gpuE0ELNS1_3repE0EEENS1_30default_config_static_selectorELNS0_4arch9wavefront6targetE0EEEvT1_.num_vgpr, 62
	.set _ZN7rocprim17ROCPRIM_400000_NS6detail17trampoline_kernelINS0_14default_configENS1_27scan_by_key_config_selectorIiiEEZZNS1_16scan_by_key_implILNS1_25lookback_scan_determinismE0ELb1ES3_N6thrust23THRUST_200600_302600_NS6detail15normal_iteratorINS9_10device_ptrIiEEEESE_SE_iNS9_4plusIvEENS9_8equal_toIiEEiEE10hipError_tPvRmT2_T3_T4_T5_mT6_T7_P12ihipStream_tbENKUlT_T0_E_clISt17integral_constantIbLb0EESZ_EEDaSU_SV_EUlSU_E_NS1_11comp_targetILNS1_3genE0ELNS1_11target_archE4294967295ELNS1_3gpuE0ELNS1_3repE0EEENS1_30default_config_static_selectorELNS0_4arch9wavefront6targetE0EEEvT1_.num_agpr, 0
	.set _ZN7rocprim17ROCPRIM_400000_NS6detail17trampoline_kernelINS0_14default_configENS1_27scan_by_key_config_selectorIiiEEZZNS1_16scan_by_key_implILNS1_25lookback_scan_determinismE0ELb1ES3_N6thrust23THRUST_200600_302600_NS6detail15normal_iteratorINS9_10device_ptrIiEEEESE_SE_iNS9_4plusIvEENS9_8equal_toIiEEiEE10hipError_tPvRmT2_T3_T4_T5_mT6_T7_P12ihipStream_tbENKUlT_T0_E_clISt17integral_constantIbLb0EESZ_EEDaSU_SV_EUlSU_E_NS1_11comp_targetILNS1_3genE0ELNS1_11target_archE4294967295ELNS1_3gpuE0ELNS1_3repE0EEENS1_30default_config_static_selectorELNS0_4arch9wavefront6targetE0EEEvT1_.numbered_sgpr, 37
	.set _ZN7rocprim17ROCPRIM_400000_NS6detail17trampoline_kernelINS0_14default_configENS1_27scan_by_key_config_selectorIiiEEZZNS1_16scan_by_key_implILNS1_25lookback_scan_determinismE0ELb1ES3_N6thrust23THRUST_200600_302600_NS6detail15normal_iteratorINS9_10device_ptrIiEEEESE_SE_iNS9_4plusIvEENS9_8equal_toIiEEiEE10hipError_tPvRmT2_T3_T4_T5_mT6_T7_P12ihipStream_tbENKUlT_T0_E_clISt17integral_constantIbLb0EESZ_EEDaSU_SV_EUlSU_E_NS1_11comp_targetILNS1_3genE0ELNS1_11target_archE4294967295ELNS1_3gpuE0ELNS1_3repE0EEENS1_30default_config_static_selectorELNS0_4arch9wavefront6targetE0EEEvT1_.num_named_barrier, 0
	.set _ZN7rocprim17ROCPRIM_400000_NS6detail17trampoline_kernelINS0_14default_configENS1_27scan_by_key_config_selectorIiiEEZZNS1_16scan_by_key_implILNS1_25lookback_scan_determinismE0ELb1ES3_N6thrust23THRUST_200600_302600_NS6detail15normal_iteratorINS9_10device_ptrIiEEEESE_SE_iNS9_4plusIvEENS9_8equal_toIiEEiEE10hipError_tPvRmT2_T3_T4_T5_mT6_T7_P12ihipStream_tbENKUlT_T0_E_clISt17integral_constantIbLb0EESZ_EEDaSU_SV_EUlSU_E_NS1_11comp_targetILNS1_3genE0ELNS1_11target_archE4294967295ELNS1_3gpuE0ELNS1_3repE0EEENS1_30default_config_static_selectorELNS0_4arch9wavefront6targetE0EEEvT1_.private_seg_size, 0
	.set _ZN7rocprim17ROCPRIM_400000_NS6detail17trampoline_kernelINS0_14default_configENS1_27scan_by_key_config_selectorIiiEEZZNS1_16scan_by_key_implILNS1_25lookback_scan_determinismE0ELb1ES3_N6thrust23THRUST_200600_302600_NS6detail15normal_iteratorINS9_10device_ptrIiEEEESE_SE_iNS9_4plusIvEENS9_8equal_toIiEEiEE10hipError_tPvRmT2_T3_T4_T5_mT6_T7_P12ihipStream_tbENKUlT_T0_E_clISt17integral_constantIbLb0EESZ_EEDaSU_SV_EUlSU_E_NS1_11comp_targetILNS1_3genE0ELNS1_11target_archE4294967295ELNS1_3gpuE0ELNS1_3repE0EEENS1_30default_config_static_selectorELNS0_4arch9wavefront6targetE0EEEvT1_.uses_vcc, 1
	.set _ZN7rocprim17ROCPRIM_400000_NS6detail17trampoline_kernelINS0_14default_configENS1_27scan_by_key_config_selectorIiiEEZZNS1_16scan_by_key_implILNS1_25lookback_scan_determinismE0ELb1ES3_N6thrust23THRUST_200600_302600_NS6detail15normal_iteratorINS9_10device_ptrIiEEEESE_SE_iNS9_4plusIvEENS9_8equal_toIiEEiEE10hipError_tPvRmT2_T3_T4_T5_mT6_T7_P12ihipStream_tbENKUlT_T0_E_clISt17integral_constantIbLb0EESZ_EEDaSU_SV_EUlSU_E_NS1_11comp_targetILNS1_3genE0ELNS1_11target_archE4294967295ELNS1_3gpuE0ELNS1_3repE0EEENS1_30default_config_static_selectorELNS0_4arch9wavefront6targetE0EEEvT1_.uses_flat_scratch, 1
	.set _ZN7rocprim17ROCPRIM_400000_NS6detail17trampoline_kernelINS0_14default_configENS1_27scan_by_key_config_selectorIiiEEZZNS1_16scan_by_key_implILNS1_25lookback_scan_determinismE0ELb1ES3_N6thrust23THRUST_200600_302600_NS6detail15normal_iteratorINS9_10device_ptrIiEEEESE_SE_iNS9_4plusIvEENS9_8equal_toIiEEiEE10hipError_tPvRmT2_T3_T4_T5_mT6_T7_P12ihipStream_tbENKUlT_T0_E_clISt17integral_constantIbLb0EESZ_EEDaSU_SV_EUlSU_E_NS1_11comp_targetILNS1_3genE0ELNS1_11target_archE4294967295ELNS1_3gpuE0ELNS1_3repE0EEENS1_30default_config_static_selectorELNS0_4arch9wavefront6targetE0EEEvT1_.has_dyn_sized_stack, 0
	.set _ZN7rocprim17ROCPRIM_400000_NS6detail17trampoline_kernelINS0_14default_configENS1_27scan_by_key_config_selectorIiiEEZZNS1_16scan_by_key_implILNS1_25lookback_scan_determinismE0ELb1ES3_N6thrust23THRUST_200600_302600_NS6detail15normal_iteratorINS9_10device_ptrIiEEEESE_SE_iNS9_4plusIvEENS9_8equal_toIiEEiEE10hipError_tPvRmT2_T3_T4_T5_mT6_T7_P12ihipStream_tbENKUlT_T0_E_clISt17integral_constantIbLb0EESZ_EEDaSU_SV_EUlSU_E_NS1_11comp_targetILNS1_3genE0ELNS1_11target_archE4294967295ELNS1_3gpuE0ELNS1_3repE0EEENS1_30default_config_static_selectorELNS0_4arch9wavefront6targetE0EEEvT1_.has_recursion, 0
	.set _ZN7rocprim17ROCPRIM_400000_NS6detail17trampoline_kernelINS0_14default_configENS1_27scan_by_key_config_selectorIiiEEZZNS1_16scan_by_key_implILNS1_25lookback_scan_determinismE0ELb1ES3_N6thrust23THRUST_200600_302600_NS6detail15normal_iteratorINS9_10device_ptrIiEEEESE_SE_iNS9_4plusIvEENS9_8equal_toIiEEiEE10hipError_tPvRmT2_T3_T4_T5_mT6_T7_P12ihipStream_tbENKUlT_T0_E_clISt17integral_constantIbLb0EESZ_EEDaSU_SV_EUlSU_E_NS1_11comp_targetILNS1_3genE0ELNS1_11target_archE4294967295ELNS1_3gpuE0ELNS1_3repE0EEENS1_30default_config_static_selectorELNS0_4arch9wavefront6targetE0EEEvT1_.has_indirect_call, 0
	.section	.AMDGPU.csdata,"",@progbits
; Kernel info:
; codeLenInByte = 12036
; TotalNumSgprs: 39
; NumVgprs: 62
; ScratchSize: 0
; MemoryBound: 0
; FloatMode: 240
; IeeeMode: 1
; LDSByteSize: 14336 bytes/workgroup (compile time only)
; SGPRBlocks: 0
; VGPRBlocks: 3
; NumSGPRsForWavesPerEU: 39
; NumVGPRsForWavesPerEU: 62
; NamedBarCnt: 0
; Occupancy: 16
; WaveLimiterHint : 1
; COMPUTE_PGM_RSRC2:SCRATCH_EN: 0
; COMPUTE_PGM_RSRC2:USER_SGPR: 2
; COMPUTE_PGM_RSRC2:TRAP_HANDLER: 0
; COMPUTE_PGM_RSRC2:TGID_X_EN: 1
; COMPUTE_PGM_RSRC2:TGID_Y_EN: 0
; COMPUTE_PGM_RSRC2:TGID_Z_EN: 0
; COMPUTE_PGM_RSRC2:TIDIG_COMP_CNT: 0
	.section	.text._ZN7rocprim17ROCPRIM_400000_NS6detail17trampoline_kernelINS0_14default_configENS1_27scan_by_key_config_selectorIiiEEZZNS1_16scan_by_key_implILNS1_25lookback_scan_determinismE0ELb1ES3_N6thrust23THRUST_200600_302600_NS6detail15normal_iteratorINS9_10device_ptrIiEEEESE_SE_iNS9_4plusIvEENS9_8equal_toIiEEiEE10hipError_tPvRmT2_T3_T4_T5_mT6_T7_P12ihipStream_tbENKUlT_T0_E_clISt17integral_constantIbLb0EESZ_EEDaSU_SV_EUlSU_E_NS1_11comp_targetILNS1_3genE10ELNS1_11target_archE1201ELNS1_3gpuE5ELNS1_3repE0EEENS1_30default_config_static_selectorELNS0_4arch9wavefront6targetE0EEEvT1_,"axG",@progbits,_ZN7rocprim17ROCPRIM_400000_NS6detail17trampoline_kernelINS0_14default_configENS1_27scan_by_key_config_selectorIiiEEZZNS1_16scan_by_key_implILNS1_25lookback_scan_determinismE0ELb1ES3_N6thrust23THRUST_200600_302600_NS6detail15normal_iteratorINS9_10device_ptrIiEEEESE_SE_iNS9_4plusIvEENS9_8equal_toIiEEiEE10hipError_tPvRmT2_T3_T4_T5_mT6_T7_P12ihipStream_tbENKUlT_T0_E_clISt17integral_constantIbLb0EESZ_EEDaSU_SV_EUlSU_E_NS1_11comp_targetILNS1_3genE10ELNS1_11target_archE1201ELNS1_3gpuE5ELNS1_3repE0EEENS1_30default_config_static_selectorELNS0_4arch9wavefront6targetE0EEEvT1_,comdat
	.protected	_ZN7rocprim17ROCPRIM_400000_NS6detail17trampoline_kernelINS0_14default_configENS1_27scan_by_key_config_selectorIiiEEZZNS1_16scan_by_key_implILNS1_25lookback_scan_determinismE0ELb1ES3_N6thrust23THRUST_200600_302600_NS6detail15normal_iteratorINS9_10device_ptrIiEEEESE_SE_iNS9_4plusIvEENS9_8equal_toIiEEiEE10hipError_tPvRmT2_T3_T4_T5_mT6_T7_P12ihipStream_tbENKUlT_T0_E_clISt17integral_constantIbLb0EESZ_EEDaSU_SV_EUlSU_E_NS1_11comp_targetILNS1_3genE10ELNS1_11target_archE1201ELNS1_3gpuE5ELNS1_3repE0EEENS1_30default_config_static_selectorELNS0_4arch9wavefront6targetE0EEEvT1_ ; -- Begin function _ZN7rocprim17ROCPRIM_400000_NS6detail17trampoline_kernelINS0_14default_configENS1_27scan_by_key_config_selectorIiiEEZZNS1_16scan_by_key_implILNS1_25lookback_scan_determinismE0ELb1ES3_N6thrust23THRUST_200600_302600_NS6detail15normal_iteratorINS9_10device_ptrIiEEEESE_SE_iNS9_4plusIvEENS9_8equal_toIiEEiEE10hipError_tPvRmT2_T3_T4_T5_mT6_T7_P12ihipStream_tbENKUlT_T0_E_clISt17integral_constantIbLb0EESZ_EEDaSU_SV_EUlSU_E_NS1_11comp_targetILNS1_3genE10ELNS1_11target_archE1201ELNS1_3gpuE5ELNS1_3repE0EEENS1_30default_config_static_selectorELNS0_4arch9wavefront6targetE0EEEvT1_
	.globl	_ZN7rocprim17ROCPRIM_400000_NS6detail17trampoline_kernelINS0_14default_configENS1_27scan_by_key_config_selectorIiiEEZZNS1_16scan_by_key_implILNS1_25lookback_scan_determinismE0ELb1ES3_N6thrust23THRUST_200600_302600_NS6detail15normal_iteratorINS9_10device_ptrIiEEEESE_SE_iNS9_4plusIvEENS9_8equal_toIiEEiEE10hipError_tPvRmT2_T3_T4_T5_mT6_T7_P12ihipStream_tbENKUlT_T0_E_clISt17integral_constantIbLb0EESZ_EEDaSU_SV_EUlSU_E_NS1_11comp_targetILNS1_3genE10ELNS1_11target_archE1201ELNS1_3gpuE5ELNS1_3repE0EEENS1_30default_config_static_selectorELNS0_4arch9wavefront6targetE0EEEvT1_
	.p2align	8
	.type	_ZN7rocprim17ROCPRIM_400000_NS6detail17trampoline_kernelINS0_14default_configENS1_27scan_by_key_config_selectorIiiEEZZNS1_16scan_by_key_implILNS1_25lookback_scan_determinismE0ELb1ES3_N6thrust23THRUST_200600_302600_NS6detail15normal_iteratorINS9_10device_ptrIiEEEESE_SE_iNS9_4plusIvEENS9_8equal_toIiEEiEE10hipError_tPvRmT2_T3_T4_T5_mT6_T7_P12ihipStream_tbENKUlT_T0_E_clISt17integral_constantIbLb0EESZ_EEDaSU_SV_EUlSU_E_NS1_11comp_targetILNS1_3genE10ELNS1_11target_archE1201ELNS1_3gpuE5ELNS1_3repE0EEENS1_30default_config_static_selectorELNS0_4arch9wavefront6targetE0EEEvT1_,@function
_ZN7rocprim17ROCPRIM_400000_NS6detail17trampoline_kernelINS0_14default_configENS1_27scan_by_key_config_selectorIiiEEZZNS1_16scan_by_key_implILNS1_25lookback_scan_determinismE0ELb1ES3_N6thrust23THRUST_200600_302600_NS6detail15normal_iteratorINS9_10device_ptrIiEEEESE_SE_iNS9_4plusIvEENS9_8equal_toIiEEiEE10hipError_tPvRmT2_T3_T4_T5_mT6_T7_P12ihipStream_tbENKUlT_T0_E_clISt17integral_constantIbLb0EESZ_EEDaSU_SV_EUlSU_E_NS1_11comp_targetILNS1_3genE10ELNS1_11target_archE1201ELNS1_3gpuE5ELNS1_3repE0EEENS1_30default_config_static_selectorELNS0_4arch9wavefront6targetE0EEEvT1_: ; @_ZN7rocprim17ROCPRIM_400000_NS6detail17trampoline_kernelINS0_14default_configENS1_27scan_by_key_config_selectorIiiEEZZNS1_16scan_by_key_implILNS1_25lookback_scan_determinismE0ELb1ES3_N6thrust23THRUST_200600_302600_NS6detail15normal_iteratorINS9_10device_ptrIiEEEESE_SE_iNS9_4plusIvEENS9_8equal_toIiEEiEE10hipError_tPvRmT2_T3_T4_T5_mT6_T7_P12ihipStream_tbENKUlT_T0_E_clISt17integral_constantIbLb0EESZ_EEDaSU_SV_EUlSU_E_NS1_11comp_targetILNS1_3genE10ELNS1_11target_archE1201ELNS1_3gpuE5ELNS1_3repE0EEENS1_30default_config_static_selectorELNS0_4arch9wavefront6targetE0EEEvT1_
; %bb.0:
	.section	.rodata,"a",@progbits
	.p2align	6, 0x0
	.amdhsa_kernel _ZN7rocprim17ROCPRIM_400000_NS6detail17trampoline_kernelINS0_14default_configENS1_27scan_by_key_config_selectorIiiEEZZNS1_16scan_by_key_implILNS1_25lookback_scan_determinismE0ELb1ES3_N6thrust23THRUST_200600_302600_NS6detail15normal_iteratorINS9_10device_ptrIiEEEESE_SE_iNS9_4plusIvEENS9_8equal_toIiEEiEE10hipError_tPvRmT2_T3_T4_T5_mT6_T7_P12ihipStream_tbENKUlT_T0_E_clISt17integral_constantIbLb0EESZ_EEDaSU_SV_EUlSU_E_NS1_11comp_targetILNS1_3genE10ELNS1_11target_archE1201ELNS1_3gpuE5ELNS1_3repE0EEENS1_30default_config_static_selectorELNS0_4arch9wavefront6targetE0EEEvT1_
		.amdhsa_group_segment_fixed_size 0
		.amdhsa_private_segment_fixed_size 0
		.amdhsa_kernarg_size 112
		.amdhsa_user_sgpr_count 2
		.amdhsa_user_sgpr_dispatch_ptr 0
		.amdhsa_user_sgpr_queue_ptr 0
		.amdhsa_user_sgpr_kernarg_segment_ptr 1
		.amdhsa_user_sgpr_dispatch_id 0
		.amdhsa_user_sgpr_kernarg_preload_length 0
		.amdhsa_user_sgpr_kernarg_preload_offset 0
		.amdhsa_user_sgpr_private_segment_size 0
		.amdhsa_wavefront_size32 1
		.amdhsa_uses_dynamic_stack 0
		.amdhsa_enable_private_segment 0
		.amdhsa_system_sgpr_workgroup_id_x 1
		.amdhsa_system_sgpr_workgroup_id_y 0
		.amdhsa_system_sgpr_workgroup_id_z 0
		.amdhsa_system_sgpr_workgroup_info 0
		.amdhsa_system_vgpr_workitem_id 0
		.amdhsa_next_free_vgpr 1
		.amdhsa_next_free_sgpr 1
		.amdhsa_named_barrier_count 0
		.amdhsa_reserve_vcc 0
		.amdhsa_float_round_mode_32 0
		.amdhsa_float_round_mode_16_64 0
		.amdhsa_float_denorm_mode_32 3
		.amdhsa_float_denorm_mode_16_64 3
		.amdhsa_fp16_overflow 0
		.amdhsa_memory_ordered 1
		.amdhsa_forward_progress 1
		.amdhsa_inst_pref_size 0
		.amdhsa_round_robin_scheduling 0
		.amdhsa_exception_fp_ieee_invalid_op 0
		.amdhsa_exception_fp_denorm_src 0
		.amdhsa_exception_fp_ieee_div_zero 0
		.amdhsa_exception_fp_ieee_overflow 0
		.amdhsa_exception_fp_ieee_underflow 0
		.amdhsa_exception_fp_ieee_inexact 0
		.amdhsa_exception_int_div_zero 0
	.end_amdhsa_kernel
	.section	.text._ZN7rocprim17ROCPRIM_400000_NS6detail17trampoline_kernelINS0_14default_configENS1_27scan_by_key_config_selectorIiiEEZZNS1_16scan_by_key_implILNS1_25lookback_scan_determinismE0ELb1ES3_N6thrust23THRUST_200600_302600_NS6detail15normal_iteratorINS9_10device_ptrIiEEEESE_SE_iNS9_4plusIvEENS9_8equal_toIiEEiEE10hipError_tPvRmT2_T3_T4_T5_mT6_T7_P12ihipStream_tbENKUlT_T0_E_clISt17integral_constantIbLb0EESZ_EEDaSU_SV_EUlSU_E_NS1_11comp_targetILNS1_3genE10ELNS1_11target_archE1201ELNS1_3gpuE5ELNS1_3repE0EEENS1_30default_config_static_selectorELNS0_4arch9wavefront6targetE0EEEvT1_,"axG",@progbits,_ZN7rocprim17ROCPRIM_400000_NS6detail17trampoline_kernelINS0_14default_configENS1_27scan_by_key_config_selectorIiiEEZZNS1_16scan_by_key_implILNS1_25lookback_scan_determinismE0ELb1ES3_N6thrust23THRUST_200600_302600_NS6detail15normal_iteratorINS9_10device_ptrIiEEEESE_SE_iNS9_4plusIvEENS9_8equal_toIiEEiEE10hipError_tPvRmT2_T3_T4_T5_mT6_T7_P12ihipStream_tbENKUlT_T0_E_clISt17integral_constantIbLb0EESZ_EEDaSU_SV_EUlSU_E_NS1_11comp_targetILNS1_3genE10ELNS1_11target_archE1201ELNS1_3gpuE5ELNS1_3repE0EEENS1_30default_config_static_selectorELNS0_4arch9wavefront6targetE0EEEvT1_,comdat
.Lfunc_end534:
	.size	_ZN7rocprim17ROCPRIM_400000_NS6detail17trampoline_kernelINS0_14default_configENS1_27scan_by_key_config_selectorIiiEEZZNS1_16scan_by_key_implILNS1_25lookback_scan_determinismE0ELb1ES3_N6thrust23THRUST_200600_302600_NS6detail15normal_iteratorINS9_10device_ptrIiEEEESE_SE_iNS9_4plusIvEENS9_8equal_toIiEEiEE10hipError_tPvRmT2_T3_T4_T5_mT6_T7_P12ihipStream_tbENKUlT_T0_E_clISt17integral_constantIbLb0EESZ_EEDaSU_SV_EUlSU_E_NS1_11comp_targetILNS1_3genE10ELNS1_11target_archE1201ELNS1_3gpuE5ELNS1_3repE0EEENS1_30default_config_static_selectorELNS0_4arch9wavefront6targetE0EEEvT1_, .Lfunc_end534-_ZN7rocprim17ROCPRIM_400000_NS6detail17trampoline_kernelINS0_14default_configENS1_27scan_by_key_config_selectorIiiEEZZNS1_16scan_by_key_implILNS1_25lookback_scan_determinismE0ELb1ES3_N6thrust23THRUST_200600_302600_NS6detail15normal_iteratorINS9_10device_ptrIiEEEESE_SE_iNS9_4plusIvEENS9_8equal_toIiEEiEE10hipError_tPvRmT2_T3_T4_T5_mT6_T7_P12ihipStream_tbENKUlT_T0_E_clISt17integral_constantIbLb0EESZ_EEDaSU_SV_EUlSU_E_NS1_11comp_targetILNS1_3genE10ELNS1_11target_archE1201ELNS1_3gpuE5ELNS1_3repE0EEENS1_30default_config_static_selectorELNS0_4arch9wavefront6targetE0EEEvT1_
                                        ; -- End function
	.set _ZN7rocprim17ROCPRIM_400000_NS6detail17trampoline_kernelINS0_14default_configENS1_27scan_by_key_config_selectorIiiEEZZNS1_16scan_by_key_implILNS1_25lookback_scan_determinismE0ELb1ES3_N6thrust23THRUST_200600_302600_NS6detail15normal_iteratorINS9_10device_ptrIiEEEESE_SE_iNS9_4plusIvEENS9_8equal_toIiEEiEE10hipError_tPvRmT2_T3_T4_T5_mT6_T7_P12ihipStream_tbENKUlT_T0_E_clISt17integral_constantIbLb0EESZ_EEDaSU_SV_EUlSU_E_NS1_11comp_targetILNS1_3genE10ELNS1_11target_archE1201ELNS1_3gpuE5ELNS1_3repE0EEENS1_30default_config_static_selectorELNS0_4arch9wavefront6targetE0EEEvT1_.num_vgpr, 0
	.set _ZN7rocprim17ROCPRIM_400000_NS6detail17trampoline_kernelINS0_14default_configENS1_27scan_by_key_config_selectorIiiEEZZNS1_16scan_by_key_implILNS1_25lookback_scan_determinismE0ELb1ES3_N6thrust23THRUST_200600_302600_NS6detail15normal_iteratorINS9_10device_ptrIiEEEESE_SE_iNS9_4plusIvEENS9_8equal_toIiEEiEE10hipError_tPvRmT2_T3_T4_T5_mT6_T7_P12ihipStream_tbENKUlT_T0_E_clISt17integral_constantIbLb0EESZ_EEDaSU_SV_EUlSU_E_NS1_11comp_targetILNS1_3genE10ELNS1_11target_archE1201ELNS1_3gpuE5ELNS1_3repE0EEENS1_30default_config_static_selectorELNS0_4arch9wavefront6targetE0EEEvT1_.num_agpr, 0
	.set _ZN7rocprim17ROCPRIM_400000_NS6detail17trampoline_kernelINS0_14default_configENS1_27scan_by_key_config_selectorIiiEEZZNS1_16scan_by_key_implILNS1_25lookback_scan_determinismE0ELb1ES3_N6thrust23THRUST_200600_302600_NS6detail15normal_iteratorINS9_10device_ptrIiEEEESE_SE_iNS9_4plusIvEENS9_8equal_toIiEEiEE10hipError_tPvRmT2_T3_T4_T5_mT6_T7_P12ihipStream_tbENKUlT_T0_E_clISt17integral_constantIbLb0EESZ_EEDaSU_SV_EUlSU_E_NS1_11comp_targetILNS1_3genE10ELNS1_11target_archE1201ELNS1_3gpuE5ELNS1_3repE0EEENS1_30default_config_static_selectorELNS0_4arch9wavefront6targetE0EEEvT1_.numbered_sgpr, 0
	.set _ZN7rocprim17ROCPRIM_400000_NS6detail17trampoline_kernelINS0_14default_configENS1_27scan_by_key_config_selectorIiiEEZZNS1_16scan_by_key_implILNS1_25lookback_scan_determinismE0ELb1ES3_N6thrust23THRUST_200600_302600_NS6detail15normal_iteratorINS9_10device_ptrIiEEEESE_SE_iNS9_4plusIvEENS9_8equal_toIiEEiEE10hipError_tPvRmT2_T3_T4_T5_mT6_T7_P12ihipStream_tbENKUlT_T0_E_clISt17integral_constantIbLb0EESZ_EEDaSU_SV_EUlSU_E_NS1_11comp_targetILNS1_3genE10ELNS1_11target_archE1201ELNS1_3gpuE5ELNS1_3repE0EEENS1_30default_config_static_selectorELNS0_4arch9wavefront6targetE0EEEvT1_.num_named_barrier, 0
	.set _ZN7rocprim17ROCPRIM_400000_NS6detail17trampoline_kernelINS0_14default_configENS1_27scan_by_key_config_selectorIiiEEZZNS1_16scan_by_key_implILNS1_25lookback_scan_determinismE0ELb1ES3_N6thrust23THRUST_200600_302600_NS6detail15normal_iteratorINS9_10device_ptrIiEEEESE_SE_iNS9_4plusIvEENS9_8equal_toIiEEiEE10hipError_tPvRmT2_T3_T4_T5_mT6_T7_P12ihipStream_tbENKUlT_T0_E_clISt17integral_constantIbLb0EESZ_EEDaSU_SV_EUlSU_E_NS1_11comp_targetILNS1_3genE10ELNS1_11target_archE1201ELNS1_3gpuE5ELNS1_3repE0EEENS1_30default_config_static_selectorELNS0_4arch9wavefront6targetE0EEEvT1_.private_seg_size, 0
	.set _ZN7rocprim17ROCPRIM_400000_NS6detail17trampoline_kernelINS0_14default_configENS1_27scan_by_key_config_selectorIiiEEZZNS1_16scan_by_key_implILNS1_25lookback_scan_determinismE0ELb1ES3_N6thrust23THRUST_200600_302600_NS6detail15normal_iteratorINS9_10device_ptrIiEEEESE_SE_iNS9_4plusIvEENS9_8equal_toIiEEiEE10hipError_tPvRmT2_T3_T4_T5_mT6_T7_P12ihipStream_tbENKUlT_T0_E_clISt17integral_constantIbLb0EESZ_EEDaSU_SV_EUlSU_E_NS1_11comp_targetILNS1_3genE10ELNS1_11target_archE1201ELNS1_3gpuE5ELNS1_3repE0EEENS1_30default_config_static_selectorELNS0_4arch9wavefront6targetE0EEEvT1_.uses_vcc, 0
	.set _ZN7rocprim17ROCPRIM_400000_NS6detail17trampoline_kernelINS0_14default_configENS1_27scan_by_key_config_selectorIiiEEZZNS1_16scan_by_key_implILNS1_25lookback_scan_determinismE0ELb1ES3_N6thrust23THRUST_200600_302600_NS6detail15normal_iteratorINS9_10device_ptrIiEEEESE_SE_iNS9_4plusIvEENS9_8equal_toIiEEiEE10hipError_tPvRmT2_T3_T4_T5_mT6_T7_P12ihipStream_tbENKUlT_T0_E_clISt17integral_constantIbLb0EESZ_EEDaSU_SV_EUlSU_E_NS1_11comp_targetILNS1_3genE10ELNS1_11target_archE1201ELNS1_3gpuE5ELNS1_3repE0EEENS1_30default_config_static_selectorELNS0_4arch9wavefront6targetE0EEEvT1_.uses_flat_scratch, 0
	.set _ZN7rocprim17ROCPRIM_400000_NS6detail17trampoline_kernelINS0_14default_configENS1_27scan_by_key_config_selectorIiiEEZZNS1_16scan_by_key_implILNS1_25lookback_scan_determinismE0ELb1ES3_N6thrust23THRUST_200600_302600_NS6detail15normal_iteratorINS9_10device_ptrIiEEEESE_SE_iNS9_4plusIvEENS9_8equal_toIiEEiEE10hipError_tPvRmT2_T3_T4_T5_mT6_T7_P12ihipStream_tbENKUlT_T0_E_clISt17integral_constantIbLb0EESZ_EEDaSU_SV_EUlSU_E_NS1_11comp_targetILNS1_3genE10ELNS1_11target_archE1201ELNS1_3gpuE5ELNS1_3repE0EEENS1_30default_config_static_selectorELNS0_4arch9wavefront6targetE0EEEvT1_.has_dyn_sized_stack, 0
	.set _ZN7rocprim17ROCPRIM_400000_NS6detail17trampoline_kernelINS0_14default_configENS1_27scan_by_key_config_selectorIiiEEZZNS1_16scan_by_key_implILNS1_25lookback_scan_determinismE0ELb1ES3_N6thrust23THRUST_200600_302600_NS6detail15normal_iteratorINS9_10device_ptrIiEEEESE_SE_iNS9_4plusIvEENS9_8equal_toIiEEiEE10hipError_tPvRmT2_T3_T4_T5_mT6_T7_P12ihipStream_tbENKUlT_T0_E_clISt17integral_constantIbLb0EESZ_EEDaSU_SV_EUlSU_E_NS1_11comp_targetILNS1_3genE10ELNS1_11target_archE1201ELNS1_3gpuE5ELNS1_3repE0EEENS1_30default_config_static_selectorELNS0_4arch9wavefront6targetE0EEEvT1_.has_recursion, 0
	.set _ZN7rocprim17ROCPRIM_400000_NS6detail17trampoline_kernelINS0_14default_configENS1_27scan_by_key_config_selectorIiiEEZZNS1_16scan_by_key_implILNS1_25lookback_scan_determinismE0ELb1ES3_N6thrust23THRUST_200600_302600_NS6detail15normal_iteratorINS9_10device_ptrIiEEEESE_SE_iNS9_4plusIvEENS9_8equal_toIiEEiEE10hipError_tPvRmT2_T3_T4_T5_mT6_T7_P12ihipStream_tbENKUlT_T0_E_clISt17integral_constantIbLb0EESZ_EEDaSU_SV_EUlSU_E_NS1_11comp_targetILNS1_3genE10ELNS1_11target_archE1201ELNS1_3gpuE5ELNS1_3repE0EEENS1_30default_config_static_selectorELNS0_4arch9wavefront6targetE0EEEvT1_.has_indirect_call, 0
	.section	.AMDGPU.csdata,"",@progbits
; Kernel info:
; codeLenInByte = 0
; TotalNumSgprs: 0
; NumVgprs: 0
; ScratchSize: 0
; MemoryBound: 0
; FloatMode: 240
; IeeeMode: 1
; LDSByteSize: 0 bytes/workgroup (compile time only)
; SGPRBlocks: 0
; VGPRBlocks: 0
; NumSGPRsForWavesPerEU: 1
; NumVGPRsForWavesPerEU: 1
; NamedBarCnt: 0
; Occupancy: 16
; WaveLimiterHint : 0
; COMPUTE_PGM_RSRC2:SCRATCH_EN: 0
; COMPUTE_PGM_RSRC2:USER_SGPR: 2
; COMPUTE_PGM_RSRC2:TRAP_HANDLER: 0
; COMPUTE_PGM_RSRC2:TGID_X_EN: 1
; COMPUTE_PGM_RSRC2:TGID_Y_EN: 0
; COMPUTE_PGM_RSRC2:TGID_Z_EN: 0
; COMPUTE_PGM_RSRC2:TIDIG_COMP_CNT: 0
	.section	.text._ZN7rocprim17ROCPRIM_400000_NS6detail17trampoline_kernelINS0_14default_configENS1_27scan_by_key_config_selectorIiiEEZZNS1_16scan_by_key_implILNS1_25lookback_scan_determinismE0ELb1ES3_N6thrust23THRUST_200600_302600_NS6detail15normal_iteratorINS9_10device_ptrIiEEEESE_SE_iNS9_4plusIvEENS9_8equal_toIiEEiEE10hipError_tPvRmT2_T3_T4_T5_mT6_T7_P12ihipStream_tbENKUlT_T0_E_clISt17integral_constantIbLb0EESZ_EEDaSU_SV_EUlSU_E_NS1_11comp_targetILNS1_3genE5ELNS1_11target_archE942ELNS1_3gpuE9ELNS1_3repE0EEENS1_30default_config_static_selectorELNS0_4arch9wavefront6targetE0EEEvT1_,"axG",@progbits,_ZN7rocprim17ROCPRIM_400000_NS6detail17trampoline_kernelINS0_14default_configENS1_27scan_by_key_config_selectorIiiEEZZNS1_16scan_by_key_implILNS1_25lookback_scan_determinismE0ELb1ES3_N6thrust23THRUST_200600_302600_NS6detail15normal_iteratorINS9_10device_ptrIiEEEESE_SE_iNS9_4plusIvEENS9_8equal_toIiEEiEE10hipError_tPvRmT2_T3_T4_T5_mT6_T7_P12ihipStream_tbENKUlT_T0_E_clISt17integral_constantIbLb0EESZ_EEDaSU_SV_EUlSU_E_NS1_11comp_targetILNS1_3genE5ELNS1_11target_archE942ELNS1_3gpuE9ELNS1_3repE0EEENS1_30default_config_static_selectorELNS0_4arch9wavefront6targetE0EEEvT1_,comdat
	.protected	_ZN7rocprim17ROCPRIM_400000_NS6detail17trampoline_kernelINS0_14default_configENS1_27scan_by_key_config_selectorIiiEEZZNS1_16scan_by_key_implILNS1_25lookback_scan_determinismE0ELb1ES3_N6thrust23THRUST_200600_302600_NS6detail15normal_iteratorINS9_10device_ptrIiEEEESE_SE_iNS9_4plusIvEENS9_8equal_toIiEEiEE10hipError_tPvRmT2_T3_T4_T5_mT6_T7_P12ihipStream_tbENKUlT_T0_E_clISt17integral_constantIbLb0EESZ_EEDaSU_SV_EUlSU_E_NS1_11comp_targetILNS1_3genE5ELNS1_11target_archE942ELNS1_3gpuE9ELNS1_3repE0EEENS1_30default_config_static_selectorELNS0_4arch9wavefront6targetE0EEEvT1_ ; -- Begin function _ZN7rocprim17ROCPRIM_400000_NS6detail17trampoline_kernelINS0_14default_configENS1_27scan_by_key_config_selectorIiiEEZZNS1_16scan_by_key_implILNS1_25lookback_scan_determinismE0ELb1ES3_N6thrust23THRUST_200600_302600_NS6detail15normal_iteratorINS9_10device_ptrIiEEEESE_SE_iNS9_4plusIvEENS9_8equal_toIiEEiEE10hipError_tPvRmT2_T3_T4_T5_mT6_T7_P12ihipStream_tbENKUlT_T0_E_clISt17integral_constantIbLb0EESZ_EEDaSU_SV_EUlSU_E_NS1_11comp_targetILNS1_3genE5ELNS1_11target_archE942ELNS1_3gpuE9ELNS1_3repE0EEENS1_30default_config_static_selectorELNS0_4arch9wavefront6targetE0EEEvT1_
	.globl	_ZN7rocprim17ROCPRIM_400000_NS6detail17trampoline_kernelINS0_14default_configENS1_27scan_by_key_config_selectorIiiEEZZNS1_16scan_by_key_implILNS1_25lookback_scan_determinismE0ELb1ES3_N6thrust23THRUST_200600_302600_NS6detail15normal_iteratorINS9_10device_ptrIiEEEESE_SE_iNS9_4plusIvEENS9_8equal_toIiEEiEE10hipError_tPvRmT2_T3_T4_T5_mT6_T7_P12ihipStream_tbENKUlT_T0_E_clISt17integral_constantIbLb0EESZ_EEDaSU_SV_EUlSU_E_NS1_11comp_targetILNS1_3genE5ELNS1_11target_archE942ELNS1_3gpuE9ELNS1_3repE0EEENS1_30default_config_static_selectorELNS0_4arch9wavefront6targetE0EEEvT1_
	.p2align	8
	.type	_ZN7rocprim17ROCPRIM_400000_NS6detail17trampoline_kernelINS0_14default_configENS1_27scan_by_key_config_selectorIiiEEZZNS1_16scan_by_key_implILNS1_25lookback_scan_determinismE0ELb1ES3_N6thrust23THRUST_200600_302600_NS6detail15normal_iteratorINS9_10device_ptrIiEEEESE_SE_iNS9_4plusIvEENS9_8equal_toIiEEiEE10hipError_tPvRmT2_T3_T4_T5_mT6_T7_P12ihipStream_tbENKUlT_T0_E_clISt17integral_constantIbLb0EESZ_EEDaSU_SV_EUlSU_E_NS1_11comp_targetILNS1_3genE5ELNS1_11target_archE942ELNS1_3gpuE9ELNS1_3repE0EEENS1_30default_config_static_selectorELNS0_4arch9wavefront6targetE0EEEvT1_,@function
_ZN7rocprim17ROCPRIM_400000_NS6detail17trampoline_kernelINS0_14default_configENS1_27scan_by_key_config_selectorIiiEEZZNS1_16scan_by_key_implILNS1_25lookback_scan_determinismE0ELb1ES3_N6thrust23THRUST_200600_302600_NS6detail15normal_iteratorINS9_10device_ptrIiEEEESE_SE_iNS9_4plusIvEENS9_8equal_toIiEEiEE10hipError_tPvRmT2_T3_T4_T5_mT6_T7_P12ihipStream_tbENKUlT_T0_E_clISt17integral_constantIbLb0EESZ_EEDaSU_SV_EUlSU_E_NS1_11comp_targetILNS1_3genE5ELNS1_11target_archE942ELNS1_3gpuE9ELNS1_3repE0EEENS1_30default_config_static_selectorELNS0_4arch9wavefront6targetE0EEEvT1_: ; @_ZN7rocprim17ROCPRIM_400000_NS6detail17trampoline_kernelINS0_14default_configENS1_27scan_by_key_config_selectorIiiEEZZNS1_16scan_by_key_implILNS1_25lookback_scan_determinismE0ELb1ES3_N6thrust23THRUST_200600_302600_NS6detail15normal_iteratorINS9_10device_ptrIiEEEESE_SE_iNS9_4plusIvEENS9_8equal_toIiEEiEE10hipError_tPvRmT2_T3_T4_T5_mT6_T7_P12ihipStream_tbENKUlT_T0_E_clISt17integral_constantIbLb0EESZ_EEDaSU_SV_EUlSU_E_NS1_11comp_targetILNS1_3genE5ELNS1_11target_archE942ELNS1_3gpuE9ELNS1_3repE0EEENS1_30default_config_static_selectorELNS0_4arch9wavefront6targetE0EEEvT1_
; %bb.0:
	.section	.rodata,"a",@progbits
	.p2align	6, 0x0
	.amdhsa_kernel _ZN7rocprim17ROCPRIM_400000_NS6detail17trampoline_kernelINS0_14default_configENS1_27scan_by_key_config_selectorIiiEEZZNS1_16scan_by_key_implILNS1_25lookback_scan_determinismE0ELb1ES3_N6thrust23THRUST_200600_302600_NS6detail15normal_iteratorINS9_10device_ptrIiEEEESE_SE_iNS9_4plusIvEENS9_8equal_toIiEEiEE10hipError_tPvRmT2_T3_T4_T5_mT6_T7_P12ihipStream_tbENKUlT_T0_E_clISt17integral_constantIbLb0EESZ_EEDaSU_SV_EUlSU_E_NS1_11comp_targetILNS1_3genE5ELNS1_11target_archE942ELNS1_3gpuE9ELNS1_3repE0EEENS1_30default_config_static_selectorELNS0_4arch9wavefront6targetE0EEEvT1_
		.amdhsa_group_segment_fixed_size 0
		.amdhsa_private_segment_fixed_size 0
		.amdhsa_kernarg_size 112
		.amdhsa_user_sgpr_count 2
		.amdhsa_user_sgpr_dispatch_ptr 0
		.amdhsa_user_sgpr_queue_ptr 0
		.amdhsa_user_sgpr_kernarg_segment_ptr 1
		.amdhsa_user_sgpr_dispatch_id 0
		.amdhsa_user_sgpr_kernarg_preload_length 0
		.amdhsa_user_sgpr_kernarg_preload_offset 0
		.amdhsa_user_sgpr_private_segment_size 0
		.amdhsa_wavefront_size32 1
		.amdhsa_uses_dynamic_stack 0
		.amdhsa_enable_private_segment 0
		.amdhsa_system_sgpr_workgroup_id_x 1
		.amdhsa_system_sgpr_workgroup_id_y 0
		.amdhsa_system_sgpr_workgroup_id_z 0
		.amdhsa_system_sgpr_workgroup_info 0
		.amdhsa_system_vgpr_workitem_id 0
		.amdhsa_next_free_vgpr 1
		.amdhsa_next_free_sgpr 1
		.amdhsa_named_barrier_count 0
		.amdhsa_reserve_vcc 0
		.amdhsa_float_round_mode_32 0
		.amdhsa_float_round_mode_16_64 0
		.amdhsa_float_denorm_mode_32 3
		.amdhsa_float_denorm_mode_16_64 3
		.amdhsa_fp16_overflow 0
		.amdhsa_memory_ordered 1
		.amdhsa_forward_progress 1
		.amdhsa_inst_pref_size 0
		.amdhsa_round_robin_scheduling 0
		.amdhsa_exception_fp_ieee_invalid_op 0
		.amdhsa_exception_fp_denorm_src 0
		.amdhsa_exception_fp_ieee_div_zero 0
		.amdhsa_exception_fp_ieee_overflow 0
		.amdhsa_exception_fp_ieee_underflow 0
		.amdhsa_exception_fp_ieee_inexact 0
		.amdhsa_exception_int_div_zero 0
	.end_amdhsa_kernel
	.section	.text._ZN7rocprim17ROCPRIM_400000_NS6detail17trampoline_kernelINS0_14default_configENS1_27scan_by_key_config_selectorIiiEEZZNS1_16scan_by_key_implILNS1_25lookback_scan_determinismE0ELb1ES3_N6thrust23THRUST_200600_302600_NS6detail15normal_iteratorINS9_10device_ptrIiEEEESE_SE_iNS9_4plusIvEENS9_8equal_toIiEEiEE10hipError_tPvRmT2_T3_T4_T5_mT6_T7_P12ihipStream_tbENKUlT_T0_E_clISt17integral_constantIbLb0EESZ_EEDaSU_SV_EUlSU_E_NS1_11comp_targetILNS1_3genE5ELNS1_11target_archE942ELNS1_3gpuE9ELNS1_3repE0EEENS1_30default_config_static_selectorELNS0_4arch9wavefront6targetE0EEEvT1_,"axG",@progbits,_ZN7rocprim17ROCPRIM_400000_NS6detail17trampoline_kernelINS0_14default_configENS1_27scan_by_key_config_selectorIiiEEZZNS1_16scan_by_key_implILNS1_25lookback_scan_determinismE0ELb1ES3_N6thrust23THRUST_200600_302600_NS6detail15normal_iteratorINS9_10device_ptrIiEEEESE_SE_iNS9_4plusIvEENS9_8equal_toIiEEiEE10hipError_tPvRmT2_T3_T4_T5_mT6_T7_P12ihipStream_tbENKUlT_T0_E_clISt17integral_constantIbLb0EESZ_EEDaSU_SV_EUlSU_E_NS1_11comp_targetILNS1_3genE5ELNS1_11target_archE942ELNS1_3gpuE9ELNS1_3repE0EEENS1_30default_config_static_selectorELNS0_4arch9wavefront6targetE0EEEvT1_,comdat
.Lfunc_end535:
	.size	_ZN7rocprim17ROCPRIM_400000_NS6detail17trampoline_kernelINS0_14default_configENS1_27scan_by_key_config_selectorIiiEEZZNS1_16scan_by_key_implILNS1_25lookback_scan_determinismE0ELb1ES3_N6thrust23THRUST_200600_302600_NS6detail15normal_iteratorINS9_10device_ptrIiEEEESE_SE_iNS9_4plusIvEENS9_8equal_toIiEEiEE10hipError_tPvRmT2_T3_T4_T5_mT6_T7_P12ihipStream_tbENKUlT_T0_E_clISt17integral_constantIbLb0EESZ_EEDaSU_SV_EUlSU_E_NS1_11comp_targetILNS1_3genE5ELNS1_11target_archE942ELNS1_3gpuE9ELNS1_3repE0EEENS1_30default_config_static_selectorELNS0_4arch9wavefront6targetE0EEEvT1_, .Lfunc_end535-_ZN7rocprim17ROCPRIM_400000_NS6detail17trampoline_kernelINS0_14default_configENS1_27scan_by_key_config_selectorIiiEEZZNS1_16scan_by_key_implILNS1_25lookback_scan_determinismE0ELb1ES3_N6thrust23THRUST_200600_302600_NS6detail15normal_iteratorINS9_10device_ptrIiEEEESE_SE_iNS9_4plusIvEENS9_8equal_toIiEEiEE10hipError_tPvRmT2_T3_T4_T5_mT6_T7_P12ihipStream_tbENKUlT_T0_E_clISt17integral_constantIbLb0EESZ_EEDaSU_SV_EUlSU_E_NS1_11comp_targetILNS1_3genE5ELNS1_11target_archE942ELNS1_3gpuE9ELNS1_3repE0EEENS1_30default_config_static_selectorELNS0_4arch9wavefront6targetE0EEEvT1_
                                        ; -- End function
	.set _ZN7rocprim17ROCPRIM_400000_NS6detail17trampoline_kernelINS0_14default_configENS1_27scan_by_key_config_selectorIiiEEZZNS1_16scan_by_key_implILNS1_25lookback_scan_determinismE0ELb1ES3_N6thrust23THRUST_200600_302600_NS6detail15normal_iteratorINS9_10device_ptrIiEEEESE_SE_iNS9_4plusIvEENS9_8equal_toIiEEiEE10hipError_tPvRmT2_T3_T4_T5_mT6_T7_P12ihipStream_tbENKUlT_T0_E_clISt17integral_constantIbLb0EESZ_EEDaSU_SV_EUlSU_E_NS1_11comp_targetILNS1_3genE5ELNS1_11target_archE942ELNS1_3gpuE9ELNS1_3repE0EEENS1_30default_config_static_selectorELNS0_4arch9wavefront6targetE0EEEvT1_.num_vgpr, 0
	.set _ZN7rocprim17ROCPRIM_400000_NS6detail17trampoline_kernelINS0_14default_configENS1_27scan_by_key_config_selectorIiiEEZZNS1_16scan_by_key_implILNS1_25lookback_scan_determinismE0ELb1ES3_N6thrust23THRUST_200600_302600_NS6detail15normal_iteratorINS9_10device_ptrIiEEEESE_SE_iNS9_4plusIvEENS9_8equal_toIiEEiEE10hipError_tPvRmT2_T3_T4_T5_mT6_T7_P12ihipStream_tbENKUlT_T0_E_clISt17integral_constantIbLb0EESZ_EEDaSU_SV_EUlSU_E_NS1_11comp_targetILNS1_3genE5ELNS1_11target_archE942ELNS1_3gpuE9ELNS1_3repE0EEENS1_30default_config_static_selectorELNS0_4arch9wavefront6targetE0EEEvT1_.num_agpr, 0
	.set _ZN7rocprim17ROCPRIM_400000_NS6detail17trampoline_kernelINS0_14default_configENS1_27scan_by_key_config_selectorIiiEEZZNS1_16scan_by_key_implILNS1_25lookback_scan_determinismE0ELb1ES3_N6thrust23THRUST_200600_302600_NS6detail15normal_iteratorINS9_10device_ptrIiEEEESE_SE_iNS9_4plusIvEENS9_8equal_toIiEEiEE10hipError_tPvRmT2_T3_T4_T5_mT6_T7_P12ihipStream_tbENKUlT_T0_E_clISt17integral_constantIbLb0EESZ_EEDaSU_SV_EUlSU_E_NS1_11comp_targetILNS1_3genE5ELNS1_11target_archE942ELNS1_3gpuE9ELNS1_3repE0EEENS1_30default_config_static_selectorELNS0_4arch9wavefront6targetE0EEEvT1_.numbered_sgpr, 0
	.set _ZN7rocprim17ROCPRIM_400000_NS6detail17trampoline_kernelINS0_14default_configENS1_27scan_by_key_config_selectorIiiEEZZNS1_16scan_by_key_implILNS1_25lookback_scan_determinismE0ELb1ES3_N6thrust23THRUST_200600_302600_NS6detail15normal_iteratorINS9_10device_ptrIiEEEESE_SE_iNS9_4plusIvEENS9_8equal_toIiEEiEE10hipError_tPvRmT2_T3_T4_T5_mT6_T7_P12ihipStream_tbENKUlT_T0_E_clISt17integral_constantIbLb0EESZ_EEDaSU_SV_EUlSU_E_NS1_11comp_targetILNS1_3genE5ELNS1_11target_archE942ELNS1_3gpuE9ELNS1_3repE0EEENS1_30default_config_static_selectorELNS0_4arch9wavefront6targetE0EEEvT1_.num_named_barrier, 0
	.set _ZN7rocprim17ROCPRIM_400000_NS6detail17trampoline_kernelINS0_14default_configENS1_27scan_by_key_config_selectorIiiEEZZNS1_16scan_by_key_implILNS1_25lookback_scan_determinismE0ELb1ES3_N6thrust23THRUST_200600_302600_NS6detail15normal_iteratorINS9_10device_ptrIiEEEESE_SE_iNS9_4plusIvEENS9_8equal_toIiEEiEE10hipError_tPvRmT2_T3_T4_T5_mT6_T7_P12ihipStream_tbENKUlT_T0_E_clISt17integral_constantIbLb0EESZ_EEDaSU_SV_EUlSU_E_NS1_11comp_targetILNS1_3genE5ELNS1_11target_archE942ELNS1_3gpuE9ELNS1_3repE0EEENS1_30default_config_static_selectorELNS0_4arch9wavefront6targetE0EEEvT1_.private_seg_size, 0
	.set _ZN7rocprim17ROCPRIM_400000_NS6detail17trampoline_kernelINS0_14default_configENS1_27scan_by_key_config_selectorIiiEEZZNS1_16scan_by_key_implILNS1_25lookback_scan_determinismE0ELb1ES3_N6thrust23THRUST_200600_302600_NS6detail15normal_iteratorINS9_10device_ptrIiEEEESE_SE_iNS9_4plusIvEENS9_8equal_toIiEEiEE10hipError_tPvRmT2_T3_T4_T5_mT6_T7_P12ihipStream_tbENKUlT_T0_E_clISt17integral_constantIbLb0EESZ_EEDaSU_SV_EUlSU_E_NS1_11comp_targetILNS1_3genE5ELNS1_11target_archE942ELNS1_3gpuE9ELNS1_3repE0EEENS1_30default_config_static_selectorELNS0_4arch9wavefront6targetE0EEEvT1_.uses_vcc, 0
	.set _ZN7rocprim17ROCPRIM_400000_NS6detail17trampoline_kernelINS0_14default_configENS1_27scan_by_key_config_selectorIiiEEZZNS1_16scan_by_key_implILNS1_25lookback_scan_determinismE0ELb1ES3_N6thrust23THRUST_200600_302600_NS6detail15normal_iteratorINS9_10device_ptrIiEEEESE_SE_iNS9_4plusIvEENS9_8equal_toIiEEiEE10hipError_tPvRmT2_T3_T4_T5_mT6_T7_P12ihipStream_tbENKUlT_T0_E_clISt17integral_constantIbLb0EESZ_EEDaSU_SV_EUlSU_E_NS1_11comp_targetILNS1_3genE5ELNS1_11target_archE942ELNS1_3gpuE9ELNS1_3repE0EEENS1_30default_config_static_selectorELNS0_4arch9wavefront6targetE0EEEvT1_.uses_flat_scratch, 0
	.set _ZN7rocprim17ROCPRIM_400000_NS6detail17trampoline_kernelINS0_14default_configENS1_27scan_by_key_config_selectorIiiEEZZNS1_16scan_by_key_implILNS1_25lookback_scan_determinismE0ELb1ES3_N6thrust23THRUST_200600_302600_NS6detail15normal_iteratorINS9_10device_ptrIiEEEESE_SE_iNS9_4plusIvEENS9_8equal_toIiEEiEE10hipError_tPvRmT2_T3_T4_T5_mT6_T7_P12ihipStream_tbENKUlT_T0_E_clISt17integral_constantIbLb0EESZ_EEDaSU_SV_EUlSU_E_NS1_11comp_targetILNS1_3genE5ELNS1_11target_archE942ELNS1_3gpuE9ELNS1_3repE0EEENS1_30default_config_static_selectorELNS0_4arch9wavefront6targetE0EEEvT1_.has_dyn_sized_stack, 0
	.set _ZN7rocprim17ROCPRIM_400000_NS6detail17trampoline_kernelINS0_14default_configENS1_27scan_by_key_config_selectorIiiEEZZNS1_16scan_by_key_implILNS1_25lookback_scan_determinismE0ELb1ES3_N6thrust23THRUST_200600_302600_NS6detail15normal_iteratorINS9_10device_ptrIiEEEESE_SE_iNS9_4plusIvEENS9_8equal_toIiEEiEE10hipError_tPvRmT2_T3_T4_T5_mT6_T7_P12ihipStream_tbENKUlT_T0_E_clISt17integral_constantIbLb0EESZ_EEDaSU_SV_EUlSU_E_NS1_11comp_targetILNS1_3genE5ELNS1_11target_archE942ELNS1_3gpuE9ELNS1_3repE0EEENS1_30default_config_static_selectorELNS0_4arch9wavefront6targetE0EEEvT1_.has_recursion, 0
	.set _ZN7rocprim17ROCPRIM_400000_NS6detail17trampoline_kernelINS0_14default_configENS1_27scan_by_key_config_selectorIiiEEZZNS1_16scan_by_key_implILNS1_25lookback_scan_determinismE0ELb1ES3_N6thrust23THRUST_200600_302600_NS6detail15normal_iteratorINS9_10device_ptrIiEEEESE_SE_iNS9_4plusIvEENS9_8equal_toIiEEiEE10hipError_tPvRmT2_T3_T4_T5_mT6_T7_P12ihipStream_tbENKUlT_T0_E_clISt17integral_constantIbLb0EESZ_EEDaSU_SV_EUlSU_E_NS1_11comp_targetILNS1_3genE5ELNS1_11target_archE942ELNS1_3gpuE9ELNS1_3repE0EEENS1_30default_config_static_selectorELNS0_4arch9wavefront6targetE0EEEvT1_.has_indirect_call, 0
	.section	.AMDGPU.csdata,"",@progbits
; Kernel info:
; codeLenInByte = 0
; TotalNumSgprs: 0
; NumVgprs: 0
; ScratchSize: 0
; MemoryBound: 0
; FloatMode: 240
; IeeeMode: 1
; LDSByteSize: 0 bytes/workgroup (compile time only)
; SGPRBlocks: 0
; VGPRBlocks: 0
; NumSGPRsForWavesPerEU: 1
; NumVGPRsForWavesPerEU: 1
; NamedBarCnt: 0
; Occupancy: 16
; WaveLimiterHint : 0
; COMPUTE_PGM_RSRC2:SCRATCH_EN: 0
; COMPUTE_PGM_RSRC2:USER_SGPR: 2
; COMPUTE_PGM_RSRC2:TRAP_HANDLER: 0
; COMPUTE_PGM_RSRC2:TGID_X_EN: 1
; COMPUTE_PGM_RSRC2:TGID_Y_EN: 0
; COMPUTE_PGM_RSRC2:TGID_Z_EN: 0
; COMPUTE_PGM_RSRC2:TIDIG_COMP_CNT: 0
	.section	.text._ZN7rocprim17ROCPRIM_400000_NS6detail17trampoline_kernelINS0_14default_configENS1_27scan_by_key_config_selectorIiiEEZZNS1_16scan_by_key_implILNS1_25lookback_scan_determinismE0ELb1ES3_N6thrust23THRUST_200600_302600_NS6detail15normal_iteratorINS9_10device_ptrIiEEEESE_SE_iNS9_4plusIvEENS9_8equal_toIiEEiEE10hipError_tPvRmT2_T3_T4_T5_mT6_T7_P12ihipStream_tbENKUlT_T0_E_clISt17integral_constantIbLb0EESZ_EEDaSU_SV_EUlSU_E_NS1_11comp_targetILNS1_3genE4ELNS1_11target_archE910ELNS1_3gpuE8ELNS1_3repE0EEENS1_30default_config_static_selectorELNS0_4arch9wavefront6targetE0EEEvT1_,"axG",@progbits,_ZN7rocprim17ROCPRIM_400000_NS6detail17trampoline_kernelINS0_14default_configENS1_27scan_by_key_config_selectorIiiEEZZNS1_16scan_by_key_implILNS1_25lookback_scan_determinismE0ELb1ES3_N6thrust23THRUST_200600_302600_NS6detail15normal_iteratorINS9_10device_ptrIiEEEESE_SE_iNS9_4plusIvEENS9_8equal_toIiEEiEE10hipError_tPvRmT2_T3_T4_T5_mT6_T7_P12ihipStream_tbENKUlT_T0_E_clISt17integral_constantIbLb0EESZ_EEDaSU_SV_EUlSU_E_NS1_11comp_targetILNS1_3genE4ELNS1_11target_archE910ELNS1_3gpuE8ELNS1_3repE0EEENS1_30default_config_static_selectorELNS0_4arch9wavefront6targetE0EEEvT1_,comdat
	.protected	_ZN7rocprim17ROCPRIM_400000_NS6detail17trampoline_kernelINS0_14default_configENS1_27scan_by_key_config_selectorIiiEEZZNS1_16scan_by_key_implILNS1_25lookback_scan_determinismE0ELb1ES3_N6thrust23THRUST_200600_302600_NS6detail15normal_iteratorINS9_10device_ptrIiEEEESE_SE_iNS9_4plusIvEENS9_8equal_toIiEEiEE10hipError_tPvRmT2_T3_T4_T5_mT6_T7_P12ihipStream_tbENKUlT_T0_E_clISt17integral_constantIbLb0EESZ_EEDaSU_SV_EUlSU_E_NS1_11comp_targetILNS1_3genE4ELNS1_11target_archE910ELNS1_3gpuE8ELNS1_3repE0EEENS1_30default_config_static_selectorELNS0_4arch9wavefront6targetE0EEEvT1_ ; -- Begin function _ZN7rocprim17ROCPRIM_400000_NS6detail17trampoline_kernelINS0_14default_configENS1_27scan_by_key_config_selectorIiiEEZZNS1_16scan_by_key_implILNS1_25lookback_scan_determinismE0ELb1ES3_N6thrust23THRUST_200600_302600_NS6detail15normal_iteratorINS9_10device_ptrIiEEEESE_SE_iNS9_4plusIvEENS9_8equal_toIiEEiEE10hipError_tPvRmT2_T3_T4_T5_mT6_T7_P12ihipStream_tbENKUlT_T0_E_clISt17integral_constantIbLb0EESZ_EEDaSU_SV_EUlSU_E_NS1_11comp_targetILNS1_3genE4ELNS1_11target_archE910ELNS1_3gpuE8ELNS1_3repE0EEENS1_30default_config_static_selectorELNS0_4arch9wavefront6targetE0EEEvT1_
	.globl	_ZN7rocprim17ROCPRIM_400000_NS6detail17trampoline_kernelINS0_14default_configENS1_27scan_by_key_config_selectorIiiEEZZNS1_16scan_by_key_implILNS1_25lookback_scan_determinismE0ELb1ES3_N6thrust23THRUST_200600_302600_NS6detail15normal_iteratorINS9_10device_ptrIiEEEESE_SE_iNS9_4plusIvEENS9_8equal_toIiEEiEE10hipError_tPvRmT2_T3_T4_T5_mT6_T7_P12ihipStream_tbENKUlT_T0_E_clISt17integral_constantIbLb0EESZ_EEDaSU_SV_EUlSU_E_NS1_11comp_targetILNS1_3genE4ELNS1_11target_archE910ELNS1_3gpuE8ELNS1_3repE0EEENS1_30default_config_static_selectorELNS0_4arch9wavefront6targetE0EEEvT1_
	.p2align	8
	.type	_ZN7rocprim17ROCPRIM_400000_NS6detail17trampoline_kernelINS0_14default_configENS1_27scan_by_key_config_selectorIiiEEZZNS1_16scan_by_key_implILNS1_25lookback_scan_determinismE0ELb1ES3_N6thrust23THRUST_200600_302600_NS6detail15normal_iteratorINS9_10device_ptrIiEEEESE_SE_iNS9_4plusIvEENS9_8equal_toIiEEiEE10hipError_tPvRmT2_T3_T4_T5_mT6_T7_P12ihipStream_tbENKUlT_T0_E_clISt17integral_constantIbLb0EESZ_EEDaSU_SV_EUlSU_E_NS1_11comp_targetILNS1_3genE4ELNS1_11target_archE910ELNS1_3gpuE8ELNS1_3repE0EEENS1_30default_config_static_selectorELNS0_4arch9wavefront6targetE0EEEvT1_,@function
_ZN7rocprim17ROCPRIM_400000_NS6detail17trampoline_kernelINS0_14default_configENS1_27scan_by_key_config_selectorIiiEEZZNS1_16scan_by_key_implILNS1_25lookback_scan_determinismE0ELb1ES3_N6thrust23THRUST_200600_302600_NS6detail15normal_iteratorINS9_10device_ptrIiEEEESE_SE_iNS9_4plusIvEENS9_8equal_toIiEEiEE10hipError_tPvRmT2_T3_T4_T5_mT6_T7_P12ihipStream_tbENKUlT_T0_E_clISt17integral_constantIbLb0EESZ_EEDaSU_SV_EUlSU_E_NS1_11comp_targetILNS1_3genE4ELNS1_11target_archE910ELNS1_3gpuE8ELNS1_3repE0EEENS1_30default_config_static_selectorELNS0_4arch9wavefront6targetE0EEEvT1_: ; @_ZN7rocprim17ROCPRIM_400000_NS6detail17trampoline_kernelINS0_14default_configENS1_27scan_by_key_config_selectorIiiEEZZNS1_16scan_by_key_implILNS1_25lookback_scan_determinismE0ELb1ES3_N6thrust23THRUST_200600_302600_NS6detail15normal_iteratorINS9_10device_ptrIiEEEESE_SE_iNS9_4plusIvEENS9_8equal_toIiEEiEE10hipError_tPvRmT2_T3_T4_T5_mT6_T7_P12ihipStream_tbENKUlT_T0_E_clISt17integral_constantIbLb0EESZ_EEDaSU_SV_EUlSU_E_NS1_11comp_targetILNS1_3genE4ELNS1_11target_archE910ELNS1_3gpuE8ELNS1_3repE0EEENS1_30default_config_static_selectorELNS0_4arch9wavefront6targetE0EEEvT1_
; %bb.0:
	.section	.rodata,"a",@progbits
	.p2align	6, 0x0
	.amdhsa_kernel _ZN7rocprim17ROCPRIM_400000_NS6detail17trampoline_kernelINS0_14default_configENS1_27scan_by_key_config_selectorIiiEEZZNS1_16scan_by_key_implILNS1_25lookback_scan_determinismE0ELb1ES3_N6thrust23THRUST_200600_302600_NS6detail15normal_iteratorINS9_10device_ptrIiEEEESE_SE_iNS9_4plusIvEENS9_8equal_toIiEEiEE10hipError_tPvRmT2_T3_T4_T5_mT6_T7_P12ihipStream_tbENKUlT_T0_E_clISt17integral_constantIbLb0EESZ_EEDaSU_SV_EUlSU_E_NS1_11comp_targetILNS1_3genE4ELNS1_11target_archE910ELNS1_3gpuE8ELNS1_3repE0EEENS1_30default_config_static_selectorELNS0_4arch9wavefront6targetE0EEEvT1_
		.amdhsa_group_segment_fixed_size 0
		.amdhsa_private_segment_fixed_size 0
		.amdhsa_kernarg_size 112
		.amdhsa_user_sgpr_count 2
		.amdhsa_user_sgpr_dispatch_ptr 0
		.amdhsa_user_sgpr_queue_ptr 0
		.amdhsa_user_sgpr_kernarg_segment_ptr 1
		.amdhsa_user_sgpr_dispatch_id 0
		.amdhsa_user_sgpr_kernarg_preload_length 0
		.amdhsa_user_sgpr_kernarg_preload_offset 0
		.amdhsa_user_sgpr_private_segment_size 0
		.amdhsa_wavefront_size32 1
		.amdhsa_uses_dynamic_stack 0
		.amdhsa_enable_private_segment 0
		.amdhsa_system_sgpr_workgroup_id_x 1
		.amdhsa_system_sgpr_workgroup_id_y 0
		.amdhsa_system_sgpr_workgroup_id_z 0
		.amdhsa_system_sgpr_workgroup_info 0
		.amdhsa_system_vgpr_workitem_id 0
		.amdhsa_next_free_vgpr 1
		.amdhsa_next_free_sgpr 1
		.amdhsa_named_barrier_count 0
		.amdhsa_reserve_vcc 0
		.amdhsa_float_round_mode_32 0
		.amdhsa_float_round_mode_16_64 0
		.amdhsa_float_denorm_mode_32 3
		.amdhsa_float_denorm_mode_16_64 3
		.amdhsa_fp16_overflow 0
		.amdhsa_memory_ordered 1
		.amdhsa_forward_progress 1
		.amdhsa_inst_pref_size 0
		.amdhsa_round_robin_scheduling 0
		.amdhsa_exception_fp_ieee_invalid_op 0
		.amdhsa_exception_fp_denorm_src 0
		.amdhsa_exception_fp_ieee_div_zero 0
		.amdhsa_exception_fp_ieee_overflow 0
		.amdhsa_exception_fp_ieee_underflow 0
		.amdhsa_exception_fp_ieee_inexact 0
		.amdhsa_exception_int_div_zero 0
	.end_amdhsa_kernel
	.section	.text._ZN7rocprim17ROCPRIM_400000_NS6detail17trampoline_kernelINS0_14default_configENS1_27scan_by_key_config_selectorIiiEEZZNS1_16scan_by_key_implILNS1_25lookback_scan_determinismE0ELb1ES3_N6thrust23THRUST_200600_302600_NS6detail15normal_iteratorINS9_10device_ptrIiEEEESE_SE_iNS9_4plusIvEENS9_8equal_toIiEEiEE10hipError_tPvRmT2_T3_T4_T5_mT6_T7_P12ihipStream_tbENKUlT_T0_E_clISt17integral_constantIbLb0EESZ_EEDaSU_SV_EUlSU_E_NS1_11comp_targetILNS1_3genE4ELNS1_11target_archE910ELNS1_3gpuE8ELNS1_3repE0EEENS1_30default_config_static_selectorELNS0_4arch9wavefront6targetE0EEEvT1_,"axG",@progbits,_ZN7rocprim17ROCPRIM_400000_NS6detail17trampoline_kernelINS0_14default_configENS1_27scan_by_key_config_selectorIiiEEZZNS1_16scan_by_key_implILNS1_25lookback_scan_determinismE0ELb1ES3_N6thrust23THRUST_200600_302600_NS6detail15normal_iteratorINS9_10device_ptrIiEEEESE_SE_iNS9_4plusIvEENS9_8equal_toIiEEiEE10hipError_tPvRmT2_T3_T4_T5_mT6_T7_P12ihipStream_tbENKUlT_T0_E_clISt17integral_constantIbLb0EESZ_EEDaSU_SV_EUlSU_E_NS1_11comp_targetILNS1_3genE4ELNS1_11target_archE910ELNS1_3gpuE8ELNS1_3repE0EEENS1_30default_config_static_selectorELNS0_4arch9wavefront6targetE0EEEvT1_,comdat
.Lfunc_end536:
	.size	_ZN7rocprim17ROCPRIM_400000_NS6detail17trampoline_kernelINS0_14default_configENS1_27scan_by_key_config_selectorIiiEEZZNS1_16scan_by_key_implILNS1_25lookback_scan_determinismE0ELb1ES3_N6thrust23THRUST_200600_302600_NS6detail15normal_iteratorINS9_10device_ptrIiEEEESE_SE_iNS9_4plusIvEENS9_8equal_toIiEEiEE10hipError_tPvRmT2_T3_T4_T5_mT6_T7_P12ihipStream_tbENKUlT_T0_E_clISt17integral_constantIbLb0EESZ_EEDaSU_SV_EUlSU_E_NS1_11comp_targetILNS1_3genE4ELNS1_11target_archE910ELNS1_3gpuE8ELNS1_3repE0EEENS1_30default_config_static_selectorELNS0_4arch9wavefront6targetE0EEEvT1_, .Lfunc_end536-_ZN7rocprim17ROCPRIM_400000_NS6detail17trampoline_kernelINS0_14default_configENS1_27scan_by_key_config_selectorIiiEEZZNS1_16scan_by_key_implILNS1_25lookback_scan_determinismE0ELb1ES3_N6thrust23THRUST_200600_302600_NS6detail15normal_iteratorINS9_10device_ptrIiEEEESE_SE_iNS9_4plusIvEENS9_8equal_toIiEEiEE10hipError_tPvRmT2_T3_T4_T5_mT6_T7_P12ihipStream_tbENKUlT_T0_E_clISt17integral_constantIbLb0EESZ_EEDaSU_SV_EUlSU_E_NS1_11comp_targetILNS1_3genE4ELNS1_11target_archE910ELNS1_3gpuE8ELNS1_3repE0EEENS1_30default_config_static_selectorELNS0_4arch9wavefront6targetE0EEEvT1_
                                        ; -- End function
	.set _ZN7rocprim17ROCPRIM_400000_NS6detail17trampoline_kernelINS0_14default_configENS1_27scan_by_key_config_selectorIiiEEZZNS1_16scan_by_key_implILNS1_25lookback_scan_determinismE0ELb1ES3_N6thrust23THRUST_200600_302600_NS6detail15normal_iteratorINS9_10device_ptrIiEEEESE_SE_iNS9_4plusIvEENS9_8equal_toIiEEiEE10hipError_tPvRmT2_T3_T4_T5_mT6_T7_P12ihipStream_tbENKUlT_T0_E_clISt17integral_constantIbLb0EESZ_EEDaSU_SV_EUlSU_E_NS1_11comp_targetILNS1_3genE4ELNS1_11target_archE910ELNS1_3gpuE8ELNS1_3repE0EEENS1_30default_config_static_selectorELNS0_4arch9wavefront6targetE0EEEvT1_.num_vgpr, 0
	.set _ZN7rocprim17ROCPRIM_400000_NS6detail17trampoline_kernelINS0_14default_configENS1_27scan_by_key_config_selectorIiiEEZZNS1_16scan_by_key_implILNS1_25lookback_scan_determinismE0ELb1ES3_N6thrust23THRUST_200600_302600_NS6detail15normal_iteratorINS9_10device_ptrIiEEEESE_SE_iNS9_4plusIvEENS9_8equal_toIiEEiEE10hipError_tPvRmT2_T3_T4_T5_mT6_T7_P12ihipStream_tbENKUlT_T0_E_clISt17integral_constantIbLb0EESZ_EEDaSU_SV_EUlSU_E_NS1_11comp_targetILNS1_3genE4ELNS1_11target_archE910ELNS1_3gpuE8ELNS1_3repE0EEENS1_30default_config_static_selectorELNS0_4arch9wavefront6targetE0EEEvT1_.num_agpr, 0
	.set _ZN7rocprim17ROCPRIM_400000_NS6detail17trampoline_kernelINS0_14default_configENS1_27scan_by_key_config_selectorIiiEEZZNS1_16scan_by_key_implILNS1_25lookback_scan_determinismE0ELb1ES3_N6thrust23THRUST_200600_302600_NS6detail15normal_iteratorINS9_10device_ptrIiEEEESE_SE_iNS9_4plusIvEENS9_8equal_toIiEEiEE10hipError_tPvRmT2_T3_T4_T5_mT6_T7_P12ihipStream_tbENKUlT_T0_E_clISt17integral_constantIbLb0EESZ_EEDaSU_SV_EUlSU_E_NS1_11comp_targetILNS1_3genE4ELNS1_11target_archE910ELNS1_3gpuE8ELNS1_3repE0EEENS1_30default_config_static_selectorELNS0_4arch9wavefront6targetE0EEEvT1_.numbered_sgpr, 0
	.set _ZN7rocprim17ROCPRIM_400000_NS6detail17trampoline_kernelINS0_14default_configENS1_27scan_by_key_config_selectorIiiEEZZNS1_16scan_by_key_implILNS1_25lookback_scan_determinismE0ELb1ES3_N6thrust23THRUST_200600_302600_NS6detail15normal_iteratorINS9_10device_ptrIiEEEESE_SE_iNS9_4plusIvEENS9_8equal_toIiEEiEE10hipError_tPvRmT2_T3_T4_T5_mT6_T7_P12ihipStream_tbENKUlT_T0_E_clISt17integral_constantIbLb0EESZ_EEDaSU_SV_EUlSU_E_NS1_11comp_targetILNS1_3genE4ELNS1_11target_archE910ELNS1_3gpuE8ELNS1_3repE0EEENS1_30default_config_static_selectorELNS0_4arch9wavefront6targetE0EEEvT1_.num_named_barrier, 0
	.set _ZN7rocprim17ROCPRIM_400000_NS6detail17trampoline_kernelINS0_14default_configENS1_27scan_by_key_config_selectorIiiEEZZNS1_16scan_by_key_implILNS1_25lookback_scan_determinismE0ELb1ES3_N6thrust23THRUST_200600_302600_NS6detail15normal_iteratorINS9_10device_ptrIiEEEESE_SE_iNS9_4plusIvEENS9_8equal_toIiEEiEE10hipError_tPvRmT2_T3_T4_T5_mT6_T7_P12ihipStream_tbENKUlT_T0_E_clISt17integral_constantIbLb0EESZ_EEDaSU_SV_EUlSU_E_NS1_11comp_targetILNS1_3genE4ELNS1_11target_archE910ELNS1_3gpuE8ELNS1_3repE0EEENS1_30default_config_static_selectorELNS0_4arch9wavefront6targetE0EEEvT1_.private_seg_size, 0
	.set _ZN7rocprim17ROCPRIM_400000_NS6detail17trampoline_kernelINS0_14default_configENS1_27scan_by_key_config_selectorIiiEEZZNS1_16scan_by_key_implILNS1_25lookback_scan_determinismE0ELb1ES3_N6thrust23THRUST_200600_302600_NS6detail15normal_iteratorINS9_10device_ptrIiEEEESE_SE_iNS9_4plusIvEENS9_8equal_toIiEEiEE10hipError_tPvRmT2_T3_T4_T5_mT6_T7_P12ihipStream_tbENKUlT_T0_E_clISt17integral_constantIbLb0EESZ_EEDaSU_SV_EUlSU_E_NS1_11comp_targetILNS1_3genE4ELNS1_11target_archE910ELNS1_3gpuE8ELNS1_3repE0EEENS1_30default_config_static_selectorELNS0_4arch9wavefront6targetE0EEEvT1_.uses_vcc, 0
	.set _ZN7rocprim17ROCPRIM_400000_NS6detail17trampoline_kernelINS0_14default_configENS1_27scan_by_key_config_selectorIiiEEZZNS1_16scan_by_key_implILNS1_25lookback_scan_determinismE0ELb1ES3_N6thrust23THRUST_200600_302600_NS6detail15normal_iteratorINS9_10device_ptrIiEEEESE_SE_iNS9_4plusIvEENS9_8equal_toIiEEiEE10hipError_tPvRmT2_T3_T4_T5_mT6_T7_P12ihipStream_tbENKUlT_T0_E_clISt17integral_constantIbLb0EESZ_EEDaSU_SV_EUlSU_E_NS1_11comp_targetILNS1_3genE4ELNS1_11target_archE910ELNS1_3gpuE8ELNS1_3repE0EEENS1_30default_config_static_selectorELNS0_4arch9wavefront6targetE0EEEvT1_.uses_flat_scratch, 0
	.set _ZN7rocprim17ROCPRIM_400000_NS6detail17trampoline_kernelINS0_14default_configENS1_27scan_by_key_config_selectorIiiEEZZNS1_16scan_by_key_implILNS1_25lookback_scan_determinismE0ELb1ES3_N6thrust23THRUST_200600_302600_NS6detail15normal_iteratorINS9_10device_ptrIiEEEESE_SE_iNS9_4plusIvEENS9_8equal_toIiEEiEE10hipError_tPvRmT2_T3_T4_T5_mT6_T7_P12ihipStream_tbENKUlT_T0_E_clISt17integral_constantIbLb0EESZ_EEDaSU_SV_EUlSU_E_NS1_11comp_targetILNS1_3genE4ELNS1_11target_archE910ELNS1_3gpuE8ELNS1_3repE0EEENS1_30default_config_static_selectorELNS0_4arch9wavefront6targetE0EEEvT1_.has_dyn_sized_stack, 0
	.set _ZN7rocprim17ROCPRIM_400000_NS6detail17trampoline_kernelINS0_14default_configENS1_27scan_by_key_config_selectorIiiEEZZNS1_16scan_by_key_implILNS1_25lookback_scan_determinismE0ELb1ES3_N6thrust23THRUST_200600_302600_NS6detail15normal_iteratorINS9_10device_ptrIiEEEESE_SE_iNS9_4plusIvEENS9_8equal_toIiEEiEE10hipError_tPvRmT2_T3_T4_T5_mT6_T7_P12ihipStream_tbENKUlT_T0_E_clISt17integral_constantIbLb0EESZ_EEDaSU_SV_EUlSU_E_NS1_11comp_targetILNS1_3genE4ELNS1_11target_archE910ELNS1_3gpuE8ELNS1_3repE0EEENS1_30default_config_static_selectorELNS0_4arch9wavefront6targetE0EEEvT1_.has_recursion, 0
	.set _ZN7rocprim17ROCPRIM_400000_NS6detail17trampoline_kernelINS0_14default_configENS1_27scan_by_key_config_selectorIiiEEZZNS1_16scan_by_key_implILNS1_25lookback_scan_determinismE0ELb1ES3_N6thrust23THRUST_200600_302600_NS6detail15normal_iteratorINS9_10device_ptrIiEEEESE_SE_iNS9_4plusIvEENS9_8equal_toIiEEiEE10hipError_tPvRmT2_T3_T4_T5_mT6_T7_P12ihipStream_tbENKUlT_T0_E_clISt17integral_constantIbLb0EESZ_EEDaSU_SV_EUlSU_E_NS1_11comp_targetILNS1_3genE4ELNS1_11target_archE910ELNS1_3gpuE8ELNS1_3repE0EEENS1_30default_config_static_selectorELNS0_4arch9wavefront6targetE0EEEvT1_.has_indirect_call, 0
	.section	.AMDGPU.csdata,"",@progbits
; Kernel info:
; codeLenInByte = 0
; TotalNumSgprs: 0
; NumVgprs: 0
; ScratchSize: 0
; MemoryBound: 0
; FloatMode: 240
; IeeeMode: 1
; LDSByteSize: 0 bytes/workgroup (compile time only)
; SGPRBlocks: 0
; VGPRBlocks: 0
; NumSGPRsForWavesPerEU: 1
; NumVGPRsForWavesPerEU: 1
; NamedBarCnt: 0
; Occupancy: 16
; WaveLimiterHint : 0
; COMPUTE_PGM_RSRC2:SCRATCH_EN: 0
; COMPUTE_PGM_RSRC2:USER_SGPR: 2
; COMPUTE_PGM_RSRC2:TRAP_HANDLER: 0
; COMPUTE_PGM_RSRC2:TGID_X_EN: 1
; COMPUTE_PGM_RSRC2:TGID_Y_EN: 0
; COMPUTE_PGM_RSRC2:TGID_Z_EN: 0
; COMPUTE_PGM_RSRC2:TIDIG_COMP_CNT: 0
	.section	.text._ZN7rocprim17ROCPRIM_400000_NS6detail17trampoline_kernelINS0_14default_configENS1_27scan_by_key_config_selectorIiiEEZZNS1_16scan_by_key_implILNS1_25lookback_scan_determinismE0ELb1ES3_N6thrust23THRUST_200600_302600_NS6detail15normal_iteratorINS9_10device_ptrIiEEEESE_SE_iNS9_4plusIvEENS9_8equal_toIiEEiEE10hipError_tPvRmT2_T3_T4_T5_mT6_T7_P12ihipStream_tbENKUlT_T0_E_clISt17integral_constantIbLb0EESZ_EEDaSU_SV_EUlSU_E_NS1_11comp_targetILNS1_3genE3ELNS1_11target_archE908ELNS1_3gpuE7ELNS1_3repE0EEENS1_30default_config_static_selectorELNS0_4arch9wavefront6targetE0EEEvT1_,"axG",@progbits,_ZN7rocprim17ROCPRIM_400000_NS6detail17trampoline_kernelINS0_14default_configENS1_27scan_by_key_config_selectorIiiEEZZNS1_16scan_by_key_implILNS1_25lookback_scan_determinismE0ELb1ES3_N6thrust23THRUST_200600_302600_NS6detail15normal_iteratorINS9_10device_ptrIiEEEESE_SE_iNS9_4plusIvEENS9_8equal_toIiEEiEE10hipError_tPvRmT2_T3_T4_T5_mT6_T7_P12ihipStream_tbENKUlT_T0_E_clISt17integral_constantIbLb0EESZ_EEDaSU_SV_EUlSU_E_NS1_11comp_targetILNS1_3genE3ELNS1_11target_archE908ELNS1_3gpuE7ELNS1_3repE0EEENS1_30default_config_static_selectorELNS0_4arch9wavefront6targetE0EEEvT1_,comdat
	.protected	_ZN7rocprim17ROCPRIM_400000_NS6detail17trampoline_kernelINS0_14default_configENS1_27scan_by_key_config_selectorIiiEEZZNS1_16scan_by_key_implILNS1_25lookback_scan_determinismE0ELb1ES3_N6thrust23THRUST_200600_302600_NS6detail15normal_iteratorINS9_10device_ptrIiEEEESE_SE_iNS9_4plusIvEENS9_8equal_toIiEEiEE10hipError_tPvRmT2_T3_T4_T5_mT6_T7_P12ihipStream_tbENKUlT_T0_E_clISt17integral_constantIbLb0EESZ_EEDaSU_SV_EUlSU_E_NS1_11comp_targetILNS1_3genE3ELNS1_11target_archE908ELNS1_3gpuE7ELNS1_3repE0EEENS1_30default_config_static_selectorELNS0_4arch9wavefront6targetE0EEEvT1_ ; -- Begin function _ZN7rocprim17ROCPRIM_400000_NS6detail17trampoline_kernelINS0_14default_configENS1_27scan_by_key_config_selectorIiiEEZZNS1_16scan_by_key_implILNS1_25lookback_scan_determinismE0ELb1ES3_N6thrust23THRUST_200600_302600_NS6detail15normal_iteratorINS9_10device_ptrIiEEEESE_SE_iNS9_4plusIvEENS9_8equal_toIiEEiEE10hipError_tPvRmT2_T3_T4_T5_mT6_T7_P12ihipStream_tbENKUlT_T0_E_clISt17integral_constantIbLb0EESZ_EEDaSU_SV_EUlSU_E_NS1_11comp_targetILNS1_3genE3ELNS1_11target_archE908ELNS1_3gpuE7ELNS1_3repE0EEENS1_30default_config_static_selectorELNS0_4arch9wavefront6targetE0EEEvT1_
	.globl	_ZN7rocprim17ROCPRIM_400000_NS6detail17trampoline_kernelINS0_14default_configENS1_27scan_by_key_config_selectorIiiEEZZNS1_16scan_by_key_implILNS1_25lookback_scan_determinismE0ELb1ES3_N6thrust23THRUST_200600_302600_NS6detail15normal_iteratorINS9_10device_ptrIiEEEESE_SE_iNS9_4plusIvEENS9_8equal_toIiEEiEE10hipError_tPvRmT2_T3_T4_T5_mT6_T7_P12ihipStream_tbENKUlT_T0_E_clISt17integral_constantIbLb0EESZ_EEDaSU_SV_EUlSU_E_NS1_11comp_targetILNS1_3genE3ELNS1_11target_archE908ELNS1_3gpuE7ELNS1_3repE0EEENS1_30default_config_static_selectorELNS0_4arch9wavefront6targetE0EEEvT1_
	.p2align	8
	.type	_ZN7rocprim17ROCPRIM_400000_NS6detail17trampoline_kernelINS0_14default_configENS1_27scan_by_key_config_selectorIiiEEZZNS1_16scan_by_key_implILNS1_25lookback_scan_determinismE0ELb1ES3_N6thrust23THRUST_200600_302600_NS6detail15normal_iteratorINS9_10device_ptrIiEEEESE_SE_iNS9_4plusIvEENS9_8equal_toIiEEiEE10hipError_tPvRmT2_T3_T4_T5_mT6_T7_P12ihipStream_tbENKUlT_T0_E_clISt17integral_constantIbLb0EESZ_EEDaSU_SV_EUlSU_E_NS1_11comp_targetILNS1_3genE3ELNS1_11target_archE908ELNS1_3gpuE7ELNS1_3repE0EEENS1_30default_config_static_selectorELNS0_4arch9wavefront6targetE0EEEvT1_,@function
_ZN7rocprim17ROCPRIM_400000_NS6detail17trampoline_kernelINS0_14default_configENS1_27scan_by_key_config_selectorIiiEEZZNS1_16scan_by_key_implILNS1_25lookback_scan_determinismE0ELb1ES3_N6thrust23THRUST_200600_302600_NS6detail15normal_iteratorINS9_10device_ptrIiEEEESE_SE_iNS9_4plusIvEENS9_8equal_toIiEEiEE10hipError_tPvRmT2_T3_T4_T5_mT6_T7_P12ihipStream_tbENKUlT_T0_E_clISt17integral_constantIbLb0EESZ_EEDaSU_SV_EUlSU_E_NS1_11comp_targetILNS1_3genE3ELNS1_11target_archE908ELNS1_3gpuE7ELNS1_3repE0EEENS1_30default_config_static_selectorELNS0_4arch9wavefront6targetE0EEEvT1_: ; @_ZN7rocprim17ROCPRIM_400000_NS6detail17trampoline_kernelINS0_14default_configENS1_27scan_by_key_config_selectorIiiEEZZNS1_16scan_by_key_implILNS1_25lookback_scan_determinismE0ELb1ES3_N6thrust23THRUST_200600_302600_NS6detail15normal_iteratorINS9_10device_ptrIiEEEESE_SE_iNS9_4plusIvEENS9_8equal_toIiEEiEE10hipError_tPvRmT2_T3_T4_T5_mT6_T7_P12ihipStream_tbENKUlT_T0_E_clISt17integral_constantIbLb0EESZ_EEDaSU_SV_EUlSU_E_NS1_11comp_targetILNS1_3genE3ELNS1_11target_archE908ELNS1_3gpuE7ELNS1_3repE0EEENS1_30default_config_static_selectorELNS0_4arch9wavefront6targetE0EEEvT1_
; %bb.0:
	.section	.rodata,"a",@progbits
	.p2align	6, 0x0
	.amdhsa_kernel _ZN7rocprim17ROCPRIM_400000_NS6detail17trampoline_kernelINS0_14default_configENS1_27scan_by_key_config_selectorIiiEEZZNS1_16scan_by_key_implILNS1_25lookback_scan_determinismE0ELb1ES3_N6thrust23THRUST_200600_302600_NS6detail15normal_iteratorINS9_10device_ptrIiEEEESE_SE_iNS9_4plusIvEENS9_8equal_toIiEEiEE10hipError_tPvRmT2_T3_T4_T5_mT6_T7_P12ihipStream_tbENKUlT_T0_E_clISt17integral_constantIbLb0EESZ_EEDaSU_SV_EUlSU_E_NS1_11comp_targetILNS1_3genE3ELNS1_11target_archE908ELNS1_3gpuE7ELNS1_3repE0EEENS1_30default_config_static_selectorELNS0_4arch9wavefront6targetE0EEEvT1_
		.amdhsa_group_segment_fixed_size 0
		.amdhsa_private_segment_fixed_size 0
		.amdhsa_kernarg_size 112
		.amdhsa_user_sgpr_count 2
		.amdhsa_user_sgpr_dispatch_ptr 0
		.amdhsa_user_sgpr_queue_ptr 0
		.amdhsa_user_sgpr_kernarg_segment_ptr 1
		.amdhsa_user_sgpr_dispatch_id 0
		.amdhsa_user_sgpr_kernarg_preload_length 0
		.amdhsa_user_sgpr_kernarg_preload_offset 0
		.amdhsa_user_sgpr_private_segment_size 0
		.amdhsa_wavefront_size32 1
		.amdhsa_uses_dynamic_stack 0
		.amdhsa_enable_private_segment 0
		.amdhsa_system_sgpr_workgroup_id_x 1
		.amdhsa_system_sgpr_workgroup_id_y 0
		.amdhsa_system_sgpr_workgroup_id_z 0
		.amdhsa_system_sgpr_workgroup_info 0
		.amdhsa_system_vgpr_workitem_id 0
		.amdhsa_next_free_vgpr 1
		.amdhsa_next_free_sgpr 1
		.amdhsa_named_barrier_count 0
		.amdhsa_reserve_vcc 0
		.amdhsa_float_round_mode_32 0
		.amdhsa_float_round_mode_16_64 0
		.amdhsa_float_denorm_mode_32 3
		.amdhsa_float_denorm_mode_16_64 3
		.amdhsa_fp16_overflow 0
		.amdhsa_memory_ordered 1
		.amdhsa_forward_progress 1
		.amdhsa_inst_pref_size 0
		.amdhsa_round_robin_scheduling 0
		.amdhsa_exception_fp_ieee_invalid_op 0
		.amdhsa_exception_fp_denorm_src 0
		.amdhsa_exception_fp_ieee_div_zero 0
		.amdhsa_exception_fp_ieee_overflow 0
		.amdhsa_exception_fp_ieee_underflow 0
		.amdhsa_exception_fp_ieee_inexact 0
		.amdhsa_exception_int_div_zero 0
	.end_amdhsa_kernel
	.section	.text._ZN7rocprim17ROCPRIM_400000_NS6detail17trampoline_kernelINS0_14default_configENS1_27scan_by_key_config_selectorIiiEEZZNS1_16scan_by_key_implILNS1_25lookback_scan_determinismE0ELb1ES3_N6thrust23THRUST_200600_302600_NS6detail15normal_iteratorINS9_10device_ptrIiEEEESE_SE_iNS9_4plusIvEENS9_8equal_toIiEEiEE10hipError_tPvRmT2_T3_T4_T5_mT6_T7_P12ihipStream_tbENKUlT_T0_E_clISt17integral_constantIbLb0EESZ_EEDaSU_SV_EUlSU_E_NS1_11comp_targetILNS1_3genE3ELNS1_11target_archE908ELNS1_3gpuE7ELNS1_3repE0EEENS1_30default_config_static_selectorELNS0_4arch9wavefront6targetE0EEEvT1_,"axG",@progbits,_ZN7rocprim17ROCPRIM_400000_NS6detail17trampoline_kernelINS0_14default_configENS1_27scan_by_key_config_selectorIiiEEZZNS1_16scan_by_key_implILNS1_25lookback_scan_determinismE0ELb1ES3_N6thrust23THRUST_200600_302600_NS6detail15normal_iteratorINS9_10device_ptrIiEEEESE_SE_iNS9_4plusIvEENS9_8equal_toIiEEiEE10hipError_tPvRmT2_T3_T4_T5_mT6_T7_P12ihipStream_tbENKUlT_T0_E_clISt17integral_constantIbLb0EESZ_EEDaSU_SV_EUlSU_E_NS1_11comp_targetILNS1_3genE3ELNS1_11target_archE908ELNS1_3gpuE7ELNS1_3repE0EEENS1_30default_config_static_selectorELNS0_4arch9wavefront6targetE0EEEvT1_,comdat
.Lfunc_end537:
	.size	_ZN7rocprim17ROCPRIM_400000_NS6detail17trampoline_kernelINS0_14default_configENS1_27scan_by_key_config_selectorIiiEEZZNS1_16scan_by_key_implILNS1_25lookback_scan_determinismE0ELb1ES3_N6thrust23THRUST_200600_302600_NS6detail15normal_iteratorINS9_10device_ptrIiEEEESE_SE_iNS9_4plusIvEENS9_8equal_toIiEEiEE10hipError_tPvRmT2_T3_T4_T5_mT6_T7_P12ihipStream_tbENKUlT_T0_E_clISt17integral_constantIbLb0EESZ_EEDaSU_SV_EUlSU_E_NS1_11comp_targetILNS1_3genE3ELNS1_11target_archE908ELNS1_3gpuE7ELNS1_3repE0EEENS1_30default_config_static_selectorELNS0_4arch9wavefront6targetE0EEEvT1_, .Lfunc_end537-_ZN7rocprim17ROCPRIM_400000_NS6detail17trampoline_kernelINS0_14default_configENS1_27scan_by_key_config_selectorIiiEEZZNS1_16scan_by_key_implILNS1_25lookback_scan_determinismE0ELb1ES3_N6thrust23THRUST_200600_302600_NS6detail15normal_iteratorINS9_10device_ptrIiEEEESE_SE_iNS9_4plusIvEENS9_8equal_toIiEEiEE10hipError_tPvRmT2_T3_T4_T5_mT6_T7_P12ihipStream_tbENKUlT_T0_E_clISt17integral_constantIbLb0EESZ_EEDaSU_SV_EUlSU_E_NS1_11comp_targetILNS1_3genE3ELNS1_11target_archE908ELNS1_3gpuE7ELNS1_3repE0EEENS1_30default_config_static_selectorELNS0_4arch9wavefront6targetE0EEEvT1_
                                        ; -- End function
	.set _ZN7rocprim17ROCPRIM_400000_NS6detail17trampoline_kernelINS0_14default_configENS1_27scan_by_key_config_selectorIiiEEZZNS1_16scan_by_key_implILNS1_25lookback_scan_determinismE0ELb1ES3_N6thrust23THRUST_200600_302600_NS6detail15normal_iteratorINS9_10device_ptrIiEEEESE_SE_iNS9_4plusIvEENS9_8equal_toIiEEiEE10hipError_tPvRmT2_T3_T4_T5_mT6_T7_P12ihipStream_tbENKUlT_T0_E_clISt17integral_constantIbLb0EESZ_EEDaSU_SV_EUlSU_E_NS1_11comp_targetILNS1_3genE3ELNS1_11target_archE908ELNS1_3gpuE7ELNS1_3repE0EEENS1_30default_config_static_selectorELNS0_4arch9wavefront6targetE0EEEvT1_.num_vgpr, 0
	.set _ZN7rocprim17ROCPRIM_400000_NS6detail17trampoline_kernelINS0_14default_configENS1_27scan_by_key_config_selectorIiiEEZZNS1_16scan_by_key_implILNS1_25lookback_scan_determinismE0ELb1ES3_N6thrust23THRUST_200600_302600_NS6detail15normal_iteratorINS9_10device_ptrIiEEEESE_SE_iNS9_4plusIvEENS9_8equal_toIiEEiEE10hipError_tPvRmT2_T3_T4_T5_mT6_T7_P12ihipStream_tbENKUlT_T0_E_clISt17integral_constantIbLb0EESZ_EEDaSU_SV_EUlSU_E_NS1_11comp_targetILNS1_3genE3ELNS1_11target_archE908ELNS1_3gpuE7ELNS1_3repE0EEENS1_30default_config_static_selectorELNS0_4arch9wavefront6targetE0EEEvT1_.num_agpr, 0
	.set _ZN7rocprim17ROCPRIM_400000_NS6detail17trampoline_kernelINS0_14default_configENS1_27scan_by_key_config_selectorIiiEEZZNS1_16scan_by_key_implILNS1_25lookback_scan_determinismE0ELb1ES3_N6thrust23THRUST_200600_302600_NS6detail15normal_iteratorINS9_10device_ptrIiEEEESE_SE_iNS9_4plusIvEENS9_8equal_toIiEEiEE10hipError_tPvRmT2_T3_T4_T5_mT6_T7_P12ihipStream_tbENKUlT_T0_E_clISt17integral_constantIbLb0EESZ_EEDaSU_SV_EUlSU_E_NS1_11comp_targetILNS1_3genE3ELNS1_11target_archE908ELNS1_3gpuE7ELNS1_3repE0EEENS1_30default_config_static_selectorELNS0_4arch9wavefront6targetE0EEEvT1_.numbered_sgpr, 0
	.set _ZN7rocprim17ROCPRIM_400000_NS6detail17trampoline_kernelINS0_14default_configENS1_27scan_by_key_config_selectorIiiEEZZNS1_16scan_by_key_implILNS1_25lookback_scan_determinismE0ELb1ES3_N6thrust23THRUST_200600_302600_NS6detail15normal_iteratorINS9_10device_ptrIiEEEESE_SE_iNS9_4plusIvEENS9_8equal_toIiEEiEE10hipError_tPvRmT2_T3_T4_T5_mT6_T7_P12ihipStream_tbENKUlT_T0_E_clISt17integral_constantIbLb0EESZ_EEDaSU_SV_EUlSU_E_NS1_11comp_targetILNS1_3genE3ELNS1_11target_archE908ELNS1_3gpuE7ELNS1_3repE0EEENS1_30default_config_static_selectorELNS0_4arch9wavefront6targetE0EEEvT1_.num_named_barrier, 0
	.set _ZN7rocprim17ROCPRIM_400000_NS6detail17trampoline_kernelINS0_14default_configENS1_27scan_by_key_config_selectorIiiEEZZNS1_16scan_by_key_implILNS1_25lookback_scan_determinismE0ELb1ES3_N6thrust23THRUST_200600_302600_NS6detail15normal_iteratorINS9_10device_ptrIiEEEESE_SE_iNS9_4plusIvEENS9_8equal_toIiEEiEE10hipError_tPvRmT2_T3_T4_T5_mT6_T7_P12ihipStream_tbENKUlT_T0_E_clISt17integral_constantIbLb0EESZ_EEDaSU_SV_EUlSU_E_NS1_11comp_targetILNS1_3genE3ELNS1_11target_archE908ELNS1_3gpuE7ELNS1_3repE0EEENS1_30default_config_static_selectorELNS0_4arch9wavefront6targetE0EEEvT1_.private_seg_size, 0
	.set _ZN7rocprim17ROCPRIM_400000_NS6detail17trampoline_kernelINS0_14default_configENS1_27scan_by_key_config_selectorIiiEEZZNS1_16scan_by_key_implILNS1_25lookback_scan_determinismE0ELb1ES3_N6thrust23THRUST_200600_302600_NS6detail15normal_iteratorINS9_10device_ptrIiEEEESE_SE_iNS9_4plusIvEENS9_8equal_toIiEEiEE10hipError_tPvRmT2_T3_T4_T5_mT6_T7_P12ihipStream_tbENKUlT_T0_E_clISt17integral_constantIbLb0EESZ_EEDaSU_SV_EUlSU_E_NS1_11comp_targetILNS1_3genE3ELNS1_11target_archE908ELNS1_3gpuE7ELNS1_3repE0EEENS1_30default_config_static_selectorELNS0_4arch9wavefront6targetE0EEEvT1_.uses_vcc, 0
	.set _ZN7rocprim17ROCPRIM_400000_NS6detail17trampoline_kernelINS0_14default_configENS1_27scan_by_key_config_selectorIiiEEZZNS1_16scan_by_key_implILNS1_25lookback_scan_determinismE0ELb1ES3_N6thrust23THRUST_200600_302600_NS6detail15normal_iteratorINS9_10device_ptrIiEEEESE_SE_iNS9_4plusIvEENS9_8equal_toIiEEiEE10hipError_tPvRmT2_T3_T4_T5_mT6_T7_P12ihipStream_tbENKUlT_T0_E_clISt17integral_constantIbLb0EESZ_EEDaSU_SV_EUlSU_E_NS1_11comp_targetILNS1_3genE3ELNS1_11target_archE908ELNS1_3gpuE7ELNS1_3repE0EEENS1_30default_config_static_selectorELNS0_4arch9wavefront6targetE0EEEvT1_.uses_flat_scratch, 0
	.set _ZN7rocprim17ROCPRIM_400000_NS6detail17trampoline_kernelINS0_14default_configENS1_27scan_by_key_config_selectorIiiEEZZNS1_16scan_by_key_implILNS1_25lookback_scan_determinismE0ELb1ES3_N6thrust23THRUST_200600_302600_NS6detail15normal_iteratorINS9_10device_ptrIiEEEESE_SE_iNS9_4plusIvEENS9_8equal_toIiEEiEE10hipError_tPvRmT2_T3_T4_T5_mT6_T7_P12ihipStream_tbENKUlT_T0_E_clISt17integral_constantIbLb0EESZ_EEDaSU_SV_EUlSU_E_NS1_11comp_targetILNS1_3genE3ELNS1_11target_archE908ELNS1_3gpuE7ELNS1_3repE0EEENS1_30default_config_static_selectorELNS0_4arch9wavefront6targetE0EEEvT1_.has_dyn_sized_stack, 0
	.set _ZN7rocprim17ROCPRIM_400000_NS6detail17trampoline_kernelINS0_14default_configENS1_27scan_by_key_config_selectorIiiEEZZNS1_16scan_by_key_implILNS1_25lookback_scan_determinismE0ELb1ES3_N6thrust23THRUST_200600_302600_NS6detail15normal_iteratorINS9_10device_ptrIiEEEESE_SE_iNS9_4plusIvEENS9_8equal_toIiEEiEE10hipError_tPvRmT2_T3_T4_T5_mT6_T7_P12ihipStream_tbENKUlT_T0_E_clISt17integral_constantIbLb0EESZ_EEDaSU_SV_EUlSU_E_NS1_11comp_targetILNS1_3genE3ELNS1_11target_archE908ELNS1_3gpuE7ELNS1_3repE0EEENS1_30default_config_static_selectorELNS0_4arch9wavefront6targetE0EEEvT1_.has_recursion, 0
	.set _ZN7rocprim17ROCPRIM_400000_NS6detail17trampoline_kernelINS0_14default_configENS1_27scan_by_key_config_selectorIiiEEZZNS1_16scan_by_key_implILNS1_25lookback_scan_determinismE0ELb1ES3_N6thrust23THRUST_200600_302600_NS6detail15normal_iteratorINS9_10device_ptrIiEEEESE_SE_iNS9_4plusIvEENS9_8equal_toIiEEiEE10hipError_tPvRmT2_T3_T4_T5_mT6_T7_P12ihipStream_tbENKUlT_T0_E_clISt17integral_constantIbLb0EESZ_EEDaSU_SV_EUlSU_E_NS1_11comp_targetILNS1_3genE3ELNS1_11target_archE908ELNS1_3gpuE7ELNS1_3repE0EEENS1_30default_config_static_selectorELNS0_4arch9wavefront6targetE0EEEvT1_.has_indirect_call, 0
	.section	.AMDGPU.csdata,"",@progbits
; Kernel info:
; codeLenInByte = 0
; TotalNumSgprs: 0
; NumVgprs: 0
; ScratchSize: 0
; MemoryBound: 0
; FloatMode: 240
; IeeeMode: 1
; LDSByteSize: 0 bytes/workgroup (compile time only)
; SGPRBlocks: 0
; VGPRBlocks: 0
; NumSGPRsForWavesPerEU: 1
; NumVGPRsForWavesPerEU: 1
; NamedBarCnt: 0
; Occupancy: 16
; WaveLimiterHint : 0
; COMPUTE_PGM_RSRC2:SCRATCH_EN: 0
; COMPUTE_PGM_RSRC2:USER_SGPR: 2
; COMPUTE_PGM_RSRC2:TRAP_HANDLER: 0
; COMPUTE_PGM_RSRC2:TGID_X_EN: 1
; COMPUTE_PGM_RSRC2:TGID_Y_EN: 0
; COMPUTE_PGM_RSRC2:TGID_Z_EN: 0
; COMPUTE_PGM_RSRC2:TIDIG_COMP_CNT: 0
	.section	.text._ZN7rocprim17ROCPRIM_400000_NS6detail17trampoline_kernelINS0_14default_configENS1_27scan_by_key_config_selectorIiiEEZZNS1_16scan_by_key_implILNS1_25lookback_scan_determinismE0ELb1ES3_N6thrust23THRUST_200600_302600_NS6detail15normal_iteratorINS9_10device_ptrIiEEEESE_SE_iNS9_4plusIvEENS9_8equal_toIiEEiEE10hipError_tPvRmT2_T3_T4_T5_mT6_T7_P12ihipStream_tbENKUlT_T0_E_clISt17integral_constantIbLb0EESZ_EEDaSU_SV_EUlSU_E_NS1_11comp_targetILNS1_3genE2ELNS1_11target_archE906ELNS1_3gpuE6ELNS1_3repE0EEENS1_30default_config_static_selectorELNS0_4arch9wavefront6targetE0EEEvT1_,"axG",@progbits,_ZN7rocprim17ROCPRIM_400000_NS6detail17trampoline_kernelINS0_14default_configENS1_27scan_by_key_config_selectorIiiEEZZNS1_16scan_by_key_implILNS1_25lookback_scan_determinismE0ELb1ES3_N6thrust23THRUST_200600_302600_NS6detail15normal_iteratorINS9_10device_ptrIiEEEESE_SE_iNS9_4plusIvEENS9_8equal_toIiEEiEE10hipError_tPvRmT2_T3_T4_T5_mT6_T7_P12ihipStream_tbENKUlT_T0_E_clISt17integral_constantIbLb0EESZ_EEDaSU_SV_EUlSU_E_NS1_11comp_targetILNS1_3genE2ELNS1_11target_archE906ELNS1_3gpuE6ELNS1_3repE0EEENS1_30default_config_static_selectorELNS0_4arch9wavefront6targetE0EEEvT1_,comdat
	.protected	_ZN7rocprim17ROCPRIM_400000_NS6detail17trampoline_kernelINS0_14default_configENS1_27scan_by_key_config_selectorIiiEEZZNS1_16scan_by_key_implILNS1_25lookback_scan_determinismE0ELb1ES3_N6thrust23THRUST_200600_302600_NS6detail15normal_iteratorINS9_10device_ptrIiEEEESE_SE_iNS9_4plusIvEENS9_8equal_toIiEEiEE10hipError_tPvRmT2_T3_T4_T5_mT6_T7_P12ihipStream_tbENKUlT_T0_E_clISt17integral_constantIbLb0EESZ_EEDaSU_SV_EUlSU_E_NS1_11comp_targetILNS1_3genE2ELNS1_11target_archE906ELNS1_3gpuE6ELNS1_3repE0EEENS1_30default_config_static_selectorELNS0_4arch9wavefront6targetE0EEEvT1_ ; -- Begin function _ZN7rocprim17ROCPRIM_400000_NS6detail17trampoline_kernelINS0_14default_configENS1_27scan_by_key_config_selectorIiiEEZZNS1_16scan_by_key_implILNS1_25lookback_scan_determinismE0ELb1ES3_N6thrust23THRUST_200600_302600_NS6detail15normal_iteratorINS9_10device_ptrIiEEEESE_SE_iNS9_4plusIvEENS9_8equal_toIiEEiEE10hipError_tPvRmT2_T3_T4_T5_mT6_T7_P12ihipStream_tbENKUlT_T0_E_clISt17integral_constantIbLb0EESZ_EEDaSU_SV_EUlSU_E_NS1_11comp_targetILNS1_3genE2ELNS1_11target_archE906ELNS1_3gpuE6ELNS1_3repE0EEENS1_30default_config_static_selectorELNS0_4arch9wavefront6targetE0EEEvT1_
	.globl	_ZN7rocprim17ROCPRIM_400000_NS6detail17trampoline_kernelINS0_14default_configENS1_27scan_by_key_config_selectorIiiEEZZNS1_16scan_by_key_implILNS1_25lookback_scan_determinismE0ELb1ES3_N6thrust23THRUST_200600_302600_NS6detail15normal_iteratorINS9_10device_ptrIiEEEESE_SE_iNS9_4plusIvEENS9_8equal_toIiEEiEE10hipError_tPvRmT2_T3_T4_T5_mT6_T7_P12ihipStream_tbENKUlT_T0_E_clISt17integral_constantIbLb0EESZ_EEDaSU_SV_EUlSU_E_NS1_11comp_targetILNS1_3genE2ELNS1_11target_archE906ELNS1_3gpuE6ELNS1_3repE0EEENS1_30default_config_static_selectorELNS0_4arch9wavefront6targetE0EEEvT1_
	.p2align	8
	.type	_ZN7rocprim17ROCPRIM_400000_NS6detail17trampoline_kernelINS0_14default_configENS1_27scan_by_key_config_selectorIiiEEZZNS1_16scan_by_key_implILNS1_25lookback_scan_determinismE0ELb1ES3_N6thrust23THRUST_200600_302600_NS6detail15normal_iteratorINS9_10device_ptrIiEEEESE_SE_iNS9_4plusIvEENS9_8equal_toIiEEiEE10hipError_tPvRmT2_T3_T4_T5_mT6_T7_P12ihipStream_tbENKUlT_T0_E_clISt17integral_constantIbLb0EESZ_EEDaSU_SV_EUlSU_E_NS1_11comp_targetILNS1_3genE2ELNS1_11target_archE906ELNS1_3gpuE6ELNS1_3repE0EEENS1_30default_config_static_selectorELNS0_4arch9wavefront6targetE0EEEvT1_,@function
_ZN7rocprim17ROCPRIM_400000_NS6detail17trampoline_kernelINS0_14default_configENS1_27scan_by_key_config_selectorIiiEEZZNS1_16scan_by_key_implILNS1_25lookback_scan_determinismE0ELb1ES3_N6thrust23THRUST_200600_302600_NS6detail15normal_iteratorINS9_10device_ptrIiEEEESE_SE_iNS9_4plusIvEENS9_8equal_toIiEEiEE10hipError_tPvRmT2_T3_T4_T5_mT6_T7_P12ihipStream_tbENKUlT_T0_E_clISt17integral_constantIbLb0EESZ_EEDaSU_SV_EUlSU_E_NS1_11comp_targetILNS1_3genE2ELNS1_11target_archE906ELNS1_3gpuE6ELNS1_3repE0EEENS1_30default_config_static_selectorELNS0_4arch9wavefront6targetE0EEEvT1_: ; @_ZN7rocprim17ROCPRIM_400000_NS6detail17trampoline_kernelINS0_14default_configENS1_27scan_by_key_config_selectorIiiEEZZNS1_16scan_by_key_implILNS1_25lookback_scan_determinismE0ELb1ES3_N6thrust23THRUST_200600_302600_NS6detail15normal_iteratorINS9_10device_ptrIiEEEESE_SE_iNS9_4plusIvEENS9_8equal_toIiEEiEE10hipError_tPvRmT2_T3_T4_T5_mT6_T7_P12ihipStream_tbENKUlT_T0_E_clISt17integral_constantIbLb0EESZ_EEDaSU_SV_EUlSU_E_NS1_11comp_targetILNS1_3genE2ELNS1_11target_archE906ELNS1_3gpuE6ELNS1_3repE0EEENS1_30default_config_static_selectorELNS0_4arch9wavefront6targetE0EEEvT1_
; %bb.0:
	.section	.rodata,"a",@progbits
	.p2align	6, 0x0
	.amdhsa_kernel _ZN7rocprim17ROCPRIM_400000_NS6detail17trampoline_kernelINS0_14default_configENS1_27scan_by_key_config_selectorIiiEEZZNS1_16scan_by_key_implILNS1_25lookback_scan_determinismE0ELb1ES3_N6thrust23THRUST_200600_302600_NS6detail15normal_iteratorINS9_10device_ptrIiEEEESE_SE_iNS9_4plusIvEENS9_8equal_toIiEEiEE10hipError_tPvRmT2_T3_T4_T5_mT6_T7_P12ihipStream_tbENKUlT_T0_E_clISt17integral_constantIbLb0EESZ_EEDaSU_SV_EUlSU_E_NS1_11comp_targetILNS1_3genE2ELNS1_11target_archE906ELNS1_3gpuE6ELNS1_3repE0EEENS1_30default_config_static_selectorELNS0_4arch9wavefront6targetE0EEEvT1_
		.amdhsa_group_segment_fixed_size 0
		.amdhsa_private_segment_fixed_size 0
		.amdhsa_kernarg_size 112
		.amdhsa_user_sgpr_count 2
		.amdhsa_user_sgpr_dispatch_ptr 0
		.amdhsa_user_sgpr_queue_ptr 0
		.amdhsa_user_sgpr_kernarg_segment_ptr 1
		.amdhsa_user_sgpr_dispatch_id 0
		.amdhsa_user_sgpr_kernarg_preload_length 0
		.amdhsa_user_sgpr_kernarg_preload_offset 0
		.amdhsa_user_sgpr_private_segment_size 0
		.amdhsa_wavefront_size32 1
		.amdhsa_uses_dynamic_stack 0
		.amdhsa_enable_private_segment 0
		.amdhsa_system_sgpr_workgroup_id_x 1
		.amdhsa_system_sgpr_workgroup_id_y 0
		.amdhsa_system_sgpr_workgroup_id_z 0
		.amdhsa_system_sgpr_workgroup_info 0
		.amdhsa_system_vgpr_workitem_id 0
		.amdhsa_next_free_vgpr 1
		.amdhsa_next_free_sgpr 1
		.amdhsa_named_barrier_count 0
		.amdhsa_reserve_vcc 0
		.amdhsa_float_round_mode_32 0
		.amdhsa_float_round_mode_16_64 0
		.amdhsa_float_denorm_mode_32 3
		.amdhsa_float_denorm_mode_16_64 3
		.amdhsa_fp16_overflow 0
		.amdhsa_memory_ordered 1
		.amdhsa_forward_progress 1
		.amdhsa_inst_pref_size 0
		.amdhsa_round_robin_scheduling 0
		.amdhsa_exception_fp_ieee_invalid_op 0
		.amdhsa_exception_fp_denorm_src 0
		.amdhsa_exception_fp_ieee_div_zero 0
		.amdhsa_exception_fp_ieee_overflow 0
		.amdhsa_exception_fp_ieee_underflow 0
		.amdhsa_exception_fp_ieee_inexact 0
		.amdhsa_exception_int_div_zero 0
	.end_amdhsa_kernel
	.section	.text._ZN7rocprim17ROCPRIM_400000_NS6detail17trampoline_kernelINS0_14default_configENS1_27scan_by_key_config_selectorIiiEEZZNS1_16scan_by_key_implILNS1_25lookback_scan_determinismE0ELb1ES3_N6thrust23THRUST_200600_302600_NS6detail15normal_iteratorINS9_10device_ptrIiEEEESE_SE_iNS9_4plusIvEENS9_8equal_toIiEEiEE10hipError_tPvRmT2_T3_T4_T5_mT6_T7_P12ihipStream_tbENKUlT_T0_E_clISt17integral_constantIbLb0EESZ_EEDaSU_SV_EUlSU_E_NS1_11comp_targetILNS1_3genE2ELNS1_11target_archE906ELNS1_3gpuE6ELNS1_3repE0EEENS1_30default_config_static_selectorELNS0_4arch9wavefront6targetE0EEEvT1_,"axG",@progbits,_ZN7rocprim17ROCPRIM_400000_NS6detail17trampoline_kernelINS0_14default_configENS1_27scan_by_key_config_selectorIiiEEZZNS1_16scan_by_key_implILNS1_25lookback_scan_determinismE0ELb1ES3_N6thrust23THRUST_200600_302600_NS6detail15normal_iteratorINS9_10device_ptrIiEEEESE_SE_iNS9_4plusIvEENS9_8equal_toIiEEiEE10hipError_tPvRmT2_T3_T4_T5_mT6_T7_P12ihipStream_tbENKUlT_T0_E_clISt17integral_constantIbLb0EESZ_EEDaSU_SV_EUlSU_E_NS1_11comp_targetILNS1_3genE2ELNS1_11target_archE906ELNS1_3gpuE6ELNS1_3repE0EEENS1_30default_config_static_selectorELNS0_4arch9wavefront6targetE0EEEvT1_,comdat
.Lfunc_end538:
	.size	_ZN7rocprim17ROCPRIM_400000_NS6detail17trampoline_kernelINS0_14default_configENS1_27scan_by_key_config_selectorIiiEEZZNS1_16scan_by_key_implILNS1_25lookback_scan_determinismE0ELb1ES3_N6thrust23THRUST_200600_302600_NS6detail15normal_iteratorINS9_10device_ptrIiEEEESE_SE_iNS9_4plusIvEENS9_8equal_toIiEEiEE10hipError_tPvRmT2_T3_T4_T5_mT6_T7_P12ihipStream_tbENKUlT_T0_E_clISt17integral_constantIbLb0EESZ_EEDaSU_SV_EUlSU_E_NS1_11comp_targetILNS1_3genE2ELNS1_11target_archE906ELNS1_3gpuE6ELNS1_3repE0EEENS1_30default_config_static_selectorELNS0_4arch9wavefront6targetE0EEEvT1_, .Lfunc_end538-_ZN7rocprim17ROCPRIM_400000_NS6detail17trampoline_kernelINS0_14default_configENS1_27scan_by_key_config_selectorIiiEEZZNS1_16scan_by_key_implILNS1_25lookback_scan_determinismE0ELb1ES3_N6thrust23THRUST_200600_302600_NS6detail15normal_iteratorINS9_10device_ptrIiEEEESE_SE_iNS9_4plusIvEENS9_8equal_toIiEEiEE10hipError_tPvRmT2_T3_T4_T5_mT6_T7_P12ihipStream_tbENKUlT_T0_E_clISt17integral_constantIbLb0EESZ_EEDaSU_SV_EUlSU_E_NS1_11comp_targetILNS1_3genE2ELNS1_11target_archE906ELNS1_3gpuE6ELNS1_3repE0EEENS1_30default_config_static_selectorELNS0_4arch9wavefront6targetE0EEEvT1_
                                        ; -- End function
	.set _ZN7rocprim17ROCPRIM_400000_NS6detail17trampoline_kernelINS0_14default_configENS1_27scan_by_key_config_selectorIiiEEZZNS1_16scan_by_key_implILNS1_25lookback_scan_determinismE0ELb1ES3_N6thrust23THRUST_200600_302600_NS6detail15normal_iteratorINS9_10device_ptrIiEEEESE_SE_iNS9_4plusIvEENS9_8equal_toIiEEiEE10hipError_tPvRmT2_T3_T4_T5_mT6_T7_P12ihipStream_tbENKUlT_T0_E_clISt17integral_constantIbLb0EESZ_EEDaSU_SV_EUlSU_E_NS1_11comp_targetILNS1_3genE2ELNS1_11target_archE906ELNS1_3gpuE6ELNS1_3repE0EEENS1_30default_config_static_selectorELNS0_4arch9wavefront6targetE0EEEvT1_.num_vgpr, 0
	.set _ZN7rocprim17ROCPRIM_400000_NS6detail17trampoline_kernelINS0_14default_configENS1_27scan_by_key_config_selectorIiiEEZZNS1_16scan_by_key_implILNS1_25lookback_scan_determinismE0ELb1ES3_N6thrust23THRUST_200600_302600_NS6detail15normal_iteratorINS9_10device_ptrIiEEEESE_SE_iNS9_4plusIvEENS9_8equal_toIiEEiEE10hipError_tPvRmT2_T3_T4_T5_mT6_T7_P12ihipStream_tbENKUlT_T0_E_clISt17integral_constantIbLb0EESZ_EEDaSU_SV_EUlSU_E_NS1_11comp_targetILNS1_3genE2ELNS1_11target_archE906ELNS1_3gpuE6ELNS1_3repE0EEENS1_30default_config_static_selectorELNS0_4arch9wavefront6targetE0EEEvT1_.num_agpr, 0
	.set _ZN7rocprim17ROCPRIM_400000_NS6detail17trampoline_kernelINS0_14default_configENS1_27scan_by_key_config_selectorIiiEEZZNS1_16scan_by_key_implILNS1_25lookback_scan_determinismE0ELb1ES3_N6thrust23THRUST_200600_302600_NS6detail15normal_iteratorINS9_10device_ptrIiEEEESE_SE_iNS9_4plusIvEENS9_8equal_toIiEEiEE10hipError_tPvRmT2_T3_T4_T5_mT6_T7_P12ihipStream_tbENKUlT_T0_E_clISt17integral_constantIbLb0EESZ_EEDaSU_SV_EUlSU_E_NS1_11comp_targetILNS1_3genE2ELNS1_11target_archE906ELNS1_3gpuE6ELNS1_3repE0EEENS1_30default_config_static_selectorELNS0_4arch9wavefront6targetE0EEEvT1_.numbered_sgpr, 0
	.set _ZN7rocprim17ROCPRIM_400000_NS6detail17trampoline_kernelINS0_14default_configENS1_27scan_by_key_config_selectorIiiEEZZNS1_16scan_by_key_implILNS1_25lookback_scan_determinismE0ELb1ES3_N6thrust23THRUST_200600_302600_NS6detail15normal_iteratorINS9_10device_ptrIiEEEESE_SE_iNS9_4plusIvEENS9_8equal_toIiEEiEE10hipError_tPvRmT2_T3_T4_T5_mT6_T7_P12ihipStream_tbENKUlT_T0_E_clISt17integral_constantIbLb0EESZ_EEDaSU_SV_EUlSU_E_NS1_11comp_targetILNS1_3genE2ELNS1_11target_archE906ELNS1_3gpuE6ELNS1_3repE0EEENS1_30default_config_static_selectorELNS0_4arch9wavefront6targetE0EEEvT1_.num_named_barrier, 0
	.set _ZN7rocprim17ROCPRIM_400000_NS6detail17trampoline_kernelINS0_14default_configENS1_27scan_by_key_config_selectorIiiEEZZNS1_16scan_by_key_implILNS1_25lookback_scan_determinismE0ELb1ES3_N6thrust23THRUST_200600_302600_NS6detail15normal_iteratorINS9_10device_ptrIiEEEESE_SE_iNS9_4plusIvEENS9_8equal_toIiEEiEE10hipError_tPvRmT2_T3_T4_T5_mT6_T7_P12ihipStream_tbENKUlT_T0_E_clISt17integral_constantIbLb0EESZ_EEDaSU_SV_EUlSU_E_NS1_11comp_targetILNS1_3genE2ELNS1_11target_archE906ELNS1_3gpuE6ELNS1_3repE0EEENS1_30default_config_static_selectorELNS0_4arch9wavefront6targetE0EEEvT1_.private_seg_size, 0
	.set _ZN7rocprim17ROCPRIM_400000_NS6detail17trampoline_kernelINS0_14default_configENS1_27scan_by_key_config_selectorIiiEEZZNS1_16scan_by_key_implILNS1_25lookback_scan_determinismE0ELb1ES3_N6thrust23THRUST_200600_302600_NS6detail15normal_iteratorINS9_10device_ptrIiEEEESE_SE_iNS9_4plusIvEENS9_8equal_toIiEEiEE10hipError_tPvRmT2_T3_T4_T5_mT6_T7_P12ihipStream_tbENKUlT_T0_E_clISt17integral_constantIbLb0EESZ_EEDaSU_SV_EUlSU_E_NS1_11comp_targetILNS1_3genE2ELNS1_11target_archE906ELNS1_3gpuE6ELNS1_3repE0EEENS1_30default_config_static_selectorELNS0_4arch9wavefront6targetE0EEEvT1_.uses_vcc, 0
	.set _ZN7rocprim17ROCPRIM_400000_NS6detail17trampoline_kernelINS0_14default_configENS1_27scan_by_key_config_selectorIiiEEZZNS1_16scan_by_key_implILNS1_25lookback_scan_determinismE0ELb1ES3_N6thrust23THRUST_200600_302600_NS6detail15normal_iteratorINS9_10device_ptrIiEEEESE_SE_iNS9_4plusIvEENS9_8equal_toIiEEiEE10hipError_tPvRmT2_T3_T4_T5_mT6_T7_P12ihipStream_tbENKUlT_T0_E_clISt17integral_constantIbLb0EESZ_EEDaSU_SV_EUlSU_E_NS1_11comp_targetILNS1_3genE2ELNS1_11target_archE906ELNS1_3gpuE6ELNS1_3repE0EEENS1_30default_config_static_selectorELNS0_4arch9wavefront6targetE0EEEvT1_.uses_flat_scratch, 0
	.set _ZN7rocprim17ROCPRIM_400000_NS6detail17trampoline_kernelINS0_14default_configENS1_27scan_by_key_config_selectorIiiEEZZNS1_16scan_by_key_implILNS1_25lookback_scan_determinismE0ELb1ES3_N6thrust23THRUST_200600_302600_NS6detail15normal_iteratorINS9_10device_ptrIiEEEESE_SE_iNS9_4plusIvEENS9_8equal_toIiEEiEE10hipError_tPvRmT2_T3_T4_T5_mT6_T7_P12ihipStream_tbENKUlT_T0_E_clISt17integral_constantIbLb0EESZ_EEDaSU_SV_EUlSU_E_NS1_11comp_targetILNS1_3genE2ELNS1_11target_archE906ELNS1_3gpuE6ELNS1_3repE0EEENS1_30default_config_static_selectorELNS0_4arch9wavefront6targetE0EEEvT1_.has_dyn_sized_stack, 0
	.set _ZN7rocprim17ROCPRIM_400000_NS6detail17trampoline_kernelINS0_14default_configENS1_27scan_by_key_config_selectorIiiEEZZNS1_16scan_by_key_implILNS1_25lookback_scan_determinismE0ELb1ES3_N6thrust23THRUST_200600_302600_NS6detail15normal_iteratorINS9_10device_ptrIiEEEESE_SE_iNS9_4plusIvEENS9_8equal_toIiEEiEE10hipError_tPvRmT2_T3_T4_T5_mT6_T7_P12ihipStream_tbENKUlT_T0_E_clISt17integral_constantIbLb0EESZ_EEDaSU_SV_EUlSU_E_NS1_11comp_targetILNS1_3genE2ELNS1_11target_archE906ELNS1_3gpuE6ELNS1_3repE0EEENS1_30default_config_static_selectorELNS0_4arch9wavefront6targetE0EEEvT1_.has_recursion, 0
	.set _ZN7rocprim17ROCPRIM_400000_NS6detail17trampoline_kernelINS0_14default_configENS1_27scan_by_key_config_selectorIiiEEZZNS1_16scan_by_key_implILNS1_25lookback_scan_determinismE0ELb1ES3_N6thrust23THRUST_200600_302600_NS6detail15normal_iteratorINS9_10device_ptrIiEEEESE_SE_iNS9_4plusIvEENS9_8equal_toIiEEiEE10hipError_tPvRmT2_T3_T4_T5_mT6_T7_P12ihipStream_tbENKUlT_T0_E_clISt17integral_constantIbLb0EESZ_EEDaSU_SV_EUlSU_E_NS1_11comp_targetILNS1_3genE2ELNS1_11target_archE906ELNS1_3gpuE6ELNS1_3repE0EEENS1_30default_config_static_selectorELNS0_4arch9wavefront6targetE0EEEvT1_.has_indirect_call, 0
	.section	.AMDGPU.csdata,"",@progbits
; Kernel info:
; codeLenInByte = 0
; TotalNumSgprs: 0
; NumVgprs: 0
; ScratchSize: 0
; MemoryBound: 0
; FloatMode: 240
; IeeeMode: 1
; LDSByteSize: 0 bytes/workgroup (compile time only)
; SGPRBlocks: 0
; VGPRBlocks: 0
; NumSGPRsForWavesPerEU: 1
; NumVGPRsForWavesPerEU: 1
; NamedBarCnt: 0
; Occupancy: 16
; WaveLimiterHint : 0
; COMPUTE_PGM_RSRC2:SCRATCH_EN: 0
; COMPUTE_PGM_RSRC2:USER_SGPR: 2
; COMPUTE_PGM_RSRC2:TRAP_HANDLER: 0
; COMPUTE_PGM_RSRC2:TGID_X_EN: 1
; COMPUTE_PGM_RSRC2:TGID_Y_EN: 0
; COMPUTE_PGM_RSRC2:TGID_Z_EN: 0
; COMPUTE_PGM_RSRC2:TIDIG_COMP_CNT: 0
	.section	.text._ZN7rocprim17ROCPRIM_400000_NS6detail17trampoline_kernelINS0_14default_configENS1_27scan_by_key_config_selectorIiiEEZZNS1_16scan_by_key_implILNS1_25lookback_scan_determinismE0ELb1ES3_N6thrust23THRUST_200600_302600_NS6detail15normal_iteratorINS9_10device_ptrIiEEEESE_SE_iNS9_4plusIvEENS9_8equal_toIiEEiEE10hipError_tPvRmT2_T3_T4_T5_mT6_T7_P12ihipStream_tbENKUlT_T0_E_clISt17integral_constantIbLb0EESZ_EEDaSU_SV_EUlSU_E_NS1_11comp_targetILNS1_3genE10ELNS1_11target_archE1200ELNS1_3gpuE4ELNS1_3repE0EEENS1_30default_config_static_selectorELNS0_4arch9wavefront6targetE0EEEvT1_,"axG",@progbits,_ZN7rocprim17ROCPRIM_400000_NS6detail17trampoline_kernelINS0_14default_configENS1_27scan_by_key_config_selectorIiiEEZZNS1_16scan_by_key_implILNS1_25lookback_scan_determinismE0ELb1ES3_N6thrust23THRUST_200600_302600_NS6detail15normal_iteratorINS9_10device_ptrIiEEEESE_SE_iNS9_4plusIvEENS9_8equal_toIiEEiEE10hipError_tPvRmT2_T3_T4_T5_mT6_T7_P12ihipStream_tbENKUlT_T0_E_clISt17integral_constantIbLb0EESZ_EEDaSU_SV_EUlSU_E_NS1_11comp_targetILNS1_3genE10ELNS1_11target_archE1200ELNS1_3gpuE4ELNS1_3repE0EEENS1_30default_config_static_selectorELNS0_4arch9wavefront6targetE0EEEvT1_,comdat
	.protected	_ZN7rocprim17ROCPRIM_400000_NS6detail17trampoline_kernelINS0_14default_configENS1_27scan_by_key_config_selectorIiiEEZZNS1_16scan_by_key_implILNS1_25lookback_scan_determinismE0ELb1ES3_N6thrust23THRUST_200600_302600_NS6detail15normal_iteratorINS9_10device_ptrIiEEEESE_SE_iNS9_4plusIvEENS9_8equal_toIiEEiEE10hipError_tPvRmT2_T3_T4_T5_mT6_T7_P12ihipStream_tbENKUlT_T0_E_clISt17integral_constantIbLb0EESZ_EEDaSU_SV_EUlSU_E_NS1_11comp_targetILNS1_3genE10ELNS1_11target_archE1200ELNS1_3gpuE4ELNS1_3repE0EEENS1_30default_config_static_selectorELNS0_4arch9wavefront6targetE0EEEvT1_ ; -- Begin function _ZN7rocprim17ROCPRIM_400000_NS6detail17trampoline_kernelINS0_14default_configENS1_27scan_by_key_config_selectorIiiEEZZNS1_16scan_by_key_implILNS1_25lookback_scan_determinismE0ELb1ES3_N6thrust23THRUST_200600_302600_NS6detail15normal_iteratorINS9_10device_ptrIiEEEESE_SE_iNS9_4plusIvEENS9_8equal_toIiEEiEE10hipError_tPvRmT2_T3_T4_T5_mT6_T7_P12ihipStream_tbENKUlT_T0_E_clISt17integral_constantIbLb0EESZ_EEDaSU_SV_EUlSU_E_NS1_11comp_targetILNS1_3genE10ELNS1_11target_archE1200ELNS1_3gpuE4ELNS1_3repE0EEENS1_30default_config_static_selectorELNS0_4arch9wavefront6targetE0EEEvT1_
	.globl	_ZN7rocprim17ROCPRIM_400000_NS6detail17trampoline_kernelINS0_14default_configENS1_27scan_by_key_config_selectorIiiEEZZNS1_16scan_by_key_implILNS1_25lookback_scan_determinismE0ELb1ES3_N6thrust23THRUST_200600_302600_NS6detail15normal_iteratorINS9_10device_ptrIiEEEESE_SE_iNS9_4plusIvEENS9_8equal_toIiEEiEE10hipError_tPvRmT2_T3_T4_T5_mT6_T7_P12ihipStream_tbENKUlT_T0_E_clISt17integral_constantIbLb0EESZ_EEDaSU_SV_EUlSU_E_NS1_11comp_targetILNS1_3genE10ELNS1_11target_archE1200ELNS1_3gpuE4ELNS1_3repE0EEENS1_30default_config_static_selectorELNS0_4arch9wavefront6targetE0EEEvT1_
	.p2align	8
	.type	_ZN7rocprim17ROCPRIM_400000_NS6detail17trampoline_kernelINS0_14default_configENS1_27scan_by_key_config_selectorIiiEEZZNS1_16scan_by_key_implILNS1_25lookback_scan_determinismE0ELb1ES3_N6thrust23THRUST_200600_302600_NS6detail15normal_iteratorINS9_10device_ptrIiEEEESE_SE_iNS9_4plusIvEENS9_8equal_toIiEEiEE10hipError_tPvRmT2_T3_T4_T5_mT6_T7_P12ihipStream_tbENKUlT_T0_E_clISt17integral_constantIbLb0EESZ_EEDaSU_SV_EUlSU_E_NS1_11comp_targetILNS1_3genE10ELNS1_11target_archE1200ELNS1_3gpuE4ELNS1_3repE0EEENS1_30default_config_static_selectorELNS0_4arch9wavefront6targetE0EEEvT1_,@function
_ZN7rocprim17ROCPRIM_400000_NS6detail17trampoline_kernelINS0_14default_configENS1_27scan_by_key_config_selectorIiiEEZZNS1_16scan_by_key_implILNS1_25lookback_scan_determinismE0ELb1ES3_N6thrust23THRUST_200600_302600_NS6detail15normal_iteratorINS9_10device_ptrIiEEEESE_SE_iNS9_4plusIvEENS9_8equal_toIiEEiEE10hipError_tPvRmT2_T3_T4_T5_mT6_T7_P12ihipStream_tbENKUlT_T0_E_clISt17integral_constantIbLb0EESZ_EEDaSU_SV_EUlSU_E_NS1_11comp_targetILNS1_3genE10ELNS1_11target_archE1200ELNS1_3gpuE4ELNS1_3repE0EEENS1_30default_config_static_selectorELNS0_4arch9wavefront6targetE0EEEvT1_: ; @_ZN7rocprim17ROCPRIM_400000_NS6detail17trampoline_kernelINS0_14default_configENS1_27scan_by_key_config_selectorIiiEEZZNS1_16scan_by_key_implILNS1_25lookback_scan_determinismE0ELb1ES3_N6thrust23THRUST_200600_302600_NS6detail15normal_iteratorINS9_10device_ptrIiEEEESE_SE_iNS9_4plusIvEENS9_8equal_toIiEEiEE10hipError_tPvRmT2_T3_T4_T5_mT6_T7_P12ihipStream_tbENKUlT_T0_E_clISt17integral_constantIbLb0EESZ_EEDaSU_SV_EUlSU_E_NS1_11comp_targetILNS1_3genE10ELNS1_11target_archE1200ELNS1_3gpuE4ELNS1_3repE0EEENS1_30default_config_static_selectorELNS0_4arch9wavefront6targetE0EEEvT1_
; %bb.0:
	.section	.rodata,"a",@progbits
	.p2align	6, 0x0
	.amdhsa_kernel _ZN7rocprim17ROCPRIM_400000_NS6detail17trampoline_kernelINS0_14default_configENS1_27scan_by_key_config_selectorIiiEEZZNS1_16scan_by_key_implILNS1_25lookback_scan_determinismE0ELb1ES3_N6thrust23THRUST_200600_302600_NS6detail15normal_iteratorINS9_10device_ptrIiEEEESE_SE_iNS9_4plusIvEENS9_8equal_toIiEEiEE10hipError_tPvRmT2_T3_T4_T5_mT6_T7_P12ihipStream_tbENKUlT_T0_E_clISt17integral_constantIbLb0EESZ_EEDaSU_SV_EUlSU_E_NS1_11comp_targetILNS1_3genE10ELNS1_11target_archE1200ELNS1_3gpuE4ELNS1_3repE0EEENS1_30default_config_static_selectorELNS0_4arch9wavefront6targetE0EEEvT1_
		.amdhsa_group_segment_fixed_size 0
		.amdhsa_private_segment_fixed_size 0
		.amdhsa_kernarg_size 112
		.amdhsa_user_sgpr_count 2
		.amdhsa_user_sgpr_dispatch_ptr 0
		.amdhsa_user_sgpr_queue_ptr 0
		.amdhsa_user_sgpr_kernarg_segment_ptr 1
		.amdhsa_user_sgpr_dispatch_id 0
		.amdhsa_user_sgpr_kernarg_preload_length 0
		.amdhsa_user_sgpr_kernarg_preload_offset 0
		.amdhsa_user_sgpr_private_segment_size 0
		.amdhsa_wavefront_size32 1
		.amdhsa_uses_dynamic_stack 0
		.amdhsa_enable_private_segment 0
		.amdhsa_system_sgpr_workgroup_id_x 1
		.amdhsa_system_sgpr_workgroup_id_y 0
		.amdhsa_system_sgpr_workgroup_id_z 0
		.amdhsa_system_sgpr_workgroup_info 0
		.amdhsa_system_vgpr_workitem_id 0
		.amdhsa_next_free_vgpr 1
		.amdhsa_next_free_sgpr 1
		.amdhsa_named_barrier_count 0
		.amdhsa_reserve_vcc 0
		.amdhsa_float_round_mode_32 0
		.amdhsa_float_round_mode_16_64 0
		.amdhsa_float_denorm_mode_32 3
		.amdhsa_float_denorm_mode_16_64 3
		.amdhsa_fp16_overflow 0
		.amdhsa_memory_ordered 1
		.amdhsa_forward_progress 1
		.amdhsa_inst_pref_size 0
		.amdhsa_round_robin_scheduling 0
		.amdhsa_exception_fp_ieee_invalid_op 0
		.amdhsa_exception_fp_denorm_src 0
		.amdhsa_exception_fp_ieee_div_zero 0
		.amdhsa_exception_fp_ieee_overflow 0
		.amdhsa_exception_fp_ieee_underflow 0
		.amdhsa_exception_fp_ieee_inexact 0
		.amdhsa_exception_int_div_zero 0
	.end_amdhsa_kernel
	.section	.text._ZN7rocprim17ROCPRIM_400000_NS6detail17trampoline_kernelINS0_14default_configENS1_27scan_by_key_config_selectorIiiEEZZNS1_16scan_by_key_implILNS1_25lookback_scan_determinismE0ELb1ES3_N6thrust23THRUST_200600_302600_NS6detail15normal_iteratorINS9_10device_ptrIiEEEESE_SE_iNS9_4plusIvEENS9_8equal_toIiEEiEE10hipError_tPvRmT2_T3_T4_T5_mT6_T7_P12ihipStream_tbENKUlT_T0_E_clISt17integral_constantIbLb0EESZ_EEDaSU_SV_EUlSU_E_NS1_11comp_targetILNS1_3genE10ELNS1_11target_archE1200ELNS1_3gpuE4ELNS1_3repE0EEENS1_30default_config_static_selectorELNS0_4arch9wavefront6targetE0EEEvT1_,"axG",@progbits,_ZN7rocprim17ROCPRIM_400000_NS6detail17trampoline_kernelINS0_14default_configENS1_27scan_by_key_config_selectorIiiEEZZNS1_16scan_by_key_implILNS1_25lookback_scan_determinismE0ELb1ES3_N6thrust23THRUST_200600_302600_NS6detail15normal_iteratorINS9_10device_ptrIiEEEESE_SE_iNS9_4plusIvEENS9_8equal_toIiEEiEE10hipError_tPvRmT2_T3_T4_T5_mT6_T7_P12ihipStream_tbENKUlT_T0_E_clISt17integral_constantIbLb0EESZ_EEDaSU_SV_EUlSU_E_NS1_11comp_targetILNS1_3genE10ELNS1_11target_archE1200ELNS1_3gpuE4ELNS1_3repE0EEENS1_30default_config_static_selectorELNS0_4arch9wavefront6targetE0EEEvT1_,comdat
.Lfunc_end539:
	.size	_ZN7rocprim17ROCPRIM_400000_NS6detail17trampoline_kernelINS0_14default_configENS1_27scan_by_key_config_selectorIiiEEZZNS1_16scan_by_key_implILNS1_25lookback_scan_determinismE0ELb1ES3_N6thrust23THRUST_200600_302600_NS6detail15normal_iteratorINS9_10device_ptrIiEEEESE_SE_iNS9_4plusIvEENS9_8equal_toIiEEiEE10hipError_tPvRmT2_T3_T4_T5_mT6_T7_P12ihipStream_tbENKUlT_T0_E_clISt17integral_constantIbLb0EESZ_EEDaSU_SV_EUlSU_E_NS1_11comp_targetILNS1_3genE10ELNS1_11target_archE1200ELNS1_3gpuE4ELNS1_3repE0EEENS1_30default_config_static_selectorELNS0_4arch9wavefront6targetE0EEEvT1_, .Lfunc_end539-_ZN7rocprim17ROCPRIM_400000_NS6detail17trampoline_kernelINS0_14default_configENS1_27scan_by_key_config_selectorIiiEEZZNS1_16scan_by_key_implILNS1_25lookback_scan_determinismE0ELb1ES3_N6thrust23THRUST_200600_302600_NS6detail15normal_iteratorINS9_10device_ptrIiEEEESE_SE_iNS9_4plusIvEENS9_8equal_toIiEEiEE10hipError_tPvRmT2_T3_T4_T5_mT6_T7_P12ihipStream_tbENKUlT_T0_E_clISt17integral_constantIbLb0EESZ_EEDaSU_SV_EUlSU_E_NS1_11comp_targetILNS1_3genE10ELNS1_11target_archE1200ELNS1_3gpuE4ELNS1_3repE0EEENS1_30default_config_static_selectorELNS0_4arch9wavefront6targetE0EEEvT1_
                                        ; -- End function
	.set _ZN7rocprim17ROCPRIM_400000_NS6detail17trampoline_kernelINS0_14default_configENS1_27scan_by_key_config_selectorIiiEEZZNS1_16scan_by_key_implILNS1_25lookback_scan_determinismE0ELb1ES3_N6thrust23THRUST_200600_302600_NS6detail15normal_iteratorINS9_10device_ptrIiEEEESE_SE_iNS9_4plusIvEENS9_8equal_toIiEEiEE10hipError_tPvRmT2_T3_T4_T5_mT6_T7_P12ihipStream_tbENKUlT_T0_E_clISt17integral_constantIbLb0EESZ_EEDaSU_SV_EUlSU_E_NS1_11comp_targetILNS1_3genE10ELNS1_11target_archE1200ELNS1_3gpuE4ELNS1_3repE0EEENS1_30default_config_static_selectorELNS0_4arch9wavefront6targetE0EEEvT1_.num_vgpr, 0
	.set _ZN7rocprim17ROCPRIM_400000_NS6detail17trampoline_kernelINS0_14default_configENS1_27scan_by_key_config_selectorIiiEEZZNS1_16scan_by_key_implILNS1_25lookback_scan_determinismE0ELb1ES3_N6thrust23THRUST_200600_302600_NS6detail15normal_iteratorINS9_10device_ptrIiEEEESE_SE_iNS9_4plusIvEENS9_8equal_toIiEEiEE10hipError_tPvRmT2_T3_T4_T5_mT6_T7_P12ihipStream_tbENKUlT_T0_E_clISt17integral_constantIbLb0EESZ_EEDaSU_SV_EUlSU_E_NS1_11comp_targetILNS1_3genE10ELNS1_11target_archE1200ELNS1_3gpuE4ELNS1_3repE0EEENS1_30default_config_static_selectorELNS0_4arch9wavefront6targetE0EEEvT1_.num_agpr, 0
	.set _ZN7rocprim17ROCPRIM_400000_NS6detail17trampoline_kernelINS0_14default_configENS1_27scan_by_key_config_selectorIiiEEZZNS1_16scan_by_key_implILNS1_25lookback_scan_determinismE0ELb1ES3_N6thrust23THRUST_200600_302600_NS6detail15normal_iteratorINS9_10device_ptrIiEEEESE_SE_iNS9_4plusIvEENS9_8equal_toIiEEiEE10hipError_tPvRmT2_T3_T4_T5_mT6_T7_P12ihipStream_tbENKUlT_T0_E_clISt17integral_constantIbLb0EESZ_EEDaSU_SV_EUlSU_E_NS1_11comp_targetILNS1_3genE10ELNS1_11target_archE1200ELNS1_3gpuE4ELNS1_3repE0EEENS1_30default_config_static_selectorELNS0_4arch9wavefront6targetE0EEEvT1_.numbered_sgpr, 0
	.set _ZN7rocprim17ROCPRIM_400000_NS6detail17trampoline_kernelINS0_14default_configENS1_27scan_by_key_config_selectorIiiEEZZNS1_16scan_by_key_implILNS1_25lookback_scan_determinismE0ELb1ES3_N6thrust23THRUST_200600_302600_NS6detail15normal_iteratorINS9_10device_ptrIiEEEESE_SE_iNS9_4plusIvEENS9_8equal_toIiEEiEE10hipError_tPvRmT2_T3_T4_T5_mT6_T7_P12ihipStream_tbENKUlT_T0_E_clISt17integral_constantIbLb0EESZ_EEDaSU_SV_EUlSU_E_NS1_11comp_targetILNS1_3genE10ELNS1_11target_archE1200ELNS1_3gpuE4ELNS1_3repE0EEENS1_30default_config_static_selectorELNS0_4arch9wavefront6targetE0EEEvT1_.num_named_barrier, 0
	.set _ZN7rocprim17ROCPRIM_400000_NS6detail17trampoline_kernelINS0_14default_configENS1_27scan_by_key_config_selectorIiiEEZZNS1_16scan_by_key_implILNS1_25lookback_scan_determinismE0ELb1ES3_N6thrust23THRUST_200600_302600_NS6detail15normal_iteratorINS9_10device_ptrIiEEEESE_SE_iNS9_4plusIvEENS9_8equal_toIiEEiEE10hipError_tPvRmT2_T3_T4_T5_mT6_T7_P12ihipStream_tbENKUlT_T0_E_clISt17integral_constantIbLb0EESZ_EEDaSU_SV_EUlSU_E_NS1_11comp_targetILNS1_3genE10ELNS1_11target_archE1200ELNS1_3gpuE4ELNS1_3repE0EEENS1_30default_config_static_selectorELNS0_4arch9wavefront6targetE0EEEvT1_.private_seg_size, 0
	.set _ZN7rocprim17ROCPRIM_400000_NS6detail17trampoline_kernelINS0_14default_configENS1_27scan_by_key_config_selectorIiiEEZZNS1_16scan_by_key_implILNS1_25lookback_scan_determinismE0ELb1ES3_N6thrust23THRUST_200600_302600_NS6detail15normal_iteratorINS9_10device_ptrIiEEEESE_SE_iNS9_4plusIvEENS9_8equal_toIiEEiEE10hipError_tPvRmT2_T3_T4_T5_mT6_T7_P12ihipStream_tbENKUlT_T0_E_clISt17integral_constantIbLb0EESZ_EEDaSU_SV_EUlSU_E_NS1_11comp_targetILNS1_3genE10ELNS1_11target_archE1200ELNS1_3gpuE4ELNS1_3repE0EEENS1_30default_config_static_selectorELNS0_4arch9wavefront6targetE0EEEvT1_.uses_vcc, 0
	.set _ZN7rocprim17ROCPRIM_400000_NS6detail17trampoline_kernelINS0_14default_configENS1_27scan_by_key_config_selectorIiiEEZZNS1_16scan_by_key_implILNS1_25lookback_scan_determinismE0ELb1ES3_N6thrust23THRUST_200600_302600_NS6detail15normal_iteratorINS9_10device_ptrIiEEEESE_SE_iNS9_4plusIvEENS9_8equal_toIiEEiEE10hipError_tPvRmT2_T3_T4_T5_mT6_T7_P12ihipStream_tbENKUlT_T0_E_clISt17integral_constantIbLb0EESZ_EEDaSU_SV_EUlSU_E_NS1_11comp_targetILNS1_3genE10ELNS1_11target_archE1200ELNS1_3gpuE4ELNS1_3repE0EEENS1_30default_config_static_selectorELNS0_4arch9wavefront6targetE0EEEvT1_.uses_flat_scratch, 0
	.set _ZN7rocprim17ROCPRIM_400000_NS6detail17trampoline_kernelINS0_14default_configENS1_27scan_by_key_config_selectorIiiEEZZNS1_16scan_by_key_implILNS1_25lookback_scan_determinismE0ELb1ES3_N6thrust23THRUST_200600_302600_NS6detail15normal_iteratorINS9_10device_ptrIiEEEESE_SE_iNS9_4plusIvEENS9_8equal_toIiEEiEE10hipError_tPvRmT2_T3_T4_T5_mT6_T7_P12ihipStream_tbENKUlT_T0_E_clISt17integral_constantIbLb0EESZ_EEDaSU_SV_EUlSU_E_NS1_11comp_targetILNS1_3genE10ELNS1_11target_archE1200ELNS1_3gpuE4ELNS1_3repE0EEENS1_30default_config_static_selectorELNS0_4arch9wavefront6targetE0EEEvT1_.has_dyn_sized_stack, 0
	.set _ZN7rocprim17ROCPRIM_400000_NS6detail17trampoline_kernelINS0_14default_configENS1_27scan_by_key_config_selectorIiiEEZZNS1_16scan_by_key_implILNS1_25lookback_scan_determinismE0ELb1ES3_N6thrust23THRUST_200600_302600_NS6detail15normal_iteratorINS9_10device_ptrIiEEEESE_SE_iNS9_4plusIvEENS9_8equal_toIiEEiEE10hipError_tPvRmT2_T3_T4_T5_mT6_T7_P12ihipStream_tbENKUlT_T0_E_clISt17integral_constantIbLb0EESZ_EEDaSU_SV_EUlSU_E_NS1_11comp_targetILNS1_3genE10ELNS1_11target_archE1200ELNS1_3gpuE4ELNS1_3repE0EEENS1_30default_config_static_selectorELNS0_4arch9wavefront6targetE0EEEvT1_.has_recursion, 0
	.set _ZN7rocprim17ROCPRIM_400000_NS6detail17trampoline_kernelINS0_14default_configENS1_27scan_by_key_config_selectorIiiEEZZNS1_16scan_by_key_implILNS1_25lookback_scan_determinismE0ELb1ES3_N6thrust23THRUST_200600_302600_NS6detail15normal_iteratorINS9_10device_ptrIiEEEESE_SE_iNS9_4plusIvEENS9_8equal_toIiEEiEE10hipError_tPvRmT2_T3_T4_T5_mT6_T7_P12ihipStream_tbENKUlT_T0_E_clISt17integral_constantIbLb0EESZ_EEDaSU_SV_EUlSU_E_NS1_11comp_targetILNS1_3genE10ELNS1_11target_archE1200ELNS1_3gpuE4ELNS1_3repE0EEENS1_30default_config_static_selectorELNS0_4arch9wavefront6targetE0EEEvT1_.has_indirect_call, 0
	.section	.AMDGPU.csdata,"",@progbits
; Kernel info:
; codeLenInByte = 0
; TotalNumSgprs: 0
; NumVgprs: 0
; ScratchSize: 0
; MemoryBound: 0
; FloatMode: 240
; IeeeMode: 1
; LDSByteSize: 0 bytes/workgroup (compile time only)
; SGPRBlocks: 0
; VGPRBlocks: 0
; NumSGPRsForWavesPerEU: 1
; NumVGPRsForWavesPerEU: 1
; NamedBarCnt: 0
; Occupancy: 16
; WaveLimiterHint : 0
; COMPUTE_PGM_RSRC2:SCRATCH_EN: 0
; COMPUTE_PGM_RSRC2:USER_SGPR: 2
; COMPUTE_PGM_RSRC2:TRAP_HANDLER: 0
; COMPUTE_PGM_RSRC2:TGID_X_EN: 1
; COMPUTE_PGM_RSRC2:TGID_Y_EN: 0
; COMPUTE_PGM_RSRC2:TGID_Z_EN: 0
; COMPUTE_PGM_RSRC2:TIDIG_COMP_CNT: 0
	.section	.text._ZN7rocprim17ROCPRIM_400000_NS6detail17trampoline_kernelINS0_14default_configENS1_27scan_by_key_config_selectorIiiEEZZNS1_16scan_by_key_implILNS1_25lookback_scan_determinismE0ELb1ES3_N6thrust23THRUST_200600_302600_NS6detail15normal_iteratorINS9_10device_ptrIiEEEESE_SE_iNS9_4plusIvEENS9_8equal_toIiEEiEE10hipError_tPvRmT2_T3_T4_T5_mT6_T7_P12ihipStream_tbENKUlT_T0_E_clISt17integral_constantIbLb0EESZ_EEDaSU_SV_EUlSU_E_NS1_11comp_targetILNS1_3genE9ELNS1_11target_archE1100ELNS1_3gpuE3ELNS1_3repE0EEENS1_30default_config_static_selectorELNS0_4arch9wavefront6targetE0EEEvT1_,"axG",@progbits,_ZN7rocprim17ROCPRIM_400000_NS6detail17trampoline_kernelINS0_14default_configENS1_27scan_by_key_config_selectorIiiEEZZNS1_16scan_by_key_implILNS1_25lookback_scan_determinismE0ELb1ES3_N6thrust23THRUST_200600_302600_NS6detail15normal_iteratorINS9_10device_ptrIiEEEESE_SE_iNS9_4plusIvEENS9_8equal_toIiEEiEE10hipError_tPvRmT2_T3_T4_T5_mT6_T7_P12ihipStream_tbENKUlT_T0_E_clISt17integral_constantIbLb0EESZ_EEDaSU_SV_EUlSU_E_NS1_11comp_targetILNS1_3genE9ELNS1_11target_archE1100ELNS1_3gpuE3ELNS1_3repE0EEENS1_30default_config_static_selectorELNS0_4arch9wavefront6targetE0EEEvT1_,comdat
	.protected	_ZN7rocprim17ROCPRIM_400000_NS6detail17trampoline_kernelINS0_14default_configENS1_27scan_by_key_config_selectorIiiEEZZNS1_16scan_by_key_implILNS1_25lookback_scan_determinismE0ELb1ES3_N6thrust23THRUST_200600_302600_NS6detail15normal_iteratorINS9_10device_ptrIiEEEESE_SE_iNS9_4plusIvEENS9_8equal_toIiEEiEE10hipError_tPvRmT2_T3_T4_T5_mT6_T7_P12ihipStream_tbENKUlT_T0_E_clISt17integral_constantIbLb0EESZ_EEDaSU_SV_EUlSU_E_NS1_11comp_targetILNS1_3genE9ELNS1_11target_archE1100ELNS1_3gpuE3ELNS1_3repE0EEENS1_30default_config_static_selectorELNS0_4arch9wavefront6targetE0EEEvT1_ ; -- Begin function _ZN7rocprim17ROCPRIM_400000_NS6detail17trampoline_kernelINS0_14default_configENS1_27scan_by_key_config_selectorIiiEEZZNS1_16scan_by_key_implILNS1_25lookback_scan_determinismE0ELb1ES3_N6thrust23THRUST_200600_302600_NS6detail15normal_iteratorINS9_10device_ptrIiEEEESE_SE_iNS9_4plusIvEENS9_8equal_toIiEEiEE10hipError_tPvRmT2_T3_T4_T5_mT6_T7_P12ihipStream_tbENKUlT_T0_E_clISt17integral_constantIbLb0EESZ_EEDaSU_SV_EUlSU_E_NS1_11comp_targetILNS1_3genE9ELNS1_11target_archE1100ELNS1_3gpuE3ELNS1_3repE0EEENS1_30default_config_static_selectorELNS0_4arch9wavefront6targetE0EEEvT1_
	.globl	_ZN7rocprim17ROCPRIM_400000_NS6detail17trampoline_kernelINS0_14default_configENS1_27scan_by_key_config_selectorIiiEEZZNS1_16scan_by_key_implILNS1_25lookback_scan_determinismE0ELb1ES3_N6thrust23THRUST_200600_302600_NS6detail15normal_iteratorINS9_10device_ptrIiEEEESE_SE_iNS9_4plusIvEENS9_8equal_toIiEEiEE10hipError_tPvRmT2_T3_T4_T5_mT6_T7_P12ihipStream_tbENKUlT_T0_E_clISt17integral_constantIbLb0EESZ_EEDaSU_SV_EUlSU_E_NS1_11comp_targetILNS1_3genE9ELNS1_11target_archE1100ELNS1_3gpuE3ELNS1_3repE0EEENS1_30default_config_static_selectorELNS0_4arch9wavefront6targetE0EEEvT1_
	.p2align	8
	.type	_ZN7rocprim17ROCPRIM_400000_NS6detail17trampoline_kernelINS0_14default_configENS1_27scan_by_key_config_selectorIiiEEZZNS1_16scan_by_key_implILNS1_25lookback_scan_determinismE0ELb1ES3_N6thrust23THRUST_200600_302600_NS6detail15normal_iteratorINS9_10device_ptrIiEEEESE_SE_iNS9_4plusIvEENS9_8equal_toIiEEiEE10hipError_tPvRmT2_T3_T4_T5_mT6_T7_P12ihipStream_tbENKUlT_T0_E_clISt17integral_constantIbLb0EESZ_EEDaSU_SV_EUlSU_E_NS1_11comp_targetILNS1_3genE9ELNS1_11target_archE1100ELNS1_3gpuE3ELNS1_3repE0EEENS1_30default_config_static_selectorELNS0_4arch9wavefront6targetE0EEEvT1_,@function
_ZN7rocprim17ROCPRIM_400000_NS6detail17trampoline_kernelINS0_14default_configENS1_27scan_by_key_config_selectorIiiEEZZNS1_16scan_by_key_implILNS1_25lookback_scan_determinismE0ELb1ES3_N6thrust23THRUST_200600_302600_NS6detail15normal_iteratorINS9_10device_ptrIiEEEESE_SE_iNS9_4plusIvEENS9_8equal_toIiEEiEE10hipError_tPvRmT2_T3_T4_T5_mT6_T7_P12ihipStream_tbENKUlT_T0_E_clISt17integral_constantIbLb0EESZ_EEDaSU_SV_EUlSU_E_NS1_11comp_targetILNS1_3genE9ELNS1_11target_archE1100ELNS1_3gpuE3ELNS1_3repE0EEENS1_30default_config_static_selectorELNS0_4arch9wavefront6targetE0EEEvT1_: ; @_ZN7rocprim17ROCPRIM_400000_NS6detail17trampoline_kernelINS0_14default_configENS1_27scan_by_key_config_selectorIiiEEZZNS1_16scan_by_key_implILNS1_25lookback_scan_determinismE0ELb1ES3_N6thrust23THRUST_200600_302600_NS6detail15normal_iteratorINS9_10device_ptrIiEEEESE_SE_iNS9_4plusIvEENS9_8equal_toIiEEiEE10hipError_tPvRmT2_T3_T4_T5_mT6_T7_P12ihipStream_tbENKUlT_T0_E_clISt17integral_constantIbLb0EESZ_EEDaSU_SV_EUlSU_E_NS1_11comp_targetILNS1_3genE9ELNS1_11target_archE1100ELNS1_3gpuE3ELNS1_3repE0EEENS1_30default_config_static_selectorELNS0_4arch9wavefront6targetE0EEEvT1_
; %bb.0:
	.section	.rodata,"a",@progbits
	.p2align	6, 0x0
	.amdhsa_kernel _ZN7rocprim17ROCPRIM_400000_NS6detail17trampoline_kernelINS0_14default_configENS1_27scan_by_key_config_selectorIiiEEZZNS1_16scan_by_key_implILNS1_25lookback_scan_determinismE0ELb1ES3_N6thrust23THRUST_200600_302600_NS6detail15normal_iteratorINS9_10device_ptrIiEEEESE_SE_iNS9_4plusIvEENS9_8equal_toIiEEiEE10hipError_tPvRmT2_T3_T4_T5_mT6_T7_P12ihipStream_tbENKUlT_T0_E_clISt17integral_constantIbLb0EESZ_EEDaSU_SV_EUlSU_E_NS1_11comp_targetILNS1_3genE9ELNS1_11target_archE1100ELNS1_3gpuE3ELNS1_3repE0EEENS1_30default_config_static_selectorELNS0_4arch9wavefront6targetE0EEEvT1_
		.amdhsa_group_segment_fixed_size 0
		.amdhsa_private_segment_fixed_size 0
		.amdhsa_kernarg_size 112
		.amdhsa_user_sgpr_count 2
		.amdhsa_user_sgpr_dispatch_ptr 0
		.amdhsa_user_sgpr_queue_ptr 0
		.amdhsa_user_sgpr_kernarg_segment_ptr 1
		.amdhsa_user_sgpr_dispatch_id 0
		.amdhsa_user_sgpr_kernarg_preload_length 0
		.amdhsa_user_sgpr_kernarg_preload_offset 0
		.amdhsa_user_sgpr_private_segment_size 0
		.amdhsa_wavefront_size32 1
		.amdhsa_uses_dynamic_stack 0
		.amdhsa_enable_private_segment 0
		.amdhsa_system_sgpr_workgroup_id_x 1
		.amdhsa_system_sgpr_workgroup_id_y 0
		.amdhsa_system_sgpr_workgroup_id_z 0
		.amdhsa_system_sgpr_workgroup_info 0
		.amdhsa_system_vgpr_workitem_id 0
		.amdhsa_next_free_vgpr 1
		.amdhsa_next_free_sgpr 1
		.amdhsa_named_barrier_count 0
		.amdhsa_reserve_vcc 0
		.amdhsa_float_round_mode_32 0
		.amdhsa_float_round_mode_16_64 0
		.amdhsa_float_denorm_mode_32 3
		.amdhsa_float_denorm_mode_16_64 3
		.amdhsa_fp16_overflow 0
		.amdhsa_memory_ordered 1
		.amdhsa_forward_progress 1
		.amdhsa_inst_pref_size 0
		.amdhsa_round_robin_scheduling 0
		.amdhsa_exception_fp_ieee_invalid_op 0
		.amdhsa_exception_fp_denorm_src 0
		.amdhsa_exception_fp_ieee_div_zero 0
		.amdhsa_exception_fp_ieee_overflow 0
		.amdhsa_exception_fp_ieee_underflow 0
		.amdhsa_exception_fp_ieee_inexact 0
		.amdhsa_exception_int_div_zero 0
	.end_amdhsa_kernel
	.section	.text._ZN7rocprim17ROCPRIM_400000_NS6detail17trampoline_kernelINS0_14default_configENS1_27scan_by_key_config_selectorIiiEEZZNS1_16scan_by_key_implILNS1_25lookback_scan_determinismE0ELb1ES3_N6thrust23THRUST_200600_302600_NS6detail15normal_iteratorINS9_10device_ptrIiEEEESE_SE_iNS9_4plusIvEENS9_8equal_toIiEEiEE10hipError_tPvRmT2_T3_T4_T5_mT6_T7_P12ihipStream_tbENKUlT_T0_E_clISt17integral_constantIbLb0EESZ_EEDaSU_SV_EUlSU_E_NS1_11comp_targetILNS1_3genE9ELNS1_11target_archE1100ELNS1_3gpuE3ELNS1_3repE0EEENS1_30default_config_static_selectorELNS0_4arch9wavefront6targetE0EEEvT1_,"axG",@progbits,_ZN7rocprim17ROCPRIM_400000_NS6detail17trampoline_kernelINS0_14default_configENS1_27scan_by_key_config_selectorIiiEEZZNS1_16scan_by_key_implILNS1_25lookback_scan_determinismE0ELb1ES3_N6thrust23THRUST_200600_302600_NS6detail15normal_iteratorINS9_10device_ptrIiEEEESE_SE_iNS9_4plusIvEENS9_8equal_toIiEEiEE10hipError_tPvRmT2_T3_T4_T5_mT6_T7_P12ihipStream_tbENKUlT_T0_E_clISt17integral_constantIbLb0EESZ_EEDaSU_SV_EUlSU_E_NS1_11comp_targetILNS1_3genE9ELNS1_11target_archE1100ELNS1_3gpuE3ELNS1_3repE0EEENS1_30default_config_static_selectorELNS0_4arch9wavefront6targetE0EEEvT1_,comdat
.Lfunc_end540:
	.size	_ZN7rocprim17ROCPRIM_400000_NS6detail17trampoline_kernelINS0_14default_configENS1_27scan_by_key_config_selectorIiiEEZZNS1_16scan_by_key_implILNS1_25lookback_scan_determinismE0ELb1ES3_N6thrust23THRUST_200600_302600_NS6detail15normal_iteratorINS9_10device_ptrIiEEEESE_SE_iNS9_4plusIvEENS9_8equal_toIiEEiEE10hipError_tPvRmT2_T3_T4_T5_mT6_T7_P12ihipStream_tbENKUlT_T0_E_clISt17integral_constantIbLb0EESZ_EEDaSU_SV_EUlSU_E_NS1_11comp_targetILNS1_3genE9ELNS1_11target_archE1100ELNS1_3gpuE3ELNS1_3repE0EEENS1_30default_config_static_selectorELNS0_4arch9wavefront6targetE0EEEvT1_, .Lfunc_end540-_ZN7rocprim17ROCPRIM_400000_NS6detail17trampoline_kernelINS0_14default_configENS1_27scan_by_key_config_selectorIiiEEZZNS1_16scan_by_key_implILNS1_25lookback_scan_determinismE0ELb1ES3_N6thrust23THRUST_200600_302600_NS6detail15normal_iteratorINS9_10device_ptrIiEEEESE_SE_iNS9_4plusIvEENS9_8equal_toIiEEiEE10hipError_tPvRmT2_T3_T4_T5_mT6_T7_P12ihipStream_tbENKUlT_T0_E_clISt17integral_constantIbLb0EESZ_EEDaSU_SV_EUlSU_E_NS1_11comp_targetILNS1_3genE9ELNS1_11target_archE1100ELNS1_3gpuE3ELNS1_3repE0EEENS1_30default_config_static_selectorELNS0_4arch9wavefront6targetE0EEEvT1_
                                        ; -- End function
	.set _ZN7rocprim17ROCPRIM_400000_NS6detail17trampoline_kernelINS0_14default_configENS1_27scan_by_key_config_selectorIiiEEZZNS1_16scan_by_key_implILNS1_25lookback_scan_determinismE0ELb1ES3_N6thrust23THRUST_200600_302600_NS6detail15normal_iteratorINS9_10device_ptrIiEEEESE_SE_iNS9_4plusIvEENS9_8equal_toIiEEiEE10hipError_tPvRmT2_T3_T4_T5_mT6_T7_P12ihipStream_tbENKUlT_T0_E_clISt17integral_constantIbLb0EESZ_EEDaSU_SV_EUlSU_E_NS1_11comp_targetILNS1_3genE9ELNS1_11target_archE1100ELNS1_3gpuE3ELNS1_3repE0EEENS1_30default_config_static_selectorELNS0_4arch9wavefront6targetE0EEEvT1_.num_vgpr, 0
	.set _ZN7rocprim17ROCPRIM_400000_NS6detail17trampoline_kernelINS0_14default_configENS1_27scan_by_key_config_selectorIiiEEZZNS1_16scan_by_key_implILNS1_25lookback_scan_determinismE0ELb1ES3_N6thrust23THRUST_200600_302600_NS6detail15normal_iteratorINS9_10device_ptrIiEEEESE_SE_iNS9_4plusIvEENS9_8equal_toIiEEiEE10hipError_tPvRmT2_T3_T4_T5_mT6_T7_P12ihipStream_tbENKUlT_T0_E_clISt17integral_constantIbLb0EESZ_EEDaSU_SV_EUlSU_E_NS1_11comp_targetILNS1_3genE9ELNS1_11target_archE1100ELNS1_3gpuE3ELNS1_3repE0EEENS1_30default_config_static_selectorELNS0_4arch9wavefront6targetE0EEEvT1_.num_agpr, 0
	.set _ZN7rocprim17ROCPRIM_400000_NS6detail17trampoline_kernelINS0_14default_configENS1_27scan_by_key_config_selectorIiiEEZZNS1_16scan_by_key_implILNS1_25lookback_scan_determinismE0ELb1ES3_N6thrust23THRUST_200600_302600_NS6detail15normal_iteratorINS9_10device_ptrIiEEEESE_SE_iNS9_4plusIvEENS9_8equal_toIiEEiEE10hipError_tPvRmT2_T3_T4_T5_mT6_T7_P12ihipStream_tbENKUlT_T0_E_clISt17integral_constantIbLb0EESZ_EEDaSU_SV_EUlSU_E_NS1_11comp_targetILNS1_3genE9ELNS1_11target_archE1100ELNS1_3gpuE3ELNS1_3repE0EEENS1_30default_config_static_selectorELNS0_4arch9wavefront6targetE0EEEvT1_.numbered_sgpr, 0
	.set _ZN7rocprim17ROCPRIM_400000_NS6detail17trampoline_kernelINS0_14default_configENS1_27scan_by_key_config_selectorIiiEEZZNS1_16scan_by_key_implILNS1_25lookback_scan_determinismE0ELb1ES3_N6thrust23THRUST_200600_302600_NS6detail15normal_iteratorINS9_10device_ptrIiEEEESE_SE_iNS9_4plusIvEENS9_8equal_toIiEEiEE10hipError_tPvRmT2_T3_T4_T5_mT6_T7_P12ihipStream_tbENKUlT_T0_E_clISt17integral_constantIbLb0EESZ_EEDaSU_SV_EUlSU_E_NS1_11comp_targetILNS1_3genE9ELNS1_11target_archE1100ELNS1_3gpuE3ELNS1_3repE0EEENS1_30default_config_static_selectorELNS0_4arch9wavefront6targetE0EEEvT1_.num_named_barrier, 0
	.set _ZN7rocprim17ROCPRIM_400000_NS6detail17trampoline_kernelINS0_14default_configENS1_27scan_by_key_config_selectorIiiEEZZNS1_16scan_by_key_implILNS1_25lookback_scan_determinismE0ELb1ES3_N6thrust23THRUST_200600_302600_NS6detail15normal_iteratorINS9_10device_ptrIiEEEESE_SE_iNS9_4plusIvEENS9_8equal_toIiEEiEE10hipError_tPvRmT2_T3_T4_T5_mT6_T7_P12ihipStream_tbENKUlT_T0_E_clISt17integral_constantIbLb0EESZ_EEDaSU_SV_EUlSU_E_NS1_11comp_targetILNS1_3genE9ELNS1_11target_archE1100ELNS1_3gpuE3ELNS1_3repE0EEENS1_30default_config_static_selectorELNS0_4arch9wavefront6targetE0EEEvT1_.private_seg_size, 0
	.set _ZN7rocprim17ROCPRIM_400000_NS6detail17trampoline_kernelINS0_14default_configENS1_27scan_by_key_config_selectorIiiEEZZNS1_16scan_by_key_implILNS1_25lookback_scan_determinismE0ELb1ES3_N6thrust23THRUST_200600_302600_NS6detail15normal_iteratorINS9_10device_ptrIiEEEESE_SE_iNS9_4plusIvEENS9_8equal_toIiEEiEE10hipError_tPvRmT2_T3_T4_T5_mT6_T7_P12ihipStream_tbENKUlT_T0_E_clISt17integral_constantIbLb0EESZ_EEDaSU_SV_EUlSU_E_NS1_11comp_targetILNS1_3genE9ELNS1_11target_archE1100ELNS1_3gpuE3ELNS1_3repE0EEENS1_30default_config_static_selectorELNS0_4arch9wavefront6targetE0EEEvT1_.uses_vcc, 0
	.set _ZN7rocprim17ROCPRIM_400000_NS6detail17trampoline_kernelINS0_14default_configENS1_27scan_by_key_config_selectorIiiEEZZNS1_16scan_by_key_implILNS1_25lookback_scan_determinismE0ELb1ES3_N6thrust23THRUST_200600_302600_NS6detail15normal_iteratorINS9_10device_ptrIiEEEESE_SE_iNS9_4plusIvEENS9_8equal_toIiEEiEE10hipError_tPvRmT2_T3_T4_T5_mT6_T7_P12ihipStream_tbENKUlT_T0_E_clISt17integral_constantIbLb0EESZ_EEDaSU_SV_EUlSU_E_NS1_11comp_targetILNS1_3genE9ELNS1_11target_archE1100ELNS1_3gpuE3ELNS1_3repE0EEENS1_30default_config_static_selectorELNS0_4arch9wavefront6targetE0EEEvT1_.uses_flat_scratch, 0
	.set _ZN7rocprim17ROCPRIM_400000_NS6detail17trampoline_kernelINS0_14default_configENS1_27scan_by_key_config_selectorIiiEEZZNS1_16scan_by_key_implILNS1_25lookback_scan_determinismE0ELb1ES3_N6thrust23THRUST_200600_302600_NS6detail15normal_iteratorINS9_10device_ptrIiEEEESE_SE_iNS9_4plusIvEENS9_8equal_toIiEEiEE10hipError_tPvRmT2_T3_T4_T5_mT6_T7_P12ihipStream_tbENKUlT_T0_E_clISt17integral_constantIbLb0EESZ_EEDaSU_SV_EUlSU_E_NS1_11comp_targetILNS1_3genE9ELNS1_11target_archE1100ELNS1_3gpuE3ELNS1_3repE0EEENS1_30default_config_static_selectorELNS0_4arch9wavefront6targetE0EEEvT1_.has_dyn_sized_stack, 0
	.set _ZN7rocprim17ROCPRIM_400000_NS6detail17trampoline_kernelINS0_14default_configENS1_27scan_by_key_config_selectorIiiEEZZNS1_16scan_by_key_implILNS1_25lookback_scan_determinismE0ELb1ES3_N6thrust23THRUST_200600_302600_NS6detail15normal_iteratorINS9_10device_ptrIiEEEESE_SE_iNS9_4plusIvEENS9_8equal_toIiEEiEE10hipError_tPvRmT2_T3_T4_T5_mT6_T7_P12ihipStream_tbENKUlT_T0_E_clISt17integral_constantIbLb0EESZ_EEDaSU_SV_EUlSU_E_NS1_11comp_targetILNS1_3genE9ELNS1_11target_archE1100ELNS1_3gpuE3ELNS1_3repE0EEENS1_30default_config_static_selectorELNS0_4arch9wavefront6targetE0EEEvT1_.has_recursion, 0
	.set _ZN7rocprim17ROCPRIM_400000_NS6detail17trampoline_kernelINS0_14default_configENS1_27scan_by_key_config_selectorIiiEEZZNS1_16scan_by_key_implILNS1_25lookback_scan_determinismE0ELb1ES3_N6thrust23THRUST_200600_302600_NS6detail15normal_iteratorINS9_10device_ptrIiEEEESE_SE_iNS9_4plusIvEENS9_8equal_toIiEEiEE10hipError_tPvRmT2_T3_T4_T5_mT6_T7_P12ihipStream_tbENKUlT_T0_E_clISt17integral_constantIbLb0EESZ_EEDaSU_SV_EUlSU_E_NS1_11comp_targetILNS1_3genE9ELNS1_11target_archE1100ELNS1_3gpuE3ELNS1_3repE0EEENS1_30default_config_static_selectorELNS0_4arch9wavefront6targetE0EEEvT1_.has_indirect_call, 0
	.section	.AMDGPU.csdata,"",@progbits
; Kernel info:
; codeLenInByte = 0
; TotalNumSgprs: 0
; NumVgprs: 0
; ScratchSize: 0
; MemoryBound: 0
; FloatMode: 240
; IeeeMode: 1
; LDSByteSize: 0 bytes/workgroup (compile time only)
; SGPRBlocks: 0
; VGPRBlocks: 0
; NumSGPRsForWavesPerEU: 1
; NumVGPRsForWavesPerEU: 1
; NamedBarCnt: 0
; Occupancy: 16
; WaveLimiterHint : 0
; COMPUTE_PGM_RSRC2:SCRATCH_EN: 0
; COMPUTE_PGM_RSRC2:USER_SGPR: 2
; COMPUTE_PGM_RSRC2:TRAP_HANDLER: 0
; COMPUTE_PGM_RSRC2:TGID_X_EN: 1
; COMPUTE_PGM_RSRC2:TGID_Y_EN: 0
; COMPUTE_PGM_RSRC2:TGID_Z_EN: 0
; COMPUTE_PGM_RSRC2:TIDIG_COMP_CNT: 0
	.section	.text._ZN7rocprim17ROCPRIM_400000_NS6detail17trampoline_kernelINS0_14default_configENS1_27scan_by_key_config_selectorIiiEEZZNS1_16scan_by_key_implILNS1_25lookback_scan_determinismE0ELb1ES3_N6thrust23THRUST_200600_302600_NS6detail15normal_iteratorINS9_10device_ptrIiEEEESE_SE_iNS9_4plusIvEENS9_8equal_toIiEEiEE10hipError_tPvRmT2_T3_T4_T5_mT6_T7_P12ihipStream_tbENKUlT_T0_E_clISt17integral_constantIbLb0EESZ_EEDaSU_SV_EUlSU_E_NS1_11comp_targetILNS1_3genE8ELNS1_11target_archE1030ELNS1_3gpuE2ELNS1_3repE0EEENS1_30default_config_static_selectorELNS0_4arch9wavefront6targetE0EEEvT1_,"axG",@progbits,_ZN7rocprim17ROCPRIM_400000_NS6detail17trampoline_kernelINS0_14default_configENS1_27scan_by_key_config_selectorIiiEEZZNS1_16scan_by_key_implILNS1_25lookback_scan_determinismE0ELb1ES3_N6thrust23THRUST_200600_302600_NS6detail15normal_iteratorINS9_10device_ptrIiEEEESE_SE_iNS9_4plusIvEENS9_8equal_toIiEEiEE10hipError_tPvRmT2_T3_T4_T5_mT6_T7_P12ihipStream_tbENKUlT_T0_E_clISt17integral_constantIbLb0EESZ_EEDaSU_SV_EUlSU_E_NS1_11comp_targetILNS1_3genE8ELNS1_11target_archE1030ELNS1_3gpuE2ELNS1_3repE0EEENS1_30default_config_static_selectorELNS0_4arch9wavefront6targetE0EEEvT1_,comdat
	.protected	_ZN7rocprim17ROCPRIM_400000_NS6detail17trampoline_kernelINS0_14default_configENS1_27scan_by_key_config_selectorIiiEEZZNS1_16scan_by_key_implILNS1_25lookback_scan_determinismE0ELb1ES3_N6thrust23THRUST_200600_302600_NS6detail15normal_iteratorINS9_10device_ptrIiEEEESE_SE_iNS9_4plusIvEENS9_8equal_toIiEEiEE10hipError_tPvRmT2_T3_T4_T5_mT6_T7_P12ihipStream_tbENKUlT_T0_E_clISt17integral_constantIbLb0EESZ_EEDaSU_SV_EUlSU_E_NS1_11comp_targetILNS1_3genE8ELNS1_11target_archE1030ELNS1_3gpuE2ELNS1_3repE0EEENS1_30default_config_static_selectorELNS0_4arch9wavefront6targetE0EEEvT1_ ; -- Begin function _ZN7rocprim17ROCPRIM_400000_NS6detail17trampoline_kernelINS0_14default_configENS1_27scan_by_key_config_selectorIiiEEZZNS1_16scan_by_key_implILNS1_25lookback_scan_determinismE0ELb1ES3_N6thrust23THRUST_200600_302600_NS6detail15normal_iteratorINS9_10device_ptrIiEEEESE_SE_iNS9_4plusIvEENS9_8equal_toIiEEiEE10hipError_tPvRmT2_T3_T4_T5_mT6_T7_P12ihipStream_tbENKUlT_T0_E_clISt17integral_constantIbLb0EESZ_EEDaSU_SV_EUlSU_E_NS1_11comp_targetILNS1_3genE8ELNS1_11target_archE1030ELNS1_3gpuE2ELNS1_3repE0EEENS1_30default_config_static_selectorELNS0_4arch9wavefront6targetE0EEEvT1_
	.globl	_ZN7rocprim17ROCPRIM_400000_NS6detail17trampoline_kernelINS0_14default_configENS1_27scan_by_key_config_selectorIiiEEZZNS1_16scan_by_key_implILNS1_25lookback_scan_determinismE0ELb1ES3_N6thrust23THRUST_200600_302600_NS6detail15normal_iteratorINS9_10device_ptrIiEEEESE_SE_iNS9_4plusIvEENS9_8equal_toIiEEiEE10hipError_tPvRmT2_T3_T4_T5_mT6_T7_P12ihipStream_tbENKUlT_T0_E_clISt17integral_constantIbLb0EESZ_EEDaSU_SV_EUlSU_E_NS1_11comp_targetILNS1_3genE8ELNS1_11target_archE1030ELNS1_3gpuE2ELNS1_3repE0EEENS1_30default_config_static_selectorELNS0_4arch9wavefront6targetE0EEEvT1_
	.p2align	8
	.type	_ZN7rocprim17ROCPRIM_400000_NS6detail17trampoline_kernelINS0_14default_configENS1_27scan_by_key_config_selectorIiiEEZZNS1_16scan_by_key_implILNS1_25lookback_scan_determinismE0ELb1ES3_N6thrust23THRUST_200600_302600_NS6detail15normal_iteratorINS9_10device_ptrIiEEEESE_SE_iNS9_4plusIvEENS9_8equal_toIiEEiEE10hipError_tPvRmT2_T3_T4_T5_mT6_T7_P12ihipStream_tbENKUlT_T0_E_clISt17integral_constantIbLb0EESZ_EEDaSU_SV_EUlSU_E_NS1_11comp_targetILNS1_3genE8ELNS1_11target_archE1030ELNS1_3gpuE2ELNS1_3repE0EEENS1_30default_config_static_selectorELNS0_4arch9wavefront6targetE0EEEvT1_,@function
_ZN7rocprim17ROCPRIM_400000_NS6detail17trampoline_kernelINS0_14default_configENS1_27scan_by_key_config_selectorIiiEEZZNS1_16scan_by_key_implILNS1_25lookback_scan_determinismE0ELb1ES3_N6thrust23THRUST_200600_302600_NS6detail15normal_iteratorINS9_10device_ptrIiEEEESE_SE_iNS9_4plusIvEENS9_8equal_toIiEEiEE10hipError_tPvRmT2_T3_T4_T5_mT6_T7_P12ihipStream_tbENKUlT_T0_E_clISt17integral_constantIbLb0EESZ_EEDaSU_SV_EUlSU_E_NS1_11comp_targetILNS1_3genE8ELNS1_11target_archE1030ELNS1_3gpuE2ELNS1_3repE0EEENS1_30default_config_static_selectorELNS0_4arch9wavefront6targetE0EEEvT1_: ; @_ZN7rocprim17ROCPRIM_400000_NS6detail17trampoline_kernelINS0_14default_configENS1_27scan_by_key_config_selectorIiiEEZZNS1_16scan_by_key_implILNS1_25lookback_scan_determinismE0ELb1ES3_N6thrust23THRUST_200600_302600_NS6detail15normal_iteratorINS9_10device_ptrIiEEEESE_SE_iNS9_4plusIvEENS9_8equal_toIiEEiEE10hipError_tPvRmT2_T3_T4_T5_mT6_T7_P12ihipStream_tbENKUlT_T0_E_clISt17integral_constantIbLb0EESZ_EEDaSU_SV_EUlSU_E_NS1_11comp_targetILNS1_3genE8ELNS1_11target_archE1030ELNS1_3gpuE2ELNS1_3repE0EEENS1_30default_config_static_selectorELNS0_4arch9wavefront6targetE0EEEvT1_
; %bb.0:
	.section	.rodata,"a",@progbits
	.p2align	6, 0x0
	.amdhsa_kernel _ZN7rocprim17ROCPRIM_400000_NS6detail17trampoline_kernelINS0_14default_configENS1_27scan_by_key_config_selectorIiiEEZZNS1_16scan_by_key_implILNS1_25lookback_scan_determinismE0ELb1ES3_N6thrust23THRUST_200600_302600_NS6detail15normal_iteratorINS9_10device_ptrIiEEEESE_SE_iNS9_4plusIvEENS9_8equal_toIiEEiEE10hipError_tPvRmT2_T3_T4_T5_mT6_T7_P12ihipStream_tbENKUlT_T0_E_clISt17integral_constantIbLb0EESZ_EEDaSU_SV_EUlSU_E_NS1_11comp_targetILNS1_3genE8ELNS1_11target_archE1030ELNS1_3gpuE2ELNS1_3repE0EEENS1_30default_config_static_selectorELNS0_4arch9wavefront6targetE0EEEvT1_
		.amdhsa_group_segment_fixed_size 0
		.amdhsa_private_segment_fixed_size 0
		.amdhsa_kernarg_size 112
		.amdhsa_user_sgpr_count 2
		.amdhsa_user_sgpr_dispatch_ptr 0
		.amdhsa_user_sgpr_queue_ptr 0
		.amdhsa_user_sgpr_kernarg_segment_ptr 1
		.amdhsa_user_sgpr_dispatch_id 0
		.amdhsa_user_sgpr_kernarg_preload_length 0
		.amdhsa_user_sgpr_kernarg_preload_offset 0
		.amdhsa_user_sgpr_private_segment_size 0
		.amdhsa_wavefront_size32 1
		.amdhsa_uses_dynamic_stack 0
		.amdhsa_enable_private_segment 0
		.amdhsa_system_sgpr_workgroup_id_x 1
		.amdhsa_system_sgpr_workgroup_id_y 0
		.amdhsa_system_sgpr_workgroup_id_z 0
		.amdhsa_system_sgpr_workgroup_info 0
		.amdhsa_system_vgpr_workitem_id 0
		.amdhsa_next_free_vgpr 1
		.amdhsa_next_free_sgpr 1
		.amdhsa_named_barrier_count 0
		.amdhsa_reserve_vcc 0
		.amdhsa_float_round_mode_32 0
		.amdhsa_float_round_mode_16_64 0
		.amdhsa_float_denorm_mode_32 3
		.amdhsa_float_denorm_mode_16_64 3
		.amdhsa_fp16_overflow 0
		.amdhsa_memory_ordered 1
		.amdhsa_forward_progress 1
		.amdhsa_inst_pref_size 0
		.amdhsa_round_robin_scheduling 0
		.amdhsa_exception_fp_ieee_invalid_op 0
		.amdhsa_exception_fp_denorm_src 0
		.amdhsa_exception_fp_ieee_div_zero 0
		.amdhsa_exception_fp_ieee_overflow 0
		.amdhsa_exception_fp_ieee_underflow 0
		.amdhsa_exception_fp_ieee_inexact 0
		.amdhsa_exception_int_div_zero 0
	.end_amdhsa_kernel
	.section	.text._ZN7rocprim17ROCPRIM_400000_NS6detail17trampoline_kernelINS0_14default_configENS1_27scan_by_key_config_selectorIiiEEZZNS1_16scan_by_key_implILNS1_25lookback_scan_determinismE0ELb1ES3_N6thrust23THRUST_200600_302600_NS6detail15normal_iteratorINS9_10device_ptrIiEEEESE_SE_iNS9_4plusIvEENS9_8equal_toIiEEiEE10hipError_tPvRmT2_T3_T4_T5_mT6_T7_P12ihipStream_tbENKUlT_T0_E_clISt17integral_constantIbLb0EESZ_EEDaSU_SV_EUlSU_E_NS1_11comp_targetILNS1_3genE8ELNS1_11target_archE1030ELNS1_3gpuE2ELNS1_3repE0EEENS1_30default_config_static_selectorELNS0_4arch9wavefront6targetE0EEEvT1_,"axG",@progbits,_ZN7rocprim17ROCPRIM_400000_NS6detail17trampoline_kernelINS0_14default_configENS1_27scan_by_key_config_selectorIiiEEZZNS1_16scan_by_key_implILNS1_25lookback_scan_determinismE0ELb1ES3_N6thrust23THRUST_200600_302600_NS6detail15normal_iteratorINS9_10device_ptrIiEEEESE_SE_iNS9_4plusIvEENS9_8equal_toIiEEiEE10hipError_tPvRmT2_T3_T4_T5_mT6_T7_P12ihipStream_tbENKUlT_T0_E_clISt17integral_constantIbLb0EESZ_EEDaSU_SV_EUlSU_E_NS1_11comp_targetILNS1_3genE8ELNS1_11target_archE1030ELNS1_3gpuE2ELNS1_3repE0EEENS1_30default_config_static_selectorELNS0_4arch9wavefront6targetE0EEEvT1_,comdat
.Lfunc_end541:
	.size	_ZN7rocprim17ROCPRIM_400000_NS6detail17trampoline_kernelINS0_14default_configENS1_27scan_by_key_config_selectorIiiEEZZNS1_16scan_by_key_implILNS1_25lookback_scan_determinismE0ELb1ES3_N6thrust23THRUST_200600_302600_NS6detail15normal_iteratorINS9_10device_ptrIiEEEESE_SE_iNS9_4plusIvEENS9_8equal_toIiEEiEE10hipError_tPvRmT2_T3_T4_T5_mT6_T7_P12ihipStream_tbENKUlT_T0_E_clISt17integral_constantIbLb0EESZ_EEDaSU_SV_EUlSU_E_NS1_11comp_targetILNS1_3genE8ELNS1_11target_archE1030ELNS1_3gpuE2ELNS1_3repE0EEENS1_30default_config_static_selectorELNS0_4arch9wavefront6targetE0EEEvT1_, .Lfunc_end541-_ZN7rocprim17ROCPRIM_400000_NS6detail17trampoline_kernelINS0_14default_configENS1_27scan_by_key_config_selectorIiiEEZZNS1_16scan_by_key_implILNS1_25lookback_scan_determinismE0ELb1ES3_N6thrust23THRUST_200600_302600_NS6detail15normal_iteratorINS9_10device_ptrIiEEEESE_SE_iNS9_4plusIvEENS9_8equal_toIiEEiEE10hipError_tPvRmT2_T3_T4_T5_mT6_T7_P12ihipStream_tbENKUlT_T0_E_clISt17integral_constantIbLb0EESZ_EEDaSU_SV_EUlSU_E_NS1_11comp_targetILNS1_3genE8ELNS1_11target_archE1030ELNS1_3gpuE2ELNS1_3repE0EEENS1_30default_config_static_selectorELNS0_4arch9wavefront6targetE0EEEvT1_
                                        ; -- End function
	.set _ZN7rocprim17ROCPRIM_400000_NS6detail17trampoline_kernelINS0_14default_configENS1_27scan_by_key_config_selectorIiiEEZZNS1_16scan_by_key_implILNS1_25lookback_scan_determinismE0ELb1ES3_N6thrust23THRUST_200600_302600_NS6detail15normal_iteratorINS9_10device_ptrIiEEEESE_SE_iNS9_4plusIvEENS9_8equal_toIiEEiEE10hipError_tPvRmT2_T3_T4_T5_mT6_T7_P12ihipStream_tbENKUlT_T0_E_clISt17integral_constantIbLb0EESZ_EEDaSU_SV_EUlSU_E_NS1_11comp_targetILNS1_3genE8ELNS1_11target_archE1030ELNS1_3gpuE2ELNS1_3repE0EEENS1_30default_config_static_selectorELNS0_4arch9wavefront6targetE0EEEvT1_.num_vgpr, 0
	.set _ZN7rocprim17ROCPRIM_400000_NS6detail17trampoline_kernelINS0_14default_configENS1_27scan_by_key_config_selectorIiiEEZZNS1_16scan_by_key_implILNS1_25lookback_scan_determinismE0ELb1ES3_N6thrust23THRUST_200600_302600_NS6detail15normal_iteratorINS9_10device_ptrIiEEEESE_SE_iNS9_4plusIvEENS9_8equal_toIiEEiEE10hipError_tPvRmT2_T3_T4_T5_mT6_T7_P12ihipStream_tbENKUlT_T0_E_clISt17integral_constantIbLb0EESZ_EEDaSU_SV_EUlSU_E_NS1_11comp_targetILNS1_3genE8ELNS1_11target_archE1030ELNS1_3gpuE2ELNS1_3repE0EEENS1_30default_config_static_selectorELNS0_4arch9wavefront6targetE0EEEvT1_.num_agpr, 0
	.set _ZN7rocprim17ROCPRIM_400000_NS6detail17trampoline_kernelINS0_14default_configENS1_27scan_by_key_config_selectorIiiEEZZNS1_16scan_by_key_implILNS1_25lookback_scan_determinismE0ELb1ES3_N6thrust23THRUST_200600_302600_NS6detail15normal_iteratorINS9_10device_ptrIiEEEESE_SE_iNS9_4plusIvEENS9_8equal_toIiEEiEE10hipError_tPvRmT2_T3_T4_T5_mT6_T7_P12ihipStream_tbENKUlT_T0_E_clISt17integral_constantIbLb0EESZ_EEDaSU_SV_EUlSU_E_NS1_11comp_targetILNS1_3genE8ELNS1_11target_archE1030ELNS1_3gpuE2ELNS1_3repE0EEENS1_30default_config_static_selectorELNS0_4arch9wavefront6targetE0EEEvT1_.numbered_sgpr, 0
	.set _ZN7rocprim17ROCPRIM_400000_NS6detail17trampoline_kernelINS0_14default_configENS1_27scan_by_key_config_selectorIiiEEZZNS1_16scan_by_key_implILNS1_25lookback_scan_determinismE0ELb1ES3_N6thrust23THRUST_200600_302600_NS6detail15normal_iteratorINS9_10device_ptrIiEEEESE_SE_iNS9_4plusIvEENS9_8equal_toIiEEiEE10hipError_tPvRmT2_T3_T4_T5_mT6_T7_P12ihipStream_tbENKUlT_T0_E_clISt17integral_constantIbLb0EESZ_EEDaSU_SV_EUlSU_E_NS1_11comp_targetILNS1_3genE8ELNS1_11target_archE1030ELNS1_3gpuE2ELNS1_3repE0EEENS1_30default_config_static_selectorELNS0_4arch9wavefront6targetE0EEEvT1_.num_named_barrier, 0
	.set _ZN7rocprim17ROCPRIM_400000_NS6detail17trampoline_kernelINS0_14default_configENS1_27scan_by_key_config_selectorIiiEEZZNS1_16scan_by_key_implILNS1_25lookback_scan_determinismE0ELb1ES3_N6thrust23THRUST_200600_302600_NS6detail15normal_iteratorINS9_10device_ptrIiEEEESE_SE_iNS9_4plusIvEENS9_8equal_toIiEEiEE10hipError_tPvRmT2_T3_T4_T5_mT6_T7_P12ihipStream_tbENKUlT_T0_E_clISt17integral_constantIbLb0EESZ_EEDaSU_SV_EUlSU_E_NS1_11comp_targetILNS1_3genE8ELNS1_11target_archE1030ELNS1_3gpuE2ELNS1_3repE0EEENS1_30default_config_static_selectorELNS0_4arch9wavefront6targetE0EEEvT1_.private_seg_size, 0
	.set _ZN7rocprim17ROCPRIM_400000_NS6detail17trampoline_kernelINS0_14default_configENS1_27scan_by_key_config_selectorIiiEEZZNS1_16scan_by_key_implILNS1_25lookback_scan_determinismE0ELb1ES3_N6thrust23THRUST_200600_302600_NS6detail15normal_iteratorINS9_10device_ptrIiEEEESE_SE_iNS9_4plusIvEENS9_8equal_toIiEEiEE10hipError_tPvRmT2_T3_T4_T5_mT6_T7_P12ihipStream_tbENKUlT_T0_E_clISt17integral_constantIbLb0EESZ_EEDaSU_SV_EUlSU_E_NS1_11comp_targetILNS1_3genE8ELNS1_11target_archE1030ELNS1_3gpuE2ELNS1_3repE0EEENS1_30default_config_static_selectorELNS0_4arch9wavefront6targetE0EEEvT1_.uses_vcc, 0
	.set _ZN7rocprim17ROCPRIM_400000_NS6detail17trampoline_kernelINS0_14default_configENS1_27scan_by_key_config_selectorIiiEEZZNS1_16scan_by_key_implILNS1_25lookback_scan_determinismE0ELb1ES3_N6thrust23THRUST_200600_302600_NS6detail15normal_iteratorINS9_10device_ptrIiEEEESE_SE_iNS9_4plusIvEENS9_8equal_toIiEEiEE10hipError_tPvRmT2_T3_T4_T5_mT6_T7_P12ihipStream_tbENKUlT_T0_E_clISt17integral_constantIbLb0EESZ_EEDaSU_SV_EUlSU_E_NS1_11comp_targetILNS1_3genE8ELNS1_11target_archE1030ELNS1_3gpuE2ELNS1_3repE0EEENS1_30default_config_static_selectorELNS0_4arch9wavefront6targetE0EEEvT1_.uses_flat_scratch, 0
	.set _ZN7rocprim17ROCPRIM_400000_NS6detail17trampoline_kernelINS0_14default_configENS1_27scan_by_key_config_selectorIiiEEZZNS1_16scan_by_key_implILNS1_25lookback_scan_determinismE0ELb1ES3_N6thrust23THRUST_200600_302600_NS6detail15normal_iteratorINS9_10device_ptrIiEEEESE_SE_iNS9_4plusIvEENS9_8equal_toIiEEiEE10hipError_tPvRmT2_T3_T4_T5_mT6_T7_P12ihipStream_tbENKUlT_T0_E_clISt17integral_constantIbLb0EESZ_EEDaSU_SV_EUlSU_E_NS1_11comp_targetILNS1_3genE8ELNS1_11target_archE1030ELNS1_3gpuE2ELNS1_3repE0EEENS1_30default_config_static_selectorELNS0_4arch9wavefront6targetE0EEEvT1_.has_dyn_sized_stack, 0
	.set _ZN7rocprim17ROCPRIM_400000_NS6detail17trampoline_kernelINS0_14default_configENS1_27scan_by_key_config_selectorIiiEEZZNS1_16scan_by_key_implILNS1_25lookback_scan_determinismE0ELb1ES3_N6thrust23THRUST_200600_302600_NS6detail15normal_iteratorINS9_10device_ptrIiEEEESE_SE_iNS9_4plusIvEENS9_8equal_toIiEEiEE10hipError_tPvRmT2_T3_T4_T5_mT6_T7_P12ihipStream_tbENKUlT_T0_E_clISt17integral_constantIbLb0EESZ_EEDaSU_SV_EUlSU_E_NS1_11comp_targetILNS1_3genE8ELNS1_11target_archE1030ELNS1_3gpuE2ELNS1_3repE0EEENS1_30default_config_static_selectorELNS0_4arch9wavefront6targetE0EEEvT1_.has_recursion, 0
	.set _ZN7rocprim17ROCPRIM_400000_NS6detail17trampoline_kernelINS0_14default_configENS1_27scan_by_key_config_selectorIiiEEZZNS1_16scan_by_key_implILNS1_25lookback_scan_determinismE0ELb1ES3_N6thrust23THRUST_200600_302600_NS6detail15normal_iteratorINS9_10device_ptrIiEEEESE_SE_iNS9_4plusIvEENS9_8equal_toIiEEiEE10hipError_tPvRmT2_T3_T4_T5_mT6_T7_P12ihipStream_tbENKUlT_T0_E_clISt17integral_constantIbLb0EESZ_EEDaSU_SV_EUlSU_E_NS1_11comp_targetILNS1_3genE8ELNS1_11target_archE1030ELNS1_3gpuE2ELNS1_3repE0EEENS1_30default_config_static_selectorELNS0_4arch9wavefront6targetE0EEEvT1_.has_indirect_call, 0
	.section	.AMDGPU.csdata,"",@progbits
; Kernel info:
; codeLenInByte = 0
; TotalNumSgprs: 0
; NumVgprs: 0
; ScratchSize: 0
; MemoryBound: 0
; FloatMode: 240
; IeeeMode: 1
; LDSByteSize: 0 bytes/workgroup (compile time only)
; SGPRBlocks: 0
; VGPRBlocks: 0
; NumSGPRsForWavesPerEU: 1
; NumVGPRsForWavesPerEU: 1
; NamedBarCnt: 0
; Occupancy: 16
; WaveLimiterHint : 0
; COMPUTE_PGM_RSRC2:SCRATCH_EN: 0
; COMPUTE_PGM_RSRC2:USER_SGPR: 2
; COMPUTE_PGM_RSRC2:TRAP_HANDLER: 0
; COMPUTE_PGM_RSRC2:TGID_X_EN: 1
; COMPUTE_PGM_RSRC2:TGID_Y_EN: 0
; COMPUTE_PGM_RSRC2:TGID_Z_EN: 0
; COMPUTE_PGM_RSRC2:TIDIG_COMP_CNT: 0
	.section	.text._ZN7rocprim17ROCPRIM_400000_NS6detail17trampoline_kernelINS0_14default_configENS1_27scan_by_key_config_selectorIiiEEZZNS1_16scan_by_key_implILNS1_25lookback_scan_determinismE0ELb1ES3_N6thrust23THRUST_200600_302600_NS6detail15normal_iteratorINS9_10device_ptrIiEEEESE_SE_iNS9_4plusIvEENS9_8equal_toIiEEiEE10hipError_tPvRmT2_T3_T4_T5_mT6_T7_P12ihipStream_tbENKUlT_T0_E_clISt17integral_constantIbLb1EESZ_EEDaSU_SV_EUlSU_E_NS1_11comp_targetILNS1_3genE0ELNS1_11target_archE4294967295ELNS1_3gpuE0ELNS1_3repE0EEENS1_30default_config_static_selectorELNS0_4arch9wavefront6targetE0EEEvT1_,"axG",@progbits,_ZN7rocprim17ROCPRIM_400000_NS6detail17trampoline_kernelINS0_14default_configENS1_27scan_by_key_config_selectorIiiEEZZNS1_16scan_by_key_implILNS1_25lookback_scan_determinismE0ELb1ES3_N6thrust23THRUST_200600_302600_NS6detail15normal_iteratorINS9_10device_ptrIiEEEESE_SE_iNS9_4plusIvEENS9_8equal_toIiEEiEE10hipError_tPvRmT2_T3_T4_T5_mT6_T7_P12ihipStream_tbENKUlT_T0_E_clISt17integral_constantIbLb1EESZ_EEDaSU_SV_EUlSU_E_NS1_11comp_targetILNS1_3genE0ELNS1_11target_archE4294967295ELNS1_3gpuE0ELNS1_3repE0EEENS1_30default_config_static_selectorELNS0_4arch9wavefront6targetE0EEEvT1_,comdat
	.protected	_ZN7rocprim17ROCPRIM_400000_NS6detail17trampoline_kernelINS0_14default_configENS1_27scan_by_key_config_selectorIiiEEZZNS1_16scan_by_key_implILNS1_25lookback_scan_determinismE0ELb1ES3_N6thrust23THRUST_200600_302600_NS6detail15normal_iteratorINS9_10device_ptrIiEEEESE_SE_iNS9_4plusIvEENS9_8equal_toIiEEiEE10hipError_tPvRmT2_T3_T4_T5_mT6_T7_P12ihipStream_tbENKUlT_T0_E_clISt17integral_constantIbLb1EESZ_EEDaSU_SV_EUlSU_E_NS1_11comp_targetILNS1_3genE0ELNS1_11target_archE4294967295ELNS1_3gpuE0ELNS1_3repE0EEENS1_30default_config_static_selectorELNS0_4arch9wavefront6targetE0EEEvT1_ ; -- Begin function _ZN7rocprim17ROCPRIM_400000_NS6detail17trampoline_kernelINS0_14default_configENS1_27scan_by_key_config_selectorIiiEEZZNS1_16scan_by_key_implILNS1_25lookback_scan_determinismE0ELb1ES3_N6thrust23THRUST_200600_302600_NS6detail15normal_iteratorINS9_10device_ptrIiEEEESE_SE_iNS9_4plusIvEENS9_8equal_toIiEEiEE10hipError_tPvRmT2_T3_T4_T5_mT6_T7_P12ihipStream_tbENKUlT_T0_E_clISt17integral_constantIbLb1EESZ_EEDaSU_SV_EUlSU_E_NS1_11comp_targetILNS1_3genE0ELNS1_11target_archE4294967295ELNS1_3gpuE0ELNS1_3repE0EEENS1_30default_config_static_selectorELNS0_4arch9wavefront6targetE0EEEvT1_
	.globl	_ZN7rocprim17ROCPRIM_400000_NS6detail17trampoline_kernelINS0_14default_configENS1_27scan_by_key_config_selectorIiiEEZZNS1_16scan_by_key_implILNS1_25lookback_scan_determinismE0ELb1ES3_N6thrust23THRUST_200600_302600_NS6detail15normal_iteratorINS9_10device_ptrIiEEEESE_SE_iNS9_4plusIvEENS9_8equal_toIiEEiEE10hipError_tPvRmT2_T3_T4_T5_mT6_T7_P12ihipStream_tbENKUlT_T0_E_clISt17integral_constantIbLb1EESZ_EEDaSU_SV_EUlSU_E_NS1_11comp_targetILNS1_3genE0ELNS1_11target_archE4294967295ELNS1_3gpuE0ELNS1_3repE0EEENS1_30default_config_static_selectorELNS0_4arch9wavefront6targetE0EEEvT1_
	.p2align	8
	.type	_ZN7rocprim17ROCPRIM_400000_NS6detail17trampoline_kernelINS0_14default_configENS1_27scan_by_key_config_selectorIiiEEZZNS1_16scan_by_key_implILNS1_25lookback_scan_determinismE0ELb1ES3_N6thrust23THRUST_200600_302600_NS6detail15normal_iteratorINS9_10device_ptrIiEEEESE_SE_iNS9_4plusIvEENS9_8equal_toIiEEiEE10hipError_tPvRmT2_T3_T4_T5_mT6_T7_P12ihipStream_tbENKUlT_T0_E_clISt17integral_constantIbLb1EESZ_EEDaSU_SV_EUlSU_E_NS1_11comp_targetILNS1_3genE0ELNS1_11target_archE4294967295ELNS1_3gpuE0ELNS1_3repE0EEENS1_30default_config_static_selectorELNS0_4arch9wavefront6targetE0EEEvT1_,@function
_ZN7rocprim17ROCPRIM_400000_NS6detail17trampoline_kernelINS0_14default_configENS1_27scan_by_key_config_selectorIiiEEZZNS1_16scan_by_key_implILNS1_25lookback_scan_determinismE0ELb1ES3_N6thrust23THRUST_200600_302600_NS6detail15normal_iteratorINS9_10device_ptrIiEEEESE_SE_iNS9_4plusIvEENS9_8equal_toIiEEiEE10hipError_tPvRmT2_T3_T4_T5_mT6_T7_P12ihipStream_tbENKUlT_T0_E_clISt17integral_constantIbLb1EESZ_EEDaSU_SV_EUlSU_E_NS1_11comp_targetILNS1_3genE0ELNS1_11target_archE4294967295ELNS1_3gpuE0ELNS1_3repE0EEENS1_30default_config_static_selectorELNS0_4arch9wavefront6targetE0EEEvT1_: ; @_ZN7rocprim17ROCPRIM_400000_NS6detail17trampoline_kernelINS0_14default_configENS1_27scan_by_key_config_selectorIiiEEZZNS1_16scan_by_key_implILNS1_25lookback_scan_determinismE0ELb1ES3_N6thrust23THRUST_200600_302600_NS6detail15normal_iteratorINS9_10device_ptrIiEEEESE_SE_iNS9_4plusIvEENS9_8equal_toIiEEiEE10hipError_tPvRmT2_T3_T4_T5_mT6_T7_P12ihipStream_tbENKUlT_T0_E_clISt17integral_constantIbLb1EESZ_EEDaSU_SV_EUlSU_E_NS1_11comp_targetILNS1_3genE0ELNS1_11target_archE4294967295ELNS1_3gpuE0ELNS1_3repE0EEENS1_30default_config_static_selectorELNS0_4arch9wavefront6targetE0EEEvT1_
; %bb.0:
	s_endpgm
	.section	.rodata,"a",@progbits
	.p2align	6, 0x0
	.amdhsa_kernel _ZN7rocprim17ROCPRIM_400000_NS6detail17trampoline_kernelINS0_14default_configENS1_27scan_by_key_config_selectorIiiEEZZNS1_16scan_by_key_implILNS1_25lookback_scan_determinismE0ELb1ES3_N6thrust23THRUST_200600_302600_NS6detail15normal_iteratorINS9_10device_ptrIiEEEESE_SE_iNS9_4plusIvEENS9_8equal_toIiEEiEE10hipError_tPvRmT2_T3_T4_T5_mT6_T7_P12ihipStream_tbENKUlT_T0_E_clISt17integral_constantIbLb1EESZ_EEDaSU_SV_EUlSU_E_NS1_11comp_targetILNS1_3genE0ELNS1_11target_archE4294967295ELNS1_3gpuE0ELNS1_3repE0EEENS1_30default_config_static_selectorELNS0_4arch9wavefront6targetE0EEEvT1_
		.amdhsa_group_segment_fixed_size 0
		.amdhsa_private_segment_fixed_size 0
		.amdhsa_kernarg_size 112
		.amdhsa_user_sgpr_count 2
		.amdhsa_user_sgpr_dispatch_ptr 0
		.amdhsa_user_sgpr_queue_ptr 0
		.amdhsa_user_sgpr_kernarg_segment_ptr 1
		.amdhsa_user_sgpr_dispatch_id 0
		.amdhsa_user_sgpr_kernarg_preload_length 0
		.amdhsa_user_sgpr_kernarg_preload_offset 0
		.amdhsa_user_sgpr_private_segment_size 0
		.amdhsa_wavefront_size32 1
		.amdhsa_uses_dynamic_stack 0
		.amdhsa_enable_private_segment 0
		.amdhsa_system_sgpr_workgroup_id_x 1
		.amdhsa_system_sgpr_workgroup_id_y 0
		.amdhsa_system_sgpr_workgroup_id_z 0
		.amdhsa_system_sgpr_workgroup_info 0
		.amdhsa_system_vgpr_workitem_id 0
		.amdhsa_next_free_vgpr 1
		.amdhsa_next_free_sgpr 1
		.amdhsa_named_barrier_count 0
		.amdhsa_reserve_vcc 0
		.amdhsa_float_round_mode_32 0
		.amdhsa_float_round_mode_16_64 0
		.amdhsa_float_denorm_mode_32 3
		.amdhsa_float_denorm_mode_16_64 3
		.amdhsa_fp16_overflow 0
		.amdhsa_memory_ordered 1
		.amdhsa_forward_progress 1
		.amdhsa_inst_pref_size 1
		.amdhsa_round_robin_scheduling 0
		.amdhsa_exception_fp_ieee_invalid_op 0
		.amdhsa_exception_fp_denorm_src 0
		.amdhsa_exception_fp_ieee_div_zero 0
		.amdhsa_exception_fp_ieee_overflow 0
		.amdhsa_exception_fp_ieee_underflow 0
		.amdhsa_exception_fp_ieee_inexact 0
		.amdhsa_exception_int_div_zero 0
	.end_amdhsa_kernel
	.section	.text._ZN7rocprim17ROCPRIM_400000_NS6detail17trampoline_kernelINS0_14default_configENS1_27scan_by_key_config_selectorIiiEEZZNS1_16scan_by_key_implILNS1_25lookback_scan_determinismE0ELb1ES3_N6thrust23THRUST_200600_302600_NS6detail15normal_iteratorINS9_10device_ptrIiEEEESE_SE_iNS9_4plusIvEENS9_8equal_toIiEEiEE10hipError_tPvRmT2_T3_T4_T5_mT6_T7_P12ihipStream_tbENKUlT_T0_E_clISt17integral_constantIbLb1EESZ_EEDaSU_SV_EUlSU_E_NS1_11comp_targetILNS1_3genE0ELNS1_11target_archE4294967295ELNS1_3gpuE0ELNS1_3repE0EEENS1_30default_config_static_selectorELNS0_4arch9wavefront6targetE0EEEvT1_,"axG",@progbits,_ZN7rocprim17ROCPRIM_400000_NS6detail17trampoline_kernelINS0_14default_configENS1_27scan_by_key_config_selectorIiiEEZZNS1_16scan_by_key_implILNS1_25lookback_scan_determinismE0ELb1ES3_N6thrust23THRUST_200600_302600_NS6detail15normal_iteratorINS9_10device_ptrIiEEEESE_SE_iNS9_4plusIvEENS9_8equal_toIiEEiEE10hipError_tPvRmT2_T3_T4_T5_mT6_T7_P12ihipStream_tbENKUlT_T0_E_clISt17integral_constantIbLb1EESZ_EEDaSU_SV_EUlSU_E_NS1_11comp_targetILNS1_3genE0ELNS1_11target_archE4294967295ELNS1_3gpuE0ELNS1_3repE0EEENS1_30default_config_static_selectorELNS0_4arch9wavefront6targetE0EEEvT1_,comdat
.Lfunc_end542:
	.size	_ZN7rocprim17ROCPRIM_400000_NS6detail17trampoline_kernelINS0_14default_configENS1_27scan_by_key_config_selectorIiiEEZZNS1_16scan_by_key_implILNS1_25lookback_scan_determinismE0ELb1ES3_N6thrust23THRUST_200600_302600_NS6detail15normal_iteratorINS9_10device_ptrIiEEEESE_SE_iNS9_4plusIvEENS9_8equal_toIiEEiEE10hipError_tPvRmT2_T3_T4_T5_mT6_T7_P12ihipStream_tbENKUlT_T0_E_clISt17integral_constantIbLb1EESZ_EEDaSU_SV_EUlSU_E_NS1_11comp_targetILNS1_3genE0ELNS1_11target_archE4294967295ELNS1_3gpuE0ELNS1_3repE0EEENS1_30default_config_static_selectorELNS0_4arch9wavefront6targetE0EEEvT1_, .Lfunc_end542-_ZN7rocprim17ROCPRIM_400000_NS6detail17trampoline_kernelINS0_14default_configENS1_27scan_by_key_config_selectorIiiEEZZNS1_16scan_by_key_implILNS1_25lookback_scan_determinismE0ELb1ES3_N6thrust23THRUST_200600_302600_NS6detail15normal_iteratorINS9_10device_ptrIiEEEESE_SE_iNS9_4plusIvEENS9_8equal_toIiEEiEE10hipError_tPvRmT2_T3_T4_T5_mT6_T7_P12ihipStream_tbENKUlT_T0_E_clISt17integral_constantIbLb1EESZ_EEDaSU_SV_EUlSU_E_NS1_11comp_targetILNS1_3genE0ELNS1_11target_archE4294967295ELNS1_3gpuE0ELNS1_3repE0EEENS1_30default_config_static_selectorELNS0_4arch9wavefront6targetE0EEEvT1_
                                        ; -- End function
	.set _ZN7rocprim17ROCPRIM_400000_NS6detail17trampoline_kernelINS0_14default_configENS1_27scan_by_key_config_selectorIiiEEZZNS1_16scan_by_key_implILNS1_25lookback_scan_determinismE0ELb1ES3_N6thrust23THRUST_200600_302600_NS6detail15normal_iteratorINS9_10device_ptrIiEEEESE_SE_iNS9_4plusIvEENS9_8equal_toIiEEiEE10hipError_tPvRmT2_T3_T4_T5_mT6_T7_P12ihipStream_tbENKUlT_T0_E_clISt17integral_constantIbLb1EESZ_EEDaSU_SV_EUlSU_E_NS1_11comp_targetILNS1_3genE0ELNS1_11target_archE4294967295ELNS1_3gpuE0ELNS1_3repE0EEENS1_30default_config_static_selectorELNS0_4arch9wavefront6targetE0EEEvT1_.num_vgpr, 0
	.set _ZN7rocprim17ROCPRIM_400000_NS6detail17trampoline_kernelINS0_14default_configENS1_27scan_by_key_config_selectorIiiEEZZNS1_16scan_by_key_implILNS1_25lookback_scan_determinismE0ELb1ES3_N6thrust23THRUST_200600_302600_NS6detail15normal_iteratorINS9_10device_ptrIiEEEESE_SE_iNS9_4plusIvEENS9_8equal_toIiEEiEE10hipError_tPvRmT2_T3_T4_T5_mT6_T7_P12ihipStream_tbENKUlT_T0_E_clISt17integral_constantIbLb1EESZ_EEDaSU_SV_EUlSU_E_NS1_11comp_targetILNS1_3genE0ELNS1_11target_archE4294967295ELNS1_3gpuE0ELNS1_3repE0EEENS1_30default_config_static_selectorELNS0_4arch9wavefront6targetE0EEEvT1_.num_agpr, 0
	.set _ZN7rocprim17ROCPRIM_400000_NS6detail17trampoline_kernelINS0_14default_configENS1_27scan_by_key_config_selectorIiiEEZZNS1_16scan_by_key_implILNS1_25lookback_scan_determinismE0ELb1ES3_N6thrust23THRUST_200600_302600_NS6detail15normal_iteratorINS9_10device_ptrIiEEEESE_SE_iNS9_4plusIvEENS9_8equal_toIiEEiEE10hipError_tPvRmT2_T3_T4_T5_mT6_T7_P12ihipStream_tbENKUlT_T0_E_clISt17integral_constantIbLb1EESZ_EEDaSU_SV_EUlSU_E_NS1_11comp_targetILNS1_3genE0ELNS1_11target_archE4294967295ELNS1_3gpuE0ELNS1_3repE0EEENS1_30default_config_static_selectorELNS0_4arch9wavefront6targetE0EEEvT1_.numbered_sgpr, 0
	.set _ZN7rocprim17ROCPRIM_400000_NS6detail17trampoline_kernelINS0_14default_configENS1_27scan_by_key_config_selectorIiiEEZZNS1_16scan_by_key_implILNS1_25lookback_scan_determinismE0ELb1ES3_N6thrust23THRUST_200600_302600_NS6detail15normal_iteratorINS9_10device_ptrIiEEEESE_SE_iNS9_4plusIvEENS9_8equal_toIiEEiEE10hipError_tPvRmT2_T3_T4_T5_mT6_T7_P12ihipStream_tbENKUlT_T0_E_clISt17integral_constantIbLb1EESZ_EEDaSU_SV_EUlSU_E_NS1_11comp_targetILNS1_3genE0ELNS1_11target_archE4294967295ELNS1_3gpuE0ELNS1_3repE0EEENS1_30default_config_static_selectorELNS0_4arch9wavefront6targetE0EEEvT1_.num_named_barrier, 0
	.set _ZN7rocprim17ROCPRIM_400000_NS6detail17trampoline_kernelINS0_14default_configENS1_27scan_by_key_config_selectorIiiEEZZNS1_16scan_by_key_implILNS1_25lookback_scan_determinismE0ELb1ES3_N6thrust23THRUST_200600_302600_NS6detail15normal_iteratorINS9_10device_ptrIiEEEESE_SE_iNS9_4plusIvEENS9_8equal_toIiEEiEE10hipError_tPvRmT2_T3_T4_T5_mT6_T7_P12ihipStream_tbENKUlT_T0_E_clISt17integral_constantIbLb1EESZ_EEDaSU_SV_EUlSU_E_NS1_11comp_targetILNS1_3genE0ELNS1_11target_archE4294967295ELNS1_3gpuE0ELNS1_3repE0EEENS1_30default_config_static_selectorELNS0_4arch9wavefront6targetE0EEEvT1_.private_seg_size, 0
	.set _ZN7rocprim17ROCPRIM_400000_NS6detail17trampoline_kernelINS0_14default_configENS1_27scan_by_key_config_selectorIiiEEZZNS1_16scan_by_key_implILNS1_25lookback_scan_determinismE0ELb1ES3_N6thrust23THRUST_200600_302600_NS6detail15normal_iteratorINS9_10device_ptrIiEEEESE_SE_iNS9_4plusIvEENS9_8equal_toIiEEiEE10hipError_tPvRmT2_T3_T4_T5_mT6_T7_P12ihipStream_tbENKUlT_T0_E_clISt17integral_constantIbLb1EESZ_EEDaSU_SV_EUlSU_E_NS1_11comp_targetILNS1_3genE0ELNS1_11target_archE4294967295ELNS1_3gpuE0ELNS1_3repE0EEENS1_30default_config_static_selectorELNS0_4arch9wavefront6targetE0EEEvT1_.uses_vcc, 0
	.set _ZN7rocprim17ROCPRIM_400000_NS6detail17trampoline_kernelINS0_14default_configENS1_27scan_by_key_config_selectorIiiEEZZNS1_16scan_by_key_implILNS1_25lookback_scan_determinismE0ELb1ES3_N6thrust23THRUST_200600_302600_NS6detail15normal_iteratorINS9_10device_ptrIiEEEESE_SE_iNS9_4plusIvEENS9_8equal_toIiEEiEE10hipError_tPvRmT2_T3_T4_T5_mT6_T7_P12ihipStream_tbENKUlT_T0_E_clISt17integral_constantIbLb1EESZ_EEDaSU_SV_EUlSU_E_NS1_11comp_targetILNS1_3genE0ELNS1_11target_archE4294967295ELNS1_3gpuE0ELNS1_3repE0EEENS1_30default_config_static_selectorELNS0_4arch9wavefront6targetE0EEEvT1_.uses_flat_scratch, 0
	.set _ZN7rocprim17ROCPRIM_400000_NS6detail17trampoline_kernelINS0_14default_configENS1_27scan_by_key_config_selectorIiiEEZZNS1_16scan_by_key_implILNS1_25lookback_scan_determinismE0ELb1ES3_N6thrust23THRUST_200600_302600_NS6detail15normal_iteratorINS9_10device_ptrIiEEEESE_SE_iNS9_4plusIvEENS9_8equal_toIiEEiEE10hipError_tPvRmT2_T3_T4_T5_mT6_T7_P12ihipStream_tbENKUlT_T0_E_clISt17integral_constantIbLb1EESZ_EEDaSU_SV_EUlSU_E_NS1_11comp_targetILNS1_3genE0ELNS1_11target_archE4294967295ELNS1_3gpuE0ELNS1_3repE0EEENS1_30default_config_static_selectorELNS0_4arch9wavefront6targetE0EEEvT1_.has_dyn_sized_stack, 0
	.set _ZN7rocprim17ROCPRIM_400000_NS6detail17trampoline_kernelINS0_14default_configENS1_27scan_by_key_config_selectorIiiEEZZNS1_16scan_by_key_implILNS1_25lookback_scan_determinismE0ELb1ES3_N6thrust23THRUST_200600_302600_NS6detail15normal_iteratorINS9_10device_ptrIiEEEESE_SE_iNS9_4plusIvEENS9_8equal_toIiEEiEE10hipError_tPvRmT2_T3_T4_T5_mT6_T7_P12ihipStream_tbENKUlT_T0_E_clISt17integral_constantIbLb1EESZ_EEDaSU_SV_EUlSU_E_NS1_11comp_targetILNS1_3genE0ELNS1_11target_archE4294967295ELNS1_3gpuE0ELNS1_3repE0EEENS1_30default_config_static_selectorELNS0_4arch9wavefront6targetE0EEEvT1_.has_recursion, 0
	.set _ZN7rocprim17ROCPRIM_400000_NS6detail17trampoline_kernelINS0_14default_configENS1_27scan_by_key_config_selectorIiiEEZZNS1_16scan_by_key_implILNS1_25lookback_scan_determinismE0ELb1ES3_N6thrust23THRUST_200600_302600_NS6detail15normal_iteratorINS9_10device_ptrIiEEEESE_SE_iNS9_4plusIvEENS9_8equal_toIiEEiEE10hipError_tPvRmT2_T3_T4_T5_mT6_T7_P12ihipStream_tbENKUlT_T0_E_clISt17integral_constantIbLb1EESZ_EEDaSU_SV_EUlSU_E_NS1_11comp_targetILNS1_3genE0ELNS1_11target_archE4294967295ELNS1_3gpuE0ELNS1_3repE0EEENS1_30default_config_static_selectorELNS0_4arch9wavefront6targetE0EEEvT1_.has_indirect_call, 0
	.section	.AMDGPU.csdata,"",@progbits
; Kernel info:
; codeLenInByte = 4
; TotalNumSgprs: 0
; NumVgprs: 0
; ScratchSize: 0
; MemoryBound: 0
; FloatMode: 240
; IeeeMode: 1
; LDSByteSize: 0 bytes/workgroup (compile time only)
; SGPRBlocks: 0
; VGPRBlocks: 0
; NumSGPRsForWavesPerEU: 1
; NumVGPRsForWavesPerEU: 1
; NamedBarCnt: 0
; Occupancy: 16
; WaveLimiterHint : 0
; COMPUTE_PGM_RSRC2:SCRATCH_EN: 0
; COMPUTE_PGM_RSRC2:USER_SGPR: 2
; COMPUTE_PGM_RSRC2:TRAP_HANDLER: 0
; COMPUTE_PGM_RSRC2:TGID_X_EN: 1
; COMPUTE_PGM_RSRC2:TGID_Y_EN: 0
; COMPUTE_PGM_RSRC2:TGID_Z_EN: 0
; COMPUTE_PGM_RSRC2:TIDIG_COMP_CNT: 0
	.section	.text._ZN7rocprim17ROCPRIM_400000_NS6detail17trampoline_kernelINS0_14default_configENS1_27scan_by_key_config_selectorIiiEEZZNS1_16scan_by_key_implILNS1_25lookback_scan_determinismE0ELb1ES3_N6thrust23THRUST_200600_302600_NS6detail15normal_iteratorINS9_10device_ptrIiEEEESE_SE_iNS9_4plusIvEENS9_8equal_toIiEEiEE10hipError_tPvRmT2_T3_T4_T5_mT6_T7_P12ihipStream_tbENKUlT_T0_E_clISt17integral_constantIbLb1EESZ_EEDaSU_SV_EUlSU_E_NS1_11comp_targetILNS1_3genE10ELNS1_11target_archE1201ELNS1_3gpuE5ELNS1_3repE0EEENS1_30default_config_static_selectorELNS0_4arch9wavefront6targetE0EEEvT1_,"axG",@progbits,_ZN7rocprim17ROCPRIM_400000_NS6detail17trampoline_kernelINS0_14default_configENS1_27scan_by_key_config_selectorIiiEEZZNS1_16scan_by_key_implILNS1_25lookback_scan_determinismE0ELb1ES3_N6thrust23THRUST_200600_302600_NS6detail15normal_iteratorINS9_10device_ptrIiEEEESE_SE_iNS9_4plusIvEENS9_8equal_toIiEEiEE10hipError_tPvRmT2_T3_T4_T5_mT6_T7_P12ihipStream_tbENKUlT_T0_E_clISt17integral_constantIbLb1EESZ_EEDaSU_SV_EUlSU_E_NS1_11comp_targetILNS1_3genE10ELNS1_11target_archE1201ELNS1_3gpuE5ELNS1_3repE0EEENS1_30default_config_static_selectorELNS0_4arch9wavefront6targetE0EEEvT1_,comdat
	.protected	_ZN7rocprim17ROCPRIM_400000_NS6detail17trampoline_kernelINS0_14default_configENS1_27scan_by_key_config_selectorIiiEEZZNS1_16scan_by_key_implILNS1_25lookback_scan_determinismE0ELb1ES3_N6thrust23THRUST_200600_302600_NS6detail15normal_iteratorINS9_10device_ptrIiEEEESE_SE_iNS9_4plusIvEENS9_8equal_toIiEEiEE10hipError_tPvRmT2_T3_T4_T5_mT6_T7_P12ihipStream_tbENKUlT_T0_E_clISt17integral_constantIbLb1EESZ_EEDaSU_SV_EUlSU_E_NS1_11comp_targetILNS1_3genE10ELNS1_11target_archE1201ELNS1_3gpuE5ELNS1_3repE0EEENS1_30default_config_static_selectorELNS0_4arch9wavefront6targetE0EEEvT1_ ; -- Begin function _ZN7rocprim17ROCPRIM_400000_NS6detail17trampoline_kernelINS0_14default_configENS1_27scan_by_key_config_selectorIiiEEZZNS1_16scan_by_key_implILNS1_25lookback_scan_determinismE0ELb1ES3_N6thrust23THRUST_200600_302600_NS6detail15normal_iteratorINS9_10device_ptrIiEEEESE_SE_iNS9_4plusIvEENS9_8equal_toIiEEiEE10hipError_tPvRmT2_T3_T4_T5_mT6_T7_P12ihipStream_tbENKUlT_T0_E_clISt17integral_constantIbLb1EESZ_EEDaSU_SV_EUlSU_E_NS1_11comp_targetILNS1_3genE10ELNS1_11target_archE1201ELNS1_3gpuE5ELNS1_3repE0EEENS1_30default_config_static_selectorELNS0_4arch9wavefront6targetE0EEEvT1_
	.globl	_ZN7rocprim17ROCPRIM_400000_NS6detail17trampoline_kernelINS0_14default_configENS1_27scan_by_key_config_selectorIiiEEZZNS1_16scan_by_key_implILNS1_25lookback_scan_determinismE0ELb1ES3_N6thrust23THRUST_200600_302600_NS6detail15normal_iteratorINS9_10device_ptrIiEEEESE_SE_iNS9_4plusIvEENS9_8equal_toIiEEiEE10hipError_tPvRmT2_T3_T4_T5_mT6_T7_P12ihipStream_tbENKUlT_T0_E_clISt17integral_constantIbLb1EESZ_EEDaSU_SV_EUlSU_E_NS1_11comp_targetILNS1_3genE10ELNS1_11target_archE1201ELNS1_3gpuE5ELNS1_3repE0EEENS1_30default_config_static_selectorELNS0_4arch9wavefront6targetE0EEEvT1_
	.p2align	8
	.type	_ZN7rocprim17ROCPRIM_400000_NS6detail17trampoline_kernelINS0_14default_configENS1_27scan_by_key_config_selectorIiiEEZZNS1_16scan_by_key_implILNS1_25lookback_scan_determinismE0ELb1ES3_N6thrust23THRUST_200600_302600_NS6detail15normal_iteratorINS9_10device_ptrIiEEEESE_SE_iNS9_4plusIvEENS9_8equal_toIiEEiEE10hipError_tPvRmT2_T3_T4_T5_mT6_T7_P12ihipStream_tbENKUlT_T0_E_clISt17integral_constantIbLb1EESZ_EEDaSU_SV_EUlSU_E_NS1_11comp_targetILNS1_3genE10ELNS1_11target_archE1201ELNS1_3gpuE5ELNS1_3repE0EEENS1_30default_config_static_selectorELNS0_4arch9wavefront6targetE0EEEvT1_,@function
_ZN7rocprim17ROCPRIM_400000_NS6detail17trampoline_kernelINS0_14default_configENS1_27scan_by_key_config_selectorIiiEEZZNS1_16scan_by_key_implILNS1_25lookback_scan_determinismE0ELb1ES3_N6thrust23THRUST_200600_302600_NS6detail15normal_iteratorINS9_10device_ptrIiEEEESE_SE_iNS9_4plusIvEENS9_8equal_toIiEEiEE10hipError_tPvRmT2_T3_T4_T5_mT6_T7_P12ihipStream_tbENKUlT_T0_E_clISt17integral_constantIbLb1EESZ_EEDaSU_SV_EUlSU_E_NS1_11comp_targetILNS1_3genE10ELNS1_11target_archE1201ELNS1_3gpuE5ELNS1_3repE0EEENS1_30default_config_static_selectorELNS0_4arch9wavefront6targetE0EEEvT1_: ; @_ZN7rocprim17ROCPRIM_400000_NS6detail17trampoline_kernelINS0_14default_configENS1_27scan_by_key_config_selectorIiiEEZZNS1_16scan_by_key_implILNS1_25lookback_scan_determinismE0ELb1ES3_N6thrust23THRUST_200600_302600_NS6detail15normal_iteratorINS9_10device_ptrIiEEEESE_SE_iNS9_4plusIvEENS9_8equal_toIiEEiEE10hipError_tPvRmT2_T3_T4_T5_mT6_T7_P12ihipStream_tbENKUlT_T0_E_clISt17integral_constantIbLb1EESZ_EEDaSU_SV_EUlSU_E_NS1_11comp_targetILNS1_3genE10ELNS1_11target_archE1201ELNS1_3gpuE5ELNS1_3repE0EEENS1_30default_config_static_selectorELNS0_4arch9wavefront6targetE0EEEvT1_
; %bb.0:
	.section	.rodata,"a",@progbits
	.p2align	6, 0x0
	.amdhsa_kernel _ZN7rocprim17ROCPRIM_400000_NS6detail17trampoline_kernelINS0_14default_configENS1_27scan_by_key_config_selectorIiiEEZZNS1_16scan_by_key_implILNS1_25lookback_scan_determinismE0ELb1ES3_N6thrust23THRUST_200600_302600_NS6detail15normal_iteratorINS9_10device_ptrIiEEEESE_SE_iNS9_4plusIvEENS9_8equal_toIiEEiEE10hipError_tPvRmT2_T3_T4_T5_mT6_T7_P12ihipStream_tbENKUlT_T0_E_clISt17integral_constantIbLb1EESZ_EEDaSU_SV_EUlSU_E_NS1_11comp_targetILNS1_3genE10ELNS1_11target_archE1201ELNS1_3gpuE5ELNS1_3repE0EEENS1_30default_config_static_selectorELNS0_4arch9wavefront6targetE0EEEvT1_
		.amdhsa_group_segment_fixed_size 0
		.amdhsa_private_segment_fixed_size 0
		.amdhsa_kernarg_size 112
		.amdhsa_user_sgpr_count 2
		.amdhsa_user_sgpr_dispatch_ptr 0
		.amdhsa_user_sgpr_queue_ptr 0
		.amdhsa_user_sgpr_kernarg_segment_ptr 1
		.amdhsa_user_sgpr_dispatch_id 0
		.amdhsa_user_sgpr_kernarg_preload_length 0
		.amdhsa_user_sgpr_kernarg_preload_offset 0
		.amdhsa_user_sgpr_private_segment_size 0
		.amdhsa_wavefront_size32 1
		.amdhsa_uses_dynamic_stack 0
		.amdhsa_enable_private_segment 0
		.amdhsa_system_sgpr_workgroup_id_x 1
		.amdhsa_system_sgpr_workgroup_id_y 0
		.amdhsa_system_sgpr_workgroup_id_z 0
		.amdhsa_system_sgpr_workgroup_info 0
		.amdhsa_system_vgpr_workitem_id 0
		.amdhsa_next_free_vgpr 1
		.amdhsa_next_free_sgpr 1
		.amdhsa_named_barrier_count 0
		.amdhsa_reserve_vcc 0
		.amdhsa_float_round_mode_32 0
		.amdhsa_float_round_mode_16_64 0
		.amdhsa_float_denorm_mode_32 3
		.amdhsa_float_denorm_mode_16_64 3
		.amdhsa_fp16_overflow 0
		.amdhsa_memory_ordered 1
		.amdhsa_forward_progress 1
		.amdhsa_inst_pref_size 0
		.amdhsa_round_robin_scheduling 0
		.amdhsa_exception_fp_ieee_invalid_op 0
		.amdhsa_exception_fp_denorm_src 0
		.amdhsa_exception_fp_ieee_div_zero 0
		.amdhsa_exception_fp_ieee_overflow 0
		.amdhsa_exception_fp_ieee_underflow 0
		.amdhsa_exception_fp_ieee_inexact 0
		.amdhsa_exception_int_div_zero 0
	.end_amdhsa_kernel
	.section	.text._ZN7rocprim17ROCPRIM_400000_NS6detail17trampoline_kernelINS0_14default_configENS1_27scan_by_key_config_selectorIiiEEZZNS1_16scan_by_key_implILNS1_25lookback_scan_determinismE0ELb1ES3_N6thrust23THRUST_200600_302600_NS6detail15normal_iteratorINS9_10device_ptrIiEEEESE_SE_iNS9_4plusIvEENS9_8equal_toIiEEiEE10hipError_tPvRmT2_T3_T4_T5_mT6_T7_P12ihipStream_tbENKUlT_T0_E_clISt17integral_constantIbLb1EESZ_EEDaSU_SV_EUlSU_E_NS1_11comp_targetILNS1_3genE10ELNS1_11target_archE1201ELNS1_3gpuE5ELNS1_3repE0EEENS1_30default_config_static_selectorELNS0_4arch9wavefront6targetE0EEEvT1_,"axG",@progbits,_ZN7rocprim17ROCPRIM_400000_NS6detail17trampoline_kernelINS0_14default_configENS1_27scan_by_key_config_selectorIiiEEZZNS1_16scan_by_key_implILNS1_25lookback_scan_determinismE0ELb1ES3_N6thrust23THRUST_200600_302600_NS6detail15normal_iteratorINS9_10device_ptrIiEEEESE_SE_iNS9_4plusIvEENS9_8equal_toIiEEiEE10hipError_tPvRmT2_T3_T4_T5_mT6_T7_P12ihipStream_tbENKUlT_T0_E_clISt17integral_constantIbLb1EESZ_EEDaSU_SV_EUlSU_E_NS1_11comp_targetILNS1_3genE10ELNS1_11target_archE1201ELNS1_3gpuE5ELNS1_3repE0EEENS1_30default_config_static_selectorELNS0_4arch9wavefront6targetE0EEEvT1_,comdat
.Lfunc_end543:
	.size	_ZN7rocprim17ROCPRIM_400000_NS6detail17trampoline_kernelINS0_14default_configENS1_27scan_by_key_config_selectorIiiEEZZNS1_16scan_by_key_implILNS1_25lookback_scan_determinismE0ELb1ES3_N6thrust23THRUST_200600_302600_NS6detail15normal_iteratorINS9_10device_ptrIiEEEESE_SE_iNS9_4plusIvEENS9_8equal_toIiEEiEE10hipError_tPvRmT2_T3_T4_T5_mT6_T7_P12ihipStream_tbENKUlT_T0_E_clISt17integral_constantIbLb1EESZ_EEDaSU_SV_EUlSU_E_NS1_11comp_targetILNS1_3genE10ELNS1_11target_archE1201ELNS1_3gpuE5ELNS1_3repE0EEENS1_30default_config_static_selectorELNS0_4arch9wavefront6targetE0EEEvT1_, .Lfunc_end543-_ZN7rocprim17ROCPRIM_400000_NS6detail17trampoline_kernelINS0_14default_configENS1_27scan_by_key_config_selectorIiiEEZZNS1_16scan_by_key_implILNS1_25lookback_scan_determinismE0ELb1ES3_N6thrust23THRUST_200600_302600_NS6detail15normal_iteratorINS9_10device_ptrIiEEEESE_SE_iNS9_4plusIvEENS9_8equal_toIiEEiEE10hipError_tPvRmT2_T3_T4_T5_mT6_T7_P12ihipStream_tbENKUlT_T0_E_clISt17integral_constantIbLb1EESZ_EEDaSU_SV_EUlSU_E_NS1_11comp_targetILNS1_3genE10ELNS1_11target_archE1201ELNS1_3gpuE5ELNS1_3repE0EEENS1_30default_config_static_selectorELNS0_4arch9wavefront6targetE0EEEvT1_
                                        ; -- End function
	.set _ZN7rocprim17ROCPRIM_400000_NS6detail17trampoline_kernelINS0_14default_configENS1_27scan_by_key_config_selectorIiiEEZZNS1_16scan_by_key_implILNS1_25lookback_scan_determinismE0ELb1ES3_N6thrust23THRUST_200600_302600_NS6detail15normal_iteratorINS9_10device_ptrIiEEEESE_SE_iNS9_4plusIvEENS9_8equal_toIiEEiEE10hipError_tPvRmT2_T3_T4_T5_mT6_T7_P12ihipStream_tbENKUlT_T0_E_clISt17integral_constantIbLb1EESZ_EEDaSU_SV_EUlSU_E_NS1_11comp_targetILNS1_3genE10ELNS1_11target_archE1201ELNS1_3gpuE5ELNS1_3repE0EEENS1_30default_config_static_selectorELNS0_4arch9wavefront6targetE0EEEvT1_.num_vgpr, 0
	.set _ZN7rocprim17ROCPRIM_400000_NS6detail17trampoline_kernelINS0_14default_configENS1_27scan_by_key_config_selectorIiiEEZZNS1_16scan_by_key_implILNS1_25lookback_scan_determinismE0ELb1ES3_N6thrust23THRUST_200600_302600_NS6detail15normal_iteratorINS9_10device_ptrIiEEEESE_SE_iNS9_4plusIvEENS9_8equal_toIiEEiEE10hipError_tPvRmT2_T3_T4_T5_mT6_T7_P12ihipStream_tbENKUlT_T0_E_clISt17integral_constantIbLb1EESZ_EEDaSU_SV_EUlSU_E_NS1_11comp_targetILNS1_3genE10ELNS1_11target_archE1201ELNS1_3gpuE5ELNS1_3repE0EEENS1_30default_config_static_selectorELNS0_4arch9wavefront6targetE0EEEvT1_.num_agpr, 0
	.set _ZN7rocprim17ROCPRIM_400000_NS6detail17trampoline_kernelINS0_14default_configENS1_27scan_by_key_config_selectorIiiEEZZNS1_16scan_by_key_implILNS1_25lookback_scan_determinismE0ELb1ES3_N6thrust23THRUST_200600_302600_NS6detail15normal_iteratorINS9_10device_ptrIiEEEESE_SE_iNS9_4plusIvEENS9_8equal_toIiEEiEE10hipError_tPvRmT2_T3_T4_T5_mT6_T7_P12ihipStream_tbENKUlT_T0_E_clISt17integral_constantIbLb1EESZ_EEDaSU_SV_EUlSU_E_NS1_11comp_targetILNS1_3genE10ELNS1_11target_archE1201ELNS1_3gpuE5ELNS1_3repE0EEENS1_30default_config_static_selectorELNS0_4arch9wavefront6targetE0EEEvT1_.numbered_sgpr, 0
	.set _ZN7rocprim17ROCPRIM_400000_NS6detail17trampoline_kernelINS0_14default_configENS1_27scan_by_key_config_selectorIiiEEZZNS1_16scan_by_key_implILNS1_25lookback_scan_determinismE0ELb1ES3_N6thrust23THRUST_200600_302600_NS6detail15normal_iteratorINS9_10device_ptrIiEEEESE_SE_iNS9_4plusIvEENS9_8equal_toIiEEiEE10hipError_tPvRmT2_T3_T4_T5_mT6_T7_P12ihipStream_tbENKUlT_T0_E_clISt17integral_constantIbLb1EESZ_EEDaSU_SV_EUlSU_E_NS1_11comp_targetILNS1_3genE10ELNS1_11target_archE1201ELNS1_3gpuE5ELNS1_3repE0EEENS1_30default_config_static_selectorELNS0_4arch9wavefront6targetE0EEEvT1_.num_named_barrier, 0
	.set _ZN7rocprim17ROCPRIM_400000_NS6detail17trampoline_kernelINS0_14default_configENS1_27scan_by_key_config_selectorIiiEEZZNS1_16scan_by_key_implILNS1_25lookback_scan_determinismE0ELb1ES3_N6thrust23THRUST_200600_302600_NS6detail15normal_iteratorINS9_10device_ptrIiEEEESE_SE_iNS9_4plusIvEENS9_8equal_toIiEEiEE10hipError_tPvRmT2_T3_T4_T5_mT6_T7_P12ihipStream_tbENKUlT_T0_E_clISt17integral_constantIbLb1EESZ_EEDaSU_SV_EUlSU_E_NS1_11comp_targetILNS1_3genE10ELNS1_11target_archE1201ELNS1_3gpuE5ELNS1_3repE0EEENS1_30default_config_static_selectorELNS0_4arch9wavefront6targetE0EEEvT1_.private_seg_size, 0
	.set _ZN7rocprim17ROCPRIM_400000_NS6detail17trampoline_kernelINS0_14default_configENS1_27scan_by_key_config_selectorIiiEEZZNS1_16scan_by_key_implILNS1_25lookback_scan_determinismE0ELb1ES3_N6thrust23THRUST_200600_302600_NS6detail15normal_iteratorINS9_10device_ptrIiEEEESE_SE_iNS9_4plusIvEENS9_8equal_toIiEEiEE10hipError_tPvRmT2_T3_T4_T5_mT6_T7_P12ihipStream_tbENKUlT_T0_E_clISt17integral_constantIbLb1EESZ_EEDaSU_SV_EUlSU_E_NS1_11comp_targetILNS1_3genE10ELNS1_11target_archE1201ELNS1_3gpuE5ELNS1_3repE0EEENS1_30default_config_static_selectorELNS0_4arch9wavefront6targetE0EEEvT1_.uses_vcc, 0
	.set _ZN7rocprim17ROCPRIM_400000_NS6detail17trampoline_kernelINS0_14default_configENS1_27scan_by_key_config_selectorIiiEEZZNS1_16scan_by_key_implILNS1_25lookback_scan_determinismE0ELb1ES3_N6thrust23THRUST_200600_302600_NS6detail15normal_iteratorINS9_10device_ptrIiEEEESE_SE_iNS9_4plusIvEENS9_8equal_toIiEEiEE10hipError_tPvRmT2_T3_T4_T5_mT6_T7_P12ihipStream_tbENKUlT_T0_E_clISt17integral_constantIbLb1EESZ_EEDaSU_SV_EUlSU_E_NS1_11comp_targetILNS1_3genE10ELNS1_11target_archE1201ELNS1_3gpuE5ELNS1_3repE0EEENS1_30default_config_static_selectorELNS0_4arch9wavefront6targetE0EEEvT1_.uses_flat_scratch, 0
	.set _ZN7rocprim17ROCPRIM_400000_NS6detail17trampoline_kernelINS0_14default_configENS1_27scan_by_key_config_selectorIiiEEZZNS1_16scan_by_key_implILNS1_25lookback_scan_determinismE0ELb1ES3_N6thrust23THRUST_200600_302600_NS6detail15normal_iteratorINS9_10device_ptrIiEEEESE_SE_iNS9_4plusIvEENS9_8equal_toIiEEiEE10hipError_tPvRmT2_T3_T4_T5_mT6_T7_P12ihipStream_tbENKUlT_T0_E_clISt17integral_constantIbLb1EESZ_EEDaSU_SV_EUlSU_E_NS1_11comp_targetILNS1_3genE10ELNS1_11target_archE1201ELNS1_3gpuE5ELNS1_3repE0EEENS1_30default_config_static_selectorELNS0_4arch9wavefront6targetE0EEEvT1_.has_dyn_sized_stack, 0
	.set _ZN7rocprim17ROCPRIM_400000_NS6detail17trampoline_kernelINS0_14default_configENS1_27scan_by_key_config_selectorIiiEEZZNS1_16scan_by_key_implILNS1_25lookback_scan_determinismE0ELb1ES3_N6thrust23THRUST_200600_302600_NS6detail15normal_iteratorINS9_10device_ptrIiEEEESE_SE_iNS9_4plusIvEENS9_8equal_toIiEEiEE10hipError_tPvRmT2_T3_T4_T5_mT6_T7_P12ihipStream_tbENKUlT_T0_E_clISt17integral_constantIbLb1EESZ_EEDaSU_SV_EUlSU_E_NS1_11comp_targetILNS1_3genE10ELNS1_11target_archE1201ELNS1_3gpuE5ELNS1_3repE0EEENS1_30default_config_static_selectorELNS0_4arch9wavefront6targetE0EEEvT1_.has_recursion, 0
	.set _ZN7rocprim17ROCPRIM_400000_NS6detail17trampoline_kernelINS0_14default_configENS1_27scan_by_key_config_selectorIiiEEZZNS1_16scan_by_key_implILNS1_25lookback_scan_determinismE0ELb1ES3_N6thrust23THRUST_200600_302600_NS6detail15normal_iteratorINS9_10device_ptrIiEEEESE_SE_iNS9_4plusIvEENS9_8equal_toIiEEiEE10hipError_tPvRmT2_T3_T4_T5_mT6_T7_P12ihipStream_tbENKUlT_T0_E_clISt17integral_constantIbLb1EESZ_EEDaSU_SV_EUlSU_E_NS1_11comp_targetILNS1_3genE10ELNS1_11target_archE1201ELNS1_3gpuE5ELNS1_3repE0EEENS1_30default_config_static_selectorELNS0_4arch9wavefront6targetE0EEEvT1_.has_indirect_call, 0
	.section	.AMDGPU.csdata,"",@progbits
; Kernel info:
; codeLenInByte = 0
; TotalNumSgprs: 0
; NumVgprs: 0
; ScratchSize: 0
; MemoryBound: 0
; FloatMode: 240
; IeeeMode: 1
; LDSByteSize: 0 bytes/workgroup (compile time only)
; SGPRBlocks: 0
; VGPRBlocks: 0
; NumSGPRsForWavesPerEU: 1
; NumVGPRsForWavesPerEU: 1
; NamedBarCnt: 0
; Occupancy: 16
; WaveLimiterHint : 0
; COMPUTE_PGM_RSRC2:SCRATCH_EN: 0
; COMPUTE_PGM_RSRC2:USER_SGPR: 2
; COMPUTE_PGM_RSRC2:TRAP_HANDLER: 0
; COMPUTE_PGM_RSRC2:TGID_X_EN: 1
; COMPUTE_PGM_RSRC2:TGID_Y_EN: 0
; COMPUTE_PGM_RSRC2:TGID_Z_EN: 0
; COMPUTE_PGM_RSRC2:TIDIG_COMP_CNT: 0
	.section	.text._ZN7rocprim17ROCPRIM_400000_NS6detail17trampoline_kernelINS0_14default_configENS1_27scan_by_key_config_selectorIiiEEZZNS1_16scan_by_key_implILNS1_25lookback_scan_determinismE0ELb1ES3_N6thrust23THRUST_200600_302600_NS6detail15normal_iteratorINS9_10device_ptrIiEEEESE_SE_iNS9_4plusIvEENS9_8equal_toIiEEiEE10hipError_tPvRmT2_T3_T4_T5_mT6_T7_P12ihipStream_tbENKUlT_T0_E_clISt17integral_constantIbLb1EESZ_EEDaSU_SV_EUlSU_E_NS1_11comp_targetILNS1_3genE5ELNS1_11target_archE942ELNS1_3gpuE9ELNS1_3repE0EEENS1_30default_config_static_selectorELNS0_4arch9wavefront6targetE0EEEvT1_,"axG",@progbits,_ZN7rocprim17ROCPRIM_400000_NS6detail17trampoline_kernelINS0_14default_configENS1_27scan_by_key_config_selectorIiiEEZZNS1_16scan_by_key_implILNS1_25lookback_scan_determinismE0ELb1ES3_N6thrust23THRUST_200600_302600_NS6detail15normal_iteratorINS9_10device_ptrIiEEEESE_SE_iNS9_4plusIvEENS9_8equal_toIiEEiEE10hipError_tPvRmT2_T3_T4_T5_mT6_T7_P12ihipStream_tbENKUlT_T0_E_clISt17integral_constantIbLb1EESZ_EEDaSU_SV_EUlSU_E_NS1_11comp_targetILNS1_3genE5ELNS1_11target_archE942ELNS1_3gpuE9ELNS1_3repE0EEENS1_30default_config_static_selectorELNS0_4arch9wavefront6targetE0EEEvT1_,comdat
	.protected	_ZN7rocprim17ROCPRIM_400000_NS6detail17trampoline_kernelINS0_14default_configENS1_27scan_by_key_config_selectorIiiEEZZNS1_16scan_by_key_implILNS1_25lookback_scan_determinismE0ELb1ES3_N6thrust23THRUST_200600_302600_NS6detail15normal_iteratorINS9_10device_ptrIiEEEESE_SE_iNS9_4plusIvEENS9_8equal_toIiEEiEE10hipError_tPvRmT2_T3_T4_T5_mT6_T7_P12ihipStream_tbENKUlT_T0_E_clISt17integral_constantIbLb1EESZ_EEDaSU_SV_EUlSU_E_NS1_11comp_targetILNS1_3genE5ELNS1_11target_archE942ELNS1_3gpuE9ELNS1_3repE0EEENS1_30default_config_static_selectorELNS0_4arch9wavefront6targetE0EEEvT1_ ; -- Begin function _ZN7rocprim17ROCPRIM_400000_NS6detail17trampoline_kernelINS0_14default_configENS1_27scan_by_key_config_selectorIiiEEZZNS1_16scan_by_key_implILNS1_25lookback_scan_determinismE0ELb1ES3_N6thrust23THRUST_200600_302600_NS6detail15normal_iteratorINS9_10device_ptrIiEEEESE_SE_iNS9_4plusIvEENS9_8equal_toIiEEiEE10hipError_tPvRmT2_T3_T4_T5_mT6_T7_P12ihipStream_tbENKUlT_T0_E_clISt17integral_constantIbLb1EESZ_EEDaSU_SV_EUlSU_E_NS1_11comp_targetILNS1_3genE5ELNS1_11target_archE942ELNS1_3gpuE9ELNS1_3repE0EEENS1_30default_config_static_selectorELNS0_4arch9wavefront6targetE0EEEvT1_
	.globl	_ZN7rocprim17ROCPRIM_400000_NS6detail17trampoline_kernelINS0_14default_configENS1_27scan_by_key_config_selectorIiiEEZZNS1_16scan_by_key_implILNS1_25lookback_scan_determinismE0ELb1ES3_N6thrust23THRUST_200600_302600_NS6detail15normal_iteratorINS9_10device_ptrIiEEEESE_SE_iNS9_4plusIvEENS9_8equal_toIiEEiEE10hipError_tPvRmT2_T3_T4_T5_mT6_T7_P12ihipStream_tbENKUlT_T0_E_clISt17integral_constantIbLb1EESZ_EEDaSU_SV_EUlSU_E_NS1_11comp_targetILNS1_3genE5ELNS1_11target_archE942ELNS1_3gpuE9ELNS1_3repE0EEENS1_30default_config_static_selectorELNS0_4arch9wavefront6targetE0EEEvT1_
	.p2align	8
	.type	_ZN7rocprim17ROCPRIM_400000_NS6detail17trampoline_kernelINS0_14default_configENS1_27scan_by_key_config_selectorIiiEEZZNS1_16scan_by_key_implILNS1_25lookback_scan_determinismE0ELb1ES3_N6thrust23THRUST_200600_302600_NS6detail15normal_iteratorINS9_10device_ptrIiEEEESE_SE_iNS9_4plusIvEENS9_8equal_toIiEEiEE10hipError_tPvRmT2_T3_T4_T5_mT6_T7_P12ihipStream_tbENKUlT_T0_E_clISt17integral_constantIbLb1EESZ_EEDaSU_SV_EUlSU_E_NS1_11comp_targetILNS1_3genE5ELNS1_11target_archE942ELNS1_3gpuE9ELNS1_3repE0EEENS1_30default_config_static_selectorELNS0_4arch9wavefront6targetE0EEEvT1_,@function
_ZN7rocprim17ROCPRIM_400000_NS6detail17trampoline_kernelINS0_14default_configENS1_27scan_by_key_config_selectorIiiEEZZNS1_16scan_by_key_implILNS1_25lookback_scan_determinismE0ELb1ES3_N6thrust23THRUST_200600_302600_NS6detail15normal_iteratorINS9_10device_ptrIiEEEESE_SE_iNS9_4plusIvEENS9_8equal_toIiEEiEE10hipError_tPvRmT2_T3_T4_T5_mT6_T7_P12ihipStream_tbENKUlT_T0_E_clISt17integral_constantIbLb1EESZ_EEDaSU_SV_EUlSU_E_NS1_11comp_targetILNS1_3genE5ELNS1_11target_archE942ELNS1_3gpuE9ELNS1_3repE0EEENS1_30default_config_static_selectorELNS0_4arch9wavefront6targetE0EEEvT1_: ; @_ZN7rocprim17ROCPRIM_400000_NS6detail17trampoline_kernelINS0_14default_configENS1_27scan_by_key_config_selectorIiiEEZZNS1_16scan_by_key_implILNS1_25lookback_scan_determinismE0ELb1ES3_N6thrust23THRUST_200600_302600_NS6detail15normal_iteratorINS9_10device_ptrIiEEEESE_SE_iNS9_4plusIvEENS9_8equal_toIiEEiEE10hipError_tPvRmT2_T3_T4_T5_mT6_T7_P12ihipStream_tbENKUlT_T0_E_clISt17integral_constantIbLb1EESZ_EEDaSU_SV_EUlSU_E_NS1_11comp_targetILNS1_3genE5ELNS1_11target_archE942ELNS1_3gpuE9ELNS1_3repE0EEENS1_30default_config_static_selectorELNS0_4arch9wavefront6targetE0EEEvT1_
; %bb.0:
	.section	.rodata,"a",@progbits
	.p2align	6, 0x0
	.amdhsa_kernel _ZN7rocprim17ROCPRIM_400000_NS6detail17trampoline_kernelINS0_14default_configENS1_27scan_by_key_config_selectorIiiEEZZNS1_16scan_by_key_implILNS1_25lookback_scan_determinismE0ELb1ES3_N6thrust23THRUST_200600_302600_NS6detail15normal_iteratorINS9_10device_ptrIiEEEESE_SE_iNS9_4plusIvEENS9_8equal_toIiEEiEE10hipError_tPvRmT2_T3_T4_T5_mT6_T7_P12ihipStream_tbENKUlT_T0_E_clISt17integral_constantIbLb1EESZ_EEDaSU_SV_EUlSU_E_NS1_11comp_targetILNS1_3genE5ELNS1_11target_archE942ELNS1_3gpuE9ELNS1_3repE0EEENS1_30default_config_static_selectorELNS0_4arch9wavefront6targetE0EEEvT1_
		.amdhsa_group_segment_fixed_size 0
		.amdhsa_private_segment_fixed_size 0
		.amdhsa_kernarg_size 112
		.amdhsa_user_sgpr_count 2
		.amdhsa_user_sgpr_dispatch_ptr 0
		.amdhsa_user_sgpr_queue_ptr 0
		.amdhsa_user_sgpr_kernarg_segment_ptr 1
		.amdhsa_user_sgpr_dispatch_id 0
		.amdhsa_user_sgpr_kernarg_preload_length 0
		.amdhsa_user_sgpr_kernarg_preload_offset 0
		.amdhsa_user_sgpr_private_segment_size 0
		.amdhsa_wavefront_size32 1
		.amdhsa_uses_dynamic_stack 0
		.amdhsa_enable_private_segment 0
		.amdhsa_system_sgpr_workgroup_id_x 1
		.amdhsa_system_sgpr_workgroup_id_y 0
		.amdhsa_system_sgpr_workgroup_id_z 0
		.amdhsa_system_sgpr_workgroup_info 0
		.amdhsa_system_vgpr_workitem_id 0
		.amdhsa_next_free_vgpr 1
		.amdhsa_next_free_sgpr 1
		.amdhsa_named_barrier_count 0
		.amdhsa_reserve_vcc 0
		.amdhsa_float_round_mode_32 0
		.amdhsa_float_round_mode_16_64 0
		.amdhsa_float_denorm_mode_32 3
		.amdhsa_float_denorm_mode_16_64 3
		.amdhsa_fp16_overflow 0
		.amdhsa_memory_ordered 1
		.amdhsa_forward_progress 1
		.amdhsa_inst_pref_size 0
		.amdhsa_round_robin_scheduling 0
		.amdhsa_exception_fp_ieee_invalid_op 0
		.amdhsa_exception_fp_denorm_src 0
		.amdhsa_exception_fp_ieee_div_zero 0
		.amdhsa_exception_fp_ieee_overflow 0
		.amdhsa_exception_fp_ieee_underflow 0
		.amdhsa_exception_fp_ieee_inexact 0
		.amdhsa_exception_int_div_zero 0
	.end_amdhsa_kernel
	.section	.text._ZN7rocprim17ROCPRIM_400000_NS6detail17trampoline_kernelINS0_14default_configENS1_27scan_by_key_config_selectorIiiEEZZNS1_16scan_by_key_implILNS1_25lookback_scan_determinismE0ELb1ES3_N6thrust23THRUST_200600_302600_NS6detail15normal_iteratorINS9_10device_ptrIiEEEESE_SE_iNS9_4plusIvEENS9_8equal_toIiEEiEE10hipError_tPvRmT2_T3_T4_T5_mT6_T7_P12ihipStream_tbENKUlT_T0_E_clISt17integral_constantIbLb1EESZ_EEDaSU_SV_EUlSU_E_NS1_11comp_targetILNS1_3genE5ELNS1_11target_archE942ELNS1_3gpuE9ELNS1_3repE0EEENS1_30default_config_static_selectorELNS0_4arch9wavefront6targetE0EEEvT1_,"axG",@progbits,_ZN7rocprim17ROCPRIM_400000_NS6detail17trampoline_kernelINS0_14default_configENS1_27scan_by_key_config_selectorIiiEEZZNS1_16scan_by_key_implILNS1_25lookback_scan_determinismE0ELb1ES3_N6thrust23THRUST_200600_302600_NS6detail15normal_iteratorINS9_10device_ptrIiEEEESE_SE_iNS9_4plusIvEENS9_8equal_toIiEEiEE10hipError_tPvRmT2_T3_T4_T5_mT6_T7_P12ihipStream_tbENKUlT_T0_E_clISt17integral_constantIbLb1EESZ_EEDaSU_SV_EUlSU_E_NS1_11comp_targetILNS1_3genE5ELNS1_11target_archE942ELNS1_3gpuE9ELNS1_3repE0EEENS1_30default_config_static_selectorELNS0_4arch9wavefront6targetE0EEEvT1_,comdat
.Lfunc_end544:
	.size	_ZN7rocprim17ROCPRIM_400000_NS6detail17trampoline_kernelINS0_14default_configENS1_27scan_by_key_config_selectorIiiEEZZNS1_16scan_by_key_implILNS1_25lookback_scan_determinismE0ELb1ES3_N6thrust23THRUST_200600_302600_NS6detail15normal_iteratorINS9_10device_ptrIiEEEESE_SE_iNS9_4plusIvEENS9_8equal_toIiEEiEE10hipError_tPvRmT2_T3_T4_T5_mT6_T7_P12ihipStream_tbENKUlT_T0_E_clISt17integral_constantIbLb1EESZ_EEDaSU_SV_EUlSU_E_NS1_11comp_targetILNS1_3genE5ELNS1_11target_archE942ELNS1_3gpuE9ELNS1_3repE0EEENS1_30default_config_static_selectorELNS0_4arch9wavefront6targetE0EEEvT1_, .Lfunc_end544-_ZN7rocprim17ROCPRIM_400000_NS6detail17trampoline_kernelINS0_14default_configENS1_27scan_by_key_config_selectorIiiEEZZNS1_16scan_by_key_implILNS1_25lookback_scan_determinismE0ELb1ES3_N6thrust23THRUST_200600_302600_NS6detail15normal_iteratorINS9_10device_ptrIiEEEESE_SE_iNS9_4plusIvEENS9_8equal_toIiEEiEE10hipError_tPvRmT2_T3_T4_T5_mT6_T7_P12ihipStream_tbENKUlT_T0_E_clISt17integral_constantIbLb1EESZ_EEDaSU_SV_EUlSU_E_NS1_11comp_targetILNS1_3genE5ELNS1_11target_archE942ELNS1_3gpuE9ELNS1_3repE0EEENS1_30default_config_static_selectorELNS0_4arch9wavefront6targetE0EEEvT1_
                                        ; -- End function
	.set _ZN7rocprim17ROCPRIM_400000_NS6detail17trampoline_kernelINS0_14default_configENS1_27scan_by_key_config_selectorIiiEEZZNS1_16scan_by_key_implILNS1_25lookback_scan_determinismE0ELb1ES3_N6thrust23THRUST_200600_302600_NS6detail15normal_iteratorINS9_10device_ptrIiEEEESE_SE_iNS9_4plusIvEENS9_8equal_toIiEEiEE10hipError_tPvRmT2_T3_T4_T5_mT6_T7_P12ihipStream_tbENKUlT_T0_E_clISt17integral_constantIbLb1EESZ_EEDaSU_SV_EUlSU_E_NS1_11comp_targetILNS1_3genE5ELNS1_11target_archE942ELNS1_3gpuE9ELNS1_3repE0EEENS1_30default_config_static_selectorELNS0_4arch9wavefront6targetE0EEEvT1_.num_vgpr, 0
	.set _ZN7rocprim17ROCPRIM_400000_NS6detail17trampoline_kernelINS0_14default_configENS1_27scan_by_key_config_selectorIiiEEZZNS1_16scan_by_key_implILNS1_25lookback_scan_determinismE0ELb1ES3_N6thrust23THRUST_200600_302600_NS6detail15normal_iteratorINS9_10device_ptrIiEEEESE_SE_iNS9_4plusIvEENS9_8equal_toIiEEiEE10hipError_tPvRmT2_T3_T4_T5_mT6_T7_P12ihipStream_tbENKUlT_T0_E_clISt17integral_constantIbLb1EESZ_EEDaSU_SV_EUlSU_E_NS1_11comp_targetILNS1_3genE5ELNS1_11target_archE942ELNS1_3gpuE9ELNS1_3repE0EEENS1_30default_config_static_selectorELNS0_4arch9wavefront6targetE0EEEvT1_.num_agpr, 0
	.set _ZN7rocprim17ROCPRIM_400000_NS6detail17trampoline_kernelINS0_14default_configENS1_27scan_by_key_config_selectorIiiEEZZNS1_16scan_by_key_implILNS1_25lookback_scan_determinismE0ELb1ES3_N6thrust23THRUST_200600_302600_NS6detail15normal_iteratorINS9_10device_ptrIiEEEESE_SE_iNS9_4plusIvEENS9_8equal_toIiEEiEE10hipError_tPvRmT2_T3_T4_T5_mT6_T7_P12ihipStream_tbENKUlT_T0_E_clISt17integral_constantIbLb1EESZ_EEDaSU_SV_EUlSU_E_NS1_11comp_targetILNS1_3genE5ELNS1_11target_archE942ELNS1_3gpuE9ELNS1_3repE0EEENS1_30default_config_static_selectorELNS0_4arch9wavefront6targetE0EEEvT1_.numbered_sgpr, 0
	.set _ZN7rocprim17ROCPRIM_400000_NS6detail17trampoline_kernelINS0_14default_configENS1_27scan_by_key_config_selectorIiiEEZZNS1_16scan_by_key_implILNS1_25lookback_scan_determinismE0ELb1ES3_N6thrust23THRUST_200600_302600_NS6detail15normal_iteratorINS9_10device_ptrIiEEEESE_SE_iNS9_4plusIvEENS9_8equal_toIiEEiEE10hipError_tPvRmT2_T3_T4_T5_mT6_T7_P12ihipStream_tbENKUlT_T0_E_clISt17integral_constantIbLb1EESZ_EEDaSU_SV_EUlSU_E_NS1_11comp_targetILNS1_3genE5ELNS1_11target_archE942ELNS1_3gpuE9ELNS1_3repE0EEENS1_30default_config_static_selectorELNS0_4arch9wavefront6targetE0EEEvT1_.num_named_barrier, 0
	.set _ZN7rocprim17ROCPRIM_400000_NS6detail17trampoline_kernelINS0_14default_configENS1_27scan_by_key_config_selectorIiiEEZZNS1_16scan_by_key_implILNS1_25lookback_scan_determinismE0ELb1ES3_N6thrust23THRUST_200600_302600_NS6detail15normal_iteratorINS9_10device_ptrIiEEEESE_SE_iNS9_4plusIvEENS9_8equal_toIiEEiEE10hipError_tPvRmT2_T3_T4_T5_mT6_T7_P12ihipStream_tbENKUlT_T0_E_clISt17integral_constantIbLb1EESZ_EEDaSU_SV_EUlSU_E_NS1_11comp_targetILNS1_3genE5ELNS1_11target_archE942ELNS1_3gpuE9ELNS1_3repE0EEENS1_30default_config_static_selectorELNS0_4arch9wavefront6targetE0EEEvT1_.private_seg_size, 0
	.set _ZN7rocprim17ROCPRIM_400000_NS6detail17trampoline_kernelINS0_14default_configENS1_27scan_by_key_config_selectorIiiEEZZNS1_16scan_by_key_implILNS1_25lookback_scan_determinismE0ELb1ES3_N6thrust23THRUST_200600_302600_NS6detail15normal_iteratorINS9_10device_ptrIiEEEESE_SE_iNS9_4plusIvEENS9_8equal_toIiEEiEE10hipError_tPvRmT2_T3_T4_T5_mT6_T7_P12ihipStream_tbENKUlT_T0_E_clISt17integral_constantIbLb1EESZ_EEDaSU_SV_EUlSU_E_NS1_11comp_targetILNS1_3genE5ELNS1_11target_archE942ELNS1_3gpuE9ELNS1_3repE0EEENS1_30default_config_static_selectorELNS0_4arch9wavefront6targetE0EEEvT1_.uses_vcc, 0
	.set _ZN7rocprim17ROCPRIM_400000_NS6detail17trampoline_kernelINS0_14default_configENS1_27scan_by_key_config_selectorIiiEEZZNS1_16scan_by_key_implILNS1_25lookback_scan_determinismE0ELb1ES3_N6thrust23THRUST_200600_302600_NS6detail15normal_iteratorINS9_10device_ptrIiEEEESE_SE_iNS9_4plusIvEENS9_8equal_toIiEEiEE10hipError_tPvRmT2_T3_T4_T5_mT6_T7_P12ihipStream_tbENKUlT_T0_E_clISt17integral_constantIbLb1EESZ_EEDaSU_SV_EUlSU_E_NS1_11comp_targetILNS1_3genE5ELNS1_11target_archE942ELNS1_3gpuE9ELNS1_3repE0EEENS1_30default_config_static_selectorELNS0_4arch9wavefront6targetE0EEEvT1_.uses_flat_scratch, 0
	.set _ZN7rocprim17ROCPRIM_400000_NS6detail17trampoline_kernelINS0_14default_configENS1_27scan_by_key_config_selectorIiiEEZZNS1_16scan_by_key_implILNS1_25lookback_scan_determinismE0ELb1ES3_N6thrust23THRUST_200600_302600_NS6detail15normal_iteratorINS9_10device_ptrIiEEEESE_SE_iNS9_4plusIvEENS9_8equal_toIiEEiEE10hipError_tPvRmT2_T3_T4_T5_mT6_T7_P12ihipStream_tbENKUlT_T0_E_clISt17integral_constantIbLb1EESZ_EEDaSU_SV_EUlSU_E_NS1_11comp_targetILNS1_3genE5ELNS1_11target_archE942ELNS1_3gpuE9ELNS1_3repE0EEENS1_30default_config_static_selectorELNS0_4arch9wavefront6targetE0EEEvT1_.has_dyn_sized_stack, 0
	.set _ZN7rocprim17ROCPRIM_400000_NS6detail17trampoline_kernelINS0_14default_configENS1_27scan_by_key_config_selectorIiiEEZZNS1_16scan_by_key_implILNS1_25lookback_scan_determinismE0ELb1ES3_N6thrust23THRUST_200600_302600_NS6detail15normal_iteratorINS9_10device_ptrIiEEEESE_SE_iNS9_4plusIvEENS9_8equal_toIiEEiEE10hipError_tPvRmT2_T3_T4_T5_mT6_T7_P12ihipStream_tbENKUlT_T0_E_clISt17integral_constantIbLb1EESZ_EEDaSU_SV_EUlSU_E_NS1_11comp_targetILNS1_3genE5ELNS1_11target_archE942ELNS1_3gpuE9ELNS1_3repE0EEENS1_30default_config_static_selectorELNS0_4arch9wavefront6targetE0EEEvT1_.has_recursion, 0
	.set _ZN7rocprim17ROCPRIM_400000_NS6detail17trampoline_kernelINS0_14default_configENS1_27scan_by_key_config_selectorIiiEEZZNS1_16scan_by_key_implILNS1_25lookback_scan_determinismE0ELb1ES3_N6thrust23THRUST_200600_302600_NS6detail15normal_iteratorINS9_10device_ptrIiEEEESE_SE_iNS9_4plusIvEENS9_8equal_toIiEEiEE10hipError_tPvRmT2_T3_T4_T5_mT6_T7_P12ihipStream_tbENKUlT_T0_E_clISt17integral_constantIbLb1EESZ_EEDaSU_SV_EUlSU_E_NS1_11comp_targetILNS1_3genE5ELNS1_11target_archE942ELNS1_3gpuE9ELNS1_3repE0EEENS1_30default_config_static_selectorELNS0_4arch9wavefront6targetE0EEEvT1_.has_indirect_call, 0
	.section	.AMDGPU.csdata,"",@progbits
; Kernel info:
; codeLenInByte = 0
; TotalNumSgprs: 0
; NumVgprs: 0
; ScratchSize: 0
; MemoryBound: 0
; FloatMode: 240
; IeeeMode: 1
; LDSByteSize: 0 bytes/workgroup (compile time only)
; SGPRBlocks: 0
; VGPRBlocks: 0
; NumSGPRsForWavesPerEU: 1
; NumVGPRsForWavesPerEU: 1
; NamedBarCnt: 0
; Occupancy: 16
; WaveLimiterHint : 0
; COMPUTE_PGM_RSRC2:SCRATCH_EN: 0
; COMPUTE_PGM_RSRC2:USER_SGPR: 2
; COMPUTE_PGM_RSRC2:TRAP_HANDLER: 0
; COMPUTE_PGM_RSRC2:TGID_X_EN: 1
; COMPUTE_PGM_RSRC2:TGID_Y_EN: 0
; COMPUTE_PGM_RSRC2:TGID_Z_EN: 0
; COMPUTE_PGM_RSRC2:TIDIG_COMP_CNT: 0
	.section	.text._ZN7rocprim17ROCPRIM_400000_NS6detail17trampoline_kernelINS0_14default_configENS1_27scan_by_key_config_selectorIiiEEZZNS1_16scan_by_key_implILNS1_25lookback_scan_determinismE0ELb1ES3_N6thrust23THRUST_200600_302600_NS6detail15normal_iteratorINS9_10device_ptrIiEEEESE_SE_iNS9_4plusIvEENS9_8equal_toIiEEiEE10hipError_tPvRmT2_T3_T4_T5_mT6_T7_P12ihipStream_tbENKUlT_T0_E_clISt17integral_constantIbLb1EESZ_EEDaSU_SV_EUlSU_E_NS1_11comp_targetILNS1_3genE4ELNS1_11target_archE910ELNS1_3gpuE8ELNS1_3repE0EEENS1_30default_config_static_selectorELNS0_4arch9wavefront6targetE0EEEvT1_,"axG",@progbits,_ZN7rocprim17ROCPRIM_400000_NS6detail17trampoline_kernelINS0_14default_configENS1_27scan_by_key_config_selectorIiiEEZZNS1_16scan_by_key_implILNS1_25lookback_scan_determinismE0ELb1ES3_N6thrust23THRUST_200600_302600_NS6detail15normal_iteratorINS9_10device_ptrIiEEEESE_SE_iNS9_4plusIvEENS9_8equal_toIiEEiEE10hipError_tPvRmT2_T3_T4_T5_mT6_T7_P12ihipStream_tbENKUlT_T0_E_clISt17integral_constantIbLb1EESZ_EEDaSU_SV_EUlSU_E_NS1_11comp_targetILNS1_3genE4ELNS1_11target_archE910ELNS1_3gpuE8ELNS1_3repE0EEENS1_30default_config_static_selectorELNS0_4arch9wavefront6targetE0EEEvT1_,comdat
	.protected	_ZN7rocprim17ROCPRIM_400000_NS6detail17trampoline_kernelINS0_14default_configENS1_27scan_by_key_config_selectorIiiEEZZNS1_16scan_by_key_implILNS1_25lookback_scan_determinismE0ELb1ES3_N6thrust23THRUST_200600_302600_NS6detail15normal_iteratorINS9_10device_ptrIiEEEESE_SE_iNS9_4plusIvEENS9_8equal_toIiEEiEE10hipError_tPvRmT2_T3_T4_T5_mT6_T7_P12ihipStream_tbENKUlT_T0_E_clISt17integral_constantIbLb1EESZ_EEDaSU_SV_EUlSU_E_NS1_11comp_targetILNS1_3genE4ELNS1_11target_archE910ELNS1_3gpuE8ELNS1_3repE0EEENS1_30default_config_static_selectorELNS0_4arch9wavefront6targetE0EEEvT1_ ; -- Begin function _ZN7rocprim17ROCPRIM_400000_NS6detail17trampoline_kernelINS0_14default_configENS1_27scan_by_key_config_selectorIiiEEZZNS1_16scan_by_key_implILNS1_25lookback_scan_determinismE0ELb1ES3_N6thrust23THRUST_200600_302600_NS6detail15normal_iteratorINS9_10device_ptrIiEEEESE_SE_iNS9_4plusIvEENS9_8equal_toIiEEiEE10hipError_tPvRmT2_T3_T4_T5_mT6_T7_P12ihipStream_tbENKUlT_T0_E_clISt17integral_constantIbLb1EESZ_EEDaSU_SV_EUlSU_E_NS1_11comp_targetILNS1_3genE4ELNS1_11target_archE910ELNS1_3gpuE8ELNS1_3repE0EEENS1_30default_config_static_selectorELNS0_4arch9wavefront6targetE0EEEvT1_
	.globl	_ZN7rocprim17ROCPRIM_400000_NS6detail17trampoline_kernelINS0_14default_configENS1_27scan_by_key_config_selectorIiiEEZZNS1_16scan_by_key_implILNS1_25lookback_scan_determinismE0ELb1ES3_N6thrust23THRUST_200600_302600_NS6detail15normal_iteratorINS9_10device_ptrIiEEEESE_SE_iNS9_4plusIvEENS9_8equal_toIiEEiEE10hipError_tPvRmT2_T3_T4_T5_mT6_T7_P12ihipStream_tbENKUlT_T0_E_clISt17integral_constantIbLb1EESZ_EEDaSU_SV_EUlSU_E_NS1_11comp_targetILNS1_3genE4ELNS1_11target_archE910ELNS1_3gpuE8ELNS1_3repE0EEENS1_30default_config_static_selectorELNS0_4arch9wavefront6targetE0EEEvT1_
	.p2align	8
	.type	_ZN7rocprim17ROCPRIM_400000_NS6detail17trampoline_kernelINS0_14default_configENS1_27scan_by_key_config_selectorIiiEEZZNS1_16scan_by_key_implILNS1_25lookback_scan_determinismE0ELb1ES3_N6thrust23THRUST_200600_302600_NS6detail15normal_iteratorINS9_10device_ptrIiEEEESE_SE_iNS9_4plusIvEENS9_8equal_toIiEEiEE10hipError_tPvRmT2_T3_T4_T5_mT6_T7_P12ihipStream_tbENKUlT_T0_E_clISt17integral_constantIbLb1EESZ_EEDaSU_SV_EUlSU_E_NS1_11comp_targetILNS1_3genE4ELNS1_11target_archE910ELNS1_3gpuE8ELNS1_3repE0EEENS1_30default_config_static_selectorELNS0_4arch9wavefront6targetE0EEEvT1_,@function
_ZN7rocprim17ROCPRIM_400000_NS6detail17trampoline_kernelINS0_14default_configENS1_27scan_by_key_config_selectorIiiEEZZNS1_16scan_by_key_implILNS1_25lookback_scan_determinismE0ELb1ES3_N6thrust23THRUST_200600_302600_NS6detail15normal_iteratorINS9_10device_ptrIiEEEESE_SE_iNS9_4plusIvEENS9_8equal_toIiEEiEE10hipError_tPvRmT2_T3_T4_T5_mT6_T7_P12ihipStream_tbENKUlT_T0_E_clISt17integral_constantIbLb1EESZ_EEDaSU_SV_EUlSU_E_NS1_11comp_targetILNS1_3genE4ELNS1_11target_archE910ELNS1_3gpuE8ELNS1_3repE0EEENS1_30default_config_static_selectorELNS0_4arch9wavefront6targetE0EEEvT1_: ; @_ZN7rocprim17ROCPRIM_400000_NS6detail17trampoline_kernelINS0_14default_configENS1_27scan_by_key_config_selectorIiiEEZZNS1_16scan_by_key_implILNS1_25lookback_scan_determinismE0ELb1ES3_N6thrust23THRUST_200600_302600_NS6detail15normal_iteratorINS9_10device_ptrIiEEEESE_SE_iNS9_4plusIvEENS9_8equal_toIiEEiEE10hipError_tPvRmT2_T3_T4_T5_mT6_T7_P12ihipStream_tbENKUlT_T0_E_clISt17integral_constantIbLb1EESZ_EEDaSU_SV_EUlSU_E_NS1_11comp_targetILNS1_3genE4ELNS1_11target_archE910ELNS1_3gpuE8ELNS1_3repE0EEENS1_30default_config_static_selectorELNS0_4arch9wavefront6targetE0EEEvT1_
; %bb.0:
	.section	.rodata,"a",@progbits
	.p2align	6, 0x0
	.amdhsa_kernel _ZN7rocprim17ROCPRIM_400000_NS6detail17trampoline_kernelINS0_14default_configENS1_27scan_by_key_config_selectorIiiEEZZNS1_16scan_by_key_implILNS1_25lookback_scan_determinismE0ELb1ES3_N6thrust23THRUST_200600_302600_NS6detail15normal_iteratorINS9_10device_ptrIiEEEESE_SE_iNS9_4plusIvEENS9_8equal_toIiEEiEE10hipError_tPvRmT2_T3_T4_T5_mT6_T7_P12ihipStream_tbENKUlT_T0_E_clISt17integral_constantIbLb1EESZ_EEDaSU_SV_EUlSU_E_NS1_11comp_targetILNS1_3genE4ELNS1_11target_archE910ELNS1_3gpuE8ELNS1_3repE0EEENS1_30default_config_static_selectorELNS0_4arch9wavefront6targetE0EEEvT1_
		.amdhsa_group_segment_fixed_size 0
		.amdhsa_private_segment_fixed_size 0
		.amdhsa_kernarg_size 112
		.amdhsa_user_sgpr_count 2
		.amdhsa_user_sgpr_dispatch_ptr 0
		.amdhsa_user_sgpr_queue_ptr 0
		.amdhsa_user_sgpr_kernarg_segment_ptr 1
		.amdhsa_user_sgpr_dispatch_id 0
		.amdhsa_user_sgpr_kernarg_preload_length 0
		.amdhsa_user_sgpr_kernarg_preload_offset 0
		.amdhsa_user_sgpr_private_segment_size 0
		.amdhsa_wavefront_size32 1
		.amdhsa_uses_dynamic_stack 0
		.amdhsa_enable_private_segment 0
		.amdhsa_system_sgpr_workgroup_id_x 1
		.amdhsa_system_sgpr_workgroup_id_y 0
		.amdhsa_system_sgpr_workgroup_id_z 0
		.amdhsa_system_sgpr_workgroup_info 0
		.amdhsa_system_vgpr_workitem_id 0
		.amdhsa_next_free_vgpr 1
		.amdhsa_next_free_sgpr 1
		.amdhsa_named_barrier_count 0
		.amdhsa_reserve_vcc 0
		.amdhsa_float_round_mode_32 0
		.amdhsa_float_round_mode_16_64 0
		.amdhsa_float_denorm_mode_32 3
		.amdhsa_float_denorm_mode_16_64 3
		.amdhsa_fp16_overflow 0
		.amdhsa_memory_ordered 1
		.amdhsa_forward_progress 1
		.amdhsa_inst_pref_size 0
		.amdhsa_round_robin_scheduling 0
		.amdhsa_exception_fp_ieee_invalid_op 0
		.amdhsa_exception_fp_denorm_src 0
		.amdhsa_exception_fp_ieee_div_zero 0
		.amdhsa_exception_fp_ieee_overflow 0
		.amdhsa_exception_fp_ieee_underflow 0
		.amdhsa_exception_fp_ieee_inexact 0
		.amdhsa_exception_int_div_zero 0
	.end_amdhsa_kernel
	.section	.text._ZN7rocprim17ROCPRIM_400000_NS6detail17trampoline_kernelINS0_14default_configENS1_27scan_by_key_config_selectorIiiEEZZNS1_16scan_by_key_implILNS1_25lookback_scan_determinismE0ELb1ES3_N6thrust23THRUST_200600_302600_NS6detail15normal_iteratorINS9_10device_ptrIiEEEESE_SE_iNS9_4plusIvEENS9_8equal_toIiEEiEE10hipError_tPvRmT2_T3_T4_T5_mT6_T7_P12ihipStream_tbENKUlT_T0_E_clISt17integral_constantIbLb1EESZ_EEDaSU_SV_EUlSU_E_NS1_11comp_targetILNS1_3genE4ELNS1_11target_archE910ELNS1_3gpuE8ELNS1_3repE0EEENS1_30default_config_static_selectorELNS0_4arch9wavefront6targetE0EEEvT1_,"axG",@progbits,_ZN7rocprim17ROCPRIM_400000_NS6detail17trampoline_kernelINS0_14default_configENS1_27scan_by_key_config_selectorIiiEEZZNS1_16scan_by_key_implILNS1_25lookback_scan_determinismE0ELb1ES3_N6thrust23THRUST_200600_302600_NS6detail15normal_iteratorINS9_10device_ptrIiEEEESE_SE_iNS9_4plusIvEENS9_8equal_toIiEEiEE10hipError_tPvRmT2_T3_T4_T5_mT6_T7_P12ihipStream_tbENKUlT_T0_E_clISt17integral_constantIbLb1EESZ_EEDaSU_SV_EUlSU_E_NS1_11comp_targetILNS1_3genE4ELNS1_11target_archE910ELNS1_3gpuE8ELNS1_3repE0EEENS1_30default_config_static_selectorELNS0_4arch9wavefront6targetE0EEEvT1_,comdat
.Lfunc_end545:
	.size	_ZN7rocprim17ROCPRIM_400000_NS6detail17trampoline_kernelINS0_14default_configENS1_27scan_by_key_config_selectorIiiEEZZNS1_16scan_by_key_implILNS1_25lookback_scan_determinismE0ELb1ES3_N6thrust23THRUST_200600_302600_NS6detail15normal_iteratorINS9_10device_ptrIiEEEESE_SE_iNS9_4plusIvEENS9_8equal_toIiEEiEE10hipError_tPvRmT2_T3_T4_T5_mT6_T7_P12ihipStream_tbENKUlT_T0_E_clISt17integral_constantIbLb1EESZ_EEDaSU_SV_EUlSU_E_NS1_11comp_targetILNS1_3genE4ELNS1_11target_archE910ELNS1_3gpuE8ELNS1_3repE0EEENS1_30default_config_static_selectorELNS0_4arch9wavefront6targetE0EEEvT1_, .Lfunc_end545-_ZN7rocprim17ROCPRIM_400000_NS6detail17trampoline_kernelINS0_14default_configENS1_27scan_by_key_config_selectorIiiEEZZNS1_16scan_by_key_implILNS1_25lookback_scan_determinismE0ELb1ES3_N6thrust23THRUST_200600_302600_NS6detail15normal_iteratorINS9_10device_ptrIiEEEESE_SE_iNS9_4plusIvEENS9_8equal_toIiEEiEE10hipError_tPvRmT2_T3_T4_T5_mT6_T7_P12ihipStream_tbENKUlT_T0_E_clISt17integral_constantIbLb1EESZ_EEDaSU_SV_EUlSU_E_NS1_11comp_targetILNS1_3genE4ELNS1_11target_archE910ELNS1_3gpuE8ELNS1_3repE0EEENS1_30default_config_static_selectorELNS0_4arch9wavefront6targetE0EEEvT1_
                                        ; -- End function
	.set _ZN7rocprim17ROCPRIM_400000_NS6detail17trampoline_kernelINS0_14default_configENS1_27scan_by_key_config_selectorIiiEEZZNS1_16scan_by_key_implILNS1_25lookback_scan_determinismE0ELb1ES3_N6thrust23THRUST_200600_302600_NS6detail15normal_iteratorINS9_10device_ptrIiEEEESE_SE_iNS9_4plusIvEENS9_8equal_toIiEEiEE10hipError_tPvRmT2_T3_T4_T5_mT6_T7_P12ihipStream_tbENKUlT_T0_E_clISt17integral_constantIbLb1EESZ_EEDaSU_SV_EUlSU_E_NS1_11comp_targetILNS1_3genE4ELNS1_11target_archE910ELNS1_3gpuE8ELNS1_3repE0EEENS1_30default_config_static_selectorELNS0_4arch9wavefront6targetE0EEEvT1_.num_vgpr, 0
	.set _ZN7rocprim17ROCPRIM_400000_NS6detail17trampoline_kernelINS0_14default_configENS1_27scan_by_key_config_selectorIiiEEZZNS1_16scan_by_key_implILNS1_25lookback_scan_determinismE0ELb1ES3_N6thrust23THRUST_200600_302600_NS6detail15normal_iteratorINS9_10device_ptrIiEEEESE_SE_iNS9_4plusIvEENS9_8equal_toIiEEiEE10hipError_tPvRmT2_T3_T4_T5_mT6_T7_P12ihipStream_tbENKUlT_T0_E_clISt17integral_constantIbLb1EESZ_EEDaSU_SV_EUlSU_E_NS1_11comp_targetILNS1_3genE4ELNS1_11target_archE910ELNS1_3gpuE8ELNS1_3repE0EEENS1_30default_config_static_selectorELNS0_4arch9wavefront6targetE0EEEvT1_.num_agpr, 0
	.set _ZN7rocprim17ROCPRIM_400000_NS6detail17trampoline_kernelINS0_14default_configENS1_27scan_by_key_config_selectorIiiEEZZNS1_16scan_by_key_implILNS1_25lookback_scan_determinismE0ELb1ES3_N6thrust23THRUST_200600_302600_NS6detail15normal_iteratorINS9_10device_ptrIiEEEESE_SE_iNS9_4plusIvEENS9_8equal_toIiEEiEE10hipError_tPvRmT2_T3_T4_T5_mT6_T7_P12ihipStream_tbENKUlT_T0_E_clISt17integral_constantIbLb1EESZ_EEDaSU_SV_EUlSU_E_NS1_11comp_targetILNS1_3genE4ELNS1_11target_archE910ELNS1_3gpuE8ELNS1_3repE0EEENS1_30default_config_static_selectorELNS0_4arch9wavefront6targetE0EEEvT1_.numbered_sgpr, 0
	.set _ZN7rocprim17ROCPRIM_400000_NS6detail17trampoline_kernelINS0_14default_configENS1_27scan_by_key_config_selectorIiiEEZZNS1_16scan_by_key_implILNS1_25lookback_scan_determinismE0ELb1ES3_N6thrust23THRUST_200600_302600_NS6detail15normal_iteratorINS9_10device_ptrIiEEEESE_SE_iNS9_4plusIvEENS9_8equal_toIiEEiEE10hipError_tPvRmT2_T3_T4_T5_mT6_T7_P12ihipStream_tbENKUlT_T0_E_clISt17integral_constantIbLb1EESZ_EEDaSU_SV_EUlSU_E_NS1_11comp_targetILNS1_3genE4ELNS1_11target_archE910ELNS1_3gpuE8ELNS1_3repE0EEENS1_30default_config_static_selectorELNS0_4arch9wavefront6targetE0EEEvT1_.num_named_barrier, 0
	.set _ZN7rocprim17ROCPRIM_400000_NS6detail17trampoline_kernelINS0_14default_configENS1_27scan_by_key_config_selectorIiiEEZZNS1_16scan_by_key_implILNS1_25lookback_scan_determinismE0ELb1ES3_N6thrust23THRUST_200600_302600_NS6detail15normal_iteratorINS9_10device_ptrIiEEEESE_SE_iNS9_4plusIvEENS9_8equal_toIiEEiEE10hipError_tPvRmT2_T3_T4_T5_mT6_T7_P12ihipStream_tbENKUlT_T0_E_clISt17integral_constantIbLb1EESZ_EEDaSU_SV_EUlSU_E_NS1_11comp_targetILNS1_3genE4ELNS1_11target_archE910ELNS1_3gpuE8ELNS1_3repE0EEENS1_30default_config_static_selectorELNS0_4arch9wavefront6targetE0EEEvT1_.private_seg_size, 0
	.set _ZN7rocprim17ROCPRIM_400000_NS6detail17trampoline_kernelINS0_14default_configENS1_27scan_by_key_config_selectorIiiEEZZNS1_16scan_by_key_implILNS1_25lookback_scan_determinismE0ELb1ES3_N6thrust23THRUST_200600_302600_NS6detail15normal_iteratorINS9_10device_ptrIiEEEESE_SE_iNS9_4plusIvEENS9_8equal_toIiEEiEE10hipError_tPvRmT2_T3_T4_T5_mT6_T7_P12ihipStream_tbENKUlT_T0_E_clISt17integral_constantIbLb1EESZ_EEDaSU_SV_EUlSU_E_NS1_11comp_targetILNS1_3genE4ELNS1_11target_archE910ELNS1_3gpuE8ELNS1_3repE0EEENS1_30default_config_static_selectorELNS0_4arch9wavefront6targetE0EEEvT1_.uses_vcc, 0
	.set _ZN7rocprim17ROCPRIM_400000_NS6detail17trampoline_kernelINS0_14default_configENS1_27scan_by_key_config_selectorIiiEEZZNS1_16scan_by_key_implILNS1_25lookback_scan_determinismE0ELb1ES3_N6thrust23THRUST_200600_302600_NS6detail15normal_iteratorINS9_10device_ptrIiEEEESE_SE_iNS9_4plusIvEENS9_8equal_toIiEEiEE10hipError_tPvRmT2_T3_T4_T5_mT6_T7_P12ihipStream_tbENKUlT_T0_E_clISt17integral_constantIbLb1EESZ_EEDaSU_SV_EUlSU_E_NS1_11comp_targetILNS1_3genE4ELNS1_11target_archE910ELNS1_3gpuE8ELNS1_3repE0EEENS1_30default_config_static_selectorELNS0_4arch9wavefront6targetE0EEEvT1_.uses_flat_scratch, 0
	.set _ZN7rocprim17ROCPRIM_400000_NS6detail17trampoline_kernelINS0_14default_configENS1_27scan_by_key_config_selectorIiiEEZZNS1_16scan_by_key_implILNS1_25lookback_scan_determinismE0ELb1ES3_N6thrust23THRUST_200600_302600_NS6detail15normal_iteratorINS9_10device_ptrIiEEEESE_SE_iNS9_4plusIvEENS9_8equal_toIiEEiEE10hipError_tPvRmT2_T3_T4_T5_mT6_T7_P12ihipStream_tbENKUlT_T0_E_clISt17integral_constantIbLb1EESZ_EEDaSU_SV_EUlSU_E_NS1_11comp_targetILNS1_3genE4ELNS1_11target_archE910ELNS1_3gpuE8ELNS1_3repE0EEENS1_30default_config_static_selectorELNS0_4arch9wavefront6targetE0EEEvT1_.has_dyn_sized_stack, 0
	.set _ZN7rocprim17ROCPRIM_400000_NS6detail17trampoline_kernelINS0_14default_configENS1_27scan_by_key_config_selectorIiiEEZZNS1_16scan_by_key_implILNS1_25lookback_scan_determinismE0ELb1ES3_N6thrust23THRUST_200600_302600_NS6detail15normal_iteratorINS9_10device_ptrIiEEEESE_SE_iNS9_4plusIvEENS9_8equal_toIiEEiEE10hipError_tPvRmT2_T3_T4_T5_mT6_T7_P12ihipStream_tbENKUlT_T0_E_clISt17integral_constantIbLb1EESZ_EEDaSU_SV_EUlSU_E_NS1_11comp_targetILNS1_3genE4ELNS1_11target_archE910ELNS1_3gpuE8ELNS1_3repE0EEENS1_30default_config_static_selectorELNS0_4arch9wavefront6targetE0EEEvT1_.has_recursion, 0
	.set _ZN7rocprim17ROCPRIM_400000_NS6detail17trampoline_kernelINS0_14default_configENS1_27scan_by_key_config_selectorIiiEEZZNS1_16scan_by_key_implILNS1_25lookback_scan_determinismE0ELb1ES3_N6thrust23THRUST_200600_302600_NS6detail15normal_iteratorINS9_10device_ptrIiEEEESE_SE_iNS9_4plusIvEENS9_8equal_toIiEEiEE10hipError_tPvRmT2_T3_T4_T5_mT6_T7_P12ihipStream_tbENKUlT_T0_E_clISt17integral_constantIbLb1EESZ_EEDaSU_SV_EUlSU_E_NS1_11comp_targetILNS1_3genE4ELNS1_11target_archE910ELNS1_3gpuE8ELNS1_3repE0EEENS1_30default_config_static_selectorELNS0_4arch9wavefront6targetE0EEEvT1_.has_indirect_call, 0
	.section	.AMDGPU.csdata,"",@progbits
; Kernel info:
; codeLenInByte = 0
; TotalNumSgprs: 0
; NumVgprs: 0
; ScratchSize: 0
; MemoryBound: 0
; FloatMode: 240
; IeeeMode: 1
; LDSByteSize: 0 bytes/workgroup (compile time only)
; SGPRBlocks: 0
; VGPRBlocks: 0
; NumSGPRsForWavesPerEU: 1
; NumVGPRsForWavesPerEU: 1
; NamedBarCnt: 0
; Occupancy: 16
; WaveLimiterHint : 0
; COMPUTE_PGM_RSRC2:SCRATCH_EN: 0
; COMPUTE_PGM_RSRC2:USER_SGPR: 2
; COMPUTE_PGM_RSRC2:TRAP_HANDLER: 0
; COMPUTE_PGM_RSRC2:TGID_X_EN: 1
; COMPUTE_PGM_RSRC2:TGID_Y_EN: 0
; COMPUTE_PGM_RSRC2:TGID_Z_EN: 0
; COMPUTE_PGM_RSRC2:TIDIG_COMP_CNT: 0
	.section	.text._ZN7rocprim17ROCPRIM_400000_NS6detail17trampoline_kernelINS0_14default_configENS1_27scan_by_key_config_selectorIiiEEZZNS1_16scan_by_key_implILNS1_25lookback_scan_determinismE0ELb1ES3_N6thrust23THRUST_200600_302600_NS6detail15normal_iteratorINS9_10device_ptrIiEEEESE_SE_iNS9_4plusIvEENS9_8equal_toIiEEiEE10hipError_tPvRmT2_T3_T4_T5_mT6_T7_P12ihipStream_tbENKUlT_T0_E_clISt17integral_constantIbLb1EESZ_EEDaSU_SV_EUlSU_E_NS1_11comp_targetILNS1_3genE3ELNS1_11target_archE908ELNS1_3gpuE7ELNS1_3repE0EEENS1_30default_config_static_selectorELNS0_4arch9wavefront6targetE0EEEvT1_,"axG",@progbits,_ZN7rocprim17ROCPRIM_400000_NS6detail17trampoline_kernelINS0_14default_configENS1_27scan_by_key_config_selectorIiiEEZZNS1_16scan_by_key_implILNS1_25lookback_scan_determinismE0ELb1ES3_N6thrust23THRUST_200600_302600_NS6detail15normal_iteratorINS9_10device_ptrIiEEEESE_SE_iNS9_4plusIvEENS9_8equal_toIiEEiEE10hipError_tPvRmT2_T3_T4_T5_mT6_T7_P12ihipStream_tbENKUlT_T0_E_clISt17integral_constantIbLb1EESZ_EEDaSU_SV_EUlSU_E_NS1_11comp_targetILNS1_3genE3ELNS1_11target_archE908ELNS1_3gpuE7ELNS1_3repE0EEENS1_30default_config_static_selectorELNS0_4arch9wavefront6targetE0EEEvT1_,comdat
	.protected	_ZN7rocprim17ROCPRIM_400000_NS6detail17trampoline_kernelINS0_14default_configENS1_27scan_by_key_config_selectorIiiEEZZNS1_16scan_by_key_implILNS1_25lookback_scan_determinismE0ELb1ES3_N6thrust23THRUST_200600_302600_NS6detail15normal_iteratorINS9_10device_ptrIiEEEESE_SE_iNS9_4plusIvEENS9_8equal_toIiEEiEE10hipError_tPvRmT2_T3_T4_T5_mT6_T7_P12ihipStream_tbENKUlT_T0_E_clISt17integral_constantIbLb1EESZ_EEDaSU_SV_EUlSU_E_NS1_11comp_targetILNS1_3genE3ELNS1_11target_archE908ELNS1_3gpuE7ELNS1_3repE0EEENS1_30default_config_static_selectorELNS0_4arch9wavefront6targetE0EEEvT1_ ; -- Begin function _ZN7rocprim17ROCPRIM_400000_NS6detail17trampoline_kernelINS0_14default_configENS1_27scan_by_key_config_selectorIiiEEZZNS1_16scan_by_key_implILNS1_25lookback_scan_determinismE0ELb1ES3_N6thrust23THRUST_200600_302600_NS6detail15normal_iteratorINS9_10device_ptrIiEEEESE_SE_iNS9_4plusIvEENS9_8equal_toIiEEiEE10hipError_tPvRmT2_T3_T4_T5_mT6_T7_P12ihipStream_tbENKUlT_T0_E_clISt17integral_constantIbLb1EESZ_EEDaSU_SV_EUlSU_E_NS1_11comp_targetILNS1_3genE3ELNS1_11target_archE908ELNS1_3gpuE7ELNS1_3repE0EEENS1_30default_config_static_selectorELNS0_4arch9wavefront6targetE0EEEvT1_
	.globl	_ZN7rocprim17ROCPRIM_400000_NS6detail17trampoline_kernelINS0_14default_configENS1_27scan_by_key_config_selectorIiiEEZZNS1_16scan_by_key_implILNS1_25lookback_scan_determinismE0ELb1ES3_N6thrust23THRUST_200600_302600_NS6detail15normal_iteratorINS9_10device_ptrIiEEEESE_SE_iNS9_4plusIvEENS9_8equal_toIiEEiEE10hipError_tPvRmT2_T3_T4_T5_mT6_T7_P12ihipStream_tbENKUlT_T0_E_clISt17integral_constantIbLb1EESZ_EEDaSU_SV_EUlSU_E_NS1_11comp_targetILNS1_3genE3ELNS1_11target_archE908ELNS1_3gpuE7ELNS1_3repE0EEENS1_30default_config_static_selectorELNS0_4arch9wavefront6targetE0EEEvT1_
	.p2align	8
	.type	_ZN7rocprim17ROCPRIM_400000_NS6detail17trampoline_kernelINS0_14default_configENS1_27scan_by_key_config_selectorIiiEEZZNS1_16scan_by_key_implILNS1_25lookback_scan_determinismE0ELb1ES3_N6thrust23THRUST_200600_302600_NS6detail15normal_iteratorINS9_10device_ptrIiEEEESE_SE_iNS9_4plusIvEENS9_8equal_toIiEEiEE10hipError_tPvRmT2_T3_T4_T5_mT6_T7_P12ihipStream_tbENKUlT_T0_E_clISt17integral_constantIbLb1EESZ_EEDaSU_SV_EUlSU_E_NS1_11comp_targetILNS1_3genE3ELNS1_11target_archE908ELNS1_3gpuE7ELNS1_3repE0EEENS1_30default_config_static_selectorELNS0_4arch9wavefront6targetE0EEEvT1_,@function
_ZN7rocprim17ROCPRIM_400000_NS6detail17trampoline_kernelINS0_14default_configENS1_27scan_by_key_config_selectorIiiEEZZNS1_16scan_by_key_implILNS1_25lookback_scan_determinismE0ELb1ES3_N6thrust23THRUST_200600_302600_NS6detail15normal_iteratorINS9_10device_ptrIiEEEESE_SE_iNS9_4plusIvEENS9_8equal_toIiEEiEE10hipError_tPvRmT2_T3_T4_T5_mT6_T7_P12ihipStream_tbENKUlT_T0_E_clISt17integral_constantIbLb1EESZ_EEDaSU_SV_EUlSU_E_NS1_11comp_targetILNS1_3genE3ELNS1_11target_archE908ELNS1_3gpuE7ELNS1_3repE0EEENS1_30default_config_static_selectorELNS0_4arch9wavefront6targetE0EEEvT1_: ; @_ZN7rocprim17ROCPRIM_400000_NS6detail17trampoline_kernelINS0_14default_configENS1_27scan_by_key_config_selectorIiiEEZZNS1_16scan_by_key_implILNS1_25lookback_scan_determinismE0ELb1ES3_N6thrust23THRUST_200600_302600_NS6detail15normal_iteratorINS9_10device_ptrIiEEEESE_SE_iNS9_4plusIvEENS9_8equal_toIiEEiEE10hipError_tPvRmT2_T3_T4_T5_mT6_T7_P12ihipStream_tbENKUlT_T0_E_clISt17integral_constantIbLb1EESZ_EEDaSU_SV_EUlSU_E_NS1_11comp_targetILNS1_3genE3ELNS1_11target_archE908ELNS1_3gpuE7ELNS1_3repE0EEENS1_30default_config_static_selectorELNS0_4arch9wavefront6targetE0EEEvT1_
; %bb.0:
	.section	.rodata,"a",@progbits
	.p2align	6, 0x0
	.amdhsa_kernel _ZN7rocprim17ROCPRIM_400000_NS6detail17trampoline_kernelINS0_14default_configENS1_27scan_by_key_config_selectorIiiEEZZNS1_16scan_by_key_implILNS1_25lookback_scan_determinismE0ELb1ES3_N6thrust23THRUST_200600_302600_NS6detail15normal_iteratorINS9_10device_ptrIiEEEESE_SE_iNS9_4plusIvEENS9_8equal_toIiEEiEE10hipError_tPvRmT2_T3_T4_T5_mT6_T7_P12ihipStream_tbENKUlT_T0_E_clISt17integral_constantIbLb1EESZ_EEDaSU_SV_EUlSU_E_NS1_11comp_targetILNS1_3genE3ELNS1_11target_archE908ELNS1_3gpuE7ELNS1_3repE0EEENS1_30default_config_static_selectorELNS0_4arch9wavefront6targetE0EEEvT1_
		.amdhsa_group_segment_fixed_size 0
		.amdhsa_private_segment_fixed_size 0
		.amdhsa_kernarg_size 112
		.amdhsa_user_sgpr_count 2
		.amdhsa_user_sgpr_dispatch_ptr 0
		.amdhsa_user_sgpr_queue_ptr 0
		.amdhsa_user_sgpr_kernarg_segment_ptr 1
		.amdhsa_user_sgpr_dispatch_id 0
		.amdhsa_user_sgpr_kernarg_preload_length 0
		.amdhsa_user_sgpr_kernarg_preload_offset 0
		.amdhsa_user_sgpr_private_segment_size 0
		.amdhsa_wavefront_size32 1
		.amdhsa_uses_dynamic_stack 0
		.amdhsa_enable_private_segment 0
		.amdhsa_system_sgpr_workgroup_id_x 1
		.amdhsa_system_sgpr_workgroup_id_y 0
		.amdhsa_system_sgpr_workgroup_id_z 0
		.amdhsa_system_sgpr_workgroup_info 0
		.amdhsa_system_vgpr_workitem_id 0
		.amdhsa_next_free_vgpr 1
		.amdhsa_next_free_sgpr 1
		.amdhsa_named_barrier_count 0
		.amdhsa_reserve_vcc 0
		.amdhsa_float_round_mode_32 0
		.amdhsa_float_round_mode_16_64 0
		.amdhsa_float_denorm_mode_32 3
		.amdhsa_float_denorm_mode_16_64 3
		.amdhsa_fp16_overflow 0
		.amdhsa_memory_ordered 1
		.amdhsa_forward_progress 1
		.amdhsa_inst_pref_size 0
		.amdhsa_round_robin_scheduling 0
		.amdhsa_exception_fp_ieee_invalid_op 0
		.amdhsa_exception_fp_denorm_src 0
		.amdhsa_exception_fp_ieee_div_zero 0
		.amdhsa_exception_fp_ieee_overflow 0
		.amdhsa_exception_fp_ieee_underflow 0
		.amdhsa_exception_fp_ieee_inexact 0
		.amdhsa_exception_int_div_zero 0
	.end_amdhsa_kernel
	.section	.text._ZN7rocprim17ROCPRIM_400000_NS6detail17trampoline_kernelINS0_14default_configENS1_27scan_by_key_config_selectorIiiEEZZNS1_16scan_by_key_implILNS1_25lookback_scan_determinismE0ELb1ES3_N6thrust23THRUST_200600_302600_NS6detail15normal_iteratorINS9_10device_ptrIiEEEESE_SE_iNS9_4plusIvEENS9_8equal_toIiEEiEE10hipError_tPvRmT2_T3_T4_T5_mT6_T7_P12ihipStream_tbENKUlT_T0_E_clISt17integral_constantIbLb1EESZ_EEDaSU_SV_EUlSU_E_NS1_11comp_targetILNS1_3genE3ELNS1_11target_archE908ELNS1_3gpuE7ELNS1_3repE0EEENS1_30default_config_static_selectorELNS0_4arch9wavefront6targetE0EEEvT1_,"axG",@progbits,_ZN7rocprim17ROCPRIM_400000_NS6detail17trampoline_kernelINS0_14default_configENS1_27scan_by_key_config_selectorIiiEEZZNS1_16scan_by_key_implILNS1_25lookback_scan_determinismE0ELb1ES3_N6thrust23THRUST_200600_302600_NS6detail15normal_iteratorINS9_10device_ptrIiEEEESE_SE_iNS9_4plusIvEENS9_8equal_toIiEEiEE10hipError_tPvRmT2_T3_T4_T5_mT6_T7_P12ihipStream_tbENKUlT_T0_E_clISt17integral_constantIbLb1EESZ_EEDaSU_SV_EUlSU_E_NS1_11comp_targetILNS1_3genE3ELNS1_11target_archE908ELNS1_3gpuE7ELNS1_3repE0EEENS1_30default_config_static_selectorELNS0_4arch9wavefront6targetE0EEEvT1_,comdat
.Lfunc_end546:
	.size	_ZN7rocprim17ROCPRIM_400000_NS6detail17trampoline_kernelINS0_14default_configENS1_27scan_by_key_config_selectorIiiEEZZNS1_16scan_by_key_implILNS1_25lookback_scan_determinismE0ELb1ES3_N6thrust23THRUST_200600_302600_NS6detail15normal_iteratorINS9_10device_ptrIiEEEESE_SE_iNS9_4plusIvEENS9_8equal_toIiEEiEE10hipError_tPvRmT2_T3_T4_T5_mT6_T7_P12ihipStream_tbENKUlT_T0_E_clISt17integral_constantIbLb1EESZ_EEDaSU_SV_EUlSU_E_NS1_11comp_targetILNS1_3genE3ELNS1_11target_archE908ELNS1_3gpuE7ELNS1_3repE0EEENS1_30default_config_static_selectorELNS0_4arch9wavefront6targetE0EEEvT1_, .Lfunc_end546-_ZN7rocprim17ROCPRIM_400000_NS6detail17trampoline_kernelINS0_14default_configENS1_27scan_by_key_config_selectorIiiEEZZNS1_16scan_by_key_implILNS1_25lookback_scan_determinismE0ELb1ES3_N6thrust23THRUST_200600_302600_NS6detail15normal_iteratorINS9_10device_ptrIiEEEESE_SE_iNS9_4plusIvEENS9_8equal_toIiEEiEE10hipError_tPvRmT2_T3_T4_T5_mT6_T7_P12ihipStream_tbENKUlT_T0_E_clISt17integral_constantIbLb1EESZ_EEDaSU_SV_EUlSU_E_NS1_11comp_targetILNS1_3genE3ELNS1_11target_archE908ELNS1_3gpuE7ELNS1_3repE0EEENS1_30default_config_static_selectorELNS0_4arch9wavefront6targetE0EEEvT1_
                                        ; -- End function
	.set _ZN7rocprim17ROCPRIM_400000_NS6detail17trampoline_kernelINS0_14default_configENS1_27scan_by_key_config_selectorIiiEEZZNS1_16scan_by_key_implILNS1_25lookback_scan_determinismE0ELb1ES3_N6thrust23THRUST_200600_302600_NS6detail15normal_iteratorINS9_10device_ptrIiEEEESE_SE_iNS9_4plusIvEENS9_8equal_toIiEEiEE10hipError_tPvRmT2_T3_T4_T5_mT6_T7_P12ihipStream_tbENKUlT_T0_E_clISt17integral_constantIbLb1EESZ_EEDaSU_SV_EUlSU_E_NS1_11comp_targetILNS1_3genE3ELNS1_11target_archE908ELNS1_3gpuE7ELNS1_3repE0EEENS1_30default_config_static_selectorELNS0_4arch9wavefront6targetE0EEEvT1_.num_vgpr, 0
	.set _ZN7rocprim17ROCPRIM_400000_NS6detail17trampoline_kernelINS0_14default_configENS1_27scan_by_key_config_selectorIiiEEZZNS1_16scan_by_key_implILNS1_25lookback_scan_determinismE0ELb1ES3_N6thrust23THRUST_200600_302600_NS6detail15normal_iteratorINS9_10device_ptrIiEEEESE_SE_iNS9_4plusIvEENS9_8equal_toIiEEiEE10hipError_tPvRmT2_T3_T4_T5_mT6_T7_P12ihipStream_tbENKUlT_T0_E_clISt17integral_constantIbLb1EESZ_EEDaSU_SV_EUlSU_E_NS1_11comp_targetILNS1_3genE3ELNS1_11target_archE908ELNS1_3gpuE7ELNS1_3repE0EEENS1_30default_config_static_selectorELNS0_4arch9wavefront6targetE0EEEvT1_.num_agpr, 0
	.set _ZN7rocprim17ROCPRIM_400000_NS6detail17trampoline_kernelINS0_14default_configENS1_27scan_by_key_config_selectorIiiEEZZNS1_16scan_by_key_implILNS1_25lookback_scan_determinismE0ELb1ES3_N6thrust23THRUST_200600_302600_NS6detail15normal_iteratorINS9_10device_ptrIiEEEESE_SE_iNS9_4plusIvEENS9_8equal_toIiEEiEE10hipError_tPvRmT2_T3_T4_T5_mT6_T7_P12ihipStream_tbENKUlT_T0_E_clISt17integral_constantIbLb1EESZ_EEDaSU_SV_EUlSU_E_NS1_11comp_targetILNS1_3genE3ELNS1_11target_archE908ELNS1_3gpuE7ELNS1_3repE0EEENS1_30default_config_static_selectorELNS0_4arch9wavefront6targetE0EEEvT1_.numbered_sgpr, 0
	.set _ZN7rocprim17ROCPRIM_400000_NS6detail17trampoline_kernelINS0_14default_configENS1_27scan_by_key_config_selectorIiiEEZZNS1_16scan_by_key_implILNS1_25lookback_scan_determinismE0ELb1ES3_N6thrust23THRUST_200600_302600_NS6detail15normal_iteratorINS9_10device_ptrIiEEEESE_SE_iNS9_4plusIvEENS9_8equal_toIiEEiEE10hipError_tPvRmT2_T3_T4_T5_mT6_T7_P12ihipStream_tbENKUlT_T0_E_clISt17integral_constantIbLb1EESZ_EEDaSU_SV_EUlSU_E_NS1_11comp_targetILNS1_3genE3ELNS1_11target_archE908ELNS1_3gpuE7ELNS1_3repE0EEENS1_30default_config_static_selectorELNS0_4arch9wavefront6targetE0EEEvT1_.num_named_barrier, 0
	.set _ZN7rocprim17ROCPRIM_400000_NS6detail17trampoline_kernelINS0_14default_configENS1_27scan_by_key_config_selectorIiiEEZZNS1_16scan_by_key_implILNS1_25lookback_scan_determinismE0ELb1ES3_N6thrust23THRUST_200600_302600_NS6detail15normal_iteratorINS9_10device_ptrIiEEEESE_SE_iNS9_4plusIvEENS9_8equal_toIiEEiEE10hipError_tPvRmT2_T3_T4_T5_mT6_T7_P12ihipStream_tbENKUlT_T0_E_clISt17integral_constantIbLb1EESZ_EEDaSU_SV_EUlSU_E_NS1_11comp_targetILNS1_3genE3ELNS1_11target_archE908ELNS1_3gpuE7ELNS1_3repE0EEENS1_30default_config_static_selectorELNS0_4arch9wavefront6targetE0EEEvT1_.private_seg_size, 0
	.set _ZN7rocprim17ROCPRIM_400000_NS6detail17trampoline_kernelINS0_14default_configENS1_27scan_by_key_config_selectorIiiEEZZNS1_16scan_by_key_implILNS1_25lookback_scan_determinismE0ELb1ES3_N6thrust23THRUST_200600_302600_NS6detail15normal_iteratorINS9_10device_ptrIiEEEESE_SE_iNS9_4plusIvEENS9_8equal_toIiEEiEE10hipError_tPvRmT2_T3_T4_T5_mT6_T7_P12ihipStream_tbENKUlT_T0_E_clISt17integral_constantIbLb1EESZ_EEDaSU_SV_EUlSU_E_NS1_11comp_targetILNS1_3genE3ELNS1_11target_archE908ELNS1_3gpuE7ELNS1_3repE0EEENS1_30default_config_static_selectorELNS0_4arch9wavefront6targetE0EEEvT1_.uses_vcc, 0
	.set _ZN7rocprim17ROCPRIM_400000_NS6detail17trampoline_kernelINS0_14default_configENS1_27scan_by_key_config_selectorIiiEEZZNS1_16scan_by_key_implILNS1_25lookback_scan_determinismE0ELb1ES3_N6thrust23THRUST_200600_302600_NS6detail15normal_iteratorINS9_10device_ptrIiEEEESE_SE_iNS9_4plusIvEENS9_8equal_toIiEEiEE10hipError_tPvRmT2_T3_T4_T5_mT6_T7_P12ihipStream_tbENKUlT_T0_E_clISt17integral_constantIbLb1EESZ_EEDaSU_SV_EUlSU_E_NS1_11comp_targetILNS1_3genE3ELNS1_11target_archE908ELNS1_3gpuE7ELNS1_3repE0EEENS1_30default_config_static_selectorELNS0_4arch9wavefront6targetE0EEEvT1_.uses_flat_scratch, 0
	.set _ZN7rocprim17ROCPRIM_400000_NS6detail17trampoline_kernelINS0_14default_configENS1_27scan_by_key_config_selectorIiiEEZZNS1_16scan_by_key_implILNS1_25lookback_scan_determinismE0ELb1ES3_N6thrust23THRUST_200600_302600_NS6detail15normal_iteratorINS9_10device_ptrIiEEEESE_SE_iNS9_4plusIvEENS9_8equal_toIiEEiEE10hipError_tPvRmT2_T3_T4_T5_mT6_T7_P12ihipStream_tbENKUlT_T0_E_clISt17integral_constantIbLb1EESZ_EEDaSU_SV_EUlSU_E_NS1_11comp_targetILNS1_3genE3ELNS1_11target_archE908ELNS1_3gpuE7ELNS1_3repE0EEENS1_30default_config_static_selectorELNS0_4arch9wavefront6targetE0EEEvT1_.has_dyn_sized_stack, 0
	.set _ZN7rocprim17ROCPRIM_400000_NS6detail17trampoline_kernelINS0_14default_configENS1_27scan_by_key_config_selectorIiiEEZZNS1_16scan_by_key_implILNS1_25lookback_scan_determinismE0ELb1ES3_N6thrust23THRUST_200600_302600_NS6detail15normal_iteratorINS9_10device_ptrIiEEEESE_SE_iNS9_4plusIvEENS9_8equal_toIiEEiEE10hipError_tPvRmT2_T3_T4_T5_mT6_T7_P12ihipStream_tbENKUlT_T0_E_clISt17integral_constantIbLb1EESZ_EEDaSU_SV_EUlSU_E_NS1_11comp_targetILNS1_3genE3ELNS1_11target_archE908ELNS1_3gpuE7ELNS1_3repE0EEENS1_30default_config_static_selectorELNS0_4arch9wavefront6targetE0EEEvT1_.has_recursion, 0
	.set _ZN7rocprim17ROCPRIM_400000_NS6detail17trampoline_kernelINS0_14default_configENS1_27scan_by_key_config_selectorIiiEEZZNS1_16scan_by_key_implILNS1_25lookback_scan_determinismE0ELb1ES3_N6thrust23THRUST_200600_302600_NS6detail15normal_iteratorINS9_10device_ptrIiEEEESE_SE_iNS9_4plusIvEENS9_8equal_toIiEEiEE10hipError_tPvRmT2_T3_T4_T5_mT6_T7_P12ihipStream_tbENKUlT_T0_E_clISt17integral_constantIbLb1EESZ_EEDaSU_SV_EUlSU_E_NS1_11comp_targetILNS1_3genE3ELNS1_11target_archE908ELNS1_3gpuE7ELNS1_3repE0EEENS1_30default_config_static_selectorELNS0_4arch9wavefront6targetE0EEEvT1_.has_indirect_call, 0
	.section	.AMDGPU.csdata,"",@progbits
; Kernel info:
; codeLenInByte = 0
; TotalNumSgprs: 0
; NumVgprs: 0
; ScratchSize: 0
; MemoryBound: 0
; FloatMode: 240
; IeeeMode: 1
; LDSByteSize: 0 bytes/workgroup (compile time only)
; SGPRBlocks: 0
; VGPRBlocks: 0
; NumSGPRsForWavesPerEU: 1
; NumVGPRsForWavesPerEU: 1
; NamedBarCnt: 0
; Occupancy: 16
; WaveLimiterHint : 0
; COMPUTE_PGM_RSRC2:SCRATCH_EN: 0
; COMPUTE_PGM_RSRC2:USER_SGPR: 2
; COMPUTE_PGM_RSRC2:TRAP_HANDLER: 0
; COMPUTE_PGM_RSRC2:TGID_X_EN: 1
; COMPUTE_PGM_RSRC2:TGID_Y_EN: 0
; COMPUTE_PGM_RSRC2:TGID_Z_EN: 0
; COMPUTE_PGM_RSRC2:TIDIG_COMP_CNT: 0
	.section	.text._ZN7rocprim17ROCPRIM_400000_NS6detail17trampoline_kernelINS0_14default_configENS1_27scan_by_key_config_selectorIiiEEZZNS1_16scan_by_key_implILNS1_25lookback_scan_determinismE0ELb1ES3_N6thrust23THRUST_200600_302600_NS6detail15normal_iteratorINS9_10device_ptrIiEEEESE_SE_iNS9_4plusIvEENS9_8equal_toIiEEiEE10hipError_tPvRmT2_T3_T4_T5_mT6_T7_P12ihipStream_tbENKUlT_T0_E_clISt17integral_constantIbLb1EESZ_EEDaSU_SV_EUlSU_E_NS1_11comp_targetILNS1_3genE2ELNS1_11target_archE906ELNS1_3gpuE6ELNS1_3repE0EEENS1_30default_config_static_selectorELNS0_4arch9wavefront6targetE0EEEvT1_,"axG",@progbits,_ZN7rocprim17ROCPRIM_400000_NS6detail17trampoline_kernelINS0_14default_configENS1_27scan_by_key_config_selectorIiiEEZZNS1_16scan_by_key_implILNS1_25lookback_scan_determinismE0ELb1ES3_N6thrust23THRUST_200600_302600_NS6detail15normal_iteratorINS9_10device_ptrIiEEEESE_SE_iNS9_4plusIvEENS9_8equal_toIiEEiEE10hipError_tPvRmT2_T3_T4_T5_mT6_T7_P12ihipStream_tbENKUlT_T0_E_clISt17integral_constantIbLb1EESZ_EEDaSU_SV_EUlSU_E_NS1_11comp_targetILNS1_3genE2ELNS1_11target_archE906ELNS1_3gpuE6ELNS1_3repE0EEENS1_30default_config_static_selectorELNS0_4arch9wavefront6targetE0EEEvT1_,comdat
	.protected	_ZN7rocprim17ROCPRIM_400000_NS6detail17trampoline_kernelINS0_14default_configENS1_27scan_by_key_config_selectorIiiEEZZNS1_16scan_by_key_implILNS1_25lookback_scan_determinismE0ELb1ES3_N6thrust23THRUST_200600_302600_NS6detail15normal_iteratorINS9_10device_ptrIiEEEESE_SE_iNS9_4plusIvEENS9_8equal_toIiEEiEE10hipError_tPvRmT2_T3_T4_T5_mT6_T7_P12ihipStream_tbENKUlT_T0_E_clISt17integral_constantIbLb1EESZ_EEDaSU_SV_EUlSU_E_NS1_11comp_targetILNS1_3genE2ELNS1_11target_archE906ELNS1_3gpuE6ELNS1_3repE0EEENS1_30default_config_static_selectorELNS0_4arch9wavefront6targetE0EEEvT1_ ; -- Begin function _ZN7rocprim17ROCPRIM_400000_NS6detail17trampoline_kernelINS0_14default_configENS1_27scan_by_key_config_selectorIiiEEZZNS1_16scan_by_key_implILNS1_25lookback_scan_determinismE0ELb1ES3_N6thrust23THRUST_200600_302600_NS6detail15normal_iteratorINS9_10device_ptrIiEEEESE_SE_iNS9_4plusIvEENS9_8equal_toIiEEiEE10hipError_tPvRmT2_T3_T4_T5_mT6_T7_P12ihipStream_tbENKUlT_T0_E_clISt17integral_constantIbLb1EESZ_EEDaSU_SV_EUlSU_E_NS1_11comp_targetILNS1_3genE2ELNS1_11target_archE906ELNS1_3gpuE6ELNS1_3repE0EEENS1_30default_config_static_selectorELNS0_4arch9wavefront6targetE0EEEvT1_
	.globl	_ZN7rocprim17ROCPRIM_400000_NS6detail17trampoline_kernelINS0_14default_configENS1_27scan_by_key_config_selectorIiiEEZZNS1_16scan_by_key_implILNS1_25lookback_scan_determinismE0ELb1ES3_N6thrust23THRUST_200600_302600_NS6detail15normal_iteratorINS9_10device_ptrIiEEEESE_SE_iNS9_4plusIvEENS9_8equal_toIiEEiEE10hipError_tPvRmT2_T3_T4_T5_mT6_T7_P12ihipStream_tbENKUlT_T0_E_clISt17integral_constantIbLb1EESZ_EEDaSU_SV_EUlSU_E_NS1_11comp_targetILNS1_3genE2ELNS1_11target_archE906ELNS1_3gpuE6ELNS1_3repE0EEENS1_30default_config_static_selectorELNS0_4arch9wavefront6targetE0EEEvT1_
	.p2align	8
	.type	_ZN7rocprim17ROCPRIM_400000_NS6detail17trampoline_kernelINS0_14default_configENS1_27scan_by_key_config_selectorIiiEEZZNS1_16scan_by_key_implILNS1_25lookback_scan_determinismE0ELb1ES3_N6thrust23THRUST_200600_302600_NS6detail15normal_iteratorINS9_10device_ptrIiEEEESE_SE_iNS9_4plusIvEENS9_8equal_toIiEEiEE10hipError_tPvRmT2_T3_T4_T5_mT6_T7_P12ihipStream_tbENKUlT_T0_E_clISt17integral_constantIbLb1EESZ_EEDaSU_SV_EUlSU_E_NS1_11comp_targetILNS1_3genE2ELNS1_11target_archE906ELNS1_3gpuE6ELNS1_3repE0EEENS1_30default_config_static_selectorELNS0_4arch9wavefront6targetE0EEEvT1_,@function
_ZN7rocprim17ROCPRIM_400000_NS6detail17trampoline_kernelINS0_14default_configENS1_27scan_by_key_config_selectorIiiEEZZNS1_16scan_by_key_implILNS1_25lookback_scan_determinismE0ELb1ES3_N6thrust23THRUST_200600_302600_NS6detail15normal_iteratorINS9_10device_ptrIiEEEESE_SE_iNS9_4plusIvEENS9_8equal_toIiEEiEE10hipError_tPvRmT2_T3_T4_T5_mT6_T7_P12ihipStream_tbENKUlT_T0_E_clISt17integral_constantIbLb1EESZ_EEDaSU_SV_EUlSU_E_NS1_11comp_targetILNS1_3genE2ELNS1_11target_archE906ELNS1_3gpuE6ELNS1_3repE0EEENS1_30default_config_static_selectorELNS0_4arch9wavefront6targetE0EEEvT1_: ; @_ZN7rocprim17ROCPRIM_400000_NS6detail17trampoline_kernelINS0_14default_configENS1_27scan_by_key_config_selectorIiiEEZZNS1_16scan_by_key_implILNS1_25lookback_scan_determinismE0ELb1ES3_N6thrust23THRUST_200600_302600_NS6detail15normal_iteratorINS9_10device_ptrIiEEEESE_SE_iNS9_4plusIvEENS9_8equal_toIiEEiEE10hipError_tPvRmT2_T3_T4_T5_mT6_T7_P12ihipStream_tbENKUlT_T0_E_clISt17integral_constantIbLb1EESZ_EEDaSU_SV_EUlSU_E_NS1_11comp_targetILNS1_3genE2ELNS1_11target_archE906ELNS1_3gpuE6ELNS1_3repE0EEENS1_30default_config_static_selectorELNS0_4arch9wavefront6targetE0EEEvT1_
; %bb.0:
	.section	.rodata,"a",@progbits
	.p2align	6, 0x0
	.amdhsa_kernel _ZN7rocprim17ROCPRIM_400000_NS6detail17trampoline_kernelINS0_14default_configENS1_27scan_by_key_config_selectorIiiEEZZNS1_16scan_by_key_implILNS1_25lookback_scan_determinismE0ELb1ES3_N6thrust23THRUST_200600_302600_NS6detail15normal_iteratorINS9_10device_ptrIiEEEESE_SE_iNS9_4plusIvEENS9_8equal_toIiEEiEE10hipError_tPvRmT2_T3_T4_T5_mT6_T7_P12ihipStream_tbENKUlT_T0_E_clISt17integral_constantIbLb1EESZ_EEDaSU_SV_EUlSU_E_NS1_11comp_targetILNS1_3genE2ELNS1_11target_archE906ELNS1_3gpuE6ELNS1_3repE0EEENS1_30default_config_static_selectorELNS0_4arch9wavefront6targetE0EEEvT1_
		.amdhsa_group_segment_fixed_size 0
		.amdhsa_private_segment_fixed_size 0
		.amdhsa_kernarg_size 112
		.amdhsa_user_sgpr_count 2
		.amdhsa_user_sgpr_dispatch_ptr 0
		.amdhsa_user_sgpr_queue_ptr 0
		.amdhsa_user_sgpr_kernarg_segment_ptr 1
		.amdhsa_user_sgpr_dispatch_id 0
		.amdhsa_user_sgpr_kernarg_preload_length 0
		.amdhsa_user_sgpr_kernarg_preload_offset 0
		.amdhsa_user_sgpr_private_segment_size 0
		.amdhsa_wavefront_size32 1
		.amdhsa_uses_dynamic_stack 0
		.amdhsa_enable_private_segment 0
		.amdhsa_system_sgpr_workgroup_id_x 1
		.amdhsa_system_sgpr_workgroup_id_y 0
		.amdhsa_system_sgpr_workgroup_id_z 0
		.amdhsa_system_sgpr_workgroup_info 0
		.amdhsa_system_vgpr_workitem_id 0
		.amdhsa_next_free_vgpr 1
		.amdhsa_next_free_sgpr 1
		.amdhsa_named_barrier_count 0
		.amdhsa_reserve_vcc 0
		.amdhsa_float_round_mode_32 0
		.amdhsa_float_round_mode_16_64 0
		.amdhsa_float_denorm_mode_32 3
		.amdhsa_float_denorm_mode_16_64 3
		.amdhsa_fp16_overflow 0
		.amdhsa_memory_ordered 1
		.amdhsa_forward_progress 1
		.amdhsa_inst_pref_size 0
		.amdhsa_round_robin_scheduling 0
		.amdhsa_exception_fp_ieee_invalid_op 0
		.amdhsa_exception_fp_denorm_src 0
		.amdhsa_exception_fp_ieee_div_zero 0
		.amdhsa_exception_fp_ieee_overflow 0
		.amdhsa_exception_fp_ieee_underflow 0
		.amdhsa_exception_fp_ieee_inexact 0
		.amdhsa_exception_int_div_zero 0
	.end_amdhsa_kernel
	.section	.text._ZN7rocprim17ROCPRIM_400000_NS6detail17trampoline_kernelINS0_14default_configENS1_27scan_by_key_config_selectorIiiEEZZNS1_16scan_by_key_implILNS1_25lookback_scan_determinismE0ELb1ES3_N6thrust23THRUST_200600_302600_NS6detail15normal_iteratorINS9_10device_ptrIiEEEESE_SE_iNS9_4plusIvEENS9_8equal_toIiEEiEE10hipError_tPvRmT2_T3_T4_T5_mT6_T7_P12ihipStream_tbENKUlT_T0_E_clISt17integral_constantIbLb1EESZ_EEDaSU_SV_EUlSU_E_NS1_11comp_targetILNS1_3genE2ELNS1_11target_archE906ELNS1_3gpuE6ELNS1_3repE0EEENS1_30default_config_static_selectorELNS0_4arch9wavefront6targetE0EEEvT1_,"axG",@progbits,_ZN7rocprim17ROCPRIM_400000_NS6detail17trampoline_kernelINS0_14default_configENS1_27scan_by_key_config_selectorIiiEEZZNS1_16scan_by_key_implILNS1_25lookback_scan_determinismE0ELb1ES3_N6thrust23THRUST_200600_302600_NS6detail15normal_iteratorINS9_10device_ptrIiEEEESE_SE_iNS9_4plusIvEENS9_8equal_toIiEEiEE10hipError_tPvRmT2_T3_T4_T5_mT6_T7_P12ihipStream_tbENKUlT_T0_E_clISt17integral_constantIbLb1EESZ_EEDaSU_SV_EUlSU_E_NS1_11comp_targetILNS1_3genE2ELNS1_11target_archE906ELNS1_3gpuE6ELNS1_3repE0EEENS1_30default_config_static_selectorELNS0_4arch9wavefront6targetE0EEEvT1_,comdat
.Lfunc_end547:
	.size	_ZN7rocprim17ROCPRIM_400000_NS6detail17trampoline_kernelINS0_14default_configENS1_27scan_by_key_config_selectorIiiEEZZNS1_16scan_by_key_implILNS1_25lookback_scan_determinismE0ELb1ES3_N6thrust23THRUST_200600_302600_NS6detail15normal_iteratorINS9_10device_ptrIiEEEESE_SE_iNS9_4plusIvEENS9_8equal_toIiEEiEE10hipError_tPvRmT2_T3_T4_T5_mT6_T7_P12ihipStream_tbENKUlT_T0_E_clISt17integral_constantIbLb1EESZ_EEDaSU_SV_EUlSU_E_NS1_11comp_targetILNS1_3genE2ELNS1_11target_archE906ELNS1_3gpuE6ELNS1_3repE0EEENS1_30default_config_static_selectorELNS0_4arch9wavefront6targetE0EEEvT1_, .Lfunc_end547-_ZN7rocprim17ROCPRIM_400000_NS6detail17trampoline_kernelINS0_14default_configENS1_27scan_by_key_config_selectorIiiEEZZNS1_16scan_by_key_implILNS1_25lookback_scan_determinismE0ELb1ES3_N6thrust23THRUST_200600_302600_NS6detail15normal_iteratorINS9_10device_ptrIiEEEESE_SE_iNS9_4plusIvEENS9_8equal_toIiEEiEE10hipError_tPvRmT2_T3_T4_T5_mT6_T7_P12ihipStream_tbENKUlT_T0_E_clISt17integral_constantIbLb1EESZ_EEDaSU_SV_EUlSU_E_NS1_11comp_targetILNS1_3genE2ELNS1_11target_archE906ELNS1_3gpuE6ELNS1_3repE0EEENS1_30default_config_static_selectorELNS0_4arch9wavefront6targetE0EEEvT1_
                                        ; -- End function
	.set _ZN7rocprim17ROCPRIM_400000_NS6detail17trampoline_kernelINS0_14default_configENS1_27scan_by_key_config_selectorIiiEEZZNS1_16scan_by_key_implILNS1_25lookback_scan_determinismE0ELb1ES3_N6thrust23THRUST_200600_302600_NS6detail15normal_iteratorINS9_10device_ptrIiEEEESE_SE_iNS9_4plusIvEENS9_8equal_toIiEEiEE10hipError_tPvRmT2_T3_T4_T5_mT6_T7_P12ihipStream_tbENKUlT_T0_E_clISt17integral_constantIbLb1EESZ_EEDaSU_SV_EUlSU_E_NS1_11comp_targetILNS1_3genE2ELNS1_11target_archE906ELNS1_3gpuE6ELNS1_3repE0EEENS1_30default_config_static_selectorELNS0_4arch9wavefront6targetE0EEEvT1_.num_vgpr, 0
	.set _ZN7rocprim17ROCPRIM_400000_NS6detail17trampoline_kernelINS0_14default_configENS1_27scan_by_key_config_selectorIiiEEZZNS1_16scan_by_key_implILNS1_25lookback_scan_determinismE0ELb1ES3_N6thrust23THRUST_200600_302600_NS6detail15normal_iteratorINS9_10device_ptrIiEEEESE_SE_iNS9_4plusIvEENS9_8equal_toIiEEiEE10hipError_tPvRmT2_T3_T4_T5_mT6_T7_P12ihipStream_tbENKUlT_T0_E_clISt17integral_constantIbLb1EESZ_EEDaSU_SV_EUlSU_E_NS1_11comp_targetILNS1_3genE2ELNS1_11target_archE906ELNS1_3gpuE6ELNS1_3repE0EEENS1_30default_config_static_selectorELNS0_4arch9wavefront6targetE0EEEvT1_.num_agpr, 0
	.set _ZN7rocprim17ROCPRIM_400000_NS6detail17trampoline_kernelINS0_14default_configENS1_27scan_by_key_config_selectorIiiEEZZNS1_16scan_by_key_implILNS1_25lookback_scan_determinismE0ELb1ES3_N6thrust23THRUST_200600_302600_NS6detail15normal_iteratorINS9_10device_ptrIiEEEESE_SE_iNS9_4plusIvEENS9_8equal_toIiEEiEE10hipError_tPvRmT2_T3_T4_T5_mT6_T7_P12ihipStream_tbENKUlT_T0_E_clISt17integral_constantIbLb1EESZ_EEDaSU_SV_EUlSU_E_NS1_11comp_targetILNS1_3genE2ELNS1_11target_archE906ELNS1_3gpuE6ELNS1_3repE0EEENS1_30default_config_static_selectorELNS0_4arch9wavefront6targetE0EEEvT1_.numbered_sgpr, 0
	.set _ZN7rocprim17ROCPRIM_400000_NS6detail17trampoline_kernelINS0_14default_configENS1_27scan_by_key_config_selectorIiiEEZZNS1_16scan_by_key_implILNS1_25lookback_scan_determinismE0ELb1ES3_N6thrust23THRUST_200600_302600_NS6detail15normal_iteratorINS9_10device_ptrIiEEEESE_SE_iNS9_4plusIvEENS9_8equal_toIiEEiEE10hipError_tPvRmT2_T3_T4_T5_mT6_T7_P12ihipStream_tbENKUlT_T0_E_clISt17integral_constantIbLb1EESZ_EEDaSU_SV_EUlSU_E_NS1_11comp_targetILNS1_3genE2ELNS1_11target_archE906ELNS1_3gpuE6ELNS1_3repE0EEENS1_30default_config_static_selectorELNS0_4arch9wavefront6targetE0EEEvT1_.num_named_barrier, 0
	.set _ZN7rocprim17ROCPRIM_400000_NS6detail17trampoline_kernelINS0_14default_configENS1_27scan_by_key_config_selectorIiiEEZZNS1_16scan_by_key_implILNS1_25lookback_scan_determinismE0ELb1ES3_N6thrust23THRUST_200600_302600_NS6detail15normal_iteratorINS9_10device_ptrIiEEEESE_SE_iNS9_4plusIvEENS9_8equal_toIiEEiEE10hipError_tPvRmT2_T3_T4_T5_mT6_T7_P12ihipStream_tbENKUlT_T0_E_clISt17integral_constantIbLb1EESZ_EEDaSU_SV_EUlSU_E_NS1_11comp_targetILNS1_3genE2ELNS1_11target_archE906ELNS1_3gpuE6ELNS1_3repE0EEENS1_30default_config_static_selectorELNS0_4arch9wavefront6targetE0EEEvT1_.private_seg_size, 0
	.set _ZN7rocprim17ROCPRIM_400000_NS6detail17trampoline_kernelINS0_14default_configENS1_27scan_by_key_config_selectorIiiEEZZNS1_16scan_by_key_implILNS1_25lookback_scan_determinismE0ELb1ES3_N6thrust23THRUST_200600_302600_NS6detail15normal_iteratorINS9_10device_ptrIiEEEESE_SE_iNS9_4plusIvEENS9_8equal_toIiEEiEE10hipError_tPvRmT2_T3_T4_T5_mT6_T7_P12ihipStream_tbENKUlT_T0_E_clISt17integral_constantIbLb1EESZ_EEDaSU_SV_EUlSU_E_NS1_11comp_targetILNS1_3genE2ELNS1_11target_archE906ELNS1_3gpuE6ELNS1_3repE0EEENS1_30default_config_static_selectorELNS0_4arch9wavefront6targetE0EEEvT1_.uses_vcc, 0
	.set _ZN7rocprim17ROCPRIM_400000_NS6detail17trampoline_kernelINS0_14default_configENS1_27scan_by_key_config_selectorIiiEEZZNS1_16scan_by_key_implILNS1_25lookback_scan_determinismE0ELb1ES3_N6thrust23THRUST_200600_302600_NS6detail15normal_iteratorINS9_10device_ptrIiEEEESE_SE_iNS9_4plusIvEENS9_8equal_toIiEEiEE10hipError_tPvRmT2_T3_T4_T5_mT6_T7_P12ihipStream_tbENKUlT_T0_E_clISt17integral_constantIbLb1EESZ_EEDaSU_SV_EUlSU_E_NS1_11comp_targetILNS1_3genE2ELNS1_11target_archE906ELNS1_3gpuE6ELNS1_3repE0EEENS1_30default_config_static_selectorELNS0_4arch9wavefront6targetE0EEEvT1_.uses_flat_scratch, 0
	.set _ZN7rocprim17ROCPRIM_400000_NS6detail17trampoline_kernelINS0_14default_configENS1_27scan_by_key_config_selectorIiiEEZZNS1_16scan_by_key_implILNS1_25lookback_scan_determinismE0ELb1ES3_N6thrust23THRUST_200600_302600_NS6detail15normal_iteratorINS9_10device_ptrIiEEEESE_SE_iNS9_4plusIvEENS9_8equal_toIiEEiEE10hipError_tPvRmT2_T3_T4_T5_mT6_T7_P12ihipStream_tbENKUlT_T0_E_clISt17integral_constantIbLb1EESZ_EEDaSU_SV_EUlSU_E_NS1_11comp_targetILNS1_3genE2ELNS1_11target_archE906ELNS1_3gpuE6ELNS1_3repE0EEENS1_30default_config_static_selectorELNS0_4arch9wavefront6targetE0EEEvT1_.has_dyn_sized_stack, 0
	.set _ZN7rocprim17ROCPRIM_400000_NS6detail17trampoline_kernelINS0_14default_configENS1_27scan_by_key_config_selectorIiiEEZZNS1_16scan_by_key_implILNS1_25lookback_scan_determinismE0ELb1ES3_N6thrust23THRUST_200600_302600_NS6detail15normal_iteratorINS9_10device_ptrIiEEEESE_SE_iNS9_4plusIvEENS9_8equal_toIiEEiEE10hipError_tPvRmT2_T3_T4_T5_mT6_T7_P12ihipStream_tbENKUlT_T0_E_clISt17integral_constantIbLb1EESZ_EEDaSU_SV_EUlSU_E_NS1_11comp_targetILNS1_3genE2ELNS1_11target_archE906ELNS1_3gpuE6ELNS1_3repE0EEENS1_30default_config_static_selectorELNS0_4arch9wavefront6targetE0EEEvT1_.has_recursion, 0
	.set _ZN7rocprim17ROCPRIM_400000_NS6detail17trampoline_kernelINS0_14default_configENS1_27scan_by_key_config_selectorIiiEEZZNS1_16scan_by_key_implILNS1_25lookback_scan_determinismE0ELb1ES3_N6thrust23THRUST_200600_302600_NS6detail15normal_iteratorINS9_10device_ptrIiEEEESE_SE_iNS9_4plusIvEENS9_8equal_toIiEEiEE10hipError_tPvRmT2_T3_T4_T5_mT6_T7_P12ihipStream_tbENKUlT_T0_E_clISt17integral_constantIbLb1EESZ_EEDaSU_SV_EUlSU_E_NS1_11comp_targetILNS1_3genE2ELNS1_11target_archE906ELNS1_3gpuE6ELNS1_3repE0EEENS1_30default_config_static_selectorELNS0_4arch9wavefront6targetE0EEEvT1_.has_indirect_call, 0
	.section	.AMDGPU.csdata,"",@progbits
; Kernel info:
; codeLenInByte = 0
; TotalNumSgprs: 0
; NumVgprs: 0
; ScratchSize: 0
; MemoryBound: 0
; FloatMode: 240
; IeeeMode: 1
; LDSByteSize: 0 bytes/workgroup (compile time only)
; SGPRBlocks: 0
; VGPRBlocks: 0
; NumSGPRsForWavesPerEU: 1
; NumVGPRsForWavesPerEU: 1
; NamedBarCnt: 0
; Occupancy: 16
; WaveLimiterHint : 0
; COMPUTE_PGM_RSRC2:SCRATCH_EN: 0
; COMPUTE_PGM_RSRC2:USER_SGPR: 2
; COMPUTE_PGM_RSRC2:TRAP_HANDLER: 0
; COMPUTE_PGM_RSRC2:TGID_X_EN: 1
; COMPUTE_PGM_RSRC2:TGID_Y_EN: 0
; COMPUTE_PGM_RSRC2:TGID_Z_EN: 0
; COMPUTE_PGM_RSRC2:TIDIG_COMP_CNT: 0
	.section	.text._ZN7rocprim17ROCPRIM_400000_NS6detail17trampoline_kernelINS0_14default_configENS1_27scan_by_key_config_selectorIiiEEZZNS1_16scan_by_key_implILNS1_25lookback_scan_determinismE0ELb1ES3_N6thrust23THRUST_200600_302600_NS6detail15normal_iteratorINS9_10device_ptrIiEEEESE_SE_iNS9_4plusIvEENS9_8equal_toIiEEiEE10hipError_tPvRmT2_T3_T4_T5_mT6_T7_P12ihipStream_tbENKUlT_T0_E_clISt17integral_constantIbLb1EESZ_EEDaSU_SV_EUlSU_E_NS1_11comp_targetILNS1_3genE10ELNS1_11target_archE1200ELNS1_3gpuE4ELNS1_3repE0EEENS1_30default_config_static_selectorELNS0_4arch9wavefront6targetE0EEEvT1_,"axG",@progbits,_ZN7rocprim17ROCPRIM_400000_NS6detail17trampoline_kernelINS0_14default_configENS1_27scan_by_key_config_selectorIiiEEZZNS1_16scan_by_key_implILNS1_25lookback_scan_determinismE0ELb1ES3_N6thrust23THRUST_200600_302600_NS6detail15normal_iteratorINS9_10device_ptrIiEEEESE_SE_iNS9_4plusIvEENS9_8equal_toIiEEiEE10hipError_tPvRmT2_T3_T4_T5_mT6_T7_P12ihipStream_tbENKUlT_T0_E_clISt17integral_constantIbLb1EESZ_EEDaSU_SV_EUlSU_E_NS1_11comp_targetILNS1_3genE10ELNS1_11target_archE1200ELNS1_3gpuE4ELNS1_3repE0EEENS1_30default_config_static_selectorELNS0_4arch9wavefront6targetE0EEEvT1_,comdat
	.protected	_ZN7rocprim17ROCPRIM_400000_NS6detail17trampoline_kernelINS0_14default_configENS1_27scan_by_key_config_selectorIiiEEZZNS1_16scan_by_key_implILNS1_25lookback_scan_determinismE0ELb1ES3_N6thrust23THRUST_200600_302600_NS6detail15normal_iteratorINS9_10device_ptrIiEEEESE_SE_iNS9_4plusIvEENS9_8equal_toIiEEiEE10hipError_tPvRmT2_T3_T4_T5_mT6_T7_P12ihipStream_tbENKUlT_T0_E_clISt17integral_constantIbLb1EESZ_EEDaSU_SV_EUlSU_E_NS1_11comp_targetILNS1_3genE10ELNS1_11target_archE1200ELNS1_3gpuE4ELNS1_3repE0EEENS1_30default_config_static_selectorELNS0_4arch9wavefront6targetE0EEEvT1_ ; -- Begin function _ZN7rocprim17ROCPRIM_400000_NS6detail17trampoline_kernelINS0_14default_configENS1_27scan_by_key_config_selectorIiiEEZZNS1_16scan_by_key_implILNS1_25lookback_scan_determinismE0ELb1ES3_N6thrust23THRUST_200600_302600_NS6detail15normal_iteratorINS9_10device_ptrIiEEEESE_SE_iNS9_4plusIvEENS9_8equal_toIiEEiEE10hipError_tPvRmT2_T3_T4_T5_mT6_T7_P12ihipStream_tbENKUlT_T0_E_clISt17integral_constantIbLb1EESZ_EEDaSU_SV_EUlSU_E_NS1_11comp_targetILNS1_3genE10ELNS1_11target_archE1200ELNS1_3gpuE4ELNS1_3repE0EEENS1_30default_config_static_selectorELNS0_4arch9wavefront6targetE0EEEvT1_
	.globl	_ZN7rocprim17ROCPRIM_400000_NS6detail17trampoline_kernelINS0_14default_configENS1_27scan_by_key_config_selectorIiiEEZZNS1_16scan_by_key_implILNS1_25lookback_scan_determinismE0ELb1ES3_N6thrust23THRUST_200600_302600_NS6detail15normal_iteratorINS9_10device_ptrIiEEEESE_SE_iNS9_4plusIvEENS9_8equal_toIiEEiEE10hipError_tPvRmT2_T3_T4_T5_mT6_T7_P12ihipStream_tbENKUlT_T0_E_clISt17integral_constantIbLb1EESZ_EEDaSU_SV_EUlSU_E_NS1_11comp_targetILNS1_3genE10ELNS1_11target_archE1200ELNS1_3gpuE4ELNS1_3repE0EEENS1_30default_config_static_selectorELNS0_4arch9wavefront6targetE0EEEvT1_
	.p2align	8
	.type	_ZN7rocprim17ROCPRIM_400000_NS6detail17trampoline_kernelINS0_14default_configENS1_27scan_by_key_config_selectorIiiEEZZNS1_16scan_by_key_implILNS1_25lookback_scan_determinismE0ELb1ES3_N6thrust23THRUST_200600_302600_NS6detail15normal_iteratorINS9_10device_ptrIiEEEESE_SE_iNS9_4plusIvEENS9_8equal_toIiEEiEE10hipError_tPvRmT2_T3_T4_T5_mT6_T7_P12ihipStream_tbENKUlT_T0_E_clISt17integral_constantIbLb1EESZ_EEDaSU_SV_EUlSU_E_NS1_11comp_targetILNS1_3genE10ELNS1_11target_archE1200ELNS1_3gpuE4ELNS1_3repE0EEENS1_30default_config_static_selectorELNS0_4arch9wavefront6targetE0EEEvT1_,@function
_ZN7rocprim17ROCPRIM_400000_NS6detail17trampoline_kernelINS0_14default_configENS1_27scan_by_key_config_selectorIiiEEZZNS1_16scan_by_key_implILNS1_25lookback_scan_determinismE0ELb1ES3_N6thrust23THRUST_200600_302600_NS6detail15normal_iteratorINS9_10device_ptrIiEEEESE_SE_iNS9_4plusIvEENS9_8equal_toIiEEiEE10hipError_tPvRmT2_T3_T4_T5_mT6_T7_P12ihipStream_tbENKUlT_T0_E_clISt17integral_constantIbLb1EESZ_EEDaSU_SV_EUlSU_E_NS1_11comp_targetILNS1_3genE10ELNS1_11target_archE1200ELNS1_3gpuE4ELNS1_3repE0EEENS1_30default_config_static_selectorELNS0_4arch9wavefront6targetE0EEEvT1_: ; @_ZN7rocprim17ROCPRIM_400000_NS6detail17trampoline_kernelINS0_14default_configENS1_27scan_by_key_config_selectorIiiEEZZNS1_16scan_by_key_implILNS1_25lookback_scan_determinismE0ELb1ES3_N6thrust23THRUST_200600_302600_NS6detail15normal_iteratorINS9_10device_ptrIiEEEESE_SE_iNS9_4plusIvEENS9_8equal_toIiEEiEE10hipError_tPvRmT2_T3_T4_T5_mT6_T7_P12ihipStream_tbENKUlT_T0_E_clISt17integral_constantIbLb1EESZ_EEDaSU_SV_EUlSU_E_NS1_11comp_targetILNS1_3genE10ELNS1_11target_archE1200ELNS1_3gpuE4ELNS1_3repE0EEENS1_30default_config_static_selectorELNS0_4arch9wavefront6targetE0EEEvT1_
; %bb.0:
	.section	.rodata,"a",@progbits
	.p2align	6, 0x0
	.amdhsa_kernel _ZN7rocprim17ROCPRIM_400000_NS6detail17trampoline_kernelINS0_14default_configENS1_27scan_by_key_config_selectorIiiEEZZNS1_16scan_by_key_implILNS1_25lookback_scan_determinismE0ELb1ES3_N6thrust23THRUST_200600_302600_NS6detail15normal_iteratorINS9_10device_ptrIiEEEESE_SE_iNS9_4plusIvEENS9_8equal_toIiEEiEE10hipError_tPvRmT2_T3_T4_T5_mT6_T7_P12ihipStream_tbENKUlT_T0_E_clISt17integral_constantIbLb1EESZ_EEDaSU_SV_EUlSU_E_NS1_11comp_targetILNS1_3genE10ELNS1_11target_archE1200ELNS1_3gpuE4ELNS1_3repE0EEENS1_30default_config_static_selectorELNS0_4arch9wavefront6targetE0EEEvT1_
		.amdhsa_group_segment_fixed_size 0
		.amdhsa_private_segment_fixed_size 0
		.amdhsa_kernarg_size 112
		.amdhsa_user_sgpr_count 2
		.amdhsa_user_sgpr_dispatch_ptr 0
		.amdhsa_user_sgpr_queue_ptr 0
		.amdhsa_user_sgpr_kernarg_segment_ptr 1
		.amdhsa_user_sgpr_dispatch_id 0
		.amdhsa_user_sgpr_kernarg_preload_length 0
		.amdhsa_user_sgpr_kernarg_preload_offset 0
		.amdhsa_user_sgpr_private_segment_size 0
		.amdhsa_wavefront_size32 1
		.amdhsa_uses_dynamic_stack 0
		.amdhsa_enable_private_segment 0
		.amdhsa_system_sgpr_workgroup_id_x 1
		.amdhsa_system_sgpr_workgroup_id_y 0
		.amdhsa_system_sgpr_workgroup_id_z 0
		.amdhsa_system_sgpr_workgroup_info 0
		.amdhsa_system_vgpr_workitem_id 0
		.amdhsa_next_free_vgpr 1
		.amdhsa_next_free_sgpr 1
		.amdhsa_named_barrier_count 0
		.amdhsa_reserve_vcc 0
		.amdhsa_float_round_mode_32 0
		.amdhsa_float_round_mode_16_64 0
		.amdhsa_float_denorm_mode_32 3
		.amdhsa_float_denorm_mode_16_64 3
		.amdhsa_fp16_overflow 0
		.amdhsa_memory_ordered 1
		.amdhsa_forward_progress 1
		.amdhsa_inst_pref_size 0
		.amdhsa_round_robin_scheduling 0
		.amdhsa_exception_fp_ieee_invalid_op 0
		.amdhsa_exception_fp_denorm_src 0
		.amdhsa_exception_fp_ieee_div_zero 0
		.amdhsa_exception_fp_ieee_overflow 0
		.amdhsa_exception_fp_ieee_underflow 0
		.amdhsa_exception_fp_ieee_inexact 0
		.amdhsa_exception_int_div_zero 0
	.end_amdhsa_kernel
	.section	.text._ZN7rocprim17ROCPRIM_400000_NS6detail17trampoline_kernelINS0_14default_configENS1_27scan_by_key_config_selectorIiiEEZZNS1_16scan_by_key_implILNS1_25lookback_scan_determinismE0ELb1ES3_N6thrust23THRUST_200600_302600_NS6detail15normal_iteratorINS9_10device_ptrIiEEEESE_SE_iNS9_4plusIvEENS9_8equal_toIiEEiEE10hipError_tPvRmT2_T3_T4_T5_mT6_T7_P12ihipStream_tbENKUlT_T0_E_clISt17integral_constantIbLb1EESZ_EEDaSU_SV_EUlSU_E_NS1_11comp_targetILNS1_3genE10ELNS1_11target_archE1200ELNS1_3gpuE4ELNS1_3repE0EEENS1_30default_config_static_selectorELNS0_4arch9wavefront6targetE0EEEvT1_,"axG",@progbits,_ZN7rocprim17ROCPRIM_400000_NS6detail17trampoline_kernelINS0_14default_configENS1_27scan_by_key_config_selectorIiiEEZZNS1_16scan_by_key_implILNS1_25lookback_scan_determinismE0ELb1ES3_N6thrust23THRUST_200600_302600_NS6detail15normal_iteratorINS9_10device_ptrIiEEEESE_SE_iNS9_4plusIvEENS9_8equal_toIiEEiEE10hipError_tPvRmT2_T3_T4_T5_mT6_T7_P12ihipStream_tbENKUlT_T0_E_clISt17integral_constantIbLb1EESZ_EEDaSU_SV_EUlSU_E_NS1_11comp_targetILNS1_3genE10ELNS1_11target_archE1200ELNS1_3gpuE4ELNS1_3repE0EEENS1_30default_config_static_selectorELNS0_4arch9wavefront6targetE0EEEvT1_,comdat
.Lfunc_end548:
	.size	_ZN7rocprim17ROCPRIM_400000_NS6detail17trampoline_kernelINS0_14default_configENS1_27scan_by_key_config_selectorIiiEEZZNS1_16scan_by_key_implILNS1_25lookback_scan_determinismE0ELb1ES3_N6thrust23THRUST_200600_302600_NS6detail15normal_iteratorINS9_10device_ptrIiEEEESE_SE_iNS9_4plusIvEENS9_8equal_toIiEEiEE10hipError_tPvRmT2_T3_T4_T5_mT6_T7_P12ihipStream_tbENKUlT_T0_E_clISt17integral_constantIbLb1EESZ_EEDaSU_SV_EUlSU_E_NS1_11comp_targetILNS1_3genE10ELNS1_11target_archE1200ELNS1_3gpuE4ELNS1_3repE0EEENS1_30default_config_static_selectorELNS0_4arch9wavefront6targetE0EEEvT1_, .Lfunc_end548-_ZN7rocprim17ROCPRIM_400000_NS6detail17trampoline_kernelINS0_14default_configENS1_27scan_by_key_config_selectorIiiEEZZNS1_16scan_by_key_implILNS1_25lookback_scan_determinismE0ELb1ES3_N6thrust23THRUST_200600_302600_NS6detail15normal_iteratorINS9_10device_ptrIiEEEESE_SE_iNS9_4plusIvEENS9_8equal_toIiEEiEE10hipError_tPvRmT2_T3_T4_T5_mT6_T7_P12ihipStream_tbENKUlT_T0_E_clISt17integral_constantIbLb1EESZ_EEDaSU_SV_EUlSU_E_NS1_11comp_targetILNS1_3genE10ELNS1_11target_archE1200ELNS1_3gpuE4ELNS1_3repE0EEENS1_30default_config_static_selectorELNS0_4arch9wavefront6targetE0EEEvT1_
                                        ; -- End function
	.set _ZN7rocprim17ROCPRIM_400000_NS6detail17trampoline_kernelINS0_14default_configENS1_27scan_by_key_config_selectorIiiEEZZNS1_16scan_by_key_implILNS1_25lookback_scan_determinismE0ELb1ES3_N6thrust23THRUST_200600_302600_NS6detail15normal_iteratorINS9_10device_ptrIiEEEESE_SE_iNS9_4plusIvEENS9_8equal_toIiEEiEE10hipError_tPvRmT2_T3_T4_T5_mT6_T7_P12ihipStream_tbENKUlT_T0_E_clISt17integral_constantIbLb1EESZ_EEDaSU_SV_EUlSU_E_NS1_11comp_targetILNS1_3genE10ELNS1_11target_archE1200ELNS1_3gpuE4ELNS1_3repE0EEENS1_30default_config_static_selectorELNS0_4arch9wavefront6targetE0EEEvT1_.num_vgpr, 0
	.set _ZN7rocprim17ROCPRIM_400000_NS6detail17trampoline_kernelINS0_14default_configENS1_27scan_by_key_config_selectorIiiEEZZNS1_16scan_by_key_implILNS1_25lookback_scan_determinismE0ELb1ES3_N6thrust23THRUST_200600_302600_NS6detail15normal_iteratorINS9_10device_ptrIiEEEESE_SE_iNS9_4plusIvEENS9_8equal_toIiEEiEE10hipError_tPvRmT2_T3_T4_T5_mT6_T7_P12ihipStream_tbENKUlT_T0_E_clISt17integral_constantIbLb1EESZ_EEDaSU_SV_EUlSU_E_NS1_11comp_targetILNS1_3genE10ELNS1_11target_archE1200ELNS1_3gpuE4ELNS1_3repE0EEENS1_30default_config_static_selectorELNS0_4arch9wavefront6targetE0EEEvT1_.num_agpr, 0
	.set _ZN7rocprim17ROCPRIM_400000_NS6detail17trampoline_kernelINS0_14default_configENS1_27scan_by_key_config_selectorIiiEEZZNS1_16scan_by_key_implILNS1_25lookback_scan_determinismE0ELb1ES3_N6thrust23THRUST_200600_302600_NS6detail15normal_iteratorINS9_10device_ptrIiEEEESE_SE_iNS9_4plusIvEENS9_8equal_toIiEEiEE10hipError_tPvRmT2_T3_T4_T5_mT6_T7_P12ihipStream_tbENKUlT_T0_E_clISt17integral_constantIbLb1EESZ_EEDaSU_SV_EUlSU_E_NS1_11comp_targetILNS1_3genE10ELNS1_11target_archE1200ELNS1_3gpuE4ELNS1_3repE0EEENS1_30default_config_static_selectorELNS0_4arch9wavefront6targetE0EEEvT1_.numbered_sgpr, 0
	.set _ZN7rocprim17ROCPRIM_400000_NS6detail17trampoline_kernelINS0_14default_configENS1_27scan_by_key_config_selectorIiiEEZZNS1_16scan_by_key_implILNS1_25lookback_scan_determinismE0ELb1ES3_N6thrust23THRUST_200600_302600_NS6detail15normal_iteratorINS9_10device_ptrIiEEEESE_SE_iNS9_4plusIvEENS9_8equal_toIiEEiEE10hipError_tPvRmT2_T3_T4_T5_mT6_T7_P12ihipStream_tbENKUlT_T0_E_clISt17integral_constantIbLb1EESZ_EEDaSU_SV_EUlSU_E_NS1_11comp_targetILNS1_3genE10ELNS1_11target_archE1200ELNS1_3gpuE4ELNS1_3repE0EEENS1_30default_config_static_selectorELNS0_4arch9wavefront6targetE0EEEvT1_.num_named_barrier, 0
	.set _ZN7rocprim17ROCPRIM_400000_NS6detail17trampoline_kernelINS0_14default_configENS1_27scan_by_key_config_selectorIiiEEZZNS1_16scan_by_key_implILNS1_25lookback_scan_determinismE0ELb1ES3_N6thrust23THRUST_200600_302600_NS6detail15normal_iteratorINS9_10device_ptrIiEEEESE_SE_iNS9_4plusIvEENS9_8equal_toIiEEiEE10hipError_tPvRmT2_T3_T4_T5_mT6_T7_P12ihipStream_tbENKUlT_T0_E_clISt17integral_constantIbLb1EESZ_EEDaSU_SV_EUlSU_E_NS1_11comp_targetILNS1_3genE10ELNS1_11target_archE1200ELNS1_3gpuE4ELNS1_3repE0EEENS1_30default_config_static_selectorELNS0_4arch9wavefront6targetE0EEEvT1_.private_seg_size, 0
	.set _ZN7rocprim17ROCPRIM_400000_NS6detail17trampoline_kernelINS0_14default_configENS1_27scan_by_key_config_selectorIiiEEZZNS1_16scan_by_key_implILNS1_25lookback_scan_determinismE0ELb1ES3_N6thrust23THRUST_200600_302600_NS6detail15normal_iteratorINS9_10device_ptrIiEEEESE_SE_iNS9_4plusIvEENS9_8equal_toIiEEiEE10hipError_tPvRmT2_T3_T4_T5_mT6_T7_P12ihipStream_tbENKUlT_T0_E_clISt17integral_constantIbLb1EESZ_EEDaSU_SV_EUlSU_E_NS1_11comp_targetILNS1_3genE10ELNS1_11target_archE1200ELNS1_3gpuE4ELNS1_3repE0EEENS1_30default_config_static_selectorELNS0_4arch9wavefront6targetE0EEEvT1_.uses_vcc, 0
	.set _ZN7rocprim17ROCPRIM_400000_NS6detail17trampoline_kernelINS0_14default_configENS1_27scan_by_key_config_selectorIiiEEZZNS1_16scan_by_key_implILNS1_25lookback_scan_determinismE0ELb1ES3_N6thrust23THRUST_200600_302600_NS6detail15normal_iteratorINS9_10device_ptrIiEEEESE_SE_iNS9_4plusIvEENS9_8equal_toIiEEiEE10hipError_tPvRmT2_T3_T4_T5_mT6_T7_P12ihipStream_tbENKUlT_T0_E_clISt17integral_constantIbLb1EESZ_EEDaSU_SV_EUlSU_E_NS1_11comp_targetILNS1_3genE10ELNS1_11target_archE1200ELNS1_3gpuE4ELNS1_3repE0EEENS1_30default_config_static_selectorELNS0_4arch9wavefront6targetE0EEEvT1_.uses_flat_scratch, 0
	.set _ZN7rocprim17ROCPRIM_400000_NS6detail17trampoline_kernelINS0_14default_configENS1_27scan_by_key_config_selectorIiiEEZZNS1_16scan_by_key_implILNS1_25lookback_scan_determinismE0ELb1ES3_N6thrust23THRUST_200600_302600_NS6detail15normal_iteratorINS9_10device_ptrIiEEEESE_SE_iNS9_4plusIvEENS9_8equal_toIiEEiEE10hipError_tPvRmT2_T3_T4_T5_mT6_T7_P12ihipStream_tbENKUlT_T0_E_clISt17integral_constantIbLb1EESZ_EEDaSU_SV_EUlSU_E_NS1_11comp_targetILNS1_3genE10ELNS1_11target_archE1200ELNS1_3gpuE4ELNS1_3repE0EEENS1_30default_config_static_selectorELNS0_4arch9wavefront6targetE0EEEvT1_.has_dyn_sized_stack, 0
	.set _ZN7rocprim17ROCPRIM_400000_NS6detail17trampoline_kernelINS0_14default_configENS1_27scan_by_key_config_selectorIiiEEZZNS1_16scan_by_key_implILNS1_25lookback_scan_determinismE0ELb1ES3_N6thrust23THRUST_200600_302600_NS6detail15normal_iteratorINS9_10device_ptrIiEEEESE_SE_iNS9_4plusIvEENS9_8equal_toIiEEiEE10hipError_tPvRmT2_T3_T4_T5_mT6_T7_P12ihipStream_tbENKUlT_T0_E_clISt17integral_constantIbLb1EESZ_EEDaSU_SV_EUlSU_E_NS1_11comp_targetILNS1_3genE10ELNS1_11target_archE1200ELNS1_3gpuE4ELNS1_3repE0EEENS1_30default_config_static_selectorELNS0_4arch9wavefront6targetE0EEEvT1_.has_recursion, 0
	.set _ZN7rocprim17ROCPRIM_400000_NS6detail17trampoline_kernelINS0_14default_configENS1_27scan_by_key_config_selectorIiiEEZZNS1_16scan_by_key_implILNS1_25lookback_scan_determinismE0ELb1ES3_N6thrust23THRUST_200600_302600_NS6detail15normal_iteratorINS9_10device_ptrIiEEEESE_SE_iNS9_4plusIvEENS9_8equal_toIiEEiEE10hipError_tPvRmT2_T3_T4_T5_mT6_T7_P12ihipStream_tbENKUlT_T0_E_clISt17integral_constantIbLb1EESZ_EEDaSU_SV_EUlSU_E_NS1_11comp_targetILNS1_3genE10ELNS1_11target_archE1200ELNS1_3gpuE4ELNS1_3repE0EEENS1_30default_config_static_selectorELNS0_4arch9wavefront6targetE0EEEvT1_.has_indirect_call, 0
	.section	.AMDGPU.csdata,"",@progbits
; Kernel info:
; codeLenInByte = 0
; TotalNumSgprs: 0
; NumVgprs: 0
; ScratchSize: 0
; MemoryBound: 0
; FloatMode: 240
; IeeeMode: 1
; LDSByteSize: 0 bytes/workgroup (compile time only)
; SGPRBlocks: 0
; VGPRBlocks: 0
; NumSGPRsForWavesPerEU: 1
; NumVGPRsForWavesPerEU: 1
; NamedBarCnt: 0
; Occupancy: 16
; WaveLimiterHint : 0
; COMPUTE_PGM_RSRC2:SCRATCH_EN: 0
; COMPUTE_PGM_RSRC2:USER_SGPR: 2
; COMPUTE_PGM_RSRC2:TRAP_HANDLER: 0
; COMPUTE_PGM_RSRC2:TGID_X_EN: 1
; COMPUTE_PGM_RSRC2:TGID_Y_EN: 0
; COMPUTE_PGM_RSRC2:TGID_Z_EN: 0
; COMPUTE_PGM_RSRC2:TIDIG_COMP_CNT: 0
	.section	.text._ZN7rocprim17ROCPRIM_400000_NS6detail17trampoline_kernelINS0_14default_configENS1_27scan_by_key_config_selectorIiiEEZZNS1_16scan_by_key_implILNS1_25lookback_scan_determinismE0ELb1ES3_N6thrust23THRUST_200600_302600_NS6detail15normal_iteratorINS9_10device_ptrIiEEEESE_SE_iNS9_4plusIvEENS9_8equal_toIiEEiEE10hipError_tPvRmT2_T3_T4_T5_mT6_T7_P12ihipStream_tbENKUlT_T0_E_clISt17integral_constantIbLb1EESZ_EEDaSU_SV_EUlSU_E_NS1_11comp_targetILNS1_3genE9ELNS1_11target_archE1100ELNS1_3gpuE3ELNS1_3repE0EEENS1_30default_config_static_selectorELNS0_4arch9wavefront6targetE0EEEvT1_,"axG",@progbits,_ZN7rocprim17ROCPRIM_400000_NS6detail17trampoline_kernelINS0_14default_configENS1_27scan_by_key_config_selectorIiiEEZZNS1_16scan_by_key_implILNS1_25lookback_scan_determinismE0ELb1ES3_N6thrust23THRUST_200600_302600_NS6detail15normal_iteratorINS9_10device_ptrIiEEEESE_SE_iNS9_4plusIvEENS9_8equal_toIiEEiEE10hipError_tPvRmT2_T3_T4_T5_mT6_T7_P12ihipStream_tbENKUlT_T0_E_clISt17integral_constantIbLb1EESZ_EEDaSU_SV_EUlSU_E_NS1_11comp_targetILNS1_3genE9ELNS1_11target_archE1100ELNS1_3gpuE3ELNS1_3repE0EEENS1_30default_config_static_selectorELNS0_4arch9wavefront6targetE0EEEvT1_,comdat
	.protected	_ZN7rocprim17ROCPRIM_400000_NS6detail17trampoline_kernelINS0_14default_configENS1_27scan_by_key_config_selectorIiiEEZZNS1_16scan_by_key_implILNS1_25lookback_scan_determinismE0ELb1ES3_N6thrust23THRUST_200600_302600_NS6detail15normal_iteratorINS9_10device_ptrIiEEEESE_SE_iNS9_4plusIvEENS9_8equal_toIiEEiEE10hipError_tPvRmT2_T3_T4_T5_mT6_T7_P12ihipStream_tbENKUlT_T0_E_clISt17integral_constantIbLb1EESZ_EEDaSU_SV_EUlSU_E_NS1_11comp_targetILNS1_3genE9ELNS1_11target_archE1100ELNS1_3gpuE3ELNS1_3repE0EEENS1_30default_config_static_selectorELNS0_4arch9wavefront6targetE0EEEvT1_ ; -- Begin function _ZN7rocprim17ROCPRIM_400000_NS6detail17trampoline_kernelINS0_14default_configENS1_27scan_by_key_config_selectorIiiEEZZNS1_16scan_by_key_implILNS1_25lookback_scan_determinismE0ELb1ES3_N6thrust23THRUST_200600_302600_NS6detail15normal_iteratorINS9_10device_ptrIiEEEESE_SE_iNS9_4plusIvEENS9_8equal_toIiEEiEE10hipError_tPvRmT2_T3_T4_T5_mT6_T7_P12ihipStream_tbENKUlT_T0_E_clISt17integral_constantIbLb1EESZ_EEDaSU_SV_EUlSU_E_NS1_11comp_targetILNS1_3genE9ELNS1_11target_archE1100ELNS1_3gpuE3ELNS1_3repE0EEENS1_30default_config_static_selectorELNS0_4arch9wavefront6targetE0EEEvT1_
	.globl	_ZN7rocprim17ROCPRIM_400000_NS6detail17trampoline_kernelINS0_14default_configENS1_27scan_by_key_config_selectorIiiEEZZNS1_16scan_by_key_implILNS1_25lookback_scan_determinismE0ELb1ES3_N6thrust23THRUST_200600_302600_NS6detail15normal_iteratorINS9_10device_ptrIiEEEESE_SE_iNS9_4plusIvEENS9_8equal_toIiEEiEE10hipError_tPvRmT2_T3_T4_T5_mT6_T7_P12ihipStream_tbENKUlT_T0_E_clISt17integral_constantIbLb1EESZ_EEDaSU_SV_EUlSU_E_NS1_11comp_targetILNS1_3genE9ELNS1_11target_archE1100ELNS1_3gpuE3ELNS1_3repE0EEENS1_30default_config_static_selectorELNS0_4arch9wavefront6targetE0EEEvT1_
	.p2align	8
	.type	_ZN7rocprim17ROCPRIM_400000_NS6detail17trampoline_kernelINS0_14default_configENS1_27scan_by_key_config_selectorIiiEEZZNS1_16scan_by_key_implILNS1_25lookback_scan_determinismE0ELb1ES3_N6thrust23THRUST_200600_302600_NS6detail15normal_iteratorINS9_10device_ptrIiEEEESE_SE_iNS9_4plusIvEENS9_8equal_toIiEEiEE10hipError_tPvRmT2_T3_T4_T5_mT6_T7_P12ihipStream_tbENKUlT_T0_E_clISt17integral_constantIbLb1EESZ_EEDaSU_SV_EUlSU_E_NS1_11comp_targetILNS1_3genE9ELNS1_11target_archE1100ELNS1_3gpuE3ELNS1_3repE0EEENS1_30default_config_static_selectorELNS0_4arch9wavefront6targetE0EEEvT1_,@function
_ZN7rocprim17ROCPRIM_400000_NS6detail17trampoline_kernelINS0_14default_configENS1_27scan_by_key_config_selectorIiiEEZZNS1_16scan_by_key_implILNS1_25lookback_scan_determinismE0ELb1ES3_N6thrust23THRUST_200600_302600_NS6detail15normal_iteratorINS9_10device_ptrIiEEEESE_SE_iNS9_4plusIvEENS9_8equal_toIiEEiEE10hipError_tPvRmT2_T3_T4_T5_mT6_T7_P12ihipStream_tbENKUlT_T0_E_clISt17integral_constantIbLb1EESZ_EEDaSU_SV_EUlSU_E_NS1_11comp_targetILNS1_3genE9ELNS1_11target_archE1100ELNS1_3gpuE3ELNS1_3repE0EEENS1_30default_config_static_selectorELNS0_4arch9wavefront6targetE0EEEvT1_: ; @_ZN7rocprim17ROCPRIM_400000_NS6detail17trampoline_kernelINS0_14default_configENS1_27scan_by_key_config_selectorIiiEEZZNS1_16scan_by_key_implILNS1_25lookback_scan_determinismE0ELb1ES3_N6thrust23THRUST_200600_302600_NS6detail15normal_iteratorINS9_10device_ptrIiEEEESE_SE_iNS9_4plusIvEENS9_8equal_toIiEEiEE10hipError_tPvRmT2_T3_T4_T5_mT6_T7_P12ihipStream_tbENKUlT_T0_E_clISt17integral_constantIbLb1EESZ_EEDaSU_SV_EUlSU_E_NS1_11comp_targetILNS1_3genE9ELNS1_11target_archE1100ELNS1_3gpuE3ELNS1_3repE0EEENS1_30default_config_static_selectorELNS0_4arch9wavefront6targetE0EEEvT1_
; %bb.0:
	.section	.rodata,"a",@progbits
	.p2align	6, 0x0
	.amdhsa_kernel _ZN7rocprim17ROCPRIM_400000_NS6detail17trampoline_kernelINS0_14default_configENS1_27scan_by_key_config_selectorIiiEEZZNS1_16scan_by_key_implILNS1_25lookback_scan_determinismE0ELb1ES3_N6thrust23THRUST_200600_302600_NS6detail15normal_iteratorINS9_10device_ptrIiEEEESE_SE_iNS9_4plusIvEENS9_8equal_toIiEEiEE10hipError_tPvRmT2_T3_T4_T5_mT6_T7_P12ihipStream_tbENKUlT_T0_E_clISt17integral_constantIbLb1EESZ_EEDaSU_SV_EUlSU_E_NS1_11comp_targetILNS1_3genE9ELNS1_11target_archE1100ELNS1_3gpuE3ELNS1_3repE0EEENS1_30default_config_static_selectorELNS0_4arch9wavefront6targetE0EEEvT1_
		.amdhsa_group_segment_fixed_size 0
		.amdhsa_private_segment_fixed_size 0
		.amdhsa_kernarg_size 112
		.amdhsa_user_sgpr_count 2
		.amdhsa_user_sgpr_dispatch_ptr 0
		.amdhsa_user_sgpr_queue_ptr 0
		.amdhsa_user_sgpr_kernarg_segment_ptr 1
		.amdhsa_user_sgpr_dispatch_id 0
		.amdhsa_user_sgpr_kernarg_preload_length 0
		.amdhsa_user_sgpr_kernarg_preload_offset 0
		.amdhsa_user_sgpr_private_segment_size 0
		.amdhsa_wavefront_size32 1
		.amdhsa_uses_dynamic_stack 0
		.amdhsa_enable_private_segment 0
		.amdhsa_system_sgpr_workgroup_id_x 1
		.amdhsa_system_sgpr_workgroup_id_y 0
		.amdhsa_system_sgpr_workgroup_id_z 0
		.amdhsa_system_sgpr_workgroup_info 0
		.amdhsa_system_vgpr_workitem_id 0
		.amdhsa_next_free_vgpr 1
		.amdhsa_next_free_sgpr 1
		.amdhsa_named_barrier_count 0
		.amdhsa_reserve_vcc 0
		.amdhsa_float_round_mode_32 0
		.amdhsa_float_round_mode_16_64 0
		.amdhsa_float_denorm_mode_32 3
		.amdhsa_float_denorm_mode_16_64 3
		.amdhsa_fp16_overflow 0
		.amdhsa_memory_ordered 1
		.amdhsa_forward_progress 1
		.amdhsa_inst_pref_size 0
		.amdhsa_round_robin_scheduling 0
		.amdhsa_exception_fp_ieee_invalid_op 0
		.amdhsa_exception_fp_denorm_src 0
		.amdhsa_exception_fp_ieee_div_zero 0
		.amdhsa_exception_fp_ieee_overflow 0
		.amdhsa_exception_fp_ieee_underflow 0
		.amdhsa_exception_fp_ieee_inexact 0
		.amdhsa_exception_int_div_zero 0
	.end_amdhsa_kernel
	.section	.text._ZN7rocprim17ROCPRIM_400000_NS6detail17trampoline_kernelINS0_14default_configENS1_27scan_by_key_config_selectorIiiEEZZNS1_16scan_by_key_implILNS1_25lookback_scan_determinismE0ELb1ES3_N6thrust23THRUST_200600_302600_NS6detail15normal_iteratorINS9_10device_ptrIiEEEESE_SE_iNS9_4plusIvEENS9_8equal_toIiEEiEE10hipError_tPvRmT2_T3_T4_T5_mT6_T7_P12ihipStream_tbENKUlT_T0_E_clISt17integral_constantIbLb1EESZ_EEDaSU_SV_EUlSU_E_NS1_11comp_targetILNS1_3genE9ELNS1_11target_archE1100ELNS1_3gpuE3ELNS1_3repE0EEENS1_30default_config_static_selectorELNS0_4arch9wavefront6targetE0EEEvT1_,"axG",@progbits,_ZN7rocprim17ROCPRIM_400000_NS6detail17trampoline_kernelINS0_14default_configENS1_27scan_by_key_config_selectorIiiEEZZNS1_16scan_by_key_implILNS1_25lookback_scan_determinismE0ELb1ES3_N6thrust23THRUST_200600_302600_NS6detail15normal_iteratorINS9_10device_ptrIiEEEESE_SE_iNS9_4plusIvEENS9_8equal_toIiEEiEE10hipError_tPvRmT2_T3_T4_T5_mT6_T7_P12ihipStream_tbENKUlT_T0_E_clISt17integral_constantIbLb1EESZ_EEDaSU_SV_EUlSU_E_NS1_11comp_targetILNS1_3genE9ELNS1_11target_archE1100ELNS1_3gpuE3ELNS1_3repE0EEENS1_30default_config_static_selectorELNS0_4arch9wavefront6targetE0EEEvT1_,comdat
.Lfunc_end549:
	.size	_ZN7rocprim17ROCPRIM_400000_NS6detail17trampoline_kernelINS0_14default_configENS1_27scan_by_key_config_selectorIiiEEZZNS1_16scan_by_key_implILNS1_25lookback_scan_determinismE0ELb1ES3_N6thrust23THRUST_200600_302600_NS6detail15normal_iteratorINS9_10device_ptrIiEEEESE_SE_iNS9_4plusIvEENS9_8equal_toIiEEiEE10hipError_tPvRmT2_T3_T4_T5_mT6_T7_P12ihipStream_tbENKUlT_T0_E_clISt17integral_constantIbLb1EESZ_EEDaSU_SV_EUlSU_E_NS1_11comp_targetILNS1_3genE9ELNS1_11target_archE1100ELNS1_3gpuE3ELNS1_3repE0EEENS1_30default_config_static_selectorELNS0_4arch9wavefront6targetE0EEEvT1_, .Lfunc_end549-_ZN7rocprim17ROCPRIM_400000_NS6detail17trampoline_kernelINS0_14default_configENS1_27scan_by_key_config_selectorIiiEEZZNS1_16scan_by_key_implILNS1_25lookback_scan_determinismE0ELb1ES3_N6thrust23THRUST_200600_302600_NS6detail15normal_iteratorINS9_10device_ptrIiEEEESE_SE_iNS9_4plusIvEENS9_8equal_toIiEEiEE10hipError_tPvRmT2_T3_T4_T5_mT6_T7_P12ihipStream_tbENKUlT_T0_E_clISt17integral_constantIbLb1EESZ_EEDaSU_SV_EUlSU_E_NS1_11comp_targetILNS1_3genE9ELNS1_11target_archE1100ELNS1_3gpuE3ELNS1_3repE0EEENS1_30default_config_static_selectorELNS0_4arch9wavefront6targetE0EEEvT1_
                                        ; -- End function
	.set _ZN7rocprim17ROCPRIM_400000_NS6detail17trampoline_kernelINS0_14default_configENS1_27scan_by_key_config_selectorIiiEEZZNS1_16scan_by_key_implILNS1_25lookback_scan_determinismE0ELb1ES3_N6thrust23THRUST_200600_302600_NS6detail15normal_iteratorINS9_10device_ptrIiEEEESE_SE_iNS9_4plusIvEENS9_8equal_toIiEEiEE10hipError_tPvRmT2_T3_T4_T5_mT6_T7_P12ihipStream_tbENKUlT_T0_E_clISt17integral_constantIbLb1EESZ_EEDaSU_SV_EUlSU_E_NS1_11comp_targetILNS1_3genE9ELNS1_11target_archE1100ELNS1_3gpuE3ELNS1_3repE0EEENS1_30default_config_static_selectorELNS0_4arch9wavefront6targetE0EEEvT1_.num_vgpr, 0
	.set _ZN7rocprim17ROCPRIM_400000_NS6detail17trampoline_kernelINS0_14default_configENS1_27scan_by_key_config_selectorIiiEEZZNS1_16scan_by_key_implILNS1_25lookback_scan_determinismE0ELb1ES3_N6thrust23THRUST_200600_302600_NS6detail15normal_iteratorINS9_10device_ptrIiEEEESE_SE_iNS9_4plusIvEENS9_8equal_toIiEEiEE10hipError_tPvRmT2_T3_T4_T5_mT6_T7_P12ihipStream_tbENKUlT_T0_E_clISt17integral_constantIbLb1EESZ_EEDaSU_SV_EUlSU_E_NS1_11comp_targetILNS1_3genE9ELNS1_11target_archE1100ELNS1_3gpuE3ELNS1_3repE0EEENS1_30default_config_static_selectorELNS0_4arch9wavefront6targetE0EEEvT1_.num_agpr, 0
	.set _ZN7rocprim17ROCPRIM_400000_NS6detail17trampoline_kernelINS0_14default_configENS1_27scan_by_key_config_selectorIiiEEZZNS1_16scan_by_key_implILNS1_25lookback_scan_determinismE0ELb1ES3_N6thrust23THRUST_200600_302600_NS6detail15normal_iteratorINS9_10device_ptrIiEEEESE_SE_iNS9_4plusIvEENS9_8equal_toIiEEiEE10hipError_tPvRmT2_T3_T4_T5_mT6_T7_P12ihipStream_tbENKUlT_T0_E_clISt17integral_constantIbLb1EESZ_EEDaSU_SV_EUlSU_E_NS1_11comp_targetILNS1_3genE9ELNS1_11target_archE1100ELNS1_3gpuE3ELNS1_3repE0EEENS1_30default_config_static_selectorELNS0_4arch9wavefront6targetE0EEEvT1_.numbered_sgpr, 0
	.set _ZN7rocprim17ROCPRIM_400000_NS6detail17trampoline_kernelINS0_14default_configENS1_27scan_by_key_config_selectorIiiEEZZNS1_16scan_by_key_implILNS1_25lookback_scan_determinismE0ELb1ES3_N6thrust23THRUST_200600_302600_NS6detail15normal_iteratorINS9_10device_ptrIiEEEESE_SE_iNS9_4plusIvEENS9_8equal_toIiEEiEE10hipError_tPvRmT2_T3_T4_T5_mT6_T7_P12ihipStream_tbENKUlT_T0_E_clISt17integral_constantIbLb1EESZ_EEDaSU_SV_EUlSU_E_NS1_11comp_targetILNS1_3genE9ELNS1_11target_archE1100ELNS1_3gpuE3ELNS1_3repE0EEENS1_30default_config_static_selectorELNS0_4arch9wavefront6targetE0EEEvT1_.num_named_barrier, 0
	.set _ZN7rocprim17ROCPRIM_400000_NS6detail17trampoline_kernelINS0_14default_configENS1_27scan_by_key_config_selectorIiiEEZZNS1_16scan_by_key_implILNS1_25lookback_scan_determinismE0ELb1ES3_N6thrust23THRUST_200600_302600_NS6detail15normal_iteratorINS9_10device_ptrIiEEEESE_SE_iNS9_4plusIvEENS9_8equal_toIiEEiEE10hipError_tPvRmT2_T3_T4_T5_mT6_T7_P12ihipStream_tbENKUlT_T0_E_clISt17integral_constantIbLb1EESZ_EEDaSU_SV_EUlSU_E_NS1_11comp_targetILNS1_3genE9ELNS1_11target_archE1100ELNS1_3gpuE3ELNS1_3repE0EEENS1_30default_config_static_selectorELNS0_4arch9wavefront6targetE0EEEvT1_.private_seg_size, 0
	.set _ZN7rocprim17ROCPRIM_400000_NS6detail17trampoline_kernelINS0_14default_configENS1_27scan_by_key_config_selectorIiiEEZZNS1_16scan_by_key_implILNS1_25lookback_scan_determinismE0ELb1ES3_N6thrust23THRUST_200600_302600_NS6detail15normal_iteratorINS9_10device_ptrIiEEEESE_SE_iNS9_4plusIvEENS9_8equal_toIiEEiEE10hipError_tPvRmT2_T3_T4_T5_mT6_T7_P12ihipStream_tbENKUlT_T0_E_clISt17integral_constantIbLb1EESZ_EEDaSU_SV_EUlSU_E_NS1_11comp_targetILNS1_3genE9ELNS1_11target_archE1100ELNS1_3gpuE3ELNS1_3repE0EEENS1_30default_config_static_selectorELNS0_4arch9wavefront6targetE0EEEvT1_.uses_vcc, 0
	.set _ZN7rocprim17ROCPRIM_400000_NS6detail17trampoline_kernelINS0_14default_configENS1_27scan_by_key_config_selectorIiiEEZZNS1_16scan_by_key_implILNS1_25lookback_scan_determinismE0ELb1ES3_N6thrust23THRUST_200600_302600_NS6detail15normal_iteratorINS9_10device_ptrIiEEEESE_SE_iNS9_4plusIvEENS9_8equal_toIiEEiEE10hipError_tPvRmT2_T3_T4_T5_mT6_T7_P12ihipStream_tbENKUlT_T0_E_clISt17integral_constantIbLb1EESZ_EEDaSU_SV_EUlSU_E_NS1_11comp_targetILNS1_3genE9ELNS1_11target_archE1100ELNS1_3gpuE3ELNS1_3repE0EEENS1_30default_config_static_selectorELNS0_4arch9wavefront6targetE0EEEvT1_.uses_flat_scratch, 0
	.set _ZN7rocprim17ROCPRIM_400000_NS6detail17trampoline_kernelINS0_14default_configENS1_27scan_by_key_config_selectorIiiEEZZNS1_16scan_by_key_implILNS1_25lookback_scan_determinismE0ELb1ES3_N6thrust23THRUST_200600_302600_NS6detail15normal_iteratorINS9_10device_ptrIiEEEESE_SE_iNS9_4plusIvEENS9_8equal_toIiEEiEE10hipError_tPvRmT2_T3_T4_T5_mT6_T7_P12ihipStream_tbENKUlT_T0_E_clISt17integral_constantIbLb1EESZ_EEDaSU_SV_EUlSU_E_NS1_11comp_targetILNS1_3genE9ELNS1_11target_archE1100ELNS1_3gpuE3ELNS1_3repE0EEENS1_30default_config_static_selectorELNS0_4arch9wavefront6targetE0EEEvT1_.has_dyn_sized_stack, 0
	.set _ZN7rocprim17ROCPRIM_400000_NS6detail17trampoline_kernelINS0_14default_configENS1_27scan_by_key_config_selectorIiiEEZZNS1_16scan_by_key_implILNS1_25lookback_scan_determinismE0ELb1ES3_N6thrust23THRUST_200600_302600_NS6detail15normal_iteratorINS9_10device_ptrIiEEEESE_SE_iNS9_4plusIvEENS9_8equal_toIiEEiEE10hipError_tPvRmT2_T3_T4_T5_mT6_T7_P12ihipStream_tbENKUlT_T0_E_clISt17integral_constantIbLb1EESZ_EEDaSU_SV_EUlSU_E_NS1_11comp_targetILNS1_3genE9ELNS1_11target_archE1100ELNS1_3gpuE3ELNS1_3repE0EEENS1_30default_config_static_selectorELNS0_4arch9wavefront6targetE0EEEvT1_.has_recursion, 0
	.set _ZN7rocprim17ROCPRIM_400000_NS6detail17trampoline_kernelINS0_14default_configENS1_27scan_by_key_config_selectorIiiEEZZNS1_16scan_by_key_implILNS1_25lookback_scan_determinismE0ELb1ES3_N6thrust23THRUST_200600_302600_NS6detail15normal_iteratorINS9_10device_ptrIiEEEESE_SE_iNS9_4plusIvEENS9_8equal_toIiEEiEE10hipError_tPvRmT2_T3_T4_T5_mT6_T7_P12ihipStream_tbENKUlT_T0_E_clISt17integral_constantIbLb1EESZ_EEDaSU_SV_EUlSU_E_NS1_11comp_targetILNS1_3genE9ELNS1_11target_archE1100ELNS1_3gpuE3ELNS1_3repE0EEENS1_30default_config_static_selectorELNS0_4arch9wavefront6targetE0EEEvT1_.has_indirect_call, 0
	.section	.AMDGPU.csdata,"",@progbits
; Kernel info:
; codeLenInByte = 0
; TotalNumSgprs: 0
; NumVgprs: 0
; ScratchSize: 0
; MemoryBound: 0
; FloatMode: 240
; IeeeMode: 1
; LDSByteSize: 0 bytes/workgroup (compile time only)
; SGPRBlocks: 0
; VGPRBlocks: 0
; NumSGPRsForWavesPerEU: 1
; NumVGPRsForWavesPerEU: 1
; NamedBarCnt: 0
; Occupancy: 16
; WaveLimiterHint : 0
; COMPUTE_PGM_RSRC2:SCRATCH_EN: 0
; COMPUTE_PGM_RSRC2:USER_SGPR: 2
; COMPUTE_PGM_RSRC2:TRAP_HANDLER: 0
; COMPUTE_PGM_RSRC2:TGID_X_EN: 1
; COMPUTE_PGM_RSRC2:TGID_Y_EN: 0
; COMPUTE_PGM_RSRC2:TGID_Z_EN: 0
; COMPUTE_PGM_RSRC2:TIDIG_COMP_CNT: 0
	.section	.text._ZN7rocprim17ROCPRIM_400000_NS6detail17trampoline_kernelINS0_14default_configENS1_27scan_by_key_config_selectorIiiEEZZNS1_16scan_by_key_implILNS1_25lookback_scan_determinismE0ELb1ES3_N6thrust23THRUST_200600_302600_NS6detail15normal_iteratorINS9_10device_ptrIiEEEESE_SE_iNS9_4plusIvEENS9_8equal_toIiEEiEE10hipError_tPvRmT2_T3_T4_T5_mT6_T7_P12ihipStream_tbENKUlT_T0_E_clISt17integral_constantIbLb1EESZ_EEDaSU_SV_EUlSU_E_NS1_11comp_targetILNS1_3genE8ELNS1_11target_archE1030ELNS1_3gpuE2ELNS1_3repE0EEENS1_30default_config_static_selectorELNS0_4arch9wavefront6targetE0EEEvT1_,"axG",@progbits,_ZN7rocprim17ROCPRIM_400000_NS6detail17trampoline_kernelINS0_14default_configENS1_27scan_by_key_config_selectorIiiEEZZNS1_16scan_by_key_implILNS1_25lookback_scan_determinismE0ELb1ES3_N6thrust23THRUST_200600_302600_NS6detail15normal_iteratorINS9_10device_ptrIiEEEESE_SE_iNS9_4plusIvEENS9_8equal_toIiEEiEE10hipError_tPvRmT2_T3_T4_T5_mT6_T7_P12ihipStream_tbENKUlT_T0_E_clISt17integral_constantIbLb1EESZ_EEDaSU_SV_EUlSU_E_NS1_11comp_targetILNS1_3genE8ELNS1_11target_archE1030ELNS1_3gpuE2ELNS1_3repE0EEENS1_30default_config_static_selectorELNS0_4arch9wavefront6targetE0EEEvT1_,comdat
	.protected	_ZN7rocprim17ROCPRIM_400000_NS6detail17trampoline_kernelINS0_14default_configENS1_27scan_by_key_config_selectorIiiEEZZNS1_16scan_by_key_implILNS1_25lookback_scan_determinismE0ELb1ES3_N6thrust23THRUST_200600_302600_NS6detail15normal_iteratorINS9_10device_ptrIiEEEESE_SE_iNS9_4plusIvEENS9_8equal_toIiEEiEE10hipError_tPvRmT2_T3_T4_T5_mT6_T7_P12ihipStream_tbENKUlT_T0_E_clISt17integral_constantIbLb1EESZ_EEDaSU_SV_EUlSU_E_NS1_11comp_targetILNS1_3genE8ELNS1_11target_archE1030ELNS1_3gpuE2ELNS1_3repE0EEENS1_30default_config_static_selectorELNS0_4arch9wavefront6targetE0EEEvT1_ ; -- Begin function _ZN7rocprim17ROCPRIM_400000_NS6detail17trampoline_kernelINS0_14default_configENS1_27scan_by_key_config_selectorIiiEEZZNS1_16scan_by_key_implILNS1_25lookback_scan_determinismE0ELb1ES3_N6thrust23THRUST_200600_302600_NS6detail15normal_iteratorINS9_10device_ptrIiEEEESE_SE_iNS9_4plusIvEENS9_8equal_toIiEEiEE10hipError_tPvRmT2_T3_T4_T5_mT6_T7_P12ihipStream_tbENKUlT_T0_E_clISt17integral_constantIbLb1EESZ_EEDaSU_SV_EUlSU_E_NS1_11comp_targetILNS1_3genE8ELNS1_11target_archE1030ELNS1_3gpuE2ELNS1_3repE0EEENS1_30default_config_static_selectorELNS0_4arch9wavefront6targetE0EEEvT1_
	.globl	_ZN7rocprim17ROCPRIM_400000_NS6detail17trampoline_kernelINS0_14default_configENS1_27scan_by_key_config_selectorIiiEEZZNS1_16scan_by_key_implILNS1_25lookback_scan_determinismE0ELb1ES3_N6thrust23THRUST_200600_302600_NS6detail15normal_iteratorINS9_10device_ptrIiEEEESE_SE_iNS9_4plusIvEENS9_8equal_toIiEEiEE10hipError_tPvRmT2_T3_T4_T5_mT6_T7_P12ihipStream_tbENKUlT_T0_E_clISt17integral_constantIbLb1EESZ_EEDaSU_SV_EUlSU_E_NS1_11comp_targetILNS1_3genE8ELNS1_11target_archE1030ELNS1_3gpuE2ELNS1_3repE0EEENS1_30default_config_static_selectorELNS0_4arch9wavefront6targetE0EEEvT1_
	.p2align	8
	.type	_ZN7rocprim17ROCPRIM_400000_NS6detail17trampoline_kernelINS0_14default_configENS1_27scan_by_key_config_selectorIiiEEZZNS1_16scan_by_key_implILNS1_25lookback_scan_determinismE0ELb1ES3_N6thrust23THRUST_200600_302600_NS6detail15normal_iteratorINS9_10device_ptrIiEEEESE_SE_iNS9_4plusIvEENS9_8equal_toIiEEiEE10hipError_tPvRmT2_T3_T4_T5_mT6_T7_P12ihipStream_tbENKUlT_T0_E_clISt17integral_constantIbLb1EESZ_EEDaSU_SV_EUlSU_E_NS1_11comp_targetILNS1_3genE8ELNS1_11target_archE1030ELNS1_3gpuE2ELNS1_3repE0EEENS1_30default_config_static_selectorELNS0_4arch9wavefront6targetE0EEEvT1_,@function
_ZN7rocprim17ROCPRIM_400000_NS6detail17trampoline_kernelINS0_14default_configENS1_27scan_by_key_config_selectorIiiEEZZNS1_16scan_by_key_implILNS1_25lookback_scan_determinismE0ELb1ES3_N6thrust23THRUST_200600_302600_NS6detail15normal_iteratorINS9_10device_ptrIiEEEESE_SE_iNS9_4plusIvEENS9_8equal_toIiEEiEE10hipError_tPvRmT2_T3_T4_T5_mT6_T7_P12ihipStream_tbENKUlT_T0_E_clISt17integral_constantIbLb1EESZ_EEDaSU_SV_EUlSU_E_NS1_11comp_targetILNS1_3genE8ELNS1_11target_archE1030ELNS1_3gpuE2ELNS1_3repE0EEENS1_30default_config_static_selectorELNS0_4arch9wavefront6targetE0EEEvT1_: ; @_ZN7rocprim17ROCPRIM_400000_NS6detail17trampoline_kernelINS0_14default_configENS1_27scan_by_key_config_selectorIiiEEZZNS1_16scan_by_key_implILNS1_25lookback_scan_determinismE0ELb1ES3_N6thrust23THRUST_200600_302600_NS6detail15normal_iteratorINS9_10device_ptrIiEEEESE_SE_iNS9_4plusIvEENS9_8equal_toIiEEiEE10hipError_tPvRmT2_T3_T4_T5_mT6_T7_P12ihipStream_tbENKUlT_T0_E_clISt17integral_constantIbLb1EESZ_EEDaSU_SV_EUlSU_E_NS1_11comp_targetILNS1_3genE8ELNS1_11target_archE1030ELNS1_3gpuE2ELNS1_3repE0EEENS1_30default_config_static_selectorELNS0_4arch9wavefront6targetE0EEEvT1_
; %bb.0:
	.section	.rodata,"a",@progbits
	.p2align	6, 0x0
	.amdhsa_kernel _ZN7rocprim17ROCPRIM_400000_NS6detail17trampoline_kernelINS0_14default_configENS1_27scan_by_key_config_selectorIiiEEZZNS1_16scan_by_key_implILNS1_25lookback_scan_determinismE0ELb1ES3_N6thrust23THRUST_200600_302600_NS6detail15normal_iteratorINS9_10device_ptrIiEEEESE_SE_iNS9_4plusIvEENS9_8equal_toIiEEiEE10hipError_tPvRmT2_T3_T4_T5_mT6_T7_P12ihipStream_tbENKUlT_T0_E_clISt17integral_constantIbLb1EESZ_EEDaSU_SV_EUlSU_E_NS1_11comp_targetILNS1_3genE8ELNS1_11target_archE1030ELNS1_3gpuE2ELNS1_3repE0EEENS1_30default_config_static_selectorELNS0_4arch9wavefront6targetE0EEEvT1_
		.amdhsa_group_segment_fixed_size 0
		.amdhsa_private_segment_fixed_size 0
		.amdhsa_kernarg_size 112
		.amdhsa_user_sgpr_count 2
		.amdhsa_user_sgpr_dispatch_ptr 0
		.amdhsa_user_sgpr_queue_ptr 0
		.amdhsa_user_sgpr_kernarg_segment_ptr 1
		.amdhsa_user_sgpr_dispatch_id 0
		.amdhsa_user_sgpr_kernarg_preload_length 0
		.amdhsa_user_sgpr_kernarg_preload_offset 0
		.amdhsa_user_sgpr_private_segment_size 0
		.amdhsa_wavefront_size32 1
		.amdhsa_uses_dynamic_stack 0
		.amdhsa_enable_private_segment 0
		.amdhsa_system_sgpr_workgroup_id_x 1
		.amdhsa_system_sgpr_workgroup_id_y 0
		.amdhsa_system_sgpr_workgroup_id_z 0
		.amdhsa_system_sgpr_workgroup_info 0
		.amdhsa_system_vgpr_workitem_id 0
		.amdhsa_next_free_vgpr 1
		.amdhsa_next_free_sgpr 1
		.amdhsa_named_barrier_count 0
		.amdhsa_reserve_vcc 0
		.amdhsa_float_round_mode_32 0
		.amdhsa_float_round_mode_16_64 0
		.amdhsa_float_denorm_mode_32 3
		.amdhsa_float_denorm_mode_16_64 3
		.amdhsa_fp16_overflow 0
		.amdhsa_memory_ordered 1
		.amdhsa_forward_progress 1
		.amdhsa_inst_pref_size 0
		.amdhsa_round_robin_scheduling 0
		.amdhsa_exception_fp_ieee_invalid_op 0
		.amdhsa_exception_fp_denorm_src 0
		.amdhsa_exception_fp_ieee_div_zero 0
		.amdhsa_exception_fp_ieee_overflow 0
		.amdhsa_exception_fp_ieee_underflow 0
		.amdhsa_exception_fp_ieee_inexact 0
		.amdhsa_exception_int_div_zero 0
	.end_amdhsa_kernel
	.section	.text._ZN7rocprim17ROCPRIM_400000_NS6detail17trampoline_kernelINS0_14default_configENS1_27scan_by_key_config_selectorIiiEEZZNS1_16scan_by_key_implILNS1_25lookback_scan_determinismE0ELb1ES3_N6thrust23THRUST_200600_302600_NS6detail15normal_iteratorINS9_10device_ptrIiEEEESE_SE_iNS9_4plusIvEENS9_8equal_toIiEEiEE10hipError_tPvRmT2_T3_T4_T5_mT6_T7_P12ihipStream_tbENKUlT_T0_E_clISt17integral_constantIbLb1EESZ_EEDaSU_SV_EUlSU_E_NS1_11comp_targetILNS1_3genE8ELNS1_11target_archE1030ELNS1_3gpuE2ELNS1_3repE0EEENS1_30default_config_static_selectorELNS0_4arch9wavefront6targetE0EEEvT1_,"axG",@progbits,_ZN7rocprim17ROCPRIM_400000_NS6detail17trampoline_kernelINS0_14default_configENS1_27scan_by_key_config_selectorIiiEEZZNS1_16scan_by_key_implILNS1_25lookback_scan_determinismE0ELb1ES3_N6thrust23THRUST_200600_302600_NS6detail15normal_iteratorINS9_10device_ptrIiEEEESE_SE_iNS9_4plusIvEENS9_8equal_toIiEEiEE10hipError_tPvRmT2_T3_T4_T5_mT6_T7_P12ihipStream_tbENKUlT_T0_E_clISt17integral_constantIbLb1EESZ_EEDaSU_SV_EUlSU_E_NS1_11comp_targetILNS1_3genE8ELNS1_11target_archE1030ELNS1_3gpuE2ELNS1_3repE0EEENS1_30default_config_static_selectorELNS0_4arch9wavefront6targetE0EEEvT1_,comdat
.Lfunc_end550:
	.size	_ZN7rocprim17ROCPRIM_400000_NS6detail17trampoline_kernelINS0_14default_configENS1_27scan_by_key_config_selectorIiiEEZZNS1_16scan_by_key_implILNS1_25lookback_scan_determinismE0ELb1ES3_N6thrust23THRUST_200600_302600_NS6detail15normal_iteratorINS9_10device_ptrIiEEEESE_SE_iNS9_4plusIvEENS9_8equal_toIiEEiEE10hipError_tPvRmT2_T3_T4_T5_mT6_T7_P12ihipStream_tbENKUlT_T0_E_clISt17integral_constantIbLb1EESZ_EEDaSU_SV_EUlSU_E_NS1_11comp_targetILNS1_3genE8ELNS1_11target_archE1030ELNS1_3gpuE2ELNS1_3repE0EEENS1_30default_config_static_selectorELNS0_4arch9wavefront6targetE0EEEvT1_, .Lfunc_end550-_ZN7rocprim17ROCPRIM_400000_NS6detail17trampoline_kernelINS0_14default_configENS1_27scan_by_key_config_selectorIiiEEZZNS1_16scan_by_key_implILNS1_25lookback_scan_determinismE0ELb1ES3_N6thrust23THRUST_200600_302600_NS6detail15normal_iteratorINS9_10device_ptrIiEEEESE_SE_iNS9_4plusIvEENS9_8equal_toIiEEiEE10hipError_tPvRmT2_T3_T4_T5_mT6_T7_P12ihipStream_tbENKUlT_T0_E_clISt17integral_constantIbLb1EESZ_EEDaSU_SV_EUlSU_E_NS1_11comp_targetILNS1_3genE8ELNS1_11target_archE1030ELNS1_3gpuE2ELNS1_3repE0EEENS1_30default_config_static_selectorELNS0_4arch9wavefront6targetE0EEEvT1_
                                        ; -- End function
	.set _ZN7rocprim17ROCPRIM_400000_NS6detail17trampoline_kernelINS0_14default_configENS1_27scan_by_key_config_selectorIiiEEZZNS1_16scan_by_key_implILNS1_25lookback_scan_determinismE0ELb1ES3_N6thrust23THRUST_200600_302600_NS6detail15normal_iteratorINS9_10device_ptrIiEEEESE_SE_iNS9_4plusIvEENS9_8equal_toIiEEiEE10hipError_tPvRmT2_T3_T4_T5_mT6_T7_P12ihipStream_tbENKUlT_T0_E_clISt17integral_constantIbLb1EESZ_EEDaSU_SV_EUlSU_E_NS1_11comp_targetILNS1_3genE8ELNS1_11target_archE1030ELNS1_3gpuE2ELNS1_3repE0EEENS1_30default_config_static_selectorELNS0_4arch9wavefront6targetE0EEEvT1_.num_vgpr, 0
	.set _ZN7rocprim17ROCPRIM_400000_NS6detail17trampoline_kernelINS0_14default_configENS1_27scan_by_key_config_selectorIiiEEZZNS1_16scan_by_key_implILNS1_25lookback_scan_determinismE0ELb1ES3_N6thrust23THRUST_200600_302600_NS6detail15normal_iteratorINS9_10device_ptrIiEEEESE_SE_iNS9_4plusIvEENS9_8equal_toIiEEiEE10hipError_tPvRmT2_T3_T4_T5_mT6_T7_P12ihipStream_tbENKUlT_T0_E_clISt17integral_constantIbLb1EESZ_EEDaSU_SV_EUlSU_E_NS1_11comp_targetILNS1_3genE8ELNS1_11target_archE1030ELNS1_3gpuE2ELNS1_3repE0EEENS1_30default_config_static_selectorELNS0_4arch9wavefront6targetE0EEEvT1_.num_agpr, 0
	.set _ZN7rocprim17ROCPRIM_400000_NS6detail17trampoline_kernelINS0_14default_configENS1_27scan_by_key_config_selectorIiiEEZZNS1_16scan_by_key_implILNS1_25lookback_scan_determinismE0ELb1ES3_N6thrust23THRUST_200600_302600_NS6detail15normal_iteratorINS9_10device_ptrIiEEEESE_SE_iNS9_4plusIvEENS9_8equal_toIiEEiEE10hipError_tPvRmT2_T3_T4_T5_mT6_T7_P12ihipStream_tbENKUlT_T0_E_clISt17integral_constantIbLb1EESZ_EEDaSU_SV_EUlSU_E_NS1_11comp_targetILNS1_3genE8ELNS1_11target_archE1030ELNS1_3gpuE2ELNS1_3repE0EEENS1_30default_config_static_selectorELNS0_4arch9wavefront6targetE0EEEvT1_.numbered_sgpr, 0
	.set _ZN7rocprim17ROCPRIM_400000_NS6detail17trampoline_kernelINS0_14default_configENS1_27scan_by_key_config_selectorIiiEEZZNS1_16scan_by_key_implILNS1_25lookback_scan_determinismE0ELb1ES3_N6thrust23THRUST_200600_302600_NS6detail15normal_iteratorINS9_10device_ptrIiEEEESE_SE_iNS9_4plusIvEENS9_8equal_toIiEEiEE10hipError_tPvRmT2_T3_T4_T5_mT6_T7_P12ihipStream_tbENKUlT_T0_E_clISt17integral_constantIbLb1EESZ_EEDaSU_SV_EUlSU_E_NS1_11comp_targetILNS1_3genE8ELNS1_11target_archE1030ELNS1_3gpuE2ELNS1_3repE0EEENS1_30default_config_static_selectorELNS0_4arch9wavefront6targetE0EEEvT1_.num_named_barrier, 0
	.set _ZN7rocprim17ROCPRIM_400000_NS6detail17trampoline_kernelINS0_14default_configENS1_27scan_by_key_config_selectorIiiEEZZNS1_16scan_by_key_implILNS1_25lookback_scan_determinismE0ELb1ES3_N6thrust23THRUST_200600_302600_NS6detail15normal_iteratorINS9_10device_ptrIiEEEESE_SE_iNS9_4plusIvEENS9_8equal_toIiEEiEE10hipError_tPvRmT2_T3_T4_T5_mT6_T7_P12ihipStream_tbENKUlT_T0_E_clISt17integral_constantIbLb1EESZ_EEDaSU_SV_EUlSU_E_NS1_11comp_targetILNS1_3genE8ELNS1_11target_archE1030ELNS1_3gpuE2ELNS1_3repE0EEENS1_30default_config_static_selectorELNS0_4arch9wavefront6targetE0EEEvT1_.private_seg_size, 0
	.set _ZN7rocprim17ROCPRIM_400000_NS6detail17trampoline_kernelINS0_14default_configENS1_27scan_by_key_config_selectorIiiEEZZNS1_16scan_by_key_implILNS1_25lookback_scan_determinismE0ELb1ES3_N6thrust23THRUST_200600_302600_NS6detail15normal_iteratorINS9_10device_ptrIiEEEESE_SE_iNS9_4plusIvEENS9_8equal_toIiEEiEE10hipError_tPvRmT2_T3_T4_T5_mT6_T7_P12ihipStream_tbENKUlT_T0_E_clISt17integral_constantIbLb1EESZ_EEDaSU_SV_EUlSU_E_NS1_11comp_targetILNS1_3genE8ELNS1_11target_archE1030ELNS1_3gpuE2ELNS1_3repE0EEENS1_30default_config_static_selectorELNS0_4arch9wavefront6targetE0EEEvT1_.uses_vcc, 0
	.set _ZN7rocprim17ROCPRIM_400000_NS6detail17trampoline_kernelINS0_14default_configENS1_27scan_by_key_config_selectorIiiEEZZNS1_16scan_by_key_implILNS1_25lookback_scan_determinismE0ELb1ES3_N6thrust23THRUST_200600_302600_NS6detail15normal_iteratorINS9_10device_ptrIiEEEESE_SE_iNS9_4plusIvEENS9_8equal_toIiEEiEE10hipError_tPvRmT2_T3_T4_T5_mT6_T7_P12ihipStream_tbENKUlT_T0_E_clISt17integral_constantIbLb1EESZ_EEDaSU_SV_EUlSU_E_NS1_11comp_targetILNS1_3genE8ELNS1_11target_archE1030ELNS1_3gpuE2ELNS1_3repE0EEENS1_30default_config_static_selectorELNS0_4arch9wavefront6targetE0EEEvT1_.uses_flat_scratch, 0
	.set _ZN7rocprim17ROCPRIM_400000_NS6detail17trampoline_kernelINS0_14default_configENS1_27scan_by_key_config_selectorIiiEEZZNS1_16scan_by_key_implILNS1_25lookback_scan_determinismE0ELb1ES3_N6thrust23THRUST_200600_302600_NS6detail15normal_iteratorINS9_10device_ptrIiEEEESE_SE_iNS9_4plusIvEENS9_8equal_toIiEEiEE10hipError_tPvRmT2_T3_T4_T5_mT6_T7_P12ihipStream_tbENKUlT_T0_E_clISt17integral_constantIbLb1EESZ_EEDaSU_SV_EUlSU_E_NS1_11comp_targetILNS1_3genE8ELNS1_11target_archE1030ELNS1_3gpuE2ELNS1_3repE0EEENS1_30default_config_static_selectorELNS0_4arch9wavefront6targetE0EEEvT1_.has_dyn_sized_stack, 0
	.set _ZN7rocprim17ROCPRIM_400000_NS6detail17trampoline_kernelINS0_14default_configENS1_27scan_by_key_config_selectorIiiEEZZNS1_16scan_by_key_implILNS1_25lookback_scan_determinismE0ELb1ES3_N6thrust23THRUST_200600_302600_NS6detail15normal_iteratorINS9_10device_ptrIiEEEESE_SE_iNS9_4plusIvEENS9_8equal_toIiEEiEE10hipError_tPvRmT2_T3_T4_T5_mT6_T7_P12ihipStream_tbENKUlT_T0_E_clISt17integral_constantIbLb1EESZ_EEDaSU_SV_EUlSU_E_NS1_11comp_targetILNS1_3genE8ELNS1_11target_archE1030ELNS1_3gpuE2ELNS1_3repE0EEENS1_30default_config_static_selectorELNS0_4arch9wavefront6targetE0EEEvT1_.has_recursion, 0
	.set _ZN7rocprim17ROCPRIM_400000_NS6detail17trampoline_kernelINS0_14default_configENS1_27scan_by_key_config_selectorIiiEEZZNS1_16scan_by_key_implILNS1_25lookback_scan_determinismE0ELb1ES3_N6thrust23THRUST_200600_302600_NS6detail15normal_iteratorINS9_10device_ptrIiEEEESE_SE_iNS9_4plusIvEENS9_8equal_toIiEEiEE10hipError_tPvRmT2_T3_T4_T5_mT6_T7_P12ihipStream_tbENKUlT_T0_E_clISt17integral_constantIbLb1EESZ_EEDaSU_SV_EUlSU_E_NS1_11comp_targetILNS1_3genE8ELNS1_11target_archE1030ELNS1_3gpuE2ELNS1_3repE0EEENS1_30default_config_static_selectorELNS0_4arch9wavefront6targetE0EEEvT1_.has_indirect_call, 0
	.section	.AMDGPU.csdata,"",@progbits
; Kernel info:
; codeLenInByte = 0
; TotalNumSgprs: 0
; NumVgprs: 0
; ScratchSize: 0
; MemoryBound: 0
; FloatMode: 240
; IeeeMode: 1
; LDSByteSize: 0 bytes/workgroup (compile time only)
; SGPRBlocks: 0
; VGPRBlocks: 0
; NumSGPRsForWavesPerEU: 1
; NumVGPRsForWavesPerEU: 1
; NamedBarCnt: 0
; Occupancy: 16
; WaveLimiterHint : 0
; COMPUTE_PGM_RSRC2:SCRATCH_EN: 0
; COMPUTE_PGM_RSRC2:USER_SGPR: 2
; COMPUTE_PGM_RSRC2:TRAP_HANDLER: 0
; COMPUTE_PGM_RSRC2:TGID_X_EN: 1
; COMPUTE_PGM_RSRC2:TGID_Y_EN: 0
; COMPUTE_PGM_RSRC2:TGID_Z_EN: 0
; COMPUTE_PGM_RSRC2:TIDIG_COMP_CNT: 0
	.section	.text._ZN7rocprim17ROCPRIM_400000_NS6detail17trampoline_kernelINS0_14default_configENS1_27scan_by_key_config_selectorIiiEEZZNS1_16scan_by_key_implILNS1_25lookback_scan_determinismE0ELb1ES3_N6thrust23THRUST_200600_302600_NS6detail15normal_iteratorINS9_10device_ptrIiEEEESE_SE_iNS9_4plusIvEENS9_8equal_toIiEEiEE10hipError_tPvRmT2_T3_T4_T5_mT6_T7_P12ihipStream_tbENKUlT_T0_E_clISt17integral_constantIbLb1EESY_IbLb0EEEEDaSU_SV_EUlSU_E_NS1_11comp_targetILNS1_3genE0ELNS1_11target_archE4294967295ELNS1_3gpuE0ELNS1_3repE0EEENS1_30default_config_static_selectorELNS0_4arch9wavefront6targetE0EEEvT1_,"axG",@progbits,_ZN7rocprim17ROCPRIM_400000_NS6detail17trampoline_kernelINS0_14default_configENS1_27scan_by_key_config_selectorIiiEEZZNS1_16scan_by_key_implILNS1_25lookback_scan_determinismE0ELb1ES3_N6thrust23THRUST_200600_302600_NS6detail15normal_iteratorINS9_10device_ptrIiEEEESE_SE_iNS9_4plusIvEENS9_8equal_toIiEEiEE10hipError_tPvRmT2_T3_T4_T5_mT6_T7_P12ihipStream_tbENKUlT_T0_E_clISt17integral_constantIbLb1EESY_IbLb0EEEEDaSU_SV_EUlSU_E_NS1_11comp_targetILNS1_3genE0ELNS1_11target_archE4294967295ELNS1_3gpuE0ELNS1_3repE0EEENS1_30default_config_static_selectorELNS0_4arch9wavefront6targetE0EEEvT1_,comdat
	.protected	_ZN7rocprim17ROCPRIM_400000_NS6detail17trampoline_kernelINS0_14default_configENS1_27scan_by_key_config_selectorIiiEEZZNS1_16scan_by_key_implILNS1_25lookback_scan_determinismE0ELb1ES3_N6thrust23THRUST_200600_302600_NS6detail15normal_iteratorINS9_10device_ptrIiEEEESE_SE_iNS9_4plusIvEENS9_8equal_toIiEEiEE10hipError_tPvRmT2_T3_T4_T5_mT6_T7_P12ihipStream_tbENKUlT_T0_E_clISt17integral_constantIbLb1EESY_IbLb0EEEEDaSU_SV_EUlSU_E_NS1_11comp_targetILNS1_3genE0ELNS1_11target_archE4294967295ELNS1_3gpuE0ELNS1_3repE0EEENS1_30default_config_static_selectorELNS0_4arch9wavefront6targetE0EEEvT1_ ; -- Begin function _ZN7rocprim17ROCPRIM_400000_NS6detail17trampoline_kernelINS0_14default_configENS1_27scan_by_key_config_selectorIiiEEZZNS1_16scan_by_key_implILNS1_25lookback_scan_determinismE0ELb1ES3_N6thrust23THRUST_200600_302600_NS6detail15normal_iteratorINS9_10device_ptrIiEEEESE_SE_iNS9_4plusIvEENS9_8equal_toIiEEiEE10hipError_tPvRmT2_T3_T4_T5_mT6_T7_P12ihipStream_tbENKUlT_T0_E_clISt17integral_constantIbLb1EESY_IbLb0EEEEDaSU_SV_EUlSU_E_NS1_11comp_targetILNS1_3genE0ELNS1_11target_archE4294967295ELNS1_3gpuE0ELNS1_3repE0EEENS1_30default_config_static_selectorELNS0_4arch9wavefront6targetE0EEEvT1_
	.globl	_ZN7rocprim17ROCPRIM_400000_NS6detail17trampoline_kernelINS0_14default_configENS1_27scan_by_key_config_selectorIiiEEZZNS1_16scan_by_key_implILNS1_25lookback_scan_determinismE0ELb1ES3_N6thrust23THRUST_200600_302600_NS6detail15normal_iteratorINS9_10device_ptrIiEEEESE_SE_iNS9_4plusIvEENS9_8equal_toIiEEiEE10hipError_tPvRmT2_T3_T4_T5_mT6_T7_P12ihipStream_tbENKUlT_T0_E_clISt17integral_constantIbLb1EESY_IbLb0EEEEDaSU_SV_EUlSU_E_NS1_11comp_targetILNS1_3genE0ELNS1_11target_archE4294967295ELNS1_3gpuE0ELNS1_3repE0EEENS1_30default_config_static_selectorELNS0_4arch9wavefront6targetE0EEEvT1_
	.p2align	8
	.type	_ZN7rocprim17ROCPRIM_400000_NS6detail17trampoline_kernelINS0_14default_configENS1_27scan_by_key_config_selectorIiiEEZZNS1_16scan_by_key_implILNS1_25lookback_scan_determinismE0ELb1ES3_N6thrust23THRUST_200600_302600_NS6detail15normal_iteratorINS9_10device_ptrIiEEEESE_SE_iNS9_4plusIvEENS9_8equal_toIiEEiEE10hipError_tPvRmT2_T3_T4_T5_mT6_T7_P12ihipStream_tbENKUlT_T0_E_clISt17integral_constantIbLb1EESY_IbLb0EEEEDaSU_SV_EUlSU_E_NS1_11comp_targetILNS1_3genE0ELNS1_11target_archE4294967295ELNS1_3gpuE0ELNS1_3repE0EEENS1_30default_config_static_selectorELNS0_4arch9wavefront6targetE0EEEvT1_,@function
_ZN7rocprim17ROCPRIM_400000_NS6detail17trampoline_kernelINS0_14default_configENS1_27scan_by_key_config_selectorIiiEEZZNS1_16scan_by_key_implILNS1_25lookback_scan_determinismE0ELb1ES3_N6thrust23THRUST_200600_302600_NS6detail15normal_iteratorINS9_10device_ptrIiEEEESE_SE_iNS9_4plusIvEENS9_8equal_toIiEEiEE10hipError_tPvRmT2_T3_T4_T5_mT6_T7_P12ihipStream_tbENKUlT_T0_E_clISt17integral_constantIbLb1EESY_IbLb0EEEEDaSU_SV_EUlSU_E_NS1_11comp_targetILNS1_3genE0ELNS1_11target_archE4294967295ELNS1_3gpuE0ELNS1_3repE0EEENS1_30default_config_static_selectorELNS0_4arch9wavefront6targetE0EEEvT1_: ; @_ZN7rocprim17ROCPRIM_400000_NS6detail17trampoline_kernelINS0_14default_configENS1_27scan_by_key_config_selectorIiiEEZZNS1_16scan_by_key_implILNS1_25lookback_scan_determinismE0ELb1ES3_N6thrust23THRUST_200600_302600_NS6detail15normal_iteratorINS9_10device_ptrIiEEEESE_SE_iNS9_4plusIvEENS9_8equal_toIiEEiEE10hipError_tPvRmT2_T3_T4_T5_mT6_T7_P12ihipStream_tbENKUlT_T0_E_clISt17integral_constantIbLb1EESY_IbLb0EEEEDaSU_SV_EUlSU_E_NS1_11comp_targetILNS1_3genE0ELNS1_11target_archE4294967295ELNS1_3gpuE0ELNS1_3repE0EEENS1_30default_config_static_selectorELNS0_4arch9wavefront6targetE0EEEvT1_
; %bb.0:
	s_endpgm
	.section	.rodata,"a",@progbits
	.p2align	6, 0x0
	.amdhsa_kernel _ZN7rocprim17ROCPRIM_400000_NS6detail17trampoline_kernelINS0_14default_configENS1_27scan_by_key_config_selectorIiiEEZZNS1_16scan_by_key_implILNS1_25lookback_scan_determinismE0ELb1ES3_N6thrust23THRUST_200600_302600_NS6detail15normal_iteratorINS9_10device_ptrIiEEEESE_SE_iNS9_4plusIvEENS9_8equal_toIiEEiEE10hipError_tPvRmT2_T3_T4_T5_mT6_T7_P12ihipStream_tbENKUlT_T0_E_clISt17integral_constantIbLb1EESY_IbLb0EEEEDaSU_SV_EUlSU_E_NS1_11comp_targetILNS1_3genE0ELNS1_11target_archE4294967295ELNS1_3gpuE0ELNS1_3repE0EEENS1_30default_config_static_selectorELNS0_4arch9wavefront6targetE0EEEvT1_
		.amdhsa_group_segment_fixed_size 0
		.amdhsa_private_segment_fixed_size 0
		.amdhsa_kernarg_size 112
		.amdhsa_user_sgpr_count 2
		.amdhsa_user_sgpr_dispatch_ptr 0
		.amdhsa_user_sgpr_queue_ptr 0
		.amdhsa_user_sgpr_kernarg_segment_ptr 1
		.amdhsa_user_sgpr_dispatch_id 0
		.amdhsa_user_sgpr_kernarg_preload_length 0
		.amdhsa_user_sgpr_kernarg_preload_offset 0
		.amdhsa_user_sgpr_private_segment_size 0
		.amdhsa_wavefront_size32 1
		.amdhsa_uses_dynamic_stack 0
		.amdhsa_enable_private_segment 0
		.amdhsa_system_sgpr_workgroup_id_x 1
		.amdhsa_system_sgpr_workgroup_id_y 0
		.amdhsa_system_sgpr_workgroup_id_z 0
		.amdhsa_system_sgpr_workgroup_info 0
		.amdhsa_system_vgpr_workitem_id 0
		.amdhsa_next_free_vgpr 1
		.amdhsa_next_free_sgpr 1
		.amdhsa_named_barrier_count 0
		.amdhsa_reserve_vcc 0
		.amdhsa_float_round_mode_32 0
		.amdhsa_float_round_mode_16_64 0
		.amdhsa_float_denorm_mode_32 3
		.amdhsa_float_denorm_mode_16_64 3
		.amdhsa_fp16_overflow 0
		.amdhsa_memory_ordered 1
		.amdhsa_forward_progress 1
		.amdhsa_inst_pref_size 1
		.amdhsa_round_robin_scheduling 0
		.amdhsa_exception_fp_ieee_invalid_op 0
		.amdhsa_exception_fp_denorm_src 0
		.amdhsa_exception_fp_ieee_div_zero 0
		.amdhsa_exception_fp_ieee_overflow 0
		.amdhsa_exception_fp_ieee_underflow 0
		.amdhsa_exception_fp_ieee_inexact 0
		.amdhsa_exception_int_div_zero 0
	.end_amdhsa_kernel
	.section	.text._ZN7rocprim17ROCPRIM_400000_NS6detail17trampoline_kernelINS0_14default_configENS1_27scan_by_key_config_selectorIiiEEZZNS1_16scan_by_key_implILNS1_25lookback_scan_determinismE0ELb1ES3_N6thrust23THRUST_200600_302600_NS6detail15normal_iteratorINS9_10device_ptrIiEEEESE_SE_iNS9_4plusIvEENS9_8equal_toIiEEiEE10hipError_tPvRmT2_T3_T4_T5_mT6_T7_P12ihipStream_tbENKUlT_T0_E_clISt17integral_constantIbLb1EESY_IbLb0EEEEDaSU_SV_EUlSU_E_NS1_11comp_targetILNS1_3genE0ELNS1_11target_archE4294967295ELNS1_3gpuE0ELNS1_3repE0EEENS1_30default_config_static_selectorELNS0_4arch9wavefront6targetE0EEEvT1_,"axG",@progbits,_ZN7rocprim17ROCPRIM_400000_NS6detail17trampoline_kernelINS0_14default_configENS1_27scan_by_key_config_selectorIiiEEZZNS1_16scan_by_key_implILNS1_25lookback_scan_determinismE0ELb1ES3_N6thrust23THRUST_200600_302600_NS6detail15normal_iteratorINS9_10device_ptrIiEEEESE_SE_iNS9_4plusIvEENS9_8equal_toIiEEiEE10hipError_tPvRmT2_T3_T4_T5_mT6_T7_P12ihipStream_tbENKUlT_T0_E_clISt17integral_constantIbLb1EESY_IbLb0EEEEDaSU_SV_EUlSU_E_NS1_11comp_targetILNS1_3genE0ELNS1_11target_archE4294967295ELNS1_3gpuE0ELNS1_3repE0EEENS1_30default_config_static_selectorELNS0_4arch9wavefront6targetE0EEEvT1_,comdat
.Lfunc_end551:
	.size	_ZN7rocprim17ROCPRIM_400000_NS6detail17trampoline_kernelINS0_14default_configENS1_27scan_by_key_config_selectorIiiEEZZNS1_16scan_by_key_implILNS1_25lookback_scan_determinismE0ELb1ES3_N6thrust23THRUST_200600_302600_NS6detail15normal_iteratorINS9_10device_ptrIiEEEESE_SE_iNS9_4plusIvEENS9_8equal_toIiEEiEE10hipError_tPvRmT2_T3_T4_T5_mT6_T7_P12ihipStream_tbENKUlT_T0_E_clISt17integral_constantIbLb1EESY_IbLb0EEEEDaSU_SV_EUlSU_E_NS1_11comp_targetILNS1_3genE0ELNS1_11target_archE4294967295ELNS1_3gpuE0ELNS1_3repE0EEENS1_30default_config_static_selectorELNS0_4arch9wavefront6targetE0EEEvT1_, .Lfunc_end551-_ZN7rocprim17ROCPRIM_400000_NS6detail17trampoline_kernelINS0_14default_configENS1_27scan_by_key_config_selectorIiiEEZZNS1_16scan_by_key_implILNS1_25lookback_scan_determinismE0ELb1ES3_N6thrust23THRUST_200600_302600_NS6detail15normal_iteratorINS9_10device_ptrIiEEEESE_SE_iNS9_4plusIvEENS9_8equal_toIiEEiEE10hipError_tPvRmT2_T3_T4_T5_mT6_T7_P12ihipStream_tbENKUlT_T0_E_clISt17integral_constantIbLb1EESY_IbLb0EEEEDaSU_SV_EUlSU_E_NS1_11comp_targetILNS1_3genE0ELNS1_11target_archE4294967295ELNS1_3gpuE0ELNS1_3repE0EEENS1_30default_config_static_selectorELNS0_4arch9wavefront6targetE0EEEvT1_
                                        ; -- End function
	.set _ZN7rocprim17ROCPRIM_400000_NS6detail17trampoline_kernelINS0_14default_configENS1_27scan_by_key_config_selectorIiiEEZZNS1_16scan_by_key_implILNS1_25lookback_scan_determinismE0ELb1ES3_N6thrust23THRUST_200600_302600_NS6detail15normal_iteratorINS9_10device_ptrIiEEEESE_SE_iNS9_4plusIvEENS9_8equal_toIiEEiEE10hipError_tPvRmT2_T3_T4_T5_mT6_T7_P12ihipStream_tbENKUlT_T0_E_clISt17integral_constantIbLb1EESY_IbLb0EEEEDaSU_SV_EUlSU_E_NS1_11comp_targetILNS1_3genE0ELNS1_11target_archE4294967295ELNS1_3gpuE0ELNS1_3repE0EEENS1_30default_config_static_selectorELNS0_4arch9wavefront6targetE0EEEvT1_.num_vgpr, 0
	.set _ZN7rocprim17ROCPRIM_400000_NS6detail17trampoline_kernelINS0_14default_configENS1_27scan_by_key_config_selectorIiiEEZZNS1_16scan_by_key_implILNS1_25lookback_scan_determinismE0ELb1ES3_N6thrust23THRUST_200600_302600_NS6detail15normal_iteratorINS9_10device_ptrIiEEEESE_SE_iNS9_4plusIvEENS9_8equal_toIiEEiEE10hipError_tPvRmT2_T3_T4_T5_mT6_T7_P12ihipStream_tbENKUlT_T0_E_clISt17integral_constantIbLb1EESY_IbLb0EEEEDaSU_SV_EUlSU_E_NS1_11comp_targetILNS1_3genE0ELNS1_11target_archE4294967295ELNS1_3gpuE0ELNS1_3repE0EEENS1_30default_config_static_selectorELNS0_4arch9wavefront6targetE0EEEvT1_.num_agpr, 0
	.set _ZN7rocprim17ROCPRIM_400000_NS6detail17trampoline_kernelINS0_14default_configENS1_27scan_by_key_config_selectorIiiEEZZNS1_16scan_by_key_implILNS1_25lookback_scan_determinismE0ELb1ES3_N6thrust23THRUST_200600_302600_NS6detail15normal_iteratorINS9_10device_ptrIiEEEESE_SE_iNS9_4plusIvEENS9_8equal_toIiEEiEE10hipError_tPvRmT2_T3_T4_T5_mT6_T7_P12ihipStream_tbENKUlT_T0_E_clISt17integral_constantIbLb1EESY_IbLb0EEEEDaSU_SV_EUlSU_E_NS1_11comp_targetILNS1_3genE0ELNS1_11target_archE4294967295ELNS1_3gpuE0ELNS1_3repE0EEENS1_30default_config_static_selectorELNS0_4arch9wavefront6targetE0EEEvT1_.numbered_sgpr, 0
	.set _ZN7rocprim17ROCPRIM_400000_NS6detail17trampoline_kernelINS0_14default_configENS1_27scan_by_key_config_selectorIiiEEZZNS1_16scan_by_key_implILNS1_25lookback_scan_determinismE0ELb1ES3_N6thrust23THRUST_200600_302600_NS6detail15normal_iteratorINS9_10device_ptrIiEEEESE_SE_iNS9_4plusIvEENS9_8equal_toIiEEiEE10hipError_tPvRmT2_T3_T4_T5_mT6_T7_P12ihipStream_tbENKUlT_T0_E_clISt17integral_constantIbLb1EESY_IbLb0EEEEDaSU_SV_EUlSU_E_NS1_11comp_targetILNS1_3genE0ELNS1_11target_archE4294967295ELNS1_3gpuE0ELNS1_3repE0EEENS1_30default_config_static_selectorELNS0_4arch9wavefront6targetE0EEEvT1_.num_named_barrier, 0
	.set _ZN7rocprim17ROCPRIM_400000_NS6detail17trampoline_kernelINS0_14default_configENS1_27scan_by_key_config_selectorIiiEEZZNS1_16scan_by_key_implILNS1_25lookback_scan_determinismE0ELb1ES3_N6thrust23THRUST_200600_302600_NS6detail15normal_iteratorINS9_10device_ptrIiEEEESE_SE_iNS9_4plusIvEENS9_8equal_toIiEEiEE10hipError_tPvRmT2_T3_T4_T5_mT6_T7_P12ihipStream_tbENKUlT_T0_E_clISt17integral_constantIbLb1EESY_IbLb0EEEEDaSU_SV_EUlSU_E_NS1_11comp_targetILNS1_3genE0ELNS1_11target_archE4294967295ELNS1_3gpuE0ELNS1_3repE0EEENS1_30default_config_static_selectorELNS0_4arch9wavefront6targetE0EEEvT1_.private_seg_size, 0
	.set _ZN7rocprim17ROCPRIM_400000_NS6detail17trampoline_kernelINS0_14default_configENS1_27scan_by_key_config_selectorIiiEEZZNS1_16scan_by_key_implILNS1_25lookback_scan_determinismE0ELb1ES3_N6thrust23THRUST_200600_302600_NS6detail15normal_iteratorINS9_10device_ptrIiEEEESE_SE_iNS9_4plusIvEENS9_8equal_toIiEEiEE10hipError_tPvRmT2_T3_T4_T5_mT6_T7_P12ihipStream_tbENKUlT_T0_E_clISt17integral_constantIbLb1EESY_IbLb0EEEEDaSU_SV_EUlSU_E_NS1_11comp_targetILNS1_3genE0ELNS1_11target_archE4294967295ELNS1_3gpuE0ELNS1_3repE0EEENS1_30default_config_static_selectorELNS0_4arch9wavefront6targetE0EEEvT1_.uses_vcc, 0
	.set _ZN7rocprim17ROCPRIM_400000_NS6detail17trampoline_kernelINS0_14default_configENS1_27scan_by_key_config_selectorIiiEEZZNS1_16scan_by_key_implILNS1_25lookback_scan_determinismE0ELb1ES3_N6thrust23THRUST_200600_302600_NS6detail15normal_iteratorINS9_10device_ptrIiEEEESE_SE_iNS9_4plusIvEENS9_8equal_toIiEEiEE10hipError_tPvRmT2_T3_T4_T5_mT6_T7_P12ihipStream_tbENKUlT_T0_E_clISt17integral_constantIbLb1EESY_IbLb0EEEEDaSU_SV_EUlSU_E_NS1_11comp_targetILNS1_3genE0ELNS1_11target_archE4294967295ELNS1_3gpuE0ELNS1_3repE0EEENS1_30default_config_static_selectorELNS0_4arch9wavefront6targetE0EEEvT1_.uses_flat_scratch, 0
	.set _ZN7rocprim17ROCPRIM_400000_NS6detail17trampoline_kernelINS0_14default_configENS1_27scan_by_key_config_selectorIiiEEZZNS1_16scan_by_key_implILNS1_25lookback_scan_determinismE0ELb1ES3_N6thrust23THRUST_200600_302600_NS6detail15normal_iteratorINS9_10device_ptrIiEEEESE_SE_iNS9_4plusIvEENS9_8equal_toIiEEiEE10hipError_tPvRmT2_T3_T4_T5_mT6_T7_P12ihipStream_tbENKUlT_T0_E_clISt17integral_constantIbLb1EESY_IbLb0EEEEDaSU_SV_EUlSU_E_NS1_11comp_targetILNS1_3genE0ELNS1_11target_archE4294967295ELNS1_3gpuE0ELNS1_3repE0EEENS1_30default_config_static_selectorELNS0_4arch9wavefront6targetE0EEEvT1_.has_dyn_sized_stack, 0
	.set _ZN7rocprim17ROCPRIM_400000_NS6detail17trampoline_kernelINS0_14default_configENS1_27scan_by_key_config_selectorIiiEEZZNS1_16scan_by_key_implILNS1_25lookback_scan_determinismE0ELb1ES3_N6thrust23THRUST_200600_302600_NS6detail15normal_iteratorINS9_10device_ptrIiEEEESE_SE_iNS9_4plusIvEENS9_8equal_toIiEEiEE10hipError_tPvRmT2_T3_T4_T5_mT6_T7_P12ihipStream_tbENKUlT_T0_E_clISt17integral_constantIbLb1EESY_IbLb0EEEEDaSU_SV_EUlSU_E_NS1_11comp_targetILNS1_3genE0ELNS1_11target_archE4294967295ELNS1_3gpuE0ELNS1_3repE0EEENS1_30default_config_static_selectorELNS0_4arch9wavefront6targetE0EEEvT1_.has_recursion, 0
	.set _ZN7rocprim17ROCPRIM_400000_NS6detail17trampoline_kernelINS0_14default_configENS1_27scan_by_key_config_selectorIiiEEZZNS1_16scan_by_key_implILNS1_25lookback_scan_determinismE0ELb1ES3_N6thrust23THRUST_200600_302600_NS6detail15normal_iteratorINS9_10device_ptrIiEEEESE_SE_iNS9_4plusIvEENS9_8equal_toIiEEiEE10hipError_tPvRmT2_T3_T4_T5_mT6_T7_P12ihipStream_tbENKUlT_T0_E_clISt17integral_constantIbLb1EESY_IbLb0EEEEDaSU_SV_EUlSU_E_NS1_11comp_targetILNS1_3genE0ELNS1_11target_archE4294967295ELNS1_3gpuE0ELNS1_3repE0EEENS1_30default_config_static_selectorELNS0_4arch9wavefront6targetE0EEEvT1_.has_indirect_call, 0
	.section	.AMDGPU.csdata,"",@progbits
; Kernel info:
; codeLenInByte = 4
; TotalNumSgprs: 0
; NumVgprs: 0
; ScratchSize: 0
; MemoryBound: 0
; FloatMode: 240
; IeeeMode: 1
; LDSByteSize: 0 bytes/workgroup (compile time only)
; SGPRBlocks: 0
; VGPRBlocks: 0
; NumSGPRsForWavesPerEU: 1
; NumVGPRsForWavesPerEU: 1
; NamedBarCnt: 0
; Occupancy: 16
; WaveLimiterHint : 0
; COMPUTE_PGM_RSRC2:SCRATCH_EN: 0
; COMPUTE_PGM_RSRC2:USER_SGPR: 2
; COMPUTE_PGM_RSRC2:TRAP_HANDLER: 0
; COMPUTE_PGM_RSRC2:TGID_X_EN: 1
; COMPUTE_PGM_RSRC2:TGID_Y_EN: 0
; COMPUTE_PGM_RSRC2:TGID_Z_EN: 0
; COMPUTE_PGM_RSRC2:TIDIG_COMP_CNT: 0
	.section	.text._ZN7rocprim17ROCPRIM_400000_NS6detail17trampoline_kernelINS0_14default_configENS1_27scan_by_key_config_selectorIiiEEZZNS1_16scan_by_key_implILNS1_25lookback_scan_determinismE0ELb1ES3_N6thrust23THRUST_200600_302600_NS6detail15normal_iteratorINS9_10device_ptrIiEEEESE_SE_iNS9_4plusIvEENS9_8equal_toIiEEiEE10hipError_tPvRmT2_T3_T4_T5_mT6_T7_P12ihipStream_tbENKUlT_T0_E_clISt17integral_constantIbLb1EESY_IbLb0EEEEDaSU_SV_EUlSU_E_NS1_11comp_targetILNS1_3genE10ELNS1_11target_archE1201ELNS1_3gpuE5ELNS1_3repE0EEENS1_30default_config_static_selectorELNS0_4arch9wavefront6targetE0EEEvT1_,"axG",@progbits,_ZN7rocprim17ROCPRIM_400000_NS6detail17trampoline_kernelINS0_14default_configENS1_27scan_by_key_config_selectorIiiEEZZNS1_16scan_by_key_implILNS1_25lookback_scan_determinismE0ELb1ES3_N6thrust23THRUST_200600_302600_NS6detail15normal_iteratorINS9_10device_ptrIiEEEESE_SE_iNS9_4plusIvEENS9_8equal_toIiEEiEE10hipError_tPvRmT2_T3_T4_T5_mT6_T7_P12ihipStream_tbENKUlT_T0_E_clISt17integral_constantIbLb1EESY_IbLb0EEEEDaSU_SV_EUlSU_E_NS1_11comp_targetILNS1_3genE10ELNS1_11target_archE1201ELNS1_3gpuE5ELNS1_3repE0EEENS1_30default_config_static_selectorELNS0_4arch9wavefront6targetE0EEEvT1_,comdat
	.protected	_ZN7rocprim17ROCPRIM_400000_NS6detail17trampoline_kernelINS0_14default_configENS1_27scan_by_key_config_selectorIiiEEZZNS1_16scan_by_key_implILNS1_25lookback_scan_determinismE0ELb1ES3_N6thrust23THRUST_200600_302600_NS6detail15normal_iteratorINS9_10device_ptrIiEEEESE_SE_iNS9_4plusIvEENS9_8equal_toIiEEiEE10hipError_tPvRmT2_T3_T4_T5_mT6_T7_P12ihipStream_tbENKUlT_T0_E_clISt17integral_constantIbLb1EESY_IbLb0EEEEDaSU_SV_EUlSU_E_NS1_11comp_targetILNS1_3genE10ELNS1_11target_archE1201ELNS1_3gpuE5ELNS1_3repE0EEENS1_30default_config_static_selectorELNS0_4arch9wavefront6targetE0EEEvT1_ ; -- Begin function _ZN7rocprim17ROCPRIM_400000_NS6detail17trampoline_kernelINS0_14default_configENS1_27scan_by_key_config_selectorIiiEEZZNS1_16scan_by_key_implILNS1_25lookback_scan_determinismE0ELb1ES3_N6thrust23THRUST_200600_302600_NS6detail15normal_iteratorINS9_10device_ptrIiEEEESE_SE_iNS9_4plusIvEENS9_8equal_toIiEEiEE10hipError_tPvRmT2_T3_T4_T5_mT6_T7_P12ihipStream_tbENKUlT_T0_E_clISt17integral_constantIbLb1EESY_IbLb0EEEEDaSU_SV_EUlSU_E_NS1_11comp_targetILNS1_3genE10ELNS1_11target_archE1201ELNS1_3gpuE5ELNS1_3repE0EEENS1_30default_config_static_selectorELNS0_4arch9wavefront6targetE0EEEvT1_
	.globl	_ZN7rocprim17ROCPRIM_400000_NS6detail17trampoline_kernelINS0_14default_configENS1_27scan_by_key_config_selectorIiiEEZZNS1_16scan_by_key_implILNS1_25lookback_scan_determinismE0ELb1ES3_N6thrust23THRUST_200600_302600_NS6detail15normal_iteratorINS9_10device_ptrIiEEEESE_SE_iNS9_4plusIvEENS9_8equal_toIiEEiEE10hipError_tPvRmT2_T3_T4_T5_mT6_T7_P12ihipStream_tbENKUlT_T0_E_clISt17integral_constantIbLb1EESY_IbLb0EEEEDaSU_SV_EUlSU_E_NS1_11comp_targetILNS1_3genE10ELNS1_11target_archE1201ELNS1_3gpuE5ELNS1_3repE0EEENS1_30default_config_static_selectorELNS0_4arch9wavefront6targetE0EEEvT1_
	.p2align	8
	.type	_ZN7rocprim17ROCPRIM_400000_NS6detail17trampoline_kernelINS0_14default_configENS1_27scan_by_key_config_selectorIiiEEZZNS1_16scan_by_key_implILNS1_25lookback_scan_determinismE0ELb1ES3_N6thrust23THRUST_200600_302600_NS6detail15normal_iteratorINS9_10device_ptrIiEEEESE_SE_iNS9_4plusIvEENS9_8equal_toIiEEiEE10hipError_tPvRmT2_T3_T4_T5_mT6_T7_P12ihipStream_tbENKUlT_T0_E_clISt17integral_constantIbLb1EESY_IbLb0EEEEDaSU_SV_EUlSU_E_NS1_11comp_targetILNS1_3genE10ELNS1_11target_archE1201ELNS1_3gpuE5ELNS1_3repE0EEENS1_30default_config_static_selectorELNS0_4arch9wavefront6targetE0EEEvT1_,@function
_ZN7rocprim17ROCPRIM_400000_NS6detail17trampoline_kernelINS0_14default_configENS1_27scan_by_key_config_selectorIiiEEZZNS1_16scan_by_key_implILNS1_25lookback_scan_determinismE0ELb1ES3_N6thrust23THRUST_200600_302600_NS6detail15normal_iteratorINS9_10device_ptrIiEEEESE_SE_iNS9_4plusIvEENS9_8equal_toIiEEiEE10hipError_tPvRmT2_T3_T4_T5_mT6_T7_P12ihipStream_tbENKUlT_T0_E_clISt17integral_constantIbLb1EESY_IbLb0EEEEDaSU_SV_EUlSU_E_NS1_11comp_targetILNS1_3genE10ELNS1_11target_archE1201ELNS1_3gpuE5ELNS1_3repE0EEENS1_30default_config_static_selectorELNS0_4arch9wavefront6targetE0EEEvT1_: ; @_ZN7rocprim17ROCPRIM_400000_NS6detail17trampoline_kernelINS0_14default_configENS1_27scan_by_key_config_selectorIiiEEZZNS1_16scan_by_key_implILNS1_25lookback_scan_determinismE0ELb1ES3_N6thrust23THRUST_200600_302600_NS6detail15normal_iteratorINS9_10device_ptrIiEEEESE_SE_iNS9_4plusIvEENS9_8equal_toIiEEiEE10hipError_tPvRmT2_T3_T4_T5_mT6_T7_P12ihipStream_tbENKUlT_T0_E_clISt17integral_constantIbLb1EESY_IbLb0EEEEDaSU_SV_EUlSU_E_NS1_11comp_targetILNS1_3genE10ELNS1_11target_archE1201ELNS1_3gpuE5ELNS1_3repE0EEENS1_30default_config_static_selectorELNS0_4arch9wavefront6targetE0EEEvT1_
; %bb.0:
	.section	.rodata,"a",@progbits
	.p2align	6, 0x0
	.amdhsa_kernel _ZN7rocprim17ROCPRIM_400000_NS6detail17trampoline_kernelINS0_14default_configENS1_27scan_by_key_config_selectorIiiEEZZNS1_16scan_by_key_implILNS1_25lookback_scan_determinismE0ELb1ES3_N6thrust23THRUST_200600_302600_NS6detail15normal_iteratorINS9_10device_ptrIiEEEESE_SE_iNS9_4plusIvEENS9_8equal_toIiEEiEE10hipError_tPvRmT2_T3_T4_T5_mT6_T7_P12ihipStream_tbENKUlT_T0_E_clISt17integral_constantIbLb1EESY_IbLb0EEEEDaSU_SV_EUlSU_E_NS1_11comp_targetILNS1_3genE10ELNS1_11target_archE1201ELNS1_3gpuE5ELNS1_3repE0EEENS1_30default_config_static_selectorELNS0_4arch9wavefront6targetE0EEEvT1_
		.amdhsa_group_segment_fixed_size 0
		.amdhsa_private_segment_fixed_size 0
		.amdhsa_kernarg_size 112
		.amdhsa_user_sgpr_count 2
		.amdhsa_user_sgpr_dispatch_ptr 0
		.amdhsa_user_sgpr_queue_ptr 0
		.amdhsa_user_sgpr_kernarg_segment_ptr 1
		.amdhsa_user_sgpr_dispatch_id 0
		.amdhsa_user_sgpr_kernarg_preload_length 0
		.amdhsa_user_sgpr_kernarg_preload_offset 0
		.amdhsa_user_sgpr_private_segment_size 0
		.amdhsa_wavefront_size32 1
		.amdhsa_uses_dynamic_stack 0
		.amdhsa_enable_private_segment 0
		.amdhsa_system_sgpr_workgroup_id_x 1
		.amdhsa_system_sgpr_workgroup_id_y 0
		.amdhsa_system_sgpr_workgroup_id_z 0
		.amdhsa_system_sgpr_workgroup_info 0
		.amdhsa_system_vgpr_workitem_id 0
		.amdhsa_next_free_vgpr 1
		.amdhsa_next_free_sgpr 1
		.amdhsa_named_barrier_count 0
		.amdhsa_reserve_vcc 0
		.amdhsa_float_round_mode_32 0
		.amdhsa_float_round_mode_16_64 0
		.amdhsa_float_denorm_mode_32 3
		.amdhsa_float_denorm_mode_16_64 3
		.amdhsa_fp16_overflow 0
		.amdhsa_memory_ordered 1
		.amdhsa_forward_progress 1
		.amdhsa_inst_pref_size 0
		.amdhsa_round_robin_scheduling 0
		.amdhsa_exception_fp_ieee_invalid_op 0
		.amdhsa_exception_fp_denorm_src 0
		.amdhsa_exception_fp_ieee_div_zero 0
		.amdhsa_exception_fp_ieee_overflow 0
		.amdhsa_exception_fp_ieee_underflow 0
		.amdhsa_exception_fp_ieee_inexact 0
		.amdhsa_exception_int_div_zero 0
	.end_amdhsa_kernel
	.section	.text._ZN7rocprim17ROCPRIM_400000_NS6detail17trampoline_kernelINS0_14default_configENS1_27scan_by_key_config_selectorIiiEEZZNS1_16scan_by_key_implILNS1_25lookback_scan_determinismE0ELb1ES3_N6thrust23THRUST_200600_302600_NS6detail15normal_iteratorINS9_10device_ptrIiEEEESE_SE_iNS9_4plusIvEENS9_8equal_toIiEEiEE10hipError_tPvRmT2_T3_T4_T5_mT6_T7_P12ihipStream_tbENKUlT_T0_E_clISt17integral_constantIbLb1EESY_IbLb0EEEEDaSU_SV_EUlSU_E_NS1_11comp_targetILNS1_3genE10ELNS1_11target_archE1201ELNS1_3gpuE5ELNS1_3repE0EEENS1_30default_config_static_selectorELNS0_4arch9wavefront6targetE0EEEvT1_,"axG",@progbits,_ZN7rocprim17ROCPRIM_400000_NS6detail17trampoline_kernelINS0_14default_configENS1_27scan_by_key_config_selectorIiiEEZZNS1_16scan_by_key_implILNS1_25lookback_scan_determinismE0ELb1ES3_N6thrust23THRUST_200600_302600_NS6detail15normal_iteratorINS9_10device_ptrIiEEEESE_SE_iNS9_4plusIvEENS9_8equal_toIiEEiEE10hipError_tPvRmT2_T3_T4_T5_mT6_T7_P12ihipStream_tbENKUlT_T0_E_clISt17integral_constantIbLb1EESY_IbLb0EEEEDaSU_SV_EUlSU_E_NS1_11comp_targetILNS1_3genE10ELNS1_11target_archE1201ELNS1_3gpuE5ELNS1_3repE0EEENS1_30default_config_static_selectorELNS0_4arch9wavefront6targetE0EEEvT1_,comdat
.Lfunc_end552:
	.size	_ZN7rocprim17ROCPRIM_400000_NS6detail17trampoline_kernelINS0_14default_configENS1_27scan_by_key_config_selectorIiiEEZZNS1_16scan_by_key_implILNS1_25lookback_scan_determinismE0ELb1ES3_N6thrust23THRUST_200600_302600_NS6detail15normal_iteratorINS9_10device_ptrIiEEEESE_SE_iNS9_4plusIvEENS9_8equal_toIiEEiEE10hipError_tPvRmT2_T3_T4_T5_mT6_T7_P12ihipStream_tbENKUlT_T0_E_clISt17integral_constantIbLb1EESY_IbLb0EEEEDaSU_SV_EUlSU_E_NS1_11comp_targetILNS1_3genE10ELNS1_11target_archE1201ELNS1_3gpuE5ELNS1_3repE0EEENS1_30default_config_static_selectorELNS0_4arch9wavefront6targetE0EEEvT1_, .Lfunc_end552-_ZN7rocprim17ROCPRIM_400000_NS6detail17trampoline_kernelINS0_14default_configENS1_27scan_by_key_config_selectorIiiEEZZNS1_16scan_by_key_implILNS1_25lookback_scan_determinismE0ELb1ES3_N6thrust23THRUST_200600_302600_NS6detail15normal_iteratorINS9_10device_ptrIiEEEESE_SE_iNS9_4plusIvEENS9_8equal_toIiEEiEE10hipError_tPvRmT2_T3_T4_T5_mT6_T7_P12ihipStream_tbENKUlT_T0_E_clISt17integral_constantIbLb1EESY_IbLb0EEEEDaSU_SV_EUlSU_E_NS1_11comp_targetILNS1_3genE10ELNS1_11target_archE1201ELNS1_3gpuE5ELNS1_3repE0EEENS1_30default_config_static_selectorELNS0_4arch9wavefront6targetE0EEEvT1_
                                        ; -- End function
	.set _ZN7rocprim17ROCPRIM_400000_NS6detail17trampoline_kernelINS0_14default_configENS1_27scan_by_key_config_selectorIiiEEZZNS1_16scan_by_key_implILNS1_25lookback_scan_determinismE0ELb1ES3_N6thrust23THRUST_200600_302600_NS6detail15normal_iteratorINS9_10device_ptrIiEEEESE_SE_iNS9_4plusIvEENS9_8equal_toIiEEiEE10hipError_tPvRmT2_T3_T4_T5_mT6_T7_P12ihipStream_tbENKUlT_T0_E_clISt17integral_constantIbLb1EESY_IbLb0EEEEDaSU_SV_EUlSU_E_NS1_11comp_targetILNS1_3genE10ELNS1_11target_archE1201ELNS1_3gpuE5ELNS1_3repE0EEENS1_30default_config_static_selectorELNS0_4arch9wavefront6targetE0EEEvT1_.num_vgpr, 0
	.set _ZN7rocprim17ROCPRIM_400000_NS6detail17trampoline_kernelINS0_14default_configENS1_27scan_by_key_config_selectorIiiEEZZNS1_16scan_by_key_implILNS1_25lookback_scan_determinismE0ELb1ES3_N6thrust23THRUST_200600_302600_NS6detail15normal_iteratorINS9_10device_ptrIiEEEESE_SE_iNS9_4plusIvEENS9_8equal_toIiEEiEE10hipError_tPvRmT2_T3_T4_T5_mT6_T7_P12ihipStream_tbENKUlT_T0_E_clISt17integral_constantIbLb1EESY_IbLb0EEEEDaSU_SV_EUlSU_E_NS1_11comp_targetILNS1_3genE10ELNS1_11target_archE1201ELNS1_3gpuE5ELNS1_3repE0EEENS1_30default_config_static_selectorELNS0_4arch9wavefront6targetE0EEEvT1_.num_agpr, 0
	.set _ZN7rocprim17ROCPRIM_400000_NS6detail17trampoline_kernelINS0_14default_configENS1_27scan_by_key_config_selectorIiiEEZZNS1_16scan_by_key_implILNS1_25lookback_scan_determinismE0ELb1ES3_N6thrust23THRUST_200600_302600_NS6detail15normal_iteratorINS9_10device_ptrIiEEEESE_SE_iNS9_4plusIvEENS9_8equal_toIiEEiEE10hipError_tPvRmT2_T3_T4_T5_mT6_T7_P12ihipStream_tbENKUlT_T0_E_clISt17integral_constantIbLb1EESY_IbLb0EEEEDaSU_SV_EUlSU_E_NS1_11comp_targetILNS1_3genE10ELNS1_11target_archE1201ELNS1_3gpuE5ELNS1_3repE0EEENS1_30default_config_static_selectorELNS0_4arch9wavefront6targetE0EEEvT1_.numbered_sgpr, 0
	.set _ZN7rocprim17ROCPRIM_400000_NS6detail17trampoline_kernelINS0_14default_configENS1_27scan_by_key_config_selectorIiiEEZZNS1_16scan_by_key_implILNS1_25lookback_scan_determinismE0ELb1ES3_N6thrust23THRUST_200600_302600_NS6detail15normal_iteratorINS9_10device_ptrIiEEEESE_SE_iNS9_4plusIvEENS9_8equal_toIiEEiEE10hipError_tPvRmT2_T3_T4_T5_mT6_T7_P12ihipStream_tbENKUlT_T0_E_clISt17integral_constantIbLb1EESY_IbLb0EEEEDaSU_SV_EUlSU_E_NS1_11comp_targetILNS1_3genE10ELNS1_11target_archE1201ELNS1_3gpuE5ELNS1_3repE0EEENS1_30default_config_static_selectorELNS0_4arch9wavefront6targetE0EEEvT1_.num_named_barrier, 0
	.set _ZN7rocprim17ROCPRIM_400000_NS6detail17trampoline_kernelINS0_14default_configENS1_27scan_by_key_config_selectorIiiEEZZNS1_16scan_by_key_implILNS1_25lookback_scan_determinismE0ELb1ES3_N6thrust23THRUST_200600_302600_NS6detail15normal_iteratorINS9_10device_ptrIiEEEESE_SE_iNS9_4plusIvEENS9_8equal_toIiEEiEE10hipError_tPvRmT2_T3_T4_T5_mT6_T7_P12ihipStream_tbENKUlT_T0_E_clISt17integral_constantIbLb1EESY_IbLb0EEEEDaSU_SV_EUlSU_E_NS1_11comp_targetILNS1_3genE10ELNS1_11target_archE1201ELNS1_3gpuE5ELNS1_3repE0EEENS1_30default_config_static_selectorELNS0_4arch9wavefront6targetE0EEEvT1_.private_seg_size, 0
	.set _ZN7rocprim17ROCPRIM_400000_NS6detail17trampoline_kernelINS0_14default_configENS1_27scan_by_key_config_selectorIiiEEZZNS1_16scan_by_key_implILNS1_25lookback_scan_determinismE0ELb1ES3_N6thrust23THRUST_200600_302600_NS6detail15normal_iteratorINS9_10device_ptrIiEEEESE_SE_iNS9_4plusIvEENS9_8equal_toIiEEiEE10hipError_tPvRmT2_T3_T4_T5_mT6_T7_P12ihipStream_tbENKUlT_T0_E_clISt17integral_constantIbLb1EESY_IbLb0EEEEDaSU_SV_EUlSU_E_NS1_11comp_targetILNS1_3genE10ELNS1_11target_archE1201ELNS1_3gpuE5ELNS1_3repE0EEENS1_30default_config_static_selectorELNS0_4arch9wavefront6targetE0EEEvT1_.uses_vcc, 0
	.set _ZN7rocprim17ROCPRIM_400000_NS6detail17trampoline_kernelINS0_14default_configENS1_27scan_by_key_config_selectorIiiEEZZNS1_16scan_by_key_implILNS1_25lookback_scan_determinismE0ELb1ES3_N6thrust23THRUST_200600_302600_NS6detail15normal_iteratorINS9_10device_ptrIiEEEESE_SE_iNS9_4plusIvEENS9_8equal_toIiEEiEE10hipError_tPvRmT2_T3_T4_T5_mT6_T7_P12ihipStream_tbENKUlT_T0_E_clISt17integral_constantIbLb1EESY_IbLb0EEEEDaSU_SV_EUlSU_E_NS1_11comp_targetILNS1_3genE10ELNS1_11target_archE1201ELNS1_3gpuE5ELNS1_3repE0EEENS1_30default_config_static_selectorELNS0_4arch9wavefront6targetE0EEEvT1_.uses_flat_scratch, 0
	.set _ZN7rocprim17ROCPRIM_400000_NS6detail17trampoline_kernelINS0_14default_configENS1_27scan_by_key_config_selectorIiiEEZZNS1_16scan_by_key_implILNS1_25lookback_scan_determinismE0ELb1ES3_N6thrust23THRUST_200600_302600_NS6detail15normal_iteratorINS9_10device_ptrIiEEEESE_SE_iNS9_4plusIvEENS9_8equal_toIiEEiEE10hipError_tPvRmT2_T3_T4_T5_mT6_T7_P12ihipStream_tbENKUlT_T0_E_clISt17integral_constantIbLb1EESY_IbLb0EEEEDaSU_SV_EUlSU_E_NS1_11comp_targetILNS1_3genE10ELNS1_11target_archE1201ELNS1_3gpuE5ELNS1_3repE0EEENS1_30default_config_static_selectorELNS0_4arch9wavefront6targetE0EEEvT1_.has_dyn_sized_stack, 0
	.set _ZN7rocprim17ROCPRIM_400000_NS6detail17trampoline_kernelINS0_14default_configENS1_27scan_by_key_config_selectorIiiEEZZNS1_16scan_by_key_implILNS1_25lookback_scan_determinismE0ELb1ES3_N6thrust23THRUST_200600_302600_NS6detail15normal_iteratorINS9_10device_ptrIiEEEESE_SE_iNS9_4plusIvEENS9_8equal_toIiEEiEE10hipError_tPvRmT2_T3_T4_T5_mT6_T7_P12ihipStream_tbENKUlT_T0_E_clISt17integral_constantIbLb1EESY_IbLb0EEEEDaSU_SV_EUlSU_E_NS1_11comp_targetILNS1_3genE10ELNS1_11target_archE1201ELNS1_3gpuE5ELNS1_3repE0EEENS1_30default_config_static_selectorELNS0_4arch9wavefront6targetE0EEEvT1_.has_recursion, 0
	.set _ZN7rocprim17ROCPRIM_400000_NS6detail17trampoline_kernelINS0_14default_configENS1_27scan_by_key_config_selectorIiiEEZZNS1_16scan_by_key_implILNS1_25lookback_scan_determinismE0ELb1ES3_N6thrust23THRUST_200600_302600_NS6detail15normal_iteratorINS9_10device_ptrIiEEEESE_SE_iNS9_4plusIvEENS9_8equal_toIiEEiEE10hipError_tPvRmT2_T3_T4_T5_mT6_T7_P12ihipStream_tbENKUlT_T0_E_clISt17integral_constantIbLb1EESY_IbLb0EEEEDaSU_SV_EUlSU_E_NS1_11comp_targetILNS1_3genE10ELNS1_11target_archE1201ELNS1_3gpuE5ELNS1_3repE0EEENS1_30default_config_static_selectorELNS0_4arch9wavefront6targetE0EEEvT1_.has_indirect_call, 0
	.section	.AMDGPU.csdata,"",@progbits
; Kernel info:
; codeLenInByte = 0
; TotalNumSgprs: 0
; NumVgprs: 0
; ScratchSize: 0
; MemoryBound: 0
; FloatMode: 240
; IeeeMode: 1
; LDSByteSize: 0 bytes/workgroup (compile time only)
; SGPRBlocks: 0
; VGPRBlocks: 0
; NumSGPRsForWavesPerEU: 1
; NumVGPRsForWavesPerEU: 1
; NamedBarCnt: 0
; Occupancy: 16
; WaveLimiterHint : 0
; COMPUTE_PGM_RSRC2:SCRATCH_EN: 0
; COMPUTE_PGM_RSRC2:USER_SGPR: 2
; COMPUTE_PGM_RSRC2:TRAP_HANDLER: 0
; COMPUTE_PGM_RSRC2:TGID_X_EN: 1
; COMPUTE_PGM_RSRC2:TGID_Y_EN: 0
; COMPUTE_PGM_RSRC2:TGID_Z_EN: 0
; COMPUTE_PGM_RSRC2:TIDIG_COMP_CNT: 0
	.section	.text._ZN7rocprim17ROCPRIM_400000_NS6detail17trampoline_kernelINS0_14default_configENS1_27scan_by_key_config_selectorIiiEEZZNS1_16scan_by_key_implILNS1_25lookback_scan_determinismE0ELb1ES3_N6thrust23THRUST_200600_302600_NS6detail15normal_iteratorINS9_10device_ptrIiEEEESE_SE_iNS9_4plusIvEENS9_8equal_toIiEEiEE10hipError_tPvRmT2_T3_T4_T5_mT6_T7_P12ihipStream_tbENKUlT_T0_E_clISt17integral_constantIbLb1EESY_IbLb0EEEEDaSU_SV_EUlSU_E_NS1_11comp_targetILNS1_3genE5ELNS1_11target_archE942ELNS1_3gpuE9ELNS1_3repE0EEENS1_30default_config_static_selectorELNS0_4arch9wavefront6targetE0EEEvT1_,"axG",@progbits,_ZN7rocprim17ROCPRIM_400000_NS6detail17trampoline_kernelINS0_14default_configENS1_27scan_by_key_config_selectorIiiEEZZNS1_16scan_by_key_implILNS1_25lookback_scan_determinismE0ELb1ES3_N6thrust23THRUST_200600_302600_NS6detail15normal_iteratorINS9_10device_ptrIiEEEESE_SE_iNS9_4plusIvEENS9_8equal_toIiEEiEE10hipError_tPvRmT2_T3_T4_T5_mT6_T7_P12ihipStream_tbENKUlT_T0_E_clISt17integral_constantIbLb1EESY_IbLb0EEEEDaSU_SV_EUlSU_E_NS1_11comp_targetILNS1_3genE5ELNS1_11target_archE942ELNS1_3gpuE9ELNS1_3repE0EEENS1_30default_config_static_selectorELNS0_4arch9wavefront6targetE0EEEvT1_,comdat
	.protected	_ZN7rocprim17ROCPRIM_400000_NS6detail17trampoline_kernelINS0_14default_configENS1_27scan_by_key_config_selectorIiiEEZZNS1_16scan_by_key_implILNS1_25lookback_scan_determinismE0ELb1ES3_N6thrust23THRUST_200600_302600_NS6detail15normal_iteratorINS9_10device_ptrIiEEEESE_SE_iNS9_4plusIvEENS9_8equal_toIiEEiEE10hipError_tPvRmT2_T3_T4_T5_mT6_T7_P12ihipStream_tbENKUlT_T0_E_clISt17integral_constantIbLb1EESY_IbLb0EEEEDaSU_SV_EUlSU_E_NS1_11comp_targetILNS1_3genE5ELNS1_11target_archE942ELNS1_3gpuE9ELNS1_3repE0EEENS1_30default_config_static_selectorELNS0_4arch9wavefront6targetE0EEEvT1_ ; -- Begin function _ZN7rocprim17ROCPRIM_400000_NS6detail17trampoline_kernelINS0_14default_configENS1_27scan_by_key_config_selectorIiiEEZZNS1_16scan_by_key_implILNS1_25lookback_scan_determinismE0ELb1ES3_N6thrust23THRUST_200600_302600_NS6detail15normal_iteratorINS9_10device_ptrIiEEEESE_SE_iNS9_4plusIvEENS9_8equal_toIiEEiEE10hipError_tPvRmT2_T3_T4_T5_mT6_T7_P12ihipStream_tbENKUlT_T0_E_clISt17integral_constantIbLb1EESY_IbLb0EEEEDaSU_SV_EUlSU_E_NS1_11comp_targetILNS1_3genE5ELNS1_11target_archE942ELNS1_3gpuE9ELNS1_3repE0EEENS1_30default_config_static_selectorELNS0_4arch9wavefront6targetE0EEEvT1_
	.globl	_ZN7rocprim17ROCPRIM_400000_NS6detail17trampoline_kernelINS0_14default_configENS1_27scan_by_key_config_selectorIiiEEZZNS1_16scan_by_key_implILNS1_25lookback_scan_determinismE0ELb1ES3_N6thrust23THRUST_200600_302600_NS6detail15normal_iteratorINS9_10device_ptrIiEEEESE_SE_iNS9_4plusIvEENS9_8equal_toIiEEiEE10hipError_tPvRmT2_T3_T4_T5_mT6_T7_P12ihipStream_tbENKUlT_T0_E_clISt17integral_constantIbLb1EESY_IbLb0EEEEDaSU_SV_EUlSU_E_NS1_11comp_targetILNS1_3genE5ELNS1_11target_archE942ELNS1_3gpuE9ELNS1_3repE0EEENS1_30default_config_static_selectorELNS0_4arch9wavefront6targetE0EEEvT1_
	.p2align	8
	.type	_ZN7rocprim17ROCPRIM_400000_NS6detail17trampoline_kernelINS0_14default_configENS1_27scan_by_key_config_selectorIiiEEZZNS1_16scan_by_key_implILNS1_25lookback_scan_determinismE0ELb1ES3_N6thrust23THRUST_200600_302600_NS6detail15normal_iteratorINS9_10device_ptrIiEEEESE_SE_iNS9_4plusIvEENS9_8equal_toIiEEiEE10hipError_tPvRmT2_T3_T4_T5_mT6_T7_P12ihipStream_tbENKUlT_T0_E_clISt17integral_constantIbLb1EESY_IbLb0EEEEDaSU_SV_EUlSU_E_NS1_11comp_targetILNS1_3genE5ELNS1_11target_archE942ELNS1_3gpuE9ELNS1_3repE0EEENS1_30default_config_static_selectorELNS0_4arch9wavefront6targetE0EEEvT1_,@function
_ZN7rocprim17ROCPRIM_400000_NS6detail17trampoline_kernelINS0_14default_configENS1_27scan_by_key_config_selectorIiiEEZZNS1_16scan_by_key_implILNS1_25lookback_scan_determinismE0ELb1ES3_N6thrust23THRUST_200600_302600_NS6detail15normal_iteratorINS9_10device_ptrIiEEEESE_SE_iNS9_4plusIvEENS9_8equal_toIiEEiEE10hipError_tPvRmT2_T3_T4_T5_mT6_T7_P12ihipStream_tbENKUlT_T0_E_clISt17integral_constantIbLb1EESY_IbLb0EEEEDaSU_SV_EUlSU_E_NS1_11comp_targetILNS1_3genE5ELNS1_11target_archE942ELNS1_3gpuE9ELNS1_3repE0EEENS1_30default_config_static_selectorELNS0_4arch9wavefront6targetE0EEEvT1_: ; @_ZN7rocprim17ROCPRIM_400000_NS6detail17trampoline_kernelINS0_14default_configENS1_27scan_by_key_config_selectorIiiEEZZNS1_16scan_by_key_implILNS1_25lookback_scan_determinismE0ELb1ES3_N6thrust23THRUST_200600_302600_NS6detail15normal_iteratorINS9_10device_ptrIiEEEESE_SE_iNS9_4plusIvEENS9_8equal_toIiEEiEE10hipError_tPvRmT2_T3_T4_T5_mT6_T7_P12ihipStream_tbENKUlT_T0_E_clISt17integral_constantIbLb1EESY_IbLb0EEEEDaSU_SV_EUlSU_E_NS1_11comp_targetILNS1_3genE5ELNS1_11target_archE942ELNS1_3gpuE9ELNS1_3repE0EEENS1_30default_config_static_selectorELNS0_4arch9wavefront6targetE0EEEvT1_
; %bb.0:
	.section	.rodata,"a",@progbits
	.p2align	6, 0x0
	.amdhsa_kernel _ZN7rocprim17ROCPRIM_400000_NS6detail17trampoline_kernelINS0_14default_configENS1_27scan_by_key_config_selectorIiiEEZZNS1_16scan_by_key_implILNS1_25lookback_scan_determinismE0ELb1ES3_N6thrust23THRUST_200600_302600_NS6detail15normal_iteratorINS9_10device_ptrIiEEEESE_SE_iNS9_4plusIvEENS9_8equal_toIiEEiEE10hipError_tPvRmT2_T3_T4_T5_mT6_T7_P12ihipStream_tbENKUlT_T0_E_clISt17integral_constantIbLb1EESY_IbLb0EEEEDaSU_SV_EUlSU_E_NS1_11comp_targetILNS1_3genE5ELNS1_11target_archE942ELNS1_3gpuE9ELNS1_3repE0EEENS1_30default_config_static_selectorELNS0_4arch9wavefront6targetE0EEEvT1_
		.amdhsa_group_segment_fixed_size 0
		.amdhsa_private_segment_fixed_size 0
		.amdhsa_kernarg_size 112
		.amdhsa_user_sgpr_count 2
		.amdhsa_user_sgpr_dispatch_ptr 0
		.amdhsa_user_sgpr_queue_ptr 0
		.amdhsa_user_sgpr_kernarg_segment_ptr 1
		.amdhsa_user_sgpr_dispatch_id 0
		.amdhsa_user_sgpr_kernarg_preload_length 0
		.amdhsa_user_sgpr_kernarg_preload_offset 0
		.amdhsa_user_sgpr_private_segment_size 0
		.amdhsa_wavefront_size32 1
		.amdhsa_uses_dynamic_stack 0
		.amdhsa_enable_private_segment 0
		.amdhsa_system_sgpr_workgroup_id_x 1
		.amdhsa_system_sgpr_workgroup_id_y 0
		.amdhsa_system_sgpr_workgroup_id_z 0
		.amdhsa_system_sgpr_workgroup_info 0
		.amdhsa_system_vgpr_workitem_id 0
		.amdhsa_next_free_vgpr 1
		.amdhsa_next_free_sgpr 1
		.amdhsa_named_barrier_count 0
		.amdhsa_reserve_vcc 0
		.amdhsa_float_round_mode_32 0
		.amdhsa_float_round_mode_16_64 0
		.amdhsa_float_denorm_mode_32 3
		.amdhsa_float_denorm_mode_16_64 3
		.amdhsa_fp16_overflow 0
		.amdhsa_memory_ordered 1
		.amdhsa_forward_progress 1
		.amdhsa_inst_pref_size 0
		.amdhsa_round_robin_scheduling 0
		.amdhsa_exception_fp_ieee_invalid_op 0
		.amdhsa_exception_fp_denorm_src 0
		.amdhsa_exception_fp_ieee_div_zero 0
		.amdhsa_exception_fp_ieee_overflow 0
		.amdhsa_exception_fp_ieee_underflow 0
		.amdhsa_exception_fp_ieee_inexact 0
		.amdhsa_exception_int_div_zero 0
	.end_amdhsa_kernel
	.section	.text._ZN7rocprim17ROCPRIM_400000_NS6detail17trampoline_kernelINS0_14default_configENS1_27scan_by_key_config_selectorIiiEEZZNS1_16scan_by_key_implILNS1_25lookback_scan_determinismE0ELb1ES3_N6thrust23THRUST_200600_302600_NS6detail15normal_iteratorINS9_10device_ptrIiEEEESE_SE_iNS9_4plusIvEENS9_8equal_toIiEEiEE10hipError_tPvRmT2_T3_T4_T5_mT6_T7_P12ihipStream_tbENKUlT_T0_E_clISt17integral_constantIbLb1EESY_IbLb0EEEEDaSU_SV_EUlSU_E_NS1_11comp_targetILNS1_3genE5ELNS1_11target_archE942ELNS1_3gpuE9ELNS1_3repE0EEENS1_30default_config_static_selectorELNS0_4arch9wavefront6targetE0EEEvT1_,"axG",@progbits,_ZN7rocprim17ROCPRIM_400000_NS6detail17trampoline_kernelINS0_14default_configENS1_27scan_by_key_config_selectorIiiEEZZNS1_16scan_by_key_implILNS1_25lookback_scan_determinismE0ELb1ES3_N6thrust23THRUST_200600_302600_NS6detail15normal_iteratorINS9_10device_ptrIiEEEESE_SE_iNS9_4plusIvEENS9_8equal_toIiEEiEE10hipError_tPvRmT2_T3_T4_T5_mT6_T7_P12ihipStream_tbENKUlT_T0_E_clISt17integral_constantIbLb1EESY_IbLb0EEEEDaSU_SV_EUlSU_E_NS1_11comp_targetILNS1_3genE5ELNS1_11target_archE942ELNS1_3gpuE9ELNS1_3repE0EEENS1_30default_config_static_selectorELNS0_4arch9wavefront6targetE0EEEvT1_,comdat
.Lfunc_end553:
	.size	_ZN7rocprim17ROCPRIM_400000_NS6detail17trampoline_kernelINS0_14default_configENS1_27scan_by_key_config_selectorIiiEEZZNS1_16scan_by_key_implILNS1_25lookback_scan_determinismE0ELb1ES3_N6thrust23THRUST_200600_302600_NS6detail15normal_iteratorINS9_10device_ptrIiEEEESE_SE_iNS9_4plusIvEENS9_8equal_toIiEEiEE10hipError_tPvRmT2_T3_T4_T5_mT6_T7_P12ihipStream_tbENKUlT_T0_E_clISt17integral_constantIbLb1EESY_IbLb0EEEEDaSU_SV_EUlSU_E_NS1_11comp_targetILNS1_3genE5ELNS1_11target_archE942ELNS1_3gpuE9ELNS1_3repE0EEENS1_30default_config_static_selectorELNS0_4arch9wavefront6targetE0EEEvT1_, .Lfunc_end553-_ZN7rocprim17ROCPRIM_400000_NS6detail17trampoline_kernelINS0_14default_configENS1_27scan_by_key_config_selectorIiiEEZZNS1_16scan_by_key_implILNS1_25lookback_scan_determinismE0ELb1ES3_N6thrust23THRUST_200600_302600_NS6detail15normal_iteratorINS9_10device_ptrIiEEEESE_SE_iNS9_4plusIvEENS9_8equal_toIiEEiEE10hipError_tPvRmT2_T3_T4_T5_mT6_T7_P12ihipStream_tbENKUlT_T0_E_clISt17integral_constantIbLb1EESY_IbLb0EEEEDaSU_SV_EUlSU_E_NS1_11comp_targetILNS1_3genE5ELNS1_11target_archE942ELNS1_3gpuE9ELNS1_3repE0EEENS1_30default_config_static_selectorELNS0_4arch9wavefront6targetE0EEEvT1_
                                        ; -- End function
	.set _ZN7rocprim17ROCPRIM_400000_NS6detail17trampoline_kernelINS0_14default_configENS1_27scan_by_key_config_selectorIiiEEZZNS1_16scan_by_key_implILNS1_25lookback_scan_determinismE0ELb1ES3_N6thrust23THRUST_200600_302600_NS6detail15normal_iteratorINS9_10device_ptrIiEEEESE_SE_iNS9_4plusIvEENS9_8equal_toIiEEiEE10hipError_tPvRmT2_T3_T4_T5_mT6_T7_P12ihipStream_tbENKUlT_T0_E_clISt17integral_constantIbLb1EESY_IbLb0EEEEDaSU_SV_EUlSU_E_NS1_11comp_targetILNS1_3genE5ELNS1_11target_archE942ELNS1_3gpuE9ELNS1_3repE0EEENS1_30default_config_static_selectorELNS0_4arch9wavefront6targetE0EEEvT1_.num_vgpr, 0
	.set _ZN7rocprim17ROCPRIM_400000_NS6detail17trampoline_kernelINS0_14default_configENS1_27scan_by_key_config_selectorIiiEEZZNS1_16scan_by_key_implILNS1_25lookback_scan_determinismE0ELb1ES3_N6thrust23THRUST_200600_302600_NS6detail15normal_iteratorINS9_10device_ptrIiEEEESE_SE_iNS9_4plusIvEENS9_8equal_toIiEEiEE10hipError_tPvRmT2_T3_T4_T5_mT6_T7_P12ihipStream_tbENKUlT_T0_E_clISt17integral_constantIbLb1EESY_IbLb0EEEEDaSU_SV_EUlSU_E_NS1_11comp_targetILNS1_3genE5ELNS1_11target_archE942ELNS1_3gpuE9ELNS1_3repE0EEENS1_30default_config_static_selectorELNS0_4arch9wavefront6targetE0EEEvT1_.num_agpr, 0
	.set _ZN7rocprim17ROCPRIM_400000_NS6detail17trampoline_kernelINS0_14default_configENS1_27scan_by_key_config_selectorIiiEEZZNS1_16scan_by_key_implILNS1_25lookback_scan_determinismE0ELb1ES3_N6thrust23THRUST_200600_302600_NS6detail15normal_iteratorINS9_10device_ptrIiEEEESE_SE_iNS9_4plusIvEENS9_8equal_toIiEEiEE10hipError_tPvRmT2_T3_T4_T5_mT6_T7_P12ihipStream_tbENKUlT_T0_E_clISt17integral_constantIbLb1EESY_IbLb0EEEEDaSU_SV_EUlSU_E_NS1_11comp_targetILNS1_3genE5ELNS1_11target_archE942ELNS1_3gpuE9ELNS1_3repE0EEENS1_30default_config_static_selectorELNS0_4arch9wavefront6targetE0EEEvT1_.numbered_sgpr, 0
	.set _ZN7rocprim17ROCPRIM_400000_NS6detail17trampoline_kernelINS0_14default_configENS1_27scan_by_key_config_selectorIiiEEZZNS1_16scan_by_key_implILNS1_25lookback_scan_determinismE0ELb1ES3_N6thrust23THRUST_200600_302600_NS6detail15normal_iteratorINS9_10device_ptrIiEEEESE_SE_iNS9_4plusIvEENS9_8equal_toIiEEiEE10hipError_tPvRmT2_T3_T4_T5_mT6_T7_P12ihipStream_tbENKUlT_T0_E_clISt17integral_constantIbLb1EESY_IbLb0EEEEDaSU_SV_EUlSU_E_NS1_11comp_targetILNS1_3genE5ELNS1_11target_archE942ELNS1_3gpuE9ELNS1_3repE0EEENS1_30default_config_static_selectorELNS0_4arch9wavefront6targetE0EEEvT1_.num_named_barrier, 0
	.set _ZN7rocprim17ROCPRIM_400000_NS6detail17trampoline_kernelINS0_14default_configENS1_27scan_by_key_config_selectorIiiEEZZNS1_16scan_by_key_implILNS1_25lookback_scan_determinismE0ELb1ES3_N6thrust23THRUST_200600_302600_NS6detail15normal_iteratorINS9_10device_ptrIiEEEESE_SE_iNS9_4plusIvEENS9_8equal_toIiEEiEE10hipError_tPvRmT2_T3_T4_T5_mT6_T7_P12ihipStream_tbENKUlT_T0_E_clISt17integral_constantIbLb1EESY_IbLb0EEEEDaSU_SV_EUlSU_E_NS1_11comp_targetILNS1_3genE5ELNS1_11target_archE942ELNS1_3gpuE9ELNS1_3repE0EEENS1_30default_config_static_selectorELNS0_4arch9wavefront6targetE0EEEvT1_.private_seg_size, 0
	.set _ZN7rocprim17ROCPRIM_400000_NS6detail17trampoline_kernelINS0_14default_configENS1_27scan_by_key_config_selectorIiiEEZZNS1_16scan_by_key_implILNS1_25lookback_scan_determinismE0ELb1ES3_N6thrust23THRUST_200600_302600_NS6detail15normal_iteratorINS9_10device_ptrIiEEEESE_SE_iNS9_4plusIvEENS9_8equal_toIiEEiEE10hipError_tPvRmT2_T3_T4_T5_mT6_T7_P12ihipStream_tbENKUlT_T0_E_clISt17integral_constantIbLb1EESY_IbLb0EEEEDaSU_SV_EUlSU_E_NS1_11comp_targetILNS1_3genE5ELNS1_11target_archE942ELNS1_3gpuE9ELNS1_3repE0EEENS1_30default_config_static_selectorELNS0_4arch9wavefront6targetE0EEEvT1_.uses_vcc, 0
	.set _ZN7rocprim17ROCPRIM_400000_NS6detail17trampoline_kernelINS0_14default_configENS1_27scan_by_key_config_selectorIiiEEZZNS1_16scan_by_key_implILNS1_25lookback_scan_determinismE0ELb1ES3_N6thrust23THRUST_200600_302600_NS6detail15normal_iteratorINS9_10device_ptrIiEEEESE_SE_iNS9_4plusIvEENS9_8equal_toIiEEiEE10hipError_tPvRmT2_T3_T4_T5_mT6_T7_P12ihipStream_tbENKUlT_T0_E_clISt17integral_constantIbLb1EESY_IbLb0EEEEDaSU_SV_EUlSU_E_NS1_11comp_targetILNS1_3genE5ELNS1_11target_archE942ELNS1_3gpuE9ELNS1_3repE0EEENS1_30default_config_static_selectorELNS0_4arch9wavefront6targetE0EEEvT1_.uses_flat_scratch, 0
	.set _ZN7rocprim17ROCPRIM_400000_NS6detail17trampoline_kernelINS0_14default_configENS1_27scan_by_key_config_selectorIiiEEZZNS1_16scan_by_key_implILNS1_25lookback_scan_determinismE0ELb1ES3_N6thrust23THRUST_200600_302600_NS6detail15normal_iteratorINS9_10device_ptrIiEEEESE_SE_iNS9_4plusIvEENS9_8equal_toIiEEiEE10hipError_tPvRmT2_T3_T4_T5_mT6_T7_P12ihipStream_tbENKUlT_T0_E_clISt17integral_constantIbLb1EESY_IbLb0EEEEDaSU_SV_EUlSU_E_NS1_11comp_targetILNS1_3genE5ELNS1_11target_archE942ELNS1_3gpuE9ELNS1_3repE0EEENS1_30default_config_static_selectorELNS0_4arch9wavefront6targetE0EEEvT1_.has_dyn_sized_stack, 0
	.set _ZN7rocprim17ROCPRIM_400000_NS6detail17trampoline_kernelINS0_14default_configENS1_27scan_by_key_config_selectorIiiEEZZNS1_16scan_by_key_implILNS1_25lookback_scan_determinismE0ELb1ES3_N6thrust23THRUST_200600_302600_NS6detail15normal_iteratorINS9_10device_ptrIiEEEESE_SE_iNS9_4plusIvEENS9_8equal_toIiEEiEE10hipError_tPvRmT2_T3_T4_T5_mT6_T7_P12ihipStream_tbENKUlT_T0_E_clISt17integral_constantIbLb1EESY_IbLb0EEEEDaSU_SV_EUlSU_E_NS1_11comp_targetILNS1_3genE5ELNS1_11target_archE942ELNS1_3gpuE9ELNS1_3repE0EEENS1_30default_config_static_selectorELNS0_4arch9wavefront6targetE0EEEvT1_.has_recursion, 0
	.set _ZN7rocprim17ROCPRIM_400000_NS6detail17trampoline_kernelINS0_14default_configENS1_27scan_by_key_config_selectorIiiEEZZNS1_16scan_by_key_implILNS1_25lookback_scan_determinismE0ELb1ES3_N6thrust23THRUST_200600_302600_NS6detail15normal_iteratorINS9_10device_ptrIiEEEESE_SE_iNS9_4plusIvEENS9_8equal_toIiEEiEE10hipError_tPvRmT2_T3_T4_T5_mT6_T7_P12ihipStream_tbENKUlT_T0_E_clISt17integral_constantIbLb1EESY_IbLb0EEEEDaSU_SV_EUlSU_E_NS1_11comp_targetILNS1_3genE5ELNS1_11target_archE942ELNS1_3gpuE9ELNS1_3repE0EEENS1_30default_config_static_selectorELNS0_4arch9wavefront6targetE0EEEvT1_.has_indirect_call, 0
	.section	.AMDGPU.csdata,"",@progbits
; Kernel info:
; codeLenInByte = 0
; TotalNumSgprs: 0
; NumVgprs: 0
; ScratchSize: 0
; MemoryBound: 0
; FloatMode: 240
; IeeeMode: 1
; LDSByteSize: 0 bytes/workgroup (compile time only)
; SGPRBlocks: 0
; VGPRBlocks: 0
; NumSGPRsForWavesPerEU: 1
; NumVGPRsForWavesPerEU: 1
; NamedBarCnt: 0
; Occupancy: 16
; WaveLimiterHint : 0
; COMPUTE_PGM_RSRC2:SCRATCH_EN: 0
; COMPUTE_PGM_RSRC2:USER_SGPR: 2
; COMPUTE_PGM_RSRC2:TRAP_HANDLER: 0
; COMPUTE_PGM_RSRC2:TGID_X_EN: 1
; COMPUTE_PGM_RSRC2:TGID_Y_EN: 0
; COMPUTE_PGM_RSRC2:TGID_Z_EN: 0
; COMPUTE_PGM_RSRC2:TIDIG_COMP_CNT: 0
	.section	.text._ZN7rocprim17ROCPRIM_400000_NS6detail17trampoline_kernelINS0_14default_configENS1_27scan_by_key_config_selectorIiiEEZZNS1_16scan_by_key_implILNS1_25lookback_scan_determinismE0ELb1ES3_N6thrust23THRUST_200600_302600_NS6detail15normal_iteratorINS9_10device_ptrIiEEEESE_SE_iNS9_4plusIvEENS9_8equal_toIiEEiEE10hipError_tPvRmT2_T3_T4_T5_mT6_T7_P12ihipStream_tbENKUlT_T0_E_clISt17integral_constantIbLb1EESY_IbLb0EEEEDaSU_SV_EUlSU_E_NS1_11comp_targetILNS1_3genE4ELNS1_11target_archE910ELNS1_3gpuE8ELNS1_3repE0EEENS1_30default_config_static_selectorELNS0_4arch9wavefront6targetE0EEEvT1_,"axG",@progbits,_ZN7rocprim17ROCPRIM_400000_NS6detail17trampoline_kernelINS0_14default_configENS1_27scan_by_key_config_selectorIiiEEZZNS1_16scan_by_key_implILNS1_25lookback_scan_determinismE0ELb1ES3_N6thrust23THRUST_200600_302600_NS6detail15normal_iteratorINS9_10device_ptrIiEEEESE_SE_iNS9_4plusIvEENS9_8equal_toIiEEiEE10hipError_tPvRmT2_T3_T4_T5_mT6_T7_P12ihipStream_tbENKUlT_T0_E_clISt17integral_constantIbLb1EESY_IbLb0EEEEDaSU_SV_EUlSU_E_NS1_11comp_targetILNS1_3genE4ELNS1_11target_archE910ELNS1_3gpuE8ELNS1_3repE0EEENS1_30default_config_static_selectorELNS0_4arch9wavefront6targetE0EEEvT1_,comdat
	.protected	_ZN7rocprim17ROCPRIM_400000_NS6detail17trampoline_kernelINS0_14default_configENS1_27scan_by_key_config_selectorIiiEEZZNS1_16scan_by_key_implILNS1_25lookback_scan_determinismE0ELb1ES3_N6thrust23THRUST_200600_302600_NS6detail15normal_iteratorINS9_10device_ptrIiEEEESE_SE_iNS9_4plusIvEENS9_8equal_toIiEEiEE10hipError_tPvRmT2_T3_T4_T5_mT6_T7_P12ihipStream_tbENKUlT_T0_E_clISt17integral_constantIbLb1EESY_IbLb0EEEEDaSU_SV_EUlSU_E_NS1_11comp_targetILNS1_3genE4ELNS1_11target_archE910ELNS1_3gpuE8ELNS1_3repE0EEENS1_30default_config_static_selectorELNS0_4arch9wavefront6targetE0EEEvT1_ ; -- Begin function _ZN7rocprim17ROCPRIM_400000_NS6detail17trampoline_kernelINS0_14default_configENS1_27scan_by_key_config_selectorIiiEEZZNS1_16scan_by_key_implILNS1_25lookback_scan_determinismE0ELb1ES3_N6thrust23THRUST_200600_302600_NS6detail15normal_iteratorINS9_10device_ptrIiEEEESE_SE_iNS9_4plusIvEENS9_8equal_toIiEEiEE10hipError_tPvRmT2_T3_T4_T5_mT6_T7_P12ihipStream_tbENKUlT_T0_E_clISt17integral_constantIbLb1EESY_IbLb0EEEEDaSU_SV_EUlSU_E_NS1_11comp_targetILNS1_3genE4ELNS1_11target_archE910ELNS1_3gpuE8ELNS1_3repE0EEENS1_30default_config_static_selectorELNS0_4arch9wavefront6targetE0EEEvT1_
	.globl	_ZN7rocprim17ROCPRIM_400000_NS6detail17trampoline_kernelINS0_14default_configENS1_27scan_by_key_config_selectorIiiEEZZNS1_16scan_by_key_implILNS1_25lookback_scan_determinismE0ELb1ES3_N6thrust23THRUST_200600_302600_NS6detail15normal_iteratorINS9_10device_ptrIiEEEESE_SE_iNS9_4plusIvEENS9_8equal_toIiEEiEE10hipError_tPvRmT2_T3_T4_T5_mT6_T7_P12ihipStream_tbENKUlT_T0_E_clISt17integral_constantIbLb1EESY_IbLb0EEEEDaSU_SV_EUlSU_E_NS1_11comp_targetILNS1_3genE4ELNS1_11target_archE910ELNS1_3gpuE8ELNS1_3repE0EEENS1_30default_config_static_selectorELNS0_4arch9wavefront6targetE0EEEvT1_
	.p2align	8
	.type	_ZN7rocprim17ROCPRIM_400000_NS6detail17trampoline_kernelINS0_14default_configENS1_27scan_by_key_config_selectorIiiEEZZNS1_16scan_by_key_implILNS1_25lookback_scan_determinismE0ELb1ES3_N6thrust23THRUST_200600_302600_NS6detail15normal_iteratorINS9_10device_ptrIiEEEESE_SE_iNS9_4plusIvEENS9_8equal_toIiEEiEE10hipError_tPvRmT2_T3_T4_T5_mT6_T7_P12ihipStream_tbENKUlT_T0_E_clISt17integral_constantIbLb1EESY_IbLb0EEEEDaSU_SV_EUlSU_E_NS1_11comp_targetILNS1_3genE4ELNS1_11target_archE910ELNS1_3gpuE8ELNS1_3repE0EEENS1_30default_config_static_selectorELNS0_4arch9wavefront6targetE0EEEvT1_,@function
_ZN7rocprim17ROCPRIM_400000_NS6detail17trampoline_kernelINS0_14default_configENS1_27scan_by_key_config_selectorIiiEEZZNS1_16scan_by_key_implILNS1_25lookback_scan_determinismE0ELb1ES3_N6thrust23THRUST_200600_302600_NS6detail15normal_iteratorINS9_10device_ptrIiEEEESE_SE_iNS9_4plusIvEENS9_8equal_toIiEEiEE10hipError_tPvRmT2_T3_T4_T5_mT6_T7_P12ihipStream_tbENKUlT_T0_E_clISt17integral_constantIbLb1EESY_IbLb0EEEEDaSU_SV_EUlSU_E_NS1_11comp_targetILNS1_3genE4ELNS1_11target_archE910ELNS1_3gpuE8ELNS1_3repE0EEENS1_30default_config_static_selectorELNS0_4arch9wavefront6targetE0EEEvT1_: ; @_ZN7rocprim17ROCPRIM_400000_NS6detail17trampoline_kernelINS0_14default_configENS1_27scan_by_key_config_selectorIiiEEZZNS1_16scan_by_key_implILNS1_25lookback_scan_determinismE0ELb1ES3_N6thrust23THRUST_200600_302600_NS6detail15normal_iteratorINS9_10device_ptrIiEEEESE_SE_iNS9_4plusIvEENS9_8equal_toIiEEiEE10hipError_tPvRmT2_T3_T4_T5_mT6_T7_P12ihipStream_tbENKUlT_T0_E_clISt17integral_constantIbLb1EESY_IbLb0EEEEDaSU_SV_EUlSU_E_NS1_11comp_targetILNS1_3genE4ELNS1_11target_archE910ELNS1_3gpuE8ELNS1_3repE0EEENS1_30default_config_static_selectorELNS0_4arch9wavefront6targetE0EEEvT1_
; %bb.0:
	.section	.rodata,"a",@progbits
	.p2align	6, 0x0
	.amdhsa_kernel _ZN7rocprim17ROCPRIM_400000_NS6detail17trampoline_kernelINS0_14default_configENS1_27scan_by_key_config_selectorIiiEEZZNS1_16scan_by_key_implILNS1_25lookback_scan_determinismE0ELb1ES3_N6thrust23THRUST_200600_302600_NS6detail15normal_iteratorINS9_10device_ptrIiEEEESE_SE_iNS9_4plusIvEENS9_8equal_toIiEEiEE10hipError_tPvRmT2_T3_T4_T5_mT6_T7_P12ihipStream_tbENKUlT_T0_E_clISt17integral_constantIbLb1EESY_IbLb0EEEEDaSU_SV_EUlSU_E_NS1_11comp_targetILNS1_3genE4ELNS1_11target_archE910ELNS1_3gpuE8ELNS1_3repE0EEENS1_30default_config_static_selectorELNS0_4arch9wavefront6targetE0EEEvT1_
		.amdhsa_group_segment_fixed_size 0
		.amdhsa_private_segment_fixed_size 0
		.amdhsa_kernarg_size 112
		.amdhsa_user_sgpr_count 2
		.amdhsa_user_sgpr_dispatch_ptr 0
		.amdhsa_user_sgpr_queue_ptr 0
		.amdhsa_user_sgpr_kernarg_segment_ptr 1
		.amdhsa_user_sgpr_dispatch_id 0
		.amdhsa_user_sgpr_kernarg_preload_length 0
		.amdhsa_user_sgpr_kernarg_preload_offset 0
		.amdhsa_user_sgpr_private_segment_size 0
		.amdhsa_wavefront_size32 1
		.amdhsa_uses_dynamic_stack 0
		.amdhsa_enable_private_segment 0
		.amdhsa_system_sgpr_workgroup_id_x 1
		.amdhsa_system_sgpr_workgroup_id_y 0
		.amdhsa_system_sgpr_workgroup_id_z 0
		.amdhsa_system_sgpr_workgroup_info 0
		.amdhsa_system_vgpr_workitem_id 0
		.amdhsa_next_free_vgpr 1
		.amdhsa_next_free_sgpr 1
		.amdhsa_named_barrier_count 0
		.amdhsa_reserve_vcc 0
		.amdhsa_float_round_mode_32 0
		.amdhsa_float_round_mode_16_64 0
		.amdhsa_float_denorm_mode_32 3
		.amdhsa_float_denorm_mode_16_64 3
		.amdhsa_fp16_overflow 0
		.amdhsa_memory_ordered 1
		.amdhsa_forward_progress 1
		.amdhsa_inst_pref_size 0
		.amdhsa_round_robin_scheduling 0
		.amdhsa_exception_fp_ieee_invalid_op 0
		.amdhsa_exception_fp_denorm_src 0
		.amdhsa_exception_fp_ieee_div_zero 0
		.amdhsa_exception_fp_ieee_overflow 0
		.amdhsa_exception_fp_ieee_underflow 0
		.amdhsa_exception_fp_ieee_inexact 0
		.amdhsa_exception_int_div_zero 0
	.end_amdhsa_kernel
	.section	.text._ZN7rocprim17ROCPRIM_400000_NS6detail17trampoline_kernelINS0_14default_configENS1_27scan_by_key_config_selectorIiiEEZZNS1_16scan_by_key_implILNS1_25lookback_scan_determinismE0ELb1ES3_N6thrust23THRUST_200600_302600_NS6detail15normal_iteratorINS9_10device_ptrIiEEEESE_SE_iNS9_4plusIvEENS9_8equal_toIiEEiEE10hipError_tPvRmT2_T3_T4_T5_mT6_T7_P12ihipStream_tbENKUlT_T0_E_clISt17integral_constantIbLb1EESY_IbLb0EEEEDaSU_SV_EUlSU_E_NS1_11comp_targetILNS1_3genE4ELNS1_11target_archE910ELNS1_3gpuE8ELNS1_3repE0EEENS1_30default_config_static_selectorELNS0_4arch9wavefront6targetE0EEEvT1_,"axG",@progbits,_ZN7rocprim17ROCPRIM_400000_NS6detail17trampoline_kernelINS0_14default_configENS1_27scan_by_key_config_selectorIiiEEZZNS1_16scan_by_key_implILNS1_25lookback_scan_determinismE0ELb1ES3_N6thrust23THRUST_200600_302600_NS6detail15normal_iteratorINS9_10device_ptrIiEEEESE_SE_iNS9_4plusIvEENS9_8equal_toIiEEiEE10hipError_tPvRmT2_T3_T4_T5_mT6_T7_P12ihipStream_tbENKUlT_T0_E_clISt17integral_constantIbLb1EESY_IbLb0EEEEDaSU_SV_EUlSU_E_NS1_11comp_targetILNS1_3genE4ELNS1_11target_archE910ELNS1_3gpuE8ELNS1_3repE0EEENS1_30default_config_static_selectorELNS0_4arch9wavefront6targetE0EEEvT1_,comdat
.Lfunc_end554:
	.size	_ZN7rocprim17ROCPRIM_400000_NS6detail17trampoline_kernelINS0_14default_configENS1_27scan_by_key_config_selectorIiiEEZZNS1_16scan_by_key_implILNS1_25lookback_scan_determinismE0ELb1ES3_N6thrust23THRUST_200600_302600_NS6detail15normal_iteratorINS9_10device_ptrIiEEEESE_SE_iNS9_4plusIvEENS9_8equal_toIiEEiEE10hipError_tPvRmT2_T3_T4_T5_mT6_T7_P12ihipStream_tbENKUlT_T0_E_clISt17integral_constantIbLb1EESY_IbLb0EEEEDaSU_SV_EUlSU_E_NS1_11comp_targetILNS1_3genE4ELNS1_11target_archE910ELNS1_3gpuE8ELNS1_3repE0EEENS1_30default_config_static_selectorELNS0_4arch9wavefront6targetE0EEEvT1_, .Lfunc_end554-_ZN7rocprim17ROCPRIM_400000_NS6detail17trampoline_kernelINS0_14default_configENS1_27scan_by_key_config_selectorIiiEEZZNS1_16scan_by_key_implILNS1_25lookback_scan_determinismE0ELb1ES3_N6thrust23THRUST_200600_302600_NS6detail15normal_iteratorINS9_10device_ptrIiEEEESE_SE_iNS9_4plusIvEENS9_8equal_toIiEEiEE10hipError_tPvRmT2_T3_T4_T5_mT6_T7_P12ihipStream_tbENKUlT_T0_E_clISt17integral_constantIbLb1EESY_IbLb0EEEEDaSU_SV_EUlSU_E_NS1_11comp_targetILNS1_3genE4ELNS1_11target_archE910ELNS1_3gpuE8ELNS1_3repE0EEENS1_30default_config_static_selectorELNS0_4arch9wavefront6targetE0EEEvT1_
                                        ; -- End function
	.set _ZN7rocprim17ROCPRIM_400000_NS6detail17trampoline_kernelINS0_14default_configENS1_27scan_by_key_config_selectorIiiEEZZNS1_16scan_by_key_implILNS1_25lookback_scan_determinismE0ELb1ES3_N6thrust23THRUST_200600_302600_NS6detail15normal_iteratorINS9_10device_ptrIiEEEESE_SE_iNS9_4plusIvEENS9_8equal_toIiEEiEE10hipError_tPvRmT2_T3_T4_T5_mT6_T7_P12ihipStream_tbENKUlT_T0_E_clISt17integral_constantIbLb1EESY_IbLb0EEEEDaSU_SV_EUlSU_E_NS1_11comp_targetILNS1_3genE4ELNS1_11target_archE910ELNS1_3gpuE8ELNS1_3repE0EEENS1_30default_config_static_selectorELNS0_4arch9wavefront6targetE0EEEvT1_.num_vgpr, 0
	.set _ZN7rocprim17ROCPRIM_400000_NS6detail17trampoline_kernelINS0_14default_configENS1_27scan_by_key_config_selectorIiiEEZZNS1_16scan_by_key_implILNS1_25lookback_scan_determinismE0ELb1ES3_N6thrust23THRUST_200600_302600_NS6detail15normal_iteratorINS9_10device_ptrIiEEEESE_SE_iNS9_4plusIvEENS9_8equal_toIiEEiEE10hipError_tPvRmT2_T3_T4_T5_mT6_T7_P12ihipStream_tbENKUlT_T0_E_clISt17integral_constantIbLb1EESY_IbLb0EEEEDaSU_SV_EUlSU_E_NS1_11comp_targetILNS1_3genE4ELNS1_11target_archE910ELNS1_3gpuE8ELNS1_3repE0EEENS1_30default_config_static_selectorELNS0_4arch9wavefront6targetE0EEEvT1_.num_agpr, 0
	.set _ZN7rocprim17ROCPRIM_400000_NS6detail17trampoline_kernelINS0_14default_configENS1_27scan_by_key_config_selectorIiiEEZZNS1_16scan_by_key_implILNS1_25lookback_scan_determinismE0ELb1ES3_N6thrust23THRUST_200600_302600_NS6detail15normal_iteratorINS9_10device_ptrIiEEEESE_SE_iNS9_4plusIvEENS9_8equal_toIiEEiEE10hipError_tPvRmT2_T3_T4_T5_mT6_T7_P12ihipStream_tbENKUlT_T0_E_clISt17integral_constantIbLb1EESY_IbLb0EEEEDaSU_SV_EUlSU_E_NS1_11comp_targetILNS1_3genE4ELNS1_11target_archE910ELNS1_3gpuE8ELNS1_3repE0EEENS1_30default_config_static_selectorELNS0_4arch9wavefront6targetE0EEEvT1_.numbered_sgpr, 0
	.set _ZN7rocprim17ROCPRIM_400000_NS6detail17trampoline_kernelINS0_14default_configENS1_27scan_by_key_config_selectorIiiEEZZNS1_16scan_by_key_implILNS1_25lookback_scan_determinismE0ELb1ES3_N6thrust23THRUST_200600_302600_NS6detail15normal_iteratorINS9_10device_ptrIiEEEESE_SE_iNS9_4plusIvEENS9_8equal_toIiEEiEE10hipError_tPvRmT2_T3_T4_T5_mT6_T7_P12ihipStream_tbENKUlT_T0_E_clISt17integral_constantIbLb1EESY_IbLb0EEEEDaSU_SV_EUlSU_E_NS1_11comp_targetILNS1_3genE4ELNS1_11target_archE910ELNS1_3gpuE8ELNS1_3repE0EEENS1_30default_config_static_selectorELNS0_4arch9wavefront6targetE0EEEvT1_.num_named_barrier, 0
	.set _ZN7rocprim17ROCPRIM_400000_NS6detail17trampoline_kernelINS0_14default_configENS1_27scan_by_key_config_selectorIiiEEZZNS1_16scan_by_key_implILNS1_25lookback_scan_determinismE0ELb1ES3_N6thrust23THRUST_200600_302600_NS6detail15normal_iteratorINS9_10device_ptrIiEEEESE_SE_iNS9_4plusIvEENS9_8equal_toIiEEiEE10hipError_tPvRmT2_T3_T4_T5_mT6_T7_P12ihipStream_tbENKUlT_T0_E_clISt17integral_constantIbLb1EESY_IbLb0EEEEDaSU_SV_EUlSU_E_NS1_11comp_targetILNS1_3genE4ELNS1_11target_archE910ELNS1_3gpuE8ELNS1_3repE0EEENS1_30default_config_static_selectorELNS0_4arch9wavefront6targetE0EEEvT1_.private_seg_size, 0
	.set _ZN7rocprim17ROCPRIM_400000_NS6detail17trampoline_kernelINS0_14default_configENS1_27scan_by_key_config_selectorIiiEEZZNS1_16scan_by_key_implILNS1_25lookback_scan_determinismE0ELb1ES3_N6thrust23THRUST_200600_302600_NS6detail15normal_iteratorINS9_10device_ptrIiEEEESE_SE_iNS9_4plusIvEENS9_8equal_toIiEEiEE10hipError_tPvRmT2_T3_T4_T5_mT6_T7_P12ihipStream_tbENKUlT_T0_E_clISt17integral_constantIbLb1EESY_IbLb0EEEEDaSU_SV_EUlSU_E_NS1_11comp_targetILNS1_3genE4ELNS1_11target_archE910ELNS1_3gpuE8ELNS1_3repE0EEENS1_30default_config_static_selectorELNS0_4arch9wavefront6targetE0EEEvT1_.uses_vcc, 0
	.set _ZN7rocprim17ROCPRIM_400000_NS6detail17trampoline_kernelINS0_14default_configENS1_27scan_by_key_config_selectorIiiEEZZNS1_16scan_by_key_implILNS1_25lookback_scan_determinismE0ELb1ES3_N6thrust23THRUST_200600_302600_NS6detail15normal_iteratorINS9_10device_ptrIiEEEESE_SE_iNS9_4plusIvEENS9_8equal_toIiEEiEE10hipError_tPvRmT2_T3_T4_T5_mT6_T7_P12ihipStream_tbENKUlT_T0_E_clISt17integral_constantIbLb1EESY_IbLb0EEEEDaSU_SV_EUlSU_E_NS1_11comp_targetILNS1_3genE4ELNS1_11target_archE910ELNS1_3gpuE8ELNS1_3repE0EEENS1_30default_config_static_selectorELNS0_4arch9wavefront6targetE0EEEvT1_.uses_flat_scratch, 0
	.set _ZN7rocprim17ROCPRIM_400000_NS6detail17trampoline_kernelINS0_14default_configENS1_27scan_by_key_config_selectorIiiEEZZNS1_16scan_by_key_implILNS1_25lookback_scan_determinismE0ELb1ES3_N6thrust23THRUST_200600_302600_NS6detail15normal_iteratorINS9_10device_ptrIiEEEESE_SE_iNS9_4plusIvEENS9_8equal_toIiEEiEE10hipError_tPvRmT2_T3_T4_T5_mT6_T7_P12ihipStream_tbENKUlT_T0_E_clISt17integral_constantIbLb1EESY_IbLb0EEEEDaSU_SV_EUlSU_E_NS1_11comp_targetILNS1_3genE4ELNS1_11target_archE910ELNS1_3gpuE8ELNS1_3repE0EEENS1_30default_config_static_selectorELNS0_4arch9wavefront6targetE0EEEvT1_.has_dyn_sized_stack, 0
	.set _ZN7rocprim17ROCPRIM_400000_NS6detail17trampoline_kernelINS0_14default_configENS1_27scan_by_key_config_selectorIiiEEZZNS1_16scan_by_key_implILNS1_25lookback_scan_determinismE0ELb1ES3_N6thrust23THRUST_200600_302600_NS6detail15normal_iteratorINS9_10device_ptrIiEEEESE_SE_iNS9_4plusIvEENS9_8equal_toIiEEiEE10hipError_tPvRmT2_T3_T4_T5_mT6_T7_P12ihipStream_tbENKUlT_T0_E_clISt17integral_constantIbLb1EESY_IbLb0EEEEDaSU_SV_EUlSU_E_NS1_11comp_targetILNS1_3genE4ELNS1_11target_archE910ELNS1_3gpuE8ELNS1_3repE0EEENS1_30default_config_static_selectorELNS0_4arch9wavefront6targetE0EEEvT1_.has_recursion, 0
	.set _ZN7rocprim17ROCPRIM_400000_NS6detail17trampoline_kernelINS0_14default_configENS1_27scan_by_key_config_selectorIiiEEZZNS1_16scan_by_key_implILNS1_25lookback_scan_determinismE0ELb1ES3_N6thrust23THRUST_200600_302600_NS6detail15normal_iteratorINS9_10device_ptrIiEEEESE_SE_iNS9_4plusIvEENS9_8equal_toIiEEiEE10hipError_tPvRmT2_T3_T4_T5_mT6_T7_P12ihipStream_tbENKUlT_T0_E_clISt17integral_constantIbLb1EESY_IbLb0EEEEDaSU_SV_EUlSU_E_NS1_11comp_targetILNS1_3genE4ELNS1_11target_archE910ELNS1_3gpuE8ELNS1_3repE0EEENS1_30default_config_static_selectorELNS0_4arch9wavefront6targetE0EEEvT1_.has_indirect_call, 0
	.section	.AMDGPU.csdata,"",@progbits
; Kernel info:
; codeLenInByte = 0
; TotalNumSgprs: 0
; NumVgprs: 0
; ScratchSize: 0
; MemoryBound: 0
; FloatMode: 240
; IeeeMode: 1
; LDSByteSize: 0 bytes/workgroup (compile time only)
; SGPRBlocks: 0
; VGPRBlocks: 0
; NumSGPRsForWavesPerEU: 1
; NumVGPRsForWavesPerEU: 1
; NamedBarCnt: 0
; Occupancy: 16
; WaveLimiterHint : 0
; COMPUTE_PGM_RSRC2:SCRATCH_EN: 0
; COMPUTE_PGM_RSRC2:USER_SGPR: 2
; COMPUTE_PGM_RSRC2:TRAP_HANDLER: 0
; COMPUTE_PGM_RSRC2:TGID_X_EN: 1
; COMPUTE_PGM_RSRC2:TGID_Y_EN: 0
; COMPUTE_PGM_RSRC2:TGID_Z_EN: 0
; COMPUTE_PGM_RSRC2:TIDIG_COMP_CNT: 0
	.section	.text._ZN7rocprim17ROCPRIM_400000_NS6detail17trampoline_kernelINS0_14default_configENS1_27scan_by_key_config_selectorIiiEEZZNS1_16scan_by_key_implILNS1_25lookback_scan_determinismE0ELb1ES3_N6thrust23THRUST_200600_302600_NS6detail15normal_iteratorINS9_10device_ptrIiEEEESE_SE_iNS9_4plusIvEENS9_8equal_toIiEEiEE10hipError_tPvRmT2_T3_T4_T5_mT6_T7_P12ihipStream_tbENKUlT_T0_E_clISt17integral_constantIbLb1EESY_IbLb0EEEEDaSU_SV_EUlSU_E_NS1_11comp_targetILNS1_3genE3ELNS1_11target_archE908ELNS1_3gpuE7ELNS1_3repE0EEENS1_30default_config_static_selectorELNS0_4arch9wavefront6targetE0EEEvT1_,"axG",@progbits,_ZN7rocprim17ROCPRIM_400000_NS6detail17trampoline_kernelINS0_14default_configENS1_27scan_by_key_config_selectorIiiEEZZNS1_16scan_by_key_implILNS1_25lookback_scan_determinismE0ELb1ES3_N6thrust23THRUST_200600_302600_NS6detail15normal_iteratorINS9_10device_ptrIiEEEESE_SE_iNS9_4plusIvEENS9_8equal_toIiEEiEE10hipError_tPvRmT2_T3_T4_T5_mT6_T7_P12ihipStream_tbENKUlT_T0_E_clISt17integral_constantIbLb1EESY_IbLb0EEEEDaSU_SV_EUlSU_E_NS1_11comp_targetILNS1_3genE3ELNS1_11target_archE908ELNS1_3gpuE7ELNS1_3repE0EEENS1_30default_config_static_selectorELNS0_4arch9wavefront6targetE0EEEvT1_,comdat
	.protected	_ZN7rocprim17ROCPRIM_400000_NS6detail17trampoline_kernelINS0_14default_configENS1_27scan_by_key_config_selectorIiiEEZZNS1_16scan_by_key_implILNS1_25lookback_scan_determinismE0ELb1ES3_N6thrust23THRUST_200600_302600_NS6detail15normal_iteratorINS9_10device_ptrIiEEEESE_SE_iNS9_4plusIvEENS9_8equal_toIiEEiEE10hipError_tPvRmT2_T3_T4_T5_mT6_T7_P12ihipStream_tbENKUlT_T0_E_clISt17integral_constantIbLb1EESY_IbLb0EEEEDaSU_SV_EUlSU_E_NS1_11comp_targetILNS1_3genE3ELNS1_11target_archE908ELNS1_3gpuE7ELNS1_3repE0EEENS1_30default_config_static_selectorELNS0_4arch9wavefront6targetE0EEEvT1_ ; -- Begin function _ZN7rocprim17ROCPRIM_400000_NS6detail17trampoline_kernelINS0_14default_configENS1_27scan_by_key_config_selectorIiiEEZZNS1_16scan_by_key_implILNS1_25lookback_scan_determinismE0ELb1ES3_N6thrust23THRUST_200600_302600_NS6detail15normal_iteratorINS9_10device_ptrIiEEEESE_SE_iNS9_4plusIvEENS9_8equal_toIiEEiEE10hipError_tPvRmT2_T3_T4_T5_mT6_T7_P12ihipStream_tbENKUlT_T0_E_clISt17integral_constantIbLb1EESY_IbLb0EEEEDaSU_SV_EUlSU_E_NS1_11comp_targetILNS1_3genE3ELNS1_11target_archE908ELNS1_3gpuE7ELNS1_3repE0EEENS1_30default_config_static_selectorELNS0_4arch9wavefront6targetE0EEEvT1_
	.globl	_ZN7rocprim17ROCPRIM_400000_NS6detail17trampoline_kernelINS0_14default_configENS1_27scan_by_key_config_selectorIiiEEZZNS1_16scan_by_key_implILNS1_25lookback_scan_determinismE0ELb1ES3_N6thrust23THRUST_200600_302600_NS6detail15normal_iteratorINS9_10device_ptrIiEEEESE_SE_iNS9_4plusIvEENS9_8equal_toIiEEiEE10hipError_tPvRmT2_T3_T4_T5_mT6_T7_P12ihipStream_tbENKUlT_T0_E_clISt17integral_constantIbLb1EESY_IbLb0EEEEDaSU_SV_EUlSU_E_NS1_11comp_targetILNS1_3genE3ELNS1_11target_archE908ELNS1_3gpuE7ELNS1_3repE0EEENS1_30default_config_static_selectorELNS0_4arch9wavefront6targetE0EEEvT1_
	.p2align	8
	.type	_ZN7rocprim17ROCPRIM_400000_NS6detail17trampoline_kernelINS0_14default_configENS1_27scan_by_key_config_selectorIiiEEZZNS1_16scan_by_key_implILNS1_25lookback_scan_determinismE0ELb1ES3_N6thrust23THRUST_200600_302600_NS6detail15normal_iteratorINS9_10device_ptrIiEEEESE_SE_iNS9_4plusIvEENS9_8equal_toIiEEiEE10hipError_tPvRmT2_T3_T4_T5_mT6_T7_P12ihipStream_tbENKUlT_T0_E_clISt17integral_constantIbLb1EESY_IbLb0EEEEDaSU_SV_EUlSU_E_NS1_11comp_targetILNS1_3genE3ELNS1_11target_archE908ELNS1_3gpuE7ELNS1_3repE0EEENS1_30default_config_static_selectorELNS0_4arch9wavefront6targetE0EEEvT1_,@function
_ZN7rocprim17ROCPRIM_400000_NS6detail17trampoline_kernelINS0_14default_configENS1_27scan_by_key_config_selectorIiiEEZZNS1_16scan_by_key_implILNS1_25lookback_scan_determinismE0ELb1ES3_N6thrust23THRUST_200600_302600_NS6detail15normal_iteratorINS9_10device_ptrIiEEEESE_SE_iNS9_4plusIvEENS9_8equal_toIiEEiEE10hipError_tPvRmT2_T3_T4_T5_mT6_T7_P12ihipStream_tbENKUlT_T0_E_clISt17integral_constantIbLb1EESY_IbLb0EEEEDaSU_SV_EUlSU_E_NS1_11comp_targetILNS1_3genE3ELNS1_11target_archE908ELNS1_3gpuE7ELNS1_3repE0EEENS1_30default_config_static_selectorELNS0_4arch9wavefront6targetE0EEEvT1_: ; @_ZN7rocprim17ROCPRIM_400000_NS6detail17trampoline_kernelINS0_14default_configENS1_27scan_by_key_config_selectorIiiEEZZNS1_16scan_by_key_implILNS1_25lookback_scan_determinismE0ELb1ES3_N6thrust23THRUST_200600_302600_NS6detail15normal_iteratorINS9_10device_ptrIiEEEESE_SE_iNS9_4plusIvEENS9_8equal_toIiEEiEE10hipError_tPvRmT2_T3_T4_T5_mT6_T7_P12ihipStream_tbENKUlT_T0_E_clISt17integral_constantIbLb1EESY_IbLb0EEEEDaSU_SV_EUlSU_E_NS1_11comp_targetILNS1_3genE3ELNS1_11target_archE908ELNS1_3gpuE7ELNS1_3repE0EEENS1_30default_config_static_selectorELNS0_4arch9wavefront6targetE0EEEvT1_
; %bb.0:
	.section	.rodata,"a",@progbits
	.p2align	6, 0x0
	.amdhsa_kernel _ZN7rocprim17ROCPRIM_400000_NS6detail17trampoline_kernelINS0_14default_configENS1_27scan_by_key_config_selectorIiiEEZZNS1_16scan_by_key_implILNS1_25lookback_scan_determinismE0ELb1ES3_N6thrust23THRUST_200600_302600_NS6detail15normal_iteratorINS9_10device_ptrIiEEEESE_SE_iNS9_4plusIvEENS9_8equal_toIiEEiEE10hipError_tPvRmT2_T3_T4_T5_mT6_T7_P12ihipStream_tbENKUlT_T0_E_clISt17integral_constantIbLb1EESY_IbLb0EEEEDaSU_SV_EUlSU_E_NS1_11comp_targetILNS1_3genE3ELNS1_11target_archE908ELNS1_3gpuE7ELNS1_3repE0EEENS1_30default_config_static_selectorELNS0_4arch9wavefront6targetE0EEEvT1_
		.amdhsa_group_segment_fixed_size 0
		.amdhsa_private_segment_fixed_size 0
		.amdhsa_kernarg_size 112
		.amdhsa_user_sgpr_count 2
		.amdhsa_user_sgpr_dispatch_ptr 0
		.amdhsa_user_sgpr_queue_ptr 0
		.amdhsa_user_sgpr_kernarg_segment_ptr 1
		.amdhsa_user_sgpr_dispatch_id 0
		.amdhsa_user_sgpr_kernarg_preload_length 0
		.amdhsa_user_sgpr_kernarg_preload_offset 0
		.amdhsa_user_sgpr_private_segment_size 0
		.amdhsa_wavefront_size32 1
		.amdhsa_uses_dynamic_stack 0
		.amdhsa_enable_private_segment 0
		.amdhsa_system_sgpr_workgroup_id_x 1
		.amdhsa_system_sgpr_workgroup_id_y 0
		.amdhsa_system_sgpr_workgroup_id_z 0
		.amdhsa_system_sgpr_workgroup_info 0
		.amdhsa_system_vgpr_workitem_id 0
		.amdhsa_next_free_vgpr 1
		.amdhsa_next_free_sgpr 1
		.amdhsa_named_barrier_count 0
		.amdhsa_reserve_vcc 0
		.amdhsa_float_round_mode_32 0
		.amdhsa_float_round_mode_16_64 0
		.amdhsa_float_denorm_mode_32 3
		.amdhsa_float_denorm_mode_16_64 3
		.amdhsa_fp16_overflow 0
		.amdhsa_memory_ordered 1
		.amdhsa_forward_progress 1
		.amdhsa_inst_pref_size 0
		.amdhsa_round_robin_scheduling 0
		.amdhsa_exception_fp_ieee_invalid_op 0
		.amdhsa_exception_fp_denorm_src 0
		.amdhsa_exception_fp_ieee_div_zero 0
		.amdhsa_exception_fp_ieee_overflow 0
		.amdhsa_exception_fp_ieee_underflow 0
		.amdhsa_exception_fp_ieee_inexact 0
		.amdhsa_exception_int_div_zero 0
	.end_amdhsa_kernel
	.section	.text._ZN7rocprim17ROCPRIM_400000_NS6detail17trampoline_kernelINS0_14default_configENS1_27scan_by_key_config_selectorIiiEEZZNS1_16scan_by_key_implILNS1_25lookback_scan_determinismE0ELb1ES3_N6thrust23THRUST_200600_302600_NS6detail15normal_iteratorINS9_10device_ptrIiEEEESE_SE_iNS9_4plusIvEENS9_8equal_toIiEEiEE10hipError_tPvRmT2_T3_T4_T5_mT6_T7_P12ihipStream_tbENKUlT_T0_E_clISt17integral_constantIbLb1EESY_IbLb0EEEEDaSU_SV_EUlSU_E_NS1_11comp_targetILNS1_3genE3ELNS1_11target_archE908ELNS1_3gpuE7ELNS1_3repE0EEENS1_30default_config_static_selectorELNS0_4arch9wavefront6targetE0EEEvT1_,"axG",@progbits,_ZN7rocprim17ROCPRIM_400000_NS6detail17trampoline_kernelINS0_14default_configENS1_27scan_by_key_config_selectorIiiEEZZNS1_16scan_by_key_implILNS1_25lookback_scan_determinismE0ELb1ES3_N6thrust23THRUST_200600_302600_NS6detail15normal_iteratorINS9_10device_ptrIiEEEESE_SE_iNS9_4plusIvEENS9_8equal_toIiEEiEE10hipError_tPvRmT2_T3_T4_T5_mT6_T7_P12ihipStream_tbENKUlT_T0_E_clISt17integral_constantIbLb1EESY_IbLb0EEEEDaSU_SV_EUlSU_E_NS1_11comp_targetILNS1_3genE3ELNS1_11target_archE908ELNS1_3gpuE7ELNS1_3repE0EEENS1_30default_config_static_selectorELNS0_4arch9wavefront6targetE0EEEvT1_,comdat
.Lfunc_end555:
	.size	_ZN7rocprim17ROCPRIM_400000_NS6detail17trampoline_kernelINS0_14default_configENS1_27scan_by_key_config_selectorIiiEEZZNS1_16scan_by_key_implILNS1_25lookback_scan_determinismE0ELb1ES3_N6thrust23THRUST_200600_302600_NS6detail15normal_iteratorINS9_10device_ptrIiEEEESE_SE_iNS9_4plusIvEENS9_8equal_toIiEEiEE10hipError_tPvRmT2_T3_T4_T5_mT6_T7_P12ihipStream_tbENKUlT_T0_E_clISt17integral_constantIbLb1EESY_IbLb0EEEEDaSU_SV_EUlSU_E_NS1_11comp_targetILNS1_3genE3ELNS1_11target_archE908ELNS1_3gpuE7ELNS1_3repE0EEENS1_30default_config_static_selectorELNS0_4arch9wavefront6targetE0EEEvT1_, .Lfunc_end555-_ZN7rocprim17ROCPRIM_400000_NS6detail17trampoline_kernelINS0_14default_configENS1_27scan_by_key_config_selectorIiiEEZZNS1_16scan_by_key_implILNS1_25lookback_scan_determinismE0ELb1ES3_N6thrust23THRUST_200600_302600_NS6detail15normal_iteratorINS9_10device_ptrIiEEEESE_SE_iNS9_4plusIvEENS9_8equal_toIiEEiEE10hipError_tPvRmT2_T3_T4_T5_mT6_T7_P12ihipStream_tbENKUlT_T0_E_clISt17integral_constantIbLb1EESY_IbLb0EEEEDaSU_SV_EUlSU_E_NS1_11comp_targetILNS1_3genE3ELNS1_11target_archE908ELNS1_3gpuE7ELNS1_3repE0EEENS1_30default_config_static_selectorELNS0_4arch9wavefront6targetE0EEEvT1_
                                        ; -- End function
	.set _ZN7rocprim17ROCPRIM_400000_NS6detail17trampoline_kernelINS0_14default_configENS1_27scan_by_key_config_selectorIiiEEZZNS1_16scan_by_key_implILNS1_25lookback_scan_determinismE0ELb1ES3_N6thrust23THRUST_200600_302600_NS6detail15normal_iteratorINS9_10device_ptrIiEEEESE_SE_iNS9_4plusIvEENS9_8equal_toIiEEiEE10hipError_tPvRmT2_T3_T4_T5_mT6_T7_P12ihipStream_tbENKUlT_T0_E_clISt17integral_constantIbLb1EESY_IbLb0EEEEDaSU_SV_EUlSU_E_NS1_11comp_targetILNS1_3genE3ELNS1_11target_archE908ELNS1_3gpuE7ELNS1_3repE0EEENS1_30default_config_static_selectorELNS0_4arch9wavefront6targetE0EEEvT1_.num_vgpr, 0
	.set _ZN7rocprim17ROCPRIM_400000_NS6detail17trampoline_kernelINS0_14default_configENS1_27scan_by_key_config_selectorIiiEEZZNS1_16scan_by_key_implILNS1_25lookback_scan_determinismE0ELb1ES3_N6thrust23THRUST_200600_302600_NS6detail15normal_iteratorINS9_10device_ptrIiEEEESE_SE_iNS9_4plusIvEENS9_8equal_toIiEEiEE10hipError_tPvRmT2_T3_T4_T5_mT6_T7_P12ihipStream_tbENKUlT_T0_E_clISt17integral_constantIbLb1EESY_IbLb0EEEEDaSU_SV_EUlSU_E_NS1_11comp_targetILNS1_3genE3ELNS1_11target_archE908ELNS1_3gpuE7ELNS1_3repE0EEENS1_30default_config_static_selectorELNS0_4arch9wavefront6targetE0EEEvT1_.num_agpr, 0
	.set _ZN7rocprim17ROCPRIM_400000_NS6detail17trampoline_kernelINS0_14default_configENS1_27scan_by_key_config_selectorIiiEEZZNS1_16scan_by_key_implILNS1_25lookback_scan_determinismE0ELb1ES3_N6thrust23THRUST_200600_302600_NS6detail15normal_iteratorINS9_10device_ptrIiEEEESE_SE_iNS9_4plusIvEENS9_8equal_toIiEEiEE10hipError_tPvRmT2_T3_T4_T5_mT6_T7_P12ihipStream_tbENKUlT_T0_E_clISt17integral_constantIbLb1EESY_IbLb0EEEEDaSU_SV_EUlSU_E_NS1_11comp_targetILNS1_3genE3ELNS1_11target_archE908ELNS1_3gpuE7ELNS1_3repE0EEENS1_30default_config_static_selectorELNS0_4arch9wavefront6targetE0EEEvT1_.numbered_sgpr, 0
	.set _ZN7rocprim17ROCPRIM_400000_NS6detail17trampoline_kernelINS0_14default_configENS1_27scan_by_key_config_selectorIiiEEZZNS1_16scan_by_key_implILNS1_25lookback_scan_determinismE0ELb1ES3_N6thrust23THRUST_200600_302600_NS6detail15normal_iteratorINS9_10device_ptrIiEEEESE_SE_iNS9_4plusIvEENS9_8equal_toIiEEiEE10hipError_tPvRmT2_T3_T4_T5_mT6_T7_P12ihipStream_tbENKUlT_T0_E_clISt17integral_constantIbLb1EESY_IbLb0EEEEDaSU_SV_EUlSU_E_NS1_11comp_targetILNS1_3genE3ELNS1_11target_archE908ELNS1_3gpuE7ELNS1_3repE0EEENS1_30default_config_static_selectorELNS0_4arch9wavefront6targetE0EEEvT1_.num_named_barrier, 0
	.set _ZN7rocprim17ROCPRIM_400000_NS6detail17trampoline_kernelINS0_14default_configENS1_27scan_by_key_config_selectorIiiEEZZNS1_16scan_by_key_implILNS1_25lookback_scan_determinismE0ELb1ES3_N6thrust23THRUST_200600_302600_NS6detail15normal_iteratorINS9_10device_ptrIiEEEESE_SE_iNS9_4plusIvEENS9_8equal_toIiEEiEE10hipError_tPvRmT2_T3_T4_T5_mT6_T7_P12ihipStream_tbENKUlT_T0_E_clISt17integral_constantIbLb1EESY_IbLb0EEEEDaSU_SV_EUlSU_E_NS1_11comp_targetILNS1_3genE3ELNS1_11target_archE908ELNS1_3gpuE7ELNS1_3repE0EEENS1_30default_config_static_selectorELNS0_4arch9wavefront6targetE0EEEvT1_.private_seg_size, 0
	.set _ZN7rocprim17ROCPRIM_400000_NS6detail17trampoline_kernelINS0_14default_configENS1_27scan_by_key_config_selectorIiiEEZZNS1_16scan_by_key_implILNS1_25lookback_scan_determinismE0ELb1ES3_N6thrust23THRUST_200600_302600_NS6detail15normal_iteratorINS9_10device_ptrIiEEEESE_SE_iNS9_4plusIvEENS9_8equal_toIiEEiEE10hipError_tPvRmT2_T3_T4_T5_mT6_T7_P12ihipStream_tbENKUlT_T0_E_clISt17integral_constantIbLb1EESY_IbLb0EEEEDaSU_SV_EUlSU_E_NS1_11comp_targetILNS1_3genE3ELNS1_11target_archE908ELNS1_3gpuE7ELNS1_3repE0EEENS1_30default_config_static_selectorELNS0_4arch9wavefront6targetE0EEEvT1_.uses_vcc, 0
	.set _ZN7rocprim17ROCPRIM_400000_NS6detail17trampoline_kernelINS0_14default_configENS1_27scan_by_key_config_selectorIiiEEZZNS1_16scan_by_key_implILNS1_25lookback_scan_determinismE0ELb1ES3_N6thrust23THRUST_200600_302600_NS6detail15normal_iteratorINS9_10device_ptrIiEEEESE_SE_iNS9_4plusIvEENS9_8equal_toIiEEiEE10hipError_tPvRmT2_T3_T4_T5_mT6_T7_P12ihipStream_tbENKUlT_T0_E_clISt17integral_constantIbLb1EESY_IbLb0EEEEDaSU_SV_EUlSU_E_NS1_11comp_targetILNS1_3genE3ELNS1_11target_archE908ELNS1_3gpuE7ELNS1_3repE0EEENS1_30default_config_static_selectorELNS0_4arch9wavefront6targetE0EEEvT1_.uses_flat_scratch, 0
	.set _ZN7rocprim17ROCPRIM_400000_NS6detail17trampoline_kernelINS0_14default_configENS1_27scan_by_key_config_selectorIiiEEZZNS1_16scan_by_key_implILNS1_25lookback_scan_determinismE0ELb1ES3_N6thrust23THRUST_200600_302600_NS6detail15normal_iteratorINS9_10device_ptrIiEEEESE_SE_iNS9_4plusIvEENS9_8equal_toIiEEiEE10hipError_tPvRmT2_T3_T4_T5_mT6_T7_P12ihipStream_tbENKUlT_T0_E_clISt17integral_constantIbLb1EESY_IbLb0EEEEDaSU_SV_EUlSU_E_NS1_11comp_targetILNS1_3genE3ELNS1_11target_archE908ELNS1_3gpuE7ELNS1_3repE0EEENS1_30default_config_static_selectorELNS0_4arch9wavefront6targetE0EEEvT1_.has_dyn_sized_stack, 0
	.set _ZN7rocprim17ROCPRIM_400000_NS6detail17trampoline_kernelINS0_14default_configENS1_27scan_by_key_config_selectorIiiEEZZNS1_16scan_by_key_implILNS1_25lookback_scan_determinismE0ELb1ES3_N6thrust23THRUST_200600_302600_NS6detail15normal_iteratorINS9_10device_ptrIiEEEESE_SE_iNS9_4plusIvEENS9_8equal_toIiEEiEE10hipError_tPvRmT2_T3_T4_T5_mT6_T7_P12ihipStream_tbENKUlT_T0_E_clISt17integral_constantIbLb1EESY_IbLb0EEEEDaSU_SV_EUlSU_E_NS1_11comp_targetILNS1_3genE3ELNS1_11target_archE908ELNS1_3gpuE7ELNS1_3repE0EEENS1_30default_config_static_selectorELNS0_4arch9wavefront6targetE0EEEvT1_.has_recursion, 0
	.set _ZN7rocprim17ROCPRIM_400000_NS6detail17trampoline_kernelINS0_14default_configENS1_27scan_by_key_config_selectorIiiEEZZNS1_16scan_by_key_implILNS1_25lookback_scan_determinismE0ELb1ES3_N6thrust23THRUST_200600_302600_NS6detail15normal_iteratorINS9_10device_ptrIiEEEESE_SE_iNS9_4plusIvEENS9_8equal_toIiEEiEE10hipError_tPvRmT2_T3_T4_T5_mT6_T7_P12ihipStream_tbENKUlT_T0_E_clISt17integral_constantIbLb1EESY_IbLb0EEEEDaSU_SV_EUlSU_E_NS1_11comp_targetILNS1_3genE3ELNS1_11target_archE908ELNS1_3gpuE7ELNS1_3repE0EEENS1_30default_config_static_selectorELNS0_4arch9wavefront6targetE0EEEvT1_.has_indirect_call, 0
	.section	.AMDGPU.csdata,"",@progbits
; Kernel info:
; codeLenInByte = 0
; TotalNumSgprs: 0
; NumVgprs: 0
; ScratchSize: 0
; MemoryBound: 0
; FloatMode: 240
; IeeeMode: 1
; LDSByteSize: 0 bytes/workgroup (compile time only)
; SGPRBlocks: 0
; VGPRBlocks: 0
; NumSGPRsForWavesPerEU: 1
; NumVGPRsForWavesPerEU: 1
; NamedBarCnt: 0
; Occupancy: 16
; WaveLimiterHint : 0
; COMPUTE_PGM_RSRC2:SCRATCH_EN: 0
; COMPUTE_PGM_RSRC2:USER_SGPR: 2
; COMPUTE_PGM_RSRC2:TRAP_HANDLER: 0
; COMPUTE_PGM_RSRC2:TGID_X_EN: 1
; COMPUTE_PGM_RSRC2:TGID_Y_EN: 0
; COMPUTE_PGM_RSRC2:TGID_Z_EN: 0
; COMPUTE_PGM_RSRC2:TIDIG_COMP_CNT: 0
	.section	.text._ZN7rocprim17ROCPRIM_400000_NS6detail17trampoline_kernelINS0_14default_configENS1_27scan_by_key_config_selectorIiiEEZZNS1_16scan_by_key_implILNS1_25lookback_scan_determinismE0ELb1ES3_N6thrust23THRUST_200600_302600_NS6detail15normal_iteratorINS9_10device_ptrIiEEEESE_SE_iNS9_4plusIvEENS9_8equal_toIiEEiEE10hipError_tPvRmT2_T3_T4_T5_mT6_T7_P12ihipStream_tbENKUlT_T0_E_clISt17integral_constantIbLb1EESY_IbLb0EEEEDaSU_SV_EUlSU_E_NS1_11comp_targetILNS1_3genE2ELNS1_11target_archE906ELNS1_3gpuE6ELNS1_3repE0EEENS1_30default_config_static_selectorELNS0_4arch9wavefront6targetE0EEEvT1_,"axG",@progbits,_ZN7rocprim17ROCPRIM_400000_NS6detail17trampoline_kernelINS0_14default_configENS1_27scan_by_key_config_selectorIiiEEZZNS1_16scan_by_key_implILNS1_25lookback_scan_determinismE0ELb1ES3_N6thrust23THRUST_200600_302600_NS6detail15normal_iteratorINS9_10device_ptrIiEEEESE_SE_iNS9_4plusIvEENS9_8equal_toIiEEiEE10hipError_tPvRmT2_T3_T4_T5_mT6_T7_P12ihipStream_tbENKUlT_T0_E_clISt17integral_constantIbLb1EESY_IbLb0EEEEDaSU_SV_EUlSU_E_NS1_11comp_targetILNS1_3genE2ELNS1_11target_archE906ELNS1_3gpuE6ELNS1_3repE0EEENS1_30default_config_static_selectorELNS0_4arch9wavefront6targetE0EEEvT1_,comdat
	.protected	_ZN7rocprim17ROCPRIM_400000_NS6detail17trampoline_kernelINS0_14default_configENS1_27scan_by_key_config_selectorIiiEEZZNS1_16scan_by_key_implILNS1_25lookback_scan_determinismE0ELb1ES3_N6thrust23THRUST_200600_302600_NS6detail15normal_iteratorINS9_10device_ptrIiEEEESE_SE_iNS9_4plusIvEENS9_8equal_toIiEEiEE10hipError_tPvRmT2_T3_T4_T5_mT6_T7_P12ihipStream_tbENKUlT_T0_E_clISt17integral_constantIbLb1EESY_IbLb0EEEEDaSU_SV_EUlSU_E_NS1_11comp_targetILNS1_3genE2ELNS1_11target_archE906ELNS1_3gpuE6ELNS1_3repE0EEENS1_30default_config_static_selectorELNS0_4arch9wavefront6targetE0EEEvT1_ ; -- Begin function _ZN7rocprim17ROCPRIM_400000_NS6detail17trampoline_kernelINS0_14default_configENS1_27scan_by_key_config_selectorIiiEEZZNS1_16scan_by_key_implILNS1_25lookback_scan_determinismE0ELb1ES3_N6thrust23THRUST_200600_302600_NS6detail15normal_iteratorINS9_10device_ptrIiEEEESE_SE_iNS9_4plusIvEENS9_8equal_toIiEEiEE10hipError_tPvRmT2_T3_T4_T5_mT6_T7_P12ihipStream_tbENKUlT_T0_E_clISt17integral_constantIbLb1EESY_IbLb0EEEEDaSU_SV_EUlSU_E_NS1_11comp_targetILNS1_3genE2ELNS1_11target_archE906ELNS1_3gpuE6ELNS1_3repE0EEENS1_30default_config_static_selectorELNS0_4arch9wavefront6targetE0EEEvT1_
	.globl	_ZN7rocprim17ROCPRIM_400000_NS6detail17trampoline_kernelINS0_14default_configENS1_27scan_by_key_config_selectorIiiEEZZNS1_16scan_by_key_implILNS1_25lookback_scan_determinismE0ELb1ES3_N6thrust23THRUST_200600_302600_NS6detail15normal_iteratorINS9_10device_ptrIiEEEESE_SE_iNS9_4plusIvEENS9_8equal_toIiEEiEE10hipError_tPvRmT2_T3_T4_T5_mT6_T7_P12ihipStream_tbENKUlT_T0_E_clISt17integral_constantIbLb1EESY_IbLb0EEEEDaSU_SV_EUlSU_E_NS1_11comp_targetILNS1_3genE2ELNS1_11target_archE906ELNS1_3gpuE6ELNS1_3repE0EEENS1_30default_config_static_selectorELNS0_4arch9wavefront6targetE0EEEvT1_
	.p2align	8
	.type	_ZN7rocprim17ROCPRIM_400000_NS6detail17trampoline_kernelINS0_14default_configENS1_27scan_by_key_config_selectorIiiEEZZNS1_16scan_by_key_implILNS1_25lookback_scan_determinismE0ELb1ES3_N6thrust23THRUST_200600_302600_NS6detail15normal_iteratorINS9_10device_ptrIiEEEESE_SE_iNS9_4plusIvEENS9_8equal_toIiEEiEE10hipError_tPvRmT2_T3_T4_T5_mT6_T7_P12ihipStream_tbENKUlT_T0_E_clISt17integral_constantIbLb1EESY_IbLb0EEEEDaSU_SV_EUlSU_E_NS1_11comp_targetILNS1_3genE2ELNS1_11target_archE906ELNS1_3gpuE6ELNS1_3repE0EEENS1_30default_config_static_selectorELNS0_4arch9wavefront6targetE0EEEvT1_,@function
_ZN7rocprim17ROCPRIM_400000_NS6detail17trampoline_kernelINS0_14default_configENS1_27scan_by_key_config_selectorIiiEEZZNS1_16scan_by_key_implILNS1_25lookback_scan_determinismE0ELb1ES3_N6thrust23THRUST_200600_302600_NS6detail15normal_iteratorINS9_10device_ptrIiEEEESE_SE_iNS9_4plusIvEENS9_8equal_toIiEEiEE10hipError_tPvRmT2_T3_T4_T5_mT6_T7_P12ihipStream_tbENKUlT_T0_E_clISt17integral_constantIbLb1EESY_IbLb0EEEEDaSU_SV_EUlSU_E_NS1_11comp_targetILNS1_3genE2ELNS1_11target_archE906ELNS1_3gpuE6ELNS1_3repE0EEENS1_30default_config_static_selectorELNS0_4arch9wavefront6targetE0EEEvT1_: ; @_ZN7rocprim17ROCPRIM_400000_NS6detail17trampoline_kernelINS0_14default_configENS1_27scan_by_key_config_selectorIiiEEZZNS1_16scan_by_key_implILNS1_25lookback_scan_determinismE0ELb1ES3_N6thrust23THRUST_200600_302600_NS6detail15normal_iteratorINS9_10device_ptrIiEEEESE_SE_iNS9_4plusIvEENS9_8equal_toIiEEiEE10hipError_tPvRmT2_T3_T4_T5_mT6_T7_P12ihipStream_tbENKUlT_T0_E_clISt17integral_constantIbLb1EESY_IbLb0EEEEDaSU_SV_EUlSU_E_NS1_11comp_targetILNS1_3genE2ELNS1_11target_archE906ELNS1_3gpuE6ELNS1_3repE0EEENS1_30default_config_static_selectorELNS0_4arch9wavefront6targetE0EEEvT1_
; %bb.0:
	.section	.rodata,"a",@progbits
	.p2align	6, 0x0
	.amdhsa_kernel _ZN7rocprim17ROCPRIM_400000_NS6detail17trampoline_kernelINS0_14default_configENS1_27scan_by_key_config_selectorIiiEEZZNS1_16scan_by_key_implILNS1_25lookback_scan_determinismE0ELb1ES3_N6thrust23THRUST_200600_302600_NS6detail15normal_iteratorINS9_10device_ptrIiEEEESE_SE_iNS9_4plusIvEENS9_8equal_toIiEEiEE10hipError_tPvRmT2_T3_T4_T5_mT6_T7_P12ihipStream_tbENKUlT_T0_E_clISt17integral_constantIbLb1EESY_IbLb0EEEEDaSU_SV_EUlSU_E_NS1_11comp_targetILNS1_3genE2ELNS1_11target_archE906ELNS1_3gpuE6ELNS1_3repE0EEENS1_30default_config_static_selectorELNS0_4arch9wavefront6targetE0EEEvT1_
		.amdhsa_group_segment_fixed_size 0
		.amdhsa_private_segment_fixed_size 0
		.amdhsa_kernarg_size 112
		.amdhsa_user_sgpr_count 2
		.amdhsa_user_sgpr_dispatch_ptr 0
		.amdhsa_user_sgpr_queue_ptr 0
		.amdhsa_user_sgpr_kernarg_segment_ptr 1
		.amdhsa_user_sgpr_dispatch_id 0
		.amdhsa_user_sgpr_kernarg_preload_length 0
		.amdhsa_user_sgpr_kernarg_preload_offset 0
		.amdhsa_user_sgpr_private_segment_size 0
		.amdhsa_wavefront_size32 1
		.amdhsa_uses_dynamic_stack 0
		.amdhsa_enable_private_segment 0
		.amdhsa_system_sgpr_workgroup_id_x 1
		.amdhsa_system_sgpr_workgroup_id_y 0
		.amdhsa_system_sgpr_workgroup_id_z 0
		.amdhsa_system_sgpr_workgroup_info 0
		.amdhsa_system_vgpr_workitem_id 0
		.amdhsa_next_free_vgpr 1
		.amdhsa_next_free_sgpr 1
		.amdhsa_named_barrier_count 0
		.amdhsa_reserve_vcc 0
		.amdhsa_float_round_mode_32 0
		.amdhsa_float_round_mode_16_64 0
		.amdhsa_float_denorm_mode_32 3
		.amdhsa_float_denorm_mode_16_64 3
		.amdhsa_fp16_overflow 0
		.amdhsa_memory_ordered 1
		.amdhsa_forward_progress 1
		.amdhsa_inst_pref_size 0
		.amdhsa_round_robin_scheduling 0
		.amdhsa_exception_fp_ieee_invalid_op 0
		.amdhsa_exception_fp_denorm_src 0
		.amdhsa_exception_fp_ieee_div_zero 0
		.amdhsa_exception_fp_ieee_overflow 0
		.amdhsa_exception_fp_ieee_underflow 0
		.amdhsa_exception_fp_ieee_inexact 0
		.amdhsa_exception_int_div_zero 0
	.end_amdhsa_kernel
	.section	.text._ZN7rocprim17ROCPRIM_400000_NS6detail17trampoline_kernelINS0_14default_configENS1_27scan_by_key_config_selectorIiiEEZZNS1_16scan_by_key_implILNS1_25lookback_scan_determinismE0ELb1ES3_N6thrust23THRUST_200600_302600_NS6detail15normal_iteratorINS9_10device_ptrIiEEEESE_SE_iNS9_4plusIvEENS9_8equal_toIiEEiEE10hipError_tPvRmT2_T3_T4_T5_mT6_T7_P12ihipStream_tbENKUlT_T0_E_clISt17integral_constantIbLb1EESY_IbLb0EEEEDaSU_SV_EUlSU_E_NS1_11comp_targetILNS1_3genE2ELNS1_11target_archE906ELNS1_3gpuE6ELNS1_3repE0EEENS1_30default_config_static_selectorELNS0_4arch9wavefront6targetE0EEEvT1_,"axG",@progbits,_ZN7rocprim17ROCPRIM_400000_NS6detail17trampoline_kernelINS0_14default_configENS1_27scan_by_key_config_selectorIiiEEZZNS1_16scan_by_key_implILNS1_25lookback_scan_determinismE0ELb1ES3_N6thrust23THRUST_200600_302600_NS6detail15normal_iteratorINS9_10device_ptrIiEEEESE_SE_iNS9_4plusIvEENS9_8equal_toIiEEiEE10hipError_tPvRmT2_T3_T4_T5_mT6_T7_P12ihipStream_tbENKUlT_T0_E_clISt17integral_constantIbLb1EESY_IbLb0EEEEDaSU_SV_EUlSU_E_NS1_11comp_targetILNS1_3genE2ELNS1_11target_archE906ELNS1_3gpuE6ELNS1_3repE0EEENS1_30default_config_static_selectorELNS0_4arch9wavefront6targetE0EEEvT1_,comdat
.Lfunc_end556:
	.size	_ZN7rocprim17ROCPRIM_400000_NS6detail17trampoline_kernelINS0_14default_configENS1_27scan_by_key_config_selectorIiiEEZZNS1_16scan_by_key_implILNS1_25lookback_scan_determinismE0ELb1ES3_N6thrust23THRUST_200600_302600_NS6detail15normal_iteratorINS9_10device_ptrIiEEEESE_SE_iNS9_4plusIvEENS9_8equal_toIiEEiEE10hipError_tPvRmT2_T3_T4_T5_mT6_T7_P12ihipStream_tbENKUlT_T0_E_clISt17integral_constantIbLb1EESY_IbLb0EEEEDaSU_SV_EUlSU_E_NS1_11comp_targetILNS1_3genE2ELNS1_11target_archE906ELNS1_3gpuE6ELNS1_3repE0EEENS1_30default_config_static_selectorELNS0_4arch9wavefront6targetE0EEEvT1_, .Lfunc_end556-_ZN7rocprim17ROCPRIM_400000_NS6detail17trampoline_kernelINS0_14default_configENS1_27scan_by_key_config_selectorIiiEEZZNS1_16scan_by_key_implILNS1_25lookback_scan_determinismE0ELb1ES3_N6thrust23THRUST_200600_302600_NS6detail15normal_iteratorINS9_10device_ptrIiEEEESE_SE_iNS9_4plusIvEENS9_8equal_toIiEEiEE10hipError_tPvRmT2_T3_T4_T5_mT6_T7_P12ihipStream_tbENKUlT_T0_E_clISt17integral_constantIbLb1EESY_IbLb0EEEEDaSU_SV_EUlSU_E_NS1_11comp_targetILNS1_3genE2ELNS1_11target_archE906ELNS1_3gpuE6ELNS1_3repE0EEENS1_30default_config_static_selectorELNS0_4arch9wavefront6targetE0EEEvT1_
                                        ; -- End function
	.set _ZN7rocprim17ROCPRIM_400000_NS6detail17trampoline_kernelINS0_14default_configENS1_27scan_by_key_config_selectorIiiEEZZNS1_16scan_by_key_implILNS1_25lookback_scan_determinismE0ELb1ES3_N6thrust23THRUST_200600_302600_NS6detail15normal_iteratorINS9_10device_ptrIiEEEESE_SE_iNS9_4plusIvEENS9_8equal_toIiEEiEE10hipError_tPvRmT2_T3_T4_T5_mT6_T7_P12ihipStream_tbENKUlT_T0_E_clISt17integral_constantIbLb1EESY_IbLb0EEEEDaSU_SV_EUlSU_E_NS1_11comp_targetILNS1_3genE2ELNS1_11target_archE906ELNS1_3gpuE6ELNS1_3repE0EEENS1_30default_config_static_selectorELNS0_4arch9wavefront6targetE0EEEvT1_.num_vgpr, 0
	.set _ZN7rocprim17ROCPRIM_400000_NS6detail17trampoline_kernelINS0_14default_configENS1_27scan_by_key_config_selectorIiiEEZZNS1_16scan_by_key_implILNS1_25lookback_scan_determinismE0ELb1ES3_N6thrust23THRUST_200600_302600_NS6detail15normal_iteratorINS9_10device_ptrIiEEEESE_SE_iNS9_4plusIvEENS9_8equal_toIiEEiEE10hipError_tPvRmT2_T3_T4_T5_mT6_T7_P12ihipStream_tbENKUlT_T0_E_clISt17integral_constantIbLb1EESY_IbLb0EEEEDaSU_SV_EUlSU_E_NS1_11comp_targetILNS1_3genE2ELNS1_11target_archE906ELNS1_3gpuE6ELNS1_3repE0EEENS1_30default_config_static_selectorELNS0_4arch9wavefront6targetE0EEEvT1_.num_agpr, 0
	.set _ZN7rocprim17ROCPRIM_400000_NS6detail17trampoline_kernelINS0_14default_configENS1_27scan_by_key_config_selectorIiiEEZZNS1_16scan_by_key_implILNS1_25lookback_scan_determinismE0ELb1ES3_N6thrust23THRUST_200600_302600_NS6detail15normal_iteratorINS9_10device_ptrIiEEEESE_SE_iNS9_4plusIvEENS9_8equal_toIiEEiEE10hipError_tPvRmT2_T3_T4_T5_mT6_T7_P12ihipStream_tbENKUlT_T0_E_clISt17integral_constantIbLb1EESY_IbLb0EEEEDaSU_SV_EUlSU_E_NS1_11comp_targetILNS1_3genE2ELNS1_11target_archE906ELNS1_3gpuE6ELNS1_3repE0EEENS1_30default_config_static_selectorELNS0_4arch9wavefront6targetE0EEEvT1_.numbered_sgpr, 0
	.set _ZN7rocprim17ROCPRIM_400000_NS6detail17trampoline_kernelINS0_14default_configENS1_27scan_by_key_config_selectorIiiEEZZNS1_16scan_by_key_implILNS1_25lookback_scan_determinismE0ELb1ES3_N6thrust23THRUST_200600_302600_NS6detail15normal_iteratorINS9_10device_ptrIiEEEESE_SE_iNS9_4plusIvEENS9_8equal_toIiEEiEE10hipError_tPvRmT2_T3_T4_T5_mT6_T7_P12ihipStream_tbENKUlT_T0_E_clISt17integral_constantIbLb1EESY_IbLb0EEEEDaSU_SV_EUlSU_E_NS1_11comp_targetILNS1_3genE2ELNS1_11target_archE906ELNS1_3gpuE6ELNS1_3repE0EEENS1_30default_config_static_selectorELNS0_4arch9wavefront6targetE0EEEvT1_.num_named_barrier, 0
	.set _ZN7rocprim17ROCPRIM_400000_NS6detail17trampoline_kernelINS0_14default_configENS1_27scan_by_key_config_selectorIiiEEZZNS1_16scan_by_key_implILNS1_25lookback_scan_determinismE0ELb1ES3_N6thrust23THRUST_200600_302600_NS6detail15normal_iteratorINS9_10device_ptrIiEEEESE_SE_iNS9_4plusIvEENS9_8equal_toIiEEiEE10hipError_tPvRmT2_T3_T4_T5_mT6_T7_P12ihipStream_tbENKUlT_T0_E_clISt17integral_constantIbLb1EESY_IbLb0EEEEDaSU_SV_EUlSU_E_NS1_11comp_targetILNS1_3genE2ELNS1_11target_archE906ELNS1_3gpuE6ELNS1_3repE0EEENS1_30default_config_static_selectorELNS0_4arch9wavefront6targetE0EEEvT1_.private_seg_size, 0
	.set _ZN7rocprim17ROCPRIM_400000_NS6detail17trampoline_kernelINS0_14default_configENS1_27scan_by_key_config_selectorIiiEEZZNS1_16scan_by_key_implILNS1_25lookback_scan_determinismE0ELb1ES3_N6thrust23THRUST_200600_302600_NS6detail15normal_iteratorINS9_10device_ptrIiEEEESE_SE_iNS9_4plusIvEENS9_8equal_toIiEEiEE10hipError_tPvRmT2_T3_T4_T5_mT6_T7_P12ihipStream_tbENKUlT_T0_E_clISt17integral_constantIbLb1EESY_IbLb0EEEEDaSU_SV_EUlSU_E_NS1_11comp_targetILNS1_3genE2ELNS1_11target_archE906ELNS1_3gpuE6ELNS1_3repE0EEENS1_30default_config_static_selectorELNS0_4arch9wavefront6targetE0EEEvT1_.uses_vcc, 0
	.set _ZN7rocprim17ROCPRIM_400000_NS6detail17trampoline_kernelINS0_14default_configENS1_27scan_by_key_config_selectorIiiEEZZNS1_16scan_by_key_implILNS1_25lookback_scan_determinismE0ELb1ES3_N6thrust23THRUST_200600_302600_NS6detail15normal_iteratorINS9_10device_ptrIiEEEESE_SE_iNS9_4plusIvEENS9_8equal_toIiEEiEE10hipError_tPvRmT2_T3_T4_T5_mT6_T7_P12ihipStream_tbENKUlT_T0_E_clISt17integral_constantIbLb1EESY_IbLb0EEEEDaSU_SV_EUlSU_E_NS1_11comp_targetILNS1_3genE2ELNS1_11target_archE906ELNS1_3gpuE6ELNS1_3repE0EEENS1_30default_config_static_selectorELNS0_4arch9wavefront6targetE0EEEvT1_.uses_flat_scratch, 0
	.set _ZN7rocprim17ROCPRIM_400000_NS6detail17trampoline_kernelINS0_14default_configENS1_27scan_by_key_config_selectorIiiEEZZNS1_16scan_by_key_implILNS1_25lookback_scan_determinismE0ELb1ES3_N6thrust23THRUST_200600_302600_NS6detail15normal_iteratorINS9_10device_ptrIiEEEESE_SE_iNS9_4plusIvEENS9_8equal_toIiEEiEE10hipError_tPvRmT2_T3_T4_T5_mT6_T7_P12ihipStream_tbENKUlT_T0_E_clISt17integral_constantIbLb1EESY_IbLb0EEEEDaSU_SV_EUlSU_E_NS1_11comp_targetILNS1_3genE2ELNS1_11target_archE906ELNS1_3gpuE6ELNS1_3repE0EEENS1_30default_config_static_selectorELNS0_4arch9wavefront6targetE0EEEvT1_.has_dyn_sized_stack, 0
	.set _ZN7rocprim17ROCPRIM_400000_NS6detail17trampoline_kernelINS0_14default_configENS1_27scan_by_key_config_selectorIiiEEZZNS1_16scan_by_key_implILNS1_25lookback_scan_determinismE0ELb1ES3_N6thrust23THRUST_200600_302600_NS6detail15normal_iteratorINS9_10device_ptrIiEEEESE_SE_iNS9_4plusIvEENS9_8equal_toIiEEiEE10hipError_tPvRmT2_T3_T4_T5_mT6_T7_P12ihipStream_tbENKUlT_T0_E_clISt17integral_constantIbLb1EESY_IbLb0EEEEDaSU_SV_EUlSU_E_NS1_11comp_targetILNS1_3genE2ELNS1_11target_archE906ELNS1_3gpuE6ELNS1_3repE0EEENS1_30default_config_static_selectorELNS0_4arch9wavefront6targetE0EEEvT1_.has_recursion, 0
	.set _ZN7rocprim17ROCPRIM_400000_NS6detail17trampoline_kernelINS0_14default_configENS1_27scan_by_key_config_selectorIiiEEZZNS1_16scan_by_key_implILNS1_25lookback_scan_determinismE0ELb1ES3_N6thrust23THRUST_200600_302600_NS6detail15normal_iteratorINS9_10device_ptrIiEEEESE_SE_iNS9_4plusIvEENS9_8equal_toIiEEiEE10hipError_tPvRmT2_T3_T4_T5_mT6_T7_P12ihipStream_tbENKUlT_T0_E_clISt17integral_constantIbLb1EESY_IbLb0EEEEDaSU_SV_EUlSU_E_NS1_11comp_targetILNS1_3genE2ELNS1_11target_archE906ELNS1_3gpuE6ELNS1_3repE0EEENS1_30default_config_static_selectorELNS0_4arch9wavefront6targetE0EEEvT1_.has_indirect_call, 0
	.section	.AMDGPU.csdata,"",@progbits
; Kernel info:
; codeLenInByte = 0
; TotalNumSgprs: 0
; NumVgprs: 0
; ScratchSize: 0
; MemoryBound: 0
; FloatMode: 240
; IeeeMode: 1
; LDSByteSize: 0 bytes/workgroup (compile time only)
; SGPRBlocks: 0
; VGPRBlocks: 0
; NumSGPRsForWavesPerEU: 1
; NumVGPRsForWavesPerEU: 1
; NamedBarCnt: 0
; Occupancy: 16
; WaveLimiterHint : 0
; COMPUTE_PGM_RSRC2:SCRATCH_EN: 0
; COMPUTE_PGM_RSRC2:USER_SGPR: 2
; COMPUTE_PGM_RSRC2:TRAP_HANDLER: 0
; COMPUTE_PGM_RSRC2:TGID_X_EN: 1
; COMPUTE_PGM_RSRC2:TGID_Y_EN: 0
; COMPUTE_PGM_RSRC2:TGID_Z_EN: 0
; COMPUTE_PGM_RSRC2:TIDIG_COMP_CNT: 0
	.section	.text._ZN7rocprim17ROCPRIM_400000_NS6detail17trampoline_kernelINS0_14default_configENS1_27scan_by_key_config_selectorIiiEEZZNS1_16scan_by_key_implILNS1_25lookback_scan_determinismE0ELb1ES3_N6thrust23THRUST_200600_302600_NS6detail15normal_iteratorINS9_10device_ptrIiEEEESE_SE_iNS9_4plusIvEENS9_8equal_toIiEEiEE10hipError_tPvRmT2_T3_T4_T5_mT6_T7_P12ihipStream_tbENKUlT_T0_E_clISt17integral_constantIbLb1EESY_IbLb0EEEEDaSU_SV_EUlSU_E_NS1_11comp_targetILNS1_3genE10ELNS1_11target_archE1200ELNS1_3gpuE4ELNS1_3repE0EEENS1_30default_config_static_selectorELNS0_4arch9wavefront6targetE0EEEvT1_,"axG",@progbits,_ZN7rocprim17ROCPRIM_400000_NS6detail17trampoline_kernelINS0_14default_configENS1_27scan_by_key_config_selectorIiiEEZZNS1_16scan_by_key_implILNS1_25lookback_scan_determinismE0ELb1ES3_N6thrust23THRUST_200600_302600_NS6detail15normal_iteratorINS9_10device_ptrIiEEEESE_SE_iNS9_4plusIvEENS9_8equal_toIiEEiEE10hipError_tPvRmT2_T3_T4_T5_mT6_T7_P12ihipStream_tbENKUlT_T0_E_clISt17integral_constantIbLb1EESY_IbLb0EEEEDaSU_SV_EUlSU_E_NS1_11comp_targetILNS1_3genE10ELNS1_11target_archE1200ELNS1_3gpuE4ELNS1_3repE0EEENS1_30default_config_static_selectorELNS0_4arch9wavefront6targetE0EEEvT1_,comdat
	.protected	_ZN7rocprim17ROCPRIM_400000_NS6detail17trampoline_kernelINS0_14default_configENS1_27scan_by_key_config_selectorIiiEEZZNS1_16scan_by_key_implILNS1_25lookback_scan_determinismE0ELb1ES3_N6thrust23THRUST_200600_302600_NS6detail15normal_iteratorINS9_10device_ptrIiEEEESE_SE_iNS9_4plusIvEENS9_8equal_toIiEEiEE10hipError_tPvRmT2_T3_T4_T5_mT6_T7_P12ihipStream_tbENKUlT_T0_E_clISt17integral_constantIbLb1EESY_IbLb0EEEEDaSU_SV_EUlSU_E_NS1_11comp_targetILNS1_3genE10ELNS1_11target_archE1200ELNS1_3gpuE4ELNS1_3repE0EEENS1_30default_config_static_selectorELNS0_4arch9wavefront6targetE0EEEvT1_ ; -- Begin function _ZN7rocprim17ROCPRIM_400000_NS6detail17trampoline_kernelINS0_14default_configENS1_27scan_by_key_config_selectorIiiEEZZNS1_16scan_by_key_implILNS1_25lookback_scan_determinismE0ELb1ES3_N6thrust23THRUST_200600_302600_NS6detail15normal_iteratorINS9_10device_ptrIiEEEESE_SE_iNS9_4plusIvEENS9_8equal_toIiEEiEE10hipError_tPvRmT2_T3_T4_T5_mT6_T7_P12ihipStream_tbENKUlT_T0_E_clISt17integral_constantIbLb1EESY_IbLb0EEEEDaSU_SV_EUlSU_E_NS1_11comp_targetILNS1_3genE10ELNS1_11target_archE1200ELNS1_3gpuE4ELNS1_3repE0EEENS1_30default_config_static_selectorELNS0_4arch9wavefront6targetE0EEEvT1_
	.globl	_ZN7rocprim17ROCPRIM_400000_NS6detail17trampoline_kernelINS0_14default_configENS1_27scan_by_key_config_selectorIiiEEZZNS1_16scan_by_key_implILNS1_25lookback_scan_determinismE0ELb1ES3_N6thrust23THRUST_200600_302600_NS6detail15normal_iteratorINS9_10device_ptrIiEEEESE_SE_iNS9_4plusIvEENS9_8equal_toIiEEiEE10hipError_tPvRmT2_T3_T4_T5_mT6_T7_P12ihipStream_tbENKUlT_T0_E_clISt17integral_constantIbLb1EESY_IbLb0EEEEDaSU_SV_EUlSU_E_NS1_11comp_targetILNS1_3genE10ELNS1_11target_archE1200ELNS1_3gpuE4ELNS1_3repE0EEENS1_30default_config_static_selectorELNS0_4arch9wavefront6targetE0EEEvT1_
	.p2align	8
	.type	_ZN7rocprim17ROCPRIM_400000_NS6detail17trampoline_kernelINS0_14default_configENS1_27scan_by_key_config_selectorIiiEEZZNS1_16scan_by_key_implILNS1_25lookback_scan_determinismE0ELb1ES3_N6thrust23THRUST_200600_302600_NS6detail15normal_iteratorINS9_10device_ptrIiEEEESE_SE_iNS9_4plusIvEENS9_8equal_toIiEEiEE10hipError_tPvRmT2_T3_T4_T5_mT6_T7_P12ihipStream_tbENKUlT_T0_E_clISt17integral_constantIbLb1EESY_IbLb0EEEEDaSU_SV_EUlSU_E_NS1_11comp_targetILNS1_3genE10ELNS1_11target_archE1200ELNS1_3gpuE4ELNS1_3repE0EEENS1_30default_config_static_selectorELNS0_4arch9wavefront6targetE0EEEvT1_,@function
_ZN7rocprim17ROCPRIM_400000_NS6detail17trampoline_kernelINS0_14default_configENS1_27scan_by_key_config_selectorIiiEEZZNS1_16scan_by_key_implILNS1_25lookback_scan_determinismE0ELb1ES3_N6thrust23THRUST_200600_302600_NS6detail15normal_iteratorINS9_10device_ptrIiEEEESE_SE_iNS9_4plusIvEENS9_8equal_toIiEEiEE10hipError_tPvRmT2_T3_T4_T5_mT6_T7_P12ihipStream_tbENKUlT_T0_E_clISt17integral_constantIbLb1EESY_IbLb0EEEEDaSU_SV_EUlSU_E_NS1_11comp_targetILNS1_3genE10ELNS1_11target_archE1200ELNS1_3gpuE4ELNS1_3repE0EEENS1_30default_config_static_selectorELNS0_4arch9wavefront6targetE0EEEvT1_: ; @_ZN7rocprim17ROCPRIM_400000_NS6detail17trampoline_kernelINS0_14default_configENS1_27scan_by_key_config_selectorIiiEEZZNS1_16scan_by_key_implILNS1_25lookback_scan_determinismE0ELb1ES3_N6thrust23THRUST_200600_302600_NS6detail15normal_iteratorINS9_10device_ptrIiEEEESE_SE_iNS9_4plusIvEENS9_8equal_toIiEEiEE10hipError_tPvRmT2_T3_T4_T5_mT6_T7_P12ihipStream_tbENKUlT_T0_E_clISt17integral_constantIbLb1EESY_IbLb0EEEEDaSU_SV_EUlSU_E_NS1_11comp_targetILNS1_3genE10ELNS1_11target_archE1200ELNS1_3gpuE4ELNS1_3repE0EEENS1_30default_config_static_selectorELNS0_4arch9wavefront6targetE0EEEvT1_
; %bb.0:
	.section	.rodata,"a",@progbits
	.p2align	6, 0x0
	.amdhsa_kernel _ZN7rocprim17ROCPRIM_400000_NS6detail17trampoline_kernelINS0_14default_configENS1_27scan_by_key_config_selectorIiiEEZZNS1_16scan_by_key_implILNS1_25lookback_scan_determinismE0ELb1ES3_N6thrust23THRUST_200600_302600_NS6detail15normal_iteratorINS9_10device_ptrIiEEEESE_SE_iNS9_4plusIvEENS9_8equal_toIiEEiEE10hipError_tPvRmT2_T3_T4_T5_mT6_T7_P12ihipStream_tbENKUlT_T0_E_clISt17integral_constantIbLb1EESY_IbLb0EEEEDaSU_SV_EUlSU_E_NS1_11comp_targetILNS1_3genE10ELNS1_11target_archE1200ELNS1_3gpuE4ELNS1_3repE0EEENS1_30default_config_static_selectorELNS0_4arch9wavefront6targetE0EEEvT1_
		.amdhsa_group_segment_fixed_size 0
		.amdhsa_private_segment_fixed_size 0
		.amdhsa_kernarg_size 112
		.amdhsa_user_sgpr_count 2
		.amdhsa_user_sgpr_dispatch_ptr 0
		.amdhsa_user_sgpr_queue_ptr 0
		.amdhsa_user_sgpr_kernarg_segment_ptr 1
		.amdhsa_user_sgpr_dispatch_id 0
		.amdhsa_user_sgpr_kernarg_preload_length 0
		.amdhsa_user_sgpr_kernarg_preload_offset 0
		.amdhsa_user_sgpr_private_segment_size 0
		.amdhsa_wavefront_size32 1
		.amdhsa_uses_dynamic_stack 0
		.amdhsa_enable_private_segment 0
		.amdhsa_system_sgpr_workgroup_id_x 1
		.amdhsa_system_sgpr_workgroup_id_y 0
		.amdhsa_system_sgpr_workgroup_id_z 0
		.amdhsa_system_sgpr_workgroup_info 0
		.amdhsa_system_vgpr_workitem_id 0
		.amdhsa_next_free_vgpr 1
		.amdhsa_next_free_sgpr 1
		.amdhsa_named_barrier_count 0
		.amdhsa_reserve_vcc 0
		.amdhsa_float_round_mode_32 0
		.amdhsa_float_round_mode_16_64 0
		.amdhsa_float_denorm_mode_32 3
		.amdhsa_float_denorm_mode_16_64 3
		.amdhsa_fp16_overflow 0
		.amdhsa_memory_ordered 1
		.amdhsa_forward_progress 1
		.amdhsa_inst_pref_size 0
		.amdhsa_round_robin_scheduling 0
		.amdhsa_exception_fp_ieee_invalid_op 0
		.amdhsa_exception_fp_denorm_src 0
		.amdhsa_exception_fp_ieee_div_zero 0
		.amdhsa_exception_fp_ieee_overflow 0
		.amdhsa_exception_fp_ieee_underflow 0
		.amdhsa_exception_fp_ieee_inexact 0
		.amdhsa_exception_int_div_zero 0
	.end_amdhsa_kernel
	.section	.text._ZN7rocprim17ROCPRIM_400000_NS6detail17trampoline_kernelINS0_14default_configENS1_27scan_by_key_config_selectorIiiEEZZNS1_16scan_by_key_implILNS1_25lookback_scan_determinismE0ELb1ES3_N6thrust23THRUST_200600_302600_NS6detail15normal_iteratorINS9_10device_ptrIiEEEESE_SE_iNS9_4plusIvEENS9_8equal_toIiEEiEE10hipError_tPvRmT2_T3_T4_T5_mT6_T7_P12ihipStream_tbENKUlT_T0_E_clISt17integral_constantIbLb1EESY_IbLb0EEEEDaSU_SV_EUlSU_E_NS1_11comp_targetILNS1_3genE10ELNS1_11target_archE1200ELNS1_3gpuE4ELNS1_3repE0EEENS1_30default_config_static_selectorELNS0_4arch9wavefront6targetE0EEEvT1_,"axG",@progbits,_ZN7rocprim17ROCPRIM_400000_NS6detail17trampoline_kernelINS0_14default_configENS1_27scan_by_key_config_selectorIiiEEZZNS1_16scan_by_key_implILNS1_25lookback_scan_determinismE0ELb1ES3_N6thrust23THRUST_200600_302600_NS6detail15normal_iteratorINS9_10device_ptrIiEEEESE_SE_iNS9_4plusIvEENS9_8equal_toIiEEiEE10hipError_tPvRmT2_T3_T4_T5_mT6_T7_P12ihipStream_tbENKUlT_T0_E_clISt17integral_constantIbLb1EESY_IbLb0EEEEDaSU_SV_EUlSU_E_NS1_11comp_targetILNS1_3genE10ELNS1_11target_archE1200ELNS1_3gpuE4ELNS1_3repE0EEENS1_30default_config_static_selectorELNS0_4arch9wavefront6targetE0EEEvT1_,comdat
.Lfunc_end557:
	.size	_ZN7rocprim17ROCPRIM_400000_NS6detail17trampoline_kernelINS0_14default_configENS1_27scan_by_key_config_selectorIiiEEZZNS1_16scan_by_key_implILNS1_25lookback_scan_determinismE0ELb1ES3_N6thrust23THRUST_200600_302600_NS6detail15normal_iteratorINS9_10device_ptrIiEEEESE_SE_iNS9_4plusIvEENS9_8equal_toIiEEiEE10hipError_tPvRmT2_T3_T4_T5_mT6_T7_P12ihipStream_tbENKUlT_T0_E_clISt17integral_constantIbLb1EESY_IbLb0EEEEDaSU_SV_EUlSU_E_NS1_11comp_targetILNS1_3genE10ELNS1_11target_archE1200ELNS1_3gpuE4ELNS1_3repE0EEENS1_30default_config_static_selectorELNS0_4arch9wavefront6targetE0EEEvT1_, .Lfunc_end557-_ZN7rocprim17ROCPRIM_400000_NS6detail17trampoline_kernelINS0_14default_configENS1_27scan_by_key_config_selectorIiiEEZZNS1_16scan_by_key_implILNS1_25lookback_scan_determinismE0ELb1ES3_N6thrust23THRUST_200600_302600_NS6detail15normal_iteratorINS9_10device_ptrIiEEEESE_SE_iNS9_4plusIvEENS9_8equal_toIiEEiEE10hipError_tPvRmT2_T3_T4_T5_mT6_T7_P12ihipStream_tbENKUlT_T0_E_clISt17integral_constantIbLb1EESY_IbLb0EEEEDaSU_SV_EUlSU_E_NS1_11comp_targetILNS1_3genE10ELNS1_11target_archE1200ELNS1_3gpuE4ELNS1_3repE0EEENS1_30default_config_static_selectorELNS0_4arch9wavefront6targetE0EEEvT1_
                                        ; -- End function
	.set _ZN7rocprim17ROCPRIM_400000_NS6detail17trampoline_kernelINS0_14default_configENS1_27scan_by_key_config_selectorIiiEEZZNS1_16scan_by_key_implILNS1_25lookback_scan_determinismE0ELb1ES3_N6thrust23THRUST_200600_302600_NS6detail15normal_iteratorINS9_10device_ptrIiEEEESE_SE_iNS9_4plusIvEENS9_8equal_toIiEEiEE10hipError_tPvRmT2_T3_T4_T5_mT6_T7_P12ihipStream_tbENKUlT_T0_E_clISt17integral_constantIbLb1EESY_IbLb0EEEEDaSU_SV_EUlSU_E_NS1_11comp_targetILNS1_3genE10ELNS1_11target_archE1200ELNS1_3gpuE4ELNS1_3repE0EEENS1_30default_config_static_selectorELNS0_4arch9wavefront6targetE0EEEvT1_.num_vgpr, 0
	.set _ZN7rocprim17ROCPRIM_400000_NS6detail17trampoline_kernelINS0_14default_configENS1_27scan_by_key_config_selectorIiiEEZZNS1_16scan_by_key_implILNS1_25lookback_scan_determinismE0ELb1ES3_N6thrust23THRUST_200600_302600_NS6detail15normal_iteratorINS9_10device_ptrIiEEEESE_SE_iNS9_4plusIvEENS9_8equal_toIiEEiEE10hipError_tPvRmT2_T3_T4_T5_mT6_T7_P12ihipStream_tbENKUlT_T0_E_clISt17integral_constantIbLb1EESY_IbLb0EEEEDaSU_SV_EUlSU_E_NS1_11comp_targetILNS1_3genE10ELNS1_11target_archE1200ELNS1_3gpuE4ELNS1_3repE0EEENS1_30default_config_static_selectorELNS0_4arch9wavefront6targetE0EEEvT1_.num_agpr, 0
	.set _ZN7rocprim17ROCPRIM_400000_NS6detail17trampoline_kernelINS0_14default_configENS1_27scan_by_key_config_selectorIiiEEZZNS1_16scan_by_key_implILNS1_25lookback_scan_determinismE0ELb1ES3_N6thrust23THRUST_200600_302600_NS6detail15normal_iteratorINS9_10device_ptrIiEEEESE_SE_iNS9_4plusIvEENS9_8equal_toIiEEiEE10hipError_tPvRmT2_T3_T4_T5_mT6_T7_P12ihipStream_tbENKUlT_T0_E_clISt17integral_constantIbLb1EESY_IbLb0EEEEDaSU_SV_EUlSU_E_NS1_11comp_targetILNS1_3genE10ELNS1_11target_archE1200ELNS1_3gpuE4ELNS1_3repE0EEENS1_30default_config_static_selectorELNS0_4arch9wavefront6targetE0EEEvT1_.numbered_sgpr, 0
	.set _ZN7rocprim17ROCPRIM_400000_NS6detail17trampoline_kernelINS0_14default_configENS1_27scan_by_key_config_selectorIiiEEZZNS1_16scan_by_key_implILNS1_25lookback_scan_determinismE0ELb1ES3_N6thrust23THRUST_200600_302600_NS6detail15normal_iteratorINS9_10device_ptrIiEEEESE_SE_iNS9_4plusIvEENS9_8equal_toIiEEiEE10hipError_tPvRmT2_T3_T4_T5_mT6_T7_P12ihipStream_tbENKUlT_T0_E_clISt17integral_constantIbLb1EESY_IbLb0EEEEDaSU_SV_EUlSU_E_NS1_11comp_targetILNS1_3genE10ELNS1_11target_archE1200ELNS1_3gpuE4ELNS1_3repE0EEENS1_30default_config_static_selectorELNS0_4arch9wavefront6targetE0EEEvT1_.num_named_barrier, 0
	.set _ZN7rocprim17ROCPRIM_400000_NS6detail17trampoline_kernelINS0_14default_configENS1_27scan_by_key_config_selectorIiiEEZZNS1_16scan_by_key_implILNS1_25lookback_scan_determinismE0ELb1ES3_N6thrust23THRUST_200600_302600_NS6detail15normal_iteratorINS9_10device_ptrIiEEEESE_SE_iNS9_4plusIvEENS9_8equal_toIiEEiEE10hipError_tPvRmT2_T3_T4_T5_mT6_T7_P12ihipStream_tbENKUlT_T0_E_clISt17integral_constantIbLb1EESY_IbLb0EEEEDaSU_SV_EUlSU_E_NS1_11comp_targetILNS1_3genE10ELNS1_11target_archE1200ELNS1_3gpuE4ELNS1_3repE0EEENS1_30default_config_static_selectorELNS0_4arch9wavefront6targetE0EEEvT1_.private_seg_size, 0
	.set _ZN7rocprim17ROCPRIM_400000_NS6detail17trampoline_kernelINS0_14default_configENS1_27scan_by_key_config_selectorIiiEEZZNS1_16scan_by_key_implILNS1_25lookback_scan_determinismE0ELb1ES3_N6thrust23THRUST_200600_302600_NS6detail15normal_iteratorINS9_10device_ptrIiEEEESE_SE_iNS9_4plusIvEENS9_8equal_toIiEEiEE10hipError_tPvRmT2_T3_T4_T5_mT6_T7_P12ihipStream_tbENKUlT_T0_E_clISt17integral_constantIbLb1EESY_IbLb0EEEEDaSU_SV_EUlSU_E_NS1_11comp_targetILNS1_3genE10ELNS1_11target_archE1200ELNS1_3gpuE4ELNS1_3repE0EEENS1_30default_config_static_selectorELNS0_4arch9wavefront6targetE0EEEvT1_.uses_vcc, 0
	.set _ZN7rocprim17ROCPRIM_400000_NS6detail17trampoline_kernelINS0_14default_configENS1_27scan_by_key_config_selectorIiiEEZZNS1_16scan_by_key_implILNS1_25lookback_scan_determinismE0ELb1ES3_N6thrust23THRUST_200600_302600_NS6detail15normal_iteratorINS9_10device_ptrIiEEEESE_SE_iNS9_4plusIvEENS9_8equal_toIiEEiEE10hipError_tPvRmT2_T3_T4_T5_mT6_T7_P12ihipStream_tbENKUlT_T0_E_clISt17integral_constantIbLb1EESY_IbLb0EEEEDaSU_SV_EUlSU_E_NS1_11comp_targetILNS1_3genE10ELNS1_11target_archE1200ELNS1_3gpuE4ELNS1_3repE0EEENS1_30default_config_static_selectorELNS0_4arch9wavefront6targetE0EEEvT1_.uses_flat_scratch, 0
	.set _ZN7rocprim17ROCPRIM_400000_NS6detail17trampoline_kernelINS0_14default_configENS1_27scan_by_key_config_selectorIiiEEZZNS1_16scan_by_key_implILNS1_25lookback_scan_determinismE0ELb1ES3_N6thrust23THRUST_200600_302600_NS6detail15normal_iteratorINS9_10device_ptrIiEEEESE_SE_iNS9_4plusIvEENS9_8equal_toIiEEiEE10hipError_tPvRmT2_T3_T4_T5_mT6_T7_P12ihipStream_tbENKUlT_T0_E_clISt17integral_constantIbLb1EESY_IbLb0EEEEDaSU_SV_EUlSU_E_NS1_11comp_targetILNS1_3genE10ELNS1_11target_archE1200ELNS1_3gpuE4ELNS1_3repE0EEENS1_30default_config_static_selectorELNS0_4arch9wavefront6targetE0EEEvT1_.has_dyn_sized_stack, 0
	.set _ZN7rocprim17ROCPRIM_400000_NS6detail17trampoline_kernelINS0_14default_configENS1_27scan_by_key_config_selectorIiiEEZZNS1_16scan_by_key_implILNS1_25lookback_scan_determinismE0ELb1ES3_N6thrust23THRUST_200600_302600_NS6detail15normal_iteratorINS9_10device_ptrIiEEEESE_SE_iNS9_4plusIvEENS9_8equal_toIiEEiEE10hipError_tPvRmT2_T3_T4_T5_mT6_T7_P12ihipStream_tbENKUlT_T0_E_clISt17integral_constantIbLb1EESY_IbLb0EEEEDaSU_SV_EUlSU_E_NS1_11comp_targetILNS1_3genE10ELNS1_11target_archE1200ELNS1_3gpuE4ELNS1_3repE0EEENS1_30default_config_static_selectorELNS0_4arch9wavefront6targetE0EEEvT1_.has_recursion, 0
	.set _ZN7rocprim17ROCPRIM_400000_NS6detail17trampoline_kernelINS0_14default_configENS1_27scan_by_key_config_selectorIiiEEZZNS1_16scan_by_key_implILNS1_25lookback_scan_determinismE0ELb1ES3_N6thrust23THRUST_200600_302600_NS6detail15normal_iteratorINS9_10device_ptrIiEEEESE_SE_iNS9_4plusIvEENS9_8equal_toIiEEiEE10hipError_tPvRmT2_T3_T4_T5_mT6_T7_P12ihipStream_tbENKUlT_T0_E_clISt17integral_constantIbLb1EESY_IbLb0EEEEDaSU_SV_EUlSU_E_NS1_11comp_targetILNS1_3genE10ELNS1_11target_archE1200ELNS1_3gpuE4ELNS1_3repE0EEENS1_30default_config_static_selectorELNS0_4arch9wavefront6targetE0EEEvT1_.has_indirect_call, 0
	.section	.AMDGPU.csdata,"",@progbits
; Kernel info:
; codeLenInByte = 0
; TotalNumSgprs: 0
; NumVgprs: 0
; ScratchSize: 0
; MemoryBound: 0
; FloatMode: 240
; IeeeMode: 1
; LDSByteSize: 0 bytes/workgroup (compile time only)
; SGPRBlocks: 0
; VGPRBlocks: 0
; NumSGPRsForWavesPerEU: 1
; NumVGPRsForWavesPerEU: 1
; NamedBarCnt: 0
; Occupancy: 16
; WaveLimiterHint : 0
; COMPUTE_PGM_RSRC2:SCRATCH_EN: 0
; COMPUTE_PGM_RSRC2:USER_SGPR: 2
; COMPUTE_PGM_RSRC2:TRAP_HANDLER: 0
; COMPUTE_PGM_RSRC2:TGID_X_EN: 1
; COMPUTE_PGM_RSRC2:TGID_Y_EN: 0
; COMPUTE_PGM_RSRC2:TGID_Z_EN: 0
; COMPUTE_PGM_RSRC2:TIDIG_COMP_CNT: 0
	.section	.text._ZN7rocprim17ROCPRIM_400000_NS6detail17trampoline_kernelINS0_14default_configENS1_27scan_by_key_config_selectorIiiEEZZNS1_16scan_by_key_implILNS1_25lookback_scan_determinismE0ELb1ES3_N6thrust23THRUST_200600_302600_NS6detail15normal_iteratorINS9_10device_ptrIiEEEESE_SE_iNS9_4plusIvEENS9_8equal_toIiEEiEE10hipError_tPvRmT2_T3_T4_T5_mT6_T7_P12ihipStream_tbENKUlT_T0_E_clISt17integral_constantIbLb1EESY_IbLb0EEEEDaSU_SV_EUlSU_E_NS1_11comp_targetILNS1_3genE9ELNS1_11target_archE1100ELNS1_3gpuE3ELNS1_3repE0EEENS1_30default_config_static_selectorELNS0_4arch9wavefront6targetE0EEEvT1_,"axG",@progbits,_ZN7rocprim17ROCPRIM_400000_NS6detail17trampoline_kernelINS0_14default_configENS1_27scan_by_key_config_selectorIiiEEZZNS1_16scan_by_key_implILNS1_25lookback_scan_determinismE0ELb1ES3_N6thrust23THRUST_200600_302600_NS6detail15normal_iteratorINS9_10device_ptrIiEEEESE_SE_iNS9_4plusIvEENS9_8equal_toIiEEiEE10hipError_tPvRmT2_T3_T4_T5_mT6_T7_P12ihipStream_tbENKUlT_T0_E_clISt17integral_constantIbLb1EESY_IbLb0EEEEDaSU_SV_EUlSU_E_NS1_11comp_targetILNS1_3genE9ELNS1_11target_archE1100ELNS1_3gpuE3ELNS1_3repE0EEENS1_30default_config_static_selectorELNS0_4arch9wavefront6targetE0EEEvT1_,comdat
	.protected	_ZN7rocprim17ROCPRIM_400000_NS6detail17trampoline_kernelINS0_14default_configENS1_27scan_by_key_config_selectorIiiEEZZNS1_16scan_by_key_implILNS1_25lookback_scan_determinismE0ELb1ES3_N6thrust23THRUST_200600_302600_NS6detail15normal_iteratorINS9_10device_ptrIiEEEESE_SE_iNS9_4plusIvEENS9_8equal_toIiEEiEE10hipError_tPvRmT2_T3_T4_T5_mT6_T7_P12ihipStream_tbENKUlT_T0_E_clISt17integral_constantIbLb1EESY_IbLb0EEEEDaSU_SV_EUlSU_E_NS1_11comp_targetILNS1_3genE9ELNS1_11target_archE1100ELNS1_3gpuE3ELNS1_3repE0EEENS1_30default_config_static_selectorELNS0_4arch9wavefront6targetE0EEEvT1_ ; -- Begin function _ZN7rocprim17ROCPRIM_400000_NS6detail17trampoline_kernelINS0_14default_configENS1_27scan_by_key_config_selectorIiiEEZZNS1_16scan_by_key_implILNS1_25lookback_scan_determinismE0ELb1ES3_N6thrust23THRUST_200600_302600_NS6detail15normal_iteratorINS9_10device_ptrIiEEEESE_SE_iNS9_4plusIvEENS9_8equal_toIiEEiEE10hipError_tPvRmT2_T3_T4_T5_mT6_T7_P12ihipStream_tbENKUlT_T0_E_clISt17integral_constantIbLb1EESY_IbLb0EEEEDaSU_SV_EUlSU_E_NS1_11comp_targetILNS1_3genE9ELNS1_11target_archE1100ELNS1_3gpuE3ELNS1_3repE0EEENS1_30default_config_static_selectorELNS0_4arch9wavefront6targetE0EEEvT1_
	.globl	_ZN7rocprim17ROCPRIM_400000_NS6detail17trampoline_kernelINS0_14default_configENS1_27scan_by_key_config_selectorIiiEEZZNS1_16scan_by_key_implILNS1_25lookback_scan_determinismE0ELb1ES3_N6thrust23THRUST_200600_302600_NS6detail15normal_iteratorINS9_10device_ptrIiEEEESE_SE_iNS9_4plusIvEENS9_8equal_toIiEEiEE10hipError_tPvRmT2_T3_T4_T5_mT6_T7_P12ihipStream_tbENKUlT_T0_E_clISt17integral_constantIbLb1EESY_IbLb0EEEEDaSU_SV_EUlSU_E_NS1_11comp_targetILNS1_3genE9ELNS1_11target_archE1100ELNS1_3gpuE3ELNS1_3repE0EEENS1_30default_config_static_selectorELNS0_4arch9wavefront6targetE0EEEvT1_
	.p2align	8
	.type	_ZN7rocprim17ROCPRIM_400000_NS6detail17trampoline_kernelINS0_14default_configENS1_27scan_by_key_config_selectorIiiEEZZNS1_16scan_by_key_implILNS1_25lookback_scan_determinismE0ELb1ES3_N6thrust23THRUST_200600_302600_NS6detail15normal_iteratorINS9_10device_ptrIiEEEESE_SE_iNS9_4plusIvEENS9_8equal_toIiEEiEE10hipError_tPvRmT2_T3_T4_T5_mT6_T7_P12ihipStream_tbENKUlT_T0_E_clISt17integral_constantIbLb1EESY_IbLb0EEEEDaSU_SV_EUlSU_E_NS1_11comp_targetILNS1_3genE9ELNS1_11target_archE1100ELNS1_3gpuE3ELNS1_3repE0EEENS1_30default_config_static_selectorELNS0_4arch9wavefront6targetE0EEEvT1_,@function
_ZN7rocprim17ROCPRIM_400000_NS6detail17trampoline_kernelINS0_14default_configENS1_27scan_by_key_config_selectorIiiEEZZNS1_16scan_by_key_implILNS1_25lookback_scan_determinismE0ELb1ES3_N6thrust23THRUST_200600_302600_NS6detail15normal_iteratorINS9_10device_ptrIiEEEESE_SE_iNS9_4plusIvEENS9_8equal_toIiEEiEE10hipError_tPvRmT2_T3_T4_T5_mT6_T7_P12ihipStream_tbENKUlT_T0_E_clISt17integral_constantIbLb1EESY_IbLb0EEEEDaSU_SV_EUlSU_E_NS1_11comp_targetILNS1_3genE9ELNS1_11target_archE1100ELNS1_3gpuE3ELNS1_3repE0EEENS1_30default_config_static_selectorELNS0_4arch9wavefront6targetE0EEEvT1_: ; @_ZN7rocprim17ROCPRIM_400000_NS6detail17trampoline_kernelINS0_14default_configENS1_27scan_by_key_config_selectorIiiEEZZNS1_16scan_by_key_implILNS1_25lookback_scan_determinismE0ELb1ES3_N6thrust23THRUST_200600_302600_NS6detail15normal_iteratorINS9_10device_ptrIiEEEESE_SE_iNS9_4plusIvEENS9_8equal_toIiEEiEE10hipError_tPvRmT2_T3_T4_T5_mT6_T7_P12ihipStream_tbENKUlT_T0_E_clISt17integral_constantIbLb1EESY_IbLb0EEEEDaSU_SV_EUlSU_E_NS1_11comp_targetILNS1_3genE9ELNS1_11target_archE1100ELNS1_3gpuE3ELNS1_3repE0EEENS1_30default_config_static_selectorELNS0_4arch9wavefront6targetE0EEEvT1_
; %bb.0:
	.section	.rodata,"a",@progbits
	.p2align	6, 0x0
	.amdhsa_kernel _ZN7rocprim17ROCPRIM_400000_NS6detail17trampoline_kernelINS0_14default_configENS1_27scan_by_key_config_selectorIiiEEZZNS1_16scan_by_key_implILNS1_25lookback_scan_determinismE0ELb1ES3_N6thrust23THRUST_200600_302600_NS6detail15normal_iteratorINS9_10device_ptrIiEEEESE_SE_iNS9_4plusIvEENS9_8equal_toIiEEiEE10hipError_tPvRmT2_T3_T4_T5_mT6_T7_P12ihipStream_tbENKUlT_T0_E_clISt17integral_constantIbLb1EESY_IbLb0EEEEDaSU_SV_EUlSU_E_NS1_11comp_targetILNS1_3genE9ELNS1_11target_archE1100ELNS1_3gpuE3ELNS1_3repE0EEENS1_30default_config_static_selectorELNS0_4arch9wavefront6targetE0EEEvT1_
		.amdhsa_group_segment_fixed_size 0
		.amdhsa_private_segment_fixed_size 0
		.amdhsa_kernarg_size 112
		.amdhsa_user_sgpr_count 2
		.amdhsa_user_sgpr_dispatch_ptr 0
		.amdhsa_user_sgpr_queue_ptr 0
		.amdhsa_user_sgpr_kernarg_segment_ptr 1
		.amdhsa_user_sgpr_dispatch_id 0
		.amdhsa_user_sgpr_kernarg_preload_length 0
		.amdhsa_user_sgpr_kernarg_preload_offset 0
		.amdhsa_user_sgpr_private_segment_size 0
		.amdhsa_wavefront_size32 1
		.amdhsa_uses_dynamic_stack 0
		.amdhsa_enable_private_segment 0
		.amdhsa_system_sgpr_workgroup_id_x 1
		.amdhsa_system_sgpr_workgroup_id_y 0
		.amdhsa_system_sgpr_workgroup_id_z 0
		.amdhsa_system_sgpr_workgroup_info 0
		.amdhsa_system_vgpr_workitem_id 0
		.amdhsa_next_free_vgpr 1
		.amdhsa_next_free_sgpr 1
		.amdhsa_named_barrier_count 0
		.amdhsa_reserve_vcc 0
		.amdhsa_float_round_mode_32 0
		.amdhsa_float_round_mode_16_64 0
		.amdhsa_float_denorm_mode_32 3
		.amdhsa_float_denorm_mode_16_64 3
		.amdhsa_fp16_overflow 0
		.amdhsa_memory_ordered 1
		.amdhsa_forward_progress 1
		.amdhsa_inst_pref_size 0
		.amdhsa_round_robin_scheduling 0
		.amdhsa_exception_fp_ieee_invalid_op 0
		.amdhsa_exception_fp_denorm_src 0
		.amdhsa_exception_fp_ieee_div_zero 0
		.amdhsa_exception_fp_ieee_overflow 0
		.amdhsa_exception_fp_ieee_underflow 0
		.amdhsa_exception_fp_ieee_inexact 0
		.amdhsa_exception_int_div_zero 0
	.end_amdhsa_kernel
	.section	.text._ZN7rocprim17ROCPRIM_400000_NS6detail17trampoline_kernelINS0_14default_configENS1_27scan_by_key_config_selectorIiiEEZZNS1_16scan_by_key_implILNS1_25lookback_scan_determinismE0ELb1ES3_N6thrust23THRUST_200600_302600_NS6detail15normal_iteratorINS9_10device_ptrIiEEEESE_SE_iNS9_4plusIvEENS9_8equal_toIiEEiEE10hipError_tPvRmT2_T3_T4_T5_mT6_T7_P12ihipStream_tbENKUlT_T0_E_clISt17integral_constantIbLb1EESY_IbLb0EEEEDaSU_SV_EUlSU_E_NS1_11comp_targetILNS1_3genE9ELNS1_11target_archE1100ELNS1_3gpuE3ELNS1_3repE0EEENS1_30default_config_static_selectorELNS0_4arch9wavefront6targetE0EEEvT1_,"axG",@progbits,_ZN7rocprim17ROCPRIM_400000_NS6detail17trampoline_kernelINS0_14default_configENS1_27scan_by_key_config_selectorIiiEEZZNS1_16scan_by_key_implILNS1_25lookback_scan_determinismE0ELb1ES3_N6thrust23THRUST_200600_302600_NS6detail15normal_iteratorINS9_10device_ptrIiEEEESE_SE_iNS9_4plusIvEENS9_8equal_toIiEEiEE10hipError_tPvRmT2_T3_T4_T5_mT6_T7_P12ihipStream_tbENKUlT_T0_E_clISt17integral_constantIbLb1EESY_IbLb0EEEEDaSU_SV_EUlSU_E_NS1_11comp_targetILNS1_3genE9ELNS1_11target_archE1100ELNS1_3gpuE3ELNS1_3repE0EEENS1_30default_config_static_selectorELNS0_4arch9wavefront6targetE0EEEvT1_,comdat
.Lfunc_end558:
	.size	_ZN7rocprim17ROCPRIM_400000_NS6detail17trampoline_kernelINS0_14default_configENS1_27scan_by_key_config_selectorIiiEEZZNS1_16scan_by_key_implILNS1_25lookback_scan_determinismE0ELb1ES3_N6thrust23THRUST_200600_302600_NS6detail15normal_iteratorINS9_10device_ptrIiEEEESE_SE_iNS9_4plusIvEENS9_8equal_toIiEEiEE10hipError_tPvRmT2_T3_T4_T5_mT6_T7_P12ihipStream_tbENKUlT_T0_E_clISt17integral_constantIbLb1EESY_IbLb0EEEEDaSU_SV_EUlSU_E_NS1_11comp_targetILNS1_3genE9ELNS1_11target_archE1100ELNS1_3gpuE3ELNS1_3repE0EEENS1_30default_config_static_selectorELNS0_4arch9wavefront6targetE0EEEvT1_, .Lfunc_end558-_ZN7rocprim17ROCPRIM_400000_NS6detail17trampoline_kernelINS0_14default_configENS1_27scan_by_key_config_selectorIiiEEZZNS1_16scan_by_key_implILNS1_25lookback_scan_determinismE0ELb1ES3_N6thrust23THRUST_200600_302600_NS6detail15normal_iteratorINS9_10device_ptrIiEEEESE_SE_iNS9_4plusIvEENS9_8equal_toIiEEiEE10hipError_tPvRmT2_T3_T4_T5_mT6_T7_P12ihipStream_tbENKUlT_T0_E_clISt17integral_constantIbLb1EESY_IbLb0EEEEDaSU_SV_EUlSU_E_NS1_11comp_targetILNS1_3genE9ELNS1_11target_archE1100ELNS1_3gpuE3ELNS1_3repE0EEENS1_30default_config_static_selectorELNS0_4arch9wavefront6targetE0EEEvT1_
                                        ; -- End function
	.set _ZN7rocprim17ROCPRIM_400000_NS6detail17trampoline_kernelINS0_14default_configENS1_27scan_by_key_config_selectorIiiEEZZNS1_16scan_by_key_implILNS1_25lookback_scan_determinismE0ELb1ES3_N6thrust23THRUST_200600_302600_NS6detail15normal_iteratorINS9_10device_ptrIiEEEESE_SE_iNS9_4plusIvEENS9_8equal_toIiEEiEE10hipError_tPvRmT2_T3_T4_T5_mT6_T7_P12ihipStream_tbENKUlT_T0_E_clISt17integral_constantIbLb1EESY_IbLb0EEEEDaSU_SV_EUlSU_E_NS1_11comp_targetILNS1_3genE9ELNS1_11target_archE1100ELNS1_3gpuE3ELNS1_3repE0EEENS1_30default_config_static_selectorELNS0_4arch9wavefront6targetE0EEEvT1_.num_vgpr, 0
	.set _ZN7rocprim17ROCPRIM_400000_NS6detail17trampoline_kernelINS0_14default_configENS1_27scan_by_key_config_selectorIiiEEZZNS1_16scan_by_key_implILNS1_25lookback_scan_determinismE0ELb1ES3_N6thrust23THRUST_200600_302600_NS6detail15normal_iteratorINS9_10device_ptrIiEEEESE_SE_iNS9_4plusIvEENS9_8equal_toIiEEiEE10hipError_tPvRmT2_T3_T4_T5_mT6_T7_P12ihipStream_tbENKUlT_T0_E_clISt17integral_constantIbLb1EESY_IbLb0EEEEDaSU_SV_EUlSU_E_NS1_11comp_targetILNS1_3genE9ELNS1_11target_archE1100ELNS1_3gpuE3ELNS1_3repE0EEENS1_30default_config_static_selectorELNS0_4arch9wavefront6targetE0EEEvT1_.num_agpr, 0
	.set _ZN7rocprim17ROCPRIM_400000_NS6detail17trampoline_kernelINS0_14default_configENS1_27scan_by_key_config_selectorIiiEEZZNS1_16scan_by_key_implILNS1_25lookback_scan_determinismE0ELb1ES3_N6thrust23THRUST_200600_302600_NS6detail15normal_iteratorINS9_10device_ptrIiEEEESE_SE_iNS9_4plusIvEENS9_8equal_toIiEEiEE10hipError_tPvRmT2_T3_T4_T5_mT6_T7_P12ihipStream_tbENKUlT_T0_E_clISt17integral_constantIbLb1EESY_IbLb0EEEEDaSU_SV_EUlSU_E_NS1_11comp_targetILNS1_3genE9ELNS1_11target_archE1100ELNS1_3gpuE3ELNS1_3repE0EEENS1_30default_config_static_selectorELNS0_4arch9wavefront6targetE0EEEvT1_.numbered_sgpr, 0
	.set _ZN7rocprim17ROCPRIM_400000_NS6detail17trampoline_kernelINS0_14default_configENS1_27scan_by_key_config_selectorIiiEEZZNS1_16scan_by_key_implILNS1_25lookback_scan_determinismE0ELb1ES3_N6thrust23THRUST_200600_302600_NS6detail15normal_iteratorINS9_10device_ptrIiEEEESE_SE_iNS9_4plusIvEENS9_8equal_toIiEEiEE10hipError_tPvRmT2_T3_T4_T5_mT6_T7_P12ihipStream_tbENKUlT_T0_E_clISt17integral_constantIbLb1EESY_IbLb0EEEEDaSU_SV_EUlSU_E_NS1_11comp_targetILNS1_3genE9ELNS1_11target_archE1100ELNS1_3gpuE3ELNS1_3repE0EEENS1_30default_config_static_selectorELNS0_4arch9wavefront6targetE0EEEvT1_.num_named_barrier, 0
	.set _ZN7rocprim17ROCPRIM_400000_NS6detail17trampoline_kernelINS0_14default_configENS1_27scan_by_key_config_selectorIiiEEZZNS1_16scan_by_key_implILNS1_25lookback_scan_determinismE0ELb1ES3_N6thrust23THRUST_200600_302600_NS6detail15normal_iteratorINS9_10device_ptrIiEEEESE_SE_iNS9_4plusIvEENS9_8equal_toIiEEiEE10hipError_tPvRmT2_T3_T4_T5_mT6_T7_P12ihipStream_tbENKUlT_T0_E_clISt17integral_constantIbLb1EESY_IbLb0EEEEDaSU_SV_EUlSU_E_NS1_11comp_targetILNS1_3genE9ELNS1_11target_archE1100ELNS1_3gpuE3ELNS1_3repE0EEENS1_30default_config_static_selectorELNS0_4arch9wavefront6targetE0EEEvT1_.private_seg_size, 0
	.set _ZN7rocprim17ROCPRIM_400000_NS6detail17trampoline_kernelINS0_14default_configENS1_27scan_by_key_config_selectorIiiEEZZNS1_16scan_by_key_implILNS1_25lookback_scan_determinismE0ELb1ES3_N6thrust23THRUST_200600_302600_NS6detail15normal_iteratorINS9_10device_ptrIiEEEESE_SE_iNS9_4plusIvEENS9_8equal_toIiEEiEE10hipError_tPvRmT2_T3_T4_T5_mT6_T7_P12ihipStream_tbENKUlT_T0_E_clISt17integral_constantIbLb1EESY_IbLb0EEEEDaSU_SV_EUlSU_E_NS1_11comp_targetILNS1_3genE9ELNS1_11target_archE1100ELNS1_3gpuE3ELNS1_3repE0EEENS1_30default_config_static_selectorELNS0_4arch9wavefront6targetE0EEEvT1_.uses_vcc, 0
	.set _ZN7rocprim17ROCPRIM_400000_NS6detail17trampoline_kernelINS0_14default_configENS1_27scan_by_key_config_selectorIiiEEZZNS1_16scan_by_key_implILNS1_25lookback_scan_determinismE0ELb1ES3_N6thrust23THRUST_200600_302600_NS6detail15normal_iteratorINS9_10device_ptrIiEEEESE_SE_iNS9_4plusIvEENS9_8equal_toIiEEiEE10hipError_tPvRmT2_T3_T4_T5_mT6_T7_P12ihipStream_tbENKUlT_T0_E_clISt17integral_constantIbLb1EESY_IbLb0EEEEDaSU_SV_EUlSU_E_NS1_11comp_targetILNS1_3genE9ELNS1_11target_archE1100ELNS1_3gpuE3ELNS1_3repE0EEENS1_30default_config_static_selectorELNS0_4arch9wavefront6targetE0EEEvT1_.uses_flat_scratch, 0
	.set _ZN7rocprim17ROCPRIM_400000_NS6detail17trampoline_kernelINS0_14default_configENS1_27scan_by_key_config_selectorIiiEEZZNS1_16scan_by_key_implILNS1_25lookback_scan_determinismE0ELb1ES3_N6thrust23THRUST_200600_302600_NS6detail15normal_iteratorINS9_10device_ptrIiEEEESE_SE_iNS9_4plusIvEENS9_8equal_toIiEEiEE10hipError_tPvRmT2_T3_T4_T5_mT6_T7_P12ihipStream_tbENKUlT_T0_E_clISt17integral_constantIbLb1EESY_IbLb0EEEEDaSU_SV_EUlSU_E_NS1_11comp_targetILNS1_3genE9ELNS1_11target_archE1100ELNS1_3gpuE3ELNS1_3repE0EEENS1_30default_config_static_selectorELNS0_4arch9wavefront6targetE0EEEvT1_.has_dyn_sized_stack, 0
	.set _ZN7rocprim17ROCPRIM_400000_NS6detail17trampoline_kernelINS0_14default_configENS1_27scan_by_key_config_selectorIiiEEZZNS1_16scan_by_key_implILNS1_25lookback_scan_determinismE0ELb1ES3_N6thrust23THRUST_200600_302600_NS6detail15normal_iteratorINS9_10device_ptrIiEEEESE_SE_iNS9_4plusIvEENS9_8equal_toIiEEiEE10hipError_tPvRmT2_T3_T4_T5_mT6_T7_P12ihipStream_tbENKUlT_T0_E_clISt17integral_constantIbLb1EESY_IbLb0EEEEDaSU_SV_EUlSU_E_NS1_11comp_targetILNS1_3genE9ELNS1_11target_archE1100ELNS1_3gpuE3ELNS1_3repE0EEENS1_30default_config_static_selectorELNS0_4arch9wavefront6targetE0EEEvT1_.has_recursion, 0
	.set _ZN7rocprim17ROCPRIM_400000_NS6detail17trampoline_kernelINS0_14default_configENS1_27scan_by_key_config_selectorIiiEEZZNS1_16scan_by_key_implILNS1_25lookback_scan_determinismE0ELb1ES3_N6thrust23THRUST_200600_302600_NS6detail15normal_iteratorINS9_10device_ptrIiEEEESE_SE_iNS9_4plusIvEENS9_8equal_toIiEEiEE10hipError_tPvRmT2_T3_T4_T5_mT6_T7_P12ihipStream_tbENKUlT_T0_E_clISt17integral_constantIbLb1EESY_IbLb0EEEEDaSU_SV_EUlSU_E_NS1_11comp_targetILNS1_3genE9ELNS1_11target_archE1100ELNS1_3gpuE3ELNS1_3repE0EEENS1_30default_config_static_selectorELNS0_4arch9wavefront6targetE0EEEvT1_.has_indirect_call, 0
	.section	.AMDGPU.csdata,"",@progbits
; Kernel info:
; codeLenInByte = 0
; TotalNumSgprs: 0
; NumVgprs: 0
; ScratchSize: 0
; MemoryBound: 0
; FloatMode: 240
; IeeeMode: 1
; LDSByteSize: 0 bytes/workgroup (compile time only)
; SGPRBlocks: 0
; VGPRBlocks: 0
; NumSGPRsForWavesPerEU: 1
; NumVGPRsForWavesPerEU: 1
; NamedBarCnt: 0
; Occupancy: 16
; WaveLimiterHint : 0
; COMPUTE_PGM_RSRC2:SCRATCH_EN: 0
; COMPUTE_PGM_RSRC2:USER_SGPR: 2
; COMPUTE_PGM_RSRC2:TRAP_HANDLER: 0
; COMPUTE_PGM_RSRC2:TGID_X_EN: 1
; COMPUTE_PGM_RSRC2:TGID_Y_EN: 0
; COMPUTE_PGM_RSRC2:TGID_Z_EN: 0
; COMPUTE_PGM_RSRC2:TIDIG_COMP_CNT: 0
	.section	.text._ZN7rocprim17ROCPRIM_400000_NS6detail17trampoline_kernelINS0_14default_configENS1_27scan_by_key_config_selectorIiiEEZZNS1_16scan_by_key_implILNS1_25lookback_scan_determinismE0ELb1ES3_N6thrust23THRUST_200600_302600_NS6detail15normal_iteratorINS9_10device_ptrIiEEEESE_SE_iNS9_4plusIvEENS9_8equal_toIiEEiEE10hipError_tPvRmT2_T3_T4_T5_mT6_T7_P12ihipStream_tbENKUlT_T0_E_clISt17integral_constantIbLb1EESY_IbLb0EEEEDaSU_SV_EUlSU_E_NS1_11comp_targetILNS1_3genE8ELNS1_11target_archE1030ELNS1_3gpuE2ELNS1_3repE0EEENS1_30default_config_static_selectorELNS0_4arch9wavefront6targetE0EEEvT1_,"axG",@progbits,_ZN7rocprim17ROCPRIM_400000_NS6detail17trampoline_kernelINS0_14default_configENS1_27scan_by_key_config_selectorIiiEEZZNS1_16scan_by_key_implILNS1_25lookback_scan_determinismE0ELb1ES3_N6thrust23THRUST_200600_302600_NS6detail15normal_iteratorINS9_10device_ptrIiEEEESE_SE_iNS9_4plusIvEENS9_8equal_toIiEEiEE10hipError_tPvRmT2_T3_T4_T5_mT6_T7_P12ihipStream_tbENKUlT_T0_E_clISt17integral_constantIbLb1EESY_IbLb0EEEEDaSU_SV_EUlSU_E_NS1_11comp_targetILNS1_3genE8ELNS1_11target_archE1030ELNS1_3gpuE2ELNS1_3repE0EEENS1_30default_config_static_selectorELNS0_4arch9wavefront6targetE0EEEvT1_,comdat
	.protected	_ZN7rocprim17ROCPRIM_400000_NS6detail17trampoline_kernelINS0_14default_configENS1_27scan_by_key_config_selectorIiiEEZZNS1_16scan_by_key_implILNS1_25lookback_scan_determinismE0ELb1ES3_N6thrust23THRUST_200600_302600_NS6detail15normal_iteratorINS9_10device_ptrIiEEEESE_SE_iNS9_4plusIvEENS9_8equal_toIiEEiEE10hipError_tPvRmT2_T3_T4_T5_mT6_T7_P12ihipStream_tbENKUlT_T0_E_clISt17integral_constantIbLb1EESY_IbLb0EEEEDaSU_SV_EUlSU_E_NS1_11comp_targetILNS1_3genE8ELNS1_11target_archE1030ELNS1_3gpuE2ELNS1_3repE0EEENS1_30default_config_static_selectorELNS0_4arch9wavefront6targetE0EEEvT1_ ; -- Begin function _ZN7rocprim17ROCPRIM_400000_NS6detail17trampoline_kernelINS0_14default_configENS1_27scan_by_key_config_selectorIiiEEZZNS1_16scan_by_key_implILNS1_25lookback_scan_determinismE0ELb1ES3_N6thrust23THRUST_200600_302600_NS6detail15normal_iteratorINS9_10device_ptrIiEEEESE_SE_iNS9_4plusIvEENS9_8equal_toIiEEiEE10hipError_tPvRmT2_T3_T4_T5_mT6_T7_P12ihipStream_tbENKUlT_T0_E_clISt17integral_constantIbLb1EESY_IbLb0EEEEDaSU_SV_EUlSU_E_NS1_11comp_targetILNS1_3genE8ELNS1_11target_archE1030ELNS1_3gpuE2ELNS1_3repE0EEENS1_30default_config_static_selectorELNS0_4arch9wavefront6targetE0EEEvT1_
	.globl	_ZN7rocprim17ROCPRIM_400000_NS6detail17trampoline_kernelINS0_14default_configENS1_27scan_by_key_config_selectorIiiEEZZNS1_16scan_by_key_implILNS1_25lookback_scan_determinismE0ELb1ES3_N6thrust23THRUST_200600_302600_NS6detail15normal_iteratorINS9_10device_ptrIiEEEESE_SE_iNS9_4plusIvEENS9_8equal_toIiEEiEE10hipError_tPvRmT2_T3_T4_T5_mT6_T7_P12ihipStream_tbENKUlT_T0_E_clISt17integral_constantIbLb1EESY_IbLb0EEEEDaSU_SV_EUlSU_E_NS1_11comp_targetILNS1_3genE8ELNS1_11target_archE1030ELNS1_3gpuE2ELNS1_3repE0EEENS1_30default_config_static_selectorELNS0_4arch9wavefront6targetE0EEEvT1_
	.p2align	8
	.type	_ZN7rocprim17ROCPRIM_400000_NS6detail17trampoline_kernelINS0_14default_configENS1_27scan_by_key_config_selectorIiiEEZZNS1_16scan_by_key_implILNS1_25lookback_scan_determinismE0ELb1ES3_N6thrust23THRUST_200600_302600_NS6detail15normal_iteratorINS9_10device_ptrIiEEEESE_SE_iNS9_4plusIvEENS9_8equal_toIiEEiEE10hipError_tPvRmT2_T3_T4_T5_mT6_T7_P12ihipStream_tbENKUlT_T0_E_clISt17integral_constantIbLb1EESY_IbLb0EEEEDaSU_SV_EUlSU_E_NS1_11comp_targetILNS1_3genE8ELNS1_11target_archE1030ELNS1_3gpuE2ELNS1_3repE0EEENS1_30default_config_static_selectorELNS0_4arch9wavefront6targetE0EEEvT1_,@function
_ZN7rocprim17ROCPRIM_400000_NS6detail17trampoline_kernelINS0_14default_configENS1_27scan_by_key_config_selectorIiiEEZZNS1_16scan_by_key_implILNS1_25lookback_scan_determinismE0ELb1ES3_N6thrust23THRUST_200600_302600_NS6detail15normal_iteratorINS9_10device_ptrIiEEEESE_SE_iNS9_4plusIvEENS9_8equal_toIiEEiEE10hipError_tPvRmT2_T3_T4_T5_mT6_T7_P12ihipStream_tbENKUlT_T0_E_clISt17integral_constantIbLb1EESY_IbLb0EEEEDaSU_SV_EUlSU_E_NS1_11comp_targetILNS1_3genE8ELNS1_11target_archE1030ELNS1_3gpuE2ELNS1_3repE0EEENS1_30default_config_static_selectorELNS0_4arch9wavefront6targetE0EEEvT1_: ; @_ZN7rocprim17ROCPRIM_400000_NS6detail17trampoline_kernelINS0_14default_configENS1_27scan_by_key_config_selectorIiiEEZZNS1_16scan_by_key_implILNS1_25lookback_scan_determinismE0ELb1ES3_N6thrust23THRUST_200600_302600_NS6detail15normal_iteratorINS9_10device_ptrIiEEEESE_SE_iNS9_4plusIvEENS9_8equal_toIiEEiEE10hipError_tPvRmT2_T3_T4_T5_mT6_T7_P12ihipStream_tbENKUlT_T0_E_clISt17integral_constantIbLb1EESY_IbLb0EEEEDaSU_SV_EUlSU_E_NS1_11comp_targetILNS1_3genE8ELNS1_11target_archE1030ELNS1_3gpuE2ELNS1_3repE0EEENS1_30default_config_static_selectorELNS0_4arch9wavefront6targetE0EEEvT1_
; %bb.0:
	.section	.rodata,"a",@progbits
	.p2align	6, 0x0
	.amdhsa_kernel _ZN7rocprim17ROCPRIM_400000_NS6detail17trampoline_kernelINS0_14default_configENS1_27scan_by_key_config_selectorIiiEEZZNS1_16scan_by_key_implILNS1_25lookback_scan_determinismE0ELb1ES3_N6thrust23THRUST_200600_302600_NS6detail15normal_iteratorINS9_10device_ptrIiEEEESE_SE_iNS9_4plusIvEENS9_8equal_toIiEEiEE10hipError_tPvRmT2_T3_T4_T5_mT6_T7_P12ihipStream_tbENKUlT_T0_E_clISt17integral_constantIbLb1EESY_IbLb0EEEEDaSU_SV_EUlSU_E_NS1_11comp_targetILNS1_3genE8ELNS1_11target_archE1030ELNS1_3gpuE2ELNS1_3repE0EEENS1_30default_config_static_selectorELNS0_4arch9wavefront6targetE0EEEvT1_
		.amdhsa_group_segment_fixed_size 0
		.amdhsa_private_segment_fixed_size 0
		.amdhsa_kernarg_size 112
		.amdhsa_user_sgpr_count 2
		.amdhsa_user_sgpr_dispatch_ptr 0
		.amdhsa_user_sgpr_queue_ptr 0
		.amdhsa_user_sgpr_kernarg_segment_ptr 1
		.amdhsa_user_sgpr_dispatch_id 0
		.amdhsa_user_sgpr_kernarg_preload_length 0
		.amdhsa_user_sgpr_kernarg_preload_offset 0
		.amdhsa_user_sgpr_private_segment_size 0
		.amdhsa_wavefront_size32 1
		.amdhsa_uses_dynamic_stack 0
		.amdhsa_enable_private_segment 0
		.amdhsa_system_sgpr_workgroup_id_x 1
		.amdhsa_system_sgpr_workgroup_id_y 0
		.amdhsa_system_sgpr_workgroup_id_z 0
		.amdhsa_system_sgpr_workgroup_info 0
		.amdhsa_system_vgpr_workitem_id 0
		.amdhsa_next_free_vgpr 1
		.amdhsa_next_free_sgpr 1
		.amdhsa_named_barrier_count 0
		.amdhsa_reserve_vcc 0
		.amdhsa_float_round_mode_32 0
		.amdhsa_float_round_mode_16_64 0
		.amdhsa_float_denorm_mode_32 3
		.amdhsa_float_denorm_mode_16_64 3
		.amdhsa_fp16_overflow 0
		.amdhsa_memory_ordered 1
		.amdhsa_forward_progress 1
		.amdhsa_inst_pref_size 0
		.amdhsa_round_robin_scheduling 0
		.amdhsa_exception_fp_ieee_invalid_op 0
		.amdhsa_exception_fp_denorm_src 0
		.amdhsa_exception_fp_ieee_div_zero 0
		.amdhsa_exception_fp_ieee_overflow 0
		.amdhsa_exception_fp_ieee_underflow 0
		.amdhsa_exception_fp_ieee_inexact 0
		.amdhsa_exception_int_div_zero 0
	.end_amdhsa_kernel
	.section	.text._ZN7rocprim17ROCPRIM_400000_NS6detail17trampoline_kernelINS0_14default_configENS1_27scan_by_key_config_selectorIiiEEZZNS1_16scan_by_key_implILNS1_25lookback_scan_determinismE0ELb1ES3_N6thrust23THRUST_200600_302600_NS6detail15normal_iteratorINS9_10device_ptrIiEEEESE_SE_iNS9_4plusIvEENS9_8equal_toIiEEiEE10hipError_tPvRmT2_T3_T4_T5_mT6_T7_P12ihipStream_tbENKUlT_T0_E_clISt17integral_constantIbLb1EESY_IbLb0EEEEDaSU_SV_EUlSU_E_NS1_11comp_targetILNS1_3genE8ELNS1_11target_archE1030ELNS1_3gpuE2ELNS1_3repE0EEENS1_30default_config_static_selectorELNS0_4arch9wavefront6targetE0EEEvT1_,"axG",@progbits,_ZN7rocprim17ROCPRIM_400000_NS6detail17trampoline_kernelINS0_14default_configENS1_27scan_by_key_config_selectorIiiEEZZNS1_16scan_by_key_implILNS1_25lookback_scan_determinismE0ELb1ES3_N6thrust23THRUST_200600_302600_NS6detail15normal_iteratorINS9_10device_ptrIiEEEESE_SE_iNS9_4plusIvEENS9_8equal_toIiEEiEE10hipError_tPvRmT2_T3_T4_T5_mT6_T7_P12ihipStream_tbENKUlT_T0_E_clISt17integral_constantIbLb1EESY_IbLb0EEEEDaSU_SV_EUlSU_E_NS1_11comp_targetILNS1_3genE8ELNS1_11target_archE1030ELNS1_3gpuE2ELNS1_3repE0EEENS1_30default_config_static_selectorELNS0_4arch9wavefront6targetE0EEEvT1_,comdat
.Lfunc_end559:
	.size	_ZN7rocprim17ROCPRIM_400000_NS6detail17trampoline_kernelINS0_14default_configENS1_27scan_by_key_config_selectorIiiEEZZNS1_16scan_by_key_implILNS1_25lookback_scan_determinismE0ELb1ES3_N6thrust23THRUST_200600_302600_NS6detail15normal_iteratorINS9_10device_ptrIiEEEESE_SE_iNS9_4plusIvEENS9_8equal_toIiEEiEE10hipError_tPvRmT2_T3_T4_T5_mT6_T7_P12ihipStream_tbENKUlT_T0_E_clISt17integral_constantIbLb1EESY_IbLb0EEEEDaSU_SV_EUlSU_E_NS1_11comp_targetILNS1_3genE8ELNS1_11target_archE1030ELNS1_3gpuE2ELNS1_3repE0EEENS1_30default_config_static_selectorELNS0_4arch9wavefront6targetE0EEEvT1_, .Lfunc_end559-_ZN7rocprim17ROCPRIM_400000_NS6detail17trampoline_kernelINS0_14default_configENS1_27scan_by_key_config_selectorIiiEEZZNS1_16scan_by_key_implILNS1_25lookback_scan_determinismE0ELb1ES3_N6thrust23THRUST_200600_302600_NS6detail15normal_iteratorINS9_10device_ptrIiEEEESE_SE_iNS9_4plusIvEENS9_8equal_toIiEEiEE10hipError_tPvRmT2_T3_T4_T5_mT6_T7_P12ihipStream_tbENKUlT_T0_E_clISt17integral_constantIbLb1EESY_IbLb0EEEEDaSU_SV_EUlSU_E_NS1_11comp_targetILNS1_3genE8ELNS1_11target_archE1030ELNS1_3gpuE2ELNS1_3repE0EEENS1_30default_config_static_selectorELNS0_4arch9wavefront6targetE0EEEvT1_
                                        ; -- End function
	.set _ZN7rocprim17ROCPRIM_400000_NS6detail17trampoline_kernelINS0_14default_configENS1_27scan_by_key_config_selectorIiiEEZZNS1_16scan_by_key_implILNS1_25lookback_scan_determinismE0ELb1ES3_N6thrust23THRUST_200600_302600_NS6detail15normal_iteratorINS9_10device_ptrIiEEEESE_SE_iNS9_4plusIvEENS9_8equal_toIiEEiEE10hipError_tPvRmT2_T3_T4_T5_mT6_T7_P12ihipStream_tbENKUlT_T0_E_clISt17integral_constantIbLb1EESY_IbLb0EEEEDaSU_SV_EUlSU_E_NS1_11comp_targetILNS1_3genE8ELNS1_11target_archE1030ELNS1_3gpuE2ELNS1_3repE0EEENS1_30default_config_static_selectorELNS0_4arch9wavefront6targetE0EEEvT1_.num_vgpr, 0
	.set _ZN7rocprim17ROCPRIM_400000_NS6detail17trampoline_kernelINS0_14default_configENS1_27scan_by_key_config_selectorIiiEEZZNS1_16scan_by_key_implILNS1_25lookback_scan_determinismE0ELb1ES3_N6thrust23THRUST_200600_302600_NS6detail15normal_iteratorINS9_10device_ptrIiEEEESE_SE_iNS9_4plusIvEENS9_8equal_toIiEEiEE10hipError_tPvRmT2_T3_T4_T5_mT6_T7_P12ihipStream_tbENKUlT_T0_E_clISt17integral_constantIbLb1EESY_IbLb0EEEEDaSU_SV_EUlSU_E_NS1_11comp_targetILNS1_3genE8ELNS1_11target_archE1030ELNS1_3gpuE2ELNS1_3repE0EEENS1_30default_config_static_selectorELNS0_4arch9wavefront6targetE0EEEvT1_.num_agpr, 0
	.set _ZN7rocprim17ROCPRIM_400000_NS6detail17trampoline_kernelINS0_14default_configENS1_27scan_by_key_config_selectorIiiEEZZNS1_16scan_by_key_implILNS1_25lookback_scan_determinismE0ELb1ES3_N6thrust23THRUST_200600_302600_NS6detail15normal_iteratorINS9_10device_ptrIiEEEESE_SE_iNS9_4plusIvEENS9_8equal_toIiEEiEE10hipError_tPvRmT2_T3_T4_T5_mT6_T7_P12ihipStream_tbENKUlT_T0_E_clISt17integral_constantIbLb1EESY_IbLb0EEEEDaSU_SV_EUlSU_E_NS1_11comp_targetILNS1_3genE8ELNS1_11target_archE1030ELNS1_3gpuE2ELNS1_3repE0EEENS1_30default_config_static_selectorELNS0_4arch9wavefront6targetE0EEEvT1_.numbered_sgpr, 0
	.set _ZN7rocprim17ROCPRIM_400000_NS6detail17trampoline_kernelINS0_14default_configENS1_27scan_by_key_config_selectorIiiEEZZNS1_16scan_by_key_implILNS1_25lookback_scan_determinismE0ELb1ES3_N6thrust23THRUST_200600_302600_NS6detail15normal_iteratorINS9_10device_ptrIiEEEESE_SE_iNS9_4plusIvEENS9_8equal_toIiEEiEE10hipError_tPvRmT2_T3_T4_T5_mT6_T7_P12ihipStream_tbENKUlT_T0_E_clISt17integral_constantIbLb1EESY_IbLb0EEEEDaSU_SV_EUlSU_E_NS1_11comp_targetILNS1_3genE8ELNS1_11target_archE1030ELNS1_3gpuE2ELNS1_3repE0EEENS1_30default_config_static_selectorELNS0_4arch9wavefront6targetE0EEEvT1_.num_named_barrier, 0
	.set _ZN7rocprim17ROCPRIM_400000_NS6detail17trampoline_kernelINS0_14default_configENS1_27scan_by_key_config_selectorIiiEEZZNS1_16scan_by_key_implILNS1_25lookback_scan_determinismE0ELb1ES3_N6thrust23THRUST_200600_302600_NS6detail15normal_iteratorINS9_10device_ptrIiEEEESE_SE_iNS9_4plusIvEENS9_8equal_toIiEEiEE10hipError_tPvRmT2_T3_T4_T5_mT6_T7_P12ihipStream_tbENKUlT_T0_E_clISt17integral_constantIbLb1EESY_IbLb0EEEEDaSU_SV_EUlSU_E_NS1_11comp_targetILNS1_3genE8ELNS1_11target_archE1030ELNS1_3gpuE2ELNS1_3repE0EEENS1_30default_config_static_selectorELNS0_4arch9wavefront6targetE0EEEvT1_.private_seg_size, 0
	.set _ZN7rocprim17ROCPRIM_400000_NS6detail17trampoline_kernelINS0_14default_configENS1_27scan_by_key_config_selectorIiiEEZZNS1_16scan_by_key_implILNS1_25lookback_scan_determinismE0ELb1ES3_N6thrust23THRUST_200600_302600_NS6detail15normal_iteratorINS9_10device_ptrIiEEEESE_SE_iNS9_4plusIvEENS9_8equal_toIiEEiEE10hipError_tPvRmT2_T3_T4_T5_mT6_T7_P12ihipStream_tbENKUlT_T0_E_clISt17integral_constantIbLb1EESY_IbLb0EEEEDaSU_SV_EUlSU_E_NS1_11comp_targetILNS1_3genE8ELNS1_11target_archE1030ELNS1_3gpuE2ELNS1_3repE0EEENS1_30default_config_static_selectorELNS0_4arch9wavefront6targetE0EEEvT1_.uses_vcc, 0
	.set _ZN7rocprim17ROCPRIM_400000_NS6detail17trampoline_kernelINS0_14default_configENS1_27scan_by_key_config_selectorIiiEEZZNS1_16scan_by_key_implILNS1_25lookback_scan_determinismE0ELb1ES3_N6thrust23THRUST_200600_302600_NS6detail15normal_iteratorINS9_10device_ptrIiEEEESE_SE_iNS9_4plusIvEENS9_8equal_toIiEEiEE10hipError_tPvRmT2_T3_T4_T5_mT6_T7_P12ihipStream_tbENKUlT_T0_E_clISt17integral_constantIbLb1EESY_IbLb0EEEEDaSU_SV_EUlSU_E_NS1_11comp_targetILNS1_3genE8ELNS1_11target_archE1030ELNS1_3gpuE2ELNS1_3repE0EEENS1_30default_config_static_selectorELNS0_4arch9wavefront6targetE0EEEvT1_.uses_flat_scratch, 0
	.set _ZN7rocprim17ROCPRIM_400000_NS6detail17trampoline_kernelINS0_14default_configENS1_27scan_by_key_config_selectorIiiEEZZNS1_16scan_by_key_implILNS1_25lookback_scan_determinismE0ELb1ES3_N6thrust23THRUST_200600_302600_NS6detail15normal_iteratorINS9_10device_ptrIiEEEESE_SE_iNS9_4plusIvEENS9_8equal_toIiEEiEE10hipError_tPvRmT2_T3_T4_T5_mT6_T7_P12ihipStream_tbENKUlT_T0_E_clISt17integral_constantIbLb1EESY_IbLb0EEEEDaSU_SV_EUlSU_E_NS1_11comp_targetILNS1_3genE8ELNS1_11target_archE1030ELNS1_3gpuE2ELNS1_3repE0EEENS1_30default_config_static_selectorELNS0_4arch9wavefront6targetE0EEEvT1_.has_dyn_sized_stack, 0
	.set _ZN7rocprim17ROCPRIM_400000_NS6detail17trampoline_kernelINS0_14default_configENS1_27scan_by_key_config_selectorIiiEEZZNS1_16scan_by_key_implILNS1_25lookback_scan_determinismE0ELb1ES3_N6thrust23THRUST_200600_302600_NS6detail15normal_iteratorINS9_10device_ptrIiEEEESE_SE_iNS9_4plusIvEENS9_8equal_toIiEEiEE10hipError_tPvRmT2_T3_T4_T5_mT6_T7_P12ihipStream_tbENKUlT_T0_E_clISt17integral_constantIbLb1EESY_IbLb0EEEEDaSU_SV_EUlSU_E_NS1_11comp_targetILNS1_3genE8ELNS1_11target_archE1030ELNS1_3gpuE2ELNS1_3repE0EEENS1_30default_config_static_selectorELNS0_4arch9wavefront6targetE0EEEvT1_.has_recursion, 0
	.set _ZN7rocprim17ROCPRIM_400000_NS6detail17trampoline_kernelINS0_14default_configENS1_27scan_by_key_config_selectorIiiEEZZNS1_16scan_by_key_implILNS1_25lookback_scan_determinismE0ELb1ES3_N6thrust23THRUST_200600_302600_NS6detail15normal_iteratorINS9_10device_ptrIiEEEESE_SE_iNS9_4plusIvEENS9_8equal_toIiEEiEE10hipError_tPvRmT2_T3_T4_T5_mT6_T7_P12ihipStream_tbENKUlT_T0_E_clISt17integral_constantIbLb1EESY_IbLb0EEEEDaSU_SV_EUlSU_E_NS1_11comp_targetILNS1_3genE8ELNS1_11target_archE1030ELNS1_3gpuE2ELNS1_3repE0EEENS1_30default_config_static_selectorELNS0_4arch9wavefront6targetE0EEEvT1_.has_indirect_call, 0
	.section	.AMDGPU.csdata,"",@progbits
; Kernel info:
; codeLenInByte = 0
; TotalNumSgprs: 0
; NumVgprs: 0
; ScratchSize: 0
; MemoryBound: 0
; FloatMode: 240
; IeeeMode: 1
; LDSByteSize: 0 bytes/workgroup (compile time only)
; SGPRBlocks: 0
; VGPRBlocks: 0
; NumSGPRsForWavesPerEU: 1
; NumVGPRsForWavesPerEU: 1
; NamedBarCnt: 0
; Occupancy: 16
; WaveLimiterHint : 0
; COMPUTE_PGM_RSRC2:SCRATCH_EN: 0
; COMPUTE_PGM_RSRC2:USER_SGPR: 2
; COMPUTE_PGM_RSRC2:TRAP_HANDLER: 0
; COMPUTE_PGM_RSRC2:TGID_X_EN: 1
; COMPUTE_PGM_RSRC2:TGID_Y_EN: 0
; COMPUTE_PGM_RSRC2:TGID_Z_EN: 0
; COMPUTE_PGM_RSRC2:TIDIG_COMP_CNT: 0
	.section	.text._ZN7rocprim17ROCPRIM_400000_NS6detail17trampoline_kernelINS0_14default_configENS1_27scan_by_key_config_selectorIiiEEZZNS1_16scan_by_key_implILNS1_25lookback_scan_determinismE0ELb1ES3_N6thrust23THRUST_200600_302600_NS6detail15normal_iteratorINS9_10device_ptrIiEEEESE_SE_iNS9_4plusIvEENS9_8equal_toIiEEiEE10hipError_tPvRmT2_T3_T4_T5_mT6_T7_P12ihipStream_tbENKUlT_T0_E_clISt17integral_constantIbLb0EESY_IbLb1EEEEDaSU_SV_EUlSU_E_NS1_11comp_targetILNS1_3genE0ELNS1_11target_archE4294967295ELNS1_3gpuE0ELNS1_3repE0EEENS1_30default_config_static_selectorELNS0_4arch9wavefront6targetE0EEEvT1_,"axG",@progbits,_ZN7rocprim17ROCPRIM_400000_NS6detail17trampoline_kernelINS0_14default_configENS1_27scan_by_key_config_selectorIiiEEZZNS1_16scan_by_key_implILNS1_25lookback_scan_determinismE0ELb1ES3_N6thrust23THRUST_200600_302600_NS6detail15normal_iteratorINS9_10device_ptrIiEEEESE_SE_iNS9_4plusIvEENS9_8equal_toIiEEiEE10hipError_tPvRmT2_T3_T4_T5_mT6_T7_P12ihipStream_tbENKUlT_T0_E_clISt17integral_constantIbLb0EESY_IbLb1EEEEDaSU_SV_EUlSU_E_NS1_11comp_targetILNS1_3genE0ELNS1_11target_archE4294967295ELNS1_3gpuE0ELNS1_3repE0EEENS1_30default_config_static_selectorELNS0_4arch9wavefront6targetE0EEEvT1_,comdat
	.protected	_ZN7rocprim17ROCPRIM_400000_NS6detail17trampoline_kernelINS0_14default_configENS1_27scan_by_key_config_selectorIiiEEZZNS1_16scan_by_key_implILNS1_25lookback_scan_determinismE0ELb1ES3_N6thrust23THRUST_200600_302600_NS6detail15normal_iteratorINS9_10device_ptrIiEEEESE_SE_iNS9_4plusIvEENS9_8equal_toIiEEiEE10hipError_tPvRmT2_T3_T4_T5_mT6_T7_P12ihipStream_tbENKUlT_T0_E_clISt17integral_constantIbLb0EESY_IbLb1EEEEDaSU_SV_EUlSU_E_NS1_11comp_targetILNS1_3genE0ELNS1_11target_archE4294967295ELNS1_3gpuE0ELNS1_3repE0EEENS1_30default_config_static_selectorELNS0_4arch9wavefront6targetE0EEEvT1_ ; -- Begin function _ZN7rocprim17ROCPRIM_400000_NS6detail17trampoline_kernelINS0_14default_configENS1_27scan_by_key_config_selectorIiiEEZZNS1_16scan_by_key_implILNS1_25lookback_scan_determinismE0ELb1ES3_N6thrust23THRUST_200600_302600_NS6detail15normal_iteratorINS9_10device_ptrIiEEEESE_SE_iNS9_4plusIvEENS9_8equal_toIiEEiEE10hipError_tPvRmT2_T3_T4_T5_mT6_T7_P12ihipStream_tbENKUlT_T0_E_clISt17integral_constantIbLb0EESY_IbLb1EEEEDaSU_SV_EUlSU_E_NS1_11comp_targetILNS1_3genE0ELNS1_11target_archE4294967295ELNS1_3gpuE0ELNS1_3repE0EEENS1_30default_config_static_selectorELNS0_4arch9wavefront6targetE0EEEvT1_
	.globl	_ZN7rocprim17ROCPRIM_400000_NS6detail17trampoline_kernelINS0_14default_configENS1_27scan_by_key_config_selectorIiiEEZZNS1_16scan_by_key_implILNS1_25lookback_scan_determinismE0ELb1ES3_N6thrust23THRUST_200600_302600_NS6detail15normal_iteratorINS9_10device_ptrIiEEEESE_SE_iNS9_4plusIvEENS9_8equal_toIiEEiEE10hipError_tPvRmT2_T3_T4_T5_mT6_T7_P12ihipStream_tbENKUlT_T0_E_clISt17integral_constantIbLb0EESY_IbLb1EEEEDaSU_SV_EUlSU_E_NS1_11comp_targetILNS1_3genE0ELNS1_11target_archE4294967295ELNS1_3gpuE0ELNS1_3repE0EEENS1_30default_config_static_selectorELNS0_4arch9wavefront6targetE0EEEvT1_
	.p2align	8
	.type	_ZN7rocprim17ROCPRIM_400000_NS6detail17trampoline_kernelINS0_14default_configENS1_27scan_by_key_config_selectorIiiEEZZNS1_16scan_by_key_implILNS1_25lookback_scan_determinismE0ELb1ES3_N6thrust23THRUST_200600_302600_NS6detail15normal_iteratorINS9_10device_ptrIiEEEESE_SE_iNS9_4plusIvEENS9_8equal_toIiEEiEE10hipError_tPvRmT2_T3_T4_T5_mT6_T7_P12ihipStream_tbENKUlT_T0_E_clISt17integral_constantIbLb0EESY_IbLb1EEEEDaSU_SV_EUlSU_E_NS1_11comp_targetILNS1_3genE0ELNS1_11target_archE4294967295ELNS1_3gpuE0ELNS1_3repE0EEENS1_30default_config_static_selectorELNS0_4arch9wavefront6targetE0EEEvT1_,@function
_ZN7rocprim17ROCPRIM_400000_NS6detail17trampoline_kernelINS0_14default_configENS1_27scan_by_key_config_selectorIiiEEZZNS1_16scan_by_key_implILNS1_25lookback_scan_determinismE0ELb1ES3_N6thrust23THRUST_200600_302600_NS6detail15normal_iteratorINS9_10device_ptrIiEEEESE_SE_iNS9_4plusIvEENS9_8equal_toIiEEiEE10hipError_tPvRmT2_T3_T4_T5_mT6_T7_P12ihipStream_tbENKUlT_T0_E_clISt17integral_constantIbLb0EESY_IbLb1EEEEDaSU_SV_EUlSU_E_NS1_11comp_targetILNS1_3genE0ELNS1_11target_archE4294967295ELNS1_3gpuE0ELNS1_3repE0EEENS1_30default_config_static_selectorELNS0_4arch9wavefront6targetE0EEEvT1_: ; @_ZN7rocprim17ROCPRIM_400000_NS6detail17trampoline_kernelINS0_14default_configENS1_27scan_by_key_config_selectorIiiEEZZNS1_16scan_by_key_implILNS1_25lookback_scan_determinismE0ELb1ES3_N6thrust23THRUST_200600_302600_NS6detail15normal_iteratorINS9_10device_ptrIiEEEESE_SE_iNS9_4plusIvEENS9_8equal_toIiEEiEE10hipError_tPvRmT2_T3_T4_T5_mT6_T7_P12ihipStream_tbENKUlT_T0_E_clISt17integral_constantIbLb0EESY_IbLb1EEEEDaSU_SV_EUlSU_E_NS1_11comp_targetILNS1_3genE0ELNS1_11target_archE4294967295ELNS1_3gpuE0ELNS1_3repE0EEENS1_30default_config_static_selectorELNS0_4arch9wavefront6targetE0EEEvT1_
; %bb.0:
	s_clause 0x2
	s_load_b32 s33, s[0:1], 0x20
	s_load_b128 s[20:23], s[0:1], 0x28
	s_load_b64 s[30:31], s[0:1], 0x38
	v_cmp_ne_u32_e64 s3, 0, v0
	v_cmp_eq_u32_e64 s2, 0, v0
	s_and_saveexec_b32 s4, s2
	s_cbranch_execz .LBB560_4
; %bb.1:
	s_mov_b32 s6, exec_lo
	s_mov_b32 s5, exec_lo
	v_mbcnt_lo_u32_b32 v1, s6, 0
                                        ; implicit-def: $vgpr2
	s_delay_alu instid0(VALU_DEP_1)
	v_cmpx_eq_u32_e32 0, v1
	s_cbranch_execz .LBB560_3
; %bb.2:
	s_load_b64 s[8:9], s[0:1], 0x68
	s_bcnt1_i32_b32 s6, s6
	s_delay_alu instid0(SALU_CYCLE_1)
	v_dual_mov_b32 v2, 0 :: v_dual_mov_b32 v3, s6
	s_wait_xcnt 0x0
	s_wait_kmcnt 0x0
	global_atomic_add_u32 v2, v2, v3, s[8:9] th:TH_ATOMIC_RETURN scope:SCOPE_DEV
.LBB560_3:
	s_wait_xcnt 0x0
	s_or_b32 exec_lo, exec_lo, s5
	s_wait_loadcnt 0x0
	v_readfirstlane_b32 s5, v2
	s_delay_alu instid0(VALU_DEP_1)
	v_dual_mov_b32 v2, 0 :: v_dual_add_nc_u32 v1, s5, v1
	ds_store_b32 v2, v1
.LBB560_4:
	s_or_b32 exec_lo, exec_lo, s4
	v_mov_b32_e32 v3, 0
	s_clause 0x2
	s_load_b256 s[12:19], s[0:1], 0x0
	s_load_b32 s4, s[0:1], 0x40
	s_load_b128 s[24:27], s[0:1], 0x48
	s_wait_dscnt 0x0
	s_barrier_signal -1
	s_barrier_wait -1
	ds_load_b32 v2, v3
	s_mov_b32 s5, 0
	s_wait_dscnt 0x0
	s_barrier_signal -1
	s_barrier_wait -1
	s_barrier_signal -1
	s_barrier_wait -1
	s_wait_kmcnt 0x0
	s_lshl_b64 s[28:29], s[14:15], 2
	s_mul_u64 s[0:1], s[30:31], s[4:5]
	s_add_nc_u64 s[10:11], s[24:25], -1
	s_add_nc_u64 s[6:7], s[12:13], s[28:29]
	s_add_nc_u64 s[8:9], s[16:17], s[28:29]
	s_mul_i32 s23, s10, 0xfffff400
	v_add_nc_u64_e32 v[4:5], s[0:1], v[2:3]
	v_readfirstlane_b32 s36, v2
	s_mul_i32 s4, s36, 0xc00
	v_cmp_le_u64_e64 s0, s[10:11], v[4:5]
	s_lshl_b64 s[16:17], s[4:5], 2
	s_delay_alu instid0(SALU_CYCLE_1)
	s_add_nc_u64 s[34:35], s[6:7], s[16:17]
	s_add_nc_u64 s[24:25], s[8:9], s[16:17]
	s_and_b32 vcc_lo, exec_lo, s0
	s_cbranch_vccz .LBB560_70
; %bb.5:
	flat_load_b32 v1, v3, s[34:35]
	s_add_co_i32 s15, s23, s22
	s_delay_alu instid0(SALU_CYCLE_1)
	v_cmp_gt_u32_e32 vcc_lo, s15, v0
	s_wait_loadcnt_dscnt 0x0
	v_mov_b32_e32 v2, v1
	s_and_saveexec_b32 s1, vcc_lo
	s_cbranch_execz .LBB560_7
; %bb.6:
	flat_load_b32 v2, v0, s[34:35] scale_offset
.LBB560_7:
	s_wait_xcnt 0x0
	s_or_b32 exec_lo, exec_lo, s1
	v_or_b32_e32 v3, 0x100, v0
	s_delay_alu instid0(VALU_DEP_1)
	v_cmp_gt_u32_e64 s1, s15, v3
	v_mov_b32_e32 v3, v1
	s_and_saveexec_b32 s4, s1
	s_cbranch_execz .LBB560_9
; %bb.8:
	flat_load_b32 v3, v0, s[34:35] offset:1024 scale_offset
.LBB560_9:
	s_wait_xcnt 0x0
	s_or_b32 exec_lo, exec_lo, s4
	v_or_b32_e32 v4, 0x200, v0
	s_delay_alu instid0(VALU_DEP_1)
	v_cmp_gt_u32_e64 s4, s15, v4
	v_mov_b32_e32 v4, v1
	s_and_saveexec_b32 s5, s4
	s_cbranch_execz .LBB560_11
; %bb.10:
	flat_load_b32 v4, v0, s[34:35] offset:2048 scale_offset
.LBB560_11:
	;; [unrolled: 11-line block ×10, first 2 shown]
	s_wait_xcnt 0x0
	s_or_b32 exec_lo, exec_lo, s13
	v_or_b32_e32 v13, 0xb00, v0
	s_delay_alu instid0(VALU_DEP_1) | instskip(SKIP_2) | instid1(SALU_CYCLE_1)
	v_cmp_gt_u32_e64 s13, s15, v13
	v_cmp_le_u32_e64 s14, s15, v13
	s_and_saveexec_b32 s37, s14
	s_xor_b32 s14, exec_lo, s37
	s_delay_alu instid0(SALU_CYCLE_1)
	s_and_not1_saveexec_b32 s14, s14
	s_cbranch_execz .LBB560_29
; %bb.28:
	flat_load_b32 v1, v0, s[34:35] offset:11264 scale_offset
.LBB560_29:
	s_wait_xcnt 0x0
	s_or_b32 exec_lo, exec_lo, s14
	v_lshlrev_b32_e32 v14, 2, v0
	s_mov_b32 s37, exec_lo
	s_wait_loadcnt_dscnt 0x0
	ds_store_2addr_stride64_b32 v14, v2, v3 offset1:4
	ds_store_2addr_stride64_b32 v14, v4, v5 offset0:8 offset1:12
	ds_store_2addr_stride64_b32 v14, v6, v7 offset0:16 offset1:20
	;; [unrolled: 1-line block ×5, first 2 shown]
	v_mov_b32_e32 v1, 0
	s_wait_dscnt 0x0
	s_barrier_signal -1
	s_barrier_wait -1
	flat_load_b32 v38, v1, s[34:35]
	s_wait_xcnt 0x0
	v_mad_u32_u24 v1, v0, 44, v14
	ds_load_b128 v[10:13], v1
	ds_load_b128 v[6:9], v1 offset:16
	ds_load_b128 v[2:5], v1 offset:32
	v_mad_i32_i24 v15, 0xffffffd4, v0, v1
	s_wait_dscnt 0x2
	ds_store_b32 v15, v10 offset:13312
	s_wait_loadcnt_dscnt 0x0
	s_barrier_signal -1
	s_barrier_wait -1
	v_cmpx_ne_u32_e32 0xff, v0
; %bb.30:
	v_mul_i32_i24_e32 v15, 0xffffffd4, v0
	s_delay_alu instid0(VALU_DEP_1)
	v_add_nc_u32_e32 v15, v1, v15
	ds_load_b32 v38, v15 offset:13316
; %bb.31:
	s_or_b32 exec_lo, exec_lo, s37
	s_wait_dscnt 0x0
	s_barrier_signal -1
	s_barrier_wait -1
                                        ; implicit-def: $vgpr15
	s_and_saveexec_b32 s14, vcc_lo
	s_cbranch_execz .LBB560_106
; %bb.32:
	flat_load_b32 v15, v0, s[24:25] scale_offset
	s_wait_xcnt 0x0
	s_or_b32 exec_lo, exec_lo, s14
                                        ; implicit-def: $vgpr16
	s_and_saveexec_b32 s14, s1
	s_cbranch_execnz .LBB560_107
.LBB560_33:
	s_or_b32 exec_lo, exec_lo, s14
                                        ; implicit-def: $vgpr17
	s_and_saveexec_b32 s1, s4
	s_cbranch_execz .LBB560_108
.LBB560_34:
	flat_load_b32 v17, v0, s[24:25] offset:2048 scale_offset
	s_wait_xcnt 0x0
	s_or_b32 exec_lo, exec_lo, s1
                                        ; implicit-def: $vgpr18
	s_and_saveexec_b32 s1, s5
	s_cbranch_execnz .LBB560_109
.LBB560_35:
	s_or_b32 exec_lo, exec_lo, s1
                                        ; implicit-def: $vgpr19
	s_and_saveexec_b32 s1, s6
	s_cbranch_execz .LBB560_110
.LBB560_36:
	flat_load_b32 v19, v0, s[24:25] offset:4096 scale_offset
	s_wait_xcnt 0x0
	s_or_b32 exec_lo, exec_lo, s1
                                        ; implicit-def: $vgpr20
	s_and_saveexec_b32 s1, s7
	s_cbranch_execnz .LBB560_111
.LBB560_37:
	s_or_b32 exec_lo, exec_lo, s1
                                        ; implicit-def: $vgpr21
	s_and_saveexec_b32 s1, s8
	s_cbranch_execz .LBB560_112
.LBB560_38:
	flat_load_b32 v21, v0, s[24:25] offset:6144 scale_offset
	s_wait_xcnt 0x0
	s_or_b32 exec_lo, exec_lo, s1
                                        ; implicit-def: $vgpr22
	s_and_saveexec_b32 s1, s9
	s_cbranch_execnz .LBB560_113
.LBB560_39:
	s_or_b32 exec_lo, exec_lo, s1
                                        ; implicit-def: $vgpr23
	s_and_saveexec_b32 s1, s10
	s_cbranch_execz .LBB560_114
.LBB560_40:
	flat_load_b32 v23, v0, s[24:25] offset:8192 scale_offset
	s_wait_xcnt 0x0
	s_or_b32 exec_lo, exec_lo, s1
                                        ; implicit-def: $vgpr24
	s_and_saveexec_b32 s1, s11
	s_cbranch_execnz .LBB560_115
.LBB560_41:
	s_or_b32 exec_lo, exec_lo, s1
                                        ; implicit-def: $vgpr25
	s_and_saveexec_b32 s1, s12
	s_cbranch_execz .LBB560_43
.LBB560_42:
	flat_load_b32 v25, v0, s[24:25] offset:10240 scale_offset
.LBB560_43:
	s_wait_xcnt 0x0
	s_or_b32 exec_lo, exec_lo, s1
	v_mul_u32_u24_e32 v39, 12, v0
                                        ; implicit-def: $vgpr26
	s_and_saveexec_b32 s1, s13
	s_cbranch_execz .LBB560_45
; %bb.44:
	flat_load_b32 v26, v0, s[24:25] offset:11264 scale_offset
.LBB560_45:
	s_wait_xcnt 0x0
	s_or_b32 exec_lo, exec_lo, s1
	s_wait_loadcnt_dscnt 0x0
	ds_store_2addr_stride64_b32 v14, v15, v16 offset1:4
	ds_store_2addr_stride64_b32 v14, v17, v18 offset0:8 offset1:12
	ds_store_2addr_stride64_b32 v14, v19, v20 offset0:16 offset1:20
	;; [unrolled: 1-line block ×5, first 2 shown]
	v_mov_b64_e32 v[14:15], 0
	v_mov_b64_e32 v[42:43], 0
	v_mov_b64_e32 v[40:41], 0
	v_mov_b64_e32 v[44:45], 0
	v_mov_b64_e32 v[46:47], 0
	v_mov_b64_e32 v[48:49], 0
	v_mov_b64_e32 v[50:51], 0
	v_mov_b64_e32 v[52:53], 0
	v_mov_b64_e32 v[54:55], 0
	v_mov_b64_e32 v[56:57], 0
	v_mov_b64_e32 v[58:59], 0
	v_mov_b64_e32 v[36:37], 0
	v_mov_b64_e32 v[34:35], 0
	v_mov_b64_e32 v[32:33], 0
	v_mov_b64_e32 v[30:31], 0
	v_mov_b64_e32 v[28:29], 0
	v_mov_b64_e32 v[26:27], 0
	v_mov_b64_e32 v[24:25], 0
	v_mov_b64_e32 v[22:23], 0
	v_mov_b64_e32 v[20:21], 0
	v_mov_b64_e32 v[18:19], 0
	s_mov_b32 s1, 0
	s_mov_b32 s5, 0
	s_mov_b32 s4, exec_lo
	s_wait_dscnt 0x0
	s_barrier_signal -1
	s_barrier_wait -1
                                        ; implicit-def: $sgpr6
                                        ; implicit-def: $vgpr60
	v_cmpx_gt_u32_e64 s15, v39
	s_cbranch_execz .LBB560_69
; %bb.46:
	ds_load_b32 v14, v1
	v_cmp_eq_u32_e32 vcc_lo, v10, v11
	v_or_b32_e32 v16, 1, v39
	v_mov_b64_e32 v[42:43], 0
	v_mov_b64_e32 v[40:41], 0
	;; [unrolled: 1-line block ×17, first 2 shown]
	s_wait_dscnt 0x0
	v_cndmask_b32_e32 v14, s33, v14, vcc_lo
	v_cmp_ne_u32_e32 vcc_lo, v10, v11
	v_mov_b64_e32 v[20:21], 0
	v_mov_b64_e32 v[18:19], 0
	s_mov_b32 s7, 0
	s_mov_b32 s5, exec_lo
	v_cndmask_b32_e64 v15, 0, 1, vcc_lo
                                        ; implicit-def: $sgpr6
                                        ; implicit-def: $vgpr60
	v_cmpx_gt_u32_e64 s15, v16
	s_cbranch_execz .LBB560_68
; %bb.47:
	ds_load_2addr_b32 v[16:17], v1 offset0:1 offset1:2
	v_cmp_eq_u32_e32 vcc_lo, v11, v12
	v_or_b32_e32 v10, 2, v39
	v_mov_b64_e32 v[40:41], 0
	v_mov_b64_e32 v[44:45], 0
	;; [unrolled: 1-line block ×17, first 2 shown]
	s_wait_dscnt 0x0
	v_cndmask_b32_e32 v42, s33, v16, vcc_lo
	v_cmp_ne_u32_e32 vcc_lo, v11, v12
	s_mov_b32 s8, 0
	s_mov_b32 s7, exec_lo
                                        ; implicit-def: $sgpr6
                                        ; implicit-def: $vgpr60
	v_cndmask_b32_e64 v43, 0, 1, vcc_lo
	v_cmpx_gt_u32_e64 s15, v10
	s_cbranch_execz .LBB560_67
; %bb.48:
	v_cmp_eq_u32_e32 vcc_lo, v12, v13
	v_mov_b64_e32 v[44:45], 0
	v_mov_b64_e32 v[46:47], 0
	;; [unrolled: 1-line block ×4, first 2 shown]
	v_dual_cndmask_b32 v40, s33, v17, vcc_lo :: v_dual_bitop2_b32 v10, 3, v39 bitop3:0x54
	v_cmp_ne_u32_e32 vcc_lo, v12, v13
	v_mov_b64_e32 v[52:53], 0
	v_mov_b64_e32 v[54:55], 0
	;; [unrolled: 1-line block ×11, first 2 shown]
	v_cndmask_b32_e64 v41, 0, 1, vcc_lo
	s_mov_b32 s9, 0
	s_mov_b32 s8, exec_lo
                                        ; implicit-def: $sgpr6
                                        ; implicit-def: $vgpr60
	v_cmpx_gt_u32_e64 s15, v10
	s_cbranch_execz .LBB560_66
; %bb.49:
	ds_load_2addr_b32 v[10:11], v1 offset0:3 offset1:4
	v_cmp_ne_u32_e32 vcc_lo, v13, v6
	v_mov_b64_e32 v[46:47], 0
	v_mov_b64_e32 v[48:49], 0
	;; [unrolled: 1-line block ×4, first 2 shown]
	v_cndmask_b32_e64 v45, 0, 1, vcc_lo
	v_cmp_eq_u32_e32 vcc_lo, v13, v6
	v_mov_b64_e32 v[54:55], 0
	v_mov_b64_e32 v[56:57], 0
	;; [unrolled: 1-line block ×9, first 2 shown]
	v_add_nc_u32_e32 v12, 4, v39
	s_mov_b32 s10, 0
	s_mov_b32 s9, exec_lo
	s_wait_dscnt 0x0
	v_cndmask_b32_e32 v44, s33, v10, vcc_lo
                                        ; implicit-def: $sgpr6
                                        ; implicit-def: $vgpr60
	v_cmpx_gt_u32_e64 s15, v12
	s_cbranch_execz .LBB560_65
; %bb.50:
	v_cmp_eq_u32_e32 vcc_lo, v6, v7
	v_mov_b64_e32 v[48:49], 0
	v_mov_b64_e32 v[50:51], 0
	;; [unrolled: 1-line block ×4, first 2 shown]
	v_cndmask_b32_e32 v46, s33, v11, vcc_lo
	v_cmp_ne_u32_e32 vcc_lo, v6, v7
	v_mov_b64_e32 v[56:57], 0
	v_mov_b64_e32 v[58:59], 0
	;; [unrolled: 1-line block ×7, first 2 shown]
	v_add_nc_u32_e32 v10, 5, v39
	v_cndmask_b32_e64 v47, 0, 1, vcc_lo
	s_mov_b32 s11, 0
	s_mov_b32 s10, exec_lo
                                        ; implicit-def: $sgpr6
                                        ; implicit-def: $vgpr60
	s_delay_alu instid0(VALU_DEP_2)
	v_cmpx_gt_u32_e64 s15, v10
	s_cbranch_execz .LBB560_64
; %bb.51:
	ds_load_2addr_b32 v[10:11], v1 offset0:5 offset1:6
	v_cmp_ne_u32_e32 vcc_lo, v7, v8
	v_mov_b64_e32 v[50:51], 0
	v_mov_b64_e32 v[52:53], 0
	;; [unrolled: 1-line block ×4, first 2 shown]
	v_cndmask_b32_e64 v49, 0, 1, vcc_lo
	v_cmp_eq_u32_e32 vcc_lo, v7, v8
	v_mov_b64_e32 v[58:59], 0
	v_mov_b64_e32 v[24:25], 0
	;; [unrolled: 1-line block ×5, first 2 shown]
	v_add_nc_u32_e32 v6, 6, v39
	s_mov_b32 s12, 0
	s_mov_b32 s11, exec_lo
                                        ; implicit-def: $sgpr6
                                        ; implicit-def: $vgpr60
	s_wait_dscnt 0x0
	v_cndmask_b32_e32 v48, s33, v10, vcc_lo
	v_cmpx_gt_u32_e64 s15, v6
	s_cbranch_execz .LBB560_63
; %bb.52:
	v_cmp_eq_u32_e32 vcc_lo, v8, v9
	v_mov_b64_e32 v[52:53], 0
	v_mov_b64_e32 v[54:55], 0
	;; [unrolled: 1-line block ×4, first 2 shown]
	v_cndmask_b32_e32 v50, s33, v11, vcc_lo
	v_cmp_ne_u32_e32 vcc_lo, v8, v9
	v_mov_b64_e32 v[22:23], 0
	v_mov_b64_e32 v[20:21], 0
	;; [unrolled: 1-line block ×3, first 2 shown]
	v_add_nc_u32_e32 v6, 7, v39
	v_cndmask_b32_e64 v51, 0, 1, vcc_lo
	s_mov_b32 s13, 0
	s_mov_b32 s12, exec_lo
                                        ; implicit-def: $sgpr6
                                        ; implicit-def: $vgpr60
	s_delay_alu instid0(VALU_DEP_2)
	v_cmpx_gt_u32_e64 s15, v6
	s_cbranch_execz .LBB560_62
; %bb.53:
	ds_load_2addr_b32 v[6:7], v1 offset0:7 offset1:8
	v_cmp_ne_u32_e32 vcc_lo, v9, v2
	v_mov_b64_e32 v[54:55], 0
	v_mov_b64_e32 v[56:57], 0
	;; [unrolled: 1-line block ×4, first 2 shown]
	v_cndmask_b32_e64 v53, 0, 1, vcc_lo
	v_cmp_eq_u32_e32 vcc_lo, v9, v2
	v_mov_b64_e32 v[18:19], 0
	v_add_nc_u32_e32 v8, 8, v39
	s_mov_b32 s14, 0
	s_mov_b32 s13, exec_lo
                                        ; implicit-def: $sgpr6
                                        ; implicit-def: $vgpr60
	s_wait_dscnt 0x0
	v_cndmask_b32_e32 v52, s33, v6, vcc_lo
	v_cmpx_gt_u32_e64 s15, v8
	s_cbranch_execz .LBB560_61
; %bb.54:
	v_cmp_eq_u32_e32 vcc_lo, v2, v3
	v_mov_b64_e32 v[56:57], 0
	v_mov_b64_e32 v[58:59], 0
	;; [unrolled: 1-line block ×3, first 2 shown]
	v_add_nc_u32_e32 v6, 9, v39
	v_cndmask_b32_e32 v54, s33, v7, vcc_lo
	v_cmp_ne_u32_e32 vcc_lo, v2, v3
	s_mov_b32 s37, 0
	s_mov_b32 s14, exec_lo
                                        ; implicit-def: $sgpr6
                                        ; implicit-def: $vgpr60
	v_cndmask_b32_e64 v55, 0, 1, vcc_lo
	v_cmpx_gt_u32_e64 s15, v6
	s_cbranch_execz .LBB560_60
; %bb.55:
	ds_load_2addr_b32 v[6:7], v1 offset0:9 offset1:10
	v_cmp_ne_u32_e32 vcc_lo, v3, v4
	v_mov_b64_e32 v[58:59], 0
	s_mov_b32 s38, 0
	s_mov_b32 s37, exec_lo
                                        ; implicit-def: $sgpr6
                                        ; implicit-def: $vgpr60
	v_cndmask_b32_e64 v57, 0, 1, vcc_lo
	v_cmp_eq_u32_e32 vcc_lo, v3, v4
	s_wait_dscnt 0x0
	v_dual_add_nc_u32 v2, 10, v39 :: v_dual_cndmask_b32 v56, s33, v6, vcc_lo
	s_delay_alu instid0(VALU_DEP_1)
	v_cmpx_gt_u32_e64 s15, v2
	s_cbranch_execz .LBB560_59
; %bb.56:
	v_cmp_eq_u32_e32 vcc_lo, v4, v5
	v_add_nc_u32_e32 v2, 11, v39
                                        ; implicit-def: $sgpr6
                                        ; implicit-def: $vgpr60
	v_cndmask_b32_e32 v58, s33, v7, vcc_lo
	v_cmp_ne_u32_e32 vcc_lo, v4, v5
	v_cndmask_b32_e64 v59, 0, 1, vcc_lo
	s_delay_alu instid0(VALU_DEP_4) | instskip(SKIP_2) | instid1(SALU_CYCLE_1)
	v_cmp_gt_u32_e32 vcc_lo, s15, v2
	s_mov_b32 s15, 0
	s_and_saveexec_b32 s38, vcc_lo
	s_xor_b32 s38, exec_lo, s38
	s_cbranch_execz .LBB560_58
; %bb.57:
	ds_load_b32 v1, v1 offset:44
	v_cmp_ne_u32_e64 s6, v5, v38
	s_mov_b32 s15, exec_lo
	s_wait_dscnt 0x0
	v_cndmask_b32_e64 v60, v1, s33, s6
.LBB560_58:
	s_or_b32 exec_lo, exec_lo, s38
	s_delay_alu instid0(SALU_CYCLE_1)
	s_and_b32 s38, s15, exec_lo
.LBB560_59:
	s_or_b32 exec_lo, exec_lo, s37
	v_mov_b64_e32 v[18:19], v[58:59]
	s_and_b32 s37, s38, exec_lo
.LBB560_60:
	s_or_b32 exec_lo, exec_lo, s14
	v_mov_b64_e32 v[20:21], v[56:57]
	s_and_b32 s14, s37, exec_lo
.LBB560_61:
	s_or_b32 exec_lo, exec_lo, s13
	v_mov_b64_e32 v[22:23], v[54:55]
	s_and_b32 s13, s14, exec_lo
.LBB560_62:
	s_or_b32 exec_lo, exec_lo, s12
	v_mov_b64_e32 v[24:25], v[52:53]
	s_and_b32 s12, s13, exec_lo
.LBB560_63:
	s_or_b32 exec_lo, exec_lo, s11
	v_mov_b64_e32 v[26:27], v[50:51]
	s_and_b32 s11, s12, exec_lo
.LBB560_64:
	s_or_b32 exec_lo, exec_lo, s10
	v_mov_b64_e32 v[28:29], v[48:49]
	s_and_b32 s10, s11, exec_lo
.LBB560_65:
	s_or_b32 exec_lo, exec_lo, s9
	v_mov_b64_e32 v[30:31], v[46:47]
	s_and_b32 s9, s10, exec_lo
.LBB560_66:
	s_or_b32 exec_lo, exec_lo, s8
	v_mov_b64_e32 v[32:33], v[44:45]
	s_and_b32 s8, s9, exec_lo
.LBB560_67:
	s_or_b32 exec_lo, exec_lo, s7
	v_mov_b64_e32 v[34:35], v[40:41]
	s_and_b32 s7, s8, exec_lo
.LBB560_68:
	s_or_b32 exec_lo, exec_lo, s5
	v_mov_b64_e32 v[36:37], v[42:43]
	s_and_b32 s5, s7, exec_lo
.LBB560_69:
	s_or_b32 exec_lo, exec_lo, s4
	v_lshlrev_b32_e32 v16, 2, v0
	s_and_b32 vcc_lo, exec_lo, s1
	s_cbranch_vccnz .LBB560_71
	s_branch .LBB560_76
.LBB560_70:
                                        ; implicit-def: $sgpr6
                                        ; implicit-def: $vgpr60
                                        ; implicit-def: $vgpr14_vgpr15
                                        ; implicit-def: $vgpr42_vgpr43
                                        ; implicit-def: $vgpr40_vgpr41
                                        ; implicit-def: $vgpr44_vgpr45
                                        ; implicit-def: $vgpr46_vgpr47
                                        ; implicit-def: $vgpr48_vgpr49
                                        ; implicit-def: $vgpr50_vgpr51
                                        ; implicit-def: $vgpr52_vgpr53
                                        ; implicit-def: $vgpr54_vgpr55
                                        ; implicit-def: $vgpr56_vgpr57
                                        ; implicit-def: $vgpr58_vgpr59
                                        ; implicit-def: $vgpr36_vgpr37
                                        ; implicit-def: $vgpr34_vgpr35
                                        ; implicit-def: $vgpr32_vgpr33
                                        ; implicit-def: $vgpr30_vgpr31
                                        ; implicit-def: $vgpr28_vgpr29
                                        ; implicit-def: $vgpr26_vgpr27
                                        ; implicit-def: $vgpr24_vgpr25
                                        ; implicit-def: $vgpr22_vgpr23
                                        ; implicit-def: $vgpr20_vgpr21
                                        ; implicit-def: $vgpr18_vgpr19
	v_lshlrev_b32_e32 v16, 2, v0
	s_cbranch_execz .LBB560_76
.LBB560_71:
	s_clause 0xb
	flat_load_b32 v1, v0, s[34:35] scale_offset
	flat_load_b32 v2, v0, s[34:35] offset:1024 scale_offset
	flat_load_b32 v3, v0, s[34:35] offset:2048 scale_offset
	;; [unrolled: 1-line block ×11, first 2 shown]
	v_mov_b32_e32 v13, 0
	v_mad_u32_u24 v28, v0, 44, v16
	s_mov_b32 s1, exec_lo
	s_wait_loadcnt_dscnt 0xa0a
	ds_store_2addr_stride64_b32 v16, v1, v2 offset1:4
	s_wait_loadcnt_dscnt 0x809
	ds_store_2addr_stride64_b32 v16, v3, v4 offset0:8 offset1:12
	s_wait_loadcnt_dscnt 0x608
	ds_store_2addr_stride64_b32 v16, v5, v6 offset0:16 offset1:20
	;; [unrolled: 2-line block ×5, first 2 shown]
	s_wait_dscnt 0x0
	s_barrier_signal -1
	s_barrier_wait -1
	flat_load_b32 v1, v13, s[34:35] offset:12288
	s_wait_xcnt 0x0
	ds_load_b128 v[10:13], v28
	ds_load_b128 v[6:9], v28 offset:16
	ds_load_b128 v[2:5], v28 offset:32
	v_mad_i32_i24 v14, 0xffffffd4, v0, v28
	s_wait_dscnt 0x2
	ds_store_b32 v14, v10 offset:13312
	s_wait_loadcnt_dscnt 0x0
	s_barrier_signal -1
	s_barrier_wait -1
	v_cmpx_ne_u32_e32 0xff, v0
; %bb.72:
	v_mul_i32_i24_e32 v1, 0xffffffd4, v0
	s_delay_alu instid0(VALU_DEP_1)
	v_add_nc_u32_e32 v1, v28, v1
	ds_load_b32 v1, v1 offset:13316
; %bb.73:
	s_or_b32 exec_lo, exec_lo, s1
	s_wait_dscnt 0x0
	s_barrier_signal -1
	s_barrier_wait -1
	s_clause 0xb
	flat_load_b32 v14, v0, s[24:25] scale_offset
	flat_load_b32 v15, v0, s[24:25] offset:1024 scale_offset
	flat_load_b32 v17, v0, s[24:25] offset:2048 scale_offset
	;; [unrolled: 1-line block ×11, first 2 shown]
	v_cmp_eq_u32_e32 vcc_lo, v10, v11
	v_mov_b32_e32 v10, s33
	s_wait_loadcnt_dscnt 0xa0a
	ds_store_2addr_stride64_b32 v16, v14, v15 offset1:4
	s_wait_loadcnt_dscnt 0x809
	ds_store_2addr_stride64_b32 v16, v17, v18 offset0:8 offset1:12
	s_wait_loadcnt_dscnt 0x608
	ds_store_2addr_stride64_b32 v16, v19, v20 offset0:16 offset1:20
	;; [unrolled: 2-line block ×5, first 2 shown]
	s_wait_dscnt 0x0
	s_barrier_signal -1
	s_barrier_wait -1
	ds_load_2addr_b32 v[26:27], v28 offset0:1 offset1:2
	ds_load_2addr_b32 v[24:25], v28 offset0:3 offset1:4
	;; [unrolled: 1-line block ×5, first 2 shown]
	ds_load_b32 v17, v28 offset:44
	v_mov_b64_e32 v[14:15], 0x100000000
	s_and_saveexec_b32 s1, vcc_lo
; %bb.74:
	ds_load_b32 v10, v28
	v_mov_b64_e32 v[14:15], 0
; %bb.75:
	s_or_b32 exec_lo, exec_lo, s1
	v_cmp_eq_u32_e32 vcc_lo, v11, v12
	v_cmp_ne_u32_e64 s6, v5, v1
	s_mov_b32 s5, -1
	s_wait_dscnt 0x5
	v_cndmask_b32_e32 v42, s33, v26, vcc_lo
	v_cmp_ne_u32_e32 vcc_lo, v11, v12
	s_wait_dscnt 0x0
	v_cndmask_b32_e64 v60, v17, s33, s6
	v_cndmask_b32_e64 v43, 0, 1, vcc_lo
	v_cmp_eq_u32_e32 vcc_lo, v12, v13
	v_or_b32_e32 v14, v14, v10
	s_delay_alu instid0(VALU_DEP_3) | instskip(SKIP_4) | instid1(VALU_DEP_2)
	v_mov_b64_e32 v[36:37], v[42:43]
	v_cndmask_b32_e32 v40, s33, v27, vcc_lo
	v_cmp_ne_u32_e32 vcc_lo, v12, v13
	v_cndmask_b32_e64 v41, 0, 1, vcc_lo
	v_cmp_eq_u32_e32 vcc_lo, v13, v6
	v_mov_b64_e32 v[34:35], v[40:41]
	v_cndmask_b32_e32 v44, s33, v24, vcc_lo
	v_cmp_ne_u32_e32 vcc_lo, v13, v6
	v_cndmask_b32_e64 v45, 0, 1, vcc_lo
	v_cmp_eq_u32_e32 vcc_lo, v6, v7
	s_delay_alu instid0(VALU_DEP_2) | instskip(SKIP_4) | instid1(VALU_DEP_2)
	v_mov_b64_e32 v[32:33], v[44:45]
	v_cndmask_b32_e32 v46, s33, v25, vcc_lo
	v_cmp_ne_u32_e32 vcc_lo, v6, v7
	v_cndmask_b32_e64 v47, 0, 1, vcc_lo
	v_cmp_eq_u32_e32 vcc_lo, v7, v8
	v_mov_b64_e32 v[30:31], v[46:47]
	v_cndmask_b32_e32 v48, s33, v22, vcc_lo
	v_cmp_ne_u32_e32 vcc_lo, v7, v8
	v_cndmask_b32_e64 v49, 0, 1, vcc_lo
	v_cmp_eq_u32_e32 vcc_lo, v8, v9
	s_delay_alu instid0(VALU_DEP_2) | instskip(SKIP_4) | instid1(VALU_DEP_2)
	;; [unrolled: 11-line block ×3, first 2 shown]
	v_mov_b64_e32 v[24:25], v[52:53]
	v_cndmask_b32_e32 v54, s33, v21, vcc_lo
	v_cmp_ne_u32_e32 vcc_lo, v2, v3
	v_cndmask_b32_e64 v55, 0, 1, vcc_lo
	v_cmp_eq_u32_e32 vcc_lo, v3, v4
	v_mov_b64_e32 v[22:23], v[54:55]
	v_cndmask_b32_e32 v56, s33, v18, vcc_lo
	v_cmp_ne_u32_e32 vcc_lo, v3, v4
	v_cndmask_b32_e64 v57, 0, 1, vcc_lo
	v_cmp_eq_u32_e32 vcc_lo, v4, v5
	s_delay_alu instid0(VALU_DEP_2) | instskip(SKIP_3) | instid1(VALU_DEP_1)
	v_mov_b64_e32 v[20:21], v[56:57]
	v_cndmask_b32_e32 v58, s33, v19, vcc_lo
	v_cmp_ne_u32_e32 vcc_lo, v4, v5
	v_cndmask_b32_e64 v59, 0, 1, vcc_lo
	v_mov_b64_e32 v[18:19], v[58:59]
.LBB560_76:
	v_mov_b64_e32 v[38:39], 0
	s_and_saveexec_b32 s1, s5
	s_cbranch_execz .LBB560_78
; %bb.77:
	v_cndmask_b32_e64 v61, 0, 1, s6
	v_mov_b64_e32 v[18:19], v[58:59]
	v_mov_b64_e32 v[20:21], v[56:57]
	;; [unrolled: 1-line block ×11, first 2 shown]
.LBB560_78:
	s_or_b32 exec_lo, exec_lo, s1
	v_dual_lshrrev_b32 v1, 2, v0 :: v_dual_bitop2_b32 v40, v25, v23 bitop3:0x54
	s_delay_alu instid0(VALU_DEP_3)
	v_or_b32_e32 v17, v21, v19
	s_cmp_lg_u32 s36, 0
	v_cmp_gt_u32_e32 vcc_lo, 32, v0
	s_barrier_signal -1
	s_barrier_wait -1
	s_cbranch_scc0 .LBB560_116
; %bb.79:
	s_mov_b64 s[14:15], 0x100000000
	v_or3_b32 v3, v40, v27, v29
	v_cmp_gt_u64_e64 s1, s[14:15], v[36:37]
	v_cmp_gt_u64_e64 s4, s[14:15], v[34:35]
	v_cmp_gt_u64_e64 s13, s[14:15], v[38:39]
	v_cmp_gt_u64_e64 s5, s[14:15], v[32:33]
	v_cmp_gt_u64_e64 s6, s[14:15], v[30:31]
	v_cmp_gt_u64_e64 s7, s[14:15], v[28:29]
	v_cmp_gt_u64_e64 s8, s[14:15], v[26:27]
	v_dual_cndmask_b32 v2, 0, v14, s1 :: v_dual_bitop2_b32 v5, 56, v1 bitop3:0x40
	v_cmp_gt_u64_e64 s9, s[14:15], v[24:25]
	v_cmp_gt_u64_e64 s10, s[14:15], v[22:23]
	;; [unrolled: 1-line block ×3, first 2 shown]
	s_delay_alu instid0(VALU_DEP_4) | instskip(SKIP_3) | instid1(VALU_DEP_4)
	v_add_nc_u32_e32 v2, v2, v36
	v_or3_b32 v3, v3, v31, v33
	v_cmp_gt_u64_e64 s12, s[14:15], v[18:19]
	v_lshl_add_u32 v5, v0, 3, v5
	v_cndmask_b32_e64 v2, 0, v2, s4
	s_delay_alu instid0(VALU_DEP_4) | instskip(NEXT) | instid1(VALU_DEP_2)
	v_or3_b32 v3, v3, v35, v37
	v_add_nc_u32_e32 v2, v2, v34
	s_delay_alu instid0(VALU_DEP_2) | instskip(NEXT) | instid1(VALU_DEP_2)
	v_or3_b32 v3, v39, v17, v3
	v_cndmask_b32_e64 v2, 0, v2, s5
	s_delay_alu instid0(VALU_DEP_2) | instskip(NEXT) | instid1(VALU_DEP_2)
	v_and_b32_e32 v3, 0xff, v3
	v_add_nc_u32_e32 v2, v2, v32
	s_delay_alu instid0(VALU_DEP_1) | instskip(NEXT) | instid1(VALU_DEP_1)
	v_cndmask_b32_e64 v2, 0, v2, s6
	v_add_nc_u32_e32 v2, v2, v30
	s_delay_alu instid0(VALU_DEP_1) | instskip(NEXT) | instid1(VALU_DEP_1)
	v_cndmask_b32_e64 v2, 0, v2, s7
	;; [unrolled: 3-line block ×7, first 2 shown]
	v_dual_add_nc_u32 v4, v2, v18 :: v_dual_mov_b32 v2, 0
	s_delay_alu instid0(VALU_DEP_1) | instskip(NEXT) | instid1(VALU_DEP_2)
	v_cndmask_b32_e64 v4, 0, v4, s13
	v_cmp_eq_u64_e64 s13, 0, v[2:3]
	s_delay_alu instid0(VALU_DEP_1)
	v_dual_add_nc_u32 v12, v4, v38 :: v_dual_cndmask_b32 v13, 1, v15, s13
	ds_store_b32 v5, v12
	ds_store_b8 v5, v13 offset:4
	s_wait_dscnt 0x0
	s_barrier_signal -1
	s_barrier_wait -1
	s_and_saveexec_b32 s14, vcc_lo
	s_cbranch_execz .LBB560_89
; %bb.80:
	v_dual_lshlrev_b32 v2, 1, v0 :: v_dual_lshlrev_b32 v3, 6, v0
	s_mov_b32 s15, exec_lo
	s_delay_alu instid0(VALU_DEP_1) | instskip(NEXT) | instid1(VALU_DEP_1)
	v_and_b32_e32 v2, 0x1f8, v2
	v_add_nc_u32_e32 v4, v2, v3
	ds_load_u8 v5, v4 offset:12
	ds_load_b64 v[2:3], v4
	ds_load_2addr_b32 v[6:7], v4 offset0:2 offset1:4
	ds_load_u8 v10, v4 offset:20
	ds_load_u8 v11, v4 offset:28
	;; [unrolled: 1-line block ×5, first 2 shown]
	ds_load_b32 v44, v4 offset:56
	s_wait_dscnt 0x8
	v_cmp_eq_u16_e64 s13, 0, v5
	s_wait_dscnt 0x5
	s_delay_alu instid0(VALU_DEP_1)
	v_dual_cndmask_b32 v45, 0, v2, s13 :: v_dual_bitop2_b32 v5, v10, v5 bitop3:0x54
	ds_load_2addr_b32 v[8:9], v4 offset0:6 offset1:8
	v_cmp_eq_u16_e64 s13, 0, v10
	s_wait_dscnt 0x4
	v_bitop3_b16 v5, v5, v41, v11 bitop3:0xfe
	v_add_nc_u32_e32 v6, v45, v6
	s_delay_alu instid0(VALU_DEP_1) | instskip(SKIP_1) | instid1(VALU_DEP_2)
	v_cndmask_b32_e64 v6, 0, v6, s13
	v_cmp_eq_u16_e64 s13, 0, v11
	v_add_nc_u32_e32 v6, v6, v7
	s_delay_alu instid0(VALU_DEP_1)
	v_cndmask_b32_e64 v45, 0, v6, s13
	ds_load_2addr_b32 v[6:7], v4 offset0:10 offset1:12
	v_cmp_eq_u16_e64 s13, 0, v41
	s_wait_dscnt 0x1
	v_add_nc_u32_e32 v8, v45, v8
	ds_load_u8 v45, v4 offset:60
	v_cndmask_b32_e64 v8, 0, v8, s13
	v_cmp_eq_u16_e64 s13, 0, v42
	s_delay_alu instid0(VALU_DEP_2) | instskip(SKIP_1) | instid1(VALU_DEP_2)
	v_add_nc_u32_e32 v8, v8, v9
	v_bitop3_b16 v9, v5, v43, v42 bitop3:0xfe
	v_dual_cndmask_b32 v8, 0, v8, s13 :: v_dual_bitop2_b32 v5, 1, v3 bitop3:0x40
	s_delay_alu instid0(VALU_DEP_2) | instskip(SKIP_1) | instid1(VALU_DEP_2)
	v_cmp_eq_u16_e64 s13, 0, v9
	s_wait_dscnt 0x0
	v_dual_add_nc_u32 v6, v8, v6 :: v_dual_bitop2_b32 v8, 1, v45 bitop3:0x40
	s_delay_alu instid0(VALU_DEP_2) | instskip(SKIP_1) | instid1(VALU_DEP_1)
	v_cndmask_b32_e64 v9, 1, v5, s13
	v_cmp_eq_u16_e64 s13, 0, v43
	v_cndmask_b32_e64 v6, 0, v6, s13
	s_delay_alu instid0(VALU_DEP_4) | instskip(SKIP_1) | instid1(VALU_DEP_2)
	v_cmp_eq_u32_e64 s13, 1, v8
	v_mbcnt_lo_u32_b32 v8, -1, 0
	v_cndmask_b32_e64 v9, v9, 1, s13
	v_cmp_eq_u16_e64 s13, 0, v45
	s_delay_alu instid0(VALU_DEP_2) | instskip(SKIP_2) | instid1(VALU_DEP_1)
	v_and_b32_e32 v10, 0xffff, v9
	v_add_nc_u32_e32 v7, v6, v7
	v_and_b32_e32 v6, 0xffffff00, v3
	v_dual_cndmask_b32 v7, 0, v7, s13 :: v_dual_bitop2_b32 v11, v6, v10 bitop3:0x54
	v_and_b32_e32 v10, 15, v8
	s_delay_alu instid0(VALU_DEP_2) | instskip(NEXT) | instid1(VALU_DEP_3)
	v_mov_b32_dpp v42, v11 row_shr:1 row_mask:0xf bank_mask:0xf
	v_add_nc_u32_e32 v7, v7, v44
	s_delay_alu instid0(VALU_DEP_1) | instskip(NEXT) | instid1(VALU_DEP_4)
	v_mov_b32_dpp v41, v7 row_shr:1 row_mask:0xf bank_mask:0xf
	v_cmpx_ne_u32_e32 0, v10
	s_cbranch_execz .LBB560_82
; %bb.81:
	v_and_b32_e32 v11, 1, v9
	v_and_b32_e32 v42, 1, v42
	s_delay_alu instid0(VALU_DEP_2) | instskip(NEXT) | instid1(VALU_DEP_1)
	v_cmp_eq_u32_e64 s13, 1, v11
	v_cndmask_b32_e64 v42, v42, 1, s13
	v_cmp_eq_u16_e64 s13, 0, v9
	s_delay_alu instid0(VALU_DEP_2) | instskip(NEXT) | instid1(VALU_DEP_1)
	v_and_b32_e32 v11, 0xffff, v42
	v_dual_cndmask_b32 v9, 0, v41, s13 :: v_dual_bitop2_b32 v11, v6, v11 bitop3:0x54
	s_delay_alu instid0(VALU_DEP_1)
	v_dual_add_nc_u32 v7, v9, v7 :: v_dual_mov_b32 v9, v42
.LBB560_82:
	s_or_b32 exec_lo, exec_lo, s15
	s_delay_alu instid0(VALU_DEP_1) | instskip(NEXT) | instid1(VALU_DEP_3)
	v_mov_b32_dpp v41, v7 row_shr:2 row_mask:0xf bank_mask:0xf
	v_mov_b32_dpp v42, v11 row_shr:2 row_mask:0xf bank_mask:0xf
	s_mov_b32 s15, exec_lo
	v_cmpx_lt_u32_e32 1, v10
	s_cbranch_execz .LBB560_84
; %bb.83:
	v_and_b32_e32 v11, 1, v9
	v_and_b32_e32 v42, 1, v42
	s_delay_alu instid0(VALU_DEP_2) | instskip(NEXT) | instid1(VALU_DEP_1)
	v_cmp_eq_u32_e64 s13, 1, v11
	v_cndmask_b32_e64 v42, v42, 1, s13
	v_cmp_eq_u16_e64 s13, 0, v9
	s_delay_alu instid0(VALU_DEP_2) | instskip(NEXT) | instid1(VALU_DEP_1)
	v_and_b32_e32 v11, 0xffff, v42
	v_dual_cndmask_b32 v9, 0, v41, s13 :: v_dual_bitop2_b32 v11, v6, v11 bitop3:0x54
	s_delay_alu instid0(VALU_DEP_1)
	v_dual_add_nc_u32 v7, v9, v7 :: v_dual_mov_b32 v9, v42
.LBB560_84:
	s_or_b32 exec_lo, exec_lo, s15
	s_delay_alu instid0(VALU_DEP_1) | instskip(NEXT) | instid1(VALU_DEP_3)
	v_mov_b32_dpp v41, v7 row_shr:4 row_mask:0xf bank_mask:0xf
	v_mov_b32_dpp v42, v11 row_shr:4 row_mask:0xf bank_mask:0xf
	s_mov_b32 s15, exec_lo
	v_cmpx_lt_u32_e32 3, v10
	;; [unrolled: 20-line block ×3, first 2 shown]
	s_cbranch_execz .LBB560_88
; %bb.87:
	v_and_b32_e32 v10, 1, v9
	v_and_b32_e32 v11, 1, v42
	s_delay_alu instid0(VALU_DEP_2) | instskip(NEXT) | instid1(VALU_DEP_1)
	v_cmp_eq_u32_e64 s13, 1, v10
	v_cndmask_b32_e64 v10, v11, 1, s13
	v_cmp_eq_u16_e64 s13, 0, v9
	s_delay_alu instid0(VALU_DEP_2) | instskip(NEXT) | instid1(VALU_DEP_1)
	v_and_b32_e32 v11, 0xffff, v10
	v_dual_cndmask_b32 v9, 0, v41, s13 :: v_dual_bitop2_b32 v11, v6, v11 bitop3:0x54
	s_delay_alu instid0(VALU_DEP_1)
	v_dual_add_nc_u32 v7, v9, v7 :: v_dual_mov_b32 v9, v10
.LBB560_88:
	s_or_b32 exec_lo, exec_lo, s15
	ds_swizzle_b32 v10, v11 offset:swizzle(BROADCAST,32,15)
	ds_swizzle_b32 v11, v7 offset:swizzle(BROADCAST,32,15)
	v_and_b32_e32 v41, 1, v9
	v_bfe_i32 v43, v8, 4, 1
	v_and_b32_e32 v3, 0xff, v3
	; wave barrier
	s_delay_alu instid0(VALU_DEP_3) | instskip(SKIP_2) | instid1(VALU_DEP_1)
	v_cmp_eq_u32_e64 s13, 1, v41
	s_wait_dscnt 0x1
	v_dual_add_nc_u32 v41, -1, v8 :: v_dual_bitop2_b32 v10, 1, v10 bitop3:0x40
	v_cndmask_b32_e64 v10, v10, 1, s13
	v_and_b32_e32 v42, 16, v8
	v_cmp_eq_u16_e64 s13, 0, v9
	s_wait_dscnt 0x0
	s_delay_alu instid0(VALU_DEP_1) | instskip(NEXT) | instid1(VALU_DEP_3)
	v_cndmask_b32_e64 v11, 0, v11, s13
	v_cmp_eq_u32_e64 s13, 0, v42
	s_delay_alu instid0(VALU_DEP_1) | instskip(SKIP_1) | instid1(VALU_DEP_4)
	v_cndmask_b32_e64 v9, v10, v9, s13
	v_cmp_gt_i32_e64 s13, 0, v41
	v_and_b32_e32 v10, v43, v11
	s_delay_alu instid0(VALU_DEP_3) | instskip(NEXT) | instid1(VALU_DEP_2)
	v_and_b32_e32 v9, 0xffff, v9
	v_dual_cndmask_b32 v8, v41, v8, s13 :: v_dual_add_nc_u32 v7, v10, v7
	v_cmp_eq_u16_e64 s13, 0, v3
	s_delay_alu instid0(VALU_DEP_2)
	v_lshlrev_b32_e32 v8, 2, v8
	ds_bpermute_b32 v7, v8, v7
	s_wait_dscnt 0x0
	v_dual_cndmask_b32 v3, 0, v7, s13 :: v_dual_bitop2_b32 v6, v6, v9 bitop3:0x54
	ds_bpermute_b32 v6, v8, v6
	v_cmp_eq_u32_e64 s13, 1, v5
	v_add_nc_u32_e32 v2, v3, v2
	s_wait_dscnt 0x0
	s_delay_alu instid0(VALU_DEP_1) | instskip(NEXT) | instid1(VALU_DEP_1)
	v_dual_cndmask_b32 v5, v2, v12, s2 :: v_dual_bitop2_b32 v6, 1, v6 bitop3:0x40
	v_cndmask_b32_e64 v3, v6, 1, s13
	s_delay_alu instid0(VALU_DEP_1)
	v_cndmask_b32_e64 v8, v3, v13, s2
	ds_store_b32 v4, v5
	ds_store_b8 v4, v8 offset:4
	; wave barrier
	ds_load_u8 v9, v4 offset:12
	ds_load_2addr_b32 v[2:3], v4 offset0:2 offset1:4
	ds_load_u8 v10, v4 offset:20
	ds_load_u8 v11, v4 offset:28
	;; [unrolled: 1-line block ×5, first 2 shown]
	ds_load_b32 v44, v4 offset:56
	ds_load_u8 v45, v4 offset:60
	ds_load_2addr_b32 v[6:7], v4 offset0:6 offset1:8
	s_wait_dscnt 0x9
	v_cmp_eq_u16_e64 s13, 0, v9
	v_and_b32_e32 v9, 1, v9
	s_delay_alu instid0(VALU_DEP_2) | instskip(SKIP_2) | instid1(VALU_DEP_2)
	v_cndmask_b32_e64 v5, 0, v5, s13
	s_wait_dscnt 0x7
	v_cmp_eq_u16_e64 s13, 0, v10
	v_add_nc_u32_e32 v5, v5, v2
	s_delay_alu instid0(VALU_DEP_1) | instskip(SKIP_2) | instid1(VALU_DEP_2)
	v_cndmask_b32_e64 v2, 0, v5, s13
	s_wait_dscnt 0x6
	v_cmp_eq_u16_e64 s13, 0, v11
	v_add_nc_u32_e32 v46, v2, v3
	ds_load_2addr_b32 v[2:3], v4 offset0:10 offset1:12
	v_cndmask_b32_e64 v47, 0, v46, s13
	s_wait_dscnt 0x6
	v_cmp_eq_u16_e64 s13, 0, v41
	ds_store_2addr_b32 v4, v5, v46 offset0:2 offset1:4
	s_wait_dscnt 0x2
	v_add_nc_u32_e32 v6, v47, v6
	s_delay_alu instid0(VALU_DEP_1) | instskip(SKIP_3) | instid1(VALU_DEP_4)
	v_cndmask_b32_e64 v47, 0, v6, s13
	v_cmp_eq_u32_e64 s13, 1, v9
	v_and_b32_e32 v9, 1, v11
	v_and_b32_e32 v11, 1, v41
	v_dual_add_nc_u32 v7, v47, v7 :: v_dual_bitop2_b32 v10, 1, v10 bitop3:0x40
	s_delay_alu instid0(VALU_DEP_4) | instskip(SKIP_1) | instid1(VALU_DEP_3)
	v_cndmask_b32_e64 v8, v8, 1, s13
	v_and_b32_e32 v47, 1, v45
	v_cmp_eq_u32_e64 s13, 1, v10
	s_delay_alu instid0(VALU_DEP_1) | instskip(SKIP_1) | instid1(VALU_DEP_1)
	v_cndmask_b32_e64 v10, v8, 1, s13
	v_cmp_eq_u16_e64 s13, 0, v42
	v_dual_cndmask_b32 v41, 0, v7, s13 :: v_dual_bitop2_b32 v42, 1, v42 bitop3:0x40
	v_cmp_eq_u32_e64 s13, 1, v9
	s_wait_dscnt 0x1
	s_delay_alu instid0(VALU_DEP_2) | instskip(NEXT) | instid1(VALU_DEP_2)
	v_dual_add_nc_u32 v2, v41, v2 :: v_dual_bitop2_b32 v41, 1, v43 bitop3:0x40
	v_cndmask_b32_e64 v9, v10, 1, s13
	v_cmp_eq_u32_e64 s13, 1, v11
	s_delay_alu instid0(VALU_DEP_1) | instskip(SKIP_1) | instid1(VALU_DEP_1)
	v_cndmask_b32_e64 v11, v9, 1, s13
	v_cmp_eq_u16_e64 s13, 0, v43
	v_cndmask_b32_e64 v43, 0, v2, s13
	v_cmp_eq_u32_e64 s13, 1, v42
	s_delay_alu instid0(VALU_DEP_2) | instskip(NEXT) | instid1(VALU_DEP_2)
	v_add_nc_u32_e32 v3, v43, v3
	v_cndmask_b32_e64 v42, v11, 1, s13
	v_cmp_eq_u32_e64 s13, 1, v41
	ds_store_2addr_b32 v4, v6, v7 offset0:6 offset1:8
	ds_store_2addr_b32 v4, v2, v3 offset0:10 offset1:12
	v_cndmask_b32_e64 v41, v42, 1, s13
	v_cmp_eq_u16_e64 s13, 0, v45
	s_delay_alu instid0(VALU_DEP_1) | instskip(SKIP_1) | instid1(VALU_DEP_2)
	v_cndmask_b32_e64 v5, 0, v3, s13
	v_cmp_eq_u32_e64 s13, 1, v47
	v_add_nc_u32_e32 v2, v5, v44
	s_delay_alu instid0(VALU_DEP_2)
	v_cndmask_b32_e64 v43, v41, 1, s13
	ds_store_b8 v4, v8 offset:12
	ds_store_b8 v4, v10 offset:20
	;; [unrolled: 1-line block ×6, first 2 shown]
	ds_store_b32 v4, v2 offset:56
	ds_store_b8 v4, v43 offset:60
.LBB560_89:
	s_or_b32 exec_lo, exec_lo, s14
	s_wait_dscnt 0x0
	s_barrier_signal -1
	s_barrier_wait -1
	s_and_saveexec_b32 s13, s3
	s_cbranch_execz .LBB560_91
; %bb.90:
	v_add_nc_u32_e32 v2, -1, v0
	s_delay_alu instid0(VALU_DEP_1) | instskip(NEXT) | instid1(VALU_DEP_1)
	v_lshrrev_b32_e32 v3, 2, v2
	v_and_b32_e32 v3, 0x3ffffff8, v3
	s_delay_alu instid0(VALU_DEP_1)
	v_lshl_add_u32 v2, v2, 3, v3
	ds_load_b32 v12, v2
	ds_load_u8 v13, v2 offset:4
.LBB560_91:
	s_or_b32 exec_lo, exec_lo, s13
	s_and_saveexec_b32 s34, vcc_lo
	s_cbranch_execz .LBB560_161
; %bb.92:
	v_mov_b32_e32 v5, 0
	v_mbcnt_lo_u32_b32 v41, -1, 0
	s_mov_b32 s15, 0
	ds_load_b64 v[2:3], v5 offset:2096
	v_cmp_eq_u32_e64 s13, 0, v41
	s_and_saveexec_b32 s24, s13
	s_cbranch_execz .LBB560_94
; %bb.93:
	s_add_co_i32 s14, s36, 32
	v_mov_b32_e32 v4, 1
	s_lshl_b64 s[14:15], s[14:15], 4
	s_delay_alu instid0(SALU_CYCLE_1) | instskip(NEXT) | instid1(SALU_CYCLE_1)
	s_add_nc_u64 s[14:15], s[20:21], s[14:15]
	v_mov_b64_e32 v[6:7], s[14:15]
	s_wait_dscnt 0x0
	;;#ASMSTART
	global_store_b128 v[6:7], v[2:5] off scope:SCOPE_DEV	
s_wait_storecnt 0x0
	;;#ASMEND
.LBB560_94:
	s_or_b32 exec_lo, exec_lo, s24
	v_xad_u32 v8, v41, -1, s36
	s_mov_b32 s14, exec_lo
	s_delay_alu instid0(VALU_DEP_1) | instskip(NEXT) | instid1(VALU_DEP_1)
	v_add_nc_u32_e32 v4, 32, v8
	v_lshl_add_u64 v[10:11], v[4:5], 4, s[20:21]
	;;#ASMSTART
	global_load_b128 v[4:7], v[10:11] off scope:SCOPE_DEV	
s_wait_loadcnt 0x0
	;;#ASMEND
	v_and_b32_e32 v7, 0xff, v6
	v_and_b32_e32 v5, 0xff, v5
	s_delay_alu instid0(VALU_DEP_2)
	v_cmpx_eq_u16_e32 0, v7
	s_cbranch_execz .LBB560_98
; %bb.95:
	s_mov_b32 s15, 0
.LBB560_96:                             ; =>This Inner Loop Header: Depth=1
	;;#ASMSTART
	global_load_b128 v[4:7], v[10:11] off scope:SCOPE_DEV	
s_wait_loadcnt 0x0
	;;#ASMEND
	v_and_b32_e32 v7, 0xff, v6
	s_delay_alu instid0(VALU_DEP_1) | instskip(SKIP_1) | instid1(SALU_CYCLE_1)
	v_cmp_ne_u16_e32 vcc_lo, 0, v7
	s_or_b32 s15, vcc_lo, s15
	s_and_not1_b32 exec_lo, exec_lo, s15
	s_cbranch_execnz .LBB560_96
; %bb.97:
	s_or_b32 exec_lo, exec_lo, s15
	v_and_b32_e32 v5, 0xff, v5
.LBB560_98:
	s_or_b32 exec_lo, exec_lo, s14
	v_cmp_ne_u32_e32 vcc_lo, 31, v41
	v_and_b32_e32 v9, 0xff, v6
	v_lshlrev_b32_e64 v43, v41, -1
	s_mov_b64 s[24:25], 0x100000000
	v_lshl_or_b32 v52, v41, 2, 64
	v_add_co_ci_u32_e64 v7, null, 0, v41, vcc_lo
	v_cmp_eq_u16_e32 vcc_lo, 2, v9
	v_cmp_gt_u64_e64 s14, s[24:25], v[4:5]
	s_delay_alu instid0(VALU_DEP_3) | instskip(SKIP_1) | instid1(VALU_DEP_2)
	v_dual_lshlrev_b32 v42, 2, v7 :: v_dual_bitop2_b32 v10, 1, v5 bitop3:0x40
	v_and_or_b32 v9, vcc_lo, v43, 0x80000000
	v_cmp_eq_u32_e32 vcc_lo, 1, v10
	ds_bpermute_b32 v7, v42, v5
	ds_bpermute_b32 v10, v42, v4
	v_ctz_i32_b32_e32 v9, v9
	s_wait_dscnt 0x1
	v_and_b32_e32 v7, 1, v7
	s_delay_alu instid0(VALU_DEP_1) | instskip(SKIP_1) | instid1(VALU_DEP_2)
	v_cndmask_b32_e64 v7, v7, 1, vcc_lo
	v_cmp_gt_u32_e32 vcc_lo, 30, v41
	v_and_b32_e32 v45, 0xffff, v7
	v_cndmask_b32_e64 v11, 0, 2, vcc_lo
	v_cmp_lt_u32_e32 vcc_lo, v41, v9
	s_delay_alu instid0(VALU_DEP_2) | instskip(NEXT) | instid1(VALU_DEP_4)
	v_add_lshl_u32 v44, v11, v41, 2
	v_dual_cndmask_b32 v11, v5, v45, vcc_lo :: v_dual_cndmask_b32 v7, v5, v7, vcc_lo
	s_and_b32 vcc_lo, vcc_lo, s14
	s_wait_dscnt 0x0
	v_cndmask_b32_e32 v10, 0, v10, vcc_lo
	ds_bpermute_b32 v5, v44, v11
	v_and_b32_e32 v46, 1, v7
	v_and_b32_e32 v48, 0xff, v7
	v_add_nc_u32_e32 v4, v10, v4
	s_delay_alu instid0(VALU_DEP_3) | instskip(NEXT) | instid1(VALU_DEP_3)
	v_cmp_eq_u32_e32 vcc_lo, 1, v46
	v_cmp_eq_u16_e64 s14, 0, v48
	ds_bpermute_b32 v10, v44, v4
	s_wait_dscnt 0x1
	v_and_b32_e32 v5, 1, v5
	s_delay_alu instid0(VALU_DEP_1) | instskip(SKIP_2) | instid1(VALU_DEP_3)
	v_cndmask_b32_e64 v5, v5, 1, vcc_lo
	v_add_nc_u32_e32 v45, 2, v41
	v_cmp_gt_u32_e32 vcc_lo, 28, v41
	v_and_b32_e32 v47, 0xffff, v5
	v_cndmask_b32_e64 v46, 0, 4, vcc_lo
	s_delay_alu instid0(VALU_DEP_4) | instskip(NEXT) | instid1(VALU_DEP_2)
	v_cmp_gt_u32_e32 vcc_lo, v45, v9
	v_add_lshl_u32 v46, v46, v41, 2
	v_cndmask_b32_e32 v5, v5, v7, vcc_lo
	s_wait_dscnt 0x0
	v_dual_cndmask_b32 v7, v47, v11, vcc_lo :: v_dual_cndmask_b32 v10, 0, v10, s14
	s_delay_alu instid0(VALU_DEP_2) | instskip(SKIP_4) | instid1(VALU_DEP_3)
	v_and_b32_e32 v48, 1, v5
	ds_bpermute_b32 v11, v46, v7
	v_cndmask_b32_e64 v10, v10, 0, vcc_lo
	v_cmp_eq_u32_e32 vcc_lo, 1, v48
	v_and_b32_e32 v48, 0xff, v5
	v_add_nc_u32_e32 v4, v10, v4
	s_delay_alu instid0(VALU_DEP_2)
	v_cmp_eq_u16_e64 s14, 0, v48
	s_wait_dscnt 0x0
	v_and_b32_e32 v11, 1, v11
	ds_bpermute_b32 v10, v46, v4
	v_add_nc_u32_e32 v47, 4, v41
	v_cndmask_b32_e64 v11, v11, 1, vcc_lo
	v_cmp_gt_u32_e32 vcc_lo, 24, v41
	s_delay_alu instid0(VALU_DEP_2) | instskip(SKIP_1) | instid1(VALU_DEP_1)
	v_and_b32_e32 v50, 0xffff, v11
	v_cndmask_b32_e64 v49, 0, 8, vcc_lo
	v_add_lshl_u32 v48, v49, v41, 2
	s_wait_dscnt 0x0
	v_dual_add_nc_u32 v49, 8, v41 :: v_dual_cndmask_b32 v10, 0, v10, s14
	v_cmp_gt_u32_e32 vcc_lo, v47, v9
	v_dual_cndmask_b32 v5, v11, v5, vcc_lo :: v_dual_cndmask_b32 v7, v50, v7, vcc_lo
	s_delay_alu instid0(VALU_DEP_3) | instskip(NEXT) | instid1(VALU_DEP_2)
	v_cndmask_b32_e64 v10, v10, 0, vcc_lo
	v_and_b32_e32 v50, 1, v5
	ds_bpermute_b32 v11, v48, v7
	v_add_nc_u32_e32 v4, v10, v4
	v_and_b32_e32 v51, 0xff, v5
	v_cmp_eq_u32_e32 vcc_lo, 1, v50
	ds_bpermute_b32 v10, v48, v4
	s_wait_dscnt 0x1
	v_and_b32_e32 v11, 1, v11
	s_delay_alu instid0(VALU_DEP_1) | instskip(SKIP_1) | instid1(VALU_DEP_2)
	v_cndmask_b32_e64 v11, v11, 1, vcc_lo
	v_cmp_eq_u16_e32 vcc_lo, 0, v51
	v_and_b32_e32 v50, 0xffff, v11
	s_wait_dscnt 0x0
	v_cndmask_b32_e32 v10, 0, v10, vcc_lo
	v_cmp_gt_u32_e32 vcc_lo, v49, v9
	s_delay_alu instid0(VALU_DEP_3) | instskip(NEXT) | instid1(VALU_DEP_3)
	v_dual_cndmask_b32 v5, v11, v5, vcc_lo :: v_dual_cndmask_b32 v7, v50, v7, vcc_lo
	v_cndmask_b32_e64 v10, v10, 0, vcc_lo
	s_delay_alu instid0(VALU_DEP_2) | instskip(SKIP_3) | instid1(VALU_DEP_1)
	v_and_b32_e32 v50, 1, v5
	ds_bpermute_b32 v7, v52, v7
	v_add_nc_u32_e32 v4, v10, v4
	v_and_b32_e32 v11, 0xff, v5
	v_cmp_eq_u16_e32 vcc_lo, 0, v11
	s_wait_dscnt 0x0
	v_and_b32_e32 v7, 1, v7
	ds_bpermute_b32 v10, v52, v4
	s_wait_dscnt 0x0
	v_dual_cndmask_b32 v10, 0, v10 :: v_dual_add_nc_u32 v53, 16, v41
	v_cmp_eq_u32_e32 vcc_lo, 1, v50
	v_cndmask_b32_e64 v7, v7, 1, vcc_lo
	s_delay_alu instid0(VALU_DEP_3) | instskip(NEXT) | instid1(VALU_DEP_2)
	v_cmp_gt_u32_e32 vcc_lo, v53, v9
	v_dual_mov_b32 v9, 0 :: v_dual_cndmask_b32 v5, v7, v5, vcc_lo
	v_cndmask_b32_e64 v7, v10, 0, vcc_lo
	s_delay_alu instid0(VALU_DEP_1)
	v_add_nc_u32_e32 v4, v7, v4
	s_branch .LBB560_102
.LBB560_99:                             ;   in Loop: Header=BB560_102 Depth=1
	s_or_b32 exec_lo, exec_lo, s15
	v_and_b32_e32 v5, 0xff, v5
.LBB560_100:                            ;   in Loop: Header=BB560_102 Depth=1
	s_or_b32 exec_lo, exec_lo, s14
	ds_bpermute_b32 v7, v42, v5
	v_and_b32_e32 v10, 0xff, v6
	v_cmp_gt_u64_e64 s14, s[24:25], v[4:5]
	v_subrev_nc_u32_e32 v8, 32, v8
	s_delay_alu instid0(VALU_DEP_3) | instskip(SKIP_2) | instid1(VALU_DEP_2)
	v_cmp_eq_u16_e32 vcc_lo, 2, v10
	v_and_b32_e32 v10, 1, v5
	v_and_or_b32 v11, vcc_lo, v43, 0x80000000
	v_cmp_eq_u32_e32 vcc_lo, 1, v10
	s_delay_alu instid0(VALU_DEP_2) | instskip(SKIP_3) | instid1(VALU_DEP_1)
	v_ctz_i32_b32_e32 v10, v11
	ds_bpermute_b32 v11, v42, v4
	s_wait_dscnt 0x1
	v_and_b32_e32 v7, 1, v7
	v_cndmask_b32_e64 v7, v7, 1, vcc_lo
	v_cmp_lt_u32_e32 vcc_lo, v41, v10
	s_delay_alu instid0(VALU_DEP_2) | instskip(NEXT) | instid1(VALU_DEP_1)
	v_and_b32_e32 v54, 0xffff, v7
	v_dual_cndmask_b32 v7, v5, v7 :: v_dual_cndmask_b32 v54, v5, v54
	s_and_b32 vcc_lo, vcc_lo, s14
	s_delay_alu instid0(VALU_DEP_1)
	v_and_b32_e32 v56, 0xff, v7
	v_and_b32_e32 v55, 1, v7
	ds_bpermute_b32 v5, v44, v54
	s_wait_dscnt 0x1
	v_cndmask_b32_e32 v11, 0, v11, vcc_lo
	v_cmp_eq_u16_e64 s14, 0, v56
	v_cmp_eq_u32_e32 vcc_lo, 1, v55
	s_wait_dscnt 0x0
	s_delay_alu instid0(VALU_DEP_3) | instskip(NEXT) | instid1(VALU_DEP_1)
	v_dual_add_nc_u32 v4, v11, v4 :: v_dual_bitop2_b32 v5, 1, v5 bitop3:0x40
	v_cndmask_b32_e64 v5, v5, 1, vcc_lo
	ds_bpermute_b32 v11, v44, v4
	v_cmp_gt_u32_e32 vcc_lo, v45, v10
	v_and_b32_e32 v55, 0xffff, v5
	s_delay_alu instid0(VALU_DEP_1) | instskip(NEXT) | instid1(VALU_DEP_1)
	v_dual_cndmask_b32 v5, v5, v7, vcc_lo :: v_dual_cndmask_b32 v7, v55, v54, vcc_lo
	v_and_b32_e32 v55, 1, v5
	ds_bpermute_b32 v54, v46, v7
	s_wait_dscnt 0x1
	v_cndmask_b32_e64 v11, 0, v11, s14
	s_delay_alu instid0(VALU_DEP_1) | instskip(SKIP_2) | instid1(VALU_DEP_3)
	v_cndmask_b32_e64 v11, v11, 0, vcc_lo
	v_cmp_eq_u32_e32 vcc_lo, 1, v55
	v_and_b32_e32 v55, 0xff, v5
	v_add_nc_u32_e32 v4, v11, v4
	s_delay_alu instid0(VALU_DEP_2)
	v_cmp_eq_u16_e64 s14, 0, v55
	s_wait_dscnt 0x0
	v_and_b32_e32 v54, 1, v54
	ds_bpermute_b32 v11, v46, v4
	v_cndmask_b32_e64 v54, v54, 1, vcc_lo
	v_cmp_gt_u32_e32 vcc_lo, v47, v10
	s_delay_alu instid0(VALU_DEP_2) | instskip(SKIP_3) | instid1(VALU_DEP_1)
	v_and_b32_e32 v56, 0xffff, v54
	s_wait_dscnt 0x0
	v_dual_cndmask_b32 v5, v54, v5, vcc_lo :: v_dual_cndmask_b32 v11, 0, v11, s14
	s_mov_b32 s14, 0
	v_cndmask_b32_e64 v11, v11, 0, vcc_lo
	v_cndmask_b32_e32 v7, v56, v7, vcc_lo
	s_delay_alu instid0(VALU_DEP_3) | instskip(NEXT) | instid1(VALU_DEP_3)
	v_and_b32_e32 v56, 0xff, v5
	v_add_nc_u32_e32 v4, v11, v4
	ds_bpermute_b32 v54, v48, v7
	ds_bpermute_b32 v11, v48, v4
	v_and_b32_e32 v55, 1, v5
	s_delay_alu instid0(VALU_DEP_1) | instskip(SKIP_2) | instid1(VALU_DEP_1)
	v_cmp_eq_u32_e32 vcc_lo, 1, v55
	s_wait_dscnt 0x1
	v_and_b32_e32 v54, 1, v54
	v_cndmask_b32_e64 v54, v54, 1, vcc_lo
	v_cmp_eq_u16_e32 vcc_lo, 0, v56
	s_delay_alu instid0(VALU_DEP_2) | instskip(SKIP_3) | instid1(VALU_DEP_2)
	v_and_b32_e32 v55, 0xffff, v54
	s_wait_dscnt 0x0
	v_cndmask_b32_e32 v11, 0, v11, vcc_lo
	v_cmp_gt_u32_e32 vcc_lo, v49, v10
	v_cndmask_b32_e64 v11, v11, 0, vcc_lo
	v_dual_cndmask_b32 v7, v55, v7, vcc_lo :: v_dual_cndmask_b32 v5, v54, v5, vcc_lo
	s_delay_alu instid0(VALU_DEP_2) | instskip(SKIP_4) | instid1(VALU_DEP_1)
	v_add_nc_u32_e32 v4, v11, v4
	ds_bpermute_b32 v7, v52, v7
	v_and_b32_e32 v55, 0xff, v5
	ds_bpermute_b32 v11, v52, v4
	v_and_b32_e32 v54, 1, v5
	v_cmp_eq_u32_e32 vcc_lo, 1, v54
	s_wait_dscnt 0x1
	v_cndmask_b32_e64 v7, v7, 1, vcc_lo
	v_cmp_eq_u16_e32 vcc_lo, 0, v55
	s_wait_dscnt 0x0
	v_cndmask_b32_e32 v11, 0, v11, vcc_lo
	v_cmp_gt_u32_e32 vcc_lo, v53, v10
	v_and_b32_e32 v10, 0xff, v50
	v_cndmask_b32_e32 v5, v7, v5, vcc_lo
	s_delay_alu instid0(VALU_DEP_4) | instskip(NEXT) | instid1(VALU_DEP_3)
	v_cndmask_b32_e64 v7, v11, 0, vcc_lo
	v_cmp_eq_u16_e32 vcc_lo, 0, v10
	s_delay_alu instid0(VALU_DEP_2) | instskip(NEXT) | instid1(VALU_DEP_1)
	v_dual_add_nc_u32 v4, v7, v4 :: v_dual_bitop2_b32 v7, 1, v50 bitop3:0x40
	v_dual_cndmask_b32 v4, 0, v4, vcc_lo :: v_dual_bitop2_b32 v5, 1, v5 bitop3:0x40
	s_delay_alu instid0(VALU_DEP_2) | instskip(NEXT) | instid1(VALU_DEP_2)
	v_cmp_eq_u32_e32 vcc_lo, 1, v7
	v_add_nc_u32_e32 v4, v4, v51
	s_delay_alu instid0(VALU_DEP_3)
	v_cndmask_b32_e64 v5, v5, 1, vcc_lo
.LBB560_101:                            ;   in Loop: Header=BB560_102 Depth=1
	s_and_b32 vcc_lo, exec_lo, s14
	s_cbranch_vccnz .LBB560_157
.LBB560_102:                            ; =>This Loop Header: Depth=1
                                        ;     Child Loop BB560_105 Depth 2
	v_and_b32_e32 v6, 0xff, v6
	s_delay_alu instid0(VALU_DEP_2) | instskip(SKIP_1) | instid1(VALU_DEP_2)
	v_dual_mov_b32 v50, v5 :: v_dual_mov_b32 v51, v4
	s_mov_b32 s14, -1
                                        ; implicit-def: $vgpr5
                                        ; implicit-def: $vgpr4
	v_cmp_ne_u16_e32 vcc_lo, 2, v6
                                        ; implicit-def: $vgpr6
	s_cmp_lg_u32 vcc_lo, exec_lo
	s_cbranch_scc1 .LBB560_101
; %bb.103:                              ;   in Loop: Header=BB560_102 Depth=1
	v_lshl_add_u64 v[10:11], v[8:9], 4, s[20:21]
	;;#ASMSTART
	global_load_b128 v[4:7], v[10:11] off scope:SCOPE_DEV	
s_wait_loadcnt 0x0
	;;#ASMEND
	v_and_b32_e32 v7, 0xff, v6
	v_and_b32_e32 v5, 0xff, v5
	s_mov_b32 s14, exec_lo
	s_delay_alu instid0(VALU_DEP_2)
	v_cmpx_eq_u16_e32 0, v7
	s_cbranch_execz .LBB560_100
; %bb.104:                              ;   in Loop: Header=BB560_102 Depth=1
	s_mov_b32 s15, 0
.LBB560_105:                            ;   Parent Loop BB560_102 Depth=1
                                        ; =>  This Inner Loop Header: Depth=2
	;;#ASMSTART
	global_load_b128 v[4:7], v[10:11] off scope:SCOPE_DEV	
s_wait_loadcnt 0x0
	;;#ASMEND
	v_and_b32_e32 v7, 0xff, v6
	s_delay_alu instid0(VALU_DEP_1) | instskip(SKIP_1) | instid1(SALU_CYCLE_1)
	v_cmp_ne_u16_e32 vcc_lo, 0, v7
	s_or_b32 s15, vcc_lo, s15
	s_and_not1_b32 exec_lo, exec_lo, s15
	s_cbranch_execnz .LBB560_105
	s_branch .LBB560_99
.LBB560_106:
	s_or_b32 exec_lo, exec_lo, s14
                                        ; implicit-def: $vgpr16
	s_and_saveexec_b32 s14, s1
	s_cbranch_execz .LBB560_33
.LBB560_107:
	flat_load_b32 v16, v0, s[24:25] offset:1024 scale_offset
	s_wait_xcnt 0x0
	s_or_b32 exec_lo, exec_lo, s14
                                        ; implicit-def: $vgpr17
	s_and_saveexec_b32 s1, s4
	s_cbranch_execnz .LBB560_34
.LBB560_108:
	s_or_b32 exec_lo, exec_lo, s1
                                        ; implicit-def: $vgpr18
	s_and_saveexec_b32 s1, s5
	s_cbranch_execz .LBB560_35
.LBB560_109:
	flat_load_b32 v18, v0, s[24:25] offset:3072 scale_offset
	s_wait_xcnt 0x0
	s_or_b32 exec_lo, exec_lo, s1
                                        ; implicit-def: $vgpr19
	s_and_saveexec_b32 s1, s6
	s_cbranch_execnz .LBB560_36
.LBB560_110:
	s_or_b32 exec_lo, exec_lo, s1
                                        ; implicit-def: $vgpr20
	s_and_saveexec_b32 s1, s7
	s_cbranch_execz .LBB560_37
.LBB560_111:
	flat_load_b32 v20, v0, s[24:25] offset:5120 scale_offset
	s_wait_xcnt 0x0
	s_or_b32 exec_lo, exec_lo, s1
                                        ; implicit-def: $vgpr21
	s_and_saveexec_b32 s1, s8
	s_cbranch_execnz .LBB560_38
.LBB560_112:
	s_or_b32 exec_lo, exec_lo, s1
                                        ; implicit-def: $vgpr22
	s_and_saveexec_b32 s1, s9
	s_cbranch_execz .LBB560_39
.LBB560_113:
	flat_load_b32 v22, v0, s[24:25] offset:7168 scale_offset
	s_wait_xcnt 0x0
	s_or_b32 exec_lo, exec_lo, s1
                                        ; implicit-def: $vgpr23
	s_and_saveexec_b32 s1, s10
	s_cbranch_execnz .LBB560_40
.LBB560_114:
	s_or_b32 exec_lo, exec_lo, s1
                                        ; implicit-def: $vgpr24
	s_and_saveexec_b32 s1, s11
	s_cbranch_execz .LBB560_41
.LBB560_115:
	flat_load_b32 v24, v0, s[24:25] offset:9216 scale_offset
	s_wait_xcnt 0x0
	s_or_b32 exec_lo, exec_lo, s1
                                        ; implicit-def: $vgpr25
	s_and_saveexec_b32 s1, s12
	s_cbranch_execz .LBB560_43
	s_branch .LBB560_42
.LBB560_116:
                                        ; implicit-def: $vgpr13
                                        ; implicit-def: $vgpr9
                                        ; implicit-def: $vgpr5
	s_cbranch_execnz .LBB560_162
.LBB560_117:
	s_add_nc_u64 s[2:3], s[18:19], s[28:29]
	s_and_b32 vcc_lo, exec_lo, s0
	s_add_nc_u64 s[0:1], s[2:3], s[16:17]
	s_cbranch_vccz .LBB560_179
.LBB560_118:
	v_mul_u32_u24_e32 v1, 12, v0
	s_add_co_i32 s23, s23, s22
	s_mov_b32 s2, exec_lo
	s_delay_alu instid0(VALU_DEP_1)
	v_cmpx_gt_u32_e64 s23, v1
	s_cbranch_execz .LBB560_134
; %bb.119:
	v_or_b32_e32 v14, 1, v1
	s_mov_b32 s3, exec_lo
	s_delay_alu instid0(VALU_DEP_1)
	v_cmpx_gt_u32_e64 s23, v14
	s_cbranch_execz .LBB560_133
; %bb.120:
	v_or_b32_e32 v14, 2, v1
	;; [unrolled: 6-line block ×3, first 2 shown]
	s_mov_b32 s5, exec_lo
	s_delay_alu instid0(VALU_DEP_1)
	v_cmpx_gt_u32_e64 s23, v14
	s_cbranch_execz .LBB560_131
; %bb.122:
	v_add_nc_u32_e32 v14, 4, v1
	s_mov_b32 s6, exec_lo
	s_delay_alu instid0(VALU_DEP_1)
	v_cmpx_gt_u32_e64 s23, v14
	s_cbranch_execz .LBB560_130
; %bb.123:
	v_add_nc_u32_e32 v14, 5, v1
	;; [unrolled: 6-line block ×4, first 2 shown]
	s_mov_b32 s9, exec_lo
	s_delay_alu instid0(VALU_DEP_1)
	v_cmpx_gt_u32_e64 s23, v14
; %bb.126:
	v_add_nc_u32_e32 v14, 8, v1
	s_mov_b32 s10, exec_lo
	s_delay_alu instid0(VALU_DEP_1)
	v_cmpx_gt_u32_e64 s23, v14
	s_or_b32 exec_lo, exec_lo, s10
; %bb.127:
	s_delay_alu instid0(SALU_CYCLE_1)
	s_or_b32 exec_lo, exec_lo, s9
.LBB560_128:
	s_delay_alu instid0(SALU_CYCLE_1)
	s_or_b32 exec_lo, exec_lo, s8
.LBB560_129:
	s_delay_alu instid0(SALU_CYCLE_1)
	s_or_b32 exec_lo, exec_lo, s7
.LBB560_130:
	s_delay_alu instid0(SALU_CYCLE_1)
	s_or_b32 exec_lo, exec_lo, s6
.LBB560_131:
	s_delay_alu instid0(SALU_CYCLE_1)
	s_or_b32 exec_lo, exec_lo, s5
.LBB560_132:
	s_delay_alu instid0(SALU_CYCLE_1)
	s_or_b32 exec_lo, exec_lo, s4
.LBB560_133:
	s_delay_alu instid0(SALU_CYCLE_1)
	s_or_b32 exec_lo, exec_lo, s3
.LBB560_134:
	s_delay_alu instid0(SALU_CYCLE_1) | instskip(SKIP_3) | instid1(VALU_DEP_1)
	s_or_b32 exec_lo, exec_lo, s2
	v_dual_lshlrev_b32 v1, 2, v1 :: v_dual_mov_b32 v17, 0
	s_barrier_signal -1
	s_barrier_wait -1
	v_mad_i32_i24 v14, 0xffffffd4, v0, v1
	ds_store_b128 v1, v[2:5]
	ds_store_b128 v1, v[6:9] offset:16
	ds_store_b128 v1, v[10:13] offset:32
	s_wait_dscnt 0x0
	s_barrier_signal -1
	s_barrier_wait -1
	ds_load_2addr_stride64_b32 v[26:27], v14 offset0:4 offset1:8
	ds_load_2addr_stride64_b32 v[24:25], v14 offset0:12 offset1:16
	;; [unrolled: 1-line block ×5, first 2 shown]
	ds_load_b32 v15, v14 offset:11264
	v_add_nc_u64_e32 v[16:17], s[0:1], v[16:17]
	s_mov_b32 s2, exec_lo
	v_cmpx_gt_u32_e64 s23, v0
	s_cbranch_execz .LBB560_136
; %bb.135:
	v_mul_i32_i24_e32 v14, 0xffffffd4, v0
	s_delay_alu instid0(VALU_DEP_1)
	v_add_nc_u32_e32 v1, v1, v14
	ds_load_b32 v1, v1
	s_wait_dscnt 0x0
	flat_store_b32 v[16:17], v1
.LBB560_136:
	s_wait_xcnt 0x0
	s_or_b32 exec_lo, exec_lo, s2
	v_or_b32_e32 v1, 0x100, v0
	s_mov_b32 s2, exec_lo
	s_delay_alu instid0(VALU_DEP_1)
	v_cmpx_gt_u32_e64 s23, v1
	s_cbranch_execz .LBB560_138
; %bb.137:
	s_wait_dscnt 0x5
	flat_store_b32 v[16:17], v26 offset:1024
.LBB560_138:
	s_wait_xcnt 0x0
	s_or_b32 exec_lo, exec_lo, s2
	v_or_b32_e32 v1, 0x200, v0
	s_mov_b32 s2, exec_lo
	s_delay_alu instid0(VALU_DEP_1)
	v_cmpx_gt_u32_e64 s23, v1
	s_cbranch_execz .LBB560_140
; %bb.139:
	s_wait_dscnt 0x5
	flat_store_b32 v[16:17], v27 offset:2048
.LBB560_140:
	;; [unrolled: 11-line block ×10, first 2 shown]
	s_wait_xcnt 0x0
	s_or_b32 exec_lo, exec_lo, s2
	v_or_b32_e32 v1, 0xb00, v0
	s_delay_alu instid0(VALU_DEP_1)
	v_cmp_gt_u32_e64 s2, s23, v1
	s_branch .LBB560_181
.LBB560_157:
	s_and_saveexec_b32 s14, s13
	s_cbranch_execz .LBB560_159
; %bb.158:
	v_and_b32_e32 v4, 0xff, v3
	s_mov_b32 s25, 0
	s_add_co_i32 s24, s36, 32
	v_and_b32_e32 v5, 1, v50
	s_lshl_b64 s[24:25], s[24:25], 4
	v_cmp_eq_u32_e32 vcc_lo, 0, v4
	s_add_nc_u64 s[24:25], s[20:21], s[24:25]
	s_delay_alu instid0(SALU_CYCLE_1) | instskip(SKIP_1) | instid1(VALU_DEP_1)
	v_mov_b64_e32 v[6:7], s[24:25]
	v_cndmask_b32_e32 v4, 0, v51, vcc_lo
	v_dual_add_nc_u32 v2, v4, v2 :: v_dual_bitop2_b32 v3, 1, v3 bitop3:0x40
	s_delay_alu instid0(VALU_DEP_1)
	v_cmp_eq_u32_e32 vcc_lo, 1, v3
	v_mov_b32_e32 v4, 2
	v_cndmask_b32_e64 v3, v5, 1, vcc_lo
	v_mov_b32_e32 v5, 0
	;;#ASMSTART
	global_store_b128 v[6:7], v[2:5] off scope:SCOPE_DEV	
s_wait_storecnt 0x0
	;;#ASMEND
.LBB560_159:
	s_or_b32 exec_lo, exec_lo, s14
	s_delay_alu instid0(SALU_CYCLE_1)
	s_and_b32 exec_lo, exec_lo, s2
	s_cbranch_execz .LBB560_161
; %bb.160:
	v_mov_b32_e32 v2, 0
	ds_store_b32 v2, v51
	ds_store_b8 v2, v50 offset:4
.LBB560_161:
	s_or_b32 exec_lo, exec_lo, s34
	s_wait_dscnt 0x0
	v_and_b32_e32 v3, 0xff, v13
	s_barrier_signal -1
	s_barrier_wait -1
	s_delay_alu instid0(VALU_DEP_1)
	v_cmp_eq_u16_e32 vcc_lo, 0, v3
	v_mov_b32_e32 v4, 0
	v_and_b32_e32 v5, 0xff, v15
	ds_load_b32 v2, v4
	s_wait_dscnt 0x0
	v_cndmask_b32_e32 v3, 0, v2, vcc_lo
	v_cmp_eq_u64_e32 vcc_lo, 0, v[4:5]
	s_delay_alu instid0(VALU_DEP_2) | instskip(NEXT) | instid1(VALU_DEP_1)
	v_add_nc_u32_e32 v3, v3, v12
	v_cndmask_b32_e64 v2, v3, v2, s2
	s_delay_alu instid0(VALU_DEP_1) | instskip(NEXT) | instid1(VALU_DEP_1)
	v_cndmask_b32_e32 v3, 0, v2, vcc_lo
	v_add_nc_u32_e32 v3, v3, v14
	s_delay_alu instid0(VALU_DEP_1) | instskip(NEXT) | instid1(VALU_DEP_1)
	v_cndmask_b32_e64 v4, 0, v3, s1
	v_add_nc_u32_e32 v4, v4, v36
	s_delay_alu instid0(VALU_DEP_1) | instskip(NEXT) | instid1(VALU_DEP_1)
	v_cndmask_b32_e64 v5, 0, v4, s4
	;; [unrolled: 3-line block ×10, first 2 shown]
	v_add_nc_u32_e32 v13, v13, v18
	s_branch .LBB560_117
.LBB560_162:
	s_cmp_eq_u64 s[30:31], 0
	v_mov_b32_e32 v41, s33
	s_cselect_b32 s1, -1, 0
	s_cmp_eq_u64 s[26:27], 0
	s_cselect_b32 s4, -1, 0
	s_delay_alu instid0(SALU_CYCLE_1) | instskip(NEXT) | instid1(SALU_CYCLE_1)
	s_or_b32 s1, s1, s4
	s_and_b32 vcc_lo, exec_lo, s1
	s_cbranch_vccnz .LBB560_164
; %bb.163:
	v_mov_b32_e32 v2, 0
	global_load_b32 v41, v2, s[26:27]
.LBB560_164:
	s_mov_b64 s[12:13], 0x100000000
	v_or3_b32 v3, v40, v27, v29
	v_cmp_gt_u64_e32 vcc_lo, s[12:13], v[36:37]
	v_cmp_gt_u64_e64 s1, s[12:13], v[34:35]
	v_cmp_gt_u64_e64 s4, s[12:13], v[32:33]
	;; [unrolled: 1-line block ×6, first 2 shown]
	s_wait_xcnt 0x0
	v_dual_cndmask_b32 v2, 0, v14, vcc_lo :: v_dual_bitop2_b32 v1, 56, v1 bitop3:0x40
	v_cmp_gt_u64_e64 s9, s[12:13], v[22:23]
	v_cmp_gt_u64_e64 s10, s[12:13], v[20:21]
	;; [unrolled: 1-line block ×3, first 2 shown]
	s_delay_alu instid0(VALU_DEP_4)
	v_add_nc_u32_e32 v2, v2, v36
	v_cmp_gt_u64_e64 s12, s[12:13], v[38:39]
	v_or3_b32 v3, v3, v31, v33
	v_lshl_add_u32 v1, v0, 3, v1
	s_mov_b32 s13, exec_lo
	v_cndmask_b32_e64 v2, 0, v2, s1
	s_delay_alu instid0(VALU_DEP_3) | instskip(NEXT) | instid1(VALU_DEP_2)
	v_or3_b32 v3, v3, v35, v37
	v_add_nc_u32_e32 v2, v2, v34
	s_delay_alu instid0(VALU_DEP_2) | instskip(NEXT) | instid1(VALU_DEP_2)
	v_or3_b32 v3, v39, v17, v3
	v_cndmask_b32_e64 v2, 0, v2, s4
	s_delay_alu instid0(VALU_DEP_2) | instskip(NEXT) | instid1(VALU_DEP_2)
	v_and_b32_e32 v3, 0xff, v3
	v_add_nc_u32_e32 v2, v2, v32
	s_delay_alu instid0(VALU_DEP_1) | instskip(NEXT) | instid1(VALU_DEP_1)
	v_cndmask_b32_e64 v2, 0, v2, s5
	v_add_nc_u32_e32 v2, v2, v30
	s_delay_alu instid0(VALU_DEP_1) | instskip(NEXT) | instid1(VALU_DEP_1)
	v_cndmask_b32_e64 v2, 0, v2, s6
	;; [unrolled: 3-line block ×7, first 2 shown]
	v_dual_add_nc_u32 v4, v2, v18 :: v_dual_mov_b32 v2, 0
	s_delay_alu instid0(VALU_DEP_1) | instskip(NEXT) | instid1(VALU_DEP_2)
	v_cndmask_b32_e64 v4, 0, v4, s12
	v_cmp_eq_u64_e64 s12, 0, v[2:3]
	s_delay_alu instid0(VALU_DEP_1)
	v_dual_add_nc_u32 v4, v4, v38 :: v_dual_cndmask_b32 v5, 1, v15, s12
	ds_store_b32 v1, v4
	ds_store_b8 v1, v5 offset:4
	s_wait_loadcnt_dscnt 0x0
	s_barrier_signal -1
	s_barrier_wait -1
	v_cmpx_gt_u32_e32 32, v0
	s_cbranch_execz .LBB560_174
; %bb.165:
	v_dual_lshlrev_b32 v1, 1, v0 :: v_dual_lshlrev_b32 v2, 6, v0
	s_mov_b32 s14, exec_lo
	s_delay_alu instid0(VALU_DEP_1) | instskip(NEXT) | instid1(VALU_DEP_1)
	v_and_b32_e32 v1, 0x1f8, v1
	v_add_nc_u32_e32 v1, v1, v2
	ds_load_u8 v12, v1 offset:12
	ds_load_b64 v[2:3], v1
	ds_load_2addr_b32 v[6:7], v1 offset0:2 offset1:4
	ds_load_u8 v13, v1 offset:20
	ds_load_u8 v17, v1 offset:28
	;; [unrolled: 1-line block ×5, first 2 shown]
	ds_load_b32 v25, v1 offset:56
	s_wait_dscnt 0x8
	v_cmp_eq_u16_e64 s12, 0, v12
	s_wait_dscnt 0x7
	s_delay_alu instid0(VALU_DEP_1)
	v_cndmask_b32_e64 v10, 0, v2, s12
	ds_load_2addr_b32 v[8:9], v1 offset0:6 offset1:8
	s_wait_dscnt 0x6
	v_cmp_eq_u16_e64 s12, 0, v13
	v_add_nc_u32_e32 v6, v10, v6
	ds_load_2addr_b32 v[10:11], v1 offset0:10 offset1:12
	v_cndmask_b32_e64 v6, 0, v6, s12
	s_wait_dscnt 0x6
	v_cmp_eq_u16_e64 s12, 0, v17
	s_delay_alu instid0(VALU_DEP_2) | instskip(NEXT) | instid1(VALU_DEP_1)
	v_dual_add_nc_u32 v6, v6, v7 :: v_dual_bitop2_b32 v7, v13, v12 bitop3:0x54
	v_cndmask_b32_e64 v6, 0, v6, s12
	s_wait_dscnt 0x5
	v_cmp_eq_u16_e64 s12, 0, v19
	s_delay_alu instid0(VALU_DEP_3)
	v_bitop3_b16 v7, v7, v19, v17 bitop3:0xfe
	s_wait_dscnt 0x1
	v_add_nc_u32_e32 v6, v6, v8
	ds_load_u8 v8, v1 offset:60
	v_bitop3_b16 v7, v7, v23, v21 bitop3:0xfe
	v_cndmask_b32_e64 v6, 0, v6, s12
	v_cmp_eq_u16_e64 s12, 0, v21
	s_delay_alu instid0(VALU_DEP_2) | instskip(NEXT) | instid1(VALU_DEP_1)
	v_add_nc_u32_e32 v6, v6, v9
	v_dual_cndmask_b32 v9, 0, v6, s12 :: v_dual_bitop2_b32 v6, 1, v3 bitop3:0x40
	v_cmp_eq_u16_e64 s12, 0, v7
	s_wait_dscnt 0x0
	s_delay_alu instid0(VALU_DEP_2) | instskip(NEXT) | instid1(VALU_DEP_2)
	v_dual_add_nc_u32 v9, v9, v10 :: v_dual_bitop2_b32 v10, 1, v8 bitop3:0x40
	v_cndmask_b32_e64 v7, 1, v6, s12
	v_cmp_eq_u16_e64 s12, 0, v23
	s_delay_alu instid0(VALU_DEP_1) | instskip(NEXT) | instid1(VALU_DEP_4)
	v_cndmask_b32_e64 v9, 0, v9, s12
	v_cmp_eq_u32_e64 s12, 1, v10
	s_delay_alu instid0(VALU_DEP_2) | instskip(NEXT) | instid1(VALU_DEP_2)
	v_add_nc_u32_e32 v9, v9, v11
	v_cndmask_b32_e64 v10, v7, 1, s12
	v_cmp_eq_u16_e64 s12, 0, v8
	v_and_b32_e32 v7, 0xffffff00, v3
	s_delay_alu instid0(VALU_DEP_3) | instskip(NEXT) | instid1(VALU_DEP_3)
	v_and_b32_e32 v11, 0xffff, v10
	v_cndmask_b32_e64 v8, 0, v9, s12
	v_mbcnt_lo_u32_b32 v9, -1, 0
	s_delay_alu instid0(VALU_DEP_2) | instskip(NEXT) | instid1(VALU_DEP_2)
	v_dual_add_nc_u32 v8, v8, v25 :: v_dual_bitop2_b32 v12, v7, v11 bitop3:0x54
	v_and_b32_e32 v11, 15, v9
	s_delay_alu instid0(VALU_DEP_2) | instskip(NEXT) | instid1(VALU_DEP_3)
	v_mov_b32_dpp v17, v12 row_shr:1 row_mask:0xf bank_mask:0xf
	v_mov_b32_dpp v13, v8 row_shr:1 row_mask:0xf bank_mask:0xf
	s_delay_alu instid0(VALU_DEP_3)
	v_cmpx_ne_u32_e32 0, v11
	s_cbranch_execz .LBB560_167
; %bb.166:
	v_and_b32_e32 v12, 1, v10
	v_and_b32_e32 v17, 1, v17
	s_delay_alu instid0(VALU_DEP_2) | instskip(NEXT) | instid1(VALU_DEP_1)
	v_cmp_eq_u32_e64 s12, 1, v12
	v_cndmask_b32_e64 v17, v17, 1, s12
	v_cmp_eq_u16_e64 s12, 0, v10
	s_delay_alu instid0(VALU_DEP_2) | instskip(NEXT) | instid1(VALU_DEP_1)
	v_and_b32_e32 v12, 0xffff, v17
	v_dual_cndmask_b32 v10, 0, v13, s12 :: v_dual_bitop2_b32 v12, v7, v12 bitop3:0x54
	s_delay_alu instid0(VALU_DEP_1)
	v_dual_add_nc_u32 v8, v10, v8 :: v_dual_mov_b32 v10, v17
.LBB560_167:
	s_or_b32 exec_lo, exec_lo, s14
	s_delay_alu instid0(VALU_DEP_1) | instskip(NEXT) | instid1(VALU_DEP_3)
	v_mov_b32_dpp v13, v8 row_shr:2 row_mask:0xf bank_mask:0xf
	v_mov_b32_dpp v17, v12 row_shr:2 row_mask:0xf bank_mask:0xf
	s_mov_b32 s14, exec_lo
	v_cmpx_lt_u32_e32 1, v11
	s_cbranch_execz .LBB560_169
; %bb.168:
	v_and_b32_e32 v12, 1, v10
	v_and_b32_e32 v17, 1, v17
	s_delay_alu instid0(VALU_DEP_2) | instskip(NEXT) | instid1(VALU_DEP_1)
	v_cmp_eq_u32_e64 s12, 1, v12
	v_cndmask_b32_e64 v17, v17, 1, s12
	v_cmp_eq_u16_e64 s12, 0, v10
	s_delay_alu instid0(VALU_DEP_2) | instskip(NEXT) | instid1(VALU_DEP_1)
	v_and_b32_e32 v12, 0xffff, v17
	v_dual_cndmask_b32 v10, 0, v13, s12 :: v_dual_bitop2_b32 v12, v7, v12 bitop3:0x54
	s_delay_alu instid0(VALU_DEP_1)
	v_dual_add_nc_u32 v8, v10, v8 :: v_dual_mov_b32 v10, v17
.LBB560_169:
	s_or_b32 exec_lo, exec_lo, s14
	s_delay_alu instid0(VALU_DEP_1) | instskip(NEXT) | instid1(VALU_DEP_3)
	v_mov_b32_dpp v13, v8 row_shr:4 row_mask:0xf bank_mask:0xf
	v_mov_b32_dpp v17, v12 row_shr:4 row_mask:0xf bank_mask:0xf
	s_mov_b32 s14, exec_lo
	v_cmpx_lt_u32_e32 3, v11
	;; [unrolled: 20-line block ×3, first 2 shown]
	s_cbranch_execz .LBB560_173
; %bb.172:
	v_and_b32_e32 v11, 1, v10
	v_and_b32_e32 v12, 1, v17
	s_delay_alu instid0(VALU_DEP_2) | instskip(NEXT) | instid1(VALU_DEP_1)
	v_cmp_eq_u32_e64 s12, 1, v11
	v_cndmask_b32_e64 v11, v12, 1, s12
	v_cmp_eq_u16_e64 s12, 0, v10
	s_delay_alu instid0(VALU_DEP_2) | instskip(NEXT) | instid1(VALU_DEP_1)
	v_and_b32_e32 v12, 0xffff, v11
	v_dual_cndmask_b32 v10, 0, v13, s12 :: v_dual_bitop2_b32 v12, v7, v12 bitop3:0x54
	s_delay_alu instid0(VALU_DEP_1)
	v_dual_add_nc_u32 v8, v10, v8 :: v_dual_mov_b32 v10, v11
.LBB560_173:
	s_or_b32 exec_lo, exec_lo, s14
	ds_swizzle_b32 v11, v12 offset:swizzle(BROADCAST,32,15)
	ds_swizzle_b32 v12, v8 offset:swizzle(BROADCAST,32,15)
	v_and_b32_e32 v13, 1, v10
	v_bfe_i32 v19, v9, 4, 1
	v_and_b32_e32 v3, 0xff, v3
	; wave barrier
	s_delay_alu instid0(VALU_DEP_3) | instskip(SKIP_2) | instid1(VALU_DEP_1)
	v_cmp_eq_u32_e64 s12, 1, v13
	s_wait_dscnt 0x1
	v_dual_add_nc_u32 v13, -1, v9 :: v_dual_bitop2_b32 v11, 1, v11 bitop3:0x40
	v_cndmask_b32_e64 v11, v11, 1, s12
	v_and_b32_e32 v17, 16, v9
	v_cmp_eq_u16_e64 s12, 0, v10
	s_wait_dscnt 0x0
	s_delay_alu instid0(VALU_DEP_1) | instskip(NEXT) | instid1(VALU_DEP_3)
	v_cndmask_b32_e64 v12, 0, v12, s12
	v_cmp_eq_u32_e64 s12, 0, v17
	s_delay_alu instid0(VALU_DEP_1) | instskip(SKIP_1) | instid1(VALU_DEP_4)
	v_cndmask_b32_e64 v10, v11, v10, s12
	v_cmp_gt_i32_e64 s12, 0, v13
	v_and_b32_e32 v11, v19, v12
	s_delay_alu instid0(VALU_DEP_3) | instskip(NEXT) | instid1(VALU_DEP_2)
	v_and_b32_e32 v10, 0xffff, v10
	v_dual_cndmask_b32 v9, v13, v9, s12 :: v_dual_add_nc_u32 v8, v11, v8
	v_cmp_eq_u16_e64 s12, 0, v3
	s_delay_alu instid0(VALU_DEP_2)
	v_lshlrev_b32_e32 v9, 2, v9
	ds_bpermute_b32 v8, v9, v8
	s_wait_dscnt 0x0
	v_dual_cndmask_b32 v3, 0, v8, s12 :: v_dual_bitop2_b32 v7, v7, v10 bitop3:0x54
	ds_bpermute_b32 v7, v9, v7
	v_cmp_eq_u32_e64 s12, 1, v6
	s_wait_dscnt 0x0
	v_dual_add_nc_u32 v2, v3, v2 :: v_dual_bitop2_b32 v7, 1, v7 bitop3:0x40
	s_delay_alu instid0(VALU_DEP_1) | instskip(NEXT) | instid1(VALU_DEP_1)
	v_cndmask_b32_e64 v3, v7, 1, s12
	v_dual_cndmask_b32 v4, v2, v4, s2 :: v_dual_cndmask_b32 v6, v3, v5, s2
	ds_store_b32 v1, v4
	ds_store_b8 v1, v6 offset:4
	; wave barrier
	ds_load_u8 v7, v1 offset:12
	ds_load_2addr_b32 v[2:3], v1 offset0:2 offset1:4
	ds_load_u8 v8, v1 offset:20
	ds_load_u8 v9, v1 offset:28
	;; [unrolled: 1-line block ×5, first 2 shown]
	ds_load_b32 v13, v1 offset:56
	ds_load_u8 v17, v1 offset:60
	s_wait_dscnt 0x8
	v_cmp_eq_u16_e64 s12, 0, v7
	s_delay_alu instid0(VALU_DEP_1) | instskip(SKIP_4) | instid1(VALU_DEP_1)
	v_cndmask_b32_e64 v19, 0, v4, s12
	ds_load_2addr_b32 v[4:5], v1 offset0:6 offset1:8
	s_wait_dscnt 0x7
	v_cmp_eq_u16_e64 s12, 0, v8
	v_add_nc_u32_e32 v19, v19, v2
	v_cndmask_b32_e64 v2, 0, v19, s12
	s_wait_dscnt 0x6
	v_cmp_eq_u16_e64 s12, 0, v9
	s_delay_alu instid0(VALU_DEP_2)
	v_add_nc_u32_e32 v21, v2, v3
	ds_load_2addr_b32 v[2:3], v1 offset0:10 offset1:12
	v_cndmask_b32_e64 v23, 0, v21, s12
	s_wait_dscnt 0x6
	v_cmp_eq_u16_e64 s12, 0, v10
	ds_store_2addr_b32 v1, v19, v21 offset0:2 offset1:4
	s_wait_dscnt 0x2
	v_dual_add_nc_u32 v4, v23, v4 :: v_dual_bitop2_b32 v7, 1, v7 bitop3:0x40
	s_delay_alu instid0(VALU_DEP_1) | instskip(SKIP_1) | instid1(VALU_DEP_3)
	v_cndmask_b32_e64 v23, 0, v4, s12
	v_and_b32_e32 v8, 1, v8
	v_cmp_eq_u32_e64 s12, 1, v7
	v_and_b32_e32 v7, 1, v9
	s_delay_alu instid0(VALU_DEP_4) | instskip(NEXT) | instid1(VALU_DEP_3)
	v_add_nc_u32_e32 v5, v23, v5
	v_cndmask_b32_e64 v6, v6, 1, s12
	v_cmp_eq_u32_e64 s12, 1, v8
	s_delay_alu instid0(VALU_DEP_1) | instskip(SKIP_1) | instid1(VALU_DEP_1)
	v_cndmask_b32_e64 v8, v6, 1, s12
	v_cmp_eq_u16_e64 s12, 0, v11
	v_dual_cndmask_b32 v10, 0, v5, s12 :: v_dual_bitop2_b32 v9, 1, v10 bitop3:0x40
	s_wait_dscnt 0x1
	s_delay_alu instid0(VALU_DEP_1) | instskip(SKIP_2) | instid1(VALU_DEP_2)
	v_add_nc_u32_e32 v2, v10, v2
	v_cmp_eq_u32_e64 s12, 1, v7
	v_and_b32_e32 v10, 1, v12
	v_cndmask_b32_e64 v7, v8, 1, s12
	v_cmp_eq_u32_e64 s12, 1, v9
	s_delay_alu instid0(VALU_DEP_1) | instskip(SKIP_1) | instid1(VALU_DEP_1)
	v_cndmask_b32_e64 v9, v7, 1, s12
	v_cmp_eq_u16_e64 s12, 0, v12
	v_dual_cndmask_b32 v12, 0, v2, s12 :: v_dual_bitop2_b32 v11, 1, v11 bitop3:0x40
	s_delay_alu instid0(VALU_DEP_1) | instskip(NEXT) | instid1(VALU_DEP_2)
	v_cmp_eq_u32_e64 s12, 1, v11
	v_add_nc_u32_e32 v3, v12, v3
	s_delay_alu instid0(VALU_DEP_2)
	v_cndmask_b32_e64 v11, v9, 1, s12
	v_cmp_eq_u32_e64 s12, 1, v10
	ds_store_2addr_b32 v1, v4, v5 offset0:6 offset1:8
	ds_store_2addr_b32 v1, v2, v3 offset0:10 offset1:12
	v_cndmask_b32_e64 v10, v11, 1, s12
	v_cmp_eq_u16_e64 s12, 0, v17
	s_delay_alu instid0(VALU_DEP_1) | instskip(NEXT) | instid1(VALU_DEP_1)
	v_dual_cndmask_b32 v12, 0, v3, s12 :: v_dual_bitop2_b32 v23, 1, v17 bitop3:0x40
	v_cmp_eq_u32_e64 s12, 1, v23
	s_delay_alu instid0(VALU_DEP_2) | instskip(NEXT) | instid1(VALU_DEP_2)
	v_add_nc_u32_e32 v2, v12, v13
	v_cndmask_b32_e64 v17, v10, 1, s12
	ds_store_b8 v1, v6 offset:12
	ds_store_b8 v1, v8 offset:20
	;; [unrolled: 1-line block ×6, first 2 shown]
	ds_store_b32 v1, v2 offset:56
	ds_store_b8 v1, v17 offset:60
.LBB560_174:
	s_or_b32 exec_lo, exec_lo, s13
	v_mov_b32_e32 v2, v41
	s_wait_dscnt 0x0
	s_barrier_signal -1
	s_barrier_wait -1
	s_and_saveexec_b32 s12, s3
	s_cbranch_execz .LBB560_176
; %bb.175:
	v_add_nc_u32_e32 v1, -1, v0
	s_delay_alu instid0(VALU_DEP_1) | instskip(NEXT) | instid1(VALU_DEP_1)
	v_lshrrev_b32_e32 v2, 2, v1
	v_and_b32_e32 v2, 0x3ffffff8, v2
	s_delay_alu instid0(VALU_DEP_1) | instskip(SKIP_4) | instid1(VALU_DEP_1)
	v_lshl_add_u32 v1, v1, 3, v2
	ds_load_u8 v2, v1 offset:4
	ds_load_b32 v1, v1
	s_wait_dscnt 0x1
	v_cmp_eq_u16_e64 s3, 0, v2
	v_cndmask_b32_e64 v2, 0, v41, s3
	s_wait_dscnt 0x0
	s_delay_alu instid0(VALU_DEP_1)
	v_add_nc_u32_e32 v2, v2, v1
.LBB560_176:
	s_or_b32 exec_lo, exec_lo, s12
	v_and_b32_e32 v39, 0xff, v15
	v_mov_b32_e32 v38, 0
	s_delay_alu instid0(VALU_DEP_1) | instskip(NEXT) | instid1(VALU_DEP_1)
	v_cmp_eq_u64_e64 s3, 0, v[38:39]
	v_cndmask_b32_e64 v1, 0, v2, s3
	s_delay_alu instid0(VALU_DEP_1) | instskip(NEXT) | instid1(VALU_DEP_1)
	v_add_nc_u32_e32 v3, v1, v14
	v_cndmask_b32_e32 v1, 0, v3, vcc_lo
	s_delay_alu instid0(VALU_DEP_1) | instskip(NEXT) | instid1(VALU_DEP_1)
	v_add_nc_u32_e32 v4, v1, v36
	v_cndmask_b32_e64 v1, 0, v4, s1
	s_delay_alu instid0(VALU_DEP_1) | instskip(NEXT) | instid1(VALU_DEP_1)
	v_add_nc_u32_e32 v5, v1, v34
	v_cndmask_b32_e64 v1, 0, v5, s4
	;; [unrolled: 3-line block ×9, first 2 shown]
	s_delay_alu instid0(VALU_DEP_1)
	v_add_nc_u32_e32 v13, v1, v18
	s_and_saveexec_b32 s1, s2
	s_cbranch_execz .LBB560_178
; %bb.177:
	ds_load_u8 v1, v38 offset:2100
	ds_load_b32 v17, v38 offset:2096
	v_mov_b32_e32 v15, v38
	s_add_nc_u64 s[2:3], s[20:21], 0x200
	v_dual_mov_b32 v20, 2 :: v_dual_mov_b32 v21, v38
	s_wait_dscnt 0x1
	v_and_b32_e32 v14, 0xffff, v1
	s_delay_alu instid0(VALU_DEP_1) | instskip(SKIP_3) | instid1(VALU_DEP_2)
	v_cmp_eq_u64_e32 vcc_lo, 0, v[14:15]
	v_dual_cndmask_b32 v1, 0, v41, vcc_lo :: v_dual_mov_b32 v19, v14
	v_mov_b64_e32 v[14:15], s[2:3]
	s_wait_dscnt 0x0
	v_add_nc_u32_e32 v18, v1, v17
	;;#ASMSTART
	global_store_b128 v[14:15], v[18:21] off scope:SCOPE_DEV	
s_wait_storecnt 0x0
	;;#ASMEND
.LBB560_178:
	s_or_b32 exec_lo, exec_lo, s1
	s_add_nc_u64 s[2:3], s[18:19], s[28:29]
	s_and_b32 vcc_lo, exec_lo, s0
	s_add_nc_u64 s[0:1], s[2:3], s[16:17]
	s_cbranch_vccnz .LBB560_118
.LBB560_179:
	s_mov_b32 s2, 0
                                        ; implicit-def: $vgpr15
	s_cbranch_execz .LBB560_181
; %bb.180:
	v_mul_u32_u24_e32 v1, 48, v0
	v_mul_i32_i24_e32 v14, 0xffffffd4, v0
	s_wait_storecnt_dscnt 0x0
	s_barrier_signal -1
	s_barrier_wait -1
	ds_store_b128 v1, v[2:5]
	ds_store_b128 v1, v[6:9] offset:16
	ds_store_b128 v1, v[10:13] offset:32
	v_mad_u32_u24 v1, v0, 48, v14
	s_wait_dscnt 0x0
	s_barrier_signal -1
	s_barrier_wait -1
	ds_load_2addr_stride64_b32 v[2:3], v1 offset1:4
	ds_load_2addr_stride64_b32 v[4:5], v1 offset0:8 offset1:12
	ds_load_2addr_stride64_b32 v[6:7], v1 offset0:16 offset1:20
	;; [unrolled: 1-line block ×5, first 2 shown]
	s_or_b32 s2, s2, exec_lo
	s_wait_dscnt 0x5
	s_clause 0x1
	flat_store_b32 v0, v2, s[0:1] scale_offset
	flat_store_b32 v0, v3, s[0:1] offset:1024 scale_offset
	s_wait_dscnt 0x6
	s_clause 0x1
	flat_store_b32 v0, v4, s[0:1] offset:2048 scale_offset
	flat_store_b32 v0, v5, s[0:1] offset:3072 scale_offset
	s_wait_dscnt 0x7
	s_clause 0x1
	flat_store_b32 v0, v6, s[0:1] offset:4096 scale_offset
	;; [unrolled: 4-line block ×4, first 2 shown]
	flat_store_b32 v0, v11, s[0:1] offset:9216 scale_offset
	s_wait_dscnt 0xa
	flat_store_b32 v0, v14, s[0:1] offset:10240 scale_offset
.LBB560_181:
	s_wait_xcnt 0x0
	s_delay_alu instid0(VALU_DEP_1)
	s_and_saveexec_b32 s3, s2
	s_cbranch_execz .LBB560_183
; %bb.182:
	s_wait_dscnt 0x0
	flat_store_b32 v0, v15, s[0:1] offset:11264 scale_offset
	s_endpgm
.LBB560_183:
	s_endpgm
	.section	.rodata,"a",@progbits
	.p2align	6, 0x0
	.amdhsa_kernel _ZN7rocprim17ROCPRIM_400000_NS6detail17trampoline_kernelINS0_14default_configENS1_27scan_by_key_config_selectorIiiEEZZNS1_16scan_by_key_implILNS1_25lookback_scan_determinismE0ELb1ES3_N6thrust23THRUST_200600_302600_NS6detail15normal_iteratorINS9_10device_ptrIiEEEESE_SE_iNS9_4plusIvEENS9_8equal_toIiEEiEE10hipError_tPvRmT2_T3_T4_T5_mT6_T7_P12ihipStream_tbENKUlT_T0_E_clISt17integral_constantIbLb0EESY_IbLb1EEEEDaSU_SV_EUlSU_E_NS1_11comp_targetILNS1_3genE0ELNS1_11target_archE4294967295ELNS1_3gpuE0ELNS1_3repE0EEENS1_30default_config_static_selectorELNS0_4arch9wavefront6targetE0EEEvT1_
		.amdhsa_group_segment_fixed_size 14336
		.amdhsa_private_segment_fixed_size 0
		.amdhsa_kernarg_size 112
		.amdhsa_user_sgpr_count 2
		.amdhsa_user_sgpr_dispatch_ptr 0
		.amdhsa_user_sgpr_queue_ptr 0
		.amdhsa_user_sgpr_kernarg_segment_ptr 1
		.amdhsa_user_sgpr_dispatch_id 0
		.amdhsa_user_sgpr_kernarg_preload_length 0
		.amdhsa_user_sgpr_kernarg_preload_offset 0
		.amdhsa_user_sgpr_private_segment_size 0
		.amdhsa_wavefront_size32 1
		.amdhsa_uses_dynamic_stack 0
		.amdhsa_enable_private_segment 0
		.amdhsa_system_sgpr_workgroup_id_x 1
		.amdhsa_system_sgpr_workgroup_id_y 0
		.amdhsa_system_sgpr_workgroup_id_z 0
		.amdhsa_system_sgpr_workgroup_info 0
		.amdhsa_system_vgpr_workitem_id 0
		.amdhsa_next_free_vgpr 62
		.amdhsa_next_free_sgpr 39
		.amdhsa_named_barrier_count 0
		.amdhsa_reserve_vcc 1
		.amdhsa_float_round_mode_32 0
		.amdhsa_float_round_mode_16_64 0
		.amdhsa_float_denorm_mode_32 3
		.amdhsa_float_denorm_mode_16_64 3
		.amdhsa_fp16_overflow 0
		.amdhsa_memory_ordered 1
		.amdhsa_forward_progress 1
		.amdhsa_inst_pref_size 95
		.amdhsa_round_robin_scheduling 0
		.amdhsa_exception_fp_ieee_invalid_op 0
		.amdhsa_exception_fp_denorm_src 0
		.amdhsa_exception_fp_ieee_div_zero 0
		.amdhsa_exception_fp_ieee_overflow 0
		.amdhsa_exception_fp_ieee_underflow 0
		.amdhsa_exception_fp_ieee_inexact 0
		.amdhsa_exception_int_div_zero 0
	.end_amdhsa_kernel
	.section	.text._ZN7rocprim17ROCPRIM_400000_NS6detail17trampoline_kernelINS0_14default_configENS1_27scan_by_key_config_selectorIiiEEZZNS1_16scan_by_key_implILNS1_25lookback_scan_determinismE0ELb1ES3_N6thrust23THRUST_200600_302600_NS6detail15normal_iteratorINS9_10device_ptrIiEEEESE_SE_iNS9_4plusIvEENS9_8equal_toIiEEiEE10hipError_tPvRmT2_T3_T4_T5_mT6_T7_P12ihipStream_tbENKUlT_T0_E_clISt17integral_constantIbLb0EESY_IbLb1EEEEDaSU_SV_EUlSU_E_NS1_11comp_targetILNS1_3genE0ELNS1_11target_archE4294967295ELNS1_3gpuE0ELNS1_3repE0EEENS1_30default_config_static_selectorELNS0_4arch9wavefront6targetE0EEEvT1_,"axG",@progbits,_ZN7rocprim17ROCPRIM_400000_NS6detail17trampoline_kernelINS0_14default_configENS1_27scan_by_key_config_selectorIiiEEZZNS1_16scan_by_key_implILNS1_25lookback_scan_determinismE0ELb1ES3_N6thrust23THRUST_200600_302600_NS6detail15normal_iteratorINS9_10device_ptrIiEEEESE_SE_iNS9_4plusIvEENS9_8equal_toIiEEiEE10hipError_tPvRmT2_T3_T4_T5_mT6_T7_P12ihipStream_tbENKUlT_T0_E_clISt17integral_constantIbLb0EESY_IbLb1EEEEDaSU_SV_EUlSU_E_NS1_11comp_targetILNS1_3genE0ELNS1_11target_archE4294967295ELNS1_3gpuE0ELNS1_3repE0EEENS1_30default_config_static_selectorELNS0_4arch9wavefront6targetE0EEEvT1_,comdat
.Lfunc_end560:
	.size	_ZN7rocprim17ROCPRIM_400000_NS6detail17trampoline_kernelINS0_14default_configENS1_27scan_by_key_config_selectorIiiEEZZNS1_16scan_by_key_implILNS1_25lookback_scan_determinismE0ELb1ES3_N6thrust23THRUST_200600_302600_NS6detail15normal_iteratorINS9_10device_ptrIiEEEESE_SE_iNS9_4plusIvEENS9_8equal_toIiEEiEE10hipError_tPvRmT2_T3_T4_T5_mT6_T7_P12ihipStream_tbENKUlT_T0_E_clISt17integral_constantIbLb0EESY_IbLb1EEEEDaSU_SV_EUlSU_E_NS1_11comp_targetILNS1_3genE0ELNS1_11target_archE4294967295ELNS1_3gpuE0ELNS1_3repE0EEENS1_30default_config_static_selectorELNS0_4arch9wavefront6targetE0EEEvT1_, .Lfunc_end560-_ZN7rocprim17ROCPRIM_400000_NS6detail17trampoline_kernelINS0_14default_configENS1_27scan_by_key_config_selectorIiiEEZZNS1_16scan_by_key_implILNS1_25lookback_scan_determinismE0ELb1ES3_N6thrust23THRUST_200600_302600_NS6detail15normal_iteratorINS9_10device_ptrIiEEEESE_SE_iNS9_4plusIvEENS9_8equal_toIiEEiEE10hipError_tPvRmT2_T3_T4_T5_mT6_T7_P12ihipStream_tbENKUlT_T0_E_clISt17integral_constantIbLb0EESY_IbLb1EEEEDaSU_SV_EUlSU_E_NS1_11comp_targetILNS1_3genE0ELNS1_11target_archE4294967295ELNS1_3gpuE0ELNS1_3repE0EEENS1_30default_config_static_selectorELNS0_4arch9wavefront6targetE0EEEvT1_
                                        ; -- End function
	.set _ZN7rocprim17ROCPRIM_400000_NS6detail17trampoline_kernelINS0_14default_configENS1_27scan_by_key_config_selectorIiiEEZZNS1_16scan_by_key_implILNS1_25lookback_scan_determinismE0ELb1ES3_N6thrust23THRUST_200600_302600_NS6detail15normal_iteratorINS9_10device_ptrIiEEEESE_SE_iNS9_4plusIvEENS9_8equal_toIiEEiEE10hipError_tPvRmT2_T3_T4_T5_mT6_T7_P12ihipStream_tbENKUlT_T0_E_clISt17integral_constantIbLb0EESY_IbLb1EEEEDaSU_SV_EUlSU_E_NS1_11comp_targetILNS1_3genE0ELNS1_11target_archE4294967295ELNS1_3gpuE0ELNS1_3repE0EEENS1_30default_config_static_selectorELNS0_4arch9wavefront6targetE0EEEvT1_.num_vgpr, 62
	.set _ZN7rocprim17ROCPRIM_400000_NS6detail17trampoline_kernelINS0_14default_configENS1_27scan_by_key_config_selectorIiiEEZZNS1_16scan_by_key_implILNS1_25lookback_scan_determinismE0ELb1ES3_N6thrust23THRUST_200600_302600_NS6detail15normal_iteratorINS9_10device_ptrIiEEEESE_SE_iNS9_4plusIvEENS9_8equal_toIiEEiEE10hipError_tPvRmT2_T3_T4_T5_mT6_T7_P12ihipStream_tbENKUlT_T0_E_clISt17integral_constantIbLb0EESY_IbLb1EEEEDaSU_SV_EUlSU_E_NS1_11comp_targetILNS1_3genE0ELNS1_11target_archE4294967295ELNS1_3gpuE0ELNS1_3repE0EEENS1_30default_config_static_selectorELNS0_4arch9wavefront6targetE0EEEvT1_.num_agpr, 0
	.set _ZN7rocprim17ROCPRIM_400000_NS6detail17trampoline_kernelINS0_14default_configENS1_27scan_by_key_config_selectorIiiEEZZNS1_16scan_by_key_implILNS1_25lookback_scan_determinismE0ELb1ES3_N6thrust23THRUST_200600_302600_NS6detail15normal_iteratorINS9_10device_ptrIiEEEESE_SE_iNS9_4plusIvEENS9_8equal_toIiEEiEE10hipError_tPvRmT2_T3_T4_T5_mT6_T7_P12ihipStream_tbENKUlT_T0_E_clISt17integral_constantIbLb0EESY_IbLb1EEEEDaSU_SV_EUlSU_E_NS1_11comp_targetILNS1_3genE0ELNS1_11target_archE4294967295ELNS1_3gpuE0ELNS1_3repE0EEENS1_30default_config_static_selectorELNS0_4arch9wavefront6targetE0EEEvT1_.numbered_sgpr, 39
	.set _ZN7rocprim17ROCPRIM_400000_NS6detail17trampoline_kernelINS0_14default_configENS1_27scan_by_key_config_selectorIiiEEZZNS1_16scan_by_key_implILNS1_25lookback_scan_determinismE0ELb1ES3_N6thrust23THRUST_200600_302600_NS6detail15normal_iteratorINS9_10device_ptrIiEEEESE_SE_iNS9_4plusIvEENS9_8equal_toIiEEiEE10hipError_tPvRmT2_T3_T4_T5_mT6_T7_P12ihipStream_tbENKUlT_T0_E_clISt17integral_constantIbLb0EESY_IbLb1EEEEDaSU_SV_EUlSU_E_NS1_11comp_targetILNS1_3genE0ELNS1_11target_archE4294967295ELNS1_3gpuE0ELNS1_3repE0EEENS1_30default_config_static_selectorELNS0_4arch9wavefront6targetE0EEEvT1_.num_named_barrier, 0
	.set _ZN7rocprim17ROCPRIM_400000_NS6detail17trampoline_kernelINS0_14default_configENS1_27scan_by_key_config_selectorIiiEEZZNS1_16scan_by_key_implILNS1_25lookback_scan_determinismE0ELb1ES3_N6thrust23THRUST_200600_302600_NS6detail15normal_iteratorINS9_10device_ptrIiEEEESE_SE_iNS9_4plusIvEENS9_8equal_toIiEEiEE10hipError_tPvRmT2_T3_T4_T5_mT6_T7_P12ihipStream_tbENKUlT_T0_E_clISt17integral_constantIbLb0EESY_IbLb1EEEEDaSU_SV_EUlSU_E_NS1_11comp_targetILNS1_3genE0ELNS1_11target_archE4294967295ELNS1_3gpuE0ELNS1_3repE0EEENS1_30default_config_static_selectorELNS0_4arch9wavefront6targetE0EEEvT1_.private_seg_size, 0
	.set _ZN7rocprim17ROCPRIM_400000_NS6detail17trampoline_kernelINS0_14default_configENS1_27scan_by_key_config_selectorIiiEEZZNS1_16scan_by_key_implILNS1_25lookback_scan_determinismE0ELb1ES3_N6thrust23THRUST_200600_302600_NS6detail15normal_iteratorINS9_10device_ptrIiEEEESE_SE_iNS9_4plusIvEENS9_8equal_toIiEEiEE10hipError_tPvRmT2_T3_T4_T5_mT6_T7_P12ihipStream_tbENKUlT_T0_E_clISt17integral_constantIbLb0EESY_IbLb1EEEEDaSU_SV_EUlSU_E_NS1_11comp_targetILNS1_3genE0ELNS1_11target_archE4294967295ELNS1_3gpuE0ELNS1_3repE0EEENS1_30default_config_static_selectorELNS0_4arch9wavefront6targetE0EEEvT1_.uses_vcc, 1
	.set _ZN7rocprim17ROCPRIM_400000_NS6detail17trampoline_kernelINS0_14default_configENS1_27scan_by_key_config_selectorIiiEEZZNS1_16scan_by_key_implILNS1_25lookback_scan_determinismE0ELb1ES3_N6thrust23THRUST_200600_302600_NS6detail15normal_iteratorINS9_10device_ptrIiEEEESE_SE_iNS9_4plusIvEENS9_8equal_toIiEEiEE10hipError_tPvRmT2_T3_T4_T5_mT6_T7_P12ihipStream_tbENKUlT_T0_E_clISt17integral_constantIbLb0EESY_IbLb1EEEEDaSU_SV_EUlSU_E_NS1_11comp_targetILNS1_3genE0ELNS1_11target_archE4294967295ELNS1_3gpuE0ELNS1_3repE0EEENS1_30default_config_static_selectorELNS0_4arch9wavefront6targetE0EEEvT1_.uses_flat_scratch, 1
	.set _ZN7rocprim17ROCPRIM_400000_NS6detail17trampoline_kernelINS0_14default_configENS1_27scan_by_key_config_selectorIiiEEZZNS1_16scan_by_key_implILNS1_25lookback_scan_determinismE0ELb1ES3_N6thrust23THRUST_200600_302600_NS6detail15normal_iteratorINS9_10device_ptrIiEEEESE_SE_iNS9_4plusIvEENS9_8equal_toIiEEiEE10hipError_tPvRmT2_T3_T4_T5_mT6_T7_P12ihipStream_tbENKUlT_T0_E_clISt17integral_constantIbLb0EESY_IbLb1EEEEDaSU_SV_EUlSU_E_NS1_11comp_targetILNS1_3genE0ELNS1_11target_archE4294967295ELNS1_3gpuE0ELNS1_3repE0EEENS1_30default_config_static_selectorELNS0_4arch9wavefront6targetE0EEEvT1_.has_dyn_sized_stack, 0
	.set _ZN7rocprim17ROCPRIM_400000_NS6detail17trampoline_kernelINS0_14default_configENS1_27scan_by_key_config_selectorIiiEEZZNS1_16scan_by_key_implILNS1_25lookback_scan_determinismE0ELb1ES3_N6thrust23THRUST_200600_302600_NS6detail15normal_iteratorINS9_10device_ptrIiEEEESE_SE_iNS9_4plusIvEENS9_8equal_toIiEEiEE10hipError_tPvRmT2_T3_T4_T5_mT6_T7_P12ihipStream_tbENKUlT_T0_E_clISt17integral_constantIbLb0EESY_IbLb1EEEEDaSU_SV_EUlSU_E_NS1_11comp_targetILNS1_3genE0ELNS1_11target_archE4294967295ELNS1_3gpuE0ELNS1_3repE0EEENS1_30default_config_static_selectorELNS0_4arch9wavefront6targetE0EEEvT1_.has_recursion, 0
	.set _ZN7rocprim17ROCPRIM_400000_NS6detail17trampoline_kernelINS0_14default_configENS1_27scan_by_key_config_selectorIiiEEZZNS1_16scan_by_key_implILNS1_25lookback_scan_determinismE0ELb1ES3_N6thrust23THRUST_200600_302600_NS6detail15normal_iteratorINS9_10device_ptrIiEEEESE_SE_iNS9_4plusIvEENS9_8equal_toIiEEiEE10hipError_tPvRmT2_T3_T4_T5_mT6_T7_P12ihipStream_tbENKUlT_T0_E_clISt17integral_constantIbLb0EESY_IbLb1EEEEDaSU_SV_EUlSU_E_NS1_11comp_targetILNS1_3genE0ELNS1_11target_archE4294967295ELNS1_3gpuE0ELNS1_3repE0EEENS1_30default_config_static_selectorELNS0_4arch9wavefront6targetE0EEEvT1_.has_indirect_call, 0
	.section	.AMDGPU.csdata,"",@progbits
; Kernel info:
; codeLenInByte = 12140
; TotalNumSgprs: 41
; NumVgprs: 62
; ScratchSize: 0
; MemoryBound: 0
; FloatMode: 240
; IeeeMode: 1
; LDSByteSize: 14336 bytes/workgroup (compile time only)
; SGPRBlocks: 0
; VGPRBlocks: 3
; NumSGPRsForWavesPerEU: 41
; NumVGPRsForWavesPerEU: 62
; NamedBarCnt: 0
; Occupancy: 16
; WaveLimiterHint : 1
; COMPUTE_PGM_RSRC2:SCRATCH_EN: 0
; COMPUTE_PGM_RSRC2:USER_SGPR: 2
; COMPUTE_PGM_RSRC2:TRAP_HANDLER: 0
; COMPUTE_PGM_RSRC2:TGID_X_EN: 1
; COMPUTE_PGM_RSRC2:TGID_Y_EN: 0
; COMPUTE_PGM_RSRC2:TGID_Z_EN: 0
; COMPUTE_PGM_RSRC2:TIDIG_COMP_CNT: 0
	.section	.text._ZN7rocprim17ROCPRIM_400000_NS6detail17trampoline_kernelINS0_14default_configENS1_27scan_by_key_config_selectorIiiEEZZNS1_16scan_by_key_implILNS1_25lookback_scan_determinismE0ELb1ES3_N6thrust23THRUST_200600_302600_NS6detail15normal_iteratorINS9_10device_ptrIiEEEESE_SE_iNS9_4plusIvEENS9_8equal_toIiEEiEE10hipError_tPvRmT2_T3_T4_T5_mT6_T7_P12ihipStream_tbENKUlT_T0_E_clISt17integral_constantIbLb0EESY_IbLb1EEEEDaSU_SV_EUlSU_E_NS1_11comp_targetILNS1_3genE10ELNS1_11target_archE1201ELNS1_3gpuE5ELNS1_3repE0EEENS1_30default_config_static_selectorELNS0_4arch9wavefront6targetE0EEEvT1_,"axG",@progbits,_ZN7rocprim17ROCPRIM_400000_NS6detail17trampoline_kernelINS0_14default_configENS1_27scan_by_key_config_selectorIiiEEZZNS1_16scan_by_key_implILNS1_25lookback_scan_determinismE0ELb1ES3_N6thrust23THRUST_200600_302600_NS6detail15normal_iteratorINS9_10device_ptrIiEEEESE_SE_iNS9_4plusIvEENS9_8equal_toIiEEiEE10hipError_tPvRmT2_T3_T4_T5_mT6_T7_P12ihipStream_tbENKUlT_T0_E_clISt17integral_constantIbLb0EESY_IbLb1EEEEDaSU_SV_EUlSU_E_NS1_11comp_targetILNS1_3genE10ELNS1_11target_archE1201ELNS1_3gpuE5ELNS1_3repE0EEENS1_30default_config_static_selectorELNS0_4arch9wavefront6targetE0EEEvT1_,comdat
	.protected	_ZN7rocprim17ROCPRIM_400000_NS6detail17trampoline_kernelINS0_14default_configENS1_27scan_by_key_config_selectorIiiEEZZNS1_16scan_by_key_implILNS1_25lookback_scan_determinismE0ELb1ES3_N6thrust23THRUST_200600_302600_NS6detail15normal_iteratorINS9_10device_ptrIiEEEESE_SE_iNS9_4plusIvEENS9_8equal_toIiEEiEE10hipError_tPvRmT2_T3_T4_T5_mT6_T7_P12ihipStream_tbENKUlT_T0_E_clISt17integral_constantIbLb0EESY_IbLb1EEEEDaSU_SV_EUlSU_E_NS1_11comp_targetILNS1_3genE10ELNS1_11target_archE1201ELNS1_3gpuE5ELNS1_3repE0EEENS1_30default_config_static_selectorELNS0_4arch9wavefront6targetE0EEEvT1_ ; -- Begin function _ZN7rocprim17ROCPRIM_400000_NS6detail17trampoline_kernelINS0_14default_configENS1_27scan_by_key_config_selectorIiiEEZZNS1_16scan_by_key_implILNS1_25lookback_scan_determinismE0ELb1ES3_N6thrust23THRUST_200600_302600_NS6detail15normal_iteratorINS9_10device_ptrIiEEEESE_SE_iNS9_4plusIvEENS9_8equal_toIiEEiEE10hipError_tPvRmT2_T3_T4_T5_mT6_T7_P12ihipStream_tbENKUlT_T0_E_clISt17integral_constantIbLb0EESY_IbLb1EEEEDaSU_SV_EUlSU_E_NS1_11comp_targetILNS1_3genE10ELNS1_11target_archE1201ELNS1_3gpuE5ELNS1_3repE0EEENS1_30default_config_static_selectorELNS0_4arch9wavefront6targetE0EEEvT1_
	.globl	_ZN7rocprim17ROCPRIM_400000_NS6detail17trampoline_kernelINS0_14default_configENS1_27scan_by_key_config_selectorIiiEEZZNS1_16scan_by_key_implILNS1_25lookback_scan_determinismE0ELb1ES3_N6thrust23THRUST_200600_302600_NS6detail15normal_iteratorINS9_10device_ptrIiEEEESE_SE_iNS9_4plusIvEENS9_8equal_toIiEEiEE10hipError_tPvRmT2_T3_T4_T5_mT6_T7_P12ihipStream_tbENKUlT_T0_E_clISt17integral_constantIbLb0EESY_IbLb1EEEEDaSU_SV_EUlSU_E_NS1_11comp_targetILNS1_3genE10ELNS1_11target_archE1201ELNS1_3gpuE5ELNS1_3repE0EEENS1_30default_config_static_selectorELNS0_4arch9wavefront6targetE0EEEvT1_
	.p2align	8
	.type	_ZN7rocprim17ROCPRIM_400000_NS6detail17trampoline_kernelINS0_14default_configENS1_27scan_by_key_config_selectorIiiEEZZNS1_16scan_by_key_implILNS1_25lookback_scan_determinismE0ELb1ES3_N6thrust23THRUST_200600_302600_NS6detail15normal_iteratorINS9_10device_ptrIiEEEESE_SE_iNS9_4plusIvEENS9_8equal_toIiEEiEE10hipError_tPvRmT2_T3_T4_T5_mT6_T7_P12ihipStream_tbENKUlT_T0_E_clISt17integral_constantIbLb0EESY_IbLb1EEEEDaSU_SV_EUlSU_E_NS1_11comp_targetILNS1_3genE10ELNS1_11target_archE1201ELNS1_3gpuE5ELNS1_3repE0EEENS1_30default_config_static_selectorELNS0_4arch9wavefront6targetE0EEEvT1_,@function
_ZN7rocprim17ROCPRIM_400000_NS6detail17trampoline_kernelINS0_14default_configENS1_27scan_by_key_config_selectorIiiEEZZNS1_16scan_by_key_implILNS1_25lookback_scan_determinismE0ELb1ES3_N6thrust23THRUST_200600_302600_NS6detail15normal_iteratorINS9_10device_ptrIiEEEESE_SE_iNS9_4plusIvEENS9_8equal_toIiEEiEE10hipError_tPvRmT2_T3_T4_T5_mT6_T7_P12ihipStream_tbENKUlT_T0_E_clISt17integral_constantIbLb0EESY_IbLb1EEEEDaSU_SV_EUlSU_E_NS1_11comp_targetILNS1_3genE10ELNS1_11target_archE1201ELNS1_3gpuE5ELNS1_3repE0EEENS1_30default_config_static_selectorELNS0_4arch9wavefront6targetE0EEEvT1_: ; @_ZN7rocprim17ROCPRIM_400000_NS6detail17trampoline_kernelINS0_14default_configENS1_27scan_by_key_config_selectorIiiEEZZNS1_16scan_by_key_implILNS1_25lookback_scan_determinismE0ELb1ES3_N6thrust23THRUST_200600_302600_NS6detail15normal_iteratorINS9_10device_ptrIiEEEESE_SE_iNS9_4plusIvEENS9_8equal_toIiEEiEE10hipError_tPvRmT2_T3_T4_T5_mT6_T7_P12ihipStream_tbENKUlT_T0_E_clISt17integral_constantIbLb0EESY_IbLb1EEEEDaSU_SV_EUlSU_E_NS1_11comp_targetILNS1_3genE10ELNS1_11target_archE1201ELNS1_3gpuE5ELNS1_3repE0EEENS1_30default_config_static_selectorELNS0_4arch9wavefront6targetE0EEEvT1_
; %bb.0:
	.section	.rodata,"a",@progbits
	.p2align	6, 0x0
	.amdhsa_kernel _ZN7rocprim17ROCPRIM_400000_NS6detail17trampoline_kernelINS0_14default_configENS1_27scan_by_key_config_selectorIiiEEZZNS1_16scan_by_key_implILNS1_25lookback_scan_determinismE0ELb1ES3_N6thrust23THRUST_200600_302600_NS6detail15normal_iteratorINS9_10device_ptrIiEEEESE_SE_iNS9_4plusIvEENS9_8equal_toIiEEiEE10hipError_tPvRmT2_T3_T4_T5_mT6_T7_P12ihipStream_tbENKUlT_T0_E_clISt17integral_constantIbLb0EESY_IbLb1EEEEDaSU_SV_EUlSU_E_NS1_11comp_targetILNS1_3genE10ELNS1_11target_archE1201ELNS1_3gpuE5ELNS1_3repE0EEENS1_30default_config_static_selectorELNS0_4arch9wavefront6targetE0EEEvT1_
		.amdhsa_group_segment_fixed_size 0
		.amdhsa_private_segment_fixed_size 0
		.amdhsa_kernarg_size 112
		.amdhsa_user_sgpr_count 2
		.amdhsa_user_sgpr_dispatch_ptr 0
		.amdhsa_user_sgpr_queue_ptr 0
		.amdhsa_user_sgpr_kernarg_segment_ptr 1
		.amdhsa_user_sgpr_dispatch_id 0
		.amdhsa_user_sgpr_kernarg_preload_length 0
		.amdhsa_user_sgpr_kernarg_preload_offset 0
		.amdhsa_user_sgpr_private_segment_size 0
		.amdhsa_wavefront_size32 1
		.amdhsa_uses_dynamic_stack 0
		.amdhsa_enable_private_segment 0
		.amdhsa_system_sgpr_workgroup_id_x 1
		.amdhsa_system_sgpr_workgroup_id_y 0
		.amdhsa_system_sgpr_workgroup_id_z 0
		.amdhsa_system_sgpr_workgroup_info 0
		.amdhsa_system_vgpr_workitem_id 0
		.amdhsa_next_free_vgpr 1
		.amdhsa_next_free_sgpr 1
		.amdhsa_named_barrier_count 0
		.amdhsa_reserve_vcc 0
		.amdhsa_float_round_mode_32 0
		.amdhsa_float_round_mode_16_64 0
		.amdhsa_float_denorm_mode_32 3
		.amdhsa_float_denorm_mode_16_64 3
		.amdhsa_fp16_overflow 0
		.amdhsa_memory_ordered 1
		.amdhsa_forward_progress 1
		.amdhsa_inst_pref_size 0
		.amdhsa_round_robin_scheduling 0
		.amdhsa_exception_fp_ieee_invalid_op 0
		.amdhsa_exception_fp_denorm_src 0
		.amdhsa_exception_fp_ieee_div_zero 0
		.amdhsa_exception_fp_ieee_overflow 0
		.amdhsa_exception_fp_ieee_underflow 0
		.amdhsa_exception_fp_ieee_inexact 0
		.amdhsa_exception_int_div_zero 0
	.end_amdhsa_kernel
	.section	.text._ZN7rocprim17ROCPRIM_400000_NS6detail17trampoline_kernelINS0_14default_configENS1_27scan_by_key_config_selectorIiiEEZZNS1_16scan_by_key_implILNS1_25lookback_scan_determinismE0ELb1ES3_N6thrust23THRUST_200600_302600_NS6detail15normal_iteratorINS9_10device_ptrIiEEEESE_SE_iNS9_4plusIvEENS9_8equal_toIiEEiEE10hipError_tPvRmT2_T3_T4_T5_mT6_T7_P12ihipStream_tbENKUlT_T0_E_clISt17integral_constantIbLb0EESY_IbLb1EEEEDaSU_SV_EUlSU_E_NS1_11comp_targetILNS1_3genE10ELNS1_11target_archE1201ELNS1_3gpuE5ELNS1_3repE0EEENS1_30default_config_static_selectorELNS0_4arch9wavefront6targetE0EEEvT1_,"axG",@progbits,_ZN7rocprim17ROCPRIM_400000_NS6detail17trampoline_kernelINS0_14default_configENS1_27scan_by_key_config_selectorIiiEEZZNS1_16scan_by_key_implILNS1_25lookback_scan_determinismE0ELb1ES3_N6thrust23THRUST_200600_302600_NS6detail15normal_iteratorINS9_10device_ptrIiEEEESE_SE_iNS9_4plusIvEENS9_8equal_toIiEEiEE10hipError_tPvRmT2_T3_T4_T5_mT6_T7_P12ihipStream_tbENKUlT_T0_E_clISt17integral_constantIbLb0EESY_IbLb1EEEEDaSU_SV_EUlSU_E_NS1_11comp_targetILNS1_3genE10ELNS1_11target_archE1201ELNS1_3gpuE5ELNS1_3repE0EEENS1_30default_config_static_selectorELNS0_4arch9wavefront6targetE0EEEvT1_,comdat
.Lfunc_end561:
	.size	_ZN7rocprim17ROCPRIM_400000_NS6detail17trampoline_kernelINS0_14default_configENS1_27scan_by_key_config_selectorIiiEEZZNS1_16scan_by_key_implILNS1_25lookback_scan_determinismE0ELb1ES3_N6thrust23THRUST_200600_302600_NS6detail15normal_iteratorINS9_10device_ptrIiEEEESE_SE_iNS9_4plusIvEENS9_8equal_toIiEEiEE10hipError_tPvRmT2_T3_T4_T5_mT6_T7_P12ihipStream_tbENKUlT_T0_E_clISt17integral_constantIbLb0EESY_IbLb1EEEEDaSU_SV_EUlSU_E_NS1_11comp_targetILNS1_3genE10ELNS1_11target_archE1201ELNS1_3gpuE5ELNS1_3repE0EEENS1_30default_config_static_selectorELNS0_4arch9wavefront6targetE0EEEvT1_, .Lfunc_end561-_ZN7rocprim17ROCPRIM_400000_NS6detail17trampoline_kernelINS0_14default_configENS1_27scan_by_key_config_selectorIiiEEZZNS1_16scan_by_key_implILNS1_25lookback_scan_determinismE0ELb1ES3_N6thrust23THRUST_200600_302600_NS6detail15normal_iteratorINS9_10device_ptrIiEEEESE_SE_iNS9_4plusIvEENS9_8equal_toIiEEiEE10hipError_tPvRmT2_T3_T4_T5_mT6_T7_P12ihipStream_tbENKUlT_T0_E_clISt17integral_constantIbLb0EESY_IbLb1EEEEDaSU_SV_EUlSU_E_NS1_11comp_targetILNS1_3genE10ELNS1_11target_archE1201ELNS1_3gpuE5ELNS1_3repE0EEENS1_30default_config_static_selectorELNS0_4arch9wavefront6targetE0EEEvT1_
                                        ; -- End function
	.set _ZN7rocprim17ROCPRIM_400000_NS6detail17trampoline_kernelINS0_14default_configENS1_27scan_by_key_config_selectorIiiEEZZNS1_16scan_by_key_implILNS1_25lookback_scan_determinismE0ELb1ES3_N6thrust23THRUST_200600_302600_NS6detail15normal_iteratorINS9_10device_ptrIiEEEESE_SE_iNS9_4plusIvEENS9_8equal_toIiEEiEE10hipError_tPvRmT2_T3_T4_T5_mT6_T7_P12ihipStream_tbENKUlT_T0_E_clISt17integral_constantIbLb0EESY_IbLb1EEEEDaSU_SV_EUlSU_E_NS1_11comp_targetILNS1_3genE10ELNS1_11target_archE1201ELNS1_3gpuE5ELNS1_3repE0EEENS1_30default_config_static_selectorELNS0_4arch9wavefront6targetE0EEEvT1_.num_vgpr, 0
	.set _ZN7rocprim17ROCPRIM_400000_NS6detail17trampoline_kernelINS0_14default_configENS1_27scan_by_key_config_selectorIiiEEZZNS1_16scan_by_key_implILNS1_25lookback_scan_determinismE0ELb1ES3_N6thrust23THRUST_200600_302600_NS6detail15normal_iteratorINS9_10device_ptrIiEEEESE_SE_iNS9_4plusIvEENS9_8equal_toIiEEiEE10hipError_tPvRmT2_T3_T4_T5_mT6_T7_P12ihipStream_tbENKUlT_T0_E_clISt17integral_constantIbLb0EESY_IbLb1EEEEDaSU_SV_EUlSU_E_NS1_11comp_targetILNS1_3genE10ELNS1_11target_archE1201ELNS1_3gpuE5ELNS1_3repE0EEENS1_30default_config_static_selectorELNS0_4arch9wavefront6targetE0EEEvT1_.num_agpr, 0
	.set _ZN7rocprim17ROCPRIM_400000_NS6detail17trampoline_kernelINS0_14default_configENS1_27scan_by_key_config_selectorIiiEEZZNS1_16scan_by_key_implILNS1_25lookback_scan_determinismE0ELb1ES3_N6thrust23THRUST_200600_302600_NS6detail15normal_iteratorINS9_10device_ptrIiEEEESE_SE_iNS9_4plusIvEENS9_8equal_toIiEEiEE10hipError_tPvRmT2_T3_T4_T5_mT6_T7_P12ihipStream_tbENKUlT_T0_E_clISt17integral_constantIbLb0EESY_IbLb1EEEEDaSU_SV_EUlSU_E_NS1_11comp_targetILNS1_3genE10ELNS1_11target_archE1201ELNS1_3gpuE5ELNS1_3repE0EEENS1_30default_config_static_selectorELNS0_4arch9wavefront6targetE0EEEvT1_.numbered_sgpr, 0
	.set _ZN7rocprim17ROCPRIM_400000_NS6detail17trampoline_kernelINS0_14default_configENS1_27scan_by_key_config_selectorIiiEEZZNS1_16scan_by_key_implILNS1_25lookback_scan_determinismE0ELb1ES3_N6thrust23THRUST_200600_302600_NS6detail15normal_iteratorINS9_10device_ptrIiEEEESE_SE_iNS9_4plusIvEENS9_8equal_toIiEEiEE10hipError_tPvRmT2_T3_T4_T5_mT6_T7_P12ihipStream_tbENKUlT_T0_E_clISt17integral_constantIbLb0EESY_IbLb1EEEEDaSU_SV_EUlSU_E_NS1_11comp_targetILNS1_3genE10ELNS1_11target_archE1201ELNS1_3gpuE5ELNS1_3repE0EEENS1_30default_config_static_selectorELNS0_4arch9wavefront6targetE0EEEvT1_.num_named_barrier, 0
	.set _ZN7rocprim17ROCPRIM_400000_NS6detail17trampoline_kernelINS0_14default_configENS1_27scan_by_key_config_selectorIiiEEZZNS1_16scan_by_key_implILNS1_25lookback_scan_determinismE0ELb1ES3_N6thrust23THRUST_200600_302600_NS6detail15normal_iteratorINS9_10device_ptrIiEEEESE_SE_iNS9_4plusIvEENS9_8equal_toIiEEiEE10hipError_tPvRmT2_T3_T4_T5_mT6_T7_P12ihipStream_tbENKUlT_T0_E_clISt17integral_constantIbLb0EESY_IbLb1EEEEDaSU_SV_EUlSU_E_NS1_11comp_targetILNS1_3genE10ELNS1_11target_archE1201ELNS1_3gpuE5ELNS1_3repE0EEENS1_30default_config_static_selectorELNS0_4arch9wavefront6targetE0EEEvT1_.private_seg_size, 0
	.set _ZN7rocprim17ROCPRIM_400000_NS6detail17trampoline_kernelINS0_14default_configENS1_27scan_by_key_config_selectorIiiEEZZNS1_16scan_by_key_implILNS1_25lookback_scan_determinismE0ELb1ES3_N6thrust23THRUST_200600_302600_NS6detail15normal_iteratorINS9_10device_ptrIiEEEESE_SE_iNS9_4plusIvEENS9_8equal_toIiEEiEE10hipError_tPvRmT2_T3_T4_T5_mT6_T7_P12ihipStream_tbENKUlT_T0_E_clISt17integral_constantIbLb0EESY_IbLb1EEEEDaSU_SV_EUlSU_E_NS1_11comp_targetILNS1_3genE10ELNS1_11target_archE1201ELNS1_3gpuE5ELNS1_3repE0EEENS1_30default_config_static_selectorELNS0_4arch9wavefront6targetE0EEEvT1_.uses_vcc, 0
	.set _ZN7rocprim17ROCPRIM_400000_NS6detail17trampoline_kernelINS0_14default_configENS1_27scan_by_key_config_selectorIiiEEZZNS1_16scan_by_key_implILNS1_25lookback_scan_determinismE0ELb1ES3_N6thrust23THRUST_200600_302600_NS6detail15normal_iteratorINS9_10device_ptrIiEEEESE_SE_iNS9_4plusIvEENS9_8equal_toIiEEiEE10hipError_tPvRmT2_T3_T4_T5_mT6_T7_P12ihipStream_tbENKUlT_T0_E_clISt17integral_constantIbLb0EESY_IbLb1EEEEDaSU_SV_EUlSU_E_NS1_11comp_targetILNS1_3genE10ELNS1_11target_archE1201ELNS1_3gpuE5ELNS1_3repE0EEENS1_30default_config_static_selectorELNS0_4arch9wavefront6targetE0EEEvT1_.uses_flat_scratch, 0
	.set _ZN7rocprim17ROCPRIM_400000_NS6detail17trampoline_kernelINS0_14default_configENS1_27scan_by_key_config_selectorIiiEEZZNS1_16scan_by_key_implILNS1_25lookback_scan_determinismE0ELb1ES3_N6thrust23THRUST_200600_302600_NS6detail15normal_iteratorINS9_10device_ptrIiEEEESE_SE_iNS9_4plusIvEENS9_8equal_toIiEEiEE10hipError_tPvRmT2_T3_T4_T5_mT6_T7_P12ihipStream_tbENKUlT_T0_E_clISt17integral_constantIbLb0EESY_IbLb1EEEEDaSU_SV_EUlSU_E_NS1_11comp_targetILNS1_3genE10ELNS1_11target_archE1201ELNS1_3gpuE5ELNS1_3repE0EEENS1_30default_config_static_selectorELNS0_4arch9wavefront6targetE0EEEvT1_.has_dyn_sized_stack, 0
	.set _ZN7rocprim17ROCPRIM_400000_NS6detail17trampoline_kernelINS0_14default_configENS1_27scan_by_key_config_selectorIiiEEZZNS1_16scan_by_key_implILNS1_25lookback_scan_determinismE0ELb1ES3_N6thrust23THRUST_200600_302600_NS6detail15normal_iteratorINS9_10device_ptrIiEEEESE_SE_iNS9_4plusIvEENS9_8equal_toIiEEiEE10hipError_tPvRmT2_T3_T4_T5_mT6_T7_P12ihipStream_tbENKUlT_T0_E_clISt17integral_constantIbLb0EESY_IbLb1EEEEDaSU_SV_EUlSU_E_NS1_11comp_targetILNS1_3genE10ELNS1_11target_archE1201ELNS1_3gpuE5ELNS1_3repE0EEENS1_30default_config_static_selectorELNS0_4arch9wavefront6targetE0EEEvT1_.has_recursion, 0
	.set _ZN7rocprim17ROCPRIM_400000_NS6detail17trampoline_kernelINS0_14default_configENS1_27scan_by_key_config_selectorIiiEEZZNS1_16scan_by_key_implILNS1_25lookback_scan_determinismE0ELb1ES3_N6thrust23THRUST_200600_302600_NS6detail15normal_iteratorINS9_10device_ptrIiEEEESE_SE_iNS9_4plusIvEENS9_8equal_toIiEEiEE10hipError_tPvRmT2_T3_T4_T5_mT6_T7_P12ihipStream_tbENKUlT_T0_E_clISt17integral_constantIbLb0EESY_IbLb1EEEEDaSU_SV_EUlSU_E_NS1_11comp_targetILNS1_3genE10ELNS1_11target_archE1201ELNS1_3gpuE5ELNS1_3repE0EEENS1_30default_config_static_selectorELNS0_4arch9wavefront6targetE0EEEvT1_.has_indirect_call, 0
	.section	.AMDGPU.csdata,"",@progbits
; Kernel info:
; codeLenInByte = 0
; TotalNumSgprs: 0
; NumVgprs: 0
; ScratchSize: 0
; MemoryBound: 0
; FloatMode: 240
; IeeeMode: 1
; LDSByteSize: 0 bytes/workgroup (compile time only)
; SGPRBlocks: 0
; VGPRBlocks: 0
; NumSGPRsForWavesPerEU: 1
; NumVGPRsForWavesPerEU: 1
; NamedBarCnt: 0
; Occupancy: 16
; WaveLimiterHint : 0
; COMPUTE_PGM_RSRC2:SCRATCH_EN: 0
; COMPUTE_PGM_RSRC2:USER_SGPR: 2
; COMPUTE_PGM_RSRC2:TRAP_HANDLER: 0
; COMPUTE_PGM_RSRC2:TGID_X_EN: 1
; COMPUTE_PGM_RSRC2:TGID_Y_EN: 0
; COMPUTE_PGM_RSRC2:TGID_Z_EN: 0
; COMPUTE_PGM_RSRC2:TIDIG_COMP_CNT: 0
	.section	.text._ZN7rocprim17ROCPRIM_400000_NS6detail17trampoline_kernelINS0_14default_configENS1_27scan_by_key_config_selectorIiiEEZZNS1_16scan_by_key_implILNS1_25lookback_scan_determinismE0ELb1ES3_N6thrust23THRUST_200600_302600_NS6detail15normal_iteratorINS9_10device_ptrIiEEEESE_SE_iNS9_4plusIvEENS9_8equal_toIiEEiEE10hipError_tPvRmT2_T3_T4_T5_mT6_T7_P12ihipStream_tbENKUlT_T0_E_clISt17integral_constantIbLb0EESY_IbLb1EEEEDaSU_SV_EUlSU_E_NS1_11comp_targetILNS1_3genE5ELNS1_11target_archE942ELNS1_3gpuE9ELNS1_3repE0EEENS1_30default_config_static_selectorELNS0_4arch9wavefront6targetE0EEEvT1_,"axG",@progbits,_ZN7rocprim17ROCPRIM_400000_NS6detail17trampoline_kernelINS0_14default_configENS1_27scan_by_key_config_selectorIiiEEZZNS1_16scan_by_key_implILNS1_25lookback_scan_determinismE0ELb1ES3_N6thrust23THRUST_200600_302600_NS6detail15normal_iteratorINS9_10device_ptrIiEEEESE_SE_iNS9_4plusIvEENS9_8equal_toIiEEiEE10hipError_tPvRmT2_T3_T4_T5_mT6_T7_P12ihipStream_tbENKUlT_T0_E_clISt17integral_constantIbLb0EESY_IbLb1EEEEDaSU_SV_EUlSU_E_NS1_11comp_targetILNS1_3genE5ELNS1_11target_archE942ELNS1_3gpuE9ELNS1_3repE0EEENS1_30default_config_static_selectorELNS0_4arch9wavefront6targetE0EEEvT1_,comdat
	.protected	_ZN7rocprim17ROCPRIM_400000_NS6detail17trampoline_kernelINS0_14default_configENS1_27scan_by_key_config_selectorIiiEEZZNS1_16scan_by_key_implILNS1_25lookback_scan_determinismE0ELb1ES3_N6thrust23THRUST_200600_302600_NS6detail15normal_iteratorINS9_10device_ptrIiEEEESE_SE_iNS9_4plusIvEENS9_8equal_toIiEEiEE10hipError_tPvRmT2_T3_T4_T5_mT6_T7_P12ihipStream_tbENKUlT_T0_E_clISt17integral_constantIbLb0EESY_IbLb1EEEEDaSU_SV_EUlSU_E_NS1_11comp_targetILNS1_3genE5ELNS1_11target_archE942ELNS1_3gpuE9ELNS1_3repE0EEENS1_30default_config_static_selectorELNS0_4arch9wavefront6targetE0EEEvT1_ ; -- Begin function _ZN7rocprim17ROCPRIM_400000_NS6detail17trampoline_kernelINS0_14default_configENS1_27scan_by_key_config_selectorIiiEEZZNS1_16scan_by_key_implILNS1_25lookback_scan_determinismE0ELb1ES3_N6thrust23THRUST_200600_302600_NS6detail15normal_iteratorINS9_10device_ptrIiEEEESE_SE_iNS9_4plusIvEENS9_8equal_toIiEEiEE10hipError_tPvRmT2_T3_T4_T5_mT6_T7_P12ihipStream_tbENKUlT_T0_E_clISt17integral_constantIbLb0EESY_IbLb1EEEEDaSU_SV_EUlSU_E_NS1_11comp_targetILNS1_3genE5ELNS1_11target_archE942ELNS1_3gpuE9ELNS1_3repE0EEENS1_30default_config_static_selectorELNS0_4arch9wavefront6targetE0EEEvT1_
	.globl	_ZN7rocprim17ROCPRIM_400000_NS6detail17trampoline_kernelINS0_14default_configENS1_27scan_by_key_config_selectorIiiEEZZNS1_16scan_by_key_implILNS1_25lookback_scan_determinismE0ELb1ES3_N6thrust23THRUST_200600_302600_NS6detail15normal_iteratorINS9_10device_ptrIiEEEESE_SE_iNS9_4plusIvEENS9_8equal_toIiEEiEE10hipError_tPvRmT2_T3_T4_T5_mT6_T7_P12ihipStream_tbENKUlT_T0_E_clISt17integral_constantIbLb0EESY_IbLb1EEEEDaSU_SV_EUlSU_E_NS1_11comp_targetILNS1_3genE5ELNS1_11target_archE942ELNS1_3gpuE9ELNS1_3repE0EEENS1_30default_config_static_selectorELNS0_4arch9wavefront6targetE0EEEvT1_
	.p2align	8
	.type	_ZN7rocprim17ROCPRIM_400000_NS6detail17trampoline_kernelINS0_14default_configENS1_27scan_by_key_config_selectorIiiEEZZNS1_16scan_by_key_implILNS1_25lookback_scan_determinismE0ELb1ES3_N6thrust23THRUST_200600_302600_NS6detail15normal_iteratorINS9_10device_ptrIiEEEESE_SE_iNS9_4plusIvEENS9_8equal_toIiEEiEE10hipError_tPvRmT2_T3_T4_T5_mT6_T7_P12ihipStream_tbENKUlT_T0_E_clISt17integral_constantIbLb0EESY_IbLb1EEEEDaSU_SV_EUlSU_E_NS1_11comp_targetILNS1_3genE5ELNS1_11target_archE942ELNS1_3gpuE9ELNS1_3repE0EEENS1_30default_config_static_selectorELNS0_4arch9wavefront6targetE0EEEvT1_,@function
_ZN7rocprim17ROCPRIM_400000_NS6detail17trampoline_kernelINS0_14default_configENS1_27scan_by_key_config_selectorIiiEEZZNS1_16scan_by_key_implILNS1_25lookback_scan_determinismE0ELb1ES3_N6thrust23THRUST_200600_302600_NS6detail15normal_iteratorINS9_10device_ptrIiEEEESE_SE_iNS9_4plusIvEENS9_8equal_toIiEEiEE10hipError_tPvRmT2_T3_T4_T5_mT6_T7_P12ihipStream_tbENKUlT_T0_E_clISt17integral_constantIbLb0EESY_IbLb1EEEEDaSU_SV_EUlSU_E_NS1_11comp_targetILNS1_3genE5ELNS1_11target_archE942ELNS1_3gpuE9ELNS1_3repE0EEENS1_30default_config_static_selectorELNS0_4arch9wavefront6targetE0EEEvT1_: ; @_ZN7rocprim17ROCPRIM_400000_NS6detail17trampoline_kernelINS0_14default_configENS1_27scan_by_key_config_selectorIiiEEZZNS1_16scan_by_key_implILNS1_25lookback_scan_determinismE0ELb1ES3_N6thrust23THRUST_200600_302600_NS6detail15normal_iteratorINS9_10device_ptrIiEEEESE_SE_iNS9_4plusIvEENS9_8equal_toIiEEiEE10hipError_tPvRmT2_T3_T4_T5_mT6_T7_P12ihipStream_tbENKUlT_T0_E_clISt17integral_constantIbLb0EESY_IbLb1EEEEDaSU_SV_EUlSU_E_NS1_11comp_targetILNS1_3genE5ELNS1_11target_archE942ELNS1_3gpuE9ELNS1_3repE0EEENS1_30default_config_static_selectorELNS0_4arch9wavefront6targetE0EEEvT1_
; %bb.0:
	.section	.rodata,"a",@progbits
	.p2align	6, 0x0
	.amdhsa_kernel _ZN7rocprim17ROCPRIM_400000_NS6detail17trampoline_kernelINS0_14default_configENS1_27scan_by_key_config_selectorIiiEEZZNS1_16scan_by_key_implILNS1_25lookback_scan_determinismE0ELb1ES3_N6thrust23THRUST_200600_302600_NS6detail15normal_iteratorINS9_10device_ptrIiEEEESE_SE_iNS9_4plusIvEENS9_8equal_toIiEEiEE10hipError_tPvRmT2_T3_T4_T5_mT6_T7_P12ihipStream_tbENKUlT_T0_E_clISt17integral_constantIbLb0EESY_IbLb1EEEEDaSU_SV_EUlSU_E_NS1_11comp_targetILNS1_3genE5ELNS1_11target_archE942ELNS1_3gpuE9ELNS1_3repE0EEENS1_30default_config_static_selectorELNS0_4arch9wavefront6targetE0EEEvT1_
		.amdhsa_group_segment_fixed_size 0
		.amdhsa_private_segment_fixed_size 0
		.amdhsa_kernarg_size 112
		.amdhsa_user_sgpr_count 2
		.amdhsa_user_sgpr_dispatch_ptr 0
		.amdhsa_user_sgpr_queue_ptr 0
		.amdhsa_user_sgpr_kernarg_segment_ptr 1
		.amdhsa_user_sgpr_dispatch_id 0
		.amdhsa_user_sgpr_kernarg_preload_length 0
		.amdhsa_user_sgpr_kernarg_preload_offset 0
		.amdhsa_user_sgpr_private_segment_size 0
		.amdhsa_wavefront_size32 1
		.amdhsa_uses_dynamic_stack 0
		.amdhsa_enable_private_segment 0
		.amdhsa_system_sgpr_workgroup_id_x 1
		.amdhsa_system_sgpr_workgroup_id_y 0
		.amdhsa_system_sgpr_workgroup_id_z 0
		.amdhsa_system_sgpr_workgroup_info 0
		.amdhsa_system_vgpr_workitem_id 0
		.amdhsa_next_free_vgpr 1
		.amdhsa_next_free_sgpr 1
		.amdhsa_named_barrier_count 0
		.amdhsa_reserve_vcc 0
		.amdhsa_float_round_mode_32 0
		.amdhsa_float_round_mode_16_64 0
		.amdhsa_float_denorm_mode_32 3
		.amdhsa_float_denorm_mode_16_64 3
		.amdhsa_fp16_overflow 0
		.amdhsa_memory_ordered 1
		.amdhsa_forward_progress 1
		.amdhsa_inst_pref_size 0
		.amdhsa_round_robin_scheduling 0
		.amdhsa_exception_fp_ieee_invalid_op 0
		.amdhsa_exception_fp_denorm_src 0
		.amdhsa_exception_fp_ieee_div_zero 0
		.amdhsa_exception_fp_ieee_overflow 0
		.amdhsa_exception_fp_ieee_underflow 0
		.amdhsa_exception_fp_ieee_inexact 0
		.amdhsa_exception_int_div_zero 0
	.end_amdhsa_kernel
	.section	.text._ZN7rocprim17ROCPRIM_400000_NS6detail17trampoline_kernelINS0_14default_configENS1_27scan_by_key_config_selectorIiiEEZZNS1_16scan_by_key_implILNS1_25lookback_scan_determinismE0ELb1ES3_N6thrust23THRUST_200600_302600_NS6detail15normal_iteratorINS9_10device_ptrIiEEEESE_SE_iNS9_4plusIvEENS9_8equal_toIiEEiEE10hipError_tPvRmT2_T3_T4_T5_mT6_T7_P12ihipStream_tbENKUlT_T0_E_clISt17integral_constantIbLb0EESY_IbLb1EEEEDaSU_SV_EUlSU_E_NS1_11comp_targetILNS1_3genE5ELNS1_11target_archE942ELNS1_3gpuE9ELNS1_3repE0EEENS1_30default_config_static_selectorELNS0_4arch9wavefront6targetE0EEEvT1_,"axG",@progbits,_ZN7rocprim17ROCPRIM_400000_NS6detail17trampoline_kernelINS0_14default_configENS1_27scan_by_key_config_selectorIiiEEZZNS1_16scan_by_key_implILNS1_25lookback_scan_determinismE0ELb1ES3_N6thrust23THRUST_200600_302600_NS6detail15normal_iteratorINS9_10device_ptrIiEEEESE_SE_iNS9_4plusIvEENS9_8equal_toIiEEiEE10hipError_tPvRmT2_T3_T4_T5_mT6_T7_P12ihipStream_tbENKUlT_T0_E_clISt17integral_constantIbLb0EESY_IbLb1EEEEDaSU_SV_EUlSU_E_NS1_11comp_targetILNS1_3genE5ELNS1_11target_archE942ELNS1_3gpuE9ELNS1_3repE0EEENS1_30default_config_static_selectorELNS0_4arch9wavefront6targetE0EEEvT1_,comdat
.Lfunc_end562:
	.size	_ZN7rocprim17ROCPRIM_400000_NS6detail17trampoline_kernelINS0_14default_configENS1_27scan_by_key_config_selectorIiiEEZZNS1_16scan_by_key_implILNS1_25lookback_scan_determinismE0ELb1ES3_N6thrust23THRUST_200600_302600_NS6detail15normal_iteratorINS9_10device_ptrIiEEEESE_SE_iNS9_4plusIvEENS9_8equal_toIiEEiEE10hipError_tPvRmT2_T3_T4_T5_mT6_T7_P12ihipStream_tbENKUlT_T0_E_clISt17integral_constantIbLb0EESY_IbLb1EEEEDaSU_SV_EUlSU_E_NS1_11comp_targetILNS1_3genE5ELNS1_11target_archE942ELNS1_3gpuE9ELNS1_3repE0EEENS1_30default_config_static_selectorELNS0_4arch9wavefront6targetE0EEEvT1_, .Lfunc_end562-_ZN7rocprim17ROCPRIM_400000_NS6detail17trampoline_kernelINS0_14default_configENS1_27scan_by_key_config_selectorIiiEEZZNS1_16scan_by_key_implILNS1_25lookback_scan_determinismE0ELb1ES3_N6thrust23THRUST_200600_302600_NS6detail15normal_iteratorINS9_10device_ptrIiEEEESE_SE_iNS9_4plusIvEENS9_8equal_toIiEEiEE10hipError_tPvRmT2_T3_T4_T5_mT6_T7_P12ihipStream_tbENKUlT_T0_E_clISt17integral_constantIbLb0EESY_IbLb1EEEEDaSU_SV_EUlSU_E_NS1_11comp_targetILNS1_3genE5ELNS1_11target_archE942ELNS1_3gpuE9ELNS1_3repE0EEENS1_30default_config_static_selectorELNS0_4arch9wavefront6targetE0EEEvT1_
                                        ; -- End function
	.set _ZN7rocprim17ROCPRIM_400000_NS6detail17trampoline_kernelINS0_14default_configENS1_27scan_by_key_config_selectorIiiEEZZNS1_16scan_by_key_implILNS1_25lookback_scan_determinismE0ELb1ES3_N6thrust23THRUST_200600_302600_NS6detail15normal_iteratorINS9_10device_ptrIiEEEESE_SE_iNS9_4plusIvEENS9_8equal_toIiEEiEE10hipError_tPvRmT2_T3_T4_T5_mT6_T7_P12ihipStream_tbENKUlT_T0_E_clISt17integral_constantIbLb0EESY_IbLb1EEEEDaSU_SV_EUlSU_E_NS1_11comp_targetILNS1_3genE5ELNS1_11target_archE942ELNS1_3gpuE9ELNS1_3repE0EEENS1_30default_config_static_selectorELNS0_4arch9wavefront6targetE0EEEvT1_.num_vgpr, 0
	.set _ZN7rocprim17ROCPRIM_400000_NS6detail17trampoline_kernelINS0_14default_configENS1_27scan_by_key_config_selectorIiiEEZZNS1_16scan_by_key_implILNS1_25lookback_scan_determinismE0ELb1ES3_N6thrust23THRUST_200600_302600_NS6detail15normal_iteratorINS9_10device_ptrIiEEEESE_SE_iNS9_4plusIvEENS9_8equal_toIiEEiEE10hipError_tPvRmT2_T3_T4_T5_mT6_T7_P12ihipStream_tbENKUlT_T0_E_clISt17integral_constantIbLb0EESY_IbLb1EEEEDaSU_SV_EUlSU_E_NS1_11comp_targetILNS1_3genE5ELNS1_11target_archE942ELNS1_3gpuE9ELNS1_3repE0EEENS1_30default_config_static_selectorELNS0_4arch9wavefront6targetE0EEEvT1_.num_agpr, 0
	.set _ZN7rocprim17ROCPRIM_400000_NS6detail17trampoline_kernelINS0_14default_configENS1_27scan_by_key_config_selectorIiiEEZZNS1_16scan_by_key_implILNS1_25lookback_scan_determinismE0ELb1ES3_N6thrust23THRUST_200600_302600_NS6detail15normal_iteratorINS9_10device_ptrIiEEEESE_SE_iNS9_4plusIvEENS9_8equal_toIiEEiEE10hipError_tPvRmT2_T3_T4_T5_mT6_T7_P12ihipStream_tbENKUlT_T0_E_clISt17integral_constantIbLb0EESY_IbLb1EEEEDaSU_SV_EUlSU_E_NS1_11comp_targetILNS1_3genE5ELNS1_11target_archE942ELNS1_3gpuE9ELNS1_3repE0EEENS1_30default_config_static_selectorELNS0_4arch9wavefront6targetE0EEEvT1_.numbered_sgpr, 0
	.set _ZN7rocprim17ROCPRIM_400000_NS6detail17trampoline_kernelINS0_14default_configENS1_27scan_by_key_config_selectorIiiEEZZNS1_16scan_by_key_implILNS1_25lookback_scan_determinismE0ELb1ES3_N6thrust23THRUST_200600_302600_NS6detail15normal_iteratorINS9_10device_ptrIiEEEESE_SE_iNS9_4plusIvEENS9_8equal_toIiEEiEE10hipError_tPvRmT2_T3_T4_T5_mT6_T7_P12ihipStream_tbENKUlT_T0_E_clISt17integral_constantIbLb0EESY_IbLb1EEEEDaSU_SV_EUlSU_E_NS1_11comp_targetILNS1_3genE5ELNS1_11target_archE942ELNS1_3gpuE9ELNS1_3repE0EEENS1_30default_config_static_selectorELNS0_4arch9wavefront6targetE0EEEvT1_.num_named_barrier, 0
	.set _ZN7rocprim17ROCPRIM_400000_NS6detail17trampoline_kernelINS0_14default_configENS1_27scan_by_key_config_selectorIiiEEZZNS1_16scan_by_key_implILNS1_25lookback_scan_determinismE0ELb1ES3_N6thrust23THRUST_200600_302600_NS6detail15normal_iteratorINS9_10device_ptrIiEEEESE_SE_iNS9_4plusIvEENS9_8equal_toIiEEiEE10hipError_tPvRmT2_T3_T4_T5_mT6_T7_P12ihipStream_tbENKUlT_T0_E_clISt17integral_constantIbLb0EESY_IbLb1EEEEDaSU_SV_EUlSU_E_NS1_11comp_targetILNS1_3genE5ELNS1_11target_archE942ELNS1_3gpuE9ELNS1_3repE0EEENS1_30default_config_static_selectorELNS0_4arch9wavefront6targetE0EEEvT1_.private_seg_size, 0
	.set _ZN7rocprim17ROCPRIM_400000_NS6detail17trampoline_kernelINS0_14default_configENS1_27scan_by_key_config_selectorIiiEEZZNS1_16scan_by_key_implILNS1_25lookback_scan_determinismE0ELb1ES3_N6thrust23THRUST_200600_302600_NS6detail15normal_iteratorINS9_10device_ptrIiEEEESE_SE_iNS9_4plusIvEENS9_8equal_toIiEEiEE10hipError_tPvRmT2_T3_T4_T5_mT6_T7_P12ihipStream_tbENKUlT_T0_E_clISt17integral_constantIbLb0EESY_IbLb1EEEEDaSU_SV_EUlSU_E_NS1_11comp_targetILNS1_3genE5ELNS1_11target_archE942ELNS1_3gpuE9ELNS1_3repE0EEENS1_30default_config_static_selectorELNS0_4arch9wavefront6targetE0EEEvT1_.uses_vcc, 0
	.set _ZN7rocprim17ROCPRIM_400000_NS6detail17trampoline_kernelINS0_14default_configENS1_27scan_by_key_config_selectorIiiEEZZNS1_16scan_by_key_implILNS1_25lookback_scan_determinismE0ELb1ES3_N6thrust23THRUST_200600_302600_NS6detail15normal_iteratorINS9_10device_ptrIiEEEESE_SE_iNS9_4plusIvEENS9_8equal_toIiEEiEE10hipError_tPvRmT2_T3_T4_T5_mT6_T7_P12ihipStream_tbENKUlT_T0_E_clISt17integral_constantIbLb0EESY_IbLb1EEEEDaSU_SV_EUlSU_E_NS1_11comp_targetILNS1_3genE5ELNS1_11target_archE942ELNS1_3gpuE9ELNS1_3repE0EEENS1_30default_config_static_selectorELNS0_4arch9wavefront6targetE0EEEvT1_.uses_flat_scratch, 0
	.set _ZN7rocprim17ROCPRIM_400000_NS6detail17trampoline_kernelINS0_14default_configENS1_27scan_by_key_config_selectorIiiEEZZNS1_16scan_by_key_implILNS1_25lookback_scan_determinismE0ELb1ES3_N6thrust23THRUST_200600_302600_NS6detail15normal_iteratorINS9_10device_ptrIiEEEESE_SE_iNS9_4plusIvEENS9_8equal_toIiEEiEE10hipError_tPvRmT2_T3_T4_T5_mT6_T7_P12ihipStream_tbENKUlT_T0_E_clISt17integral_constantIbLb0EESY_IbLb1EEEEDaSU_SV_EUlSU_E_NS1_11comp_targetILNS1_3genE5ELNS1_11target_archE942ELNS1_3gpuE9ELNS1_3repE0EEENS1_30default_config_static_selectorELNS0_4arch9wavefront6targetE0EEEvT1_.has_dyn_sized_stack, 0
	.set _ZN7rocprim17ROCPRIM_400000_NS6detail17trampoline_kernelINS0_14default_configENS1_27scan_by_key_config_selectorIiiEEZZNS1_16scan_by_key_implILNS1_25lookback_scan_determinismE0ELb1ES3_N6thrust23THRUST_200600_302600_NS6detail15normal_iteratorINS9_10device_ptrIiEEEESE_SE_iNS9_4plusIvEENS9_8equal_toIiEEiEE10hipError_tPvRmT2_T3_T4_T5_mT6_T7_P12ihipStream_tbENKUlT_T0_E_clISt17integral_constantIbLb0EESY_IbLb1EEEEDaSU_SV_EUlSU_E_NS1_11comp_targetILNS1_3genE5ELNS1_11target_archE942ELNS1_3gpuE9ELNS1_3repE0EEENS1_30default_config_static_selectorELNS0_4arch9wavefront6targetE0EEEvT1_.has_recursion, 0
	.set _ZN7rocprim17ROCPRIM_400000_NS6detail17trampoline_kernelINS0_14default_configENS1_27scan_by_key_config_selectorIiiEEZZNS1_16scan_by_key_implILNS1_25lookback_scan_determinismE0ELb1ES3_N6thrust23THRUST_200600_302600_NS6detail15normal_iteratorINS9_10device_ptrIiEEEESE_SE_iNS9_4plusIvEENS9_8equal_toIiEEiEE10hipError_tPvRmT2_T3_T4_T5_mT6_T7_P12ihipStream_tbENKUlT_T0_E_clISt17integral_constantIbLb0EESY_IbLb1EEEEDaSU_SV_EUlSU_E_NS1_11comp_targetILNS1_3genE5ELNS1_11target_archE942ELNS1_3gpuE9ELNS1_3repE0EEENS1_30default_config_static_selectorELNS0_4arch9wavefront6targetE0EEEvT1_.has_indirect_call, 0
	.section	.AMDGPU.csdata,"",@progbits
; Kernel info:
; codeLenInByte = 0
; TotalNumSgprs: 0
; NumVgprs: 0
; ScratchSize: 0
; MemoryBound: 0
; FloatMode: 240
; IeeeMode: 1
; LDSByteSize: 0 bytes/workgroup (compile time only)
; SGPRBlocks: 0
; VGPRBlocks: 0
; NumSGPRsForWavesPerEU: 1
; NumVGPRsForWavesPerEU: 1
; NamedBarCnt: 0
; Occupancy: 16
; WaveLimiterHint : 0
; COMPUTE_PGM_RSRC2:SCRATCH_EN: 0
; COMPUTE_PGM_RSRC2:USER_SGPR: 2
; COMPUTE_PGM_RSRC2:TRAP_HANDLER: 0
; COMPUTE_PGM_RSRC2:TGID_X_EN: 1
; COMPUTE_PGM_RSRC2:TGID_Y_EN: 0
; COMPUTE_PGM_RSRC2:TGID_Z_EN: 0
; COMPUTE_PGM_RSRC2:TIDIG_COMP_CNT: 0
	.section	.text._ZN7rocprim17ROCPRIM_400000_NS6detail17trampoline_kernelINS0_14default_configENS1_27scan_by_key_config_selectorIiiEEZZNS1_16scan_by_key_implILNS1_25lookback_scan_determinismE0ELb1ES3_N6thrust23THRUST_200600_302600_NS6detail15normal_iteratorINS9_10device_ptrIiEEEESE_SE_iNS9_4plusIvEENS9_8equal_toIiEEiEE10hipError_tPvRmT2_T3_T4_T5_mT6_T7_P12ihipStream_tbENKUlT_T0_E_clISt17integral_constantIbLb0EESY_IbLb1EEEEDaSU_SV_EUlSU_E_NS1_11comp_targetILNS1_3genE4ELNS1_11target_archE910ELNS1_3gpuE8ELNS1_3repE0EEENS1_30default_config_static_selectorELNS0_4arch9wavefront6targetE0EEEvT1_,"axG",@progbits,_ZN7rocprim17ROCPRIM_400000_NS6detail17trampoline_kernelINS0_14default_configENS1_27scan_by_key_config_selectorIiiEEZZNS1_16scan_by_key_implILNS1_25lookback_scan_determinismE0ELb1ES3_N6thrust23THRUST_200600_302600_NS6detail15normal_iteratorINS9_10device_ptrIiEEEESE_SE_iNS9_4plusIvEENS9_8equal_toIiEEiEE10hipError_tPvRmT2_T3_T4_T5_mT6_T7_P12ihipStream_tbENKUlT_T0_E_clISt17integral_constantIbLb0EESY_IbLb1EEEEDaSU_SV_EUlSU_E_NS1_11comp_targetILNS1_3genE4ELNS1_11target_archE910ELNS1_3gpuE8ELNS1_3repE0EEENS1_30default_config_static_selectorELNS0_4arch9wavefront6targetE0EEEvT1_,comdat
	.protected	_ZN7rocprim17ROCPRIM_400000_NS6detail17trampoline_kernelINS0_14default_configENS1_27scan_by_key_config_selectorIiiEEZZNS1_16scan_by_key_implILNS1_25lookback_scan_determinismE0ELb1ES3_N6thrust23THRUST_200600_302600_NS6detail15normal_iteratorINS9_10device_ptrIiEEEESE_SE_iNS9_4plusIvEENS9_8equal_toIiEEiEE10hipError_tPvRmT2_T3_T4_T5_mT6_T7_P12ihipStream_tbENKUlT_T0_E_clISt17integral_constantIbLb0EESY_IbLb1EEEEDaSU_SV_EUlSU_E_NS1_11comp_targetILNS1_3genE4ELNS1_11target_archE910ELNS1_3gpuE8ELNS1_3repE0EEENS1_30default_config_static_selectorELNS0_4arch9wavefront6targetE0EEEvT1_ ; -- Begin function _ZN7rocprim17ROCPRIM_400000_NS6detail17trampoline_kernelINS0_14default_configENS1_27scan_by_key_config_selectorIiiEEZZNS1_16scan_by_key_implILNS1_25lookback_scan_determinismE0ELb1ES3_N6thrust23THRUST_200600_302600_NS6detail15normal_iteratorINS9_10device_ptrIiEEEESE_SE_iNS9_4plusIvEENS9_8equal_toIiEEiEE10hipError_tPvRmT2_T3_T4_T5_mT6_T7_P12ihipStream_tbENKUlT_T0_E_clISt17integral_constantIbLb0EESY_IbLb1EEEEDaSU_SV_EUlSU_E_NS1_11comp_targetILNS1_3genE4ELNS1_11target_archE910ELNS1_3gpuE8ELNS1_3repE0EEENS1_30default_config_static_selectorELNS0_4arch9wavefront6targetE0EEEvT1_
	.globl	_ZN7rocprim17ROCPRIM_400000_NS6detail17trampoline_kernelINS0_14default_configENS1_27scan_by_key_config_selectorIiiEEZZNS1_16scan_by_key_implILNS1_25lookback_scan_determinismE0ELb1ES3_N6thrust23THRUST_200600_302600_NS6detail15normal_iteratorINS9_10device_ptrIiEEEESE_SE_iNS9_4plusIvEENS9_8equal_toIiEEiEE10hipError_tPvRmT2_T3_T4_T5_mT6_T7_P12ihipStream_tbENKUlT_T0_E_clISt17integral_constantIbLb0EESY_IbLb1EEEEDaSU_SV_EUlSU_E_NS1_11comp_targetILNS1_3genE4ELNS1_11target_archE910ELNS1_3gpuE8ELNS1_3repE0EEENS1_30default_config_static_selectorELNS0_4arch9wavefront6targetE0EEEvT1_
	.p2align	8
	.type	_ZN7rocprim17ROCPRIM_400000_NS6detail17trampoline_kernelINS0_14default_configENS1_27scan_by_key_config_selectorIiiEEZZNS1_16scan_by_key_implILNS1_25lookback_scan_determinismE0ELb1ES3_N6thrust23THRUST_200600_302600_NS6detail15normal_iteratorINS9_10device_ptrIiEEEESE_SE_iNS9_4plusIvEENS9_8equal_toIiEEiEE10hipError_tPvRmT2_T3_T4_T5_mT6_T7_P12ihipStream_tbENKUlT_T0_E_clISt17integral_constantIbLb0EESY_IbLb1EEEEDaSU_SV_EUlSU_E_NS1_11comp_targetILNS1_3genE4ELNS1_11target_archE910ELNS1_3gpuE8ELNS1_3repE0EEENS1_30default_config_static_selectorELNS0_4arch9wavefront6targetE0EEEvT1_,@function
_ZN7rocprim17ROCPRIM_400000_NS6detail17trampoline_kernelINS0_14default_configENS1_27scan_by_key_config_selectorIiiEEZZNS1_16scan_by_key_implILNS1_25lookback_scan_determinismE0ELb1ES3_N6thrust23THRUST_200600_302600_NS6detail15normal_iteratorINS9_10device_ptrIiEEEESE_SE_iNS9_4plusIvEENS9_8equal_toIiEEiEE10hipError_tPvRmT2_T3_T4_T5_mT6_T7_P12ihipStream_tbENKUlT_T0_E_clISt17integral_constantIbLb0EESY_IbLb1EEEEDaSU_SV_EUlSU_E_NS1_11comp_targetILNS1_3genE4ELNS1_11target_archE910ELNS1_3gpuE8ELNS1_3repE0EEENS1_30default_config_static_selectorELNS0_4arch9wavefront6targetE0EEEvT1_: ; @_ZN7rocprim17ROCPRIM_400000_NS6detail17trampoline_kernelINS0_14default_configENS1_27scan_by_key_config_selectorIiiEEZZNS1_16scan_by_key_implILNS1_25lookback_scan_determinismE0ELb1ES3_N6thrust23THRUST_200600_302600_NS6detail15normal_iteratorINS9_10device_ptrIiEEEESE_SE_iNS9_4plusIvEENS9_8equal_toIiEEiEE10hipError_tPvRmT2_T3_T4_T5_mT6_T7_P12ihipStream_tbENKUlT_T0_E_clISt17integral_constantIbLb0EESY_IbLb1EEEEDaSU_SV_EUlSU_E_NS1_11comp_targetILNS1_3genE4ELNS1_11target_archE910ELNS1_3gpuE8ELNS1_3repE0EEENS1_30default_config_static_selectorELNS0_4arch9wavefront6targetE0EEEvT1_
; %bb.0:
	.section	.rodata,"a",@progbits
	.p2align	6, 0x0
	.amdhsa_kernel _ZN7rocprim17ROCPRIM_400000_NS6detail17trampoline_kernelINS0_14default_configENS1_27scan_by_key_config_selectorIiiEEZZNS1_16scan_by_key_implILNS1_25lookback_scan_determinismE0ELb1ES3_N6thrust23THRUST_200600_302600_NS6detail15normal_iteratorINS9_10device_ptrIiEEEESE_SE_iNS9_4plusIvEENS9_8equal_toIiEEiEE10hipError_tPvRmT2_T3_T4_T5_mT6_T7_P12ihipStream_tbENKUlT_T0_E_clISt17integral_constantIbLb0EESY_IbLb1EEEEDaSU_SV_EUlSU_E_NS1_11comp_targetILNS1_3genE4ELNS1_11target_archE910ELNS1_3gpuE8ELNS1_3repE0EEENS1_30default_config_static_selectorELNS0_4arch9wavefront6targetE0EEEvT1_
		.amdhsa_group_segment_fixed_size 0
		.amdhsa_private_segment_fixed_size 0
		.amdhsa_kernarg_size 112
		.amdhsa_user_sgpr_count 2
		.amdhsa_user_sgpr_dispatch_ptr 0
		.amdhsa_user_sgpr_queue_ptr 0
		.amdhsa_user_sgpr_kernarg_segment_ptr 1
		.amdhsa_user_sgpr_dispatch_id 0
		.amdhsa_user_sgpr_kernarg_preload_length 0
		.amdhsa_user_sgpr_kernarg_preload_offset 0
		.amdhsa_user_sgpr_private_segment_size 0
		.amdhsa_wavefront_size32 1
		.amdhsa_uses_dynamic_stack 0
		.amdhsa_enable_private_segment 0
		.amdhsa_system_sgpr_workgroup_id_x 1
		.amdhsa_system_sgpr_workgroup_id_y 0
		.amdhsa_system_sgpr_workgroup_id_z 0
		.amdhsa_system_sgpr_workgroup_info 0
		.amdhsa_system_vgpr_workitem_id 0
		.amdhsa_next_free_vgpr 1
		.amdhsa_next_free_sgpr 1
		.amdhsa_named_barrier_count 0
		.amdhsa_reserve_vcc 0
		.amdhsa_float_round_mode_32 0
		.amdhsa_float_round_mode_16_64 0
		.amdhsa_float_denorm_mode_32 3
		.amdhsa_float_denorm_mode_16_64 3
		.amdhsa_fp16_overflow 0
		.amdhsa_memory_ordered 1
		.amdhsa_forward_progress 1
		.amdhsa_inst_pref_size 0
		.amdhsa_round_robin_scheduling 0
		.amdhsa_exception_fp_ieee_invalid_op 0
		.amdhsa_exception_fp_denorm_src 0
		.amdhsa_exception_fp_ieee_div_zero 0
		.amdhsa_exception_fp_ieee_overflow 0
		.amdhsa_exception_fp_ieee_underflow 0
		.amdhsa_exception_fp_ieee_inexact 0
		.amdhsa_exception_int_div_zero 0
	.end_amdhsa_kernel
	.section	.text._ZN7rocprim17ROCPRIM_400000_NS6detail17trampoline_kernelINS0_14default_configENS1_27scan_by_key_config_selectorIiiEEZZNS1_16scan_by_key_implILNS1_25lookback_scan_determinismE0ELb1ES3_N6thrust23THRUST_200600_302600_NS6detail15normal_iteratorINS9_10device_ptrIiEEEESE_SE_iNS9_4plusIvEENS9_8equal_toIiEEiEE10hipError_tPvRmT2_T3_T4_T5_mT6_T7_P12ihipStream_tbENKUlT_T0_E_clISt17integral_constantIbLb0EESY_IbLb1EEEEDaSU_SV_EUlSU_E_NS1_11comp_targetILNS1_3genE4ELNS1_11target_archE910ELNS1_3gpuE8ELNS1_3repE0EEENS1_30default_config_static_selectorELNS0_4arch9wavefront6targetE0EEEvT1_,"axG",@progbits,_ZN7rocprim17ROCPRIM_400000_NS6detail17trampoline_kernelINS0_14default_configENS1_27scan_by_key_config_selectorIiiEEZZNS1_16scan_by_key_implILNS1_25lookback_scan_determinismE0ELb1ES3_N6thrust23THRUST_200600_302600_NS6detail15normal_iteratorINS9_10device_ptrIiEEEESE_SE_iNS9_4plusIvEENS9_8equal_toIiEEiEE10hipError_tPvRmT2_T3_T4_T5_mT6_T7_P12ihipStream_tbENKUlT_T0_E_clISt17integral_constantIbLb0EESY_IbLb1EEEEDaSU_SV_EUlSU_E_NS1_11comp_targetILNS1_3genE4ELNS1_11target_archE910ELNS1_3gpuE8ELNS1_3repE0EEENS1_30default_config_static_selectorELNS0_4arch9wavefront6targetE0EEEvT1_,comdat
.Lfunc_end563:
	.size	_ZN7rocprim17ROCPRIM_400000_NS6detail17trampoline_kernelINS0_14default_configENS1_27scan_by_key_config_selectorIiiEEZZNS1_16scan_by_key_implILNS1_25lookback_scan_determinismE0ELb1ES3_N6thrust23THRUST_200600_302600_NS6detail15normal_iteratorINS9_10device_ptrIiEEEESE_SE_iNS9_4plusIvEENS9_8equal_toIiEEiEE10hipError_tPvRmT2_T3_T4_T5_mT6_T7_P12ihipStream_tbENKUlT_T0_E_clISt17integral_constantIbLb0EESY_IbLb1EEEEDaSU_SV_EUlSU_E_NS1_11comp_targetILNS1_3genE4ELNS1_11target_archE910ELNS1_3gpuE8ELNS1_3repE0EEENS1_30default_config_static_selectorELNS0_4arch9wavefront6targetE0EEEvT1_, .Lfunc_end563-_ZN7rocprim17ROCPRIM_400000_NS6detail17trampoline_kernelINS0_14default_configENS1_27scan_by_key_config_selectorIiiEEZZNS1_16scan_by_key_implILNS1_25lookback_scan_determinismE0ELb1ES3_N6thrust23THRUST_200600_302600_NS6detail15normal_iteratorINS9_10device_ptrIiEEEESE_SE_iNS9_4plusIvEENS9_8equal_toIiEEiEE10hipError_tPvRmT2_T3_T4_T5_mT6_T7_P12ihipStream_tbENKUlT_T0_E_clISt17integral_constantIbLb0EESY_IbLb1EEEEDaSU_SV_EUlSU_E_NS1_11comp_targetILNS1_3genE4ELNS1_11target_archE910ELNS1_3gpuE8ELNS1_3repE0EEENS1_30default_config_static_selectorELNS0_4arch9wavefront6targetE0EEEvT1_
                                        ; -- End function
	.set _ZN7rocprim17ROCPRIM_400000_NS6detail17trampoline_kernelINS0_14default_configENS1_27scan_by_key_config_selectorIiiEEZZNS1_16scan_by_key_implILNS1_25lookback_scan_determinismE0ELb1ES3_N6thrust23THRUST_200600_302600_NS6detail15normal_iteratorINS9_10device_ptrIiEEEESE_SE_iNS9_4plusIvEENS9_8equal_toIiEEiEE10hipError_tPvRmT2_T3_T4_T5_mT6_T7_P12ihipStream_tbENKUlT_T0_E_clISt17integral_constantIbLb0EESY_IbLb1EEEEDaSU_SV_EUlSU_E_NS1_11comp_targetILNS1_3genE4ELNS1_11target_archE910ELNS1_3gpuE8ELNS1_3repE0EEENS1_30default_config_static_selectorELNS0_4arch9wavefront6targetE0EEEvT1_.num_vgpr, 0
	.set _ZN7rocprim17ROCPRIM_400000_NS6detail17trampoline_kernelINS0_14default_configENS1_27scan_by_key_config_selectorIiiEEZZNS1_16scan_by_key_implILNS1_25lookback_scan_determinismE0ELb1ES3_N6thrust23THRUST_200600_302600_NS6detail15normal_iteratorINS9_10device_ptrIiEEEESE_SE_iNS9_4plusIvEENS9_8equal_toIiEEiEE10hipError_tPvRmT2_T3_T4_T5_mT6_T7_P12ihipStream_tbENKUlT_T0_E_clISt17integral_constantIbLb0EESY_IbLb1EEEEDaSU_SV_EUlSU_E_NS1_11comp_targetILNS1_3genE4ELNS1_11target_archE910ELNS1_3gpuE8ELNS1_3repE0EEENS1_30default_config_static_selectorELNS0_4arch9wavefront6targetE0EEEvT1_.num_agpr, 0
	.set _ZN7rocprim17ROCPRIM_400000_NS6detail17trampoline_kernelINS0_14default_configENS1_27scan_by_key_config_selectorIiiEEZZNS1_16scan_by_key_implILNS1_25lookback_scan_determinismE0ELb1ES3_N6thrust23THRUST_200600_302600_NS6detail15normal_iteratorINS9_10device_ptrIiEEEESE_SE_iNS9_4plusIvEENS9_8equal_toIiEEiEE10hipError_tPvRmT2_T3_T4_T5_mT6_T7_P12ihipStream_tbENKUlT_T0_E_clISt17integral_constantIbLb0EESY_IbLb1EEEEDaSU_SV_EUlSU_E_NS1_11comp_targetILNS1_3genE4ELNS1_11target_archE910ELNS1_3gpuE8ELNS1_3repE0EEENS1_30default_config_static_selectorELNS0_4arch9wavefront6targetE0EEEvT1_.numbered_sgpr, 0
	.set _ZN7rocprim17ROCPRIM_400000_NS6detail17trampoline_kernelINS0_14default_configENS1_27scan_by_key_config_selectorIiiEEZZNS1_16scan_by_key_implILNS1_25lookback_scan_determinismE0ELb1ES3_N6thrust23THRUST_200600_302600_NS6detail15normal_iteratorINS9_10device_ptrIiEEEESE_SE_iNS9_4plusIvEENS9_8equal_toIiEEiEE10hipError_tPvRmT2_T3_T4_T5_mT6_T7_P12ihipStream_tbENKUlT_T0_E_clISt17integral_constantIbLb0EESY_IbLb1EEEEDaSU_SV_EUlSU_E_NS1_11comp_targetILNS1_3genE4ELNS1_11target_archE910ELNS1_3gpuE8ELNS1_3repE0EEENS1_30default_config_static_selectorELNS0_4arch9wavefront6targetE0EEEvT1_.num_named_barrier, 0
	.set _ZN7rocprim17ROCPRIM_400000_NS6detail17trampoline_kernelINS0_14default_configENS1_27scan_by_key_config_selectorIiiEEZZNS1_16scan_by_key_implILNS1_25lookback_scan_determinismE0ELb1ES3_N6thrust23THRUST_200600_302600_NS6detail15normal_iteratorINS9_10device_ptrIiEEEESE_SE_iNS9_4plusIvEENS9_8equal_toIiEEiEE10hipError_tPvRmT2_T3_T4_T5_mT6_T7_P12ihipStream_tbENKUlT_T0_E_clISt17integral_constantIbLb0EESY_IbLb1EEEEDaSU_SV_EUlSU_E_NS1_11comp_targetILNS1_3genE4ELNS1_11target_archE910ELNS1_3gpuE8ELNS1_3repE0EEENS1_30default_config_static_selectorELNS0_4arch9wavefront6targetE0EEEvT1_.private_seg_size, 0
	.set _ZN7rocprim17ROCPRIM_400000_NS6detail17trampoline_kernelINS0_14default_configENS1_27scan_by_key_config_selectorIiiEEZZNS1_16scan_by_key_implILNS1_25lookback_scan_determinismE0ELb1ES3_N6thrust23THRUST_200600_302600_NS6detail15normal_iteratorINS9_10device_ptrIiEEEESE_SE_iNS9_4plusIvEENS9_8equal_toIiEEiEE10hipError_tPvRmT2_T3_T4_T5_mT6_T7_P12ihipStream_tbENKUlT_T0_E_clISt17integral_constantIbLb0EESY_IbLb1EEEEDaSU_SV_EUlSU_E_NS1_11comp_targetILNS1_3genE4ELNS1_11target_archE910ELNS1_3gpuE8ELNS1_3repE0EEENS1_30default_config_static_selectorELNS0_4arch9wavefront6targetE0EEEvT1_.uses_vcc, 0
	.set _ZN7rocprim17ROCPRIM_400000_NS6detail17trampoline_kernelINS0_14default_configENS1_27scan_by_key_config_selectorIiiEEZZNS1_16scan_by_key_implILNS1_25lookback_scan_determinismE0ELb1ES3_N6thrust23THRUST_200600_302600_NS6detail15normal_iteratorINS9_10device_ptrIiEEEESE_SE_iNS9_4plusIvEENS9_8equal_toIiEEiEE10hipError_tPvRmT2_T3_T4_T5_mT6_T7_P12ihipStream_tbENKUlT_T0_E_clISt17integral_constantIbLb0EESY_IbLb1EEEEDaSU_SV_EUlSU_E_NS1_11comp_targetILNS1_3genE4ELNS1_11target_archE910ELNS1_3gpuE8ELNS1_3repE0EEENS1_30default_config_static_selectorELNS0_4arch9wavefront6targetE0EEEvT1_.uses_flat_scratch, 0
	.set _ZN7rocprim17ROCPRIM_400000_NS6detail17trampoline_kernelINS0_14default_configENS1_27scan_by_key_config_selectorIiiEEZZNS1_16scan_by_key_implILNS1_25lookback_scan_determinismE0ELb1ES3_N6thrust23THRUST_200600_302600_NS6detail15normal_iteratorINS9_10device_ptrIiEEEESE_SE_iNS9_4plusIvEENS9_8equal_toIiEEiEE10hipError_tPvRmT2_T3_T4_T5_mT6_T7_P12ihipStream_tbENKUlT_T0_E_clISt17integral_constantIbLb0EESY_IbLb1EEEEDaSU_SV_EUlSU_E_NS1_11comp_targetILNS1_3genE4ELNS1_11target_archE910ELNS1_3gpuE8ELNS1_3repE0EEENS1_30default_config_static_selectorELNS0_4arch9wavefront6targetE0EEEvT1_.has_dyn_sized_stack, 0
	.set _ZN7rocprim17ROCPRIM_400000_NS6detail17trampoline_kernelINS0_14default_configENS1_27scan_by_key_config_selectorIiiEEZZNS1_16scan_by_key_implILNS1_25lookback_scan_determinismE0ELb1ES3_N6thrust23THRUST_200600_302600_NS6detail15normal_iteratorINS9_10device_ptrIiEEEESE_SE_iNS9_4plusIvEENS9_8equal_toIiEEiEE10hipError_tPvRmT2_T3_T4_T5_mT6_T7_P12ihipStream_tbENKUlT_T0_E_clISt17integral_constantIbLb0EESY_IbLb1EEEEDaSU_SV_EUlSU_E_NS1_11comp_targetILNS1_3genE4ELNS1_11target_archE910ELNS1_3gpuE8ELNS1_3repE0EEENS1_30default_config_static_selectorELNS0_4arch9wavefront6targetE0EEEvT1_.has_recursion, 0
	.set _ZN7rocprim17ROCPRIM_400000_NS6detail17trampoline_kernelINS0_14default_configENS1_27scan_by_key_config_selectorIiiEEZZNS1_16scan_by_key_implILNS1_25lookback_scan_determinismE0ELb1ES3_N6thrust23THRUST_200600_302600_NS6detail15normal_iteratorINS9_10device_ptrIiEEEESE_SE_iNS9_4plusIvEENS9_8equal_toIiEEiEE10hipError_tPvRmT2_T3_T4_T5_mT6_T7_P12ihipStream_tbENKUlT_T0_E_clISt17integral_constantIbLb0EESY_IbLb1EEEEDaSU_SV_EUlSU_E_NS1_11comp_targetILNS1_3genE4ELNS1_11target_archE910ELNS1_3gpuE8ELNS1_3repE0EEENS1_30default_config_static_selectorELNS0_4arch9wavefront6targetE0EEEvT1_.has_indirect_call, 0
	.section	.AMDGPU.csdata,"",@progbits
; Kernel info:
; codeLenInByte = 0
; TotalNumSgprs: 0
; NumVgprs: 0
; ScratchSize: 0
; MemoryBound: 0
; FloatMode: 240
; IeeeMode: 1
; LDSByteSize: 0 bytes/workgroup (compile time only)
; SGPRBlocks: 0
; VGPRBlocks: 0
; NumSGPRsForWavesPerEU: 1
; NumVGPRsForWavesPerEU: 1
; NamedBarCnt: 0
; Occupancy: 16
; WaveLimiterHint : 0
; COMPUTE_PGM_RSRC2:SCRATCH_EN: 0
; COMPUTE_PGM_RSRC2:USER_SGPR: 2
; COMPUTE_PGM_RSRC2:TRAP_HANDLER: 0
; COMPUTE_PGM_RSRC2:TGID_X_EN: 1
; COMPUTE_PGM_RSRC2:TGID_Y_EN: 0
; COMPUTE_PGM_RSRC2:TGID_Z_EN: 0
; COMPUTE_PGM_RSRC2:TIDIG_COMP_CNT: 0
	.section	.text._ZN7rocprim17ROCPRIM_400000_NS6detail17trampoline_kernelINS0_14default_configENS1_27scan_by_key_config_selectorIiiEEZZNS1_16scan_by_key_implILNS1_25lookback_scan_determinismE0ELb1ES3_N6thrust23THRUST_200600_302600_NS6detail15normal_iteratorINS9_10device_ptrIiEEEESE_SE_iNS9_4plusIvEENS9_8equal_toIiEEiEE10hipError_tPvRmT2_T3_T4_T5_mT6_T7_P12ihipStream_tbENKUlT_T0_E_clISt17integral_constantIbLb0EESY_IbLb1EEEEDaSU_SV_EUlSU_E_NS1_11comp_targetILNS1_3genE3ELNS1_11target_archE908ELNS1_3gpuE7ELNS1_3repE0EEENS1_30default_config_static_selectorELNS0_4arch9wavefront6targetE0EEEvT1_,"axG",@progbits,_ZN7rocprim17ROCPRIM_400000_NS6detail17trampoline_kernelINS0_14default_configENS1_27scan_by_key_config_selectorIiiEEZZNS1_16scan_by_key_implILNS1_25lookback_scan_determinismE0ELb1ES3_N6thrust23THRUST_200600_302600_NS6detail15normal_iteratorINS9_10device_ptrIiEEEESE_SE_iNS9_4plusIvEENS9_8equal_toIiEEiEE10hipError_tPvRmT2_T3_T4_T5_mT6_T7_P12ihipStream_tbENKUlT_T0_E_clISt17integral_constantIbLb0EESY_IbLb1EEEEDaSU_SV_EUlSU_E_NS1_11comp_targetILNS1_3genE3ELNS1_11target_archE908ELNS1_3gpuE7ELNS1_3repE0EEENS1_30default_config_static_selectorELNS0_4arch9wavefront6targetE0EEEvT1_,comdat
	.protected	_ZN7rocprim17ROCPRIM_400000_NS6detail17trampoline_kernelINS0_14default_configENS1_27scan_by_key_config_selectorIiiEEZZNS1_16scan_by_key_implILNS1_25lookback_scan_determinismE0ELb1ES3_N6thrust23THRUST_200600_302600_NS6detail15normal_iteratorINS9_10device_ptrIiEEEESE_SE_iNS9_4plusIvEENS9_8equal_toIiEEiEE10hipError_tPvRmT2_T3_T4_T5_mT6_T7_P12ihipStream_tbENKUlT_T0_E_clISt17integral_constantIbLb0EESY_IbLb1EEEEDaSU_SV_EUlSU_E_NS1_11comp_targetILNS1_3genE3ELNS1_11target_archE908ELNS1_3gpuE7ELNS1_3repE0EEENS1_30default_config_static_selectorELNS0_4arch9wavefront6targetE0EEEvT1_ ; -- Begin function _ZN7rocprim17ROCPRIM_400000_NS6detail17trampoline_kernelINS0_14default_configENS1_27scan_by_key_config_selectorIiiEEZZNS1_16scan_by_key_implILNS1_25lookback_scan_determinismE0ELb1ES3_N6thrust23THRUST_200600_302600_NS6detail15normal_iteratorINS9_10device_ptrIiEEEESE_SE_iNS9_4plusIvEENS9_8equal_toIiEEiEE10hipError_tPvRmT2_T3_T4_T5_mT6_T7_P12ihipStream_tbENKUlT_T0_E_clISt17integral_constantIbLb0EESY_IbLb1EEEEDaSU_SV_EUlSU_E_NS1_11comp_targetILNS1_3genE3ELNS1_11target_archE908ELNS1_3gpuE7ELNS1_3repE0EEENS1_30default_config_static_selectorELNS0_4arch9wavefront6targetE0EEEvT1_
	.globl	_ZN7rocprim17ROCPRIM_400000_NS6detail17trampoline_kernelINS0_14default_configENS1_27scan_by_key_config_selectorIiiEEZZNS1_16scan_by_key_implILNS1_25lookback_scan_determinismE0ELb1ES3_N6thrust23THRUST_200600_302600_NS6detail15normal_iteratorINS9_10device_ptrIiEEEESE_SE_iNS9_4plusIvEENS9_8equal_toIiEEiEE10hipError_tPvRmT2_T3_T4_T5_mT6_T7_P12ihipStream_tbENKUlT_T0_E_clISt17integral_constantIbLb0EESY_IbLb1EEEEDaSU_SV_EUlSU_E_NS1_11comp_targetILNS1_3genE3ELNS1_11target_archE908ELNS1_3gpuE7ELNS1_3repE0EEENS1_30default_config_static_selectorELNS0_4arch9wavefront6targetE0EEEvT1_
	.p2align	8
	.type	_ZN7rocprim17ROCPRIM_400000_NS6detail17trampoline_kernelINS0_14default_configENS1_27scan_by_key_config_selectorIiiEEZZNS1_16scan_by_key_implILNS1_25lookback_scan_determinismE0ELb1ES3_N6thrust23THRUST_200600_302600_NS6detail15normal_iteratorINS9_10device_ptrIiEEEESE_SE_iNS9_4plusIvEENS9_8equal_toIiEEiEE10hipError_tPvRmT2_T3_T4_T5_mT6_T7_P12ihipStream_tbENKUlT_T0_E_clISt17integral_constantIbLb0EESY_IbLb1EEEEDaSU_SV_EUlSU_E_NS1_11comp_targetILNS1_3genE3ELNS1_11target_archE908ELNS1_3gpuE7ELNS1_3repE0EEENS1_30default_config_static_selectorELNS0_4arch9wavefront6targetE0EEEvT1_,@function
_ZN7rocprim17ROCPRIM_400000_NS6detail17trampoline_kernelINS0_14default_configENS1_27scan_by_key_config_selectorIiiEEZZNS1_16scan_by_key_implILNS1_25lookback_scan_determinismE0ELb1ES3_N6thrust23THRUST_200600_302600_NS6detail15normal_iteratorINS9_10device_ptrIiEEEESE_SE_iNS9_4plusIvEENS9_8equal_toIiEEiEE10hipError_tPvRmT2_T3_T4_T5_mT6_T7_P12ihipStream_tbENKUlT_T0_E_clISt17integral_constantIbLb0EESY_IbLb1EEEEDaSU_SV_EUlSU_E_NS1_11comp_targetILNS1_3genE3ELNS1_11target_archE908ELNS1_3gpuE7ELNS1_3repE0EEENS1_30default_config_static_selectorELNS0_4arch9wavefront6targetE0EEEvT1_: ; @_ZN7rocprim17ROCPRIM_400000_NS6detail17trampoline_kernelINS0_14default_configENS1_27scan_by_key_config_selectorIiiEEZZNS1_16scan_by_key_implILNS1_25lookback_scan_determinismE0ELb1ES3_N6thrust23THRUST_200600_302600_NS6detail15normal_iteratorINS9_10device_ptrIiEEEESE_SE_iNS9_4plusIvEENS9_8equal_toIiEEiEE10hipError_tPvRmT2_T3_T4_T5_mT6_T7_P12ihipStream_tbENKUlT_T0_E_clISt17integral_constantIbLb0EESY_IbLb1EEEEDaSU_SV_EUlSU_E_NS1_11comp_targetILNS1_3genE3ELNS1_11target_archE908ELNS1_3gpuE7ELNS1_3repE0EEENS1_30default_config_static_selectorELNS0_4arch9wavefront6targetE0EEEvT1_
; %bb.0:
	.section	.rodata,"a",@progbits
	.p2align	6, 0x0
	.amdhsa_kernel _ZN7rocprim17ROCPRIM_400000_NS6detail17trampoline_kernelINS0_14default_configENS1_27scan_by_key_config_selectorIiiEEZZNS1_16scan_by_key_implILNS1_25lookback_scan_determinismE0ELb1ES3_N6thrust23THRUST_200600_302600_NS6detail15normal_iteratorINS9_10device_ptrIiEEEESE_SE_iNS9_4plusIvEENS9_8equal_toIiEEiEE10hipError_tPvRmT2_T3_T4_T5_mT6_T7_P12ihipStream_tbENKUlT_T0_E_clISt17integral_constantIbLb0EESY_IbLb1EEEEDaSU_SV_EUlSU_E_NS1_11comp_targetILNS1_3genE3ELNS1_11target_archE908ELNS1_3gpuE7ELNS1_3repE0EEENS1_30default_config_static_selectorELNS0_4arch9wavefront6targetE0EEEvT1_
		.amdhsa_group_segment_fixed_size 0
		.amdhsa_private_segment_fixed_size 0
		.amdhsa_kernarg_size 112
		.amdhsa_user_sgpr_count 2
		.amdhsa_user_sgpr_dispatch_ptr 0
		.amdhsa_user_sgpr_queue_ptr 0
		.amdhsa_user_sgpr_kernarg_segment_ptr 1
		.amdhsa_user_sgpr_dispatch_id 0
		.amdhsa_user_sgpr_kernarg_preload_length 0
		.amdhsa_user_sgpr_kernarg_preload_offset 0
		.amdhsa_user_sgpr_private_segment_size 0
		.amdhsa_wavefront_size32 1
		.amdhsa_uses_dynamic_stack 0
		.amdhsa_enable_private_segment 0
		.amdhsa_system_sgpr_workgroup_id_x 1
		.amdhsa_system_sgpr_workgroup_id_y 0
		.amdhsa_system_sgpr_workgroup_id_z 0
		.amdhsa_system_sgpr_workgroup_info 0
		.amdhsa_system_vgpr_workitem_id 0
		.amdhsa_next_free_vgpr 1
		.amdhsa_next_free_sgpr 1
		.amdhsa_named_barrier_count 0
		.amdhsa_reserve_vcc 0
		.amdhsa_float_round_mode_32 0
		.amdhsa_float_round_mode_16_64 0
		.amdhsa_float_denorm_mode_32 3
		.amdhsa_float_denorm_mode_16_64 3
		.amdhsa_fp16_overflow 0
		.amdhsa_memory_ordered 1
		.amdhsa_forward_progress 1
		.amdhsa_inst_pref_size 0
		.amdhsa_round_robin_scheduling 0
		.amdhsa_exception_fp_ieee_invalid_op 0
		.amdhsa_exception_fp_denorm_src 0
		.amdhsa_exception_fp_ieee_div_zero 0
		.amdhsa_exception_fp_ieee_overflow 0
		.amdhsa_exception_fp_ieee_underflow 0
		.amdhsa_exception_fp_ieee_inexact 0
		.amdhsa_exception_int_div_zero 0
	.end_amdhsa_kernel
	.section	.text._ZN7rocprim17ROCPRIM_400000_NS6detail17trampoline_kernelINS0_14default_configENS1_27scan_by_key_config_selectorIiiEEZZNS1_16scan_by_key_implILNS1_25lookback_scan_determinismE0ELb1ES3_N6thrust23THRUST_200600_302600_NS6detail15normal_iteratorINS9_10device_ptrIiEEEESE_SE_iNS9_4plusIvEENS9_8equal_toIiEEiEE10hipError_tPvRmT2_T3_T4_T5_mT6_T7_P12ihipStream_tbENKUlT_T0_E_clISt17integral_constantIbLb0EESY_IbLb1EEEEDaSU_SV_EUlSU_E_NS1_11comp_targetILNS1_3genE3ELNS1_11target_archE908ELNS1_3gpuE7ELNS1_3repE0EEENS1_30default_config_static_selectorELNS0_4arch9wavefront6targetE0EEEvT1_,"axG",@progbits,_ZN7rocprim17ROCPRIM_400000_NS6detail17trampoline_kernelINS0_14default_configENS1_27scan_by_key_config_selectorIiiEEZZNS1_16scan_by_key_implILNS1_25lookback_scan_determinismE0ELb1ES3_N6thrust23THRUST_200600_302600_NS6detail15normal_iteratorINS9_10device_ptrIiEEEESE_SE_iNS9_4plusIvEENS9_8equal_toIiEEiEE10hipError_tPvRmT2_T3_T4_T5_mT6_T7_P12ihipStream_tbENKUlT_T0_E_clISt17integral_constantIbLb0EESY_IbLb1EEEEDaSU_SV_EUlSU_E_NS1_11comp_targetILNS1_3genE3ELNS1_11target_archE908ELNS1_3gpuE7ELNS1_3repE0EEENS1_30default_config_static_selectorELNS0_4arch9wavefront6targetE0EEEvT1_,comdat
.Lfunc_end564:
	.size	_ZN7rocprim17ROCPRIM_400000_NS6detail17trampoline_kernelINS0_14default_configENS1_27scan_by_key_config_selectorIiiEEZZNS1_16scan_by_key_implILNS1_25lookback_scan_determinismE0ELb1ES3_N6thrust23THRUST_200600_302600_NS6detail15normal_iteratorINS9_10device_ptrIiEEEESE_SE_iNS9_4plusIvEENS9_8equal_toIiEEiEE10hipError_tPvRmT2_T3_T4_T5_mT6_T7_P12ihipStream_tbENKUlT_T0_E_clISt17integral_constantIbLb0EESY_IbLb1EEEEDaSU_SV_EUlSU_E_NS1_11comp_targetILNS1_3genE3ELNS1_11target_archE908ELNS1_3gpuE7ELNS1_3repE0EEENS1_30default_config_static_selectorELNS0_4arch9wavefront6targetE0EEEvT1_, .Lfunc_end564-_ZN7rocprim17ROCPRIM_400000_NS6detail17trampoline_kernelINS0_14default_configENS1_27scan_by_key_config_selectorIiiEEZZNS1_16scan_by_key_implILNS1_25lookback_scan_determinismE0ELb1ES3_N6thrust23THRUST_200600_302600_NS6detail15normal_iteratorINS9_10device_ptrIiEEEESE_SE_iNS9_4plusIvEENS9_8equal_toIiEEiEE10hipError_tPvRmT2_T3_T4_T5_mT6_T7_P12ihipStream_tbENKUlT_T0_E_clISt17integral_constantIbLb0EESY_IbLb1EEEEDaSU_SV_EUlSU_E_NS1_11comp_targetILNS1_3genE3ELNS1_11target_archE908ELNS1_3gpuE7ELNS1_3repE0EEENS1_30default_config_static_selectorELNS0_4arch9wavefront6targetE0EEEvT1_
                                        ; -- End function
	.set _ZN7rocprim17ROCPRIM_400000_NS6detail17trampoline_kernelINS0_14default_configENS1_27scan_by_key_config_selectorIiiEEZZNS1_16scan_by_key_implILNS1_25lookback_scan_determinismE0ELb1ES3_N6thrust23THRUST_200600_302600_NS6detail15normal_iteratorINS9_10device_ptrIiEEEESE_SE_iNS9_4plusIvEENS9_8equal_toIiEEiEE10hipError_tPvRmT2_T3_T4_T5_mT6_T7_P12ihipStream_tbENKUlT_T0_E_clISt17integral_constantIbLb0EESY_IbLb1EEEEDaSU_SV_EUlSU_E_NS1_11comp_targetILNS1_3genE3ELNS1_11target_archE908ELNS1_3gpuE7ELNS1_3repE0EEENS1_30default_config_static_selectorELNS0_4arch9wavefront6targetE0EEEvT1_.num_vgpr, 0
	.set _ZN7rocprim17ROCPRIM_400000_NS6detail17trampoline_kernelINS0_14default_configENS1_27scan_by_key_config_selectorIiiEEZZNS1_16scan_by_key_implILNS1_25lookback_scan_determinismE0ELb1ES3_N6thrust23THRUST_200600_302600_NS6detail15normal_iteratorINS9_10device_ptrIiEEEESE_SE_iNS9_4plusIvEENS9_8equal_toIiEEiEE10hipError_tPvRmT2_T3_T4_T5_mT6_T7_P12ihipStream_tbENKUlT_T0_E_clISt17integral_constantIbLb0EESY_IbLb1EEEEDaSU_SV_EUlSU_E_NS1_11comp_targetILNS1_3genE3ELNS1_11target_archE908ELNS1_3gpuE7ELNS1_3repE0EEENS1_30default_config_static_selectorELNS0_4arch9wavefront6targetE0EEEvT1_.num_agpr, 0
	.set _ZN7rocprim17ROCPRIM_400000_NS6detail17trampoline_kernelINS0_14default_configENS1_27scan_by_key_config_selectorIiiEEZZNS1_16scan_by_key_implILNS1_25lookback_scan_determinismE0ELb1ES3_N6thrust23THRUST_200600_302600_NS6detail15normal_iteratorINS9_10device_ptrIiEEEESE_SE_iNS9_4plusIvEENS9_8equal_toIiEEiEE10hipError_tPvRmT2_T3_T4_T5_mT6_T7_P12ihipStream_tbENKUlT_T0_E_clISt17integral_constantIbLb0EESY_IbLb1EEEEDaSU_SV_EUlSU_E_NS1_11comp_targetILNS1_3genE3ELNS1_11target_archE908ELNS1_3gpuE7ELNS1_3repE0EEENS1_30default_config_static_selectorELNS0_4arch9wavefront6targetE0EEEvT1_.numbered_sgpr, 0
	.set _ZN7rocprim17ROCPRIM_400000_NS6detail17trampoline_kernelINS0_14default_configENS1_27scan_by_key_config_selectorIiiEEZZNS1_16scan_by_key_implILNS1_25lookback_scan_determinismE0ELb1ES3_N6thrust23THRUST_200600_302600_NS6detail15normal_iteratorINS9_10device_ptrIiEEEESE_SE_iNS9_4plusIvEENS9_8equal_toIiEEiEE10hipError_tPvRmT2_T3_T4_T5_mT6_T7_P12ihipStream_tbENKUlT_T0_E_clISt17integral_constantIbLb0EESY_IbLb1EEEEDaSU_SV_EUlSU_E_NS1_11comp_targetILNS1_3genE3ELNS1_11target_archE908ELNS1_3gpuE7ELNS1_3repE0EEENS1_30default_config_static_selectorELNS0_4arch9wavefront6targetE0EEEvT1_.num_named_barrier, 0
	.set _ZN7rocprim17ROCPRIM_400000_NS6detail17trampoline_kernelINS0_14default_configENS1_27scan_by_key_config_selectorIiiEEZZNS1_16scan_by_key_implILNS1_25lookback_scan_determinismE0ELb1ES3_N6thrust23THRUST_200600_302600_NS6detail15normal_iteratorINS9_10device_ptrIiEEEESE_SE_iNS9_4plusIvEENS9_8equal_toIiEEiEE10hipError_tPvRmT2_T3_T4_T5_mT6_T7_P12ihipStream_tbENKUlT_T0_E_clISt17integral_constantIbLb0EESY_IbLb1EEEEDaSU_SV_EUlSU_E_NS1_11comp_targetILNS1_3genE3ELNS1_11target_archE908ELNS1_3gpuE7ELNS1_3repE0EEENS1_30default_config_static_selectorELNS0_4arch9wavefront6targetE0EEEvT1_.private_seg_size, 0
	.set _ZN7rocprim17ROCPRIM_400000_NS6detail17trampoline_kernelINS0_14default_configENS1_27scan_by_key_config_selectorIiiEEZZNS1_16scan_by_key_implILNS1_25lookback_scan_determinismE0ELb1ES3_N6thrust23THRUST_200600_302600_NS6detail15normal_iteratorINS9_10device_ptrIiEEEESE_SE_iNS9_4plusIvEENS9_8equal_toIiEEiEE10hipError_tPvRmT2_T3_T4_T5_mT6_T7_P12ihipStream_tbENKUlT_T0_E_clISt17integral_constantIbLb0EESY_IbLb1EEEEDaSU_SV_EUlSU_E_NS1_11comp_targetILNS1_3genE3ELNS1_11target_archE908ELNS1_3gpuE7ELNS1_3repE0EEENS1_30default_config_static_selectorELNS0_4arch9wavefront6targetE0EEEvT1_.uses_vcc, 0
	.set _ZN7rocprim17ROCPRIM_400000_NS6detail17trampoline_kernelINS0_14default_configENS1_27scan_by_key_config_selectorIiiEEZZNS1_16scan_by_key_implILNS1_25lookback_scan_determinismE0ELb1ES3_N6thrust23THRUST_200600_302600_NS6detail15normal_iteratorINS9_10device_ptrIiEEEESE_SE_iNS9_4plusIvEENS9_8equal_toIiEEiEE10hipError_tPvRmT2_T3_T4_T5_mT6_T7_P12ihipStream_tbENKUlT_T0_E_clISt17integral_constantIbLb0EESY_IbLb1EEEEDaSU_SV_EUlSU_E_NS1_11comp_targetILNS1_3genE3ELNS1_11target_archE908ELNS1_3gpuE7ELNS1_3repE0EEENS1_30default_config_static_selectorELNS0_4arch9wavefront6targetE0EEEvT1_.uses_flat_scratch, 0
	.set _ZN7rocprim17ROCPRIM_400000_NS6detail17trampoline_kernelINS0_14default_configENS1_27scan_by_key_config_selectorIiiEEZZNS1_16scan_by_key_implILNS1_25lookback_scan_determinismE0ELb1ES3_N6thrust23THRUST_200600_302600_NS6detail15normal_iteratorINS9_10device_ptrIiEEEESE_SE_iNS9_4plusIvEENS9_8equal_toIiEEiEE10hipError_tPvRmT2_T3_T4_T5_mT6_T7_P12ihipStream_tbENKUlT_T0_E_clISt17integral_constantIbLb0EESY_IbLb1EEEEDaSU_SV_EUlSU_E_NS1_11comp_targetILNS1_3genE3ELNS1_11target_archE908ELNS1_3gpuE7ELNS1_3repE0EEENS1_30default_config_static_selectorELNS0_4arch9wavefront6targetE0EEEvT1_.has_dyn_sized_stack, 0
	.set _ZN7rocprim17ROCPRIM_400000_NS6detail17trampoline_kernelINS0_14default_configENS1_27scan_by_key_config_selectorIiiEEZZNS1_16scan_by_key_implILNS1_25lookback_scan_determinismE0ELb1ES3_N6thrust23THRUST_200600_302600_NS6detail15normal_iteratorINS9_10device_ptrIiEEEESE_SE_iNS9_4plusIvEENS9_8equal_toIiEEiEE10hipError_tPvRmT2_T3_T4_T5_mT6_T7_P12ihipStream_tbENKUlT_T0_E_clISt17integral_constantIbLb0EESY_IbLb1EEEEDaSU_SV_EUlSU_E_NS1_11comp_targetILNS1_3genE3ELNS1_11target_archE908ELNS1_3gpuE7ELNS1_3repE0EEENS1_30default_config_static_selectorELNS0_4arch9wavefront6targetE0EEEvT1_.has_recursion, 0
	.set _ZN7rocprim17ROCPRIM_400000_NS6detail17trampoline_kernelINS0_14default_configENS1_27scan_by_key_config_selectorIiiEEZZNS1_16scan_by_key_implILNS1_25lookback_scan_determinismE0ELb1ES3_N6thrust23THRUST_200600_302600_NS6detail15normal_iteratorINS9_10device_ptrIiEEEESE_SE_iNS9_4plusIvEENS9_8equal_toIiEEiEE10hipError_tPvRmT2_T3_T4_T5_mT6_T7_P12ihipStream_tbENKUlT_T0_E_clISt17integral_constantIbLb0EESY_IbLb1EEEEDaSU_SV_EUlSU_E_NS1_11comp_targetILNS1_3genE3ELNS1_11target_archE908ELNS1_3gpuE7ELNS1_3repE0EEENS1_30default_config_static_selectorELNS0_4arch9wavefront6targetE0EEEvT1_.has_indirect_call, 0
	.section	.AMDGPU.csdata,"",@progbits
; Kernel info:
; codeLenInByte = 0
; TotalNumSgprs: 0
; NumVgprs: 0
; ScratchSize: 0
; MemoryBound: 0
; FloatMode: 240
; IeeeMode: 1
; LDSByteSize: 0 bytes/workgroup (compile time only)
; SGPRBlocks: 0
; VGPRBlocks: 0
; NumSGPRsForWavesPerEU: 1
; NumVGPRsForWavesPerEU: 1
; NamedBarCnt: 0
; Occupancy: 16
; WaveLimiterHint : 0
; COMPUTE_PGM_RSRC2:SCRATCH_EN: 0
; COMPUTE_PGM_RSRC2:USER_SGPR: 2
; COMPUTE_PGM_RSRC2:TRAP_HANDLER: 0
; COMPUTE_PGM_RSRC2:TGID_X_EN: 1
; COMPUTE_PGM_RSRC2:TGID_Y_EN: 0
; COMPUTE_PGM_RSRC2:TGID_Z_EN: 0
; COMPUTE_PGM_RSRC2:TIDIG_COMP_CNT: 0
	.section	.text._ZN7rocprim17ROCPRIM_400000_NS6detail17trampoline_kernelINS0_14default_configENS1_27scan_by_key_config_selectorIiiEEZZNS1_16scan_by_key_implILNS1_25lookback_scan_determinismE0ELb1ES3_N6thrust23THRUST_200600_302600_NS6detail15normal_iteratorINS9_10device_ptrIiEEEESE_SE_iNS9_4plusIvEENS9_8equal_toIiEEiEE10hipError_tPvRmT2_T3_T4_T5_mT6_T7_P12ihipStream_tbENKUlT_T0_E_clISt17integral_constantIbLb0EESY_IbLb1EEEEDaSU_SV_EUlSU_E_NS1_11comp_targetILNS1_3genE2ELNS1_11target_archE906ELNS1_3gpuE6ELNS1_3repE0EEENS1_30default_config_static_selectorELNS0_4arch9wavefront6targetE0EEEvT1_,"axG",@progbits,_ZN7rocprim17ROCPRIM_400000_NS6detail17trampoline_kernelINS0_14default_configENS1_27scan_by_key_config_selectorIiiEEZZNS1_16scan_by_key_implILNS1_25lookback_scan_determinismE0ELb1ES3_N6thrust23THRUST_200600_302600_NS6detail15normal_iteratorINS9_10device_ptrIiEEEESE_SE_iNS9_4plusIvEENS9_8equal_toIiEEiEE10hipError_tPvRmT2_T3_T4_T5_mT6_T7_P12ihipStream_tbENKUlT_T0_E_clISt17integral_constantIbLb0EESY_IbLb1EEEEDaSU_SV_EUlSU_E_NS1_11comp_targetILNS1_3genE2ELNS1_11target_archE906ELNS1_3gpuE6ELNS1_3repE0EEENS1_30default_config_static_selectorELNS0_4arch9wavefront6targetE0EEEvT1_,comdat
	.protected	_ZN7rocprim17ROCPRIM_400000_NS6detail17trampoline_kernelINS0_14default_configENS1_27scan_by_key_config_selectorIiiEEZZNS1_16scan_by_key_implILNS1_25lookback_scan_determinismE0ELb1ES3_N6thrust23THRUST_200600_302600_NS6detail15normal_iteratorINS9_10device_ptrIiEEEESE_SE_iNS9_4plusIvEENS9_8equal_toIiEEiEE10hipError_tPvRmT2_T3_T4_T5_mT6_T7_P12ihipStream_tbENKUlT_T0_E_clISt17integral_constantIbLb0EESY_IbLb1EEEEDaSU_SV_EUlSU_E_NS1_11comp_targetILNS1_3genE2ELNS1_11target_archE906ELNS1_3gpuE6ELNS1_3repE0EEENS1_30default_config_static_selectorELNS0_4arch9wavefront6targetE0EEEvT1_ ; -- Begin function _ZN7rocprim17ROCPRIM_400000_NS6detail17trampoline_kernelINS0_14default_configENS1_27scan_by_key_config_selectorIiiEEZZNS1_16scan_by_key_implILNS1_25lookback_scan_determinismE0ELb1ES3_N6thrust23THRUST_200600_302600_NS6detail15normal_iteratorINS9_10device_ptrIiEEEESE_SE_iNS9_4plusIvEENS9_8equal_toIiEEiEE10hipError_tPvRmT2_T3_T4_T5_mT6_T7_P12ihipStream_tbENKUlT_T0_E_clISt17integral_constantIbLb0EESY_IbLb1EEEEDaSU_SV_EUlSU_E_NS1_11comp_targetILNS1_3genE2ELNS1_11target_archE906ELNS1_3gpuE6ELNS1_3repE0EEENS1_30default_config_static_selectorELNS0_4arch9wavefront6targetE0EEEvT1_
	.globl	_ZN7rocprim17ROCPRIM_400000_NS6detail17trampoline_kernelINS0_14default_configENS1_27scan_by_key_config_selectorIiiEEZZNS1_16scan_by_key_implILNS1_25lookback_scan_determinismE0ELb1ES3_N6thrust23THRUST_200600_302600_NS6detail15normal_iteratorINS9_10device_ptrIiEEEESE_SE_iNS9_4plusIvEENS9_8equal_toIiEEiEE10hipError_tPvRmT2_T3_T4_T5_mT6_T7_P12ihipStream_tbENKUlT_T0_E_clISt17integral_constantIbLb0EESY_IbLb1EEEEDaSU_SV_EUlSU_E_NS1_11comp_targetILNS1_3genE2ELNS1_11target_archE906ELNS1_3gpuE6ELNS1_3repE0EEENS1_30default_config_static_selectorELNS0_4arch9wavefront6targetE0EEEvT1_
	.p2align	8
	.type	_ZN7rocprim17ROCPRIM_400000_NS6detail17trampoline_kernelINS0_14default_configENS1_27scan_by_key_config_selectorIiiEEZZNS1_16scan_by_key_implILNS1_25lookback_scan_determinismE0ELb1ES3_N6thrust23THRUST_200600_302600_NS6detail15normal_iteratorINS9_10device_ptrIiEEEESE_SE_iNS9_4plusIvEENS9_8equal_toIiEEiEE10hipError_tPvRmT2_T3_T4_T5_mT6_T7_P12ihipStream_tbENKUlT_T0_E_clISt17integral_constantIbLb0EESY_IbLb1EEEEDaSU_SV_EUlSU_E_NS1_11comp_targetILNS1_3genE2ELNS1_11target_archE906ELNS1_3gpuE6ELNS1_3repE0EEENS1_30default_config_static_selectorELNS0_4arch9wavefront6targetE0EEEvT1_,@function
_ZN7rocprim17ROCPRIM_400000_NS6detail17trampoline_kernelINS0_14default_configENS1_27scan_by_key_config_selectorIiiEEZZNS1_16scan_by_key_implILNS1_25lookback_scan_determinismE0ELb1ES3_N6thrust23THRUST_200600_302600_NS6detail15normal_iteratorINS9_10device_ptrIiEEEESE_SE_iNS9_4plusIvEENS9_8equal_toIiEEiEE10hipError_tPvRmT2_T3_T4_T5_mT6_T7_P12ihipStream_tbENKUlT_T0_E_clISt17integral_constantIbLb0EESY_IbLb1EEEEDaSU_SV_EUlSU_E_NS1_11comp_targetILNS1_3genE2ELNS1_11target_archE906ELNS1_3gpuE6ELNS1_3repE0EEENS1_30default_config_static_selectorELNS0_4arch9wavefront6targetE0EEEvT1_: ; @_ZN7rocprim17ROCPRIM_400000_NS6detail17trampoline_kernelINS0_14default_configENS1_27scan_by_key_config_selectorIiiEEZZNS1_16scan_by_key_implILNS1_25lookback_scan_determinismE0ELb1ES3_N6thrust23THRUST_200600_302600_NS6detail15normal_iteratorINS9_10device_ptrIiEEEESE_SE_iNS9_4plusIvEENS9_8equal_toIiEEiEE10hipError_tPvRmT2_T3_T4_T5_mT6_T7_P12ihipStream_tbENKUlT_T0_E_clISt17integral_constantIbLb0EESY_IbLb1EEEEDaSU_SV_EUlSU_E_NS1_11comp_targetILNS1_3genE2ELNS1_11target_archE906ELNS1_3gpuE6ELNS1_3repE0EEENS1_30default_config_static_selectorELNS0_4arch9wavefront6targetE0EEEvT1_
; %bb.0:
	.section	.rodata,"a",@progbits
	.p2align	6, 0x0
	.amdhsa_kernel _ZN7rocprim17ROCPRIM_400000_NS6detail17trampoline_kernelINS0_14default_configENS1_27scan_by_key_config_selectorIiiEEZZNS1_16scan_by_key_implILNS1_25lookback_scan_determinismE0ELb1ES3_N6thrust23THRUST_200600_302600_NS6detail15normal_iteratorINS9_10device_ptrIiEEEESE_SE_iNS9_4plusIvEENS9_8equal_toIiEEiEE10hipError_tPvRmT2_T3_T4_T5_mT6_T7_P12ihipStream_tbENKUlT_T0_E_clISt17integral_constantIbLb0EESY_IbLb1EEEEDaSU_SV_EUlSU_E_NS1_11comp_targetILNS1_3genE2ELNS1_11target_archE906ELNS1_3gpuE6ELNS1_3repE0EEENS1_30default_config_static_selectorELNS0_4arch9wavefront6targetE0EEEvT1_
		.amdhsa_group_segment_fixed_size 0
		.amdhsa_private_segment_fixed_size 0
		.amdhsa_kernarg_size 112
		.amdhsa_user_sgpr_count 2
		.amdhsa_user_sgpr_dispatch_ptr 0
		.amdhsa_user_sgpr_queue_ptr 0
		.amdhsa_user_sgpr_kernarg_segment_ptr 1
		.amdhsa_user_sgpr_dispatch_id 0
		.amdhsa_user_sgpr_kernarg_preload_length 0
		.amdhsa_user_sgpr_kernarg_preload_offset 0
		.amdhsa_user_sgpr_private_segment_size 0
		.amdhsa_wavefront_size32 1
		.amdhsa_uses_dynamic_stack 0
		.amdhsa_enable_private_segment 0
		.amdhsa_system_sgpr_workgroup_id_x 1
		.amdhsa_system_sgpr_workgroup_id_y 0
		.amdhsa_system_sgpr_workgroup_id_z 0
		.amdhsa_system_sgpr_workgroup_info 0
		.amdhsa_system_vgpr_workitem_id 0
		.amdhsa_next_free_vgpr 1
		.amdhsa_next_free_sgpr 1
		.amdhsa_named_barrier_count 0
		.amdhsa_reserve_vcc 0
		.amdhsa_float_round_mode_32 0
		.amdhsa_float_round_mode_16_64 0
		.amdhsa_float_denorm_mode_32 3
		.amdhsa_float_denorm_mode_16_64 3
		.amdhsa_fp16_overflow 0
		.amdhsa_memory_ordered 1
		.amdhsa_forward_progress 1
		.amdhsa_inst_pref_size 0
		.amdhsa_round_robin_scheduling 0
		.amdhsa_exception_fp_ieee_invalid_op 0
		.amdhsa_exception_fp_denorm_src 0
		.amdhsa_exception_fp_ieee_div_zero 0
		.amdhsa_exception_fp_ieee_overflow 0
		.amdhsa_exception_fp_ieee_underflow 0
		.amdhsa_exception_fp_ieee_inexact 0
		.amdhsa_exception_int_div_zero 0
	.end_amdhsa_kernel
	.section	.text._ZN7rocprim17ROCPRIM_400000_NS6detail17trampoline_kernelINS0_14default_configENS1_27scan_by_key_config_selectorIiiEEZZNS1_16scan_by_key_implILNS1_25lookback_scan_determinismE0ELb1ES3_N6thrust23THRUST_200600_302600_NS6detail15normal_iteratorINS9_10device_ptrIiEEEESE_SE_iNS9_4plusIvEENS9_8equal_toIiEEiEE10hipError_tPvRmT2_T3_T4_T5_mT6_T7_P12ihipStream_tbENKUlT_T0_E_clISt17integral_constantIbLb0EESY_IbLb1EEEEDaSU_SV_EUlSU_E_NS1_11comp_targetILNS1_3genE2ELNS1_11target_archE906ELNS1_3gpuE6ELNS1_3repE0EEENS1_30default_config_static_selectorELNS0_4arch9wavefront6targetE0EEEvT1_,"axG",@progbits,_ZN7rocprim17ROCPRIM_400000_NS6detail17trampoline_kernelINS0_14default_configENS1_27scan_by_key_config_selectorIiiEEZZNS1_16scan_by_key_implILNS1_25lookback_scan_determinismE0ELb1ES3_N6thrust23THRUST_200600_302600_NS6detail15normal_iteratorINS9_10device_ptrIiEEEESE_SE_iNS9_4plusIvEENS9_8equal_toIiEEiEE10hipError_tPvRmT2_T3_T4_T5_mT6_T7_P12ihipStream_tbENKUlT_T0_E_clISt17integral_constantIbLb0EESY_IbLb1EEEEDaSU_SV_EUlSU_E_NS1_11comp_targetILNS1_3genE2ELNS1_11target_archE906ELNS1_3gpuE6ELNS1_3repE0EEENS1_30default_config_static_selectorELNS0_4arch9wavefront6targetE0EEEvT1_,comdat
.Lfunc_end565:
	.size	_ZN7rocprim17ROCPRIM_400000_NS6detail17trampoline_kernelINS0_14default_configENS1_27scan_by_key_config_selectorIiiEEZZNS1_16scan_by_key_implILNS1_25lookback_scan_determinismE0ELb1ES3_N6thrust23THRUST_200600_302600_NS6detail15normal_iteratorINS9_10device_ptrIiEEEESE_SE_iNS9_4plusIvEENS9_8equal_toIiEEiEE10hipError_tPvRmT2_T3_T4_T5_mT6_T7_P12ihipStream_tbENKUlT_T0_E_clISt17integral_constantIbLb0EESY_IbLb1EEEEDaSU_SV_EUlSU_E_NS1_11comp_targetILNS1_3genE2ELNS1_11target_archE906ELNS1_3gpuE6ELNS1_3repE0EEENS1_30default_config_static_selectorELNS0_4arch9wavefront6targetE0EEEvT1_, .Lfunc_end565-_ZN7rocprim17ROCPRIM_400000_NS6detail17trampoline_kernelINS0_14default_configENS1_27scan_by_key_config_selectorIiiEEZZNS1_16scan_by_key_implILNS1_25lookback_scan_determinismE0ELb1ES3_N6thrust23THRUST_200600_302600_NS6detail15normal_iteratorINS9_10device_ptrIiEEEESE_SE_iNS9_4plusIvEENS9_8equal_toIiEEiEE10hipError_tPvRmT2_T3_T4_T5_mT6_T7_P12ihipStream_tbENKUlT_T0_E_clISt17integral_constantIbLb0EESY_IbLb1EEEEDaSU_SV_EUlSU_E_NS1_11comp_targetILNS1_3genE2ELNS1_11target_archE906ELNS1_3gpuE6ELNS1_3repE0EEENS1_30default_config_static_selectorELNS0_4arch9wavefront6targetE0EEEvT1_
                                        ; -- End function
	.set _ZN7rocprim17ROCPRIM_400000_NS6detail17trampoline_kernelINS0_14default_configENS1_27scan_by_key_config_selectorIiiEEZZNS1_16scan_by_key_implILNS1_25lookback_scan_determinismE0ELb1ES3_N6thrust23THRUST_200600_302600_NS6detail15normal_iteratorINS9_10device_ptrIiEEEESE_SE_iNS9_4plusIvEENS9_8equal_toIiEEiEE10hipError_tPvRmT2_T3_T4_T5_mT6_T7_P12ihipStream_tbENKUlT_T0_E_clISt17integral_constantIbLb0EESY_IbLb1EEEEDaSU_SV_EUlSU_E_NS1_11comp_targetILNS1_3genE2ELNS1_11target_archE906ELNS1_3gpuE6ELNS1_3repE0EEENS1_30default_config_static_selectorELNS0_4arch9wavefront6targetE0EEEvT1_.num_vgpr, 0
	.set _ZN7rocprim17ROCPRIM_400000_NS6detail17trampoline_kernelINS0_14default_configENS1_27scan_by_key_config_selectorIiiEEZZNS1_16scan_by_key_implILNS1_25lookback_scan_determinismE0ELb1ES3_N6thrust23THRUST_200600_302600_NS6detail15normal_iteratorINS9_10device_ptrIiEEEESE_SE_iNS9_4plusIvEENS9_8equal_toIiEEiEE10hipError_tPvRmT2_T3_T4_T5_mT6_T7_P12ihipStream_tbENKUlT_T0_E_clISt17integral_constantIbLb0EESY_IbLb1EEEEDaSU_SV_EUlSU_E_NS1_11comp_targetILNS1_3genE2ELNS1_11target_archE906ELNS1_3gpuE6ELNS1_3repE0EEENS1_30default_config_static_selectorELNS0_4arch9wavefront6targetE0EEEvT1_.num_agpr, 0
	.set _ZN7rocprim17ROCPRIM_400000_NS6detail17trampoline_kernelINS0_14default_configENS1_27scan_by_key_config_selectorIiiEEZZNS1_16scan_by_key_implILNS1_25lookback_scan_determinismE0ELb1ES3_N6thrust23THRUST_200600_302600_NS6detail15normal_iteratorINS9_10device_ptrIiEEEESE_SE_iNS9_4plusIvEENS9_8equal_toIiEEiEE10hipError_tPvRmT2_T3_T4_T5_mT6_T7_P12ihipStream_tbENKUlT_T0_E_clISt17integral_constantIbLb0EESY_IbLb1EEEEDaSU_SV_EUlSU_E_NS1_11comp_targetILNS1_3genE2ELNS1_11target_archE906ELNS1_3gpuE6ELNS1_3repE0EEENS1_30default_config_static_selectorELNS0_4arch9wavefront6targetE0EEEvT1_.numbered_sgpr, 0
	.set _ZN7rocprim17ROCPRIM_400000_NS6detail17trampoline_kernelINS0_14default_configENS1_27scan_by_key_config_selectorIiiEEZZNS1_16scan_by_key_implILNS1_25lookback_scan_determinismE0ELb1ES3_N6thrust23THRUST_200600_302600_NS6detail15normal_iteratorINS9_10device_ptrIiEEEESE_SE_iNS9_4plusIvEENS9_8equal_toIiEEiEE10hipError_tPvRmT2_T3_T4_T5_mT6_T7_P12ihipStream_tbENKUlT_T0_E_clISt17integral_constantIbLb0EESY_IbLb1EEEEDaSU_SV_EUlSU_E_NS1_11comp_targetILNS1_3genE2ELNS1_11target_archE906ELNS1_3gpuE6ELNS1_3repE0EEENS1_30default_config_static_selectorELNS0_4arch9wavefront6targetE0EEEvT1_.num_named_barrier, 0
	.set _ZN7rocprim17ROCPRIM_400000_NS6detail17trampoline_kernelINS0_14default_configENS1_27scan_by_key_config_selectorIiiEEZZNS1_16scan_by_key_implILNS1_25lookback_scan_determinismE0ELb1ES3_N6thrust23THRUST_200600_302600_NS6detail15normal_iteratorINS9_10device_ptrIiEEEESE_SE_iNS9_4plusIvEENS9_8equal_toIiEEiEE10hipError_tPvRmT2_T3_T4_T5_mT6_T7_P12ihipStream_tbENKUlT_T0_E_clISt17integral_constantIbLb0EESY_IbLb1EEEEDaSU_SV_EUlSU_E_NS1_11comp_targetILNS1_3genE2ELNS1_11target_archE906ELNS1_3gpuE6ELNS1_3repE0EEENS1_30default_config_static_selectorELNS0_4arch9wavefront6targetE0EEEvT1_.private_seg_size, 0
	.set _ZN7rocprim17ROCPRIM_400000_NS6detail17trampoline_kernelINS0_14default_configENS1_27scan_by_key_config_selectorIiiEEZZNS1_16scan_by_key_implILNS1_25lookback_scan_determinismE0ELb1ES3_N6thrust23THRUST_200600_302600_NS6detail15normal_iteratorINS9_10device_ptrIiEEEESE_SE_iNS9_4plusIvEENS9_8equal_toIiEEiEE10hipError_tPvRmT2_T3_T4_T5_mT6_T7_P12ihipStream_tbENKUlT_T0_E_clISt17integral_constantIbLb0EESY_IbLb1EEEEDaSU_SV_EUlSU_E_NS1_11comp_targetILNS1_3genE2ELNS1_11target_archE906ELNS1_3gpuE6ELNS1_3repE0EEENS1_30default_config_static_selectorELNS0_4arch9wavefront6targetE0EEEvT1_.uses_vcc, 0
	.set _ZN7rocprim17ROCPRIM_400000_NS6detail17trampoline_kernelINS0_14default_configENS1_27scan_by_key_config_selectorIiiEEZZNS1_16scan_by_key_implILNS1_25lookback_scan_determinismE0ELb1ES3_N6thrust23THRUST_200600_302600_NS6detail15normal_iteratorINS9_10device_ptrIiEEEESE_SE_iNS9_4plusIvEENS9_8equal_toIiEEiEE10hipError_tPvRmT2_T3_T4_T5_mT6_T7_P12ihipStream_tbENKUlT_T0_E_clISt17integral_constantIbLb0EESY_IbLb1EEEEDaSU_SV_EUlSU_E_NS1_11comp_targetILNS1_3genE2ELNS1_11target_archE906ELNS1_3gpuE6ELNS1_3repE0EEENS1_30default_config_static_selectorELNS0_4arch9wavefront6targetE0EEEvT1_.uses_flat_scratch, 0
	.set _ZN7rocprim17ROCPRIM_400000_NS6detail17trampoline_kernelINS0_14default_configENS1_27scan_by_key_config_selectorIiiEEZZNS1_16scan_by_key_implILNS1_25lookback_scan_determinismE0ELb1ES3_N6thrust23THRUST_200600_302600_NS6detail15normal_iteratorINS9_10device_ptrIiEEEESE_SE_iNS9_4plusIvEENS9_8equal_toIiEEiEE10hipError_tPvRmT2_T3_T4_T5_mT6_T7_P12ihipStream_tbENKUlT_T0_E_clISt17integral_constantIbLb0EESY_IbLb1EEEEDaSU_SV_EUlSU_E_NS1_11comp_targetILNS1_3genE2ELNS1_11target_archE906ELNS1_3gpuE6ELNS1_3repE0EEENS1_30default_config_static_selectorELNS0_4arch9wavefront6targetE0EEEvT1_.has_dyn_sized_stack, 0
	.set _ZN7rocprim17ROCPRIM_400000_NS6detail17trampoline_kernelINS0_14default_configENS1_27scan_by_key_config_selectorIiiEEZZNS1_16scan_by_key_implILNS1_25lookback_scan_determinismE0ELb1ES3_N6thrust23THRUST_200600_302600_NS6detail15normal_iteratorINS9_10device_ptrIiEEEESE_SE_iNS9_4plusIvEENS9_8equal_toIiEEiEE10hipError_tPvRmT2_T3_T4_T5_mT6_T7_P12ihipStream_tbENKUlT_T0_E_clISt17integral_constantIbLb0EESY_IbLb1EEEEDaSU_SV_EUlSU_E_NS1_11comp_targetILNS1_3genE2ELNS1_11target_archE906ELNS1_3gpuE6ELNS1_3repE0EEENS1_30default_config_static_selectorELNS0_4arch9wavefront6targetE0EEEvT1_.has_recursion, 0
	.set _ZN7rocprim17ROCPRIM_400000_NS6detail17trampoline_kernelINS0_14default_configENS1_27scan_by_key_config_selectorIiiEEZZNS1_16scan_by_key_implILNS1_25lookback_scan_determinismE0ELb1ES3_N6thrust23THRUST_200600_302600_NS6detail15normal_iteratorINS9_10device_ptrIiEEEESE_SE_iNS9_4plusIvEENS9_8equal_toIiEEiEE10hipError_tPvRmT2_T3_T4_T5_mT6_T7_P12ihipStream_tbENKUlT_T0_E_clISt17integral_constantIbLb0EESY_IbLb1EEEEDaSU_SV_EUlSU_E_NS1_11comp_targetILNS1_3genE2ELNS1_11target_archE906ELNS1_3gpuE6ELNS1_3repE0EEENS1_30default_config_static_selectorELNS0_4arch9wavefront6targetE0EEEvT1_.has_indirect_call, 0
	.section	.AMDGPU.csdata,"",@progbits
; Kernel info:
; codeLenInByte = 0
; TotalNumSgprs: 0
; NumVgprs: 0
; ScratchSize: 0
; MemoryBound: 0
; FloatMode: 240
; IeeeMode: 1
; LDSByteSize: 0 bytes/workgroup (compile time only)
; SGPRBlocks: 0
; VGPRBlocks: 0
; NumSGPRsForWavesPerEU: 1
; NumVGPRsForWavesPerEU: 1
; NamedBarCnt: 0
; Occupancy: 16
; WaveLimiterHint : 0
; COMPUTE_PGM_RSRC2:SCRATCH_EN: 0
; COMPUTE_PGM_RSRC2:USER_SGPR: 2
; COMPUTE_PGM_RSRC2:TRAP_HANDLER: 0
; COMPUTE_PGM_RSRC2:TGID_X_EN: 1
; COMPUTE_PGM_RSRC2:TGID_Y_EN: 0
; COMPUTE_PGM_RSRC2:TGID_Z_EN: 0
; COMPUTE_PGM_RSRC2:TIDIG_COMP_CNT: 0
	.section	.text._ZN7rocprim17ROCPRIM_400000_NS6detail17trampoline_kernelINS0_14default_configENS1_27scan_by_key_config_selectorIiiEEZZNS1_16scan_by_key_implILNS1_25lookback_scan_determinismE0ELb1ES3_N6thrust23THRUST_200600_302600_NS6detail15normal_iteratorINS9_10device_ptrIiEEEESE_SE_iNS9_4plusIvEENS9_8equal_toIiEEiEE10hipError_tPvRmT2_T3_T4_T5_mT6_T7_P12ihipStream_tbENKUlT_T0_E_clISt17integral_constantIbLb0EESY_IbLb1EEEEDaSU_SV_EUlSU_E_NS1_11comp_targetILNS1_3genE10ELNS1_11target_archE1200ELNS1_3gpuE4ELNS1_3repE0EEENS1_30default_config_static_selectorELNS0_4arch9wavefront6targetE0EEEvT1_,"axG",@progbits,_ZN7rocprim17ROCPRIM_400000_NS6detail17trampoline_kernelINS0_14default_configENS1_27scan_by_key_config_selectorIiiEEZZNS1_16scan_by_key_implILNS1_25lookback_scan_determinismE0ELb1ES3_N6thrust23THRUST_200600_302600_NS6detail15normal_iteratorINS9_10device_ptrIiEEEESE_SE_iNS9_4plusIvEENS9_8equal_toIiEEiEE10hipError_tPvRmT2_T3_T4_T5_mT6_T7_P12ihipStream_tbENKUlT_T0_E_clISt17integral_constantIbLb0EESY_IbLb1EEEEDaSU_SV_EUlSU_E_NS1_11comp_targetILNS1_3genE10ELNS1_11target_archE1200ELNS1_3gpuE4ELNS1_3repE0EEENS1_30default_config_static_selectorELNS0_4arch9wavefront6targetE0EEEvT1_,comdat
	.protected	_ZN7rocprim17ROCPRIM_400000_NS6detail17trampoline_kernelINS0_14default_configENS1_27scan_by_key_config_selectorIiiEEZZNS1_16scan_by_key_implILNS1_25lookback_scan_determinismE0ELb1ES3_N6thrust23THRUST_200600_302600_NS6detail15normal_iteratorINS9_10device_ptrIiEEEESE_SE_iNS9_4plusIvEENS9_8equal_toIiEEiEE10hipError_tPvRmT2_T3_T4_T5_mT6_T7_P12ihipStream_tbENKUlT_T0_E_clISt17integral_constantIbLb0EESY_IbLb1EEEEDaSU_SV_EUlSU_E_NS1_11comp_targetILNS1_3genE10ELNS1_11target_archE1200ELNS1_3gpuE4ELNS1_3repE0EEENS1_30default_config_static_selectorELNS0_4arch9wavefront6targetE0EEEvT1_ ; -- Begin function _ZN7rocprim17ROCPRIM_400000_NS6detail17trampoline_kernelINS0_14default_configENS1_27scan_by_key_config_selectorIiiEEZZNS1_16scan_by_key_implILNS1_25lookback_scan_determinismE0ELb1ES3_N6thrust23THRUST_200600_302600_NS6detail15normal_iteratorINS9_10device_ptrIiEEEESE_SE_iNS9_4plusIvEENS9_8equal_toIiEEiEE10hipError_tPvRmT2_T3_T4_T5_mT6_T7_P12ihipStream_tbENKUlT_T0_E_clISt17integral_constantIbLb0EESY_IbLb1EEEEDaSU_SV_EUlSU_E_NS1_11comp_targetILNS1_3genE10ELNS1_11target_archE1200ELNS1_3gpuE4ELNS1_3repE0EEENS1_30default_config_static_selectorELNS0_4arch9wavefront6targetE0EEEvT1_
	.globl	_ZN7rocprim17ROCPRIM_400000_NS6detail17trampoline_kernelINS0_14default_configENS1_27scan_by_key_config_selectorIiiEEZZNS1_16scan_by_key_implILNS1_25lookback_scan_determinismE0ELb1ES3_N6thrust23THRUST_200600_302600_NS6detail15normal_iteratorINS9_10device_ptrIiEEEESE_SE_iNS9_4plusIvEENS9_8equal_toIiEEiEE10hipError_tPvRmT2_T3_T4_T5_mT6_T7_P12ihipStream_tbENKUlT_T0_E_clISt17integral_constantIbLb0EESY_IbLb1EEEEDaSU_SV_EUlSU_E_NS1_11comp_targetILNS1_3genE10ELNS1_11target_archE1200ELNS1_3gpuE4ELNS1_3repE0EEENS1_30default_config_static_selectorELNS0_4arch9wavefront6targetE0EEEvT1_
	.p2align	8
	.type	_ZN7rocprim17ROCPRIM_400000_NS6detail17trampoline_kernelINS0_14default_configENS1_27scan_by_key_config_selectorIiiEEZZNS1_16scan_by_key_implILNS1_25lookback_scan_determinismE0ELb1ES3_N6thrust23THRUST_200600_302600_NS6detail15normal_iteratorINS9_10device_ptrIiEEEESE_SE_iNS9_4plusIvEENS9_8equal_toIiEEiEE10hipError_tPvRmT2_T3_T4_T5_mT6_T7_P12ihipStream_tbENKUlT_T0_E_clISt17integral_constantIbLb0EESY_IbLb1EEEEDaSU_SV_EUlSU_E_NS1_11comp_targetILNS1_3genE10ELNS1_11target_archE1200ELNS1_3gpuE4ELNS1_3repE0EEENS1_30default_config_static_selectorELNS0_4arch9wavefront6targetE0EEEvT1_,@function
_ZN7rocprim17ROCPRIM_400000_NS6detail17trampoline_kernelINS0_14default_configENS1_27scan_by_key_config_selectorIiiEEZZNS1_16scan_by_key_implILNS1_25lookback_scan_determinismE0ELb1ES3_N6thrust23THRUST_200600_302600_NS6detail15normal_iteratorINS9_10device_ptrIiEEEESE_SE_iNS9_4plusIvEENS9_8equal_toIiEEiEE10hipError_tPvRmT2_T3_T4_T5_mT6_T7_P12ihipStream_tbENKUlT_T0_E_clISt17integral_constantIbLb0EESY_IbLb1EEEEDaSU_SV_EUlSU_E_NS1_11comp_targetILNS1_3genE10ELNS1_11target_archE1200ELNS1_3gpuE4ELNS1_3repE0EEENS1_30default_config_static_selectorELNS0_4arch9wavefront6targetE0EEEvT1_: ; @_ZN7rocprim17ROCPRIM_400000_NS6detail17trampoline_kernelINS0_14default_configENS1_27scan_by_key_config_selectorIiiEEZZNS1_16scan_by_key_implILNS1_25lookback_scan_determinismE0ELb1ES3_N6thrust23THRUST_200600_302600_NS6detail15normal_iteratorINS9_10device_ptrIiEEEESE_SE_iNS9_4plusIvEENS9_8equal_toIiEEiEE10hipError_tPvRmT2_T3_T4_T5_mT6_T7_P12ihipStream_tbENKUlT_T0_E_clISt17integral_constantIbLb0EESY_IbLb1EEEEDaSU_SV_EUlSU_E_NS1_11comp_targetILNS1_3genE10ELNS1_11target_archE1200ELNS1_3gpuE4ELNS1_3repE0EEENS1_30default_config_static_selectorELNS0_4arch9wavefront6targetE0EEEvT1_
; %bb.0:
	.section	.rodata,"a",@progbits
	.p2align	6, 0x0
	.amdhsa_kernel _ZN7rocprim17ROCPRIM_400000_NS6detail17trampoline_kernelINS0_14default_configENS1_27scan_by_key_config_selectorIiiEEZZNS1_16scan_by_key_implILNS1_25lookback_scan_determinismE0ELb1ES3_N6thrust23THRUST_200600_302600_NS6detail15normal_iteratorINS9_10device_ptrIiEEEESE_SE_iNS9_4plusIvEENS9_8equal_toIiEEiEE10hipError_tPvRmT2_T3_T4_T5_mT6_T7_P12ihipStream_tbENKUlT_T0_E_clISt17integral_constantIbLb0EESY_IbLb1EEEEDaSU_SV_EUlSU_E_NS1_11comp_targetILNS1_3genE10ELNS1_11target_archE1200ELNS1_3gpuE4ELNS1_3repE0EEENS1_30default_config_static_selectorELNS0_4arch9wavefront6targetE0EEEvT1_
		.amdhsa_group_segment_fixed_size 0
		.amdhsa_private_segment_fixed_size 0
		.amdhsa_kernarg_size 112
		.amdhsa_user_sgpr_count 2
		.amdhsa_user_sgpr_dispatch_ptr 0
		.amdhsa_user_sgpr_queue_ptr 0
		.amdhsa_user_sgpr_kernarg_segment_ptr 1
		.amdhsa_user_sgpr_dispatch_id 0
		.amdhsa_user_sgpr_kernarg_preload_length 0
		.amdhsa_user_sgpr_kernarg_preload_offset 0
		.amdhsa_user_sgpr_private_segment_size 0
		.amdhsa_wavefront_size32 1
		.amdhsa_uses_dynamic_stack 0
		.amdhsa_enable_private_segment 0
		.amdhsa_system_sgpr_workgroup_id_x 1
		.amdhsa_system_sgpr_workgroup_id_y 0
		.amdhsa_system_sgpr_workgroup_id_z 0
		.amdhsa_system_sgpr_workgroup_info 0
		.amdhsa_system_vgpr_workitem_id 0
		.amdhsa_next_free_vgpr 1
		.amdhsa_next_free_sgpr 1
		.amdhsa_named_barrier_count 0
		.amdhsa_reserve_vcc 0
		.amdhsa_float_round_mode_32 0
		.amdhsa_float_round_mode_16_64 0
		.amdhsa_float_denorm_mode_32 3
		.amdhsa_float_denorm_mode_16_64 3
		.amdhsa_fp16_overflow 0
		.amdhsa_memory_ordered 1
		.amdhsa_forward_progress 1
		.amdhsa_inst_pref_size 0
		.amdhsa_round_robin_scheduling 0
		.amdhsa_exception_fp_ieee_invalid_op 0
		.amdhsa_exception_fp_denorm_src 0
		.amdhsa_exception_fp_ieee_div_zero 0
		.amdhsa_exception_fp_ieee_overflow 0
		.amdhsa_exception_fp_ieee_underflow 0
		.amdhsa_exception_fp_ieee_inexact 0
		.amdhsa_exception_int_div_zero 0
	.end_amdhsa_kernel
	.section	.text._ZN7rocprim17ROCPRIM_400000_NS6detail17trampoline_kernelINS0_14default_configENS1_27scan_by_key_config_selectorIiiEEZZNS1_16scan_by_key_implILNS1_25lookback_scan_determinismE0ELb1ES3_N6thrust23THRUST_200600_302600_NS6detail15normal_iteratorINS9_10device_ptrIiEEEESE_SE_iNS9_4plusIvEENS9_8equal_toIiEEiEE10hipError_tPvRmT2_T3_T4_T5_mT6_T7_P12ihipStream_tbENKUlT_T0_E_clISt17integral_constantIbLb0EESY_IbLb1EEEEDaSU_SV_EUlSU_E_NS1_11comp_targetILNS1_3genE10ELNS1_11target_archE1200ELNS1_3gpuE4ELNS1_3repE0EEENS1_30default_config_static_selectorELNS0_4arch9wavefront6targetE0EEEvT1_,"axG",@progbits,_ZN7rocprim17ROCPRIM_400000_NS6detail17trampoline_kernelINS0_14default_configENS1_27scan_by_key_config_selectorIiiEEZZNS1_16scan_by_key_implILNS1_25lookback_scan_determinismE0ELb1ES3_N6thrust23THRUST_200600_302600_NS6detail15normal_iteratorINS9_10device_ptrIiEEEESE_SE_iNS9_4plusIvEENS9_8equal_toIiEEiEE10hipError_tPvRmT2_T3_T4_T5_mT6_T7_P12ihipStream_tbENKUlT_T0_E_clISt17integral_constantIbLb0EESY_IbLb1EEEEDaSU_SV_EUlSU_E_NS1_11comp_targetILNS1_3genE10ELNS1_11target_archE1200ELNS1_3gpuE4ELNS1_3repE0EEENS1_30default_config_static_selectorELNS0_4arch9wavefront6targetE0EEEvT1_,comdat
.Lfunc_end566:
	.size	_ZN7rocprim17ROCPRIM_400000_NS6detail17trampoline_kernelINS0_14default_configENS1_27scan_by_key_config_selectorIiiEEZZNS1_16scan_by_key_implILNS1_25lookback_scan_determinismE0ELb1ES3_N6thrust23THRUST_200600_302600_NS6detail15normal_iteratorINS9_10device_ptrIiEEEESE_SE_iNS9_4plusIvEENS9_8equal_toIiEEiEE10hipError_tPvRmT2_T3_T4_T5_mT6_T7_P12ihipStream_tbENKUlT_T0_E_clISt17integral_constantIbLb0EESY_IbLb1EEEEDaSU_SV_EUlSU_E_NS1_11comp_targetILNS1_3genE10ELNS1_11target_archE1200ELNS1_3gpuE4ELNS1_3repE0EEENS1_30default_config_static_selectorELNS0_4arch9wavefront6targetE0EEEvT1_, .Lfunc_end566-_ZN7rocprim17ROCPRIM_400000_NS6detail17trampoline_kernelINS0_14default_configENS1_27scan_by_key_config_selectorIiiEEZZNS1_16scan_by_key_implILNS1_25lookback_scan_determinismE0ELb1ES3_N6thrust23THRUST_200600_302600_NS6detail15normal_iteratorINS9_10device_ptrIiEEEESE_SE_iNS9_4plusIvEENS9_8equal_toIiEEiEE10hipError_tPvRmT2_T3_T4_T5_mT6_T7_P12ihipStream_tbENKUlT_T0_E_clISt17integral_constantIbLb0EESY_IbLb1EEEEDaSU_SV_EUlSU_E_NS1_11comp_targetILNS1_3genE10ELNS1_11target_archE1200ELNS1_3gpuE4ELNS1_3repE0EEENS1_30default_config_static_selectorELNS0_4arch9wavefront6targetE0EEEvT1_
                                        ; -- End function
	.set _ZN7rocprim17ROCPRIM_400000_NS6detail17trampoline_kernelINS0_14default_configENS1_27scan_by_key_config_selectorIiiEEZZNS1_16scan_by_key_implILNS1_25lookback_scan_determinismE0ELb1ES3_N6thrust23THRUST_200600_302600_NS6detail15normal_iteratorINS9_10device_ptrIiEEEESE_SE_iNS9_4plusIvEENS9_8equal_toIiEEiEE10hipError_tPvRmT2_T3_T4_T5_mT6_T7_P12ihipStream_tbENKUlT_T0_E_clISt17integral_constantIbLb0EESY_IbLb1EEEEDaSU_SV_EUlSU_E_NS1_11comp_targetILNS1_3genE10ELNS1_11target_archE1200ELNS1_3gpuE4ELNS1_3repE0EEENS1_30default_config_static_selectorELNS0_4arch9wavefront6targetE0EEEvT1_.num_vgpr, 0
	.set _ZN7rocprim17ROCPRIM_400000_NS6detail17trampoline_kernelINS0_14default_configENS1_27scan_by_key_config_selectorIiiEEZZNS1_16scan_by_key_implILNS1_25lookback_scan_determinismE0ELb1ES3_N6thrust23THRUST_200600_302600_NS6detail15normal_iteratorINS9_10device_ptrIiEEEESE_SE_iNS9_4plusIvEENS9_8equal_toIiEEiEE10hipError_tPvRmT2_T3_T4_T5_mT6_T7_P12ihipStream_tbENKUlT_T0_E_clISt17integral_constantIbLb0EESY_IbLb1EEEEDaSU_SV_EUlSU_E_NS1_11comp_targetILNS1_3genE10ELNS1_11target_archE1200ELNS1_3gpuE4ELNS1_3repE0EEENS1_30default_config_static_selectorELNS0_4arch9wavefront6targetE0EEEvT1_.num_agpr, 0
	.set _ZN7rocprim17ROCPRIM_400000_NS6detail17trampoline_kernelINS0_14default_configENS1_27scan_by_key_config_selectorIiiEEZZNS1_16scan_by_key_implILNS1_25lookback_scan_determinismE0ELb1ES3_N6thrust23THRUST_200600_302600_NS6detail15normal_iteratorINS9_10device_ptrIiEEEESE_SE_iNS9_4plusIvEENS9_8equal_toIiEEiEE10hipError_tPvRmT2_T3_T4_T5_mT6_T7_P12ihipStream_tbENKUlT_T0_E_clISt17integral_constantIbLb0EESY_IbLb1EEEEDaSU_SV_EUlSU_E_NS1_11comp_targetILNS1_3genE10ELNS1_11target_archE1200ELNS1_3gpuE4ELNS1_3repE0EEENS1_30default_config_static_selectorELNS0_4arch9wavefront6targetE0EEEvT1_.numbered_sgpr, 0
	.set _ZN7rocprim17ROCPRIM_400000_NS6detail17trampoline_kernelINS0_14default_configENS1_27scan_by_key_config_selectorIiiEEZZNS1_16scan_by_key_implILNS1_25lookback_scan_determinismE0ELb1ES3_N6thrust23THRUST_200600_302600_NS6detail15normal_iteratorINS9_10device_ptrIiEEEESE_SE_iNS9_4plusIvEENS9_8equal_toIiEEiEE10hipError_tPvRmT2_T3_T4_T5_mT6_T7_P12ihipStream_tbENKUlT_T0_E_clISt17integral_constantIbLb0EESY_IbLb1EEEEDaSU_SV_EUlSU_E_NS1_11comp_targetILNS1_3genE10ELNS1_11target_archE1200ELNS1_3gpuE4ELNS1_3repE0EEENS1_30default_config_static_selectorELNS0_4arch9wavefront6targetE0EEEvT1_.num_named_barrier, 0
	.set _ZN7rocprim17ROCPRIM_400000_NS6detail17trampoline_kernelINS0_14default_configENS1_27scan_by_key_config_selectorIiiEEZZNS1_16scan_by_key_implILNS1_25lookback_scan_determinismE0ELb1ES3_N6thrust23THRUST_200600_302600_NS6detail15normal_iteratorINS9_10device_ptrIiEEEESE_SE_iNS9_4plusIvEENS9_8equal_toIiEEiEE10hipError_tPvRmT2_T3_T4_T5_mT6_T7_P12ihipStream_tbENKUlT_T0_E_clISt17integral_constantIbLb0EESY_IbLb1EEEEDaSU_SV_EUlSU_E_NS1_11comp_targetILNS1_3genE10ELNS1_11target_archE1200ELNS1_3gpuE4ELNS1_3repE0EEENS1_30default_config_static_selectorELNS0_4arch9wavefront6targetE0EEEvT1_.private_seg_size, 0
	.set _ZN7rocprim17ROCPRIM_400000_NS6detail17trampoline_kernelINS0_14default_configENS1_27scan_by_key_config_selectorIiiEEZZNS1_16scan_by_key_implILNS1_25lookback_scan_determinismE0ELb1ES3_N6thrust23THRUST_200600_302600_NS6detail15normal_iteratorINS9_10device_ptrIiEEEESE_SE_iNS9_4plusIvEENS9_8equal_toIiEEiEE10hipError_tPvRmT2_T3_T4_T5_mT6_T7_P12ihipStream_tbENKUlT_T0_E_clISt17integral_constantIbLb0EESY_IbLb1EEEEDaSU_SV_EUlSU_E_NS1_11comp_targetILNS1_3genE10ELNS1_11target_archE1200ELNS1_3gpuE4ELNS1_3repE0EEENS1_30default_config_static_selectorELNS0_4arch9wavefront6targetE0EEEvT1_.uses_vcc, 0
	.set _ZN7rocprim17ROCPRIM_400000_NS6detail17trampoline_kernelINS0_14default_configENS1_27scan_by_key_config_selectorIiiEEZZNS1_16scan_by_key_implILNS1_25lookback_scan_determinismE0ELb1ES3_N6thrust23THRUST_200600_302600_NS6detail15normal_iteratorINS9_10device_ptrIiEEEESE_SE_iNS9_4plusIvEENS9_8equal_toIiEEiEE10hipError_tPvRmT2_T3_T4_T5_mT6_T7_P12ihipStream_tbENKUlT_T0_E_clISt17integral_constantIbLb0EESY_IbLb1EEEEDaSU_SV_EUlSU_E_NS1_11comp_targetILNS1_3genE10ELNS1_11target_archE1200ELNS1_3gpuE4ELNS1_3repE0EEENS1_30default_config_static_selectorELNS0_4arch9wavefront6targetE0EEEvT1_.uses_flat_scratch, 0
	.set _ZN7rocprim17ROCPRIM_400000_NS6detail17trampoline_kernelINS0_14default_configENS1_27scan_by_key_config_selectorIiiEEZZNS1_16scan_by_key_implILNS1_25lookback_scan_determinismE0ELb1ES3_N6thrust23THRUST_200600_302600_NS6detail15normal_iteratorINS9_10device_ptrIiEEEESE_SE_iNS9_4plusIvEENS9_8equal_toIiEEiEE10hipError_tPvRmT2_T3_T4_T5_mT6_T7_P12ihipStream_tbENKUlT_T0_E_clISt17integral_constantIbLb0EESY_IbLb1EEEEDaSU_SV_EUlSU_E_NS1_11comp_targetILNS1_3genE10ELNS1_11target_archE1200ELNS1_3gpuE4ELNS1_3repE0EEENS1_30default_config_static_selectorELNS0_4arch9wavefront6targetE0EEEvT1_.has_dyn_sized_stack, 0
	.set _ZN7rocprim17ROCPRIM_400000_NS6detail17trampoline_kernelINS0_14default_configENS1_27scan_by_key_config_selectorIiiEEZZNS1_16scan_by_key_implILNS1_25lookback_scan_determinismE0ELb1ES3_N6thrust23THRUST_200600_302600_NS6detail15normal_iteratorINS9_10device_ptrIiEEEESE_SE_iNS9_4plusIvEENS9_8equal_toIiEEiEE10hipError_tPvRmT2_T3_T4_T5_mT6_T7_P12ihipStream_tbENKUlT_T0_E_clISt17integral_constantIbLb0EESY_IbLb1EEEEDaSU_SV_EUlSU_E_NS1_11comp_targetILNS1_3genE10ELNS1_11target_archE1200ELNS1_3gpuE4ELNS1_3repE0EEENS1_30default_config_static_selectorELNS0_4arch9wavefront6targetE0EEEvT1_.has_recursion, 0
	.set _ZN7rocprim17ROCPRIM_400000_NS6detail17trampoline_kernelINS0_14default_configENS1_27scan_by_key_config_selectorIiiEEZZNS1_16scan_by_key_implILNS1_25lookback_scan_determinismE0ELb1ES3_N6thrust23THRUST_200600_302600_NS6detail15normal_iteratorINS9_10device_ptrIiEEEESE_SE_iNS9_4plusIvEENS9_8equal_toIiEEiEE10hipError_tPvRmT2_T3_T4_T5_mT6_T7_P12ihipStream_tbENKUlT_T0_E_clISt17integral_constantIbLb0EESY_IbLb1EEEEDaSU_SV_EUlSU_E_NS1_11comp_targetILNS1_3genE10ELNS1_11target_archE1200ELNS1_3gpuE4ELNS1_3repE0EEENS1_30default_config_static_selectorELNS0_4arch9wavefront6targetE0EEEvT1_.has_indirect_call, 0
	.section	.AMDGPU.csdata,"",@progbits
; Kernel info:
; codeLenInByte = 0
; TotalNumSgprs: 0
; NumVgprs: 0
; ScratchSize: 0
; MemoryBound: 0
; FloatMode: 240
; IeeeMode: 1
; LDSByteSize: 0 bytes/workgroup (compile time only)
; SGPRBlocks: 0
; VGPRBlocks: 0
; NumSGPRsForWavesPerEU: 1
; NumVGPRsForWavesPerEU: 1
; NamedBarCnt: 0
; Occupancy: 16
; WaveLimiterHint : 0
; COMPUTE_PGM_RSRC2:SCRATCH_EN: 0
; COMPUTE_PGM_RSRC2:USER_SGPR: 2
; COMPUTE_PGM_RSRC2:TRAP_HANDLER: 0
; COMPUTE_PGM_RSRC2:TGID_X_EN: 1
; COMPUTE_PGM_RSRC2:TGID_Y_EN: 0
; COMPUTE_PGM_RSRC2:TGID_Z_EN: 0
; COMPUTE_PGM_RSRC2:TIDIG_COMP_CNT: 0
	.section	.text._ZN7rocprim17ROCPRIM_400000_NS6detail17trampoline_kernelINS0_14default_configENS1_27scan_by_key_config_selectorIiiEEZZNS1_16scan_by_key_implILNS1_25lookback_scan_determinismE0ELb1ES3_N6thrust23THRUST_200600_302600_NS6detail15normal_iteratorINS9_10device_ptrIiEEEESE_SE_iNS9_4plusIvEENS9_8equal_toIiEEiEE10hipError_tPvRmT2_T3_T4_T5_mT6_T7_P12ihipStream_tbENKUlT_T0_E_clISt17integral_constantIbLb0EESY_IbLb1EEEEDaSU_SV_EUlSU_E_NS1_11comp_targetILNS1_3genE9ELNS1_11target_archE1100ELNS1_3gpuE3ELNS1_3repE0EEENS1_30default_config_static_selectorELNS0_4arch9wavefront6targetE0EEEvT1_,"axG",@progbits,_ZN7rocprim17ROCPRIM_400000_NS6detail17trampoline_kernelINS0_14default_configENS1_27scan_by_key_config_selectorIiiEEZZNS1_16scan_by_key_implILNS1_25lookback_scan_determinismE0ELb1ES3_N6thrust23THRUST_200600_302600_NS6detail15normal_iteratorINS9_10device_ptrIiEEEESE_SE_iNS9_4plusIvEENS9_8equal_toIiEEiEE10hipError_tPvRmT2_T3_T4_T5_mT6_T7_P12ihipStream_tbENKUlT_T0_E_clISt17integral_constantIbLb0EESY_IbLb1EEEEDaSU_SV_EUlSU_E_NS1_11comp_targetILNS1_3genE9ELNS1_11target_archE1100ELNS1_3gpuE3ELNS1_3repE0EEENS1_30default_config_static_selectorELNS0_4arch9wavefront6targetE0EEEvT1_,comdat
	.protected	_ZN7rocprim17ROCPRIM_400000_NS6detail17trampoline_kernelINS0_14default_configENS1_27scan_by_key_config_selectorIiiEEZZNS1_16scan_by_key_implILNS1_25lookback_scan_determinismE0ELb1ES3_N6thrust23THRUST_200600_302600_NS6detail15normal_iteratorINS9_10device_ptrIiEEEESE_SE_iNS9_4plusIvEENS9_8equal_toIiEEiEE10hipError_tPvRmT2_T3_T4_T5_mT6_T7_P12ihipStream_tbENKUlT_T0_E_clISt17integral_constantIbLb0EESY_IbLb1EEEEDaSU_SV_EUlSU_E_NS1_11comp_targetILNS1_3genE9ELNS1_11target_archE1100ELNS1_3gpuE3ELNS1_3repE0EEENS1_30default_config_static_selectorELNS0_4arch9wavefront6targetE0EEEvT1_ ; -- Begin function _ZN7rocprim17ROCPRIM_400000_NS6detail17trampoline_kernelINS0_14default_configENS1_27scan_by_key_config_selectorIiiEEZZNS1_16scan_by_key_implILNS1_25lookback_scan_determinismE0ELb1ES3_N6thrust23THRUST_200600_302600_NS6detail15normal_iteratorINS9_10device_ptrIiEEEESE_SE_iNS9_4plusIvEENS9_8equal_toIiEEiEE10hipError_tPvRmT2_T3_T4_T5_mT6_T7_P12ihipStream_tbENKUlT_T0_E_clISt17integral_constantIbLb0EESY_IbLb1EEEEDaSU_SV_EUlSU_E_NS1_11comp_targetILNS1_3genE9ELNS1_11target_archE1100ELNS1_3gpuE3ELNS1_3repE0EEENS1_30default_config_static_selectorELNS0_4arch9wavefront6targetE0EEEvT1_
	.globl	_ZN7rocprim17ROCPRIM_400000_NS6detail17trampoline_kernelINS0_14default_configENS1_27scan_by_key_config_selectorIiiEEZZNS1_16scan_by_key_implILNS1_25lookback_scan_determinismE0ELb1ES3_N6thrust23THRUST_200600_302600_NS6detail15normal_iteratorINS9_10device_ptrIiEEEESE_SE_iNS9_4plusIvEENS9_8equal_toIiEEiEE10hipError_tPvRmT2_T3_T4_T5_mT6_T7_P12ihipStream_tbENKUlT_T0_E_clISt17integral_constantIbLb0EESY_IbLb1EEEEDaSU_SV_EUlSU_E_NS1_11comp_targetILNS1_3genE9ELNS1_11target_archE1100ELNS1_3gpuE3ELNS1_3repE0EEENS1_30default_config_static_selectorELNS0_4arch9wavefront6targetE0EEEvT1_
	.p2align	8
	.type	_ZN7rocprim17ROCPRIM_400000_NS6detail17trampoline_kernelINS0_14default_configENS1_27scan_by_key_config_selectorIiiEEZZNS1_16scan_by_key_implILNS1_25lookback_scan_determinismE0ELb1ES3_N6thrust23THRUST_200600_302600_NS6detail15normal_iteratorINS9_10device_ptrIiEEEESE_SE_iNS9_4plusIvEENS9_8equal_toIiEEiEE10hipError_tPvRmT2_T3_T4_T5_mT6_T7_P12ihipStream_tbENKUlT_T0_E_clISt17integral_constantIbLb0EESY_IbLb1EEEEDaSU_SV_EUlSU_E_NS1_11comp_targetILNS1_3genE9ELNS1_11target_archE1100ELNS1_3gpuE3ELNS1_3repE0EEENS1_30default_config_static_selectorELNS0_4arch9wavefront6targetE0EEEvT1_,@function
_ZN7rocprim17ROCPRIM_400000_NS6detail17trampoline_kernelINS0_14default_configENS1_27scan_by_key_config_selectorIiiEEZZNS1_16scan_by_key_implILNS1_25lookback_scan_determinismE0ELb1ES3_N6thrust23THRUST_200600_302600_NS6detail15normal_iteratorINS9_10device_ptrIiEEEESE_SE_iNS9_4plusIvEENS9_8equal_toIiEEiEE10hipError_tPvRmT2_T3_T4_T5_mT6_T7_P12ihipStream_tbENKUlT_T0_E_clISt17integral_constantIbLb0EESY_IbLb1EEEEDaSU_SV_EUlSU_E_NS1_11comp_targetILNS1_3genE9ELNS1_11target_archE1100ELNS1_3gpuE3ELNS1_3repE0EEENS1_30default_config_static_selectorELNS0_4arch9wavefront6targetE0EEEvT1_: ; @_ZN7rocprim17ROCPRIM_400000_NS6detail17trampoline_kernelINS0_14default_configENS1_27scan_by_key_config_selectorIiiEEZZNS1_16scan_by_key_implILNS1_25lookback_scan_determinismE0ELb1ES3_N6thrust23THRUST_200600_302600_NS6detail15normal_iteratorINS9_10device_ptrIiEEEESE_SE_iNS9_4plusIvEENS9_8equal_toIiEEiEE10hipError_tPvRmT2_T3_T4_T5_mT6_T7_P12ihipStream_tbENKUlT_T0_E_clISt17integral_constantIbLb0EESY_IbLb1EEEEDaSU_SV_EUlSU_E_NS1_11comp_targetILNS1_3genE9ELNS1_11target_archE1100ELNS1_3gpuE3ELNS1_3repE0EEENS1_30default_config_static_selectorELNS0_4arch9wavefront6targetE0EEEvT1_
; %bb.0:
	.section	.rodata,"a",@progbits
	.p2align	6, 0x0
	.amdhsa_kernel _ZN7rocprim17ROCPRIM_400000_NS6detail17trampoline_kernelINS0_14default_configENS1_27scan_by_key_config_selectorIiiEEZZNS1_16scan_by_key_implILNS1_25lookback_scan_determinismE0ELb1ES3_N6thrust23THRUST_200600_302600_NS6detail15normal_iteratorINS9_10device_ptrIiEEEESE_SE_iNS9_4plusIvEENS9_8equal_toIiEEiEE10hipError_tPvRmT2_T3_T4_T5_mT6_T7_P12ihipStream_tbENKUlT_T0_E_clISt17integral_constantIbLb0EESY_IbLb1EEEEDaSU_SV_EUlSU_E_NS1_11comp_targetILNS1_3genE9ELNS1_11target_archE1100ELNS1_3gpuE3ELNS1_3repE0EEENS1_30default_config_static_selectorELNS0_4arch9wavefront6targetE0EEEvT1_
		.amdhsa_group_segment_fixed_size 0
		.amdhsa_private_segment_fixed_size 0
		.amdhsa_kernarg_size 112
		.amdhsa_user_sgpr_count 2
		.amdhsa_user_sgpr_dispatch_ptr 0
		.amdhsa_user_sgpr_queue_ptr 0
		.amdhsa_user_sgpr_kernarg_segment_ptr 1
		.amdhsa_user_sgpr_dispatch_id 0
		.amdhsa_user_sgpr_kernarg_preload_length 0
		.amdhsa_user_sgpr_kernarg_preload_offset 0
		.amdhsa_user_sgpr_private_segment_size 0
		.amdhsa_wavefront_size32 1
		.amdhsa_uses_dynamic_stack 0
		.amdhsa_enable_private_segment 0
		.amdhsa_system_sgpr_workgroup_id_x 1
		.amdhsa_system_sgpr_workgroup_id_y 0
		.amdhsa_system_sgpr_workgroup_id_z 0
		.amdhsa_system_sgpr_workgroup_info 0
		.amdhsa_system_vgpr_workitem_id 0
		.amdhsa_next_free_vgpr 1
		.amdhsa_next_free_sgpr 1
		.amdhsa_named_barrier_count 0
		.amdhsa_reserve_vcc 0
		.amdhsa_float_round_mode_32 0
		.amdhsa_float_round_mode_16_64 0
		.amdhsa_float_denorm_mode_32 3
		.amdhsa_float_denorm_mode_16_64 3
		.amdhsa_fp16_overflow 0
		.amdhsa_memory_ordered 1
		.amdhsa_forward_progress 1
		.amdhsa_inst_pref_size 0
		.amdhsa_round_robin_scheduling 0
		.amdhsa_exception_fp_ieee_invalid_op 0
		.amdhsa_exception_fp_denorm_src 0
		.amdhsa_exception_fp_ieee_div_zero 0
		.amdhsa_exception_fp_ieee_overflow 0
		.amdhsa_exception_fp_ieee_underflow 0
		.amdhsa_exception_fp_ieee_inexact 0
		.amdhsa_exception_int_div_zero 0
	.end_amdhsa_kernel
	.section	.text._ZN7rocprim17ROCPRIM_400000_NS6detail17trampoline_kernelINS0_14default_configENS1_27scan_by_key_config_selectorIiiEEZZNS1_16scan_by_key_implILNS1_25lookback_scan_determinismE0ELb1ES3_N6thrust23THRUST_200600_302600_NS6detail15normal_iteratorINS9_10device_ptrIiEEEESE_SE_iNS9_4plusIvEENS9_8equal_toIiEEiEE10hipError_tPvRmT2_T3_T4_T5_mT6_T7_P12ihipStream_tbENKUlT_T0_E_clISt17integral_constantIbLb0EESY_IbLb1EEEEDaSU_SV_EUlSU_E_NS1_11comp_targetILNS1_3genE9ELNS1_11target_archE1100ELNS1_3gpuE3ELNS1_3repE0EEENS1_30default_config_static_selectorELNS0_4arch9wavefront6targetE0EEEvT1_,"axG",@progbits,_ZN7rocprim17ROCPRIM_400000_NS6detail17trampoline_kernelINS0_14default_configENS1_27scan_by_key_config_selectorIiiEEZZNS1_16scan_by_key_implILNS1_25lookback_scan_determinismE0ELb1ES3_N6thrust23THRUST_200600_302600_NS6detail15normal_iteratorINS9_10device_ptrIiEEEESE_SE_iNS9_4plusIvEENS9_8equal_toIiEEiEE10hipError_tPvRmT2_T3_T4_T5_mT6_T7_P12ihipStream_tbENKUlT_T0_E_clISt17integral_constantIbLb0EESY_IbLb1EEEEDaSU_SV_EUlSU_E_NS1_11comp_targetILNS1_3genE9ELNS1_11target_archE1100ELNS1_3gpuE3ELNS1_3repE0EEENS1_30default_config_static_selectorELNS0_4arch9wavefront6targetE0EEEvT1_,comdat
.Lfunc_end567:
	.size	_ZN7rocprim17ROCPRIM_400000_NS6detail17trampoline_kernelINS0_14default_configENS1_27scan_by_key_config_selectorIiiEEZZNS1_16scan_by_key_implILNS1_25lookback_scan_determinismE0ELb1ES3_N6thrust23THRUST_200600_302600_NS6detail15normal_iteratorINS9_10device_ptrIiEEEESE_SE_iNS9_4plusIvEENS9_8equal_toIiEEiEE10hipError_tPvRmT2_T3_T4_T5_mT6_T7_P12ihipStream_tbENKUlT_T0_E_clISt17integral_constantIbLb0EESY_IbLb1EEEEDaSU_SV_EUlSU_E_NS1_11comp_targetILNS1_3genE9ELNS1_11target_archE1100ELNS1_3gpuE3ELNS1_3repE0EEENS1_30default_config_static_selectorELNS0_4arch9wavefront6targetE0EEEvT1_, .Lfunc_end567-_ZN7rocprim17ROCPRIM_400000_NS6detail17trampoline_kernelINS0_14default_configENS1_27scan_by_key_config_selectorIiiEEZZNS1_16scan_by_key_implILNS1_25lookback_scan_determinismE0ELb1ES3_N6thrust23THRUST_200600_302600_NS6detail15normal_iteratorINS9_10device_ptrIiEEEESE_SE_iNS9_4plusIvEENS9_8equal_toIiEEiEE10hipError_tPvRmT2_T3_T4_T5_mT6_T7_P12ihipStream_tbENKUlT_T0_E_clISt17integral_constantIbLb0EESY_IbLb1EEEEDaSU_SV_EUlSU_E_NS1_11comp_targetILNS1_3genE9ELNS1_11target_archE1100ELNS1_3gpuE3ELNS1_3repE0EEENS1_30default_config_static_selectorELNS0_4arch9wavefront6targetE0EEEvT1_
                                        ; -- End function
	.set _ZN7rocprim17ROCPRIM_400000_NS6detail17trampoline_kernelINS0_14default_configENS1_27scan_by_key_config_selectorIiiEEZZNS1_16scan_by_key_implILNS1_25lookback_scan_determinismE0ELb1ES3_N6thrust23THRUST_200600_302600_NS6detail15normal_iteratorINS9_10device_ptrIiEEEESE_SE_iNS9_4plusIvEENS9_8equal_toIiEEiEE10hipError_tPvRmT2_T3_T4_T5_mT6_T7_P12ihipStream_tbENKUlT_T0_E_clISt17integral_constantIbLb0EESY_IbLb1EEEEDaSU_SV_EUlSU_E_NS1_11comp_targetILNS1_3genE9ELNS1_11target_archE1100ELNS1_3gpuE3ELNS1_3repE0EEENS1_30default_config_static_selectorELNS0_4arch9wavefront6targetE0EEEvT1_.num_vgpr, 0
	.set _ZN7rocprim17ROCPRIM_400000_NS6detail17trampoline_kernelINS0_14default_configENS1_27scan_by_key_config_selectorIiiEEZZNS1_16scan_by_key_implILNS1_25lookback_scan_determinismE0ELb1ES3_N6thrust23THRUST_200600_302600_NS6detail15normal_iteratorINS9_10device_ptrIiEEEESE_SE_iNS9_4plusIvEENS9_8equal_toIiEEiEE10hipError_tPvRmT2_T3_T4_T5_mT6_T7_P12ihipStream_tbENKUlT_T0_E_clISt17integral_constantIbLb0EESY_IbLb1EEEEDaSU_SV_EUlSU_E_NS1_11comp_targetILNS1_3genE9ELNS1_11target_archE1100ELNS1_3gpuE3ELNS1_3repE0EEENS1_30default_config_static_selectorELNS0_4arch9wavefront6targetE0EEEvT1_.num_agpr, 0
	.set _ZN7rocprim17ROCPRIM_400000_NS6detail17trampoline_kernelINS0_14default_configENS1_27scan_by_key_config_selectorIiiEEZZNS1_16scan_by_key_implILNS1_25lookback_scan_determinismE0ELb1ES3_N6thrust23THRUST_200600_302600_NS6detail15normal_iteratorINS9_10device_ptrIiEEEESE_SE_iNS9_4plusIvEENS9_8equal_toIiEEiEE10hipError_tPvRmT2_T3_T4_T5_mT6_T7_P12ihipStream_tbENKUlT_T0_E_clISt17integral_constantIbLb0EESY_IbLb1EEEEDaSU_SV_EUlSU_E_NS1_11comp_targetILNS1_3genE9ELNS1_11target_archE1100ELNS1_3gpuE3ELNS1_3repE0EEENS1_30default_config_static_selectorELNS0_4arch9wavefront6targetE0EEEvT1_.numbered_sgpr, 0
	.set _ZN7rocprim17ROCPRIM_400000_NS6detail17trampoline_kernelINS0_14default_configENS1_27scan_by_key_config_selectorIiiEEZZNS1_16scan_by_key_implILNS1_25lookback_scan_determinismE0ELb1ES3_N6thrust23THRUST_200600_302600_NS6detail15normal_iteratorINS9_10device_ptrIiEEEESE_SE_iNS9_4plusIvEENS9_8equal_toIiEEiEE10hipError_tPvRmT2_T3_T4_T5_mT6_T7_P12ihipStream_tbENKUlT_T0_E_clISt17integral_constantIbLb0EESY_IbLb1EEEEDaSU_SV_EUlSU_E_NS1_11comp_targetILNS1_3genE9ELNS1_11target_archE1100ELNS1_3gpuE3ELNS1_3repE0EEENS1_30default_config_static_selectorELNS0_4arch9wavefront6targetE0EEEvT1_.num_named_barrier, 0
	.set _ZN7rocprim17ROCPRIM_400000_NS6detail17trampoline_kernelINS0_14default_configENS1_27scan_by_key_config_selectorIiiEEZZNS1_16scan_by_key_implILNS1_25lookback_scan_determinismE0ELb1ES3_N6thrust23THRUST_200600_302600_NS6detail15normal_iteratorINS9_10device_ptrIiEEEESE_SE_iNS9_4plusIvEENS9_8equal_toIiEEiEE10hipError_tPvRmT2_T3_T4_T5_mT6_T7_P12ihipStream_tbENKUlT_T0_E_clISt17integral_constantIbLb0EESY_IbLb1EEEEDaSU_SV_EUlSU_E_NS1_11comp_targetILNS1_3genE9ELNS1_11target_archE1100ELNS1_3gpuE3ELNS1_3repE0EEENS1_30default_config_static_selectorELNS0_4arch9wavefront6targetE0EEEvT1_.private_seg_size, 0
	.set _ZN7rocprim17ROCPRIM_400000_NS6detail17trampoline_kernelINS0_14default_configENS1_27scan_by_key_config_selectorIiiEEZZNS1_16scan_by_key_implILNS1_25lookback_scan_determinismE0ELb1ES3_N6thrust23THRUST_200600_302600_NS6detail15normal_iteratorINS9_10device_ptrIiEEEESE_SE_iNS9_4plusIvEENS9_8equal_toIiEEiEE10hipError_tPvRmT2_T3_T4_T5_mT6_T7_P12ihipStream_tbENKUlT_T0_E_clISt17integral_constantIbLb0EESY_IbLb1EEEEDaSU_SV_EUlSU_E_NS1_11comp_targetILNS1_3genE9ELNS1_11target_archE1100ELNS1_3gpuE3ELNS1_3repE0EEENS1_30default_config_static_selectorELNS0_4arch9wavefront6targetE0EEEvT1_.uses_vcc, 0
	.set _ZN7rocprim17ROCPRIM_400000_NS6detail17trampoline_kernelINS0_14default_configENS1_27scan_by_key_config_selectorIiiEEZZNS1_16scan_by_key_implILNS1_25lookback_scan_determinismE0ELb1ES3_N6thrust23THRUST_200600_302600_NS6detail15normal_iteratorINS9_10device_ptrIiEEEESE_SE_iNS9_4plusIvEENS9_8equal_toIiEEiEE10hipError_tPvRmT2_T3_T4_T5_mT6_T7_P12ihipStream_tbENKUlT_T0_E_clISt17integral_constantIbLb0EESY_IbLb1EEEEDaSU_SV_EUlSU_E_NS1_11comp_targetILNS1_3genE9ELNS1_11target_archE1100ELNS1_3gpuE3ELNS1_3repE0EEENS1_30default_config_static_selectorELNS0_4arch9wavefront6targetE0EEEvT1_.uses_flat_scratch, 0
	.set _ZN7rocprim17ROCPRIM_400000_NS6detail17trampoline_kernelINS0_14default_configENS1_27scan_by_key_config_selectorIiiEEZZNS1_16scan_by_key_implILNS1_25lookback_scan_determinismE0ELb1ES3_N6thrust23THRUST_200600_302600_NS6detail15normal_iteratorINS9_10device_ptrIiEEEESE_SE_iNS9_4plusIvEENS9_8equal_toIiEEiEE10hipError_tPvRmT2_T3_T4_T5_mT6_T7_P12ihipStream_tbENKUlT_T0_E_clISt17integral_constantIbLb0EESY_IbLb1EEEEDaSU_SV_EUlSU_E_NS1_11comp_targetILNS1_3genE9ELNS1_11target_archE1100ELNS1_3gpuE3ELNS1_3repE0EEENS1_30default_config_static_selectorELNS0_4arch9wavefront6targetE0EEEvT1_.has_dyn_sized_stack, 0
	.set _ZN7rocprim17ROCPRIM_400000_NS6detail17trampoline_kernelINS0_14default_configENS1_27scan_by_key_config_selectorIiiEEZZNS1_16scan_by_key_implILNS1_25lookback_scan_determinismE0ELb1ES3_N6thrust23THRUST_200600_302600_NS6detail15normal_iteratorINS9_10device_ptrIiEEEESE_SE_iNS9_4plusIvEENS9_8equal_toIiEEiEE10hipError_tPvRmT2_T3_T4_T5_mT6_T7_P12ihipStream_tbENKUlT_T0_E_clISt17integral_constantIbLb0EESY_IbLb1EEEEDaSU_SV_EUlSU_E_NS1_11comp_targetILNS1_3genE9ELNS1_11target_archE1100ELNS1_3gpuE3ELNS1_3repE0EEENS1_30default_config_static_selectorELNS0_4arch9wavefront6targetE0EEEvT1_.has_recursion, 0
	.set _ZN7rocprim17ROCPRIM_400000_NS6detail17trampoline_kernelINS0_14default_configENS1_27scan_by_key_config_selectorIiiEEZZNS1_16scan_by_key_implILNS1_25lookback_scan_determinismE0ELb1ES3_N6thrust23THRUST_200600_302600_NS6detail15normal_iteratorINS9_10device_ptrIiEEEESE_SE_iNS9_4plusIvEENS9_8equal_toIiEEiEE10hipError_tPvRmT2_T3_T4_T5_mT6_T7_P12ihipStream_tbENKUlT_T0_E_clISt17integral_constantIbLb0EESY_IbLb1EEEEDaSU_SV_EUlSU_E_NS1_11comp_targetILNS1_3genE9ELNS1_11target_archE1100ELNS1_3gpuE3ELNS1_3repE0EEENS1_30default_config_static_selectorELNS0_4arch9wavefront6targetE0EEEvT1_.has_indirect_call, 0
	.section	.AMDGPU.csdata,"",@progbits
; Kernel info:
; codeLenInByte = 0
; TotalNumSgprs: 0
; NumVgprs: 0
; ScratchSize: 0
; MemoryBound: 0
; FloatMode: 240
; IeeeMode: 1
; LDSByteSize: 0 bytes/workgroup (compile time only)
; SGPRBlocks: 0
; VGPRBlocks: 0
; NumSGPRsForWavesPerEU: 1
; NumVGPRsForWavesPerEU: 1
; NamedBarCnt: 0
; Occupancy: 16
; WaveLimiterHint : 0
; COMPUTE_PGM_RSRC2:SCRATCH_EN: 0
; COMPUTE_PGM_RSRC2:USER_SGPR: 2
; COMPUTE_PGM_RSRC2:TRAP_HANDLER: 0
; COMPUTE_PGM_RSRC2:TGID_X_EN: 1
; COMPUTE_PGM_RSRC2:TGID_Y_EN: 0
; COMPUTE_PGM_RSRC2:TGID_Z_EN: 0
; COMPUTE_PGM_RSRC2:TIDIG_COMP_CNT: 0
	.section	.text._ZN7rocprim17ROCPRIM_400000_NS6detail17trampoline_kernelINS0_14default_configENS1_27scan_by_key_config_selectorIiiEEZZNS1_16scan_by_key_implILNS1_25lookback_scan_determinismE0ELb1ES3_N6thrust23THRUST_200600_302600_NS6detail15normal_iteratorINS9_10device_ptrIiEEEESE_SE_iNS9_4plusIvEENS9_8equal_toIiEEiEE10hipError_tPvRmT2_T3_T4_T5_mT6_T7_P12ihipStream_tbENKUlT_T0_E_clISt17integral_constantIbLb0EESY_IbLb1EEEEDaSU_SV_EUlSU_E_NS1_11comp_targetILNS1_3genE8ELNS1_11target_archE1030ELNS1_3gpuE2ELNS1_3repE0EEENS1_30default_config_static_selectorELNS0_4arch9wavefront6targetE0EEEvT1_,"axG",@progbits,_ZN7rocprim17ROCPRIM_400000_NS6detail17trampoline_kernelINS0_14default_configENS1_27scan_by_key_config_selectorIiiEEZZNS1_16scan_by_key_implILNS1_25lookback_scan_determinismE0ELb1ES3_N6thrust23THRUST_200600_302600_NS6detail15normal_iteratorINS9_10device_ptrIiEEEESE_SE_iNS9_4plusIvEENS9_8equal_toIiEEiEE10hipError_tPvRmT2_T3_T4_T5_mT6_T7_P12ihipStream_tbENKUlT_T0_E_clISt17integral_constantIbLb0EESY_IbLb1EEEEDaSU_SV_EUlSU_E_NS1_11comp_targetILNS1_3genE8ELNS1_11target_archE1030ELNS1_3gpuE2ELNS1_3repE0EEENS1_30default_config_static_selectorELNS0_4arch9wavefront6targetE0EEEvT1_,comdat
	.protected	_ZN7rocprim17ROCPRIM_400000_NS6detail17trampoline_kernelINS0_14default_configENS1_27scan_by_key_config_selectorIiiEEZZNS1_16scan_by_key_implILNS1_25lookback_scan_determinismE0ELb1ES3_N6thrust23THRUST_200600_302600_NS6detail15normal_iteratorINS9_10device_ptrIiEEEESE_SE_iNS9_4plusIvEENS9_8equal_toIiEEiEE10hipError_tPvRmT2_T3_T4_T5_mT6_T7_P12ihipStream_tbENKUlT_T0_E_clISt17integral_constantIbLb0EESY_IbLb1EEEEDaSU_SV_EUlSU_E_NS1_11comp_targetILNS1_3genE8ELNS1_11target_archE1030ELNS1_3gpuE2ELNS1_3repE0EEENS1_30default_config_static_selectorELNS0_4arch9wavefront6targetE0EEEvT1_ ; -- Begin function _ZN7rocprim17ROCPRIM_400000_NS6detail17trampoline_kernelINS0_14default_configENS1_27scan_by_key_config_selectorIiiEEZZNS1_16scan_by_key_implILNS1_25lookback_scan_determinismE0ELb1ES3_N6thrust23THRUST_200600_302600_NS6detail15normal_iteratorINS9_10device_ptrIiEEEESE_SE_iNS9_4plusIvEENS9_8equal_toIiEEiEE10hipError_tPvRmT2_T3_T4_T5_mT6_T7_P12ihipStream_tbENKUlT_T0_E_clISt17integral_constantIbLb0EESY_IbLb1EEEEDaSU_SV_EUlSU_E_NS1_11comp_targetILNS1_3genE8ELNS1_11target_archE1030ELNS1_3gpuE2ELNS1_3repE0EEENS1_30default_config_static_selectorELNS0_4arch9wavefront6targetE0EEEvT1_
	.globl	_ZN7rocprim17ROCPRIM_400000_NS6detail17trampoline_kernelINS0_14default_configENS1_27scan_by_key_config_selectorIiiEEZZNS1_16scan_by_key_implILNS1_25lookback_scan_determinismE0ELb1ES3_N6thrust23THRUST_200600_302600_NS6detail15normal_iteratorINS9_10device_ptrIiEEEESE_SE_iNS9_4plusIvEENS9_8equal_toIiEEiEE10hipError_tPvRmT2_T3_T4_T5_mT6_T7_P12ihipStream_tbENKUlT_T0_E_clISt17integral_constantIbLb0EESY_IbLb1EEEEDaSU_SV_EUlSU_E_NS1_11comp_targetILNS1_3genE8ELNS1_11target_archE1030ELNS1_3gpuE2ELNS1_3repE0EEENS1_30default_config_static_selectorELNS0_4arch9wavefront6targetE0EEEvT1_
	.p2align	8
	.type	_ZN7rocprim17ROCPRIM_400000_NS6detail17trampoline_kernelINS0_14default_configENS1_27scan_by_key_config_selectorIiiEEZZNS1_16scan_by_key_implILNS1_25lookback_scan_determinismE0ELb1ES3_N6thrust23THRUST_200600_302600_NS6detail15normal_iteratorINS9_10device_ptrIiEEEESE_SE_iNS9_4plusIvEENS9_8equal_toIiEEiEE10hipError_tPvRmT2_T3_T4_T5_mT6_T7_P12ihipStream_tbENKUlT_T0_E_clISt17integral_constantIbLb0EESY_IbLb1EEEEDaSU_SV_EUlSU_E_NS1_11comp_targetILNS1_3genE8ELNS1_11target_archE1030ELNS1_3gpuE2ELNS1_3repE0EEENS1_30default_config_static_selectorELNS0_4arch9wavefront6targetE0EEEvT1_,@function
_ZN7rocprim17ROCPRIM_400000_NS6detail17trampoline_kernelINS0_14default_configENS1_27scan_by_key_config_selectorIiiEEZZNS1_16scan_by_key_implILNS1_25lookback_scan_determinismE0ELb1ES3_N6thrust23THRUST_200600_302600_NS6detail15normal_iteratorINS9_10device_ptrIiEEEESE_SE_iNS9_4plusIvEENS9_8equal_toIiEEiEE10hipError_tPvRmT2_T3_T4_T5_mT6_T7_P12ihipStream_tbENKUlT_T0_E_clISt17integral_constantIbLb0EESY_IbLb1EEEEDaSU_SV_EUlSU_E_NS1_11comp_targetILNS1_3genE8ELNS1_11target_archE1030ELNS1_3gpuE2ELNS1_3repE0EEENS1_30default_config_static_selectorELNS0_4arch9wavefront6targetE0EEEvT1_: ; @_ZN7rocprim17ROCPRIM_400000_NS6detail17trampoline_kernelINS0_14default_configENS1_27scan_by_key_config_selectorIiiEEZZNS1_16scan_by_key_implILNS1_25lookback_scan_determinismE0ELb1ES3_N6thrust23THRUST_200600_302600_NS6detail15normal_iteratorINS9_10device_ptrIiEEEESE_SE_iNS9_4plusIvEENS9_8equal_toIiEEiEE10hipError_tPvRmT2_T3_T4_T5_mT6_T7_P12ihipStream_tbENKUlT_T0_E_clISt17integral_constantIbLb0EESY_IbLb1EEEEDaSU_SV_EUlSU_E_NS1_11comp_targetILNS1_3genE8ELNS1_11target_archE1030ELNS1_3gpuE2ELNS1_3repE0EEENS1_30default_config_static_selectorELNS0_4arch9wavefront6targetE0EEEvT1_
; %bb.0:
	.section	.rodata,"a",@progbits
	.p2align	6, 0x0
	.amdhsa_kernel _ZN7rocprim17ROCPRIM_400000_NS6detail17trampoline_kernelINS0_14default_configENS1_27scan_by_key_config_selectorIiiEEZZNS1_16scan_by_key_implILNS1_25lookback_scan_determinismE0ELb1ES3_N6thrust23THRUST_200600_302600_NS6detail15normal_iteratorINS9_10device_ptrIiEEEESE_SE_iNS9_4plusIvEENS9_8equal_toIiEEiEE10hipError_tPvRmT2_T3_T4_T5_mT6_T7_P12ihipStream_tbENKUlT_T0_E_clISt17integral_constantIbLb0EESY_IbLb1EEEEDaSU_SV_EUlSU_E_NS1_11comp_targetILNS1_3genE8ELNS1_11target_archE1030ELNS1_3gpuE2ELNS1_3repE0EEENS1_30default_config_static_selectorELNS0_4arch9wavefront6targetE0EEEvT1_
		.amdhsa_group_segment_fixed_size 0
		.amdhsa_private_segment_fixed_size 0
		.amdhsa_kernarg_size 112
		.amdhsa_user_sgpr_count 2
		.amdhsa_user_sgpr_dispatch_ptr 0
		.amdhsa_user_sgpr_queue_ptr 0
		.amdhsa_user_sgpr_kernarg_segment_ptr 1
		.amdhsa_user_sgpr_dispatch_id 0
		.amdhsa_user_sgpr_kernarg_preload_length 0
		.amdhsa_user_sgpr_kernarg_preload_offset 0
		.amdhsa_user_sgpr_private_segment_size 0
		.amdhsa_wavefront_size32 1
		.amdhsa_uses_dynamic_stack 0
		.amdhsa_enable_private_segment 0
		.amdhsa_system_sgpr_workgroup_id_x 1
		.amdhsa_system_sgpr_workgroup_id_y 0
		.amdhsa_system_sgpr_workgroup_id_z 0
		.amdhsa_system_sgpr_workgroup_info 0
		.amdhsa_system_vgpr_workitem_id 0
		.amdhsa_next_free_vgpr 1
		.amdhsa_next_free_sgpr 1
		.amdhsa_named_barrier_count 0
		.amdhsa_reserve_vcc 0
		.amdhsa_float_round_mode_32 0
		.amdhsa_float_round_mode_16_64 0
		.amdhsa_float_denorm_mode_32 3
		.amdhsa_float_denorm_mode_16_64 3
		.amdhsa_fp16_overflow 0
		.amdhsa_memory_ordered 1
		.amdhsa_forward_progress 1
		.amdhsa_inst_pref_size 0
		.amdhsa_round_robin_scheduling 0
		.amdhsa_exception_fp_ieee_invalid_op 0
		.amdhsa_exception_fp_denorm_src 0
		.amdhsa_exception_fp_ieee_div_zero 0
		.amdhsa_exception_fp_ieee_overflow 0
		.amdhsa_exception_fp_ieee_underflow 0
		.amdhsa_exception_fp_ieee_inexact 0
		.amdhsa_exception_int_div_zero 0
	.end_amdhsa_kernel
	.section	.text._ZN7rocprim17ROCPRIM_400000_NS6detail17trampoline_kernelINS0_14default_configENS1_27scan_by_key_config_selectorIiiEEZZNS1_16scan_by_key_implILNS1_25lookback_scan_determinismE0ELb1ES3_N6thrust23THRUST_200600_302600_NS6detail15normal_iteratorINS9_10device_ptrIiEEEESE_SE_iNS9_4plusIvEENS9_8equal_toIiEEiEE10hipError_tPvRmT2_T3_T4_T5_mT6_T7_P12ihipStream_tbENKUlT_T0_E_clISt17integral_constantIbLb0EESY_IbLb1EEEEDaSU_SV_EUlSU_E_NS1_11comp_targetILNS1_3genE8ELNS1_11target_archE1030ELNS1_3gpuE2ELNS1_3repE0EEENS1_30default_config_static_selectorELNS0_4arch9wavefront6targetE0EEEvT1_,"axG",@progbits,_ZN7rocprim17ROCPRIM_400000_NS6detail17trampoline_kernelINS0_14default_configENS1_27scan_by_key_config_selectorIiiEEZZNS1_16scan_by_key_implILNS1_25lookback_scan_determinismE0ELb1ES3_N6thrust23THRUST_200600_302600_NS6detail15normal_iteratorINS9_10device_ptrIiEEEESE_SE_iNS9_4plusIvEENS9_8equal_toIiEEiEE10hipError_tPvRmT2_T3_T4_T5_mT6_T7_P12ihipStream_tbENKUlT_T0_E_clISt17integral_constantIbLb0EESY_IbLb1EEEEDaSU_SV_EUlSU_E_NS1_11comp_targetILNS1_3genE8ELNS1_11target_archE1030ELNS1_3gpuE2ELNS1_3repE0EEENS1_30default_config_static_selectorELNS0_4arch9wavefront6targetE0EEEvT1_,comdat
.Lfunc_end568:
	.size	_ZN7rocprim17ROCPRIM_400000_NS6detail17trampoline_kernelINS0_14default_configENS1_27scan_by_key_config_selectorIiiEEZZNS1_16scan_by_key_implILNS1_25lookback_scan_determinismE0ELb1ES3_N6thrust23THRUST_200600_302600_NS6detail15normal_iteratorINS9_10device_ptrIiEEEESE_SE_iNS9_4plusIvEENS9_8equal_toIiEEiEE10hipError_tPvRmT2_T3_T4_T5_mT6_T7_P12ihipStream_tbENKUlT_T0_E_clISt17integral_constantIbLb0EESY_IbLb1EEEEDaSU_SV_EUlSU_E_NS1_11comp_targetILNS1_3genE8ELNS1_11target_archE1030ELNS1_3gpuE2ELNS1_3repE0EEENS1_30default_config_static_selectorELNS0_4arch9wavefront6targetE0EEEvT1_, .Lfunc_end568-_ZN7rocprim17ROCPRIM_400000_NS6detail17trampoline_kernelINS0_14default_configENS1_27scan_by_key_config_selectorIiiEEZZNS1_16scan_by_key_implILNS1_25lookback_scan_determinismE0ELb1ES3_N6thrust23THRUST_200600_302600_NS6detail15normal_iteratorINS9_10device_ptrIiEEEESE_SE_iNS9_4plusIvEENS9_8equal_toIiEEiEE10hipError_tPvRmT2_T3_T4_T5_mT6_T7_P12ihipStream_tbENKUlT_T0_E_clISt17integral_constantIbLb0EESY_IbLb1EEEEDaSU_SV_EUlSU_E_NS1_11comp_targetILNS1_3genE8ELNS1_11target_archE1030ELNS1_3gpuE2ELNS1_3repE0EEENS1_30default_config_static_selectorELNS0_4arch9wavefront6targetE0EEEvT1_
                                        ; -- End function
	.set _ZN7rocprim17ROCPRIM_400000_NS6detail17trampoline_kernelINS0_14default_configENS1_27scan_by_key_config_selectorIiiEEZZNS1_16scan_by_key_implILNS1_25lookback_scan_determinismE0ELb1ES3_N6thrust23THRUST_200600_302600_NS6detail15normal_iteratorINS9_10device_ptrIiEEEESE_SE_iNS9_4plusIvEENS9_8equal_toIiEEiEE10hipError_tPvRmT2_T3_T4_T5_mT6_T7_P12ihipStream_tbENKUlT_T0_E_clISt17integral_constantIbLb0EESY_IbLb1EEEEDaSU_SV_EUlSU_E_NS1_11comp_targetILNS1_3genE8ELNS1_11target_archE1030ELNS1_3gpuE2ELNS1_3repE0EEENS1_30default_config_static_selectorELNS0_4arch9wavefront6targetE0EEEvT1_.num_vgpr, 0
	.set _ZN7rocprim17ROCPRIM_400000_NS6detail17trampoline_kernelINS0_14default_configENS1_27scan_by_key_config_selectorIiiEEZZNS1_16scan_by_key_implILNS1_25lookback_scan_determinismE0ELb1ES3_N6thrust23THRUST_200600_302600_NS6detail15normal_iteratorINS9_10device_ptrIiEEEESE_SE_iNS9_4plusIvEENS9_8equal_toIiEEiEE10hipError_tPvRmT2_T3_T4_T5_mT6_T7_P12ihipStream_tbENKUlT_T0_E_clISt17integral_constantIbLb0EESY_IbLb1EEEEDaSU_SV_EUlSU_E_NS1_11comp_targetILNS1_3genE8ELNS1_11target_archE1030ELNS1_3gpuE2ELNS1_3repE0EEENS1_30default_config_static_selectorELNS0_4arch9wavefront6targetE0EEEvT1_.num_agpr, 0
	.set _ZN7rocprim17ROCPRIM_400000_NS6detail17trampoline_kernelINS0_14default_configENS1_27scan_by_key_config_selectorIiiEEZZNS1_16scan_by_key_implILNS1_25lookback_scan_determinismE0ELb1ES3_N6thrust23THRUST_200600_302600_NS6detail15normal_iteratorINS9_10device_ptrIiEEEESE_SE_iNS9_4plusIvEENS9_8equal_toIiEEiEE10hipError_tPvRmT2_T3_T4_T5_mT6_T7_P12ihipStream_tbENKUlT_T0_E_clISt17integral_constantIbLb0EESY_IbLb1EEEEDaSU_SV_EUlSU_E_NS1_11comp_targetILNS1_3genE8ELNS1_11target_archE1030ELNS1_3gpuE2ELNS1_3repE0EEENS1_30default_config_static_selectorELNS0_4arch9wavefront6targetE0EEEvT1_.numbered_sgpr, 0
	.set _ZN7rocprim17ROCPRIM_400000_NS6detail17trampoline_kernelINS0_14default_configENS1_27scan_by_key_config_selectorIiiEEZZNS1_16scan_by_key_implILNS1_25lookback_scan_determinismE0ELb1ES3_N6thrust23THRUST_200600_302600_NS6detail15normal_iteratorINS9_10device_ptrIiEEEESE_SE_iNS9_4plusIvEENS9_8equal_toIiEEiEE10hipError_tPvRmT2_T3_T4_T5_mT6_T7_P12ihipStream_tbENKUlT_T0_E_clISt17integral_constantIbLb0EESY_IbLb1EEEEDaSU_SV_EUlSU_E_NS1_11comp_targetILNS1_3genE8ELNS1_11target_archE1030ELNS1_3gpuE2ELNS1_3repE0EEENS1_30default_config_static_selectorELNS0_4arch9wavefront6targetE0EEEvT1_.num_named_barrier, 0
	.set _ZN7rocprim17ROCPRIM_400000_NS6detail17trampoline_kernelINS0_14default_configENS1_27scan_by_key_config_selectorIiiEEZZNS1_16scan_by_key_implILNS1_25lookback_scan_determinismE0ELb1ES3_N6thrust23THRUST_200600_302600_NS6detail15normal_iteratorINS9_10device_ptrIiEEEESE_SE_iNS9_4plusIvEENS9_8equal_toIiEEiEE10hipError_tPvRmT2_T3_T4_T5_mT6_T7_P12ihipStream_tbENKUlT_T0_E_clISt17integral_constantIbLb0EESY_IbLb1EEEEDaSU_SV_EUlSU_E_NS1_11comp_targetILNS1_3genE8ELNS1_11target_archE1030ELNS1_3gpuE2ELNS1_3repE0EEENS1_30default_config_static_selectorELNS0_4arch9wavefront6targetE0EEEvT1_.private_seg_size, 0
	.set _ZN7rocprim17ROCPRIM_400000_NS6detail17trampoline_kernelINS0_14default_configENS1_27scan_by_key_config_selectorIiiEEZZNS1_16scan_by_key_implILNS1_25lookback_scan_determinismE0ELb1ES3_N6thrust23THRUST_200600_302600_NS6detail15normal_iteratorINS9_10device_ptrIiEEEESE_SE_iNS9_4plusIvEENS9_8equal_toIiEEiEE10hipError_tPvRmT2_T3_T4_T5_mT6_T7_P12ihipStream_tbENKUlT_T0_E_clISt17integral_constantIbLb0EESY_IbLb1EEEEDaSU_SV_EUlSU_E_NS1_11comp_targetILNS1_3genE8ELNS1_11target_archE1030ELNS1_3gpuE2ELNS1_3repE0EEENS1_30default_config_static_selectorELNS0_4arch9wavefront6targetE0EEEvT1_.uses_vcc, 0
	.set _ZN7rocprim17ROCPRIM_400000_NS6detail17trampoline_kernelINS0_14default_configENS1_27scan_by_key_config_selectorIiiEEZZNS1_16scan_by_key_implILNS1_25lookback_scan_determinismE0ELb1ES3_N6thrust23THRUST_200600_302600_NS6detail15normal_iteratorINS9_10device_ptrIiEEEESE_SE_iNS9_4plusIvEENS9_8equal_toIiEEiEE10hipError_tPvRmT2_T3_T4_T5_mT6_T7_P12ihipStream_tbENKUlT_T0_E_clISt17integral_constantIbLb0EESY_IbLb1EEEEDaSU_SV_EUlSU_E_NS1_11comp_targetILNS1_3genE8ELNS1_11target_archE1030ELNS1_3gpuE2ELNS1_3repE0EEENS1_30default_config_static_selectorELNS0_4arch9wavefront6targetE0EEEvT1_.uses_flat_scratch, 0
	.set _ZN7rocprim17ROCPRIM_400000_NS6detail17trampoline_kernelINS0_14default_configENS1_27scan_by_key_config_selectorIiiEEZZNS1_16scan_by_key_implILNS1_25lookback_scan_determinismE0ELb1ES3_N6thrust23THRUST_200600_302600_NS6detail15normal_iteratorINS9_10device_ptrIiEEEESE_SE_iNS9_4plusIvEENS9_8equal_toIiEEiEE10hipError_tPvRmT2_T3_T4_T5_mT6_T7_P12ihipStream_tbENKUlT_T0_E_clISt17integral_constantIbLb0EESY_IbLb1EEEEDaSU_SV_EUlSU_E_NS1_11comp_targetILNS1_3genE8ELNS1_11target_archE1030ELNS1_3gpuE2ELNS1_3repE0EEENS1_30default_config_static_selectorELNS0_4arch9wavefront6targetE0EEEvT1_.has_dyn_sized_stack, 0
	.set _ZN7rocprim17ROCPRIM_400000_NS6detail17trampoline_kernelINS0_14default_configENS1_27scan_by_key_config_selectorIiiEEZZNS1_16scan_by_key_implILNS1_25lookback_scan_determinismE0ELb1ES3_N6thrust23THRUST_200600_302600_NS6detail15normal_iteratorINS9_10device_ptrIiEEEESE_SE_iNS9_4plusIvEENS9_8equal_toIiEEiEE10hipError_tPvRmT2_T3_T4_T5_mT6_T7_P12ihipStream_tbENKUlT_T0_E_clISt17integral_constantIbLb0EESY_IbLb1EEEEDaSU_SV_EUlSU_E_NS1_11comp_targetILNS1_3genE8ELNS1_11target_archE1030ELNS1_3gpuE2ELNS1_3repE0EEENS1_30default_config_static_selectorELNS0_4arch9wavefront6targetE0EEEvT1_.has_recursion, 0
	.set _ZN7rocprim17ROCPRIM_400000_NS6detail17trampoline_kernelINS0_14default_configENS1_27scan_by_key_config_selectorIiiEEZZNS1_16scan_by_key_implILNS1_25lookback_scan_determinismE0ELb1ES3_N6thrust23THRUST_200600_302600_NS6detail15normal_iteratorINS9_10device_ptrIiEEEESE_SE_iNS9_4plusIvEENS9_8equal_toIiEEiEE10hipError_tPvRmT2_T3_T4_T5_mT6_T7_P12ihipStream_tbENKUlT_T0_E_clISt17integral_constantIbLb0EESY_IbLb1EEEEDaSU_SV_EUlSU_E_NS1_11comp_targetILNS1_3genE8ELNS1_11target_archE1030ELNS1_3gpuE2ELNS1_3repE0EEENS1_30default_config_static_selectorELNS0_4arch9wavefront6targetE0EEEvT1_.has_indirect_call, 0
	.section	.AMDGPU.csdata,"",@progbits
; Kernel info:
; codeLenInByte = 0
; TotalNumSgprs: 0
; NumVgprs: 0
; ScratchSize: 0
; MemoryBound: 0
; FloatMode: 240
; IeeeMode: 1
; LDSByteSize: 0 bytes/workgroup (compile time only)
; SGPRBlocks: 0
; VGPRBlocks: 0
; NumSGPRsForWavesPerEU: 1
; NumVGPRsForWavesPerEU: 1
; NamedBarCnt: 0
; Occupancy: 16
; WaveLimiterHint : 0
; COMPUTE_PGM_RSRC2:SCRATCH_EN: 0
; COMPUTE_PGM_RSRC2:USER_SGPR: 2
; COMPUTE_PGM_RSRC2:TRAP_HANDLER: 0
; COMPUTE_PGM_RSRC2:TGID_X_EN: 1
; COMPUTE_PGM_RSRC2:TGID_Y_EN: 0
; COMPUTE_PGM_RSRC2:TGID_Z_EN: 0
; COMPUTE_PGM_RSRC2:TIDIG_COMP_CNT: 0
	.section	.text._ZN7rocprim17ROCPRIM_400000_NS6detail17trampoline_kernelINS0_14default_configENS1_27scan_by_key_config_selectorIssEEZZNS1_16scan_by_key_implILNS1_25lookback_scan_determinismE0ELb1ES3_N6thrust23THRUST_200600_302600_NS6detail15normal_iteratorINS9_10device_ptrIsEEEESE_SE_sNS9_4plusIvEENS9_8equal_toIvEEsEE10hipError_tPvRmT2_T3_T4_T5_mT6_T7_P12ihipStream_tbENKUlT_T0_E_clISt17integral_constantIbLb0EESZ_EEDaSU_SV_EUlSU_E_NS1_11comp_targetILNS1_3genE0ELNS1_11target_archE4294967295ELNS1_3gpuE0ELNS1_3repE0EEENS1_30default_config_static_selectorELNS0_4arch9wavefront6targetE0EEEvT1_,"axG",@progbits,_ZN7rocprim17ROCPRIM_400000_NS6detail17trampoline_kernelINS0_14default_configENS1_27scan_by_key_config_selectorIssEEZZNS1_16scan_by_key_implILNS1_25lookback_scan_determinismE0ELb1ES3_N6thrust23THRUST_200600_302600_NS6detail15normal_iteratorINS9_10device_ptrIsEEEESE_SE_sNS9_4plusIvEENS9_8equal_toIvEEsEE10hipError_tPvRmT2_T3_T4_T5_mT6_T7_P12ihipStream_tbENKUlT_T0_E_clISt17integral_constantIbLb0EESZ_EEDaSU_SV_EUlSU_E_NS1_11comp_targetILNS1_3genE0ELNS1_11target_archE4294967295ELNS1_3gpuE0ELNS1_3repE0EEENS1_30default_config_static_selectorELNS0_4arch9wavefront6targetE0EEEvT1_,comdat
	.protected	_ZN7rocprim17ROCPRIM_400000_NS6detail17trampoline_kernelINS0_14default_configENS1_27scan_by_key_config_selectorIssEEZZNS1_16scan_by_key_implILNS1_25lookback_scan_determinismE0ELb1ES3_N6thrust23THRUST_200600_302600_NS6detail15normal_iteratorINS9_10device_ptrIsEEEESE_SE_sNS9_4plusIvEENS9_8equal_toIvEEsEE10hipError_tPvRmT2_T3_T4_T5_mT6_T7_P12ihipStream_tbENKUlT_T0_E_clISt17integral_constantIbLb0EESZ_EEDaSU_SV_EUlSU_E_NS1_11comp_targetILNS1_3genE0ELNS1_11target_archE4294967295ELNS1_3gpuE0ELNS1_3repE0EEENS1_30default_config_static_selectorELNS0_4arch9wavefront6targetE0EEEvT1_ ; -- Begin function _ZN7rocprim17ROCPRIM_400000_NS6detail17trampoline_kernelINS0_14default_configENS1_27scan_by_key_config_selectorIssEEZZNS1_16scan_by_key_implILNS1_25lookback_scan_determinismE0ELb1ES3_N6thrust23THRUST_200600_302600_NS6detail15normal_iteratorINS9_10device_ptrIsEEEESE_SE_sNS9_4plusIvEENS9_8equal_toIvEEsEE10hipError_tPvRmT2_T3_T4_T5_mT6_T7_P12ihipStream_tbENKUlT_T0_E_clISt17integral_constantIbLb0EESZ_EEDaSU_SV_EUlSU_E_NS1_11comp_targetILNS1_3genE0ELNS1_11target_archE4294967295ELNS1_3gpuE0ELNS1_3repE0EEENS1_30default_config_static_selectorELNS0_4arch9wavefront6targetE0EEEvT1_
	.globl	_ZN7rocprim17ROCPRIM_400000_NS6detail17trampoline_kernelINS0_14default_configENS1_27scan_by_key_config_selectorIssEEZZNS1_16scan_by_key_implILNS1_25lookback_scan_determinismE0ELb1ES3_N6thrust23THRUST_200600_302600_NS6detail15normal_iteratorINS9_10device_ptrIsEEEESE_SE_sNS9_4plusIvEENS9_8equal_toIvEEsEE10hipError_tPvRmT2_T3_T4_T5_mT6_T7_P12ihipStream_tbENKUlT_T0_E_clISt17integral_constantIbLb0EESZ_EEDaSU_SV_EUlSU_E_NS1_11comp_targetILNS1_3genE0ELNS1_11target_archE4294967295ELNS1_3gpuE0ELNS1_3repE0EEENS1_30default_config_static_selectorELNS0_4arch9wavefront6targetE0EEEvT1_
	.p2align	8
	.type	_ZN7rocprim17ROCPRIM_400000_NS6detail17trampoline_kernelINS0_14default_configENS1_27scan_by_key_config_selectorIssEEZZNS1_16scan_by_key_implILNS1_25lookback_scan_determinismE0ELb1ES3_N6thrust23THRUST_200600_302600_NS6detail15normal_iteratorINS9_10device_ptrIsEEEESE_SE_sNS9_4plusIvEENS9_8equal_toIvEEsEE10hipError_tPvRmT2_T3_T4_T5_mT6_T7_P12ihipStream_tbENKUlT_T0_E_clISt17integral_constantIbLb0EESZ_EEDaSU_SV_EUlSU_E_NS1_11comp_targetILNS1_3genE0ELNS1_11target_archE4294967295ELNS1_3gpuE0ELNS1_3repE0EEENS1_30default_config_static_selectorELNS0_4arch9wavefront6targetE0EEEvT1_,@function
_ZN7rocprim17ROCPRIM_400000_NS6detail17trampoline_kernelINS0_14default_configENS1_27scan_by_key_config_selectorIssEEZZNS1_16scan_by_key_implILNS1_25lookback_scan_determinismE0ELb1ES3_N6thrust23THRUST_200600_302600_NS6detail15normal_iteratorINS9_10device_ptrIsEEEESE_SE_sNS9_4plusIvEENS9_8equal_toIvEEsEE10hipError_tPvRmT2_T3_T4_T5_mT6_T7_P12ihipStream_tbENKUlT_T0_E_clISt17integral_constantIbLb0EESZ_EEDaSU_SV_EUlSU_E_NS1_11comp_targetILNS1_3genE0ELNS1_11target_archE4294967295ELNS1_3gpuE0ELNS1_3repE0EEENS1_30default_config_static_selectorELNS0_4arch9wavefront6targetE0EEEvT1_: ; @_ZN7rocprim17ROCPRIM_400000_NS6detail17trampoline_kernelINS0_14default_configENS1_27scan_by_key_config_selectorIssEEZZNS1_16scan_by_key_implILNS1_25lookback_scan_determinismE0ELb1ES3_N6thrust23THRUST_200600_302600_NS6detail15normal_iteratorINS9_10device_ptrIsEEEESE_SE_sNS9_4plusIvEENS9_8equal_toIvEEsEE10hipError_tPvRmT2_T3_T4_T5_mT6_T7_P12ihipStream_tbENKUlT_T0_E_clISt17integral_constantIbLb0EESZ_EEDaSU_SV_EUlSU_E_NS1_11comp_targetILNS1_3genE0ELNS1_11target_archE4294967295ELNS1_3gpuE0ELNS1_3repE0EEENS1_30default_config_static_selectorELNS0_4arch9wavefront6targetE0EEEvT1_
; %bb.0:
	s_clause 0x2
	s_load_b96 s[36:38], s[0:1], 0x38
	s_load_b256 s[16:23], s[0:1], 0x0
	s_load_b128 s[28:31], s[0:1], 0x48
	s_bfe_u32 s4, ttmp6, 0x4000c
	s_delay_alu instid0(SALU_CYCLE_1)
	s_add_co_i32 s4, s4, 1
	s_clause 0x1
	s_load_b32 s42, s[0:1], 0x20
	s_load_b128 s[24:27], s[0:1], 0x28
	s_and_b32 s2, ttmp6, 15
	s_wait_xcnt 0x0
	s_mul_i32 s0, ttmp9, s4
	s_getreg_b32 s5, hwreg(HW_REG_IB_STS2, 6, 4)
	s_add_co_i32 s6, s2, s0
	s_mov_b32 s3, 0
	s_barrier_signal -1
	s_mov_b32 s39, s3
	s_barrier_wait -1
	s_wait_kmcnt 0x0
	s_mov_b32 s2, s38
	s_lshl_b64 s[34:35], s[18:19], 1
	s_cmp_eq_u32 s5, 0
	s_mul_u64 s[4:5], s[36:37], s[2:3]
	s_cselect_b32 s38, ttmp9, s6
	s_add_nc_u64 s[8:9], s[28:29], -1
	s_add_nc_u64 s[4:5], s[4:5], s[38:39]
	s_mul_i32 s2, s38, 0x1400
	v_cmp_ge_u64_e64 s27, s[4:5], s[8:9]
	s_add_nc_u64 s[0:1], s[16:17], s[34:35]
	s_add_nc_u64 s[6:7], s[20:21], s[34:35]
	s_lshl_b64 s[20:21], s[2:3], 1
	s_mul_i32 s33, s8, 0xffffec00
	s_add_nc_u64 s[40:41], s[0:1], s[20:21]
	s_add_nc_u64 s[28:29], s[6:7], s[20:21]
	s_and_b32 vcc_lo, exec_lo, s27
	s_cbranch_vccz .LBB569_106
; %bb.1:
	v_mov_b32_e32 v1, 0
	s_add_co_i32 s39, s33, s26
	s_delay_alu instid0(SALU_CYCLE_1)
	v_cmp_gt_u32_e32 vcc_lo, s39, v0
	flat_load_u16 v2, v1, s[40:41]
	s_wait_loadcnt_dscnt 0x0
	v_mov_b32_e32 v3, v2
	s_and_saveexec_b32 s0, vcc_lo
	s_cbranch_execz .LBB569_3
; %bb.2:
	flat_load_u16 v3, v0, s[40:41] scale_offset
.LBB569_3:
	s_wait_xcnt 0x0
	s_or_b32 exec_lo, exec_lo, s0
	v_or_b32_e32 v1, 0x100, v0
	v_mov_b32_e32 v4, v2
	s_delay_alu instid0(VALU_DEP_2)
	v_cmp_gt_u32_e64 s0, s39, v1
	s_and_saveexec_b32 s1, s0
	s_cbranch_execz .LBB569_5
; %bb.4:
	flat_load_u16 v4, v0, s[40:41] offset:512 scale_offset
.LBB569_5:
	s_wait_xcnt 0x0
	s_or_b32 exec_lo, exec_lo, s1
	v_or_b32_e32 v1, 0x200, v0
	v_mov_b32_e32 v5, v2
	s_delay_alu instid0(VALU_DEP_2)
	v_cmp_gt_u32_e64 s1, s39, v1
	s_and_saveexec_b32 s2, s1
	s_cbranch_execz .LBB569_7
; %bb.6:
	flat_load_u16 v5, v0, s[40:41] offset:1024 scale_offset
.LBB569_7:
	;; [unrolled: 11-line block ×18, first 2 shown]
	s_wait_xcnt 0x0
	s_or_b32 exec_lo, exec_lo, s18
	v_or_b32_e32 v1, 0x1300, v0
	s_delay_alu instid0(VALU_DEP_1) | instskip(SKIP_2) | instid1(SALU_CYCLE_1)
	v_cmp_gt_u32_e64 s18, s39, v1
	v_cmp_le_u32_e64 s19, s39, v1
	s_and_saveexec_b32 s43, s19
	s_xor_b32 s19, exec_lo, s43
	s_delay_alu instid0(SALU_CYCLE_1)
	s_and_not1_saveexec_b32 s19, s19
	s_cbranch_execz .LBB569_41
; %bb.40:
	flat_load_u16 v2, v0, s[40:41] offset:9728 scale_offset
.LBB569_41:
	s_wait_xcnt 0x0
	s_or_b32 exec_lo, exec_lo, s19
	v_lshlrev_b32_e32 v1, 1, v0
	s_mov_b32 s43, exec_lo
	s_wait_loadcnt_dscnt 0x0
	ds_store_b16 v1, v3
	ds_store_b16 v1, v4 offset:512
	ds_store_b16 v1, v5 offset:1024
	;; [unrolled: 1-line block ×19, first 2 shown]
	v_mov_b32_e32 v2, 0
	s_wait_dscnt 0x0
	s_barrier_signal -1
	s_barrier_wait -1
	flat_load_u16 v50, v2, s[40:41]
	v_mad_u32_u24 v51, v0, 38, v1
	ds_load_2addr_b64 v[6:9], v51 offset1:1
	s_wait_xcnt 0x0
	ds_load_2addr_b64 v[2:5], v51 offset0:2 offset1:3
	ds_load_b64 v[14:15], v51 offset:32
	v_mad_i32_i24 v10, 0xffffffda, v0, v51
	s_wait_dscnt 0x2
	ds_store_b16 v10, v6 offset:10752
	s_wait_loadcnt_dscnt 0x0
	s_barrier_signal -1
	s_barrier_wait -1
	v_cmpx_ne_u32_e32 0xff, v0
; %bb.42:
	v_mul_i32_i24_e32 v10, 0xffffffda, v0
	s_delay_alu instid0(VALU_DEP_1)
	v_add_nc_u32_e32 v10, v51, v10
	ds_load_u16 v50, v10 offset:10754
; %bb.43:
	s_or_b32 exec_lo, exec_lo, s43
	s_wait_dscnt 0x0
	s_barrier_signal -1
	s_barrier_wait -1
                                        ; implicit-def: $vgpr10
	s_and_saveexec_b32 s19, vcc_lo
	s_cbranch_execz .LBB569_164
; %bb.44:
	flat_load_u16 v10, v0, s[28:29] scale_offset
	s_wait_xcnt 0x0
	s_or_b32 exec_lo, exec_lo, s19
                                        ; implicit-def: $vgpr11
	s_and_saveexec_b32 s19, s0
	s_cbranch_execnz .LBB569_165
.LBB569_45:
	s_or_b32 exec_lo, exec_lo, s19
                                        ; implicit-def: $vgpr12
	s_and_saveexec_b32 s0, s1
	s_cbranch_execz .LBB569_166
.LBB569_46:
	flat_load_u16 v12, v0, s[28:29] offset:1024 scale_offset
	s_wait_xcnt 0x0
	s_or_b32 exec_lo, exec_lo, s0
                                        ; implicit-def: $vgpr13
	s_and_saveexec_b32 s0, s2
	s_cbranch_execnz .LBB569_167
.LBB569_47:
	s_or_b32 exec_lo, exec_lo, s0
                                        ; implicit-def: $vgpr16
	s_and_saveexec_b32 s0, s3
	s_cbranch_execz .LBB569_168
.LBB569_48:
	flat_load_u16 v16, v0, s[28:29] offset:2048 scale_offset
	s_wait_xcnt 0x0
	s_or_b32 exec_lo, exec_lo, s0
                                        ; implicit-def: $vgpr17
	s_and_saveexec_b32 s0, s4
	s_cbranch_execnz .LBB569_169
.LBB569_49:
	s_or_b32 exec_lo, exec_lo, s0
                                        ; implicit-def: $vgpr18
	s_and_saveexec_b32 s0, s5
	s_cbranch_execz .LBB569_170
.LBB569_50:
	flat_load_u16 v18, v0, s[28:29] offset:3072 scale_offset
	s_wait_xcnt 0x0
	s_or_b32 exec_lo, exec_lo, s0
                                        ; implicit-def: $vgpr19
	s_and_saveexec_b32 s0, s6
	s_cbranch_execnz .LBB569_171
.LBB569_51:
	s_or_b32 exec_lo, exec_lo, s0
                                        ; implicit-def: $vgpr20
	s_and_saveexec_b32 s0, s7
	s_cbranch_execz .LBB569_172
.LBB569_52:
	flat_load_u16 v20, v0, s[28:29] offset:4096 scale_offset
	s_wait_xcnt 0x0
	s_or_b32 exec_lo, exec_lo, s0
                                        ; implicit-def: $vgpr21
	s_and_saveexec_b32 s0, s8
	s_cbranch_execnz .LBB569_173
.LBB569_53:
	s_or_b32 exec_lo, exec_lo, s0
                                        ; implicit-def: $vgpr22
	s_and_saveexec_b32 s0, s9
	s_cbranch_execz .LBB569_174
.LBB569_54:
	flat_load_u16 v22, v0, s[28:29] offset:5120 scale_offset
	s_wait_xcnt 0x0
	s_or_b32 exec_lo, exec_lo, s0
                                        ; implicit-def: $vgpr23
	s_and_saveexec_b32 s0, s10
	s_cbranch_execnz .LBB569_175
.LBB569_55:
	s_or_b32 exec_lo, exec_lo, s0
                                        ; implicit-def: $vgpr24
	s_and_saveexec_b32 s0, s11
	s_cbranch_execz .LBB569_176
.LBB569_56:
	flat_load_u16 v24, v0, s[28:29] offset:6144 scale_offset
	s_wait_xcnt 0x0
	s_or_b32 exec_lo, exec_lo, s0
                                        ; implicit-def: $vgpr25
	s_and_saveexec_b32 s0, s12
	s_cbranch_execnz .LBB569_177
.LBB569_57:
	s_or_b32 exec_lo, exec_lo, s0
                                        ; implicit-def: $vgpr26
	s_and_saveexec_b32 s0, s13
	s_cbranch_execz .LBB569_178
.LBB569_58:
	flat_load_u16 v26, v0, s[28:29] offset:7168 scale_offset
	s_wait_xcnt 0x0
	s_or_b32 exec_lo, exec_lo, s0
                                        ; implicit-def: $vgpr27
	s_and_saveexec_b32 s0, s14
	s_cbranch_execnz .LBB569_179
.LBB569_59:
	s_or_b32 exec_lo, exec_lo, s0
                                        ; implicit-def: $vgpr28
	s_and_saveexec_b32 s0, s15
	s_cbranch_execz .LBB569_180
.LBB569_60:
	flat_load_u16 v28, v0, s[28:29] offset:8192 scale_offset
	s_wait_xcnt 0x0
	s_or_b32 exec_lo, exec_lo, s0
                                        ; implicit-def: $vgpr29
	s_and_saveexec_b32 s0, s16
	s_cbranch_execnz .LBB569_181
.LBB569_61:
	s_or_b32 exec_lo, exec_lo, s0
                                        ; implicit-def: $vgpr30
	s_and_saveexec_b32 s0, s17
	s_cbranch_execz .LBB569_63
.LBB569_62:
	flat_load_u16 v30, v0, s[28:29] offset:9216 scale_offset
.LBB569_63:
	s_wait_xcnt 0x0
	s_or_b32 exec_lo, exec_lo, s0
	v_mul_u32_u24_e32 v54, 20, v0
                                        ; implicit-def: $vgpr31
	s_and_saveexec_b32 s0, s18
	s_cbranch_execz .LBB569_65
; %bb.64:
	flat_load_u16 v31, v0, s[28:29] offset:9728 scale_offset
.LBB569_65:
	s_wait_xcnt 0x0
	s_or_b32 exec_lo, exec_lo, s0
	s_wait_loadcnt_dscnt 0x0
	ds_store_b16 v1, v10
	ds_store_b16 v1, v11 offset:512
	ds_store_b16 v1, v12 offset:1024
	;; [unrolled: 1-line block ×19, first 2 shown]
	v_cmp_gt_u32_e32 vcc_lo, s39, v54
	v_dual_mov_b32 v31, 0 :: v_dual_mov_b32 v39, 0
	v_dual_mov_b32 v55, 0 :: v_dual_mov_b32 v47, 0
	;; [unrolled: 1-line block ×18, first 2 shown]
	v_mov_b32_e32 v1, 0
	s_mov_b32 s1, 0
	s_mov_b32 s3, 0
	s_wait_dscnt 0x0
	s_barrier_signal -1
	s_barrier_wait -1
                                        ; implicit-def: $sgpr5
                                        ; implicit-def: $vgpr44
	s_and_saveexec_b32 s2, vcc_lo
	s_cbranch_execz .LBB569_105
; %bb.66:
	ds_load_u16 v1, v51
	v_dual_mov_b32 v39, 0 :: v_dual_lshrrev_b32 v40, 16, v6
	v_dual_mov_b32 v55, 0 :: v_dual_bitop2_b32 v10, 1, v54 bitop3:0x54
	v_dual_mov_b32 v47, 0 :: v_dual_mov_b32 v53, 0
	s_delay_alu instid0(VALU_DEP_3)
	v_cmp_eq_u16_e32 vcc_lo, v6, v40
	v_dual_mov_b32 v52, 0 :: v_dual_mov_b32 v49, 0
	v_dual_mov_b32 v48, 0 :: v_dual_mov_b32 v46, 0
	;; [unrolled: 1-line block ×6, first 2 shown]
	s_wait_dscnt 0x0
	v_dual_cndmask_b32 v1, s42, v1 :: v_dual_mov_b32 v34, 0
	v_mov_b32_e32 v33, 0
	v_cmp_gt_u32_e64 s0, s39, v10
	v_cndmask_b32_e64 v18, 0x10000, 0, vcc_lo
	s_delay_alu instid0(VALU_DEP_4)
	v_and_b32_e32 v31, 0xffff, v1
	v_dual_mov_b32 v10, 0 :: v_dual_mov_b32 v32, 0
	v_dual_mov_b32 v30, 0 :: v_dual_mov_b32 v29, 0
	;; [unrolled: 1-line block ×8, first 2 shown]
	v_mov_b32_e32 v1, 0
	s_mov_b32 s4, 0
                                        ; implicit-def: $sgpr5
                                        ; implicit-def: $vgpr44
	s_and_saveexec_b32 s3, s0
	s_cbranch_execz .LBB569_104
; %bb.67:
	ds_load_b128 v[10:13], v51 offset:2
	v_cmp_eq_u16_e32 vcc_lo, v40, v7
	v_dual_mov_b32 v55, 0 :: v_dual_bitop2_b32 v1, 2, v54 bitop3:0x54
	v_dual_mov_b32 v47, 0 :: v_dual_mov_b32 v53, 0
	v_dual_mov_b32 v52, 0 :: v_dual_mov_b32 v49, 0
	;; [unrolled: 1-line block ×8, first 2 shown]
	s_wait_dscnt 0x0
	v_dual_cndmask_b32 v6, s42, v10, vcc_lo :: v_dual_mov_b32 v32, 0
	v_dual_mov_b32 v30, 0 :: v_dual_mov_b32 v29, 0
	v_cmp_gt_u32_e64 s0, s39, v1
	v_cndmask_b32_e64 v39, 0x10000, 0, vcc_lo
	s_delay_alu instid0(VALU_DEP_4)
	v_and_b32_e32 v40, 0xffff, v6
	v_dual_mov_b32 v28, 0 :: v_dual_mov_b32 v27, 0
	v_dual_mov_b32 v26, 0 :: v_dual_mov_b32 v25, 0
	;; [unrolled: 1-line block ×6, first 2 shown]
	v_mov_b32_e32 v1, 0
	s_mov_b32 s6, 0
                                        ; implicit-def: $sgpr5
                                        ; implicit-def: $vgpr44
	s_and_saveexec_b32 s4, s0
	s_cbranch_execz .LBB569_103
; %bb.68:
	v_dual_lshrrev_b32 v6, 16, v7 :: v_dual_lshrrev_b32 v1, 16, v10
	v_dual_mov_b32 v47, 0 :: v_dual_mov_b32 v53, 0
	v_dual_mov_b32 v52, 0 :: v_dual_mov_b32 v49, 0
	s_delay_alu instid0(VALU_DEP_3) | instskip(SKIP_3) | instid1(VALU_DEP_3)
	v_cmp_eq_u16_e32 vcc_lo, v7, v6
	v_dual_mov_b32 v48, 0 :: v_dual_bitop2_b32 v10, 3, v54 bitop3:0x54
	v_dual_mov_b32 v46, 0 :: v_dual_mov_b32 v45, 0
	v_dual_mov_b32 v43, 0 :: v_dual_cndmask_b32 v1, s42, v1, vcc_lo
	v_cmp_gt_u32_e64 s0, s39, v10
	v_cndmask_b32_e64 v32, 0x10000, 0, vcc_lo
	v_dual_mov_b32 v42, 0 :: v_dual_mov_b32 v41, 0
	s_delay_alu instid0(VALU_DEP_4)
	v_and_b32_e32 v10, 0xffff, v1
	v_dual_mov_b32 v38, 0 :: v_dual_mov_b32 v37, 0
	v_dual_mov_b32 v36, 0 :: v_dual_mov_b32 v35, 0
	;; [unrolled: 1-line block ×10, first 2 shown]
	v_mov_b32_e32 v1, 0
	s_mov_b32 s7, 0
                                        ; implicit-def: $sgpr5
                                        ; implicit-def: $vgpr44
	s_and_saveexec_b32 s6, s0
	s_cbranch_execz .LBB569_102
; %bb.69:
	v_cmp_eq_u16_e32 vcc_lo, v6, v8
	v_dual_mov_b32 v53, 0 :: v_dual_mov_b32 v52, 0
	v_dual_mov_b32 v49, 0 :: v_dual_mov_b32 v48, 0
	v_dual_cndmask_b32 v1, s42, v11 :: v_dual_add_nc_u32 v6, 4, v54
	v_cndmask_b32_e64 v47, 0x10000, 0, vcc_lo
	v_dual_mov_b32 v46, 0 :: v_dual_mov_b32 v45, 0
	s_delay_alu instid0(VALU_DEP_3) | instskip(NEXT) | instid1(VALU_DEP_4)
	v_and_b32_e32 v30, 0xffff, v1
	v_cmp_gt_u32_e32 vcc_lo, s39, v6
	v_dual_mov_b32 v43, 0 :: v_dual_mov_b32 v42, 0
	v_dual_mov_b32 v41, 0 :: v_dual_mov_b32 v38, 0
	;; [unrolled: 1-line block ×11, first 2 shown]
	v_mov_b32_e32 v1, 0
	s_mov_b32 s0, 0
                                        ; implicit-def: $sgpr5
                                        ; implicit-def: $vgpr44
	s_and_saveexec_b32 s7, vcc_lo
	s_cbranch_execz .LBB569_101
; %bb.70:
	v_dual_lshrrev_b32 v6, 16, v8 :: v_dual_lshrrev_b32 v1, 16, v11
	v_dual_mov_b32 v52, 0 :: v_dual_mov_b32 v49, 0
	v_dual_mov_b32 v48, 0 :: v_dual_mov_b32 v46, 0
	s_delay_alu instid0(VALU_DEP_3) | instskip(SKIP_3) | instid1(VALU_DEP_3)
	v_cmp_eq_u16_e32 vcc_lo, v8, v6
	v_dual_add_nc_u32 v7, 5, v54 :: v_dual_mov_b32 v45, 0
	v_dual_mov_b32 v43, 0 :: v_dual_mov_b32 v42, 0
	v_dual_mov_b32 v41, 0 :: v_dual_cndmask_b32 v1, s42, v1, vcc_lo
	v_cmp_gt_u32_e64 s0, s39, v7
	v_cndmask_b32_e64 v29, 0x10000, 0, vcc_lo
	v_dual_mov_b32 v38, 0 :: v_dual_mov_b32 v37, 0
	s_delay_alu instid0(VALU_DEP_4)
	v_and_b32_e32 v11, 0xffff, v1
	v_dual_mov_b32 v36, 0 :: v_dual_mov_b32 v35, 0
	v_dual_mov_b32 v34, 0 :: v_dual_mov_b32 v33, 0
	;; [unrolled: 1-line block ×8, first 2 shown]
	v_mov_b32_e32 v1, 0
	s_mov_b32 s9, 0
                                        ; implicit-def: $sgpr5
                                        ; implicit-def: $vgpr44
	s_and_saveexec_b32 s8, s0
	s_cbranch_execz .LBB569_100
; %bb.71:
	v_cmp_eq_u16_e32 vcc_lo, v6, v9
	v_dual_mov_b32 v49, 0 :: v_dual_mov_b32 v48, 0
	v_dual_mov_b32 v46, 0 :: v_dual_mov_b32 v45, 0
	v_dual_cndmask_b32 v1, s42, v12 :: v_dual_add_nc_u32 v6, 6, v54
	v_cndmask_b32_e64 v52, 0x10000, 0, vcc_lo
	v_dual_mov_b32 v43, 0 :: v_dual_mov_b32 v42, 0
	s_delay_alu instid0(VALU_DEP_3) | instskip(NEXT) | instid1(VALU_DEP_4)
	v_and_b32_e32 v28, 0xffff, v1
	v_cmp_gt_u32_e32 vcc_lo, s39, v6
	v_dual_mov_b32 v41, 0 :: v_dual_mov_b32 v38, 0
	v_dual_mov_b32 v37, 0 :: v_dual_mov_b32 v36, 0
	;; [unrolled: 1-line block ×9, first 2 shown]
	v_mov_b32_e32 v1, 0
	s_mov_b32 s0, 0
                                        ; implicit-def: $sgpr5
                                        ; implicit-def: $vgpr44
	s_and_saveexec_b32 s9, vcc_lo
	s_cbranch_execz .LBB569_99
; %bb.72:
	v_dual_lshrrev_b32 v6, 16, v9 :: v_dual_lshrrev_b32 v1, 16, v12
	v_dual_mov_b32 v48, 0 :: v_dual_mov_b32 v46, 0
	v_dual_mov_b32 v45, 0 :: v_dual_mov_b32 v43, 0
	s_delay_alu instid0(VALU_DEP_3) | instskip(SKIP_3) | instid1(VALU_DEP_3)
	v_cmp_eq_u16_e32 vcc_lo, v9, v6
	v_dual_mov_b32 v42, 0 :: v_dual_add_nc_u32 v7, 7, v54
	v_dual_mov_b32 v41, 0 :: v_dual_mov_b32 v38, 0
	v_dual_mov_b32 v37, 0 :: v_dual_cndmask_b32 v1, s42, v1, vcc_lo
	v_cmp_gt_u32_e64 s0, s39, v7
	v_cndmask_b32_e64 v27, 0x10000, 0, vcc_lo
	v_dual_mov_b32 v36, 0 :: v_dual_mov_b32 v35, 0
	s_delay_alu instid0(VALU_DEP_4)
	v_and_b32_e32 v12, 0xffff, v1
	v_dual_mov_b32 v34, 0 :: v_dual_mov_b32 v33, 0
	v_dual_mov_b32 v26, 0 :: v_dual_mov_b32 v25, 0
	;; [unrolled: 1-line block ×6, first 2 shown]
	v_mov_b32_e32 v1, 0
	s_mov_b32 s11, 0
                                        ; implicit-def: $sgpr5
                                        ; implicit-def: $vgpr44
	s_and_saveexec_b32 s10, s0
	s_cbranch_execz .LBB569_98
; %bb.73:
	v_cmp_eq_u16_e32 vcc_lo, v6, v2
	v_dual_mov_b32 v46, 0 :: v_dual_mov_b32 v45, 0
	v_dual_mov_b32 v43, 0 :: v_dual_mov_b32 v42, 0
	v_dual_cndmask_b32 v1, s42, v13 :: v_dual_add_nc_u32 v6, 8, v54
	v_cndmask_b32_e64 v48, 0x10000, 0, vcc_lo
	v_dual_mov_b32 v41, 0 :: v_dual_mov_b32 v38, 0
	s_delay_alu instid0(VALU_DEP_3) | instskip(NEXT) | instid1(VALU_DEP_4)
	v_and_b32_e32 v26, 0xffff, v1
	v_cmp_gt_u32_e32 vcc_lo, s39, v6
	v_dual_mov_b32 v37, 0 :: v_dual_mov_b32 v36, 0
	v_dual_mov_b32 v35, 0 :: v_dual_mov_b32 v34, 0
	;; [unrolled: 1-line block ×7, first 2 shown]
	v_mov_b32_e32 v1, 0
	s_mov_b32 s0, 0
                                        ; implicit-def: $sgpr5
                                        ; implicit-def: $vgpr44
	s_and_saveexec_b32 s11, vcc_lo
	s_cbranch_execz .LBB569_97
; %bb.74:
	v_dual_lshrrev_b32 v25, 16, v2 :: v_dual_lshrrev_b32 v1, 16, v13
	v_dual_mov_b32 v45, 0 :: v_dual_mov_b32 v43, 0
	v_dual_mov_b32 v42, 0 :: v_dual_mov_b32 v41, 0
	s_delay_alu instid0(VALU_DEP_3) | instskip(SKIP_3) | instid1(VALU_DEP_3)
	v_cmp_eq_u16_e32 vcc_lo, v2, v25
	v_dual_add_nc_u32 v6, 9, v54 :: v_dual_mov_b32 v38, 0
	v_dual_mov_b32 v37, 0 :: v_dual_mov_b32 v36, 0
	v_dual_mov_b32 v35, 0 :: v_dual_cndmask_b32 v1, s42, v1, vcc_lo
	v_cmp_gt_u32_e64 s0, s39, v6
	v_cndmask_b32_e64 v13, 0x10000, 0, vcc_lo
	v_dual_mov_b32 v34, 0 :: v_dual_mov_b32 v33, 0
	s_delay_alu instid0(VALU_DEP_4)
	v_and_b32_e32 v2, 0xffff, v1
	v_dual_mov_b32 v24, 0 :: v_dual_mov_b32 v23, 0
	v_dual_mov_b32 v22, 0 :: v_dual_mov_b32 v21, 0
	;; [unrolled: 1-line block ×4, first 2 shown]
	v_mov_b32_e32 v1, 0
	s_mov_b32 s13, 0
                                        ; implicit-def: $sgpr5
                                        ; implicit-def: $vgpr44
	s_and_saveexec_b32 s12, s0
	s_cbranch_execz .LBB569_96
; %bb.75:
	ds_load_b128 v[6:9], v51 offset:18
	v_cmp_eq_u16_e32 vcc_lo, v25, v3
	v_dual_mov_b32 v43, 0 :: v_dual_add_nc_u32 v1, 10, v54
	v_dual_mov_b32 v19, 0 :: v_dual_mov_b32 v42, 0
	v_dual_mov_b32 v41, 0 :: v_dual_mov_b32 v38, 0
	;; [unrolled: 1-line block ×7, first 2 shown]
	v_mov_b32_e32 v16, 0
	v_cmp_gt_u32_e64 s0, s39, v1
	s_wait_dscnt 0x0
	v_cndmask_b32_e32 v25, s42, v6, vcc_lo
	v_cndmask_b32_e64 v24, 0x10000, 0, vcc_lo
	v_mov_b32_e32 v1, 0
	s_mov_b32 s14, 0
                                        ; implicit-def: $sgpr5
                                        ; implicit-def: $vgpr44
	s_delay_alu instid0(VALU_DEP_3)
	v_and_b32_e32 v25, 0xffff, v25
	s_and_saveexec_b32 s13, s0
	s_cbranch_execz .LBB569_95
; %bb.76:
	v_dual_lshrrev_b32 v23, 16, v3 :: v_dual_lshrrev_b32 v1, 16, v6
	v_dual_mov_b32 v42, 0 :: v_dual_mov_b32 v41, 0
	v_dual_mov_b32 v38, 0 :: v_dual_mov_b32 v37, 0
	s_delay_alu instid0(VALU_DEP_3) | instskip(SKIP_3) | instid1(VALU_DEP_3)
	v_cmp_eq_u16_e32 vcc_lo, v3, v23
	v_dual_add_nc_u32 v6, 11, v54 :: v_dual_mov_b32 v36, 0
	v_dual_mov_b32 v35, 0 :: v_dual_mov_b32 v34, 0
	v_dual_mov_b32 v33, 0 :: v_dual_cndmask_b32 v1, s42, v1, vcc_lo
	v_cmp_gt_u32_e64 s0, s39, v6
	v_cndmask_b32_e64 v6, 0x10000, 0, vcc_lo
	v_dual_mov_b32 v22, 0 :: v_dual_mov_b32 v21, 0
	s_delay_alu instid0(VALU_DEP_4)
	v_and_b32_e32 v3, 0xffff, v1
	v_dual_mov_b32 v20, 0 :: v_dual_mov_b32 v19, 0
	v_dual_mov_b32 v17, 0 :: v_dual_mov_b32 v16, 0
	v_mov_b32_e32 v1, 0
	s_mov_b32 s15, 0
                                        ; implicit-def: $sgpr5
                                        ; implicit-def: $vgpr44
	s_and_saveexec_b32 s14, s0
	s_cbranch_execz .LBB569_94
; %bb.77:
	v_cmp_eq_u16_e32 vcc_lo, v23, v4
	v_dual_mov_b32 v41, 0 :: v_dual_mov_b32 v38, 0
	v_dual_mov_b32 v37, 0 :: v_dual_mov_b32 v36, 0
	v_dual_cndmask_b32 v1, s42, v7 :: v_dual_add_nc_u32 v16, 12, v54
	v_cndmask_b32_e64 v23, 0x10000, 0, vcc_lo
	v_dual_mov_b32 v35, 0 :: v_dual_mov_b32 v34, 0
	s_delay_alu instid0(VALU_DEP_3) | instskip(NEXT) | instid1(VALU_DEP_4)
	v_and_b32_e32 v22, 0xffff, v1
	v_cmp_gt_u32_e32 vcc_lo, s39, v16
	v_dual_mov_b32 v33, 0 :: v_dual_mov_b32 v21, 0
	v_dual_mov_b32 v20, 0 :: v_dual_mov_b32 v19, 0
	;; [unrolled: 1-line block ×3, first 2 shown]
	v_mov_b32_e32 v1, 0
	s_mov_b32 s0, 0
                                        ; implicit-def: $sgpr5
                                        ; implicit-def: $vgpr44
	s_and_saveexec_b32 s15, vcc_lo
	s_cbranch_execz .LBB569_93
; %bb.78:
	v_dual_lshrrev_b32 v21, 16, v4 :: v_dual_lshrrev_b32 v1, 16, v7
	v_dual_mov_b32 v38, 0 :: v_dual_mov_b32 v37, 0
	v_dual_mov_b32 v36, 0 :: v_dual_mov_b32 v35, 0
	s_delay_alu instid0(VALU_DEP_3) | instskip(SKIP_3) | instid1(VALU_DEP_3)
	v_cmp_eq_u16_e32 vcc_lo, v4, v21
	v_dual_mov_b32 v34, 0 :: v_dual_add_nc_u32 v7, 13, v54
	v_dual_mov_b32 v33, 0 :: v_dual_mov_b32 v20, 0
	v_dual_mov_b32 v19, 0 :: v_dual_cndmask_b32 v1, s42, v1, vcc_lo
	v_cmp_gt_u32_e64 s0, s39, v7
	v_cndmask_b32_e64 v7, 0x10000, 0, vcc_lo
	v_dual_mov_b32 v17, 0 :: v_dual_mov_b32 v16, 0
	s_delay_alu instid0(VALU_DEP_4)
	v_and_b32_e32 v4, 0xffff, v1
	v_mov_b32_e32 v1, 0
	s_mov_b32 s17, 0
                                        ; implicit-def: $sgpr5
                                        ; implicit-def: $vgpr44
	s_and_saveexec_b32 s16, s0
	s_cbranch_execz .LBB569_92
; %bb.79:
	v_cmp_eq_u16_e32 vcc_lo, v21, v5
	v_dual_mov_b32 v37, 0 :: v_dual_mov_b32 v36, 0
	v_dual_mov_b32 v35, 0 :: v_dual_mov_b32 v34, 0
	v_dual_cndmask_b32 v1, s42, v8 :: v_dual_add_nc_u32 v16, 14, v54
	v_cndmask_b32_e64 v21, 0x10000, 0, vcc_lo
	v_dual_mov_b32 v33, 0 :: v_dual_mov_b32 v19, 0
	s_delay_alu instid0(VALU_DEP_3) | instskip(NEXT) | instid1(VALU_DEP_4)
	v_and_b32_e32 v20, 0xffff, v1
	v_cmp_gt_u32_e32 vcc_lo, s39, v16
	v_dual_mov_b32 v17, 0 :: v_dual_mov_b32 v16, 0
	v_mov_b32_e32 v1, 0
	s_mov_b32 s0, 0
                                        ; implicit-def: $sgpr5
                                        ; implicit-def: $vgpr44
	s_and_saveexec_b32 s17, vcc_lo
	s_cbranch_execz .LBB569_91
; %bb.80:
	v_dual_lshrrev_b32 v19, 16, v5 :: v_dual_lshrrev_b32 v1, 16, v8
	v_dual_mov_b32 v36, 0 :: v_dual_mov_b32 v35, 0
	v_dual_mov_b32 v34, 0 :: v_dual_mov_b32 v33, 0
	s_delay_alu instid0(VALU_DEP_3) | instskip(SKIP_4) | instid1(VALU_DEP_3)
	v_cmp_eq_u16_e32 vcc_lo, v5, v19
	v_dual_mov_b32 v17, 0 :: v_dual_add_nc_u32 v8, 15, v54
	v_mov_b32_e32 v16, 0
	s_mov_b32 s19, 0
	v_cndmask_b32_e32 v1, s42, v1, vcc_lo
	v_cmp_gt_u32_e64 s0, s39, v8
	v_cndmask_b32_e64 v8, 0x10000, 0, vcc_lo
                                        ; implicit-def: $sgpr5
                                        ; implicit-def: $vgpr44
	s_delay_alu instid0(VALU_DEP_3)
	v_and_b32_e32 v5, 0xffff, v1
	v_mov_b32_e32 v1, 0
	s_and_saveexec_b32 s18, s0
	s_cbranch_execz .LBB569_90
; %bb.81:
	v_cmp_eq_u16_e32 vcc_lo, v19, v14
	v_dual_mov_b32 v35, 0 :: v_dual_mov_b32 v34, 0
	v_mov_b32_e32 v33, 0
	s_mov_b32 s0, 0
	v_dual_cndmask_b32 v1, s42, v9 :: v_dual_add_nc_u32 v16, 16, v54
	v_cndmask_b32_e64 v19, 0x10000, 0, vcc_lo
                                        ; implicit-def: $sgpr5
                                        ; implicit-def: $vgpr44
	s_delay_alu instid0(VALU_DEP_2) | instskip(NEXT) | instid1(VALU_DEP_3)
	v_and_b32_e32 v17, 0xffff, v1
	v_cmp_gt_u32_e32 vcc_lo, s39, v16
	v_dual_mov_b32 v16, 0 :: v_dual_mov_b32 v1, 0
	s_and_saveexec_b32 s19, vcc_lo
	s_cbranch_execz .LBB569_89
; %bb.82:
	v_dual_lshrrev_b32 v16, 16, v14 :: v_dual_lshrrev_b32 v1, 16, v9
	v_dual_mov_b32 v34, 0 :: v_dual_mov_b32 v33, 0
	s_mov_b32 s44, 0
	s_delay_alu instid0(VALU_DEP_2) | instskip(SKIP_2) | instid1(VALU_DEP_2)
	v_cmp_eq_u16_e32 vcc_lo, v14, v16
	v_add_nc_u32_e32 v9, 17, v54
                                        ; implicit-def: $sgpr5
                                        ; implicit-def: $vgpr44
	v_cndmask_b32_e32 v1, s42, v1, vcc_lo
	v_cmp_gt_u32_e64 s0, s39, v9
	v_cndmask_b32_e64 v14, 0x10000, 0, vcc_lo
	s_delay_alu instid0(VALU_DEP_3)
	v_and_b32_e32 v9, 0xffff, v1
	v_mov_b32_e32 v1, 0
	s_and_saveexec_b32 s43, s0
	s_cbranch_execz .LBB569_88
; %bb.83:
	ds_load_u16 v1, v51 offset:34
	v_cmp_eq_u16_e32 vcc_lo, v16, v15
	v_mov_b32_e32 v33, 0
	s_mov_b32 s0, exec_lo
                                        ; implicit-def: $sgpr5
                                        ; implicit-def: $vgpr44
	s_wait_dscnt 0x0
	v_dual_add_nc_u32 v34, 18, v54 :: v_dual_cndmask_b32 v16, s42, v1, vcc_lo
	v_cndmask_b32_e64 v1, 0x10000, 0, vcc_lo
	s_delay_alu instid0(VALU_DEP_2) | instskip(NEXT) | instid1(VALU_DEP_3)
	v_and_b32_e32 v16, 0xffff, v16
	v_cmpx_gt_u32_e64 s39, v34
	s_cbranch_execz .LBB569_87
; %bb.84:
	ds_load_b32 v34, v51 offset:36
	v_dual_lshrrev_b32 v35, 16, v15 :: v_dual_add_nc_u32 v36, 19, v54
                                        ; implicit-def: $sgpr5
                                        ; implicit-def: $vgpr44
	s_delay_alu instid0(VALU_DEP_1)
	v_cmp_eq_u16_e32 vcc_lo, v15, v35
	v_cndmask_b32_e64 v15, 0x10000, 0, vcc_lo
	s_wait_dscnt 0x0
	v_cndmask_b32_e32 v33, s42, v34, vcc_lo
	v_cmp_gt_u32_e32 vcc_lo, s39, v36
	s_mov_b32 s39, 0
	s_delay_alu instid0(VALU_DEP_2) | instskip(SKIP_1) | instid1(SALU_CYCLE_1)
	v_and_b32_e32 v33, 0xffff, v33
	s_and_saveexec_b32 s44, vcc_lo
	s_xor_b32 s44, exec_lo, s44
; %bb.85:
	v_lshrrev_b32_e32 v34, 16, v34
	v_cmp_ne_u16_e64 s5, v35, v50
	s_mov_b32 s39, exec_lo
	v_cndmask_b32_e64 v44, v34, s42, s5
; %bb.86:
	s_or_b32 exec_lo, exec_lo, s44
	v_or_b32_e32 v33, v15, v33
	s_and_b32 s44, s39, exec_lo
.LBB569_87:
	s_or_b32 exec_lo, exec_lo, s0
	s_delay_alu instid0(VALU_DEP_2) | instskip(NEXT) | instid1(VALU_DEP_2)
	v_or_b32_e32 v34, v1, v16
	v_mov_b32_e32 v1, v33
	s_and_b32 s44, s44, exec_lo
.LBB569_88:
	s_or_b32 exec_lo, exec_lo, s43
	v_or_b32_e32 v35, v14, v9
	v_mov_b32_e32 v16, v34
	s_and_b32 s0, s44, exec_lo
.LBB569_89:
	s_or_b32 exec_lo, exec_lo, s19
	v_or_b32_e32 v36, v19, v17
	v_mov_b32_e32 v17, v35
	s_and_b32 s19, s0, exec_lo
.LBB569_90:
	s_or_b32 exec_lo, exec_lo, s18
	v_or_b32_e32 v37, v8, v5
	v_mov_b32_e32 v19, v36
	s_and_b32 s0, s19, exec_lo
.LBB569_91:
	s_or_b32 exec_lo, exec_lo, s17
	v_or_b32_e32 v38, v21, v20
	v_mov_b32_e32 v20, v37
	s_and_b32 s17, s0, exec_lo
.LBB569_92:
	s_or_b32 exec_lo, exec_lo, s16
	s_delay_alu instid0(VALU_DEP_2)
	v_dual_mov_b32 v21, v38 :: v_dual_bitop2_b32 v41, v7, v4 bitop3:0x54
	s_and_b32 s0, s17, exec_lo
.LBB569_93:
	s_or_b32 exec_lo, exec_lo, s15
	s_delay_alu instid0(VALU_DEP_1)
	v_dual_mov_b32 v22, v41 :: v_dual_bitop2_b32 v42, v23, v22 bitop3:0x54
	s_and_b32 s15, s0, exec_lo
.LBB569_94:
	s_or_b32 exec_lo, exec_lo, s14
	v_or_b32_e32 v43, v6, v3
	s_delay_alu instid0(VALU_DEP_2)
	v_mov_b32_e32 v23, v42
	s_and_b32 s14, s15, exec_lo
.LBB569_95:
	s_or_b32 exec_lo, exec_lo, s13
	s_delay_alu instid0(VALU_DEP_1)
	v_dual_mov_b32 v24, v43 :: v_dual_bitop2_b32 v45, v24, v25 bitop3:0x54
	s_and_b32 s13, s14, exec_lo
.LBB569_96:
	s_or_b32 exec_lo, exec_lo, s12
	v_or_b32_e32 v46, v13, v2
	s_delay_alu instid0(VALU_DEP_2)
	v_mov_b32_e32 v25, v45
	s_and_b32 s0, s13, exec_lo
.LBB569_97:
	s_or_b32 exec_lo, exec_lo, s11
	s_delay_alu instid0(VALU_DEP_2)
	v_dual_mov_b32 v26, v46 :: v_dual_bitop2_b32 v48, v48, v26 bitop3:0x54
	s_and_b32 s11, s0, exec_lo
.LBB569_98:
	s_or_b32 exec_lo, exec_lo, s10
	s_delay_alu instid0(VALU_DEP_1)
	v_dual_mov_b32 v27, v48 :: v_dual_bitop2_b32 v49, v27, v12 bitop3:0x54
	s_and_b32 s0, s11, exec_lo
.LBB569_99:
	s_or_b32 exec_lo, exec_lo, s9
	s_delay_alu instid0(VALU_DEP_1)
	v_dual_mov_b32 v28, v49 :: v_dual_bitop2_b32 v52, v52, v28 bitop3:0x54
	s_and_b32 s9, s0, exec_lo
.LBB569_100:
	s_or_b32 exec_lo, exec_lo, s8
	s_delay_alu instid0(VALU_DEP_1)
	v_dual_mov_b32 v29, v52 :: v_dual_bitop2_b32 v53, v29, v11 bitop3:0x54
	s_and_b32 s0, s9, exec_lo
.LBB569_101:
	s_or_b32 exec_lo, exec_lo, s7
	s_delay_alu instid0(VALU_DEP_1)
	v_dual_mov_b32 v30, v53 :: v_dual_bitop2_b32 v47, v47, v30 bitop3:0x54
	s_and_b32 s7, s0, exec_lo
.LBB569_102:
	s_or_b32 exec_lo, exec_lo, s6
	s_delay_alu instid0(VALU_DEP_1)
	v_dual_mov_b32 v32, v47 :: v_dual_bitop2_b32 v55, v32, v10 bitop3:0x54
	s_and_b32 s6, s7, exec_lo
.LBB569_103:
	s_or_b32 exec_lo, exec_lo, s4
	v_or_b32_e32 v39, v39, v40
	s_delay_alu instid0(VALU_DEP_2)
	v_mov_b32_e32 v10, v55
	s_and_b32 s4, s6, exec_lo
.LBB569_104:
	s_or_b32 exec_lo, exec_lo, s3
	s_delay_alu instid0(VALU_DEP_2)
	v_dual_mov_b32 v11, v39 :: v_dual_bitop2_b32 v31, v18, v31 bitop3:0x54
	s_and_b32 s3, s4, exec_lo
.LBB569_105:
	s_or_b32 exec_lo, exec_lo, s2
	v_lshlrev_b32_e32 v18, 1, v0
	s_and_b32 vcc_lo, exec_lo, s1
	s_cbranch_vccnz .LBB569_107
	s_branch .LBB569_112
.LBB569_106:
                                        ; implicit-def: $sgpr5
                                        ; implicit-def: $vgpr44
                                        ; implicit-def: $vgpr31
                                        ; implicit-def: $vgpr39
                                        ; implicit-def: $vgpr55
                                        ; implicit-def: $vgpr47
                                        ; implicit-def: $vgpr53
                                        ; implicit-def: $vgpr52
                                        ; implicit-def: $vgpr49
                                        ; implicit-def: $vgpr48
                                        ; implicit-def: $vgpr46
                                        ; implicit-def: $vgpr45
                                        ; implicit-def: $vgpr43
                                        ; implicit-def: $vgpr42
                                        ; implicit-def: $vgpr41
                                        ; implicit-def: $vgpr38
                                        ; implicit-def: $vgpr37
                                        ; implicit-def: $vgpr36
                                        ; implicit-def: $vgpr35
                                        ; implicit-def: $vgpr34
                                        ; implicit-def: $vgpr33
                                        ; implicit-def: $vgpr11
                                        ; implicit-def: $vgpr10
                                        ; implicit-def: $vgpr32
                                        ; implicit-def: $vgpr30
                                        ; implicit-def: $vgpr29
                                        ; implicit-def: $vgpr28
                                        ; implicit-def: $vgpr27
                                        ; implicit-def: $vgpr26
                                        ; implicit-def: $vgpr25
                                        ; implicit-def: $vgpr24
                                        ; implicit-def: $vgpr23
                                        ; implicit-def: $vgpr22
                                        ; implicit-def: $vgpr21
                                        ; implicit-def: $vgpr20
                                        ; implicit-def: $vgpr19
                                        ; implicit-def: $vgpr17
                                        ; implicit-def: $vgpr16
                                        ; implicit-def: $vgpr1
	v_lshlrev_b32_e32 v18, 1, v0
	s_cbranch_execz .LBB569_112
.LBB569_107:
	s_clause 0x13
	flat_load_u16 v1, v0, s[40:41] scale_offset
	flat_load_u16 v2, v0, s[40:41] offset:512 scale_offset
	flat_load_u16 v3, v0, s[40:41] offset:1024 scale_offset
	;; [unrolled: 1-line block ×19, first 2 shown]
	v_mov_b32_e32 v22, 0
	v_mad_u32_u24 v23, v0, 38, v18
	s_mov_b32 s0, exec_lo
	s_wait_loadcnt_dscnt 0x1313
	ds_store_b16 v18, v1
	s_wait_loadcnt_dscnt 0x1213
	ds_store_b16 v18, v2 offset:512
	s_wait_loadcnt_dscnt 0x1113
	ds_store_b16 v18, v3 offset:1024
	;; [unrolled: 2-line block ×19, first 2 shown]
	s_wait_dscnt 0x0
	s_barrier_signal -1
	s_barrier_wait -1
	flat_load_u16 v1, v22, s[40:41] offset:10240
	ds_load_2addr_b64 v[6:9], v23 offset1:1
	ds_load_2addr_b64 v[2:5], v23 offset0:2 offset1:3
	ds_load_b64 v[20:21], v23 offset:32
	v_mad_i32_i24 v10, 0xffffffda, v0, v23
	s_wait_dscnt 0x2
	ds_store_b16 v10, v6 offset:10752
	s_wait_loadcnt_dscnt 0x0
	s_barrier_signal -1
	s_barrier_wait -1
	v_cmpx_ne_u32_e32 0xff, v0
; %bb.108:
	v_mul_i32_i24_e32 v1, 0xffffffda, v0
	s_delay_alu instid0(VALU_DEP_1)
	v_add_nc_u32_e32 v1, v23, v1
	ds_load_u16 v1, v1 offset:10754
; %bb.109:
	s_or_b32 exec_lo, exec_lo, s0
	s_wait_dscnt 0x0
	s_barrier_signal -1
	s_barrier_wait -1
	s_clause 0x13
	flat_load_u16 v10, v0, s[28:29] scale_offset
	flat_load_u16 v11, v0, s[28:29] offset:512 scale_offset
	flat_load_u16 v12, v0, s[28:29] offset:1024 scale_offset
	;; [unrolled: 1-line block ×19, first 2 shown]
	s_wait_loadcnt_dscnt 0x1313
	ds_store_b16 v18, v10
	s_wait_loadcnt_dscnt 0x1213
	ds_store_b16 v18, v11 offset:512
	s_wait_loadcnt_dscnt 0x1113
	ds_store_b16 v18, v12 offset:1024
	;; [unrolled: 2-line block ×19, first 2 shown]
	s_wait_dscnt 0x0
	s_barrier_signal -1
	s_barrier_wait -1
	ds_load_b128 v[14:17], v23 offset:2
	ds_load_b128 v[10:13], v23 offset:18
	ds_load_u16 v22, v23 offset:34
	ds_load_b32 v19, v23 offset:36
	v_dual_mov_b32 v24, s42 :: v_dual_lshrrev_b32 v25, 16, v6
	s_delay_alu instid0(VALU_DEP_1)
	v_cmp_eq_u16_e32 vcc_lo, v6, v25
	v_mov_b32_e32 v6, 0x10000
	s_and_saveexec_b32 s0, vcc_lo
; %bb.110:
	ds_load_u16 v24, v23
	v_mov_b32_e32 v6, 0
; %bb.111:
	s_or_b32 exec_lo, exec_lo, s0
	v_dual_lshrrev_b32 v31, 16, v7 :: v_dual_lshrrev_b32 v35, 16, v8
	v_cmp_eq_u16_e32 vcc_lo, v25, v7
	s_wait_dscnt 0x3
	v_dual_lshrrev_b32 v23, 16, v21 :: v_dual_lshrrev_b32 v26, 16, v14
	v_lshrrev_b32_e32 v38, 16, v3
	v_cmp_eq_u16_e64 s0, v31, v8
	v_cndmask_b32_e32 v14, s42, v14, vcc_lo
	v_cndmask_b32_e64 v39, 0x10000, 0, vcc_lo
	v_cmp_eq_u16_e32 vcc_lo, v7, v31
	v_dual_lshrrev_b32 v27, 16, v15 :: v_dual_lshrrev_b32 v28, 16, v16
	v_lshrrev_b32_e32 v44, 16, v20
	s_wait_dscnt 0x0
	v_and_b32_e32 v24, 0xffff, v24
	v_and_b32_e32 v14, 0xffff, v14
	v_cndmask_b32_e32 v7, s42, v26, vcc_lo
	v_dual_cndmask_b32 v15, s42, v15, s0 :: v_dual_lshrrev_b32 v36, 16, v9
	s_delay_alu instid0(VALU_DEP_4) | instskip(NEXT) | instid1(VALU_DEP_3)
	v_dual_lshrrev_b32 v37, 16, v2 :: v_dual_bitop2_b32 v31, v6, v24 bitop3:0x54
	v_and_b32_e32 v6, 0xffff, v7
	v_cndmask_b32_e64 v7, 0x10000, 0, vcc_lo
	v_cmp_eq_u16_e32 vcc_lo, v8, v35
	v_or_b32_e32 v39, v39, v14
	v_and_b32_e32 v14, 0xffff, v15
	v_cndmask_b32_e64 v15, 0x10000, 0, s0
	v_cmp_eq_u16_e64 s0, v35, v9
	v_dual_cndmask_b32 v8, s42, v27, vcc_lo :: v_dual_bitop2_b32 v55, v7, v6 bitop3:0x54
	v_cndmask_b32_e64 v7, 0x10000, 0, vcc_lo
	v_cmp_eq_u16_e32 vcc_lo, v9, v36
	s_delay_alu instid0(VALU_DEP_4) | instskip(SKIP_3) | instid1(VALU_DEP_4)
	v_dual_cndmask_b32 v16, s42, v16, s0 :: v_dual_bitop2_b32 v47, v15, v14 bitop3:0x54
	v_cndmask_b32_e64 v14, 0x10000, 0, s0
	v_cmp_eq_u16_e64 s0, v36, v2
	v_and_b32_e32 v6, 0xffff, v8
	v_and_b32_e32 v8, 0xffff, v16
	v_dual_cndmask_b32 v9, s42, v28, vcc_lo :: v_dual_lshrrev_b32 v29, 16, v17
	s_delay_alu instid0(VALU_DEP_4) | instskip(NEXT) | instid1(VALU_DEP_4)
	v_dual_lshrrev_b32 v30, 16, v10 :: v_dual_cndmask_b32 v15, s42, v17, s0
	v_or_b32_e32 v53, v7, v6
	s_delay_alu instid0(VALU_DEP_3)
	v_and_b32_e32 v6, 0xffff, v9
	v_cndmask_b32_e64 v7, 0x10000, 0, vcc_lo
	v_cndmask_b32_e64 v9, 0x10000, 0, s0
	v_cmp_eq_u16_e32 vcc_lo, v2, v37
	v_or_b32_e32 v52, v14, v8
	v_and_b32_e32 v8, 0xffff, v15
	v_cmp_eq_u16_e64 s0, v37, v3
	v_dual_lshrrev_b32 v25, 16, v4 :: v_dual_lshrrev_b32 v41, 16, v5
	s_delay_alu instid0(VALU_DEP_3) | instskip(NEXT) | instid1(VALU_DEP_3)
	v_dual_cndmask_b32 v2, s42, v29, vcc_lo :: v_dual_bitop2_b32 v48, v9, v8 bitop3:0x54
	v_cndmask_b32_e64 v10, s42, v10, s0
	v_cndmask_b32_e64 v8, 0x10000, 0, s0
	v_cmp_eq_u16_e64 s0, v38, v4
	v_or_b32_e32 v49, v7, v6
	v_cndmask_b32_e64 v6, 0x10000, 0, vcc_lo
	v_cmp_eq_u16_e32 vcc_lo, v3, v38
	v_and_b32_e32 v2, 0xffff, v2
	v_and_b32_e32 v7, 0xffff, v10
	v_dual_lshrrev_b32 v32, 16, v11 :: v_dual_lshrrev_b32 v33, 16, v12
	v_cndmask_b32_e32 v3, s42, v30, vcc_lo
	s_delay_alu instid0(VALU_DEP_4) | instskip(NEXT) | instid1(VALU_DEP_4)
	v_dual_cndmask_b32 v9, s42, v11, s0 :: v_dual_bitop2_b32 v46, v6, v2 bitop3:0x54
	v_or_b32_e32 v45, v8, v7
	v_cndmask_b32_e64 v7, 0x10000, 0, s0
	s_delay_alu instid0(VALU_DEP_4)
	v_and_b32_e32 v2, 0xffff, v3
	v_cndmask_b32_e64 v3, 0x10000, 0, vcc_lo
	v_cmp_eq_u16_e32 vcc_lo, v4, v25
	v_cmp_eq_u16_e64 s0, v25, v5
	v_and_b32_e32 v6, 0xffff, v9
	v_dual_lshrrev_b32 v34, 16, v13 :: v_dual_lshrrev_b32 v40, 16, v19
	v_cndmask_b32_e32 v4, s42, v32, vcc_lo
	s_delay_alu instid0(VALU_DEP_4)
	v_dual_cndmask_b32 v8, s42, v12, s0 :: v_dual_bitop2_b32 v43, v3, v2 bitop3:0x54
	v_cndmask_b32_e64 v3, 0x10000, 0, vcc_lo
	v_cmp_eq_u16_e32 vcc_lo, v5, v41
	v_or_b32_e32 v42, v7, v6
	v_and_b32_e32 v2, 0xffff, v4
	v_cndmask_b32_e64 v6, 0x10000, 0, s0
	v_cmp_eq_u16_e64 s0, v41, v20
	v_cndmask_b32_e32 v5, s42, v33, vcc_lo
	v_and_b32_e32 v4, 0xffff, v8
	v_or_b32_e32 v41, v3, v2
	v_cndmask_b32_e64 v3, 0x10000, 0, vcc_lo
	v_cndmask_b32_e64 v7, s42, v13, s0
	v_and_b32_e32 v2, 0xffff, v5
	v_cndmask_b32_e64 v5, 0x10000, 0, s0
	v_cmp_eq_u16_e32 vcc_lo, v20, v44
	v_cmp_eq_u16_e64 s0, v44, v21
	v_cmp_eq_u16_e64 s1, v21, v23
	v_or_b32_e32 v38, v6, v4
	v_and_b32_e32 v4, 0xffff, v7
	v_cndmask_b32_e32 v6, s42, v34, vcc_lo
	v_cndmask_b32_e64 v7, s42, v22, s0
	v_dual_cndmask_b32 v8, s42, v19, s1 :: v_dual_bitop2_b32 v37, v3, v2 bitop3:0x54
	v_cndmask_b32_e64 v9, 0x10000, 0, vcc_lo
	s_delay_alu instid0(VALU_DEP_4) | instskip(SKIP_1) | instid1(VALU_DEP_4)
	v_and_b32_e32 v6, 0xffff, v6
	v_cndmask_b32_e64 v10, 0x10000, 0, s0
	v_and_b32_e32 v8, 0xffff, v8
	v_cndmask_b32_e64 v11, 0x10000, 0, s1
	v_or_b32_e32 v36, v5, v4
	v_and_b32_e32 v7, 0xffff, v7
	v_or_b32_e32 v35, v9, v6
	v_cmp_ne_u16_e64 s5, v23, v1
	v_dual_mov_b32 v30, v53 :: v_dual_bitop2_b32 v33, v11, v8 bitop3:0x54
	s_delay_alu instid0(VALU_DEP_4) | instskip(NEXT) | instid1(VALU_DEP_3)
	v_dual_mov_b32 v10, v55 :: v_dual_bitop2_b32 v34, v10, v7 bitop3:0x54
	v_cndmask_b32_e64 v44, v40, s42, s5
	v_dual_mov_b32 v11, v39 :: v_dual_mov_b32 v32, v47
	v_dual_mov_b32 v29, v52 :: v_dual_mov_b32 v28, v49
	v_dual_mov_b32 v27, v48 :: v_dual_mov_b32 v26, v46
	v_dual_mov_b32 v25, v45 :: v_dual_mov_b32 v24, v43
	v_dual_mov_b32 v23, v42 :: v_dual_mov_b32 v22, v41
	v_dual_mov_b32 v21, v38 :: v_dual_mov_b32 v20, v37
	v_dual_mov_b32 v19, v36 :: v_dual_mov_b32 v17, v35
	v_dual_mov_b32 v16, v34 :: v_dual_mov_b32 v1, v33
	s_mov_b32 s3, -1
.LBB569_112:
	v_mov_b32_e32 v12, 0
	s_and_saveexec_b32 s0, s3
	s_cbranch_execz .LBB569_114
; %bb.113:
	v_and_b32_e32 v2, 0xffff, v44
	v_cndmask_b32_e64 v3, 0, 0x10000, s5
	v_dual_mov_b32 v1, v33 :: v_dual_mov_b32 v16, v34
	v_dual_mov_b32 v17, v35 :: v_dual_mov_b32 v19, v36
	s_delay_alu instid0(VALU_DEP_3)
	v_dual_mov_b32 v20, v37 :: v_dual_bitop2_b32 v12, v3, v2 bitop3:0x54
	v_dual_mov_b32 v21, v38 :: v_dual_mov_b32 v22, v41
	v_dual_mov_b32 v23, v42 :: v_dual_mov_b32 v24, v43
	;; [unrolled: 1-line block ×6, first 2 shown]
	v_mov_b32_e32 v11, v39
.LBB569_114:
	s_or_b32 exec_lo, exec_lo, s0
	v_dual_lshrrev_b32 v14, 16, v31 :: v_dual_bitop2_b32 v2, v27, v26 bitop3:0x54
	v_dual_lshrrev_b32 v33, 3, v0 :: v_dual_bitop2_b32 v3, v19, v17 bitop3:0x54
	v_or_b32_e32 v13, v16, v1
	v_cmp_gt_u32_e64 s17, 0x10000, v11
	v_cmp_gt_u32_e64 s16, 0x10000, v10
	;; [unrolled: 1-line block ×8, first 2 shown]
	v_or3_b32 v15, v2, v28, v29
	v_cmp_gt_u32_e64 s10, 0x10000, v25
	v_cmp_gt_u32_e64 s8, 0x10000, v24
	;; [unrolled: 1-line block ×8, first 2 shown]
	v_or3_b32 v34, v3, v20, v21
	v_cmp_gt_u32_e64 s2, 0x10000, v16
	v_cmp_gt_u32_e64 s0, 0x10000, v1
	;; [unrolled: 1-line block ×3, first 2 shown]
	s_cmp_lg_u32 s38, 0
	v_cmp_gt_u32_e32 vcc_lo, 32, v0
	s_barrier_signal -1
	s_barrier_wait -1
	s_cbranch_scc0 .LBB569_182
; %bb.115:
	v_dual_cndmask_b32 v2, 0, v31, s17 :: v_dual_bitop2_b32 v5, 28, v33 bitop3:0x40
	v_or3_b32 v3, v34, v22, v23
	v_or3_b32 v4, v15, v30, v32
	s_delay_alu instid0(VALU_DEP_3) | instskip(NEXT) | instid1(VALU_DEP_3)
	v_add_nc_u16 v2, v2, v11
	v_or3_b32 v3, v3, v24, v25
	s_delay_alu instid0(VALU_DEP_3) | instskip(NEXT) | instid1(VALU_DEP_3)
	v_or3_b32 v4, v4, v10, v11
	v_cndmask_b32_e64 v2, 0, v2, s16
	s_delay_alu instid0(VALU_DEP_3) | instskip(NEXT) | instid1(VALU_DEP_2)
	v_or3_b32 v3, v12, v13, v3
	v_add_nc_u16 v2, v2, v10
	s_delay_alu instid0(VALU_DEP_2) | instskip(SKIP_1) | instid1(VALU_DEP_3)
	v_bitop3_b32 v3, v3, 0xff0000, v4 bitop3:0xc8
	v_lshl_add_u32 v4, v0, 2, v5
	v_cndmask_b32_e64 v2, 0, v2, s15
	s_delay_alu instid0(VALU_DEP_1) | instskip(NEXT) | instid1(VALU_DEP_1)
	v_add_nc_u16 v2, v2, v32
	v_cndmask_b32_e64 v2, 0, v2, s14
	s_delay_alu instid0(VALU_DEP_1) | instskip(NEXT) | instid1(VALU_DEP_1)
	v_add_nc_u16 v2, v2, v30
	;; [unrolled: 3-line block ×16, first 2 shown]
	v_cndmask_b32_e64 v2, 0, v2, s18
	v_cmp_eq_u32_e64 s18, 0, v3
	s_delay_alu instid0(VALU_DEP_2) | instskip(NEXT) | instid1(VALU_DEP_2)
	v_add_nc_u16 v35, v2, v12
	v_cndmask_b32_e64 v36, 1, v14, s18
	ds_store_b16 v4, v35
	ds_store_b8 v4, v36 offset:2
	s_wait_dscnt 0x0
	s_barrier_signal -1
	s_barrier_wait -1
	s_and_saveexec_b32 s19, vcc_lo
	s_cbranch_execz .LBB569_127
; %bb.116:
	v_and_b32_e32 v2, 0xfc, v0
	v_lshlrev_b32_e32 v3, 5, v0
	s_mov_b32 s28, exec_lo
	s_delay_alu instid0(VALU_DEP_1)
	v_add_nc_u32_e32 v2, v2, v3
	ds_load_u8 v4, v2 offset:6
	ds_load_b32 v3, v2
	ds_load_u16 v5, v2 offset:4
	ds_load_u8 v6, v2 offset:10
	ds_load_u16 v7, v2 offset:8
	ds_load_u16 v8, v2 offset:12
	ds_load_u8 v9, v2 offset:14
	ds_load_u16 v37, v2 offset:16
	s_wait_dscnt 0x7
	v_cmp_eq_u16_e64 s18, 0, v4
	s_wait_dscnt 0x4
	s_delay_alu instid0(VALU_DEP_1) | instskip(SKIP_1) | instid1(VALU_DEP_2)
	v_dual_cndmask_b32 v38, 0, v3, s18 :: v_dual_bitop2_b32 v4, v6, v4 bitop3:0x54
	v_cmp_eq_u16_e64 s18, 0, v6
	v_add_nc_u16 v5, v38, v5
	ds_load_u8 v38, v2 offset:18
	v_cndmask_b32_e64 v5, 0, v5, s18
	s_wait_dscnt 0x2
	v_cmp_eq_u16_e64 s18, 0, v9
	s_delay_alu instid0(VALU_DEP_2) | instskip(SKIP_2) | instid1(VALU_DEP_1)
	v_add_nc_u16 v5, v5, v7
	ds_load_u8 v7, v2 offset:22
	v_cndmask_b32_e64 v5, 0, v5, s18
	v_add_nc_u16 v5, v5, v8
	ds_load_u16 v8, v2 offset:20
	ds_load_u16 v39, v2 offset:24
	ds_load_u8 v40, v2 offset:26
	ds_load_u16 v41, v2 offset:28
	ds_load_u8 v42, v2 offset:30
	s_wait_dscnt 0x6
	v_cmp_eq_u16_e64 s18, 0, v38
	v_bitop3_b16 v6, v4, v38, v9 bitop3:0xfe
	v_and_b32_e32 v4, 0x10000, v3
	s_delay_alu instid0(VALU_DEP_3)
	v_cndmask_b32_e64 v5, 0, v5, s18
	s_wait_dscnt 0x5
	v_cmp_eq_u16_e64 s18, 0, v7
	s_wait_dscnt 0x2
	v_bitop3_b16 v6, v6, v40, v7 bitop3:0xfe
	s_wait_dscnt 0x0
	v_and_b32_e32 v7, 1, v42
	v_add_nc_u16 v5, v5, v37
	s_delay_alu instid0(VALU_DEP_1) | instskip(SKIP_1) | instid1(VALU_DEP_2)
	v_cndmask_b32_e64 v5, 0, v5, s18
	v_cmp_eq_u16_e64 s18, 0, v40
	v_add_nc_u16 v5, v5, v8
	s_delay_alu instid0(VALU_DEP_1) | instskip(SKIP_1) | instid1(VALU_DEP_2)
	v_cndmask_b32_e64 v5, 0, v5, s18
	v_cmp_eq_u16_e64 s18, 0, v42
	;; [unrolled: 4-line block ×3, first 2 shown]
	v_add_nc_u16 v6, v5, v41
	s_delay_alu instid0(VALU_DEP_2) | instskip(SKIP_4) | instid1(VALU_DEP_4)
	v_cndmask_b32_e64 v8, 0x10000, v4, s18
	v_cmp_eq_u32_e64 s18, 1, v7
	v_and_b32_e32 v5, 0xff000000, v3
	v_mbcnt_lo_u32_b32 v7, -1, 0
	v_and_b32_e32 v9, 0xffff, v6
	v_cndmask_b32_e64 v8, v8, 0x10000, s18
	s_delay_alu instid0(VALU_DEP_1) | instskip(NEXT) | instid1(VALU_DEP_3)
	v_or_b32_e32 v37, v8, v5
	v_or3_b32 v38, v5, v9, v8
	s_delay_alu instid0(VALU_DEP_2) | instskip(NEXT) | instid1(VALU_DEP_2)
	v_dual_lshrrev_b32 v9, 16, v37 :: v_dual_bitop2_b32 v8, 15, v7 bitop3:0x40
	v_mov_b32_dpp v39, v38 row_shr:1 row_mask:0xf bank_mask:0xf
	s_delay_alu instid0(VALU_DEP_2)
	v_cmpx_ne_u32_e32 0, v8
	s_cbranch_execz .LBB569_118
; %bb.117:
	s_delay_alu instid0(VALU_DEP_2) | instskip(SKIP_1) | instid1(VALU_DEP_2)
	v_dual_lshrrev_b32 v9, 16, v37 :: v_dual_lshrrev_b32 v38, 16, v39
	v_and_b32_e32 v37, 0x10000, v37
	v_and_b32_e32 v9, 0xff, v9
	s_delay_alu instid0(VALU_DEP_1) | instskip(NEXT) | instid1(VALU_DEP_1)
	v_cmp_eq_u16_e64 s18, 0, v9
	v_dual_cndmask_b32 v39, 0, v39, s18 :: v_dual_bitop2_b32 v38, 1, v38 bitop3:0x40
	s_delay_alu instid0(VALU_DEP_4) | instskip(NEXT) | instid1(VALU_DEP_2)
	v_cmp_ne_u32_e64 s18, 0, v37
	v_add_nc_u16 v6, v39, v6
	s_delay_alu instid0(VALU_DEP_2) | instskip(NEXT) | instid1(VALU_DEP_2)
	v_cndmask_b32_e64 v9, v38, 1, s18
	v_and_b32_e32 v38, 0xffff, v6
	s_delay_alu instid0(VALU_DEP_2) | instskip(NEXT) | instid1(VALU_DEP_1)
	v_lshlrev_b32_e32 v37, 16, v9
	v_or3_b32 v38, v37, v38, v5
.LBB569_118:
	s_or_b32 exec_lo, exec_lo, s28
	s_delay_alu instid0(VALU_DEP_1)
	v_lshrrev_b32_e32 v37, 16, v38
	v_mov_b32_dpp v39, v38 row_shr:2 row_mask:0xf bank_mask:0xf
	s_mov_b32 s28, exec_lo
	v_cmpx_lt_u32_e32 1, v8
	s_cbranch_execz .LBB569_120
; %bb.119:
	v_and_b32_e32 v37, 0xff, v37
	v_and_b32_e32 v38, 0x10000, v38
	s_delay_alu instid0(VALU_DEP_2) | instskip(NEXT) | instid1(VALU_DEP_1)
	v_cmp_eq_u16_e64 s18, 0, v37
	v_dual_lshrrev_b32 v9, 16, v39 :: v_dual_cndmask_b32 v37, 0, v39, s18
	s_delay_alu instid0(VALU_DEP_1) | instskip(NEXT) | instid1(VALU_DEP_4)
	v_and_b32_e32 v9, 1, v9
	v_cmp_ne_u32_e64 s18, 0, v38
	s_delay_alu instid0(VALU_DEP_3) | instskip(NEXT) | instid1(VALU_DEP_2)
	v_add_nc_u16 v6, v37, v6
	v_cndmask_b32_e64 v9, v9, 1, s18
	s_delay_alu instid0(VALU_DEP_2) | instskip(NEXT) | instid1(VALU_DEP_2)
	v_and_b32_e32 v38, 0xffff, v6
	v_lshlrev_b32_e32 v37, 16, v9
	s_delay_alu instid0(VALU_DEP_1)
	v_or3_b32 v38, v37, v38, v5
	v_mov_b32_e32 v37, v9
.LBB569_120:
	s_or_b32 exec_lo, exec_lo, s28
	s_delay_alu instid0(VALU_DEP_2)
	v_mov_b32_dpp v39, v38 row_shr:4 row_mask:0xf bank_mask:0xf
	s_mov_b32 s28, exec_lo
	v_cmpx_lt_u32_e32 3, v8
	s_cbranch_execz .LBB569_122
; %bb.121:
	v_and_b32_e32 v38, 0xff, v37
	v_dual_lshrrev_b32 v9, 16, v39 :: v_dual_bitop2_b32 v37, 1, v37 bitop3:0x40
	s_delay_alu instid0(VALU_DEP_2) | instskip(NEXT) | instid1(VALU_DEP_1)
	v_cmp_eq_u16_e64 s18, 0, v38
	v_dual_cndmask_b32 v38, 0, v39, s18 :: v_dual_bitop2_b32 v9, 1, v9 bitop3:0x40
	s_delay_alu instid0(VALU_DEP_3) | instskip(NEXT) | instid1(VALU_DEP_2)
	v_cmp_eq_u32_e64 s18, 1, v37
	v_add_nc_u16 v6, v38, v6
	s_delay_alu instid0(VALU_DEP_2) | instskip(NEXT) | instid1(VALU_DEP_2)
	v_cndmask_b32_e64 v9, v9, 1, s18
	v_and_b32_e32 v38, 0xffff, v6
	s_delay_alu instid0(VALU_DEP_2) | instskip(NEXT) | instid1(VALU_DEP_1)
	v_lshlrev_b32_e32 v37, 16, v9
	v_or3_b32 v38, v37, v38, v5
	v_mov_b32_e32 v37, v9
.LBB569_122:
	s_or_b32 exec_lo, exec_lo, s28
	s_delay_alu instid0(VALU_DEP_2)
	v_mov_b32_dpp v39, v38 row_shr:8 row_mask:0xf bank_mask:0xf
	s_mov_b32 s28, exec_lo
	v_cmpx_lt_u32_e32 7, v8
	s_cbranch_execz .LBB569_124
; %bb.123:
	v_and_b32_e32 v9, 0xff, v37
	v_dual_lshrrev_b32 v8, 16, v39 :: v_dual_bitop2_b32 v37, 1, v37 bitop3:0x40
	s_delay_alu instid0(VALU_DEP_2) | instskip(NEXT) | instid1(VALU_DEP_1)
	v_cmp_eq_u16_e64 s18, 0, v9
	v_dual_cndmask_b32 v38, 0, v39, s18 :: v_dual_bitop2_b32 v8, 1, v8 bitop3:0x40
	s_delay_alu instid0(VALU_DEP_3) | instskip(NEXT) | instid1(VALU_DEP_2)
	v_cmp_eq_u32_e64 s18, 1, v37
	v_add_nc_u16 v6, v38, v6
	s_delay_alu instid0(VALU_DEP_2) | instskip(NEXT) | instid1(VALU_DEP_2)
	v_cndmask_b32_e64 v9, v8, 1, s18
	v_and_b32_e32 v37, 0xffff, v6
	s_delay_alu instid0(VALU_DEP_2) | instskip(NEXT) | instid1(VALU_DEP_1)
	v_lshlrev_b32_e32 v8, 16, v9
	v_or3_b32 v38, v8, v37, v5
	v_mov_b32_e32 v37, v9
.LBB569_124:
	s_or_b32 exec_lo, exec_lo, s28
	ds_swizzle_b32 v8, v38 offset:swizzle(BROADCAST,32,15)
	v_and_b32_e32 v38, 16, v7
	s_mov_b32 s28, exec_lo
	s_delay_alu instid0(VALU_DEP_1)
	v_cmpx_ne_u32_e32 0, v38
	s_cbranch_execz .LBB569_126
; %bb.125:
	v_and_b32_e32 v9, 0xff, v37
	s_delay_alu instid0(VALU_DEP_1) | instskip(SKIP_2) | instid1(VALU_DEP_1)
	v_cmp_eq_u16_e64 s18, 0, v9
	s_wait_dscnt 0x0
	v_dual_lshrrev_b32 v38, 16, v8 :: v_dual_bitop2_b32 v9, 1, v37 bitop3:0x40
	v_dual_cndmask_b32 v8, 0, v8, s18 :: v_dual_bitop2_b32 v37, 1, v38 bitop3:0x40
	s_delay_alu instid0(VALU_DEP_2) | instskip(NEXT) | instid1(VALU_DEP_2)
	v_cmp_eq_u32_e64 s18, 1, v9
	v_add_nc_u16 v6, v8, v6
	s_delay_alu instid0(VALU_DEP_2)
	v_cndmask_b32_e64 v9, v37, 1, s18
.LBB569_126:
	s_or_b32 exec_lo, exec_lo, s28
	s_wait_dscnt 0x0
	s_delay_alu instid0(VALU_DEP_1) | instskip(SKIP_2) | instid1(VALU_DEP_3)
	v_and_b32_e32 v8, 0xff, v9
	v_add_nc_u32_e32 v9, -1, v7
	v_and_b32_e32 v6, 0xffff, v6
	; wave barrier
	v_lshlrev_b32_e32 v8, 16, v8
	s_delay_alu instid0(VALU_DEP_3) | instskip(NEXT) | instid1(VALU_DEP_2)
	v_cmp_gt_i32_e64 s18, 0, v9
	v_or3_b32 v5, v8, v6, v5
	s_delay_alu instid0(VALU_DEP_2) | instskip(NEXT) | instid1(VALU_DEP_1)
	v_cndmask_b32_e64 v7, v9, v7, s18
	v_lshlrev_b32_e32 v6, 2, v7
	ds_bpermute_b32 v5, v6, v5
	v_and_b32_e32 v6, 0xff0000, v3
	s_delay_alu instid0(VALU_DEP_1) | instskip(SKIP_1) | instid1(VALU_DEP_1)
	v_cmp_eq_u32_e64 s18, 0, v6
	s_wait_dscnt 0x0
	v_dual_lshrrev_b32 v7, 16, v5 :: v_dual_cndmask_b32 v5, 0, v5, s18
	v_cmp_eq_u32_e64 s18, 0, v4
	s_delay_alu instid0(VALU_DEP_2) | instskip(NEXT) | instid1(VALU_DEP_3)
	v_and_b32_e32 v6, 1, v7
	v_add_nc_u16 v3, v5, v3
	s_delay_alu instid0(VALU_DEP_2) | instskip(SKIP_1) | instid1(VALU_DEP_1)
	v_cndmask_b32_e64 v4, 1, v6, s18
	v_cmp_eq_u32_e64 s18, 0, v0
	v_dual_cndmask_b32 v3, v3, v35, s18 :: v_dual_cndmask_b32 v4, v4, v36, s18
	ds_store_b16 v2, v3
	ds_store_b8 v2, v4 offset:2
	; wave barrier
	ds_load_u8 v5, v2 offset:6
	ds_load_u16 v6, v2 offset:4
	ds_load_u8 v7, v2 offset:10
	ds_load_u16 v8, v2 offset:8
	ds_load_u16 v9, v2 offset:12
	ds_load_u8 v37, v2 offset:14
	ds_load_u16 v38, v2 offset:16
	ds_load_u8 v39, v2 offset:18
	s_wait_dscnt 0x7
	v_cmp_eq_u16_e64 s18, 0, v5
	s_delay_alu instid0(VALU_DEP_1) | instskip(SKIP_3) | instid1(VALU_DEP_3)
	v_dual_cndmask_b32 v3, 0, v3, s18 :: v_dual_bitop2_b32 v5, 1, v5 bitop3:0x40
	s_wait_dscnt 0x5
	v_cmp_eq_u16_e64 s18, 0, v7
	v_and_b32_e32 v7, 1, v7
	v_add_nc_u16 v3, v3, v6
	s_delay_alu instid0(VALU_DEP_1) | instskip(SKIP_2) | instid1(VALU_DEP_2)
	v_cndmask_b32_e64 v6, 0, v3, s18
	s_wait_dscnt 0x2
	v_cmp_eq_u16_e64 s18, 0, v37
	v_add_nc_u16 v6, v6, v8
	ds_load_u8 v8, v2 offset:22
	ds_load_u16 v41, v2 offset:20
	ds_load_u8 v42, v2 offset:26
	ds_load_u8 v43, v2 offset:30
	v_cndmask_b32_e64 v40, 0, v6, s18
	v_cmp_eq_u32_e64 s18, 1, v5
	v_and_b32_e32 v5, 1, v37
	s_delay_alu instid0(VALU_DEP_3) | instskip(NEXT) | instid1(VALU_DEP_3)
	v_add_nc_u16 v9, v40, v9
	v_cndmask_b32_e64 v4, v4, 1, s18
	s_wait_dscnt 0x4
	v_cmp_eq_u16_e64 s18, 0, v39
	ds_load_u16 v40, v2 offset:24
	ds_load_u16 v44, v2 offset:28
	v_cndmask_b32_e64 v37, 0, v9, s18
	v_cmp_eq_u32_e64 s18, 1, v7
	s_delay_alu instid0(VALU_DEP_2) | instskip(NEXT) | instid1(VALU_DEP_2)
	v_add_nc_u16 v37, v37, v38
	v_cndmask_b32_e64 v7, v4, 1, s18
	v_cmp_eq_u32_e64 s18, 1, v5
	v_and_b32_e32 v38, 1, v39
	s_delay_alu instid0(VALU_DEP_2) | instskip(SKIP_2) | instid1(VALU_DEP_1)
	v_cndmask_b32_e64 v5, v7, 1, s18
	s_wait_dscnt 0x5
	v_cmp_eq_u16_e64 s18, 0, v8
	v_dual_cndmask_b32 v39, 0, v37, s18 :: v_dual_bitop2_b32 v8, 1, v8 bitop3:0x40
	v_cmp_eq_u32_e64 s18, 1, v38
	s_wait_dscnt 0x4
	s_delay_alu instid0(VALU_DEP_2) | instskip(NEXT) | instid1(VALU_DEP_2)
	v_add_nc_u16 v39, v39, v41
	v_cndmask_b32_e64 v38, v5, 1, s18
	v_cmp_eq_u32_e64 s18, 1, v8
	ds_store_b16 v2, v3 offset:4
	ds_store_b8 v2, v4 offset:6
	ds_store_b16 v2, v6 offset:8
	ds_store_b8 v2, v7 offset:10
	;; [unrolled: 2-line block ×4, first 2 shown]
	v_cndmask_b32_e64 v8, v38, 1, s18
	s_wait_dscnt 0xb
	v_cmp_eq_u16_e64 s18, 0, v42
	s_delay_alu instid0(VALU_DEP_1) | instskip(NEXT) | instid1(VALU_DEP_1)
	v_dual_cndmask_b32 v42, 0, v39, s18 :: v_dual_bitop2_b32 v41, 1, v42 bitop3:0x40
	v_cmp_eq_u32_e64 s18, 1, v41
	s_wait_dscnt 0x9
	s_delay_alu instid0(VALU_DEP_2) | instskip(SKIP_1) | instid1(VALU_DEP_3)
	v_add_nc_u16 v40, v42, v40
	v_and_b32_e32 v45, 1, v43
	v_cndmask_b32_e64 v41, v8, 1, s18
	s_delay_alu instid0(VALU_DEP_2) | instskip(NEXT) | instid1(VALU_DEP_1)
	v_cmp_eq_u32_e64 s18, 1, v45
	v_cndmask_b32_e64 v42, v41, 1, s18
	v_cmp_eq_u16_e64 s18, 0, v43
	s_delay_alu instid0(VALU_DEP_1) | instskip(SKIP_1) | instid1(VALU_DEP_1)
	v_cndmask_b32_e64 v43, 0, v40, s18
	s_wait_dscnt 0x8
	v_add_nc_u16 v3, v43, v44
	ds_store_b16 v2, v39 offset:20
	ds_store_b8 v2, v8 offset:22
	ds_store_b16 v2, v40 offset:24
	ds_store_b8 v2, v41 offset:26
	;; [unrolled: 2-line block ×3, first 2 shown]
.LBB569_127:
	s_or_b32 exec_lo, exec_lo, s19
	v_cmp_eq_u32_e64 s18, 0, v0
	s_mov_b32 s28, exec_lo
	s_wait_dscnt 0x0
	s_barrier_signal -1
	s_barrier_wait -1
	v_cmpx_ne_u32_e32 0, v0
	s_cbranch_execz .LBB569_129
; %bb.128:
	v_add_nc_u32_e32 v2, -1, v0
	s_delay_alu instid0(VALU_DEP_1) | instskip(NEXT) | instid1(VALU_DEP_1)
	v_lshrrev_b32_e32 v3, 3, v2
	v_and_b32_e32 v3, 0x1ffffffc, v3
	s_delay_alu instid0(VALU_DEP_1)
	v_lshl_add_u32 v2, v2, 2, v3
	ds_load_u16 v35, v2
	ds_load_u8 v36, v2 offset:2
.LBB569_129:
	s_or_b32 exec_lo, exec_lo, s28
	s_and_saveexec_b32 s28, vcc_lo
	s_cbranch_execz .LBB569_259
; %bb.130:
	v_mov_b32_e32 v9, 0
	v_mbcnt_lo_u32_b32 v37, -1, 0
	ds_load_b32 v2, v9 offset:1048
	v_cmp_eq_u32_e64 s19, 0, v37
	s_and_saveexec_b32 s29, s19
	s_cbranch_execz .LBB569_132
; %bb.131:
	s_add_co_i32 s39, s38, 32
	s_delay_alu instid0(SALU_CYCLE_1)
	v_dual_mov_b32 v3, 1 :: v_dual_mov_b32 v4, s39
	s_wait_dscnt 0x0
	global_store_b64 v4, v[2:3], s[24:25] scale_offset scope:SCOPE_DEV
.LBB569_132:
	s_wait_xcnt 0x0
	s_or_b32 exec_lo, exec_lo, s29
	v_xad_u32 v4, v37, -1, s38
	s_mov_b32 s29, exec_lo
	s_delay_alu instid0(VALU_DEP_1) | instskip(SKIP_4) | instid1(VALU_DEP_1)
	v_add_nc_u32_e32 v8, 32, v4
	global_load_b64 v[6:7], v8, s[24:25] scale_offset scope:SCOPE_DEV
	s_wait_loadcnt 0x0
	v_and_b32_e32 v3, 0xff, v7
	s_wait_xcnt 0x0
	v_cmpx_eq_u16_e32 0, v3
	s_cbranch_execz .LBB569_136
; %bb.133:
	v_lshl_add_u64 v[8:9], v[8:9], 3, s[24:25]
	s_mov_b32 s39, 0
.LBB569_134:                            ; =>This Inner Loop Header: Depth=1
	global_load_b64 v[6:7], v[8:9], off scope:SCOPE_DEV
	s_wait_loadcnt 0x0
	v_and_b32_e32 v3, 0xff, v7
	s_delay_alu instid0(VALU_DEP_1)
	v_cmp_ne_u16_e32 vcc_lo, 0, v3
	s_or_b32 s39, vcc_lo, s39
	s_wait_xcnt 0x0
	s_and_not1_b32 exec_lo, exec_lo, s39
	s_cbranch_execnz .LBB569_134
; %bb.135:
	s_or_b32 exec_lo, exec_lo, s39
.LBB569_136:
	s_delay_alu instid0(SALU_CYCLE_1)
	s_or_b32 exec_lo, exec_lo, s29
	v_cmp_ne_u32_e32 vcc_lo, 31, v37
	v_and_b32_e32 v46, 0xffffff, v6
	v_and_b32_e32 v5, 0xff, v7
	v_lshlrev_b32_e64 v38, v37, -1
	v_bfe_u32 v9, v6, 16, 8
	v_add_co_ci_u32_e64 v3, null, 0, v37, vcc_lo
	s_delay_alu instid0(VALU_DEP_4) | instskip(SKIP_1) | instid1(VALU_DEP_2)
	v_cmp_eq_u16_e32 vcc_lo, 2, v5
	s_mov_b32 s29, exec_lo
	v_dual_lshrrev_b32 v8, 16, v6 :: v_dual_lshlrev_b32 v3, 2, v3
	v_and_or_b32 v5, vcc_lo, v38, 0x80000000
	ds_bpermute_b32 v39, v3, v46
	v_ctz_i32_b32_e32 v5, v5
	s_delay_alu instid0(VALU_DEP_1)
	v_cmpx_lt_u32_e64 v37, v5
	s_cbranch_execz .LBB569_138
; %bb.137:
	v_and_b32_e32 v8, 0xff0000, v6
	s_delay_alu instid0(VALU_DEP_1) | instskip(SKIP_3) | instid1(VALU_DEP_1)
	v_and_b32_e32 v40, 0x10000, v8
	v_cmp_eq_u32_e32 vcc_lo, 0, v8
	s_wait_dscnt 0x0
	v_dual_lshrrev_b32 v9, 16, v39 :: v_dual_cndmask_b32 v39, 0, v39, vcc_lo
	v_and_b32_e32 v9, 1, v9
	v_cmp_ne_u32_e32 vcc_lo, 0, v40
	s_delay_alu instid0(VALU_DEP_3) | instskip(NEXT) | instid1(VALU_DEP_3)
	v_add_nc_u16 v6, v39, v6
	v_cndmask_b32_e64 v8, v9, 1, vcc_lo
	s_delay_alu instid0(VALU_DEP_2) | instskip(NEXT) | instid1(VALU_DEP_2)
	v_and_b32_e32 v39, 0xffff, v6
	v_lshlrev_b32_e32 v9, 16, v8
	s_delay_alu instid0(VALU_DEP_1)
	v_dual_mov_b32 v9, v8 :: v_dual_bitop2_b32 v46, v9, v39 bitop3:0x54
.LBB569_138:
	s_or_b32 exec_lo, exec_lo, s29
	v_cmp_gt_u32_e32 vcc_lo, 30, v37
	v_add_nc_u32_e32 v40, 2, v37
	s_mov_b32 s29, exec_lo
	s_wait_dscnt 0x0
	v_cndmask_b32_e64 v39, 0, 2, vcc_lo
	s_delay_alu instid0(VALU_DEP_1)
	v_add_lshl_u32 v39, v39, v37, 2
	ds_bpermute_b32 v41, v39, v46
	v_cmpx_le_u32_e64 v40, v5
	s_cbranch_execz .LBB569_140
; %bb.139:
	v_cmp_eq_u16_e32 vcc_lo, 0, v9
	s_wait_dscnt 0x0
	v_lshrrev_b32_e32 v8, 16, v41
	v_and_b32_e32 v9, 1, v9
	s_delay_alu instid0(VALU_DEP_2) | instskip(NEXT) | instid1(VALU_DEP_2)
	v_dual_cndmask_b32 v41, 0, v41, vcc_lo :: v_dual_bitop2_b32 v8, 1, v8 bitop3:0x40
	v_cmp_eq_u32_e32 vcc_lo, 1, v9
	s_delay_alu instid0(VALU_DEP_2) | instskip(NEXT) | instid1(VALU_DEP_3)
	v_add_nc_u16 v6, v41, v6
	v_cndmask_b32_e64 v8, v8, 1, vcc_lo
	s_delay_alu instid0(VALU_DEP_2) | instskip(NEXT) | instid1(VALU_DEP_2)
	v_and_b32_e32 v9, 0xffff, v6
	v_lshlrev_b32_e32 v41, 16, v8
	s_delay_alu instid0(VALU_DEP_1)
	v_dual_mov_b32 v9, v8 :: v_dual_bitop2_b32 v46, v41, v9 bitop3:0x54
.LBB569_140:
	s_or_b32 exec_lo, exec_lo, s29
	v_cmp_gt_u32_e32 vcc_lo, 28, v37
	v_add_nc_u32_e32 v42, 4, v37
	s_mov_b32 s29, exec_lo
	s_wait_dscnt 0x0
	v_cndmask_b32_e64 v41, 0, 4, vcc_lo
	s_delay_alu instid0(VALU_DEP_1)
	v_add_lshl_u32 v41, v41, v37, 2
	ds_bpermute_b32 v43, v41, v46
	v_cmpx_le_u32_e64 v42, v5
	s_cbranch_execz .LBB569_142
; %bb.141:
	v_cmp_eq_u16_e32 vcc_lo, 0, v9
	s_wait_dscnt 0x0
	v_dual_lshrrev_b32 v8, 16, v43 :: v_dual_bitop2_b32 v9, 1, v9 bitop3:0x40
	s_delay_alu instid0(VALU_DEP_1) | instskip(NEXT) | instid1(VALU_DEP_2)
	v_dual_cndmask_b32 v43, 0, v43, vcc_lo :: v_dual_bitop2_b32 v8, 1, v8 bitop3:0x40
	v_cmp_eq_u32_e32 vcc_lo, 1, v9
	s_delay_alu instid0(VALU_DEP_2) | instskip(NEXT) | instid1(VALU_DEP_3)
	v_add_nc_u16 v6, v43, v6
	v_cndmask_b32_e64 v8, v8, 1, vcc_lo
	s_delay_alu instid0(VALU_DEP_2) | instskip(NEXT) | instid1(VALU_DEP_2)
	v_and_b32_e32 v9, 0xffff, v6
	v_lshlrev_b32_e32 v43, 16, v8
	s_delay_alu instid0(VALU_DEP_1)
	v_dual_mov_b32 v9, v8 :: v_dual_bitop2_b32 v46, v43, v9 bitop3:0x54
.LBB569_142:
	s_or_b32 exec_lo, exec_lo, s29
	v_cmp_gt_u32_e32 vcc_lo, 24, v37
	v_add_nc_u32_e32 v44, 8, v37
	s_mov_b32 s29, exec_lo
	s_wait_dscnt 0x0
	v_cndmask_b32_e64 v43, 0, 8, vcc_lo
	s_delay_alu instid0(VALU_DEP_1)
	v_add_lshl_u32 v43, v43, v37, 2
	ds_bpermute_b32 v45, v43, v46
	v_cmpx_le_u32_e64 v44, v5
	s_cbranch_execz .LBB569_144
; %bb.143:
	v_cmp_eq_u16_e32 vcc_lo, 0, v9
	s_wait_dscnt 0x0
	v_lshrrev_b32_e32 v8, 16, v45
	v_and_b32_e32 v9, 1, v9
	s_delay_alu instid0(VALU_DEP_2) | instskip(NEXT) | instid1(VALU_DEP_2)
	v_dual_cndmask_b32 v45, 0, v45, vcc_lo :: v_dual_bitop2_b32 v8, 1, v8 bitop3:0x40
	v_cmp_eq_u32_e32 vcc_lo, 1, v9
	s_delay_alu instid0(VALU_DEP_2) | instskip(NEXT) | instid1(VALU_DEP_3)
	v_add_nc_u16 v6, v45, v6
	v_cndmask_b32_e64 v8, v8, 1, vcc_lo
	s_delay_alu instid0(VALU_DEP_2) | instskip(NEXT) | instid1(VALU_DEP_2)
	v_and_b32_e32 v9, 0xffff, v6
	v_lshlrev_b32_e32 v45, 16, v8
	s_delay_alu instid0(VALU_DEP_1)
	v_dual_mov_b32 v9, v8 :: v_dual_bitop2_b32 v46, v45, v9 bitop3:0x54
.LBB569_144:
	s_or_b32 exec_lo, exec_lo, s29
	s_wait_dscnt 0x0
	v_lshl_or_b32 v45, v37, 2, 64
	v_add_nc_u32_e32 v47, 16, v37
	s_mov_b32 s29, exec_lo
	ds_bpermute_b32 v46, v45, v46
	v_cmpx_le_u32_e64 v47, v5
	s_cbranch_execz .LBB569_146
; %bb.145:
	v_cmp_eq_u16_e32 vcc_lo, 0, v9
	s_wait_dscnt 0x0
	v_dual_lshrrev_b32 v5, 16, v46 :: v_dual_bitop2_b32 v9, 1, v9 bitop3:0x40
	s_delay_alu instid0(VALU_DEP_1) | instskip(NEXT) | instid1(VALU_DEP_2)
	v_dual_cndmask_b32 v8, 0, v46, vcc_lo :: v_dual_bitop2_b32 v5, 1, v5 bitop3:0x40
	v_cmp_eq_u32_e32 vcc_lo, 1, v9
	s_delay_alu instid0(VALU_DEP_2) | instskip(NEXT) | instid1(VALU_DEP_3)
	v_add_nc_u16 v6, v8, v6
	v_cndmask_b32_e64 v8, v5, 1, vcc_lo
.LBB569_146:
	s_or_b32 exec_lo, exec_lo, s29
	v_mov_b32_e32 v5, 0
	s_branch .LBB569_149
.LBB569_147:                            ;   in Loop: Header=BB569_149 Depth=1
	s_or_b32 exec_lo, exec_lo, s29
	v_and_b32_e32 v8, 0xff, v46
	v_subrev_nc_u32_e32 v4, 32, v4
	s_mov_b32 s29, 0
	v_and_b32_e32 v9, 1, v9
	s_delay_alu instid0(VALU_DEP_3) | instskip(SKIP_2) | instid1(VALU_DEP_2)
	v_cmp_eq_u16_e32 vcc_lo, 0, v8
	v_and_b32_e32 v8, 1, v46
	v_cndmask_b32_e32 v6, 0, v6, vcc_lo
	v_cmp_eq_u32_e32 vcc_lo, 1, v8
	s_delay_alu instid0(VALU_DEP_2)
	v_add_nc_u16 v6, v6, v48
	v_cndmask_b32_e64 v8, v9, 1, vcc_lo
.LBB569_148:                            ;   in Loop: Header=BB569_149 Depth=1
	s_and_b32 vcc_lo, exec_lo, s29
	s_cbranch_vccnz .LBB569_255
.LBB569_149:                            ; =>This Loop Header: Depth=1
                                        ;     Child Loop BB569_152 Depth 2
	v_and_b32_e32 v7, 0xff, v7
	s_wait_dscnt 0x0
	v_dual_mov_b32 v46, v8 :: v_dual_mov_b32 v48, v6
	s_mov_b32 s29, -1
                                        ; implicit-def: $vgpr8
	s_delay_alu instid0(VALU_DEP_2)
	v_cmp_ne_u16_e32 vcc_lo, 2, v7
                                        ; implicit-def: $vgpr6
	s_cmp_lg_u32 vcc_lo, exec_lo
	s_cbranch_scc1 .LBB569_148
; %bb.150:                              ;   in Loop: Header=BB569_149 Depth=1
	global_load_b64 v[6:7], v4, s[24:25] scale_offset scope:SCOPE_DEV
	s_mov_b32 s29, exec_lo
	s_wait_loadcnt 0x0
	v_and_b32_e32 v8, 0xff, v7
	s_wait_xcnt 0x0
	s_delay_alu instid0(VALU_DEP_1)
	v_cmpx_eq_u16_e32 0, v8
	s_cbranch_execz .LBB569_154
; %bb.151:                              ;   in Loop: Header=BB569_149 Depth=1
	v_lshl_add_u64 v[8:9], v[4:5], 3, s[24:25]
	s_mov_b32 s39, 0
.LBB569_152:                            ;   Parent Loop BB569_149 Depth=1
                                        ; =>  This Inner Loop Header: Depth=2
	global_load_b64 v[6:7], v[8:9], off scope:SCOPE_DEV
	s_wait_loadcnt 0x0
	v_and_b32_e32 v49, 0xff, v7
	s_delay_alu instid0(VALU_DEP_1)
	v_cmp_ne_u16_e32 vcc_lo, 0, v49
	s_or_b32 s39, vcc_lo, s39
	s_wait_xcnt 0x0
	s_and_not1_b32 exec_lo, exec_lo, s39
	s_cbranch_execnz .LBB569_152
; %bb.153:                              ;   in Loop: Header=BB569_149 Depth=1
	s_or_b32 exec_lo, exec_lo, s39
.LBB569_154:                            ;   in Loop: Header=BB569_149 Depth=1
	s_delay_alu instid0(SALU_CYCLE_1)
	s_or_b32 exec_lo, exec_lo, s29
	v_and_b32_e32 v50, 0xffffff, v6
	v_and_b32_e32 v8, 0xff, v7
	v_lshrrev_b32_e32 v9, 16, v6
	v_bfe_u32 v49, v6, 16, 8
	s_mov_b32 s29, exec_lo
	ds_bpermute_b32 v51, v3, v50
	v_cmp_eq_u16_e32 vcc_lo, 2, v8
	v_and_or_b32 v8, vcc_lo, v38, 0x80000000
	s_delay_alu instid0(VALU_DEP_1) | instskip(NEXT) | instid1(VALU_DEP_1)
	v_ctz_i32_b32_e32 v8, v8
	v_cmpx_lt_u32_e64 v37, v8
	s_cbranch_execz .LBB569_156
; %bb.155:                              ;   in Loop: Header=BB569_149 Depth=1
	v_and_b32_e32 v9, 0xff0000, v6
	s_delay_alu instid0(VALU_DEP_1) | instskip(SKIP_3) | instid1(VALU_DEP_1)
	v_and_b32_e32 v50, 0x10000, v9
	v_cmp_eq_u32_e32 vcc_lo, 0, v9
	s_wait_dscnt 0x0
	v_dual_lshrrev_b32 v49, 16, v51 :: v_dual_cndmask_b32 v51, 0, v51, vcc_lo
	v_and_b32_e32 v49, 1, v49
	v_cmp_ne_u32_e32 vcc_lo, 0, v50
	s_delay_alu instid0(VALU_DEP_3) | instskip(NEXT) | instid1(VALU_DEP_3)
	v_add_nc_u16 v6, v51, v6
	v_cndmask_b32_e64 v9, v49, 1, vcc_lo
	s_delay_alu instid0(VALU_DEP_2) | instskip(NEXT) | instid1(VALU_DEP_2)
	v_and_b32_e32 v50, 0xffff, v6
	v_lshlrev_b32_e32 v49, 16, v9
	s_delay_alu instid0(VALU_DEP_1)
	v_or_b32_e32 v50, v49, v50
	v_mov_b32_e32 v49, v9
.LBB569_156:                            ;   in Loop: Header=BB569_149 Depth=1
	s_or_b32 exec_lo, exec_lo, s29
	s_wait_dscnt 0x0
	ds_bpermute_b32 v51, v39, v50
	s_mov_b32 s29, exec_lo
	v_cmpx_le_u32_e64 v40, v8
	s_cbranch_execz .LBB569_158
; %bb.157:                              ;   in Loop: Header=BB569_149 Depth=1
	v_cmp_eq_u16_e32 vcc_lo, 0, v49
	s_wait_dscnt 0x0
	v_dual_lshrrev_b32 v9, 16, v51 :: v_dual_bitop2_b32 v49, 1, v49 bitop3:0x40
	s_delay_alu instid0(VALU_DEP_1) | instskip(NEXT) | instid1(VALU_DEP_2)
	v_dual_cndmask_b32 v50, 0, v51, vcc_lo :: v_dual_bitop2_b32 v9, 1, v9 bitop3:0x40
	v_cmp_eq_u32_e32 vcc_lo, 1, v49
	s_delay_alu instid0(VALU_DEP_2) | instskip(NEXT) | instid1(VALU_DEP_3)
	v_add_nc_u16 v6, v50, v6
	v_cndmask_b32_e64 v9, v9, 1, vcc_lo
	s_delay_alu instid0(VALU_DEP_2) | instskip(NEXT) | instid1(VALU_DEP_2)
	v_and_b32_e32 v49, 0xffff, v6
	v_lshlrev_b32_e32 v50, 16, v9
	s_delay_alu instid0(VALU_DEP_1)
	v_dual_mov_b32 v49, v9 :: v_dual_bitop2_b32 v50, v50, v49 bitop3:0x54
.LBB569_158:                            ;   in Loop: Header=BB569_149 Depth=1
	s_or_b32 exec_lo, exec_lo, s29
	s_wait_dscnt 0x0
	ds_bpermute_b32 v51, v41, v50
	s_mov_b32 s29, exec_lo
	v_cmpx_le_u32_e64 v42, v8
	s_cbranch_execz .LBB569_160
; %bb.159:                              ;   in Loop: Header=BB569_149 Depth=1
	v_cmp_eq_u16_e32 vcc_lo, 0, v49
	s_wait_dscnt 0x0
	v_dual_lshrrev_b32 v9, 16, v51 :: v_dual_bitop2_b32 v49, 1, v49 bitop3:0x40
	s_delay_alu instid0(VALU_DEP_1) | instskip(NEXT) | instid1(VALU_DEP_2)
	v_dual_cndmask_b32 v50, 0, v51, vcc_lo :: v_dual_bitop2_b32 v9, 1, v9 bitop3:0x40
	v_cmp_eq_u32_e32 vcc_lo, 1, v49
	s_delay_alu instid0(VALU_DEP_2) | instskip(NEXT) | instid1(VALU_DEP_3)
	v_add_nc_u16 v6, v50, v6
	v_cndmask_b32_e64 v9, v9, 1, vcc_lo
	s_delay_alu instid0(VALU_DEP_2) | instskip(NEXT) | instid1(VALU_DEP_2)
	v_and_b32_e32 v49, 0xffff, v6
	v_lshlrev_b32_e32 v50, 16, v9
	s_delay_alu instid0(VALU_DEP_1)
	v_dual_mov_b32 v49, v9 :: v_dual_bitop2_b32 v50, v50, v49 bitop3:0x54
.LBB569_160:                            ;   in Loop: Header=BB569_149 Depth=1
	;; [unrolled: 22-line block ×3, first 2 shown]
	s_or_b32 exec_lo, exec_lo, s29
	ds_bpermute_b32 v50, v45, v50
	s_mov_b32 s29, exec_lo
	v_cmpx_le_u32_e64 v47, v8
	s_cbranch_execz .LBB569_147
; %bb.163:                              ;   in Loop: Header=BB569_149 Depth=1
	v_cmp_eq_u16_e32 vcc_lo, 0, v49
	s_wait_dscnt 0x0
	v_dual_lshrrev_b32 v49, 16, v50 :: v_dual_bitop2_b32 v9, 1, v49 bitop3:0x40
	v_cndmask_b32_e32 v8, 0, v50, vcc_lo
	s_delay_alu instid0(VALU_DEP_2) | instskip(NEXT) | instid1(VALU_DEP_2)
	v_cmp_eq_u32_e32 vcc_lo, 1, v9
	v_add_nc_u16 v6, v8, v6
	s_delay_alu instid0(VALU_DEP_4)
	v_cndmask_b32_e64 v9, v49, 1, vcc_lo
	s_branch .LBB569_147
.LBB569_164:
	s_or_b32 exec_lo, exec_lo, s19
                                        ; implicit-def: $vgpr11
	s_and_saveexec_b32 s19, s0
	s_cbranch_execz .LBB569_45
.LBB569_165:
	flat_load_u16 v11, v0, s[28:29] offset:512 scale_offset
	s_wait_xcnt 0x0
	s_or_b32 exec_lo, exec_lo, s19
                                        ; implicit-def: $vgpr12
	s_and_saveexec_b32 s0, s1
	s_cbranch_execnz .LBB569_46
.LBB569_166:
	s_or_b32 exec_lo, exec_lo, s0
                                        ; implicit-def: $vgpr13
	s_and_saveexec_b32 s0, s2
	s_cbranch_execz .LBB569_47
.LBB569_167:
	flat_load_u16 v13, v0, s[28:29] offset:1536 scale_offset
	s_wait_xcnt 0x0
	s_or_b32 exec_lo, exec_lo, s0
                                        ; implicit-def: $vgpr16
	s_and_saveexec_b32 s0, s3
	s_cbranch_execnz .LBB569_48
.LBB569_168:
	s_or_b32 exec_lo, exec_lo, s0
                                        ; implicit-def: $vgpr17
	s_and_saveexec_b32 s0, s4
	s_cbranch_execz .LBB569_49
.LBB569_169:
	flat_load_u16 v17, v0, s[28:29] offset:2560 scale_offset
	s_wait_xcnt 0x0
	s_or_b32 exec_lo, exec_lo, s0
                                        ; implicit-def: $vgpr18
	s_and_saveexec_b32 s0, s5
	s_cbranch_execnz .LBB569_50
.LBB569_170:
	s_or_b32 exec_lo, exec_lo, s0
                                        ; implicit-def: $vgpr19
	s_and_saveexec_b32 s0, s6
	s_cbranch_execz .LBB569_51
.LBB569_171:
	flat_load_u16 v19, v0, s[28:29] offset:3584 scale_offset
	s_wait_xcnt 0x0
	s_or_b32 exec_lo, exec_lo, s0
                                        ; implicit-def: $vgpr20
	s_and_saveexec_b32 s0, s7
	s_cbranch_execnz .LBB569_52
.LBB569_172:
	s_or_b32 exec_lo, exec_lo, s0
                                        ; implicit-def: $vgpr21
	s_and_saveexec_b32 s0, s8
	s_cbranch_execz .LBB569_53
.LBB569_173:
	flat_load_u16 v21, v0, s[28:29] offset:4608 scale_offset
	s_wait_xcnt 0x0
	s_or_b32 exec_lo, exec_lo, s0
                                        ; implicit-def: $vgpr22
	s_and_saveexec_b32 s0, s9
	s_cbranch_execnz .LBB569_54
.LBB569_174:
	s_or_b32 exec_lo, exec_lo, s0
                                        ; implicit-def: $vgpr23
	s_and_saveexec_b32 s0, s10
	s_cbranch_execz .LBB569_55
.LBB569_175:
	flat_load_u16 v23, v0, s[28:29] offset:5632 scale_offset
	s_wait_xcnt 0x0
	s_or_b32 exec_lo, exec_lo, s0
                                        ; implicit-def: $vgpr24
	s_and_saveexec_b32 s0, s11
	s_cbranch_execnz .LBB569_56
.LBB569_176:
	s_or_b32 exec_lo, exec_lo, s0
                                        ; implicit-def: $vgpr25
	s_and_saveexec_b32 s0, s12
	s_cbranch_execz .LBB569_57
.LBB569_177:
	flat_load_u16 v25, v0, s[28:29] offset:6656 scale_offset
	s_wait_xcnt 0x0
	s_or_b32 exec_lo, exec_lo, s0
                                        ; implicit-def: $vgpr26
	s_and_saveexec_b32 s0, s13
	s_cbranch_execnz .LBB569_58
.LBB569_178:
	s_or_b32 exec_lo, exec_lo, s0
                                        ; implicit-def: $vgpr27
	s_and_saveexec_b32 s0, s14
	s_cbranch_execz .LBB569_59
.LBB569_179:
	flat_load_u16 v27, v0, s[28:29] offset:7680 scale_offset
	s_wait_xcnt 0x0
	s_or_b32 exec_lo, exec_lo, s0
                                        ; implicit-def: $vgpr28
	s_and_saveexec_b32 s0, s15
	s_cbranch_execnz .LBB569_60
.LBB569_180:
	s_or_b32 exec_lo, exec_lo, s0
                                        ; implicit-def: $vgpr29
	s_and_saveexec_b32 s0, s16
	s_cbranch_execz .LBB569_61
.LBB569_181:
	flat_load_u16 v29, v0, s[28:29] offset:8704 scale_offset
	s_wait_xcnt 0x0
	s_or_b32 exec_lo, exec_lo, s0
                                        ; implicit-def: $vgpr30
	s_and_saveexec_b32 s0, s17
	s_cbranch_execz .LBB569_63
	s_branch .LBB569_62
.LBB569_182:
                                        ; implicit-def: $vgpr4
                                        ; implicit-def: $vgpr5
                                        ; implicit-def: $vgpr6
                                        ; implicit-def: $vgpr7
                                        ; implicit-def: $vgpr8
                                        ; implicit-def: $vgpr9
                                        ; implicit-def: $vgpr36
                                        ; implicit-def: $vgpr38
                                        ; implicit-def: $vgpr35
                                        ; implicit-def: $vgpr37
                                        ; implicit-def: $vgpr39
                                        ; implicit-def: $vgpr40
                                        ; implicit-def: $vgpr41
                                        ; implicit-def: $vgpr42
                                        ; implicit-def: $vgpr43
                                        ; implicit-def: $vgpr45
                                        ; implicit-def: $vgpr44
                                        ; implicit-def: $vgpr46
                                        ; implicit-def: $vgpr47
                                        ; implicit-def: $vgpr48
	s_cbranch_execnz .LBB569_260
.LBB569_183:
	s_add_nc_u64 s[0:1], s[22:23], s[34:35]
	s_and_b32 vcc_lo, exec_lo, s27
	s_add_nc_u64 s[0:1], s[0:1], s[20:21]
	s_cbranch_vccz .LBB569_279
.LBB569_184:
	v_mul_u32_u24_e32 v1, 20, v0
	s_add_co_i32 s33, s33, s26
	s_mov_b32 s2, exec_lo
	s_delay_alu instid0(VALU_DEP_1)
	v_cmpx_gt_u32_e64 s33, v1
	s_cbranch_execz .LBB569_216
; %bb.185:
	v_or_b32_e32 v2, 1, v1
	s_mov_b32 s3, exec_lo
	s_delay_alu instid0(VALU_DEP_1)
	v_cmpx_gt_u32_e64 s33, v2
	s_cbranch_execz .LBB569_215
; %bb.186:
	v_or_b32_e32 v2, 2, v1
	;; [unrolled: 6-line block ×3, first 2 shown]
	s_mov_b32 s5, exec_lo
	s_delay_alu instid0(VALU_DEP_1)
	v_cmpx_gt_u32_e64 s33, v2
	s_cbranch_execz .LBB569_213
; %bb.188:
	v_add_nc_u32_e32 v2, 4, v1
	s_mov_b32 s6, exec_lo
	s_delay_alu instid0(VALU_DEP_1)
	v_cmpx_gt_u32_e64 s33, v2
	s_cbranch_execz .LBB569_212
; %bb.189:
	v_add_nc_u32_e32 v2, 5, v1
	;; [unrolled: 6-line block ×12, first 2 shown]
	s_mov_b32 s17, exec_lo
	s_delay_alu instid0(VALU_DEP_1)
	v_cmpx_gt_u32_e64 s33, v2
; %bb.200:
	v_add_nc_u32_e32 v2, 16, v1
	s_mov_b32 s18, exec_lo
	s_delay_alu instid0(VALU_DEP_1)
	v_cmpx_gt_u32_e64 s33, v2
	s_or_b32 exec_lo, exec_lo, s18
; %bb.201:
	s_delay_alu instid0(SALU_CYCLE_1)
	s_or_b32 exec_lo, exec_lo, s17
.LBB569_202:
	s_delay_alu instid0(SALU_CYCLE_1)
	s_or_b32 exec_lo, exec_lo, s16
.LBB569_203:
	s_delay_alu instid0(SALU_CYCLE_1)
	s_or_b32 exec_lo, exec_lo, s15
.LBB569_204:
	s_delay_alu instid0(SALU_CYCLE_1)
	s_or_b32 exec_lo, exec_lo, s14
.LBB569_205:
	s_delay_alu instid0(SALU_CYCLE_1)
	s_or_b32 exec_lo, exec_lo, s13
.LBB569_206:
	s_delay_alu instid0(SALU_CYCLE_1)
	s_or_b32 exec_lo, exec_lo, s12
.LBB569_207:
	s_delay_alu instid0(SALU_CYCLE_1)
	s_or_b32 exec_lo, exec_lo, s11
.LBB569_208:
	s_delay_alu instid0(SALU_CYCLE_1)
	s_or_b32 exec_lo, exec_lo, s10
.LBB569_209:
	s_delay_alu instid0(SALU_CYCLE_1)
	s_or_b32 exec_lo, exec_lo, s9
.LBB569_210:
	s_delay_alu instid0(SALU_CYCLE_1)
	s_or_b32 exec_lo, exec_lo, s8
.LBB569_211:
	s_delay_alu instid0(SALU_CYCLE_1)
	s_or_b32 exec_lo, exec_lo, s7
.LBB569_212:
	s_delay_alu instid0(SALU_CYCLE_1)
	s_or_b32 exec_lo, exec_lo, s6
.LBB569_213:
	s_delay_alu instid0(SALU_CYCLE_1)
	s_or_b32 exec_lo, exec_lo, s5
.LBB569_214:
	s_delay_alu instid0(SALU_CYCLE_1)
	s_or_b32 exec_lo, exec_lo, s4
.LBB569_215:
	s_delay_alu instid0(SALU_CYCLE_1)
	s_or_b32 exec_lo, exec_lo, s3
.LBB569_216:
	s_delay_alu instid0(SALU_CYCLE_1)
	s_or_b32 exec_lo, exec_lo, s2
	v_dual_lshlrev_b32 v27, 1, v1 :: v_dual_mov_b32 v19, 0
	v_perm_b32 v3, v38, v36, 0x5040100
	v_perm_b32 v2, v9, v8, 0x5040100
	;; [unrolled: 1-line block ×4, first 2 shown]
	v_mad_i32_i24 v1, 0xffffffda, v0, v27
	v_perm_b32 v13, v45, v43, 0x5040100
	v_perm_b32 v12, v42, v41, 0x5040100
	;; [unrolled: 1-line block ×6, first 2 shown]
	s_wait_storecnt 0x0
	s_barrier_signal -1
	s_barrier_wait -1
	ds_store_2addr_b64 v27, v[10:11], v[2:3] offset1:1
	ds_store_2addr_b64 v27, v[14:15], v[12:13] offset0:2 offset1:3
	ds_store_b64 v27, v[16:17] offset:32
	s_wait_dscnt 0x0
	s_barrier_signal -1
	s_barrier_wait -1
	ds_load_u16 v30, v1 offset:512
	ds_load_u16 v29, v1 offset:1024
	ds_load_u16 v28, v1 offset:1536
	ds_load_u16 v26, v1 offset:2048
	ds_load_u16 v25, v1 offset:2560
	ds_load_u16 v24, v1 offset:3072
	ds_load_u16 v23, v1 offset:3584
	ds_load_u16 v22, v1 offset:4096
	ds_load_u16 v21, v1 offset:4608
	ds_load_u16 v20, v1 offset:5120
	ds_load_u16 v17, v1 offset:5632
	ds_load_u16 v16, v1 offset:6144
	ds_load_u16 v15, v1 offset:6656
	ds_load_u16 v14, v1 offset:7168
	ds_load_u16 v13, v1 offset:7680
	ds_load_u16 v12, v1 offset:8192
	ds_load_u16 v11, v1 offset:8704
	ds_load_u16 v10, v1 offset:9216
	ds_load_u16 v1, v1 offset:9728
	v_add_nc_u64_e32 v[2:3], s[0:1], v[18:19]
	s_mov_b32 s2, exec_lo
	v_cmpx_gt_u32_e64 s33, v0
	s_cbranch_execz .LBB569_218
; %bb.217:
	v_mul_i32_i24_e32 v18, 0xffffffda, v0
	s_delay_alu instid0(VALU_DEP_1)
	v_add_nc_u32_e32 v18, v27, v18
	ds_load_u16 v18, v18
	s_wait_dscnt 0x0
	flat_store_b16 v[2:3], v18
.LBB569_218:
	s_wait_xcnt 0x0
	s_or_b32 exec_lo, exec_lo, s2
	v_or_b32_e32 v18, 0x100, v0
	s_mov_b32 s2, exec_lo
	s_delay_alu instid0(VALU_DEP_1)
	v_cmpx_gt_u32_e64 s33, v18
	s_cbranch_execz .LBB569_220
; %bb.219:
	s_wait_dscnt 0x12
	flat_store_b16 v[2:3], v30 offset:512
.LBB569_220:
	s_wait_xcnt 0x0
	s_or_b32 exec_lo, exec_lo, s2
	v_or_b32_e32 v18, 0x200, v0
	s_mov_b32 s2, exec_lo
	s_delay_alu instid0(VALU_DEP_1)
	v_cmpx_gt_u32_e64 s33, v18
	s_cbranch_execz .LBB569_222
; %bb.221:
	s_wait_dscnt 0x11
	flat_store_b16 v[2:3], v29 offset:1024
.LBB569_222:
	;; [unrolled: 11-line block ×11, first 2 shown]
	s_wait_xcnt 0x0
	s_or_b32 exec_lo, exec_lo, s2
	s_wait_dscnt 0x8
	v_or_b32_e32 v17, 0xc00, v0
	s_mov_b32 s2, exec_lo
	s_delay_alu instid0(VALU_DEP_1)
	v_cmpx_gt_u32_e64 s33, v17
	s_cbranch_execz .LBB569_242
; %bb.241:
	s_wait_dscnt 0x7
	flat_store_b16 v[2:3], v16 offset:6144
.LBB569_242:
	s_wait_xcnt 0x0
	s_or_b32 exec_lo, exec_lo, s2
	s_wait_dscnt 0x7
	v_or_b32_e32 v16, 0xd00, v0
	s_mov_b32 s2, exec_lo
	s_delay_alu instid0(VALU_DEP_1)
	v_cmpx_gt_u32_e64 s33, v16
	s_cbranch_execz .LBB569_244
; %bb.243:
	s_wait_dscnt 0x6
	flat_store_b16 v[2:3], v15 offset:6656
.LBB569_244:
	;; [unrolled: 12-line block ×7, first 2 shown]
	s_wait_xcnt 0x0
	s_or_b32 exec_lo, exec_lo, s2
	v_or_b32_e32 v2, 0x1300, v0
	s_delay_alu instid0(VALU_DEP_1)
	v_cmp_gt_u32_e64 s2, s33, v2
	s_branch .LBB569_281
.LBB569_255:
	s_and_saveexec_b32 s29, s19
	s_cbranch_execz .LBB569_257
; %bb.256:
	v_and_b32_e32 v3, 0xff0000, v2
	v_and_b32_e32 v5, 0x10000, v2
	s_add_co_i32 s19, s38, 32
	s_delay_alu instid0(VALU_DEP_2) | instskip(SKIP_1) | instid1(VALU_DEP_1)
	v_cmp_eq_u32_e32 vcc_lo, 0, v3
	v_dual_cndmask_b32 v3, 0, v48, vcc_lo :: v_dual_bitop2_b32 v4, 1, v46 bitop3:0x40
	v_lshlrev_b32_e32 v4, 16, v4
	v_cmp_eq_u32_e32 vcc_lo, 0, v5
	s_delay_alu instid0(VALU_DEP_3) | instskip(NEXT) | instid1(VALU_DEP_3)
	v_add_nc_u16 v2, v3, v2
	v_dual_mov_b32 v3, 2 :: v_dual_cndmask_b32 v4, 0x10000, v4
	s_delay_alu instid0(VALU_DEP_2) | instskip(NEXT) | instid1(VALU_DEP_1)
	v_and_b32_e32 v2, 0xffff, v2
	v_dual_mov_b32 v4, s19 :: v_dual_bitop2_b32 v2, v4, v2 bitop3:0x54
	global_store_b64 v4, v[2:3], s[24:25] scale_offset scope:SCOPE_DEV
.LBB569_257:
	s_wait_xcnt 0x0
	s_or_b32 exec_lo, exec_lo, s29
	s_delay_alu instid0(SALU_CYCLE_1)
	s_and_b32 exec_lo, exec_lo, s18
	s_cbranch_execz .LBB569_259
; %bb.258:
	v_mov_b32_e32 v2, 0
	ds_store_b16 v2, v48
	ds_store_b8 v2, v46 offset:2
.LBB569_259:
	s_or_b32 exec_lo, exec_lo, s28
	v_mov_b32_e32 v2, 0
	s_wait_storecnt_dscnt 0x0
	s_barrier_signal -1
	s_barrier_wait -1
	ds_load_b32 v2, v2
	v_and_b32_e32 v3, 0xff, v36
	v_and_b32_e32 v5, 0xff0000, v31
	s_delay_alu instid0(VALU_DEP_2) | instskip(SKIP_2) | instid1(VALU_DEP_3)
	v_cmp_eq_u16_e32 vcc_lo, 0, v3
	s_wait_dscnt 0x0
	v_cndmask_b32_e32 v3, 0, v2, vcc_lo
	v_cmp_eq_u32_e32 vcc_lo, 0, v5
	s_delay_alu instid0(VALU_DEP_2) | instskip(NEXT) | instid1(VALU_DEP_1)
	v_add_nc_u16 v3, v3, v35
	v_cndmask_b32_e64 v4, v3, v2, s18
	s_delay_alu instid0(VALU_DEP_1) | instskip(NEXT) | instid1(VALU_DEP_1)
	v_cndmask_b32_e32 v2, 0, v4, vcc_lo
	v_add_nc_u16 v5, v2, v31
	s_delay_alu instid0(VALU_DEP_1) | instskip(NEXT) | instid1(VALU_DEP_1)
	v_cndmask_b32_e64 v2, 0, v5, s17
	v_add_nc_u16 v6, v2, v11
	s_delay_alu instid0(VALU_DEP_1) | instskip(NEXT) | instid1(VALU_DEP_1)
	v_cndmask_b32_e64 v2, 0, v6, s16
	;; [unrolled: 3-line block ×18, first 2 shown]
	v_add_nc_u16 v48, v2, v1
	s_branch .LBB569_183
.LBB569_260:
	s_cmp_eq_u64 s[36:37], 0
	v_mov_b32_e32 v2, s42
	s_cselect_b32 s0, -1, 0
	s_cmp_eq_u64 s[30:31], 0
	s_cselect_b32 s1, -1, 0
	s_delay_alu instid0(SALU_CYCLE_1) | instskip(NEXT) | instid1(SALU_CYCLE_1)
	s_or_b32 s0, s0, s1
	s_and_b32 vcc_lo, exec_lo, s0
	s_cbranch_vccnz .LBB569_262
; %bb.261:
	v_mov_b32_e32 v2, 0
	global_load_u16 v2, v2, s[30:31]
.LBB569_262:
	v_cmp_gt_u32_e32 vcc_lo, 0x10000, v11
	v_cmp_gt_u32_e64 s0, 0x10000, v10
	v_cmp_gt_u32_e64 s1, 0x10000, v32
	v_cmp_gt_u32_e64 s2, 0x10000, v30
	v_cmp_gt_u32_e64 s3, 0x10000, v29
	v_dual_cndmask_b32 v3, 0, v31, vcc_lo :: v_dual_bitop2_b32 v6, 28, v33 bitop3:0x40
	v_cmp_gt_u32_e64 s4, 0x10000, v28
	v_cmp_gt_u32_e64 s5, 0x10000, v27
	;; [unrolled: 1-line block ×3, first 2 shown]
	s_delay_alu instid0(VALU_DEP_4)
	v_add_nc_u16 v3, v3, v11
	v_cmp_gt_u32_e64 s7, 0x10000, v25
	v_cmp_gt_u32_e64 s8, 0x10000, v24
	;; [unrolled: 1-line block ×4, first 2 shown]
	v_cndmask_b32_e64 v3, 0, v3, s0
	v_cmp_gt_u32_e64 s11, 0x10000, v21
	v_cmp_gt_u32_e64 s12, 0x10000, v20
	;; [unrolled: 1-line block ×4, first 2 shown]
	v_add_nc_u16 v3, v3, v10
	v_cmp_gt_u32_e64 s15, 0x10000, v16
	v_or3_b32 v4, v34, v22, v23
	v_or3_b32 v5, v15, v30, v32
	v_cmp_gt_u32_e64 s16, 0x10000, v1
	v_cndmask_b32_e64 v3, 0, v3, s1
	v_cmp_gt_u32_e64 s17, 0x10000, v12
	v_or3_b32 v4, v4, v24, v25
	v_or3_b32 v5, v5, v10, v11
	v_lshl_add_u32 v6, v0, 2, v6
	v_add_nc_u16 v3, v3, v32
	s_mov_b32 s18, exec_lo
	v_or3_b32 v4, v12, v13, v4
	s_delay_alu instid0(VALU_DEP_2) | instskip(NEXT) | instid1(VALU_DEP_2)
	v_cndmask_b32_e64 v3, 0, v3, s2
	v_bitop3_b32 v5, v4, 0xff0000, v5 bitop3:0xc8
	s_delay_alu instid0(VALU_DEP_2) | instskip(NEXT) | instid1(VALU_DEP_1)
	v_add_nc_u16 v3, v3, v30
	v_cndmask_b32_e64 v3, 0, v3, s3
	s_delay_alu instid0(VALU_DEP_1) | instskip(NEXT) | instid1(VALU_DEP_1)
	v_add_nc_u16 v3, v3, v29
	v_cndmask_b32_e64 v3, 0, v3, s4
	s_delay_alu instid0(VALU_DEP_1) | instskip(NEXT) | instid1(VALU_DEP_1)
	;; [unrolled: 3-line block ×14, first 2 shown]
	v_add_nc_u16 v3, v3, v1
	v_cndmask_b32_e64 v3, 0, v3, s17
	v_cmp_eq_u32_e64 s17, 0, v5
	s_delay_alu instid0(VALU_DEP_2) | instskip(NEXT) | instid1(VALU_DEP_2)
	v_add_nc_u16 v4, v3, v12
	v_cndmask_b32_e64 v5, 1, v14, s17
	ds_store_b16 v6, v4
	ds_store_b8 v6, v5 offset:2
	s_wait_loadcnt_dscnt 0x0
	s_barrier_signal -1
	s_barrier_wait -1
	v_cmpx_gt_u32_e32 32, v0
	s_cbranch_execz .LBB569_274
; %bb.263:
	v_and_b32_e32 v3, 0xfc, v0
	v_lshlrev_b32_e32 v6, 5, v0
	s_mov_b32 s19, exec_lo
	s_delay_alu instid0(VALU_DEP_1)
	v_add_nc_u32_e32 v3, v3, v6
	ds_load_u8 v7, v3 offset:6
	ds_load_b32 v6, v3
	ds_load_u16 v8, v3 offset:4
	ds_load_u8 v9, v3 offset:10
	ds_load_u16 v12, v3 offset:8
	ds_load_u16 v13, v3 offset:12
	ds_load_u8 v14, v3 offset:14
	ds_load_u16 v15, v3 offset:16
	s_wait_dscnt 0x7
	v_cmp_eq_u16_e64 s17, 0, v7
	s_wait_dscnt 0x4
	s_delay_alu instid0(VALU_DEP_1) | instskip(SKIP_1) | instid1(VALU_DEP_2)
	v_dual_cndmask_b32 v33, 0, v6, s17 :: v_dual_bitop2_b32 v7, v9, v7 bitop3:0x54
	v_cmp_eq_u16_e64 s17, 0, v9
	v_add_nc_u16 v8, v33, v8
	ds_load_u8 v33, v3 offset:18
	v_cndmask_b32_e64 v8, 0, v8, s17
	s_wait_dscnt 0x2
	v_cmp_eq_u16_e64 s17, 0, v14
	s_delay_alu instid0(VALU_DEP_2) | instskip(SKIP_2) | instid1(VALU_DEP_1)
	v_add_nc_u16 v8, v8, v12
	ds_load_u8 v12, v3 offset:22
	v_cndmask_b32_e64 v8, 0, v8, s17
	v_add_nc_u16 v8, v8, v13
	s_wait_dscnt 0x1
	v_cmp_eq_u16_e64 s17, 0, v33
	ds_load_u16 v13, v3 offset:20
	ds_load_u16 v34, v3 offset:24
	ds_load_u8 v35, v3 offset:26
	ds_load_u16 v36, v3 offset:28
	ds_load_u8 v37, v3 offset:30
	v_bitop3_b16 v9, v7, v33, v14 bitop3:0xfe
	v_and_b32_e32 v7, 0x10000, v6
	v_cndmask_b32_e64 v8, 0, v8, s17
	s_delay_alu instid0(VALU_DEP_1) | instskip(SKIP_2) | instid1(VALU_DEP_1)
	v_add_nc_u16 v8, v8, v15
	s_wait_dscnt 0x5
	v_cmp_eq_u16_e64 s17, 0, v12
	v_cndmask_b32_e64 v8, 0, v8, s17
	s_wait_dscnt 0x2
	v_cmp_eq_u16_e64 s17, 0, v35
	v_bitop3_b16 v9, v9, v35, v12 bitop3:0xfe
	s_delay_alu instid0(VALU_DEP_3) | instskip(SKIP_1) | instid1(VALU_DEP_1)
	v_add_nc_u16 v8, v8, v13
	s_wait_dscnt 0x0
	v_dual_cndmask_b32 v8, 0, v8, s17 :: v_dual_bitop2_b32 v12, 1, v37 bitop3:0x40
	v_cmp_eq_u16_e64 s17, 0, v37
	s_delay_alu instid0(VALU_DEP_2) | instskip(NEXT) | instid1(VALU_DEP_1)
	v_add_nc_u16 v8, v8, v34
	v_cndmask_b32_e64 v8, 0, v8, s17
	v_cmp_eq_u16_e64 s17, 0, v9
	s_delay_alu instid0(VALU_DEP_2) | instskip(NEXT) | instid1(VALU_DEP_2)
	v_add_nc_u16 v9, v8, v36
	v_cndmask_b32_e64 v13, 0x10000, v7, s17
	v_cmp_eq_u32_e64 s17, 1, v12
	v_and_b32_e32 v8, 0xff000000, v6
	v_mbcnt_lo_u32_b32 v12, -1, 0
	v_and_b32_e32 v14, 0xffff, v9
	s_delay_alu instid0(VALU_DEP_4) | instskip(NEXT) | instid1(VALU_DEP_1)
	v_cndmask_b32_e64 v13, v13, 0x10000, s17
	v_or_b32_e32 v15, v13, v8
	s_delay_alu instid0(VALU_DEP_3) | instskip(NEXT) | instid1(VALU_DEP_2)
	v_or3_b32 v33, v8, v14, v13
	v_dual_lshrrev_b32 v14, 16, v15 :: v_dual_bitop2_b32 v13, 15, v12 bitop3:0x40
	s_delay_alu instid0(VALU_DEP_2) | instskip(NEXT) | instid1(VALU_DEP_2)
	v_mov_b32_dpp v34, v33 row_shr:1 row_mask:0xf bank_mask:0xf
	v_cmpx_ne_u32_e32 0, v13
	s_cbranch_execz .LBB569_265
; %bb.264:
	s_delay_alu instid0(VALU_DEP_2) | instskip(SKIP_1) | instid1(VALU_DEP_2)
	v_dual_lshrrev_b32 v14, 16, v15 :: v_dual_lshrrev_b32 v33, 16, v34
	v_and_b32_e32 v15, 0x10000, v15
	v_and_b32_e32 v14, 0xff, v14
	s_delay_alu instid0(VALU_DEP_1) | instskip(NEXT) | instid1(VALU_DEP_1)
	v_cmp_eq_u16_e64 s17, 0, v14
	v_dual_cndmask_b32 v34, 0, v34, s17 :: v_dual_bitop2_b32 v33, 1, v33 bitop3:0x40
	s_delay_alu instid0(VALU_DEP_4) | instskip(NEXT) | instid1(VALU_DEP_2)
	v_cmp_ne_u32_e64 s17, 0, v15
	v_add_nc_u16 v9, v34, v9
	s_delay_alu instid0(VALU_DEP_2) | instskip(NEXT) | instid1(VALU_DEP_2)
	v_cndmask_b32_e64 v14, v33, 1, s17
	v_and_b32_e32 v33, 0xffff, v9
	s_delay_alu instid0(VALU_DEP_2) | instskip(NEXT) | instid1(VALU_DEP_1)
	v_lshlrev_b32_e32 v15, 16, v14
	v_or3_b32 v33, v15, v33, v8
.LBB569_265:
	s_or_b32 exec_lo, exec_lo, s19
	s_delay_alu instid0(VALU_DEP_1)
	v_lshrrev_b32_e32 v15, 16, v33
	v_mov_b32_dpp v34, v33 row_shr:2 row_mask:0xf bank_mask:0xf
	s_mov_b32 s19, exec_lo
	v_cmpx_lt_u32_e32 1, v13
	s_cbranch_execz .LBB569_267
; %bb.266:
	v_and_b32_e32 v15, 0xff, v15
	v_and_b32_e32 v33, 0x10000, v33
	s_delay_alu instid0(VALU_DEP_2) | instskip(NEXT) | instid1(VALU_DEP_1)
	v_cmp_eq_u16_e64 s17, 0, v15
	v_dual_lshrrev_b32 v14, 16, v34 :: v_dual_cndmask_b32 v15, 0, v34, s17
	s_delay_alu instid0(VALU_DEP_1) | instskip(NEXT) | instid1(VALU_DEP_4)
	v_and_b32_e32 v14, 1, v14
	v_cmp_ne_u32_e64 s17, 0, v33
	s_delay_alu instid0(VALU_DEP_3) | instskip(NEXT) | instid1(VALU_DEP_2)
	v_add_nc_u16 v9, v15, v9
	v_cndmask_b32_e64 v14, v14, 1, s17
	s_delay_alu instid0(VALU_DEP_2) | instskip(NEXT) | instid1(VALU_DEP_2)
	v_and_b32_e32 v33, 0xffff, v9
	v_lshlrev_b32_e32 v15, 16, v14
	s_delay_alu instid0(VALU_DEP_1)
	v_or3_b32 v33, v15, v33, v8
	v_mov_b32_e32 v15, v14
.LBB569_267:
	s_or_b32 exec_lo, exec_lo, s19
	s_delay_alu instid0(VALU_DEP_2)
	v_mov_b32_dpp v34, v33 row_shr:4 row_mask:0xf bank_mask:0xf
	s_mov_b32 s19, exec_lo
	v_cmpx_lt_u32_e32 3, v13
	s_cbranch_execz .LBB569_269
; %bb.268:
	v_and_b32_e32 v33, 0xff, v15
	v_dual_lshrrev_b32 v14, 16, v34 :: v_dual_bitop2_b32 v15, 1, v15 bitop3:0x40
	s_delay_alu instid0(VALU_DEP_2) | instskip(NEXT) | instid1(VALU_DEP_2)
	v_cmp_eq_u16_e64 s17, 0, v33
	v_and_b32_e32 v14, 1, v14
	s_delay_alu instid0(VALU_DEP_2) | instskip(NEXT) | instid1(VALU_DEP_4)
	v_cndmask_b32_e64 v33, 0, v34, s17
	v_cmp_eq_u32_e64 s17, 1, v15
	s_delay_alu instid0(VALU_DEP_2) | instskip(NEXT) | instid1(VALU_DEP_2)
	v_add_nc_u16 v9, v33, v9
	v_cndmask_b32_e64 v14, v14, 1, s17
	s_delay_alu instid0(VALU_DEP_2) | instskip(NEXT) | instid1(VALU_DEP_2)
	v_and_b32_e32 v33, 0xffff, v9
	v_lshlrev_b32_e32 v15, 16, v14
	s_delay_alu instid0(VALU_DEP_1)
	v_or3_b32 v33, v15, v33, v8
	v_mov_b32_e32 v15, v14
.LBB569_269:
	s_or_b32 exec_lo, exec_lo, s19
	s_delay_alu instid0(VALU_DEP_2)
	v_mov_b32_dpp v34, v33 row_shr:8 row_mask:0xf bank_mask:0xf
	s_mov_b32 s19, exec_lo
	v_cmpx_lt_u32_e32 7, v13
	s_cbranch_execz .LBB569_271
; %bb.270:
	v_and_b32_e32 v14, 0xff, v15
	v_dual_lshrrev_b32 v13, 16, v34 :: v_dual_bitop2_b32 v15, 1, v15 bitop3:0x40
	s_delay_alu instid0(VALU_DEP_2) | instskip(NEXT) | instid1(VALU_DEP_1)
	v_cmp_eq_u16_e64 s17, 0, v14
	v_dual_cndmask_b32 v33, 0, v34, s17 :: v_dual_bitop2_b32 v13, 1, v13 bitop3:0x40
	s_delay_alu instid0(VALU_DEP_3) | instskip(NEXT) | instid1(VALU_DEP_2)
	v_cmp_eq_u32_e64 s17, 1, v15
	v_add_nc_u16 v9, v33, v9
	s_delay_alu instid0(VALU_DEP_2) | instskip(NEXT) | instid1(VALU_DEP_2)
	v_cndmask_b32_e64 v14, v13, 1, s17
	v_and_b32_e32 v15, 0xffff, v9
	s_delay_alu instid0(VALU_DEP_2) | instskip(NEXT) | instid1(VALU_DEP_1)
	v_lshlrev_b32_e32 v13, 16, v14
	v_or3_b32 v33, v13, v15, v8
	v_mov_b32_e32 v15, v14
.LBB569_271:
	s_or_b32 exec_lo, exec_lo, s19
	ds_swizzle_b32 v13, v33 offset:swizzle(BROADCAST,32,15)
	v_and_b32_e32 v33, 16, v12
	s_mov_b32 s19, exec_lo
	s_delay_alu instid0(VALU_DEP_1)
	v_cmpx_ne_u32_e32 0, v33
	s_cbranch_execz .LBB569_273
; %bb.272:
	v_and_b32_e32 v14, 0xff, v15
	s_delay_alu instid0(VALU_DEP_1) | instskip(SKIP_2) | instid1(VALU_DEP_2)
	v_cmp_eq_u16_e64 s17, 0, v14
	s_wait_dscnt 0x0
	v_dual_lshrrev_b32 v33, 16, v13 :: v_dual_bitop2_b32 v14, 1, v15 bitop3:0x40
	v_cndmask_b32_e64 v13, 0, v13, s17
	s_delay_alu instid0(VALU_DEP_2) | instskip(NEXT) | instid1(VALU_DEP_3)
	v_and_b32_e32 v15, 1, v33
	v_cmp_eq_u32_e64 s17, 1, v14
	s_delay_alu instid0(VALU_DEP_3) | instskip(NEXT) | instid1(VALU_DEP_2)
	v_add_nc_u16 v9, v13, v9
	v_cndmask_b32_e64 v14, v15, 1, s17
.LBB569_273:
	s_or_b32 exec_lo, exec_lo, s19
	s_wait_dscnt 0x0
	s_delay_alu instid0(VALU_DEP_1) | instskip(SKIP_2) | instid1(VALU_DEP_3)
	v_and_b32_e32 v13, 0xff, v14
	v_add_nc_u32_e32 v14, -1, v12
	v_and_b32_e32 v9, 0xffff, v9
	; wave barrier
	v_lshlrev_b32_e32 v13, 16, v13
	s_delay_alu instid0(VALU_DEP_3) | instskip(NEXT) | instid1(VALU_DEP_2)
	v_cmp_gt_i32_e64 s17, 0, v14
	v_or3_b32 v8, v13, v9, v8
	s_delay_alu instid0(VALU_DEP_2) | instskip(NEXT) | instid1(VALU_DEP_1)
	v_cndmask_b32_e64 v12, v14, v12, s17
	v_lshlrev_b32_e32 v9, 2, v12
	ds_bpermute_b32 v8, v9, v8
	v_and_b32_e32 v9, 0xff0000, v6
	s_delay_alu instid0(VALU_DEP_1) | instskip(SKIP_1) | instid1(VALU_DEP_1)
	v_cmp_eq_u32_e64 s17, 0, v9
	s_wait_dscnt 0x0
	v_dual_lshrrev_b32 v12, 16, v8 :: v_dual_cndmask_b32 v8, 0, v8, s17
	v_cmp_eq_u32_e64 s17, 0, v7
	s_delay_alu instid0(VALU_DEP_2) | instskip(NEXT) | instid1(VALU_DEP_3)
	v_and_b32_e32 v9, 1, v12
	v_add_nc_u16 v6, v8, v6
	s_delay_alu instid0(VALU_DEP_2) | instskip(SKIP_1) | instid1(VALU_DEP_1)
	v_cndmask_b32_e64 v7, 1, v9, s17
	v_cmp_eq_u32_e64 s17, 0, v0
	v_dual_cndmask_b32 v4, v6, v4, s17 :: v_dual_cndmask_b32 v5, v7, v5, s17
	ds_store_b16 v3, v4
	ds_store_b8 v3, v5 offset:2
	; wave barrier
	ds_load_u8 v6, v3 offset:6
	ds_load_u16 v7, v3 offset:4
	ds_load_u8 v8, v3 offset:10
	ds_load_u16 v9, v3 offset:8
	ds_load_u16 v12, v3 offset:12
	ds_load_u8 v13, v3 offset:14
	ds_load_u16 v14, v3 offset:16
	ds_load_u8 v15, v3 offset:18
	s_wait_dscnt 0x7
	v_cmp_eq_u16_e64 s17, 0, v6
	s_delay_alu instid0(VALU_DEP_1) | instskip(SKIP_2) | instid1(VALU_DEP_2)
	v_dual_cndmask_b32 v4, 0, v4, s17 :: v_dual_bitop2_b32 v6, 1, v6 bitop3:0x40
	s_wait_dscnt 0x5
	v_cmp_eq_u16_e64 s17, 0, v8
	v_add_nc_u16 v4, v4, v7
	s_delay_alu instid0(VALU_DEP_1) | instskip(SKIP_2) | instid1(VALU_DEP_2)
	v_cndmask_b32_e64 v7, 0, v4, s17
	s_wait_dscnt 0x2
	v_cmp_eq_u16_e64 s17, 0, v13
	v_add_nc_u16 v7, v7, v9
	ds_load_u8 v9, v3 offset:22
	ds_load_u16 v34, v3 offset:20
	ds_load_u8 v35, v3 offset:26
	ds_load_u8 v36, v3 offset:30
	v_cndmask_b32_e64 v33, 0, v7, s17
	v_cmp_eq_u32_e64 s17, 1, v6
	v_and_b32_e32 v6, 1, v13
	s_delay_alu instid0(VALU_DEP_3) | instskip(NEXT) | instid1(VALU_DEP_3)
	v_add_nc_u16 v12, v33, v12
	v_cndmask_b32_e64 v5, v5, 1, s17
	s_wait_dscnt 0x4
	v_cmp_eq_u16_e64 s17, 0, v15
	ds_load_u16 v33, v3 offset:24
	ds_load_u16 v37, v3 offset:28
	v_cndmask_b32_e64 v13, 0, v12, s17
	s_delay_alu instid0(VALU_DEP_1) | instskip(SKIP_4) | instid1(VALU_DEP_3)
	v_add_nc_u16 v13, v13, v14
	v_and_b32_e32 v8, 1, v8
	v_and_b32_e32 v14, 1, v15
	s_wait_dscnt 0x2
	v_and_b32_e32 v38, 1, v36
	v_cmp_eq_u32_e64 s17, 1, v8
	s_delay_alu instid0(VALU_DEP_1) | instskip(SKIP_1) | instid1(VALU_DEP_1)
	v_cndmask_b32_e64 v8, v5, 1, s17
	v_cmp_eq_u32_e64 s17, 1, v6
	v_cndmask_b32_e64 v6, v8, 1, s17
	v_cmp_eq_u16_e64 s17, 0, v9
	v_and_b32_e32 v9, 1, v9
	s_delay_alu instid0(VALU_DEP_2) | instskip(SKIP_1) | instid1(VALU_DEP_2)
	v_cndmask_b32_e64 v15, 0, v13, s17
	v_cmp_eq_u32_e64 s17, 1, v14
	v_add_nc_u16 v15, v15, v34
	s_delay_alu instid0(VALU_DEP_2)
	v_cndmask_b32_e64 v14, v6, 1, s17
	v_cmp_eq_u32_e64 s17, 1, v9
	v_and_b32_e32 v34, 1, v35
	ds_store_b16 v3, v4 offset:4
	ds_store_b8 v3, v5 offset:6
	ds_store_b16 v3, v7 offset:8
	ds_store_b8 v3, v8 offset:10
	;; [unrolled: 2-line block ×4, first 2 shown]
	v_cndmask_b32_e64 v9, v14, 1, s17
	v_cmp_eq_u16_e64 s17, 0, v35
	s_delay_alu instid0(VALU_DEP_1) | instskip(SKIP_2) | instid1(VALU_DEP_2)
	v_cndmask_b32_e64 v35, 0, v15, s17
	v_cmp_eq_u32_e64 s17, 1, v34
	s_wait_dscnt 0x9
	v_add_nc_u16 v33, v35, v33
	s_delay_alu instid0(VALU_DEP_2) | instskip(SKIP_1) | instid1(VALU_DEP_1)
	v_cndmask_b32_e64 v34, v9, 1, s17
	v_cmp_eq_u32_e64 s17, 1, v38
	v_cndmask_b32_e64 v35, v34, 1, s17
	v_cmp_eq_u16_e64 s17, 0, v36
	s_delay_alu instid0(VALU_DEP_1) | instskip(SKIP_1) | instid1(VALU_DEP_1)
	v_cndmask_b32_e64 v36, 0, v33, s17
	s_wait_dscnt 0x8
	v_add_nc_u16 v4, v36, v37
	ds_store_b16 v3, v15 offset:20
	ds_store_b8 v3, v9 offset:22
	ds_store_b16 v3, v33 offset:24
	ds_store_b8 v3, v34 offset:26
	;; [unrolled: 2-line block ×3, first 2 shown]
.LBB569_274:
	s_or_b32 exec_lo, exec_lo, s18
	v_cmp_eq_u32_e64 s17, 0, v0
	v_mov_b32_e32 v4, v2
	s_mov_b32 s19, exec_lo
	s_wait_dscnt 0x0
	s_barrier_signal -1
	s_barrier_wait -1
	v_cmpx_ne_u32_e32 0, v0
	s_cbranch_execz .LBB569_276
; %bb.275:
	v_add_nc_u32_e32 v3, -1, v0
	s_delay_alu instid0(VALU_DEP_1) | instskip(NEXT) | instid1(VALU_DEP_1)
	v_lshrrev_b32_e32 v4, 3, v3
	v_and_b32_e32 v4, 0x1ffffffc, v4
	s_delay_alu instid0(VALU_DEP_1) | instskip(SKIP_4) | instid1(VALU_DEP_1)
	v_lshl_add_u32 v3, v3, 2, v4
	ds_load_u8 v4, v3 offset:2
	ds_load_u16 v3, v3
	s_wait_dscnt 0x1
	v_cmp_eq_u16_e64 s18, 0, v4
	v_cndmask_b32_e64 v4, 0, v2, s18
	s_wait_dscnt 0x0
	s_delay_alu instid0(VALU_DEP_1)
	v_add_nc_u16 v4, v4, v3
.LBB569_276:
	s_or_b32 exec_lo, exec_lo, s19
	v_and_b32_e32 v3, 0xff0000, v31
	s_delay_alu instid0(VALU_DEP_1) | instskip(NEXT) | instid1(VALU_DEP_1)
	v_cmp_eq_u32_e64 s18, 0, v3
	v_cndmask_b32_e64 v3, 0, v4, s18
	s_delay_alu instid0(VALU_DEP_1) | instskip(NEXT) | instid1(VALU_DEP_1)
	v_add_nc_u16 v5, v3, v31
	v_cndmask_b32_e32 v3, 0, v5, vcc_lo
	s_delay_alu instid0(VALU_DEP_1) | instskip(NEXT) | instid1(VALU_DEP_1)
	v_add_nc_u16 v6, v3, v11
	v_cndmask_b32_e64 v3, 0, v6, s0
	s_delay_alu instid0(VALU_DEP_1) | instskip(NEXT) | instid1(VALU_DEP_1)
	v_add_nc_u16 v7, v3, v10
	v_cndmask_b32_e64 v3, 0, v7, s1
	;; [unrolled: 3-line block ×17, first 2 shown]
	s_and_saveexec_b32 s0, s17
	s_cbranch_execz .LBB569_278
; %bb.277:
	v_mov_b32_e32 v12, 0
	ds_load_u8 v10, v12 offset:1050
	ds_load_u16 v11, v12 offset:1048
	s_wait_dscnt 0x1
	v_cmp_eq_u32_e32 vcc_lo, 0, v10
	v_lshlrev_b32_e32 v10, 16, v10
	v_cndmask_b32_e32 v2, 0, v2, vcc_lo
	s_wait_dscnt 0x0
	s_delay_alu instid0(VALU_DEP_1) | instskip(NEXT) | instid1(VALU_DEP_1)
	v_dual_mov_b32 v11, 2 :: v_dual_add_nc_u32 v2, v2, v11
	v_and_b32_e32 v2, 0xffff, v2
	s_delay_alu instid0(VALU_DEP_1)
	v_or_b32_e32 v10, v10, v2
	global_store_b64 v12, v[10:11], s[24:25] offset:256 scope:SCOPE_DEV
.LBB569_278:
	s_wait_xcnt 0x0
	s_or_b32 exec_lo, exec_lo, s0
	v_add_nc_u16 v48, v3, v1
	s_add_nc_u64 s[0:1], s[22:23], s[34:35]
	s_and_b32 vcc_lo, exec_lo, s27
	s_add_nc_u64 s[0:1], s[0:1], s[20:21]
	s_cbranch_vccnz .LBB569_184
.LBB569_279:
	s_mov_b32 s2, 0
                                        ; implicit-def: $vgpr1
	s_cbranch_execz .LBB569_281
; %bb.280:
	s_wait_dscnt 0x0
	v_mul_u32_u24_e32 v1, 40, v0
	v_perm_b32 v3, v38, v36, 0x5040100
	v_perm_b32 v2, v9, v8, 0x5040100
	v_perm_b32 v7, v7, v6, 0x5040100
	v_perm_b32 v6, v5, v4, 0x5040100
	v_mul_i32_i24_e32 v12, 0xffffffda, v0
	v_perm_b32 v5, v45, v43, 0x5040100
	v_perm_b32 v4, v42, v41, 0x5040100
	;; [unrolled: 1-line block ×6, first 2 shown]
	s_wait_storecnt 0x0
	s_barrier_signal -1
	s_barrier_wait -1
	ds_store_2addr_b64 v1, v[6:7], v[2:3] offset1:1
	ds_store_2addr_b64 v1, v[8:9], v[4:5] offset0:2 offset1:3
	ds_store_b64 v1, v[10:11] offset:32
	v_mad_u32_u24 v1, v0, 40, v12
	s_wait_dscnt 0x0
	s_barrier_signal -1
	s_barrier_wait -1
	ds_load_u16 v2, v1
	ds_load_u16 v3, v1 offset:512
	ds_load_u16 v4, v1 offset:1024
	;; [unrolled: 1-line block ×19, first 2 shown]
	s_or_b32 s2, s2, exec_lo
	s_wait_dscnt 0x13
	flat_store_b16 v0, v2, s[0:1] scale_offset
	s_wait_dscnt 0x13
	flat_store_b16 v0, v3, s[0:1] offset:512 scale_offset
	s_wait_dscnt 0x13
	flat_store_b16 v0, v4, s[0:1] offset:1024 scale_offset
	s_wait_dscnt 0x13
	flat_store_b16 v0, v5, s[0:1] offset:1536 scale_offset
	s_wait_dscnt 0x13
	flat_store_b16 v0, v6, s[0:1] offset:2048 scale_offset
	s_wait_dscnt 0x13
	flat_store_b16 v0, v7, s[0:1] offset:2560 scale_offset
	s_wait_dscnt 0x13
	flat_store_b16 v0, v8, s[0:1] offset:3072 scale_offset
	s_wait_dscnt 0x13
	flat_store_b16 v0, v9, s[0:1] offset:3584 scale_offset
	s_wait_dscnt 0x13
	flat_store_b16 v0, v10, s[0:1] offset:4096 scale_offset
	s_wait_dscnt 0x13
	flat_store_b16 v0, v11, s[0:1] offset:4608 scale_offset
	s_wait_dscnt 0x13
	flat_store_b16 v0, v12, s[0:1] offset:5120 scale_offset
	s_wait_dscnt 0x13
	flat_store_b16 v0, v13, s[0:1] offset:5632 scale_offset
	s_wait_dscnt 0x13
	flat_store_b16 v0, v14, s[0:1] offset:6144 scale_offset
	s_wait_dscnt 0x13
	flat_store_b16 v0, v15, s[0:1] offset:6656 scale_offset
	s_wait_dscnt 0x13
	flat_store_b16 v0, v16, s[0:1] offset:7168 scale_offset
	s_wait_dscnt 0x13
	flat_store_b16 v0, v17, s[0:1] offset:7680 scale_offset
	s_wait_dscnt 0x13
	flat_store_b16 v0, v18, s[0:1] offset:8192 scale_offset
	s_wait_dscnt 0x13
	flat_store_b16 v0, v19, s[0:1] offset:8704 scale_offset
	s_wait_dscnt 0x13
	flat_store_b16 v0, v20, s[0:1] offset:9216 scale_offset
.LBB569_281:
	s_wait_xcnt 0x0
	s_delay_alu instid0(VALU_DEP_1)
	s_and_saveexec_b32 s3, s2
	s_cbranch_execz .LBB569_283
; %bb.282:
	s_wait_dscnt 0x0
	flat_store_b16 v0, v1, s[0:1] offset:9728 scale_offset
	s_endpgm
.LBB569_283:
	s_endpgm
	.section	.rodata,"a",@progbits
	.p2align	6, 0x0
	.amdhsa_kernel _ZN7rocprim17ROCPRIM_400000_NS6detail17trampoline_kernelINS0_14default_configENS1_27scan_by_key_config_selectorIssEEZZNS1_16scan_by_key_implILNS1_25lookback_scan_determinismE0ELb1ES3_N6thrust23THRUST_200600_302600_NS6detail15normal_iteratorINS9_10device_ptrIsEEEESE_SE_sNS9_4plusIvEENS9_8equal_toIvEEsEE10hipError_tPvRmT2_T3_T4_T5_mT6_T7_P12ihipStream_tbENKUlT_T0_E_clISt17integral_constantIbLb0EESZ_EEDaSU_SV_EUlSU_E_NS1_11comp_targetILNS1_3genE0ELNS1_11target_archE4294967295ELNS1_3gpuE0ELNS1_3repE0EEENS1_30default_config_static_selectorELNS0_4arch9wavefront6targetE0EEEvT1_
		.amdhsa_group_segment_fixed_size 11264
		.amdhsa_private_segment_fixed_size 0
		.amdhsa_kernarg_size 112
		.amdhsa_user_sgpr_count 2
		.amdhsa_user_sgpr_dispatch_ptr 0
		.amdhsa_user_sgpr_queue_ptr 0
		.amdhsa_user_sgpr_kernarg_segment_ptr 1
		.amdhsa_user_sgpr_dispatch_id 0
		.amdhsa_user_sgpr_kernarg_preload_length 0
		.amdhsa_user_sgpr_kernarg_preload_offset 0
		.amdhsa_user_sgpr_private_segment_size 0
		.amdhsa_wavefront_size32 1
		.amdhsa_uses_dynamic_stack 0
		.amdhsa_enable_private_segment 0
		.amdhsa_system_sgpr_workgroup_id_x 1
		.amdhsa_system_sgpr_workgroup_id_y 0
		.amdhsa_system_sgpr_workgroup_id_z 0
		.amdhsa_system_sgpr_workgroup_info 0
		.amdhsa_system_vgpr_workitem_id 0
		.amdhsa_next_free_vgpr 56
		.amdhsa_next_free_sgpr 45
		.amdhsa_named_barrier_count 0
		.amdhsa_reserve_vcc 1
		.amdhsa_float_round_mode_32 0
		.amdhsa_float_round_mode_16_64 0
		.amdhsa_float_denorm_mode_32 3
		.amdhsa_float_denorm_mode_16_64 3
		.amdhsa_fp16_overflow 0
		.amdhsa_memory_ordered 1
		.amdhsa_forward_progress 1
		.amdhsa_inst_pref_size 152
		.amdhsa_round_robin_scheduling 0
		.amdhsa_exception_fp_ieee_invalid_op 0
		.amdhsa_exception_fp_denorm_src 0
		.amdhsa_exception_fp_ieee_div_zero 0
		.amdhsa_exception_fp_ieee_overflow 0
		.amdhsa_exception_fp_ieee_underflow 0
		.amdhsa_exception_fp_ieee_inexact 0
		.amdhsa_exception_int_div_zero 0
	.end_amdhsa_kernel
	.section	.text._ZN7rocprim17ROCPRIM_400000_NS6detail17trampoline_kernelINS0_14default_configENS1_27scan_by_key_config_selectorIssEEZZNS1_16scan_by_key_implILNS1_25lookback_scan_determinismE0ELb1ES3_N6thrust23THRUST_200600_302600_NS6detail15normal_iteratorINS9_10device_ptrIsEEEESE_SE_sNS9_4plusIvEENS9_8equal_toIvEEsEE10hipError_tPvRmT2_T3_T4_T5_mT6_T7_P12ihipStream_tbENKUlT_T0_E_clISt17integral_constantIbLb0EESZ_EEDaSU_SV_EUlSU_E_NS1_11comp_targetILNS1_3genE0ELNS1_11target_archE4294967295ELNS1_3gpuE0ELNS1_3repE0EEENS1_30default_config_static_selectorELNS0_4arch9wavefront6targetE0EEEvT1_,"axG",@progbits,_ZN7rocprim17ROCPRIM_400000_NS6detail17trampoline_kernelINS0_14default_configENS1_27scan_by_key_config_selectorIssEEZZNS1_16scan_by_key_implILNS1_25lookback_scan_determinismE0ELb1ES3_N6thrust23THRUST_200600_302600_NS6detail15normal_iteratorINS9_10device_ptrIsEEEESE_SE_sNS9_4plusIvEENS9_8equal_toIvEEsEE10hipError_tPvRmT2_T3_T4_T5_mT6_T7_P12ihipStream_tbENKUlT_T0_E_clISt17integral_constantIbLb0EESZ_EEDaSU_SV_EUlSU_E_NS1_11comp_targetILNS1_3genE0ELNS1_11target_archE4294967295ELNS1_3gpuE0ELNS1_3repE0EEENS1_30default_config_static_selectorELNS0_4arch9wavefront6targetE0EEEvT1_,comdat
.Lfunc_end569:
	.size	_ZN7rocprim17ROCPRIM_400000_NS6detail17trampoline_kernelINS0_14default_configENS1_27scan_by_key_config_selectorIssEEZZNS1_16scan_by_key_implILNS1_25lookback_scan_determinismE0ELb1ES3_N6thrust23THRUST_200600_302600_NS6detail15normal_iteratorINS9_10device_ptrIsEEEESE_SE_sNS9_4plusIvEENS9_8equal_toIvEEsEE10hipError_tPvRmT2_T3_T4_T5_mT6_T7_P12ihipStream_tbENKUlT_T0_E_clISt17integral_constantIbLb0EESZ_EEDaSU_SV_EUlSU_E_NS1_11comp_targetILNS1_3genE0ELNS1_11target_archE4294967295ELNS1_3gpuE0ELNS1_3repE0EEENS1_30default_config_static_selectorELNS0_4arch9wavefront6targetE0EEEvT1_, .Lfunc_end569-_ZN7rocprim17ROCPRIM_400000_NS6detail17trampoline_kernelINS0_14default_configENS1_27scan_by_key_config_selectorIssEEZZNS1_16scan_by_key_implILNS1_25lookback_scan_determinismE0ELb1ES3_N6thrust23THRUST_200600_302600_NS6detail15normal_iteratorINS9_10device_ptrIsEEEESE_SE_sNS9_4plusIvEENS9_8equal_toIvEEsEE10hipError_tPvRmT2_T3_T4_T5_mT6_T7_P12ihipStream_tbENKUlT_T0_E_clISt17integral_constantIbLb0EESZ_EEDaSU_SV_EUlSU_E_NS1_11comp_targetILNS1_3genE0ELNS1_11target_archE4294967295ELNS1_3gpuE0ELNS1_3repE0EEENS1_30default_config_static_selectorELNS0_4arch9wavefront6targetE0EEEvT1_
                                        ; -- End function
	.set _ZN7rocprim17ROCPRIM_400000_NS6detail17trampoline_kernelINS0_14default_configENS1_27scan_by_key_config_selectorIssEEZZNS1_16scan_by_key_implILNS1_25lookback_scan_determinismE0ELb1ES3_N6thrust23THRUST_200600_302600_NS6detail15normal_iteratorINS9_10device_ptrIsEEEESE_SE_sNS9_4plusIvEENS9_8equal_toIvEEsEE10hipError_tPvRmT2_T3_T4_T5_mT6_T7_P12ihipStream_tbENKUlT_T0_E_clISt17integral_constantIbLb0EESZ_EEDaSU_SV_EUlSU_E_NS1_11comp_targetILNS1_3genE0ELNS1_11target_archE4294967295ELNS1_3gpuE0ELNS1_3repE0EEENS1_30default_config_static_selectorELNS0_4arch9wavefront6targetE0EEEvT1_.num_vgpr, 56
	.set _ZN7rocprim17ROCPRIM_400000_NS6detail17trampoline_kernelINS0_14default_configENS1_27scan_by_key_config_selectorIssEEZZNS1_16scan_by_key_implILNS1_25lookback_scan_determinismE0ELb1ES3_N6thrust23THRUST_200600_302600_NS6detail15normal_iteratorINS9_10device_ptrIsEEEESE_SE_sNS9_4plusIvEENS9_8equal_toIvEEsEE10hipError_tPvRmT2_T3_T4_T5_mT6_T7_P12ihipStream_tbENKUlT_T0_E_clISt17integral_constantIbLb0EESZ_EEDaSU_SV_EUlSU_E_NS1_11comp_targetILNS1_3genE0ELNS1_11target_archE4294967295ELNS1_3gpuE0ELNS1_3repE0EEENS1_30default_config_static_selectorELNS0_4arch9wavefront6targetE0EEEvT1_.num_agpr, 0
	.set _ZN7rocprim17ROCPRIM_400000_NS6detail17trampoline_kernelINS0_14default_configENS1_27scan_by_key_config_selectorIssEEZZNS1_16scan_by_key_implILNS1_25lookback_scan_determinismE0ELb1ES3_N6thrust23THRUST_200600_302600_NS6detail15normal_iteratorINS9_10device_ptrIsEEEESE_SE_sNS9_4plusIvEENS9_8equal_toIvEEsEE10hipError_tPvRmT2_T3_T4_T5_mT6_T7_P12ihipStream_tbENKUlT_T0_E_clISt17integral_constantIbLb0EESZ_EEDaSU_SV_EUlSU_E_NS1_11comp_targetILNS1_3genE0ELNS1_11target_archE4294967295ELNS1_3gpuE0ELNS1_3repE0EEENS1_30default_config_static_selectorELNS0_4arch9wavefront6targetE0EEEvT1_.numbered_sgpr, 45
	.set _ZN7rocprim17ROCPRIM_400000_NS6detail17trampoline_kernelINS0_14default_configENS1_27scan_by_key_config_selectorIssEEZZNS1_16scan_by_key_implILNS1_25lookback_scan_determinismE0ELb1ES3_N6thrust23THRUST_200600_302600_NS6detail15normal_iteratorINS9_10device_ptrIsEEEESE_SE_sNS9_4plusIvEENS9_8equal_toIvEEsEE10hipError_tPvRmT2_T3_T4_T5_mT6_T7_P12ihipStream_tbENKUlT_T0_E_clISt17integral_constantIbLb0EESZ_EEDaSU_SV_EUlSU_E_NS1_11comp_targetILNS1_3genE0ELNS1_11target_archE4294967295ELNS1_3gpuE0ELNS1_3repE0EEENS1_30default_config_static_selectorELNS0_4arch9wavefront6targetE0EEEvT1_.num_named_barrier, 0
	.set _ZN7rocprim17ROCPRIM_400000_NS6detail17trampoline_kernelINS0_14default_configENS1_27scan_by_key_config_selectorIssEEZZNS1_16scan_by_key_implILNS1_25lookback_scan_determinismE0ELb1ES3_N6thrust23THRUST_200600_302600_NS6detail15normal_iteratorINS9_10device_ptrIsEEEESE_SE_sNS9_4plusIvEENS9_8equal_toIvEEsEE10hipError_tPvRmT2_T3_T4_T5_mT6_T7_P12ihipStream_tbENKUlT_T0_E_clISt17integral_constantIbLb0EESZ_EEDaSU_SV_EUlSU_E_NS1_11comp_targetILNS1_3genE0ELNS1_11target_archE4294967295ELNS1_3gpuE0ELNS1_3repE0EEENS1_30default_config_static_selectorELNS0_4arch9wavefront6targetE0EEEvT1_.private_seg_size, 0
	.set _ZN7rocprim17ROCPRIM_400000_NS6detail17trampoline_kernelINS0_14default_configENS1_27scan_by_key_config_selectorIssEEZZNS1_16scan_by_key_implILNS1_25lookback_scan_determinismE0ELb1ES3_N6thrust23THRUST_200600_302600_NS6detail15normal_iteratorINS9_10device_ptrIsEEEESE_SE_sNS9_4plusIvEENS9_8equal_toIvEEsEE10hipError_tPvRmT2_T3_T4_T5_mT6_T7_P12ihipStream_tbENKUlT_T0_E_clISt17integral_constantIbLb0EESZ_EEDaSU_SV_EUlSU_E_NS1_11comp_targetILNS1_3genE0ELNS1_11target_archE4294967295ELNS1_3gpuE0ELNS1_3repE0EEENS1_30default_config_static_selectorELNS0_4arch9wavefront6targetE0EEEvT1_.uses_vcc, 1
	.set _ZN7rocprim17ROCPRIM_400000_NS6detail17trampoline_kernelINS0_14default_configENS1_27scan_by_key_config_selectorIssEEZZNS1_16scan_by_key_implILNS1_25lookback_scan_determinismE0ELb1ES3_N6thrust23THRUST_200600_302600_NS6detail15normal_iteratorINS9_10device_ptrIsEEEESE_SE_sNS9_4plusIvEENS9_8equal_toIvEEsEE10hipError_tPvRmT2_T3_T4_T5_mT6_T7_P12ihipStream_tbENKUlT_T0_E_clISt17integral_constantIbLb0EESZ_EEDaSU_SV_EUlSU_E_NS1_11comp_targetILNS1_3genE0ELNS1_11target_archE4294967295ELNS1_3gpuE0ELNS1_3repE0EEENS1_30default_config_static_selectorELNS0_4arch9wavefront6targetE0EEEvT1_.uses_flat_scratch, 1
	.set _ZN7rocprim17ROCPRIM_400000_NS6detail17trampoline_kernelINS0_14default_configENS1_27scan_by_key_config_selectorIssEEZZNS1_16scan_by_key_implILNS1_25lookback_scan_determinismE0ELb1ES3_N6thrust23THRUST_200600_302600_NS6detail15normal_iteratorINS9_10device_ptrIsEEEESE_SE_sNS9_4plusIvEENS9_8equal_toIvEEsEE10hipError_tPvRmT2_T3_T4_T5_mT6_T7_P12ihipStream_tbENKUlT_T0_E_clISt17integral_constantIbLb0EESZ_EEDaSU_SV_EUlSU_E_NS1_11comp_targetILNS1_3genE0ELNS1_11target_archE4294967295ELNS1_3gpuE0ELNS1_3repE0EEENS1_30default_config_static_selectorELNS0_4arch9wavefront6targetE0EEEvT1_.has_dyn_sized_stack, 0
	.set _ZN7rocprim17ROCPRIM_400000_NS6detail17trampoline_kernelINS0_14default_configENS1_27scan_by_key_config_selectorIssEEZZNS1_16scan_by_key_implILNS1_25lookback_scan_determinismE0ELb1ES3_N6thrust23THRUST_200600_302600_NS6detail15normal_iteratorINS9_10device_ptrIsEEEESE_SE_sNS9_4plusIvEENS9_8equal_toIvEEsEE10hipError_tPvRmT2_T3_T4_T5_mT6_T7_P12ihipStream_tbENKUlT_T0_E_clISt17integral_constantIbLb0EESZ_EEDaSU_SV_EUlSU_E_NS1_11comp_targetILNS1_3genE0ELNS1_11target_archE4294967295ELNS1_3gpuE0ELNS1_3repE0EEENS1_30default_config_static_selectorELNS0_4arch9wavefront6targetE0EEEvT1_.has_recursion, 0
	.set _ZN7rocprim17ROCPRIM_400000_NS6detail17trampoline_kernelINS0_14default_configENS1_27scan_by_key_config_selectorIssEEZZNS1_16scan_by_key_implILNS1_25lookback_scan_determinismE0ELb1ES3_N6thrust23THRUST_200600_302600_NS6detail15normal_iteratorINS9_10device_ptrIsEEEESE_SE_sNS9_4plusIvEENS9_8equal_toIvEEsEE10hipError_tPvRmT2_T3_T4_T5_mT6_T7_P12ihipStream_tbENKUlT_T0_E_clISt17integral_constantIbLb0EESZ_EEDaSU_SV_EUlSU_E_NS1_11comp_targetILNS1_3genE0ELNS1_11target_archE4294967295ELNS1_3gpuE0ELNS1_3repE0EEENS1_30default_config_static_selectorELNS0_4arch9wavefront6targetE0EEEvT1_.has_indirect_call, 0
	.section	.AMDGPU.csdata,"",@progbits
; Kernel info:
; codeLenInByte = 19376
; TotalNumSgprs: 47
; NumVgprs: 56
; ScratchSize: 0
; MemoryBound: 0
; FloatMode: 240
; IeeeMode: 1
; LDSByteSize: 11264 bytes/workgroup (compile time only)
; SGPRBlocks: 0
; VGPRBlocks: 3
; NumSGPRsForWavesPerEU: 47
; NumVGPRsForWavesPerEU: 56
; NamedBarCnt: 0
; Occupancy: 16
; WaveLimiterHint : 1
; COMPUTE_PGM_RSRC2:SCRATCH_EN: 0
; COMPUTE_PGM_RSRC2:USER_SGPR: 2
; COMPUTE_PGM_RSRC2:TRAP_HANDLER: 0
; COMPUTE_PGM_RSRC2:TGID_X_EN: 1
; COMPUTE_PGM_RSRC2:TGID_Y_EN: 0
; COMPUTE_PGM_RSRC2:TGID_Z_EN: 0
; COMPUTE_PGM_RSRC2:TIDIG_COMP_CNT: 0
	.section	.text._ZN7rocprim17ROCPRIM_400000_NS6detail17trampoline_kernelINS0_14default_configENS1_27scan_by_key_config_selectorIssEEZZNS1_16scan_by_key_implILNS1_25lookback_scan_determinismE0ELb1ES3_N6thrust23THRUST_200600_302600_NS6detail15normal_iteratorINS9_10device_ptrIsEEEESE_SE_sNS9_4plusIvEENS9_8equal_toIvEEsEE10hipError_tPvRmT2_T3_T4_T5_mT6_T7_P12ihipStream_tbENKUlT_T0_E_clISt17integral_constantIbLb0EESZ_EEDaSU_SV_EUlSU_E_NS1_11comp_targetILNS1_3genE10ELNS1_11target_archE1201ELNS1_3gpuE5ELNS1_3repE0EEENS1_30default_config_static_selectorELNS0_4arch9wavefront6targetE0EEEvT1_,"axG",@progbits,_ZN7rocprim17ROCPRIM_400000_NS6detail17trampoline_kernelINS0_14default_configENS1_27scan_by_key_config_selectorIssEEZZNS1_16scan_by_key_implILNS1_25lookback_scan_determinismE0ELb1ES3_N6thrust23THRUST_200600_302600_NS6detail15normal_iteratorINS9_10device_ptrIsEEEESE_SE_sNS9_4plusIvEENS9_8equal_toIvEEsEE10hipError_tPvRmT2_T3_T4_T5_mT6_T7_P12ihipStream_tbENKUlT_T0_E_clISt17integral_constantIbLb0EESZ_EEDaSU_SV_EUlSU_E_NS1_11comp_targetILNS1_3genE10ELNS1_11target_archE1201ELNS1_3gpuE5ELNS1_3repE0EEENS1_30default_config_static_selectorELNS0_4arch9wavefront6targetE0EEEvT1_,comdat
	.protected	_ZN7rocprim17ROCPRIM_400000_NS6detail17trampoline_kernelINS0_14default_configENS1_27scan_by_key_config_selectorIssEEZZNS1_16scan_by_key_implILNS1_25lookback_scan_determinismE0ELb1ES3_N6thrust23THRUST_200600_302600_NS6detail15normal_iteratorINS9_10device_ptrIsEEEESE_SE_sNS9_4plusIvEENS9_8equal_toIvEEsEE10hipError_tPvRmT2_T3_T4_T5_mT6_T7_P12ihipStream_tbENKUlT_T0_E_clISt17integral_constantIbLb0EESZ_EEDaSU_SV_EUlSU_E_NS1_11comp_targetILNS1_3genE10ELNS1_11target_archE1201ELNS1_3gpuE5ELNS1_3repE0EEENS1_30default_config_static_selectorELNS0_4arch9wavefront6targetE0EEEvT1_ ; -- Begin function _ZN7rocprim17ROCPRIM_400000_NS6detail17trampoline_kernelINS0_14default_configENS1_27scan_by_key_config_selectorIssEEZZNS1_16scan_by_key_implILNS1_25lookback_scan_determinismE0ELb1ES3_N6thrust23THRUST_200600_302600_NS6detail15normal_iteratorINS9_10device_ptrIsEEEESE_SE_sNS9_4plusIvEENS9_8equal_toIvEEsEE10hipError_tPvRmT2_T3_T4_T5_mT6_T7_P12ihipStream_tbENKUlT_T0_E_clISt17integral_constantIbLb0EESZ_EEDaSU_SV_EUlSU_E_NS1_11comp_targetILNS1_3genE10ELNS1_11target_archE1201ELNS1_3gpuE5ELNS1_3repE0EEENS1_30default_config_static_selectorELNS0_4arch9wavefront6targetE0EEEvT1_
	.globl	_ZN7rocprim17ROCPRIM_400000_NS6detail17trampoline_kernelINS0_14default_configENS1_27scan_by_key_config_selectorIssEEZZNS1_16scan_by_key_implILNS1_25lookback_scan_determinismE0ELb1ES3_N6thrust23THRUST_200600_302600_NS6detail15normal_iteratorINS9_10device_ptrIsEEEESE_SE_sNS9_4plusIvEENS9_8equal_toIvEEsEE10hipError_tPvRmT2_T3_T4_T5_mT6_T7_P12ihipStream_tbENKUlT_T0_E_clISt17integral_constantIbLb0EESZ_EEDaSU_SV_EUlSU_E_NS1_11comp_targetILNS1_3genE10ELNS1_11target_archE1201ELNS1_3gpuE5ELNS1_3repE0EEENS1_30default_config_static_selectorELNS0_4arch9wavefront6targetE0EEEvT1_
	.p2align	8
	.type	_ZN7rocprim17ROCPRIM_400000_NS6detail17trampoline_kernelINS0_14default_configENS1_27scan_by_key_config_selectorIssEEZZNS1_16scan_by_key_implILNS1_25lookback_scan_determinismE0ELb1ES3_N6thrust23THRUST_200600_302600_NS6detail15normal_iteratorINS9_10device_ptrIsEEEESE_SE_sNS9_4plusIvEENS9_8equal_toIvEEsEE10hipError_tPvRmT2_T3_T4_T5_mT6_T7_P12ihipStream_tbENKUlT_T0_E_clISt17integral_constantIbLb0EESZ_EEDaSU_SV_EUlSU_E_NS1_11comp_targetILNS1_3genE10ELNS1_11target_archE1201ELNS1_3gpuE5ELNS1_3repE0EEENS1_30default_config_static_selectorELNS0_4arch9wavefront6targetE0EEEvT1_,@function
_ZN7rocprim17ROCPRIM_400000_NS6detail17trampoline_kernelINS0_14default_configENS1_27scan_by_key_config_selectorIssEEZZNS1_16scan_by_key_implILNS1_25lookback_scan_determinismE0ELb1ES3_N6thrust23THRUST_200600_302600_NS6detail15normal_iteratorINS9_10device_ptrIsEEEESE_SE_sNS9_4plusIvEENS9_8equal_toIvEEsEE10hipError_tPvRmT2_T3_T4_T5_mT6_T7_P12ihipStream_tbENKUlT_T0_E_clISt17integral_constantIbLb0EESZ_EEDaSU_SV_EUlSU_E_NS1_11comp_targetILNS1_3genE10ELNS1_11target_archE1201ELNS1_3gpuE5ELNS1_3repE0EEENS1_30default_config_static_selectorELNS0_4arch9wavefront6targetE0EEEvT1_: ; @_ZN7rocprim17ROCPRIM_400000_NS6detail17trampoline_kernelINS0_14default_configENS1_27scan_by_key_config_selectorIssEEZZNS1_16scan_by_key_implILNS1_25lookback_scan_determinismE0ELb1ES3_N6thrust23THRUST_200600_302600_NS6detail15normal_iteratorINS9_10device_ptrIsEEEESE_SE_sNS9_4plusIvEENS9_8equal_toIvEEsEE10hipError_tPvRmT2_T3_T4_T5_mT6_T7_P12ihipStream_tbENKUlT_T0_E_clISt17integral_constantIbLb0EESZ_EEDaSU_SV_EUlSU_E_NS1_11comp_targetILNS1_3genE10ELNS1_11target_archE1201ELNS1_3gpuE5ELNS1_3repE0EEENS1_30default_config_static_selectorELNS0_4arch9wavefront6targetE0EEEvT1_
; %bb.0:
	.section	.rodata,"a",@progbits
	.p2align	6, 0x0
	.amdhsa_kernel _ZN7rocprim17ROCPRIM_400000_NS6detail17trampoline_kernelINS0_14default_configENS1_27scan_by_key_config_selectorIssEEZZNS1_16scan_by_key_implILNS1_25lookback_scan_determinismE0ELb1ES3_N6thrust23THRUST_200600_302600_NS6detail15normal_iteratorINS9_10device_ptrIsEEEESE_SE_sNS9_4plusIvEENS9_8equal_toIvEEsEE10hipError_tPvRmT2_T3_T4_T5_mT6_T7_P12ihipStream_tbENKUlT_T0_E_clISt17integral_constantIbLb0EESZ_EEDaSU_SV_EUlSU_E_NS1_11comp_targetILNS1_3genE10ELNS1_11target_archE1201ELNS1_3gpuE5ELNS1_3repE0EEENS1_30default_config_static_selectorELNS0_4arch9wavefront6targetE0EEEvT1_
		.amdhsa_group_segment_fixed_size 0
		.amdhsa_private_segment_fixed_size 0
		.amdhsa_kernarg_size 112
		.amdhsa_user_sgpr_count 2
		.amdhsa_user_sgpr_dispatch_ptr 0
		.amdhsa_user_sgpr_queue_ptr 0
		.amdhsa_user_sgpr_kernarg_segment_ptr 1
		.amdhsa_user_sgpr_dispatch_id 0
		.amdhsa_user_sgpr_kernarg_preload_length 0
		.amdhsa_user_sgpr_kernarg_preload_offset 0
		.amdhsa_user_sgpr_private_segment_size 0
		.amdhsa_wavefront_size32 1
		.amdhsa_uses_dynamic_stack 0
		.amdhsa_enable_private_segment 0
		.amdhsa_system_sgpr_workgroup_id_x 1
		.amdhsa_system_sgpr_workgroup_id_y 0
		.amdhsa_system_sgpr_workgroup_id_z 0
		.amdhsa_system_sgpr_workgroup_info 0
		.amdhsa_system_vgpr_workitem_id 0
		.amdhsa_next_free_vgpr 1
		.amdhsa_next_free_sgpr 1
		.amdhsa_named_barrier_count 0
		.amdhsa_reserve_vcc 0
		.amdhsa_float_round_mode_32 0
		.amdhsa_float_round_mode_16_64 0
		.amdhsa_float_denorm_mode_32 3
		.amdhsa_float_denorm_mode_16_64 3
		.amdhsa_fp16_overflow 0
		.amdhsa_memory_ordered 1
		.amdhsa_forward_progress 1
		.amdhsa_inst_pref_size 0
		.amdhsa_round_robin_scheduling 0
		.amdhsa_exception_fp_ieee_invalid_op 0
		.amdhsa_exception_fp_denorm_src 0
		.amdhsa_exception_fp_ieee_div_zero 0
		.amdhsa_exception_fp_ieee_overflow 0
		.amdhsa_exception_fp_ieee_underflow 0
		.amdhsa_exception_fp_ieee_inexact 0
		.amdhsa_exception_int_div_zero 0
	.end_amdhsa_kernel
	.section	.text._ZN7rocprim17ROCPRIM_400000_NS6detail17trampoline_kernelINS0_14default_configENS1_27scan_by_key_config_selectorIssEEZZNS1_16scan_by_key_implILNS1_25lookback_scan_determinismE0ELb1ES3_N6thrust23THRUST_200600_302600_NS6detail15normal_iteratorINS9_10device_ptrIsEEEESE_SE_sNS9_4plusIvEENS9_8equal_toIvEEsEE10hipError_tPvRmT2_T3_T4_T5_mT6_T7_P12ihipStream_tbENKUlT_T0_E_clISt17integral_constantIbLb0EESZ_EEDaSU_SV_EUlSU_E_NS1_11comp_targetILNS1_3genE10ELNS1_11target_archE1201ELNS1_3gpuE5ELNS1_3repE0EEENS1_30default_config_static_selectorELNS0_4arch9wavefront6targetE0EEEvT1_,"axG",@progbits,_ZN7rocprim17ROCPRIM_400000_NS6detail17trampoline_kernelINS0_14default_configENS1_27scan_by_key_config_selectorIssEEZZNS1_16scan_by_key_implILNS1_25lookback_scan_determinismE0ELb1ES3_N6thrust23THRUST_200600_302600_NS6detail15normal_iteratorINS9_10device_ptrIsEEEESE_SE_sNS9_4plusIvEENS9_8equal_toIvEEsEE10hipError_tPvRmT2_T3_T4_T5_mT6_T7_P12ihipStream_tbENKUlT_T0_E_clISt17integral_constantIbLb0EESZ_EEDaSU_SV_EUlSU_E_NS1_11comp_targetILNS1_3genE10ELNS1_11target_archE1201ELNS1_3gpuE5ELNS1_3repE0EEENS1_30default_config_static_selectorELNS0_4arch9wavefront6targetE0EEEvT1_,comdat
.Lfunc_end570:
	.size	_ZN7rocprim17ROCPRIM_400000_NS6detail17trampoline_kernelINS0_14default_configENS1_27scan_by_key_config_selectorIssEEZZNS1_16scan_by_key_implILNS1_25lookback_scan_determinismE0ELb1ES3_N6thrust23THRUST_200600_302600_NS6detail15normal_iteratorINS9_10device_ptrIsEEEESE_SE_sNS9_4plusIvEENS9_8equal_toIvEEsEE10hipError_tPvRmT2_T3_T4_T5_mT6_T7_P12ihipStream_tbENKUlT_T0_E_clISt17integral_constantIbLb0EESZ_EEDaSU_SV_EUlSU_E_NS1_11comp_targetILNS1_3genE10ELNS1_11target_archE1201ELNS1_3gpuE5ELNS1_3repE0EEENS1_30default_config_static_selectorELNS0_4arch9wavefront6targetE0EEEvT1_, .Lfunc_end570-_ZN7rocprim17ROCPRIM_400000_NS6detail17trampoline_kernelINS0_14default_configENS1_27scan_by_key_config_selectorIssEEZZNS1_16scan_by_key_implILNS1_25lookback_scan_determinismE0ELb1ES3_N6thrust23THRUST_200600_302600_NS6detail15normal_iteratorINS9_10device_ptrIsEEEESE_SE_sNS9_4plusIvEENS9_8equal_toIvEEsEE10hipError_tPvRmT2_T3_T4_T5_mT6_T7_P12ihipStream_tbENKUlT_T0_E_clISt17integral_constantIbLb0EESZ_EEDaSU_SV_EUlSU_E_NS1_11comp_targetILNS1_3genE10ELNS1_11target_archE1201ELNS1_3gpuE5ELNS1_3repE0EEENS1_30default_config_static_selectorELNS0_4arch9wavefront6targetE0EEEvT1_
                                        ; -- End function
	.set _ZN7rocprim17ROCPRIM_400000_NS6detail17trampoline_kernelINS0_14default_configENS1_27scan_by_key_config_selectorIssEEZZNS1_16scan_by_key_implILNS1_25lookback_scan_determinismE0ELb1ES3_N6thrust23THRUST_200600_302600_NS6detail15normal_iteratorINS9_10device_ptrIsEEEESE_SE_sNS9_4plusIvEENS9_8equal_toIvEEsEE10hipError_tPvRmT2_T3_T4_T5_mT6_T7_P12ihipStream_tbENKUlT_T0_E_clISt17integral_constantIbLb0EESZ_EEDaSU_SV_EUlSU_E_NS1_11comp_targetILNS1_3genE10ELNS1_11target_archE1201ELNS1_3gpuE5ELNS1_3repE0EEENS1_30default_config_static_selectorELNS0_4arch9wavefront6targetE0EEEvT1_.num_vgpr, 0
	.set _ZN7rocprim17ROCPRIM_400000_NS6detail17trampoline_kernelINS0_14default_configENS1_27scan_by_key_config_selectorIssEEZZNS1_16scan_by_key_implILNS1_25lookback_scan_determinismE0ELb1ES3_N6thrust23THRUST_200600_302600_NS6detail15normal_iteratorINS9_10device_ptrIsEEEESE_SE_sNS9_4plusIvEENS9_8equal_toIvEEsEE10hipError_tPvRmT2_T3_T4_T5_mT6_T7_P12ihipStream_tbENKUlT_T0_E_clISt17integral_constantIbLb0EESZ_EEDaSU_SV_EUlSU_E_NS1_11comp_targetILNS1_3genE10ELNS1_11target_archE1201ELNS1_3gpuE5ELNS1_3repE0EEENS1_30default_config_static_selectorELNS0_4arch9wavefront6targetE0EEEvT1_.num_agpr, 0
	.set _ZN7rocprim17ROCPRIM_400000_NS6detail17trampoline_kernelINS0_14default_configENS1_27scan_by_key_config_selectorIssEEZZNS1_16scan_by_key_implILNS1_25lookback_scan_determinismE0ELb1ES3_N6thrust23THRUST_200600_302600_NS6detail15normal_iteratorINS9_10device_ptrIsEEEESE_SE_sNS9_4plusIvEENS9_8equal_toIvEEsEE10hipError_tPvRmT2_T3_T4_T5_mT6_T7_P12ihipStream_tbENKUlT_T0_E_clISt17integral_constantIbLb0EESZ_EEDaSU_SV_EUlSU_E_NS1_11comp_targetILNS1_3genE10ELNS1_11target_archE1201ELNS1_3gpuE5ELNS1_3repE0EEENS1_30default_config_static_selectorELNS0_4arch9wavefront6targetE0EEEvT1_.numbered_sgpr, 0
	.set _ZN7rocprim17ROCPRIM_400000_NS6detail17trampoline_kernelINS0_14default_configENS1_27scan_by_key_config_selectorIssEEZZNS1_16scan_by_key_implILNS1_25lookback_scan_determinismE0ELb1ES3_N6thrust23THRUST_200600_302600_NS6detail15normal_iteratorINS9_10device_ptrIsEEEESE_SE_sNS9_4plusIvEENS9_8equal_toIvEEsEE10hipError_tPvRmT2_T3_T4_T5_mT6_T7_P12ihipStream_tbENKUlT_T0_E_clISt17integral_constantIbLb0EESZ_EEDaSU_SV_EUlSU_E_NS1_11comp_targetILNS1_3genE10ELNS1_11target_archE1201ELNS1_3gpuE5ELNS1_3repE0EEENS1_30default_config_static_selectorELNS0_4arch9wavefront6targetE0EEEvT1_.num_named_barrier, 0
	.set _ZN7rocprim17ROCPRIM_400000_NS6detail17trampoline_kernelINS0_14default_configENS1_27scan_by_key_config_selectorIssEEZZNS1_16scan_by_key_implILNS1_25lookback_scan_determinismE0ELb1ES3_N6thrust23THRUST_200600_302600_NS6detail15normal_iteratorINS9_10device_ptrIsEEEESE_SE_sNS9_4plusIvEENS9_8equal_toIvEEsEE10hipError_tPvRmT2_T3_T4_T5_mT6_T7_P12ihipStream_tbENKUlT_T0_E_clISt17integral_constantIbLb0EESZ_EEDaSU_SV_EUlSU_E_NS1_11comp_targetILNS1_3genE10ELNS1_11target_archE1201ELNS1_3gpuE5ELNS1_3repE0EEENS1_30default_config_static_selectorELNS0_4arch9wavefront6targetE0EEEvT1_.private_seg_size, 0
	.set _ZN7rocprim17ROCPRIM_400000_NS6detail17trampoline_kernelINS0_14default_configENS1_27scan_by_key_config_selectorIssEEZZNS1_16scan_by_key_implILNS1_25lookback_scan_determinismE0ELb1ES3_N6thrust23THRUST_200600_302600_NS6detail15normal_iteratorINS9_10device_ptrIsEEEESE_SE_sNS9_4plusIvEENS9_8equal_toIvEEsEE10hipError_tPvRmT2_T3_T4_T5_mT6_T7_P12ihipStream_tbENKUlT_T0_E_clISt17integral_constantIbLb0EESZ_EEDaSU_SV_EUlSU_E_NS1_11comp_targetILNS1_3genE10ELNS1_11target_archE1201ELNS1_3gpuE5ELNS1_3repE0EEENS1_30default_config_static_selectorELNS0_4arch9wavefront6targetE0EEEvT1_.uses_vcc, 0
	.set _ZN7rocprim17ROCPRIM_400000_NS6detail17trampoline_kernelINS0_14default_configENS1_27scan_by_key_config_selectorIssEEZZNS1_16scan_by_key_implILNS1_25lookback_scan_determinismE0ELb1ES3_N6thrust23THRUST_200600_302600_NS6detail15normal_iteratorINS9_10device_ptrIsEEEESE_SE_sNS9_4plusIvEENS9_8equal_toIvEEsEE10hipError_tPvRmT2_T3_T4_T5_mT6_T7_P12ihipStream_tbENKUlT_T0_E_clISt17integral_constantIbLb0EESZ_EEDaSU_SV_EUlSU_E_NS1_11comp_targetILNS1_3genE10ELNS1_11target_archE1201ELNS1_3gpuE5ELNS1_3repE0EEENS1_30default_config_static_selectorELNS0_4arch9wavefront6targetE0EEEvT1_.uses_flat_scratch, 0
	.set _ZN7rocprim17ROCPRIM_400000_NS6detail17trampoline_kernelINS0_14default_configENS1_27scan_by_key_config_selectorIssEEZZNS1_16scan_by_key_implILNS1_25lookback_scan_determinismE0ELb1ES3_N6thrust23THRUST_200600_302600_NS6detail15normal_iteratorINS9_10device_ptrIsEEEESE_SE_sNS9_4plusIvEENS9_8equal_toIvEEsEE10hipError_tPvRmT2_T3_T4_T5_mT6_T7_P12ihipStream_tbENKUlT_T0_E_clISt17integral_constantIbLb0EESZ_EEDaSU_SV_EUlSU_E_NS1_11comp_targetILNS1_3genE10ELNS1_11target_archE1201ELNS1_3gpuE5ELNS1_3repE0EEENS1_30default_config_static_selectorELNS0_4arch9wavefront6targetE0EEEvT1_.has_dyn_sized_stack, 0
	.set _ZN7rocprim17ROCPRIM_400000_NS6detail17trampoline_kernelINS0_14default_configENS1_27scan_by_key_config_selectorIssEEZZNS1_16scan_by_key_implILNS1_25lookback_scan_determinismE0ELb1ES3_N6thrust23THRUST_200600_302600_NS6detail15normal_iteratorINS9_10device_ptrIsEEEESE_SE_sNS9_4plusIvEENS9_8equal_toIvEEsEE10hipError_tPvRmT2_T3_T4_T5_mT6_T7_P12ihipStream_tbENKUlT_T0_E_clISt17integral_constantIbLb0EESZ_EEDaSU_SV_EUlSU_E_NS1_11comp_targetILNS1_3genE10ELNS1_11target_archE1201ELNS1_3gpuE5ELNS1_3repE0EEENS1_30default_config_static_selectorELNS0_4arch9wavefront6targetE0EEEvT1_.has_recursion, 0
	.set _ZN7rocprim17ROCPRIM_400000_NS6detail17trampoline_kernelINS0_14default_configENS1_27scan_by_key_config_selectorIssEEZZNS1_16scan_by_key_implILNS1_25lookback_scan_determinismE0ELb1ES3_N6thrust23THRUST_200600_302600_NS6detail15normal_iteratorINS9_10device_ptrIsEEEESE_SE_sNS9_4plusIvEENS9_8equal_toIvEEsEE10hipError_tPvRmT2_T3_T4_T5_mT6_T7_P12ihipStream_tbENKUlT_T0_E_clISt17integral_constantIbLb0EESZ_EEDaSU_SV_EUlSU_E_NS1_11comp_targetILNS1_3genE10ELNS1_11target_archE1201ELNS1_3gpuE5ELNS1_3repE0EEENS1_30default_config_static_selectorELNS0_4arch9wavefront6targetE0EEEvT1_.has_indirect_call, 0
	.section	.AMDGPU.csdata,"",@progbits
; Kernel info:
; codeLenInByte = 0
; TotalNumSgprs: 0
; NumVgprs: 0
; ScratchSize: 0
; MemoryBound: 0
; FloatMode: 240
; IeeeMode: 1
; LDSByteSize: 0 bytes/workgroup (compile time only)
; SGPRBlocks: 0
; VGPRBlocks: 0
; NumSGPRsForWavesPerEU: 1
; NumVGPRsForWavesPerEU: 1
; NamedBarCnt: 0
; Occupancy: 16
; WaveLimiterHint : 0
; COMPUTE_PGM_RSRC2:SCRATCH_EN: 0
; COMPUTE_PGM_RSRC2:USER_SGPR: 2
; COMPUTE_PGM_RSRC2:TRAP_HANDLER: 0
; COMPUTE_PGM_RSRC2:TGID_X_EN: 1
; COMPUTE_PGM_RSRC2:TGID_Y_EN: 0
; COMPUTE_PGM_RSRC2:TGID_Z_EN: 0
; COMPUTE_PGM_RSRC2:TIDIG_COMP_CNT: 0
	.section	.text._ZN7rocprim17ROCPRIM_400000_NS6detail17trampoline_kernelINS0_14default_configENS1_27scan_by_key_config_selectorIssEEZZNS1_16scan_by_key_implILNS1_25lookback_scan_determinismE0ELb1ES3_N6thrust23THRUST_200600_302600_NS6detail15normal_iteratorINS9_10device_ptrIsEEEESE_SE_sNS9_4plusIvEENS9_8equal_toIvEEsEE10hipError_tPvRmT2_T3_T4_T5_mT6_T7_P12ihipStream_tbENKUlT_T0_E_clISt17integral_constantIbLb0EESZ_EEDaSU_SV_EUlSU_E_NS1_11comp_targetILNS1_3genE5ELNS1_11target_archE942ELNS1_3gpuE9ELNS1_3repE0EEENS1_30default_config_static_selectorELNS0_4arch9wavefront6targetE0EEEvT1_,"axG",@progbits,_ZN7rocprim17ROCPRIM_400000_NS6detail17trampoline_kernelINS0_14default_configENS1_27scan_by_key_config_selectorIssEEZZNS1_16scan_by_key_implILNS1_25lookback_scan_determinismE0ELb1ES3_N6thrust23THRUST_200600_302600_NS6detail15normal_iteratorINS9_10device_ptrIsEEEESE_SE_sNS9_4plusIvEENS9_8equal_toIvEEsEE10hipError_tPvRmT2_T3_T4_T5_mT6_T7_P12ihipStream_tbENKUlT_T0_E_clISt17integral_constantIbLb0EESZ_EEDaSU_SV_EUlSU_E_NS1_11comp_targetILNS1_3genE5ELNS1_11target_archE942ELNS1_3gpuE9ELNS1_3repE0EEENS1_30default_config_static_selectorELNS0_4arch9wavefront6targetE0EEEvT1_,comdat
	.protected	_ZN7rocprim17ROCPRIM_400000_NS6detail17trampoline_kernelINS0_14default_configENS1_27scan_by_key_config_selectorIssEEZZNS1_16scan_by_key_implILNS1_25lookback_scan_determinismE0ELb1ES3_N6thrust23THRUST_200600_302600_NS6detail15normal_iteratorINS9_10device_ptrIsEEEESE_SE_sNS9_4plusIvEENS9_8equal_toIvEEsEE10hipError_tPvRmT2_T3_T4_T5_mT6_T7_P12ihipStream_tbENKUlT_T0_E_clISt17integral_constantIbLb0EESZ_EEDaSU_SV_EUlSU_E_NS1_11comp_targetILNS1_3genE5ELNS1_11target_archE942ELNS1_3gpuE9ELNS1_3repE0EEENS1_30default_config_static_selectorELNS0_4arch9wavefront6targetE0EEEvT1_ ; -- Begin function _ZN7rocprim17ROCPRIM_400000_NS6detail17trampoline_kernelINS0_14default_configENS1_27scan_by_key_config_selectorIssEEZZNS1_16scan_by_key_implILNS1_25lookback_scan_determinismE0ELb1ES3_N6thrust23THRUST_200600_302600_NS6detail15normal_iteratorINS9_10device_ptrIsEEEESE_SE_sNS9_4plusIvEENS9_8equal_toIvEEsEE10hipError_tPvRmT2_T3_T4_T5_mT6_T7_P12ihipStream_tbENKUlT_T0_E_clISt17integral_constantIbLb0EESZ_EEDaSU_SV_EUlSU_E_NS1_11comp_targetILNS1_3genE5ELNS1_11target_archE942ELNS1_3gpuE9ELNS1_3repE0EEENS1_30default_config_static_selectorELNS0_4arch9wavefront6targetE0EEEvT1_
	.globl	_ZN7rocprim17ROCPRIM_400000_NS6detail17trampoline_kernelINS0_14default_configENS1_27scan_by_key_config_selectorIssEEZZNS1_16scan_by_key_implILNS1_25lookback_scan_determinismE0ELb1ES3_N6thrust23THRUST_200600_302600_NS6detail15normal_iteratorINS9_10device_ptrIsEEEESE_SE_sNS9_4plusIvEENS9_8equal_toIvEEsEE10hipError_tPvRmT2_T3_T4_T5_mT6_T7_P12ihipStream_tbENKUlT_T0_E_clISt17integral_constantIbLb0EESZ_EEDaSU_SV_EUlSU_E_NS1_11comp_targetILNS1_3genE5ELNS1_11target_archE942ELNS1_3gpuE9ELNS1_3repE0EEENS1_30default_config_static_selectorELNS0_4arch9wavefront6targetE0EEEvT1_
	.p2align	8
	.type	_ZN7rocprim17ROCPRIM_400000_NS6detail17trampoline_kernelINS0_14default_configENS1_27scan_by_key_config_selectorIssEEZZNS1_16scan_by_key_implILNS1_25lookback_scan_determinismE0ELb1ES3_N6thrust23THRUST_200600_302600_NS6detail15normal_iteratorINS9_10device_ptrIsEEEESE_SE_sNS9_4plusIvEENS9_8equal_toIvEEsEE10hipError_tPvRmT2_T3_T4_T5_mT6_T7_P12ihipStream_tbENKUlT_T0_E_clISt17integral_constantIbLb0EESZ_EEDaSU_SV_EUlSU_E_NS1_11comp_targetILNS1_3genE5ELNS1_11target_archE942ELNS1_3gpuE9ELNS1_3repE0EEENS1_30default_config_static_selectorELNS0_4arch9wavefront6targetE0EEEvT1_,@function
_ZN7rocprim17ROCPRIM_400000_NS6detail17trampoline_kernelINS0_14default_configENS1_27scan_by_key_config_selectorIssEEZZNS1_16scan_by_key_implILNS1_25lookback_scan_determinismE0ELb1ES3_N6thrust23THRUST_200600_302600_NS6detail15normal_iteratorINS9_10device_ptrIsEEEESE_SE_sNS9_4plusIvEENS9_8equal_toIvEEsEE10hipError_tPvRmT2_T3_T4_T5_mT6_T7_P12ihipStream_tbENKUlT_T0_E_clISt17integral_constantIbLb0EESZ_EEDaSU_SV_EUlSU_E_NS1_11comp_targetILNS1_3genE5ELNS1_11target_archE942ELNS1_3gpuE9ELNS1_3repE0EEENS1_30default_config_static_selectorELNS0_4arch9wavefront6targetE0EEEvT1_: ; @_ZN7rocprim17ROCPRIM_400000_NS6detail17trampoline_kernelINS0_14default_configENS1_27scan_by_key_config_selectorIssEEZZNS1_16scan_by_key_implILNS1_25lookback_scan_determinismE0ELb1ES3_N6thrust23THRUST_200600_302600_NS6detail15normal_iteratorINS9_10device_ptrIsEEEESE_SE_sNS9_4plusIvEENS9_8equal_toIvEEsEE10hipError_tPvRmT2_T3_T4_T5_mT6_T7_P12ihipStream_tbENKUlT_T0_E_clISt17integral_constantIbLb0EESZ_EEDaSU_SV_EUlSU_E_NS1_11comp_targetILNS1_3genE5ELNS1_11target_archE942ELNS1_3gpuE9ELNS1_3repE0EEENS1_30default_config_static_selectorELNS0_4arch9wavefront6targetE0EEEvT1_
; %bb.0:
	.section	.rodata,"a",@progbits
	.p2align	6, 0x0
	.amdhsa_kernel _ZN7rocprim17ROCPRIM_400000_NS6detail17trampoline_kernelINS0_14default_configENS1_27scan_by_key_config_selectorIssEEZZNS1_16scan_by_key_implILNS1_25lookback_scan_determinismE0ELb1ES3_N6thrust23THRUST_200600_302600_NS6detail15normal_iteratorINS9_10device_ptrIsEEEESE_SE_sNS9_4plusIvEENS9_8equal_toIvEEsEE10hipError_tPvRmT2_T3_T4_T5_mT6_T7_P12ihipStream_tbENKUlT_T0_E_clISt17integral_constantIbLb0EESZ_EEDaSU_SV_EUlSU_E_NS1_11comp_targetILNS1_3genE5ELNS1_11target_archE942ELNS1_3gpuE9ELNS1_3repE0EEENS1_30default_config_static_selectorELNS0_4arch9wavefront6targetE0EEEvT1_
		.amdhsa_group_segment_fixed_size 0
		.amdhsa_private_segment_fixed_size 0
		.amdhsa_kernarg_size 112
		.amdhsa_user_sgpr_count 2
		.amdhsa_user_sgpr_dispatch_ptr 0
		.amdhsa_user_sgpr_queue_ptr 0
		.amdhsa_user_sgpr_kernarg_segment_ptr 1
		.amdhsa_user_sgpr_dispatch_id 0
		.amdhsa_user_sgpr_kernarg_preload_length 0
		.amdhsa_user_sgpr_kernarg_preload_offset 0
		.amdhsa_user_sgpr_private_segment_size 0
		.amdhsa_wavefront_size32 1
		.amdhsa_uses_dynamic_stack 0
		.amdhsa_enable_private_segment 0
		.amdhsa_system_sgpr_workgroup_id_x 1
		.amdhsa_system_sgpr_workgroup_id_y 0
		.amdhsa_system_sgpr_workgroup_id_z 0
		.amdhsa_system_sgpr_workgroup_info 0
		.amdhsa_system_vgpr_workitem_id 0
		.amdhsa_next_free_vgpr 1
		.amdhsa_next_free_sgpr 1
		.amdhsa_named_barrier_count 0
		.amdhsa_reserve_vcc 0
		.amdhsa_float_round_mode_32 0
		.amdhsa_float_round_mode_16_64 0
		.amdhsa_float_denorm_mode_32 3
		.amdhsa_float_denorm_mode_16_64 3
		.amdhsa_fp16_overflow 0
		.amdhsa_memory_ordered 1
		.amdhsa_forward_progress 1
		.amdhsa_inst_pref_size 0
		.amdhsa_round_robin_scheduling 0
		.amdhsa_exception_fp_ieee_invalid_op 0
		.amdhsa_exception_fp_denorm_src 0
		.amdhsa_exception_fp_ieee_div_zero 0
		.amdhsa_exception_fp_ieee_overflow 0
		.amdhsa_exception_fp_ieee_underflow 0
		.amdhsa_exception_fp_ieee_inexact 0
		.amdhsa_exception_int_div_zero 0
	.end_amdhsa_kernel
	.section	.text._ZN7rocprim17ROCPRIM_400000_NS6detail17trampoline_kernelINS0_14default_configENS1_27scan_by_key_config_selectorIssEEZZNS1_16scan_by_key_implILNS1_25lookback_scan_determinismE0ELb1ES3_N6thrust23THRUST_200600_302600_NS6detail15normal_iteratorINS9_10device_ptrIsEEEESE_SE_sNS9_4plusIvEENS9_8equal_toIvEEsEE10hipError_tPvRmT2_T3_T4_T5_mT6_T7_P12ihipStream_tbENKUlT_T0_E_clISt17integral_constantIbLb0EESZ_EEDaSU_SV_EUlSU_E_NS1_11comp_targetILNS1_3genE5ELNS1_11target_archE942ELNS1_3gpuE9ELNS1_3repE0EEENS1_30default_config_static_selectorELNS0_4arch9wavefront6targetE0EEEvT1_,"axG",@progbits,_ZN7rocprim17ROCPRIM_400000_NS6detail17trampoline_kernelINS0_14default_configENS1_27scan_by_key_config_selectorIssEEZZNS1_16scan_by_key_implILNS1_25lookback_scan_determinismE0ELb1ES3_N6thrust23THRUST_200600_302600_NS6detail15normal_iteratorINS9_10device_ptrIsEEEESE_SE_sNS9_4plusIvEENS9_8equal_toIvEEsEE10hipError_tPvRmT2_T3_T4_T5_mT6_T7_P12ihipStream_tbENKUlT_T0_E_clISt17integral_constantIbLb0EESZ_EEDaSU_SV_EUlSU_E_NS1_11comp_targetILNS1_3genE5ELNS1_11target_archE942ELNS1_3gpuE9ELNS1_3repE0EEENS1_30default_config_static_selectorELNS0_4arch9wavefront6targetE0EEEvT1_,comdat
.Lfunc_end571:
	.size	_ZN7rocprim17ROCPRIM_400000_NS6detail17trampoline_kernelINS0_14default_configENS1_27scan_by_key_config_selectorIssEEZZNS1_16scan_by_key_implILNS1_25lookback_scan_determinismE0ELb1ES3_N6thrust23THRUST_200600_302600_NS6detail15normal_iteratorINS9_10device_ptrIsEEEESE_SE_sNS9_4plusIvEENS9_8equal_toIvEEsEE10hipError_tPvRmT2_T3_T4_T5_mT6_T7_P12ihipStream_tbENKUlT_T0_E_clISt17integral_constantIbLb0EESZ_EEDaSU_SV_EUlSU_E_NS1_11comp_targetILNS1_3genE5ELNS1_11target_archE942ELNS1_3gpuE9ELNS1_3repE0EEENS1_30default_config_static_selectorELNS0_4arch9wavefront6targetE0EEEvT1_, .Lfunc_end571-_ZN7rocprim17ROCPRIM_400000_NS6detail17trampoline_kernelINS0_14default_configENS1_27scan_by_key_config_selectorIssEEZZNS1_16scan_by_key_implILNS1_25lookback_scan_determinismE0ELb1ES3_N6thrust23THRUST_200600_302600_NS6detail15normal_iteratorINS9_10device_ptrIsEEEESE_SE_sNS9_4plusIvEENS9_8equal_toIvEEsEE10hipError_tPvRmT2_T3_T4_T5_mT6_T7_P12ihipStream_tbENKUlT_T0_E_clISt17integral_constantIbLb0EESZ_EEDaSU_SV_EUlSU_E_NS1_11comp_targetILNS1_3genE5ELNS1_11target_archE942ELNS1_3gpuE9ELNS1_3repE0EEENS1_30default_config_static_selectorELNS0_4arch9wavefront6targetE0EEEvT1_
                                        ; -- End function
	.set _ZN7rocprim17ROCPRIM_400000_NS6detail17trampoline_kernelINS0_14default_configENS1_27scan_by_key_config_selectorIssEEZZNS1_16scan_by_key_implILNS1_25lookback_scan_determinismE0ELb1ES3_N6thrust23THRUST_200600_302600_NS6detail15normal_iteratorINS9_10device_ptrIsEEEESE_SE_sNS9_4plusIvEENS9_8equal_toIvEEsEE10hipError_tPvRmT2_T3_T4_T5_mT6_T7_P12ihipStream_tbENKUlT_T0_E_clISt17integral_constantIbLb0EESZ_EEDaSU_SV_EUlSU_E_NS1_11comp_targetILNS1_3genE5ELNS1_11target_archE942ELNS1_3gpuE9ELNS1_3repE0EEENS1_30default_config_static_selectorELNS0_4arch9wavefront6targetE0EEEvT1_.num_vgpr, 0
	.set _ZN7rocprim17ROCPRIM_400000_NS6detail17trampoline_kernelINS0_14default_configENS1_27scan_by_key_config_selectorIssEEZZNS1_16scan_by_key_implILNS1_25lookback_scan_determinismE0ELb1ES3_N6thrust23THRUST_200600_302600_NS6detail15normal_iteratorINS9_10device_ptrIsEEEESE_SE_sNS9_4plusIvEENS9_8equal_toIvEEsEE10hipError_tPvRmT2_T3_T4_T5_mT6_T7_P12ihipStream_tbENKUlT_T0_E_clISt17integral_constantIbLb0EESZ_EEDaSU_SV_EUlSU_E_NS1_11comp_targetILNS1_3genE5ELNS1_11target_archE942ELNS1_3gpuE9ELNS1_3repE0EEENS1_30default_config_static_selectorELNS0_4arch9wavefront6targetE0EEEvT1_.num_agpr, 0
	.set _ZN7rocprim17ROCPRIM_400000_NS6detail17trampoline_kernelINS0_14default_configENS1_27scan_by_key_config_selectorIssEEZZNS1_16scan_by_key_implILNS1_25lookback_scan_determinismE0ELb1ES3_N6thrust23THRUST_200600_302600_NS6detail15normal_iteratorINS9_10device_ptrIsEEEESE_SE_sNS9_4plusIvEENS9_8equal_toIvEEsEE10hipError_tPvRmT2_T3_T4_T5_mT6_T7_P12ihipStream_tbENKUlT_T0_E_clISt17integral_constantIbLb0EESZ_EEDaSU_SV_EUlSU_E_NS1_11comp_targetILNS1_3genE5ELNS1_11target_archE942ELNS1_3gpuE9ELNS1_3repE0EEENS1_30default_config_static_selectorELNS0_4arch9wavefront6targetE0EEEvT1_.numbered_sgpr, 0
	.set _ZN7rocprim17ROCPRIM_400000_NS6detail17trampoline_kernelINS0_14default_configENS1_27scan_by_key_config_selectorIssEEZZNS1_16scan_by_key_implILNS1_25lookback_scan_determinismE0ELb1ES3_N6thrust23THRUST_200600_302600_NS6detail15normal_iteratorINS9_10device_ptrIsEEEESE_SE_sNS9_4plusIvEENS9_8equal_toIvEEsEE10hipError_tPvRmT2_T3_T4_T5_mT6_T7_P12ihipStream_tbENKUlT_T0_E_clISt17integral_constantIbLb0EESZ_EEDaSU_SV_EUlSU_E_NS1_11comp_targetILNS1_3genE5ELNS1_11target_archE942ELNS1_3gpuE9ELNS1_3repE0EEENS1_30default_config_static_selectorELNS0_4arch9wavefront6targetE0EEEvT1_.num_named_barrier, 0
	.set _ZN7rocprim17ROCPRIM_400000_NS6detail17trampoline_kernelINS0_14default_configENS1_27scan_by_key_config_selectorIssEEZZNS1_16scan_by_key_implILNS1_25lookback_scan_determinismE0ELb1ES3_N6thrust23THRUST_200600_302600_NS6detail15normal_iteratorINS9_10device_ptrIsEEEESE_SE_sNS9_4plusIvEENS9_8equal_toIvEEsEE10hipError_tPvRmT2_T3_T4_T5_mT6_T7_P12ihipStream_tbENKUlT_T0_E_clISt17integral_constantIbLb0EESZ_EEDaSU_SV_EUlSU_E_NS1_11comp_targetILNS1_3genE5ELNS1_11target_archE942ELNS1_3gpuE9ELNS1_3repE0EEENS1_30default_config_static_selectorELNS0_4arch9wavefront6targetE0EEEvT1_.private_seg_size, 0
	.set _ZN7rocprim17ROCPRIM_400000_NS6detail17trampoline_kernelINS0_14default_configENS1_27scan_by_key_config_selectorIssEEZZNS1_16scan_by_key_implILNS1_25lookback_scan_determinismE0ELb1ES3_N6thrust23THRUST_200600_302600_NS6detail15normal_iteratorINS9_10device_ptrIsEEEESE_SE_sNS9_4plusIvEENS9_8equal_toIvEEsEE10hipError_tPvRmT2_T3_T4_T5_mT6_T7_P12ihipStream_tbENKUlT_T0_E_clISt17integral_constantIbLb0EESZ_EEDaSU_SV_EUlSU_E_NS1_11comp_targetILNS1_3genE5ELNS1_11target_archE942ELNS1_3gpuE9ELNS1_3repE0EEENS1_30default_config_static_selectorELNS0_4arch9wavefront6targetE0EEEvT1_.uses_vcc, 0
	.set _ZN7rocprim17ROCPRIM_400000_NS6detail17trampoline_kernelINS0_14default_configENS1_27scan_by_key_config_selectorIssEEZZNS1_16scan_by_key_implILNS1_25lookback_scan_determinismE0ELb1ES3_N6thrust23THRUST_200600_302600_NS6detail15normal_iteratorINS9_10device_ptrIsEEEESE_SE_sNS9_4plusIvEENS9_8equal_toIvEEsEE10hipError_tPvRmT2_T3_T4_T5_mT6_T7_P12ihipStream_tbENKUlT_T0_E_clISt17integral_constantIbLb0EESZ_EEDaSU_SV_EUlSU_E_NS1_11comp_targetILNS1_3genE5ELNS1_11target_archE942ELNS1_3gpuE9ELNS1_3repE0EEENS1_30default_config_static_selectorELNS0_4arch9wavefront6targetE0EEEvT1_.uses_flat_scratch, 0
	.set _ZN7rocprim17ROCPRIM_400000_NS6detail17trampoline_kernelINS0_14default_configENS1_27scan_by_key_config_selectorIssEEZZNS1_16scan_by_key_implILNS1_25lookback_scan_determinismE0ELb1ES3_N6thrust23THRUST_200600_302600_NS6detail15normal_iteratorINS9_10device_ptrIsEEEESE_SE_sNS9_4plusIvEENS9_8equal_toIvEEsEE10hipError_tPvRmT2_T3_T4_T5_mT6_T7_P12ihipStream_tbENKUlT_T0_E_clISt17integral_constantIbLb0EESZ_EEDaSU_SV_EUlSU_E_NS1_11comp_targetILNS1_3genE5ELNS1_11target_archE942ELNS1_3gpuE9ELNS1_3repE0EEENS1_30default_config_static_selectorELNS0_4arch9wavefront6targetE0EEEvT1_.has_dyn_sized_stack, 0
	.set _ZN7rocprim17ROCPRIM_400000_NS6detail17trampoline_kernelINS0_14default_configENS1_27scan_by_key_config_selectorIssEEZZNS1_16scan_by_key_implILNS1_25lookback_scan_determinismE0ELb1ES3_N6thrust23THRUST_200600_302600_NS6detail15normal_iteratorINS9_10device_ptrIsEEEESE_SE_sNS9_4plusIvEENS9_8equal_toIvEEsEE10hipError_tPvRmT2_T3_T4_T5_mT6_T7_P12ihipStream_tbENKUlT_T0_E_clISt17integral_constantIbLb0EESZ_EEDaSU_SV_EUlSU_E_NS1_11comp_targetILNS1_3genE5ELNS1_11target_archE942ELNS1_3gpuE9ELNS1_3repE0EEENS1_30default_config_static_selectorELNS0_4arch9wavefront6targetE0EEEvT1_.has_recursion, 0
	.set _ZN7rocprim17ROCPRIM_400000_NS6detail17trampoline_kernelINS0_14default_configENS1_27scan_by_key_config_selectorIssEEZZNS1_16scan_by_key_implILNS1_25lookback_scan_determinismE0ELb1ES3_N6thrust23THRUST_200600_302600_NS6detail15normal_iteratorINS9_10device_ptrIsEEEESE_SE_sNS9_4plusIvEENS9_8equal_toIvEEsEE10hipError_tPvRmT2_T3_T4_T5_mT6_T7_P12ihipStream_tbENKUlT_T0_E_clISt17integral_constantIbLb0EESZ_EEDaSU_SV_EUlSU_E_NS1_11comp_targetILNS1_3genE5ELNS1_11target_archE942ELNS1_3gpuE9ELNS1_3repE0EEENS1_30default_config_static_selectorELNS0_4arch9wavefront6targetE0EEEvT1_.has_indirect_call, 0
	.section	.AMDGPU.csdata,"",@progbits
; Kernel info:
; codeLenInByte = 0
; TotalNumSgprs: 0
; NumVgprs: 0
; ScratchSize: 0
; MemoryBound: 0
; FloatMode: 240
; IeeeMode: 1
; LDSByteSize: 0 bytes/workgroup (compile time only)
; SGPRBlocks: 0
; VGPRBlocks: 0
; NumSGPRsForWavesPerEU: 1
; NumVGPRsForWavesPerEU: 1
; NamedBarCnt: 0
; Occupancy: 16
; WaveLimiterHint : 0
; COMPUTE_PGM_RSRC2:SCRATCH_EN: 0
; COMPUTE_PGM_RSRC2:USER_SGPR: 2
; COMPUTE_PGM_RSRC2:TRAP_HANDLER: 0
; COMPUTE_PGM_RSRC2:TGID_X_EN: 1
; COMPUTE_PGM_RSRC2:TGID_Y_EN: 0
; COMPUTE_PGM_RSRC2:TGID_Z_EN: 0
; COMPUTE_PGM_RSRC2:TIDIG_COMP_CNT: 0
	.section	.text._ZN7rocprim17ROCPRIM_400000_NS6detail17trampoline_kernelINS0_14default_configENS1_27scan_by_key_config_selectorIssEEZZNS1_16scan_by_key_implILNS1_25lookback_scan_determinismE0ELb1ES3_N6thrust23THRUST_200600_302600_NS6detail15normal_iteratorINS9_10device_ptrIsEEEESE_SE_sNS9_4plusIvEENS9_8equal_toIvEEsEE10hipError_tPvRmT2_T3_T4_T5_mT6_T7_P12ihipStream_tbENKUlT_T0_E_clISt17integral_constantIbLb0EESZ_EEDaSU_SV_EUlSU_E_NS1_11comp_targetILNS1_3genE4ELNS1_11target_archE910ELNS1_3gpuE8ELNS1_3repE0EEENS1_30default_config_static_selectorELNS0_4arch9wavefront6targetE0EEEvT1_,"axG",@progbits,_ZN7rocprim17ROCPRIM_400000_NS6detail17trampoline_kernelINS0_14default_configENS1_27scan_by_key_config_selectorIssEEZZNS1_16scan_by_key_implILNS1_25lookback_scan_determinismE0ELb1ES3_N6thrust23THRUST_200600_302600_NS6detail15normal_iteratorINS9_10device_ptrIsEEEESE_SE_sNS9_4plusIvEENS9_8equal_toIvEEsEE10hipError_tPvRmT2_T3_T4_T5_mT6_T7_P12ihipStream_tbENKUlT_T0_E_clISt17integral_constantIbLb0EESZ_EEDaSU_SV_EUlSU_E_NS1_11comp_targetILNS1_3genE4ELNS1_11target_archE910ELNS1_3gpuE8ELNS1_3repE0EEENS1_30default_config_static_selectorELNS0_4arch9wavefront6targetE0EEEvT1_,comdat
	.protected	_ZN7rocprim17ROCPRIM_400000_NS6detail17trampoline_kernelINS0_14default_configENS1_27scan_by_key_config_selectorIssEEZZNS1_16scan_by_key_implILNS1_25lookback_scan_determinismE0ELb1ES3_N6thrust23THRUST_200600_302600_NS6detail15normal_iteratorINS9_10device_ptrIsEEEESE_SE_sNS9_4plusIvEENS9_8equal_toIvEEsEE10hipError_tPvRmT2_T3_T4_T5_mT6_T7_P12ihipStream_tbENKUlT_T0_E_clISt17integral_constantIbLb0EESZ_EEDaSU_SV_EUlSU_E_NS1_11comp_targetILNS1_3genE4ELNS1_11target_archE910ELNS1_3gpuE8ELNS1_3repE0EEENS1_30default_config_static_selectorELNS0_4arch9wavefront6targetE0EEEvT1_ ; -- Begin function _ZN7rocprim17ROCPRIM_400000_NS6detail17trampoline_kernelINS0_14default_configENS1_27scan_by_key_config_selectorIssEEZZNS1_16scan_by_key_implILNS1_25lookback_scan_determinismE0ELb1ES3_N6thrust23THRUST_200600_302600_NS6detail15normal_iteratorINS9_10device_ptrIsEEEESE_SE_sNS9_4plusIvEENS9_8equal_toIvEEsEE10hipError_tPvRmT2_T3_T4_T5_mT6_T7_P12ihipStream_tbENKUlT_T0_E_clISt17integral_constantIbLb0EESZ_EEDaSU_SV_EUlSU_E_NS1_11comp_targetILNS1_3genE4ELNS1_11target_archE910ELNS1_3gpuE8ELNS1_3repE0EEENS1_30default_config_static_selectorELNS0_4arch9wavefront6targetE0EEEvT1_
	.globl	_ZN7rocprim17ROCPRIM_400000_NS6detail17trampoline_kernelINS0_14default_configENS1_27scan_by_key_config_selectorIssEEZZNS1_16scan_by_key_implILNS1_25lookback_scan_determinismE0ELb1ES3_N6thrust23THRUST_200600_302600_NS6detail15normal_iteratorINS9_10device_ptrIsEEEESE_SE_sNS9_4plusIvEENS9_8equal_toIvEEsEE10hipError_tPvRmT2_T3_T4_T5_mT6_T7_P12ihipStream_tbENKUlT_T0_E_clISt17integral_constantIbLb0EESZ_EEDaSU_SV_EUlSU_E_NS1_11comp_targetILNS1_3genE4ELNS1_11target_archE910ELNS1_3gpuE8ELNS1_3repE0EEENS1_30default_config_static_selectorELNS0_4arch9wavefront6targetE0EEEvT1_
	.p2align	8
	.type	_ZN7rocprim17ROCPRIM_400000_NS6detail17trampoline_kernelINS0_14default_configENS1_27scan_by_key_config_selectorIssEEZZNS1_16scan_by_key_implILNS1_25lookback_scan_determinismE0ELb1ES3_N6thrust23THRUST_200600_302600_NS6detail15normal_iteratorINS9_10device_ptrIsEEEESE_SE_sNS9_4plusIvEENS9_8equal_toIvEEsEE10hipError_tPvRmT2_T3_T4_T5_mT6_T7_P12ihipStream_tbENKUlT_T0_E_clISt17integral_constantIbLb0EESZ_EEDaSU_SV_EUlSU_E_NS1_11comp_targetILNS1_3genE4ELNS1_11target_archE910ELNS1_3gpuE8ELNS1_3repE0EEENS1_30default_config_static_selectorELNS0_4arch9wavefront6targetE0EEEvT1_,@function
_ZN7rocprim17ROCPRIM_400000_NS6detail17trampoline_kernelINS0_14default_configENS1_27scan_by_key_config_selectorIssEEZZNS1_16scan_by_key_implILNS1_25lookback_scan_determinismE0ELb1ES3_N6thrust23THRUST_200600_302600_NS6detail15normal_iteratorINS9_10device_ptrIsEEEESE_SE_sNS9_4plusIvEENS9_8equal_toIvEEsEE10hipError_tPvRmT2_T3_T4_T5_mT6_T7_P12ihipStream_tbENKUlT_T0_E_clISt17integral_constantIbLb0EESZ_EEDaSU_SV_EUlSU_E_NS1_11comp_targetILNS1_3genE4ELNS1_11target_archE910ELNS1_3gpuE8ELNS1_3repE0EEENS1_30default_config_static_selectorELNS0_4arch9wavefront6targetE0EEEvT1_: ; @_ZN7rocprim17ROCPRIM_400000_NS6detail17trampoline_kernelINS0_14default_configENS1_27scan_by_key_config_selectorIssEEZZNS1_16scan_by_key_implILNS1_25lookback_scan_determinismE0ELb1ES3_N6thrust23THRUST_200600_302600_NS6detail15normal_iteratorINS9_10device_ptrIsEEEESE_SE_sNS9_4plusIvEENS9_8equal_toIvEEsEE10hipError_tPvRmT2_T3_T4_T5_mT6_T7_P12ihipStream_tbENKUlT_T0_E_clISt17integral_constantIbLb0EESZ_EEDaSU_SV_EUlSU_E_NS1_11comp_targetILNS1_3genE4ELNS1_11target_archE910ELNS1_3gpuE8ELNS1_3repE0EEENS1_30default_config_static_selectorELNS0_4arch9wavefront6targetE0EEEvT1_
; %bb.0:
	.section	.rodata,"a",@progbits
	.p2align	6, 0x0
	.amdhsa_kernel _ZN7rocprim17ROCPRIM_400000_NS6detail17trampoline_kernelINS0_14default_configENS1_27scan_by_key_config_selectorIssEEZZNS1_16scan_by_key_implILNS1_25lookback_scan_determinismE0ELb1ES3_N6thrust23THRUST_200600_302600_NS6detail15normal_iteratorINS9_10device_ptrIsEEEESE_SE_sNS9_4plusIvEENS9_8equal_toIvEEsEE10hipError_tPvRmT2_T3_T4_T5_mT6_T7_P12ihipStream_tbENKUlT_T0_E_clISt17integral_constantIbLb0EESZ_EEDaSU_SV_EUlSU_E_NS1_11comp_targetILNS1_3genE4ELNS1_11target_archE910ELNS1_3gpuE8ELNS1_3repE0EEENS1_30default_config_static_selectorELNS0_4arch9wavefront6targetE0EEEvT1_
		.amdhsa_group_segment_fixed_size 0
		.amdhsa_private_segment_fixed_size 0
		.amdhsa_kernarg_size 112
		.amdhsa_user_sgpr_count 2
		.amdhsa_user_sgpr_dispatch_ptr 0
		.amdhsa_user_sgpr_queue_ptr 0
		.amdhsa_user_sgpr_kernarg_segment_ptr 1
		.amdhsa_user_sgpr_dispatch_id 0
		.amdhsa_user_sgpr_kernarg_preload_length 0
		.amdhsa_user_sgpr_kernarg_preload_offset 0
		.amdhsa_user_sgpr_private_segment_size 0
		.amdhsa_wavefront_size32 1
		.amdhsa_uses_dynamic_stack 0
		.amdhsa_enable_private_segment 0
		.amdhsa_system_sgpr_workgroup_id_x 1
		.amdhsa_system_sgpr_workgroup_id_y 0
		.amdhsa_system_sgpr_workgroup_id_z 0
		.amdhsa_system_sgpr_workgroup_info 0
		.amdhsa_system_vgpr_workitem_id 0
		.amdhsa_next_free_vgpr 1
		.amdhsa_next_free_sgpr 1
		.amdhsa_named_barrier_count 0
		.amdhsa_reserve_vcc 0
		.amdhsa_float_round_mode_32 0
		.amdhsa_float_round_mode_16_64 0
		.amdhsa_float_denorm_mode_32 3
		.amdhsa_float_denorm_mode_16_64 3
		.amdhsa_fp16_overflow 0
		.amdhsa_memory_ordered 1
		.amdhsa_forward_progress 1
		.amdhsa_inst_pref_size 0
		.amdhsa_round_robin_scheduling 0
		.amdhsa_exception_fp_ieee_invalid_op 0
		.amdhsa_exception_fp_denorm_src 0
		.amdhsa_exception_fp_ieee_div_zero 0
		.amdhsa_exception_fp_ieee_overflow 0
		.amdhsa_exception_fp_ieee_underflow 0
		.amdhsa_exception_fp_ieee_inexact 0
		.amdhsa_exception_int_div_zero 0
	.end_amdhsa_kernel
	.section	.text._ZN7rocprim17ROCPRIM_400000_NS6detail17trampoline_kernelINS0_14default_configENS1_27scan_by_key_config_selectorIssEEZZNS1_16scan_by_key_implILNS1_25lookback_scan_determinismE0ELb1ES3_N6thrust23THRUST_200600_302600_NS6detail15normal_iteratorINS9_10device_ptrIsEEEESE_SE_sNS9_4plusIvEENS9_8equal_toIvEEsEE10hipError_tPvRmT2_T3_T4_T5_mT6_T7_P12ihipStream_tbENKUlT_T0_E_clISt17integral_constantIbLb0EESZ_EEDaSU_SV_EUlSU_E_NS1_11comp_targetILNS1_3genE4ELNS1_11target_archE910ELNS1_3gpuE8ELNS1_3repE0EEENS1_30default_config_static_selectorELNS0_4arch9wavefront6targetE0EEEvT1_,"axG",@progbits,_ZN7rocprim17ROCPRIM_400000_NS6detail17trampoline_kernelINS0_14default_configENS1_27scan_by_key_config_selectorIssEEZZNS1_16scan_by_key_implILNS1_25lookback_scan_determinismE0ELb1ES3_N6thrust23THRUST_200600_302600_NS6detail15normal_iteratorINS9_10device_ptrIsEEEESE_SE_sNS9_4plusIvEENS9_8equal_toIvEEsEE10hipError_tPvRmT2_T3_T4_T5_mT6_T7_P12ihipStream_tbENKUlT_T0_E_clISt17integral_constantIbLb0EESZ_EEDaSU_SV_EUlSU_E_NS1_11comp_targetILNS1_3genE4ELNS1_11target_archE910ELNS1_3gpuE8ELNS1_3repE0EEENS1_30default_config_static_selectorELNS0_4arch9wavefront6targetE0EEEvT1_,comdat
.Lfunc_end572:
	.size	_ZN7rocprim17ROCPRIM_400000_NS6detail17trampoline_kernelINS0_14default_configENS1_27scan_by_key_config_selectorIssEEZZNS1_16scan_by_key_implILNS1_25lookback_scan_determinismE0ELb1ES3_N6thrust23THRUST_200600_302600_NS6detail15normal_iteratorINS9_10device_ptrIsEEEESE_SE_sNS9_4plusIvEENS9_8equal_toIvEEsEE10hipError_tPvRmT2_T3_T4_T5_mT6_T7_P12ihipStream_tbENKUlT_T0_E_clISt17integral_constantIbLb0EESZ_EEDaSU_SV_EUlSU_E_NS1_11comp_targetILNS1_3genE4ELNS1_11target_archE910ELNS1_3gpuE8ELNS1_3repE0EEENS1_30default_config_static_selectorELNS0_4arch9wavefront6targetE0EEEvT1_, .Lfunc_end572-_ZN7rocprim17ROCPRIM_400000_NS6detail17trampoline_kernelINS0_14default_configENS1_27scan_by_key_config_selectorIssEEZZNS1_16scan_by_key_implILNS1_25lookback_scan_determinismE0ELb1ES3_N6thrust23THRUST_200600_302600_NS6detail15normal_iteratorINS9_10device_ptrIsEEEESE_SE_sNS9_4plusIvEENS9_8equal_toIvEEsEE10hipError_tPvRmT2_T3_T4_T5_mT6_T7_P12ihipStream_tbENKUlT_T0_E_clISt17integral_constantIbLb0EESZ_EEDaSU_SV_EUlSU_E_NS1_11comp_targetILNS1_3genE4ELNS1_11target_archE910ELNS1_3gpuE8ELNS1_3repE0EEENS1_30default_config_static_selectorELNS0_4arch9wavefront6targetE0EEEvT1_
                                        ; -- End function
	.set _ZN7rocprim17ROCPRIM_400000_NS6detail17trampoline_kernelINS0_14default_configENS1_27scan_by_key_config_selectorIssEEZZNS1_16scan_by_key_implILNS1_25lookback_scan_determinismE0ELb1ES3_N6thrust23THRUST_200600_302600_NS6detail15normal_iteratorINS9_10device_ptrIsEEEESE_SE_sNS9_4plusIvEENS9_8equal_toIvEEsEE10hipError_tPvRmT2_T3_T4_T5_mT6_T7_P12ihipStream_tbENKUlT_T0_E_clISt17integral_constantIbLb0EESZ_EEDaSU_SV_EUlSU_E_NS1_11comp_targetILNS1_3genE4ELNS1_11target_archE910ELNS1_3gpuE8ELNS1_3repE0EEENS1_30default_config_static_selectorELNS0_4arch9wavefront6targetE0EEEvT1_.num_vgpr, 0
	.set _ZN7rocprim17ROCPRIM_400000_NS6detail17trampoline_kernelINS0_14default_configENS1_27scan_by_key_config_selectorIssEEZZNS1_16scan_by_key_implILNS1_25lookback_scan_determinismE0ELb1ES3_N6thrust23THRUST_200600_302600_NS6detail15normal_iteratorINS9_10device_ptrIsEEEESE_SE_sNS9_4plusIvEENS9_8equal_toIvEEsEE10hipError_tPvRmT2_T3_T4_T5_mT6_T7_P12ihipStream_tbENKUlT_T0_E_clISt17integral_constantIbLb0EESZ_EEDaSU_SV_EUlSU_E_NS1_11comp_targetILNS1_3genE4ELNS1_11target_archE910ELNS1_3gpuE8ELNS1_3repE0EEENS1_30default_config_static_selectorELNS0_4arch9wavefront6targetE0EEEvT1_.num_agpr, 0
	.set _ZN7rocprim17ROCPRIM_400000_NS6detail17trampoline_kernelINS0_14default_configENS1_27scan_by_key_config_selectorIssEEZZNS1_16scan_by_key_implILNS1_25lookback_scan_determinismE0ELb1ES3_N6thrust23THRUST_200600_302600_NS6detail15normal_iteratorINS9_10device_ptrIsEEEESE_SE_sNS9_4plusIvEENS9_8equal_toIvEEsEE10hipError_tPvRmT2_T3_T4_T5_mT6_T7_P12ihipStream_tbENKUlT_T0_E_clISt17integral_constantIbLb0EESZ_EEDaSU_SV_EUlSU_E_NS1_11comp_targetILNS1_3genE4ELNS1_11target_archE910ELNS1_3gpuE8ELNS1_3repE0EEENS1_30default_config_static_selectorELNS0_4arch9wavefront6targetE0EEEvT1_.numbered_sgpr, 0
	.set _ZN7rocprim17ROCPRIM_400000_NS6detail17trampoline_kernelINS0_14default_configENS1_27scan_by_key_config_selectorIssEEZZNS1_16scan_by_key_implILNS1_25lookback_scan_determinismE0ELb1ES3_N6thrust23THRUST_200600_302600_NS6detail15normal_iteratorINS9_10device_ptrIsEEEESE_SE_sNS9_4plusIvEENS9_8equal_toIvEEsEE10hipError_tPvRmT2_T3_T4_T5_mT6_T7_P12ihipStream_tbENKUlT_T0_E_clISt17integral_constantIbLb0EESZ_EEDaSU_SV_EUlSU_E_NS1_11comp_targetILNS1_3genE4ELNS1_11target_archE910ELNS1_3gpuE8ELNS1_3repE0EEENS1_30default_config_static_selectorELNS0_4arch9wavefront6targetE0EEEvT1_.num_named_barrier, 0
	.set _ZN7rocprim17ROCPRIM_400000_NS6detail17trampoline_kernelINS0_14default_configENS1_27scan_by_key_config_selectorIssEEZZNS1_16scan_by_key_implILNS1_25lookback_scan_determinismE0ELb1ES3_N6thrust23THRUST_200600_302600_NS6detail15normal_iteratorINS9_10device_ptrIsEEEESE_SE_sNS9_4plusIvEENS9_8equal_toIvEEsEE10hipError_tPvRmT2_T3_T4_T5_mT6_T7_P12ihipStream_tbENKUlT_T0_E_clISt17integral_constantIbLb0EESZ_EEDaSU_SV_EUlSU_E_NS1_11comp_targetILNS1_3genE4ELNS1_11target_archE910ELNS1_3gpuE8ELNS1_3repE0EEENS1_30default_config_static_selectorELNS0_4arch9wavefront6targetE0EEEvT1_.private_seg_size, 0
	.set _ZN7rocprim17ROCPRIM_400000_NS6detail17trampoline_kernelINS0_14default_configENS1_27scan_by_key_config_selectorIssEEZZNS1_16scan_by_key_implILNS1_25lookback_scan_determinismE0ELb1ES3_N6thrust23THRUST_200600_302600_NS6detail15normal_iteratorINS9_10device_ptrIsEEEESE_SE_sNS9_4plusIvEENS9_8equal_toIvEEsEE10hipError_tPvRmT2_T3_T4_T5_mT6_T7_P12ihipStream_tbENKUlT_T0_E_clISt17integral_constantIbLb0EESZ_EEDaSU_SV_EUlSU_E_NS1_11comp_targetILNS1_3genE4ELNS1_11target_archE910ELNS1_3gpuE8ELNS1_3repE0EEENS1_30default_config_static_selectorELNS0_4arch9wavefront6targetE0EEEvT1_.uses_vcc, 0
	.set _ZN7rocprim17ROCPRIM_400000_NS6detail17trampoline_kernelINS0_14default_configENS1_27scan_by_key_config_selectorIssEEZZNS1_16scan_by_key_implILNS1_25lookback_scan_determinismE0ELb1ES3_N6thrust23THRUST_200600_302600_NS6detail15normal_iteratorINS9_10device_ptrIsEEEESE_SE_sNS9_4plusIvEENS9_8equal_toIvEEsEE10hipError_tPvRmT2_T3_T4_T5_mT6_T7_P12ihipStream_tbENKUlT_T0_E_clISt17integral_constantIbLb0EESZ_EEDaSU_SV_EUlSU_E_NS1_11comp_targetILNS1_3genE4ELNS1_11target_archE910ELNS1_3gpuE8ELNS1_3repE0EEENS1_30default_config_static_selectorELNS0_4arch9wavefront6targetE0EEEvT1_.uses_flat_scratch, 0
	.set _ZN7rocprim17ROCPRIM_400000_NS6detail17trampoline_kernelINS0_14default_configENS1_27scan_by_key_config_selectorIssEEZZNS1_16scan_by_key_implILNS1_25lookback_scan_determinismE0ELb1ES3_N6thrust23THRUST_200600_302600_NS6detail15normal_iteratorINS9_10device_ptrIsEEEESE_SE_sNS9_4plusIvEENS9_8equal_toIvEEsEE10hipError_tPvRmT2_T3_T4_T5_mT6_T7_P12ihipStream_tbENKUlT_T0_E_clISt17integral_constantIbLb0EESZ_EEDaSU_SV_EUlSU_E_NS1_11comp_targetILNS1_3genE4ELNS1_11target_archE910ELNS1_3gpuE8ELNS1_3repE0EEENS1_30default_config_static_selectorELNS0_4arch9wavefront6targetE0EEEvT1_.has_dyn_sized_stack, 0
	.set _ZN7rocprim17ROCPRIM_400000_NS6detail17trampoline_kernelINS0_14default_configENS1_27scan_by_key_config_selectorIssEEZZNS1_16scan_by_key_implILNS1_25lookback_scan_determinismE0ELb1ES3_N6thrust23THRUST_200600_302600_NS6detail15normal_iteratorINS9_10device_ptrIsEEEESE_SE_sNS9_4plusIvEENS9_8equal_toIvEEsEE10hipError_tPvRmT2_T3_T4_T5_mT6_T7_P12ihipStream_tbENKUlT_T0_E_clISt17integral_constantIbLb0EESZ_EEDaSU_SV_EUlSU_E_NS1_11comp_targetILNS1_3genE4ELNS1_11target_archE910ELNS1_3gpuE8ELNS1_3repE0EEENS1_30default_config_static_selectorELNS0_4arch9wavefront6targetE0EEEvT1_.has_recursion, 0
	.set _ZN7rocprim17ROCPRIM_400000_NS6detail17trampoline_kernelINS0_14default_configENS1_27scan_by_key_config_selectorIssEEZZNS1_16scan_by_key_implILNS1_25lookback_scan_determinismE0ELb1ES3_N6thrust23THRUST_200600_302600_NS6detail15normal_iteratorINS9_10device_ptrIsEEEESE_SE_sNS9_4plusIvEENS9_8equal_toIvEEsEE10hipError_tPvRmT2_T3_T4_T5_mT6_T7_P12ihipStream_tbENKUlT_T0_E_clISt17integral_constantIbLb0EESZ_EEDaSU_SV_EUlSU_E_NS1_11comp_targetILNS1_3genE4ELNS1_11target_archE910ELNS1_3gpuE8ELNS1_3repE0EEENS1_30default_config_static_selectorELNS0_4arch9wavefront6targetE0EEEvT1_.has_indirect_call, 0
	.section	.AMDGPU.csdata,"",@progbits
; Kernel info:
; codeLenInByte = 0
; TotalNumSgprs: 0
; NumVgprs: 0
; ScratchSize: 0
; MemoryBound: 0
; FloatMode: 240
; IeeeMode: 1
; LDSByteSize: 0 bytes/workgroup (compile time only)
; SGPRBlocks: 0
; VGPRBlocks: 0
; NumSGPRsForWavesPerEU: 1
; NumVGPRsForWavesPerEU: 1
; NamedBarCnt: 0
; Occupancy: 16
; WaveLimiterHint : 0
; COMPUTE_PGM_RSRC2:SCRATCH_EN: 0
; COMPUTE_PGM_RSRC2:USER_SGPR: 2
; COMPUTE_PGM_RSRC2:TRAP_HANDLER: 0
; COMPUTE_PGM_RSRC2:TGID_X_EN: 1
; COMPUTE_PGM_RSRC2:TGID_Y_EN: 0
; COMPUTE_PGM_RSRC2:TGID_Z_EN: 0
; COMPUTE_PGM_RSRC2:TIDIG_COMP_CNT: 0
	.section	.text._ZN7rocprim17ROCPRIM_400000_NS6detail17trampoline_kernelINS0_14default_configENS1_27scan_by_key_config_selectorIssEEZZNS1_16scan_by_key_implILNS1_25lookback_scan_determinismE0ELb1ES3_N6thrust23THRUST_200600_302600_NS6detail15normal_iteratorINS9_10device_ptrIsEEEESE_SE_sNS9_4plusIvEENS9_8equal_toIvEEsEE10hipError_tPvRmT2_T3_T4_T5_mT6_T7_P12ihipStream_tbENKUlT_T0_E_clISt17integral_constantIbLb0EESZ_EEDaSU_SV_EUlSU_E_NS1_11comp_targetILNS1_3genE3ELNS1_11target_archE908ELNS1_3gpuE7ELNS1_3repE0EEENS1_30default_config_static_selectorELNS0_4arch9wavefront6targetE0EEEvT1_,"axG",@progbits,_ZN7rocprim17ROCPRIM_400000_NS6detail17trampoline_kernelINS0_14default_configENS1_27scan_by_key_config_selectorIssEEZZNS1_16scan_by_key_implILNS1_25lookback_scan_determinismE0ELb1ES3_N6thrust23THRUST_200600_302600_NS6detail15normal_iteratorINS9_10device_ptrIsEEEESE_SE_sNS9_4plusIvEENS9_8equal_toIvEEsEE10hipError_tPvRmT2_T3_T4_T5_mT6_T7_P12ihipStream_tbENKUlT_T0_E_clISt17integral_constantIbLb0EESZ_EEDaSU_SV_EUlSU_E_NS1_11comp_targetILNS1_3genE3ELNS1_11target_archE908ELNS1_3gpuE7ELNS1_3repE0EEENS1_30default_config_static_selectorELNS0_4arch9wavefront6targetE0EEEvT1_,comdat
	.protected	_ZN7rocprim17ROCPRIM_400000_NS6detail17trampoline_kernelINS0_14default_configENS1_27scan_by_key_config_selectorIssEEZZNS1_16scan_by_key_implILNS1_25lookback_scan_determinismE0ELb1ES3_N6thrust23THRUST_200600_302600_NS6detail15normal_iteratorINS9_10device_ptrIsEEEESE_SE_sNS9_4plusIvEENS9_8equal_toIvEEsEE10hipError_tPvRmT2_T3_T4_T5_mT6_T7_P12ihipStream_tbENKUlT_T0_E_clISt17integral_constantIbLb0EESZ_EEDaSU_SV_EUlSU_E_NS1_11comp_targetILNS1_3genE3ELNS1_11target_archE908ELNS1_3gpuE7ELNS1_3repE0EEENS1_30default_config_static_selectorELNS0_4arch9wavefront6targetE0EEEvT1_ ; -- Begin function _ZN7rocprim17ROCPRIM_400000_NS6detail17trampoline_kernelINS0_14default_configENS1_27scan_by_key_config_selectorIssEEZZNS1_16scan_by_key_implILNS1_25lookback_scan_determinismE0ELb1ES3_N6thrust23THRUST_200600_302600_NS6detail15normal_iteratorINS9_10device_ptrIsEEEESE_SE_sNS9_4plusIvEENS9_8equal_toIvEEsEE10hipError_tPvRmT2_T3_T4_T5_mT6_T7_P12ihipStream_tbENKUlT_T0_E_clISt17integral_constantIbLb0EESZ_EEDaSU_SV_EUlSU_E_NS1_11comp_targetILNS1_3genE3ELNS1_11target_archE908ELNS1_3gpuE7ELNS1_3repE0EEENS1_30default_config_static_selectorELNS0_4arch9wavefront6targetE0EEEvT1_
	.globl	_ZN7rocprim17ROCPRIM_400000_NS6detail17trampoline_kernelINS0_14default_configENS1_27scan_by_key_config_selectorIssEEZZNS1_16scan_by_key_implILNS1_25lookback_scan_determinismE0ELb1ES3_N6thrust23THRUST_200600_302600_NS6detail15normal_iteratorINS9_10device_ptrIsEEEESE_SE_sNS9_4plusIvEENS9_8equal_toIvEEsEE10hipError_tPvRmT2_T3_T4_T5_mT6_T7_P12ihipStream_tbENKUlT_T0_E_clISt17integral_constantIbLb0EESZ_EEDaSU_SV_EUlSU_E_NS1_11comp_targetILNS1_3genE3ELNS1_11target_archE908ELNS1_3gpuE7ELNS1_3repE0EEENS1_30default_config_static_selectorELNS0_4arch9wavefront6targetE0EEEvT1_
	.p2align	8
	.type	_ZN7rocprim17ROCPRIM_400000_NS6detail17trampoline_kernelINS0_14default_configENS1_27scan_by_key_config_selectorIssEEZZNS1_16scan_by_key_implILNS1_25lookback_scan_determinismE0ELb1ES3_N6thrust23THRUST_200600_302600_NS6detail15normal_iteratorINS9_10device_ptrIsEEEESE_SE_sNS9_4plusIvEENS9_8equal_toIvEEsEE10hipError_tPvRmT2_T3_T4_T5_mT6_T7_P12ihipStream_tbENKUlT_T0_E_clISt17integral_constantIbLb0EESZ_EEDaSU_SV_EUlSU_E_NS1_11comp_targetILNS1_3genE3ELNS1_11target_archE908ELNS1_3gpuE7ELNS1_3repE0EEENS1_30default_config_static_selectorELNS0_4arch9wavefront6targetE0EEEvT1_,@function
_ZN7rocprim17ROCPRIM_400000_NS6detail17trampoline_kernelINS0_14default_configENS1_27scan_by_key_config_selectorIssEEZZNS1_16scan_by_key_implILNS1_25lookback_scan_determinismE0ELb1ES3_N6thrust23THRUST_200600_302600_NS6detail15normal_iteratorINS9_10device_ptrIsEEEESE_SE_sNS9_4plusIvEENS9_8equal_toIvEEsEE10hipError_tPvRmT2_T3_T4_T5_mT6_T7_P12ihipStream_tbENKUlT_T0_E_clISt17integral_constantIbLb0EESZ_EEDaSU_SV_EUlSU_E_NS1_11comp_targetILNS1_3genE3ELNS1_11target_archE908ELNS1_3gpuE7ELNS1_3repE0EEENS1_30default_config_static_selectorELNS0_4arch9wavefront6targetE0EEEvT1_: ; @_ZN7rocprim17ROCPRIM_400000_NS6detail17trampoline_kernelINS0_14default_configENS1_27scan_by_key_config_selectorIssEEZZNS1_16scan_by_key_implILNS1_25lookback_scan_determinismE0ELb1ES3_N6thrust23THRUST_200600_302600_NS6detail15normal_iteratorINS9_10device_ptrIsEEEESE_SE_sNS9_4plusIvEENS9_8equal_toIvEEsEE10hipError_tPvRmT2_T3_T4_T5_mT6_T7_P12ihipStream_tbENKUlT_T0_E_clISt17integral_constantIbLb0EESZ_EEDaSU_SV_EUlSU_E_NS1_11comp_targetILNS1_3genE3ELNS1_11target_archE908ELNS1_3gpuE7ELNS1_3repE0EEENS1_30default_config_static_selectorELNS0_4arch9wavefront6targetE0EEEvT1_
; %bb.0:
	.section	.rodata,"a",@progbits
	.p2align	6, 0x0
	.amdhsa_kernel _ZN7rocprim17ROCPRIM_400000_NS6detail17trampoline_kernelINS0_14default_configENS1_27scan_by_key_config_selectorIssEEZZNS1_16scan_by_key_implILNS1_25lookback_scan_determinismE0ELb1ES3_N6thrust23THRUST_200600_302600_NS6detail15normal_iteratorINS9_10device_ptrIsEEEESE_SE_sNS9_4plusIvEENS9_8equal_toIvEEsEE10hipError_tPvRmT2_T3_T4_T5_mT6_T7_P12ihipStream_tbENKUlT_T0_E_clISt17integral_constantIbLb0EESZ_EEDaSU_SV_EUlSU_E_NS1_11comp_targetILNS1_3genE3ELNS1_11target_archE908ELNS1_3gpuE7ELNS1_3repE0EEENS1_30default_config_static_selectorELNS0_4arch9wavefront6targetE0EEEvT1_
		.amdhsa_group_segment_fixed_size 0
		.amdhsa_private_segment_fixed_size 0
		.amdhsa_kernarg_size 112
		.amdhsa_user_sgpr_count 2
		.amdhsa_user_sgpr_dispatch_ptr 0
		.amdhsa_user_sgpr_queue_ptr 0
		.amdhsa_user_sgpr_kernarg_segment_ptr 1
		.amdhsa_user_sgpr_dispatch_id 0
		.amdhsa_user_sgpr_kernarg_preload_length 0
		.amdhsa_user_sgpr_kernarg_preload_offset 0
		.amdhsa_user_sgpr_private_segment_size 0
		.amdhsa_wavefront_size32 1
		.amdhsa_uses_dynamic_stack 0
		.amdhsa_enable_private_segment 0
		.amdhsa_system_sgpr_workgroup_id_x 1
		.amdhsa_system_sgpr_workgroup_id_y 0
		.amdhsa_system_sgpr_workgroup_id_z 0
		.amdhsa_system_sgpr_workgroup_info 0
		.amdhsa_system_vgpr_workitem_id 0
		.amdhsa_next_free_vgpr 1
		.amdhsa_next_free_sgpr 1
		.amdhsa_named_barrier_count 0
		.amdhsa_reserve_vcc 0
		.amdhsa_float_round_mode_32 0
		.amdhsa_float_round_mode_16_64 0
		.amdhsa_float_denorm_mode_32 3
		.amdhsa_float_denorm_mode_16_64 3
		.amdhsa_fp16_overflow 0
		.amdhsa_memory_ordered 1
		.amdhsa_forward_progress 1
		.amdhsa_inst_pref_size 0
		.amdhsa_round_robin_scheduling 0
		.amdhsa_exception_fp_ieee_invalid_op 0
		.amdhsa_exception_fp_denorm_src 0
		.amdhsa_exception_fp_ieee_div_zero 0
		.amdhsa_exception_fp_ieee_overflow 0
		.amdhsa_exception_fp_ieee_underflow 0
		.amdhsa_exception_fp_ieee_inexact 0
		.amdhsa_exception_int_div_zero 0
	.end_amdhsa_kernel
	.section	.text._ZN7rocprim17ROCPRIM_400000_NS6detail17trampoline_kernelINS0_14default_configENS1_27scan_by_key_config_selectorIssEEZZNS1_16scan_by_key_implILNS1_25lookback_scan_determinismE0ELb1ES3_N6thrust23THRUST_200600_302600_NS6detail15normal_iteratorINS9_10device_ptrIsEEEESE_SE_sNS9_4plusIvEENS9_8equal_toIvEEsEE10hipError_tPvRmT2_T3_T4_T5_mT6_T7_P12ihipStream_tbENKUlT_T0_E_clISt17integral_constantIbLb0EESZ_EEDaSU_SV_EUlSU_E_NS1_11comp_targetILNS1_3genE3ELNS1_11target_archE908ELNS1_3gpuE7ELNS1_3repE0EEENS1_30default_config_static_selectorELNS0_4arch9wavefront6targetE0EEEvT1_,"axG",@progbits,_ZN7rocprim17ROCPRIM_400000_NS6detail17trampoline_kernelINS0_14default_configENS1_27scan_by_key_config_selectorIssEEZZNS1_16scan_by_key_implILNS1_25lookback_scan_determinismE0ELb1ES3_N6thrust23THRUST_200600_302600_NS6detail15normal_iteratorINS9_10device_ptrIsEEEESE_SE_sNS9_4plusIvEENS9_8equal_toIvEEsEE10hipError_tPvRmT2_T3_T4_T5_mT6_T7_P12ihipStream_tbENKUlT_T0_E_clISt17integral_constantIbLb0EESZ_EEDaSU_SV_EUlSU_E_NS1_11comp_targetILNS1_3genE3ELNS1_11target_archE908ELNS1_3gpuE7ELNS1_3repE0EEENS1_30default_config_static_selectorELNS0_4arch9wavefront6targetE0EEEvT1_,comdat
.Lfunc_end573:
	.size	_ZN7rocprim17ROCPRIM_400000_NS6detail17trampoline_kernelINS0_14default_configENS1_27scan_by_key_config_selectorIssEEZZNS1_16scan_by_key_implILNS1_25lookback_scan_determinismE0ELb1ES3_N6thrust23THRUST_200600_302600_NS6detail15normal_iteratorINS9_10device_ptrIsEEEESE_SE_sNS9_4plusIvEENS9_8equal_toIvEEsEE10hipError_tPvRmT2_T3_T4_T5_mT6_T7_P12ihipStream_tbENKUlT_T0_E_clISt17integral_constantIbLb0EESZ_EEDaSU_SV_EUlSU_E_NS1_11comp_targetILNS1_3genE3ELNS1_11target_archE908ELNS1_3gpuE7ELNS1_3repE0EEENS1_30default_config_static_selectorELNS0_4arch9wavefront6targetE0EEEvT1_, .Lfunc_end573-_ZN7rocprim17ROCPRIM_400000_NS6detail17trampoline_kernelINS0_14default_configENS1_27scan_by_key_config_selectorIssEEZZNS1_16scan_by_key_implILNS1_25lookback_scan_determinismE0ELb1ES3_N6thrust23THRUST_200600_302600_NS6detail15normal_iteratorINS9_10device_ptrIsEEEESE_SE_sNS9_4plusIvEENS9_8equal_toIvEEsEE10hipError_tPvRmT2_T3_T4_T5_mT6_T7_P12ihipStream_tbENKUlT_T0_E_clISt17integral_constantIbLb0EESZ_EEDaSU_SV_EUlSU_E_NS1_11comp_targetILNS1_3genE3ELNS1_11target_archE908ELNS1_3gpuE7ELNS1_3repE0EEENS1_30default_config_static_selectorELNS0_4arch9wavefront6targetE0EEEvT1_
                                        ; -- End function
	.set _ZN7rocprim17ROCPRIM_400000_NS6detail17trampoline_kernelINS0_14default_configENS1_27scan_by_key_config_selectorIssEEZZNS1_16scan_by_key_implILNS1_25lookback_scan_determinismE0ELb1ES3_N6thrust23THRUST_200600_302600_NS6detail15normal_iteratorINS9_10device_ptrIsEEEESE_SE_sNS9_4plusIvEENS9_8equal_toIvEEsEE10hipError_tPvRmT2_T3_T4_T5_mT6_T7_P12ihipStream_tbENKUlT_T0_E_clISt17integral_constantIbLb0EESZ_EEDaSU_SV_EUlSU_E_NS1_11comp_targetILNS1_3genE3ELNS1_11target_archE908ELNS1_3gpuE7ELNS1_3repE0EEENS1_30default_config_static_selectorELNS0_4arch9wavefront6targetE0EEEvT1_.num_vgpr, 0
	.set _ZN7rocprim17ROCPRIM_400000_NS6detail17trampoline_kernelINS0_14default_configENS1_27scan_by_key_config_selectorIssEEZZNS1_16scan_by_key_implILNS1_25lookback_scan_determinismE0ELb1ES3_N6thrust23THRUST_200600_302600_NS6detail15normal_iteratorINS9_10device_ptrIsEEEESE_SE_sNS9_4plusIvEENS9_8equal_toIvEEsEE10hipError_tPvRmT2_T3_T4_T5_mT6_T7_P12ihipStream_tbENKUlT_T0_E_clISt17integral_constantIbLb0EESZ_EEDaSU_SV_EUlSU_E_NS1_11comp_targetILNS1_3genE3ELNS1_11target_archE908ELNS1_3gpuE7ELNS1_3repE0EEENS1_30default_config_static_selectorELNS0_4arch9wavefront6targetE0EEEvT1_.num_agpr, 0
	.set _ZN7rocprim17ROCPRIM_400000_NS6detail17trampoline_kernelINS0_14default_configENS1_27scan_by_key_config_selectorIssEEZZNS1_16scan_by_key_implILNS1_25lookback_scan_determinismE0ELb1ES3_N6thrust23THRUST_200600_302600_NS6detail15normal_iteratorINS9_10device_ptrIsEEEESE_SE_sNS9_4plusIvEENS9_8equal_toIvEEsEE10hipError_tPvRmT2_T3_T4_T5_mT6_T7_P12ihipStream_tbENKUlT_T0_E_clISt17integral_constantIbLb0EESZ_EEDaSU_SV_EUlSU_E_NS1_11comp_targetILNS1_3genE3ELNS1_11target_archE908ELNS1_3gpuE7ELNS1_3repE0EEENS1_30default_config_static_selectorELNS0_4arch9wavefront6targetE0EEEvT1_.numbered_sgpr, 0
	.set _ZN7rocprim17ROCPRIM_400000_NS6detail17trampoline_kernelINS0_14default_configENS1_27scan_by_key_config_selectorIssEEZZNS1_16scan_by_key_implILNS1_25lookback_scan_determinismE0ELb1ES3_N6thrust23THRUST_200600_302600_NS6detail15normal_iteratorINS9_10device_ptrIsEEEESE_SE_sNS9_4plusIvEENS9_8equal_toIvEEsEE10hipError_tPvRmT2_T3_T4_T5_mT6_T7_P12ihipStream_tbENKUlT_T0_E_clISt17integral_constantIbLb0EESZ_EEDaSU_SV_EUlSU_E_NS1_11comp_targetILNS1_3genE3ELNS1_11target_archE908ELNS1_3gpuE7ELNS1_3repE0EEENS1_30default_config_static_selectorELNS0_4arch9wavefront6targetE0EEEvT1_.num_named_barrier, 0
	.set _ZN7rocprim17ROCPRIM_400000_NS6detail17trampoline_kernelINS0_14default_configENS1_27scan_by_key_config_selectorIssEEZZNS1_16scan_by_key_implILNS1_25lookback_scan_determinismE0ELb1ES3_N6thrust23THRUST_200600_302600_NS6detail15normal_iteratorINS9_10device_ptrIsEEEESE_SE_sNS9_4plusIvEENS9_8equal_toIvEEsEE10hipError_tPvRmT2_T3_T4_T5_mT6_T7_P12ihipStream_tbENKUlT_T0_E_clISt17integral_constantIbLb0EESZ_EEDaSU_SV_EUlSU_E_NS1_11comp_targetILNS1_3genE3ELNS1_11target_archE908ELNS1_3gpuE7ELNS1_3repE0EEENS1_30default_config_static_selectorELNS0_4arch9wavefront6targetE0EEEvT1_.private_seg_size, 0
	.set _ZN7rocprim17ROCPRIM_400000_NS6detail17trampoline_kernelINS0_14default_configENS1_27scan_by_key_config_selectorIssEEZZNS1_16scan_by_key_implILNS1_25lookback_scan_determinismE0ELb1ES3_N6thrust23THRUST_200600_302600_NS6detail15normal_iteratorINS9_10device_ptrIsEEEESE_SE_sNS9_4plusIvEENS9_8equal_toIvEEsEE10hipError_tPvRmT2_T3_T4_T5_mT6_T7_P12ihipStream_tbENKUlT_T0_E_clISt17integral_constantIbLb0EESZ_EEDaSU_SV_EUlSU_E_NS1_11comp_targetILNS1_3genE3ELNS1_11target_archE908ELNS1_3gpuE7ELNS1_3repE0EEENS1_30default_config_static_selectorELNS0_4arch9wavefront6targetE0EEEvT1_.uses_vcc, 0
	.set _ZN7rocprim17ROCPRIM_400000_NS6detail17trampoline_kernelINS0_14default_configENS1_27scan_by_key_config_selectorIssEEZZNS1_16scan_by_key_implILNS1_25lookback_scan_determinismE0ELb1ES3_N6thrust23THRUST_200600_302600_NS6detail15normal_iteratorINS9_10device_ptrIsEEEESE_SE_sNS9_4plusIvEENS9_8equal_toIvEEsEE10hipError_tPvRmT2_T3_T4_T5_mT6_T7_P12ihipStream_tbENKUlT_T0_E_clISt17integral_constantIbLb0EESZ_EEDaSU_SV_EUlSU_E_NS1_11comp_targetILNS1_3genE3ELNS1_11target_archE908ELNS1_3gpuE7ELNS1_3repE0EEENS1_30default_config_static_selectorELNS0_4arch9wavefront6targetE0EEEvT1_.uses_flat_scratch, 0
	.set _ZN7rocprim17ROCPRIM_400000_NS6detail17trampoline_kernelINS0_14default_configENS1_27scan_by_key_config_selectorIssEEZZNS1_16scan_by_key_implILNS1_25lookback_scan_determinismE0ELb1ES3_N6thrust23THRUST_200600_302600_NS6detail15normal_iteratorINS9_10device_ptrIsEEEESE_SE_sNS9_4plusIvEENS9_8equal_toIvEEsEE10hipError_tPvRmT2_T3_T4_T5_mT6_T7_P12ihipStream_tbENKUlT_T0_E_clISt17integral_constantIbLb0EESZ_EEDaSU_SV_EUlSU_E_NS1_11comp_targetILNS1_3genE3ELNS1_11target_archE908ELNS1_3gpuE7ELNS1_3repE0EEENS1_30default_config_static_selectorELNS0_4arch9wavefront6targetE0EEEvT1_.has_dyn_sized_stack, 0
	.set _ZN7rocprim17ROCPRIM_400000_NS6detail17trampoline_kernelINS0_14default_configENS1_27scan_by_key_config_selectorIssEEZZNS1_16scan_by_key_implILNS1_25lookback_scan_determinismE0ELb1ES3_N6thrust23THRUST_200600_302600_NS6detail15normal_iteratorINS9_10device_ptrIsEEEESE_SE_sNS9_4plusIvEENS9_8equal_toIvEEsEE10hipError_tPvRmT2_T3_T4_T5_mT6_T7_P12ihipStream_tbENKUlT_T0_E_clISt17integral_constantIbLb0EESZ_EEDaSU_SV_EUlSU_E_NS1_11comp_targetILNS1_3genE3ELNS1_11target_archE908ELNS1_3gpuE7ELNS1_3repE0EEENS1_30default_config_static_selectorELNS0_4arch9wavefront6targetE0EEEvT1_.has_recursion, 0
	.set _ZN7rocprim17ROCPRIM_400000_NS6detail17trampoline_kernelINS0_14default_configENS1_27scan_by_key_config_selectorIssEEZZNS1_16scan_by_key_implILNS1_25lookback_scan_determinismE0ELb1ES3_N6thrust23THRUST_200600_302600_NS6detail15normal_iteratorINS9_10device_ptrIsEEEESE_SE_sNS9_4plusIvEENS9_8equal_toIvEEsEE10hipError_tPvRmT2_T3_T4_T5_mT6_T7_P12ihipStream_tbENKUlT_T0_E_clISt17integral_constantIbLb0EESZ_EEDaSU_SV_EUlSU_E_NS1_11comp_targetILNS1_3genE3ELNS1_11target_archE908ELNS1_3gpuE7ELNS1_3repE0EEENS1_30default_config_static_selectorELNS0_4arch9wavefront6targetE0EEEvT1_.has_indirect_call, 0
	.section	.AMDGPU.csdata,"",@progbits
; Kernel info:
; codeLenInByte = 0
; TotalNumSgprs: 0
; NumVgprs: 0
; ScratchSize: 0
; MemoryBound: 0
; FloatMode: 240
; IeeeMode: 1
; LDSByteSize: 0 bytes/workgroup (compile time only)
; SGPRBlocks: 0
; VGPRBlocks: 0
; NumSGPRsForWavesPerEU: 1
; NumVGPRsForWavesPerEU: 1
; NamedBarCnt: 0
; Occupancy: 16
; WaveLimiterHint : 0
; COMPUTE_PGM_RSRC2:SCRATCH_EN: 0
; COMPUTE_PGM_RSRC2:USER_SGPR: 2
; COMPUTE_PGM_RSRC2:TRAP_HANDLER: 0
; COMPUTE_PGM_RSRC2:TGID_X_EN: 1
; COMPUTE_PGM_RSRC2:TGID_Y_EN: 0
; COMPUTE_PGM_RSRC2:TGID_Z_EN: 0
; COMPUTE_PGM_RSRC2:TIDIG_COMP_CNT: 0
	.section	.text._ZN7rocprim17ROCPRIM_400000_NS6detail17trampoline_kernelINS0_14default_configENS1_27scan_by_key_config_selectorIssEEZZNS1_16scan_by_key_implILNS1_25lookback_scan_determinismE0ELb1ES3_N6thrust23THRUST_200600_302600_NS6detail15normal_iteratorINS9_10device_ptrIsEEEESE_SE_sNS9_4plusIvEENS9_8equal_toIvEEsEE10hipError_tPvRmT2_T3_T4_T5_mT6_T7_P12ihipStream_tbENKUlT_T0_E_clISt17integral_constantIbLb0EESZ_EEDaSU_SV_EUlSU_E_NS1_11comp_targetILNS1_3genE2ELNS1_11target_archE906ELNS1_3gpuE6ELNS1_3repE0EEENS1_30default_config_static_selectorELNS0_4arch9wavefront6targetE0EEEvT1_,"axG",@progbits,_ZN7rocprim17ROCPRIM_400000_NS6detail17trampoline_kernelINS0_14default_configENS1_27scan_by_key_config_selectorIssEEZZNS1_16scan_by_key_implILNS1_25lookback_scan_determinismE0ELb1ES3_N6thrust23THRUST_200600_302600_NS6detail15normal_iteratorINS9_10device_ptrIsEEEESE_SE_sNS9_4plusIvEENS9_8equal_toIvEEsEE10hipError_tPvRmT2_T3_T4_T5_mT6_T7_P12ihipStream_tbENKUlT_T0_E_clISt17integral_constantIbLb0EESZ_EEDaSU_SV_EUlSU_E_NS1_11comp_targetILNS1_3genE2ELNS1_11target_archE906ELNS1_3gpuE6ELNS1_3repE0EEENS1_30default_config_static_selectorELNS0_4arch9wavefront6targetE0EEEvT1_,comdat
	.protected	_ZN7rocprim17ROCPRIM_400000_NS6detail17trampoline_kernelINS0_14default_configENS1_27scan_by_key_config_selectorIssEEZZNS1_16scan_by_key_implILNS1_25lookback_scan_determinismE0ELb1ES3_N6thrust23THRUST_200600_302600_NS6detail15normal_iteratorINS9_10device_ptrIsEEEESE_SE_sNS9_4plusIvEENS9_8equal_toIvEEsEE10hipError_tPvRmT2_T3_T4_T5_mT6_T7_P12ihipStream_tbENKUlT_T0_E_clISt17integral_constantIbLb0EESZ_EEDaSU_SV_EUlSU_E_NS1_11comp_targetILNS1_3genE2ELNS1_11target_archE906ELNS1_3gpuE6ELNS1_3repE0EEENS1_30default_config_static_selectorELNS0_4arch9wavefront6targetE0EEEvT1_ ; -- Begin function _ZN7rocprim17ROCPRIM_400000_NS6detail17trampoline_kernelINS0_14default_configENS1_27scan_by_key_config_selectorIssEEZZNS1_16scan_by_key_implILNS1_25lookback_scan_determinismE0ELb1ES3_N6thrust23THRUST_200600_302600_NS6detail15normal_iteratorINS9_10device_ptrIsEEEESE_SE_sNS9_4plusIvEENS9_8equal_toIvEEsEE10hipError_tPvRmT2_T3_T4_T5_mT6_T7_P12ihipStream_tbENKUlT_T0_E_clISt17integral_constantIbLb0EESZ_EEDaSU_SV_EUlSU_E_NS1_11comp_targetILNS1_3genE2ELNS1_11target_archE906ELNS1_3gpuE6ELNS1_3repE0EEENS1_30default_config_static_selectorELNS0_4arch9wavefront6targetE0EEEvT1_
	.globl	_ZN7rocprim17ROCPRIM_400000_NS6detail17trampoline_kernelINS0_14default_configENS1_27scan_by_key_config_selectorIssEEZZNS1_16scan_by_key_implILNS1_25lookback_scan_determinismE0ELb1ES3_N6thrust23THRUST_200600_302600_NS6detail15normal_iteratorINS9_10device_ptrIsEEEESE_SE_sNS9_4plusIvEENS9_8equal_toIvEEsEE10hipError_tPvRmT2_T3_T4_T5_mT6_T7_P12ihipStream_tbENKUlT_T0_E_clISt17integral_constantIbLb0EESZ_EEDaSU_SV_EUlSU_E_NS1_11comp_targetILNS1_3genE2ELNS1_11target_archE906ELNS1_3gpuE6ELNS1_3repE0EEENS1_30default_config_static_selectorELNS0_4arch9wavefront6targetE0EEEvT1_
	.p2align	8
	.type	_ZN7rocprim17ROCPRIM_400000_NS6detail17trampoline_kernelINS0_14default_configENS1_27scan_by_key_config_selectorIssEEZZNS1_16scan_by_key_implILNS1_25lookback_scan_determinismE0ELb1ES3_N6thrust23THRUST_200600_302600_NS6detail15normal_iteratorINS9_10device_ptrIsEEEESE_SE_sNS9_4plusIvEENS9_8equal_toIvEEsEE10hipError_tPvRmT2_T3_T4_T5_mT6_T7_P12ihipStream_tbENKUlT_T0_E_clISt17integral_constantIbLb0EESZ_EEDaSU_SV_EUlSU_E_NS1_11comp_targetILNS1_3genE2ELNS1_11target_archE906ELNS1_3gpuE6ELNS1_3repE0EEENS1_30default_config_static_selectorELNS0_4arch9wavefront6targetE0EEEvT1_,@function
_ZN7rocprim17ROCPRIM_400000_NS6detail17trampoline_kernelINS0_14default_configENS1_27scan_by_key_config_selectorIssEEZZNS1_16scan_by_key_implILNS1_25lookback_scan_determinismE0ELb1ES3_N6thrust23THRUST_200600_302600_NS6detail15normal_iteratorINS9_10device_ptrIsEEEESE_SE_sNS9_4plusIvEENS9_8equal_toIvEEsEE10hipError_tPvRmT2_T3_T4_T5_mT6_T7_P12ihipStream_tbENKUlT_T0_E_clISt17integral_constantIbLb0EESZ_EEDaSU_SV_EUlSU_E_NS1_11comp_targetILNS1_3genE2ELNS1_11target_archE906ELNS1_3gpuE6ELNS1_3repE0EEENS1_30default_config_static_selectorELNS0_4arch9wavefront6targetE0EEEvT1_: ; @_ZN7rocprim17ROCPRIM_400000_NS6detail17trampoline_kernelINS0_14default_configENS1_27scan_by_key_config_selectorIssEEZZNS1_16scan_by_key_implILNS1_25lookback_scan_determinismE0ELb1ES3_N6thrust23THRUST_200600_302600_NS6detail15normal_iteratorINS9_10device_ptrIsEEEESE_SE_sNS9_4plusIvEENS9_8equal_toIvEEsEE10hipError_tPvRmT2_T3_T4_T5_mT6_T7_P12ihipStream_tbENKUlT_T0_E_clISt17integral_constantIbLb0EESZ_EEDaSU_SV_EUlSU_E_NS1_11comp_targetILNS1_3genE2ELNS1_11target_archE906ELNS1_3gpuE6ELNS1_3repE0EEENS1_30default_config_static_selectorELNS0_4arch9wavefront6targetE0EEEvT1_
; %bb.0:
	.section	.rodata,"a",@progbits
	.p2align	6, 0x0
	.amdhsa_kernel _ZN7rocprim17ROCPRIM_400000_NS6detail17trampoline_kernelINS0_14default_configENS1_27scan_by_key_config_selectorIssEEZZNS1_16scan_by_key_implILNS1_25lookback_scan_determinismE0ELb1ES3_N6thrust23THRUST_200600_302600_NS6detail15normal_iteratorINS9_10device_ptrIsEEEESE_SE_sNS9_4plusIvEENS9_8equal_toIvEEsEE10hipError_tPvRmT2_T3_T4_T5_mT6_T7_P12ihipStream_tbENKUlT_T0_E_clISt17integral_constantIbLb0EESZ_EEDaSU_SV_EUlSU_E_NS1_11comp_targetILNS1_3genE2ELNS1_11target_archE906ELNS1_3gpuE6ELNS1_3repE0EEENS1_30default_config_static_selectorELNS0_4arch9wavefront6targetE0EEEvT1_
		.amdhsa_group_segment_fixed_size 0
		.amdhsa_private_segment_fixed_size 0
		.amdhsa_kernarg_size 112
		.amdhsa_user_sgpr_count 2
		.amdhsa_user_sgpr_dispatch_ptr 0
		.amdhsa_user_sgpr_queue_ptr 0
		.amdhsa_user_sgpr_kernarg_segment_ptr 1
		.amdhsa_user_sgpr_dispatch_id 0
		.amdhsa_user_sgpr_kernarg_preload_length 0
		.amdhsa_user_sgpr_kernarg_preload_offset 0
		.amdhsa_user_sgpr_private_segment_size 0
		.amdhsa_wavefront_size32 1
		.amdhsa_uses_dynamic_stack 0
		.amdhsa_enable_private_segment 0
		.amdhsa_system_sgpr_workgroup_id_x 1
		.amdhsa_system_sgpr_workgroup_id_y 0
		.amdhsa_system_sgpr_workgroup_id_z 0
		.amdhsa_system_sgpr_workgroup_info 0
		.amdhsa_system_vgpr_workitem_id 0
		.amdhsa_next_free_vgpr 1
		.amdhsa_next_free_sgpr 1
		.amdhsa_named_barrier_count 0
		.amdhsa_reserve_vcc 0
		.amdhsa_float_round_mode_32 0
		.amdhsa_float_round_mode_16_64 0
		.amdhsa_float_denorm_mode_32 3
		.amdhsa_float_denorm_mode_16_64 3
		.amdhsa_fp16_overflow 0
		.amdhsa_memory_ordered 1
		.amdhsa_forward_progress 1
		.amdhsa_inst_pref_size 0
		.amdhsa_round_robin_scheduling 0
		.amdhsa_exception_fp_ieee_invalid_op 0
		.amdhsa_exception_fp_denorm_src 0
		.amdhsa_exception_fp_ieee_div_zero 0
		.amdhsa_exception_fp_ieee_overflow 0
		.amdhsa_exception_fp_ieee_underflow 0
		.amdhsa_exception_fp_ieee_inexact 0
		.amdhsa_exception_int_div_zero 0
	.end_amdhsa_kernel
	.section	.text._ZN7rocprim17ROCPRIM_400000_NS6detail17trampoline_kernelINS0_14default_configENS1_27scan_by_key_config_selectorIssEEZZNS1_16scan_by_key_implILNS1_25lookback_scan_determinismE0ELb1ES3_N6thrust23THRUST_200600_302600_NS6detail15normal_iteratorINS9_10device_ptrIsEEEESE_SE_sNS9_4plusIvEENS9_8equal_toIvEEsEE10hipError_tPvRmT2_T3_T4_T5_mT6_T7_P12ihipStream_tbENKUlT_T0_E_clISt17integral_constantIbLb0EESZ_EEDaSU_SV_EUlSU_E_NS1_11comp_targetILNS1_3genE2ELNS1_11target_archE906ELNS1_3gpuE6ELNS1_3repE0EEENS1_30default_config_static_selectorELNS0_4arch9wavefront6targetE0EEEvT1_,"axG",@progbits,_ZN7rocprim17ROCPRIM_400000_NS6detail17trampoline_kernelINS0_14default_configENS1_27scan_by_key_config_selectorIssEEZZNS1_16scan_by_key_implILNS1_25lookback_scan_determinismE0ELb1ES3_N6thrust23THRUST_200600_302600_NS6detail15normal_iteratorINS9_10device_ptrIsEEEESE_SE_sNS9_4plusIvEENS9_8equal_toIvEEsEE10hipError_tPvRmT2_T3_T4_T5_mT6_T7_P12ihipStream_tbENKUlT_T0_E_clISt17integral_constantIbLb0EESZ_EEDaSU_SV_EUlSU_E_NS1_11comp_targetILNS1_3genE2ELNS1_11target_archE906ELNS1_3gpuE6ELNS1_3repE0EEENS1_30default_config_static_selectorELNS0_4arch9wavefront6targetE0EEEvT1_,comdat
.Lfunc_end574:
	.size	_ZN7rocprim17ROCPRIM_400000_NS6detail17trampoline_kernelINS0_14default_configENS1_27scan_by_key_config_selectorIssEEZZNS1_16scan_by_key_implILNS1_25lookback_scan_determinismE0ELb1ES3_N6thrust23THRUST_200600_302600_NS6detail15normal_iteratorINS9_10device_ptrIsEEEESE_SE_sNS9_4plusIvEENS9_8equal_toIvEEsEE10hipError_tPvRmT2_T3_T4_T5_mT6_T7_P12ihipStream_tbENKUlT_T0_E_clISt17integral_constantIbLb0EESZ_EEDaSU_SV_EUlSU_E_NS1_11comp_targetILNS1_3genE2ELNS1_11target_archE906ELNS1_3gpuE6ELNS1_3repE0EEENS1_30default_config_static_selectorELNS0_4arch9wavefront6targetE0EEEvT1_, .Lfunc_end574-_ZN7rocprim17ROCPRIM_400000_NS6detail17trampoline_kernelINS0_14default_configENS1_27scan_by_key_config_selectorIssEEZZNS1_16scan_by_key_implILNS1_25lookback_scan_determinismE0ELb1ES3_N6thrust23THRUST_200600_302600_NS6detail15normal_iteratorINS9_10device_ptrIsEEEESE_SE_sNS9_4plusIvEENS9_8equal_toIvEEsEE10hipError_tPvRmT2_T3_T4_T5_mT6_T7_P12ihipStream_tbENKUlT_T0_E_clISt17integral_constantIbLb0EESZ_EEDaSU_SV_EUlSU_E_NS1_11comp_targetILNS1_3genE2ELNS1_11target_archE906ELNS1_3gpuE6ELNS1_3repE0EEENS1_30default_config_static_selectorELNS0_4arch9wavefront6targetE0EEEvT1_
                                        ; -- End function
	.set _ZN7rocprim17ROCPRIM_400000_NS6detail17trampoline_kernelINS0_14default_configENS1_27scan_by_key_config_selectorIssEEZZNS1_16scan_by_key_implILNS1_25lookback_scan_determinismE0ELb1ES3_N6thrust23THRUST_200600_302600_NS6detail15normal_iteratorINS9_10device_ptrIsEEEESE_SE_sNS9_4plusIvEENS9_8equal_toIvEEsEE10hipError_tPvRmT2_T3_T4_T5_mT6_T7_P12ihipStream_tbENKUlT_T0_E_clISt17integral_constantIbLb0EESZ_EEDaSU_SV_EUlSU_E_NS1_11comp_targetILNS1_3genE2ELNS1_11target_archE906ELNS1_3gpuE6ELNS1_3repE0EEENS1_30default_config_static_selectorELNS0_4arch9wavefront6targetE0EEEvT1_.num_vgpr, 0
	.set _ZN7rocprim17ROCPRIM_400000_NS6detail17trampoline_kernelINS0_14default_configENS1_27scan_by_key_config_selectorIssEEZZNS1_16scan_by_key_implILNS1_25lookback_scan_determinismE0ELb1ES3_N6thrust23THRUST_200600_302600_NS6detail15normal_iteratorINS9_10device_ptrIsEEEESE_SE_sNS9_4plusIvEENS9_8equal_toIvEEsEE10hipError_tPvRmT2_T3_T4_T5_mT6_T7_P12ihipStream_tbENKUlT_T0_E_clISt17integral_constantIbLb0EESZ_EEDaSU_SV_EUlSU_E_NS1_11comp_targetILNS1_3genE2ELNS1_11target_archE906ELNS1_3gpuE6ELNS1_3repE0EEENS1_30default_config_static_selectorELNS0_4arch9wavefront6targetE0EEEvT1_.num_agpr, 0
	.set _ZN7rocprim17ROCPRIM_400000_NS6detail17trampoline_kernelINS0_14default_configENS1_27scan_by_key_config_selectorIssEEZZNS1_16scan_by_key_implILNS1_25lookback_scan_determinismE0ELb1ES3_N6thrust23THRUST_200600_302600_NS6detail15normal_iteratorINS9_10device_ptrIsEEEESE_SE_sNS9_4plusIvEENS9_8equal_toIvEEsEE10hipError_tPvRmT2_T3_T4_T5_mT6_T7_P12ihipStream_tbENKUlT_T0_E_clISt17integral_constantIbLb0EESZ_EEDaSU_SV_EUlSU_E_NS1_11comp_targetILNS1_3genE2ELNS1_11target_archE906ELNS1_3gpuE6ELNS1_3repE0EEENS1_30default_config_static_selectorELNS0_4arch9wavefront6targetE0EEEvT1_.numbered_sgpr, 0
	.set _ZN7rocprim17ROCPRIM_400000_NS6detail17trampoline_kernelINS0_14default_configENS1_27scan_by_key_config_selectorIssEEZZNS1_16scan_by_key_implILNS1_25lookback_scan_determinismE0ELb1ES3_N6thrust23THRUST_200600_302600_NS6detail15normal_iteratorINS9_10device_ptrIsEEEESE_SE_sNS9_4plusIvEENS9_8equal_toIvEEsEE10hipError_tPvRmT2_T3_T4_T5_mT6_T7_P12ihipStream_tbENKUlT_T0_E_clISt17integral_constantIbLb0EESZ_EEDaSU_SV_EUlSU_E_NS1_11comp_targetILNS1_3genE2ELNS1_11target_archE906ELNS1_3gpuE6ELNS1_3repE0EEENS1_30default_config_static_selectorELNS0_4arch9wavefront6targetE0EEEvT1_.num_named_barrier, 0
	.set _ZN7rocprim17ROCPRIM_400000_NS6detail17trampoline_kernelINS0_14default_configENS1_27scan_by_key_config_selectorIssEEZZNS1_16scan_by_key_implILNS1_25lookback_scan_determinismE0ELb1ES3_N6thrust23THRUST_200600_302600_NS6detail15normal_iteratorINS9_10device_ptrIsEEEESE_SE_sNS9_4plusIvEENS9_8equal_toIvEEsEE10hipError_tPvRmT2_T3_T4_T5_mT6_T7_P12ihipStream_tbENKUlT_T0_E_clISt17integral_constantIbLb0EESZ_EEDaSU_SV_EUlSU_E_NS1_11comp_targetILNS1_3genE2ELNS1_11target_archE906ELNS1_3gpuE6ELNS1_3repE0EEENS1_30default_config_static_selectorELNS0_4arch9wavefront6targetE0EEEvT1_.private_seg_size, 0
	.set _ZN7rocprim17ROCPRIM_400000_NS6detail17trampoline_kernelINS0_14default_configENS1_27scan_by_key_config_selectorIssEEZZNS1_16scan_by_key_implILNS1_25lookback_scan_determinismE0ELb1ES3_N6thrust23THRUST_200600_302600_NS6detail15normal_iteratorINS9_10device_ptrIsEEEESE_SE_sNS9_4plusIvEENS9_8equal_toIvEEsEE10hipError_tPvRmT2_T3_T4_T5_mT6_T7_P12ihipStream_tbENKUlT_T0_E_clISt17integral_constantIbLb0EESZ_EEDaSU_SV_EUlSU_E_NS1_11comp_targetILNS1_3genE2ELNS1_11target_archE906ELNS1_3gpuE6ELNS1_3repE0EEENS1_30default_config_static_selectorELNS0_4arch9wavefront6targetE0EEEvT1_.uses_vcc, 0
	.set _ZN7rocprim17ROCPRIM_400000_NS6detail17trampoline_kernelINS0_14default_configENS1_27scan_by_key_config_selectorIssEEZZNS1_16scan_by_key_implILNS1_25lookback_scan_determinismE0ELb1ES3_N6thrust23THRUST_200600_302600_NS6detail15normal_iteratorINS9_10device_ptrIsEEEESE_SE_sNS9_4plusIvEENS9_8equal_toIvEEsEE10hipError_tPvRmT2_T3_T4_T5_mT6_T7_P12ihipStream_tbENKUlT_T0_E_clISt17integral_constantIbLb0EESZ_EEDaSU_SV_EUlSU_E_NS1_11comp_targetILNS1_3genE2ELNS1_11target_archE906ELNS1_3gpuE6ELNS1_3repE0EEENS1_30default_config_static_selectorELNS0_4arch9wavefront6targetE0EEEvT1_.uses_flat_scratch, 0
	.set _ZN7rocprim17ROCPRIM_400000_NS6detail17trampoline_kernelINS0_14default_configENS1_27scan_by_key_config_selectorIssEEZZNS1_16scan_by_key_implILNS1_25lookback_scan_determinismE0ELb1ES3_N6thrust23THRUST_200600_302600_NS6detail15normal_iteratorINS9_10device_ptrIsEEEESE_SE_sNS9_4plusIvEENS9_8equal_toIvEEsEE10hipError_tPvRmT2_T3_T4_T5_mT6_T7_P12ihipStream_tbENKUlT_T0_E_clISt17integral_constantIbLb0EESZ_EEDaSU_SV_EUlSU_E_NS1_11comp_targetILNS1_3genE2ELNS1_11target_archE906ELNS1_3gpuE6ELNS1_3repE0EEENS1_30default_config_static_selectorELNS0_4arch9wavefront6targetE0EEEvT1_.has_dyn_sized_stack, 0
	.set _ZN7rocprim17ROCPRIM_400000_NS6detail17trampoline_kernelINS0_14default_configENS1_27scan_by_key_config_selectorIssEEZZNS1_16scan_by_key_implILNS1_25lookback_scan_determinismE0ELb1ES3_N6thrust23THRUST_200600_302600_NS6detail15normal_iteratorINS9_10device_ptrIsEEEESE_SE_sNS9_4plusIvEENS9_8equal_toIvEEsEE10hipError_tPvRmT2_T3_T4_T5_mT6_T7_P12ihipStream_tbENKUlT_T0_E_clISt17integral_constantIbLb0EESZ_EEDaSU_SV_EUlSU_E_NS1_11comp_targetILNS1_3genE2ELNS1_11target_archE906ELNS1_3gpuE6ELNS1_3repE0EEENS1_30default_config_static_selectorELNS0_4arch9wavefront6targetE0EEEvT1_.has_recursion, 0
	.set _ZN7rocprim17ROCPRIM_400000_NS6detail17trampoline_kernelINS0_14default_configENS1_27scan_by_key_config_selectorIssEEZZNS1_16scan_by_key_implILNS1_25lookback_scan_determinismE0ELb1ES3_N6thrust23THRUST_200600_302600_NS6detail15normal_iteratorINS9_10device_ptrIsEEEESE_SE_sNS9_4plusIvEENS9_8equal_toIvEEsEE10hipError_tPvRmT2_T3_T4_T5_mT6_T7_P12ihipStream_tbENKUlT_T0_E_clISt17integral_constantIbLb0EESZ_EEDaSU_SV_EUlSU_E_NS1_11comp_targetILNS1_3genE2ELNS1_11target_archE906ELNS1_3gpuE6ELNS1_3repE0EEENS1_30default_config_static_selectorELNS0_4arch9wavefront6targetE0EEEvT1_.has_indirect_call, 0
	.section	.AMDGPU.csdata,"",@progbits
; Kernel info:
; codeLenInByte = 0
; TotalNumSgprs: 0
; NumVgprs: 0
; ScratchSize: 0
; MemoryBound: 0
; FloatMode: 240
; IeeeMode: 1
; LDSByteSize: 0 bytes/workgroup (compile time only)
; SGPRBlocks: 0
; VGPRBlocks: 0
; NumSGPRsForWavesPerEU: 1
; NumVGPRsForWavesPerEU: 1
; NamedBarCnt: 0
; Occupancy: 16
; WaveLimiterHint : 0
; COMPUTE_PGM_RSRC2:SCRATCH_EN: 0
; COMPUTE_PGM_RSRC2:USER_SGPR: 2
; COMPUTE_PGM_RSRC2:TRAP_HANDLER: 0
; COMPUTE_PGM_RSRC2:TGID_X_EN: 1
; COMPUTE_PGM_RSRC2:TGID_Y_EN: 0
; COMPUTE_PGM_RSRC2:TGID_Z_EN: 0
; COMPUTE_PGM_RSRC2:TIDIG_COMP_CNT: 0
	.section	.text._ZN7rocprim17ROCPRIM_400000_NS6detail17trampoline_kernelINS0_14default_configENS1_27scan_by_key_config_selectorIssEEZZNS1_16scan_by_key_implILNS1_25lookback_scan_determinismE0ELb1ES3_N6thrust23THRUST_200600_302600_NS6detail15normal_iteratorINS9_10device_ptrIsEEEESE_SE_sNS9_4plusIvEENS9_8equal_toIvEEsEE10hipError_tPvRmT2_T3_T4_T5_mT6_T7_P12ihipStream_tbENKUlT_T0_E_clISt17integral_constantIbLb0EESZ_EEDaSU_SV_EUlSU_E_NS1_11comp_targetILNS1_3genE10ELNS1_11target_archE1200ELNS1_3gpuE4ELNS1_3repE0EEENS1_30default_config_static_selectorELNS0_4arch9wavefront6targetE0EEEvT1_,"axG",@progbits,_ZN7rocprim17ROCPRIM_400000_NS6detail17trampoline_kernelINS0_14default_configENS1_27scan_by_key_config_selectorIssEEZZNS1_16scan_by_key_implILNS1_25lookback_scan_determinismE0ELb1ES3_N6thrust23THRUST_200600_302600_NS6detail15normal_iteratorINS9_10device_ptrIsEEEESE_SE_sNS9_4plusIvEENS9_8equal_toIvEEsEE10hipError_tPvRmT2_T3_T4_T5_mT6_T7_P12ihipStream_tbENKUlT_T0_E_clISt17integral_constantIbLb0EESZ_EEDaSU_SV_EUlSU_E_NS1_11comp_targetILNS1_3genE10ELNS1_11target_archE1200ELNS1_3gpuE4ELNS1_3repE0EEENS1_30default_config_static_selectorELNS0_4arch9wavefront6targetE0EEEvT1_,comdat
	.protected	_ZN7rocprim17ROCPRIM_400000_NS6detail17trampoline_kernelINS0_14default_configENS1_27scan_by_key_config_selectorIssEEZZNS1_16scan_by_key_implILNS1_25lookback_scan_determinismE0ELb1ES3_N6thrust23THRUST_200600_302600_NS6detail15normal_iteratorINS9_10device_ptrIsEEEESE_SE_sNS9_4plusIvEENS9_8equal_toIvEEsEE10hipError_tPvRmT2_T3_T4_T5_mT6_T7_P12ihipStream_tbENKUlT_T0_E_clISt17integral_constantIbLb0EESZ_EEDaSU_SV_EUlSU_E_NS1_11comp_targetILNS1_3genE10ELNS1_11target_archE1200ELNS1_3gpuE4ELNS1_3repE0EEENS1_30default_config_static_selectorELNS0_4arch9wavefront6targetE0EEEvT1_ ; -- Begin function _ZN7rocprim17ROCPRIM_400000_NS6detail17trampoline_kernelINS0_14default_configENS1_27scan_by_key_config_selectorIssEEZZNS1_16scan_by_key_implILNS1_25lookback_scan_determinismE0ELb1ES3_N6thrust23THRUST_200600_302600_NS6detail15normal_iteratorINS9_10device_ptrIsEEEESE_SE_sNS9_4plusIvEENS9_8equal_toIvEEsEE10hipError_tPvRmT2_T3_T4_T5_mT6_T7_P12ihipStream_tbENKUlT_T0_E_clISt17integral_constantIbLb0EESZ_EEDaSU_SV_EUlSU_E_NS1_11comp_targetILNS1_3genE10ELNS1_11target_archE1200ELNS1_3gpuE4ELNS1_3repE0EEENS1_30default_config_static_selectorELNS0_4arch9wavefront6targetE0EEEvT1_
	.globl	_ZN7rocprim17ROCPRIM_400000_NS6detail17trampoline_kernelINS0_14default_configENS1_27scan_by_key_config_selectorIssEEZZNS1_16scan_by_key_implILNS1_25lookback_scan_determinismE0ELb1ES3_N6thrust23THRUST_200600_302600_NS6detail15normal_iteratorINS9_10device_ptrIsEEEESE_SE_sNS9_4plusIvEENS9_8equal_toIvEEsEE10hipError_tPvRmT2_T3_T4_T5_mT6_T7_P12ihipStream_tbENKUlT_T0_E_clISt17integral_constantIbLb0EESZ_EEDaSU_SV_EUlSU_E_NS1_11comp_targetILNS1_3genE10ELNS1_11target_archE1200ELNS1_3gpuE4ELNS1_3repE0EEENS1_30default_config_static_selectorELNS0_4arch9wavefront6targetE0EEEvT1_
	.p2align	8
	.type	_ZN7rocprim17ROCPRIM_400000_NS6detail17trampoline_kernelINS0_14default_configENS1_27scan_by_key_config_selectorIssEEZZNS1_16scan_by_key_implILNS1_25lookback_scan_determinismE0ELb1ES3_N6thrust23THRUST_200600_302600_NS6detail15normal_iteratorINS9_10device_ptrIsEEEESE_SE_sNS9_4plusIvEENS9_8equal_toIvEEsEE10hipError_tPvRmT2_T3_T4_T5_mT6_T7_P12ihipStream_tbENKUlT_T0_E_clISt17integral_constantIbLb0EESZ_EEDaSU_SV_EUlSU_E_NS1_11comp_targetILNS1_3genE10ELNS1_11target_archE1200ELNS1_3gpuE4ELNS1_3repE0EEENS1_30default_config_static_selectorELNS0_4arch9wavefront6targetE0EEEvT1_,@function
_ZN7rocprim17ROCPRIM_400000_NS6detail17trampoline_kernelINS0_14default_configENS1_27scan_by_key_config_selectorIssEEZZNS1_16scan_by_key_implILNS1_25lookback_scan_determinismE0ELb1ES3_N6thrust23THRUST_200600_302600_NS6detail15normal_iteratorINS9_10device_ptrIsEEEESE_SE_sNS9_4plusIvEENS9_8equal_toIvEEsEE10hipError_tPvRmT2_T3_T4_T5_mT6_T7_P12ihipStream_tbENKUlT_T0_E_clISt17integral_constantIbLb0EESZ_EEDaSU_SV_EUlSU_E_NS1_11comp_targetILNS1_3genE10ELNS1_11target_archE1200ELNS1_3gpuE4ELNS1_3repE0EEENS1_30default_config_static_selectorELNS0_4arch9wavefront6targetE0EEEvT1_: ; @_ZN7rocprim17ROCPRIM_400000_NS6detail17trampoline_kernelINS0_14default_configENS1_27scan_by_key_config_selectorIssEEZZNS1_16scan_by_key_implILNS1_25lookback_scan_determinismE0ELb1ES3_N6thrust23THRUST_200600_302600_NS6detail15normal_iteratorINS9_10device_ptrIsEEEESE_SE_sNS9_4plusIvEENS9_8equal_toIvEEsEE10hipError_tPvRmT2_T3_T4_T5_mT6_T7_P12ihipStream_tbENKUlT_T0_E_clISt17integral_constantIbLb0EESZ_EEDaSU_SV_EUlSU_E_NS1_11comp_targetILNS1_3genE10ELNS1_11target_archE1200ELNS1_3gpuE4ELNS1_3repE0EEENS1_30default_config_static_selectorELNS0_4arch9wavefront6targetE0EEEvT1_
; %bb.0:
	.section	.rodata,"a",@progbits
	.p2align	6, 0x0
	.amdhsa_kernel _ZN7rocprim17ROCPRIM_400000_NS6detail17trampoline_kernelINS0_14default_configENS1_27scan_by_key_config_selectorIssEEZZNS1_16scan_by_key_implILNS1_25lookback_scan_determinismE0ELb1ES3_N6thrust23THRUST_200600_302600_NS6detail15normal_iteratorINS9_10device_ptrIsEEEESE_SE_sNS9_4plusIvEENS9_8equal_toIvEEsEE10hipError_tPvRmT2_T3_T4_T5_mT6_T7_P12ihipStream_tbENKUlT_T0_E_clISt17integral_constantIbLb0EESZ_EEDaSU_SV_EUlSU_E_NS1_11comp_targetILNS1_3genE10ELNS1_11target_archE1200ELNS1_3gpuE4ELNS1_3repE0EEENS1_30default_config_static_selectorELNS0_4arch9wavefront6targetE0EEEvT1_
		.amdhsa_group_segment_fixed_size 0
		.amdhsa_private_segment_fixed_size 0
		.amdhsa_kernarg_size 112
		.amdhsa_user_sgpr_count 2
		.amdhsa_user_sgpr_dispatch_ptr 0
		.amdhsa_user_sgpr_queue_ptr 0
		.amdhsa_user_sgpr_kernarg_segment_ptr 1
		.amdhsa_user_sgpr_dispatch_id 0
		.amdhsa_user_sgpr_kernarg_preload_length 0
		.amdhsa_user_sgpr_kernarg_preload_offset 0
		.amdhsa_user_sgpr_private_segment_size 0
		.amdhsa_wavefront_size32 1
		.amdhsa_uses_dynamic_stack 0
		.amdhsa_enable_private_segment 0
		.amdhsa_system_sgpr_workgroup_id_x 1
		.amdhsa_system_sgpr_workgroup_id_y 0
		.amdhsa_system_sgpr_workgroup_id_z 0
		.amdhsa_system_sgpr_workgroup_info 0
		.amdhsa_system_vgpr_workitem_id 0
		.amdhsa_next_free_vgpr 1
		.amdhsa_next_free_sgpr 1
		.amdhsa_named_barrier_count 0
		.amdhsa_reserve_vcc 0
		.amdhsa_float_round_mode_32 0
		.amdhsa_float_round_mode_16_64 0
		.amdhsa_float_denorm_mode_32 3
		.amdhsa_float_denorm_mode_16_64 3
		.amdhsa_fp16_overflow 0
		.amdhsa_memory_ordered 1
		.amdhsa_forward_progress 1
		.amdhsa_inst_pref_size 0
		.amdhsa_round_robin_scheduling 0
		.amdhsa_exception_fp_ieee_invalid_op 0
		.amdhsa_exception_fp_denorm_src 0
		.amdhsa_exception_fp_ieee_div_zero 0
		.amdhsa_exception_fp_ieee_overflow 0
		.amdhsa_exception_fp_ieee_underflow 0
		.amdhsa_exception_fp_ieee_inexact 0
		.amdhsa_exception_int_div_zero 0
	.end_amdhsa_kernel
	.section	.text._ZN7rocprim17ROCPRIM_400000_NS6detail17trampoline_kernelINS0_14default_configENS1_27scan_by_key_config_selectorIssEEZZNS1_16scan_by_key_implILNS1_25lookback_scan_determinismE0ELb1ES3_N6thrust23THRUST_200600_302600_NS6detail15normal_iteratorINS9_10device_ptrIsEEEESE_SE_sNS9_4plusIvEENS9_8equal_toIvEEsEE10hipError_tPvRmT2_T3_T4_T5_mT6_T7_P12ihipStream_tbENKUlT_T0_E_clISt17integral_constantIbLb0EESZ_EEDaSU_SV_EUlSU_E_NS1_11comp_targetILNS1_3genE10ELNS1_11target_archE1200ELNS1_3gpuE4ELNS1_3repE0EEENS1_30default_config_static_selectorELNS0_4arch9wavefront6targetE0EEEvT1_,"axG",@progbits,_ZN7rocprim17ROCPRIM_400000_NS6detail17trampoline_kernelINS0_14default_configENS1_27scan_by_key_config_selectorIssEEZZNS1_16scan_by_key_implILNS1_25lookback_scan_determinismE0ELb1ES3_N6thrust23THRUST_200600_302600_NS6detail15normal_iteratorINS9_10device_ptrIsEEEESE_SE_sNS9_4plusIvEENS9_8equal_toIvEEsEE10hipError_tPvRmT2_T3_T4_T5_mT6_T7_P12ihipStream_tbENKUlT_T0_E_clISt17integral_constantIbLb0EESZ_EEDaSU_SV_EUlSU_E_NS1_11comp_targetILNS1_3genE10ELNS1_11target_archE1200ELNS1_3gpuE4ELNS1_3repE0EEENS1_30default_config_static_selectorELNS0_4arch9wavefront6targetE0EEEvT1_,comdat
.Lfunc_end575:
	.size	_ZN7rocprim17ROCPRIM_400000_NS6detail17trampoline_kernelINS0_14default_configENS1_27scan_by_key_config_selectorIssEEZZNS1_16scan_by_key_implILNS1_25lookback_scan_determinismE0ELb1ES3_N6thrust23THRUST_200600_302600_NS6detail15normal_iteratorINS9_10device_ptrIsEEEESE_SE_sNS9_4plusIvEENS9_8equal_toIvEEsEE10hipError_tPvRmT2_T3_T4_T5_mT6_T7_P12ihipStream_tbENKUlT_T0_E_clISt17integral_constantIbLb0EESZ_EEDaSU_SV_EUlSU_E_NS1_11comp_targetILNS1_3genE10ELNS1_11target_archE1200ELNS1_3gpuE4ELNS1_3repE0EEENS1_30default_config_static_selectorELNS0_4arch9wavefront6targetE0EEEvT1_, .Lfunc_end575-_ZN7rocprim17ROCPRIM_400000_NS6detail17trampoline_kernelINS0_14default_configENS1_27scan_by_key_config_selectorIssEEZZNS1_16scan_by_key_implILNS1_25lookback_scan_determinismE0ELb1ES3_N6thrust23THRUST_200600_302600_NS6detail15normal_iteratorINS9_10device_ptrIsEEEESE_SE_sNS9_4plusIvEENS9_8equal_toIvEEsEE10hipError_tPvRmT2_T3_T4_T5_mT6_T7_P12ihipStream_tbENKUlT_T0_E_clISt17integral_constantIbLb0EESZ_EEDaSU_SV_EUlSU_E_NS1_11comp_targetILNS1_3genE10ELNS1_11target_archE1200ELNS1_3gpuE4ELNS1_3repE0EEENS1_30default_config_static_selectorELNS0_4arch9wavefront6targetE0EEEvT1_
                                        ; -- End function
	.set _ZN7rocprim17ROCPRIM_400000_NS6detail17trampoline_kernelINS0_14default_configENS1_27scan_by_key_config_selectorIssEEZZNS1_16scan_by_key_implILNS1_25lookback_scan_determinismE0ELb1ES3_N6thrust23THRUST_200600_302600_NS6detail15normal_iteratorINS9_10device_ptrIsEEEESE_SE_sNS9_4plusIvEENS9_8equal_toIvEEsEE10hipError_tPvRmT2_T3_T4_T5_mT6_T7_P12ihipStream_tbENKUlT_T0_E_clISt17integral_constantIbLb0EESZ_EEDaSU_SV_EUlSU_E_NS1_11comp_targetILNS1_3genE10ELNS1_11target_archE1200ELNS1_3gpuE4ELNS1_3repE0EEENS1_30default_config_static_selectorELNS0_4arch9wavefront6targetE0EEEvT1_.num_vgpr, 0
	.set _ZN7rocprim17ROCPRIM_400000_NS6detail17trampoline_kernelINS0_14default_configENS1_27scan_by_key_config_selectorIssEEZZNS1_16scan_by_key_implILNS1_25lookback_scan_determinismE0ELb1ES3_N6thrust23THRUST_200600_302600_NS6detail15normal_iteratorINS9_10device_ptrIsEEEESE_SE_sNS9_4plusIvEENS9_8equal_toIvEEsEE10hipError_tPvRmT2_T3_T4_T5_mT6_T7_P12ihipStream_tbENKUlT_T0_E_clISt17integral_constantIbLb0EESZ_EEDaSU_SV_EUlSU_E_NS1_11comp_targetILNS1_3genE10ELNS1_11target_archE1200ELNS1_3gpuE4ELNS1_3repE0EEENS1_30default_config_static_selectorELNS0_4arch9wavefront6targetE0EEEvT1_.num_agpr, 0
	.set _ZN7rocprim17ROCPRIM_400000_NS6detail17trampoline_kernelINS0_14default_configENS1_27scan_by_key_config_selectorIssEEZZNS1_16scan_by_key_implILNS1_25lookback_scan_determinismE0ELb1ES3_N6thrust23THRUST_200600_302600_NS6detail15normal_iteratorINS9_10device_ptrIsEEEESE_SE_sNS9_4plusIvEENS9_8equal_toIvEEsEE10hipError_tPvRmT2_T3_T4_T5_mT6_T7_P12ihipStream_tbENKUlT_T0_E_clISt17integral_constantIbLb0EESZ_EEDaSU_SV_EUlSU_E_NS1_11comp_targetILNS1_3genE10ELNS1_11target_archE1200ELNS1_3gpuE4ELNS1_3repE0EEENS1_30default_config_static_selectorELNS0_4arch9wavefront6targetE0EEEvT1_.numbered_sgpr, 0
	.set _ZN7rocprim17ROCPRIM_400000_NS6detail17trampoline_kernelINS0_14default_configENS1_27scan_by_key_config_selectorIssEEZZNS1_16scan_by_key_implILNS1_25lookback_scan_determinismE0ELb1ES3_N6thrust23THRUST_200600_302600_NS6detail15normal_iteratorINS9_10device_ptrIsEEEESE_SE_sNS9_4plusIvEENS9_8equal_toIvEEsEE10hipError_tPvRmT2_T3_T4_T5_mT6_T7_P12ihipStream_tbENKUlT_T0_E_clISt17integral_constantIbLb0EESZ_EEDaSU_SV_EUlSU_E_NS1_11comp_targetILNS1_3genE10ELNS1_11target_archE1200ELNS1_3gpuE4ELNS1_3repE0EEENS1_30default_config_static_selectorELNS0_4arch9wavefront6targetE0EEEvT1_.num_named_barrier, 0
	.set _ZN7rocprim17ROCPRIM_400000_NS6detail17trampoline_kernelINS0_14default_configENS1_27scan_by_key_config_selectorIssEEZZNS1_16scan_by_key_implILNS1_25lookback_scan_determinismE0ELb1ES3_N6thrust23THRUST_200600_302600_NS6detail15normal_iteratorINS9_10device_ptrIsEEEESE_SE_sNS9_4plusIvEENS9_8equal_toIvEEsEE10hipError_tPvRmT2_T3_T4_T5_mT6_T7_P12ihipStream_tbENKUlT_T0_E_clISt17integral_constantIbLb0EESZ_EEDaSU_SV_EUlSU_E_NS1_11comp_targetILNS1_3genE10ELNS1_11target_archE1200ELNS1_3gpuE4ELNS1_3repE0EEENS1_30default_config_static_selectorELNS0_4arch9wavefront6targetE0EEEvT1_.private_seg_size, 0
	.set _ZN7rocprim17ROCPRIM_400000_NS6detail17trampoline_kernelINS0_14default_configENS1_27scan_by_key_config_selectorIssEEZZNS1_16scan_by_key_implILNS1_25lookback_scan_determinismE0ELb1ES3_N6thrust23THRUST_200600_302600_NS6detail15normal_iteratorINS9_10device_ptrIsEEEESE_SE_sNS9_4plusIvEENS9_8equal_toIvEEsEE10hipError_tPvRmT2_T3_T4_T5_mT6_T7_P12ihipStream_tbENKUlT_T0_E_clISt17integral_constantIbLb0EESZ_EEDaSU_SV_EUlSU_E_NS1_11comp_targetILNS1_3genE10ELNS1_11target_archE1200ELNS1_3gpuE4ELNS1_3repE0EEENS1_30default_config_static_selectorELNS0_4arch9wavefront6targetE0EEEvT1_.uses_vcc, 0
	.set _ZN7rocprim17ROCPRIM_400000_NS6detail17trampoline_kernelINS0_14default_configENS1_27scan_by_key_config_selectorIssEEZZNS1_16scan_by_key_implILNS1_25lookback_scan_determinismE0ELb1ES3_N6thrust23THRUST_200600_302600_NS6detail15normal_iteratorINS9_10device_ptrIsEEEESE_SE_sNS9_4plusIvEENS9_8equal_toIvEEsEE10hipError_tPvRmT2_T3_T4_T5_mT6_T7_P12ihipStream_tbENKUlT_T0_E_clISt17integral_constantIbLb0EESZ_EEDaSU_SV_EUlSU_E_NS1_11comp_targetILNS1_3genE10ELNS1_11target_archE1200ELNS1_3gpuE4ELNS1_3repE0EEENS1_30default_config_static_selectorELNS0_4arch9wavefront6targetE0EEEvT1_.uses_flat_scratch, 0
	.set _ZN7rocprim17ROCPRIM_400000_NS6detail17trampoline_kernelINS0_14default_configENS1_27scan_by_key_config_selectorIssEEZZNS1_16scan_by_key_implILNS1_25lookback_scan_determinismE0ELb1ES3_N6thrust23THRUST_200600_302600_NS6detail15normal_iteratorINS9_10device_ptrIsEEEESE_SE_sNS9_4plusIvEENS9_8equal_toIvEEsEE10hipError_tPvRmT2_T3_T4_T5_mT6_T7_P12ihipStream_tbENKUlT_T0_E_clISt17integral_constantIbLb0EESZ_EEDaSU_SV_EUlSU_E_NS1_11comp_targetILNS1_3genE10ELNS1_11target_archE1200ELNS1_3gpuE4ELNS1_3repE0EEENS1_30default_config_static_selectorELNS0_4arch9wavefront6targetE0EEEvT1_.has_dyn_sized_stack, 0
	.set _ZN7rocprim17ROCPRIM_400000_NS6detail17trampoline_kernelINS0_14default_configENS1_27scan_by_key_config_selectorIssEEZZNS1_16scan_by_key_implILNS1_25lookback_scan_determinismE0ELb1ES3_N6thrust23THRUST_200600_302600_NS6detail15normal_iteratorINS9_10device_ptrIsEEEESE_SE_sNS9_4plusIvEENS9_8equal_toIvEEsEE10hipError_tPvRmT2_T3_T4_T5_mT6_T7_P12ihipStream_tbENKUlT_T0_E_clISt17integral_constantIbLb0EESZ_EEDaSU_SV_EUlSU_E_NS1_11comp_targetILNS1_3genE10ELNS1_11target_archE1200ELNS1_3gpuE4ELNS1_3repE0EEENS1_30default_config_static_selectorELNS0_4arch9wavefront6targetE0EEEvT1_.has_recursion, 0
	.set _ZN7rocprim17ROCPRIM_400000_NS6detail17trampoline_kernelINS0_14default_configENS1_27scan_by_key_config_selectorIssEEZZNS1_16scan_by_key_implILNS1_25lookback_scan_determinismE0ELb1ES3_N6thrust23THRUST_200600_302600_NS6detail15normal_iteratorINS9_10device_ptrIsEEEESE_SE_sNS9_4plusIvEENS9_8equal_toIvEEsEE10hipError_tPvRmT2_T3_T4_T5_mT6_T7_P12ihipStream_tbENKUlT_T0_E_clISt17integral_constantIbLb0EESZ_EEDaSU_SV_EUlSU_E_NS1_11comp_targetILNS1_3genE10ELNS1_11target_archE1200ELNS1_3gpuE4ELNS1_3repE0EEENS1_30default_config_static_selectorELNS0_4arch9wavefront6targetE0EEEvT1_.has_indirect_call, 0
	.section	.AMDGPU.csdata,"",@progbits
; Kernel info:
; codeLenInByte = 0
; TotalNumSgprs: 0
; NumVgprs: 0
; ScratchSize: 0
; MemoryBound: 0
; FloatMode: 240
; IeeeMode: 1
; LDSByteSize: 0 bytes/workgroup (compile time only)
; SGPRBlocks: 0
; VGPRBlocks: 0
; NumSGPRsForWavesPerEU: 1
; NumVGPRsForWavesPerEU: 1
; NamedBarCnt: 0
; Occupancy: 16
; WaveLimiterHint : 0
; COMPUTE_PGM_RSRC2:SCRATCH_EN: 0
; COMPUTE_PGM_RSRC2:USER_SGPR: 2
; COMPUTE_PGM_RSRC2:TRAP_HANDLER: 0
; COMPUTE_PGM_RSRC2:TGID_X_EN: 1
; COMPUTE_PGM_RSRC2:TGID_Y_EN: 0
; COMPUTE_PGM_RSRC2:TGID_Z_EN: 0
; COMPUTE_PGM_RSRC2:TIDIG_COMP_CNT: 0
	.section	.text._ZN7rocprim17ROCPRIM_400000_NS6detail17trampoline_kernelINS0_14default_configENS1_27scan_by_key_config_selectorIssEEZZNS1_16scan_by_key_implILNS1_25lookback_scan_determinismE0ELb1ES3_N6thrust23THRUST_200600_302600_NS6detail15normal_iteratorINS9_10device_ptrIsEEEESE_SE_sNS9_4plusIvEENS9_8equal_toIvEEsEE10hipError_tPvRmT2_T3_T4_T5_mT6_T7_P12ihipStream_tbENKUlT_T0_E_clISt17integral_constantIbLb0EESZ_EEDaSU_SV_EUlSU_E_NS1_11comp_targetILNS1_3genE9ELNS1_11target_archE1100ELNS1_3gpuE3ELNS1_3repE0EEENS1_30default_config_static_selectorELNS0_4arch9wavefront6targetE0EEEvT1_,"axG",@progbits,_ZN7rocprim17ROCPRIM_400000_NS6detail17trampoline_kernelINS0_14default_configENS1_27scan_by_key_config_selectorIssEEZZNS1_16scan_by_key_implILNS1_25lookback_scan_determinismE0ELb1ES3_N6thrust23THRUST_200600_302600_NS6detail15normal_iteratorINS9_10device_ptrIsEEEESE_SE_sNS9_4plusIvEENS9_8equal_toIvEEsEE10hipError_tPvRmT2_T3_T4_T5_mT6_T7_P12ihipStream_tbENKUlT_T0_E_clISt17integral_constantIbLb0EESZ_EEDaSU_SV_EUlSU_E_NS1_11comp_targetILNS1_3genE9ELNS1_11target_archE1100ELNS1_3gpuE3ELNS1_3repE0EEENS1_30default_config_static_selectorELNS0_4arch9wavefront6targetE0EEEvT1_,comdat
	.protected	_ZN7rocprim17ROCPRIM_400000_NS6detail17trampoline_kernelINS0_14default_configENS1_27scan_by_key_config_selectorIssEEZZNS1_16scan_by_key_implILNS1_25lookback_scan_determinismE0ELb1ES3_N6thrust23THRUST_200600_302600_NS6detail15normal_iteratorINS9_10device_ptrIsEEEESE_SE_sNS9_4plusIvEENS9_8equal_toIvEEsEE10hipError_tPvRmT2_T3_T4_T5_mT6_T7_P12ihipStream_tbENKUlT_T0_E_clISt17integral_constantIbLb0EESZ_EEDaSU_SV_EUlSU_E_NS1_11comp_targetILNS1_3genE9ELNS1_11target_archE1100ELNS1_3gpuE3ELNS1_3repE0EEENS1_30default_config_static_selectorELNS0_4arch9wavefront6targetE0EEEvT1_ ; -- Begin function _ZN7rocprim17ROCPRIM_400000_NS6detail17trampoline_kernelINS0_14default_configENS1_27scan_by_key_config_selectorIssEEZZNS1_16scan_by_key_implILNS1_25lookback_scan_determinismE0ELb1ES3_N6thrust23THRUST_200600_302600_NS6detail15normal_iteratorINS9_10device_ptrIsEEEESE_SE_sNS9_4plusIvEENS9_8equal_toIvEEsEE10hipError_tPvRmT2_T3_T4_T5_mT6_T7_P12ihipStream_tbENKUlT_T0_E_clISt17integral_constantIbLb0EESZ_EEDaSU_SV_EUlSU_E_NS1_11comp_targetILNS1_3genE9ELNS1_11target_archE1100ELNS1_3gpuE3ELNS1_3repE0EEENS1_30default_config_static_selectorELNS0_4arch9wavefront6targetE0EEEvT1_
	.globl	_ZN7rocprim17ROCPRIM_400000_NS6detail17trampoline_kernelINS0_14default_configENS1_27scan_by_key_config_selectorIssEEZZNS1_16scan_by_key_implILNS1_25lookback_scan_determinismE0ELb1ES3_N6thrust23THRUST_200600_302600_NS6detail15normal_iteratorINS9_10device_ptrIsEEEESE_SE_sNS9_4plusIvEENS9_8equal_toIvEEsEE10hipError_tPvRmT2_T3_T4_T5_mT6_T7_P12ihipStream_tbENKUlT_T0_E_clISt17integral_constantIbLb0EESZ_EEDaSU_SV_EUlSU_E_NS1_11comp_targetILNS1_3genE9ELNS1_11target_archE1100ELNS1_3gpuE3ELNS1_3repE0EEENS1_30default_config_static_selectorELNS0_4arch9wavefront6targetE0EEEvT1_
	.p2align	8
	.type	_ZN7rocprim17ROCPRIM_400000_NS6detail17trampoline_kernelINS0_14default_configENS1_27scan_by_key_config_selectorIssEEZZNS1_16scan_by_key_implILNS1_25lookback_scan_determinismE0ELb1ES3_N6thrust23THRUST_200600_302600_NS6detail15normal_iteratorINS9_10device_ptrIsEEEESE_SE_sNS9_4plusIvEENS9_8equal_toIvEEsEE10hipError_tPvRmT2_T3_T4_T5_mT6_T7_P12ihipStream_tbENKUlT_T0_E_clISt17integral_constantIbLb0EESZ_EEDaSU_SV_EUlSU_E_NS1_11comp_targetILNS1_3genE9ELNS1_11target_archE1100ELNS1_3gpuE3ELNS1_3repE0EEENS1_30default_config_static_selectorELNS0_4arch9wavefront6targetE0EEEvT1_,@function
_ZN7rocprim17ROCPRIM_400000_NS6detail17trampoline_kernelINS0_14default_configENS1_27scan_by_key_config_selectorIssEEZZNS1_16scan_by_key_implILNS1_25lookback_scan_determinismE0ELb1ES3_N6thrust23THRUST_200600_302600_NS6detail15normal_iteratorINS9_10device_ptrIsEEEESE_SE_sNS9_4plusIvEENS9_8equal_toIvEEsEE10hipError_tPvRmT2_T3_T4_T5_mT6_T7_P12ihipStream_tbENKUlT_T0_E_clISt17integral_constantIbLb0EESZ_EEDaSU_SV_EUlSU_E_NS1_11comp_targetILNS1_3genE9ELNS1_11target_archE1100ELNS1_3gpuE3ELNS1_3repE0EEENS1_30default_config_static_selectorELNS0_4arch9wavefront6targetE0EEEvT1_: ; @_ZN7rocprim17ROCPRIM_400000_NS6detail17trampoline_kernelINS0_14default_configENS1_27scan_by_key_config_selectorIssEEZZNS1_16scan_by_key_implILNS1_25lookback_scan_determinismE0ELb1ES3_N6thrust23THRUST_200600_302600_NS6detail15normal_iteratorINS9_10device_ptrIsEEEESE_SE_sNS9_4plusIvEENS9_8equal_toIvEEsEE10hipError_tPvRmT2_T3_T4_T5_mT6_T7_P12ihipStream_tbENKUlT_T0_E_clISt17integral_constantIbLb0EESZ_EEDaSU_SV_EUlSU_E_NS1_11comp_targetILNS1_3genE9ELNS1_11target_archE1100ELNS1_3gpuE3ELNS1_3repE0EEENS1_30default_config_static_selectorELNS0_4arch9wavefront6targetE0EEEvT1_
; %bb.0:
	.section	.rodata,"a",@progbits
	.p2align	6, 0x0
	.amdhsa_kernel _ZN7rocprim17ROCPRIM_400000_NS6detail17trampoline_kernelINS0_14default_configENS1_27scan_by_key_config_selectorIssEEZZNS1_16scan_by_key_implILNS1_25lookback_scan_determinismE0ELb1ES3_N6thrust23THRUST_200600_302600_NS6detail15normal_iteratorINS9_10device_ptrIsEEEESE_SE_sNS9_4plusIvEENS9_8equal_toIvEEsEE10hipError_tPvRmT2_T3_T4_T5_mT6_T7_P12ihipStream_tbENKUlT_T0_E_clISt17integral_constantIbLb0EESZ_EEDaSU_SV_EUlSU_E_NS1_11comp_targetILNS1_3genE9ELNS1_11target_archE1100ELNS1_3gpuE3ELNS1_3repE0EEENS1_30default_config_static_selectorELNS0_4arch9wavefront6targetE0EEEvT1_
		.amdhsa_group_segment_fixed_size 0
		.amdhsa_private_segment_fixed_size 0
		.amdhsa_kernarg_size 112
		.amdhsa_user_sgpr_count 2
		.amdhsa_user_sgpr_dispatch_ptr 0
		.amdhsa_user_sgpr_queue_ptr 0
		.amdhsa_user_sgpr_kernarg_segment_ptr 1
		.amdhsa_user_sgpr_dispatch_id 0
		.amdhsa_user_sgpr_kernarg_preload_length 0
		.amdhsa_user_sgpr_kernarg_preload_offset 0
		.amdhsa_user_sgpr_private_segment_size 0
		.amdhsa_wavefront_size32 1
		.amdhsa_uses_dynamic_stack 0
		.amdhsa_enable_private_segment 0
		.amdhsa_system_sgpr_workgroup_id_x 1
		.amdhsa_system_sgpr_workgroup_id_y 0
		.amdhsa_system_sgpr_workgroup_id_z 0
		.amdhsa_system_sgpr_workgroup_info 0
		.amdhsa_system_vgpr_workitem_id 0
		.amdhsa_next_free_vgpr 1
		.amdhsa_next_free_sgpr 1
		.amdhsa_named_barrier_count 0
		.amdhsa_reserve_vcc 0
		.amdhsa_float_round_mode_32 0
		.amdhsa_float_round_mode_16_64 0
		.amdhsa_float_denorm_mode_32 3
		.amdhsa_float_denorm_mode_16_64 3
		.amdhsa_fp16_overflow 0
		.amdhsa_memory_ordered 1
		.amdhsa_forward_progress 1
		.amdhsa_inst_pref_size 0
		.amdhsa_round_robin_scheduling 0
		.amdhsa_exception_fp_ieee_invalid_op 0
		.amdhsa_exception_fp_denorm_src 0
		.amdhsa_exception_fp_ieee_div_zero 0
		.amdhsa_exception_fp_ieee_overflow 0
		.amdhsa_exception_fp_ieee_underflow 0
		.amdhsa_exception_fp_ieee_inexact 0
		.amdhsa_exception_int_div_zero 0
	.end_amdhsa_kernel
	.section	.text._ZN7rocprim17ROCPRIM_400000_NS6detail17trampoline_kernelINS0_14default_configENS1_27scan_by_key_config_selectorIssEEZZNS1_16scan_by_key_implILNS1_25lookback_scan_determinismE0ELb1ES3_N6thrust23THRUST_200600_302600_NS6detail15normal_iteratorINS9_10device_ptrIsEEEESE_SE_sNS9_4plusIvEENS9_8equal_toIvEEsEE10hipError_tPvRmT2_T3_T4_T5_mT6_T7_P12ihipStream_tbENKUlT_T0_E_clISt17integral_constantIbLb0EESZ_EEDaSU_SV_EUlSU_E_NS1_11comp_targetILNS1_3genE9ELNS1_11target_archE1100ELNS1_3gpuE3ELNS1_3repE0EEENS1_30default_config_static_selectorELNS0_4arch9wavefront6targetE0EEEvT1_,"axG",@progbits,_ZN7rocprim17ROCPRIM_400000_NS6detail17trampoline_kernelINS0_14default_configENS1_27scan_by_key_config_selectorIssEEZZNS1_16scan_by_key_implILNS1_25lookback_scan_determinismE0ELb1ES3_N6thrust23THRUST_200600_302600_NS6detail15normal_iteratorINS9_10device_ptrIsEEEESE_SE_sNS9_4plusIvEENS9_8equal_toIvEEsEE10hipError_tPvRmT2_T3_T4_T5_mT6_T7_P12ihipStream_tbENKUlT_T0_E_clISt17integral_constantIbLb0EESZ_EEDaSU_SV_EUlSU_E_NS1_11comp_targetILNS1_3genE9ELNS1_11target_archE1100ELNS1_3gpuE3ELNS1_3repE0EEENS1_30default_config_static_selectorELNS0_4arch9wavefront6targetE0EEEvT1_,comdat
.Lfunc_end576:
	.size	_ZN7rocprim17ROCPRIM_400000_NS6detail17trampoline_kernelINS0_14default_configENS1_27scan_by_key_config_selectorIssEEZZNS1_16scan_by_key_implILNS1_25lookback_scan_determinismE0ELb1ES3_N6thrust23THRUST_200600_302600_NS6detail15normal_iteratorINS9_10device_ptrIsEEEESE_SE_sNS9_4plusIvEENS9_8equal_toIvEEsEE10hipError_tPvRmT2_T3_T4_T5_mT6_T7_P12ihipStream_tbENKUlT_T0_E_clISt17integral_constantIbLb0EESZ_EEDaSU_SV_EUlSU_E_NS1_11comp_targetILNS1_3genE9ELNS1_11target_archE1100ELNS1_3gpuE3ELNS1_3repE0EEENS1_30default_config_static_selectorELNS0_4arch9wavefront6targetE0EEEvT1_, .Lfunc_end576-_ZN7rocprim17ROCPRIM_400000_NS6detail17trampoline_kernelINS0_14default_configENS1_27scan_by_key_config_selectorIssEEZZNS1_16scan_by_key_implILNS1_25lookback_scan_determinismE0ELb1ES3_N6thrust23THRUST_200600_302600_NS6detail15normal_iteratorINS9_10device_ptrIsEEEESE_SE_sNS9_4plusIvEENS9_8equal_toIvEEsEE10hipError_tPvRmT2_T3_T4_T5_mT6_T7_P12ihipStream_tbENKUlT_T0_E_clISt17integral_constantIbLb0EESZ_EEDaSU_SV_EUlSU_E_NS1_11comp_targetILNS1_3genE9ELNS1_11target_archE1100ELNS1_3gpuE3ELNS1_3repE0EEENS1_30default_config_static_selectorELNS0_4arch9wavefront6targetE0EEEvT1_
                                        ; -- End function
	.set _ZN7rocprim17ROCPRIM_400000_NS6detail17trampoline_kernelINS0_14default_configENS1_27scan_by_key_config_selectorIssEEZZNS1_16scan_by_key_implILNS1_25lookback_scan_determinismE0ELb1ES3_N6thrust23THRUST_200600_302600_NS6detail15normal_iteratorINS9_10device_ptrIsEEEESE_SE_sNS9_4plusIvEENS9_8equal_toIvEEsEE10hipError_tPvRmT2_T3_T4_T5_mT6_T7_P12ihipStream_tbENKUlT_T0_E_clISt17integral_constantIbLb0EESZ_EEDaSU_SV_EUlSU_E_NS1_11comp_targetILNS1_3genE9ELNS1_11target_archE1100ELNS1_3gpuE3ELNS1_3repE0EEENS1_30default_config_static_selectorELNS0_4arch9wavefront6targetE0EEEvT1_.num_vgpr, 0
	.set _ZN7rocprim17ROCPRIM_400000_NS6detail17trampoline_kernelINS0_14default_configENS1_27scan_by_key_config_selectorIssEEZZNS1_16scan_by_key_implILNS1_25lookback_scan_determinismE0ELb1ES3_N6thrust23THRUST_200600_302600_NS6detail15normal_iteratorINS9_10device_ptrIsEEEESE_SE_sNS9_4plusIvEENS9_8equal_toIvEEsEE10hipError_tPvRmT2_T3_T4_T5_mT6_T7_P12ihipStream_tbENKUlT_T0_E_clISt17integral_constantIbLb0EESZ_EEDaSU_SV_EUlSU_E_NS1_11comp_targetILNS1_3genE9ELNS1_11target_archE1100ELNS1_3gpuE3ELNS1_3repE0EEENS1_30default_config_static_selectorELNS0_4arch9wavefront6targetE0EEEvT1_.num_agpr, 0
	.set _ZN7rocprim17ROCPRIM_400000_NS6detail17trampoline_kernelINS0_14default_configENS1_27scan_by_key_config_selectorIssEEZZNS1_16scan_by_key_implILNS1_25lookback_scan_determinismE0ELb1ES3_N6thrust23THRUST_200600_302600_NS6detail15normal_iteratorINS9_10device_ptrIsEEEESE_SE_sNS9_4plusIvEENS9_8equal_toIvEEsEE10hipError_tPvRmT2_T3_T4_T5_mT6_T7_P12ihipStream_tbENKUlT_T0_E_clISt17integral_constantIbLb0EESZ_EEDaSU_SV_EUlSU_E_NS1_11comp_targetILNS1_3genE9ELNS1_11target_archE1100ELNS1_3gpuE3ELNS1_3repE0EEENS1_30default_config_static_selectorELNS0_4arch9wavefront6targetE0EEEvT1_.numbered_sgpr, 0
	.set _ZN7rocprim17ROCPRIM_400000_NS6detail17trampoline_kernelINS0_14default_configENS1_27scan_by_key_config_selectorIssEEZZNS1_16scan_by_key_implILNS1_25lookback_scan_determinismE0ELb1ES3_N6thrust23THRUST_200600_302600_NS6detail15normal_iteratorINS9_10device_ptrIsEEEESE_SE_sNS9_4plusIvEENS9_8equal_toIvEEsEE10hipError_tPvRmT2_T3_T4_T5_mT6_T7_P12ihipStream_tbENKUlT_T0_E_clISt17integral_constantIbLb0EESZ_EEDaSU_SV_EUlSU_E_NS1_11comp_targetILNS1_3genE9ELNS1_11target_archE1100ELNS1_3gpuE3ELNS1_3repE0EEENS1_30default_config_static_selectorELNS0_4arch9wavefront6targetE0EEEvT1_.num_named_barrier, 0
	.set _ZN7rocprim17ROCPRIM_400000_NS6detail17trampoline_kernelINS0_14default_configENS1_27scan_by_key_config_selectorIssEEZZNS1_16scan_by_key_implILNS1_25lookback_scan_determinismE0ELb1ES3_N6thrust23THRUST_200600_302600_NS6detail15normal_iteratorINS9_10device_ptrIsEEEESE_SE_sNS9_4plusIvEENS9_8equal_toIvEEsEE10hipError_tPvRmT2_T3_T4_T5_mT6_T7_P12ihipStream_tbENKUlT_T0_E_clISt17integral_constantIbLb0EESZ_EEDaSU_SV_EUlSU_E_NS1_11comp_targetILNS1_3genE9ELNS1_11target_archE1100ELNS1_3gpuE3ELNS1_3repE0EEENS1_30default_config_static_selectorELNS0_4arch9wavefront6targetE0EEEvT1_.private_seg_size, 0
	.set _ZN7rocprim17ROCPRIM_400000_NS6detail17trampoline_kernelINS0_14default_configENS1_27scan_by_key_config_selectorIssEEZZNS1_16scan_by_key_implILNS1_25lookback_scan_determinismE0ELb1ES3_N6thrust23THRUST_200600_302600_NS6detail15normal_iteratorINS9_10device_ptrIsEEEESE_SE_sNS9_4plusIvEENS9_8equal_toIvEEsEE10hipError_tPvRmT2_T3_T4_T5_mT6_T7_P12ihipStream_tbENKUlT_T0_E_clISt17integral_constantIbLb0EESZ_EEDaSU_SV_EUlSU_E_NS1_11comp_targetILNS1_3genE9ELNS1_11target_archE1100ELNS1_3gpuE3ELNS1_3repE0EEENS1_30default_config_static_selectorELNS0_4arch9wavefront6targetE0EEEvT1_.uses_vcc, 0
	.set _ZN7rocprim17ROCPRIM_400000_NS6detail17trampoline_kernelINS0_14default_configENS1_27scan_by_key_config_selectorIssEEZZNS1_16scan_by_key_implILNS1_25lookback_scan_determinismE0ELb1ES3_N6thrust23THRUST_200600_302600_NS6detail15normal_iteratorINS9_10device_ptrIsEEEESE_SE_sNS9_4plusIvEENS9_8equal_toIvEEsEE10hipError_tPvRmT2_T3_T4_T5_mT6_T7_P12ihipStream_tbENKUlT_T0_E_clISt17integral_constantIbLb0EESZ_EEDaSU_SV_EUlSU_E_NS1_11comp_targetILNS1_3genE9ELNS1_11target_archE1100ELNS1_3gpuE3ELNS1_3repE0EEENS1_30default_config_static_selectorELNS0_4arch9wavefront6targetE0EEEvT1_.uses_flat_scratch, 0
	.set _ZN7rocprim17ROCPRIM_400000_NS6detail17trampoline_kernelINS0_14default_configENS1_27scan_by_key_config_selectorIssEEZZNS1_16scan_by_key_implILNS1_25lookback_scan_determinismE0ELb1ES3_N6thrust23THRUST_200600_302600_NS6detail15normal_iteratorINS9_10device_ptrIsEEEESE_SE_sNS9_4plusIvEENS9_8equal_toIvEEsEE10hipError_tPvRmT2_T3_T4_T5_mT6_T7_P12ihipStream_tbENKUlT_T0_E_clISt17integral_constantIbLb0EESZ_EEDaSU_SV_EUlSU_E_NS1_11comp_targetILNS1_3genE9ELNS1_11target_archE1100ELNS1_3gpuE3ELNS1_3repE0EEENS1_30default_config_static_selectorELNS0_4arch9wavefront6targetE0EEEvT1_.has_dyn_sized_stack, 0
	.set _ZN7rocprim17ROCPRIM_400000_NS6detail17trampoline_kernelINS0_14default_configENS1_27scan_by_key_config_selectorIssEEZZNS1_16scan_by_key_implILNS1_25lookback_scan_determinismE0ELb1ES3_N6thrust23THRUST_200600_302600_NS6detail15normal_iteratorINS9_10device_ptrIsEEEESE_SE_sNS9_4plusIvEENS9_8equal_toIvEEsEE10hipError_tPvRmT2_T3_T4_T5_mT6_T7_P12ihipStream_tbENKUlT_T0_E_clISt17integral_constantIbLb0EESZ_EEDaSU_SV_EUlSU_E_NS1_11comp_targetILNS1_3genE9ELNS1_11target_archE1100ELNS1_3gpuE3ELNS1_3repE0EEENS1_30default_config_static_selectorELNS0_4arch9wavefront6targetE0EEEvT1_.has_recursion, 0
	.set _ZN7rocprim17ROCPRIM_400000_NS6detail17trampoline_kernelINS0_14default_configENS1_27scan_by_key_config_selectorIssEEZZNS1_16scan_by_key_implILNS1_25lookback_scan_determinismE0ELb1ES3_N6thrust23THRUST_200600_302600_NS6detail15normal_iteratorINS9_10device_ptrIsEEEESE_SE_sNS9_4plusIvEENS9_8equal_toIvEEsEE10hipError_tPvRmT2_T3_T4_T5_mT6_T7_P12ihipStream_tbENKUlT_T0_E_clISt17integral_constantIbLb0EESZ_EEDaSU_SV_EUlSU_E_NS1_11comp_targetILNS1_3genE9ELNS1_11target_archE1100ELNS1_3gpuE3ELNS1_3repE0EEENS1_30default_config_static_selectorELNS0_4arch9wavefront6targetE0EEEvT1_.has_indirect_call, 0
	.section	.AMDGPU.csdata,"",@progbits
; Kernel info:
; codeLenInByte = 0
; TotalNumSgprs: 0
; NumVgprs: 0
; ScratchSize: 0
; MemoryBound: 0
; FloatMode: 240
; IeeeMode: 1
; LDSByteSize: 0 bytes/workgroup (compile time only)
; SGPRBlocks: 0
; VGPRBlocks: 0
; NumSGPRsForWavesPerEU: 1
; NumVGPRsForWavesPerEU: 1
; NamedBarCnt: 0
; Occupancy: 16
; WaveLimiterHint : 0
; COMPUTE_PGM_RSRC2:SCRATCH_EN: 0
; COMPUTE_PGM_RSRC2:USER_SGPR: 2
; COMPUTE_PGM_RSRC2:TRAP_HANDLER: 0
; COMPUTE_PGM_RSRC2:TGID_X_EN: 1
; COMPUTE_PGM_RSRC2:TGID_Y_EN: 0
; COMPUTE_PGM_RSRC2:TGID_Z_EN: 0
; COMPUTE_PGM_RSRC2:TIDIG_COMP_CNT: 0
	.section	.text._ZN7rocprim17ROCPRIM_400000_NS6detail17trampoline_kernelINS0_14default_configENS1_27scan_by_key_config_selectorIssEEZZNS1_16scan_by_key_implILNS1_25lookback_scan_determinismE0ELb1ES3_N6thrust23THRUST_200600_302600_NS6detail15normal_iteratorINS9_10device_ptrIsEEEESE_SE_sNS9_4plusIvEENS9_8equal_toIvEEsEE10hipError_tPvRmT2_T3_T4_T5_mT6_T7_P12ihipStream_tbENKUlT_T0_E_clISt17integral_constantIbLb0EESZ_EEDaSU_SV_EUlSU_E_NS1_11comp_targetILNS1_3genE8ELNS1_11target_archE1030ELNS1_3gpuE2ELNS1_3repE0EEENS1_30default_config_static_selectorELNS0_4arch9wavefront6targetE0EEEvT1_,"axG",@progbits,_ZN7rocprim17ROCPRIM_400000_NS6detail17trampoline_kernelINS0_14default_configENS1_27scan_by_key_config_selectorIssEEZZNS1_16scan_by_key_implILNS1_25lookback_scan_determinismE0ELb1ES3_N6thrust23THRUST_200600_302600_NS6detail15normal_iteratorINS9_10device_ptrIsEEEESE_SE_sNS9_4plusIvEENS9_8equal_toIvEEsEE10hipError_tPvRmT2_T3_T4_T5_mT6_T7_P12ihipStream_tbENKUlT_T0_E_clISt17integral_constantIbLb0EESZ_EEDaSU_SV_EUlSU_E_NS1_11comp_targetILNS1_3genE8ELNS1_11target_archE1030ELNS1_3gpuE2ELNS1_3repE0EEENS1_30default_config_static_selectorELNS0_4arch9wavefront6targetE0EEEvT1_,comdat
	.protected	_ZN7rocprim17ROCPRIM_400000_NS6detail17trampoline_kernelINS0_14default_configENS1_27scan_by_key_config_selectorIssEEZZNS1_16scan_by_key_implILNS1_25lookback_scan_determinismE0ELb1ES3_N6thrust23THRUST_200600_302600_NS6detail15normal_iteratorINS9_10device_ptrIsEEEESE_SE_sNS9_4plusIvEENS9_8equal_toIvEEsEE10hipError_tPvRmT2_T3_T4_T5_mT6_T7_P12ihipStream_tbENKUlT_T0_E_clISt17integral_constantIbLb0EESZ_EEDaSU_SV_EUlSU_E_NS1_11comp_targetILNS1_3genE8ELNS1_11target_archE1030ELNS1_3gpuE2ELNS1_3repE0EEENS1_30default_config_static_selectorELNS0_4arch9wavefront6targetE0EEEvT1_ ; -- Begin function _ZN7rocprim17ROCPRIM_400000_NS6detail17trampoline_kernelINS0_14default_configENS1_27scan_by_key_config_selectorIssEEZZNS1_16scan_by_key_implILNS1_25lookback_scan_determinismE0ELb1ES3_N6thrust23THRUST_200600_302600_NS6detail15normal_iteratorINS9_10device_ptrIsEEEESE_SE_sNS9_4plusIvEENS9_8equal_toIvEEsEE10hipError_tPvRmT2_T3_T4_T5_mT6_T7_P12ihipStream_tbENKUlT_T0_E_clISt17integral_constantIbLb0EESZ_EEDaSU_SV_EUlSU_E_NS1_11comp_targetILNS1_3genE8ELNS1_11target_archE1030ELNS1_3gpuE2ELNS1_3repE0EEENS1_30default_config_static_selectorELNS0_4arch9wavefront6targetE0EEEvT1_
	.globl	_ZN7rocprim17ROCPRIM_400000_NS6detail17trampoline_kernelINS0_14default_configENS1_27scan_by_key_config_selectorIssEEZZNS1_16scan_by_key_implILNS1_25lookback_scan_determinismE0ELb1ES3_N6thrust23THRUST_200600_302600_NS6detail15normal_iteratorINS9_10device_ptrIsEEEESE_SE_sNS9_4plusIvEENS9_8equal_toIvEEsEE10hipError_tPvRmT2_T3_T4_T5_mT6_T7_P12ihipStream_tbENKUlT_T0_E_clISt17integral_constantIbLb0EESZ_EEDaSU_SV_EUlSU_E_NS1_11comp_targetILNS1_3genE8ELNS1_11target_archE1030ELNS1_3gpuE2ELNS1_3repE0EEENS1_30default_config_static_selectorELNS0_4arch9wavefront6targetE0EEEvT1_
	.p2align	8
	.type	_ZN7rocprim17ROCPRIM_400000_NS6detail17trampoline_kernelINS0_14default_configENS1_27scan_by_key_config_selectorIssEEZZNS1_16scan_by_key_implILNS1_25lookback_scan_determinismE0ELb1ES3_N6thrust23THRUST_200600_302600_NS6detail15normal_iteratorINS9_10device_ptrIsEEEESE_SE_sNS9_4plusIvEENS9_8equal_toIvEEsEE10hipError_tPvRmT2_T3_T4_T5_mT6_T7_P12ihipStream_tbENKUlT_T0_E_clISt17integral_constantIbLb0EESZ_EEDaSU_SV_EUlSU_E_NS1_11comp_targetILNS1_3genE8ELNS1_11target_archE1030ELNS1_3gpuE2ELNS1_3repE0EEENS1_30default_config_static_selectorELNS0_4arch9wavefront6targetE0EEEvT1_,@function
_ZN7rocprim17ROCPRIM_400000_NS6detail17trampoline_kernelINS0_14default_configENS1_27scan_by_key_config_selectorIssEEZZNS1_16scan_by_key_implILNS1_25lookback_scan_determinismE0ELb1ES3_N6thrust23THRUST_200600_302600_NS6detail15normal_iteratorINS9_10device_ptrIsEEEESE_SE_sNS9_4plusIvEENS9_8equal_toIvEEsEE10hipError_tPvRmT2_T3_T4_T5_mT6_T7_P12ihipStream_tbENKUlT_T0_E_clISt17integral_constantIbLb0EESZ_EEDaSU_SV_EUlSU_E_NS1_11comp_targetILNS1_3genE8ELNS1_11target_archE1030ELNS1_3gpuE2ELNS1_3repE0EEENS1_30default_config_static_selectorELNS0_4arch9wavefront6targetE0EEEvT1_: ; @_ZN7rocprim17ROCPRIM_400000_NS6detail17trampoline_kernelINS0_14default_configENS1_27scan_by_key_config_selectorIssEEZZNS1_16scan_by_key_implILNS1_25lookback_scan_determinismE0ELb1ES3_N6thrust23THRUST_200600_302600_NS6detail15normal_iteratorINS9_10device_ptrIsEEEESE_SE_sNS9_4plusIvEENS9_8equal_toIvEEsEE10hipError_tPvRmT2_T3_T4_T5_mT6_T7_P12ihipStream_tbENKUlT_T0_E_clISt17integral_constantIbLb0EESZ_EEDaSU_SV_EUlSU_E_NS1_11comp_targetILNS1_3genE8ELNS1_11target_archE1030ELNS1_3gpuE2ELNS1_3repE0EEENS1_30default_config_static_selectorELNS0_4arch9wavefront6targetE0EEEvT1_
; %bb.0:
	.section	.rodata,"a",@progbits
	.p2align	6, 0x0
	.amdhsa_kernel _ZN7rocprim17ROCPRIM_400000_NS6detail17trampoline_kernelINS0_14default_configENS1_27scan_by_key_config_selectorIssEEZZNS1_16scan_by_key_implILNS1_25lookback_scan_determinismE0ELb1ES3_N6thrust23THRUST_200600_302600_NS6detail15normal_iteratorINS9_10device_ptrIsEEEESE_SE_sNS9_4plusIvEENS9_8equal_toIvEEsEE10hipError_tPvRmT2_T3_T4_T5_mT6_T7_P12ihipStream_tbENKUlT_T0_E_clISt17integral_constantIbLb0EESZ_EEDaSU_SV_EUlSU_E_NS1_11comp_targetILNS1_3genE8ELNS1_11target_archE1030ELNS1_3gpuE2ELNS1_3repE0EEENS1_30default_config_static_selectorELNS0_4arch9wavefront6targetE0EEEvT1_
		.amdhsa_group_segment_fixed_size 0
		.amdhsa_private_segment_fixed_size 0
		.amdhsa_kernarg_size 112
		.amdhsa_user_sgpr_count 2
		.amdhsa_user_sgpr_dispatch_ptr 0
		.amdhsa_user_sgpr_queue_ptr 0
		.amdhsa_user_sgpr_kernarg_segment_ptr 1
		.amdhsa_user_sgpr_dispatch_id 0
		.amdhsa_user_sgpr_kernarg_preload_length 0
		.amdhsa_user_sgpr_kernarg_preload_offset 0
		.amdhsa_user_sgpr_private_segment_size 0
		.amdhsa_wavefront_size32 1
		.amdhsa_uses_dynamic_stack 0
		.amdhsa_enable_private_segment 0
		.amdhsa_system_sgpr_workgroup_id_x 1
		.amdhsa_system_sgpr_workgroup_id_y 0
		.amdhsa_system_sgpr_workgroup_id_z 0
		.amdhsa_system_sgpr_workgroup_info 0
		.amdhsa_system_vgpr_workitem_id 0
		.amdhsa_next_free_vgpr 1
		.amdhsa_next_free_sgpr 1
		.amdhsa_named_barrier_count 0
		.amdhsa_reserve_vcc 0
		.amdhsa_float_round_mode_32 0
		.amdhsa_float_round_mode_16_64 0
		.amdhsa_float_denorm_mode_32 3
		.amdhsa_float_denorm_mode_16_64 3
		.amdhsa_fp16_overflow 0
		.amdhsa_memory_ordered 1
		.amdhsa_forward_progress 1
		.amdhsa_inst_pref_size 0
		.amdhsa_round_robin_scheduling 0
		.amdhsa_exception_fp_ieee_invalid_op 0
		.amdhsa_exception_fp_denorm_src 0
		.amdhsa_exception_fp_ieee_div_zero 0
		.amdhsa_exception_fp_ieee_overflow 0
		.amdhsa_exception_fp_ieee_underflow 0
		.amdhsa_exception_fp_ieee_inexact 0
		.amdhsa_exception_int_div_zero 0
	.end_amdhsa_kernel
	.section	.text._ZN7rocprim17ROCPRIM_400000_NS6detail17trampoline_kernelINS0_14default_configENS1_27scan_by_key_config_selectorIssEEZZNS1_16scan_by_key_implILNS1_25lookback_scan_determinismE0ELb1ES3_N6thrust23THRUST_200600_302600_NS6detail15normal_iteratorINS9_10device_ptrIsEEEESE_SE_sNS9_4plusIvEENS9_8equal_toIvEEsEE10hipError_tPvRmT2_T3_T4_T5_mT6_T7_P12ihipStream_tbENKUlT_T0_E_clISt17integral_constantIbLb0EESZ_EEDaSU_SV_EUlSU_E_NS1_11comp_targetILNS1_3genE8ELNS1_11target_archE1030ELNS1_3gpuE2ELNS1_3repE0EEENS1_30default_config_static_selectorELNS0_4arch9wavefront6targetE0EEEvT1_,"axG",@progbits,_ZN7rocprim17ROCPRIM_400000_NS6detail17trampoline_kernelINS0_14default_configENS1_27scan_by_key_config_selectorIssEEZZNS1_16scan_by_key_implILNS1_25lookback_scan_determinismE0ELb1ES3_N6thrust23THRUST_200600_302600_NS6detail15normal_iteratorINS9_10device_ptrIsEEEESE_SE_sNS9_4plusIvEENS9_8equal_toIvEEsEE10hipError_tPvRmT2_T3_T4_T5_mT6_T7_P12ihipStream_tbENKUlT_T0_E_clISt17integral_constantIbLb0EESZ_EEDaSU_SV_EUlSU_E_NS1_11comp_targetILNS1_3genE8ELNS1_11target_archE1030ELNS1_3gpuE2ELNS1_3repE0EEENS1_30default_config_static_selectorELNS0_4arch9wavefront6targetE0EEEvT1_,comdat
.Lfunc_end577:
	.size	_ZN7rocprim17ROCPRIM_400000_NS6detail17trampoline_kernelINS0_14default_configENS1_27scan_by_key_config_selectorIssEEZZNS1_16scan_by_key_implILNS1_25lookback_scan_determinismE0ELb1ES3_N6thrust23THRUST_200600_302600_NS6detail15normal_iteratorINS9_10device_ptrIsEEEESE_SE_sNS9_4plusIvEENS9_8equal_toIvEEsEE10hipError_tPvRmT2_T3_T4_T5_mT6_T7_P12ihipStream_tbENKUlT_T0_E_clISt17integral_constantIbLb0EESZ_EEDaSU_SV_EUlSU_E_NS1_11comp_targetILNS1_3genE8ELNS1_11target_archE1030ELNS1_3gpuE2ELNS1_3repE0EEENS1_30default_config_static_selectorELNS0_4arch9wavefront6targetE0EEEvT1_, .Lfunc_end577-_ZN7rocprim17ROCPRIM_400000_NS6detail17trampoline_kernelINS0_14default_configENS1_27scan_by_key_config_selectorIssEEZZNS1_16scan_by_key_implILNS1_25lookback_scan_determinismE0ELb1ES3_N6thrust23THRUST_200600_302600_NS6detail15normal_iteratorINS9_10device_ptrIsEEEESE_SE_sNS9_4plusIvEENS9_8equal_toIvEEsEE10hipError_tPvRmT2_T3_T4_T5_mT6_T7_P12ihipStream_tbENKUlT_T0_E_clISt17integral_constantIbLb0EESZ_EEDaSU_SV_EUlSU_E_NS1_11comp_targetILNS1_3genE8ELNS1_11target_archE1030ELNS1_3gpuE2ELNS1_3repE0EEENS1_30default_config_static_selectorELNS0_4arch9wavefront6targetE0EEEvT1_
                                        ; -- End function
	.set _ZN7rocprim17ROCPRIM_400000_NS6detail17trampoline_kernelINS0_14default_configENS1_27scan_by_key_config_selectorIssEEZZNS1_16scan_by_key_implILNS1_25lookback_scan_determinismE0ELb1ES3_N6thrust23THRUST_200600_302600_NS6detail15normal_iteratorINS9_10device_ptrIsEEEESE_SE_sNS9_4plusIvEENS9_8equal_toIvEEsEE10hipError_tPvRmT2_T3_T4_T5_mT6_T7_P12ihipStream_tbENKUlT_T0_E_clISt17integral_constantIbLb0EESZ_EEDaSU_SV_EUlSU_E_NS1_11comp_targetILNS1_3genE8ELNS1_11target_archE1030ELNS1_3gpuE2ELNS1_3repE0EEENS1_30default_config_static_selectorELNS0_4arch9wavefront6targetE0EEEvT1_.num_vgpr, 0
	.set _ZN7rocprim17ROCPRIM_400000_NS6detail17trampoline_kernelINS0_14default_configENS1_27scan_by_key_config_selectorIssEEZZNS1_16scan_by_key_implILNS1_25lookback_scan_determinismE0ELb1ES3_N6thrust23THRUST_200600_302600_NS6detail15normal_iteratorINS9_10device_ptrIsEEEESE_SE_sNS9_4plusIvEENS9_8equal_toIvEEsEE10hipError_tPvRmT2_T3_T4_T5_mT6_T7_P12ihipStream_tbENKUlT_T0_E_clISt17integral_constantIbLb0EESZ_EEDaSU_SV_EUlSU_E_NS1_11comp_targetILNS1_3genE8ELNS1_11target_archE1030ELNS1_3gpuE2ELNS1_3repE0EEENS1_30default_config_static_selectorELNS0_4arch9wavefront6targetE0EEEvT1_.num_agpr, 0
	.set _ZN7rocprim17ROCPRIM_400000_NS6detail17trampoline_kernelINS0_14default_configENS1_27scan_by_key_config_selectorIssEEZZNS1_16scan_by_key_implILNS1_25lookback_scan_determinismE0ELb1ES3_N6thrust23THRUST_200600_302600_NS6detail15normal_iteratorINS9_10device_ptrIsEEEESE_SE_sNS9_4plusIvEENS9_8equal_toIvEEsEE10hipError_tPvRmT2_T3_T4_T5_mT6_T7_P12ihipStream_tbENKUlT_T0_E_clISt17integral_constantIbLb0EESZ_EEDaSU_SV_EUlSU_E_NS1_11comp_targetILNS1_3genE8ELNS1_11target_archE1030ELNS1_3gpuE2ELNS1_3repE0EEENS1_30default_config_static_selectorELNS0_4arch9wavefront6targetE0EEEvT1_.numbered_sgpr, 0
	.set _ZN7rocprim17ROCPRIM_400000_NS6detail17trampoline_kernelINS0_14default_configENS1_27scan_by_key_config_selectorIssEEZZNS1_16scan_by_key_implILNS1_25lookback_scan_determinismE0ELb1ES3_N6thrust23THRUST_200600_302600_NS6detail15normal_iteratorINS9_10device_ptrIsEEEESE_SE_sNS9_4plusIvEENS9_8equal_toIvEEsEE10hipError_tPvRmT2_T3_T4_T5_mT6_T7_P12ihipStream_tbENKUlT_T0_E_clISt17integral_constantIbLb0EESZ_EEDaSU_SV_EUlSU_E_NS1_11comp_targetILNS1_3genE8ELNS1_11target_archE1030ELNS1_3gpuE2ELNS1_3repE0EEENS1_30default_config_static_selectorELNS0_4arch9wavefront6targetE0EEEvT1_.num_named_barrier, 0
	.set _ZN7rocprim17ROCPRIM_400000_NS6detail17trampoline_kernelINS0_14default_configENS1_27scan_by_key_config_selectorIssEEZZNS1_16scan_by_key_implILNS1_25lookback_scan_determinismE0ELb1ES3_N6thrust23THRUST_200600_302600_NS6detail15normal_iteratorINS9_10device_ptrIsEEEESE_SE_sNS9_4plusIvEENS9_8equal_toIvEEsEE10hipError_tPvRmT2_T3_T4_T5_mT6_T7_P12ihipStream_tbENKUlT_T0_E_clISt17integral_constantIbLb0EESZ_EEDaSU_SV_EUlSU_E_NS1_11comp_targetILNS1_3genE8ELNS1_11target_archE1030ELNS1_3gpuE2ELNS1_3repE0EEENS1_30default_config_static_selectorELNS0_4arch9wavefront6targetE0EEEvT1_.private_seg_size, 0
	.set _ZN7rocprim17ROCPRIM_400000_NS6detail17trampoline_kernelINS0_14default_configENS1_27scan_by_key_config_selectorIssEEZZNS1_16scan_by_key_implILNS1_25lookback_scan_determinismE0ELb1ES3_N6thrust23THRUST_200600_302600_NS6detail15normal_iteratorINS9_10device_ptrIsEEEESE_SE_sNS9_4plusIvEENS9_8equal_toIvEEsEE10hipError_tPvRmT2_T3_T4_T5_mT6_T7_P12ihipStream_tbENKUlT_T0_E_clISt17integral_constantIbLb0EESZ_EEDaSU_SV_EUlSU_E_NS1_11comp_targetILNS1_3genE8ELNS1_11target_archE1030ELNS1_3gpuE2ELNS1_3repE0EEENS1_30default_config_static_selectorELNS0_4arch9wavefront6targetE0EEEvT1_.uses_vcc, 0
	.set _ZN7rocprim17ROCPRIM_400000_NS6detail17trampoline_kernelINS0_14default_configENS1_27scan_by_key_config_selectorIssEEZZNS1_16scan_by_key_implILNS1_25lookback_scan_determinismE0ELb1ES3_N6thrust23THRUST_200600_302600_NS6detail15normal_iteratorINS9_10device_ptrIsEEEESE_SE_sNS9_4plusIvEENS9_8equal_toIvEEsEE10hipError_tPvRmT2_T3_T4_T5_mT6_T7_P12ihipStream_tbENKUlT_T0_E_clISt17integral_constantIbLb0EESZ_EEDaSU_SV_EUlSU_E_NS1_11comp_targetILNS1_3genE8ELNS1_11target_archE1030ELNS1_3gpuE2ELNS1_3repE0EEENS1_30default_config_static_selectorELNS0_4arch9wavefront6targetE0EEEvT1_.uses_flat_scratch, 0
	.set _ZN7rocprim17ROCPRIM_400000_NS6detail17trampoline_kernelINS0_14default_configENS1_27scan_by_key_config_selectorIssEEZZNS1_16scan_by_key_implILNS1_25lookback_scan_determinismE0ELb1ES3_N6thrust23THRUST_200600_302600_NS6detail15normal_iteratorINS9_10device_ptrIsEEEESE_SE_sNS9_4plusIvEENS9_8equal_toIvEEsEE10hipError_tPvRmT2_T3_T4_T5_mT6_T7_P12ihipStream_tbENKUlT_T0_E_clISt17integral_constantIbLb0EESZ_EEDaSU_SV_EUlSU_E_NS1_11comp_targetILNS1_3genE8ELNS1_11target_archE1030ELNS1_3gpuE2ELNS1_3repE0EEENS1_30default_config_static_selectorELNS0_4arch9wavefront6targetE0EEEvT1_.has_dyn_sized_stack, 0
	.set _ZN7rocprim17ROCPRIM_400000_NS6detail17trampoline_kernelINS0_14default_configENS1_27scan_by_key_config_selectorIssEEZZNS1_16scan_by_key_implILNS1_25lookback_scan_determinismE0ELb1ES3_N6thrust23THRUST_200600_302600_NS6detail15normal_iteratorINS9_10device_ptrIsEEEESE_SE_sNS9_4plusIvEENS9_8equal_toIvEEsEE10hipError_tPvRmT2_T3_T4_T5_mT6_T7_P12ihipStream_tbENKUlT_T0_E_clISt17integral_constantIbLb0EESZ_EEDaSU_SV_EUlSU_E_NS1_11comp_targetILNS1_3genE8ELNS1_11target_archE1030ELNS1_3gpuE2ELNS1_3repE0EEENS1_30default_config_static_selectorELNS0_4arch9wavefront6targetE0EEEvT1_.has_recursion, 0
	.set _ZN7rocprim17ROCPRIM_400000_NS6detail17trampoline_kernelINS0_14default_configENS1_27scan_by_key_config_selectorIssEEZZNS1_16scan_by_key_implILNS1_25lookback_scan_determinismE0ELb1ES3_N6thrust23THRUST_200600_302600_NS6detail15normal_iteratorINS9_10device_ptrIsEEEESE_SE_sNS9_4plusIvEENS9_8equal_toIvEEsEE10hipError_tPvRmT2_T3_T4_T5_mT6_T7_P12ihipStream_tbENKUlT_T0_E_clISt17integral_constantIbLb0EESZ_EEDaSU_SV_EUlSU_E_NS1_11comp_targetILNS1_3genE8ELNS1_11target_archE1030ELNS1_3gpuE2ELNS1_3repE0EEENS1_30default_config_static_selectorELNS0_4arch9wavefront6targetE0EEEvT1_.has_indirect_call, 0
	.section	.AMDGPU.csdata,"",@progbits
; Kernel info:
; codeLenInByte = 0
; TotalNumSgprs: 0
; NumVgprs: 0
; ScratchSize: 0
; MemoryBound: 0
; FloatMode: 240
; IeeeMode: 1
; LDSByteSize: 0 bytes/workgroup (compile time only)
; SGPRBlocks: 0
; VGPRBlocks: 0
; NumSGPRsForWavesPerEU: 1
; NumVGPRsForWavesPerEU: 1
; NamedBarCnt: 0
; Occupancy: 16
; WaveLimiterHint : 0
; COMPUTE_PGM_RSRC2:SCRATCH_EN: 0
; COMPUTE_PGM_RSRC2:USER_SGPR: 2
; COMPUTE_PGM_RSRC2:TRAP_HANDLER: 0
; COMPUTE_PGM_RSRC2:TGID_X_EN: 1
; COMPUTE_PGM_RSRC2:TGID_Y_EN: 0
; COMPUTE_PGM_RSRC2:TGID_Z_EN: 0
; COMPUTE_PGM_RSRC2:TIDIG_COMP_CNT: 0
	.section	.text._ZN7rocprim17ROCPRIM_400000_NS6detail17trampoline_kernelINS0_14default_configENS1_27scan_by_key_config_selectorIssEEZZNS1_16scan_by_key_implILNS1_25lookback_scan_determinismE0ELb1ES3_N6thrust23THRUST_200600_302600_NS6detail15normal_iteratorINS9_10device_ptrIsEEEESE_SE_sNS9_4plusIvEENS9_8equal_toIvEEsEE10hipError_tPvRmT2_T3_T4_T5_mT6_T7_P12ihipStream_tbENKUlT_T0_E_clISt17integral_constantIbLb1EESZ_EEDaSU_SV_EUlSU_E_NS1_11comp_targetILNS1_3genE0ELNS1_11target_archE4294967295ELNS1_3gpuE0ELNS1_3repE0EEENS1_30default_config_static_selectorELNS0_4arch9wavefront6targetE0EEEvT1_,"axG",@progbits,_ZN7rocprim17ROCPRIM_400000_NS6detail17trampoline_kernelINS0_14default_configENS1_27scan_by_key_config_selectorIssEEZZNS1_16scan_by_key_implILNS1_25lookback_scan_determinismE0ELb1ES3_N6thrust23THRUST_200600_302600_NS6detail15normal_iteratorINS9_10device_ptrIsEEEESE_SE_sNS9_4plusIvEENS9_8equal_toIvEEsEE10hipError_tPvRmT2_T3_T4_T5_mT6_T7_P12ihipStream_tbENKUlT_T0_E_clISt17integral_constantIbLb1EESZ_EEDaSU_SV_EUlSU_E_NS1_11comp_targetILNS1_3genE0ELNS1_11target_archE4294967295ELNS1_3gpuE0ELNS1_3repE0EEENS1_30default_config_static_selectorELNS0_4arch9wavefront6targetE0EEEvT1_,comdat
	.protected	_ZN7rocprim17ROCPRIM_400000_NS6detail17trampoline_kernelINS0_14default_configENS1_27scan_by_key_config_selectorIssEEZZNS1_16scan_by_key_implILNS1_25lookback_scan_determinismE0ELb1ES3_N6thrust23THRUST_200600_302600_NS6detail15normal_iteratorINS9_10device_ptrIsEEEESE_SE_sNS9_4plusIvEENS9_8equal_toIvEEsEE10hipError_tPvRmT2_T3_T4_T5_mT6_T7_P12ihipStream_tbENKUlT_T0_E_clISt17integral_constantIbLb1EESZ_EEDaSU_SV_EUlSU_E_NS1_11comp_targetILNS1_3genE0ELNS1_11target_archE4294967295ELNS1_3gpuE0ELNS1_3repE0EEENS1_30default_config_static_selectorELNS0_4arch9wavefront6targetE0EEEvT1_ ; -- Begin function _ZN7rocprim17ROCPRIM_400000_NS6detail17trampoline_kernelINS0_14default_configENS1_27scan_by_key_config_selectorIssEEZZNS1_16scan_by_key_implILNS1_25lookback_scan_determinismE0ELb1ES3_N6thrust23THRUST_200600_302600_NS6detail15normal_iteratorINS9_10device_ptrIsEEEESE_SE_sNS9_4plusIvEENS9_8equal_toIvEEsEE10hipError_tPvRmT2_T3_T4_T5_mT6_T7_P12ihipStream_tbENKUlT_T0_E_clISt17integral_constantIbLb1EESZ_EEDaSU_SV_EUlSU_E_NS1_11comp_targetILNS1_3genE0ELNS1_11target_archE4294967295ELNS1_3gpuE0ELNS1_3repE0EEENS1_30default_config_static_selectorELNS0_4arch9wavefront6targetE0EEEvT1_
	.globl	_ZN7rocprim17ROCPRIM_400000_NS6detail17trampoline_kernelINS0_14default_configENS1_27scan_by_key_config_selectorIssEEZZNS1_16scan_by_key_implILNS1_25lookback_scan_determinismE0ELb1ES3_N6thrust23THRUST_200600_302600_NS6detail15normal_iteratorINS9_10device_ptrIsEEEESE_SE_sNS9_4plusIvEENS9_8equal_toIvEEsEE10hipError_tPvRmT2_T3_T4_T5_mT6_T7_P12ihipStream_tbENKUlT_T0_E_clISt17integral_constantIbLb1EESZ_EEDaSU_SV_EUlSU_E_NS1_11comp_targetILNS1_3genE0ELNS1_11target_archE4294967295ELNS1_3gpuE0ELNS1_3repE0EEENS1_30default_config_static_selectorELNS0_4arch9wavefront6targetE0EEEvT1_
	.p2align	8
	.type	_ZN7rocprim17ROCPRIM_400000_NS6detail17trampoline_kernelINS0_14default_configENS1_27scan_by_key_config_selectorIssEEZZNS1_16scan_by_key_implILNS1_25lookback_scan_determinismE0ELb1ES3_N6thrust23THRUST_200600_302600_NS6detail15normal_iteratorINS9_10device_ptrIsEEEESE_SE_sNS9_4plusIvEENS9_8equal_toIvEEsEE10hipError_tPvRmT2_T3_T4_T5_mT6_T7_P12ihipStream_tbENKUlT_T0_E_clISt17integral_constantIbLb1EESZ_EEDaSU_SV_EUlSU_E_NS1_11comp_targetILNS1_3genE0ELNS1_11target_archE4294967295ELNS1_3gpuE0ELNS1_3repE0EEENS1_30default_config_static_selectorELNS0_4arch9wavefront6targetE0EEEvT1_,@function
_ZN7rocprim17ROCPRIM_400000_NS6detail17trampoline_kernelINS0_14default_configENS1_27scan_by_key_config_selectorIssEEZZNS1_16scan_by_key_implILNS1_25lookback_scan_determinismE0ELb1ES3_N6thrust23THRUST_200600_302600_NS6detail15normal_iteratorINS9_10device_ptrIsEEEESE_SE_sNS9_4plusIvEENS9_8equal_toIvEEsEE10hipError_tPvRmT2_T3_T4_T5_mT6_T7_P12ihipStream_tbENKUlT_T0_E_clISt17integral_constantIbLb1EESZ_EEDaSU_SV_EUlSU_E_NS1_11comp_targetILNS1_3genE0ELNS1_11target_archE4294967295ELNS1_3gpuE0ELNS1_3repE0EEENS1_30default_config_static_selectorELNS0_4arch9wavefront6targetE0EEEvT1_: ; @_ZN7rocprim17ROCPRIM_400000_NS6detail17trampoline_kernelINS0_14default_configENS1_27scan_by_key_config_selectorIssEEZZNS1_16scan_by_key_implILNS1_25lookback_scan_determinismE0ELb1ES3_N6thrust23THRUST_200600_302600_NS6detail15normal_iteratorINS9_10device_ptrIsEEEESE_SE_sNS9_4plusIvEENS9_8equal_toIvEEsEE10hipError_tPvRmT2_T3_T4_T5_mT6_T7_P12ihipStream_tbENKUlT_T0_E_clISt17integral_constantIbLb1EESZ_EEDaSU_SV_EUlSU_E_NS1_11comp_targetILNS1_3genE0ELNS1_11target_archE4294967295ELNS1_3gpuE0ELNS1_3repE0EEENS1_30default_config_static_selectorELNS0_4arch9wavefront6targetE0EEEvT1_
; %bb.0:
	s_endpgm
	.section	.rodata,"a",@progbits
	.p2align	6, 0x0
	.amdhsa_kernel _ZN7rocprim17ROCPRIM_400000_NS6detail17trampoline_kernelINS0_14default_configENS1_27scan_by_key_config_selectorIssEEZZNS1_16scan_by_key_implILNS1_25lookback_scan_determinismE0ELb1ES3_N6thrust23THRUST_200600_302600_NS6detail15normal_iteratorINS9_10device_ptrIsEEEESE_SE_sNS9_4plusIvEENS9_8equal_toIvEEsEE10hipError_tPvRmT2_T3_T4_T5_mT6_T7_P12ihipStream_tbENKUlT_T0_E_clISt17integral_constantIbLb1EESZ_EEDaSU_SV_EUlSU_E_NS1_11comp_targetILNS1_3genE0ELNS1_11target_archE4294967295ELNS1_3gpuE0ELNS1_3repE0EEENS1_30default_config_static_selectorELNS0_4arch9wavefront6targetE0EEEvT1_
		.amdhsa_group_segment_fixed_size 0
		.amdhsa_private_segment_fixed_size 0
		.amdhsa_kernarg_size 112
		.amdhsa_user_sgpr_count 2
		.amdhsa_user_sgpr_dispatch_ptr 0
		.amdhsa_user_sgpr_queue_ptr 0
		.amdhsa_user_sgpr_kernarg_segment_ptr 1
		.amdhsa_user_sgpr_dispatch_id 0
		.amdhsa_user_sgpr_kernarg_preload_length 0
		.amdhsa_user_sgpr_kernarg_preload_offset 0
		.amdhsa_user_sgpr_private_segment_size 0
		.amdhsa_wavefront_size32 1
		.amdhsa_uses_dynamic_stack 0
		.amdhsa_enable_private_segment 0
		.amdhsa_system_sgpr_workgroup_id_x 1
		.amdhsa_system_sgpr_workgroup_id_y 0
		.amdhsa_system_sgpr_workgroup_id_z 0
		.amdhsa_system_sgpr_workgroup_info 0
		.amdhsa_system_vgpr_workitem_id 0
		.amdhsa_next_free_vgpr 1
		.amdhsa_next_free_sgpr 1
		.amdhsa_named_barrier_count 0
		.amdhsa_reserve_vcc 0
		.amdhsa_float_round_mode_32 0
		.amdhsa_float_round_mode_16_64 0
		.amdhsa_float_denorm_mode_32 3
		.amdhsa_float_denorm_mode_16_64 3
		.amdhsa_fp16_overflow 0
		.amdhsa_memory_ordered 1
		.amdhsa_forward_progress 1
		.amdhsa_inst_pref_size 1
		.amdhsa_round_robin_scheduling 0
		.amdhsa_exception_fp_ieee_invalid_op 0
		.amdhsa_exception_fp_denorm_src 0
		.amdhsa_exception_fp_ieee_div_zero 0
		.amdhsa_exception_fp_ieee_overflow 0
		.amdhsa_exception_fp_ieee_underflow 0
		.amdhsa_exception_fp_ieee_inexact 0
		.amdhsa_exception_int_div_zero 0
	.end_amdhsa_kernel
	.section	.text._ZN7rocprim17ROCPRIM_400000_NS6detail17trampoline_kernelINS0_14default_configENS1_27scan_by_key_config_selectorIssEEZZNS1_16scan_by_key_implILNS1_25lookback_scan_determinismE0ELb1ES3_N6thrust23THRUST_200600_302600_NS6detail15normal_iteratorINS9_10device_ptrIsEEEESE_SE_sNS9_4plusIvEENS9_8equal_toIvEEsEE10hipError_tPvRmT2_T3_T4_T5_mT6_T7_P12ihipStream_tbENKUlT_T0_E_clISt17integral_constantIbLb1EESZ_EEDaSU_SV_EUlSU_E_NS1_11comp_targetILNS1_3genE0ELNS1_11target_archE4294967295ELNS1_3gpuE0ELNS1_3repE0EEENS1_30default_config_static_selectorELNS0_4arch9wavefront6targetE0EEEvT1_,"axG",@progbits,_ZN7rocprim17ROCPRIM_400000_NS6detail17trampoline_kernelINS0_14default_configENS1_27scan_by_key_config_selectorIssEEZZNS1_16scan_by_key_implILNS1_25lookback_scan_determinismE0ELb1ES3_N6thrust23THRUST_200600_302600_NS6detail15normal_iteratorINS9_10device_ptrIsEEEESE_SE_sNS9_4plusIvEENS9_8equal_toIvEEsEE10hipError_tPvRmT2_T3_T4_T5_mT6_T7_P12ihipStream_tbENKUlT_T0_E_clISt17integral_constantIbLb1EESZ_EEDaSU_SV_EUlSU_E_NS1_11comp_targetILNS1_3genE0ELNS1_11target_archE4294967295ELNS1_3gpuE0ELNS1_3repE0EEENS1_30default_config_static_selectorELNS0_4arch9wavefront6targetE0EEEvT1_,comdat
.Lfunc_end578:
	.size	_ZN7rocprim17ROCPRIM_400000_NS6detail17trampoline_kernelINS0_14default_configENS1_27scan_by_key_config_selectorIssEEZZNS1_16scan_by_key_implILNS1_25lookback_scan_determinismE0ELb1ES3_N6thrust23THRUST_200600_302600_NS6detail15normal_iteratorINS9_10device_ptrIsEEEESE_SE_sNS9_4plusIvEENS9_8equal_toIvEEsEE10hipError_tPvRmT2_T3_T4_T5_mT6_T7_P12ihipStream_tbENKUlT_T0_E_clISt17integral_constantIbLb1EESZ_EEDaSU_SV_EUlSU_E_NS1_11comp_targetILNS1_3genE0ELNS1_11target_archE4294967295ELNS1_3gpuE0ELNS1_3repE0EEENS1_30default_config_static_selectorELNS0_4arch9wavefront6targetE0EEEvT1_, .Lfunc_end578-_ZN7rocprim17ROCPRIM_400000_NS6detail17trampoline_kernelINS0_14default_configENS1_27scan_by_key_config_selectorIssEEZZNS1_16scan_by_key_implILNS1_25lookback_scan_determinismE0ELb1ES3_N6thrust23THRUST_200600_302600_NS6detail15normal_iteratorINS9_10device_ptrIsEEEESE_SE_sNS9_4plusIvEENS9_8equal_toIvEEsEE10hipError_tPvRmT2_T3_T4_T5_mT6_T7_P12ihipStream_tbENKUlT_T0_E_clISt17integral_constantIbLb1EESZ_EEDaSU_SV_EUlSU_E_NS1_11comp_targetILNS1_3genE0ELNS1_11target_archE4294967295ELNS1_3gpuE0ELNS1_3repE0EEENS1_30default_config_static_selectorELNS0_4arch9wavefront6targetE0EEEvT1_
                                        ; -- End function
	.set _ZN7rocprim17ROCPRIM_400000_NS6detail17trampoline_kernelINS0_14default_configENS1_27scan_by_key_config_selectorIssEEZZNS1_16scan_by_key_implILNS1_25lookback_scan_determinismE0ELb1ES3_N6thrust23THRUST_200600_302600_NS6detail15normal_iteratorINS9_10device_ptrIsEEEESE_SE_sNS9_4plusIvEENS9_8equal_toIvEEsEE10hipError_tPvRmT2_T3_T4_T5_mT6_T7_P12ihipStream_tbENKUlT_T0_E_clISt17integral_constantIbLb1EESZ_EEDaSU_SV_EUlSU_E_NS1_11comp_targetILNS1_3genE0ELNS1_11target_archE4294967295ELNS1_3gpuE0ELNS1_3repE0EEENS1_30default_config_static_selectorELNS0_4arch9wavefront6targetE0EEEvT1_.num_vgpr, 0
	.set _ZN7rocprim17ROCPRIM_400000_NS6detail17trampoline_kernelINS0_14default_configENS1_27scan_by_key_config_selectorIssEEZZNS1_16scan_by_key_implILNS1_25lookback_scan_determinismE0ELb1ES3_N6thrust23THRUST_200600_302600_NS6detail15normal_iteratorINS9_10device_ptrIsEEEESE_SE_sNS9_4plusIvEENS9_8equal_toIvEEsEE10hipError_tPvRmT2_T3_T4_T5_mT6_T7_P12ihipStream_tbENKUlT_T0_E_clISt17integral_constantIbLb1EESZ_EEDaSU_SV_EUlSU_E_NS1_11comp_targetILNS1_3genE0ELNS1_11target_archE4294967295ELNS1_3gpuE0ELNS1_3repE0EEENS1_30default_config_static_selectorELNS0_4arch9wavefront6targetE0EEEvT1_.num_agpr, 0
	.set _ZN7rocprim17ROCPRIM_400000_NS6detail17trampoline_kernelINS0_14default_configENS1_27scan_by_key_config_selectorIssEEZZNS1_16scan_by_key_implILNS1_25lookback_scan_determinismE0ELb1ES3_N6thrust23THRUST_200600_302600_NS6detail15normal_iteratorINS9_10device_ptrIsEEEESE_SE_sNS9_4plusIvEENS9_8equal_toIvEEsEE10hipError_tPvRmT2_T3_T4_T5_mT6_T7_P12ihipStream_tbENKUlT_T0_E_clISt17integral_constantIbLb1EESZ_EEDaSU_SV_EUlSU_E_NS1_11comp_targetILNS1_3genE0ELNS1_11target_archE4294967295ELNS1_3gpuE0ELNS1_3repE0EEENS1_30default_config_static_selectorELNS0_4arch9wavefront6targetE0EEEvT1_.numbered_sgpr, 0
	.set _ZN7rocprim17ROCPRIM_400000_NS6detail17trampoline_kernelINS0_14default_configENS1_27scan_by_key_config_selectorIssEEZZNS1_16scan_by_key_implILNS1_25lookback_scan_determinismE0ELb1ES3_N6thrust23THRUST_200600_302600_NS6detail15normal_iteratorINS9_10device_ptrIsEEEESE_SE_sNS9_4plusIvEENS9_8equal_toIvEEsEE10hipError_tPvRmT2_T3_T4_T5_mT6_T7_P12ihipStream_tbENKUlT_T0_E_clISt17integral_constantIbLb1EESZ_EEDaSU_SV_EUlSU_E_NS1_11comp_targetILNS1_3genE0ELNS1_11target_archE4294967295ELNS1_3gpuE0ELNS1_3repE0EEENS1_30default_config_static_selectorELNS0_4arch9wavefront6targetE0EEEvT1_.num_named_barrier, 0
	.set _ZN7rocprim17ROCPRIM_400000_NS6detail17trampoline_kernelINS0_14default_configENS1_27scan_by_key_config_selectorIssEEZZNS1_16scan_by_key_implILNS1_25lookback_scan_determinismE0ELb1ES3_N6thrust23THRUST_200600_302600_NS6detail15normal_iteratorINS9_10device_ptrIsEEEESE_SE_sNS9_4plusIvEENS9_8equal_toIvEEsEE10hipError_tPvRmT2_T3_T4_T5_mT6_T7_P12ihipStream_tbENKUlT_T0_E_clISt17integral_constantIbLb1EESZ_EEDaSU_SV_EUlSU_E_NS1_11comp_targetILNS1_3genE0ELNS1_11target_archE4294967295ELNS1_3gpuE0ELNS1_3repE0EEENS1_30default_config_static_selectorELNS0_4arch9wavefront6targetE0EEEvT1_.private_seg_size, 0
	.set _ZN7rocprim17ROCPRIM_400000_NS6detail17trampoline_kernelINS0_14default_configENS1_27scan_by_key_config_selectorIssEEZZNS1_16scan_by_key_implILNS1_25lookback_scan_determinismE0ELb1ES3_N6thrust23THRUST_200600_302600_NS6detail15normal_iteratorINS9_10device_ptrIsEEEESE_SE_sNS9_4plusIvEENS9_8equal_toIvEEsEE10hipError_tPvRmT2_T3_T4_T5_mT6_T7_P12ihipStream_tbENKUlT_T0_E_clISt17integral_constantIbLb1EESZ_EEDaSU_SV_EUlSU_E_NS1_11comp_targetILNS1_3genE0ELNS1_11target_archE4294967295ELNS1_3gpuE0ELNS1_3repE0EEENS1_30default_config_static_selectorELNS0_4arch9wavefront6targetE0EEEvT1_.uses_vcc, 0
	.set _ZN7rocprim17ROCPRIM_400000_NS6detail17trampoline_kernelINS0_14default_configENS1_27scan_by_key_config_selectorIssEEZZNS1_16scan_by_key_implILNS1_25lookback_scan_determinismE0ELb1ES3_N6thrust23THRUST_200600_302600_NS6detail15normal_iteratorINS9_10device_ptrIsEEEESE_SE_sNS9_4plusIvEENS9_8equal_toIvEEsEE10hipError_tPvRmT2_T3_T4_T5_mT6_T7_P12ihipStream_tbENKUlT_T0_E_clISt17integral_constantIbLb1EESZ_EEDaSU_SV_EUlSU_E_NS1_11comp_targetILNS1_3genE0ELNS1_11target_archE4294967295ELNS1_3gpuE0ELNS1_3repE0EEENS1_30default_config_static_selectorELNS0_4arch9wavefront6targetE0EEEvT1_.uses_flat_scratch, 0
	.set _ZN7rocprim17ROCPRIM_400000_NS6detail17trampoline_kernelINS0_14default_configENS1_27scan_by_key_config_selectorIssEEZZNS1_16scan_by_key_implILNS1_25lookback_scan_determinismE0ELb1ES3_N6thrust23THRUST_200600_302600_NS6detail15normal_iteratorINS9_10device_ptrIsEEEESE_SE_sNS9_4plusIvEENS9_8equal_toIvEEsEE10hipError_tPvRmT2_T3_T4_T5_mT6_T7_P12ihipStream_tbENKUlT_T0_E_clISt17integral_constantIbLb1EESZ_EEDaSU_SV_EUlSU_E_NS1_11comp_targetILNS1_3genE0ELNS1_11target_archE4294967295ELNS1_3gpuE0ELNS1_3repE0EEENS1_30default_config_static_selectorELNS0_4arch9wavefront6targetE0EEEvT1_.has_dyn_sized_stack, 0
	.set _ZN7rocprim17ROCPRIM_400000_NS6detail17trampoline_kernelINS0_14default_configENS1_27scan_by_key_config_selectorIssEEZZNS1_16scan_by_key_implILNS1_25lookback_scan_determinismE0ELb1ES3_N6thrust23THRUST_200600_302600_NS6detail15normal_iteratorINS9_10device_ptrIsEEEESE_SE_sNS9_4plusIvEENS9_8equal_toIvEEsEE10hipError_tPvRmT2_T3_T4_T5_mT6_T7_P12ihipStream_tbENKUlT_T0_E_clISt17integral_constantIbLb1EESZ_EEDaSU_SV_EUlSU_E_NS1_11comp_targetILNS1_3genE0ELNS1_11target_archE4294967295ELNS1_3gpuE0ELNS1_3repE0EEENS1_30default_config_static_selectorELNS0_4arch9wavefront6targetE0EEEvT1_.has_recursion, 0
	.set _ZN7rocprim17ROCPRIM_400000_NS6detail17trampoline_kernelINS0_14default_configENS1_27scan_by_key_config_selectorIssEEZZNS1_16scan_by_key_implILNS1_25lookback_scan_determinismE0ELb1ES3_N6thrust23THRUST_200600_302600_NS6detail15normal_iteratorINS9_10device_ptrIsEEEESE_SE_sNS9_4plusIvEENS9_8equal_toIvEEsEE10hipError_tPvRmT2_T3_T4_T5_mT6_T7_P12ihipStream_tbENKUlT_T0_E_clISt17integral_constantIbLb1EESZ_EEDaSU_SV_EUlSU_E_NS1_11comp_targetILNS1_3genE0ELNS1_11target_archE4294967295ELNS1_3gpuE0ELNS1_3repE0EEENS1_30default_config_static_selectorELNS0_4arch9wavefront6targetE0EEEvT1_.has_indirect_call, 0
	.section	.AMDGPU.csdata,"",@progbits
; Kernel info:
; codeLenInByte = 4
; TotalNumSgprs: 0
; NumVgprs: 0
; ScratchSize: 0
; MemoryBound: 0
; FloatMode: 240
; IeeeMode: 1
; LDSByteSize: 0 bytes/workgroup (compile time only)
; SGPRBlocks: 0
; VGPRBlocks: 0
; NumSGPRsForWavesPerEU: 1
; NumVGPRsForWavesPerEU: 1
; NamedBarCnt: 0
; Occupancy: 16
; WaveLimiterHint : 0
; COMPUTE_PGM_RSRC2:SCRATCH_EN: 0
; COMPUTE_PGM_RSRC2:USER_SGPR: 2
; COMPUTE_PGM_RSRC2:TRAP_HANDLER: 0
; COMPUTE_PGM_RSRC2:TGID_X_EN: 1
; COMPUTE_PGM_RSRC2:TGID_Y_EN: 0
; COMPUTE_PGM_RSRC2:TGID_Z_EN: 0
; COMPUTE_PGM_RSRC2:TIDIG_COMP_CNT: 0
	.section	.text._ZN7rocprim17ROCPRIM_400000_NS6detail17trampoline_kernelINS0_14default_configENS1_27scan_by_key_config_selectorIssEEZZNS1_16scan_by_key_implILNS1_25lookback_scan_determinismE0ELb1ES3_N6thrust23THRUST_200600_302600_NS6detail15normal_iteratorINS9_10device_ptrIsEEEESE_SE_sNS9_4plusIvEENS9_8equal_toIvEEsEE10hipError_tPvRmT2_T3_T4_T5_mT6_T7_P12ihipStream_tbENKUlT_T0_E_clISt17integral_constantIbLb1EESZ_EEDaSU_SV_EUlSU_E_NS1_11comp_targetILNS1_3genE10ELNS1_11target_archE1201ELNS1_3gpuE5ELNS1_3repE0EEENS1_30default_config_static_selectorELNS0_4arch9wavefront6targetE0EEEvT1_,"axG",@progbits,_ZN7rocprim17ROCPRIM_400000_NS6detail17trampoline_kernelINS0_14default_configENS1_27scan_by_key_config_selectorIssEEZZNS1_16scan_by_key_implILNS1_25lookback_scan_determinismE0ELb1ES3_N6thrust23THRUST_200600_302600_NS6detail15normal_iteratorINS9_10device_ptrIsEEEESE_SE_sNS9_4plusIvEENS9_8equal_toIvEEsEE10hipError_tPvRmT2_T3_T4_T5_mT6_T7_P12ihipStream_tbENKUlT_T0_E_clISt17integral_constantIbLb1EESZ_EEDaSU_SV_EUlSU_E_NS1_11comp_targetILNS1_3genE10ELNS1_11target_archE1201ELNS1_3gpuE5ELNS1_3repE0EEENS1_30default_config_static_selectorELNS0_4arch9wavefront6targetE0EEEvT1_,comdat
	.protected	_ZN7rocprim17ROCPRIM_400000_NS6detail17trampoline_kernelINS0_14default_configENS1_27scan_by_key_config_selectorIssEEZZNS1_16scan_by_key_implILNS1_25lookback_scan_determinismE0ELb1ES3_N6thrust23THRUST_200600_302600_NS6detail15normal_iteratorINS9_10device_ptrIsEEEESE_SE_sNS9_4plusIvEENS9_8equal_toIvEEsEE10hipError_tPvRmT2_T3_T4_T5_mT6_T7_P12ihipStream_tbENKUlT_T0_E_clISt17integral_constantIbLb1EESZ_EEDaSU_SV_EUlSU_E_NS1_11comp_targetILNS1_3genE10ELNS1_11target_archE1201ELNS1_3gpuE5ELNS1_3repE0EEENS1_30default_config_static_selectorELNS0_4arch9wavefront6targetE0EEEvT1_ ; -- Begin function _ZN7rocprim17ROCPRIM_400000_NS6detail17trampoline_kernelINS0_14default_configENS1_27scan_by_key_config_selectorIssEEZZNS1_16scan_by_key_implILNS1_25lookback_scan_determinismE0ELb1ES3_N6thrust23THRUST_200600_302600_NS6detail15normal_iteratorINS9_10device_ptrIsEEEESE_SE_sNS9_4plusIvEENS9_8equal_toIvEEsEE10hipError_tPvRmT2_T3_T4_T5_mT6_T7_P12ihipStream_tbENKUlT_T0_E_clISt17integral_constantIbLb1EESZ_EEDaSU_SV_EUlSU_E_NS1_11comp_targetILNS1_3genE10ELNS1_11target_archE1201ELNS1_3gpuE5ELNS1_3repE0EEENS1_30default_config_static_selectorELNS0_4arch9wavefront6targetE0EEEvT1_
	.globl	_ZN7rocprim17ROCPRIM_400000_NS6detail17trampoline_kernelINS0_14default_configENS1_27scan_by_key_config_selectorIssEEZZNS1_16scan_by_key_implILNS1_25lookback_scan_determinismE0ELb1ES3_N6thrust23THRUST_200600_302600_NS6detail15normal_iteratorINS9_10device_ptrIsEEEESE_SE_sNS9_4plusIvEENS9_8equal_toIvEEsEE10hipError_tPvRmT2_T3_T4_T5_mT6_T7_P12ihipStream_tbENKUlT_T0_E_clISt17integral_constantIbLb1EESZ_EEDaSU_SV_EUlSU_E_NS1_11comp_targetILNS1_3genE10ELNS1_11target_archE1201ELNS1_3gpuE5ELNS1_3repE0EEENS1_30default_config_static_selectorELNS0_4arch9wavefront6targetE0EEEvT1_
	.p2align	8
	.type	_ZN7rocprim17ROCPRIM_400000_NS6detail17trampoline_kernelINS0_14default_configENS1_27scan_by_key_config_selectorIssEEZZNS1_16scan_by_key_implILNS1_25lookback_scan_determinismE0ELb1ES3_N6thrust23THRUST_200600_302600_NS6detail15normal_iteratorINS9_10device_ptrIsEEEESE_SE_sNS9_4plusIvEENS9_8equal_toIvEEsEE10hipError_tPvRmT2_T3_T4_T5_mT6_T7_P12ihipStream_tbENKUlT_T0_E_clISt17integral_constantIbLb1EESZ_EEDaSU_SV_EUlSU_E_NS1_11comp_targetILNS1_3genE10ELNS1_11target_archE1201ELNS1_3gpuE5ELNS1_3repE0EEENS1_30default_config_static_selectorELNS0_4arch9wavefront6targetE0EEEvT1_,@function
_ZN7rocprim17ROCPRIM_400000_NS6detail17trampoline_kernelINS0_14default_configENS1_27scan_by_key_config_selectorIssEEZZNS1_16scan_by_key_implILNS1_25lookback_scan_determinismE0ELb1ES3_N6thrust23THRUST_200600_302600_NS6detail15normal_iteratorINS9_10device_ptrIsEEEESE_SE_sNS9_4plusIvEENS9_8equal_toIvEEsEE10hipError_tPvRmT2_T3_T4_T5_mT6_T7_P12ihipStream_tbENKUlT_T0_E_clISt17integral_constantIbLb1EESZ_EEDaSU_SV_EUlSU_E_NS1_11comp_targetILNS1_3genE10ELNS1_11target_archE1201ELNS1_3gpuE5ELNS1_3repE0EEENS1_30default_config_static_selectorELNS0_4arch9wavefront6targetE0EEEvT1_: ; @_ZN7rocprim17ROCPRIM_400000_NS6detail17trampoline_kernelINS0_14default_configENS1_27scan_by_key_config_selectorIssEEZZNS1_16scan_by_key_implILNS1_25lookback_scan_determinismE0ELb1ES3_N6thrust23THRUST_200600_302600_NS6detail15normal_iteratorINS9_10device_ptrIsEEEESE_SE_sNS9_4plusIvEENS9_8equal_toIvEEsEE10hipError_tPvRmT2_T3_T4_T5_mT6_T7_P12ihipStream_tbENKUlT_T0_E_clISt17integral_constantIbLb1EESZ_EEDaSU_SV_EUlSU_E_NS1_11comp_targetILNS1_3genE10ELNS1_11target_archE1201ELNS1_3gpuE5ELNS1_3repE0EEENS1_30default_config_static_selectorELNS0_4arch9wavefront6targetE0EEEvT1_
; %bb.0:
	.section	.rodata,"a",@progbits
	.p2align	6, 0x0
	.amdhsa_kernel _ZN7rocprim17ROCPRIM_400000_NS6detail17trampoline_kernelINS0_14default_configENS1_27scan_by_key_config_selectorIssEEZZNS1_16scan_by_key_implILNS1_25lookback_scan_determinismE0ELb1ES3_N6thrust23THRUST_200600_302600_NS6detail15normal_iteratorINS9_10device_ptrIsEEEESE_SE_sNS9_4plusIvEENS9_8equal_toIvEEsEE10hipError_tPvRmT2_T3_T4_T5_mT6_T7_P12ihipStream_tbENKUlT_T0_E_clISt17integral_constantIbLb1EESZ_EEDaSU_SV_EUlSU_E_NS1_11comp_targetILNS1_3genE10ELNS1_11target_archE1201ELNS1_3gpuE5ELNS1_3repE0EEENS1_30default_config_static_selectorELNS0_4arch9wavefront6targetE0EEEvT1_
		.amdhsa_group_segment_fixed_size 0
		.amdhsa_private_segment_fixed_size 0
		.amdhsa_kernarg_size 112
		.amdhsa_user_sgpr_count 2
		.amdhsa_user_sgpr_dispatch_ptr 0
		.amdhsa_user_sgpr_queue_ptr 0
		.amdhsa_user_sgpr_kernarg_segment_ptr 1
		.amdhsa_user_sgpr_dispatch_id 0
		.amdhsa_user_sgpr_kernarg_preload_length 0
		.amdhsa_user_sgpr_kernarg_preload_offset 0
		.amdhsa_user_sgpr_private_segment_size 0
		.amdhsa_wavefront_size32 1
		.amdhsa_uses_dynamic_stack 0
		.amdhsa_enable_private_segment 0
		.amdhsa_system_sgpr_workgroup_id_x 1
		.amdhsa_system_sgpr_workgroup_id_y 0
		.amdhsa_system_sgpr_workgroup_id_z 0
		.amdhsa_system_sgpr_workgroup_info 0
		.amdhsa_system_vgpr_workitem_id 0
		.amdhsa_next_free_vgpr 1
		.amdhsa_next_free_sgpr 1
		.amdhsa_named_barrier_count 0
		.amdhsa_reserve_vcc 0
		.amdhsa_float_round_mode_32 0
		.amdhsa_float_round_mode_16_64 0
		.amdhsa_float_denorm_mode_32 3
		.amdhsa_float_denorm_mode_16_64 3
		.amdhsa_fp16_overflow 0
		.amdhsa_memory_ordered 1
		.amdhsa_forward_progress 1
		.amdhsa_inst_pref_size 0
		.amdhsa_round_robin_scheduling 0
		.amdhsa_exception_fp_ieee_invalid_op 0
		.amdhsa_exception_fp_denorm_src 0
		.amdhsa_exception_fp_ieee_div_zero 0
		.amdhsa_exception_fp_ieee_overflow 0
		.amdhsa_exception_fp_ieee_underflow 0
		.amdhsa_exception_fp_ieee_inexact 0
		.amdhsa_exception_int_div_zero 0
	.end_amdhsa_kernel
	.section	.text._ZN7rocprim17ROCPRIM_400000_NS6detail17trampoline_kernelINS0_14default_configENS1_27scan_by_key_config_selectorIssEEZZNS1_16scan_by_key_implILNS1_25lookback_scan_determinismE0ELb1ES3_N6thrust23THRUST_200600_302600_NS6detail15normal_iteratorINS9_10device_ptrIsEEEESE_SE_sNS9_4plusIvEENS9_8equal_toIvEEsEE10hipError_tPvRmT2_T3_T4_T5_mT6_T7_P12ihipStream_tbENKUlT_T0_E_clISt17integral_constantIbLb1EESZ_EEDaSU_SV_EUlSU_E_NS1_11comp_targetILNS1_3genE10ELNS1_11target_archE1201ELNS1_3gpuE5ELNS1_3repE0EEENS1_30default_config_static_selectorELNS0_4arch9wavefront6targetE0EEEvT1_,"axG",@progbits,_ZN7rocprim17ROCPRIM_400000_NS6detail17trampoline_kernelINS0_14default_configENS1_27scan_by_key_config_selectorIssEEZZNS1_16scan_by_key_implILNS1_25lookback_scan_determinismE0ELb1ES3_N6thrust23THRUST_200600_302600_NS6detail15normal_iteratorINS9_10device_ptrIsEEEESE_SE_sNS9_4plusIvEENS9_8equal_toIvEEsEE10hipError_tPvRmT2_T3_T4_T5_mT6_T7_P12ihipStream_tbENKUlT_T0_E_clISt17integral_constantIbLb1EESZ_EEDaSU_SV_EUlSU_E_NS1_11comp_targetILNS1_3genE10ELNS1_11target_archE1201ELNS1_3gpuE5ELNS1_3repE0EEENS1_30default_config_static_selectorELNS0_4arch9wavefront6targetE0EEEvT1_,comdat
.Lfunc_end579:
	.size	_ZN7rocprim17ROCPRIM_400000_NS6detail17trampoline_kernelINS0_14default_configENS1_27scan_by_key_config_selectorIssEEZZNS1_16scan_by_key_implILNS1_25lookback_scan_determinismE0ELb1ES3_N6thrust23THRUST_200600_302600_NS6detail15normal_iteratorINS9_10device_ptrIsEEEESE_SE_sNS9_4plusIvEENS9_8equal_toIvEEsEE10hipError_tPvRmT2_T3_T4_T5_mT6_T7_P12ihipStream_tbENKUlT_T0_E_clISt17integral_constantIbLb1EESZ_EEDaSU_SV_EUlSU_E_NS1_11comp_targetILNS1_3genE10ELNS1_11target_archE1201ELNS1_3gpuE5ELNS1_3repE0EEENS1_30default_config_static_selectorELNS0_4arch9wavefront6targetE0EEEvT1_, .Lfunc_end579-_ZN7rocprim17ROCPRIM_400000_NS6detail17trampoline_kernelINS0_14default_configENS1_27scan_by_key_config_selectorIssEEZZNS1_16scan_by_key_implILNS1_25lookback_scan_determinismE0ELb1ES3_N6thrust23THRUST_200600_302600_NS6detail15normal_iteratorINS9_10device_ptrIsEEEESE_SE_sNS9_4plusIvEENS9_8equal_toIvEEsEE10hipError_tPvRmT2_T3_T4_T5_mT6_T7_P12ihipStream_tbENKUlT_T0_E_clISt17integral_constantIbLb1EESZ_EEDaSU_SV_EUlSU_E_NS1_11comp_targetILNS1_3genE10ELNS1_11target_archE1201ELNS1_3gpuE5ELNS1_3repE0EEENS1_30default_config_static_selectorELNS0_4arch9wavefront6targetE0EEEvT1_
                                        ; -- End function
	.set _ZN7rocprim17ROCPRIM_400000_NS6detail17trampoline_kernelINS0_14default_configENS1_27scan_by_key_config_selectorIssEEZZNS1_16scan_by_key_implILNS1_25lookback_scan_determinismE0ELb1ES3_N6thrust23THRUST_200600_302600_NS6detail15normal_iteratorINS9_10device_ptrIsEEEESE_SE_sNS9_4plusIvEENS9_8equal_toIvEEsEE10hipError_tPvRmT2_T3_T4_T5_mT6_T7_P12ihipStream_tbENKUlT_T0_E_clISt17integral_constantIbLb1EESZ_EEDaSU_SV_EUlSU_E_NS1_11comp_targetILNS1_3genE10ELNS1_11target_archE1201ELNS1_3gpuE5ELNS1_3repE0EEENS1_30default_config_static_selectorELNS0_4arch9wavefront6targetE0EEEvT1_.num_vgpr, 0
	.set _ZN7rocprim17ROCPRIM_400000_NS6detail17trampoline_kernelINS0_14default_configENS1_27scan_by_key_config_selectorIssEEZZNS1_16scan_by_key_implILNS1_25lookback_scan_determinismE0ELb1ES3_N6thrust23THRUST_200600_302600_NS6detail15normal_iteratorINS9_10device_ptrIsEEEESE_SE_sNS9_4plusIvEENS9_8equal_toIvEEsEE10hipError_tPvRmT2_T3_T4_T5_mT6_T7_P12ihipStream_tbENKUlT_T0_E_clISt17integral_constantIbLb1EESZ_EEDaSU_SV_EUlSU_E_NS1_11comp_targetILNS1_3genE10ELNS1_11target_archE1201ELNS1_3gpuE5ELNS1_3repE0EEENS1_30default_config_static_selectorELNS0_4arch9wavefront6targetE0EEEvT1_.num_agpr, 0
	.set _ZN7rocprim17ROCPRIM_400000_NS6detail17trampoline_kernelINS0_14default_configENS1_27scan_by_key_config_selectorIssEEZZNS1_16scan_by_key_implILNS1_25lookback_scan_determinismE0ELb1ES3_N6thrust23THRUST_200600_302600_NS6detail15normal_iteratorINS9_10device_ptrIsEEEESE_SE_sNS9_4plusIvEENS9_8equal_toIvEEsEE10hipError_tPvRmT2_T3_T4_T5_mT6_T7_P12ihipStream_tbENKUlT_T0_E_clISt17integral_constantIbLb1EESZ_EEDaSU_SV_EUlSU_E_NS1_11comp_targetILNS1_3genE10ELNS1_11target_archE1201ELNS1_3gpuE5ELNS1_3repE0EEENS1_30default_config_static_selectorELNS0_4arch9wavefront6targetE0EEEvT1_.numbered_sgpr, 0
	.set _ZN7rocprim17ROCPRIM_400000_NS6detail17trampoline_kernelINS0_14default_configENS1_27scan_by_key_config_selectorIssEEZZNS1_16scan_by_key_implILNS1_25lookback_scan_determinismE0ELb1ES3_N6thrust23THRUST_200600_302600_NS6detail15normal_iteratorINS9_10device_ptrIsEEEESE_SE_sNS9_4plusIvEENS9_8equal_toIvEEsEE10hipError_tPvRmT2_T3_T4_T5_mT6_T7_P12ihipStream_tbENKUlT_T0_E_clISt17integral_constantIbLb1EESZ_EEDaSU_SV_EUlSU_E_NS1_11comp_targetILNS1_3genE10ELNS1_11target_archE1201ELNS1_3gpuE5ELNS1_3repE0EEENS1_30default_config_static_selectorELNS0_4arch9wavefront6targetE0EEEvT1_.num_named_barrier, 0
	.set _ZN7rocprim17ROCPRIM_400000_NS6detail17trampoline_kernelINS0_14default_configENS1_27scan_by_key_config_selectorIssEEZZNS1_16scan_by_key_implILNS1_25lookback_scan_determinismE0ELb1ES3_N6thrust23THRUST_200600_302600_NS6detail15normal_iteratorINS9_10device_ptrIsEEEESE_SE_sNS9_4plusIvEENS9_8equal_toIvEEsEE10hipError_tPvRmT2_T3_T4_T5_mT6_T7_P12ihipStream_tbENKUlT_T0_E_clISt17integral_constantIbLb1EESZ_EEDaSU_SV_EUlSU_E_NS1_11comp_targetILNS1_3genE10ELNS1_11target_archE1201ELNS1_3gpuE5ELNS1_3repE0EEENS1_30default_config_static_selectorELNS0_4arch9wavefront6targetE0EEEvT1_.private_seg_size, 0
	.set _ZN7rocprim17ROCPRIM_400000_NS6detail17trampoline_kernelINS0_14default_configENS1_27scan_by_key_config_selectorIssEEZZNS1_16scan_by_key_implILNS1_25lookback_scan_determinismE0ELb1ES3_N6thrust23THRUST_200600_302600_NS6detail15normal_iteratorINS9_10device_ptrIsEEEESE_SE_sNS9_4plusIvEENS9_8equal_toIvEEsEE10hipError_tPvRmT2_T3_T4_T5_mT6_T7_P12ihipStream_tbENKUlT_T0_E_clISt17integral_constantIbLb1EESZ_EEDaSU_SV_EUlSU_E_NS1_11comp_targetILNS1_3genE10ELNS1_11target_archE1201ELNS1_3gpuE5ELNS1_3repE0EEENS1_30default_config_static_selectorELNS0_4arch9wavefront6targetE0EEEvT1_.uses_vcc, 0
	.set _ZN7rocprim17ROCPRIM_400000_NS6detail17trampoline_kernelINS0_14default_configENS1_27scan_by_key_config_selectorIssEEZZNS1_16scan_by_key_implILNS1_25lookback_scan_determinismE0ELb1ES3_N6thrust23THRUST_200600_302600_NS6detail15normal_iteratorINS9_10device_ptrIsEEEESE_SE_sNS9_4plusIvEENS9_8equal_toIvEEsEE10hipError_tPvRmT2_T3_T4_T5_mT6_T7_P12ihipStream_tbENKUlT_T0_E_clISt17integral_constantIbLb1EESZ_EEDaSU_SV_EUlSU_E_NS1_11comp_targetILNS1_3genE10ELNS1_11target_archE1201ELNS1_3gpuE5ELNS1_3repE0EEENS1_30default_config_static_selectorELNS0_4arch9wavefront6targetE0EEEvT1_.uses_flat_scratch, 0
	.set _ZN7rocprim17ROCPRIM_400000_NS6detail17trampoline_kernelINS0_14default_configENS1_27scan_by_key_config_selectorIssEEZZNS1_16scan_by_key_implILNS1_25lookback_scan_determinismE0ELb1ES3_N6thrust23THRUST_200600_302600_NS6detail15normal_iteratorINS9_10device_ptrIsEEEESE_SE_sNS9_4plusIvEENS9_8equal_toIvEEsEE10hipError_tPvRmT2_T3_T4_T5_mT6_T7_P12ihipStream_tbENKUlT_T0_E_clISt17integral_constantIbLb1EESZ_EEDaSU_SV_EUlSU_E_NS1_11comp_targetILNS1_3genE10ELNS1_11target_archE1201ELNS1_3gpuE5ELNS1_3repE0EEENS1_30default_config_static_selectorELNS0_4arch9wavefront6targetE0EEEvT1_.has_dyn_sized_stack, 0
	.set _ZN7rocprim17ROCPRIM_400000_NS6detail17trampoline_kernelINS0_14default_configENS1_27scan_by_key_config_selectorIssEEZZNS1_16scan_by_key_implILNS1_25lookback_scan_determinismE0ELb1ES3_N6thrust23THRUST_200600_302600_NS6detail15normal_iteratorINS9_10device_ptrIsEEEESE_SE_sNS9_4plusIvEENS9_8equal_toIvEEsEE10hipError_tPvRmT2_T3_T4_T5_mT6_T7_P12ihipStream_tbENKUlT_T0_E_clISt17integral_constantIbLb1EESZ_EEDaSU_SV_EUlSU_E_NS1_11comp_targetILNS1_3genE10ELNS1_11target_archE1201ELNS1_3gpuE5ELNS1_3repE0EEENS1_30default_config_static_selectorELNS0_4arch9wavefront6targetE0EEEvT1_.has_recursion, 0
	.set _ZN7rocprim17ROCPRIM_400000_NS6detail17trampoline_kernelINS0_14default_configENS1_27scan_by_key_config_selectorIssEEZZNS1_16scan_by_key_implILNS1_25lookback_scan_determinismE0ELb1ES3_N6thrust23THRUST_200600_302600_NS6detail15normal_iteratorINS9_10device_ptrIsEEEESE_SE_sNS9_4plusIvEENS9_8equal_toIvEEsEE10hipError_tPvRmT2_T3_T4_T5_mT6_T7_P12ihipStream_tbENKUlT_T0_E_clISt17integral_constantIbLb1EESZ_EEDaSU_SV_EUlSU_E_NS1_11comp_targetILNS1_3genE10ELNS1_11target_archE1201ELNS1_3gpuE5ELNS1_3repE0EEENS1_30default_config_static_selectorELNS0_4arch9wavefront6targetE0EEEvT1_.has_indirect_call, 0
	.section	.AMDGPU.csdata,"",@progbits
; Kernel info:
; codeLenInByte = 0
; TotalNumSgprs: 0
; NumVgprs: 0
; ScratchSize: 0
; MemoryBound: 0
; FloatMode: 240
; IeeeMode: 1
; LDSByteSize: 0 bytes/workgroup (compile time only)
; SGPRBlocks: 0
; VGPRBlocks: 0
; NumSGPRsForWavesPerEU: 1
; NumVGPRsForWavesPerEU: 1
; NamedBarCnt: 0
; Occupancy: 16
; WaveLimiterHint : 0
; COMPUTE_PGM_RSRC2:SCRATCH_EN: 0
; COMPUTE_PGM_RSRC2:USER_SGPR: 2
; COMPUTE_PGM_RSRC2:TRAP_HANDLER: 0
; COMPUTE_PGM_RSRC2:TGID_X_EN: 1
; COMPUTE_PGM_RSRC2:TGID_Y_EN: 0
; COMPUTE_PGM_RSRC2:TGID_Z_EN: 0
; COMPUTE_PGM_RSRC2:TIDIG_COMP_CNT: 0
	.section	.text._ZN7rocprim17ROCPRIM_400000_NS6detail17trampoline_kernelINS0_14default_configENS1_27scan_by_key_config_selectorIssEEZZNS1_16scan_by_key_implILNS1_25lookback_scan_determinismE0ELb1ES3_N6thrust23THRUST_200600_302600_NS6detail15normal_iteratorINS9_10device_ptrIsEEEESE_SE_sNS9_4plusIvEENS9_8equal_toIvEEsEE10hipError_tPvRmT2_T3_T4_T5_mT6_T7_P12ihipStream_tbENKUlT_T0_E_clISt17integral_constantIbLb1EESZ_EEDaSU_SV_EUlSU_E_NS1_11comp_targetILNS1_3genE5ELNS1_11target_archE942ELNS1_3gpuE9ELNS1_3repE0EEENS1_30default_config_static_selectorELNS0_4arch9wavefront6targetE0EEEvT1_,"axG",@progbits,_ZN7rocprim17ROCPRIM_400000_NS6detail17trampoline_kernelINS0_14default_configENS1_27scan_by_key_config_selectorIssEEZZNS1_16scan_by_key_implILNS1_25lookback_scan_determinismE0ELb1ES3_N6thrust23THRUST_200600_302600_NS6detail15normal_iteratorINS9_10device_ptrIsEEEESE_SE_sNS9_4plusIvEENS9_8equal_toIvEEsEE10hipError_tPvRmT2_T3_T4_T5_mT6_T7_P12ihipStream_tbENKUlT_T0_E_clISt17integral_constantIbLb1EESZ_EEDaSU_SV_EUlSU_E_NS1_11comp_targetILNS1_3genE5ELNS1_11target_archE942ELNS1_3gpuE9ELNS1_3repE0EEENS1_30default_config_static_selectorELNS0_4arch9wavefront6targetE0EEEvT1_,comdat
	.protected	_ZN7rocprim17ROCPRIM_400000_NS6detail17trampoline_kernelINS0_14default_configENS1_27scan_by_key_config_selectorIssEEZZNS1_16scan_by_key_implILNS1_25lookback_scan_determinismE0ELb1ES3_N6thrust23THRUST_200600_302600_NS6detail15normal_iteratorINS9_10device_ptrIsEEEESE_SE_sNS9_4plusIvEENS9_8equal_toIvEEsEE10hipError_tPvRmT2_T3_T4_T5_mT6_T7_P12ihipStream_tbENKUlT_T0_E_clISt17integral_constantIbLb1EESZ_EEDaSU_SV_EUlSU_E_NS1_11comp_targetILNS1_3genE5ELNS1_11target_archE942ELNS1_3gpuE9ELNS1_3repE0EEENS1_30default_config_static_selectorELNS0_4arch9wavefront6targetE0EEEvT1_ ; -- Begin function _ZN7rocprim17ROCPRIM_400000_NS6detail17trampoline_kernelINS0_14default_configENS1_27scan_by_key_config_selectorIssEEZZNS1_16scan_by_key_implILNS1_25lookback_scan_determinismE0ELb1ES3_N6thrust23THRUST_200600_302600_NS6detail15normal_iteratorINS9_10device_ptrIsEEEESE_SE_sNS9_4plusIvEENS9_8equal_toIvEEsEE10hipError_tPvRmT2_T3_T4_T5_mT6_T7_P12ihipStream_tbENKUlT_T0_E_clISt17integral_constantIbLb1EESZ_EEDaSU_SV_EUlSU_E_NS1_11comp_targetILNS1_3genE5ELNS1_11target_archE942ELNS1_3gpuE9ELNS1_3repE0EEENS1_30default_config_static_selectorELNS0_4arch9wavefront6targetE0EEEvT1_
	.globl	_ZN7rocprim17ROCPRIM_400000_NS6detail17trampoline_kernelINS0_14default_configENS1_27scan_by_key_config_selectorIssEEZZNS1_16scan_by_key_implILNS1_25lookback_scan_determinismE0ELb1ES3_N6thrust23THRUST_200600_302600_NS6detail15normal_iteratorINS9_10device_ptrIsEEEESE_SE_sNS9_4plusIvEENS9_8equal_toIvEEsEE10hipError_tPvRmT2_T3_T4_T5_mT6_T7_P12ihipStream_tbENKUlT_T0_E_clISt17integral_constantIbLb1EESZ_EEDaSU_SV_EUlSU_E_NS1_11comp_targetILNS1_3genE5ELNS1_11target_archE942ELNS1_3gpuE9ELNS1_3repE0EEENS1_30default_config_static_selectorELNS0_4arch9wavefront6targetE0EEEvT1_
	.p2align	8
	.type	_ZN7rocprim17ROCPRIM_400000_NS6detail17trampoline_kernelINS0_14default_configENS1_27scan_by_key_config_selectorIssEEZZNS1_16scan_by_key_implILNS1_25lookback_scan_determinismE0ELb1ES3_N6thrust23THRUST_200600_302600_NS6detail15normal_iteratorINS9_10device_ptrIsEEEESE_SE_sNS9_4plusIvEENS9_8equal_toIvEEsEE10hipError_tPvRmT2_T3_T4_T5_mT6_T7_P12ihipStream_tbENKUlT_T0_E_clISt17integral_constantIbLb1EESZ_EEDaSU_SV_EUlSU_E_NS1_11comp_targetILNS1_3genE5ELNS1_11target_archE942ELNS1_3gpuE9ELNS1_3repE0EEENS1_30default_config_static_selectorELNS0_4arch9wavefront6targetE0EEEvT1_,@function
_ZN7rocprim17ROCPRIM_400000_NS6detail17trampoline_kernelINS0_14default_configENS1_27scan_by_key_config_selectorIssEEZZNS1_16scan_by_key_implILNS1_25lookback_scan_determinismE0ELb1ES3_N6thrust23THRUST_200600_302600_NS6detail15normal_iteratorINS9_10device_ptrIsEEEESE_SE_sNS9_4plusIvEENS9_8equal_toIvEEsEE10hipError_tPvRmT2_T3_T4_T5_mT6_T7_P12ihipStream_tbENKUlT_T0_E_clISt17integral_constantIbLb1EESZ_EEDaSU_SV_EUlSU_E_NS1_11comp_targetILNS1_3genE5ELNS1_11target_archE942ELNS1_3gpuE9ELNS1_3repE0EEENS1_30default_config_static_selectorELNS0_4arch9wavefront6targetE0EEEvT1_: ; @_ZN7rocprim17ROCPRIM_400000_NS6detail17trampoline_kernelINS0_14default_configENS1_27scan_by_key_config_selectorIssEEZZNS1_16scan_by_key_implILNS1_25lookback_scan_determinismE0ELb1ES3_N6thrust23THRUST_200600_302600_NS6detail15normal_iteratorINS9_10device_ptrIsEEEESE_SE_sNS9_4plusIvEENS9_8equal_toIvEEsEE10hipError_tPvRmT2_T3_T4_T5_mT6_T7_P12ihipStream_tbENKUlT_T0_E_clISt17integral_constantIbLb1EESZ_EEDaSU_SV_EUlSU_E_NS1_11comp_targetILNS1_3genE5ELNS1_11target_archE942ELNS1_3gpuE9ELNS1_3repE0EEENS1_30default_config_static_selectorELNS0_4arch9wavefront6targetE0EEEvT1_
; %bb.0:
	.section	.rodata,"a",@progbits
	.p2align	6, 0x0
	.amdhsa_kernel _ZN7rocprim17ROCPRIM_400000_NS6detail17trampoline_kernelINS0_14default_configENS1_27scan_by_key_config_selectorIssEEZZNS1_16scan_by_key_implILNS1_25lookback_scan_determinismE0ELb1ES3_N6thrust23THRUST_200600_302600_NS6detail15normal_iteratorINS9_10device_ptrIsEEEESE_SE_sNS9_4plusIvEENS9_8equal_toIvEEsEE10hipError_tPvRmT2_T3_T4_T5_mT6_T7_P12ihipStream_tbENKUlT_T0_E_clISt17integral_constantIbLb1EESZ_EEDaSU_SV_EUlSU_E_NS1_11comp_targetILNS1_3genE5ELNS1_11target_archE942ELNS1_3gpuE9ELNS1_3repE0EEENS1_30default_config_static_selectorELNS0_4arch9wavefront6targetE0EEEvT1_
		.amdhsa_group_segment_fixed_size 0
		.amdhsa_private_segment_fixed_size 0
		.amdhsa_kernarg_size 112
		.amdhsa_user_sgpr_count 2
		.amdhsa_user_sgpr_dispatch_ptr 0
		.amdhsa_user_sgpr_queue_ptr 0
		.amdhsa_user_sgpr_kernarg_segment_ptr 1
		.amdhsa_user_sgpr_dispatch_id 0
		.amdhsa_user_sgpr_kernarg_preload_length 0
		.amdhsa_user_sgpr_kernarg_preload_offset 0
		.amdhsa_user_sgpr_private_segment_size 0
		.amdhsa_wavefront_size32 1
		.amdhsa_uses_dynamic_stack 0
		.amdhsa_enable_private_segment 0
		.amdhsa_system_sgpr_workgroup_id_x 1
		.amdhsa_system_sgpr_workgroup_id_y 0
		.amdhsa_system_sgpr_workgroup_id_z 0
		.amdhsa_system_sgpr_workgroup_info 0
		.amdhsa_system_vgpr_workitem_id 0
		.amdhsa_next_free_vgpr 1
		.amdhsa_next_free_sgpr 1
		.amdhsa_named_barrier_count 0
		.amdhsa_reserve_vcc 0
		.amdhsa_float_round_mode_32 0
		.amdhsa_float_round_mode_16_64 0
		.amdhsa_float_denorm_mode_32 3
		.amdhsa_float_denorm_mode_16_64 3
		.amdhsa_fp16_overflow 0
		.amdhsa_memory_ordered 1
		.amdhsa_forward_progress 1
		.amdhsa_inst_pref_size 0
		.amdhsa_round_robin_scheduling 0
		.amdhsa_exception_fp_ieee_invalid_op 0
		.amdhsa_exception_fp_denorm_src 0
		.amdhsa_exception_fp_ieee_div_zero 0
		.amdhsa_exception_fp_ieee_overflow 0
		.amdhsa_exception_fp_ieee_underflow 0
		.amdhsa_exception_fp_ieee_inexact 0
		.amdhsa_exception_int_div_zero 0
	.end_amdhsa_kernel
	.section	.text._ZN7rocprim17ROCPRIM_400000_NS6detail17trampoline_kernelINS0_14default_configENS1_27scan_by_key_config_selectorIssEEZZNS1_16scan_by_key_implILNS1_25lookback_scan_determinismE0ELb1ES3_N6thrust23THRUST_200600_302600_NS6detail15normal_iteratorINS9_10device_ptrIsEEEESE_SE_sNS9_4plusIvEENS9_8equal_toIvEEsEE10hipError_tPvRmT2_T3_T4_T5_mT6_T7_P12ihipStream_tbENKUlT_T0_E_clISt17integral_constantIbLb1EESZ_EEDaSU_SV_EUlSU_E_NS1_11comp_targetILNS1_3genE5ELNS1_11target_archE942ELNS1_3gpuE9ELNS1_3repE0EEENS1_30default_config_static_selectorELNS0_4arch9wavefront6targetE0EEEvT1_,"axG",@progbits,_ZN7rocprim17ROCPRIM_400000_NS6detail17trampoline_kernelINS0_14default_configENS1_27scan_by_key_config_selectorIssEEZZNS1_16scan_by_key_implILNS1_25lookback_scan_determinismE0ELb1ES3_N6thrust23THRUST_200600_302600_NS6detail15normal_iteratorINS9_10device_ptrIsEEEESE_SE_sNS9_4plusIvEENS9_8equal_toIvEEsEE10hipError_tPvRmT2_T3_T4_T5_mT6_T7_P12ihipStream_tbENKUlT_T0_E_clISt17integral_constantIbLb1EESZ_EEDaSU_SV_EUlSU_E_NS1_11comp_targetILNS1_3genE5ELNS1_11target_archE942ELNS1_3gpuE9ELNS1_3repE0EEENS1_30default_config_static_selectorELNS0_4arch9wavefront6targetE0EEEvT1_,comdat
.Lfunc_end580:
	.size	_ZN7rocprim17ROCPRIM_400000_NS6detail17trampoline_kernelINS0_14default_configENS1_27scan_by_key_config_selectorIssEEZZNS1_16scan_by_key_implILNS1_25lookback_scan_determinismE0ELb1ES3_N6thrust23THRUST_200600_302600_NS6detail15normal_iteratorINS9_10device_ptrIsEEEESE_SE_sNS9_4plusIvEENS9_8equal_toIvEEsEE10hipError_tPvRmT2_T3_T4_T5_mT6_T7_P12ihipStream_tbENKUlT_T0_E_clISt17integral_constantIbLb1EESZ_EEDaSU_SV_EUlSU_E_NS1_11comp_targetILNS1_3genE5ELNS1_11target_archE942ELNS1_3gpuE9ELNS1_3repE0EEENS1_30default_config_static_selectorELNS0_4arch9wavefront6targetE0EEEvT1_, .Lfunc_end580-_ZN7rocprim17ROCPRIM_400000_NS6detail17trampoline_kernelINS0_14default_configENS1_27scan_by_key_config_selectorIssEEZZNS1_16scan_by_key_implILNS1_25lookback_scan_determinismE0ELb1ES3_N6thrust23THRUST_200600_302600_NS6detail15normal_iteratorINS9_10device_ptrIsEEEESE_SE_sNS9_4plusIvEENS9_8equal_toIvEEsEE10hipError_tPvRmT2_T3_T4_T5_mT6_T7_P12ihipStream_tbENKUlT_T0_E_clISt17integral_constantIbLb1EESZ_EEDaSU_SV_EUlSU_E_NS1_11comp_targetILNS1_3genE5ELNS1_11target_archE942ELNS1_3gpuE9ELNS1_3repE0EEENS1_30default_config_static_selectorELNS0_4arch9wavefront6targetE0EEEvT1_
                                        ; -- End function
	.set _ZN7rocprim17ROCPRIM_400000_NS6detail17trampoline_kernelINS0_14default_configENS1_27scan_by_key_config_selectorIssEEZZNS1_16scan_by_key_implILNS1_25lookback_scan_determinismE0ELb1ES3_N6thrust23THRUST_200600_302600_NS6detail15normal_iteratorINS9_10device_ptrIsEEEESE_SE_sNS9_4plusIvEENS9_8equal_toIvEEsEE10hipError_tPvRmT2_T3_T4_T5_mT6_T7_P12ihipStream_tbENKUlT_T0_E_clISt17integral_constantIbLb1EESZ_EEDaSU_SV_EUlSU_E_NS1_11comp_targetILNS1_3genE5ELNS1_11target_archE942ELNS1_3gpuE9ELNS1_3repE0EEENS1_30default_config_static_selectorELNS0_4arch9wavefront6targetE0EEEvT1_.num_vgpr, 0
	.set _ZN7rocprim17ROCPRIM_400000_NS6detail17trampoline_kernelINS0_14default_configENS1_27scan_by_key_config_selectorIssEEZZNS1_16scan_by_key_implILNS1_25lookback_scan_determinismE0ELb1ES3_N6thrust23THRUST_200600_302600_NS6detail15normal_iteratorINS9_10device_ptrIsEEEESE_SE_sNS9_4plusIvEENS9_8equal_toIvEEsEE10hipError_tPvRmT2_T3_T4_T5_mT6_T7_P12ihipStream_tbENKUlT_T0_E_clISt17integral_constantIbLb1EESZ_EEDaSU_SV_EUlSU_E_NS1_11comp_targetILNS1_3genE5ELNS1_11target_archE942ELNS1_3gpuE9ELNS1_3repE0EEENS1_30default_config_static_selectorELNS0_4arch9wavefront6targetE0EEEvT1_.num_agpr, 0
	.set _ZN7rocprim17ROCPRIM_400000_NS6detail17trampoline_kernelINS0_14default_configENS1_27scan_by_key_config_selectorIssEEZZNS1_16scan_by_key_implILNS1_25lookback_scan_determinismE0ELb1ES3_N6thrust23THRUST_200600_302600_NS6detail15normal_iteratorINS9_10device_ptrIsEEEESE_SE_sNS9_4plusIvEENS9_8equal_toIvEEsEE10hipError_tPvRmT2_T3_T4_T5_mT6_T7_P12ihipStream_tbENKUlT_T0_E_clISt17integral_constantIbLb1EESZ_EEDaSU_SV_EUlSU_E_NS1_11comp_targetILNS1_3genE5ELNS1_11target_archE942ELNS1_3gpuE9ELNS1_3repE0EEENS1_30default_config_static_selectorELNS0_4arch9wavefront6targetE0EEEvT1_.numbered_sgpr, 0
	.set _ZN7rocprim17ROCPRIM_400000_NS6detail17trampoline_kernelINS0_14default_configENS1_27scan_by_key_config_selectorIssEEZZNS1_16scan_by_key_implILNS1_25lookback_scan_determinismE0ELb1ES3_N6thrust23THRUST_200600_302600_NS6detail15normal_iteratorINS9_10device_ptrIsEEEESE_SE_sNS9_4plusIvEENS9_8equal_toIvEEsEE10hipError_tPvRmT2_T3_T4_T5_mT6_T7_P12ihipStream_tbENKUlT_T0_E_clISt17integral_constantIbLb1EESZ_EEDaSU_SV_EUlSU_E_NS1_11comp_targetILNS1_3genE5ELNS1_11target_archE942ELNS1_3gpuE9ELNS1_3repE0EEENS1_30default_config_static_selectorELNS0_4arch9wavefront6targetE0EEEvT1_.num_named_barrier, 0
	.set _ZN7rocprim17ROCPRIM_400000_NS6detail17trampoline_kernelINS0_14default_configENS1_27scan_by_key_config_selectorIssEEZZNS1_16scan_by_key_implILNS1_25lookback_scan_determinismE0ELb1ES3_N6thrust23THRUST_200600_302600_NS6detail15normal_iteratorINS9_10device_ptrIsEEEESE_SE_sNS9_4plusIvEENS9_8equal_toIvEEsEE10hipError_tPvRmT2_T3_T4_T5_mT6_T7_P12ihipStream_tbENKUlT_T0_E_clISt17integral_constantIbLb1EESZ_EEDaSU_SV_EUlSU_E_NS1_11comp_targetILNS1_3genE5ELNS1_11target_archE942ELNS1_3gpuE9ELNS1_3repE0EEENS1_30default_config_static_selectorELNS0_4arch9wavefront6targetE0EEEvT1_.private_seg_size, 0
	.set _ZN7rocprim17ROCPRIM_400000_NS6detail17trampoline_kernelINS0_14default_configENS1_27scan_by_key_config_selectorIssEEZZNS1_16scan_by_key_implILNS1_25lookback_scan_determinismE0ELb1ES3_N6thrust23THRUST_200600_302600_NS6detail15normal_iteratorINS9_10device_ptrIsEEEESE_SE_sNS9_4plusIvEENS9_8equal_toIvEEsEE10hipError_tPvRmT2_T3_T4_T5_mT6_T7_P12ihipStream_tbENKUlT_T0_E_clISt17integral_constantIbLb1EESZ_EEDaSU_SV_EUlSU_E_NS1_11comp_targetILNS1_3genE5ELNS1_11target_archE942ELNS1_3gpuE9ELNS1_3repE0EEENS1_30default_config_static_selectorELNS0_4arch9wavefront6targetE0EEEvT1_.uses_vcc, 0
	.set _ZN7rocprim17ROCPRIM_400000_NS6detail17trampoline_kernelINS0_14default_configENS1_27scan_by_key_config_selectorIssEEZZNS1_16scan_by_key_implILNS1_25lookback_scan_determinismE0ELb1ES3_N6thrust23THRUST_200600_302600_NS6detail15normal_iteratorINS9_10device_ptrIsEEEESE_SE_sNS9_4plusIvEENS9_8equal_toIvEEsEE10hipError_tPvRmT2_T3_T4_T5_mT6_T7_P12ihipStream_tbENKUlT_T0_E_clISt17integral_constantIbLb1EESZ_EEDaSU_SV_EUlSU_E_NS1_11comp_targetILNS1_3genE5ELNS1_11target_archE942ELNS1_3gpuE9ELNS1_3repE0EEENS1_30default_config_static_selectorELNS0_4arch9wavefront6targetE0EEEvT1_.uses_flat_scratch, 0
	.set _ZN7rocprim17ROCPRIM_400000_NS6detail17trampoline_kernelINS0_14default_configENS1_27scan_by_key_config_selectorIssEEZZNS1_16scan_by_key_implILNS1_25lookback_scan_determinismE0ELb1ES3_N6thrust23THRUST_200600_302600_NS6detail15normal_iteratorINS9_10device_ptrIsEEEESE_SE_sNS9_4plusIvEENS9_8equal_toIvEEsEE10hipError_tPvRmT2_T3_T4_T5_mT6_T7_P12ihipStream_tbENKUlT_T0_E_clISt17integral_constantIbLb1EESZ_EEDaSU_SV_EUlSU_E_NS1_11comp_targetILNS1_3genE5ELNS1_11target_archE942ELNS1_3gpuE9ELNS1_3repE0EEENS1_30default_config_static_selectorELNS0_4arch9wavefront6targetE0EEEvT1_.has_dyn_sized_stack, 0
	.set _ZN7rocprim17ROCPRIM_400000_NS6detail17trampoline_kernelINS0_14default_configENS1_27scan_by_key_config_selectorIssEEZZNS1_16scan_by_key_implILNS1_25lookback_scan_determinismE0ELb1ES3_N6thrust23THRUST_200600_302600_NS6detail15normal_iteratorINS9_10device_ptrIsEEEESE_SE_sNS9_4plusIvEENS9_8equal_toIvEEsEE10hipError_tPvRmT2_T3_T4_T5_mT6_T7_P12ihipStream_tbENKUlT_T0_E_clISt17integral_constantIbLb1EESZ_EEDaSU_SV_EUlSU_E_NS1_11comp_targetILNS1_3genE5ELNS1_11target_archE942ELNS1_3gpuE9ELNS1_3repE0EEENS1_30default_config_static_selectorELNS0_4arch9wavefront6targetE0EEEvT1_.has_recursion, 0
	.set _ZN7rocprim17ROCPRIM_400000_NS6detail17trampoline_kernelINS0_14default_configENS1_27scan_by_key_config_selectorIssEEZZNS1_16scan_by_key_implILNS1_25lookback_scan_determinismE0ELb1ES3_N6thrust23THRUST_200600_302600_NS6detail15normal_iteratorINS9_10device_ptrIsEEEESE_SE_sNS9_4plusIvEENS9_8equal_toIvEEsEE10hipError_tPvRmT2_T3_T4_T5_mT6_T7_P12ihipStream_tbENKUlT_T0_E_clISt17integral_constantIbLb1EESZ_EEDaSU_SV_EUlSU_E_NS1_11comp_targetILNS1_3genE5ELNS1_11target_archE942ELNS1_3gpuE9ELNS1_3repE0EEENS1_30default_config_static_selectorELNS0_4arch9wavefront6targetE0EEEvT1_.has_indirect_call, 0
	.section	.AMDGPU.csdata,"",@progbits
; Kernel info:
; codeLenInByte = 0
; TotalNumSgprs: 0
; NumVgprs: 0
; ScratchSize: 0
; MemoryBound: 0
; FloatMode: 240
; IeeeMode: 1
; LDSByteSize: 0 bytes/workgroup (compile time only)
; SGPRBlocks: 0
; VGPRBlocks: 0
; NumSGPRsForWavesPerEU: 1
; NumVGPRsForWavesPerEU: 1
; NamedBarCnt: 0
; Occupancy: 16
; WaveLimiterHint : 0
; COMPUTE_PGM_RSRC2:SCRATCH_EN: 0
; COMPUTE_PGM_RSRC2:USER_SGPR: 2
; COMPUTE_PGM_RSRC2:TRAP_HANDLER: 0
; COMPUTE_PGM_RSRC2:TGID_X_EN: 1
; COMPUTE_PGM_RSRC2:TGID_Y_EN: 0
; COMPUTE_PGM_RSRC2:TGID_Z_EN: 0
; COMPUTE_PGM_RSRC2:TIDIG_COMP_CNT: 0
	.section	.text._ZN7rocprim17ROCPRIM_400000_NS6detail17trampoline_kernelINS0_14default_configENS1_27scan_by_key_config_selectorIssEEZZNS1_16scan_by_key_implILNS1_25lookback_scan_determinismE0ELb1ES3_N6thrust23THRUST_200600_302600_NS6detail15normal_iteratorINS9_10device_ptrIsEEEESE_SE_sNS9_4plusIvEENS9_8equal_toIvEEsEE10hipError_tPvRmT2_T3_T4_T5_mT6_T7_P12ihipStream_tbENKUlT_T0_E_clISt17integral_constantIbLb1EESZ_EEDaSU_SV_EUlSU_E_NS1_11comp_targetILNS1_3genE4ELNS1_11target_archE910ELNS1_3gpuE8ELNS1_3repE0EEENS1_30default_config_static_selectorELNS0_4arch9wavefront6targetE0EEEvT1_,"axG",@progbits,_ZN7rocprim17ROCPRIM_400000_NS6detail17trampoline_kernelINS0_14default_configENS1_27scan_by_key_config_selectorIssEEZZNS1_16scan_by_key_implILNS1_25lookback_scan_determinismE0ELb1ES3_N6thrust23THRUST_200600_302600_NS6detail15normal_iteratorINS9_10device_ptrIsEEEESE_SE_sNS9_4plusIvEENS9_8equal_toIvEEsEE10hipError_tPvRmT2_T3_T4_T5_mT6_T7_P12ihipStream_tbENKUlT_T0_E_clISt17integral_constantIbLb1EESZ_EEDaSU_SV_EUlSU_E_NS1_11comp_targetILNS1_3genE4ELNS1_11target_archE910ELNS1_3gpuE8ELNS1_3repE0EEENS1_30default_config_static_selectorELNS0_4arch9wavefront6targetE0EEEvT1_,comdat
	.protected	_ZN7rocprim17ROCPRIM_400000_NS6detail17trampoline_kernelINS0_14default_configENS1_27scan_by_key_config_selectorIssEEZZNS1_16scan_by_key_implILNS1_25lookback_scan_determinismE0ELb1ES3_N6thrust23THRUST_200600_302600_NS6detail15normal_iteratorINS9_10device_ptrIsEEEESE_SE_sNS9_4plusIvEENS9_8equal_toIvEEsEE10hipError_tPvRmT2_T3_T4_T5_mT6_T7_P12ihipStream_tbENKUlT_T0_E_clISt17integral_constantIbLb1EESZ_EEDaSU_SV_EUlSU_E_NS1_11comp_targetILNS1_3genE4ELNS1_11target_archE910ELNS1_3gpuE8ELNS1_3repE0EEENS1_30default_config_static_selectorELNS0_4arch9wavefront6targetE0EEEvT1_ ; -- Begin function _ZN7rocprim17ROCPRIM_400000_NS6detail17trampoline_kernelINS0_14default_configENS1_27scan_by_key_config_selectorIssEEZZNS1_16scan_by_key_implILNS1_25lookback_scan_determinismE0ELb1ES3_N6thrust23THRUST_200600_302600_NS6detail15normal_iteratorINS9_10device_ptrIsEEEESE_SE_sNS9_4plusIvEENS9_8equal_toIvEEsEE10hipError_tPvRmT2_T3_T4_T5_mT6_T7_P12ihipStream_tbENKUlT_T0_E_clISt17integral_constantIbLb1EESZ_EEDaSU_SV_EUlSU_E_NS1_11comp_targetILNS1_3genE4ELNS1_11target_archE910ELNS1_3gpuE8ELNS1_3repE0EEENS1_30default_config_static_selectorELNS0_4arch9wavefront6targetE0EEEvT1_
	.globl	_ZN7rocprim17ROCPRIM_400000_NS6detail17trampoline_kernelINS0_14default_configENS1_27scan_by_key_config_selectorIssEEZZNS1_16scan_by_key_implILNS1_25lookback_scan_determinismE0ELb1ES3_N6thrust23THRUST_200600_302600_NS6detail15normal_iteratorINS9_10device_ptrIsEEEESE_SE_sNS9_4plusIvEENS9_8equal_toIvEEsEE10hipError_tPvRmT2_T3_T4_T5_mT6_T7_P12ihipStream_tbENKUlT_T0_E_clISt17integral_constantIbLb1EESZ_EEDaSU_SV_EUlSU_E_NS1_11comp_targetILNS1_3genE4ELNS1_11target_archE910ELNS1_3gpuE8ELNS1_3repE0EEENS1_30default_config_static_selectorELNS0_4arch9wavefront6targetE0EEEvT1_
	.p2align	8
	.type	_ZN7rocprim17ROCPRIM_400000_NS6detail17trampoline_kernelINS0_14default_configENS1_27scan_by_key_config_selectorIssEEZZNS1_16scan_by_key_implILNS1_25lookback_scan_determinismE0ELb1ES3_N6thrust23THRUST_200600_302600_NS6detail15normal_iteratorINS9_10device_ptrIsEEEESE_SE_sNS9_4plusIvEENS9_8equal_toIvEEsEE10hipError_tPvRmT2_T3_T4_T5_mT6_T7_P12ihipStream_tbENKUlT_T0_E_clISt17integral_constantIbLb1EESZ_EEDaSU_SV_EUlSU_E_NS1_11comp_targetILNS1_3genE4ELNS1_11target_archE910ELNS1_3gpuE8ELNS1_3repE0EEENS1_30default_config_static_selectorELNS0_4arch9wavefront6targetE0EEEvT1_,@function
_ZN7rocprim17ROCPRIM_400000_NS6detail17trampoline_kernelINS0_14default_configENS1_27scan_by_key_config_selectorIssEEZZNS1_16scan_by_key_implILNS1_25lookback_scan_determinismE0ELb1ES3_N6thrust23THRUST_200600_302600_NS6detail15normal_iteratorINS9_10device_ptrIsEEEESE_SE_sNS9_4plusIvEENS9_8equal_toIvEEsEE10hipError_tPvRmT2_T3_T4_T5_mT6_T7_P12ihipStream_tbENKUlT_T0_E_clISt17integral_constantIbLb1EESZ_EEDaSU_SV_EUlSU_E_NS1_11comp_targetILNS1_3genE4ELNS1_11target_archE910ELNS1_3gpuE8ELNS1_3repE0EEENS1_30default_config_static_selectorELNS0_4arch9wavefront6targetE0EEEvT1_: ; @_ZN7rocprim17ROCPRIM_400000_NS6detail17trampoline_kernelINS0_14default_configENS1_27scan_by_key_config_selectorIssEEZZNS1_16scan_by_key_implILNS1_25lookback_scan_determinismE0ELb1ES3_N6thrust23THRUST_200600_302600_NS6detail15normal_iteratorINS9_10device_ptrIsEEEESE_SE_sNS9_4plusIvEENS9_8equal_toIvEEsEE10hipError_tPvRmT2_T3_T4_T5_mT6_T7_P12ihipStream_tbENKUlT_T0_E_clISt17integral_constantIbLb1EESZ_EEDaSU_SV_EUlSU_E_NS1_11comp_targetILNS1_3genE4ELNS1_11target_archE910ELNS1_3gpuE8ELNS1_3repE0EEENS1_30default_config_static_selectorELNS0_4arch9wavefront6targetE0EEEvT1_
; %bb.0:
	.section	.rodata,"a",@progbits
	.p2align	6, 0x0
	.amdhsa_kernel _ZN7rocprim17ROCPRIM_400000_NS6detail17trampoline_kernelINS0_14default_configENS1_27scan_by_key_config_selectorIssEEZZNS1_16scan_by_key_implILNS1_25lookback_scan_determinismE0ELb1ES3_N6thrust23THRUST_200600_302600_NS6detail15normal_iteratorINS9_10device_ptrIsEEEESE_SE_sNS9_4plusIvEENS9_8equal_toIvEEsEE10hipError_tPvRmT2_T3_T4_T5_mT6_T7_P12ihipStream_tbENKUlT_T0_E_clISt17integral_constantIbLb1EESZ_EEDaSU_SV_EUlSU_E_NS1_11comp_targetILNS1_3genE4ELNS1_11target_archE910ELNS1_3gpuE8ELNS1_3repE0EEENS1_30default_config_static_selectorELNS0_4arch9wavefront6targetE0EEEvT1_
		.amdhsa_group_segment_fixed_size 0
		.amdhsa_private_segment_fixed_size 0
		.amdhsa_kernarg_size 112
		.amdhsa_user_sgpr_count 2
		.amdhsa_user_sgpr_dispatch_ptr 0
		.amdhsa_user_sgpr_queue_ptr 0
		.amdhsa_user_sgpr_kernarg_segment_ptr 1
		.amdhsa_user_sgpr_dispatch_id 0
		.amdhsa_user_sgpr_kernarg_preload_length 0
		.amdhsa_user_sgpr_kernarg_preload_offset 0
		.amdhsa_user_sgpr_private_segment_size 0
		.amdhsa_wavefront_size32 1
		.amdhsa_uses_dynamic_stack 0
		.amdhsa_enable_private_segment 0
		.amdhsa_system_sgpr_workgroup_id_x 1
		.amdhsa_system_sgpr_workgroup_id_y 0
		.amdhsa_system_sgpr_workgroup_id_z 0
		.amdhsa_system_sgpr_workgroup_info 0
		.amdhsa_system_vgpr_workitem_id 0
		.amdhsa_next_free_vgpr 1
		.amdhsa_next_free_sgpr 1
		.amdhsa_named_barrier_count 0
		.amdhsa_reserve_vcc 0
		.amdhsa_float_round_mode_32 0
		.amdhsa_float_round_mode_16_64 0
		.amdhsa_float_denorm_mode_32 3
		.amdhsa_float_denorm_mode_16_64 3
		.amdhsa_fp16_overflow 0
		.amdhsa_memory_ordered 1
		.amdhsa_forward_progress 1
		.amdhsa_inst_pref_size 0
		.amdhsa_round_robin_scheduling 0
		.amdhsa_exception_fp_ieee_invalid_op 0
		.amdhsa_exception_fp_denorm_src 0
		.amdhsa_exception_fp_ieee_div_zero 0
		.amdhsa_exception_fp_ieee_overflow 0
		.amdhsa_exception_fp_ieee_underflow 0
		.amdhsa_exception_fp_ieee_inexact 0
		.amdhsa_exception_int_div_zero 0
	.end_amdhsa_kernel
	.section	.text._ZN7rocprim17ROCPRIM_400000_NS6detail17trampoline_kernelINS0_14default_configENS1_27scan_by_key_config_selectorIssEEZZNS1_16scan_by_key_implILNS1_25lookback_scan_determinismE0ELb1ES3_N6thrust23THRUST_200600_302600_NS6detail15normal_iteratorINS9_10device_ptrIsEEEESE_SE_sNS9_4plusIvEENS9_8equal_toIvEEsEE10hipError_tPvRmT2_T3_T4_T5_mT6_T7_P12ihipStream_tbENKUlT_T0_E_clISt17integral_constantIbLb1EESZ_EEDaSU_SV_EUlSU_E_NS1_11comp_targetILNS1_3genE4ELNS1_11target_archE910ELNS1_3gpuE8ELNS1_3repE0EEENS1_30default_config_static_selectorELNS0_4arch9wavefront6targetE0EEEvT1_,"axG",@progbits,_ZN7rocprim17ROCPRIM_400000_NS6detail17trampoline_kernelINS0_14default_configENS1_27scan_by_key_config_selectorIssEEZZNS1_16scan_by_key_implILNS1_25lookback_scan_determinismE0ELb1ES3_N6thrust23THRUST_200600_302600_NS6detail15normal_iteratorINS9_10device_ptrIsEEEESE_SE_sNS9_4plusIvEENS9_8equal_toIvEEsEE10hipError_tPvRmT2_T3_T4_T5_mT6_T7_P12ihipStream_tbENKUlT_T0_E_clISt17integral_constantIbLb1EESZ_EEDaSU_SV_EUlSU_E_NS1_11comp_targetILNS1_3genE4ELNS1_11target_archE910ELNS1_3gpuE8ELNS1_3repE0EEENS1_30default_config_static_selectorELNS0_4arch9wavefront6targetE0EEEvT1_,comdat
.Lfunc_end581:
	.size	_ZN7rocprim17ROCPRIM_400000_NS6detail17trampoline_kernelINS0_14default_configENS1_27scan_by_key_config_selectorIssEEZZNS1_16scan_by_key_implILNS1_25lookback_scan_determinismE0ELb1ES3_N6thrust23THRUST_200600_302600_NS6detail15normal_iteratorINS9_10device_ptrIsEEEESE_SE_sNS9_4plusIvEENS9_8equal_toIvEEsEE10hipError_tPvRmT2_T3_T4_T5_mT6_T7_P12ihipStream_tbENKUlT_T0_E_clISt17integral_constantIbLb1EESZ_EEDaSU_SV_EUlSU_E_NS1_11comp_targetILNS1_3genE4ELNS1_11target_archE910ELNS1_3gpuE8ELNS1_3repE0EEENS1_30default_config_static_selectorELNS0_4arch9wavefront6targetE0EEEvT1_, .Lfunc_end581-_ZN7rocprim17ROCPRIM_400000_NS6detail17trampoline_kernelINS0_14default_configENS1_27scan_by_key_config_selectorIssEEZZNS1_16scan_by_key_implILNS1_25lookback_scan_determinismE0ELb1ES3_N6thrust23THRUST_200600_302600_NS6detail15normal_iteratorINS9_10device_ptrIsEEEESE_SE_sNS9_4plusIvEENS9_8equal_toIvEEsEE10hipError_tPvRmT2_T3_T4_T5_mT6_T7_P12ihipStream_tbENKUlT_T0_E_clISt17integral_constantIbLb1EESZ_EEDaSU_SV_EUlSU_E_NS1_11comp_targetILNS1_3genE4ELNS1_11target_archE910ELNS1_3gpuE8ELNS1_3repE0EEENS1_30default_config_static_selectorELNS0_4arch9wavefront6targetE0EEEvT1_
                                        ; -- End function
	.set _ZN7rocprim17ROCPRIM_400000_NS6detail17trampoline_kernelINS0_14default_configENS1_27scan_by_key_config_selectorIssEEZZNS1_16scan_by_key_implILNS1_25lookback_scan_determinismE0ELb1ES3_N6thrust23THRUST_200600_302600_NS6detail15normal_iteratorINS9_10device_ptrIsEEEESE_SE_sNS9_4plusIvEENS9_8equal_toIvEEsEE10hipError_tPvRmT2_T3_T4_T5_mT6_T7_P12ihipStream_tbENKUlT_T0_E_clISt17integral_constantIbLb1EESZ_EEDaSU_SV_EUlSU_E_NS1_11comp_targetILNS1_3genE4ELNS1_11target_archE910ELNS1_3gpuE8ELNS1_3repE0EEENS1_30default_config_static_selectorELNS0_4arch9wavefront6targetE0EEEvT1_.num_vgpr, 0
	.set _ZN7rocprim17ROCPRIM_400000_NS6detail17trampoline_kernelINS0_14default_configENS1_27scan_by_key_config_selectorIssEEZZNS1_16scan_by_key_implILNS1_25lookback_scan_determinismE0ELb1ES3_N6thrust23THRUST_200600_302600_NS6detail15normal_iteratorINS9_10device_ptrIsEEEESE_SE_sNS9_4plusIvEENS9_8equal_toIvEEsEE10hipError_tPvRmT2_T3_T4_T5_mT6_T7_P12ihipStream_tbENKUlT_T0_E_clISt17integral_constantIbLb1EESZ_EEDaSU_SV_EUlSU_E_NS1_11comp_targetILNS1_3genE4ELNS1_11target_archE910ELNS1_3gpuE8ELNS1_3repE0EEENS1_30default_config_static_selectorELNS0_4arch9wavefront6targetE0EEEvT1_.num_agpr, 0
	.set _ZN7rocprim17ROCPRIM_400000_NS6detail17trampoline_kernelINS0_14default_configENS1_27scan_by_key_config_selectorIssEEZZNS1_16scan_by_key_implILNS1_25lookback_scan_determinismE0ELb1ES3_N6thrust23THRUST_200600_302600_NS6detail15normal_iteratorINS9_10device_ptrIsEEEESE_SE_sNS9_4plusIvEENS9_8equal_toIvEEsEE10hipError_tPvRmT2_T3_T4_T5_mT6_T7_P12ihipStream_tbENKUlT_T0_E_clISt17integral_constantIbLb1EESZ_EEDaSU_SV_EUlSU_E_NS1_11comp_targetILNS1_3genE4ELNS1_11target_archE910ELNS1_3gpuE8ELNS1_3repE0EEENS1_30default_config_static_selectorELNS0_4arch9wavefront6targetE0EEEvT1_.numbered_sgpr, 0
	.set _ZN7rocprim17ROCPRIM_400000_NS6detail17trampoline_kernelINS0_14default_configENS1_27scan_by_key_config_selectorIssEEZZNS1_16scan_by_key_implILNS1_25lookback_scan_determinismE0ELb1ES3_N6thrust23THRUST_200600_302600_NS6detail15normal_iteratorINS9_10device_ptrIsEEEESE_SE_sNS9_4plusIvEENS9_8equal_toIvEEsEE10hipError_tPvRmT2_T3_T4_T5_mT6_T7_P12ihipStream_tbENKUlT_T0_E_clISt17integral_constantIbLb1EESZ_EEDaSU_SV_EUlSU_E_NS1_11comp_targetILNS1_3genE4ELNS1_11target_archE910ELNS1_3gpuE8ELNS1_3repE0EEENS1_30default_config_static_selectorELNS0_4arch9wavefront6targetE0EEEvT1_.num_named_barrier, 0
	.set _ZN7rocprim17ROCPRIM_400000_NS6detail17trampoline_kernelINS0_14default_configENS1_27scan_by_key_config_selectorIssEEZZNS1_16scan_by_key_implILNS1_25lookback_scan_determinismE0ELb1ES3_N6thrust23THRUST_200600_302600_NS6detail15normal_iteratorINS9_10device_ptrIsEEEESE_SE_sNS9_4plusIvEENS9_8equal_toIvEEsEE10hipError_tPvRmT2_T3_T4_T5_mT6_T7_P12ihipStream_tbENKUlT_T0_E_clISt17integral_constantIbLb1EESZ_EEDaSU_SV_EUlSU_E_NS1_11comp_targetILNS1_3genE4ELNS1_11target_archE910ELNS1_3gpuE8ELNS1_3repE0EEENS1_30default_config_static_selectorELNS0_4arch9wavefront6targetE0EEEvT1_.private_seg_size, 0
	.set _ZN7rocprim17ROCPRIM_400000_NS6detail17trampoline_kernelINS0_14default_configENS1_27scan_by_key_config_selectorIssEEZZNS1_16scan_by_key_implILNS1_25lookback_scan_determinismE0ELb1ES3_N6thrust23THRUST_200600_302600_NS6detail15normal_iteratorINS9_10device_ptrIsEEEESE_SE_sNS9_4plusIvEENS9_8equal_toIvEEsEE10hipError_tPvRmT2_T3_T4_T5_mT6_T7_P12ihipStream_tbENKUlT_T0_E_clISt17integral_constantIbLb1EESZ_EEDaSU_SV_EUlSU_E_NS1_11comp_targetILNS1_3genE4ELNS1_11target_archE910ELNS1_3gpuE8ELNS1_3repE0EEENS1_30default_config_static_selectorELNS0_4arch9wavefront6targetE0EEEvT1_.uses_vcc, 0
	.set _ZN7rocprim17ROCPRIM_400000_NS6detail17trampoline_kernelINS0_14default_configENS1_27scan_by_key_config_selectorIssEEZZNS1_16scan_by_key_implILNS1_25lookback_scan_determinismE0ELb1ES3_N6thrust23THRUST_200600_302600_NS6detail15normal_iteratorINS9_10device_ptrIsEEEESE_SE_sNS9_4plusIvEENS9_8equal_toIvEEsEE10hipError_tPvRmT2_T3_T4_T5_mT6_T7_P12ihipStream_tbENKUlT_T0_E_clISt17integral_constantIbLb1EESZ_EEDaSU_SV_EUlSU_E_NS1_11comp_targetILNS1_3genE4ELNS1_11target_archE910ELNS1_3gpuE8ELNS1_3repE0EEENS1_30default_config_static_selectorELNS0_4arch9wavefront6targetE0EEEvT1_.uses_flat_scratch, 0
	.set _ZN7rocprim17ROCPRIM_400000_NS6detail17trampoline_kernelINS0_14default_configENS1_27scan_by_key_config_selectorIssEEZZNS1_16scan_by_key_implILNS1_25lookback_scan_determinismE0ELb1ES3_N6thrust23THRUST_200600_302600_NS6detail15normal_iteratorINS9_10device_ptrIsEEEESE_SE_sNS9_4plusIvEENS9_8equal_toIvEEsEE10hipError_tPvRmT2_T3_T4_T5_mT6_T7_P12ihipStream_tbENKUlT_T0_E_clISt17integral_constantIbLb1EESZ_EEDaSU_SV_EUlSU_E_NS1_11comp_targetILNS1_3genE4ELNS1_11target_archE910ELNS1_3gpuE8ELNS1_3repE0EEENS1_30default_config_static_selectorELNS0_4arch9wavefront6targetE0EEEvT1_.has_dyn_sized_stack, 0
	.set _ZN7rocprim17ROCPRIM_400000_NS6detail17trampoline_kernelINS0_14default_configENS1_27scan_by_key_config_selectorIssEEZZNS1_16scan_by_key_implILNS1_25lookback_scan_determinismE0ELb1ES3_N6thrust23THRUST_200600_302600_NS6detail15normal_iteratorINS9_10device_ptrIsEEEESE_SE_sNS9_4plusIvEENS9_8equal_toIvEEsEE10hipError_tPvRmT2_T3_T4_T5_mT6_T7_P12ihipStream_tbENKUlT_T0_E_clISt17integral_constantIbLb1EESZ_EEDaSU_SV_EUlSU_E_NS1_11comp_targetILNS1_3genE4ELNS1_11target_archE910ELNS1_3gpuE8ELNS1_3repE0EEENS1_30default_config_static_selectorELNS0_4arch9wavefront6targetE0EEEvT1_.has_recursion, 0
	.set _ZN7rocprim17ROCPRIM_400000_NS6detail17trampoline_kernelINS0_14default_configENS1_27scan_by_key_config_selectorIssEEZZNS1_16scan_by_key_implILNS1_25lookback_scan_determinismE0ELb1ES3_N6thrust23THRUST_200600_302600_NS6detail15normal_iteratorINS9_10device_ptrIsEEEESE_SE_sNS9_4plusIvEENS9_8equal_toIvEEsEE10hipError_tPvRmT2_T3_T4_T5_mT6_T7_P12ihipStream_tbENKUlT_T0_E_clISt17integral_constantIbLb1EESZ_EEDaSU_SV_EUlSU_E_NS1_11comp_targetILNS1_3genE4ELNS1_11target_archE910ELNS1_3gpuE8ELNS1_3repE0EEENS1_30default_config_static_selectorELNS0_4arch9wavefront6targetE0EEEvT1_.has_indirect_call, 0
	.section	.AMDGPU.csdata,"",@progbits
; Kernel info:
; codeLenInByte = 0
; TotalNumSgprs: 0
; NumVgprs: 0
; ScratchSize: 0
; MemoryBound: 0
; FloatMode: 240
; IeeeMode: 1
; LDSByteSize: 0 bytes/workgroup (compile time only)
; SGPRBlocks: 0
; VGPRBlocks: 0
; NumSGPRsForWavesPerEU: 1
; NumVGPRsForWavesPerEU: 1
; NamedBarCnt: 0
; Occupancy: 16
; WaveLimiterHint : 0
; COMPUTE_PGM_RSRC2:SCRATCH_EN: 0
; COMPUTE_PGM_RSRC2:USER_SGPR: 2
; COMPUTE_PGM_RSRC2:TRAP_HANDLER: 0
; COMPUTE_PGM_RSRC2:TGID_X_EN: 1
; COMPUTE_PGM_RSRC2:TGID_Y_EN: 0
; COMPUTE_PGM_RSRC2:TGID_Z_EN: 0
; COMPUTE_PGM_RSRC2:TIDIG_COMP_CNT: 0
	.section	.text._ZN7rocprim17ROCPRIM_400000_NS6detail17trampoline_kernelINS0_14default_configENS1_27scan_by_key_config_selectorIssEEZZNS1_16scan_by_key_implILNS1_25lookback_scan_determinismE0ELb1ES3_N6thrust23THRUST_200600_302600_NS6detail15normal_iteratorINS9_10device_ptrIsEEEESE_SE_sNS9_4plusIvEENS9_8equal_toIvEEsEE10hipError_tPvRmT2_T3_T4_T5_mT6_T7_P12ihipStream_tbENKUlT_T0_E_clISt17integral_constantIbLb1EESZ_EEDaSU_SV_EUlSU_E_NS1_11comp_targetILNS1_3genE3ELNS1_11target_archE908ELNS1_3gpuE7ELNS1_3repE0EEENS1_30default_config_static_selectorELNS0_4arch9wavefront6targetE0EEEvT1_,"axG",@progbits,_ZN7rocprim17ROCPRIM_400000_NS6detail17trampoline_kernelINS0_14default_configENS1_27scan_by_key_config_selectorIssEEZZNS1_16scan_by_key_implILNS1_25lookback_scan_determinismE0ELb1ES3_N6thrust23THRUST_200600_302600_NS6detail15normal_iteratorINS9_10device_ptrIsEEEESE_SE_sNS9_4plusIvEENS9_8equal_toIvEEsEE10hipError_tPvRmT2_T3_T4_T5_mT6_T7_P12ihipStream_tbENKUlT_T0_E_clISt17integral_constantIbLb1EESZ_EEDaSU_SV_EUlSU_E_NS1_11comp_targetILNS1_3genE3ELNS1_11target_archE908ELNS1_3gpuE7ELNS1_3repE0EEENS1_30default_config_static_selectorELNS0_4arch9wavefront6targetE0EEEvT1_,comdat
	.protected	_ZN7rocprim17ROCPRIM_400000_NS6detail17trampoline_kernelINS0_14default_configENS1_27scan_by_key_config_selectorIssEEZZNS1_16scan_by_key_implILNS1_25lookback_scan_determinismE0ELb1ES3_N6thrust23THRUST_200600_302600_NS6detail15normal_iteratorINS9_10device_ptrIsEEEESE_SE_sNS9_4plusIvEENS9_8equal_toIvEEsEE10hipError_tPvRmT2_T3_T4_T5_mT6_T7_P12ihipStream_tbENKUlT_T0_E_clISt17integral_constantIbLb1EESZ_EEDaSU_SV_EUlSU_E_NS1_11comp_targetILNS1_3genE3ELNS1_11target_archE908ELNS1_3gpuE7ELNS1_3repE0EEENS1_30default_config_static_selectorELNS0_4arch9wavefront6targetE0EEEvT1_ ; -- Begin function _ZN7rocprim17ROCPRIM_400000_NS6detail17trampoline_kernelINS0_14default_configENS1_27scan_by_key_config_selectorIssEEZZNS1_16scan_by_key_implILNS1_25lookback_scan_determinismE0ELb1ES3_N6thrust23THRUST_200600_302600_NS6detail15normal_iteratorINS9_10device_ptrIsEEEESE_SE_sNS9_4plusIvEENS9_8equal_toIvEEsEE10hipError_tPvRmT2_T3_T4_T5_mT6_T7_P12ihipStream_tbENKUlT_T0_E_clISt17integral_constantIbLb1EESZ_EEDaSU_SV_EUlSU_E_NS1_11comp_targetILNS1_3genE3ELNS1_11target_archE908ELNS1_3gpuE7ELNS1_3repE0EEENS1_30default_config_static_selectorELNS0_4arch9wavefront6targetE0EEEvT1_
	.globl	_ZN7rocprim17ROCPRIM_400000_NS6detail17trampoline_kernelINS0_14default_configENS1_27scan_by_key_config_selectorIssEEZZNS1_16scan_by_key_implILNS1_25lookback_scan_determinismE0ELb1ES3_N6thrust23THRUST_200600_302600_NS6detail15normal_iteratorINS9_10device_ptrIsEEEESE_SE_sNS9_4plusIvEENS9_8equal_toIvEEsEE10hipError_tPvRmT2_T3_T4_T5_mT6_T7_P12ihipStream_tbENKUlT_T0_E_clISt17integral_constantIbLb1EESZ_EEDaSU_SV_EUlSU_E_NS1_11comp_targetILNS1_3genE3ELNS1_11target_archE908ELNS1_3gpuE7ELNS1_3repE0EEENS1_30default_config_static_selectorELNS0_4arch9wavefront6targetE0EEEvT1_
	.p2align	8
	.type	_ZN7rocprim17ROCPRIM_400000_NS6detail17trampoline_kernelINS0_14default_configENS1_27scan_by_key_config_selectorIssEEZZNS1_16scan_by_key_implILNS1_25lookback_scan_determinismE0ELb1ES3_N6thrust23THRUST_200600_302600_NS6detail15normal_iteratorINS9_10device_ptrIsEEEESE_SE_sNS9_4plusIvEENS9_8equal_toIvEEsEE10hipError_tPvRmT2_T3_T4_T5_mT6_T7_P12ihipStream_tbENKUlT_T0_E_clISt17integral_constantIbLb1EESZ_EEDaSU_SV_EUlSU_E_NS1_11comp_targetILNS1_3genE3ELNS1_11target_archE908ELNS1_3gpuE7ELNS1_3repE0EEENS1_30default_config_static_selectorELNS0_4arch9wavefront6targetE0EEEvT1_,@function
_ZN7rocprim17ROCPRIM_400000_NS6detail17trampoline_kernelINS0_14default_configENS1_27scan_by_key_config_selectorIssEEZZNS1_16scan_by_key_implILNS1_25lookback_scan_determinismE0ELb1ES3_N6thrust23THRUST_200600_302600_NS6detail15normal_iteratorINS9_10device_ptrIsEEEESE_SE_sNS9_4plusIvEENS9_8equal_toIvEEsEE10hipError_tPvRmT2_T3_T4_T5_mT6_T7_P12ihipStream_tbENKUlT_T0_E_clISt17integral_constantIbLb1EESZ_EEDaSU_SV_EUlSU_E_NS1_11comp_targetILNS1_3genE3ELNS1_11target_archE908ELNS1_3gpuE7ELNS1_3repE0EEENS1_30default_config_static_selectorELNS0_4arch9wavefront6targetE0EEEvT1_: ; @_ZN7rocprim17ROCPRIM_400000_NS6detail17trampoline_kernelINS0_14default_configENS1_27scan_by_key_config_selectorIssEEZZNS1_16scan_by_key_implILNS1_25lookback_scan_determinismE0ELb1ES3_N6thrust23THRUST_200600_302600_NS6detail15normal_iteratorINS9_10device_ptrIsEEEESE_SE_sNS9_4plusIvEENS9_8equal_toIvEEsEE10hipError_tPvRmT2_T3_T4_T5_mT6_T7_P12ihipStream_tbENKUlT_T0_E_clISt17integral_constantIbLb1EESZ_EEDaSU_SV_EUlSU_E_NS1_11comp_targetILNS1_3genE3ELNS1_11target_archE908ELNS1_3gpuE7ELNS1_3repE0EEENS1_30default_config_static_selectorELNS0_4arch9wavefront6targetE0EEEvT1_
; %bb.0:
	.section	.rodata,"a",@progbits
	.p2align	6, 0x0
	.amdhsa_kernel _ZN7rocprim17ROCPRIM_400000_NS6detail17trampoline_kernelINS0_14default_configENS1_27scan_by_key_config_selectorIssEEZZNS1_16scan_by_key_implILNS1_25lookback_scan_determinismE0ELb1ES3_N6thrust23THRUST_200600_302600_NS6detail15normal_iteratorINS9_10device_ptrIsEEEESE_SE_sNS9_4plusIvEENS9_8equal_toIvEEsEE10hipError_tPvRmT2_T3_T4_T5_mT6_T7_P12ihipStream_tbENKUlT_T0_E_clISt17integral_constantIbLb1EESZ_EEDaSU_SV_EUlSU_E_NS1_11comp_targetILNS1_3genE3ELNS1_11target_archE908ELNS1_3gpuE7ELNS1_3repE0EEENS1_30default_config_static_selectorELNS0_4arch9wavefront6targetE0EEEvT1_
		.amdhsa_group_segment_fixed_size 0
		.amdhsa_private_segment_fixed_size 0
		.amdhsa_kernarg_size 112
		.amdhsa_user_sgpr_count 2
		.amdhsa_user_sgpr_dispatch_ptr 0
		.amdhsa_user_sgpr_queue_ptr 0
		.amdhsa_user_sgpr_kernarg_segment_ptr 1
		.amdhsa_user_sgpr_dispatch_id 0
		.amdhsa_user_sgpr_kernarg_preload_length 0
		.amdhsa_user_sgpr_kernarg_preload_offset 0
		.amdhsa_user_sgpr_private_segment_size 0
		.amdhsa_wavefront_size32 1
		.amdhsa_uses_dynamic_stack 0
		.amdhsa_enable_private_segment 0
		.amdhsa_system_sgpr_workgroup_id_x 1
		.amdhsa_system_sgpr_workgroup_id_y 0
		.amdhsa_system_sgpr_workgroup_id_z 0
		.amdhsa_system_sgpr_workgroup_info 0
		.amdhsa_system_vgpr_workitem_id 0
		.amdhsa_next_free_vgpr 1
		.amdhsa_next_free_sgpr 1
		.amdhsa_named_barrier_count 0
		.amdhsa_reserve_vcc 0
		.amdhsa_float_round_mode_32 0
		.amdhsa_float_round_mode_16_64 0
		.amdhsa_float_denorm_mode_32 3
		.amdhsa_float_denorm_mode_16_64 3
		.amdhsa_fp16_overflow 0
		.amdhsa_memory_ordered 1
		.amdhsa_forward_progress 1
		.amdhsa_inst_pref_size 0
		.amdhsa_round_robin_scheduling 0
		.amdhsa_exception_fp_ieee_invalid_op 0
		.amdhsa_exception_fp_denorm_src 0
		.amdhsa_exception_fp_ieee_div_zero 0
		.amdhsa_exception_fp_ieee_overflow 0
		.amdhsa_exception_fp_ieee_underflow 0
		.amdhsa_exception_fp_ieee_inexact 0
		.amdhsa_exception_int_div_zero 0
	.end_amdhsa_kernel
	.section	.text._ZN7rocprim17ROCPRIM_400000_NS6detail17trampoline_kernelINS0_14default_configENS1_27scan_by_key_config_selectorIssEEZZNS1_16scan_by_key_implILNS1_25lookback_scan_determinismE0ELb1ES3_N6thrust23THRUST_200600_302600_NS6detail15normal_iteratorINS9_10device_ptrIsEEEESE_SE_sNS9_4plusIvEENS9_8equal_toIvEEsEE10hipError_tPvRmT2_T3_T4_T5_mT6_T7_P12ihipStream_tbENKUlT_T0_E_clISt17integral_constantIbLb1EESZ_EEDaSU_SV_EUlSU_E_NS1_11comp_targetILNS1_3genE3ELNS1_11target_archE908ELNS1_3gpuE7ELNS1_3repE0EEENS1_30default_config_static_selectorELNS0_4arch9wavefront6targetE0EEEvT1_,"axG",@progbits,_ZN7rocprim17ROCPRIM_400000_NS6detail17trampoline_kernelINS0_14default_configENS1_27scan_by_key_config_selectorIssEEZZNS1_16scan_by_key_implILNS1_25lookback_scan_determinismE0ELb1ES3_N6thrust23THRUST_200600_302600_NS6detail15normal_iteratorINS9_10device_ptrIsEEEESE_SE_sNS9_4plusIvEENS9_8equal_toIvEEsEE10hipError_tPvRmT2_T3_T4_T5_mT6_T7_P12ihipStream_tbENKUlT_T0_E_clISt17integral_constantIbLb1EESZ_EEDaSU_SV_EUlSU_E_NS1_11comp_targetILNS1_3genE3ELNS1_11target_archE908ELNS1_3gpuE7ELNS1_3repE0EEENS1_30default_config_static_selectorELNS0_4arch9wavefront6targetE0EEEvT1_,comdat
.Lfunc_end582:
	.size	_ZN7rocprim17ROCPRIM_400000_NS6detail17trampoline_kernelINS0_14default_configENS1_27scan_by_key_config_selectorIssEEZZNS1_16scan_by_key_implILNS1_25lookback_scan_determinismE0ELb1ES3_N6thrust23THRUST_200600_302600_NS6detail15normal_iteratorINS9_10device_ptrIsEEEESE_SE_sNS9_4plusIvEENS9_8equal_toIvEEsEE10hipError_tPvRmT2_T3_T4_T5_mT6_T7_P12ihipStream_tbENKUlT_T0_E_clISt17integral_constantIbLb1EESZ_EEDaSU_SV_EUlSU_E_NS1_11comp_targetILNS1_3genE3ELNS1_11target_archE908ELNS1_3gpuE7ELNS1_3repE0EEENS1_30default_config_static_selectorELNS0_4arch9wavefront6targetE0EEEvT1_, .Lfunc_end582-_ZN7rocprim17ROCPRIM_400000_NS6detail17trampoline_kernelINS0_14default_configENS1_27scan_by_key_config_selectorIssEEZZNS1_16scan_by_key_implILNS1_25lookback_scan_determinismE0ELb1ES3_N6thrust23THRUST_200600_302600_NS6detail15normal_iteratorINS9_10device_ptrIsEEEESE_SE_sNS9_4plusIvEENS9_8equal_toIvEEsEE10hipError_tPvRmT2_T3_T4_T5_mT6_T7_P12ihipStream_tbENKUlT_T0_E_clISt17integral_constantIbLb1EESZ_EEDaSU_SV_EUlSU_E_NS1_11comp_targetILNS1_3genE3ELNS1_11target_archE908ELNS1_3gpuE7ELNS1_3repE0EEENS1_30default_config_static_selectorELNS0_4arch9wavefront6targetE0EEEvT1_
                                        ; -- End function
	.set _ZN7rocprim17ROCPRIM_400000_NS6detail17trampoline_kernelINS0_14default_configENS1_27scan_by_key_config_selectorIssEEZZNS1_16scan_by_key_implILNS1_25lookback_scan_determinismE0ELb1ES3_N6thrust23THRUST_200600_302600_NS6detail15normal_iteratorINS9_10device_ptrIsEEEESE_SE_sNS9_4plusIvEENS9_8equal_toIvEEsEE10hipError_tPvRmT2_T3_T4_T5_mT6_T7_P12ihipStream_tbENKUlT_T0_E_clISt17integral_constantIbLb1EESZ_EEDaSU_SV_EUlSU_E_NS1_11comp_targetILNS1_3genE3ELNS1_11target_archE908ELNS1_3gpuE7ELNS1_3repE0EEENS1_30default_config_static_selectorELNS0_4arch9wavefront6targetE0EEEvT1_.num_vgpr, 0
	.set _ZN7rocprim17ROCPRIM_400000_NS6detail17trampoline_kernelINS0_14default_configENS1_27scan_by_key_config_selectorIssEEZZNS1_16scan_by_key_implILNS1_25lookback_scan_determinismE0ELb1ES3_N6thrust23THRUST_200600_302600_NS6detail15normal_iteratorINS9_10device_ptrIsEEEESE_SE_sNS9_4plusIvEENS9_8equal_toIvEEsEE10hipError_tPvRmT2_T3_T4_T5_mT6_T7_P12ihipStream_tbENKUlT_T0_E_clISt17integral_constantIbLb1EESZ_EEDaSU_SV_EUlSU_E_NS1_11comp_targetILNS1_3genE3ELNS1_11target_archE908ELNS1_3gpuE7ELNS1_3repE0EEENS1_30default_config_static_selectorELNS0_4arch9wavefront6targetE0EEEvT1_.num_agpr, 0
	.set _ZN7rocprim17ROCPRIM_400000_NS6detail17trampoline_kernelINS0_14default_configENS1_27scan_by_key_config_selectorIssEEZZNS1_16scan_by_key_implILNS1_25lookback_scan_determinismE0ELb1ES3_N6thrust23THRUST_200600_302600_NS6detail15normal_iteratorINS9_10device_ptrIsEEEESE_SE_sNS9_4plusIvEENS9_8equal_toIvEEsEE10hipError_tPvRmT2_T3_T4_T5_mT6_T7_P12ihipStream_tbENKUlT_T0_E_clISt17integral_constantIbLb1EESZ_EEDaSU_SV_EUlSU_E_NS1_11comp_targetILNS1_3genE3ELNS1_11target_archE908ELNS1_3gpuE7ELNS1_3repE0EEENS1_30default_config_static_selectorELNS0_4arch9wavefront6targetE0EEEvT1_.numbered_sgpr, 0
	.set _ZN7rocprim17ROCPRIM_400000_NS6detail17trampoline_kernelINS0_14default_configENS1_27scan_by_key_config_selectorIssEEZZNS1_16scan_by_key_implILNS1_25lookback_scan_determinismE0ELb1ES3_N6thrust23THRUST_200600_302600_NS6detail15normal_iteratorINS9_10device_ptrIsEEEESE_SE_sNS9_4plusIvEENS9_8equal_toIvEEsEE10hipError_tPvRmT2_T3_T4_T5_mT6_T7_P12ihipStream_tbENKUlT_T0_E_clISt17integral_constantIbLb1EESZ_EEDaSU_SV_EUlSU_E_NS1_11comp_targetILNS1_3genE3ELNS1_11target_archE908ELNS1_3gpuE7ELNS1_3repE0EEENS1_30default_config_static_selectorELNS0_4arch9wavefront6targetE0EEEvT1_.num_named_barrier, 0
	.set _ZN7rocprim17ROCPRIM_400000_NS6detail17trampoline_kernelINS0_14default_configENS1_27scan_by_key_config_selectorIssEEZZNS1_16scan_by_key_implILNS1_25lookback_scan_determinismE0ELb1ES3_N6thrust23THRUST_200600_302600_NS6detail15normal_iteratorINS9_10device_ptrIsEEEESE_SE_sNS9_4plusIvEENS9_8equal_toIvEEsEE10hipError_tPvRmT2_T3_T4_T5_mT6_T7_P12ihipStream_tbENKUlT_T0_E_clISt17integral_constantIbLb1EESZ_EEDaSU_SV_EUlSU_E_NS1_11comp_targetILNS1_3genE3ELNS1_11target_archE908ELNS1_3gpuE7ELNS1_3repE0EEENS1_30default_config_static_selectorELNS0_4arch9wavefront6targetE0EEEvT1_.private_seg_size, 0
	.set _ZN7rocprim17ROCPRIM_400000_NS6detail17trampoline_kernelINS0_14default_configENS1_27scan_by_key_config_selectorIssEEZZNS1_16scan_by_key_implILNS1_25lookback_scan_determinismE0ELb1ES3_N6thrust23THRUST_200600_302600_NS6detail15normal_iteratorINS9_10device_ptrIsEEEESE_SE_sNS9_4plusIvEENS9_8equal_toIvEEsEE10hipError_tPvRmT2_T3_T4_T5_mT6_T7_P12ihipStream_tbENKUlT_T0_E_clISt17integral_constantIbLb1EESZ_EEDaSU_SV_EUlSU_E_NS1_11comp_targetILNS1_3genE3ELNS1_11target_archE908ELNS1_3gpuE7ELNS1_3repE0EEENS1_30default_config_static_selectorELNS0_4arch9wavefront6targetE0EEEvT1_.uses_vcc, 0
	.set _ZN7rocprim17ROCPRIM_400000_NS6detail17trampoline_kernelINS0_14default_configENS1_27scan_by_key_config_selectorIssEEZZNS1_16scan_by_key_implILNS1_25lookback_scan_determinismE0ELb1ES3_N6thrust23THRUST_200600_302600_NS6detail15normal_iteratorINS9_10device_ptrIsEEEESE_SE_sNS9_4plusIvEENS9_8equal_toIvEEsEE10hipError_tPvRmT2_T3_T4_T5_mT6_T7_P12ihipStream_tbENKUlT_T0_E_clISt17integral_constantIbLb1EESZ_EEDaSU_SV_EUlSU_E_NS1_11comp_targetILNS1_3genE3ELNS1_11target_archE908ELNS1_3gpuE7ELNS1_3repE0EEENS1_30default_config_static_selectorELNS0_4arch9wavefront6targetE0EEEvT1_.uses_flat_scratch, 0
	.set _ZN7rocprim17ROCPRIM_400000_NS6detail17trampoline_kernelINS0_14default_configENS1_27scan_by_key_config_selectorIssEEZZNS1_16scan_by_key_implILNS1_25lookback_scan_determinismE0ELb1ES3_N6thrust23THRUST_200600_302600_NS6detail15normal_iteratorINS9_10device_ptrIsEEEESE_SE_sNS9_4plusIvEENS9_8equal_toIvEEsEE10hipError_tPvRmT2_T3_T4_T5_mT6_T7_P12ihipStream_tbENKUlT_T0_E_clISt17integral_constantIbLb1EESZ_EEDaSU_SV_EUlSU_E_NS1_11comp_targetILNS1_3genE3ELNS1_11target_archE908ELNS1_3gpuE7ELNS1_3repE0EEENS1_30default_config_static_selectorELNS0_4arch9wavefront6targetE0EEEvT1_.has_dyn_sized_stack, 0
	.set _ZN7rocprim17ROCPRIM_400000_NS6detail17trampoline_kernelINS0_14default_configENS1_27scan_by_key_config_selectorIssEEZZNS1_16scan_by_key_implILNS1_25lookback_scan_determinismE0ELb1ES3_N6thrust23THRUST_200600_302600_NS6detail15normal_iteratorINS9_10device_ptrIsEEEESE_SE_sNS9_4plusIvEENS9_8equal_toIvEEsEE10hipError_tPvRmT2_T3_T4_T5_mT6_T7_P12ihipStream_tbENKUlT_T0_E_clISt17integral_constantIbLb1EESZ_EEDaSU_SV_EUlSU_E_NS1_11comp_targetILNS1_3genE3ELNS1_11target_archE908ELNS1_3gpuE7ELNS1_3repE0EEENS1_30default_config_static_selectorELNS0_4arch9wavefront6targetE0EEEvT1_.has_recursion, 0
	.set _ZN7rocprim17ROCPRIM_400000_NS6detail17trampoline_kernelINS0_14default_configENS1_27scan_by_key_config_selectorIssEEZZNS1_16scan_by_key_implILNS1_25lookback_scan_determinismE0ELb1ES3_N6thrust23THRUST_200600_302600_NS6detail15normal_iteratorINS9_10device_ptrIsEEEESE_SE_sNS9_4plusIvEENS9_8equal_toIvEEsEE10hipError_tPvRmT2_T3_T4_T5_mT6_T7_P12ihipStream_tbENKUlT_T0_E_clISt17integral_constantIbLb1EESZ_EEDaSU_SV_EUlSU_E_NS1_11comp_targetILNS1_3genE3ELNS1_11target_archE908ELNS1_3gpuE7ELNS1_3repE0EEENS1_30default_config_static_selectorELNS0_4arch9wavefront6targetE0EEEvT1_.has_indirect_call, 0
	.section	.AMDGPU.csdata,"",@progbits
; Kernel info:
; codeLenInByte = 0
; TotalNumSgprs: 0
; NumVgprs: 0
; ScratchSize: 0
; MemoryBound: 0
; FloatMode: 240
; IeeeMode: 1
; LDSByteSize: 0 bytes/workgroup (compile time only)
; SGPRBlocks: 0
; VGPRBlocks: 0
; NumSGPRsForWavesPerEU: 1
; NumVGPRsForWavesPerEU: 1
; NamedBarCnt: 0
; Occupancy: 16
; WaveLimiterHint : 0
; COMPUTE_PGM_RSRC2:SCRATCH_EN: 0
; COMPUTE_PGM_RSRC2:USER_SGPR: 2
; COMPUTE_PGM_RSRC2:TRAP_HANDLER: 0
; COMPUTE_PGM_RSRC2:TGID_X_EN: 1
; COMPUTE_PGM_RSRC2:TGID_Y_EN: 0
; COMPUTE_PGM_RSRC2:TGID_Z_EN: 0
; COMPUTE_PGM_RSRC2:TIDIG_COMP_CNT: 0
	.section	.text._ZN7rocprim17ROCPRIM_400000_NS6detail17trampoline_kernelINS0_14default_configENS1_27scan_by_key_config_selectorIssEEZZNS1_16scan_by_key_implILNS1_25lookback_scan_determinismE0ELb1ES3_N6thrust23THRUST_200600_302600_NS6detail15normal_iteratorINS9_10device_ptrIsEEEESE_SE_sNS9_4plusIvEENS9_8equal_toIvEEsEE10hipError_tPvRmT2_T3_T4_T5_mT6_T7_P12ihipStream_tbENKUlT_T0_E_clISt17integral_constantIbLb1EESZ_EEDaSU_SV_EUlSU_E_NS1_11comp_targetILNS1_3genE2ELNS1_11target_archE906ELNS1_3gpuE6ELNS1_3repE0EEENS1_30default_config_static_selectorELNS0_4arch9wavefront6targetE0EEEvT1_,"axG",@progbits,_ZN7rocprim17ROCPRIM_400000_NS6detail17trampoline_kernelINS0_14default_configENS1_27scan_by_key_config_selectorIssEEZZNS1_16scan_by_key_implILNS1_25lookback_scan_determinismE0ELb1ES3_N6thrust23THRUST_200600_302600_NS6detail15normal_iteratorINS9_10device_ptrIsEEEESE_SE_sNS9_4plusIvEENS9_8equal_toIvEEsEE10hipError_tPvRmT2_T3_T4_T5_mT6_T7_P12ihipStream_tbENKUlT_T0_E_clISt17integral_constantIbLb1EESZ_EEDaSU_SV_EUlSU_E_NS1_11comp_targetILNS1_3genE2ELNS1_11target_archE906ELNS1_3gpuE6ELNS1_3repE0EEENS1_30default_config_static_selectorELNS0_4arch9wavefront6targetE0EEEvT1_,comdat
	.protected	_ZN7rocprim17ROCPRIM_400000_NS6detail17trampoline_kernelINS0_14default_configENS1_27scan_by_key_config_selectorIssEEZZNS1_16scan_by_key_implILNS1_25lookback_scan_determinismE0ELb1ES3_N6thrust23THRUST_200600_302600_NS6detail15normal_iteratorINS9_10device_ptrIsEEEESE_SE_sNS9_4plusIvEENS9_8equal_toIvEEsEE10hipError_tPvRmT2_T3_T4_T5_mT6_T7_P12ihipStream_tbENKUlT_T0_E_clISt17integral_constantIbLb1EESZ_EEDaSU_SV_EUlSU_E_NS1_11comp_targetILNS1_3genE2ELNS1_11target_archE906ELNS1_3gpuE6ELNS1_3repE0EEENS1_30default_config_static_selectorELNS0_4arch9wavefront6targetE0EEEvT1_ ; -- Begin function _ZN7rocprim17ROCPRIM_400000_NS6detail17trampoline_kernelINS0_14default_configENS1_27scan_by_key_config_selectorIssEEZZNS1_16scan_by_key_implILNS1_25lookback_scan_determinismE0ELb1ES3_N6thrust23THRUST_200600_302600_NS6detail15normal_iteratorINS9_10device_ptrIsEEEESE_SE_sNS9_4plusIvEENS9_8equal_toIvEEsEE10hipError_tPvRmT2_T3_T4_T5_mT6_T7_P12ihipStream_tbENKUlT_T0_E_clISt17integral_constantIbLb1EESZ_EEDaSU_SV_EUlSU_E_NS1_11comp_targetILNS1_3genE2ELNS1_11target_archE906ELNS1_3gpuE6ELNS1_3repE0EEENS1_30default_config_static_selectorELNS0_4arch9wavefront6targetE0EEEvT1_
	.globl	_ZN7rocprim17ROCPRIM_400000_NS6detail17trampoline_kernelINS0_14default_configENS1_27scan_by_key_config_selectorIssEEZZNS1_16scan_by_key_implILNS1_25lookback_scan_determinismE0ELb1ES3_N6thrust23THRUST_200600_302600_NS6detail15normal_iteratorINS9_10device_ptrIsEEEESE_SE_sNS9_4plusIvEENS9_8equal_toIvEEsEE10hipError_tPvRmT2_T3_T4_T5_mT6_T7_P12ihipStream_tbENKUlT_T0_E_clISt17integral_constantIbLb1EESZ_EEDaSU_SV_EUlSU_E_NS1_11comp_targetILNS1_3genE2ELNS1_11target_archE906ELNS1_3gpuE6ELNS1_3repE0EEENS1_30default_config_static_selectorELNS0_4arch9wavefront6targetE0EEEvT1_
	.p2align	8
	.type	_ZN7rocprim17ROCPRIM_400000_NS6detail17trampoline_kernelINS0_14default_configENS1_27scan_by_key_config_selectorIssEEZZNS1_16scan_by_key_implILNS1_25lookback_scan_determinismE0ELb1ES3_N6thrust23THRUST_200600_302600_NS6detail15normal_iteratorINS9_10device_ptrIsEEEESE_SE_sNS9_4plusIvEENS9_8equal_toIvEEsEE10hipError_tPvRmT2_T3_T4_T5_mT6_T7_P12ihipStream_tbENKUlT_T0_E_clISt17integral_constantIbLb1EESZ_EEDaSU_SV_EUlSU_E_NS1_11comp_targetILNS1_3genE2ELNS1_11target_archE906ELNS1_3gpuE6ELNS1_3repE0EEENS1_30default_config_static_selectorELNS0_4arch9wavefront6targetE0EEEvT1_,@function
_ZN7rocprim17ROCPRIM_400000_NS6detail17trampoline_kernelINS0_14default_configENS1_27scan_by_key_config_selectorIssEEZZNS1_16scan_by_key_implILNS1_25lookback_scan_determinismE0ELb1ES3_N6thrust23THRUST_200600_302600_NS6detail15normal_iteratorINS9_10device_ptrIsEEEESE_SE_sNS9_4plusIvEENS9_8equal_toIvEEsEE10hipError_tPvRmT2_T3_T4_T5_mT6_T7_P12ihipStream_tbENKUlT_T0_E_clISt17integral_constantIbLb1EESZ_EEDaSU_SV_EUlSU_E_NS1_11comp_targetILNS1_3genE2ELNS1_11target_archE906ELNS1_3gpuE6ELNS1_3repE0EEENS1_30default_config_static_selectorELNS0_4arch9wavefront6targetE0EEEvT1_: ; @_ZN7rocprim17ROCPRIM_400000_NS6detail17trampoline_kernelINS0_14default_configENS1_27scan_by_key_config_selectorIssEEZZNS1_16scan_by_key_implILNS1_25lookback_scan_determinismE0ELb1ES3_N6thrust23THRUST_200600_302600_NS6detail15normal_iteratorINS9_10device_ptrIsEEEESE_SE_sNS9_4plusIvEENS9_8equal_toIvEEsEE10hipError_tPvRmT2_T3_T4_T5_mT6_T7_P12ihipStream_tbENKUlT_T0_E_clISt17integral_constantIbLb1EESZ_EEDaSU_SV_EUlSU_E_NS1_11comp_targetILNS1_3genE2ELNS1_11target_archE906ELNS1_3gpuE6ELNS1_3repE0EEENS1_30default_config_static_selectorELNS0_4arch9wavefront6targetE0EEEvT1_
; %bb.0:
	.section	.rodata,"a",@progbits
	.p2align	6, 0x0
	.amdhsa_kernel _ZN7rocprim17ROCPRIM_400000_NS6detail17trampoline_kernelINS0_14default_configENS1_27scan_by_key_config_selectorIssEEZZNS1_16scan_by_key_implILNS1_25lookback_scan_determinismE0ELb1ES3_N6thrust23THRUST_200600_302600_NS6detail15normal_iteratorINS9_10device_ptrIsEEEESE_SE_sNS9_4plusIvEENS9_8equal_toIvEEsEE10hipError_tPvRmT2_T3_T4_T5_mT6_T7_P12ihipStream_tbENKUlT_T0_E_clISt17integral_constantIbLb1EESZ_EEDaSU_SV_EUlSU_E_NS1_11comp_targetILNS1_3genE2ELNS1_11target_archE906ELNS1_3gpuE6ELNS1_3repE0EEENS1_30default_config_static_selectorELNS0_4arch9wavefront6targetE0EEEvT1_
		.amdhsa_group_segment_fixed_size 0
		.amdhsa_private_segment_fixed_size 0
		.amdhsa_kernarg_size 112
		.amdhsa_user_sgpr_count 2
		.amdhsa_user_sgpr_dispatch_ptr 0
		.amdhsa_user_sgpr_queue_ptr 0
		.amdhsa_user_sgpr_kernarg_segment_ptr 1
		.amdhsa_user_sgpr_dispatch_id 0
		.amdhsa_user_sgpr_kernarg_preload_length 0
		.amdhsa_user_sgpr_kernarg_preload_offset 0
		.amdhsa_user_sgpr_private_segment_size 0
		.amdhsa_wavefront_size32 1
		.amdhsa_uses_dynamic_stack 0
		.amdhsa_enable_private_segment 0
		.amdhsa_system_sgpr_workgroup_id_x 1
		.amdhsa_system_sgpr_workgroup_id_y 0
		.amdhsa_system_sgpr_workgroup_id_z 0
		.amdhsa_system_sgpr_workgroup_info 0
		.amdhsa_system_vgpr_workitem_id 0
		.amdhsa_next_free_vgpr 1
		.amdhsa_next_free_sgpr 1
		.amdhsa_named_barrier_count 0
		.amdhsa_reserve_vcc 0
		.amdhsa_float_round_mode_32 0
		.amdhsa_float_round_mode_16_64 0
		.amdhsa_float_denorm_mode_32 3
		.amdhsa_float_denorm_mode_16_64 3
		.amdhsa_fp16_overflow 0
		.amdhsa_memory_ordered 1
		.amdhsa_forward_progress 1
		.amdhsa_inst_pref_size 0
		.amdhsa_round_robin_scheduling 0
		.amdhsa_exception_fp_ieee_invalid_op 0
		.amdhsa_exception_fp_denorm_src 0
		.amdhsa_exception_fp_ieee_div_zero 0
		.amdhsa_exception_fp_ieee_overflow 0
		.amdhsa_exception_fp_ieee_underflow 0
		.amdhsa_exception_fp_ieee_inexact 0
		.amdhsa_exception_int_div_zero 0
	.end_amdhsa_kernel
	.section	.text._ZN7rocprim17ROCPRIM_400000_NS6detail17trampoline_kernelINS0_14default_configENS1_27scan_by_key_config_selectorIssEEZZNS1_16scan_by_key_implILNS1_25lookback_scan_determinismE0ELb1ES3_N6thrust23THRUST_200600_302600_NS6detail15normal_iteratorINS9_10device_ptrIsEEEESE_SE_sNS9_4plusIvEENS9_8equal_toIvEEsEE10hipError_tPvRmT2_T3_T4_T5_mT6_T7_P12ihipStream_tbENKUlT_T0_E_clISt17integral_constantIbLb1EESZ_EEDaSU_SV_EUlSU_E_NS1_11comp_targetILNS1_3genE2ELNS1_11target_archE906ELNS1_3gpuE6ELNS1_3repE0EEENS1_30default_config_static_selectorELNS0_4arch9wavefront6targetE0EEEvT1_,"axG",@progbits,_ZN7rocprim17ROCPRIM_400000_NS6detail17trampoline_kernelINS0_14default_configENS1_27scan_by_key_config_selectorIssEEZZNS1_16scan_by_key_implILNS1_25lookback_scan_determinismE0ELb1ES3_N6thrust23THRUST_200600_302600_NS6detail15normal_iteratorINS9_10device_ptrIsEEEESE_SE_sNS9_4plusIvEENS9_8equal_toIvEEsEE10hipError_tPvRmT2_T3_T4_T5_mT6_T7_P12ihipStream_tbENKUlT_T0_E_clISt17integral_constantIbLb1EESZ_EEDaSU_SV_EUlSU_E_NS1_11comp_targetILNS1_3genE2ELNS1_11target_archE906ELNS1_3gpuE6ELNS1_3repE0EEENS1_30default_config_static_selectorELNS0_4arch9wavefront6targetE0EEEvT1_,comdat
.Lfunc_end583:
	.size	_ZN7rocprim17ROCPRIM_400000_NS6detail17trampoline_kernelINS0_14default_configENS1_27scan_by_key_config_selectorIssEEZZNS1_16scan_by_key_implILNS1_25lookback_scan_determinismE0ELb1ES3_N6thrust23THRUST_200600_302600_NS6detail15normal_iteratorINS9_10device_ptrIsEEEESE_SE_sNS9_4plusIvEENS9_8equal_toIvEEsEE10hipError_tPvRmT2_T3_T4_T5_mT6_T7_P12ihipStream_tbENKUlT_T0_E_clISt17integral_constantIbLb1EESZ_EEDaSU_SV_EUlSU_E_NS1_11comp_targetILNS1_3genE2ELNS1_11target_archE906ELNS1_3gpuE6ELNS1_3repE0EEENS1_30default_config_static_selectorELNS0_4arch9wavefront6targetE0EEEvT1_, .Lfunc_end583-_ZN7rocprim17ROCPRIM_400000_NS6detail17trampoline_kernelINS0_14default_configENS1_27scan_by_key_config_selectorIssEEZZNS1_16scan_by_key_implILNS1_25lookback_scan_determinismE0ELb1ES3_N6thrust23THRUST_200600_302600_NS6detail15normal_iteratorINS9_10device_ptrIsEEEESE_SE_sNS9_4plusIvEENS9_8equal_toIvEEsEE10hipError_tPvRmT2_T3_T4_T5_mT6_T7_P12ihipStream_tbENKUlT_T0_E_clISt17integral_constantIbLb1EESZ_EEDaSU_SV_EUlSU_E_NS1_11comp_targetILNS1_3genE2ELNS1_11target_archE906ELNS1_3gpuE6ELNS1_3repE0EEENS1_30default_config_static_selectorELNS0_4arch9wavefront6targetE0EEEvT1_
                                        ; -- End function
	.set _ZN7rocprim17ROCPRIM_400000_NS6detail17trampoline_kernelINS0_14default_configENS1_27scan_by_key_config_selectorIssEEZZNS1_16scan_by_key_implILNS1_25lookback_scan_determinismE0ELb1ES3_N6thrust23THRUST_200600_302600_NS6detail15normal_iteratorINS9_10device_ptrIsEEEESE_SE_sNS9_4plusIvEENS9_8equal_toIvEEsEE10hipError_tPvRmT2_T3_T4_T5_mT6_T7_P12ihipStream_tbENKUlT_T0_E_clISt17integral_constantIbLb1EESZ_EEDaSU_SV_EUlSU_E_NS1_11comp_targetILNS1_3genE2ELNS1_11target_archE906ELNS1_3gpuE6ELNS1_3repE0EEENS1_30default_config_static_selectorELNS0_4arch9wavefront6targetE0EEEvT1_.num_vgpr, 0
	.set _ZN7rocprim17ROCPRIM_400000_NS6detail17trampoline_kernelINS0_14default_configENS1_27scan_by_key_config_selectorIssEEZZNS1_16scan_by_key_implILNS1_25lookback_scan_determinismE0ELb1ES3_N6thrust23THRUST_200600_302600_NS6detail15normal_iteratorINS9_10device_ptrIsEEEESE_SE_sNS9_4plusIvEENS9_8equal_toIvEEsEE10hipError_tPvRmT2_T3_T4_T5_mT6_T7_P12ihipStream_tbENKUlT_T0_E_clISt17integral_constantIbLb1EESZ_EEDaSU_SV_EUlSU_E_NS1_11comp_targetILNS1_3genE2ELNS1_11target_archE906ELNS1_3gpuE6ELNS1_3repE0EEENS1_30default_config_static_selectorELNS0_4arch9wavefront6targetE0EEEvT1_.num_agpr, 0
	.set _ZN7rocprim17ROCPRIM_400000_NS6detail17trampoline_kernelINS0_14default_configENS1_27scan_by_key_config_selectorIssEEZZNS1_16scan_by_key_implILNS1_25lookback_scan_determinismE0ELb1ES3_N6thrust23THRUST_200600_302600_NS6detail15normal_iteratorINS9_10device_ptrIsEEEESE_SE_sNS9_4plusIvEENS9_8equal_toIvEEsEE10hipError_tPvRmT2_T3_T4_T5_mT6_T7_P12ihipStream_tbENKUlT_T0_E_clISt17integral_constantIbLb1EESZ_EEDaSU_SV_EUlSU_E_NS1_11comp_targetILNS1_3genE2ELNS1_11target_archE906ELNS1_3gpuE6ELNS1_3repE0EEENS1_30default_config_static_selectorELNS0_4arch9wavefront6targetE0EEEvT1_.numbered_sgpr, 0
	.set _ZN7rocprim17ROCPRIM_400000_NS6detail17trampoline_kernelINS0_14default_configENS1_27scan_by_key_config_selectorIssEEZZNS1_16scan_by_key_implILNS1_25lookback_scan_determinismE0ELb1ES3_N6thrust23THRUST_200600_302600_NS6detail15normal_iteratorINS9_10device_ptrIsEEEESE_SE_sNS9_4plusIvEENS9_8equal_toIvEEsEE10hipError_tPvRmT2_T3_T4_T5_mT6_T7_P12ihipStream_tbENKUlT_T0_E_clISt17integral_constantIbLb1EESZ_EEDaSU_SV_EUlSU_E_NS1_11comp_targetILNS1_3genE2ELNS1_11target_archE906ELNS1_3gpuE6ELNS1_3repE0EEENS1_30default_config_static_selectorELNS0_4arch9wavefront6targetE0EEEvT1_.num_named_barrier, 0
	.set _ZN7rocprim17ROCPRIM_400000_NS6detail17trampoline_kernelINS0_14default_configENS1_27scan_by_key_config_selectorIssEEZZNS1_16scan_by_key_implILNS1_25lookback_scan_determinismE0ELb1ES3_N6thrust23THRUST_200600_302600_NS6detail15normal_iteratorINS9_10device_ptrIsEEEESE_SE_sNS9_4plusIvEENS9_8equal_toIvEEsEE10hipError_tPvRmT2_T3_T4_T5_mT6_T7_P12ihipStream_tbENKUlT_T0_E_clISt17integral_constantIbLb1EESZ_EEDaSU_SV_EUlSU_E_NS1_11comp_targetILNS1_3genE2ELNS1_11target_archE906ELNS1_3gpuE6ELNS1_3repE0EEENS1_30default_config_static_selectorELNS0_4arch9wavefront6targetE0EEEvT1_.private_seg_size, 0
	.set _ZN7rocprim17ROCPRIM_400000_NS6detail17trampoline_kernelINS0_14default_configENS1_27scan_by_key_config_selectorIssEEZZNS1_16scan_by_key_implILNS1_25lookback_scan_determinismE0ELb1ES3_N6thrust23THRUST_200600_302600_NS6detail15normal_iteratorINS9_10device_ptrIsEEEESE_SE_sNS9_4plusIvEENS9_8equal_toIvEEsEE10hipError_tPvRmT2_T3_T4_T5_mT6_T7_P12ihipStream_tbENKUlT_T0_E_clISt17integral_constantIbLb1EESZ_EEDaSU_SV_EUlSU_E_NS1_11comp_targetILNS1_3genE2ELNS1_11target_archE906ELNS1_3gpuE6ELNS1_3repE0EEENS1_30default_config_static_selectorELNS0_4arch9wavefront6targetE0EEEvT1_.uses_vcc, 0
	.set _ZN7rocprim17ROCPRIM_400000_NS6detail17trampoline_kernelINS0_14default_configENS1_27scan_by_key_config_selectorIssEEZZNS1_16scan_by_key_implILNS1_25lookback_scan_determinismE0ELb1ES3_N6thrust23THRUST_200600_302600_NS6detail15normal_iteratorINS9_10device_ptrIsEEEESE_SE_sNS9_4plusIvEENS9_8equal_toIvEEsEE10hipError_tPvRmT2_T3_T4_T5_mT6_T7_P12ihipStream_tbENKUlT_T0_E_clISt17integral_constantIbLb1EESZ_EEDaSU_SV_EUlSU_E_NS1_11comp_targetILNS1_3genE2ELNS1_11target_archE906ELNS1_3gpuE6ELNS1_3repE0EEENS1_30default_config_static_selectorELNS0_4arch9wavefront6targetE0EEEvT1_.uses_flat_scratch, 0
	.set _ZN7rocprim17ROCPRIM_400000_NS6detail17trampoline_kernelINS0_14default_configENS1_27scan_by_key_config_selectorIssEEZZNS1_16scan_by_key_implILNS1_25lookback_scan_determinismE0ELb1ES3_N6thrust23THRUST_200600_302600_NS6detail15normal_iteratorINS9_10device_ptrIsEEEESE_SE_sNS9_4plusIvEENS9_8equal_toIvEEsEE10hipError_tPvRmT2_T3_T4_T5_mT6_T7_P12ihipStream_tbENKUlT_T0_E_clISt17integral_constantIbLb1EESZ_EEDaSU_SV_EUlSU_E_NS1_11comp_targetILNS1_3genE2ELNS1_11target_archE906ELNS1_3gpuE6ELNS1_3repE0EEENS1_30default_config_static_selectorELNS0_4arch9wavefront6targetE0EEEvT1_.has_dyn_sized_stack, 0
	.set _ZN7rocprim17ROCPRIM_400000_NS6detail17trampoline_kernelINS0_14default_configENS1_27scan_by_key_config_selectorIssEEZZNS1_16scan_by_key_implILNS1_25lookback_scan_determinismE0ELb1ES3_N6thrust23THRUST_200600_302600_NS6detail15normal_iteratorINS9_10device_ptrIsEEEESE_SE_sNS9_4plusIvEENS9_8equal_toIvEEsEE10hipError_tPvRmT2_T3_T4_T5_mT6_T7_P12ihipStream_tbENKUlT_T0_E_clISt17integral_constantIbLb1EESZ_EEDaSU_SV_EUlSU_E_NS1_11comp_targetILNS1_3genE2ELNS1_11target_archE906ELNS1_3gpuE6ELNS1_3repE0EEENS1_30default_config_static_selectorELNS0_4arch9wavefront6targetE0EEEvT1_.has_recursion, 0
	.set _ZN7rocprim17ROCPRIM_400000_NS6detail17trampoline_kernelINS0_14default_configENS1_27scan_by_key_config_selectorIssEEZZNS1_16scan_by_key_implILNS1_25lookback_scan_determinismE0ELb1ES3_N6thrust23THRUST_200600_302600_NS6detail15normal_iteratorINS9_10device_ptrIsEEEESE_SE_sNS9_4plusIvEENS9_8equal_toIvEEsEE10hipError_tPvRmT2_T3_T4_T5_mT6_T7_P12ihipStream_tbENKUlT_T0_E_clISt17integral_constantIbLb1EESZ_EEDaSU_SV_EUlSU_E_NS1_11comp_targetILNS1_3genE2ELNS1_11target_archE906ELNS1_3gpuE6ELNS1_3repE0EEENS1_30default_config_static_selectorELNS0_4arch9wavefront6targetE0EEEvT1_.has_indirect_call, 0
	.section	.AMDGPU.csdata,"",@progbits
; Kernel info:
; codeLenInByte = 0
; TotalNumSgprs: 0
; NumVgprs: 0
; ScratchSize: 0
; MemoryBound: 0
; FloatMode: 240
; IeeeMode: 1
; LDSByteSize: 0 bytes/workgroup (compile time only)
; SGPRBlocks: 0
; VGPRBlocks: 0
; NumSGPRsForWavesPerEU: 1
; NumVGPRsForWavesPerEU: 1
; NamedBarCnt: 0
; Occupancy: 16
; WaveLimiterHint : 0
; COMPUTE_PGM_RSRC2:SCRATCH_EN: 0
; COMPUTE_PGM_RSRC2:USER_SGPR: 2
; COMPUTE_PGM_RSRC2:TRAP_HANDLER: 0
; COMPUTE_PGM_RSRC2:TGID_X_EN: 1
; COMPUTE_PGM_RSRC2:TGID_Y_EN: 0
; COMPUTE_PGM_RSRC2:TGID_Z_EN: 0
; COMPUTE_PGM_RSRC2:TIDIG_COMP_CNT: 0
	.section	.text._ZN7rocprim17ROCPRIM_400000_NS6detail17trampoline_kernelINS0_14default_configENS1_27scan_by_key_config_selectorIssEEZZNS1_16scan_by_key_implILNS1_25lookback_scan_determinismE0ELb1ES3_N6thrust23THRUST_200600_302600_NS6detail15normal_iteratorINS9_10device_ptrIsEEEESE_SE_sNS9_4plusIvEENS9_8equal_toIvEEsEE10hipError_tPvRmT2_T3_T4_T5_mT6_T7_P12ihipStream_tbENKUlT_T0_E_clISt17integral_constantIbLb1EESZ_EEDaSU_SV_EUlSU_E_NS1_11comp_targetILNS1_3genE10ELNS1_11target_archE1200ELNS1_3gpuE4ELNS1_3repE0EEENS1_30default_config_static_selectorELNS0_4arch9wavefront6targetE0EEEvT1_,"axG",@progbits,_ZN7rocprim17ROCPRIM_400000_NS6detail17trampoline_kernelINS0_14default_configENS1_27scan_by_key_config_selectorIssEEZZNS1_16scan_by_key_implILNS1_25lookback_scan_determinismE0ELb1ES3_N6thrust23THRUST_200600_302600_NS6detail15normal_iteratorINS9_10device_ptrIsEEEESE_SE_sNS9_4plusIvEENS9_8equal_toIvEEsEE10hipError_tPvRmT2_T3_T4_T5_mT6_T7_P12ihipStream_tbENKUlT_T0_E_clISt17integral_constantIbLb1EESZ_EEDaSU_SV_EUlSU_E_NS1_11comp_targetILNS1_3genE10ELNS1_11target_archE1200ELNS1_3gpuE4ELNS1_3repE0EEENS1_30default_config_static_selectorELNS0_4arch9wavefront6targetE0EEEvT1_,comdat
	.protected	_ZN7rocprim17ROCPRIM_400000_NS6detail17trampoline_kernelINS0_14default_configENS1_27scan_by_key_config_selectorIssEEZZNS1_16scan_by_key_implILNS1_25lookback_scan_determinismE0ELb1ES3_N6thrust23THRUST_200600_302600_NS6detail15normal_iteratorINS9_10device_ptrIsEEEESE_SE_sNS9_4plusIvEENS9_8equal_toIvEEsEE10hipError_tPvRmT2_T3_T4_T5_mT6_T7_P12ihipStream_tbENKUlT_T0_E_clISt17integral_constantIbLb1EESZ_EEDaSU_SV_EUlSU_E_NS1_11comp_targetILNS1_3genE10ELNS1_11target_archE1200ELNS1_3gpuE4ELNS1_3repE0EEENS1_30default_config_static_selectorELNS0_4arch9wavefront6targetE0EEEvT1_ ; -- Begin function _ZN7rocprim17ROCPRIM_400000_NS6detail17trampoline_kernelINS0_14default_configENS1_27scan_by_key_config_selectorIssEEZZNS1_16scan_by_key_implILNS1_25lookback_scan_determinismE0ELb1ES3_N6thrust23THRUST_200600_302600_NS6detail15normal_iteratorINS9_10device_ptrIsEEEESE_SE_sNS9_4plusIvEENS9_8equal_toIvEEsEE10hipError_tPvRmT2_T3_T4_T5_mT6_T7_P12ihipStream_tbENKUlT_T0_E_clISt17integral_constantIbLb1EESZ_EEDaSU_SV_EUlSU_E_NS1_11comp_targetILNS1_3genE10ELNS1_11target_archE1200ELNS1_3gpuE4ELNS1_3repE0EEENS1_30default_config_static_selectorELNS0_4arch9wavefront6targetE0EEEvT1_
	.globl	_ZN7rocprim17ROCPRIM_400000_NS6detail17trampoline_kernelINS0_14default_configENS1_27scan_by_key_config_selectorIssEEZZNS1_16scan_by_key_implILNS1_25lookback_scan_determinismE0ELb1ES3_N6thrust23THRUST_200600_302600_NS6detail15normal_iteratorINS9_10device_ptrIsEEEESE_SE_sNS9_4plusIvEENS9_8equal_toIvEEsEE10hipError_tPvRmT2_T3_T4_T5_mT6_T7_P12ihipStream_tbENKUlT_T0_E_clISt17integral_constantIbLb1EESZ_EEDaSU_SV_EUlSU_E_NS1_11comp_targetILNS1_3genE10ELNS1_11target_archE1200ELNS1_3gpuE4ELNS1_3repE0EEENS1_30default_config_static_selectorELNS0_4arch9wavefront6targetE0EEEvT1_
	.p2align	8
	.type	_ZN7rocprim17ROCPRIM_400000_NS6detail17trampoline_kernelINS0_14default_configENS1_27scan_by_key_config_selectorIssEEZZNS1_16scan_by_key_implILNS1_25lookback_scan_determinismE0ELb1ES3_N6thrust23THRUST_200600_302600_NS6detail15normal_iteratorINS9_10device_ptrIsEEEESE_SE_sNS9_4plusIvEENS9_8equal_toIvEEsEE10hipError_tPvRmT2_T3_T4_T5_mT6_T7_P12ihipStream_tbENKUlT_T0_E_clISt17integral_constantIbLb1EESZ_EEDaSU_SV_EUlSU_E_NS1_11comp_targetILNS1_3genE10ELNS1_11target_archE1200ELNS1_3gpuE4ELNS1_3repE0EEENS1_30default_config_static_selectorELNS0_4arch9wavefront6targetE0EEEvT1_,@function
_ZN7rocprim17ROCPRIM_400000_NS6detail17trampoline_kernelINS0_14default_configENS1_27scan_by_key_config_selectorIssEEZZNS1_16scan_by_key_implILNS1_25lookback_scan_determinismE0ELb1ES3_N6thrust23THRUST_200600_302600_NS6detail15normal_iteratorINS9_10device_ptrIsEEEESE_SE_sNS9_4plusIvEENS9_8equal_toIvEEsEE10hipError_tPvRmT2_T3_T4_T5_mT6_T7_P12ihipStream_tbENKUlT_T0_E_clISt17integral_constantIbLb1EESZ_EEDaSU_SV_EUlSU_E_NS1_11comp_targetILNS1_3genE10ELNS1_11target_archE1200ELNS1_3gpuE4ELNS1_3repE0EEENS1_30default_config_static_selectorELNS0_4arch9wavefront6targetE0EEEvT1_: ; @_ZN7rocprim17ROCPRIM_400000_NS6detail17trampoline_kernelINS0_14default_configENS1_27scan_by_key_config_selectorIssEEZZNS1_16scan_by_key_implILNS1_25lookback_scan_determinismE0ELb1ES3_N6thrust23THRUST_200600_302600_NS6detail15normal_iteratorINS9_10device_ptrIsEEEESE_SE_sNS9_4plusIvEENS9_8equal_toIvEEsEE10hipError_tPvRmT2_T3_T4_T5_mT6_T7_P12ihipStream_tbENKUlT_T0_E_clISt17integral_constantIbLb1EESZ_EEDaSU_SV_EUlSU_E_NS1_11comp_targetILNS1_3genE10ELNS1_11target_archE1200ELNS1_3gpuE4ELNS1_3repE0EEENS1_30default_config_static_selectorELNS0_4arch9wavefront6targetE0EEEvT1_
; %bb.0:
	.section	.rodata,"a",@progbits
	.p2align	6, 0x0
	.amdhsa_kernel _ZN7rocprim17ROCPRIM_400000_NS6detail17trampoline_kernelINS0_14default_configENS1_27scan_by_key_config_selectorIssEEZZNS1_16scan_by_key_implILNS1_25lookback_scan_determinismE0ELb1ES3_N6thrust23THRUST_200600_302600_NS6detail15normal_iteratorINS9_10device_ptrIsEEEESE_SE_sNS9_4plusIvEENS9_8equal_toIvEEsEE10hipError_tPvRmT2_T3_T4_T5_mT6_T7_P12ihipStream_tbENKUlT_T0_E_clISt17integral_constantIbLb1EESZ_EEDaSU_SV_EUlSU_E_NS1_11comp_targetILNS1_3genE10ELNS1_11target_archE1200ELNS1_3gpuE4ELNS1_3repE0EEENS1_30default_config_static_selectorELNS0_4arch9wavefront6targetE0EEEvT1_
		.amdhsa_group_segment_fixed_size 0
		.amdhsa_private_segment_fixed_size 0
		.amdhsa_kernarg_size 112
		.amdhsa_user_sgpr_count 2
		.amdhsa_user_sgpr_dispatch_ptr 0
		.amdhsa_user_sgpr_queue_ptr 0
		.amdhsa_user_sgpr_kernarg_segment_ptr 1
		.amdhsa_user_sgpr_dispatch_id 0
		.amdhsa_user_sgpr_kernarg_preload_length 0
		.amdhsa_user_sgpr_kernarg_preload_offset 0
		.amdhsa_user_sgpr_private_segment_size 0
		.amdhsa_wavefront_size32 1
		.amdhsa_uses_dynamic_stack 0
		.amdhsa_enable_private_segment 0
		.amdhsa_system_sgpr_workgroup_id_x 1
		.amdhsa_system_sgpr_workgroup_id_y 0
		.amdhsa_system_sgpr_workgroup_id_z 0
		.amdhsa_system_sgpr_workgroup_info 0
		.amdhsa_system_vgpr_workitem_id 0
		.amdhsa_next_free_vgpr 1
		.amdhsa_next_free_sgpr 1
		.amdhsa_named_barrier_count 0
		.amdhsa_reserve_vcc 0
		.amdhsa_float_round_mode_32 0
		.amdhsa_float_round_mode_16_64 0
		.amdhsa_float_denorm_mode_32 3
		.amdhsa_float_denorm_mode_16_64 3
		.amdhsa_fp16_overflow 0
		.amdhsa_memory_ordered 1
		.amdhsa_forward_progress 1
		.amdhsa_inst_pref_size 0
		.amdhsa_round_robin_scheduling 0
		.amdhsa_exception_fp_ieee_invalid_op 0
		.amdhsa_exception_fp_denorm_src 0
		.amdhsa_exception_fp_ieee_div_zero 0
		.amdhsa_exception_fp_ieee_overflow 0
		.amdhsa_exception_fp_ieee_underflow 0
		.amdhsa_exception_fp_ieee_inexact 0
		.amdhsa_exception_int_div_zero 0
	.end_amdhsa_kernel
	.section	.text._ZN7rocprim17ROCPRIM_400000_NS6detail17trampoline_kernelINS0_14default_configENS1_27scan_by_key_config_selectorIssEEZZNS1_16scan_by_key_implILNS1_25lookback_scan_determinismE0ELb1ES3_N6thrust23THRUST_200600_302600_NS6detail15normal_iteratorINS9_10device_ptrIsEEEESE_SE_sNS9_4plusIvEENS9_8equal_toIvEEsEE10hipError_tPvRmT2_T3_T4_T5_mT6_T7_P12ihipStream_tbENKUlT_T0_E_clISt17integral_constantIbLb1EESZ_EEDaSU_SV_EUlSU_E_NS1_11comp_targetILNS1_3genE10ELNS1_11target_archE1200ELNS1_3gpuE4ELNS1_3repE0EEENS1_30default_config_static_selectorELNS0_4arch9wavefront6targetE0EEEvT1_,"axG",@progbits,_ZN7rocprim17ROCPRIM_400000_NS6detail17trampoline_kernelINS0_14default_configENS1_27scan_by_key_config_selectorIssEEZZNS1_16scan_by_key_implILNS1_25lookback_scan_determinismE0ELb1ES3_N6thrust23THRUST_200600_302600_NS6detail15normal_iteratorINS9_10device_ptrIsEEEESE_SE_sNS9_4plusIvEENS9_8equal_toIvEEsEE10hipError_tPvRmT2_T3_T4_T5_mT6_T7_P12ihipStream_tbENKUlT_T0_E_clISt17integral_constantIbLb1EESZ_EEDaSU_SV_EUlSU_E_NS1_11comp_targetILNS1_3genE10ELNS1_11target_archE1200ELNS1_3gpuE4ELNS1_3repE0EEENS1_30default_config_static_selectorELNS0_4arch9wavefront6targetE0EEEvT1_,comdat
.Lfunc_end584:
	.size	_ZN7rocprim17ROCPRIM_400000_NS6detail17trampoline_kernelINS0_14default_configENS1_27scan_by_key_config_selectorIssEEZZNS1_16scan_by_key_implILNS1_25lookback_scan_determinismE0ELb1ES3_N6thrust23THRUST_200600_302600_NS6detail15normal_iteratorINS9_10device_ptrIsEEEESE_SE_sNS9_4plusIvEENS9_8equal_toIvEEsEE10hipError_tPvRmT2_T3_T4_T5_mT6_T7_P12ihipStream_tbENKUlT_T0_E_clISt17integral_constantIbLb1EESZ_EEDaSU_SV_EUlSU_E_NS1_11comp_targetILNS1_3genE10ELNS1_11target_archE1200ELNS1_3gpuE4ELNS1_3repE0EEENS1_30default_config_static_selectorELNS0_4arch9wavefront6targetE0EEEvT1_, .Lfunc_end584-_ZN7rocprim17ROCPRIM_400000_NS6detail17trampoline_kernelINS0_14default_configENS1_27scan_by_key_config_selectorIssEEZZNS1_16scan_by_key_implILNS1_25lookback_scan_determinismE0ELb1ES3_N6thrust23THRUST_200600_302600_NS6detail15normal_iteratorINS9_10device_ptrIsEEEESE_SE_sNS9_4plusIvEENS9_8equal_toIvEEsEE10hipError_tPvRmT2_T3_T4_T5_mT6_T7_P12ihipStream_tbENKUlT_T0_E_clISt17integral_constantIbLb1EESZ_EEDaSU_SV_EUlSU_E_NS1_11comp_targetILNS1_3genE10ELNS1_11target_archE1200ELNS1_3gpuE4ELNS1_3repE0EEENS1_30default_config_static_selectorELNS0_4arch9wavefront6targetE0EEEvT1_
                                        ; -- End function
	.set _ZN7rocprim17ROCPRIM_400000_NS6detail17trampoline_kernelINS0_14default_configENS1_27scan_by_key_config_selectorIssEEZZNS1_16scan_by_key_implILNS1_25lookback_scan_determinismE0ELb1ES3_N6thrust23THRUST_200600_302600_NS6detail15normal_iteratorINS9_10device_ptrIsEEEESE_SE_sNS9_4plusIvEENS9_8equal_toIvEEsEE10hipError_tPvRmT2_T3_T4_T5_mT6_T7_P12ihipStream_tbENKUlT_T0_E_clISt17integral_constantIbLb1EESZ_EEDaSU_SV_EUlSU_E_NS1_11comp_targetILNS1_3genE10ELNS1_11target_archE1200ELNS1_3gpuE4ELNS1_3repE0EEENS1_30default_config_static_selectorELNS0_4arch9wavefront6targetE0EEEvT1_.num_vgpr, 0
	.set _ZN7rocprim17ROCPRIM_400000_NS6detail17trampoline_kernelINS0_14default_configENS1_27scan_by_key_config_selectorIssEEZZNS1_16scan_by_key_implILNS1_25lookback_scan_determinismE0ELb1ES3_N6thrust23THRUST_200600_302600_NS6detail15normal_iteratorINS9_10device_ptrIsEEEESE_SE_sNS9_4plusIvEENS9_8equal_toIvEEsEE10hipError_tPvRmT2_T3_T4_T5_mT6_T7_P12ihipStream_tbENKUlT_T0_E_clISt17integral_constantIbLb1EESZ_EEDaSU_SV_EUlSU_E_NS1_11comp_targetILNS1_3genE10ELNS1_11target_archE1200ELNS1_3gpuE4ELNS1_3repE0EEENS1_30default_config_static_selectorELNS0_4arch9wavefront6targetE0EEEvT1_.num_agpr, 0
	.set _ZN7rocprim17ROCPRIM_400000_NS6detail17trampoline_kernelINS0_14default_configENS1_27scan_by_key_config_selectorIssEEZZNS1_16scan_by_key_implILNS1_25lookback_scan_determinismE0ELb1ES3_N6thrust23THRUST_200600_302600_NS6detail15normal_iteratorINS9_10device_ptrIsEEEESE_SE_sNS9_4plusIvEENS9_8equal_toIvEEsEE10hipError_tPvRmT2_T3_T4_T5_mT6_T7_P12ihipStream_tbENKUlT_T0_E_clISt17integral_constantIbLb1EESZ_EEDaSU_SV_EUlSU_E_NS1_11comp_targetILNS1_3genE10ELNS1_11target_archE1200ELNS1_3gpuE4ELNS1_3repE0EEENS1_30default_config_static_selectorELNS0_4arch9wavefront6targetE0EEEvT1_.numbered_sgpr, 0
	.set _ZN7rocprim17ROCPRIM_400000_NS6detail17trampoline_kernelINS0_14default_configENS1_27scan_by_key_config_selectorIssEEZZNS1_16scan_by_key_implILNS1_25lookback_scan_determinismE0ELb1ES3_N6thrust23THRUST_200600_302600_NS6detail15normal_iteratorINS9_10device_ptrIsEEEESE_SE_sNS9_4plusIvEENS9_8equal_toIvEEsEE10hipError_tPvRmT2_T3_T4_T5_mT6_T7_P12ihipStream_tbENKUlT_T0_E_clISt17integral_constantIbLb1EESZ_EEDaSU_SV_EUlSU_E_NS1_11comp_targetILNS1_3genE10ELNS1_11target_archE1200ELNS1_3gpuE4ELNS1_3repE0EEENS1_30default_config_static_selectorELNS0_4arch9wavefront6targetE0EEEvT1_.num_named_barrier, 0
	.set _ZN7rocprim17ROCPRIM_400000_NS6detail17trampoline_kernelINS0_14default_configENS1_27scan_by_key_config_selectorIssEEZZNS1_16scan_by_key_implILNS1_25lookback_scan_determinismE0ELb1ES3_N6thrust23THRUST_200600_302600_NS6detail15normal_iteratorINS9_10device_ptrIsEEEESE_SE_sNS9_4plusIvEENS9_8equal_toIvEEsEE10hipError_tPvRmT2_T3_T4_T5_mT6_T7_P12ihipStream_tbENKUlT_T0_E_clISt17integral_constantIbLb1EESZ_EEDaSU_SV_EUlSU_E_NS1_11comp_targetILNS1_3genE10ELNS1_11target_archE1200ELNS1_3gpuE4ELNS1_3repE0EEENS1_30default_config_static_selectorELNS0_4arch9wavefront6targetE0EEEvT1_.private_seg_size, 0
	.set _ZN7rocprim17ROCPRIM_400000_NS6detail17trampoline_kernelINS0_14default_configENS1_27scan_by_key_config_selectorIssEEZZNS1_16scan_by_key_implILNS1_25lookback_scan_determinismE0ELb1ES3_N6thrust23THRUST_200600_302600_NS6detail15normal_iteratorINS9_10device_ptrIsEEEESE_SE_sNS9_4plusIvEENS9_8equal_toIvEEsEE10hipError_tPvRmT2_T3_T4_T5_mT6_T7_P12ihipStream_tbENKUlT_T0_E_clISt17integral_constantIbLb1EESZ_EEDaSU_SV_EUlSU_E_NS1_11comp_targetILNS1_3genE10ELNS1_11target_archE1200ELNS1_3gpuE4ELNS1_3repE0EEENS1_30default_config_static_selectorELNS0_4arch9wavefront6targetE0EEEvT1_.uses_vcc, 0
	.set _ZN7rocprim17ROCPRIM_400000_NS6detail17trampoline_kernelINS0_14default_configENS1_27scan_by_key_config_selectorIssEEZZNS1_16scan_by_key_implILNS1_25lookback_scan_determinismE0ELb1ES3_N6thrust23THRUST_200600_302600_NS6detail15normal_iteratorINS9_10device_ptrIsEEEESE_SE_sNS9_4plusIvEENS9_8equal_toIvEEsEE10hipError_tPvRmT2_T3_T4_T5_mT6_T7_P12ihipStream_tbENKUlT_T0_E_clISt17integral_constantIbLb1EESZ_EEDaSU_SV_EUlSU_E_NS1_11comp_targetILNS1_3genE10ELNS1_11target_archE1200ELNS1_3gpuE4ELNS1_3repE0EEENS1_30default_config_static_selectorELNS0_4arch9wavefront6targetE0EEEvT1_.uses_flat_scratch, 0
	.set _ZN7rocprim17ROCPRIM_400000_NS6detail17trampoline_kernelINS0_14default_configENS1_27scan_by_key_config_selectorIssEEZZNS1_16scan_by_key_implILNS1_25lookback_scan_determinismE0ELb1ES3_N6thrust23THRUST_200600_302600_NS6detail15normal_iteratorINS9_10device_ptrIsEEEESE_SE_sNS9_4plusIvEENS9_8equal_toIvEEsEE10hipError_tPvRmT2_T3_T4_T5_mT6_T7_P12ihipStream_tbENKUlT_T0_E_clISt17integral_constantIbLb1EESZ_EEDaSU_SV_EUlSU_E_NS1_11comp_targetILNS1_3genE10ELNS1_11target_archE1200ELNS1_3gpuE4ELNS1_3repE0EEENS1_30default_config_static_selectorELNS0_4arch9wavefront6targetE0EEEvT1_.has_dyn_sized_stack, 0
	.set _ZN7rocprim17ROCPRIM_400000_NS6detail17trampoline_kernelINS0_14default_configENS1_27scan_by_key_config_selectorIssEEZZNS1_16scan_by_key_implILNS1_25lookback_scan_determinismE0ELb1ES3_N6thrust23THRUST_200600_302600_NS6detail15normal_iteratorINS9_10device_ptrIsEEEESE_SE_sNS9_4plusIvEENS9_8equal_toIvEEsEE10hipError_tPvRmT2_T3_T4_T5_mT6_T7_P12ihipStream_tbENKUlT_T0_E_clISt17integral_constantIbLb1EESZ_EEDaSU_SV_EUlSU_E_NS1_11comp_targetILNS1_3genE10ELNS1_11target_archE1200ELNS1_3gpuE4ELNS1_3repE0EEENS1_30default_config_static_selectorELNS0_4arch9wavefront6targetE0EEEvT1_.has_recursion, 0
	.set _ZN7rocprim17ROCPRIM_400000_NS6detail17trampoline_kernelINS0_14default_configENS1_27scan_by_key_config_selectorIssEEZZNS1_16scan_by_key_implILNS1_25lookback_scan_determinismE0ELb1ES3_N6thrust23THRUST_200600_302600_NS6detail15normal_iteratorINS9_10device_ptrIsEEEESE_SE_sNS9_4plusIvEENS9_8equal_toIvEEsEE10hipError_tPvRmT2_T3_T4_T5_mT6_T7_P12ihipStream_tbENKUlT_T0_E_clISt17integral_constantIbLb1EESZ_EEDaSU_SV_EUlSU_E_NS1_11comp_targetILNS1_3genE10ELNS1_11target_archE1200ELNS1_3gpuE4ELNS1_3repE0EEENS1_30default_config_static_selectorELNS0_4arch9wavefront6targetE0EEEvT1_.has_indirect_call, 0
	.section	.AMDGPU.csdata,"",@progbits
; Kernel info:
; codeLenInByte = 0
; TotalNumSgprs: 0
; NumVgprs: 0
; ScratchSize: 0
; MemoryBound: 0
; FloatMode: 240
; IeeeMode: 1
; LDSByteSize: 0 bytes/workgroup (compile time only)
; SGPRBlocks: 0
; VGPRBlocks: 0
; NumSGPRsForWavesPerEU: 1
; NumVGPRsForWavesPerEU: 1
; NamedBarCnt: 0
; Occupancy: 16
; WaveLimiterHint : 0
; COMPUTE_PGM_RSRC2:SCRATCH_EN: 0
; COMPUTE_PGM_RSRC2:USER_SGPR: 2
; COMPUTE_PGM_RSRC2:TRAP_HANDLER: 0
; COMPUTE_PGM_RSRC2:TGID_X_EN: 1
; COMPUTE_PGM_RSRC2:TGID_Y_EN: 0
; COMPUTE_PGM_RSRC2:TGID_Z_EN: 0
; COMPUTE_PGM_RSRC2:TIDIG_COMP_CNT: 0
	.section	.text._ZN7rocprim17ROCPRIM_400000_NS6detail17trampoline_kernelINS0_14default_configENS1_27scan_by_key_config_selectorIssEEZZNS1_16scan_by_key_implILNS1_25lookback_scan_determinismE0ELb1ES3_N6thrust23THRUST_200600_302600_NS6detail15normal_iteratorINS9_10device_ptrIsEEEESE_SE_sNS9_4plusIvEENS9_8equal_toIvEEsEE10hipError_tPvRmT2_T3_T4_T5_mT6_T7_P12ihipStream_tbENKUlT_T0_E_clISt17integral_constantIbLb1EESZ_EEDaSU_SV_EUlSU_E_NS1_11comp_targetILNS1_3genE9ELNS1_11target_archE1100ELNS1_3gpuE3ELNS1_3repE0EEENS1_30default_config_static_selectorELNS0_4arch9wavefront6targetE0EEEvT1_,"axG",@progbits,_ZN7rocprim17ROCPRIM_400000_NS6detail17trampoline_kernelINS0_14default_configENS1_27scan_by_key_config_selectorIssEEZZNS1_16scan_by_key_implILNS1_25lookback_scan_determinismE0ELb1ES3_N6thrust23THRUST_200600_302600_NS6detail15normal_iteratorINS9_10device_ptrIsEEEESE_SE_sNS9_4plusIvEENS9_8equal_toIvEEsEE10hipError_tPvRmT2_T3_T4_T5_mT6_T7_P12ihipStream_tbENKUlT_T0_E_clISt17integral_constantIbLb1EESZ_EEDaSU_SV_EUlSU_E_NS1_11comp_targetILNS1_3genE9ELNS1_11target_archE1100ELNS1_3gpuE3ELNS1_3repE0EEENS1_30default_config_static_selectorELNS0_4arch9wavefront6targetE0EEEvT1_,comdat
	.protected	_ZN7rocprim17ROCPRIM_400000_NS6detail17trampoline_kernelINS0_14default_configENS1_27scan_by_key_config_selectorIssEEZZNS1_16scan_by_key_implILNS1_25lookback_scan_determinismE0ELb1ES3_N6thrust23THRUST_200600_302600_NS6detail15normal_iteratorINS9_10device_ptrIsEEEESE_SE_sNS9_4plusIvEENS9_8equal_toIvEEsEE10hipError_tPvRmT2_T3_T4_T5_mT6_T7_P12ihipStream_tbENKUlT_T0_E_clISt17integral_constantIbLb1EESZ_EEDaSU_SV_EUlSU_E_NS1_11comp_targetILNS1_3genE9ELNS1_11target_archE1100ELNS1_3gpuE3ELNS1_3repE0EEENS1_30default_config_static_selectorELNS0_4arch9wavefront6targetE0EEEvT1_ ; -- Begin function _ZN7rocprim17ROCPRIM_400000_NS6detail17trampoline_kernelINS0_14default_configENS1_27scan_by_key_config_selectorIssEEZZNS1_16scan_by_key_implILNS1_25lookback_scan_determinismE0ELb1ES3_N6thrust23THRUST_200600_302600_NS6detail15normal_iteratorINS9_10device_ptrIsEEEESE_SE_sNS9_4plusIvEENS9_8equal_toIvEEsEE10hipError_tPvRmT2_T3_T4_T5_mT6_T7_P12ihipStream_tbENKUlT_T0_E_clISt17integral_constantIbLb1EESZ_EEDaSU_SV_EUlSU_E_NS1_11comp_targetILNS1_3genE9ELNS1_11target_archE1100ELNS1_3gpuE3ELNS1_3repE0EEENS1_30default_config_static_selectorELNS0_4arch9wavefront6targetE0EEEvT1_
	.globl	_ZN7rocprim17ROCPRIM_400000_NS6detail17trampoline_kernelINS0_14default_configENS1_27scan_by_key_config_selectorIssEEZZNS1_16scan_by_key_implILNS1_25lookback_scan_determinismE0ELb1ES3_N6thrust23THRUST_200600_302600_NS6detail15normal_iteratorINS9_10device_ptrIsEEEESE_SE_sNS9_4plusIvEENS9_8equal_toIvEEsEE10hipError_tPvRmT2_T3_T4_T5_mT6_T7_P12ihipStream_tbENKUlT_T0_E_clISt17integral_constantIbLb1EESZ_EEDaSU_SV_EUlSU_E_NS1_11comp_targetILNS1_3genE9ELNS1_11target_archE1100ELNS1_3gpuE3ELNS1_3repE0EEENS1_30default_config_static_selectorELNS0_4arch9wavefront6targetE0EEEvT1_
	.p2align	8
	.type	_ZN7rocprim17ROCPRIM_400000_NS6detail17trampoline_kernelINS0_14default_configENS1_27scan_by_key_config_selectorIssEEZZNS1_16scan_by_key_implILNS1_25lookback_scan_determinismE0ELb1ES3_N6thrust23THRUST_200600_302600_NS6detail15normal_iteratorINS9_10device_ptrIsEEEESE_SE_sNS9_4plusIvEENS9_8equal_toIvEEsEE10hipError_tPvRmT2_T3_T4_T5_mT6_T7_P12ihipStream_tbENKUlT_T0_E_clISt17integral_constantIbLb1EESZ_EEDaSU_SV_EUlSU_E_NS1_11comp_targetILNS1_3genE9ELNS1_11target_archE1100ELNS1_3gpuE3ELNS1_3repE0EEENS1_30default_config_static_selectorELNS0_4arch9wavefront6targetE0EEEvT1_,@function
_ZN7rocprim17ROCPRIM_400000_NS6detail17trampoline_kernelINS0_14default_configENS1_27scan_by_key_config_selectorIssEEZZNS1_16scan_by_key_implILNS1_25lookback_scan_determinismE0ELb1ES3_N6thrust23THRUST_200600_302600_NS6detail15normal_iteratorINS9_10device_ptrIsEEEESE_SE_sNS9_4plusIvEENS9_8equal_toIvEEsEE10hipError_tPvRmT2_T3_T4_T5_mT6_T7_P12ihipStream_tbENKUlT_T0_E_clISt17integral_constantIbLb1EESZ_EEDaSU_SV_EUlSU_E_NS1_11comp_targetILNS1_3genE9ELNS1_11target_archE1100ELNS1_3gpuE3ELNS1_3repE0EEENS1_30default_config_static_selectorELNS0_4arch9wavefront6targetE0EEEvT1_: ; @_ZN7rocprim17ROCPRIM_400000_NS6detail17trampoline_kernelINS0_14default_configENS1_27scan_by_key_config_selectorIssEEZZNS1_16scan_by_key_implILNS1_25lookback_scan_determinismE0ELb1ES3_N6thrust23THRUST_200600_302600_NS6detail15normal_iteratorINS9_10device_ptrIsEEEESE_SE_sNS9_4plusIvEENS9_8equal_toIvEEsEE10hipError_tPvRmT2_T3_T4_T5_mT6_T7_P12ihipStream_tbENKUlT_T0_E_clISt17integral_constantIbLb1EESZ_EEDaSU_SV_EUlSU_E_NS1_11comp_targetILNS1_3genE9ELNS1_11target_archE1100ELNS1_3gpuE3ELNS1_3repE0EEENS1_30default_config_static_selectorELNS0_4arch9wavefront6targetE0EEEvT1_
; %bb.0:
	.section	.rodata,"a",@progbits
	.p2align	6, 0x0
	.amdhsa_kernel _ZN7rocprim17ROCPRIM_400000_NS6detail17trampoline_kernelINS0_14default_configENS1_27scan_by_key_config_selectorIssEEZZNS1_16scan_by_key_implILNS1_25lookback_scan_determinismE0ELb1ES3_N6thrust23THRUST_200600_302600_NS6detail15normal_iteratorINS9_10device_ptrIsEEEESE_SE_sNS9_4plusIvEENS9_8equal_toIvEEsEE10hipError_tPvRmT2_T3_T4_T5_mT6_T7_P12ihipStream_tbENKUlT_T0_E_clISt17integral_constantIbLb1EESZ_EEDaSU_SV_EUlSU_E_NS1_11comp_targetILNS1_3genE9ELNS1_11target_archE1100ELNS1_3gpuE3ELNS1_3repE0EEENS1_30default_config_static_selectorELNS0_4arch9wavefront6targetE0EEEvT1_
		.amdhsa_group_segment_fixed_size 0
		.amdhsa_private_segment_fixed_size 0
		.amdhsa_kernarg_size 112
		.amdhsa_user_sgpr_count 2
		.amdhsa_user_sgpr_dispatch_ptr 0
		.amdhsa_user_sgpr_queue_ptr 0
		.amdhsa_user_sgpr_kernarg_segment_ptr 1
		.amdhsa_user_sgpr_dispatch_id 0
		.amdhsa_user_sgpr_kernarg_preload_length 0
		.amdhsa_user_sgpr_kernarg_preload_offset 0
		.amdhsa_user_sgpr_private_segment_size 0
		.amdhsa_wavefront_size32 1
		.amdhsa_uses_dynamic_stack 0
		.amdhsa_enable_private_segment 0
		.amdhsa_system_sgpr_workgroup_id_x 1
		.amdhsa_system_sgpr_workgroup_id_y 0
		.amdhsa_system_sgpr_workgroup_id_z 0
		.amdhsa_system_sgpr_workgroup_info 0
		.amdhsa_system_vgpr_workitem_id 0
		.amdhsa_next_free_vgpr 1
		.amdhsa_next_free_sgpr 1
		.amdhsa_named_barrier_count 0
		.amdhsa_reserve_vcc 0
		.amdhsa_float_round_mode_32 0
		.amdhsa_float_round_mode_16_64 0
		.amdhsa_float_denorm_mode_32 3
		.amdhsa_float_denorm_mode_16_64 3
		.amdhsa_fp16_overflow 0
		.amdhsa_memory_ordered 1
		.amdhsa_forward_progress 1
		.amdhsa_inst_pref_size 0
		.amdhsa_round_robin_scheduling 0
		.amdhsa_exception_fp_ieee_invalid_op 0
		.amdhsa_exception_fp_denorm_src 0
		.amdhsa_exception_fp_ieee_div_zero 0
		.amdhsa_exception_fp_ieee_overflow 0
		.amdhsa_exception_fp_ieee_underflow 0
		.amdhsa_exception_fp_ieee_inexact 0
		.amdhsa_exception_int_div_zero 0
	.end_amdhsa_kernel
	.section	.text._ZN7rocprim17ROCPRIM_400000_NS6detail17trampoline_kernelINS0_14default_configENS1_27scan_by_key_config_selectorIssEEZZNS1_16scan_by_key_implILNS1_25lookback_scan_determinismE0ELb1ES3_N6thrust23THRUST_200600_302600_NS6detail15normal_iteratorINS9_10device_ptrIsEEEESE_SE_sNS9_4plusIvEENS9_8equal_toIvEEsEE10hipError_tPvRmT2_T3_T4_T5_mT6_T7_P12ihipStream_tbENKUlT_T0_E_clISt17integral_constantIbLb1EESZ_EEDaSU_SV_EUlSU_E_NS1_11comp_targetILNS1_3genE9ELNS1_11target_archE1100ELNS1_3gpuE3ELNS1_3repE0EEENS1_30default_config_static_selectorELNS0_4arch9wavefront6targetE0EEEvT1_,"axG",@progbits,_ZN7rocprim17ROCPRIM_400000_NS6detail17trampoline_kernelINS0_14default_configENS1_27scan_by_key_config_selectorIssEEZZNS1_16scan_by_key_implILNS1_25lookback_scan_determinismE0ELb1ES3_N6thrust23THRUST_200600_302600_NS6detail15normal_iteratorINS9_10device_ptrIsEEEESE_SE_sNS9_4plusIvEENS9_8equal_toIvEEsEE10hipError_tPvRmT2_T3_T4_T5_mT6_T7_P12ihipStream_tbENKUlT_T0_E_clISt17integral_constantIbLb1EESZ_EEDaSU_SV_EUlSU_E_NS1_11comp_targetILNS1_3genE9ELNS1_11target_archE1100ELNS1_3gpuE3ELNS1_3repE0EEENS1_30default_config_static_selectorELNS0_4arch9wavefront6targetE0EEEvT1_,comdat
.Lfunc_end585:
	.size	_ZN7rocprim17ROCPRIM_400000_NS6detail17trampoline_kernelINS0_14default_configENS1_27scan_by_key_config_selectorIssEEZZNS1_16scan_by_key_implILNS1_25lookback_scan_determinismE0ELb1ES3_N6thrust23THRUST_200600_302600_NS6detail15normal_iteratorINS9_10device_ptrIsEEEESE_SE_sNS9_4plusIvEENS9_8equal_toIvEEsEE10hipError_tPvRmT2_T3_T4_T5_mT6_T7_P12ihipStream_tbENKUlT_T0_E_clISt17integral_constantIbLb1EESZ_EEDaSU_SV_EUlSU_E_NS1_11comp_targetILNS1_3genE9ELNS1_11target_archE1100ELNS1_3gpuE3ELNS1_3repE0EEENS1_30default_config_static_selectorELNS0_4arch9wavefront6targetE0EEEvT1_, .Lfunc_end585-_ZN7rocprim17ROCPRIM_400000_NS6detail17trampoline_kernelINS0_14default_configENS1_27scan_by_key_config_selectorIssEEZZNS1_16scan_by_key_implILNS1_25lookback_scan_determinismE0ELb1ES3_N6thrust23THRUST_200600_302600_NS6detail15normal_iteratorINS9_10device_ptrIsEEEESE_SE_sNS9_4plusIvEENS9_8equal_toIvEEsEE10hipError_tPvRmT2_T3_T4_T5_mT6_T7_P12ihipStream_tbENKUlT_T0_E_clISt17integral_constantIbLb1EESZ_EEDaSU_SV_EUlSU_E_NS1_11comp_targetILNS1_3genE9ELNS1_11target_archE1100ELNS1_3gpuE3ELNS1_3repE0EEENS1_30default_config_static_selectorELNS0_4arch9wavefront6targetE0EEEvT1_
                                        ; -- End function
	.set _ZN7rocprim17ROCPRIM_400000_NS6detail17trampoline_kernelINS0_14default_configENS1_27scan_by_key_config_selectorIssEEZZNS1_16scan_by_key_implILNS1_25lookback_scan_determinismE0ELb1ES3_N6thrust23THRUST_200600_302600_NS6detail15normal_iteratorINS9_10device_ptrIsEEEESE_SE_sNS9_4plusIvEENS9_8equal_toIvEEsEE10hipError_tPvRmT2_T3_T4_T5_mT6_T7_P12ihipStream_tbENKUlT_T0_E_clISt17integral_constantIbLb1EESZ_EEDaSU_SV_EUlSU_E_NS1_11comp_targetILNS1_3genE9ELNS1_11target_archE1100ELNS1_3gpuE3ELNS1_3repE0EEENS1_30default_config_static_selectorELNS0_4arch9wavefront6targetE0EEEvT1_.num_vgpr, 0
	.set _ZN7rocprim17ROCPRIM_400000_NS6detail17trampoline_kernelINS0_14default_configENS1_27scan_by_key_config_selectorIssEEZZNS1_16scan_by_key_implILNS1_25lookback_scan_determinismE0ELb1ES3_N6thrust23THRUST_200600_302600_NS6detail15normal_iteratorINS9_10device_ptrIsEEEESE_SE_sNS9_4plusIvEENS9_8equal_toIvEEsEE10hipError_tPvRmT2_T3_T4_T5_mT6_T7_P12ihipStream_tbENKUlT_T0_E_clISt17integral_constantIbLb1EESZ_EEDaSU_SV_EUlSU_E_NS1_11comp_targetILNS1_3genE9ELNS1_11target_archE1100ELNS1_3gpuE3ELNS1_3repE0EEENS1_30default_config_static_selectorELNS0_4arch9wavefront6targetE0EEEvT1_.num_agpr, 0
	.set _ZN7rocprim17ROCPRIM_400000_NS6detail17trampoline_kernelINS0_14default_configENS1_27scan_by_key_config_selectorIssEEZZNS1_16scan_by_key_implILNS1_25lookback_scan_determinismE0ELb1ES3_N6thrust23THRUST_200600_302600_NS6detail15normal_iteratorINS9_10device_ptrIsEEEESE_SE_sNS9_4plusIvEENS9_8equal_toIvEEsEE10hipError_tPvRmT2_T3_T4_T5_mT6_T7_P12ihipStream_tbENKUlT_T0_E_clISt17integral_constantIbLb1EESZ_EEDaSU_SV_EUlSU_E_NS1_11comp_targetILNS1_3genE9ELNS1_11target_archE1100ELNS1_3gpuE3ELNS1_3repE0EEENS1_30default_config_static_selectorELNS0_4arch9wavefront6targetE0EEEvT1_.numbered_sgpr, 0
	.set _ZN7rocprim17ROCPRIM_400000_NS6detail17trampoline_kernelINS0_14default_configENS1_27scan_by_key_config_selectorIssEEZZNS1_16scan_by_key_implILNS1_25lookback_scan_determinismE0ELb1ES3_N6thrust23THRUST_200600_302600_NS6detail15normal_iteratorINS9_10device_ptrIsEEEESE_SE_sNS9_4plusIvEENS9_8equal_toIvEEsEE10hipError_tPvRmT2_T3_T4_T5_mT6_T7_P12ihipStream_tbENKUlT_T0_E_clISt17integral_constantIbLb1EESZ_EEDaSU_SV_EUlSU_E_NS1_11comp_targetILNS1_3genE9ELNS1_11target_archE1100ELNS1_3gpuE3ELNS1_3repE0EEENS1_30default_config_static_selectorELNS0_4arch9wavefront6targetE0EEEvT1_.num_named_barrier, 0
	.set _ZN7rocprim17ROCPRIM_400000_NS6detail17trampoline_kernelINS0_14default_configENS1_27scan_by_key_config_selectorIssEEZZNS1_16scan_by_key_implILNS1_25lookback_scan_determinismE0ELb1ES3_N6thrust23THRUST_200600_302600_NS6detail15normal_iteratorINS9_10device_ptrIsEEEESE_SE_sNS9_4plusIvEENS9_8equal_toIvEEsEE10hipError_tPvRmT2_T3_T4_T5_mT6_T7_P12ihipStream_tbENKUlT_T0_E_clISt17integral_constantIbLb1EESZ_EEDaSU_SV_EUlSU_E_NS1_11comp_targetILNS1_3genE9ELNS1_11target_archE1100ELNS1_3gpuE3ELNS1_3repE0EEENS1_30default_config_static_selectorELNS0_4arch9wavefront6targetE0EEEvT1_.private_seg_size, 0
	.set _ZN7rocprim17ROCPRIM_400000_NS6detail17trampoline_kernelINS0_14default_configENS1_27scan_by_key_config_selectorIssEEZZNS1_16scan_by_key_implILNS1_25lookback_scan_determinismE0ELb1ES3_N6thrust23THRUST_200600_302600_NS6detail15normal_iteratorINS9_10device_ptrIsEEEESE_SE_sNS9_4plusIvEENS9_8equal_toIvEEsEE10hipError_tPvRmT2_T3_T4_T5_mT6_T7_P12ihipStream_tbENKUlT_T0_E_clISt17integral_constantIbLb1EESZ_EEDaSU_SV_EUlSU_E_NS1_11comp_targetILNS1_3genE9ELNS1_11target_archE1100ELNS1_3gpuE3ELNS1_3repE0EEENS1_30default_config_static_selectorELNS0_4arch9wavefront6targetE0EEEvT1_.uses_vcc, 0
	.set _ZN7rocprim17ROCPRIM_400000_NS6detail17trampoline_kernelINS0_14default_configENS1_27scan_by_key_config_selectorIssEEZZNS1_16scan_by_key_implILNS1_25lookback_scan_determinismE0ELb1ES3_N6thrust23THRUST_200600_302600_NS6detail15normal_iteratorINS9_10device_ptrIsEEEESE_SE_sNS9_4plusIvEENS9_8equal_toIvEEsEE10hipError_tPvRmT2_T3_T4_T5_mT6_T7_P12ihipStream_tbENKUlT_T0_E_clISt17integral_constantIbLb1EESZ_EEDaSU_SV_EUlSU_E_NS1_11comp_targetILNS1_3genE9ELNS1_11target_archE1100ELNS1_3gpuE3ELNS1_3repE0EEENS1_30default_config_static_selectorELNS0_4arch9wavefront6targetE0EEEvT1_.uses_flat_scratch, 0
	.set _ZN7rocprim17ROCPRIM_400000_NS6detail17trampoline_kernelINS0_14default_configENS1_27scan_by_key_config_selectorIssEEZZNS1_16scan_by_key_implILNS1_25lookback_scan_determinismE0ELb1ES3_N6thrust23THRUST_200600_302600_NS6detail15normal_iteratorINS9_10device_ptrIsEEEESE_SE_sNS9_4plusIvEENS9_8equal_toIvEEsEE10hipError_tPvRmT2_T3_T4_T5_mT6_T7_P12ihipStream_tbENKUlT_T0_E_clISt17integral_constantIbLb1EESZ_EEDaSU_SV_EUlSU_E_NS1_11comp_targetILNS1_3genE9ELNS1_11target_archE1100ELNS1_3gpuE3ELNS1_3repE0EEENS1_30default_config_static_selectorELNS0_4arch9wavefront6targetE0EEEvT1_.has_dyn_sized_stack, 0
	.set _ZN7rocprim17ROCPRIM_400000_NS6detail17trampoline_kernelINS0_14default_configENS1_27scan_by_key_config_selectorIssEEZZNS1_16scan_by_key_implILNS1_25lookback_scan_determinismE0ELb1ES3_N6thrust23THRUST_200600_302600_NS6detail15normal_iteratorINS9_10device_ptrIsEEEESE_SE_sNS9_4plusIvEENS9_8equal_toIvEEsEE10hipError_tPvRmT2_T3_T4_T5_mT6_T7_P12ihipStream_tbENKUlT_T0_E_clISt17integral_constantIbLb1EESZ_EEDaSU_SV_EUlSU_E_NS1_11comp_targetILNS1_3genE9ELNS1_11target_archE1100ELNS1_3gpuE3ELNS1_3repE0EEENS1_30default_config_static_selectorELNS0_4arch9wavefront6targetE0EEEvT1_.has_recursion, 0
	.set _ZN7rocprim17ROCPRIM_400000_NS6detail17trampoline_kernelINS0_14default_configENS1_27scan_by_key_config_selectorIssEEZZNS1_16scan_by_key_implILNS1_25lookback_scan_determinismE0ELb1ES3_N6thrust23THRUST_200600_302600_NS6detail15normal_iteratorINS9_10device_ptrIsEEEESE_SE_sNS9_4plusIvEENS9_8equal_toIvEEsEE10hipError_tPvRmT2_T3_T4_T5_mT6_T7_P12ihipStream_tbENKUlT_T0_E_clISt17integral_constantIbLb1EESZ_EEDaSU_SV_EUlSU_E_NS1_11comp_targetILNS1_3genE9ELNS1_11target_archE1100ELNS1_3gpuE3ELNS1_3repE0EEENS1_30default_config_static_selectorELNS0_4arch9wavefront6targetE0EEEvT1_.has_indirect_call, 0
	.section	.AMDGPU.csdata,"",@progbits
; Kernel info:
; codeLenInByte = 0
; TotalNumSgprs: 0
; NumVgprs: 0
; ScratchSize: 0
; MemoryBound: 0
; FloatMode: 240
; IeeeMode: 1
; LDSByteSize: 0 bytes/workgroup (compile time only)
; SGPRBlocks: 0
; VGPRBlocks: 0
; NumSGPRsForWavesPerEU: 1
; NumVGPRsForWavesPerEU: 1
; NamedBarCnt: 0
; Occupancy: 16
; WaveLimiterHint : 0
; COMPUTE_PGM_RSRC2:SCRATCH_EN: 0
; COMPUTE_PGM_RSRC2:USER_SGPR: 2
; COMPUTE_PGM_RSRC2:TRAP_HANDLER: 0
; COMPUTE_PGM_RSRC2:TGID_X_EN: 1
; COMPUTE_PGM_RSRC2:TGID_Y_EN: 0
; COMPUTE_PGM_RSRC2:TGID_Z_EN: 0
; COMPUTE_PGM_RSRC2:TIDIG_COMP_CNT: 0
	.section	.text._ZN7rocprim17ROCPRIM_400000_NS6detail17trampoline_kernelINS0_14default_configENS1_27scan_by_key_config_selectorIssEEZZNS1_16scan_by_key_implILNS1_25lookback_scan_determinismE0ELb1ES3_N6thrust23THRUST_200600_302600_NS6detail15normal_iteratorINS9_10device_ptrIsEEEESE_SE_sNS9_4plusIvEENS9_8equal_toIvEEsEE10hipError_tPvRmT2_T3_T4_T5_mT6_T7_P12ihipStream_tbENKUlT_T0_E_clISt17integral_constantIbLb1EESZ_EEDaSU_SV_EUlSU_E_NS1_11comp_targetILNS1_3genE8ELNS1_11target_archE1030ELNS1_3gpuE2ELNS1_3repE0EEENS1_30default_config_static_selectorELNS0_4arch9wavefront6targetE0EEEvT1_,"axG",@progbits,_ZN7rocprim17ROCPRIM_400000_NS6detail17trampoline_kernelINS0_14default_configENS1_27scan_by_key_config_selectorIssEEZZNS1_16scan_by_key_implILNS1_25lookback_scan_determinismE0ELb1ES3_N6thrust23THRUST_200600_302600_NS6detail15normal_iteratorINS9_10device_ptrIsEEEESE_SE_sNS9_4plusIvEENS9_8equal_toIvEEsEE10hipError_tPvRmT2_T3_T4_T5_mT6_T7_P12ihipStream_tbENKUlT_T0_E_clISt17integral_constantIbLb1EESZ_EEDaSU_SV_EUlSU_E_NS1_11comp_targetILNS1_3genE8ELNS1_11target_archE1030ELNS1_3gpuE2ELNS1_3repE0EEENS1_30default_config_static_selectorELNS0_4arch9wavefront6targetE0EEEvT1_,comdat
	.protected	_ZN7rocprim17ROCPRIM_400000_NS6detail17trampoline_kernelINS0_14default_configENS1_27scan_by_key_config_selectorIssEEZZNS1_16scan_by_key_implILNS1_25lookback_scan_determinismE0ELb1ES3_N6thrust23THRUST_200600_302600_NS6detail15normal_iteratorINS9_10device_ptrIsEEEESE_SE_sNS9_4plusIvEENS9_8equal_toIvEEsEE10hipError_tPvRmT2_T3_T4_T5_mT6_T7_P12ihipStream_tbENKUlT_T0_E_clISt17integral_constantIbLb1EESZ_EEDaSU_SV_EUlSU_E_NS1_11comp_targetILNS1_3genE8ELNS1_11target_archE1030ELNS1_3gpuE2ELNS1_3repE0EEENS1_30default_config_static_selectorELNS0_4arch9wavefront6targetE0EEEvT1_ ; -- Begin function _ZN7rocprim17ROCPRIM_400000_NS6detail17trampoline_kernelINS0_14default_configENS1_27scan_by_key_config_selectorIssEEZZNS1_16scan_by_key_implILNS1_25lookback_scan_determinismE0ELb1ES3_N6thrust23THRUST_200600_302600_NS6detail15normal_iteratorINS9_10device_ptrIsEEEESE_SE_sNS9_4plusIvEENS9_8equal_toIvEEsEE10hipError_tPvRmT2_T3_T4_T5_mT6_T7_P12ihipStream_tbENKUlT_T0_E_clISt17integral_constantIbLb1EESZ_EEDaSU_SV_EUlSU_E_NS1_11comp_targetILNS1_3genE8ELNS1_11target_archE1030ELNS1_3gpuE2ELNS1_3repE0EEENS1_30default_config_static_selectorELNS0_4arch9wavefront6targetE0EEEvT1_
	.globl	_ZN7rocprim17ROCPRIM_400000_NS6detail17trampoline_kernelINS0_14default_configENS1_27scan_by_key_config_selectorIssEEZZNS1_16scan_by_key_implILNS1_25lookback_scan_determinismE0ELb1ES3_N6thrust23THRUST_200600_302600_NS6detail15normal_iteratorINS9_10device_ptrIsEEEESE_SE_sNS9_4plusIvEENS9_8equal_toIvEEsEE10hipError_tPvRmT2_T3_T4_T5_mT6_T7_P12ihipStream_tbENKUlT_T0_E_clISt17integral_constantIbLb1EESZ_EEDaSU_SV_EUlSU_E_NS1_11comp_targetILNS1_3genE8ELNS1_11target_archE1030ELNS1_3gpuE2ELNS1_3repE0EEENS1_30default_config_static_selectorELNS0_4arch9wavefront6targetE0EEEvT1_
	.p2align	8
	.type	_ZN7rocprim17ROCPRIM_400000_NS6detail17trampoline_kernelINS0_14default_configENS1_27scan_by_key_config_selectorIssEEZZNS1_16scan_by_key_implILNS1_25lookback_scan_determinismE0ELb1ES3_N6thrust23THRUST_200600_302600_NS6detail15normal_iteratorINS9_10device_ptrIsEEEESE_SE_sNS9_4plusIvEENS9_8equal_toIvEEsEE10hipError_tPvRmT2_T3_T4_T5_mT6_T7_P12ihipStream_tbENKUlT_T0_E_clISt17integral_constantIbLb1EESZ_EEDaSU_SV_EUlSU_E_NS1_11comp_targetILNS1_3genE8ELNS1_11target_archE1030ELNS1_3gpuE2ELNS1_3repE0EEENS1_30default_config_static_selectorELNS0_4arch9wavefront6targetE0EEEvT1_,@function
_ZN7rocprim17ROCPRIM_400000_NS6detail17trampoline_kernelINS0_14default_configENS1_27scan_by_key_config_selectorIssEEZZNS1_16scan_by_key_implILNS1_25lookback_scan_determinismE0ELb1ES3_N6thrust23THRUST_200600_302600_NS6detail15normal_iteratorINS9_10device_ptrIsEEEESE_SE_sNS9_4plusIvEENS9_8equal_toIvEEsEE10hipError_tPvRmT2_T3_T4_T5_mT6_T7_P12ihipStream_tbENKUlT_T0_E_clISt17integral_constantIbLb1EESZ_EEDaSU_SV_EUlSU_E_NS1_11comp_targetILNS1_3genE8ELNS1_11target_archE1030ELNS1_3gpuE2ELNS1_3repE0EEENS1_30default_config_static_selectorELNS0_4arch9wavefront6targetE0EEEvT1_: ; @_ZN7rocprim17ROCPRIM_400000_NS6detail17trampoline_kernelINS0_14default_configENS1_27scan_by_key_config_selectorIssEEZZNS1_16scan_by_key_implILNS1_25lookback_scan_determinismE0ELb1ES3_N6thrust23THRUST_200600_302600_NS6detail15normal_iteratorINS9_10device_ptrIsEEEESE_SE_sNS9_4plusIvEENS9_8equal_toIvEEsEE10hipError_tPvRmT2_T3_T4_T5_mT6_T7_P12ihipStream_tbENKUlT_T0_E_clISt17integral_constantIbLb1EESZ_EEDaSU_SV_EUlSU_E_NS1_11comp_targetILNS1_3genE8ELNS1_11target_archE1030ELNS1_3gpuE2ELNS1_3repE0EEENS1_30default_config_static_selectorELNS0_4arch9wavefront6targetE0EEEvT1_
; %bb.0:
	.section	.rodata,"a",@progbits
	.p2align	6, 0x0
	.amdhsa_kernel _ZN7rocprim17ROCPRIM_400000_NS6detail17trampoline_kernelINS0_14default_configENS1_27scan_by_key_config_selectorIssEEZZNS1_16scan_by_key_implILNS1_25lookback_scan_determinismE0ELb1ES3_N6thrust23THRUST_200600_302600_NS6detail15normal_iteratorINS9_10device_ptrIsEEEESE_SE_sNS9_4plusIvEENS9_8equal_toIvEEsEE10hipError_tPvRmT2_T3_T4_T5_mT6_T7_P12ihipStream_tbENKUlT_T0_E_clISt17integral_constantIbLb1EESZ_EEDaSU_SV_EUlSU_E_NS1_11comp_targetILNS1_3genE8ELNS1_11target_archE1030ELNS1_3gpuE2ELNS1_3repE0EEENS1_30default_config_static_selectorELNS0_4arch9wavefront6targetE0EEEvT1_
		.amdhsa_group_segment_fixed_size 0
		.amdhsa_private_segment_fixed_size 0
		.amdhsa_kernarg_size 112
		.amdhsa_user_sgpr_count 2
		.amdhsa_user_sgpr_dispatch_ptr 0
		.amdhsa_user_sgpr_queue_ptr 0
		.amdhsa_user_sgpr_kernarg_segment_ptr 1
		.amdhsa_user_sgpr_dispatch_id 0
		.amdhsa_user_sgpr_kernarg_preload_length 0
		.amdhsa_user_sgpr_kernarg_preload_offset 0
		.amdhsa_user_sgpr_private_segment_size 0
		.amdhsa_wavefront_size32 1
		.amdhsa_uses_dynamic_stack 0
		.amdhsa_enable_private_segment 0
		.amdhsa_system_sgpr_workgroup_id_x 1
		.amdhsa_system_sgpr_workgroup_id_y 0
		.amdhsa_system_sgpr_workgroup_id_z 0
		.amdhsa_system_sgpr_workgroup_info 0
		.amdhsa_system_vgpr_workitem_id 0
		.amdhsa_next_free_vgpr 1
		.amdhsa_next_free_sgpr 1
		.amdhsa_named_barrier_count 0
		.amdhsa_reserve_vcc 0
		.amdhsa_float_round_mode_32 0
		.amdhsa_float_round_mode_16_64 0
		.amdhsa_float_denorm_mode_32 3
		.amdhsa_float_denorm_mode_16_64 3
		.amdhsa_fp16_overflow 0
		.amdhsa_memory_ordered 1
		.amdhsa_forward_progress 1
		.amdhsa_inst_pref_size 0
		.amdhsa_round_robin_scheduling 0
		.amdhsa_exception_fp_ieee_invalid_op 0
		.amdhsa_exception_fp_denorm_src 0
		.amdhsa_exception_fp_ieee_div_zero 0
		.amdhsa_exception_fp_ieee_overflow 0
		.amdhsa_exception_fp_ieee_underflow 0
		.amdhsa_exception_fp_ieee_inexact 0
		.amdhsa_exception_int_div_zero 0
	.end_amdhsa_kernel
	.section	.text._ZN7rocprim17ROCPRIM_400000_NS6detail17trampoline_kernelINS0_14default_configENS1_27scan_by_key_config_selectorIssEEZZNS1_16scan_by_key_implILNS1_25lookback_scan_determinismE0ELb1ES3_N6thrust23THRUST_200600_302600_NS6detail15normal_iteratorINS9_10device_ptrIsEEEESE_SE_sNS9_4plusIvEENS9_8equal_toIvEEsEE10hipError_tPvRmT2_T3_T4_T5_mT6_T7_P12ihipStream_tbENKUlT_T0_E_clISt17integral_constantIbLb1EESZ_EEDaSU_SV_EUlSU_E_NS1_11comp_targetILNS1_3genE8ELNS1_11target_archE1030ELNS1_3gpuE2ELNS1_3repE0EEENS1_30default_config_static_selectorELNS0_4arch9wavefront6targetE0EEEvT1_,"axG",@progbits,_ZN7rocprim17ROCPRIM_400000_NS6detail17trampoline_kernelINS0_14default_configENS1_27scan_by_key_config_selectorIssEEZZNS1_16scan_by_key_implILNS1_25lookback_scan_determinismE0ELb1ES3_N6thrust23THRUST_200600_302600_NS6detail15normal_iteratorINS9_10device_ptrIsEEEESE_SE_sNS9_4plusIvEENS9_8equal_toIvEEsEE10hipError_tPvRmT2_T3_T4_T5_mT6_T7_P12ihipStream_tbENKUlT_T0_E_clISt17integral_constantIbLb1EESZ_EEDaSU_SV_EUlSU_E_NS1_11comp_targetILNS1_3genE8ELNS1_11target_archE1030ELNS1_3gpuE2ELNS1_3repE0EEENS1_30default_config_static_selectorELNS0_4arch9wavefront6targetE0EEEvT1_,comdat
.Lfunc_end586:
	.size	_ZN7rocprim17ROCPRIM_400000_NS6detail17trampoline_kernelINS0_14default_configENS1_27scan_by_key_config_selectorIssEEZZNS1_16scan_by_key_implILNS1_25lookback_scan_determinismE0ELb1ES3_N6thrust23THRUST_200600_302600_NS6detail15normal_iteratorINS9_10device_ptrIsEEEESE_SE_sNS9_4plusIvEENS9_8equal_toIvEEsEE10hipError_tPvRmT2_T3_T4_T5_mT6_T7_P12ihipStream_tbENKUlT_T0_E_clISt17integral_constantIbLb1EESZ_EEDaSU_SV_EUlSU_E_NS1_11comp_targetILNS1_3genE8ELNS1_11target_archE1030ELNS1_3gpuE2ELNS1_3repE0EEENS1_30default_config_static_selectorELNS0_4arch9wavefront6targetE0EEEvT1_, .Lfunc_end586-_ZN7rocprim17ROCPRIM_400000_NS6detail17trampoline_kernelINS0_14default_configENS1_27scan_by_key_config_selectorIssEEZZNS1_16scan_by_key_implILNS1_25lookback_scan_determinismE0ELb1ES3_N6thrust23THRUST_200600_302600_NS6detail15normal_iteratorINS9_10device_ptrIsEEEESE_SE_sNS9_4plusIvEENS9_8equal_toIvEEsEE10hipError_tPvRmT2_T3_T4_T5_mT6_T7_P12ihipStream_tbENKUlT_T0_E_clISt17integral_constantIbLb1EESZ_EEDaSU_SV_EUlSU_E_NS1_11comp_targetILNS1_3genE8ELNS1_11target_archE1030ELNS1_3gpuE2ELNS1_3repE0EEENS1_30default_config_static_selectorELNS0_4arch9wavefront6targetE0EEEvT1_
                                        ; -- End function
	.set _ZN7rocprim17ROCPRIM_400000_NS6detail17trampoline_kernelINS0_14default_configENS1_27scan_by_key_config_selectorIssEEZZNS1_16scan_by_key_implILNS1_25lookback_scan_determinismE0ELb1ES3_N6thrust23THRUST_200600_302600_NS6detail15normal_iteratorINS9_10device_ptrIsEEEESE_SE_sNS9_4plusIvEENS9_8equal_toIvEEsEE10hipError_tPvRmT2_T3_T4_T5_mT6_T7_P12ihipStream_tbENKUlT_T0_E_clISt17integral_constantIbLb1EESZ_EEDaSU_SV_EUlSU_E_NS1_11comp_targetILNS1_3genE8ELNS1_11target_archE1030ELNS1_3gpuE2ELNS1_3repE0EEENS1_30default_config_static_selectorELNS0_4arch9wavefront6targetE0EEEvT1_.num_vgpr, 0
	.set _ZN7rocprim17ROCPRIM_400000_NS6detail17trampoline_kernelINS0_14default_configENS1_27scan_by_key_config_selectorIssEEZZNS1_16scan_by_key_implILNS1_25lookback_scan_determinismE0ELb1ES3_N6thrust23THRUST_200600_302600_NS6detail15normal_iteratorINS9_10device_ptrIsEEEESE_SE_sNS9_4plusIvEENS9_8equal_toIvEEsEE10hipError_tPvRmT2_T3_T4_T5_mT6_T7_P12ihipStream_tbENKUlT_T0_E_clISt17integral_constantIbLb1EESZ_EEDaSU_SV_EUlSU_E_NS1_11comp_targetILNS1_3genE8ELNS1_11target_archE1030ELNS1_3gpuE2ELNS1_3repE0EEENS1_30default_config_static_selectorELNS0_4arch9wavefront6targetE0EEEvT1_.num_agpr, 0
	.set _ZN7rocprim17ROCPRIM_400000_NS6detail17trampoline_kernelINS0_14default_configENS1_27scan_by_key_config_selectorIssEEZZNS1_16scan_by_key_implILNS1_25lookback_scan_determinismE0ELb1ES3_N6thrust23THRUST_200600_302600_NS6detail15normal_iteratorINS9_10device_ptrIsEEEESE_SE_sNS9_4plusIvEENS9_8equal_toIvEEsEE10hipError_tPvRmT2_T3_T4_T5_mT6_T7_P12ihipStream_tbENKUlT_T0_E_clISt17integral_constantIbLb1EESZ_EEDaSU_SV_EUlSU_E_NS1_11comp_targetILNS1_3genE8ELNS1_11target_archE1030ELNS1_3gpuE2ELNS1_3repE0EEENS1_30default_config_static_selectorELNS0_4arch9wavefront6targetE0EEEvT1_.numbered_sgpr, 0
	.set _ZN7rocprim17ROCPRIM_400000_NS6detail17trampoline_kernelINS0_14default_configENS1_27scan_by_key_config_selectorIssEEZZNS1_16scan_by_key_implILNS1_25lookback_scan_determinismE0ELb1ES3_N6thrust23THRUST_200600_302600_NS6detail15normal_iteratorINS9_10device_ptrIsEEEESE_SE_sNS9_4plusIvEENS9_8equal_toIvEEsEE10hipError_tPvRmT2_T3_T4_T5_mT6_T7_P12ihipStream_tbENKUlT_T0_E_clISt17integral_constantIbLb1EESZ_EEDaSU_SV_EUlSU_E_NS1_11comp_targetILNS1_3genE8ELNS1_11target_archE1030ELNS1_3gpuE2ELNS1_3repE0EEENS1_30default_config_static_selectorELNS0_4arch9wavefront6targetE0EEEvT1_.num_named_barrier, 0
	.set _ZN7rocprim17ROCPRIM_400000_NS6detail17trampoline_kernelINS0_14default_configENS1_27scan_by_key_config_selectorIssEEZZNS1_16scan_by_key_implILNS1_25lookback_scan_determinismE0ELb1ES3_N6thrust23THRUST_200600_302600_NS6detail15normal_iteratorINS9_10device_ptrIsEEEESE_SE_sNS9_4plusIvEENS9_8equal_toIvEEsEE10hipError_tPvRmT2_T3_T4_T5_mT6_T7_P12ihipStream_tbENKUlT_T0_E_clISt17integral_constantIbLb1EESZ_EEDaSU_SV_EUlSU_E_NS1_11comp_targetILNS1_3genE8ELNS1_11target_archE1030ELNS1_3gpuE2ELNS1_3repE0EEENS1_30default_config_static_selectorELNS0_4arch9wavefront6targetE0EEEvT1_.private_seg_size, 0
	.set _ZN7rocprim17ROCPRIM_400000_NS6detail17trampoline_kernelINS0_14default_configENS1_27scan_by_key_config_selectorIssEEZZNS1_16scan_by_key_implILNS1_25lookback_scan_determinismE0ELb1ES3_N6thrust23THRUST_200600_302600_NS6detail15normal_iteratorINS9_10device_ptrIsEEEESE_SE_sNS9_4plusIvEENS9_8equal_toIvEEsEE10hipError_tPvRmT2_T3_T4_T5_mT6_T7_P12ihipStream_tbENKUlT_T0_E_clISt17integral_constantIbLb1EESZ_EEDaSU_SV_EUlSU_E_NS1_11comp_targetILNS1_3genE8ELNS1_11target_archE1030ELNS1_3gpuE2ELNS1_3repE0EEENS1_30default_config_static_selectorELNS0_4arch9wavefront6targetE0EEEvT1_.uses_vcc, 0
	.set _ZN7rocprim17ROCPRIM_400000_NS6detail17trampoline_kernelINS0_14default_configENS1_27scan_by_key_config_selectorIssEEZZNS1_16scan_by_key_implILNS1_25lookback_scan_determinismE0ELb1ES3_N6thrust23THRUST_200600_302600_NS6detail15normal_iteratorINS9_10device_ptrIsEEEESE_SE_sNS9_4plusIvEENS9_8equal_toIvEEsEE10hipError_tPvRmT2_T3_T4_T5_mT6_T7_P12ihipStream_tbENKUlT_T0_E_clISt17integral_constantIbLb1EESZ_EEDaSU_SV_EUlSU_E_NS1_11comp_targetILNS1_3genE8ELNS1_11target_archE1030ELNS1_3gpuE2ELNS1_3repE0EEENS1_30default_config_static_selectorELNS0_4arch9wavefront6targetE0EEEvT1_.uses_flat_scratch, 0
	.set _ZN7rocprim17ROCPRIM_400000_NS6detail17trampoline_kernelINS0_14default_configENS1_27scan_by_key_config_selectorIssEEZZNS1_16scan_by_key_implILNS1_25lookback_scan_determinismE0ELb1ES3_N6thrust23THRUST_200600_302600_NS6detail15normal_iteratorINS9_10device_ptrIsEEEESE_SE_sNS9_4plusIvEENS9_8equal_toIvEEsEE10hipError_tPvRmT2_T3_T4_T5_mT6_T7_P12ihipStream_tbENKUlT_T0_E_clISt17integral_constantIbLb1EESZ_EEDaSU_SV_EUlSU_E_NS1_11comp_targetILNS1_3genE8ELNS1_11target_archE1030ELNS1_3gpuE2ELNS1_3repE0EEENS1_30default_config_static_selectorELNS0_4arch9wavefront6targetE0EEEvT1_.has_dyn_sized_stack, 0
	.set _ZN7rocprim17ROCPRIM_400000_NS6detail17trampoline_kernelINS0_14default_configENS1_27scan_by_key_config_selectorIssEEZZNS1_16scan_by_key_implILNS1_25lookback_scan_determinismE0ELb1ES3_N6thrust23THRUST_200600_302600_NS6detail15normal_iteratorINS9_10device_ptrIsEEEESE_SE_sNS9_4plusIvEENS9_8equal_toIvEEsEE10hipError_tPvRmT2_T3_T4_T5_mT6_T7_P12ihipStream_tbENKUlT_T0_E_clISt17integral_constantIbLb1EESZ_EEDaSU_SV_EUlSU_E_NS1_11comp_targetILNS1_3genE8ELNS1_11target_archE1030ELNS1_3gpuE2ELNS1_3repE0EEENS1_30default_config_static_selectorELNS0_4arch9wavefront6targetE0EEEvT1_.has_recursion, 0
	.set _ZN7rocprim17ROCPRIM_400000_NS6detail17trampoline_kernelINS0_14default_configENS1_27scan_by_key_config_selectorIssEEZZNS1_16scan_by_key_implILNS1_25lookback_scan_determinismE0ELb1ES3_N6thrust23THRUST_200600_302600_NS6detail15normal_iteratorINS9_10device_ptrIsEEEESE_SE_sNS9_4plusIvEENS9_8equal_toIvEEsEE10hipError_tPvRmT2_T3_T4_T5_mT6_T7_P12ihipStream_tbENKUlT_T0_E_clISt17integral_constantIbLb1EESZ_EEDaSU_SV_EUlSU_E_NS1_11comp_targetILNS1_3genE8ELNS1_11target_archE1030ELNS1_3gpuE2ELNS1_3repE0EEENS1_30default_config_static_selectorELNS0_4arch9wavefront6targetE0EEEvT1_.has_indirect_call, 0
	.section	.AMDGPU.csdata,"",@progbits
; Kernel info:
; codeLenInByte = 0
; TotalNumSgprs: 0
; NumVgprs: 0
; ScratchSize: 0
; MemoryBound: 0
; FloatMode: 240
; IeeeMode: 1
; LDSByteSize: 0 bytes/workgroup (compile time only)
; SGPRBlocks: 0
; VGPRBlocks: 0
; NumSGPRsForWavesPerEU: 1
; NumVGPRsForWavesPerEU: 1
; NamedBarCnt: 0
; Occupancy: 16
; WaveLimiterHint : 0
; COMPUTE_PGM_RSRC2:SCRATCH_EN: 0
; COMPUTE_PGM_RSRC2:USER_SGPR: 2
; COMPUTE_PGM_RSRC2:TRAP_HANDLER: 0
; COMPUTE_PGM_RSRC2:TGID_X_EN: 1
; COMPUTE_PGM_RSRC2:TGID_Y_EN: 0
; COMPUTE_PGM_RSRC2:TGID_Z_EN: 0
; COMPUTE_PGM_RSRC2:TIDIG_COMP_CNT: 0
	.section	.text._ZN7rocprim17ROCPRIM_400000_NS6detail17trampoline_kernelINS0_14default_configENS1_27scan_by_key_config_selectorIssEEZZNS1_16scan_by_key_implILNS1_25lookback_scan_determinismE0ELb1ES3_N6thrust23THRUST_200600_302600_NS6detail15normal_iteratorINS9_10device_ptrIsEEEESE_SE_sNS9_4plusIvEENS9_8equal_toIvEEsEE10hipError_tPvRmT2_T3_T4_T5_mT6_T7_P12ihipStream_tbENKUlT_T0_E_clISt17integral_constantIbLb1EESY_IbLb0EEEEDaSU_SV_EUlSU_E_NS1_11comp_targetILNS1_3genE0ELNS1_11target_archE4294967295ELNS1_3gpuE0ELNS1_3repE0EEENS1_30default_config_static_selectorELNS0_4arch9wavefront6targetE0EEEvT1_,"axG",@progbits,_ZN7rocprim17ROCPRIM_400000_NS6detail17trampoline_kernelINS0_14default_configENS1_27scan_by_key_config_selectorIssEEZZNS1_16scan_by_key_implILNS1_25lookback_scan_determinismE0ELb1ES3_N6thrust23THRUST_200600_302600_NS6detail15normal_iteratorINS9_10device_ptrIsEEEESE_SE_sNS9_4plusIvEENS9_8equal_toIvEEsEE10hipError_tPvRmT2_T3_T4_T5_mT6_T7_P12ihipStream_tbENKUlT_T0_E_clISt17integral_constantIbLb1EESY_IbLb0EEEEDaSU_SV_EUlSU_E_NS1_11comp_targetILNS1_3genE0ELNS1_11target_archE4294967295ELNS1_3gpuE0ELNS1_3repE0EEENS1_30default_config_static_selectorELNS0_4arch9wavefront6targetE0EEEvT1_,comdat
	.protected	_ZN7rocprim17ROCPRIM_400000_NS6detail17trampoline_kernelINS0_14default_configENS1_27scan_by_key_config_selectorIssEEZZNS1_16scan_by_key_implILNS1_25lookback_scan_determinismE0ELb1ES3_N6thrust23THRUST_200600_302600_NS6detail15normal_iteratorINS9_10device_ptrIsEEEESE_SE_sNS9_4plusIvEENS9_8equal_toIvEEsEE10hipError_tPvRmT2_T3_T4_T5_mT6_T7_P12ihipStream_tbENKUlT_T0_E_clISt17integral_constantIbLb1EESY_IbLb0EEEEDaSU_SV_EUlSU_E_NS1_11comp_targetILNS1_3genE0ELNS1_11target_archE4294967295ELNS1_3gpuE0ELNS1_3repE0EEENS1_30default_config_static_selectorELNS0_4arch9wavefront6targetE0EEEvT1_ ; -- Begin function _ZN7rocprim17ROCPRIM_400000_NS6detail17trampoline_kernelINS0_14default_configENS1_27scan_by_key_config_selectorIssEEZZNS1_16scan_by_key_implILNS1_25lookback_scan_determinismE0ELb1ES3_N6thrust23THRUST_200600_302600_NS6detail15normal_iteratorINS9_10device_ptrIsEEEESE_SE_sNS9_4plusIvEENS9_8equal_toIvEEsEE10hipError_tPvRmT2_T3_T4_T5_mT6_T7_P12ihipStream_tbENKUlT_T0_E_clISt17integral_constantIbLb1EESY_IbLb0EEEEDaSU_SV_EUlSU_E_NS1_11comp_targetILNS1_3genE0ELNS1_11target_archE4294967295ELNS1_3gpuE0ELNS1_3repE0EEENS1_30default_config_static_selectorELNS0_4arch9wavefront6targetE0EEEvT1_
	.globl	_ZN7rocprim17ROCPRIM_400000_NS6detail17trampoline_kernelINS0_14default_configENS1_27scan_by_key_config_selectorIssEEZZNS1_16scan_by_key_implILNS1_25lookback_scan_determinismE0ELb1ES3_N6thrust23THRUST_200600_302600_NS6detail15normal_iteratorINS9_10device_ptrIsEEEESE_SE_sNS9_4plusIvEENS9_8equal_toIvEEsEE10hipError_tPvRmT2_T3_T4_T5_mT6_T7_P12ihipStream_tbENKUlT_T0_E_clISt17integral_constantIbLb1EESY_IbLb0EEEEDaSU_SV_EUlSU_E_NS1_11comp_targetILNS1_3genE0ELNS1_11target_archE4294967295ELNS1_3gpuE0ELNS1_3repE0EEENS1_30default_config_static_selectorELNS0_4arch9wavefront6targetE0EEEvT1_
	.p2align	8
	.type	_ZN7rocprim17ROCPRIM_400000_NS6detail17trampoline_kernelINS0_14default_configENS1_27scan_by_key_config_selectorIssEEZZNS1_16scan_by_key_implILNS1_25lookback_scan_determinismE0ELb1ES3_N6thrust23THRUST_200600_302600_NS6detail15normal_iteratorINS9_10device_ptrIsEEEESE_SE_sNS9_4plusIvEENS9_8equal_toIvEEsEE10hipError_tPvRmT2_T3_T4_T5_mT6_T7_P12ihipStream_tbENKUlT_T0_E_clISt17integral_constantIbLb1EESY_IbLb0EEEEDaSU_SV_EUlSU_E_NS1_11comp_targetILNS1_3genE0ELNS1_11target_archE4294967295ELNS1_3gpuE0ELNS1_3repE0EEENS1_30default_config_static_selectorELNS0_4arch9wavefront6targetE0EEEvT1_,@function
_ZN7rocprim17ROCPRIM_400000_NS6detail17trampoline_kernelINS0_14default_configENS1_27scan_by_key_config_selectorIssEEZZNS1_16scan_by_key_implILNS1_25lookback_scan_determinismE0ELb1ES3_N6thrust23THRUST_200600_302600_NS6detail15normal_iteratorINS9_10device_ptrIsEEEESE_SE_sNS9_4plusIvEENS9_8equal_toIvEEsEE10hipError_tPvRmT2_T3_T4_T5_mT6_T7_P12ihipStream_tbENKUlT_T0_E_clISt17integral_constantIbLb1EESY_IbLb0EEEEDaSU_SV_EUlSU_E_NS1_11comp_targetILNS1_3genE0ELNS1_11target_archE4294967295ELNS1_3gpuE0ELNS1_3repE0EEENS1_30default_config_static_selectorELNS0_4arch9wavefront6targetE0EEEvT1_: ; @_ZN7rocprim17ROCPRIM_400000_NS6detail17trampoline_kernelINS0_14default_configENS1_27scan_by_key_config_selectorIssEEZZNS1_16scan_by_key_implILNS1_25lookback_scan_determinismE0ELb1ES3_N6thrust23THRUST_200600_302600_NS6detail15normal_iteratorINS9_10device_ptrIsEEEESE_SE_sNS9_4plusIvEENS9_8equal_toIvEEsEE10hipError_tPvRmT2_T3_T4_T5_mT6_T7_P12ihipStream_tbENKUlT_T0_E_clISt17integral_constantIbLb1EESY_IbLb0EEEEDaSU_SV_EUlSU_E_NS1_11comp_targetILNS1_3genE0ELNS1_11target_archE4294967295ELNS1_3gpuE0ELNS1_3repE0EEENS1_30default_config_static_selectorELNS0_4arch9wavefront6targetE0EEEvT1_
; %bb.0:
	s_endpgm
	.section	.rodata,"a",@progbits
	.p2align	6, 0x0
	.amdhsa_kernel _ZN7rocprim17ROCPRIM_400000_NS6detail17trampoline_kernelINS0_14default_configENS1_27scan_by_key_config_selectorIssEEZZNS1_16scan_by_key_implILNS1_25lookback_scan_determinismE0ELb1ES3_N6thrust23THRUST_200600_302600_NS6detail15normal_iteratorINS9_10device_ptrIsEEEESE_SE_sNS9_4plusIvEENS9_8equal_toIvEEsEE10hipError_tPvRmT2_T3_T4_T5_mT6_T7_P12ihipStream_tbENKUlT_T0_E_clISt17integral_constantIbLb1EESY_IbLb0EEEEDaSU_SV_EUlSU_E_NS1_11comp_targetILNS1_3genE0ELNS1_11target_archE4294967295ELNS1_3gpuE0ELNS1_3repE0EEENS1_30default_config_static_selectorELNS0_4arch9wavefront6targetE0EEEvT1_
		.amdhsa_group_segment_fixed_size 0
		.amdhsa_private_segment_fixed_size 0
		.amdhsa_kernarg_size 112
		.amdhsa_user_sgpr_count 2
		.amdhsa_user_sgpr_dispatch_ptr 0
		.amdhsa_user_sgpr_queue_ptr 0
		.amdhsa_user_sgpr_kernarg_segment_ptr 1
		.amdhsa_user_sgpr_dispatch_id 0
		.amdhsa_user_sgpr_kernarg_preload_length 0
		.amdhsa_user_sgpr_kernarg_preload_offset 0
		.amdhsa_user_sgpr_private_segment_size 0
		.amdhsa_wavefront_size32 1
		.amdhsa_uses_dynamic_stack 0
		.amdhsa_enable_private_segment 0
		.amdhsa_system_sgpr_workgroup_id_x 1
		.amdhsa_system_sgpr_workgroup_id_y 0
		.amdhsa_system_sgpr_workgroup_id_z 0
		.amdhsa_system_sgpr_workgroup_info 0
		.amdhsa_system_vgpr_workitem_id 0
		.amdhsa_next_free_vgpr 1
		.amdhsa_next_free_sgpr 1
		.amdhsa_named_barrier_count 0
		.amdhsa_reserve_vcc 0
		.amdhsa_float_round_mode_32 0
		.amdhsa_float_round_mode_16_64 0
		.amdhsa_float_denorm_mode_32 3
		.amdhsa_float_denorm_mode_16_64 3
		.amdhsa_fp16_overflow 0
		.amdhsa_memory_ordered 1
		.amdhsa_forward_progress 1
		.amdhsa_inst_pref_size 1
		.amdhsa_round_robin_scheduling 0
		.amdhsa_exception_fp_ieee_invalid_op 0
		.amdhsa_exception_fp_denorm_src 0
		.amdhsa_exception_fp_ieee_div_zero 0
		.amdhsa_exception_fp_ieee_overflow 0
		.amdhsa_exception_fp_ieee_underflow 0
		.amdhsa_exception_fp_ieee_inexact 0
		.amdhsa_exception_int_div_zero 0
	.end_amdhsa_kernel
	.section	.text._ZN7rocprim17ROCPRIM_400000_NS6detail17trampoline_kernelINS0_14default_configENS1_27scan_by_key_config_selectorIssEEZZNS1_16scan_by_key_implILNS1_25lookback_scan_determinismE0ELb1ES3_N6thrust23THRUST_200600_302600_NS6detail15normal_iteratorINS9_10device_ptrIsEEEESE_SE_sNS9_4plusIvEENS9_8equal_toIvEEsEE10hipError_tPvRmT2_T3_T4_T5_mT6_T7_P12ihipStream_tbENKUlT_T0_E_clISt17integral_constantIbLb1EESY_IbLb0EEEEDaSU_SV_EUlSU_E_NS1_11comp_targetILNS1_3genE0ELNS1_11target_archE4294967295ELNS1_3gpuE0ELNS1_3repE0EEENS1_30default_config_static_selectorELNS0_4arch9wavefront6targetE0EEEvT1_,"axG",@progbits,_ZN7rocprim17ROCPRIM_400000_NS6detail17trampoline_kernelINS0_14default_configENS1_27scan_by_key_config_selectorIssEEZZNS1_16scan_by_key_implILNS1_25lookback_scan_determinismE0ELb1ES3_N6thrust23THRUST_200600_302600_NS6detail15normal_iteratorINS9_10device_ptrIsEEEESE_SE_sNS9_4plusIvEENS9_8equal_toIvEEsEE10hipError_tPvRmT2_T3_T4_T5_mT6_T7_P12ihipStream_tbENKUlT_T0_E_clISt17integral_constantIbLb1EESY_IbLb0EEEEDaSU_SV_EUlSU_E_NS1_11comp_targetILNS1_3genE0ELNS1_11target_archE4294967295ELNS1_3gpuE0ELNS1_3repE0EEENS1_30default_config_static_selectorELNS0_4arch9wavefront6targetE0EEEvT1_,comdat
.Lfunc_end587:
	.size	_ZN7rocprim17ROCPRIM_400000_NS6detail17trampoline_kernelINS0_14default_configENS1_27scan_by_key_config_selectorIssEEZZNS1_16scan_by_key_implILNS1_25lookback_scan_determinismE0ELb1ES3_N6thrust23THRUST_200600_302600_NS6detail15normal_iteratorINS9_10device_ptrIsEEEESE_SE_sNS9_4plusIvEENS9_8equal_toIvEEsEE10hipError_tPvRmT2_T3_T4_T5_mT6_T7_P12ihipStream_tbENKUlT_T0_E_clISt17integral_constantIbLb1EESY_IbLb0EEEEDaSU_SV_EUlSU_E_NS1_11comp_targetILNS1_3genE0ELNS1_11target_archE4294967295ELNS1_3gpuE0ELNS1_3repE0EEENS1_30default_config_static_selectorELNS0_4arch9wavefront6targetE0EEEvT1_, .Lfunc_end587-_ZN7rocprim17ROCPRIM_400000_NS6detail17trampoline_kernelINS0_14default_configENS1_27scan_by_key_config_selectorIssEEZZNS1_16scan_by_key_implILNS1_25lookback_scan_determinismE0ELb1ES3_N6thrust23THRUST_200600_302600_NS6detail15normal_iteratorINS9_10device_ptrIsEEEESE_SE_sNS9_4plusIvEENS9_8equal_toIvEEsEE10hipError_tPvRmT2_T3_T4_T5_mT6_T7_P12ihipStream_tbENKUlT_T0_E_clISt17integral_constantIbLb1EESY_IbLb0EEEEDaSU_SV_EUlSU_E_NS1_11comp_targetILNS1_3genE0ELNS1_11target_archE4294967295ELNS1_3gpuE0ELNS1_3repE0EEENS1_30default_config_static_selectorELNS0_4arch9wavefront6targetE0EEEvT1_
                                        ; -- End function
	.set _ZN7rocprim17ROCPRIM_400000_NS6detail17trampoline_kernelINS0_14default_configENS1_27scan_by_key_config_selectorIssEEZZNS1_16scan_by_key_implILNS1_25lookback_scan_determinismE0ELb1ES3_N6thrust23THRUST_200600_302600_NS6detail15normal_iteratorINS9_10device_ptrIsEEEESE_SE_sNS9_4plusIvEENS9_8equal_toIvEEsEE10hipError_tPvRmT2_T3_T4_T5_mT6_T7_P12ihipStream_tbENKUlT_T0_E_clISt17integral_constantIbLb1EESY_IbLb0EEEEDaSU_SV_EUlSU_E_NS1_11comp_targetILNS1_3genE0ELNS1_11target_archE4294967295ELNS1_3gpuE0ELNS1_3repE0EEENS1_30default_config_static_selectorELNS0_4arch9wavefront6targetE0EEEvT1_.num_vgpr, 0
	.set _ZN7rocprim17ROCPRIM_400000_NS6detail17trampoline_kernelINS0_14default_configENS1_27scan_by_key_config_selectorIssEEZZNS1_16scan_by_key_implILNS1_25lookback_scan_determinismE0ELb1ES3_N6thrust23THRUST_200600_302600_NS6detail15normal_iteratorINS9_10device_ptrIsEEEESE_SE_sNS9_4plusIvEENS9_8equal_toIvEEsEE10hipError_tPvRmT2_T3_T4_T5_mT6_T7_P12ihipStream_tbENKUlT_T0_E_clISt17integral_constantIbLb1EESY_IbLb0EEEEDaSU_SV_EUlSU_E_NS1_11comp_targetILNS1_3genE0ELNS1_11target_archE4294967295ELNS1_3gpuE0ELNS1_3repE0EEENS1_30default_config_static_selectorELNS0_4arch9wavefront6targetE0EEEvT1_.num_agpr, 0
	.set _ZN7rocprim17ROCPRIM_400000_NS6detail17trampoline_kernelINS0_14default_configENS1_27scan_by_key_config_selectorIssEEZZNS1_16scan_by_key_implILNS1_25lookback_scan_determinismE0ELb1ES3_N6thrust23THRUST_200600_302600_NS6detail15normal_iteratorINS9_10device_ptrIsEEEESE_SE_sNS9_4plusIvEENS9_8equal_toIvEEsEE10hipError_tPvRmT2_T3_T4_T5_mT6_T7_P12ihipStream_tbENKUlT_T0_E_clISt17integral_constantIbLb1EESY_IbLb0EEEEDaSU_SV_EUlSU_E_NS1_11comp_targetILNS1_3genE0ELNS1_11target_archE4294967295ELNS1_3gpuE0ELNS1_3repE0EEENS1_30default_config_static_selectorELNS0_4arch9wavefront6targetE0EEEvT1_.numbered_sgpr, 0
	.set _ZN7rocprim17ROCPRIM_400000_NS6detail17trampoline_kernelINS0_14default_configENS1_27scan_by_key_config_selectorIssEEZZNS1_16scan_by_key_implILNS1_25lookback_scan_determinismE0ELb1ES3_N6thrust23THRUST_200600_302600_NS6detail15normal_iteratorINS9_10device_ptrIsEEEESE_SE_sNS9_4plusIvEENS9_8equal_toIvEEsEE10hipError_tPvRmT2_T3_T4_T5_mT6_T7_P12ihipStream_tbENKUlT_T0_E_clISt17integral_constantIbLb1EESY_IbLb0EEEEDaSU_SV_EUlSU_E_NS1_11comp_targetILNS1_3genE0ELNS1_11target_archE4294967295ELNS1_3gpuE0ELNS1_3repE0EEENS1_30default_config_static_selectorELNS0_4arch9wavefront6targetE0EEEvT1_.num_named_barrier, 0
	.set _ZN7rocprim17ROCPRIM_400000_NS6detail17trampoline_kernelINS0_14default_configENS1_27scan_by_key_config_selectorIssEEZZNS1_16scan_by_key_implILNS1_25lookback_scan_determinismE0ELb1ES3_N6thrust23THRUST_200600_302600_NS6detail15normal_iteratorINS9_10device_ptrIsEEEESE_SE_sNS9_4plusIvEENS9_8equal_toIvEEsEE10hipError_tPvRmT2_T3_T4_T5_mT6_T7_P12ihipStream_tbENKUlT_T0_E_clISt17integral_constantIbLb1EESY_IbLb0EEEEDaSU_SV_EUlSU_E_NS1_11comp_targetILNS1_3genE0ELNS1_11target_archE4294967295ELNS1_3gpuE0ELNS1_3repE0EEENS1_30default_config_static_selectorELNS0_4arch9wavefront6targetE0EEEvT1_.private_seg_size, 0
	.set _ZN7rocprim17ROCPRIM_400000_NS6detail17trampoline_kernelINS0_14default_configENS1_27scan_by_key_config_selectorIssEEZZNS1_16scan_by_key_implILNS1_25lookback_scan_determinismE0ELb1ES3_N6thrust23THRUST_200600_302600_NS6detail15normal_iteratorINS9_10device_ptrIsEEEESE_SE_sNS9_4plusIvEENS9_8equal_toIvEEsEE10hipError_tPvRmT2_T3_T4_T5_mT6_T7_P12ihipStream_tbENKUlT_T0_E_clISt17integral_constantIbLb1EESY_IbLb0EEEEDaSU_SV_EUlSU_E_NS1_11comp_targetILNS1_3genE0ELNS1_11target_archE4294967295ELNS1_3gpuE0ELNS1_3repE0EEENS1_30default_config_static_selectorELNS0_4arch9wavefront6targetE0EEEvT1_.uses_vcc, 0
	.set _ZN7rocprim17ROCPRIM_400000_NS6detail17trampoline_kernelINS0_14default_configENS1_27scan_by_key_config_selectorIssEEZZNS1_16scan_by_key_implILNS1_25lookback_scan_determinismE0ELb1ES3_N6thrust23THRUST_200600_302600_NS6detail15normal_iteratorINS9_10device_ptrIsEEEESE_SE_sNS9_4plusIvEENS9_8equal_toIvEEsEE10hipError_tPvRmT2_T3_T4_T5_mT6_T7_P12ihipStream_tbENKUlT_T0_E_clISt17integral_constantIbLb1EESY_IbLb0EEEEDaSU_SV_EUlSU_E_NS1_11comp_targetILNS1_3genE0ELNS1_11target_archE4294967295ELNS1_3gpuE0ELNS1_3repE0EEENS1_30default_config_static_selectorELNS0_4arch9wavefront6targetE0EEEvT1_.uses_flat_scratch, 0
	.set _ZN7rocprim17ROCPRIM_400000_NS6detail17trampoline_kernelINS0_14default_configENS1_27scan_by_key_config_selectorIssEEZZNS1_16scan_by_key_implILNS1_25lookback_scan_determinismE0ELb1ES3_N6thrust23THRUST_200600_302600_NS6detail15normal_iteratorINS9_10device_ptrIsEEEESE_SE_sNS9_4plusIvEENS9_8equal_toIvEEsEE10hipError_tPvRmT2_T3_T4_T5_mT6_T7_P12ihipStream_tbENKUlT_T0_E_clISt17integral_constantIbLb1EESY_IbLb0EEEEDaSU_SV_EUlSU_E_NS1_11comp_targetILNS1_3genE0ELNS1_11target_archE4294967295ELNS1_3gpuE0ELNS1_3repE0EEENS1_30default_config_static_selectorELNS0_4arch9wavefront6targetE0EEEvT1_.has_dyn_sized_stack, 0
	.set _ZN7rocprim17ROCPRIM_400000_NS6detail17trampoline_kernelINS0_14default_configENS1_27scan_by_key_config_selectorIssEEZZNS1_16scan_by_key_implILNS1_25lookback_scan_determinismE0ELb1ES3_N6thrust23THRUST_200600_302600_NS6detail15normal_iteratorINS9_10device_ptrIsEEEESE_SE_sNS9_4plusIvEENS9_8equal_toIvEEsEE10hipError_tPvRmT2_T3_T4_T5_mT6_T7_P12ihipStream_tbENKUlT_T0_E_clISt17integral_constantIbLb1EESY_IbLb0EEEEDaSU_SV_EUlSU_E_NS1_11comp_targetILNS1_3genE0ELNS1_11target_archE4294967295ELNS1_3gpuE0ELNS1_3repE0EEENS1_30default_config_static_selectorELNS0_4arch9wavefront6targetE0EEEvT1_.has_recursion, 0
	.set _ZN7rocprim17ROCPRIM_400000_NS6detail17trampoline_kernelINS0_14default_configENS1_27scan_by_key_config_selectorIssEEZZNS1_16scan_by_key_implILNS1_25lookback_scan_determinismE0ELb1ES3_N6thrust23THRUST_200600_302600_NS6detail15normal_iteratorINS9_10device_ptrIsEEEESE_SE_sNS9_4plusIvEENS9_8equal_toIvEEsEE10hipError_tPvRmT2_T3_T4_T5_mT6_T7_P12ihipStream_tbENKUlT_T0_E_clISt17integral_constantIbLb1EESY_IbLb0EEEEDaSU_SV_EUlSU_E_NS1_11comp_targetILNS1_3genE0ELNS1_11target_archE4294967295ELNS1_3gpuE0ELNS1_3repE0EEENS1_30default_config_static_selectorELNS0_4arch9wavefront6targetE0EEEvT1_.has_indirect_call, 0
	.section	.AMDGPU.csdata,"",@progbits
; Kernel info:
; codeLenInByte = 4
; TotalNumSgprs: 0
; NumVgprs: 0
; ScratchSize: 0
; MemoryBound: 0
; FloatMode: 240
; IeeeMode: 1
; LDSByteSize: 0 bytes/workgroup (compile time only)
; SGPRBlocks: 0
; VGPRBlocks: 0
; NumSGPRsForWavesPerEU: 1
; NumVGPRsForWavesPerEU: 1
; NamedBarCnt: 0
; Occupancy: 16
; WaveLimiterHint : 0
; COMPUTE_PGM_RSRC2:SCRATCH_EN: 0
; COMPUTE_PGM_RSRC2:USER_SGPR: 2
; COMPUTE_PGM_RSRC2:TRAP_HANDLER: 0
; COMPUTE_PGM_RSRC2:TGID_X_EN: 1
; COMPUTE_PGM_RSRC2:TGID_Y_EN: 0
; COMPUTE_PGM_RSRC2:TGID_Z_EN: 0
; COMPUTE_PGM_RSRC2:TIDIG_COMP_CNT: 0
	.section	.text._ZN7rocprim17ROCPRIM_400000_NS6detail17trampoline_kernelINS0_14default_configENS1_27scan_by_key_config_selectorIssEEZZNS1_16scan_by_key_implILNS1_25lookback_scan_determinismE0ELb1ES3_N6thrust23THRUST_200600_302600_NS6detail15normal_iteratorINS9_10device_ptrIsEEEESE_SE_sNS9_4plusIvEENS9_8equal_toIvEEsEE10hipError_tPvRmT2_T3_T4_T5_mT6_T7_P12ihipStream_tbENKUlT_T0_E_clISt17integral_constantIbLb1EESY_IbLb0EEEEDaSU_SV_EUlSU_E_NS1_11comp_targetILNS1_3genE10ELNS1_11target_archE1201ELNS1_3gpuE5ELNS1_3repE0EEENS1_30default_config_static_selectorELNS0_4arch9wavefront6targetE0EEEvT1_,"axG",@progbits,_ZN7rocprim17ROCPRIM_400000_NS6detail17trampoline_kernelINS0_14default_configENS1_27scan_by_key_config_selectorIssEEZZNS1_16scan_by_key_implILNS1_25lookback_scan_determinismE0ELb1ES3_N6thrust23THRUST_200600_302600_NS6detail15normal_iteratorINS9_10device_ptrIsEEEESE_SE_sNS9_4plusIvEENS9_8equal_toIvEEsEE10hipError_tPvRmT2_T3_T4_T5_mT6_T7_P12ihipStream_tbENKUlT_T0_E_clISt17integral_constantIbLb1EESY_IbLb0EEEEDaSU_SV_EUlSU_E_NS1_11comp_targetILNS1_3genE10ELNS1_11target_archE1201ELNS1_3gpuE5ELNS1_3repE0EEENS1_30default_config_static_selectorELNS0_4arch9wavefront6targetE0EEEvT1_,comdat
	.protected	_ZN7rocprim17ROCPRIM_400000_NS6detail17trampoline_kernelINS0_14default_configENS1_27scan_by_key_config_selectorIssEEZZNS1_16scan_by_key_implILNS1_25lookback_scan_determinismE0ELb1ES3_N6thrust23THRUST_200600_302600_NS6detail15normal_iteratorINS9_10device_ptrIsEEEESE_SE_sNS9_4plusIvEENS9_8equal_toIvEEsEE10hipError_tPvRmT2_T3_T4_T5_mT6_T7_P12ihipStream_tbENKUlT_T0_E_clISt17integral_constantIbLb1EESY_IbLb0EEEEDaSU_SV_EUlSU_E_NS1_11comp_targetILNS1_3genE10ELNS1_11target_archE1201ELNS1_3gpuE5ELNS1_3repE0EEENS1_30default_config_static_selectorELNS0_4arch9wavefront6targetE0EEEvT1_ ; -- Begin function _ZN7rocprim17ROCPRIM_400000_NS6detail17trampoline_kernelINS0_14default_configENS1_27scan_by_key_config_selectorIssEEZZNS1_16scan_by_key_implILNS1_25lookback_scan_determinismE0ELb1ES3_N6thrust23THRUST_200600_302600_NS6detail15normal_iteratorINS9_10device_ptrIsEEEESE_SE_sNS9_4plusIvEENS9_8equal_toIvEEsEE10hipError_tPvRmT2_T3_T4_T5_mT6_T7_P12ihipStream_tbENKUlT_T0_E_clISt17integral_constantIbLb1EESY_IbLb0EEEEDaSU_SV_EUlSU_E_NS1_11comp_targetILNS1_3genE10ELNS1_11target_archE1201ELNS1_3gpuE5ELNS1_3repE0EEENS1_30default_config_static_selectorELNS0_4arch9wavefront6targetE0EEEvT1_
	.globl	_ZN7rocprim17ROCPRIM_400000_NS6detail17trampoline_kernelINS0_14default_configENS1_27scan_by_key_config_selectorIssEEZZNS1_16scan_by_key_implILNS1_25lookback_scan_determinismE0ELb1ES3_N6thrust23THRUST_200600_302600_NS6detail15normal_iteratorINS9_10device_ptrIsEEEESE_SE_sNS9_4plusIvEENS9_8equal_toIvEEsEE10hipError_tPvRmT2_T3_T4_T5_mT6_T7_P12ihipStream_tbENKUlT_T0_E_clISt17integral_constantIbLb1EESY_IbLb0EEEEDaSU_SV_EUlSU_E_NS1_11comp_targetILNS1_3genE10ELNS1_11target_archE1201ELNS1_3gpuE5ELNS1_3repE0EEENS1_30default_config_static_selectorELNS0_4arch9wavefront6targetE0EEEvT1_
	.p2align	8
	.type	_ZN7rocprim17ROCPRIM_400000_NS6detail17trampoline_kernelINS0_14default_configENS1_27scan_by_key_config_selectorIssEEZZNS1_16scan_by_key_implILNS1_25lookback_scan_determinismE0ELb1ES3_N6thrust23THRUST_200600_302600_NS6detail15normal_iteratorINS9_10device_ptrIsEEEESE_SE_sNS9_4plusIvEENS9_8equal_toIvEEsEE10hipError_tPvRmT2_T3_T4_T5_mT6_T7_P12ihipStream_tbENKUlT_T0_E_clISt17integral_constantIbLb1EESY_IbLb0EEEEDaSU_SV_EUlSU_E_NS1_11comp_targetILNS1_3genE10ELNS1_11target_archE1201ELNS1_3gpuE5ELNS1_3repE0EEENS1_30default_config_static_selectorELNS0_4arch9wavefront6targetE0EEEvT1_,@function
_ZN7rocprim17ROCPRIM_400000_NS6detail17trampoline_kernelINS0_14default_configENS1_27scan_by_key_config_selectorIssEEZZNS1_16scan_by_key_implILNS1_25lookback_scan_determinismE0ELb1ES3_N6thrust23THRUST_200600_302600_NS6detail15normal_iteratorINS9_10device_ptrIsEEEESE_SE_sNS9_4plusIvEENS9_8equal_toIvEEsEE10hipError_tPvRmT2_T3_T4_T5_mT6_T7_P12ihipStream_tbENKUlT_T0_E_clISt17integral_constantIbLb1EESY_IbLb0EEEEDaSU_SV_EUlSU_E_NS1_11comp_targetILNS1_3genE10ELNS1_11target_archE1201ELNS1_3gpuE5ELNS1_3repE0EEENS1_30default_config_static_selectorELNS0_4arch9wavefront6targetE0EEEvT1_: ; @_ZN7rocprim17ROCPRIM_400000_NS6detail17trampoline_kernelINS0_14default_configENS1_27scan_by_key_config_selectorIssEEZZNS1_16scan_by_key_implILNS1_25lookback_scan_determinismE0ELb1ES3_N6thrust23THRUST_200600_302600_NS6detail15normal_iteratorINS9_10device_ptrIsEEEESE_SE_sNS9_4plusIvEENS9_8equal_toIvEEsEE10hipError_tPvRmT2_T3_T4_T5_mT6_T7_P12ihipStream_tbENKUlT_T0_E_clISt17integral_constantIbLb1EESY_IbLb0EEEEDaSU_SV_EUlSU_E_NS1_11comp_targetILNS1_3genE10ELNS1_11target_archE1201ELNS1_3gpuE5ELNS1_3repE0EEENS1_30default_config_static_selectorELNS0_4arch9wavefront6targetE0EEEvT1_
; %bb.0:
	.section	.rodata,"a",@progbits
	.p2align	6, 0x0
	.amdhsa_kernel _ZN7rocprim17ROCPRIM_400000_NS6detail17trampoline_kernelINS0_14default_configENS1_27scan_by_key_config_selectorIssEEZZNS1_16scan_by_key_implILNS1_25lookback_scan_determinismE0ELb1ES3_N6thrust23THRUST_200600_302600_NS6detail15normal_iteratorINS9_10device_ptrIsEEEESE_SE_sNS9_4plusIvEENS9_8equal_toIvEEsEE10hipError_tPvRmT2_T3_T4_T5_mT6_T7_P12ihipStream_tbENKUlT_T0_E_clISt17integral_constantIbLb1EESY_IbLb0EEEEDaSU_SV_EUlSU_E_NS1_11comp_targetILNS1_3genE10ELNS1_11target_archE1201ELNS1_3gpuE5ELNS1_3repE0EEENS1_30default_config_static_selectorELNS0_4arch9wavefront6targetE0EEEvT1_
		.amdhsa_group_segment_fixed_size 0
		.amdhsa_private_segment_fixed_size 0
		.amdhsa_kernarg_size 112
		.amdhsa_user_sgpr_count 2
		.amdhsa_user_sgpr_dispatch_ptr 0
		.amdhsa_user_sgpr_queue_ptr 0
		.amdhsa_user_sgpr_kernarg_segment_ptr 1
		.amdhsa_user_sgpr_dispatch_id 0
		.amdhsa_user_sgpr_kernarg_preload_length 0
		.amdhsa_user_sgpr_kernarg_preload_offset 0
		.amdhsa_user_sgpr_private_segment_size 0
		.amdhsa_wavefront_size32 1
		.amdhsa_uses_dynamic_stack 0
		.amdhsa_enable_private_segment 0
		.amdhsa_system_sgpr_workgroup_id_x 1
		.amdhsa_system_sgpr_workgroup_id_y 0
		.amdhsa_system_sgpr_workgroup_id_z 0
		.amdhsa_system_sgpr_workgroup_info 0
		.amdhsa_system_vgpr_workitem_id 0
		.amdhsa_next_free_vgpr 1
		.amdhsa_next_free_sgpr 1
		.amdhsa_named_barrier_count 0
		.amdhsa_reserve_vcc 0
		.amdhsa_float_round_mode_32 0
		.amdhsa_float_round_mode_16_64 0
		.amdhsa_float_denorm_mode_32 3
		.amdhsa_float_denorm_mode_16_64 3
		.amdhsa_fp16_overflow 0
		.amdhsa_memory_ordered 1
		.amdhsa_forward_progress 1
		.amdhsa_inst_pref_size 0
		.amdhsa_round_robin_scheduling 0
		.amdhsa_exception_fp_ieee_invalid_op 0
		.amdhsa_exception_fp_denorm_src 0
		.amdhsa_exception_fp_ieee_div_zero 0
		.amdhsa_exception_fp_ieee_overflow 0
		.amdhsa_exception_fp_ieee_underflow 0
		.amdhsa_exception_fp_ieee_inexact 0
		.amdhsa_exception_int_div_zero 0
	.end_amdhsa_kernel
	.section	.text._ZN7rocprim17ROCPRIM_400000_NS6detail17trampoline_kernelINS0_14default_configENS1_27scan_by_key_config_selectorIssEEZZNS1_16scan_by_key_implILNS1_25lookback_scan_determinismE0ELb1ES3_N6thrust23THRUST_200600_302600_NS6detail15normal_iteratorINS9_10device_ptrIsEEEESE_SE_sNS9_4plusIvEENS9_8equal_toIvEEsEE10hipError_tPvRmT2_T3_T4_T5_mT6_T7_P12ihipStream_tbENKUlT_T0_E_clISt17integral_constantIbLb1EESY_IbLb0EEEEDaSU_SV_EUlSU_E_NS1_11comp_targetILNS1_3genE10ELNS1_11target_archE1201ELNS1_3gpuE5ELNS1_3repE0EEENS1_30default_config_static_selectorELNS0_4arch9wavefront6targetE0EEEvT1_,"axG",@progbits,_ZN7rocprim17ROCPRIM_400000_NS6detail17trampoline_kernelINS0_14default_configENS1_27scan_by_key_config_selectorIssEEZZNS1_16scan_by_key_implILNS1_25lookback_scan_determinismE0ELb1ES3_N6thrust23THRUST_200600_302600_NS6detail15normal_iteratorINS9_10device_ptrIsEEEESE_SE_sNS9_4plusIvEENS9_8equal_toIvEEsEE10hipError_tPvRmT2_T3_T4_T5_mT6_T7_P12ihipStream_tbENKUlT_T0_E_clISt17integral_constantIbLb1EESY_IbLb0EEEEDaSU_SV_EUlSU_E_NS1_11comp_targetILNS1_3genE10ELNS1_11target_archE1201ELNS1_3gpuE5ELNS1_3repE0EEENS1_30default_config_static_selectorELNS0_4arch9wavefront6targetE0EEEvT1_,comdat
.Lfunc_end588:
	.size	_ZN7rocprim17ROCPRIM_400000_NS6detail17trampoline_kernelINS0_14default_configENS1_27scan_by_key_config_selectorIssEEZZNS1_16scan_by_key_implILNS1_25lookback_scan_determinismE0ELb1ES3_N6thrust23THRUST_200600_302600_NS6detail15normal_iteratorINS9_10device_ptrIsEEEESE_SE_sNS9_4plusIvEENS9_8equal_toIvEEsEE10hipError_tPvRmT2_T3_T4_T5_mT6_T7_P12ihipStream_tbENKUlT_T0_E_clISt17integral_constantIbLb1EESY_IbLb0EEEEDaSU_SV_EUlSU_E_NS1_11comp_targetILNS1_3genE10ELNS1_11target_archE1201ELNS1_3gpuE5ELNS1_3repE0EEENS1_30default_config_static_selectorELNS0_4arch9wavefront6targetE0EEEvT1_, .Lfunc_end588-_ZN7rocprim17ROCPRIM_400000_NS6detail17trampoline_kernelINS0_14default_configENS1_27scan_by_key_config_selectorIssEEZZNS1_16scan_by_key_implILNS1_25lookback_scan_determinismE0ELb1ES3_N6thrust23THRUST_200600_302600_NS6detail15normal_iteratorINS9_10device_ptrIsEEEESE_SE_sNS9_4plusIvEENS9_8equal_toIvEEsEE10hipError_tPvRmT2_T3_T4_T5_mT6_T7_P12ihipStream_tbENKUlT_T0_E_clISt17integral_constantIbLb1EESY_IbLb0EEEEDaSU_SV_EUlSU_E_NS1_11comp_targetILNS1_3genE10ELNS1_11target_archE1201ELNS1_3gpuE5ELNS1_3repE0EEENS1_30default_config_static_selectorELNS0_4arch9wavefront6targetE0EEEvT1_
                                        ; -- End function
	.set _ZN7rocprim17ROCPRIM_400000_NS6detail17trampoline_kernelINS0_14default_configENS1_27scan_by_key_config_selectorIssEEZZNS1_16scan_by_key_implILNS1_25lookback_scan_determinismE0ELb1ES3_N6thrust23THRUST_200600_302600_NS6detail15normal_iteratorINS9_10device_ptrIsEEEESE_SE_sNS9_4plusIvEENS9_8equal_toIvEEsEE10hipError_tPvRmT2_T3_T4_T5_mT6_T7_P12ihipStream_tbENKUlT_T0_E_clISt17integral_constantIbLb1EESY_IbLb0EEEEDaSU_SV_EUlSU_E_NS1_11comp_targetILNS1_3genE10ELNS1_11target_archE1201ELNS1_3gpuE5ELNS1_3repE0EEENS1_30default_config_static_selectorELNS0_4arch9wavefront6targetE0EEEvT1_.num_vgpr, 0
	.set _ZN7rocprim17ROCPRIM_400000_NS6detail17trampoline_kernelINS0_14default_configENS1_27scan_by_key_config_selectorIssEEZZNS1_16scan_by_key_implILNS1_25lookback_scan_determinismE0ELb1ES3_N6thrust23THRUST_200600_302600_NS6detail15normal_iteratorINS9_10device_ptrIsEEEESE_SE_sNS9_4plusIvEENS9_8equal_toIvEEsEE10hipError_tPvRmT2_T3_T4_T5_mT6_T7_P12ihipStream_tbENKUlT_T0_E_clISt17integral_constantIbLb1EESY_IbLb0EEEEDaSU_SV_EUlSU_E_NS1_11comp_targetILNS1_3genE10ELNS1_11target_archE1201ELNS1_3gpuE5ELNS1_3repE0EEENS1_30default_config_static_selectorELNS0_4arch9wavefront6targetE0EEEvT1_.num_agpr, 0
	.set _ZN7rocprim17ROCPRIM_400000_NS6detail17trampoline_kernelINS0_14default_configENS1_27scan_by_key_config_selectorIssEEZZNS1_16scan_by_key_implILNS1_25lookback_scan_determinismE0ELb1ES3_N6thrust23THRUST_200600_302600_NS6detail15normal_iteratorINS9_10device_ptrIsEEEESE_SE_sNS9_4plusIvEENS9_8equal_toIvEEsEE10hipError_tPvRmT2_T3_T4_T5_mT6_T7_P12ihipStream_tbENKUlT_T0_E_clISt17integral_constantIbLb1EESY_IbLb0EEEEDaSU_SV_EUlSU_E_NS1_11comp_targetILNS1_3genE10ELNS1_11target_archE1201ELNS1_3gpuE5ELNS1_3repE0EEENS1_30default_config_static_selectorELNS0_4arch9wavefront6targetE0EEEvT1_.numbered_sgpr, 0
	.set _ZN7rocprim17ROCPRIM_400000_NS6detail17trampoline_kernelINS0_14default_configENS1_27scan_by_key_config_selectorIssEEZZNS1_16scan_by_key_implILNS1_25lookback_scan_determinismE0ELb1ES3_N6thrust23THRUST_200600_302600_NS6detail15normal_iteratorINS9_10device_ptrIsEEEESE_SE_sNS9_4plusIvEENS9_8equal_toIvEEsEE10hipError_tPvRmT2_T3_T4_T5_mT6_T7_P12ihipStream_tbENKUlT_T0_E_clISt17integral_constantIbLb1EESY_IbLb0EEEEDaSU_SV_EUlSU_E_NS1_11comp_targetILNS1_3genE10ELNS1_11target_archE1201ELNS1_3gpuE5ELNS1_3repE0EEENS1_30default_config_static_selectorELNS0_4arch9wavefront6targetE0EEEvT1_.num_named_barrier, 0
	.set _ZN7rocprim17ROCPRIM_400000_NS6detail17trampoline_kernelINS0_14default_configENS1_27scan_by_key_config_selectorIssEEZZNS1_16scan_by_key_implILNS1_25lookback_scan_determinismE0ELb1ES3_N6thrust23THRUST_200600_302600_NS6detail15normal_iteratorINS9_10device_ptrIsEEEESE_SE_sNS9_4plusIvEENS9_8equal_toIvEEsEE10hipError_tPvRmT2_T3_T4_T5_mT6_T7_P12ihipStream_tbENKUlT_T0_E_clISt17integral_constantIbLb1EESY_IbLb0EEEEDaSU_SV_EUlSU_E_NS1_11comp_targetILNS1_3genE10ELNS1_11target_archE1201ELNS1_3gpuE5ELNS1_3repE0EEENS1_30default_config_static_selectorELNS0_4arch9wavefront6targetE0EEEvT1_.private_seg_size, 0
	.set _ZN7rocprim17ROCPRIM_400000_NS6detail17trampoline_kernelINS0_14default_configENS1_27scan_by_key_config_selectorIssEEZZNS1_16scan_by_key_implILNS1_25lookback_scan_determinismE0ELb1ES3_N6thrust23THRUST_200600_302600_NS6detail15normal_iteratorINS9_10device_ptrIsEEEESE_SE_sNS9_4plusIvEENS9_8equal_toIvEEsEE10hipError_tPvRmT2_T3_T4_T5_mT6_T7_P12ihipStream_tbENKUlT_T0_E_clISt17integral_constantIbLb1EESY_IbLb0EEEEDaSU_SV_EUlSU_E_NS1_11comp_targetILNS1_3genE10ELNS1_11target_archE1201ELNS1_3gpuE5ELNS1_3repE0EEENS1_30default_config_static_selectorELNS0_4arch9wavefront6targetE0EEEvT1_.uses_vcc, 0
	.set _ZN7rocprim17ROCPRIM_400000_NS6detail17trampoline_kernelINS0_14default_configENS1_27scan_by_key_config_selectorIssEEZZNS1_16scan_by_key_implILNS1_25lookback_scan_determinismE0ELb1ES3_N6thrust23THRUST_200600_302600_NS6detail15normal_iteratorINS9_10device_ptrIsEEEESE_SE_sNS9_4plusIvEENS9_8equal_toIvEEsEE10hipError_tPvRmT2_T3_T4_T5_mT6_T7_P12ihipStream_tbENKUlT_T0_E_clISt17integral_constantIbLb1EESY_IbLb0EEEEDaSU_SV_EUlSU_E_NS1_11comp_targetILNS1_3genE10ELNS1_11target_archE1201ELNS1_3gpuE5ELNS1_3repE0EEENS1_30default_config_static_selectorELNS0_4arch9wavefront6targetE0EEEvT1_.uses_flat_scratch, 0
	.set _ZN7rocprim17ROCPRIM_400000_NS6detail17trampoline_kernelINS0_14default_configENS1_27scan_by_key_config_selectorIssEEZZNS1_16scan_by_key_implILNS1_25lookback_scan_determinismE0ELb1ES3_N6thrust23THRUST_200600_302600_NS6detail15normal_iteratorINS9_10device_ptrIsEEEESE_SE_sNS9_4plusIvEENS9_8equal_toIvEEsEE10hipError_tPvRmT2_T3_T4_T5_mT6_T7_P12ihipStream_tbENKUlT_T0_E_clISt17integral_constantIbLb1EESY_IbLb0EEEEDaSU_SV_EUlSU_E_NS1_11comp_targetILNS1_3genE10ELNS1_11target_archE1201ELNS1_3gpuE5ELNS1_3repE0EEENS1_30default_config_static_selectorELNS0_4arch9wavefront6targetE0EEEvT1_.has_dyn_sized_stack, 0
	.set _ZN7rocprim17ROCPRIM_400000_NS6detail17trampoline_kernelINS0_14default_configENS1_27scan_by_key_config_selectorIssEEZZNS1_16scan_by_key_implILNS1_25lookback_scan_determinismE0ELb1ES3_N6thrust23THRUST_200600_302600_NS6detail15normal_iteratorINS9_10device_ptrIsEEEESE_SE_sNS9_4plusIvEENS9_8equal_toIvEEsEE10hipError_tPvRmT2_T3_T4_T5_mT6_T7_P12ihipStream_tbENKUlT_T0_E_clISt17integral_constantIbLb1EESY_IbLb0EEEEDaSU_SV_EUlSU_E_NS1_11comp_targetILNS1_3genE10ELNS1_11target_archE1201ELNS1_3gpuE5ELNS1_3repE0EEENS1_30default_config_static_selectorELNS0_4arch9wavefront6targetE0EEEvT1_.has_recursion, 0
	.set _ZN7rocprim17ROCPRIM_400000_NS6detail17trampoline_kernelINS0_14default_configENS1_27scan_by_key_config_selectorIssEEZZNS1_16scan_by_key_implILNS1_25lookback_scan_determinismE0ELb1ES3_N6thrust23THRUST_200600_302600_NS6detail15normal_iteratorINS9_10device_ptrIsEEEESE_SE_sNS9_4plusIvEENS9_8equal_toIvEEsEE10hipError_tPvRmT2_T3_T4_T5_mT6_T7_P12ihipStream_tbENKUlT_T0_E_clISt17integral_constantIbLb1EESY_IbLb0EEEEDaSU_SV_EUlSU_E_NS1_11comp_targetILNS1_3genE10ELNS1_11target_archE1201ELNS1_3gpuE5ELNS1_3repE0EEENS1_30default_config_static_selectorELNS0_4arch9wavefront6targetE0EEEvT1_.has_indirect_call, 0
	.section	.AMDGPU.csdata,"",@progbits
; Kernel info:
; codeLenInByte = 0
; TotalNumSgprs: 0
; NumVgprs: 0
; ScratchSize: 0
; MemoryBound: 0
; FloatMode: 240
; IeeeMode: 1
; LDSByteSize: 0 bytes/workgroup (compile time only)
; SGPRBlocks: 0
; VGPRBlocks: 0
; NumSGPRsForWavesPerEU: 1
; NumVGPRsForWavesPerEU: 1
; NamedBarCnt: 0
; Occupancy: 16
; WaveLimiterHint : 0
; COMPUTE_PGM_RSRC2:SCRATCH_EN: 0
; COMPUTE_PGM_RSRC2:USER_SGPR: 2
; COMPUTE_PGM_RSRC2:TRAP_HANDLER: 0
; COMPUTE_PGM_RSRC2:TGID_X_EN: 1
; COMPUTE_PGM_RSRC2:TGID_Y_EN: 0
; COMPUTE_PGM_RSRC2:TGID_Z_EN: 0
; COMPUTE_PGM_RSRC2:TIDIG_COMP_CNT: 0
	.section	.text._ZN7rocprim17ROCPRIM_400000_NS6detail17trampoline_kernelINS0_14default_configENS1_27scan_by_key_config_selectorIssEEZZNS1_16scan_by_key_implILNS1_25lookback_scan_determinismE0ELb1ES3_N6thrust23THRUST_200600_302600_NS6detail15normal_iteratorINS9_10device_ptrIsEEEESE_SE_sNS9_4plusIvEENS9_8equal_toIvEEsEE10hipError_tPvRmT2_T3_T4_T5_mT6_T7_P12ihipStream_tbENKUlT_T0_E_clISt17integral_constantIbLb1EESY_IbLb0EEEEDaSU_SV_EUlSU_E_NS1_11comp_targetILNS1_3genE5ELNS1_11target_archE942ELNS1_3gpuE9ELNS1_3repE0EEENS1_30default_config_static_selectorELNS0_4arch9wavefront6targetE0EEEvT1_,"axG",@progbits,_ZN7rocprim17ROCPRIM_400000_NS6detail17trampoline_kernelINS0_14default_configENS1_27scan_by_key_config_selectorIssEEZZNS1_16scan_by_key_implILNS1_25lookback_scan_determinismE0ELb1ES3_N6thrust23THRUST_200600_302600_NS6detail15normal_iteratorINS9_10device_ptrIsEEEESE_SE_sNS9_4plusIvEENS9_8equal_toIvEEsEE10hipError_tPvRmT2_T3_T4_T5_mT6_T7_P12ihipStream_tbENKUlT_T0_E_clISt17integral_constantIbLb1EESY_IbLb0EEEEDaSU_SV_EUlSU_E_NS1_11comp_targetILNS1_3genE5ELNS1_11target_archE942ELNS1_3gpuE9ELNS1_3repE0EEENS1_30default_config_static_selectorELNS0_4arch9wavefront6targetE0EEEvT1_,comdat
	.protected	_ZN7rocprim17ROCPRIM_400000_NS6detail17trampoline_kernelINS0_14default_configENS1_27scan_by_key_config_selectorIssEEZZNS1_16scan_by_key_implILNS1_25lookback_scan_determinismE0ELb1ES3_N6thrust23THRUST_200600_302600_NS6detail15normal_iteratorINS9_10device_ptrIsEEEESE_SE_sNS9_4plusIvEENS9_8equal_toIvEEsEE10hipError_tPvRmT2_T3_T4_T5_mT6_T7_P12ihipStream_tbENKUlT_T0_E_clISt17integral_constantIbLb1EESY_IbLb0EEEEDaSU_SV_EUlSU_E_NS1_11comp_targetILNS1_3genE5ELNS1_11target_archE942ELNS1_3gpuE9ELNS1_3repE0EEENS1_30default_config_static_selectorELNS0_4arch9wavefront6targetE0EEEvT1_ ; -- Begin function _ZN7rocprim17ROCPRIM_400000_NS6detail17trampoline_kernelINS0_14default_configENS1_27scan_by_key_config_selectorIssEEZZNS1_16scan_by_key_implILNS1_25lookback_scan_determinismE0ELb1ES3_N6thrust23THRUST_200600_302600_NS6detail15normal_iteratorINS9_10device_ptrIsEEEESE_SE_sNS9_4plusIvEENS9_8equal_toIvEEsEE10hipError_tPvRmT2_T3_T4_T5_mT6_T7_P12ihipStream_tbENKUlT_T0_E_clISt17integral_constantIbLb1EESY_IbLb0EEEEDaSU_SV_EUlSU_E_NS1_11comp_targetILNS1_3genE5ELNS1_11target_archE942ELNS1_3gpuE9ELNS1_3repE0EEENS1_30default_config_static_selectorELNS0_4arch9wavefront6targetE0EEEvT1_
	.globl	_ZN7rocprim17ROCPRIM_400000_NS6detail17trampoline_kernelINS0_14default_configENS1_27scan_by_key_config_selectorIssEEZZNS1_16scan_by_key_implILNS1_25lookback_scan_determinismE0ELb1ES3_N6thrust23THRUST_200600_302600_NS6detail15normal_iteratorINS9_10device_ptrIsEEEESE_SE_sNS9_4plusIvEENS9_8equal_toIvEEsEE10hipError_tPvRmT2_T3_T4_T5_mT6_T7_P12ihipStream_tbENKUlT_T0_E_clISt17integral_constantIbLb1EESY_IbLb0EEEEDaSU_SV_EUlSU_E_NS1_11comp_targetILNS1_3genE5ELNS1_11target_archE942ELNS1_3gpuE9ELNS1_3repE0EEENS1_30default_config_static_selectorELNS0_4arch9wavefront6targetE0EEEvT1_
	.p2align	8
	.type	_ZN7rocprim17ROCPRIM_400000_NS6detail17trampoline_kernelINS0_14default_configENS1_27scan_by_key_config_selectorIssEEZZNS1_16scan_by_key_implILNS1_25lookback_scan_determinismE0ELb1ES3_N6thrust23THRUST_200600_302600_NS6detail15normal_iteratorINS9_10device_ptrIsEEEESE_SE_sNS9_4plusIvEENS9_8equal_toIvEEsEE10hipError_tPvRmT2_T3_T4_T5_mT6_T7_P12ihipStream_tbENKUlT_T0_E_clISt17integral_constantIbLb1EESY_IbLb0EEEEDaSU_SV_EUlSU_E_NS1_11comp_targetILNS1_3genE5ELNS1_11target_archE942ELNS1_3gpuE9ELNS1_3repE0EEENS1_30default_config_static_selectorELNS0_4arch9wavefront6targetE0EEEvT1_,@function
_ZN7rocprim17ROCPRIM_400000_NS6detail17trampoline_kernelINS0_14default_configENS1_27scan_by_key_config_selectorIssEEZZNS1_16scan_by_key_implILNS1_25lookback_scan_determinismE0ELb1ES3_N6thrust23THRUST_200600_302600_NS6detail15normal_iteratorINS9_10device_ptrIsEEEESE_SE_sNS9_4plusIvEENS9_8equal_toIvEEsEE10hipError_tPvRmT2_T3_T4_T5_mT6_T7_P12ihipStream_tbENKUlT_T0_E_clISt17integral_constantIbLb1EESY_IbLb0EEEEDaSU_SV_EUlSU_E_NS1_11comp_targetILNS1_3genE5ELNS1_11target_archE942ELNS1_3gpuE9ELNS1_3repE0EEENS1_30default_config_static_selectorELNS0_4arch9wavefront6targetE0EEEvT1_: ; @_ZN7rocprim17ROCPRIM_400000_NS6detail17trampoline_kernelINS0_14default_configENS1_27scan_by_key_config_selectorIssEEZZNS1_16scan_by_key_implILNS1_25lookback_scan_determinismE0ELb1ES3_N6thrust23THRUST_200600_302600_NS6detail15normal_iteratorINS9_10device_ptrIsEEEESE_SE_sNS9_4plusIvEENS9_8equal_toIvEEsEE10hipError_tPvRmT2_T3_T4_T5_mT6_T7_P12ihipStream_tbENKUlT_T0_E_clISt17integral_constantIbLb1EESY_IbLb0EEEEDaSU_SV_EUlSU_E_NS1_11comp_targetILNS1_3genE5ELNS1_11target_archE942ELNS1_3gpuE9ELNS1_3repE0EEENS1_30default_config_static_selectorELNS0_4arch9wavefront6targetE0EEEvT1_
; %bb.0:
	.section	.rodata,"a",@progbits
	.p2align	6, 0x0
	.amdhsa_kernel _ZN7rocprim17ROCPRIM_400000_NS6detail17trampoline_kernelINS0_14default_configENS1_27scan_by_key_config_selectorIssEEZZNS1_16scan_by_key_implILNS1_25lookback_scan_determinismE0ELb1ES3_N6thrust23THRUST_200600_302600_NS6detail15normal_iteratorINS9_10device_ptrIsEEEESE_SE_sNS9_4plusIvEENS9_8equal_toIvEEsEE10hipError_tPvRmT2_T3_T4_T5_mT6_T7_P12ihipStream_tbENKUlT_T0_E_clISt17integral_constantIbLb1EESY_IbLb0EEEEDaSU_SV_EUlSU_E_NS1_11comp_targetILNS1_3genE5ELNS1_11target_archE942ELNS1_3gpuE9ELNS1_3repE0EEENS1_30default_config_static_selectorELNS0_4arch9wavefront6targetE0EEEvT1_
		.amdhsa_group_segment_fixed_size 0
		.amdhsa_private_segment_fixed_size 0
		.amdhsa_kernarg_size 112
		.amdhsa_user_sgpr_count 2
		.amdhsa_user_sgpr_dispatch_ptr 0
		.amdhsa_user_sgpr_queue_ptr 0
		.amdhsa_user_sgpr_kernarg_segment_ptr 1
		.amdhsa_user_sgpr_dispatch_id 0
		.amdhsa_user_sgpr_kernarg_preload_length 0
		.amdhsa_user_sgpr_kernarg_preload_offset 0
		.amdhsa_user_sgpr_private_segment_size 0
		.amdhsa_wavefront_size32 1
		.amdhsa_uses_dynamic_stack 0
		.amdhsa_enable_private_segment 0
		.amdhsa_system_sgpr_workgroup_id_x 1
		.amdhsa_system_sgpr_workgroup_id_y 0
		.amdhsa_system_sgpr_workgroup_id_z 0
		.amdhsa_system_sgpr_workgroup_info 0
		.amdhsa_system_vgpr_workitem_id 0
		.amdhsa_next_free_vgpr 1
		.amdhsa_next_free_sgpr 1
		.amdhsa_named_barrier_count 0
		.amdhsa_reserve_vcc 0
		.amdhsa_float_round_mode_32 0
		.amdhsa_float_round_mode_16_64 0
		.amdhsa_float_denorm_mode_32 3
		.amdhsa_float_denorm_mode_16_64 3
		.amdhsa_fp16_overflow 0
		.amdhsa_memory_ordered 1
		.amdhsa_forward_progress 1
		.amdhsa_inst_pref_size 0
		.amdhsa_round_robin_scheduling 0
		.amdhsa_exception_fp_ieee_invalid_op 0
		.amdhsa_exception_fp_denorm_src 0
		.amdhsa_exception_fp_ieee_div_zero 0
		.amdhsa_exception_fp_ieee_overflow 0
		.amdhsa_exception_fp_ieee_underflow 0
		.amdhsa_exception_fp_ieee_inexact 0
		.amdhsa_exception_int_div_zero 0
	.end_amdhsa_kernel
	.section	.text._ZN7rocprim17ROCPRIM_400000_NS6detail17trampoline_kernelINS0_14default_configENS1_27scan_by_key_config_selectorIssEEZZNS1_16scan_by_key_implILNS1_25lookback_scan_determinismE0ELb1ES3_N6thrust23THRUST_200600_302600_NS6detail15normal_iteratorINS9_10device_ptrIsEEEESE_SE_sNS9_4plusIvEENS9_8equal_toIvEEsEE10hipError_tPvRmT2_T3_T4_T5_mT6_T7_P12ihipStream_tbENKUlT_T0_E_clISt17integral_constantIbLb1EESY_IbLb0EEEEDaSU_SV_EUlSU_E_NS1_11comp_targetILNS1_3genE5ELNS1_11target_archE942ELNS1_3gpuE9ELNS1_3repE0EEENS1_30default_config_static_selectorELNS0_4arch9wavefront6targetE0EEEvT1_,"axG",@progbits,_ZN7rocprim17ROCPRIM_400000_NS6detail17trampoline_kernelINS0_14default_configENS1_27scan_by_key_config_selectorIssEEZZNS1_16scan_by_key_implILNS1_25lookback_scan_determinismE0ELb1ES3_N6thrust23THRUST_200600_302600_NS6detail15normal_iteratorINS9_10device_ptrIsEEEESE_SE_sNS9_4plusIvEENS9_8equal_toIvEEsEE10hipError_tPvRmT2_T3_T4_T5_mT6_T7_P12ihipStream_tbENKUlT_T0_E_clISt17integral_constantIbLb1EESY_IbLb0EEEEDaSU_SV_EUlSU_E_NS1_11comp_targetILNS1_3genE5ELNS1_11target_archE942ELNS1_3gpuE9ELNS1_3repE0EEENS1_30default_config_static_selectorELNS0_4arch9wavefront6targetE0EEEvT1_,comdat
.Lfunc_end589:
	.size	_ZN7rocprim17ROCPRIM_400000_NS6detail17trampoline_kernelINS0_14default_configENS1_27scan_by_key_config_selectorIssEEZZNS1_16scan_by_key_implILNS1_25lookback_scan_determinismE0ELb1ES3_N6thrust23THRUST_200600_302600_NS6detail15normal_iteratorINS9_10device_ptrIsEEEESE_SE_sNS9_4plusIvEENS9_8equal_toIvEEsEE10hipError_tPvRmT2_T3_T4_T5_mT6_T7_P12ihipStream_tbENKUlT_T0_E_clISt17integral_constantIbLb1EESY_IbLb0EEEEDaSU_SV_EUlSU_E_NS1_11comp_targetILNS1_3genE5ELNS1_11target_archE942ELNS1_3gpuE9ELNS1_3repE0EEENS1_30default_config_static_selectorELNS0_4arch9wavefront6targetE0EEEvT1_, .Lfunc_end589-_ZN7rocprim17ROCPRIM_400000_NS6detail17trampoline_kernelINS0_14default_configENS1_27scan_by_key_config_selectorIssEEZZNS1_16scan_by_key_implILNS1_25lookback_scan_determinismE0ELb1ES3_N6thrust23THRUST_200600_302600_NS6detail15normal_iteratorINS9_10device_ptrIsEEEESE_SE_sNS9_4plusIvEENS9_8equal_toIvEEsEE10hipError_tPvRmT2_T3_T4_T5_mT6_T7_P12ihipStream_tbENKUlT_T0_E_clISt17integral_constantIbLb1EESY_IbLb0EEEEDaSU_SV_EUlSU_E_NS1_11comp_targetILNS1_3genE5ELNS1_11target_archE942ELNS1_3gpuE9ELNS1_3repE0EEENS1_30default_config_static_selectorELNS0_4arch9wavefront6targetE0EEEvT1_
                                        ; -- End function
	.set _ZN7rocprim17ROCPRIM_400000_NS6detail17trampoline_kernelINS0_14default_configENS1_27scan_by_key_config_selectorIssEEZZNS1_16scan_by_key_implILNS1_25lookback_scan_determinismE0ELb1ES3_N6thrust23THRUST_200600_302600_NS6detail15normal_iteratorINS9_10device_ptrIsEEEESE_SE_sNS9_4plusIvEENS9_8equal_toIvEEsEE10hipError_tPvRmT2_T3_T4_T5_mT6_T7_P12ihipStream_tbENKUlT_T0_E_clISt17integral_constantIbLb1EESY_IbLb0EEEEDaSU_SV_EUlSU_E_NS1_11comp_targetILNS1_3genE5ELNS1_11target_archE942ELNS1_3gpuE9ELNS1_3repE0EEENS1_30default_config_static_selectorELNS0_4arch9wavefront6targetE0EEEvT1_.num_vgpr, 0
	.set _ZN7rocprim17ROCPRIM_400000_NS6detail17trampoline_kernelINS0_14default_configENS1_27scan_by_key_config_selectorIssEEZZNS1_16scan_by_key_implILNS1_25lookback_scan_determinismE0ELb1ES3_N6thrust23THRUST_200600_302600_NS6detail15normal_iteratorINS9_10device_ptrIsEEEESE_SE_sNS9_4plusIvEENS9_8equal_toIvEEsEE10hipError_tPvRmT2_T3_T4_T5_mT6_T7_P12ihipStream_tbENKUlT_T0_E_clISt17integral_constantIbLb1EESY_IbLb0EEEEDaSU_SV_EUlSU_E_NS1_11comp_targetILNS1_3genE5ELNS1_11target_archE942ELNS1_3gpuE9ELNS1_3repE0EEENS1_30default_config_static_selectorELNS0_4arch9wavefront6targetE0EEEvT1_.num_agpr, 0
	.set _ZN7rocprim17ROCPRIM_400000_NS6detail17trampoline_kernelINS0_14default_configENS1_27scan_by_key_config_selectorIssEEZZNS1_16scan_by_key_implILNS1_25lookback_scan_determinismE0ELb1ES3_N6thrust23THRUST_200600_302600_NS6detail15normal_iteratorINS9_10device_ptrIsEEEESE_SE_sNS9_4plusIvEENS9_8equal_toIvEEsEE10hipError_tPvRmT2_T3_T4_T5_mT6_T7_P12ihipStream_tbENKUlT_T0_E_clISt17integral_constantIbLb1EESY_IbLb0EEEEDaSU_SV_EUlSU_E_NS1_11comp_targetILNS1_3genE5ELNS1_11target_archE942ELNS1_3gpuE9ELNS1_3repE0EEENS1_30default_config_static_selectorELNS0_4arch9wavefront6targetE0EEEvT1_.numbered_sgpr, 0
	.set _ZN7rocprim17ROCPRIM_400000_NS6detail17trampoline_kernelINS0_14default_configENS1_27scan_by_key_config_selectorIssEEZZNS1_16scan_by_key_implILNS1_25lookback_scan_determinismE0ELb1ES3_N6thrust23THRUST_200600_302600_NS6detail15normal_iteratorINS9_10device_ptrIsEEEESE_SE_sNS9_4plusIvEENS9_8equal_toIvEEsEE10hipError_tPvRmT2_T3_T4_T5_mT6_T7_P12ihipStream_tbENKUlT_T0_E_clISt17integral_constantIbLb1EESY_IbLb0EEEEDaSU_SV_EUlSU_E_NS1_11comp_targetILNS1_3genE5ELNS1_11target_archE942ELNS1_3gpuE9ELNS1_3repE0EEENS1_30default_config_static_selectorELNS0_4arch9wavefront6targetE0EEEvT1_.num_named_barrier, 0
	.set _ZN7rocprim17ROCPRIM_400000_NS6detail17trampoline_kernelINS0_14default_configENS1_27scan_by_key_config_selectorIssEEZZNS1_16scan_by_key_implILNS1_25lookback_scan_determinismE0ELb1ES3_N6thrust23THRUST_200600_302600_NS6detail15normal_iteratorINS9_10device_ptrIsEEEESE_SE_sNS9_4plusIvEENS9_8equal_toIvEEsEE10hipError_tPvRmT2_T3_T4_T5_mT6_T7_P12ihipStream_tbENKUlT_T0_E_clISt17integral_constantIbLb1EESY_IbLb0EEEEDaSU_SV_EUlSU_E_NS1_11comp_targetILNS1_3genE5ELNS1_11target_archE942ELNS1_3gpuE9ELNS1_3repE0EEENS1_30default_config_static_selectorELNS0_4arch9wavefront6targetE0EEEvT1_.private_seg_size, 0
	.set _ZN7rocprim17ROCPRIM_400000_NS6detail17trampoline_kernelINS0_14default_configENS1_27scan_by_key_config_selectorIssEEZZNS1_16scan_by_key_implILNS1_25lookback_scan_determinismE0ELb1ES3_N6thrust23THRUST_200600_302600_NS6detail15normal_iteratorINS9_10device_ptrIsEEEESE_SE_sNS9_4plusIvEENS9_8equal_toIvEEsEE10hipError_tPvRmT2_T3_T4_T5_mT6_T7_P12ihipStream_tbENKUlT_T0_E_clISt17integral_constantIbLb1EESY_IbLb0EEEEDaSU_SV_EUlSU_E_NS1_11comp_targetILNS1_3genE5ELNS1_11target_archE942ELNS1_3gpuE9ELNS1_3repE0EEENS1_30default_config_static_selectorELNS0_4arch9wavefront6targetE0EEEvT1_.uses_vcc, 0
	.set _ZN7rocprim17ROCPRIM_400000_NS6detail17trampoline_kernelINS0_14default_configENS1_27scan_by_key_config_selectorIssEEZZNS1_16scan_by_key_implILNS1_25lookback_scan_determinismE0ELb1ES3_N6thrust23THRUST_200600_302600_NS6detail15normal_iteratorINS9_10device_ptrIsEEEESE_SE_sNS9_4plusIvEENS9_8equal_toIvEEsEE10hipError_tPvRmT2_T3_T4_T5_mT6_T7_P12ihipStream_tbENKUlT_T0_E_clISt17integral_constantIbLb1EESY_IbLb0EEEEDaSU_SV_EUlSU_E_NS1_11comp_targetILNS1_3genE5ELNS1_11target_archE942ELNS1_3gpuE9ELNS1_3repE0EEENS1_30default_config_static_selectorELNS0_4arch9wavefront6targetE0EEEvT1_.uses_flat_scratch, 0
	.set _ZN7rocprim17ROCPRIM_400000_NS6detail17trampoline_kernelINS0_14default_configENS1_27scan_by_key_config_selectorIssEEZZNS1_16scan_by_key_implILNS1_25lookback_scan_determinismE0ELb1ES3_N6thrust23THRUST_200600_302600_NS6detail15normal_iteratorINS9_10device_ptrIsEEEESE_SE_sNS9_4plusIvEENS9_8equal_toIvEEsEE10hipError_tPvRmT2_T3_T4_T5_mT6_T7_P12ihipStream_tbENKUlT_T0_E_clISt17integral_constantIbLb1EESY_IbLb0EEEEDaSU_SV_EUlSU_E_NS1_11comp_targetILNS1_3genE5ELNS1_11target_archE942ELNS1_3gpuE9ELNS1_3repE0EEENS1_30default_config_static_selectorELNS0_4arch9wavefront6targetE0EEEvT1_.has_dyn_sized_stack, 0
	.set _ZN7rocprim17ROCPRIM_400000_NS6detail17trampoline_kernelINS0_14default_configENS1_27scan_by_key_config_selectorIssEEZZNS1_16scan_by_key_implILNS1_25lookback_scan_determinismE0ELb1ES3_N6thrust23THRUST_200600_302600_NS6detail15normal_iteratorINS9_10device_ptrIsEEEESE_SE_sNS9_4plusIvEENS9_8equal_toIvEEsEE10hipError_tPvRmT2_T3_T4_T5_mT6_T7_P12ihipStream_tbENKUlT_T0_E_clISt17integral_constantIbLb1EESY_IbLb0EEEEDaSU_SV_EUlSU_E_NS1_11comp_targetILNS1_3genE5ELNS1_11target_archE942ELNS1_3gpuE9ELNS1_3repE0EEENS1_30default_config_static_selectorELNS0_4arch9wavefront6targetE0EEEvT1_.has_recursion, 0
	.set _ZN7rocprim17ROCPRIM_400000_NS6detail17trampoline_kernelINS0_14default_configENS1_27scan_by_key_config_selectorIssEEZZNS1_16scan_by_key_implILNS1_25lookback_scan_determinismE0ELb1ES3_N6thrust23THRUST_200600_302600_NS6detail15normal_iteratorINS9_10device_ptrIsEEEESE_SE_sNS9_4plusIvEENS9_8equal_toIvEEsEE10hipError_tPvRmT2_T3_T4_T5_mT6_T7_P12ihipStream_tbENKUlT_T0_E_clISt17integral_constantIbLb1EESY_IbLb0EEEEDaSU_SV_EUlSU_E_NS1_11comp_targetILNS1_3genE5ELNS1_11target_archE942ELNS1_3gpuE9ELNS1_3repE0EEENS1_30default_config_static_selectorELNS0_4arch9wavefront6targetE0EEEvT1_.has_indirect_call, 0
	.section	.AMDGPU.csdata,"",@progbits
; Kernel info:
; codeLenInByte = 0
; TotalNumSgprs: 0
; NumVgprs: 0
; ScratchSize: 0
; MemoryBound: 0
; FloatMode: 240
; IeeeMode: 1
; LDSByteSize: 0 bytes/workgroup (compile time only)
; SGPRBlocks: 0
; VGPRBlocks: 0
; NumSGPRsForWavesPerEU: 1
; NumVGPRsForWavesPerEU: 1
; NamedBarCnt: 0
; Occupancy: 16
; WaveLimiterHint : 0
; COMPUTE_PGM_RSRC2:SCRATCH_EN: 0
; COMPUTE_PGM_RSRC2:USER_SGPR: 2
; COMPUTE_PGM_RSRC2:TRAP_HANDLER: 0
; COMPUTE_PGM_RSRC2:TGID_X_EN: 1
; COMPUTE_PGM_RSRC2:TGID_Y_EN: 0
; COMPUTE_PGM_RSRC2:TGID_Z_EN: 0
; COMPUTE_PGM_RSRC2:TIDIG_COMP_CNT: 0
	.section	.text._ZN7rocprim17ROCPRIM_400000_NS6detail17trampoline_kernelINS0_14default_configENS1_27scan_by_key_config_selectorIssEEZZNS1_16scan_by_key_implILNS1_25lookback_scan_determinismE0ELb1ES3_N6thrust23THRUST_200600_302600_NS6detail15normal_iteratorINS9_10device_ptrIsEEEESE_SE_sNS9_4plusIvEENS9_8equal_toIvEEsEE10hipError_tPvRmT2_T3_T4_T5_mT6_T7_P12ihipStream_tbENKUlT_T0_E_clISt17integral_constantIbLb1EESY_IbLb0EEEEDaSU_SV_EUlSU_E_NS1_11comp_targetILNS1_3genE4ELNS1_11target_archE910ELNS1_3gpuE8ELNS1_3repE0EEENS1_30default_config_static_selectorELNS0_4arch9wavefront6targetE0EEEvT1_,"axG",@progbits,_ZN7rocprim17ROCPRIM_400000_NS6detail17trampoline_kernelINS0_14default_configENS1_27scan_by_key_config_selectorIssEEZZNS1_16scan_by_key_implILNS1_25lookback_scan_determinismE0ELb1ES3_N6thrust23THRUST_200600_302600_NS6detail15normal_iteratorINS9_10device_ptrIsEEEESE_SE_sNS9_4plusIvEENS9_8equal_toIvEEsEE10hipError_tPvRmT2_T3_T4_T5_mT6_T7_P12ihipStream_tbENKUlT_T0_E_clISt17integral_constantIbLb1EESY_IbLb0EEEEDaSU_SV_EUlSU_E_NS1_11comp_targetILNS1_3genE4ELNS1_11target_archE910ELNS1_3gpuE8ELNS1_3repE0EEENS1_30default_config_static_selectorELNS0_4arch9wavefront6targetE0EEEvT1_,comdat
	.protected	_ZN7rocprim17ROCPRIM_400000_NS6detail17trampoline_kernelINS0_14default_configENS1_27scan_by_key_config_selectorIssEEZZNS1_16scan_by_key_implILNS1_25lookback_scan_determinismE0ELb1ES3_N6thrust23THRUST_200600_302600_NS6detail15normal_iteratorINS9_10device_ptrIsEEEESE_SE_sNS9_4plusIvEENS9_8equal_toIvEEsEE10hipError_tPvRmT2_T3_T4_T5_mT6_T7_P12ihipStream_tbENKUlT_T0_E_clISt17integral_constantIbLb1EESY_IbLb0EEEEDaSU_SV_EUlSU_E_NS1_11comp_targetILNS1_3genE4ELNS1_11target_archE910ELNS1_3gpuE8ELNS1_3repE0EEENS1_30default_config_static_selectorELNS0_4arch9wavefront6targetE0EEEvT1_ ; -- Begin function _ZN7rocprim17ROCPRIM_400000_NS6detail17trampoline_kernelINS0_14default_configENS1_27scan_by_key_config_selectorIssEEZZNS1_16scan_by_key_implILNS1_25lookback_scan_determinismE0ELb1ES3_N6thrust23THRUST_200600_302600_NS6detail15normal_iteratorINS9_10device_ptrIsEEEESE_SE_sNS9_4plusIvEENS9_8equal_toIvEEsEE10hipError_tPvRmT2_T3_T4_T5_mT6_T7_P12ihipStream_tbENKUlT_T0_E_clISt17integral_constantIbLb1EESY_IbLb0EEEEDaSU_SV_EUlSU_E_NS1_11comp_targetILNS1_3genE4ELNS1_11target_archE910ELNS1_3gpuE8ELNS1_3repE0EEENS1_30default_config_static_selectorELNS0_4arch9wavefront6targetE0EEEvT1_
	.globl	_ZN7rocprim17ROCPRIM_400000_NS6detail17trampoline_kernelINS0_14default_configENS1_27scan_by_key_config_selectorIssEEZZNS1_16scan_by_key_implILNS1_25lookback_scan_determinismE0ELb1ES3_N6thrust23THRUST_200600_302600_NS6detail15normal_iteratorINS9_10device_ptrIsEEEESE_SE_sNS9_4plusIvEENS9_8equal_toIvEEsEE10hipError_tPvRmT2_T3_T4_T5_mT6_T7_P12ihipStream_tbENKUlT_T0_E_clISt17integral_constantIbLb1EESY_IbLb0EEEEDaSU_SV_EUlSU_E_NS1_11comp_targetILNS1_3genE4ELNS1_11target_archE910ELNS1_3gpuE8ELNS1_3repE0EEENS1_30default_config_static_selectorELNS0_4arch9wavefront6targetE0EEEvT1_
	.p2align	8
	.type	_ZN7rocprim17ROCPRIM_400000_NS6detail17trampoline_kernelINS0_14default_configENS1_27scan_by_key_config_selectorIssEEZZNS1_16scan_by_key_implILNS1_25lookback_scan_determinismE0ELb1ES3_N6thrust23THRUST_200600_302600_NS6detail15normal_iteratorINS9_10device_ptrIsEEEESE_SE_sNS9_4plusIvEENS9_8equal_toIvEEsEE10hipError_tPvRmT2_T3_T4_T5_mT6_T7_P12ihipStream_tbENKUlT_T0_E_clISt17integral_constantIbLb1EESY_IbLb0EEEEDaSU_SV_EUlSU_E_NS1_11comp_targetILNS1_3genE4ELNS1_11target_archE910ELNS1_3gpuE8ELNS1_3repE0EEENS1_30default_config_static_selectorELNS0_4arch9wavefront6targetE0EEEvT1_,@function
_ZN7rocprim17ROCPRIM_400000_NS6detail17trampoline_kernelINS0_14default_configENS1_27scan_by_key_config_selectorIssEEZZNS1_16scan_by_key_implILNS1_25lookback_scan_determinismE0ELb1ES3_N6thrust23THRUST_200600_302600_NS6detail15normal_iteratorINS9_10device_ptrIsEEEESE_SE_sNS9_4plusIvEENS9_8equal_toIvEEsEE10hipError_tPvRmT2_T3_T4_T5_mT6_T7_P12ihipStream_tbENKUlT_T0_E_clISt17integral_constantIbLb1EESY_IbLb0EEEEDaSU_SV_EUlSU_E_NS1_11comp_targetILNS1_3genE4ELNS1_11target_archE910ELNS1_3gpuE8ELNS1_3repE0EEENS1_30default_config_static_selectorELNS0_4arch9wavefront6targetE0EEEvT1_: ; @_ZN7rocprim17ROCPRIM_400000_NS6detail17trampoline_kernelINS0_14default_configENS1_27scan_by_key_config_selectorIssEEZZNS1_16scan_by_key_implILNS1_25lookback_scan_determinismE0ELb1ES3_N6thrust23THRUST_200600_302600_NS6detail15normal_iteratorINS9_10device_ptrIsEEEESE_SE_sNS9_4plusIvEENS9_8equal_toIvEEsEE10hipError_tPvRmT2_T3_T4_T5_mT6_T7_P12ihipStream_tbENKUlT_T0_E_clISt17integral_constantIbLb1EESY_IbLb0EEEEDaSU_SV_EUlSU_E_NS1_11comp_targetILNS1_3genE4ELNS1_11target_archE910ELNS1_3gpuE8ELNS1_3repE0EEENS1_30default_config_static_selectorELNS0_4arch9wavefront6targetE0EEEvT1_
; %bb.0:
	.section	.rodata,"a",@progbits
	.p2align	6, 0x0
	.amdhsa_kernel _ZN7rocprim17ROCPRIM_400000_NS6detail17trampoline_kernelINS0_14default_configENS1_27scan_by_key_config_selectorIssEEZZNS1_16scan_by_key_implILNS1_25lookback_scan_determinismE0ELb1ES3_N6thrust23THRUST_200600_302600_NS6detail15normal_iteratorINS9_10device_ptrIsEEEESE_SE_sNS9_4plusIvEENS9_8equal_toIvEEsEE10hipError_tPvRmT2_T3_T4_T5_mT6_T7_P12ihipStream_tbENKUlT_T0_E_clISt17integral_constantIbLb1EESY_IbLb0EEEEDaSU_SV_EUlSU_E_NS1_11comp_targetILNS1_3genE4ELNS1_11target_archE910ELNS1_3gpuE8ELNS1_3repE0EEENS1_30default_config_static_selectorELNS0_4arch9wavefront6targetE0EEEvT1_
		.amdhsa_group_segment_fixed_size 0
		.amdhsa_private_segment_fixed_size 0
		.amdhsa_kernarg_size 112
		.amdhsa_user_sgpr_count 2
		.amdhsa_user_sgpr_dispatch_ptr 0
		.amdhsa_user_sgpr_queue_ptr 0
		.amdhsa_user_sgpr_kernarg_segment_ptr 1
		.amdhsa_user_sgpr_dispatch_id 0
		.amdhsa_user_sgpr_kernarg_preload_length 0
		.amdhsa_user_sgpr_kernarg_preload_offset 0
		.amdhsa_user_sgpr_private_segment_size 0
		.amdhsa_wavefront_size32 1
		.amdhsa_uses_dynamic_stack 0
		.amdhsa_enable_private_segment 0
		.amdhsa_system_sgpr_workgroup_id_x 1
		.amdhsa_system_sgpr_workgroup_id_y 0
		.amdhsa_system_sgpr_workgroup_id_z 0
		.amdhsa_system_sgpr_workgroup_info 0
		.amdhsa_system_vgpr_workitem_id 0
		.amdhsa_next_free_vgpr 1
		.amdhsa_next_free_sgpr 1
		.amdhsa_named_barrier_count 0
		.amdhsa_reserve_vcc 0
		.amdhsa_float_round_mode_32 0
		.amdhsa_float_round_mode_16_64 0
		.amdhsa_float_denorm_mode_32 3
		.amdhsa_float_denorm_mode_16_64 3
		.amdhsa_fp16_overflow 0
		.amdhsa_memory_ordered 1
		.amdhsa_forward_progress 1
		.amdhsa_inst_pref_size 0
		.amdhsa_round_robin_scheduling 0
		.amdhsa_exception_fp_ieee_invalid_op 0
		.amdhsa_exception_fp_denorm_src 0
		.amdhsa_exception_fp_ieee_div_zero 0
		.amdhsa_exception_fp_ieee_overflow 0
		.amdhsa_exception_fp_ieee_underflow 0
		.amdhsa_exception_fp_ieee_inexact 0
		.amdhsa_exception_int_div_zero 0
	.end_amdhsa_kernel
	.section	.text._ZN7rocprim17ROCPRIM_400000_NS6detail17trampoline_kernelINS0_14default_configENS1_27scan_by_key_config_selectorIssEEZZNS1_16scan_by_key_implILNS1_25lookback_scan_determinismE0ELb1ES3_N6thrust23THRUST_200600_302600_NS6detail15normal_iteratorINS9_10device_ptrIsEEEESE_SE_sNS9_4plusIvEENS9_8equal_toIvEEsEE10hipError_tPvRmT2_T3_T4_T5_mT6_T7_P12ihipStream_tbENKUlT_T0_E_clISt17integral_constantIbLb1EESY_IbLb0EEEEDaSU_SV_EUlSU_E_NS1_11comp_targetILNS1_3genE4ELNS1_11target_archE910ELNS1_3gpuE8ELNS1_3repE0EEENS1_30default_config_static_selectorELNS0_4arch9wavefront6targetE0EEEvT1_,"axG",@progbits,_ZN7rocprim17ROCPRIM_400000_NS6detail17trampoline_kernelINS0_14default_configENS1_27scan_by_key_config_selectorIssEEZZNS1_16scan_by_key_implILNS1_25lookback_scan_determinismE0ELb1ES3_N6thrust23THRUST_200600_302600_NS6detail15normal_iteratorINS9_10device_ptrIsEEEESE_SE_sNS9_4plusIvEENS9_8equal_toIvEEsEE10hipError_tPvRmT2_T3_T4_T5_mT6_T7_P12ihipStream_tbENKUlT_T0_E_clISt17integral_constantIbLb1EESY_IbLb0EEEEDaSU_SV_EUlSU_E_NS1_11comp_targetILNS1_3genE4ELNS1_11target_archE910ELNS1_3gpuE8ELNS1_3repE0EEENS1_30default_config_static_selectorELNS0_4arch9wavefront6targetE0EEEvT1_,comdat
.Lfunc_end590:
	.size	_ZN7rocprim17ROCPRIM_400000_NS6detail17trampoline_kernelINS0_14default_configENS1_27scan_by_key_config_selectorIssEEZZNS1_16scan_by_key_implILNS1_25lookback_scan_determinismE0ELb1ES3_N6thrust23THRUST_200600_302600_NS6detail15normal_iteratorINS9_10device_ptrIsEEEESE_SE_sNS9_4plusIvEENS9_8equal_toIvEEsEE10hipError_tPvRmT2_T3_T4_T5_mT6_T7_P12ihipStream_tbENKUlT_T0_E_clISt17integral_constantIbLb1EESY_IbLb0EEEEDaSU_SV_EUlSU_E_NS1_11comp_targetILNS1_3genE4ELNS1_11target_archE910ELNS1_3gpuE8ELNS1_3repE0EEENS1_30default_config_static_selectorELNS0_4arch9wavefront6targetE0EEEvT1_, .Lfunc_end590-_ZN7rocprim17ROCPRIM_400000_NS6detail17trampoline_kernelINS0_14default_configENS1_27scan_by_key_config_selectorIssEEZZNS1_16scan_by_key_implILNS1_25lookback_scan_determinismE0ELb1ES3_N6thrust23THRUST_200600_302600_NS6detail15normal_iteratorINS9_10device_ptrIsEEEESE_SE_sNS9_4plusIvEENS9_8equal_toIvEEsEE10hipError_tPvRmT2_T3_T4_T5_mT6_T7_P12ihipStream_tbENKUlT_T0_E_clISt17integral_constantIbLb1EESY_IbLb0EEEEDaSU_SV_EUlSU_E_NS1_11comp_targetILNS1_3genE4ELNS1_11target_archE910ELNS1_3gpuE8ELNS1_3repE0EEENS1_30default_config_static_selectorELNS0_4arch9wavefront6targetE0EEEvT1_
                                        ; -- End function
	.set _ZN7rocprim17ROCPRIM_400000_NS6detail17trampoline_kernelINS0_14default_configENS1_27scan_by_key_config_selectorIssEEZZNS1_16scan_by_key_implILNS1_25lookback_scan_determinismE0ELb1ES3_N6thrust23THRUST_200600_302600_NS6detail15normal_iteratorINS9_10device_ptrIsEEEESE_SE_sNS9_4plusIvEENS9_8equal_toIvEEsEE10hipError_tPvRmT2_T3_T4_T5_mT6_T7_P12ihipStream_tbENKUlT_T0_E_clISt17integral_constantIbLb1EESY_IbLb0EEEEDaSU_SV_EUlSU_E_NS1_11comp_targetILNS1_3genE4ELNS1_11target_archE910ELNS1_3gpuE8ELNS1_3repE0EEENS1_30default_config_static_selectorELNS0_4arch9wavefront6targetE0EEEvT1_.num_vgpr, 0
	.set _ZN7rocprim17ROCPRIM_400000_NS6detail17trampoline_kernelINS0_14default_configENS1_27scan_by_key_config_selectorIssEEZZNS1_16scan_by_key_implILNS1_25lookback_scan_determinismE0ELb1ES3_N6thrust23THRUST_200600_302600_NS6detail15normal_iteratorINS9_10device_ptrIsEEEESE_SE_sNS9_4plusIvEENS9_8equal_toIvEEsEE10hipError_tPvRmT2_T3_T4_T5_mT6_T7_P12ihipStream_tbENKUlT_T0_E_clISt17integral_constantIbLb1EESY_IbLb0EEEEDaSU_SV_EUlSU_E_NS1_11comp_targetILNS1_3genE4ELNS1_11target_archE910ELNS1_3gpuE8ELNS1_3repE0EEENS1_30default_config_static_selectorELNS0_4arch9wavefront6targetE0EEEvT1_.num_agpr, 0
	.set _ZN7rocprim17ROCPRIM_400000_NS6detail17trampoline_kernelINS0_14default_configENS1_27scan_by_key_config_selectorIssEEZZNS1_16scan_by_key_implILNS1_25lookback_scan_determinismE0ELb1ES3_N6thrust23THRUST_200600_302600_NS6detail15normal_iteratorINS9_10device_ptrIsEEEESE_SE_sNS9_4plusIvEENS9_8equal_toIvEEsEE10hipError_tPvRmT2_T3_T4_T5_mT6_T7_P12ihipStream_tbENKUlT_T0_E_clISt17integral_constantIbLb1EESY_IbLb0EEEEDaSU_SV_EUlSU_E_NS1_11comp_targetILNS1_3genE4ELNS1_11target_archE910ELNS1_3gpuE8ELNS1_3repE0EEENS1_30default_config_static_selectorELNS0_4arch9wavefront6targetE0EEEvT1_.numbered_sgpr, 0
	.set _ZN7rocprim17ROCPRIM_400000_NS6detail17trampoline_kernelINS0_14default_configENS1_27scan_by_key_config_selectorIssEEZZNS1_16scan_by_key_implILNS1_25lookback_scan_determinismE0ELb1ES3_N6thrust23THRUST_200600_302600_NS6detail15normal_iteratorINS9_10device_ptrIsEEEESE_SE_sNS9_4plusIvEENS9_8equal_toIvEEsEE10hipError_tPvRmT2_T3_T4_T5_mT6_T7_P12ihipStream_tbENKUlT_T0_E_clISt17integral_constantIbLb1EESY_IbLb0EEEEDaSU_SV_EUlSU_E_NS1_11comp_targetILNS1_3genE4ELNS1_11target_archE910ELNS1_3gpuE8ELNS1_3repE0EEENS1_30default_config_static_selectorELNS0_4arch9wavefront6targetE0EEEvT1_.num_named_barrier, 0
	.set _ZN7rocprim17ROCPRIM_400000_NS6detail17trampoline_kernelINS0_14default_configENS1_27scan_by_key_config_selectorIssEEZZNS1_16scan_by_key_implILNS1_25lookback_scan_determinismE0ELb1ES3_N6thrust23THRUST_200600_302600_NS6detail15normal_iteratorINS9_10device_ptrIsEEEESE_SE_sNS9_4plusIvEENS9_8equal_toIvEEsEE10hipError_tPvRmT2_T3_T4_T5_mT6_T7_P12ihipStream_tbENKUlT_T0_E_clISt17integral_constantIbLb1EESY_IbLb0EEEEDaSU_SV_EUlSU_E_NS1_11comp_targetILNS1_3genE4ELNS1_11target_archE910ELNS1_3gpuE8ELNS1_3repE0EEENS1_30default_config_static_selectorELNS0_4arch9wavefront6targetE0EEEvT1_.private_seg_size, 0
	.set _ZN7rocprim17ROCPRIM_400000_NS6detail17trampoline_kernelINS0_14default_configENS1_27scan_by_key_config_selectorIssEEZZNS1_16scan_by_key_implILNS1_25lookback_scan_determinismE0ELb1ES3_N6thrust23THRUST_200600_302600_NS6detail15normal_iteratorINS9_10device_ptrIsEEEESE_SE_sNS9_4plusIvEENS9_8equal_toIvEEsEE10hipError_tPvRmT2_T3_T4_T5_mT6_T7_P12ihipStream_tbENKUlT_T0_E_clISt17integral_constantIbLb1EESY_IbLb0EEEEDaSU_SV_EUlSU_E_NS1_11comp_targetILNS1_3genE4ELNS1_11target_archE910ELNS1_3gpuE8ELNS1_3repE0EEENS1_30default_config_static_selectorELNS0_4arch9wavefront6targetE0EEEvT1_.uses_vcc, 0
	.set _ZN7rocprim17ROCPRIM_400000_NS6detail17trampoline_kernelINS0_14default_configENS1_27scan_by_key_config_selectorIssEEZZNS1_16scan_by_key_implILNS1_25lookback_scan_determinismE0ELb1ES3_N6thrust23THRUST_200600_302600_NS6detail15normal_iteratorINS9_10device_ptrIsEEEESE_SE_sNS9_4plusIvEENS9_8equal_toIvEEsEE10hipError_tPvRmT2_T3_T4_T5_mT6_T7_P12ihipStream_tbENKUlT_T0_E_clISt17integral_constantIbLb1EESY_IbLb0EEEEDaSU_SV_EUlSU_E_NS1_11comp_targetILNS1_3genE4ELNS1_11target_archE910ELNS1_3gpuE8ELNS1_3repE0EEENS1_30default_config_static_selectorELNS0_4arch9wavefront6targetE0EEEvT1_.uses_flat_scratch, 0
	.set _ZN7rocprim17ROCPRIM_400000_NS6detail17trampoline_kernelINS0_14default_configENS1_27scan_by_key_config_selectorIssEEZZNS1_16scan_by_key_implILNS1_25lookback_scan_determinismE0ELb1ES3_N6thrust23THRUST_200600_302600_NS6detail15normal_iteratorINS9_10device_ptrIsEEEESE_SE_sNS9_4plusIvEENS9_8equal_toIvEEsEE10hipError_tPvRmT2_T3_T4_T5_mT6_T7_P12ihipStream_tbENKUlT_T0_E_clISt17integral_constantIbLb1EESY_IbLb0EEEEDaSU_SV_EUlSU_E_NS1_11comp_targetILNS1_3genE4ELNS1_11target_archE910ELNS1_3gpuE8ELNS1_3repE0EEENS1_30default_config_static_selectorELNS0_4arch9wavefront6targetE0EEEvT1_.has_dyn_sized_stack, 0
	.set _ZN7rocprim17ROCPRIM_400000_NS6detail17trampoline_kernelINS0_14default_configENS1_27scan_by_key_config_selectorIssEEZZNS1_16scan_by_key_implILNS1_25lookback_scan_determinismE0ELb1ES3_N6thrust23THRUST_200600_302600_NS6detail15normal_iteratorINS9_10device_ptrIsEEEESE_SE_sNS9_4plusIvEENS9_8equal_toIvEEsEE10hipError_tPvRmT2_T3_T4_T5_mT6_T7_P12ihipStream_tbENKUlT_T0_E_clISt17integral_constantIbLb1EESY_IbLb0EEEEDaSU_SV_EUlSU_E_NS1_11comp_targetILNS1_3genE4ELNS1_11target_archE910ELNS1_3gpuE8ELNS1_3repE0EEENS1_30default_config_static_selectorELNS0_4arch9wavefront6targetE0EEEvT1_.has_recursion, 0
	.set _ZN7rocprim17ROCPRIM_400000_NS6detail17trampoline_kernelINS0_14default_configENS1_27scan_by_key_config_selectorIssEEZZNS1_16scan_by_key_implILNS1_25lookback_scan_determinismE0ELb1ES3_N6thrust23THRUST_200600_302600_NS6detail15normal_iteratorINS9_10device_ptrIsEEEESE_SE_sNS9_4plusIvEENS9_8equal_toIvEEsEE10hipError_tPvRmT2_T3_T4_T5_mT6_T7_P12ihipStream_tbENKUlT_T0_E_clISt17integral_constantIbLb1EESY_IbLb0EEEEDaSU_SV_EUlSU_E_NS1_11comp_targetILNS1_3genE4ELNS1_11target_archE910ELNS1_3gpuE8ELNS1_3repE0EEENS1_30default_config_static_selectorELNS0_4arch9wavefront6targetE0EEEvT1_.has_indirect_call, 0
	.section	.AMDGPU.csdata,"",@progbits
; Kernel info:
; codeLenInByte = 0
; TotalNumSgprs: 0
; NumVgprs: 0
; ScratchSize: 0
; MemoryBound: 0
; FloatMode: 240
; IeeeMode: 1
; LDSByteSize: 0 bytes/workgroup (compile time only)
; SGPRBlocks: 0
; VGPRBlocks: 0
; NumSGPRsForWavesPerEU: 1
; NumVGPRsForWavesPerEU: 1
; NamedBarCnt: 0
; Occupancy: 16
; WaveLimiterHint : 0
; COMPUTE_PGM_RSRC2:SCRATCH_EN: 0
; COMPUTE_PGM_RSRC2:USER_SGPR: 2
; COMPUTE_PGM_RSRC2:TRAP_HANDLER: 0
; COMPUTE_PGM_RSRC2:TGID_X_EN: 1
; COMPUTE_PGM_RSRC2:TGID_Y_EN: 0
; COMPUTE_PGM_RSRC2:TGID_Z_EN: 0
; COMPUTE_PGM_RSRC2:TIDIG_COMP_CNT: 0
	.section	.text._ZN7rocprim17ROCPRIM_400000_NS6detail17trampoline_kernelINS0_14default_configENS1_27scan_by_key_config_selectorIssEEZZNS1_16scan_by_key_implILNS1_25lookback_scan_determinismE0ELb1ES3_N6thrust23THRUST_200600_302600_NS6detail15normal_iteratorINS9_10device_ptrIsEEEESE_SE_sNS9_4plusIvEENS9_8equal_toIvEEsEE10hipError_tPvRmT2_T3_T4_T5_mT6_T7_P12ihipStream_tbENKUlT_T0_E_clISt17integral_constantIbLb1EESY_IbLb0EEEEDaSU_SV_EUlSU_E_NS1_11comp_targetILNS1_3genE3ELNS1_11target_archE908ELNS1_3gpuE7ELNS1_3repE0EEENS1_30default_config_static_selectorELNS0_4arch9wavefront6targetE0EEEvT1_,"axG",@progbits,_ZN7rocprim17ROCPRIM_400000_NS6detail17trampoline_kernelINS0_14default_configENS1_27scan_by_key_config_selectorIssEEZZNS1_16scan_by_key_implILNS1_25lookback_scan_determinismE0ELb1ES3_N6thrust23THRUST_200600_302600_NS6detail15normal_iteratorINS9_10device_ptrIsEEEESE_SE_sNS9_4plusIvEENS9_8equal_toIvEEsEE10hipError_tPvRmT2_T3_T4_T5_mT6_T7_P12ihipStream_tbENKUlT_T0_E_clISt17integral_constantIbLb1EESY_IbLb0EEEEDaSU_SV_EUlSU_E_NS1_11comp_targetILNS1_3genE3ELNS1_11target_archE908ELNS1_3gpuE7ELNS1_3repE0EEENS1_30default_config_static_selectorELNS0_4arch9wavefront6targetE0EEEvT1_,comdat
	.protected	_ZN7rocprim17ROCPRIM_400000_NS6detail17trampoline_kernelINS0_14default_configENS1_27scan_by_key_config_selectorIssEEZZNS1_16scan_by_key_implILNS1_25lookback_scan_determinismE0ELb1ES3_N6thrust23THRUST_200600_302600_NS6detail15normal_iteratorINS9_10device_ptrIsEEEESE_SE_sNS9_4plusIvEENS9_8equal_toIvEEsEE10hipError_tPvRmT2_T3_T4_T5_mT6_T7_P12ihipStream_tbENKUlT_T0_E_clISt17integral_constantIbLb1EESY_IbLb0EEEEDaSU_SV_EUlSU_E_NS1_11comp_targetILNS1_3genE3ELNS1_11target_archE908ELNS1_3gpuE7ELNS1_3repE0EEENS1_30default_config_static_selectorELNS0_4arch9wavefront6targetE0EEEvT1_ ; -- Begin function _ZN7rocprim17ROCPRIM_400000_NS6detail17trampoline_kernelINS0_14default_configENS1_27scan_by_key_config_selectorIssEEZZNS1_16scan_by_key_implILNS1_25lookback_scan_determinismE0ELb1ES3_N6thrust23THRUST_200600_302600_NS6detail15normal_iteratorINS9_10device_ptrIsEEEESE_SE_sNS9_4plusIvEENS9_8equal_toIvEEsEE10hipError_tPvRmT2_T3_T4_T5_mT6_T7_P12ihipStream_tbENKUlT_T0_E_clISt17integral_constantIbLb1EESY_IbLb0EEEEDaSU_SV_EUlSU_E_NS1_11comp_targetILNS1_3genE3ELNS1_11target_archE908ELNS1_3gpuE7ELNS1_3repE0EEENS1_30default_config_static_selectorELNS0_4arch9wavefront6targetE0EEEvT1_
	.globl	_ZN7rocprim17ROCPRIM_400000_NS6detail17trampoline_kernelINS0_14default_configENS1_27scan_by_key_config_selectorIssEEZZNS1_16scan_by_key_implILNS1_25lookback_scan_determinismE0ELb1ES3_N6thrust23THRUST_200600_302600_NS6detail15normal_iteratorINS9_10device_ptrIsEEEESE_SE_sNS9_4plusIvEENS9_8equal_toIvEEsEE10hipError_tPvRmT2_T3_T4_T5_mT6_T7_P12ihipStream_tbENKUlT_T0_E_clISt17integral_constantIbLb1EESY_IbLb0EEEEDaSU_SV_EUlSU_E_NS1_11comp_targetILNS1_3genE3ELNS1_11target_archE908ELNS1_3gpuE7ELNS1_3repE0EEENS1_30default_config_static_selectorELNS0_4arch9wavefront6targetE0EEEvT1_
	.p2align	8
	.type	_ZN7rocprim17ROCPRIM_400000_NS6detail17trampoline_kernelINS0_14default_configENS1_27scan_by_key_config_selectorIssEEZZNS1_16scan_by_key_implILNS1_25lookback_scan_determinismE0ELb1ES3_N6thrust23THRUST_200600_302600_NS6detail15normal_iteratorINS9_10device_ptrIsEEEESE_SE_sNS9_4plusIvEENS9_8equal_toIvEEsEE10hipError_tPvRmT2_T3_T4_T5_mT6_T7_P12ihipStream_tbENKUlT_T0_E_clISt17integral_constantIbLb1EESY_IbLb0EEEEDaSU_SV_EUlSU_E_NS1_11comp_targetILNS1_3genE3ELNS1_11target_archE908ELNS1_3gpuE7ELNS1_3repE0EEENS1_30default_config_static_selectorELNS0_4arch9wavefront6targetE0EEEvT1_,@function
_ZN7rocprim17ROCPRIM_400000_NS6detail17trampoline_kernelINS0_14default_configENS1_27scan_by_key_config_selectorIssEEZZNS1_16scan_by_key_implILNS1_25lookback_scan_determinismE0ELb1ES3_N6thrust23THRUST_200600_302600_NS6detail15normal_iteratorINS9_10device_ptrIsEEEESE_SE_sNS9_4plusIvEENS9_8equal_toIvEEsEE10hipError_tPvRmT2_T3_T4_T5_mT6_T7_P12ihipStream_tbENKUlT_T0_E_clISt17integral_constantIbLb1EESY_IbLb0EEEEDaSU_SV_EUlSU_E_NS1_11comp_targetILNS1_3genE3ELNS1_11target_archE908ELNS1_3gpuE7ELNS1_3repE0EEENS1_30default_config_static_selectorELNS0_4arch9wavefront6targetE0EEEvT1_: ; @_ZN7rocprim17ROCPRIM_400000_NS6detail17trampoline_kernelINS0_14default_configENS1_27scan_by_key_config_selectorIssEEZZNS1_16scan_by_key_implILNS1_25lookback_scan_determinismE0ELb1ES3_N6thrust23THRUST_200600_302600_NS6detail15normal_iteratorINS9_10device_ptrIsEEEESE_SE_sNS9_4plusIvEENS9_8equal_toIvEEsEE10hipError_tPvRmT2_T3_T4_T5_mT6_T7_P12ihipStream_tbENKUlT_T0_E_clISt17integral_constantIbLb1EESY_IbLb0EEEEDaSU_SV_EUlSU_E_NS1_11comp_targetILNS1_3genE3ELNS1_11target_archE908ELNS1_3gpuE7ELNS1_3repE0EEENS1_30default_config_static_selectorELNS0_4arch9wavefront6targetE0EEEvT1_
; %bb.0:
	.section	.rodata,"a",@progbits
	.p2align	6, 0x0
	.amdhsa_kernel _ZN7rocprim17ROCPRIM_400000_NS6detail17trampoline_kernelINS0_14default_configENS1_27scan_by_key_config_selectorIssEEZZNS1_16scan_by_key_implILNS1_25lookback_scan_determinismE0ELb1ES3_N6thrust23THRUST_200600_302600_NS6detail15normal_iteratorINS9_10device_ptrIsEEEESE_SE_sNS9_4plusIvEENS9_8equal_toIvEEsEE10hipError_tPvRmT2_T3_T4_T5_mT6_T7_P12ihipStream_tbENKUlT_T0_E_clISt17integral_constantIbLb1EESY_IbLb0EEEEDaSU_SV_EUlSU_E_NS1_11comp_targetILNS1_3genE3ELNS1_11target_archE908ELNS1_3gpuE7ELNS1_3repE0EEENS1_30default_config_static_selectorELNS0_4arch9wavefront6targetE0EEEvT1_
		.amdhsa_group_segment_fixed_size 0
		.amdhsa_private_segment_fixed_size 0
		.amdhsa_kernarg_size 112
		.amdhsa_user_sgpr_count 2
		.amdhsa_user_sgpr_dispatch_ptr 0
		.amdhsa_user_sgpr_queue_ptr 0
		.amdhsa_user_sgpr_kernarg_segment_ptr 1
		.amdhsa_user_sgpr_dispatch_id 0
		.amdhsa_user_sgpr_kernarg_preload_length 0
		.amdhsa_user_sgpr_kernarg_preload_offset 0
		.amdhsa_user_sgpr_private_segment_size 0
		.amdhsa_wavefront_size32 1
		.amdhsa_uses_dynamic_stack 0
		.amdhsa_enable_private_segment 0
		.amdhsa_system_sgpr_workgroup_id_x 1
		.amdhsa_system_sgpr_workgroup_id_y 0
		.amdhsa_system_sgpr_workgroup_id_z 0
		.amdhsa_system_sgpr_workgroup_info 0
		.amdhsa_system_vgpr_workitem_id 0
		.amdhsa_next_free_vgpr 1
		.amdhsa_next_free_sgpr 1
		.amdhsa_named_barrier_count 0
		.amdhsa_reserve_vcc 0
		.amdhsa_float_round_mode_32 0
		.amdhsa_float_round_mode_16_64 0
		.amdhsa_float_denorm_mode_32 3
		.amdhsa_float_denorm_mode_16_64 3
		.amdhsa_fp16_overflow 0
		.amdhsa_memory_ordered 1
		.amdhsa_forward_progress 1
		.amdhsa_inst_pref_size 0
		.amdhsa_round_robin_scheduling 0
		.amdhsa_exception_fp_ieee_invalid_op 0
		.amdhsa_exception_fp_denorm_src 0
		.amdhsa_exception_fp_ieee_div_zero 0
		.amdhsa_exception_fp_ieee_overflow 0
		.amdhsa_exception_fp_ieee_underflow 0
		.amdhsa_exception_fp_ieee_inexact 0
		.amdhsa_exception_int_div_zero 0
	.end_amdhsa_kernel
	.section	.text._ZN7rocprim17ROCPRIM_400000_NS6detail17trampoline_kernelINS0_14default_configENS1_27scan_by_key_config_selectorIssEEZZNS1_16scan_by_key_implILNS1_25lookback_scan_determinismE0ELb1ES3_N6thrust23THRUST_200600_302600_NS6detail15normal_iteratorINS9_10device_ptrIsEEEESE_SE_sNS9_4plusIvEENS9_8equal_toIvEEsEE10hipError_tPvRmT2_T3_T4_T5_mT6_T7_P12ihipStream_tbENKUlT_T0_E_clISt17integral_constantIbLb1EESY_IbLb0EEEEDaSU_SV_EUlSU_E_NS1_11comp_targetILNS1_3genE3ELNS1_11target_archE908ELNS1_3gpuE7ELNS1_3repE0EEENS1_30default_config_static_selectorELNS0_4arch9wavefront6targetE0EEEvT1_,"axG",@progbits,_ZN7rocprim17ROCPRIM_400000_NS6detail17trampoline_kernelINS0_14default_configENS1_27scan_by_key_config_selectorIssEEZZNS1_16scan_by_key_implILNS1_25lookback_scan_determinismE0ELb1ES3_N6thrust23THRUST_200600_302600_NS6detail15normal_iteratorINS9_10device_ptrIsEEEESE_SE_sNS9_4plusIvEENS9_8equal_toIvEEsEE10hipError_tPvRmT2_T3_T4_T5_mT6_T7_P12ihipStream_tbENKUlT_T0_E_clISt17integral_constantIbLb1EESY_IbLb0EEEEDaSU_SV_EUlSU_E_NS1_11comp_targetILNS1_3genE3ELNS1_11target_archE908ELNS1_3gpuE7ELNS1_3repE0EEENS1_30default_config_static_selectorELNS0_4arch9wavefront6targetE0EEEvT1_,comdat
.Lfunc_end591:
	.size	_ZN7rocprim17ROCPRIM_400000_NS6detail17trampoline_kernelINS0_14default_configENS1_27scan_by_key_config_selectorIssEEZZNS1_16scan_by_key_implILNS1_25lookback_scan_determinismE0ELb1ES3_N6thrust23THRUST_200600_302600_NS6detail15normal_iteratorINS9_10device_ptrIsEEEESE_SE_sNS9_4plusIvEENS9_8equal_toIvEEsEE10hipError_tPvRmT2_T3_T4_T5_mT6_T7_P12ihipStream_tbENKUlT_T0_E_clISt17integral_constantIbLb1EESY_IbLb0EEEEDaSU_SV_EUlSU_E_NS1_11comp_targetILNS1_3genE3ELNS1_11target_archE908ELNS1_3gpuE7ELNS1_3repE0EEENS1_30default_config_static_selectorELNS0_4arch9wavefront6targetE0EEEvT1_, .Lfunc_end591-_ZN7rocprim17ROCPRIM_400000_NS6detail17trampoline_kernelINS0_14default_configENS1_27scan_by_key_config_selectorIssEEZZNS1_16scan_by_key_implILNS1_25lookback_scan_determinismE0ELb1ES3_N6thrust23THRUST_200600_302600_NS6detail15normal_iteratorINS9_10device_ptrIsEEEESE_SE_sNS9_4plusIvEENS9_8equal_toIvEEsEE10hipError_tPvRmT2_T3_T4_T5_mT6_T7_P12ihipStream_tbENKUlT_T0_E_clISt17integral_constantIbLb1EESY_IbLb0EEEEDaSU_SV_EUlSU_E_NS1_11comp_targetILNS1_3genE3ELNS1_11target_archE908ELNS1_3gpuE7ELNS1_3repE0EEENS1_30default_config_static_selectorELNS0_4arch9wavefront6targetE0EEEvT1_
                                        ; -- End function
	.set _ZN7rocprim17ROCPRIM_400000_NS6detail17trampoline_kernelINS0_14default_configENS1_27scan_by_key_config_selectorIssEEZZNS1_16scan_by_key_implILNS1_25lookback_scan_determinismE0ELb1ES3_N6thrust23THRUST_200600_302600_NS6detail15normal_iteratorINS9_10device_ptrIsEEEESE_SE_sNS9_4plusIvEENS9_8equal_toIvEEsEE10hipError_tPvRmT2_T3_T4_T5_mT6_T7_P12ihipStream_tbENKUlT_T0_E_clISt17integral_constantIbLb1EESY_IbLb0EEEEDaSU_SV_EUlSU_E_NS1_11comp_targetILNS1_3genE3ELNS1_11target_archE908ELNS1_3gpuE7ELNS1_3repE0EEENS1_30default_config_static_selectorELNS0_4arch9wavefront6targetE0EEEvT1_.num_vgpr, 0
	.set _ZN7rocprim17ROCPRIM_400000_NS6detail17trampoline_kernelINS0_14default_configENS1_27scan_by_key_config_selectorIssEEZZNS1_16scan_by_key_implILNS1_25lookback_scan_determinismE0ELb1ES3_N6thrust23THRUST_200600_302600_NS6detail15normal_iteratorINS9_10device_ptrIsEEEESE_SE_sNS9_4plusIvEENS9_8equal_toIvEEsEE10hipError_tPvRmT2_T3_T4_T5_mT6_T7_P12ihipStream_tbENKUlT_T0_E_clISt17integral_constantIbLb1EESY_IbLb0EEEEDaSU_SV_EUlSU_E_NS1_11comp_targetILNS1_3genE3ELNS1_11target_archE908ELNS1_3gpuE7ELNS1_3repE0EEENS1_30default_config_static_selectorELNS0_4arch9wavefront6targetE0EEEvT1_.num_agpr, 0
	.set _ZN7rocprim17ROCPRIM_400000_NS6detail17trampoline_kernelINS0_14default_configENS1_27scan_by_key_config_selectorIssEEZZNS1_16scan_by_key_implILNS1_25lookback_scan_determinismE0ELb1ES3_N6thrust23THRUST_200600_302600_NS6detail15normal_iteratorINS9_10device_ptrIsEEEESE_SE_sNS9_4plusIvEENS9_8equal_toIvEEsEE10hipError_tPvRmT2_T3_T4_T5_mT6_T7_P12ihipStream_tbENKUlT_T0_E_clISt17integral_constantIbLb1EESY_IbLb0EEEEDaSU_SV_EUlSU_E_NS1_11comp_targetILNS1_3genE3ELNS1_11target_archE908ELNS1_3gpuE7ELNS1_3repE0EEENS1_30default_config_static_selectorELNS0_4arch9wavefront6targetE0EEEvT1_.numbered_sgpr, 0
	.set _ZN7rocprim17ROCPRIM_400000_NS6detail17trampoline_kernelINS0_14default_configENS1_27scan_by_key_config_selectorIssEEZZNS1_16scan_by_key_implILNS1_25lookback_scan_determinismE0ELb1ES3_N6thrust23THRUST_200600_302600_NS6detail15normal_iteratorINS9_10device_ptrIsEEEESE_SE_sNS9_4plusIvEENS9_8equal_toIvEEsEE10hipError_tPvRmT2_T3_T4_T5_mT6_T7_P12ihipStream_tbENKUlT_T0_E_clISt17integral_constantIbLb1EESY_IbLb0EEEEDaSU_SV_EUlSU_E_NS1_11comp_targetILNS1_3genE3ELNS1_11target_archE908ELNS1_3gpuE7ELNS1_3repE0EEENS1_30default_config_static_selectorELNS0_4arch9wavefront6targetE0EEEvT1_.num_named_barrier, 0
	.set _ZN7rocprim17ROCPRIM_400000_NS6detail17trampoline_kernelINS0_14default_configENS1_27scan_by_key_config_selectorIssEEZZNS1_16scan_by_key_implILNS1_25lookback_scan_determinismE0ELb1ES3_N6thrust23THRUST_200600_302600_NS6detail15normal_iteratorINS9_10device_ptrIsEEEESE_SE_sNS9_4plusIvEENS9_8equal_toIvEEsEE10hipError_tPvRmT2_T3_T4_T5_mT6_T7_P12ihipStream_tbENKUlT_T0_E_clISt17integral_constantIbLb1EESY_IbLb0EEEEDaSU_SV_EUlSU_E_NS1_11comp_targetILNS1_3genE3ELNS1_11target_archE908ELNS1_3gpuE7ELNS1_3repE0EEENS1_30default_config_static_selectorELNS0_4arch9wavefront6targetE0EEEvT1_.private_seg_size, 0
	.set _ZN7rocprim17ROCPRIM_400000_NS6detail17trampoline_kernelINS0_14default_configENS1_27scan_by_key_config_selectorIssEEZZNS1_16scan_by_key_implILNS1_25lookback_scan_determinismE0ELb1ES3_N6thrust23THRUST_200600_302600_NS6detail15normal_iteratorINS9_10device_ptrIsEEEESE_SE_sNS9_4plusIvEENS9_8equal_toIvEEsEE10hipError_tPvRmT2_T3_T4_T5_mT6_T7_P12ihipStream_tbENKUlT_T0_E_clISt17integral_constantIbLb1EESY_IbLb0EEEEDaSU_SV_EUlSU_E_NS1_11comp_targetILNS1_3genE3ELNS1_11target_archE908ELNS1_3gpuE7ELNS1_3repE0EEENS1_30default_config_static_selectorELNS0_4arch9wavefront6targetE0EEEvT1_.uses_vcc, 0
	.set _ZN7rocprim17ROCPRIM_400000_NS6detail17trampoline_kernelINS0_14default_configENS1_27scan_by_key_config_selectorIssEEZZNS1_16scan_by_key_implILNS1_25lookback_scan_determinismE0ELb1ES3_N6thrust23THRUST_200600_302600_NS6detail15normal_iteratorINS9_10device_ptrIsEEEESE_SE_sNS9_4plusIvEENS9_8equal_toIvEEsEE10hipError_tPvRmT2_T3_T4_T5_mT6_T7_P12ihipStream_tbENKUlT_T0_E_clISt17integral_constantIbLb1EESY_IbLb0EEEEDaSU_SV_EUlSU_E_NS1_11comp_targetILNS1_3genE3ELNS1_11target_archE908ELNS1_3gpuE7ELNS1_3repE0EEENS1_30default_config_static_selectorELNS0_4arch9wavefront6targetE0EEEvT1_.uses_flat_scratch, 0
	.set _ZN7rocprim17ROCPRIM_400000_NS6detail17trampoline_kernelINS0_14default_configENS1_27scan_by_key_config_selectorIssEEZZNS1_16scan_by_key_implILNS1_25lookback_scan_determinismE0ELb1ES3_N6thrust23THRUST_200600_302600_NS6detail15normal_iteratorINS9_10device_ptrIsEEEESE_SE_sNS9_4plusIvEENS9_8equal_toIvEEsEE10hipError_tPvRmT2_T3_T4_T5_mT6_T7_P12ihipStream_tbENKUlT_T0_E_clISt17integral_constantIbLb1EESY_IbLb0EEEEDaSU_SV_EUlSU_E_NS1_11comp_targetILNS1_3genE3ELNS1_11target_archE908ELNS1_3gpuE7ELNS1_3repE0EEENS1_30default_config_static_selectorELNS0_4arch9wavefront6targetE0EEEvT1_.has_dyn_sized_stack, 0
	.set _ZN7rocprim17ROCPRIM_400000_NS6detail17trampoline_kernelINS0_14default_configENS1_27scan_by_key_config_selectorIssEEZZNS1_16scan_by_key_implILNS1_25lookback_scan_determinismE0ELb1ES3_N6thrust23THRUST_200600_302600_NS6detail15normal_iteratorINS9_10device_ptrIsEEEESE_SE_sNS9_4plusIvEENS9_8equal_toIvEEsEE10hipError_tPvRmT2_T3_T4_T5_mT6_T7_P12ihipStream_tbENKUlT_T0_E_clISt17integral_constantIbLb1EESY_IbLb0EEEEDaSU_SV_EUlSU_E_NS1_11comp_targetILNS1_3genE3ELNS1_11target_archE908ELNS1_3gpuE7ELNS1_3repE0EEENS1_30default_config_static_selectorELNS0_4arch9wavefront6targetE0EEEvT1_.has_recursion, 0
	.set _ZN7rocprim17ROCPRIM_400000_NS6detail17trampoline_kernelINS0_14default_configENS1_27scan_by_key_config_selectorIssEEZZNS1_16scan_by_key_implILNS1_25lookback_scan_determinismE0ELb1ES3_N6thrust23THRUST_200600_302600_NS6detail15normal_iteratorINS9_10device_ptrIsEEEESE_SE_sNS9_4plusIvEENS9_8equal_toIvEEsEE10hipError_tPvRmT2_T3_T4_T5_mT6_T7_P12ihipStream_tbENKUlT_T0_E_clISt17integral_constantIbLb1EESY_IbLb0EEEEDaSU_SV_EUlSU_E_NS1_11comp_targetILNS1_3genE3ELNS1_11target_archE908ELNS1_3gpuE7ELNS1_3repE0EEENS1_30default_config_static_selectorELNS0_4arch9wavefront6targetE0EEEvT1_.has_indirect_call, 0
	.section	.AMDGPU.csdata,"",@progbits
; Kernel info:
; codeLenInByte = 0
; TotalNumSgprs: 0
; NumVgprs: 0
; ScratchSize: 0
; MemoryBound: 0
; FloatMode: 240
; IeeeMode: 1
; LDSByteSize: 0 bytes/workgroup (compile time only)
; SGPRBlocks: 0
; VGPRBlocks: 0
; NumSGPRsForWavesPerEU: 1
; NumVGPRsForWavesPerEU: 1
; NamedBarCnt: 0
; Occupancy: 16
; WaveLimiterHint : 0
; COMPUTE_PGM_RSRC2:SCRATCH_EN: 0
; COMPUTE_PGM_RSRC2:USER_SGPR: 2
; COMPUTE_PGM_RSRC2:TRAP_HANDLER: 0
; COMPUTE_PGM_RSRC2:TGID_X_EN: 1
; COMPUTE_PGM_RSRC2:TGID_Y_EN: 0
; COMPUTE_PGM_RSRC2:TGID_Z_EN: 0
; COMPUTE_PGM_RSRC2:TIDIG_COMP_CNT: 0
	.section	.text._ZN7rocprim17ROCPRIM_400000_NS6detail17trampoline_kernelINS0_14default_configENS1_27scan_by_key_config_selectorIssEEZZNS1_16scan_by_key_implILNS1_25lookback_scan_determinismE0ELb1ES3_N6thrust23THRUST_200600_302600_NS6detail15normal_iteratorINS9_10device_ptrIsEEEESE_SE_sNS9_4plusIvEENS9_8equal_toIvEEsEE10hipError_tPvRmT2_T3_T4_T5_mT6_T7_P12ihipStream_tbENKUlT_T0_E_clISt17integral_constantIbLb1EESY_IbLb0EEEEDaSU_SV_EUlSU_E_NS1_11comp_targetILNS1_3genE2ELNS1_11target_archE906ELNS1_3gpuE6ELNS1_3repE0EEENS1_30default_config_static_selectorELNS0_4arch9wavefront6targetE0EEEvT1_,"axG",@progbits,_ZN7rocprim17ROCPRIM_400000_NS6detail17trampoline_kernelINS0_14default_configENS1_27scan_by_key_config_selectorIssEEZZNS1_16scan_by_key_implILNS1_25lookback_scan_determinismE0ELb1ES3_N6thrust23THRUST_200600_302600_NS6detail15normal_iteratorINS9_10device_ptrIsEEEESE_SE_sNS9_4plusIvEENS9_8equal_toIvEEsEE10hipError_tPvRmT2_T3_T4_T5_mT6_T7_P12ihipStream_tbENKUlT_T0_E_clISt17integral_constantIbLb1EESY_IbLb0EEEEDaSU_SV_EUlSU_E_NS1_11comp_targetILNS1_3genE2ELNS1_11target_archE906ELNS1_3gpuE6ELNS1_3repE0EEENS1_30default_config_static_selectorELNS0_4arch9wavefront6targetE0EEEvT1_,comdat
	.protected	_ZN7rocprim17ROCPRIM_400000_NS6detail17trampoline_kernelINS0_14default_configENS1_27scan_by_key_config_selectorIssEEZZNS1_16scan_by_key_implILNS1_25lookback_scan_determinismE0ELb1ES3_N6thrust23THRUST_200600_302600_NS6detail15normal_iteratorINS9_10device_ptrIsEEEESE_SE_sNS9_4plusIvEENS9_8equal_toIvEEsEE10hipError_tPvRmT2_T3_T4_T5_mT6_T7_P12ihipStream_tbENKUlT_T0_E_clISt17integral_constantIbLb1EESY_IbLb0EEEEDaSU_SV_EUlSU_E_NS1_11comp_targetILNS1_3genE2ELNS1_11target_archE906ELNS1_3gpuE6ELNS1_3repE0EEENS1_30default_config_static_selectorELNS0_4arch9wavefront6targetE0EEEvT1_ ; -- Begin function _ZN7rocprim17ROCPRIM_400000_NS6detail17trampoline_kernelINS0_14default_configENS1_27scan_by_key_config_selectorIssEEZZNS1_16scan_by_key_implILNS1_25lookback_scan_determinismE0ELb1ES3_N6thrust23THRUST_200600_302600_NS6detail15normal_iteratorINS9_10device_ptrIsEEEESE_SE_sNS9_4plusIvEENS9_8equal_toIvEEsEE10hipError_tPvRmT2_T3_T4_T5_mT6_T7_P12ihipStream_tbENKUlT_T0_E_clISt17integral_constantIbLb1EESY_IbLb0EEEEDaSU_SV_EUlSU_E_NS1_11comp_targetILNS1_3genE2ELNS1_11target_archE906ELNS1_3gpuE6ELNS1_3repE0EEENS1_30default_config_static_selectorELNS0_4arch9wavefront6targetE0EEEvT1_
	.globl	_ZN7rocprim17ROCPRIM_400000_NS6detail17trampoline_kernelINS0_14default_configENS1_27scan_by_key_config_selectorIssEEZZNS1_16scan_by_key_implILNS1_25lookback_scan_determinismE0ELb1ES3_N6thrust23THRUST_200600_302600_NS6detail15normal_iteratorINS9_10device_ptrIsEEEESE_SE_sNS9_4plusIvEENS9_8equal_toIvEEsEE10hipError_tPvRmT2_T3_T4_T5_mT6_T7_P12ihipStream_tbENKUlT_T0_E_clISt17integral_constantIbLb1EESY_IbLb0EEEEDaSU_SV_EUlSU_E_NS1_11comp_targetILNS1_3genE2ELNS1_11target_archE906ELNS1_3gpuE6ELNS1_3repE0EEENS1_30default_config_static_selectorELNS0_4arch9wavefront6targetE0EEEvT1_
	.p2align	8
	.type	_ZN7rocprim17ROCPRIM_400000_NS6detail17trampoline_kernelINS0_14default_configENS1_27scan_by_key_config_selectorIssEEZZNS1_16scan_by_key_implILNS1_25lookback_scan_determinismE0ELb1ES3_N6thrust23THRUST_200600_302600_NS6detail15normal_iteratorINS9_10device_ptrIsEEEESE_SE_sNS9_4plusIvEENS9_8equal_toIvEEsEE10hipError_tPvRmT2_T3_T4_T5_mT6_T7_P12ihipStream_tbENKUlT_T0_E_clISt17integral_constantIbLb1EESY_IbLb0EEEEDaSU_SV_EUlSU_E_NS1_11comp_targetILNS1_3genE2ELNS1_11target_archE906ELNS1_3gpuE6ELNS1_3repE0EEENS1_30default_config_static_selectorELNS0_4arch9wavefront6targetE0EEEvT1_,@function
_ZN7rocprim17ROCPRIM_400000_NS6detail17trampoline_kernelINS0_14default_configENS1_27scan_by_key_config_selectorIssEEZZNS1_16scan_by_key_implILNS1_25lookback_scan_determinismE0ELb1ES3_N6thrust23THRUST_200600_302600_NS6detail15normal_iteratorINS9_10device_ptrIsEEEESE_SE_sNS9_4plusIvEENS9_8equal_toIvEEsEE10hipError_tPvRmT2_T3_T4_T5_mT6_T7_P12ihipStream_tbENKUlT_T0_E_clISt17integral_constantIbLb1EESY_IbLb0EEEEDaSU_SV_EUlSU_E_NS1_11comp_targetILNS1_3genE2ELNS1_11target_archE906ELNS1_3gpuE6ELNS1_3repE0EEENS1_30default_config_static_selectorELNS0_4arch9wavefront6targetE0EEEvT1_: ; @_ZN7rocprim17ROCPRIM_400000_NS6detail17trampoline_kernelINS0_14default_configENS1_27scan_by_key_config_selectorIssEEZZNS1_16scan_by_key_implILNS1_25lookback_scan_determinismE0ELb1ES3_N6thrust23THRUST_200600_302600_NS6detail15normal_iteratorINS9_10device_ptrIsEEEESE_SE_sNS9_4plusIvEENS9_8equal_toIvEEsEE10hipError_tPvRmT2_T3_T4_T5_mT6_T7_P12ihipStream_tbENKUlT_T0_E_clISt17integral_constantIbLb1EESY_IbLb0EEEEDaSU_SV_EUlSU_E_NS1_11comp_targetILNS1_3genE2ELNS1_11target_archE906ELNS1_3gpuE6ELNS1_3repE0EEENS1_30default_config_static_selectorELNS0_4arch9wavefront6targetE0EEEvT1_
; %bb.0:
	.section	.rodata,"a",@progbits
	.p2align	6, 0x0
	.amdhsa_kernel _ZN7rocprim17ROCPRIM_400000_NS6detail17trampoline_kernelINS0_14default_configENS1_27scan_by_key_config_selectorIssEEZZNS1_16scan_by_key_implILNS1_25lookback_scan_determinismE0ELb1ES3_N6thrust23THRUST_200600_302600_NS6detail15normal_iteratorINS9_10device_ptrIsEEEESE_SE_sNS9_4plusIvEENS9_8equal_toIvEEsEE10hipError_tPvRmT2_T3_T4_T5_mT6_T7_P12ihipStream_tbENKUlT_T0_E_clISt17integral_constantIbLb1EESY_IbLb0EEEEDaSU_SV_EUlSU_E_NS1_11comp_targetILNS1_3genE2ELNS1_11target_archE906ELNS1_3gpuE6ELNS1_3repE0EEENS1_30default_config_static_selectorELNS0_4arch9wavefront6targetE0EEEvT1_
		.amdhsa_group_segment_fixed_size 0
		.amdhsa_private_segment_fixed_size 0
		.amdhsa_kernarg_size 112
		.amdhsa_user_sgpr_count 2
		.amdhsa_user_sgpr_dispatch_ptr 0
		.amdhsa_user_sgpr_queue_ptr 0
		.amdhsa_user_sgpr_kernarg_segment_ptr 1
		.amdhsa_user_sgpr_dispatch_id 0
		.amdhsa_user_sgpr_kernarg_preload_length 0
		.amdhsa_user_sgpr_kernarg_preload_offset 0
		.amdhsa_user_sgpr_private_segment_size 0
		.amdhsa_wavefront_size32 1
		.amdhsa_uses_dynamic_stack 0
		.amdhsa_enable_private_segment 0
		.amdhsa_system_sgpr_workgroup_id_x 1
		.amdhsa_system_sgpr_workgroup_id_y 0
		.amdhsa_system_sgpr_workgroup_id_z 0
		.amdhsa_system_sgpr_workgroup_info 0
		.amdhsa_system_vgpr_workitem_id 0
		.amdhsa_next_free_vgpr 1
		.amdhsa_next_free_sgpr 1
		.amdhsa_named_barrier_count 0
		.amdhsa_reserve_vcc 0
		.amdhsa_float_round_mode_32 0
		.amdhsa_float_round_mode_16_64 0
		.amdhsa_float_denorm_mode_32 3
		.amdhsa_float_denorm_mode_16_64 3
		.amdhsa_fp16_overflow 0
		.amdhsa_memory_ordered 1
		.amdhsa_forward_progress 1
		.amdhsa_inst_pref_size 0
		.amdhsa_round_robin_scheduling 0
		.amdhsa_exception_fp_ieee_invalid_op 0
		.amdhsa_exception_fp_denorm_src 0
		.amdhsa_exception_fp_ieee_div_zero 0
		.amdhsa_exception_fp_ieee_overflow 0
		.amdhsa_exception_fp_ieee_underflow 0
		.amdhsa_exception_fp_ieee_inexact 0
		.amdhsa_exception_int_div_zero 0
	.end_amdhsa_kernel
	.section	.text._ZN7rocprim17ROCPRIM_400000_NS6detail17trampoline_kernelINS0_14default_configENS1_27scan_by_key_config_selectorIssEEZZNS1_16scan_by_key_implILNS1_25lookback_scan_determinismE0ELb1ES3_N6thrust23THRUST_200600_302600_NS6detail15normal_iteratorINS9_10device_ptrIsEEEESE_SE_sNS9_4plusIvEENS9_8equal_toIvEEsEE10hipError_tPvRmT2_T3_T4_T5_mT6_T7_P12ihipStream_tbENKUlT_T0_E_clISt17integral_constantIbLb1EESY_IbLb0EEEEDaSU_SV_EUlSU_E_NS1_11comp_targetILNS1_3genE2ELNS1_11target_archE906ELNS1_3gpuE6ELNS1_3repE0EEENS1_30default_config_static_selectorELNS0_4arch9wavefront6targetE0EEEvT1_,"axG",@progbits,_ZN7rocprim17ROCPRIM_400000_NS6detail17trampoline_kernelINS0_14default_configENS1_27scan_by_key_config_selectorIssEEZZNS1_16scan_by_key_implILNS1_25lookback_scan_determinismE0ELb1ES3_N6thrust23THRUST_200600_302600_NS6detail15normal_iteratorINS9_10device_ptrIsEEEESE_SE_sNS9_4plusIvEENS9_8equal_toIvEEsEE10hipError_tPvRmT2_T3_T4_T5_mT6_T7_P12ihipStream_tbENKUlT_T0_E_clISt17integral_constantIbLb1EESY_IbLb0EEEEDaSU_SV_EUlSU_E_NS1_11comp_targetILNS1_3genE2ELNS1_11target_archE906ELNS1_3gpuE6ELNS1_3repE0EEENS1_30default_config_static_selectorELNS0_4arch9wavefront6targetE0EEEvT1_,comdat
.Lfunc_end592:
	.size	_ZN7rocprim17ROCPRIM_400000_NS6detail17trampoline_kernelINS0_14default_configENS1_27scan_by_key_config_selectorIssEEZZNS1_16scan_by_key_implILNS1_25lookback_scan_determinismE0ELb1ES3_N6thrust23THRUST_200600_302600_NS6detail15normal_iteratorINS9_10device_ptrIsEEEESE_SE_sNS9_4plusIvEENS9_8equal_toIvEEsEE10hipError_tPvRmT2_T3_T4_T5_mT6_T7_P12ihipStream_tbENKUlT_T0_E_clISt17integral_constantIbLb1EESY_IbLb0EEEEDaSU_SV_EUlSU_E_NS1_11comp_targetILNS1_3genE2ELNS1_11target_archE906ELNS1_3gpuE6ELNS1_3repE0EEENS1_30default_config_static_selectorELNS0_4arch9wavefront6targetE0EEEvT1_, .Lfunc_end592-_ZN7rocprim17ROCPRIM_400000_NS6detail17trampoline_kernelINS0_14default_configENS1_27scan_by_key_config_selectorIssEEZZNS1_16scan_by_key_implILNS1_25lookback_scan_determinismE0ELb1ES3_N6thrust23THRUST_200600_302600_NS6detail15normal_iteratorINS9_10device_ptrIsEEEESE_SE_sNS9_4plusIvEENS9_8equal_toIvEEsEE10hipError_tPvRmT2_T3_T4_T5_mT6_T7_P12ihipStream_tbENKUlT_T0_E_clISt17integral_constantIbLb1EESY_IbLb0EEEEDaSU_SV_EUlSU_E_NS1_11comp_targetILNS1_3genE2ELNS1_11target_archE906ELNS1_3gpuE6ELNS1_3repE0EEENS1_30default_config_static_selectorELNS0_4arch9wavefront6targetE0EEEvT1_
                                        ; -- End function
	.set _ZN7rocprim17ROCPRIM_400000_NS6detail17trampoline_kernelINS0_14default_configENS1_27scan_by_key_config_selectorIssEEZZNS1_16scan_by_key_implILNS1_25lookback_scan_determinismE0ELb1ES3_N6thrust23THRUST_200600_302600_NS6detail15normal_iteratorINS9_10device_ptrIsEEEESE_SE_sNS9_4plusIvEENS9_8equal_toIvEEsEE10hipError_tPvRmT2_T3_T4_T5_mT6_T7_P12ihipStream_tbENKUlT_T0_E_clISt17integral_constantIbLb1EESY_IbLb0EEEEDaSU_SV_EUlSU_E_NS1_11comp_targetILNS1_3genE2ELNS1_11target_archE906ELNS1_3gpuE6ELNS1_3repE0EEENS1_30default_config_static_selectorELNS0_4arch9wavefront6targetE0EEEvT1_.num_vgpr, 0
	.set _ZN7rocprim17ROCPRIM_400000_NS6detail17trampoline_kernelINS0_14default_configENS1_27scan_by_key_config_selectorIssEEZZNS1_16scan_by_key_implILNS1_25lookback_scan_determinismE0ELb1ES3_N6thrust23THRUST_200600_302600_NS6detail15normal_iteratorINS9_10device_ptrIsEEEESE_SE_sNS9_4plusIvEENS9_8equal_toIvEEsEE10hipError_tPvRmT2_T3_T4_T5_mT6_T7_P12ihipStream_tbENKUlT_T0_E_clISt17integral_constantIbLb1EESY_IbLb0EEEEDaSU_SV_EUlSU_E_NS1_11comp_targetILNS1_3genE2ELNS1_11target_archE906ELNS1_3gpuE6ELNS1_3repE0EEENS1_30default_config_static_selectorELNS0_4arch9wavefront6targetE0EEEvT1_.num_agpr, 0
	.set _ZN7rocprim17ROCPRIM_400000_NS6detail17trampoline_kernelINS0_14default_configENS1_27scan_by_key_config_selectorIssEEZZNS1_16scan_by_key_implILNS1_25lookback_scan_determinismE0ELb1ES3_N6thrust23THRUST_200600_302600_NS6detail15normal_iteratorINS9_10device_ptrIsEEEESE_SE_sNS9_4plusIvEENS9_8equal_toIvEEsEE10hipError_tPvRmT2_T3_T4_T5_mT6_T7_P12ihipStream_tbENKUlT_T0_E_clISt17integral_constantIbLb1EESY_IbLb0EEEEDaSU_SV_EUlSU_E_NS1_11comp_targetILNS1_3genE2ELNS1_11target_archE906ELNS1_3gpuE6ELNS1_3repE0EEENS1_30default_config_static_selectorELNS0_4arch9wavefront6targetE0EEEvT1_.numbered_sgpr, 0
	.set _ZN7rocprim17ROCPRIM_400000_NS6detail17trampoline_kernelINS0_14default_configENS1_27scan_by_key_config_selectorIssEEZZNS1_16scan_by_key_implILNS1_25lookback_scan_determinismE0ELb1ES3_N6thrust23THRUST_200600_302600_NS6detail15normal_iteratorINS9_10device_ptrIsEEEESE_SE_sNS9_4plusIvEENS9_8equal_toIvEEsEE10hipError_tPvRmT2_T3_T4_T5_mT6_T7_P12ihipStream_tbENKUlT_T0_E_clISt17integral_constantIbLb1EESY_IbLb0EEEEDaSU_SV_EUlSU_E_NS1_11comp_targetILNS1_3genE2ELNS1_11target_archE906ELNS1_3gpuE6ELNS1_3repE0EEENS1_30default_config_static_selectorELNS0_4arch9wavefront6targetE0EEEvT1_.num_named_barrier, 0
	.set _ZN7rocprim17ROCPRIM_400000_NS6detail17trampoline_kernelINS0_14default_configENS1_27scan_by_key_config_selectorIssEEZZNS1_16scan_by_key_implILNS1_25lookback_scan_determinismE0ELb1ES3_N6thrust23THRUST_200600_302600_NS6detail15normal_iteratorINS9_10device_ptrIsEEEESE_SE_sNS9_4plusIvEENS9_8equal_toIvEEsEE10hipError_tPvRmT2_T3_T4_T5_mT6_T7_P12ihipStream_tbENKUlT_T0_E_clISt17integral_constantIbLb1EESY_IbLb0EEEEDaSU_SV_EUlSU_E_NS1_11comp_targetILNS1_3genE2ELNS1_11target_archE906ELNS1_3gpuE6ELNS1_3repE0EEENS1_30default_config_static_selectorELNS0_4arch9wavefront6targetE0EEEvT1_.private_seg_size, 0
	.set _ZN7rocprim17ROCPRIM_400000_NS6detail17trampoline_kernelINS0_14default_configENS1_27scan_by_key_config_selectorIssEEZZNS1_16scan_by_key_implILNS1_25lookback_scan_determinismE0ELb1ES3_N6thrust23THRUST_200600_302600_NS6detail15normal_iteratorINS9_10device_ptrIsEEEESE_SE_sNS9_4plusIvEENS9_8equal_toIvEEsEE10hipError_tPvRmT2_T3_T4_T5_mT6_T7_P12ihipStream_tbENKUlT_T0_E_clISt17integral_constantIbLb1EESY_IbLb0EEEEDaSU_SV_EUlSU_E_NS1_11comp_targetILNS1_3genE2ELNS1_11target_archE906ELNS1_3gpuE6ELNS1_3repE0EEENS1_30default_config_static_selectorELNS0_4arch9wavefront6targetE0EEEvT1_.uses_vcc, 0
	.set _ZN7rocprim17ROCPRIM_400000_NS6detail17trampoline_kernelINS0_14default_configENS1_27scan_by_key_config_selectorIssEEZZNS1_16scan_by_key_implILNS1_25lookback_scan_determinismE0ELb1ES3_N6thrust23THRUST_200600_302600_NS6detail15normal_iteratorINS9_10device_ptrIsEEEESE_SE_sNS9_4plusIvEENS9_8equal_toIvEEsEE10hipError_tPvRmT2_T3_T4_T5_mT6_T7_P12ihipStream_tbENKUlT_T0_E_clISt17integral_constantIbLb1EESY_IbLb0EEEEDaSU_SV_EUlSU_E_NS1_11comp_targetILNS1_3genE2ELNS1_11target_archE906ELNS1_3gpuE6ELNS1_3repE0EEENS1_30default_config_static_selectorELNS0_4arch9wavefront6targetE0EEEvT1_.uses_flat_scratch, 0
	.set _ZN7rocprim17ROCPRIM_400000_NS6detail17trampoline_kernelINS0_14default_configENS1_27scan_by_key_config_selectorIssEEZZNS1_16scan_by_key_implILNS1_25lookback_scan_determinismE0ELb1ES3_N6thrust23THRUST_200600_302600_NS6detail15normal_iteratorINS9_10device_ptrIsEEEESE_SE_sNS9_4plusIvEENS9_8equal_toIvEEsEE10hipError_tPvRmT2_T3_T4_T5_mT6_T7_P12ihipStream_tbENKUlT_T0_E_clISt17integral_constantIbLb1EESY_IbLb0EEEEDaSU_SV_EUlSU_E_NS1_11comp_targetILNS1_3genE2ELNS1_11target_archE906ELNS1_3gpuE6ELNS1_3repE0EEENS1_30default_config_static_selectorELNS0_4arch9wavefront6targetE0EEEvT1_.has_dyn_sized_stack, 0
	.set _ZN7rocprim17ROCPRIM_400000_NS6detail17trampoline_kernelINS0_14default_configENS1_27scan_by_key_config_selectorIssEEZZNS1_16scan_by_key_implILNS1_25lookback_scan_determinismE0ELb1ES3_N6thrust23THRUST_200600_302600_NS6detail15normal_iteratorINS9_10device_ptrIsEEEESE_SE_sNS9_4plusIvEENS9_8equal_toIvEEsEE10hipError_tPvRmT2_T3_T4_T5_mT6_T7_P12ihipStream_tbENKUlT_T0_E_clISt17integral_constantIbLb1EESY_IbLb0EEEEDaSU_SV_EUlSU_E_NS1_11comp_targetILNS1_3genE2ELNS1_11target_archE906ELNS1_3gpuE6ELNS1_3repE0EEENS1_30default_config_static_selectorELNS0_4arch9wavefront6targetE0EEEvT1_.has_recursion, 0
	.set _ZN7rocprim17ROCPRIM_400000_NS6detail17trampoline_kernelINS0_14default_configENS1_27scan_by_key_config_selectorIssEEZZNS1_16scan_by_key_implILNS1_25lookback_scan_determinismE0ELb1ES3_N6thrust23THRUST_200600_302600_NS6detail15normal_iteratorINS9_10device_ptrIsEEEESE_SE_sNS9_4plusIvEENS9_8equal_toIvEEsEE10hipError_tPvRmT2_T3_T4_T5_mT6_T7_P12ihipStream_tbENKUlT_T0_E_clISt17integral_constantIbLb1EESY_IbLb0EEEEDaSU_SV_EUlSU_E_NS1_11comp_targetILNS1_3genE2ELNS1_11target_archE906ELNS1_3gpuE6ELNS1_3repE0EEENS1_30default_config_static_selectorELNS0_4arch9wavefront6targetE0EEEvT1_.has_indirect_call, 0
	.section	.AMDGPU.csdata,"",@progbits
; Kernel info:
; codeLenInByte = 0
; TotalNumSgprs: 0
; NumVgprs: 0
; ScratchSize: 0
; MemoryBound: 0
; FloatMode: 240
; IeeeMode: 1
; LDSByteSize: 0 bytes/workgroup (compile time only)
; SGPRBlocks: 0
; VGPRBlocks: 0
; NumSGPRsForWavesPerEU: 1
; NumVGPRsForWavesPerEU: 1
; NamedBarCnt: 0
; Occupancy: 16
; WaveLimiterHint : 0
; COMPUTE_PGM_RSRC2:SCRATCH_EN: 0
; COMPUTE_PGM_RSRC2:USER_SGPR: 2
; COMPUTE_PGM_RSRC2:TRAP_HANDLER: 0
; COMPUTE_PGM_RSRC2:TGID_X_EN: 1
; COMPUTE_PGM_RSRC2:TGID_Y_EN: 0
; COMPUTE_PGM_RSRC2:TGID_Z_EN: 0
; COMPUTE_PGM_RSRC2:TIDIG_COMP_CNT: 0
	.section	.text._ZN7rocprim17ROCPRIM_400000_NS6detail17trampoline_kernelINS0_14default_configENS1_27scan_by_key_config_selectorIssEEZZNS1_16scan_by_key_implILNS1_25lookback_scan_determinismE0ELb1ES3_N6thrust23THRUST_200600_302600_NS6detail15normal_iteratorINS9_10device_ptrIsEEEESE_SE_sNS9_4plusIvEENS9_8equal_toIvEEsEE10hipError_tPvRmT2_T3_T4_T5_mT6_T7_P12ihipStream_tbENKUlT_T0_E_clISt17integral_constantIbLb1EESY_IbLb0EEEEDaSU_SV_EUlSU_E_NS1_11comp_targetILNS1_3genE10ELNS1_11target_archE1200ELNS1_3gpuE4ELNS1_3repE0EEENS1_30default_config_static_selectorELNS0_4arch9wavefront6targetE0EEEvT1_,"axG",@progbits,_ZN7rocprim17ROCPRIM_400000_NS6detail17trampoline_kernelINS0_14default_configENS1_27scan_by_key_config_selectorIssEEZZNS1_16scan_by_key_implILNS1_25lookback_scan_determinismE0ELb1ES3_N6thrust23THRUST_200600_302600_NS6detail15normal_iteratorINS9_10device_ptrIsEEEESE_SE_sNS9_4plusIvEENS9_8equal_toIvEEsEE10hipError_tPvRmT2_T3_T4_T5_mT6_T7_P12ihipStream_tbENKUlT_T0_E_clISt17integral_constantIbLb1EESY_IbLb0EEEEDaSU_SV_EUlSU_E_NS1_11comp_targetILNS1_3genE10ELNS1_11target_archE1200ELNS1_3gpuE4ELNS1_3repE0EEENS1_30default_config_static_selectorELNS0_4arch9wavefront6targetE0EEEvT1_,comdat
	.protected	_ZN7rocprim17ROCPRIM_400000_NS6detail17trampoline_kernelINS0_14default_configENS1_27scan_by_key_config_selectorIssEEZZNS1_16scan_by_key_implILNS1_25lookback_scan_determinismE0ELb1ES3_N6thrust23THRUST_200600_302600_NS6detail15normal_iteratorINS9_10device_ptrIsEEEESE_SE_sNS9_4plusIvEENS9_8equal_toIvEEsEE10hipError_tPvRmT2_T3_T4_T5_mT6_T7_P12ihipStream_tbENKUlT_T0_E_clISt17integral_constantIbLb1EESY_IbLb0EEEEDaSU_SV_EUlSU_E_NS1_11comp_targetILNS1_3genE10ELNS1_11target_archE1200ELNS1_3gpuE4ELNS1_3repE0EEENS1_30default_config_static_selectorELNS0_4arch9wavefront6targetE0EEEvT1_ ; -- Begin function _ZN7rocprim17ROCPRIM_400000_NS6detail17trampoline_kernelINS0_14default_configENS1_27scan_by_key_config_selectorIssEEZZNS1_16scan_by_key_implILNS1_25lookback_scan_determinismE0ELb1ES3_N6thrust23THRUST_200600_302600_NS6detail15normal_iteratorINS9_10device_ptrIsEEEESE_SE_sNS9_4plusIvEENS9_8equal_toIvEEsEE10hipError_tPvRmT2_T3_T4_T5_mT6_T7_P12ihipStream_tbENKUlT_T0_E_clISt17integral_constantIbLb1EESY_IbLb0EEEEDaSU_SV_EUlSU_E_NS1_11comp_targetILNS1_3genE10ELNS1_11target_archE1200ELNS1_3gpuE4ELNS1_3repE0EEENS1_30default_config_static_selectorELNS0_4arch9wavefront6targetE0EEEvT1_
	.globl	_ZN7rocprim17ROCPRIM_400000_NS6detail17trampoline_kernelINS0_14default_configENS1_27scan_by_key_config_selectorIssEEZZNS1_16scan_by_key_implILNS1_25lookback_scan_determinismE0ELb1ES3_N6thrust23THRUST_200600_302600_NS6detail15normal_iteratorINS9_10device_ptrIsEEEESE_SE_sNS9_4plusIvEENS9_8equal_toIvEEsEE10hipError_tPvRmT2_T3_T4_T5_mT6_T7_P12ihipStream_tbENKUlT_T0_E_clISt17integral_constantIbLb1EESY_IbLb0EEEEDaSU_SV_EUlSU_E_NS1_11comp_targetILNS1_3genE10ELNS1_11target_archE1200ELNS1_3gpuE4ELNS1_3repE0EEENS1_30default_config_static_selectorELNS0_4arch9wavefront6targetE0EEEvT1_
	.p2align	8
	.type	_ZN7rocprim17ROCPRIM_400000_NS6detail17trampoline_kernelINS0_14default_configENS1_27scan_by_key_config_selectorIssEEZZNS1_16scan_by_key_implILNS1_25lookback_scan_determinismE0ELb1ES3_N6thrust23THRUST_200600_302600_NS6detail15normal_iteratorINS9_10device_ptrIsEEEESE_SE_sNS9_4plusIvEENS9_8equal_toIvEEsEE10hipError_tPvRmT2_T3_T4_T5_mT6_T7_P12ihipStream_tbENKUlT_T0_E_clISt17integral_constantIbLb1EESY_IbLb0EEEEDaSU_SV_EUlSU_E_NS1_11comp_targetILNS1_3genE10ELNS1_11target_archE1200ELNS1_3gpuE4ELNS1_3repE0EEENS1_30default_config_static_selectorELNS0_4arch9wavefront6targetE0EEEvT1_,@function
_ZN7rocprim17ROCPRIM_400000_NS6detail17trampoline_kernelINS0_14default_configENS1_27scan_by_key_config_selectorIssEEZZNS1_16scan_by_key_implILNS1_25lookback_scan_determinismE0ELb1ES3_N6thrust23THRUST_200600_302600_NS6detail15normal_iteratorINS9_10device_ptrIsEEEESE_SE_sNS9_4plusIvEENS9_8equal_toIvEEsEE10hipError_tPvRmT2_T3_T4_T5_mT6_T7_P12ihipStream_tbENKUlT_T0_E_clISt17integral_constantIbLb1EESY_IbLb0EEEEDaSU_SV_EUlSU_E_NS1_11comp_targetILNS1_3genE10ELNS1_11target_archE1200ELNS1_3gpuE4ELNS1_3repE0EEENS1_30default_config_static_selectorELNS0_4arch9wavefront6targetE0EEEvT1_: ; @_ZN7rocprim17ROCPRIM_400000_NS6detail17trampoline_kernelINS0_14default_configENS1_27scan_by_key_config_selectorIssEEZZNS1_16scan_by_key_implILNS1_25lookback_scan_determinismE0ELb1ES3_N6thrust23THRUST_200600_302600_NS6detail15normal_iteratorINS9_10device_ptrIsEEEESE_SE_sNS9_4plusIvEENS9_8equal_toIvEEsEE10hipError_tPvRmT2_T3_T4_T5_mT6_T7_P12ihipStream_tbENKUlT_T0_E_clISt17integral_constantIbLb1EESY_IbLb0EEEEDaSU_SV_EUlSU_E_NS1_11comp_targetILNS1_3genE10ELNS1_11target_archE1200ELNS1_3gpuE4ELNS1_3repE0EEENS1_30default_config_static_selectorELNS0_4arch9wavefront6targetE0EEEvT1_
; %bb.0:
	.section	.rodata,"a",@progbits
	.p2align	6, 0x0
	.amdhsa_kernel _ZN7rocprim17ROCPRIM_400000_NS6detail17trampoline_kernelINS0_14default_configENS1_27scan_by_key_config_selectorIssEEZZNS1_16scan_by_key_implILNS1_25lookback_scan_determinismE0ELb1ES3_N6thrust23THRUST_200600_302600_NS6detail15normal_iteratorINS9_10device_ptrIsEEEESE_SE_sNS9_4plusIvEENS9_8equal_toIvEEsEE10hipError_tPvRmT2_T3_T4_T5_mT6_T7_P12ihipStream_tbENKUlT_T0_E_clISt17integral_constantIbLb1EESY_IbLb0EEEEDaSU_SV_EUlSU_E_NS1_11comp_targetILNS1_3genE10ELNS1_11target_archE1200ELNS1_3gpuE4ELNS1_3repE0EEENS1_30default_config_static_selectorELNS0_4arch9wavefront6targetE0EEEvT1_
		.amdhsa_group_segment_fixed_size 0
		.amdhsa_private_segment_fixed_size 0
		.amdhsa_kernarg_size 112
		.amdhsa_user_sgpr_count 2
		.amdhsa_user_sgpr_dispatch_ptr 0
		.amdhsa_user_sgpr_queue_ptr 0
		.amdhsa_user_sgpr_kernarg_segment_ptr 1
		.amdhsa_user_sgpr_dispatch_id 0
		.amdhsa_user_sgpr_kernarg_preload_length 0
		.amdhsa_user_sgpr_kernarg_preload_offset 0
		.amdhsa_user_sgpr_private_segment_size 0
		.amdhsa_wavefront_size32 1
		.amdhsa_uses_dynamic_stack 0
		.amdhsa_enable_private_segment 0
		.amdhsa_system_sgpr_workgroup_id_x 1
		.amdhsa_system_sgpr_workgroup_id_y 0
		.amdhsa_system_sgpr_workgroup_id_z 0
		.amdhsa_system_sgpr_workgroup_info 0
		.amdhsa_system_vgpr_workitem_id 0
		.amdhsa_next_free_vgpr 1
		.amdhsa_next_free_sgpr 1
		.amdhsa_named_barrier_count 0
		.amdhsa_reserve_vcc 0
		.amdhsa_float_round_mode_32 0
		.amdhsa_float_round_mode_16_64 0
		.amdhsa_float_denorm_mode_32 3
		.amdhsa_float_denorm_mode_16_64 3
		.amdhsa_fp16_overflow 0
		.amdhsa_memory_ordered 1
		.amdhsa_forward_progress 1
		.amdhsa_inst_pref_size 0
		.amdhsa_round_robin_scheduling 0
		.amdhsa_exception_fp_ieee_invalid_op 0
		.amdhsa_exception_fp_denorm_src 0
		.amdhsa_exception_fp_ieee_div_zero 0
		.amdhsa_exception_fp_ieee_overflow 0
		.amdhsa_exception_fp_ieee_underflow 0
		.amdhsa_exception_fp_ieee_inexact 0
		.amdhsa_exception_int_div_zero 0
	.end_amdhsa_kernel
	.section	.text._ZN7rocprim17ROCPRIM_400000_NS6detail17trampoline_kernelINS0_14default_configENS1_27scan_by_key_config_selectorIssEEZZNS1_16scan_by_key_implILNS1_25lookback_scan_determinismE0ELb1ES3_N6thrust23THRUST_200600_302600_NS6detail15normal_iteratorINS9_10device_ptrIsEEEESE_SE_sNS9_4plusIvEENS9_8equal_toIvEEsEE10hipError_tPvRmT2_T3_T4_T5_mT6_T7_P12ihipStream_tbENKUlT_T0_E_clISt17integral_constantIbLb1EESY_IbLb0EEEEDaSU_SV_EUlSU_E_NS1_11comp_targetILNS1_3genE10ELNS1_11target_archE1200ELNS1_3gpuE4ELNS1_3repE0EEENS1_30default_config_static_selectorELNS0_4arch9wavefront6targetE0EEEvT1_,"axG",@progbits,_ZN7rocprim17ROCPRIM_400000_NS6detail17trampoline_kernelINS0_14default_configENS1_27scan_by_key_config_selectorIssEEZZNS1_16scan_by_key_implILNS1_25lookback_scan_determinismE0ELb1ES3_N6thrust23THRUST_200600_302600_NS6detail15normal_iteratorINS9_10device_ptrIsEEEESE_SE_sNS9_4plusIvEENS9_8equal_toIvEEsEE10hipError_tPvRmT2_T3_T4_T5_mT6_T7_P12ihipStream_tbENKUlT_T0_E_clISt17integral_constantIbLb1EESY_IbLb0EEEEDaSU_SV_EUlSU_E_NS1_11comp_targetILNS1_3genE10ELNS1_11target_archE1200ELNS1_3gpuE4ELNS1_3repE0EEENS1_30default_config_static_selectorELNS0_4arch9wavefront6targetE0EEEvT1_,comdat
.Lfunc_end593:
	.size	_ZN7rocprim17ROCPRIM_400000_NS6detail17trampoline_kernelINS0_14default_configENS1_27scan_by_key_config_selectorIssEEZZNS1_16scan_by_key_implILNS1_25lookback_scan_determinismE0ELb1ES3_N6thrust23THRUST_200600_302600_NS6detail15normal_iteratorINS9_10device_ptrIsEEEESE_SE_sNS9_4plusIvEENS9_8equal_toIvEEsEE10hipError_tPvRmT2_T3_T4_T5_mT6_T7_P12ihipStream_tbENKUlT_T0_E_clISt17integral_constantIbLb1EESY_IbLb0EEEEDaSU_SV_EUlSU_E_NS1_11comp_targetILNS1_3genE10ELNS1_11target_archE1200ELNS1_3gpuE4ELNS1_3repE0EEENS1_30default_config_static_selectorELNS0_4arch9wavefront6targetE0EEEvT1_, .Lfunc_end593-_ZN7rocprim17ROCPRIM_400000_NS6detail17trampoline_kernelINS0_14default_configENS1_27scan_by_key_config_selectorIssEEZZNS1_16scan_by_key_implILNS1_25lookback_scan_determinismE0ELb1ES3_N6thrust23THRUST_200600_302600_NS6detail15normal_iteratorINS9_10device_ptrIsEEEESE_SE_sNS9_4plusIvEENS9_8equal_toIvEEsEE10hipError_tPvRmT2_T3_T4_T5_mT6_T7_P12ihipStream_tbENKUlT_T0_E_clISt17integral_constantIbLb1EESY_IbLb0EEEEDaSU_SV_EUlSU_E_NS1_11comp_targetILNS1_3genE10ELNS1_11target_archE1200ELNS1_3gpuE4ELNS1_3repE0EEENS1_30default_config_static_selectorELNS0_4arch9wavefront6targetE0EEEvT1_
                                        ; -- End function
	.set _ZN7rocprim17ROCPRIM_400000_NS6detail17trampoline_kernelINS0_14default_configENS1_27scan_by_key_config_selectorIssEEZZNS1_16scan_by_key_implILNS1_25lookback_scan_determinismE0ELb1ES3_N6thrust23THRUST_200600_302600_NS6detail15normal_iteratorINS9_10device_ptrIsEEEESE_SE_sNS9_4plusIvEENS9_8equal_toIvEEsEE10hipError_tPvRmT2_T3_T4_T5_mT6_T7_P12ihipStream_tbENKUlT_T0_E_clISt17integral_constantIbLb1EESY_IbLb0EEEEDaSU_SV_EUlSU_E_NS1_11comp_targetILNS1_3genE10ELNS1_11target_archE1200ELNS1_3gpuE4ELNS1_3repE0EEENS1_30default_config_static_selectorELNS0_4arch9wavefront6targetE0EEEvT1_.num_vgpr, 0
	.set _ZN7rocprim17ROCPRIM_400000_NS6detail17trampoline_kernelINS0_14default_configENS1_27scan_by_key_config_selectorIssEEZZNS1_16scan_by_key_implILNS1_25lookback_scan_determinismE0ELb1ES3_N6thrust23THRUST_200600_302600_NS6detail15normal_iteratorINS9_10device_ptrIsEEEESE_SE_sNS9_4plusIvEENS9_8equal_toIvEEsEE10hipError_tPvRmT2_T3_T4_T5_mT6_T7_P12ihipStream_tbENKUlT_T0_E_clISt17integral_constantIbLb1EESY_IbLb0EEEEDaSU_SV_EUlSU_E_NS1_11comp_targetILNS1_3genE10ELNS1_11target_archE1200ELNS1_3gpuE4ELNS1_3repE0EEENS1_30default_config_static_selectorELNS0_4arch9wavefront6targetE0EEEvT1_.num_agpr, 0
	.set _ZN7rocprim17ROCPRIM_400000_NS6detail17trampoline_kernelINS0_14default_configENS1_27scan_by_key_config_selectorIssEEZZNS1_16scan_by_key_implILNS1_25lookback_scan_determinismE0ELb1ES3_N6thrust23THRUST_200600_302600_NS6detail15normal_iteratorINS9_10device_ptrIsEEEESE_SE_sNS9_4plusIvEENS9_8equal_toIvEEsEE10hipError_tPvRmT2_T3_T4_T5_mT6_T7_P12ihipStream_tbENKUlT_T0_E_clISt17integral_constantIbLb1EESY_IbLb0EEEEDaSU_SV_EUlSU_E_NS1_11comp_targetILNS1_3genE10ELNS1_11target_archE1200ELNS1_3gpuE4ELNS1_3repE0EEENS1_30default_config_static_selectorELNS0_4arch9wavefront6targetE0EEEvT1_.numbered_sgpr, 0
	.set _ZN7rocprim17ROCPRIM_400000_NS6detail17trampoline_kernelINS0_14default_configENS1_27scan_by_key_config_selectorIssEEZZNS1_16scan_by_key_implILNS1_25lookback_scan_determinismE0ELb1ES3_N6thrust23THRUST_200600_302600_NS6detail15normal_iteratorINS9_10device_ptrIsEEEESE_SE_sNS9_4plusIvEENS9_8equal_toIvEEsEE10hipError_tPvRmT2_T3_T4_T5_mT6_T7_P12ihipStream_tbENKUlT_T0_E_clISt17integral_constantIbLb1EESY_IbLb0EEEEDaSU_SV_EUlSU_E_NS1_11comp_targetILNS1_3genE10ELNS1_11target_archE1200ELNS1_3gpuE4ELNS1_3repE0EEENS1_30default_config_static_selectorELNS0_4arch9wavefront6targetE0EEEvT1_.num_named_barrier, 0
	.set _ZN7rocprim17ROCPRIM_400000_NS6detail17trampoline_kernelINS0_14default_configENS1_27scan_by_key_config_selectorIssEEZZNS1_16scan_by_key_implILNS1_25lookback_scan_determinismE0ELb1ES3_N6thrust23THRUST_200600_302600_NS6detail15normal_iteratorINS9_10device_ptrIsEEEESE_SE_sNS9_4plusIvEENS9_8equal_toIvEEsEE10hipError_tPvRmT2_T3_T4_T5_mT6_T7_P12ihipStream_tbENKUlT_T0_E_clISt17integral_constantIbLb1EESY_IbLb0EEEEDaSU_SV_EUlSU_E_NS1_11comp_targetILNS1_3genE10ELNS1_11target_archE1200ELNS1_3gpuE4ELNS1_3repE0EEENS1_30default_config_static_selectorELNS0_4arch9wavefront6targetE0EEEvT1_.private_seg_size, 0
	.set _ZN7rocprim17ROCPRIM_400000_NS6detail17trampoline_kernelINS0_14default_configENS1_27scan_by_key_config_selectorIssEEZZNS1_16scan_by_key_implILNS1_25lookback_scan_determinismE0ELb1ES3_N6thrust23THRUST_200600_302600_NS6detail15normal_iteratorINS9_10device_ptrIsEEEESE_SE_sNS9_4plusIvEENS9_8equal_toIvEEsEE10hipError_tPvRmT2_T3_T4_T5_mT6_T7_P12ihipStream_tbENKUlT_T0_E_clISt17integral_constantIbLb1EESY_IbLb0EEEEDaSU_SV_EUlSU_E_NS1_11comp_targetILNS1_3genE10ELNS1_11target_archE1200ELNS1_3gpuE4ELNS1_3repE0EEENS1_30default_config_static_selectorELNS0_4arch9wavefront6targetE0EEEvT1_.uses_vcc, 0
	.set _ZN7rocprim17ROCPRIM_400000_NS6detail17trampoline_kernelINS0_14default_configENS1_27scan_by_key_config_selectorIssEEZZNS1_16scan_by_key_implILNS1_25lookback_scan_determinismE0ELb1ES3_N6thrust23THRUST_200600_302600_NS6detail15normal_iteratorINS9_10device_ptrIsEEEESE_SE_sNS9_4plusIvEENS9_8equal_toIvEEsEE10hipError_tPvRmT2_T3_T4_T5_mT6_T7_P12ihipStream_tbENKUlT_T0_E_clISt17integral_constantIbLb1EESY_IbLb0EEEEDaSU_SV_EUlSU_E_NS1_11comp_targetILNS1_3genE10ELNS1_11target_archE1200ELNS1_3gpuE4ELNS1_3repE0EEENS1_30default_config_static_selectorELNS0_4arch9wavefront6targetE0EEEvT1_.uses_flat_scratch, 0
	.set _ZN7rocprim17ROCPRIM_400000_NS6detail17trampoline_kernelINS0_14default_configENS1_27scan_by_key_config_selectorIssEEZZNS1_16scan_by_key_implILNS1_25lookback_scan_determinismE0ELb1ES3_N6thrust23THRUST_200600_302600_NS6detail15normal_iteratorINS9_10device_ptrIsEEEESE_SE_sNS9_4plusIvEENS9_8equal_toIvEEsEE10hipError_tPvRmT2_T3_T4_T5_mT6_T7_P12ihipStream_tbENKUlT_T0_E_clISt17integral_constantIbLb1EESY_IbLb0EEEEDaSU_SV_EUlSU_E_NS1_11comp_targetILNS1_3genE10ELNS1_11target_archE1200ELNS1_3gpuE4ELNS1_3repE0EEENS1_30default_config_static_selectorELNS0_4arch9wavefront6targetE0EEEvT1_.has_dyn_sized_stack, 0
	.set _ZN7rocprim17ROCPRIM_400000_NS6detail17trampoline_kernelINS0_14default_configENS1_27scan_by_key_config_selectorIssEEZZNS1_16scan_by_key_implILNS1_25lookback_scan_determinismE0ELb1ES3_N6thrust23THRUST_200600_302600_NS6detail15normal_iteratorINS9_10device_ptrIsEEEESE_SE_sNS9_4plusIvEENS9_8equal_toIvEEsEE10hipError_tPvRmT2_T3_T4_T5_mT6_T7_P12ihipStream_tbENKUlT_T0_E_clISt17integral_constantIbLb1EESY_IbLb0EEEEDaSU_SV_EUlSU_E_NS1_11comp_targetILNS1_3genE10ELNS1_11target_archE1200ELNS1_3gpuE4ELNS1_3repE0EEENS1_30default_config_static_selectorELNS0_4arch9wavefront6targetE0EEEvT1_.has_recursion, 0
	.set _ZN7rocprim17ROCPRIM_400000_NS6detail17trampoline_kernelINS0_14default_configENS1_27scan_by_key_config_selectorIssEEZZNS1_16scan_by_key_implILNS1_25lookback_scan_determinismE0ELb1ES3_N6thrust23THRUST_200600_302600_NS6detail15normal_iteratorINS9_10device_ptrIsEEEESE_SE_sNS9_4plusIvEENS9_8equal_toIvEEsEE10hipError_tPvRmT2_T3_T4_T5_mT6_T7_P12ihipStream_tbENKUlT_T0_E_clISt17integral_constantIbLb1EESY_IbLb0EEEEDaSU_SV_EUlSU_E_NS1_11comp_targetILNS1_3genE10ELNS1_11target_archE1200ELNS1_3gpuE4ELNS1_3repE0EEENS1_30default_config_static_selectorELNS0_4arch9wavefront6targetE0EEEvT1_.has_indirect_call, 0
	.section	.AMDGPU.csdata,"",@progbits
; Kernel info:
; codeLenInByte = 0
; TotalNumSgprs: 0
; NumVgprs: 0
; ScratchSize: 0
; MemoryBound: 0
; FloatMode: 240
; IeeeMode: 1
; LDSByteSize: 0 bytes/workgroup (compile time only)
; SGPRBlocks: 0
; VGPRBlocks: 0
; NumSGPRsForWavesPerEU: 1
; NumVGPRsForWavesPerEU: 1
; NamedBarCnt: 0
; Occupancy: 16
; WaveLimiterHint : 0
; COMPUTE_PGM_RSRC2:SCRATCH_EN: 0
; COMPUTE_PGM_RSRC2:USER_SGPR: 2
; COMPUTE_PGM_RSRC2:TRAP_HANDLER: 0
; COMPUTE_PGM_RSRC2:TGID_X_EN: 1
; COMPUTE_PGM_RSRC2:TGID_Y_EN: 0
; COMPUTE_PGM_RSRC2:TGID_Z_EN: 0
; COMPUTE_PGM_RSRC2:TIDIG_COMP_CNT: 0
	.section	.text._ZN7rocprim17ROCPRIM_400000_NS6detail17trampoline_kernelINS0_14default_configENS1_27scan_by_key_config_selectorIssEEZZNS1_16scan_by_key_implILNS1_25lookback_scan_determinismE0ELb1ES3_N6thrust23THRUST_200600_302600_NS6detail15normal_iteratorINS9_10device_ptrIsEEEESE_SE_sNS9_4plusIvEENS9_8equal_toIvEEsEE10hipError_tPvRmT2_T3_T4_T5_mT6_T7_P12ihipStream_tbENKUlT_T0_E_clISt17integral_constantIbLb1EESY_IbLb0EEEEDaSU_SV_EUlSU_E_NS1_11comp_targetILNS1_3genE9ELNS1_11target_archE1100ELNS1_3gpuE3ELNS1_3repE0EEENS1_30default_config_static_selectorELNS0_4arch9wavefront6targetE0EEEvT1_,"axG",@progbits,_ZN7rocprim17ROCPRIM_400000_NS6detail17trampoline_kernelINS0_14default_configENS1_27scan_by_key_config_selectorIssEEZZNS1_16scan_by_key_implILNS1_25lookback_scan_determinismE0ELb1ES3_N6thrust23THRUST_200600_302600_NS6detail15normal_iteratorINS9_10device_ptrIsEEEESE_SE_sNS9_4plusIvEENS9_8equal_toIvEEsEE10hipError_tPvRmT2_T3_T4_T5_mT6_T7_P12ihipStream_tbENKUlT_T0_E_clISt17integral_constantIbLb1EESY_IbLb0EEEEDaSU_SV_EUlSU_E_NS1_11comp_targetILNS1_3genE9ELNS1_11target_archE1100ELNS1_3gpuE3ELNS1_3repE0EEENS1_30default_config_static_selectorELNS0_4arch9wavefront6targetE0EEEvT1_,comdat
	.protected	_ZN7rocprim17ROCPRIM_400000_NS6detail17trampoline_kernelINS0_14default_configENS1_27scan_by_key_config_selectorIssEEZZNS1_16scan_by_key_implILNS1_25lookback_scan_determinismE0ELb1ES3_N6thrust23THRUST_200600_302600_NS6detail15normal_iteratorINS9_10device_ptrIsEEEESE_SE_sNS9_4plusIvEENS9_8equal_toIvEEsEE10hipError_tPvRmT2_T3_T4_T5_mT6_T7_P12ihipStream_tbENKUlT_T0_E_clISt17integral_constantIbLb1EESY_IbLb0EEEEDaSU_SV_EUlSU_E_NS1_11comp_targetILNS1_3genE9ELNS1_11target_archE1100ELNS1_3gpuE3ELNS1_3repE0EEENS1_30default_config_static_selectorELNS0_4arch9wavefront6targetE0EEEvT1_ ; -- Begin function _ZN7rocprim17ROCPRIM_400000_NS6detail17trampoline_kernelINS0_14default_configENS1_27scan_by_key_config_selectorIssEEZZNS1_16scan_by_key_implILNS1_25lookback_scan_determinismE0ELb1ES3_N6thrust23THRUST_200600_302600_NS6detail15normal_iteratorINS9_10device_ptrIsEEEESE_SE_sNS9_4plusIvEENS9_8equal_toIvEEsEE10hipError_tPvRmT2_T3_T4_T5_mT6_T7_P12ihipStream_tbENKUlT_T0_E_clISt17integral_constantIbLb1EESY_IbLb0EEEEDaSU_SV_EUlSU_E_NS1_11comp_targetILNS1_3genE9ELNS1_11target_archE1100ELNS1_3gpuE3ELNS1_3repE0EEENS1_30default_config_static_selectorELNS0_4arch9wavefront6targetE0EEEvT1_
	.globl	_ZN7rocprim17ROCPRIM_400000_NS6detail17trampoline_kernelINS0_14default_configENS1_27scan_by_key_config_selectorIssEEZZNS1_16scan_by_key_implILNS1_25lookback_scan_determinismE0ELb1ES3_N6thrust23THRUST_200600_302600_NS6detail15normal_iteratorINS9_10device_ptrIsEEEESE_SE_sNS9_4plusIvEENS9_8equal_toIvEEsEE10hipError_tPvRmT2_T3_T4_T5_mT6_T7_P12ihipStream_tbENKUlT_T0_E_clISt17integral_constantIbLb1EESY_IbLb0EEEEDaSU_SV_EUlSU_E_NS1_11comp_targetILNS1_3genE9ELNS1_11target_archE1100ELNS1_3gpuE3ELNS1_3repE0EEENS1_30default_config_static_selectorELNS0_4arch9wavefront6targetE0EEEvT1_
	.p2align	8
	.type	_ZN7rocprim17ROCPRIM_400000_NS6detail17trampoline_kernelINS0_14default_configENS1_27scan_by_key_config_selectorIssEEZZNS1_16scan_by_key_implILNS1_25lookback_scan_determinismE0ELb1ES3_N6thrust23THRUST_200600_302600_NS6detail15normal_iteratorINS9_10device_ptrIsEEEESE_SE_sNS9_4plusIvEENS9_8equal_toIvEEsEE10hipError_tPvRmT2_T3_T4_T5_mT6_T7_P12ihipStream_tbENKUlT_T0_E_clISt17integral_constantIbLb1EESY_IbLb0EEEEDaSU_SV_EUlSU_E_NS1_11comp_targetILNS1_3genE9ELNS1_11target_archE1100ELNS1_3gpuE3ELNS1_3repE0EEENS1_30default_config_static_selectorELNS0_4arch9wavefront6targetE0EEEvT1_,@function
_ZN7rocprim17ROCPRIM_400000_NS6detail17trampoline_kernelINS0_14default_configENS1_27scan_by_key_config_selectorIssEEZZNS1_16scan_by_key_implILNS1_25lookback_scan_determinismE0ELb1ES3_N6thrust23THRUST_200600_302600_NS6detail15normal_iteratorINS9_10device_ptrIsEEEESE_SE_sNS9_4plusIvEENS9_8equal_toIvEEsEE10hipError_tPvRmT2_T3_T4_T5_mT6_T7_P12ihipStream_tbENKUlT_T0_E_clISt17integral_constantIbLb1EESY_IbLb0EEEEDaSU_SV_EUlSU_E_NS1_11comp_targetILNS1_3genE9ELNS1_11target_archE1100ELNS1_3gpuE3ELNS1_3repE0EEENS1_30default_config_static_selectorELNS0_4arch9wavefront6targetE0EEEvT1_: ; @_ZN7rocprim17ROCPRIM_400000_NS6detail17trampoline_kernelINS0_14default_configENS1_27scan_by_key_config_selectorIssEEZZNS1_16scan_by_key_implILNS1_25lookback_scan_determinismE0ELb1ES3_N6thrust23THRUST_200600_302600_NS6detail15normal_iteratorINS9_10device_ptrIsEEEESE_SE_sNS9_4plusIvEENS9_8equal_toIvEEsEE10hipError_tPvRmT2_T3_T4_T5_mT6_T7_P12ihipStream_tbENKUlT_T0_E_clISt17integral_constantIbLb1EESY_IbLb0EEEEDaSU_SV_EUlSU_E_NS1_11comp_targetILNS1_3genE9ELNS1_11target_archE1100ELNS1_3gpuE3ELNS1_3repE0EEENS1_30default_config_static_selectorELNS0_4arch9wavefront6targetE0EEEvT1_
; %bb.0:
	.section	.rodata,"a",@progbits
	.p2align	6, 0x0
	.amdhsa_kernel _ZN7rocprim17ROCPRIM_400000_NS6detail17trampoline_kernelINS0_14default_configENS1_27scan_by_key_config_selectorIssEEZZNS1_16scan_by_key_implILNS1_25lookback_scan_determinismE0ELb1ES3_N6thrust23THRUST_200600_302600_NS6detail15normal_iteratorINS9_10device_ptrIsEEEESE_SE_sNS9_4plusIvEENS9_8equal_toIvEEsEE10hipError_tPvRmT2_T3_T4_T5_mT6_T7_P12ihipStream_tbENKUlT_T0_E_clISt17integral_constantIbLb1EESY_IbLb0EEEEDaSU_SV_EUlSU_E_NS1_11comp_targetILNS1_3genE9ELNS1_11target_archE1100ELNS1_3gpuE3ELNS1_3repE0EEENS1_30default_config_static_selectorELNS0_4arch9wavefront6targetE0EEEvT1_
		.amdhsa_group_segment_fixed_size 0
		.amdhsa_private_segment_fixed_size 0
		.amdhsa_kernarg_size 112
		.amdhsa_user_sgpr_count 2
		.amdhsa_user_sgpr_dispatch_ptr 0
		.amdhsa_user_sgpr_queue_ptr 0
		.amdhsa_user_sgpr_kernarg_segment_ptr 1
		.amdhsa_user_sgpr_dispatch_id 0
		.amdhsa_user_sgpr_kernarg_preload_length 0
		.amdhsa_user_sgpr_kernarg_preload_offset 0
		.amdhsa_user_sgpr_private_segment_size 0
		.amdhsa_wavefront_size32 1
		.amdhsa_uses_dynamic_stack 0
		.amdhsa_enable_private_segment 0
		.amdhsa_system_sgpr_workgroup_id_x 1
		.amdhsa_system_sgpr_workgroup_id_y 0
		.amdhsa_system_sgpr_workgroup_id_z 0
		.amdhsa_system_sgpr_workgroup_info 0
		.amdhsa_system_vgpr_workitem_id 0
		.amdhsa_next_free_vgpr 1
		.amdhsa_next_free_sgpr 1
		.amdhsa_named_barrier_count 0
		.amdhsa_reserve_vcc 0
		.amdhsa_float_round_mode_32 0
		.amdhsa_float_round_mode_16_64 0
		.amdhsa_float_denorm_mode_32 3
		.amdhsa_float_denorm_mode_16_64 3
		.amdhsa_fp16_overflow 0
		.amdhsa_memory_ordered 1
		.amdhsa_forward_progress 1
		.amdhsa_inst_pref_size 0
		.amdhsa_round_robin_scheduling 0
		.amdhsa_exception_fp_ieee_invalid_op 0
		.amdhsa_exception_fp_denorm_src 0
		.amdhsa_exception_fp_ieee_div_zero 0
		.amdhsa_exception_fp_ieee_overflow 0
		.amdhsa_exception_fp_ieee_underflow 0
		.amdhsa_exception_fp_ieee_inexact 0
		.amdhsa_exception_int_div_zero 0
	.end_amdhsa_kernel
	.section	.text._ZN7rocprim17ROCPRIM_400000_NS6detail17trampoline_kernelINS0_14default_configENS1_27scan_by_key_config_selectorIssEEZZNS1_16scan_by_key_implILNS1_25lookback_scan_determinismE0ELb1ES3_N6thrust23THRUST_200600_302600_NS6detail15normal_iteratorINS9_10device_ptrIsEEEESE_SE_sNS9_4plusIvEENS9_8equal_toIvEEsEE10hipError_tPvRmT2_T3_T4_T5_mT6_T7_P12ihipStream_tbENKUlT_T0_E_clISt17integral_constantIbLb1EESY_IbLb0EEEEDaSU_SV_EUlSU_E_NS1_11comp_targetILNS1_3genE9ELNS1_11target_archE1100ELNS1_3gpuE3ELNS1_3repE0EEENS1_30default_config_static_selectorELNS0_4arch9wavefront6targetE0EEEvT1_,"axG",@progbits,_ZN7rocprim17ROCPRIM_400000_NS6detail17trampoline_kernelINS0_14default_configENS1_27scan_by_key_config_selectorIssEEZZNS1_16scan_by_key_implILNS1_25lookback_scan_determinismE0ELb1ES3_N6thrust23THRUST_200600_302600_NS6detail15normal_iteratorINS9_10device_ptrIsEEEESE_SE_sNS9_4plusIvEENS9_8equal_toIvEEsEE10hipError_tPvRmT2_T3_T4_T5_mT6_T7_P12ihipStream_tbENKUlT_T0_E_clISt17integral_constantIbLb1EESY_IbLb0EEEEDaSU_SV_EUlSU_E_NS1_11comp_targetILNS1_3genE9ELNS1_11target_archE1100ELNS1_3gpuE3ELNS1_3repE0EEENS1_30default_config_static_selectorELNS0_4arch9wavefront6targetE0EEEvT1_,comdat
.Lfunc_end594:
	.size	_ZN7rocprim17ROCPRIM_400000_NS6detail17trampoline_kernelINS0_14default_configENS1_27scan_by_key_config_selectorIssEEZZNS1_16scan_by_key_implILNS1_25lookback_scan_determinismE0ELb1ES3_N6thrust23THRUST_200600_302600_NS6detail15normal_iteratorINS9_10device_ptrIsEEEESE_SE_sNS9_4plusIvEENS9_8equal_toIvEEsEE10hipError_tPvRmT2_T3_T4_T5_mT6_T7_P12ihipStream_tbENKUlT_T0_E_clISt17integral_constantIbLb1EESY_IbLb0EEEEDaSU_SV_EUlSU_E_NS1_11comp_targetILNS1_3genE9ELNS1_11target_archE1100ELNS1_3gpuE3ELNS1_3repE0EEENS1_30default_config_static_selectorELNS0_4arch9wavefront6targetE0EEEvT1_, .Lfunc_end594-_ZN7rocprim17ROCPRIM_400000_NS6detail17trampoline_kernelINS0_14default_configENS1_27scan_by_key_config_selectorIssEEZZNS1_16scan_by_key_implILNS1_25lookback_scan_determinismE0ELb1ES3_N6thrust23THRUST_200600_302600_NS6detail15normal_iteratorINS9_10device_ptrIsEEEESE_SE_sNS9_4plusIvEENS9_8equal_toIvEEsEE10hipError_tPvRmT2_T3_T4_T5_mT6_T7_P12ihipStream_tbENKUlT_T0_E_clISt17integral_constantIbLb1EESY_IbLb0EEEEDaSU_SV_EUlSU_E_NS1_11comp_targetILNS1_3genE9ELNS1_11target_archE1100ELNS1_3gpuE3ELNS1_3repE0EEENS1_30default_config_static_selectorELNS0_4arch9wavefront6targetE0EEEvT1_
                                        ; -- End function
	.set _ZN7rocprim17ROCPRIM_400000_NS6detail17trampoline_kernelINS0_14default_configENS1_27scan_by_key_config_selectorIssEEZZNS1_16scan_by_key_implILNS1_25lookback_scan_determinismE0ELb1ES3_N6thrust23THRUST_200600_302600_NS6detail15normal_iteratorINS9_10device_ptrIsEEEESE_SE_sNS9_4plusIvEENS9_8equal_toIvEEsEE10hipError_tPvRmT2_T3_T4_T5_mT6_T7_P12ihipStream_tbENKUlT_T0_E_clISt17integral_constantIbLb1EESY_IbLb0EEEEDaSU_SV_EUlSU_E_NS1_11comp_targetILNS1_3genE9ELNS1_11target_archE1100ELNS1_3gpuE3ELNS1_3repE0EEENS1_30default_config_static_selectorELNS0_4arch9wavefront6targetE0EEEvT1_.num_vgpr, 0
	.set _ZN7rocprim17ROCPRIM_400000_NS6detail17trampoline_kernelINS0_14default_configENS1_27scan_by_key_config_selectorIssEEZZNS1_16scan_by_key_implILNS1_25lookback_scan_determinismE0ELb1ES3_N6thrust23THRUST_200600_302600_NS6detail15normal_iteratorINS9_10device_ptrIsEEEESE_SE_sNS9_4plusIvEENS9_8equal_toIvEEsEE10hipError_tPvRmT2_T3_T4_T5_mT6_T7_P12ihipStream_tbENKUlT_T0_E_clISt17integral_constantIbLb1EESY_IbLb0EEEEDaSU_SV_EUlSU_E_NS1_11comp_targetILNS1_3genE9ELNS1_11target_archE1100ELNS1_3gpuE3ELNS1_3repE0EEENS1_30default_config_static_selectorELNS0_4arch9wavefront6targetE0EEEvT1_.num_agpr, 0
	.set _ZN7rocprim17ROCPRIM_400000_NS6detail17trampoline_kernelINS0_14default_configENS1_27scan_by_key_config_selectorIssEEZZNS1_16scan_by_key_implILNS1_25lookback_scan_determinismE0ELb1ES3_N6thrust23THRUST_200600_302600_NS6detail15normal_iteratorINS9_10device_ptrIsEEEESE_SE_sNS9_4plusIvEENS9_8equal_toIvEEsEE10hipError_tPvRmT2_T3_T4_T5_mT6_T7_P12ihipStream_tbENKUlT_T0_E_clISt17integral_constantIbLb1EESY_IbLb0EEEEDaSU_SV_EUlSU_E_NS1_11comp_targetILNS1_3genE9ELNS1_11target_archE1100ELNS1_3gpuE3ELNS1_3repE0EEENS1_30default_config_static_selectorELNS0_4arch9wavefront6targetE0EEEvT1_.numbered_sgpr, 0
	.set _ZN7rocprim17ROCPRIM_400000_NS6detail17trampoline_kernelINS0_14default_configENS1_27scan_by_key_config_selectorIssEEZZNS1_16scan_by_key_implILNS1_25lookback_scan_determinismE0ELb1ES3_N6thrust23THRUST_200600_302600_NS6detail15normal_iteratorINS9_10device_ptrIsEEEESE_SE_sNS9_4plusIvEENS9_8equal_toIvEEsEE10hipError_tPvRmT2_T3_T4_T5_mT6_T7_P12ihipStream_tbENKUlT_T0_E_clISt17integral_constantIbLb1EESY_IbLb0EEEEDaSU_SV_EUlSU_E_NS1_11comp_targetILNS1_3genE9ELNS1_11target_archE1100ELNS1_3gpuE3ELNS1_3repE0EEENS1_30default_config_static_selectorELNS0_4arch9wavefront6targetE0EEEvT1_.num_named_barrier, 0
	.set _ZN7rocprim17ROCPRIM_400000_NS6detail17trampoline_kernelINS0_14default_configENS1_27scan_by_key_config_selectorIssEEZZNS1_16scan_by_key_implILNS1_25lookback_scan_determinismE0ELb1ES3_N6thrust23THRUST_200600_302600_NS6detail15normal_iteratorINS9_10device_ptrIsEEEESE_SE_sNS9_4plusIvEENS9_8equal_toIvEEsEE10hipError_tPvRmT2_T3_T4_T5_mT6_T7_P12ihipStream_tbENKUlT_T0_E_clISt17integral_constantIbLb1EESY_IbLb0EEEEDaSU_SV_EUlSU_E_NS1_11comp_targetILNS1_3genE9ELNS1_11target_archE1100ELNS1_3gpuE3ELNS1_3repE0EEENS1_30default_config_static_selectorELNS0_4arch9wavefront6targetE0EEEvT1_.private_seg_size, 0
	.set _ZN7rocprim17ROCPRIM_400000_NS6detail17trampoline_kernelINS0_14default_configENS1_27scan_by_key_config_selectorIssEEZZNS1_16scan_by_key_implILNS1_25lookback_scan_determinismE0ELb1ES3_N6thrust23THRUST_200600_302600_NS6detail15normal_iteratorINS9_10device_ptrIsEEEESE_SE_sNS9_4plusIvEENS9_8equal_toIvEEsEE10hipError_tPvRmT2_T3_T4_T5_mT6_T7_P12ihipStream_tbENKUlT_T0_E_clISt17integral_constantIbLb1EESY_IbLb0EEEEDaSU_SV_EUlSU_E_NS1_11comp_targetILNS1_3genE9ELNS1_11target_archE1100ELNS1_3gpuE3ELNS1_3repE0EEENS1_30default_config_static_selectorELNS0_4arch9wavefront6targetE0EEEvT1_.uses_vcc, 0
	.set _ZN7rocprim17ROCPRIM_400000_NS6detail17trampoline_kernelINS0_14default_configENS1_27scan_by_key_config_selectorIssEEZZNS1_16scan_by_key_implILNS1_25lookback_scan_determinismE0ELb1ES3_N6thrust23THRUST_200600_302600_NS6detail15normal_iteratorINS9_10device_ptrIsEEEESE_SE_sNS9_4plusIvEENS9_8equal_toIvEEsEE10hipError_tPvRmT2_T3_T4_T5_mT6_T7_P12ihipStream_tbENKUlT_T0_E_clISt17integral_constantIbLb1EESY_IbLb0EEEEDaSU_SV_EUlSU_E_NS1_11comp_targetILNS1_3genE9ELNS1_11target_archE1100ELNS1_3gpuE3ELNS1_3repE0EEENS1_30default_config_static_selectorELNS0_4arch9wavefront6targetE0EEEvT1_.uses_flat_scratch, 0
	.set _ZN7rocprim17ROCPRIM_400000_NS6detail17trampoline_kernelINS0_14default_configENS1_27scan_by_key_config_selectorIssEEZZNS1_16scan_by_key_implILNS1_25lookback_scan_determinismE0ELb1ES3_N6thrust23THRUST_200600_302600_NS6detail15normal_iteratorINS9_10device_ptrIsEEEESE_SE_sNS9_4plusIvEENS9_8equal_toIvEEsEE10hipError_tPvRmT2_T3_T4_T5_mT6_T7_P12ihipStream_tbENKUlT_T0_E_clISt17integral_constantIbLb1EESY_IbLb0EEEEDaSU_SV_EUlSU_E_NS1_11comp_targetILNS1_3genE9ELNS1_11target_archE1100ELNS1_3gpuE3ELNS1_3repE0EEENS1_30default_config_static_selectorELNS0_4arch9wavefront6targetE0EEEvT1_.has_dyn_sized_stack, 0
	.set _ZN7rocprim17ROCPRIM_400000_NS6detail17trampoline_kernelINS0_14default_configENS1_27scan_by_key_config_selectorIssEEZZNS1_16scan_by_key_implILNS1_25lookback_scan_determinismE0ELb1ES3_N6thrust23THRUST_200600_302600_NS6detail15normal_iteratorINS9_10device_ptrIsEEEESE_SE_sNS9_4plusIvEENS9_8equal_toIvEEsEE10hipError_tPvRmT2_T3_T4_T5_mT6_T7_P12ihipStream_tbENKUlT_T0_E_clISt17integral_constantIbLb1EESY_IbLb0EEEEDaSU_SV_EUlSU_E_NS1_11comp_targetILNS1_3genE9ELNS1_11target_archE1100ELNS1_3gpuE3ELNS1_3repE0EEENS1_30default_config_static_selectorELNS0_4arch9wavefront6targetE0EEEvT1_.has_recursion, 0
	.set _ZN7rocprim17ROCPRIM_400000_NS6detail17trampoline_kernelINS0_14default_configENS1_27scan_by_key_config_selectorIssEEZZNS1_16scan_by_key_implILNS1_25lookback_scan_determinismE0ELb1ES3_N6thrust23THRUST_200600_302600_NS6detail15normal_iteratorINS9_10device_ptrIsEEEESE_SE_sNS9_4plusIvEENS9_8equal_toIvEEsEE10hipError_tPvRmT2_T3_T4_T5_mT6_T7_P12ihipStream_tbENKUlT_T0_E_clISt17integral_constantIbLb1EESY_IbLb0EEEEDaSU_SV_EUlSU_E_NS1_11comp_targetILNS1_3genE9ELNS1_11target_archE1100ELNS1_3gpuE3ELNS1_3repE0EEENS1_30default_config_static_selectorELNS0_4arch9wavefront6targetE0EEEvT1_.has_indirect_call, 0
	.section	.AMDGPU.csdata,"",@progbits
; Kernel info:
; codeLenInByte = 0
; TotalNumSgprs: 0
; NumVgprs: 0
; ScratchSize: 0
; MemoryBound: 0
; FloatMode: 240
; IeeeMode: 1
; LDSByteSize: 0 bytes/workgroup (compile time only)
; SGPRBlocks: 0
; VGPRBlocks: 0
; NumSGPRsForWavesPerEU: 1
; NumVGPRsForWavesPerEU: 1
; NamedBarCnt: 0
; Occupancy: 16
; WaveLimiterHint : 0
; COMPUTE_PGM_RSRC2:SCRATCH_EN: 0
; COMPUTE_PGM_RSRC2:USER_SGPR: 2
; COMPUTE_PGM_RSRC2:TRAP_HANDLER: 0
; COMPUTE_PGM_RSRC2:TGID_X_EN: 1
; COMPUTE_PGM_RSRC2:TGID_Y_EN: 0
; COMPUTE_PGM_RSRC2:TGID_Z_EN: 0
; COMPUTE_PGM_RSRC2:TIDIG_COMP_CNT: 0
	.section	.text._ZN7rocprim17ROCPRIM_400000_NS6detail17trampoline_kernelINS0_14default_configENS1_27scan_by_key_config_selectorIssEEZZNS1_16scan_by_key_implILNS1_25lookback_scan_determinismE0ELb1ES3_N6thrust23THRUST_200600_302600_NS6detail15normal_iteratorINS9_10device_ptrIsEEEESE_SE_sNS9_4plusIvEENS9_8equal_toIvEEsEE10hipError_tPvRmT2_T3_T4_T5_mT6_T7_P12ihipStream_tbENKUlT_T0_E_clISt17integral_constantIbLb1EESY_IbLb0EEEEDaSU_SV_EUlSU_E_NS1_11comp_targetILNS1_3genE8ELNS1_11target_archE1030ELNS1_3gpuE2ELNS1_3repE0EEENS1_30default_config_static_selectorELNS0_4arch9wavefront6targetE0EEEvT1_,"axG",@progbits,_ZN7rocprim17ROCPRIM_400000_NS6detail17trampoline_kernelINS0_14default_configENS1_27scan_by_key_config_selectorIssEEZZNS1_16scan_by_key_implILNS1_25lookback_scan_determinismE0ELb1ES3_N6thrust23THRUST_200600_302600_NS6detail15normal_iteratorINS9_10device_ptrIsEEEESE_SE_sNS9_4plusIvEENS9_8equal_toIvEEsEE10hipError_tPvRmT2_T3_T4_T5_mT6_T7_P12ihipStream_tbENKUlT_T0_E_clISt17integral_constantIbLb1EESY_IbLb0EEEEDaSU_SV_EUlSU_E_NS1_11comp_targetILNS1_3genE8ELNS1_11target_archE1030ELNS1_3gpuE2ELNS1_3repE0EEENS1_30default_config_static_selectorELNS0_4arch9wavefront6targetE0EEEvT1_,comdat
	.protected	_ZN7rocprim17ROCPRIM_400000_NS6detail17trampoline_kernelINS0_14default_configENS1_27scan_by_key_config_selectorIssEEZZNS1_16scan_by_key_implILNS1_25lookback_scan_determinismE0ELb1ES3_N6thrust23THRUST_200600_302600_NS6detail15normal_iteratorINS9_10device_ptrIsEEEESE_SE_sNS9_4plusIvEENS9_8equal_toIvEEsEE10hipError_tPvRmT2_T3_T4_T5_mT6_T7_P12ihipStream_tbENKUlT_T0_E_clISt17integral_constantIbLb1EESY_IbLb0EEEEDaSU_SV_EUlSU_E_NS1_11comp_targetILNS1_3genE8ELNS1_11target_archE1030ELNS1_3gpuE2ELNS1_3repE0EEENS1_30default_config_static_selectorELNS0_4arch9wavefront6targetE0EEEvT1_ ; -- Begin function _ZN7rocprim17ROCPRIM_400000_NS6detail17trampoline_kernelINS0_14default_configENS1_27scan_by_key_config_selectorIssEEZZNS1_16scan_by_key_implILNS1_25lookback_scan_determinismE0ELb1ES3_N6thrust23THRUST_200600_302600_NS6detail15normal_iteratorINS9_10device_ptrIsEEEESE_SE_sNS9_4plusIvEENS9_8equal_toIvEEsEE10hipError_tPvRmT2_T3_T4_T5_mT6_T7_P12ihipStream_tbENKUlT_T0_E_clISt17integral_constantIbLb1EESY_IbLb0EEEEDaSU_SV_EUlSU_E_NS1_11comp_targetILNS1_3genE8ELNS1_11target_archE1030ELNS1_3gpuE2ELNS1_3repE0EEENS1_30default_config_static_selectorELNS0_4arch9wavefront6targetE0EEEvT1_
	.globl	_ZN7rocprim17ROCPRIM_400000_NS6detail17trampoline_kernelINS0_14default_configENS1_27scan_by_key_config_selectorIssEEZZNS1_16scan_by_key_implILNS1_25lookback_scan_determinismE0ELb1ES3_N6thrust23THRUST_200600_302600_NS6detail15normal_iteratorINS9_10device_ptrIsEEEESE_SE_sNS9_4plusIvEENS9_8equal_toIvEEsEE10hipError_tPvRmT2_T3_T4_T5_mT6_T7_P12ihipStream_tbENKUlT_T0_E_clISt17integral_constantIbLb1EESY_IbLb0EEEEDaSU_SV_EUlSU_E_NS1_11comp_targetILNS1_3genE8ELNS1_11target_archE1030ELNS1_3gpuE2ELNS1_3repE0EEENS1_30default_config_static_selectorELNS0_4arch9wavefront6targetE0EEEvT1_
	.p2align	8
	.type	_ZN7rocprim17ROCPRIM_400000_NS6detail17trampoline_kernelINS0_14default_configENS1_27scan_by_key_config_selectorIssEEZZNS1_16scan_by_key_implILNS1_25lookback_scan_determinismE0ELb1ES3_N6thrust23THRUST_200600_302600_NS6detail15normal_iteratorINS9_10device_ptrIsEEEESE_SE_sNS9_4plusIvEENS9_8equal_toIvEEsEE10hipError_tPvRmT2_T3_T4_T5_mT6_T7_P12ihipStream_tbENKUlT_T0_E_clISt17integral_constantIbLb1EESY_IbLb0EEEEDaSU_SV_EUlSU_E_NS1_11comp_targetILNS1_3genE8ELNS1_11target_archE1030ELNS1_3gpuE2ELNS1_3repE0EEENS1_30default_config_static_selectorELNS0_4arch9wavefront6targetE0EEEvT1_,@function
_ZN7rocprim17ROCPRIM_400000_NS6detail17trampoline_kernelINS0_14default_configENS1_27scan_by_key_config_selectorIssEEZZNS1_16scan_by_key_implILNS1_25lookback_scan_determinismE0ELb1ES3_N6thrust23THRUST_200600_302600_NS6detail15normal_iteratorINS9_10device_ptrIsEEEESE_SE_sNS9_4plusIvEENS9_8equal_toIvEEsEE10hipError_tPvRmT2_T3_T4_T5_mT6_T7_P12ihipStream_tbENKUlT_T0_E_clISt17integral_constantIbLb1EESY_IbLb0EEEEDaSU_SV_EUlSU_E_NS1_11comp_targetILNS1_3genE8ELNS1_11target_archE1030ELNS1_3gpuE2ELNS1_3repE0EEENS1_30default_config_static_selectorELNS0_4arch9wavefront6targetE0EEEvT1_: ; @_ZN7rocprim17ROCPRIM_400000_NS6detail17trampoline_kernelINS0_14default_configENS1_27scan_by_key_config_selectorIssEEZZNS1_16scan_by_key_implILNS1_25lookback_scan_determinismE0ELb1ES3_N6thrust23THRUST_200600_302600_NS6detail15normal_iteratorINS9_10device_ptrIsEEEESE_SE_sNS9_4plusIvEENS9_8equal_toIvEEsEE10hipError_tPvRmT2_T3_T4_T5_mT6_T7_P12ihipStream_tbENKUlT_T0_E_clISt17integral_constantIbLb1EESY_IbLb0EEEEDaSU_SV_EUlSU_E_NS1_11comp_targetILNS1_3genE8ELNS1_11target_archE1030ELNS1_3gpuE2ELNS1_3repE0EEENS1_30default_config_static_selectorELNS0_4arch9wavefront6targetE0EEEvT1_
; %bb.0:
	.section	.rodata,"a",@progbits
	.p2align	6, 0x0
	.amdhsa_kernel _ZN7rocprim17ROCPRIM_400000_NS6detail17trampoline_kernelINS0_14default_configENS1_27scan_by_key_config_selectorIssEEZZNS1_16scan_by_key_implILNS1_25lookback_scan_determinismE0ELb1ES3_N6thrust23THRUST_200600_302600_NS6detail15normal_iteratorINS9_10device_ptrIsEEEESE_SE_sNS9_4plusIvEENS9_8equal_toIvEEsEE10hipError_tPvRmT2_T3_T4_T5_mT6_T7_P12ihipStream_tbENKUlT_T0_E_clISt17integral_constantIbLb1EESY_IbLb0EEEEDaSU_SV_EUlSU_E_NS1_11comp_targetILNS1_3genE8ELNS1_11target_archE1030ELNS1_3gpuE2ELNS1_3repE0EEENS1_30default_config_static_selectorELNS0_4arch9wavefront6targetE0EEEvT1_
		.amdhsa_group_segment_fixed_size 0
		.amdhsa_private_segment_fixed_size 0
		.amdhsa_kernarg_size 112
		.amdhsa_user_sgpr_count 2
		.amdhsa_user_sgpr_dispatch_ptr 0
		.amdhsa_user_sgpr_queue_ptr 0
		.amdhsa_user_sgpr_kernarg_segment_ptr 1
		.amdhsa_user_sgpr_dispatch_id 0
		.amdhsa_user_sgpr_kernarg_preload_length 0
		.amdhsa_user_sgpr_kernarg_preload_offset 0
		.amdhsa_user_sgpr_private_segment_size 0
		.amdhsa_wavefront_size32 1
		.amdhsa_uses_dynamic_stack 0
		.amdhsa_enable_private_segment 0
		.amdhsa_system_sgpr_workgroup_id_x 1
		.amdhsa_system_sgpr_workgroup_id_y 0
		.amdhsa_system_sgpr_workgroup_id_z 0
		.amdhsa_system_sgpr_workgroup_info 0
		.amdhsa_system_vgpr_workitem_id 0
		.amdhsa_next_free_vgpr 1
		.amdhsa_next_free_sgpr 1
		.amdhsa_named_barrier_count 0
		.amdhsa_reserve_vcc 0
		.amdhsa_float_round_mode_32 0
		.amdhsa_float_round_mode_16_64 0
		.amdhsa_float_denorm_mode_32 3
		.amdhsa_float_denorm_mode_16_64 3
		.amdhsa_fp16_overflow 0
		.amdhsa_memory_ordered 1
		.amdhsa_forward_progress 1
		.amdhsa_inst_pref_size 0
		.amdhsa_round_robin_scheduling 0
		.amdhsa_exception_fp_ieee_invalid_op 0
		.amdhsa_exception_fp_denorm_src 0
		.amdhsa_exception_fp_ieee_div_zero 0
		.amdhsa_exception_fp_ieee_overflow 0
		.amdhsa_exception_fp_ieee_underflow 0
		.amdhsa_exception_fp_ieee_inexact 0
		.amdhsa_exception_int_div_zero 0
	.end_amdhsa_kernel
	.section	.text._ZN7rocprim17ROCPRIM_400000_NS6detail17trampoline_kernelINS0_14default_configENS1_27scan_by_key_config_selectorIssEEZZNS1_16scan_by_key_implILNS1_25lookback_scan_determinismE0ELb1ES3_N6thrust23THRUST_200600_302600_NS6detail15normal_iteratorINS9_10device_ptrIsEEEESE_SE_sNS9_4plusIvEENS9_8equal_toIvEEsEE10hipError_tPvRmT2_T3_T4_T5_mT6_T7_P12ihipStream_tbENKUlT_T0_E_clISt17integral_constantIbLb1EESY_IbLb0EEEEDaSU_SV_EUlSU_E_NS1_11comp_targetILNS1_3genE8ELNS1_11target_archE1030ELNS1_3gpuE2ELNS1_3repE0EEENS1_30default_config_static_selectorELNS0_4arch9wavefront6targetE0EEEvT1_,"axG",@progbits,_ZN7rocprim17ROCPRIM_400000_NS6detail17trampoline_kernelINS0_14default_configENS1_27scan_by_key_config_selectorIssEEZZNS1_16scan_by_key_implILNS1_25lookback_scan_determinismE0ELb1ES3_N6thrust23THRUST_200600_302600_NS6detail15normal_iteratorINS9_10device_ptrIsEEEESE_SE_sNS9_4plusIvEENS9_8equal_toIvEEsEE10hipError_tPvRmT2_T3_T4_T5_mT6_T7_P12ihipStream_tbENKUlT_T0_E_clISt17integral_constantIbLb1EESY_IbLb0EEEEDaSU_SV_EUlSU_E_NS1_11comp_targetILNS1_3genE8ELNS1_11target_archE1030ELNS1_3gpuE2ELNS1_3repE0EEENS1_30default_config_static_selectorELNS0_4arch9wavefront6targetE0EEEvT1_,comdat
.Lfunc_end595:
	.size	_ZN7rocprim17ROCPRIM_400000_NS6detail17trampoline_kernelINS0_14default_configENS1_27scan_by_key_config_selectorIssEEZZNS1_16scan_by_key_implILNS1_25lookback_scan_determinismE0ELb1ES3_N6thrust23THRUST_200600_302600_NS6detail15normal_iteratorINS9_10device_ptrIsEEEESE_SE_sNS9_4plusIvEENS9_8equal_toIvEEsEE10hipError_tPvRmT2_T3_T4_T5_mT6_T7_P12ihipStream_tbENKUlT_T0_E_clISt17integral_constantIbLb1EESY_IbLb0EEEEDaSU_SV_EUlSU_E_NS1_11comp_targetILNS1_3genE8ELNS1_11target_archE1030ELNS1_3gpuE2ELNS1_3repE0EEENS1_30default_config_static_selectorELNS0_4arch9wavefront6targetE0EEEvT1_, .Lfunc_end595-_ZN7rocprim17ROCPRIM_400000_NS6detail17trampoline_kernelINS0_14default_configENS1_27scan_by_key_config_selectorIssEEZZNS1_16scan_by_key_implILNS1_25lookback_scan_determinismE0ELb1ES3_N6thrust23THRUST_200600_302600_NS6detail15normal_iteratorINS9_10device_ptrIsEEEESE_SE_sNS9_4plusIvEENS9_8equal_toIvEEsEE10hipError_tPvRmT2_T3_T4_T5_mT6_T7_P12ihipStream_tbENKUlT_T0_E_clISt17integral_constantIbLb1EESY_IbLb0EEEEDaSU_SV_EUlSU_E_NS1_11comp_targetILNS1_3genE8ELNS1_11target_archE1030ELNS1_3gpuE2ELNS1_3repE0EEENS1_30default_config_static_selectorELNS0_4arch9wavefront6targetE0EEEvT1_
                                        ; -- End function
	.set _ZN7rocprim17ROCPRIM_400000_NS6detail17trampoline_kernelINS0_14default_configENS1_27scan_by_key_config_selectorIssEEZZNS1_16scan_by_key_implILNS1_25lookback_scan_determinismE0ELb1ES3_N6thrust23THRUST_200600_302600_NS6detail15normal_iteratorINS9_10device_ptrIsEEEESE_SE_sNS9_4plusIvEENS9_8equal_toIvEEsEE10hipError_tPvRmT2_T3_T4_T5_mT6_T7_P12ihipStream_tbENKUlT_T0_E_clISt17integral_constantIbLb1EESY_IbLb0EEEEDaSU_SV_EUlSU_E_NS1_11comp_targetILNS1_3genE8ELNS1_11target_archE1030ELNS1_3gpuE2ELNS1_3repE0EEENS1_30default_config_static_selectorELNS0_4arch9wavefront6targetE0EEEvT1_.num_vgpr, 0
	.set _ZN7rocprim17ROCPRIM_400000_NS6detail17trampoline_kernelINS0_14default_configENS1_27scan_by_key_config_selectorIssEEZZNS1_16scan_by_key_implILNS1_25lookback_scan_determinismE0ELb1ES3_N6thrust23THRUST_200600_302600_NS6detail15normal_iteratorINS9_10device_ptrIsEEEESE_SE_sNS9_4plusIvEENS9_8equal_toIvEEsEE10hipError_tPvRmT2_T3_T4_T5_mT6_T7_P12ihipStream_tbENKUlT_T0_E_clISt17integral_constantIbLb1EESY_IbLb0EEEEDaSU_SV_EUlSU_E_NS1_11comp_targetILNS1_3genE8ELNS1_11target_archE1030ELNS1_3gpuE2ELNS1_3repE0EEENS1_30default_config_static_selectorELNS0_4arch9wavefront6targetE0EEEvT1_.num_agpr, 0
	.set _ZN7rocprim17ROCPRIM_400000_NS6detail17trampoline_kernelINS0_14default_configENS1_27scan_by_key_config_selectorIssEEZZNS1_16scan_by_key_implILNS1_25lookback_scan_determinismE0ELb1ES3_N6thrust23THRUST_200600_302600_NS6detail15normal_iteratorINS9_10device_ptrIsEEEESE_SE_sNS9_4plusIvEENS9_8equal_toIvEEsEE10hipError_tPvRmT2_T3_T4_T5_mT6_T7_P12ihipStream_tbENKUlT_T0_E_clISt17integral_constantIbLb1EESY_IbLb0EEEEDaSU_SV_EUlSU_E_NS1_11comp_targetILNS1_3genE8ELNS1_11target_archE1030ELNS1_3gpuE2ELNS1_3repE0EEENS1_30default_config_static_selectorELNS0_4arch9wavefront6targetE0EEEvT1_.numbered_sgpr, 0
	.set _ZN7rocprim17ROCPRIM_400000_NS6detail17trampoline_kernelINS0_14default_configENS1_27scan_by_key_config_selectorIssEEZZNS1_16scan_by_key_implILNS1_25lookback_scan_determinismE0ELb1ES3_N6thrust23THRUST_200600_302600_NS6detail15normal_iteratorINS9_10device_ptrIsEEEESE_SE_sNS9_4plusIvEENS9_8equal_toIvEEsEE10hipError_tPvRmT2_T3_T4_T5_mT6_T7_P12ihipStream_tbENKUlT_T0_E_clISt17integral_constantIbLb1EESY_IbLb0EEEEDaSU_SV_EUlSU_E_NS1_11comp_targetILNS1_3genE8ELNS1_11target_archE1030ELNS1_3gpuE2ELNS1_3repE0EEENS1_30default_config_static_selectorELNS0_4arch9wavefront6targetE0EEEvT1_.num_named_barrier, 0
	.set _ZN7rocprim17ROCPRIM_400000_NS6detail17trampoline_kernelINS0_14default_configENS1_27scan_by_key_config_selectorIssEEZZNS1_16scan_by_key_implILNS1_25lookback_scan_determinismE0ELb1ES3_N6thrust23THRUST_200600_302600_NS6detail15normal_iteratorINS9_10device_ptrIsEEEESE_SE_sNS9_4plusIvEENS9_8equal_toIvEEsEE10hipError_tPvRmT2_T3_T4_T5_mT6_T7_P12ihipStream_tbENKUlT_T0_E_clISt17integral_constantIbLb1EESY_IbLb0EEEEDaSU_SV_EUlSU_E_NS1_11comp_targetILNS1_3genE8ELNS1_11target_archE1030ELNS1_3gpuE2ELNS1_3repE0EEENS1_30default_config_static_selectorELNS0_4arch9wavefront6targetE0EEEvT1_.private_seg_size, 0
	.set _ZN7rocprim17ROCPRIM_400000_NS6detail17trampoline_kernelINS0_14default_configENS1_27scan_by_key_config_selectorIssEEZZNS1_16scan_by_key_implILNS1_25lookback_scan_determinismE0ELb1ES3_N6thrust23THRUST_200600_302600_NS6detail15normal_iteratorINS9_10device_ptrIsEEEESE_SE_sNS9_4plusIvEENS9_8equal_toIvEEsEE10hipError_tPvRmT2_T3_T4_T5_mT6_T7_P12ihipStream_tbENKUlT_T0_E_clISt17integral_constantIbLb1EESY_IbLb0EEEEDaSU_SV_EUlSU_E_NS1_11comp_targetILNS1_3genE8ELNS1_11target_archE1030ELNS1_3gpuE2ELNS1_3repE0EEENS1_30default_config_static_selectorELNS0_4arch9wavefront6targetE0EEEvT1_.uses_vcc, 0
	.set _ZN7rocprim17ROCPRIM_400000_NS6detail17trampoline_kernelINS0_14default_configENS1_27scan_by_key_config_selectorIssEEZZNS1_16scan_by_key_implILNS1_25lookback_scan_determinismE0ELb1ES3_N6thrust23THRUST_200600_302600_NS6detail15normal_iteratorINS9_10device_ptrIsEEEESE_SE_sNS9_4plusIvEENS9_8equal_toIvEEsEE10hipError_tPvRmT2_T3_T4_T5_mT6_T7_P12ihipStream_tbENKUlT_T0_E_clISt17integral_constantIbLb1EESY_IbLb0EEEEDaSU_SV_EUlSU_E_NS1_11comp_targetILNS1_3genE8ELNS1_11target_archE1030ELNS1_3gpuE2ELNS1_3repE0EEENS1_30default_config_static_selectorELNS0_4arch9wavefront6targetE0EEEvT1_.uses_flat_scratch, 0
	.set _ZN7rocprim17ROCPRIM_400000_NS6detail17trampoline_kernelINS0_14default_configENS1_27scan_by_key_config_selectorIssEEZZNS1_16scan_by_key_implILNS1_25lookback_scan_determinismE0ELb1ES3_N6thrust23THRUST_200600_302600_NS6detail15normal_iteratorINS9_10device_ptrIsEEEESE_SE_sNS9_4plusIvEENS9_8equal_toIvEEsEE10hipError_tPvRmT2_T3_T4_T5_mT6_T7_P12ihipStream_tbENKUlT_T0_E_clISt17integral_constantIbLb1EESY_IbLb0EEEEDaSU_SV_EUlSU_E_NS1_11comp_targetILNS1_3genE8ELNS1_11target_archE1030ELNS1_3gpuE2ELNS1_3repE0EEENS1_30default_config_static_selectorELNS0_4arch9wavefront6targetE0EEEvT1_.has_dyn_sized_stack, 0
	.set _ZN7rocprim17ROCPRIM_400000_NS6detail17trampoline_kernelINS0_14default_configENS1_27scan_by_key_config_selectorIssEEZZNS1_16scan_by_key_implILNS1_25lookback_scan_determinismE0ELb1ES3_N6thrust23THRUST_200600_302600_NS6detail15normal_iteratorINS9_10device_ptrIsEEEESE_SE_sNS9_4plusIvEENS9_8equal_toIvEEsEE10hipError_tPvRmT2_T3_T4_T5_mT6_T7_P12ihipStream_tbENKUlT_T0_E_clISt17integral_constantIbLb1EESY_IbLb0EEEEDaSU_SV_EUlSU_E_NS1_11comp_targetILNS1_3genE8ELNS1_11target_archE1030ELNS1_3gpuE2ELNS1_3repE0EEENS1_30default_config_static_selectorELNS0_4arch9wavefront6targetE0EEEvT1_.has_recursion, 0
	.set _ZN7rocprim17ROCPRIM_400000_NS6detail17trampoline_kernelINS0_14default_configENS1_27scan_by_key_config_selectorIssEEZZNS1_16scan_by_key_implILNS1_25lookback_scan_determinismE0ELb1ES3_N6thrust23THRUST_200600_302600_NS6detail15normal_iteratorINS9_10device_ptrIsEEEESE_SE_sNS9_4plusIvEENS9_8equal_toIvEEsEE10hipError_tPvRmT2_T3_T4_T5_mT6_T7_P12ihipStream_tbENKUlT_T0_E_clISt17integral_constantIbLb1EESY_IbLb0EEEEDaSU_SV_EUlSU_E_NS1_11comp_targetILNS1_3genE8ELNS1_11target_archE1030ELNS1_3gpuE2ELNS1_3repE0EEENS1_30default_config_static_selectorELNS0_4arch9wavefront6targetE0EEEvT1_.has_indirect_call, 0
	.section	.AMDGPU.csdata,"",@progbits
; Kernel info:
; codeLenInByte = 0
; TotalNumSgprs: 0
; NumVgprs: 0
; ScratchSize: 0
; MemoryBound: 0
; FloatMode: 240
; IeeeMode: 1
; LDSByteSize: 0 bytes/workgroup (compile time only)
; SGPRBlocks: 0
; VGPRBlocks: 0
; NumSGPRsForWavesPerEU: 1
; NumVGPRsForWavesPerEU: 1
; NamedBarCnt: 0
; Occupancy: 16
; WaveLimiterHint : 0
; COMPUTE_PGM_RSRC2:SCRATCH_EN: 0
; COMPUTE_PGM_RSRC2:USER_SGPR: 2
; COMPUTE_PGM_RSRC2:TRAP_HANDLER: 0
; COMPUTE_PGM_RSRC2:TGID_X_EN: 1
; COMPUTE_PGM_RSRC2:TGID_Y_EN: 0
; COMPUTE_PGM_RSRC2:TGID_Z_EN: 0
; COMPUTE_PGM_RSRC2:TIDIG_COMP_CNT: 0
	.section	.text._ZN7rocprim17ROCPRIM_400000_NS6detail17trampoline_kernelINS0_14default_configENS1_27scan_by_key_config_selectorIssEEZZNS1_16scan_by_key_implILNS1_25lookback_scan_determinismE0ELb1ES3_N6thrust23THRUST_200600_302600_NS6detail15normal_iteratorINS9_10device_ptrIsEEEESE_SE_sNS9_4plusIvEENS9_8equal_toIvEEsEE10hipError_tPvRmT2_T3_T4_T5_mT6_T7_P12ihipStream_tbENKUlT_T0_E_clISt17integral_constantIbLb0EESY_IbLb1EEEEDaSU_SV_EUlSU_E_NS1_11comp_targetILNS1_3genE0ELNS1_11target_archE4294967295ELNS1_3gpuE0ELNS1_3repE0EEENS1_30default_config_static_selectorELNS0_4arch9wavefront6targetE0EEEvT1_,"axG",@progbits,_ZN7rocprim17ROCPRIM_400000_NS6detail17trampoline_kernelINS0_14default_configENS1_27scan_by_key_config_selectorIssEEZZNS1_16scan_by_key_implILNS1_25lookback_scan_determinismE0ELb1ES3_N6thrust23THRUST_200600_302600_NS6detail15normal_iteratorINS9_10device_ptrIsEEEESE_SE_sNS9_4plusIvEENS9_8equal_toIvEEsEE10hipError_tPvRmT2_T3_T4_T5_mT6_T7_P12ihipStream_tbENKUlT_T0_E_clISt17integral_constantIbLb0EESY_IbLb1EEEEDaSU_SV_EUlSU_E_NS1_11comp_targetILNS1_3genE0ELNS1_11target_archE4294967295ELNS1_3gpuE0ELNS1_3repE0EEENS1_30default_config_static_selectorELNS0_4arch9wavefront6targetE0EEEvT1_,comdat
	.protected	_ZN7rocprim17ROCPRIM_400000_NS6detail17trampoline_kernelINS0_14default_configENS1_27scan_by_key_config_selectorIssEEZZNS1_16scan_by_key_implILNS1_25lookback_scan_determinismE0ELb1ES3_N6thrust23THRUST_200600_302600_NS6detail15normal_iteratorINS9_10device_ptrIsEEEESE_SE_sNS9_4plusIvEENS9_8equal_toIvEEsEE10hipError_tPvRmT2_T3_T4_T5_mT6_T7_P12ihipStream_tbENKUlT_T0_E_clISt17integral_constantIbLb0EESY_IbLb1EEEEDaSU_SV_EUlSU_E_NS1_11comp_targetILNS1_3genE0ELNS1_11target_archE4294967295ELNS1_3gpuE0ELNS1_3repE0EEENS1_30default_config_static_selectorELNS0_4arch9wavefront6targetE0EEEvT1_ ; -- Begin function _ZN7rocprim17ROCPRIM_400000_NS6detail17trampoline_kernelINS0_14default_configENS1_27scan_by_key_config_selectorIssEEZZNS1_16scan_by_key_implILNS1_25lookback_scan_determinismE0ELb1ES3_N6thrust23THRUST_200600_302600_NS6detail15normal_iteratorINS9_10device_ptrIsEEEESE_SE_sNS9_4plusIvEENS9_8equal_toIvEEsEE10hipError_tPvRmT2_T3_T4_T5_mT6_T7_P12ihipStream_tbENKUlT_T0_E_clISt17integral_constantIbLb0EESY_IbLb1EEEEDaSU_SV_EUlSU_E_NS1_11comp_targetILNS1_3genE0ELNS1_11target_archE4294967295ELNS1_3gpuE0ELNS1_3repE0EEENS1_30default_config_static_selectorELNS0_4arch9wavefront6targetE0EEEvT1_
	.globl	_ZN7rocprim17ROCPRIM_400000_NS6detail17trampoline_kernelINS0_14default_configENS1_27scan_by_key_config_selectorIssEEZZNS1_16scan_by_key_implILNS1_25lookback_scan_determinismE0ELb1ES3_N6thrust23THRUST_200600_302600_NS6detail15normal_iteratorINS9_10device_ptrIsEEEESE_SE_sNS9_4plusIvEENS9_8equal_toIvEEsEE10hipError_tPvRmT2_T3_T4_T5_mT6_T7_P12ihipStream_tbENKUlT_T0_E_clISt17integral_constantIbLb0EESY_IbLb1EEEEDaSU_SV_EUlSU_E_NS1_11comp_targetILNS1_3genE0ELNS1_11target_archE4294967295ELNS1_3gpuE0ELNS1_3repE0EEENS1_30default_config_static_selectorELNS0_4arch9wavefront6targetE0EEEvT1_
	.p2align	8
	.type	_ZN7rocprim17ROCPRIM_400000_NS6detail17trampoline_kernelINS0_14default_configENS1_27scan_by_key_config_selectorIssEEZZNS1_16scan_by_key_implILNS1_25lookback_scan_determinismE0ELb1ES3_N6thrust23THRUST_200600_302600_NS6detail15normal_iteratorINS9_10device_ptrIsEEEESE_SE_sNS9_4plusIvEENS9_8equal_toIvEEsEE10hipError_tPvRmT2_T3_T4_T5_mT6_T7_P12ihipStream_tbENKUlT_T0_E_clISt17integral_constantIbLb0EESY_IbLb1EEEEDaSU_SV_EUlSU_E_NS1_11comp_targetILNS1_3genE0ELNS1_11target_archE4294967295ELNS1_3gpuE0ELNS1_3repE0EEENS1_30default_config_static_selectorELNS0_4arch9wavefront6targetE0EEEvT1_,@function
_ZN7rocprim17ROCPRIM_400000_NS6detail17trampoline_kernelINS0_14default_configENS1_27scan_by_key_config_selectorIssEEZZNS1_16scan_by_key_implILNS1_25lookback_scan_determinismE0ELb1ES3_N6thrust23THRUST_200600_302600_NS6detail15normal_iteratorINS9_10device_ptrIsEEEESE_SE_sNS9_4plusIvEENS9_8equal_toIvEEsEE10hipError_tPvRmT2_T3_T4_T5_mT6_T7_P12ihipStream_tbENKUlT_T0_E_clISt17integral_constantIbLb0EESY_IbLb1EEEEDaSU_SV_EUlSU_E_NS1_11comp_targetILNS1_3genE0ELNS1_11target_archE4294967295ELNS1_3gpuE0ELNS1_3repE0EEENS1_30default_config_static_selectorELNS0_4arch9wavefront6targetE0EEEvT1_: ; @_ZN7rocprim17ROCPRIM_400000_NS6detail17trampoline_kernelINS0_14default_configENS1_27scan_by_key_config_selectorIssEEZZNS1_16scan_by_key_implILNS1_25lookback_scan_determinismE0ELb1ES3_N6thrust23THRUST_200600_302600_NS6detail15normal_iteratorINS9_10device_ptrIsEEEESE_SE_sNS9_4plusIvEENS9_8equal_toIvEEsEE10hipError_tPvRmT2_T3_T4_T5_mT6_T7_P12ihipStream_tbENKUlT_T0_E_clISt17integral_constantIbLb0EESY_IbLb1EEEEDaSU_SV_EUlSU_E_NS1_11comp_targetILNS1_3genE0ELNS1_11target_archE4294967295ELNS1_3gpuE0ELNS1_3repE0EEENS1_30default_config_static_selectorELNS0_4arch9wavefront6targetE0EEEvT1_
; %bb.0:
	s_clause 0x2
	s_load_b32 s33, s[0:1], 0x20
	s_load_b128 s[28:31], s[0:1], 0x28
	s_load_b64 s[40:41], s[0:1], 0x38
	v_cmp_ne_u32_e64 s3, 0, v0
	v_cmp_eq_u32_e64 s2, 0, v0
	s_and_saveexec_b32 s4, s2
	s_cbranch_execz .LBB596_4
; %bb.1:
	s_mov_b32 s6, exec_lo
	s_mov_b32 s5, exec_lo
	v_mbcnt_lo_u32_b32 v1, s6, 0
                                        ; implicit-def: $vgpr2
	s_delay_alu instid0(VALU_DEP_1)
	v_cmpx_eq_u32_e32 0, v1
	s_cbranch_execz .LBB596_3
; %bb.2:
	s_load_b64 s[8:9], s[0:1], 0x68
	s_bcnt1_i32_b32 s6, s6
	s_delay_alu instid0(SALU_CYCLE_1)
	v_dual_mov_b32 v2, 0 :: v_dual_mov_b32 v3, s6
	s_wait_xcnt 0x0
	s_wait_kmcnt 0x0
	global_atomic_add_u32 v2, v2, v3, s[8:9] th:TH_ATOMIC_RETURN scope:SCOPE_DEV
.LBB596_3:
	s_wait_xcnt 0x0
	s_or_b32 exec_lo, exec_lo, s5
	s_wait_loadcnt 0x0
	v_readfirstlane_b32 s5, v2
	s_delay_alu instid0(VALU_DEP_1)
	v_dual_mov_b32 v2, 0 :: v_dual_add_nc_u32 v1, s5, v1
	ds_store_b32 v2, v1
.LBB596_4:
	s_or_b32 exec_lo, exec_lo, s4
	v_mov_b32_e32 v19, 0
	s_clause 0x2
	s_load_b256 s[20:27], s[0:1], 0x0
	s_load_b32 s4, s[0:1], 0x40
	s_load_b128 s[36:39], s[0:1], 0x48
	s_wait_dscnt 0x0
	s_barrier_signal -1
	s_barrier_wait -1
	ds_load_b32 v18, v19
	s_mov_b32 s5, 0
	s_wait_dscnt 0x0
	s_barrier_signal -1
	s_barrier_wait -1
	s_barrier_signal -1
	s_barrier_wait -1
	s_wait_kmcnt 0x0
	s_lshl_b64 s[34:35], s[22:23], 1
	s_mul_u64 s[0:1], s[40:41], s[4:5]
	s_add_nc_u64 s[10:11], s[36:37], -1
	s_add_nc_u64 s[6:7], s[20:21], s[34:35]
	s_add_nc_u64 s[8:9], s[24:25], s[34:35]
	s_mul_i32 s23, s10, 0xffffec00
	v_add_nc_u64_e32 v[2:3], s[0:1], v[18:19]
	v_readfirstlane_b32 s1, v18
	s_mul_i32 s4, s1, 0x1400
	v_cmp_le_u64_e64 s0, s[10:11], v[2:3]
	s_lshl_b64 s[24:25], s[4:5], 1
	s_delay_alu instid0(SALU_CYCLE_1)
	s_add_nc_u64 s[42:43], s[6:7], s[24:25]
	s_add_nc_u64 s[36:37], s[8:9], s[24:25]
	s_and_b32 vcc_lo, exec_lo, s0
	s_cbranch_vccz .LBB596_110
; %bb.5:
	flat_load_u16 v2, v19, s[42:43]
	s_add_co_i32 s31, s23, s30
	s_delay_alu instid0(SALU_CYCLE_1)
	v_cmp_gt_u32_e32 vcc_lo, s31, v0
	s_wait_loadcnt_dscnt 0x0
	v_mov_b32_e32 v3, v2
	s_and_saveexec_b32 s1, vcc_lo
	s_cbranch_execz .LBB596_7
; %bb.6:
	flat_load_u16 v3, v0, s[42:43] scale_offset
.LBB596_7:
	s_wait_xcnt 0x0
	s_or_b32 exec_lo, exec_lo, s1
	v_or_b32_e32 v1, 0x100, v0
	v_mov_b32_e32 v4, v2
	s_delay_alu instid0(VALU_DEP_2)
	v_cmp_gt_u32_e64 s1, s31, v1
	s_and_saveexec_b32 s4, s1
	s_cbranch_execz .LBB596_9
; %bb.8:
	flat_load_u16 v4, v0, s[42:43] offset:512 scale_offset
.LBB596_9:
	s_wait_xcnt 0x0
	s_or_b32 exec_lo, exec_lo, s4
	v_or_b32_e32 v1, 0x200, v0
	v_mov_b32_e32 v5, v2
	s_delay_alu instid0(VALU_DEP_2)
	v_cmp_gt_u32_e64 s4, s31, v1
	s_and_saveexec_b32 s5, s4
	s_cbranch_execz .LBB596_11
; %bb.10:
	flat_load_u16 v5, v0, s[42:43] offset:1024 scale_offset
.LBB596_11:
	;; [unrolled: 11-line block ×18, first 2 shown]
	s_wait_xcnt 0x0
	s_or_b32 exec_lo, exec_lo, s21
	v_or_b32_e32 v1, 0x1300, v0
	s_delay_alu instid0(VALU_DEP_1) | instskip(SKIP_2) | instid1(SALU_CYCLE_1)
	v_cmp_gt_u32_e64 s21, s31, v1
	v_cmp_le_u32_e64 s22, s31, v1
	s_and_saveexec_b32 s44, s22
	s_xor_b32 s22, exec_lo, s44
	s_delay_alu instid0(SALU_CYCLE_1)
	s_and_not1_saveexec_b32 s22, s22
	s_cbranch_execz .LBB596_45
; %bb.44:
	flat_load_u16 v2, v0, s[42:43] offset:9728 scale_offset
.LBB596_45:
	s_wait_xcnt 0x0
	s_or_b32 exec_lo, exec_lo, s22
	v_lshlrev_b32_e32 v1, 1, v0
	s_mov_b32 s44, exec_lo
	s_wait_loadcnt_dscnt 0x0
	ds_store_b16 v1, v3
	ds_store_b16 v1, v4 offset:512
	ds_store_b16 v1, v5 offset:1024
	;; [unrolled: 1-line block ×19, first 2 shown]
	v_mov_b32_e32 v2, 0
	s_wait_dscnt 0x0
	s_barrier_signal -1
	s_barrier_wait -1
	flat_load_u16 v51, v2, s[42:43]
	v_mad_u32_u24 v52, v0, 38, v1
	ds_load_2addr_b64 v[6:9], v52 offset1:1
	s_wait_xcnt 0x0
	ds_load_2addr_b64 v[2:5], v52 offset0:2 offset1:3
	ds_load_b64 v[14:15], v52 offset:32
	v_mad_i32_i24 v10, 0xffffffda, v0, v52
	s_wait_dscnt 0x2
	ds_store_b16 v10, v6 offset:10752
	s_wait_loadcnt_dscnt 0x0
	s_barrier_signal -1
	s_barrier_wait -1
	v_cmpx_ne_u32_e32 0xff, v0
; %bb.46:
	v_mul_i32_i24_e32 v10, 0xffffffda, v0
	s_delay_alu instid0(VALU_DEP_1)
	v_add_nc_u32_e32 v10, v52, v10
	ds_load_u16 v51, v10 offset:10754
; %bb.47:
	s_or_b32 exec_lo, exec_lo, s44
	s_wait_dscnt 0x0
	s_barrier_signal -1
	s_barrier_wait -1
                                        ; implicit-def: $vgpr10
	s_and_saveexec_b32 s22, vcc_lo
	s_cbranch_execz .LBB596_168
; %bb.48:
	flat_load_u16 v10, v0, s[36:37] scale_offset
	s_wait_xcnt 0x0
	s_or_b32 exec_lo, exec_lo, s22
                                        ; implicit-def: $vgpr11
	s_and_saveexec_b32 s22, s1
	s_cbranch_execnz .LBB596_169
.LBB596_49:
	s_or_b32 exec_lo, exec_lo, s22
                                        ; implicit-def: $vgpr12
	s_and_saveexec_b32 s1, s4
	s_cbranch_execz .LBB596_170
.LBB596_50:
	flat_load_u16 v12, v0, s[36:37] offset:1024 scale_offset
	s_wait_xcnt 0x0
	s_or_b32 exec_lo, exec_lo, s1
                                        ; implicit-def: $vgpr13
	s_and_saveexec_b32 s1, s5
	s_cbranch_execnz .LBB596_171
.LBB596_51:
	s_or_b32 exec_lo, exec_lo, s1
                                        ; implicit-def: $vgpr16
	s_and_saveexec_b32 s1, s6
	s_cbranch_execz .LBB596_172
.LBB596_52:
	flat_load_u16 v16, v0, s[36:37] offset:2048 scale_offset
	s_wait_xcnt 0x0
	s_or_b32 exec_lo, exec_lo, s1
                                        ; implicit-def: $vgpr17
	s_and_saveexec_b32 s1, s7
	s_cbranch_execnz .LBB596_173
.LBB596_53:
	s_or_b32 exec_lo, exec_lo, s1
                                        ; implicit-def: $vgpr19
	s_and_saveexec_b32 s1, s8
	s_cbranch_execz .LBB596_174
.LBB596_54:
	flat_load_u16 v19, v0, s[36:37] offset:3072 scale_offset
	s_wait_xcnt 0x0
	s_or_b32 exec_lo, exec_lo, s1
                                        ; implicit-def: $vgpr20
	s_and_saveexec_b32 s1, s9
	s_cbranch_execnz .LBB596_175
.LBB596_55:
	s_or_b32 exec_lo, exec_lo, s1
                                        ; implicit-def: $vgpr21
	s_and_saveexec_b32 s1, s10
	s_cbranch_execz .LBB596_176
.LBB596_56:
	flat_load_u16 v21, v0, s[36:37] offset:4096 scale_offset
	s_wait_xcnt 0x0
	s_or_b32 exec_lo, exec_lo, s1
                                        ; implicit-def: $vgpr22
	s_and_saveexec_b32 s1, s11
	s_cbranch_execnz .LBB596_177
.LBB596_57:
	s_or_b32 exec_lo, exec_lo, s1
                                        ; implicit-def: $vgpr23
	s_and_saveexec_b32 s1, s12
	s_cbranch_execz .LBB596_178
.LBB596_58:
	flat_load_u16 v23, v0, s[36:37] offset:5120 scale_offset
	s_wait_xcnt 0x0
	s_or_b32 exec_lo, exec_lo, s1
                                        ; implicit-def: $vgpr24
	s_and_saveexec_b32 s1, s13
	s_cbranch_execnz .LBB596_179
.LBB596_59:
	s_or_b32 exec_lo, exec_lo, s1
                                        ; implicit-def: $vgpr25
	s_and_saveexec_b32 s1, s14
	s_cbranch_execz .LBB596_180
.LBB596_60:
	flat_load_u16 v25, v0, s[36:37] offset:6144 scale_offset
	s_wait_xcnt 0x0
	s_or_b32 exec_lo, exec_lo, s1
                                        ; implicit-def: $vgpr26
	s_and_saveexec_b32 s1, s15
	s_cbranch_execnz .LBB596_181
.LBB596_61:
	s_or_b32 exec_lo, exec_lo, s1
                                        ; implicit-def: $vgpr27
	s_and_saveexec_b32 s1, s16
	s_cbranch_execz .LBB596_182
.LBB596_62:
	flat_load_u16 v27, v0, s[36:37] offset:7168 scale_offset
	s_wait_xcnt 0x0
	s_or_b32 exec_lo, exec_lo, s1
                                        ; implicit-def: $vgpr28
	s_and_saveexec_b32 s1, s17
	s_cbranch_execnz .LBB596_183
.LBB596_63:
	s_or_b32 exec_lo, exec_lo, s1
                                        ; implicit-def: $vgpr29
	s_and_saveexec_b32 s1, s18
	s_cbranch_execz .LBB596_184
.LBB596_64:
	flat_load_u16 v29, v0, s[36:37] offset:8192 scale_offset
	s_wait_xcnt 0x0
	s_or_b32 exec_lo, exec_lo, s1
                                        ; implicit-def: $vgpr30
	s_and_saveexec_b32 s1, s19
	s_cbranch_execnz .LBB596_185
.LBB596_65:
	s_or_b32 exec_lo, exec_lo, s1
                                        ; implicit-def: $vgpr31
	s_and_saveexec_b32 s1, s20
	s_cbranch_execz .LBB596_67
.LBB596_66:
	flat_load_u16 v31, v0, s[36:37] offset:9216 scale_offset
.LBB596_67:
	s_wait_xcnt 0x0
	s_or_b32 exec_lo, exec_lo, s1
	v_mul_u32_u24_e32 v55, 20, v0
                                        ; implicit-def: $vgpr32
	s_and_saveexec_b32 s1, s21
	s_cbranch_execz .LBB596_69
; %bb.68:
	flat_load_u16 v32, v0, s[36:37] offset:9728 scale_offset
.LBB596_69:
	s_wait_xcnt 0x0
	s_or_b32 exec_lo, exec_lo, s1
	s_wait_loadcnt_dscnt 0x0
	ds_store_b16 v1, v10
	ds_store_b16 v1, v11 offset:512
	ds_store_b16 v1, v12 offset:1024
	ds_store_b16 v1, v13 offset:1536
	ds_store_b16 v1, v16 offset:2048
	ds_store_b16 v1, v17 offset:2560
	ds_store_b16 v1, v19 offset:3072
	ds_store_b16 v1, v20 offset:3584
	ds_store_b16 v1, v21 offset:4096
	ds_store_b16 v1, v22 offset:4608
	ds_store_b16 v1, v23 offset:5120
	ds_store_b16 v1, v24 offset:5632
	ds_store_b16 v1, v25 offset:6144
	ds_store_b16 v1, v26 offset:6656
	ds_store_b16 v1, v27 offset:7168
	ds_store_b16 v1, v28 offset:7680
	ds_store_b16 v1, v29 offset:8192
	ds_store_b16 v1, v30 offset:8704
	ds_store_b16 v1, v31 offset:9216
	ds_store_b16 v1, v32 offset:9728
	v_cmp_gt_u32_e32 vcc_lo, s31, v55
	v_dual_mov_b32 v32, 0 :: v_dual_mov_b32 v40, 0
	v_dual_mov_b32 v56, 0 :: v_dual_mov_b32 v48, 0
	v_dual_mov_b32 v54, 0 :: v_dual_mov_b32 v53, 0
	v_dual_mov_b32 v50, 0 :: v_dual_mov_b32 v49, 0
	v_dual_mov_b32 v47, 0 :: v_dual_mov_b32 v46, 0
	v_dual_mov_b32 v44, 0 :: v_dual_mov_b32 v43, 0
	v_dual_mov_b32 v42, 0 :: v_dual_mov_b32 v39, 0
	v_dual_mov_b32 v38, 0 :: v_dual_mov_b32 v37, 0
	v_dual_mov_b32 v36, 0 :: v_dual_mov_b32 v35, 0
	v_dual_mov_b32 v34, 0 :: v_dual_mov_b32 v11, 0
	v_dual_mov_b32 v10, 0 :: v_dual_mov_b32 v33, 0
	v_dual_mov_b32 v31, 0 :: v_dual_mov_b32 v30, 0
	v_dual_mov_b32 v29, 0 :: v_dual_mov_b32 v28, 0
	v_dual_mov_b32 v27, 0 :: v_dual_mov_b32 v26, 0
	v_dual_mov_b32 v25, 0 :: v_dual_mov_b32 v24, 0
	v_dual_mov_b32 v23, 0 :: v_dual_mov_b32 v22, 0
	v_dual_mov_b32 v21, 0 :: v_dual_mov_b32 v19, 0
	v_dual_mov_b32 v17, 0 :: v_dual_mov_b32 v16, 0
	v_mov_b32_e32 v1, 0
	s_mov_b32 s4, 0
	s_mov_b32 s5, 0
	s_wait_dscnt 0x0
	s_barrier_signal -1
	s_barrier_wait -1
                                        ; implicit-def: $sgpr8
                                        ; implicit-def: $vgpr45
	s_and_saveexec_b32 s6, vcc_lo
	s_cbranch_execz .LBB596_109
; %bb.70:
	ds_load_u16 v1, v52
	v_dual_mov_b32 v40, 0 :: v_dual_lshrrev_b32 v41, 16, v6
	v_dual_mov_b32 v56, 0 :: v_dual_bitop2_b32 v10, 1, v55 bitop3:0x54
	v_dual_mov_b32 v48, 0 :: v_dual_mov_b32 v54, 0
	s_delay_alu instid0(VALU_DEP_3)
	v_cmp_eq_u16_e32 vcc_lo, v6, v41
	v_dual_mov_b32 v53, 0 :: v_dual_mov_b32 v50, 0
	v_dual_mov_b32 v49, 0 :: v_dual_mov_b32 v47, 0
	;; [unrolled: 1-line block ×6, first 2 shown]
	s_wait_dscnt 0x0
	v_dual_cndmask_b32 v1, s33, v1, vcc_lo :: v_dual_mov_b32 v35, 0
	v_mov_b32_e32 v34, 0
	v_cmp_gt_u32_e64 s1, s31, v10
	v_cndmask_b32_e64 v20, 0x10000, 0, vcc_lo
	s_delay_alu instid0(VALU_DEP_4)
	v_and_b32_e32 v32, 0xffff, v1
	v_dual_mov_b32 v10, 0 :: v_dual_mov_b32 v33, 0
	v_dual_mov_b32 v31, 0 :: v_dual_mov_b32 v30, 0
	;; [unrolled: 1-line block ×8, first 2 shown]
	v_mov_b32_e32 v1, 0
	s_mov_b32 s7, 0
                                        ; implicit-def: $sgpr8
                                        ; implicit-def: $vgpr45
	s_and_saveexec_b32 s5, s1
	s_cbranch_execz .LBB596_108
; %bb.71:
	ds_load_b128 v[10:13], v52 offset:2
	v_cmp_eq_u16_e32 vcc_lo, v41, v7
	v_dual_mov_b32 v56, 0 :: v_dual_bitop2_b32 v1, 2, v55 bitop3:0x54
	v_dual_mov_b32 v48, 0 :: v_dual_mov_b32 v54, 0
	v_dual_mov_b32 v53, 0 :: v_dual_mov_b32 v50, 0
	;; [unrolled: 1-line block ×8, first 2 shown]
	s_wait_dscnt 0x0
	v_dual_cndmask_b32 v6, s33, v10 :: v_dual_mov_b32 v33, 0
	v_dual_mov_b32 v31, 0 :: v_dual_mov_b32 v30, 0
	v_cmp_gt_u32_e64 s1, s31, v1
	v_cndmask_b32_e64 v40, 0x10000, 0, vcc_lo
	s_delay_alu instid0(VALU_DEP_4)
	v_and_b32_e32 v41, 0xffff, v6
	v_dual_mov_b32 v29, 0 :: v_dual_mov_b32 v28, 0
	v_dual_mov_b32 v27, 0 :: v_dual_mov_b32 v26, 0
	;; [unrolled: 1-line block ×6, first 2 shown]
	v_mov_b32_e32 v1, 0
	s_mov_b32 s9, 0
                                        ; implicit-def: $sgpr8
                                        ; implicit-def: $vgpr45
	s_and_saveexec_b32 s7, s1
	s_cbranch_execz .LBB596_107
; %bb.72:
	v_dual_lshrrev_b32 v6, 16, v7 :: v_dual_lshrrev_b32 v1, 16, v10
	v_dual_mov_b32 v48, 0 :: v_dual_mov_b32 v54, 0
	v_dual_mov_b32 v53, 0 :: v_dual_mov_b32 v50, 0
	s_delay_alu instid0(VALU_DEP_3) | instskip(SKIP_3) | instid1(VALU_DEP_3)
	v_cmp_eq_u16_e32 vcc_lo, v7, v6
	v_dual_mov_b32 v49, 0 :: v_dual_bitop2_b32 v10, 3, v55 bitop3:0x54
	v_dual_mov_b32 v47, 0 :: v_dual_mov_b32 v46, 0
	v_dual_mov_b32 v44, 0 :: v_dual_cndmask_b32 v1, s33, v1
	v_cmp_gt_u32_e64 s1, s31, v10
	v_cndmask_b32_e64 v33, 0x10000, 0, vcc_lo
	v_dual_mov_b32 v43, 0 :: v_dual_mov_b32 v42, 0
	s_delay_alu instid0(VALU_DEP_4)
	v_and_b32_e32 v10, 0xffff, v1
	v_dual_mov_b32 v39, 0 :: v_dual_mov_b32 v38, 0
	v_dual_mov_b32 v37, 0 :: v_dual_mov_b32 v36, 0
	;; [unrolled: 1-line block ×10, first 2 shown]
	v_mov_b32_e32 v1, 0
	s_mov_b32 s10, 0
                                        ; implicit-def: $sgpr8
                                        ; implicit-def: $vgpr45
	s_and_saveexec_b32 s9, s1
	s_cbranch_execz .LBB596_106
; %bb.73:
	v_cmp_eq_u16_e32 vcc_lo, v6, v8
	v_dual_mov_b32 v53, 0 :: v_dual_add_nc_u32 v6, 4, v55
	v_dual_mov_b32 v50, 0 :: v_dual_mov_b32 v49, 0
	v_dual_cndmask_b32 v1, s33, v11 :: v_dual_mov_b32 v54, 0
	v_cndmask_b32_e64 v48, 0x10000, 0, vcc_lo
	s_delay_alu instid0(VALU_DEP_4) | instskip(SKIP_1) | instid1(VALU_DEP_4)
	v_cmp_gt_u32_e32 vcc_lo, s31, v6
	v_dual_mov_b32 v47, 0 :: v_dual_mov_b32 v46, 0
	v_and_b32_e32 v31, 0xffff, v1
	v_dual_mov_b32 v44, 0 :: v_dual_mov_b32 v43, 0
	v_dual_mov_b32 v42, 0 :: v_dual_mov_b32 v39, 0
	;; [unrolled: 1-line block ×11, first 2 shown]
	v_mov_b32_e32 v1, 0
	s_mov_b32 s1, 0
                                        ; implicit-def: $sgpr8
                                        ; implicit-def: $vgpr45
	s_and_saveexec_b32 s10, vcc_lo
	s_cbranch_execz .LBB596_105
; %bb.74:
	v_dual_lshrrev_b32 v6, 16, v8 :: v_dual_lshrrev_b32 v1, 16, v11
	v_dual_mov_b32 v53, 0 :: v_dual_mov_b32 v50, 0
	v_dual_mov_b32 v49, 0 :: v_dual_mov_b32 v47, 0
	s_delay_alu instid0(VALU_DEP_3) | instskip(SKIP_3) | instid1(VALU_DEP_3)
	v_cmp_eq_u16_e32 vcc_lo, v8, v6
	v_dual_mov_b32 v46, 0 :: v_dual_add_nc_u32 v7, 5, v55
	v_dual_mov_b32 v44, 0 :: v_dual_mov_b32 v43, 0
	v_dual_mov_b32 v42, 0 :: v_dual_cndmask_b32 v1, s33, v1
	v_cmp_gt_u32_e64 s1, s31, v7
	v_cndmask_b32_e64 v30, 0x10000, 0, vcc_lo
	v_dual_mov_b32 v39, 0 :: v_dual_mov_b32 v38, 0
	s_delay_alu instid0(VALU_DEP_4)
	v_and_b32_e32 v11, 0xffff, v1
	v_dual_mov_b32 v37, 0 :: v_dual_mov_b32 v36, 0
	v_dual_mov_b32 v35, 0 :: v_dual_mov_b32 v34, 0
	;; [unrolled: 1-line block ×8, first 2 shown]
	v_mov_b32_e32 v1, 0
	s_mov_b32 s12, 0
                                        ; implicit-def: $sgpr8
                                        ; implicit-def: $vgpr45
	s_and_saveexec_b32 s11, s1
	s_cbranch_execz .LBB596_104
; %bb.75:
	v_cmp_eq_u16_e32 vcc_lo, v6, v9
	v_dual_mov_b32 v50, 0 :: v_dual_mov_b32 v49, 0
	v_dual_mov_b32 v47, 0 :: v_dual_mov_b32 v46, 0
	v_dual_cndmask_b32 v1, s33, v12 :: v_dual_add_nc_u32 v6, 6, v55
	v_cndmask_b32_e64 v53, 0x10000, 0, vcc_lo
	v_dual_mov_b32 v44, 0 :: v_dual_mov_b32 v43, 0
	s_delay_alu instid0(VALU_DEP_3) | instskip(NEXT) | instid1(VALU_DEP_4)
	v_and_b32_e32 v29, 0xffff, v1
	v_cmp_gt_u32_e32 vcc_lo, s31, v6
	v_dual_mov_b32 v42, 0 :: v_dual_mov_b32 v39, 0
	v_dual_mov_b32 v38, 0 :: v_dual_mov_b32 v37, 0
	;; [unrolled: 1-line block ×9, first 2 shown]
	v_mov_b32_e32 v1, 0
	s_mov_b32 s1, 0
                                        ; implicit-def: $sgpr8
                                        ; implicit-def: $vgpr45
	s_and_saveexec_b32 s12, vcc_lo
	s_cbranch_execz .LBB596_103
; %bb.76:
	v_dual_lshrrev_b32 v6, 16, v9 :: v_dual_lshrrev_b32 v1, 16, v12
	v_dual_mov_b32 v49, 0 :: v_dual_mov_b32 v47, 0
	v_dual_mov_b32 v46, 0 :: v_dual_mov_b32 v44, 0
	s_delay_alu instid0(VALU_DEP_3) | instskip(SKIP_3) | instid1(VALU_DEP_3)
	v_cmp_eq_u16_e32 vcc_lo, v9, v6
	v_dual_add_nc_u32 v7, 7, v55 :: v_dual_mov_b32 v43, 0
	v_dual_mov_b32 v42, 0 :: v_dual_mov_b32 v39, 0
	v_dual_mov_b32 v38, 0 :: v_dual_cndmask_b32 v1, s33, v1
	v_cmp_gt_u32_e64 s1, s31, v7
	v_cndmask_b32_e64 v28, 0x10000, 0, vcc_lo
	v_dual_mov_b32 v37, 0 :: v_dual_mov_b32 v36, 0
	s_delay_alu instid0(VALU_DEP_4)
	v_and_b32_e32 v12, 0xffff, v1
	v_dual_mov_b32 v35, 0 :: v_dual_mov_b32 v34, 0
	v_dual_mov_b32 v27, 0 :: v_dual_mov_b32 v26, 0
	;; [unrolled: 1-line block ×6, first 2 shown]
	v_mov_b32_e32 v1, 0
	s_mov_b32 s14, 0
                                        ; implicit-def: $sgpr8
                                        ; implicit-def: $vgpr45
	s_and_saveexec_b32 s13, s1
	s_cbranch_execz .LBB596_102
; %bb.77:
	v_cmp_eq_u16_e32 vcc_lo, v6, v2
	v_dual_mov_b32 v47, 0 :: v_dual_mov_b32 v46, 0
	v_dual_mov_b32 v44, 0 :: v_dual_mov_b32 v43, 0
	v_dual_cndmask_b32 v1, s33, v13 :: v_dual_add_nc_u32 v6, 8, v55
	v_cndmask_b32_e64 v49, 0x10000, 0, vcc_lo
	v_dual_mov_b32 v42, 0 :: v_dual_mov_b32 v39, 0
	s_delay_alu instid0(VALU_DEP_3) | instskip(NEXT) | instid1(VALU_DEP_4)
	v_and_b32_e32 v27, 0xffff, v1
	v_cmp_gt_u32_e32 vcc_lo, s31, v6
	v_dual_mov_b32 v38, 0 :: v_dual_mov_b32 v37, 0
	v_dual_mov_b32 v36, 0 :: v_dual_mov_b32 v35, 0
	;; [unrolled: 1-line block ×7, first 2 shown]
	v_mov_b32_e32 v1, 0
	s_mov_b32 s1, 0
                                        ; implicit-def: $sgpr8
                                        ; implicit-def: $vgpr45
	s_and_saveexec_b32 s14, vcc_lo
	s_cbranch_execz .LBB596_101
; %bb.78:
	v_dual_lshrrev_b32 v26, 16, v2 :: v_dual_lshrrev_b32 v1, 16, v13
	v_dual_mov_b32 v46, 0 :: v_dual_mov_b32 v44, 0
	v_dual_mov_b32 v43, 0 :: v_dual_mov_b32 v42, 0
	s_delay_alu instid0(VALU_DEP_3) | instskip(SKIP_3) | instid1(VALU_DEP_3)
	v_cmp_eq_u16_e32 vcc_lo, v2, v26
	v_dual_mov_b32 v39, 0 :: v_dual_add_nc_u32 v6, 9, v55
	v_dual_mov_b32 v38, 0 :: v_dual_mov_b32 v37, 0
	v_dual_mov_b32 v36, 0 :: v_dual_cndmask_b32 v1, s33, v1
	v_cmp_gt_u32_e64 s1, s31, v6
	v_cndmask_b32_e64 v13, 0x10000, 0, vcc_lo
	v_dual_mov_b32 v35, 0 :: v_dual_mov_b32 v34, 0
	s_delay_alu instid0(VALU_DEP_4)
	v_and_b32_e32 v2, 0xffff, v1
	v_dual_mov_b32 v25, 0 :: v_dual_mov_b32 v24, 0
	v_dual_mov_b32 v23, 0 :: v_dual_mov_b32 v22, 0
	;; [unrolled: 1-line block ×4, first 2 shown]
	v_mov_b32_e32 v1, 0
	s_mov_b32 s16, 0
                                        ; implicit-def: $sgpr8
                                        ; implicit-def: $vgpr45
	s_and_saveexec_b32 s15, s1
	s_cbranch_execz .LBB596_100
; %bb.79:
	ds_load_b128 v[6:9], v52 offset:18
	v_cmp_eq_u16_e32 vcc_lo, v26, v3
	v_dual_mov_b32 v44, 0 :: v_dual_add_nc_u32 v1, 10, v55
	v_dual_mov_b32 v19, 0 :: v_dual_mov_b32 v43, 0
	v_dual_mov_b32 v42, 0 :: v_dual_mov_b32 v39, 0
	;; [unrolled: 1-line block ×7, first 2 shown]
	v_mov_b32_e32 v16, 0
	v_cmp_gt_u32_e64 s1, s31, v1
	s_wait_dscnt 0x0
	v_cndmask_b32_e32 v26, s33, v6, vcc_lo
	v_cndmask_b32_e64 v25, 0x10000, 0, vcc_lo
	v_mov_b32_e32 v1, 0
	s_mov_b32 s17, 0
                                        ; implicit-def: $sgpr8
                                        ; implicit-def: $vgpr45
	s_delay_alu instid0(VALU_DEP_3)
	v_and_b32_e32 v26, 0xffff, v26
	s_and_saveexec_b32 s16, s1
	s_cbranch_execz .LBB596_99
; %bb.80:
	v_dual_lshrrev_b32 v24, 16, v3 :: v_dual_lshrrev_b32 v1, 16, v6
	v_dual_mov_b32 v43, 0 :: v_dual_mov_b32 v42, 0
	v_dual_mov_b32 v39, 0 :: v_dual_mov_b32 v38, 0
	s_delay_alu instid0(VALU_DEP_3) | instskip(SKIP_3) | instid1(VALU_DEP_3)
	v_cmp_eq_u16_e32 vcc_lo, v3, v24
	v_dual_mov_b32 v37, 0 :: v_dual_add_nc_u32 v6, 11, v55
	v_dual_mov_b32 v36, 0 :: v_dual_mov_b32 v35, 0
	v_dual_mov_b32 v34, 0 :: v_dual_cndmask_b32 v1, s33, v1
	v_cmp_gt_u32_e64 s1, s31, v6
	v_cndmask_b32_e64 v6, 0x10000, 0, vcc_lo
	v_dual_mov_b32 v23, 0 :: v_dual_mov_b32 v22, 0
	s_delay_alu instid0(VALU_DEP_4)
	v_and_b32_e32 v3, 0xffff, v1
	v_dual_mov_b32 v21, 0 :: v_dual_mov_b32 v19, 0
	v_dual_mov_b32 v17, 0 :: v_dual_mov_b32 v16, 0
	v_mov_b32_e32 v1, 0
	s_mov_b32 s18, 0
                                        ; implicit-def: $sgpr8
                                        ; implicit-def: $vgpr45
	s_and_saveexec_b32 s17, s1
	s_cbranch_execz .LBB596_98
; %bb.81:
	v_cmp_eq_u16_e32 vcc_lo, v24, v4
	v_dual_mov_b32 v39, 0 :: v_dual_add_nc_u32 v16, 12, v55
	v_dual_mov_b32 v38, 0 :: v_dual_mov_b32 v37, 0
	v_dual_cndmask_b32 v1, s33, v7 :: v_dual_mov_b32 v42, 0
	v_cndmask_b32_e64 v24, 0x10000, 0, vcc_lo
	s_delay_alu instid0(VALU_DEP_4) | instskip(SKIP_1) | instid1(VALU_DEP_4)
	v_cmp_gt_u32_e32 vcc_lo, s31, v16
	v_dual_mov_b32 v36, 0 :: v_dual_mov_b32 v35, 0
	v_and_b32_e32 v23, 0xffff, v1
	v_dual_mov_b32 v34, 0 :: v_dual_mov_b32 v22, 0
	v_dual_mov_b32 v21, 0 :: v_dual_mov_b32 v19, 0
	;; [unrolled: 1-line block ×3, first 2 shown]
	v_mov_b32_e32 v1, 0
	s_mov_b32 s1, 0
                                        ; implicit-def: $sgpr8
                                        ; implicit-def: $vgpr45
	s_and_saveexec_b32 s18, vcc_lo
	s_cbranch_execz .LBB596_97
; %bb.82:
	v_dual_lshrrev_b32 v22, 16, v4 :: v_dual_lshrrev_b32 v1, 16, v7
	v_dual_mov_b32 v39, 0 :: v_dual_mov_b32 v38, 0
	v_dual_mov_b32 v37, 0 :: v_dual_mov_b32 v36, 0
	s_delay_alu instid0(VALU_DEP_3) | instskip(SKIP_3) | instid1(VALU_DEP_3)
	v_cmp_eq_u16_e32 vcc_lo, v4, v22
	v_dual_add_nc_u32 v7, 13, v55 :: v_dual_mov_b32 v35, 0
	v_dual_mov_b32 v34, 0 :: v_dual_mov_b32 v21, 0
	v_dual_mov_b32 v19, 0 :: v_dual_cndmask_b32 v1, s33, v1, vcc_lo
	v_cmp_gt_u32_e64 s1, s31, v7
	v_cndmask_b32_e64 v7, 0x10000, 0, vcc_lo
	v_dual_mov_b32 v17, 0 :: v_dual_mov_b32 v16, 0
	s_delay_alu instid0(VALU_DEP_4)
	v_and_b32_e32 v4, 0xffff, v1
	v_mov_b32_e32 v1, 0
	s_mov_b32 s20, 0
                                        ; implicit-def: $sgpr8
                                        ; implicit-def: $vgpr45
	s_and_saveexec_b32 s19, s1
	s_cbranch_execz .LBB596_96
; %bb.83:
	v_cmp_eq_u16_e32 vcc_lo, v22, v5
	v_dual_mov_b32 v38, 0 :: v_dual_mov_b32 v37, 0
	v_dual_mov_b32 v36, 0 :: v_dual_mov_b32 v35, 0
	v_dual_cndmask_b32 v1, s33, v8 :: v_dual_add_nc_u32 v16, 14, v55
	v_cndmask_b32_e64 v22, 0x10000, 0, vcc_lo
	v_dual_mov_b32 v34, 0 :: v_dual_mov_b32 v19, 0
	s_delay_alu instid0(VALU_DEP_3) | instskip(NEXT) | instid1(VALU_DEP_4)
	v_and_b32_e32 v21, 0xffff, v1
	v_cmp_gt_u32_e32 vcc_lo, s31, v16
	v_dual_mov_b32 v17, 0 :: v_dual_mov_b32 v16, 0
	v_mov_b32_e32 v1, 0
	s_mov_b32 s1, 0
                                        ; implicit-def: $sgpr8
                                        ; implicit-def: $vgpr45
	s_and_saveexec_b32 s20, vcc_lo
	s_cbranch_execz .LBB596_95
; %bb.84:
	v_dual_lshrrev_b32 v19, 16, v5 :: v_dual_lshrrev_b32 v1, 16, v8
	v_dual_mov_b32 v37, 0 :: v_dual_mov_b32 v36, 0
	v_dual_mov_b32 v35, 0 :: v_dual_mov_b32 v34, 0
	s_delay_alu instid0(VALU_DEP_3) | instskip(SKIP_4) | instid1(VALU_DEP_3)
	v_cmp_eq_u16_e32 vcc_lo, v5, v19
	v_dual_mov_b32 v17, 0 :: v_dual_add_nc_u32 v8, 15, v55
	v_mov_b32_e32 v16, 0
	s_mov_b32 s22, 0
	v_cndmask_b32_e32 v1, s33, v1, vcc_lo
	v_cmp_gt_u32_e64 s1, s31, v8
	v_cndmask_b32_e64 v8, 0x10000, 0, vcc_lo
                                        ; implicit-def: $sgpr8
                                        ; implicit-def: $vgpr45
	s_delay_alu instid0(VALU_DEP_3)
	v_and_b32_e32 v5, 0xffff, v1
	v_mov_b32_e32 v1, 0
	s_and_saveexec_b32 s21, s1
	s_cbranch_execz .LBB596_94
; %bb.85:
	v_cmp_eq_u16_e32 vcc_lo, v19, v14
	v_dual_mov_b32 v36, 0 :: v_dual_mov_b32 v35, 0
	v_mov_b32_e32 v34, 0
	s_mov_b32 s1, 0
	v_dual_cndmask_b32 v1, s33, v9 :: v_dual_add_nc_u32 v16, 16, v55
	v_cndmask_b32_e64 v19, 0x10000, 0, vcc_lo
                                        ; implicit-def: $sgpr8
                                        ; implicit-def: $vgpr45
	s_delay_alu instid0(VALU_DEP_2) | instskip(NEXT) | instid1(VALU_DEP_3)
	v_and_b32_e32 v17, 0xffff, v1
	v_cmp_gt_u32_e32 vcc_lo, s31, v16
	v_dual_mov_b32 v16, 0 :: v_dual_mov_b32 v1, 0
	s_and_saveexec_b32 s22, vcc_lo
	s_cbranch_execz .LBB596_93
; %bb.86:
	v_dual_lshrrev_b32 v16, 16, v14 :: v_dual_lshrrev_b32 v1, 16, v9
	v_dual_mov_b32 v35, 0 :: v_dual_mov_b32 v34, 0
	s_mov_b32 s45, 0
	s_delay_alu instid0(VALU_DEP_2) | instskip(SKIP_2) | instid1(VALU_DEP_2)
	v_cmp_eq_u16_e32 vcc_lo, v14, v16
	v_add_nc_u32_e32 v9, 17, v55
                                        ; implicit-def: $sgpr8
                                        ; implicit-def: $vgpr45
	v_cndmask_b32_e32 v1, s33, v1, vcc_lo
	v_cmp_gt_u32_e64 s1, s31, v9
	v_cndmask_b32_e64 v14, 0x10000, 0, vcc_lo
	s_delay_alu instid0(VALU_DEP_3)
	v_and_b32_e32 v9, 0xffff, v1
	v_mov_b32_e32 v1, 0
	s_and_saveexec_b32 s44, s1
	s_cbranch_execz .LBB596_92
; %bb.87:
	ds_load_u16 v1, v52 offset:34
	v_cmp_eq_u16_e32 vcc_lo, v16, v15
	v_mov_b32_e32 v34, 0
	s_mov_b32 s1, exec_lo
                                        ; implicit-def: $sgpr8
                                        ; implicit-def: $vgpr45
	s_wait_dscnt 0x0
	v_dual_cndmask_b32 v16, s33, v1 :: v_dual_add_nc_u32 v35, 18, v55
	v_cndmask_b32_e64 v1, 0x10000, 0, vcc_lo
	s_delay_alu instid0(VALU_DEP_2) | instskip(NEXT) | instid1(VALU_DEP_3)
	v_and_b32_e32 v16, 0xffff, v16
	v_cmpx_gt_u32_e64 s31, v35
	s_cbranch_execz .LBB596_91
; %bb.88:
	ds_load_b32 v35, v52 offset:36
	v_lshrrev_b32_e32 v36, 16, v15
	v_add_nc_u32_e32 v37, 19, v55
                                        ; implicit-def: $sgpr8
                                        ; implicit-def: $vgpr45
	s_delay_alu instid0(VALU_DEP_2)
	v_cmp_eq_u16_e32 vcc_lo, v15, v36
	v_cndmask_b32_e64 v15, 0x10000, 0, vcc_lo
	s_wait_dscnt 0x0
	v_cndmask_b32_e32 v34, s33, v35, vcc_lo
	v_cmp_gt_u32_e32 vcc_lo, s31, v37
	s_mov_b32 s31, 0
	s_delay_alu instid0(VALU_DEP_2) | instskip(SKIP_1) | instid1(SALU_CYCLE_1)
	v_and_b32_e32 v34, 0xffff, v34
	s_and_saveexec_b32 s45, vcc_lo
	s_xor_b32 s45, exec_lo, s45
; %bb.89:
	v_lshrrev_b32_e32 v35, 16, v35
	v_cmp_ne_u16_e64 s8, v36, v51
	s_mov_b32 s31, exec_lo
	v_cndmask_b32_e64 v45, v35, s33, s8
; %bb.90:
	s_or_b32 exec_lo, exec_lo, s45
	v_or_b32_e32 v34, v15, v34
	s_and_b32 s45, s31, exec_lo
.LBB596_91:
	s_or_b32 exec_lo, exec_lo, s1
	s_delay_alu instid0(VALU_DEP_1)
	v_dual_mov_b32 v1, v34 :: v_dual_bitop2_b32 v35, v1, v16 bitop3:0x54
	s_and_b32 s45, s45, exec_lo
.LBB596_92:
	s_or_b32 exec_lo, exec_lo, s44
	s_delay_alu instid0(VALU_DEP_1)
	v_dual_mov_b32 v16, v35 :: v_dual_bitop2_b32 v36, v14, v9 bitop3:0x54
	s_and_b32 s1, s45, exec_lo
.LBB596_93:
	s_or_b32 exec_lo, exec_lo, s22
	s_delay_alu instid0(VALU_DEP_1)
	v_dual_mov_b32 v17, v36 :: v_dual_bitop2_b32 v37, v19, v17 bitop3:0x54
	s_and_b32 s22, s1, exec_lo
.LBB596_94:
	s_or_b32 exec_lo, exec_lo, s21
	s_delay_alu instid0(VALU_DEP_1)
	v_dual_mov_b32 v19, v37 :: v_dual_bitop2_b32 v38, v8, v5 bitop3:0x54
	s_and_b32 s1, s22, exec_lo
.LBB596_95:
	s_or_b32 exec_lo, exec_lo, s20
	v_or_b32_e32 v39, v22, v21
	s_delay_alu instid0(VALU_DEP_2)
	v_mov_b32_e32 v21, v38
	s_and_b32 s20, s1, exec_lo
.LBB596_96:
	s_or_b32 exec_lo, exec_lo, s19
	v_or_b32_e32 v42, v7, v4
	v_mov_b32_e32 v22, v39
	s_and_b32 s1, s20, exec_lo
.LBB596_97:
	s_or_b32 exec_lo, exec_lo, s18
	s_delay_alu instid0(VALU_DEP_2)
	v_dual_mov_b32 v23, v42 :: v_dual_bitop2_b32 v43, v24, v23 bitop3:0x54
	s_and_b32 s18, s1, exec_lo
.LBB596_98:
	s_or_b32 exec_lo, exec_lo, s17
	s_delay_alu instid0(VALU_DEP_1)
	v_dual_mov_b32 v24, v43 :: v_dual_bitop2_b32 v44, v6, v3 bitop3:0x54
	s_and_b32 s17, s18, exec_lo
.LBB596_99:
	s_or_b32 exec_lo, exec_lo, s16
	s_delay_alu instid0(VALU_DEP_1)
	v_dual_mov_b32 v25, v44 :: v_dual_bitop2_b32 v46, v25, v26 bitop3:0x54
	s_and_b32 s16, s17, exec_lo
.LBB596_100:
	s_or_b32 exec_lo, exec_lo, s15
	s_delay_alu instid0(VALU_DEP_1)
	v_dual_mov_b32 v26, v46 :: v_dual_bitop2_b32 v47, v13, v2 bitop3:0x54
	s_and_b32 s1, s16, exec_lo
.LBB596_101:
	s_or_b32 exec_lo, exec_lo, s14
	s_delay_alu instid0(VALU_DEP_1)
	v_dual_mov_b32 v27, v47 :: v_dual_bitop2_b32 v49, v49, v27 bitop3:0x54
	s_and_b32 s14, s1, exec_lo
.LBB596_102:
	s_or_b32 exec_lo, exec_lo, s13
	s_delay_alu instid0(VALU_DEP_1)
	v_dual_mov_b32 v28, v49 :: v_dual_bitop2_b32 v50, v28, v12 bitop3:0x54
	s_and_b32 s1, s14, exec_lo
.LBB596_103:
	s_or_b32 exec_lo, exec_lo, s12
	s_delay_alu instid0(VALU_DEP_1)
	v_dual_mov_b32 v29, v50 :: v_dual_bitop2_b32 v53, v53, v29 bitop3:0x54
	s_and_b32 s12, s1, exec_lo
.LBB596_104:
	s_or_b32 exec_lo, exec_lo, s11
	s_delay_alu instid0(VALU_DEP_1)
	v_dual_mov_b32 v30, v53 :: v_dual_bitop2_b32 v54, v30, v11 bitop3:0x54
	s_and_b32 s1, s12, exec_lo
.LBB596_105:
	s_or_b32 exec_lo, exec_lo, s10
	s_delay_alu instid0(VALU_DEP_1)
	v_dual_mov_b32 v31, v54 :: v_dual_bitop2_b32 v48, v48, v31 bitop3:0x54
	s_and_b32 s10, s1, exec_lo
.LBB596_106:
	s_or_b32 exec_lo, exec_lo, s9
	s_delay_alu instid0(VALU_DEP_1)
	v_dual_mov_b32 v33, v48 :: v_dual_bitop2_b32 v56, v33, v10 bitop3:0x54
	s_and_b32 s9, s10, exec_lo
.LBB596_107:
	s_or_b32 exec_lo, exec_lo, s7
	v_or_b32_e32 v40, v40, v41
	s_delay_alu instid0(VALU_DEP_2)
	v_mov_b32_e32 v10, v56
	s_and_b32 s7, s9, exec_lo
.LBB596_108:
	s_or_b32 exec_lo, exec_lo, s5
	v_or_b32_e32 v32, v20, v32
	v_mov_b32_e32 v11, v40
	s_and_b32 s5, s7, exec_lo
.LBB596_109:
	s_or_b32 exec_lo, exec_lo, s6
	v_lshlrev_b32_e32 v20, 1, v0
	s_and_b32 vcc_lo, exec_lo, s4
	s_cbranch_vccnz .LBB596_111
	s_branch .LBB596_116
.LBB596_110:
                                        ; implicit-def: $sgpr8
                                        ; implicit-def: $vgpr45
                                        ; implicit-def: $vgpr32
                                        ; implicit-def: $vgpr40
                                        ; implicit-def: $vgpr56
                                        ; implicit-def: $vgpr48
                                        ; implicit-def: $vgpr54
                                        ; implicit-def: $vgpr53
                                        ; implicit-def: $vgpr50
                                        ; implicit-def: $vgpr49
                                        ; implicit-def: $vgpr47
                                        ; implicit-def: $vgpr46
                                        ; implicit-def: $vgpr44
                                        ; implicit-def: $vgpr43
                                        ; implicit-def: $vgpr42
                                        ; implicit-def: $vgpr39
                                        ; implicit-def: $vgpr38
                                        ; implicit-def: $vgpr37
                                        ; implicit-def: $vgpr36
                                        ; implicit-def: $vgpr35
                                        ; implicit-def: $vgpr34
                                        ; implicit-def: $vgpr11
                                        ; implicit-def: $vgpr10
                                        ; implicit-def: $vgpr33
                                        ; implicit-def: $vgpr31
                                        ; implicit-def: $vgpr30
                                        ; implicit-def: $vgpr29
                                        ; implicit-def: $vgpr28
                                        ; implicit-def: $vgpr27
                                        ; implicit-def: $vgpr26
                                        ; implicit-def: $vgpr25
                                        ; implicit-def: $vgpr24
                                        ; implicit-def: $vgpr23
                                        ; implicit-def: $vgpr22
                                        ; implicit-def: $vgpr21
                                        ; implicit-def: $vgpr19
                                        ; implicit-def: $vgpr17
                                        ; implicit-def: $vgpr16
                                        ; implicit-def: $vgpr1
	v_lshlrev_b32_e32 v20, 1, v0
	s_cbranch_execz .LBB596_116
.LBB596_111:
	s_clause 0x13
	flat_load_u16 v1, v0, s[42:43] scale_offset
	flat_load_u16 v2, v0, s[42:43] offset:512 scale_offset
	flat_load_u16 v3, v0, s[42:43] offset:1024 scale_offset
	;; [unrolled: 1-line block ×19, first 2 shown]
	v_mov_b32_e32 v23, 0
	v_mad_u32_u24 v24, v0, 38, v20
	s_mov_b32 s1, exec_lo
	s_wait_loadcnt_dscnt 0x1313
	ds_store_b16 v20, v1
	s_wait_loadcnt_dscnt 0x1213
	ds_store_b16 v20, v2 offset:512
	s_wait_loadcnt_dscnt 0x1113
	ds_store_b16 v20, v3 offset:1024
	;; [unrolled: 2-line block ×19, first 2 shown]
	s_wait_dscnt 0x0
	s_barrier_signal -1
	s_barrier_wait -1
	flat_load_u16 v1, v23, s[42:43] offset:10240
	ds_load_2addr_b64 v[6:9], v24 offset1:1
	ds_load_2addr_b64 v[2:5], v24 offset0:2 offset1:3
	s_wait_xcnt 0x0
	ds_load_b64 v[22:23], v24 offset:32
	v_mad_i32_i24 v10, 0xffffffda, v0, v24
	s_wait_dscnt 0x2
	ds_store_b16 v10, v6 offset:10752
	s_wait_loadcnt_dscnt 0x0
	s_barrier_signal -1
	s_barrier_wait -1
	v_cmpx_ne_u32_e32 0xff, v0
; %bb.112:
	v_mul_i32_i24_e32 v1, 0xffffffda, v0
	s_delay_alu instid0(VALU_DEP_1)
	v_add_nc_u32_e32 v1, v24, v1
	ds_load_u16 v1, v1 offset:10754
; %bb.113:
	s_or_b32 exec_lo, exec_lo, s1
	s_wait_dscnt 0x0
	s_barrier_signal -1
	s_barrier_wait -1
	s_clause 0x13
	flat_load_u16 v10, v0, s[36:37] scale_offset
	flat_load_u16 v11, v0, s[36:37] offset:512 scale_offset
	flat_load_u16 v12, v0, s[36:37] offset:1024 scale_offset
	;; [unrolled: 1-line block ×19, first 2 shown]
	s_wait_loadcnt_dscnt 0x1313
	ds_store_b16 v20, v10
	s_wait_loadcnt_dscnt 0x1213
	ds_store_b16 v20, v11 offset:512
	s_wait_loadcnt_dscnt 0x1113
	ds_store_b16 v20, v12 offset:1024
	;; [unrolled: 2-line block ×19, first 2 shown]
	s_wait_dscnt 0x0
	s_barrier_signal -1
	s_barrier_wait -1
	ds_load_b128 v[14:17], v24 offset:2
	ds_load_b128 v[10:13], v24 offset:18
	ds_load_u16 v21, v24 offset:34
	ds_load_b32 v19, v24 offset:36
	v_dual_mov_b32 v25, s33 :: v_dual_lshrrev_b32 v26, 16, v6
	s_delay_alu instid0(VALU_DEP_1)
	v_cmp_eq_u16_e32 vcc_lo, v6, v26
	v_mov_b32_e32 v6, 0x10000
	s_and_saveexec_b32 s1, vcc_lo
; %bb.114:
	ds_load_u16 v25, v24
	v_mov_b32_e32 v6, 0
; %bb.115:
	s_or_b32 exec_lo, exec_lo, s1
	v_dual_lshrrev_b32 v32, 16, v7 :: v_dual_lshrrev_b32 v36, 16, v8
	v_cmp_eq_u16_e32 vcc_lo, v26, v7
	s_wait_dscnt 0x3
	v_dual_lshrrev_b32 v24, 16, v23 :: v_dual_lshrrev_b32 v27, 16, v14
	v_lshrrev_b32_e32 v39, 16, v3
	v_cmp_eq_u16_e64 s1, v32, v8
	v_cndmask_b32_e32 v14, s33, v14, vcc_lo
	v_cndmask_b32_e64 v40, 0x10000, 0, vcc_lo
	v_cmp_eq_u16_e32 vcc_lo, v7, v32
	v_dual_lshrrev_b32 v28, 16, v15 :: v_dual_lshrrev_b32 v29, 16, v16
	v_lshrrev_b32_e32 v45, 16, v22
	s_wait_dscnt 0x0
	v_and_b32_e32 v25, 0xffff, v25
	v_and_b32_e32 v14, 0xffff, v14
	v_cndmask_b32_e32 v7, s33, v27, vcc_lo
	v_dual_cndmask_b32 v15, s33, v15, s1 :: v_dual_lshrrev_b32 v37, 16, v9
	s_delay_alu instid0(VALU_DEP_4) | instskip(NEXT) | instid1(VALU_DEP_3)
	v_dual_lshrrev_b32 v38, 16, v2 :: v_dual_bitop2_b32 v32, v6, v25 bitop3:0x54
	v_and_b32_e32 v6, 0xffff, v7
	v_cndmask_b32_e64 v7, 0x10000, 0, vcc_lo
	v_cmp_eq_u16_e32 vcc_lo, v8, v36
	v_or_b32_e32 v40, v40, v14
	v_and_b32_e32 v14, 0xffff, v15
	v_cndmask_b32_e64 v15, 0x10000, 0, s1
	v_cmp_eq_u16_e64 s1, v36, v9
	v_dual_cndmask_b32 v8, s33, v28, vcc_lo :: v_dual_bitop2_b32 v56, v7, v6 bitop3:0x54
	v_cndmask_b32_e64 v7, 0x10000, 0, vcc_lo
	v_cmp_eq_u16_e32 vcc_lo, v9, v37
	s_delay_alu instid0(VALU_DEP_4) | instskip(NEXT) | instid1(VALU_DEP_4)
	v_dual_cndmask_b32 v16, s33, v16, s1 :: v_dual_bitop2_b32 v48, v15, v14 bitop3:0x54
	v_and_b32_e32 v6, 0xffff, v8
	v_cndmask_b32_e64 v14, 0x10000, 0, s1
	v_cndmask_b32_e32 v9, s33, v29, vcc_lo
	v_cmp_eq_u16_e64 s1, v37, v2
	v_dual_lshrrev_b32 v30, 16, v17 :: v_dual_lshrrev_b32 v31, 16, v10
	v_and_b32_e32 v8, 0xffff, v16
	s_delay_alu instid0(VALU_DEP_3)
	v_dual_cndmask_b32 v15, s33, v17, s1 :: v_dual_bitop2_b32 v54, v7, v6 bitop3:0x54
	v_and_b32_e32 v6, 0xffff, v9
	v_cndmask_b32_e64 v7, 0x10000, 0, vcc_lo
	v_cndmask_b32_e64 v9, 0x10000, 0, s1
	v_cmp_eq_u16_e32 vcc_lo, v2, v38
	v_cmp_eq_u16_e64 s1, v38, v3
	v_or_b32_e32 v53, v14, v8
	v_and_b32_e32 v8, 0xffff, v15
	v_or_b32_e32 v50, v7, v6
	v_cndmask_b32_e32 v2, s33, v30, vcc_lo
	v_cndmask_b32_e64 v10, s33, v10, s1
	v_cndmask_b32_e64 v6, 0x10000, 0, vcc_lo
	v_cmp_eq_u16_e32 vcc_lo, v3, v39
	v_dual_lshrrev_b32 v26, 16, v4 :: v_dual_lshrrev_b32 v42, 16, v5
	v_or_b32_e32 v49, v9, v8
	v_and_b32_e32 v2, 0xffff, v2
	v_and_b32_e32 v7, 0xffff, v10
	v_cndmask_b32_e64 v8, 0x10000, 0, s1
	v_cndmask_b32_e32 v3, s33, v31, vcc_lo
	v_cmp_eq_u16_e64 s1, v39, v4
	v_dual_lshrrev_b32 v33, 16, v11 :: v_dual_lshrrev_b32 v34, 16, v12
	v_or_b32_e32 v47, v6, v2
	s_delay_alu instid0(VALU_DEP_4) | instskip(NEXT) | instid1(VALU_DEP_4)
	v_and_b32_e32 v2, 0xffff, v3
	v_cndmask_b32_e64 v9, s33, v11, s1
	v_cndmask_b32_e64 v3, 0x10000, 0, vcc_lo
	v_cmp_eq_u16_e32 vcc_lo, v4, v26
	v_or_b32_e32 v46, v8, v7
	v_cndmask_b32_e64 v7, 0x10000, 0, s1
	v_cmp_eq_u16_e64 s1, v26, v5
	v_and_b32_e32 v6, 0xffff, v9
	v_dual_cndmask_b32 v4, s33, v33, vcc_lo :: v_dual_bitop2_b32 v44, v3, v2 bitop3:0x54
	v_cndmask_b32_e64 v3, 0x10000, 0, vcc_lo
	s_delay_alu instid0(VALU_DEP_4)
	v_cndmask_b32_e64 v8, s33, v12, s1
	v_cmp_eq_u16_e32 vcc_lo, v5, v42
	v_or_b32_e32 v43, v7, v6
	v_and_b32_e32 v2, 0xffff, v4
	v_cndmask_b32_e64 v6, 0x10000, 0, s1
	v_and_b32_e32 v4, 0xffff, v8
	v_cndmask_b32_e32 v5, s33, v34, vcc_lo
	v_cmp_eq_u16_e64 s1, v42, v22
	v_dual_lshrrev_b32 v35, 16, v13 :: v_dual_lshrrev_b32 v41, 16, v19
	v_or_b32_e32 v42, v3, v2
	s_delay_alu instid0(VALU_DEP_3)
	v_dual_cndmask_b32 v7, s33, v13, s1 :: v_dual_bitop2_b32 v39, v6, v4 bitop3:0x54
	v_and_b32_e32 v2, 0xffff, v5
	v_cndmask_b32_e64 v3, 0x10000, 0, vcc_lo
	v_cndmask_b32_e64 v5, 0x10000, 0, s1
	v_cmp_eq_u16_e32 vcc_lo, v22, v45
	v_cmp_eq_u16_e64 s1, v45, v23
	v_cmp_eq_u16_e64 s4, v23, v24
	v_and_b32_e32 v4, 0xffff, v7
	v_dual_cndmask_b32 v6, s33, v35, vcc_lo :: v_dual_bitop2_b32 v38, v3, v2 bitop3:0x54
	s_delay_alu instid0(VALU_DEP_4) | instskip(NEXT) | instid1(VALU_DEP_3)
	v_cndmask_b32_e64 v7, s33, v21, s1
	v_dual_cndmask_b32 v8, s33, v19, s4 :: v_dual_bitop2_b32 v37, v5, v4 bitop3:0x54
	v_cndmask_b32_e64 v9, 0x10000, 0, vcc_lo
	s_delay_alu instid0(VALU_DEP_4) | instskip(NEXT) | instid1(VALU_DEP_4)
	v_and_b32_e32 v6, 0xffff, v6
	v_and_b32_e32 v7, 0xffff, v7
	v_cndmask_b32_e64 v10, 0x10000, 0, s1
	v_and_b32_e32 v8, 0xffff, v8
	v_cndmask_b32_e64 v11, 0x10000, 0, s4
	v_or_b32_e32 v36, v9, v6
	v_cmp_ne_u16_e64 s8, v24, v1
	v_dual_mov_b32 v10, v56 :: v_dual_bitop2_b32 v35, v10, v7 bitop3:0x54
	s_delay_alu instid0(VALU_DEP_4) | instskip(NEXT) | instid1(VALU_DEP_3)
	v_dual_mov_b32 v33, v48 :: v_dual_bitop2_b32 v34, v11, v8 bitop3:0x54
	v_cndmask_b32_e64 v45, v41, s33, s8
	v_dual_mov_b32 v11, v40 :: v_dual_mov_b32 v31, v54
	v_dual_mov_b32 v30, v53 :: v_dual_mov_b32 v29, v50
	;; [unrolled: 1-line block ×8, first 2 shown]
	s_mov_b32 s5, -1
.LBB596_116:
	v_mov_b32_e32 v12, 0
	s_and_saveexec_b32 s1, s5
	s_cbranch_execz .LBB596_118
; %bb.117:
	v_and_b32_e32 v2, 0xffff, v45
	v_cndmask_b32_e64 v3, 0, 0x10000, s8
	v_dual_mov_b32 v1, v34 :: v_dual_mov_b32 v16, v35
	v_dual_mov_b32 v17, v36 :: v_dual_mov_b32 v19, v37
	s_delay_alu instid0(VALU_DEP_3)
	v_dual_mov_b32 v21, v38 :: v_dual_bitop2_b32 v12, v3, v2 bitop3:0x54
	v_dual_mov_b32 v22, v39 :: v_dual_mov_b32 v23, v42
	v_dual_mov_b32 v24, v43 :: v_dual_mov_b32 v25, v44
	;; [unrolled: 1-line block ×6, first 2 shown]
	v_mov_b32_e32 v11, v40
.LBB596_118:
	s_or_b32 exec_lo, exec_lo, s1
	v_dual_lshrrev_b32 v14, 16, v32 :: v_dual_bitop2_b32 v2, v28, v27 bitop3:0x54
	v_dual_lshrrev_b32 v34, 3, v0 :: v_dual_bitop2_b32 v3, v19, v17 bitop3:0x54
	v_cmp_ne_u32_e32 vcc_lo, 0, v18
	v_or_b32_e32 v13, v16, v1
	v_cmp_gt_u32_e64 s20, 0x10000, v11
	v_cmp_gt_u32_e64 s19, 0x10000, v10
	;; [unrolled: 1-line block ×8, first 2 shown]
	v_or3_b32 v15, v2, v29, v30
	v_cmp_gt_u32_e64 s13, 0x10000, v26
	v_cmp_gt_u32_e64 s11, 0x10000, v25
	;; [unrolled: 1-line block ×8, first 2 shown]
	v_or3_b32 v35, v3, v21, v22
	v_cmp_gt_u32_e64 s5, 0x10000, v16
	v_cmp_gt_u32_e64 s1, 0x10000, v1
	;; [unrolled: 1-line block ×4, first 2 shown]
	s_barrier_signal -1
	s_barrier_wait -1
	s_cbranch_vccz .LBB596_186
; %bb.119:
	v_dual_cndmask_b32 v2, 0, v32, s20 :: v_dual_bitop2_b32 v5, 28, v34 bitop3:0x40
	v_or3_b32 v3, v35, v23, v24
	v_or3_b32 v4, v15, v31, v33
	s_delay_alu instid0(VALU_DEP_3) | instskip(NEXT) | instid1(VALU_DEP_3)
	v_add_nc_u16 v2, v2, v11
	v_or3_b32 v3, v3, v25, v26
	s_delay_alu instid0(VALU_DEP_3) | instskip(NEXT) | instid1(VALU_DEP_3)
	v_or3_b32 v4, v4, v10, v11
	v_cndmask_b32_e64 v2, 0, v2, s19
	s_delay_alu instid0(VALU_DEP_3) | instskip(NEXT) | instid1(VALU_DEP_2)
	v_or3_b32 v3, v12, v13, v3
	v_add_nc_u16 v2, v2, v10
	s_delay_alu instid0(VALU_DEP_2) | instskip(SKIP_1) | instid1(VALU_DEP_3)
	v_bitop3_b32 v3, v3, 0xff0000, v4 bitop3:0xc8
	v_lshl_add_u32 v4, v0, 2, v5
	v_cndmask_b32_e64 v2, 0, v2, s18
	s_delay_alu instid0(VALU_DEP_3) | instskip(NEXT) | instid1(VALU_DEP_2)
	v_cmp_eq_u32_e32 vcc_lo, 0, v3
	v_add_nc_u16 v2, v2, v33
	v_cndmask_b32_e32 v37, 1, v14, vcc_lo
	s_delay_alu instid0(VALU_DEP_2) | instskip(NEXT) | instid1(VALU_DEP_1)
	v_cndmask_b32_e64 v2, 0, v2, s17
	v_add_nc_u16 v2, v2, v31
	s_delay_alu instid0(VALU_DEP_1) | instskip(NEXT) | instid1(VALU_DEP_1)
	v_cndmask_b32_e64 v2, 0, v2, s16
	v_add_nc_u16 v2, v2, v30
	s_delay_alu instid0(VALU_DEP_1) | instskip(NEXT) | instid1(VALU_DEP_1)
	;; [unrolled: 3-line block ×15, first 2 shown]
	v_cndmask_b32_e64 v2, 0, v2, s22
	v_add_nc_u16 v36, v2, v12
	ds_store_b16 v4, v36
	ds_store_b8 v4, v37 offset:2
	s_wait_dscnt 0x0
	s_barrier_signal -1
	s_barrier_wait -1
	s_and_saveexec_b32 s22, s21
	s_cbranch_execz .LBB596_131
; %bb.120:
	v_and_b32_e32 v2, 0xfc, v0
	v_lshlrev_b32_e32 v3, 5, v0
	s_mov_b32 s31, exec_lo
	s_delay_alu instid0(VALU_DEP_1)
	v_add_nc_u32_e32 v2, v2, v3
	ds_load_u8 v4, v2 offset:6
	ds_load_b32 v3, v2
	ds_load_u16 v5, v2 offset:4
	ds_load_u8 v6, v2 offset:10
	ds_load_u16 v7, v2 offset:8
	ds_load_u16 v8, v2 offset:12
	ds_load_u8 v9, v2 offset:14
	ds_load_u16 v38, v2 offset:16
	s_wait_dscnt 0x7
	v_cmp_eq_u16_e32 vcc_lo, 0, v4
	s_wait_dscnt 0x4
	v_dual_cndmask_b32 v39, 0, v3, vcc_lo :: v_dual_bitop2_b32 v4, v6, v4 bitop3:0x54
	v_cmp_eq_u16_e32 vcc_lo, 0, v6
	s_delay_alu instid0(VALU_DEP_2) | instskip(SKIP_4) | instid1(VALU_DEP_2)
	v_add_nc_u16 v5, v39, v5
	ds_load_u8 v39, v2 offset:18
	v_cndmask_b32_e32 v5, 0, v5, vcc_lo
	s_wait_dscnt 0x2
	v_cmp_eq_u16_e32 vcc_lo, 0, v9
	v_add_nc_u16 v5, v5, v7
	ds_load_u8 v7, v2 offset:22
	v_cndmask_b32_e32 v5, 0, v5, vcc_lo
	s_delay_alu instid0(VALU_DEP_1)
	v_add_nc_u16 v5, v5, v8
	ds_load_u16 v8, v2 offset:20
	ds_load_u16 v40, v2 offset:24
	ds_load_u8 v41, v2 offset:26
	ds_load_u16 v42, v2 offset:28
	ds_load_u8 v43, v2 offset:30
	s_wait_dscnt 0x6
	v_cmp_eq_u16_e32 vcc_lo, 0, v39
	v_bitop3_b16 v6, v4, v39, v9 bitop3:0xfe
	v_and_b32_e32 v4, 0x10000, v3
	v_cndmask_b32_e32 v5, 0, v5, vcc_lo
	s_wait_dscnt 0x5
	v_cmp_eq_u16_e32 vcc_lo, 0, v7
	s_wait_dscnt 0x2
	v_bitop3_b16 v6, v6, v41, v7 bitop3:0xfe
	s_wait_dscnt 0x0
	v_and_b32_e32 v7, 1, v43
	v_add_nc_u16 v5, v5, v38
	s_delay_alu instid0(VALU_DEP_1) | instskip(SKIP_1) | instid1(VALU_DEP_2)
	v_cndmask_b32_e32 v5, 0, v5, vcc_lo
	v_cmp_eq_u16_e32 vcc_lo, 0, v41
	v_add_nc_u16 v5, v5, v8
	s_delay_alu instid0(VALU_DEP_1) | instskip(SKIP_1) | instid1(VALU_DEP_2)
	v_cndmask_b32_e32 v5, 0, v5, vcc_lo
	v_cmp_eq_u16_e32 vcc_lo, 0, v43
	;; [unrolled: 4-line block ×3, first 2 shown]
	v_add_nc_u16 v6, v5, v42
	v_cndmask_b32_e32 v8, 0x10000, v4, vcc_lo
	v_cmp_eq_u32_e32 vcc_lo, 1, v7
	v_and_b32_e32 v5, 0xff000000, v3
	v_mbcnt_lo_u32_b32 v7, -1, 0
	v_and_b32_e32 v9, 0xffff, v6
	v_cndmask_b32_e64 v8, v8, 0x10000, vcc_lo
	s_delay_alu instid0(VALU_DEP_1) | instskip(NEXT) | instid1(VALU_DEP_3)
	v_or_b32_e32 v38, v8, v5
	v_or3_b32 v39, v5, v9, v8
	s_delay_alu instid0(VALU_DEP_2) | instskip(NEXT) | instid1(VALU_DEP_2)
	v_dual_lshrrev_b32 v9, 16, v38 :: v_dual_bitop2_b32 v8, 15, v7 bitop3:0x40
	v_mov_b32_dpp v40, v39 row_shr:1 row_mask:0xf bank_mask:0xf
	s_delay_alu instid0(VALU_DEP_2)
	v_cmpx_ne_u32_e32 0, v8
	s_cbranch_execz .LBB596_122
; %bb.121:
	s_delay_alu instid0(VALU_DEP_2) | instskip(SKIP_1) | instid1(VALU_DEP_2)
	v_dual_lshrrev_b32 v9, 16, v38 :: v_dual_lshrrev_b32 v39, 16, v40
	v_and_b32_e32 v38, 0x10000, v38
	v_and_b32_e32 v9, 0xff, v9
	s_delay_alu instid0(VALU_DEP_1) | instskip(NEXT) | instid1(VALU_DEP_4)
	v_cmp_eq_u16_e32 vcc_lo, 0, v9
	v_dual_cndmask_b32 v40, 0, v40, vcc_lo :: v_dual_bitop2_b32 v39, 1, v39 bitop3:0x40
	s_delay_alu instid0(VALU_DEP_4) | instskip(NEXT) | instid1(VALU_DEP_2)
	v_cmp_ne_u32_e32 vcc_lo, 0, v38
	v_add_nc_u16 v6, v40, v6
	s_delay_alu instid0(VALU_DEP_3) | instskip(NEXT) | instid1(VALU_DEP_2)
	v_cndmask_b32_e64 v9, v39, 1, vcc_lo
	v_and_b32_e32 v39, 0xffff, v6
	s_delay_alu instid0(VALU_DEP_2) | instskip(NEXT) | instid1(VALU_DEP_1)
	v_lshlrev_b32_e32 v38, 16, v9
	v_or3_b32 v39, v38, v39, v5
.LBB596_122:
	s_or_b32 exec_lo, exec_lo, s31
	s_delay_alu instid0(VALU_DEP_1)
	v_lshrrev_b32_e32 v38, 16, v39
	v_mov_b32_dpp v40, v39 row_shr:2 row_mask:0xf bank_mask:0xf
	s_mov_b32 s31, exec_lo
	v_cmpx_lt_u32_e32 1, v8
	s_cbranch_execz .LBB596_124
; %bb.123:
	v_and_b32_e32 v38, 0xff, v38
	v_and_b32_e32 v39, 0x10000, v39
	s_delay_alu instid0(VALU_DEP_2) | instskip(SKIP_1) | instid1(VALU_DEP_1)
	v_cmp_eq_u16_e32 vcc_lo, 0, v38
	v_dual_cndmask_b32 v38, 0, v40 :: v_dual_lshrrev_b32 v9, 16, v40
	v_and_b32_e32 v9, 1, v9
	s_delay_alu instid0(VALU_DEP_4) | instskip(NEXT) | instid1(VALU_DEP_3)
	v_cmp_ne_u32_e32 vcc_lo, 0, v39
	v_add_nc_u16 v6, v38, v6
	s_delay_alu instid0(VALU_DEP_3) | instskip(NEXT) | instid1(VALU_DEP_2)
	v_cndmask_b32_e64 v9, v9, 1, vcc_lo
	v_and_b32_e32 v39, 0xffff, v6
	s_delay_alu instid0(VALU_DEP_2) | instskip(NEXT) | instid1(VALU_DEP_1)
	v_lshlrev_b32_e32 v38, 16, v9
	v_or3_b32 v39, v38, v39, v5
	v_mov_b32_e32 v38, v9
.LBB596_124:
	s_or_b32 exec_lo, exec_lo, s31
	s_delay_alu instid0(VALU_DEP_2)
	v_mov_b32_dpp v40, v39 row_shr:4 row_mask:0xf bank_mask:0xf
	s_mov_b32 s31, exec_lo
	v_cmpx_lt_u32_e32 3, v8
	s_cbranch_execz .LBB596_126
; %bb.125:
	v_and_b32_e32 v39, 0xff, v38
	v_dual_lshrrev_b32 v9, 16, v40 :: v_dual_bitop2_b32 v38, 1, v38 bitop3:0x40
	s_delay_alu instid0(VALU_DEP_2) | instskip(NEXT) | instid1(VALU_DEP_2)
	v_cmp_eq_u16_e32 vcc_lo, 0, v39
	v_dual_cndmask_b32 v39, 0, v40, vcc_lo :: v_dual_bitop2_b32 v9, 1, v9 bitop3:0x40
	s_delay_alu instid0(VALU_DEP_3) | instskip(NEXT) | instid1(VALU_DEP_2)
	v_cmp_eq_u32_e32 vcc_lo, 1, v38
	v_add_nc_u16 v6, v39, v6
	s_delay_alu instid0(VALU_DEP_3) | instskip(NEXT) | instid1(VALU_DEP_2)
	v_cndmask_b32_e64 v9, v9, 1, vcc_lo
	v_and_b32_e32 v39, 0xffff, v6
	s_delay_alu instid0(VALU_DEP_2) | instskip(NEXT) | instid1(VALU_DEP_1)
	v_lshlrev_b32_e32 v38, 16, v9
	v_or3_b32 v39, v38, v39, v5
	v_mov_b32_e32 v38, v9
.LBB596_126:
	s_or_b32 exec_lo, exec_lo, s31
	s_delay_alu instid0(VALU_DEP_2)
	v_mov_b32_dpp v40, v39 row_shr:8 row_mask:0xf bank_mask:0xf
	s_mov_b32 s31, exec_lo
	v_cmpx_lt_u32_e32 7, v8
	s_cbranch_execz .LBB596_128
; %bb.127:
	v_and_b32_e32 v9, 0xff, v38
	v_dual_lshrrev_b32 v8, 16, v40 :: v_dual_bitop2_b32 v38, 1, v38 bitop3:0x40
	s_delay_alu instid0(VALU_DEP_2) | instskip(NEXT) | instid1(VALU_DEP_2)
	v_cmp_eq_u16_e32 vcc_lo, 0, v9
	v_and_b32_e32 v8, 1, v8
	v_cndmask_b32_e32 v39, 0, v40, vcc_lo
	s_delay_alu instid0(VALU_DEP_4) | instskip(NEXT) | instid1(VALU_DEP_3)
	v_cmp_eq_u32_e32 vcc_lo, 1, v38
	v_cndmask_b32_e64 v9, v8, 1, vcc_lo
	s_delay_alu instid0(VALU_DEP_1) | instskip(NEXT) | instid1(VALU_DEP_4)
	v_lshlrev_b32_e32 v8, 16, v9
	v_add_nc_u16 v6, v39, v6
	s_delay_alu instid0(VALU_DEP_1) | instskip(NEXT) | instid1(VALU_DEP_1)
	v_and_b32_e32 v38, 0xffff, v6
	v_or3_b32 v39, v8, v38, v5
	v_mov_b32_e32 v38, v9
.LBB596_128:
	s_or_b32 exec_lo, exec_lo, s31
	ds_swizzle_b32 v8, v39 offset:swizzle(BROADCAST,32,15)
	v_and_b32_e32 v39, 16, v7
	s_mov_b32 s31, exec_lo
	s_delay_alu instid0(VALU_DEP_1)
	v_cmpx_ne_u32_e32 0, v39
	s_cbranch_execz .LBB596_130
; %bb.129:
	v_and_b32_e32 v9, 0xff, v38
	s_delay_alu instid0(VALU_DEP_1) | instskip(SKIP_2) | instid1(VALU_DEP_1)
	v_cmp_eq_u16_e32 vcc_lo, 0, v9
	s_wait_dscnt 0x0
	v_dual_lshrrev_b32 v39, 16, v8 :: v_dual_bitop2_b32 v9, 1, v38 bitop3:0x40
	v_dual_cndmask_b32 v8, 0, v8, vcc_lo :: v_dual_bitop2_b32 v38, 1, v39 bitop3:0x40
	s_delay_alu instid0(VALU_DEP_2) | instskip(NEXT) | instid1(VALU_DEP_2)
	v_cmp_eq_u32_e32 vcc_lo, 1, v9
	v_add_nc_u16 v6, v8, v6
	s_delay_alu instid0(VALU_DEP_3)
	v_cndmask_b32_e64 v9, v38, 1, vcc_lo
.LBB596_130:
	s_or_b32 exec_lo, exec_lo, s31
	s_wait_dscnt 0x0
	s_delay_alu instid0(VALU_DEP_1) | instskip(SKIP_2) | instid1(VALU_DEP_3)
	v_and_b32_e32 v8, 0xff, v9
	v_add_nc_u32_e32 v9, -1, v7
	v_and_b32_e32 v6, 0xffff, v6
	; wave barrier
	v_lshlrev_b32_e32 v8, 16, v8
	s_delay_alu instid0(VALU_DEP_3) | instskip(NEXT) | instid1(VALU_DEP_2)
	v_cmp_gt_i32_e32 vcc_lo, 0, v9
	v_or3_b32 v5, v8, v6, v5
	v_cndmask_b32_e32 v7, v9, v7, vcc_lo
	s_delay_alu instid0(VALU_DEP_1) | instskip(SKIP_2) | instid1(VALU_DEP_1)
	v_lshlrev_b32_e32 v6, 2, v7
	ds_bpermute_b32 v5, v6, v5
	v_and_b32_e32 v6, 0xff0000, v3
	v_cmp_eq_u32_e32 vcc_lo, 0, v6
	s_wait_dscnt 0x0
	v_dual_lshrrev_b32 v7, 16, v5 :: v_dual_cndmask_b32 v5, 0, v5, vcc_lo
	v_cmp_eq_u32_e32 vcc_lo, 0, v4
	s_delay_alu instid0(VALU_DEP_2) | instskip(NEXT) | instid1(VALU_DEP_1)
	v_add_nc_u16 v3, v5, v3
	v_dual_cndmask_b32 v3, v3, v36, s2 :: v_dual_bitop2_b32 v6, 1, v7 bitop3:0x40
	s_delay_alu instid0(VALU_DEP_1) | instskip(NEXT) | instid1(VALU_DEP_1)
	v_cndmask_b32_e32 v4, 1, v6, vcc_lo
	v_cndmask_b32_e64 v4, v4, v37, s2
	ds_store_b16 v2, v3
	ds_store_b8 v2, v4 offset:2
	; wave barrier
	ds_load_u8 v5, v2 offset:6
	ds_load_u16 v6, v2 offset:4
	ds_load_u8 v7, v2 offset:10
	ds_load_u16 v8, v2 offset:8
	ds_load_u16 v9, v2 offset:12
	ds_load_u8 v38, v2 offset:14
	ds_load_u16 v39, v2 offset:16
	ds_load_u8 v40, v2 offset:18
	s_wait_dscnt 0x7
	v_cmp_eq_u16_e32 vcc_lo, 0, v5
	v_cndmask_b32_e32 v3, 0, v3, vcc_lo
	s_wait_dscnt 0x5
	v_cmp_eq_u16_e32 vcc_lo, 0, v7
	s_delay_alu instid0(VALU_DEP_2) | instskip(NEXT) | instid1(VALU_DEP_1)
	v_add_nc_u16 v3, v3, v6
	v_cndmask_b32_e32 v6, 0, v3, vcc_lo
	s_wait_dscnt 0x2
	v_cmp_eq_u16_e32 vcc_lo, 0, v38
	s_delay_alu instid0(VALU_DEP_2)
	v_add_nc_u16 v6, v6, v8
	v_and_b32_e32 v5, 1, v5
	ds_load_u8 v8, v2 offset:22
	ds_load_u16 v42, v2 offset:20
	ds_load_u8 v43, v2 offset:26
	ds_load_u8 v44, v2 offset:30
	v_cndmask_b32_e32 v41, 0, v6, vcc_lo
	v_cmp_eq_u32_e32 vcc_lo, 1, v5
	v_and_b32_e32 v5, 1, v38
	s_delay_alu instid0(VALU_DEP_3)
	v_add_nc_u16 v9, v41, v9
	v_cndmask_b32_e64 v4, v4, 1, vcc_lo
	s_wait_dscnt 0x4
	v_cmp_eq_u16_e32 vcc_lo, 0, v40
	v_and_b32_e32 v7, 1, v7
	ds_load_u16 v41, v2 offset:24
	ds_load_u16 v45, v2 offset:28
	v_cndmask_b32_e32 v38, 0, v9, vcc_lo
	v_cmp_eq_u32_e32 vcc_lo, 1, v7
	s_delay_alu instid0(VALU_DEP_2)
	v_add_nc_u16 v38, v38, v39
	v_cndmask_b32_e64 v7, v4, 1, vcc_lo
	v_cmp_eq_u32_e32 vcc_lo, 1, v5
	v_and_b32_e32 v39, 1, v40
	s_wait_dscnt 0x2
	v_and_b32_e32 v46, 1, v44
	v_cndmask_b32_e64 v5, v7, 1, vcc_lo
	v_cmp_eq_u16_e32 vcc_lo, 0, v8
	v_dual_cndmask_b32 v40, 0, v38, vcc_lo :: v_dual_bitop2_b32 v8, 1, v8 bitop3:0x40
	v_cmp_eq_u32_e32 vcc_lo, 1, v39
	s_delay_alu instid0(VALU_DEP_2) | instskip(SKIP_1) | instid1(VALU_DEP_4)
	v_add_nc_u16 v40, v40, v42
	v_cndmask_b32_e64 v39, v5, 1, vcc_lo
	v_cmp_eq_u32_e32 vcc_lo, 1, v8
	v_and_b32_e32 v42, 1, v43
	ds_store_b16 v2, v3 offset:4
	ds_store_b8 v2, v4 offset:6
	ds_store_b16 v2, v6 offset:8
	ds_store_b8 v2, v7 offset:10
	;; [unrolled: 2-line block ×4, first 2 shown]
	v_cndmask_b32_e64 v8, v39, 1, vcc_lo
	v_cmp_eq_u16_e32 vcc_lo, 0, v43
	v_cndmask_b32_e32 v43, 0, v40, vcc_lo
	v_cmp_eq_u32_e32 vcc_lo, 1, v42
	s_wait_dscnt 0x9
	s_delay_alu instid0(VALU_DEP_2) | instskip(SKIP_2) | instid1(VALU_DEP_2)
	v_add_nc_u16 v41, v43, v41
	v_cndmask_b32_e64 v42, v8, 1, vcc_lo
	v_cmp_eq_u32_e32 vcc_lo, 1, v46
	v_cndmask_b32_e64 v43, v42, 1, vcc_lo
	v_cmp_eq_u16_e32 vcc_lo, 0, v44
	v_cndmask_b32_e32 v44, 0, v41, vcc_lo
	s_wait_dscnt 0x8
	s_delay_alu instid0(VALU_DEP_1)
	v_add_nc_u16 v3, v44, v45
	ds_store_b16 v2, v40 offset:20
	ds_store_b8 v2, v8 offset:22
	ds_store_b16 v2, v41 offset:24
	ds_store_b8 v2, v42 offset:26
	;; [unrolled: 2-line block ×3, first 2 shown]
.LBB596_131:
	s_or_b32 exec_lo, exec_lo, s22
	s_wait_dscnt 0x0
	s_barrier_signal -1
	s_barrier_wait -1
	s_and_saveexec_b32 s22, s3
	s_cbranch_execz .LBB596_133
; %bb.132:
	v_add_nc_u32_e32 v2, -1, v0
	s_delay_alu instid0(VALU_DEP_1) | instskip(NEXT) | instid1(VALU_DEP_1)
	v_lshrrev_b32_e32 v3, 3, v2
	v_and_b32_e32 v3, 0x1ffffffc, v3
	s_delay_alu instid0(VALU_DEP_1)
	v_lshl_add_u32 v2, v2, 2, v3
	ds_load_u16 v36, v2
	ds_load_u8 v37, v2 offset:2
.LBB596_133:
	s_or_b32 exec_lo, exec_lo, s22
	s_and_saveexec_b32 s22, s21
	s_cbranch_execz .LBB596_263
; %bb.134:
	v_dual_mov_b32 v9, 0 :: v_dual_add_nc_u32 v38, 32, v18
	v_mbcnt_lo_u32_b32 v39, -1, 0
	ds_load_b32 v2, v9 offset:1048
	v_cmp_eq_u32_e64 s21, 0, v39
	s_and_saveexec_b32 s31, s21
	s_cbranch_execz .LBB596_136
; %bb.135:
	v_mov_b32_e32 v3, 1
	s_wait_dscnt 0x0
	global_store_b64 v38, v[2:3], s[28:29] scale_offset scope:SCOPE_DEV
.LBB596_136:
	s_wait_xcnt 0x0
	s_or_b32 exec_lo, exec_lo, s31
	v_xad_u32 v4, v39, -1, v18
	s_mov_b32 s31, exec_lo
	s_delay_alu instid0(VALU_DEP_1) | instskip(SKIP_4) | instid1(VALU_DEP_1)
	v_add_nc_u32_e32 v8, 32, v4
	global_load_b64 v[6:7], v8, s[28:29] scale_offset scope:SCOPE_DEV
	s_wait_loadcnt 0x0
	v_and_b32_e32 v3, 0xff, v7
	s_wait_xcnt 0x0
	v_cmpx_eq_u16_e32 0, v3
	s_cbranch_execz .LBB596_140
; %bb.137:
	v_lshl_add_u64 v[8:9], v[8:9], 3, s[28:29]
	s_mov_b32 s36, 0
.LBB596_138:                            ; =>This Inner Loop Header: Depth=1
	global_load_b64 v[6:7], v[8:9], off scope:SCOPE_DEV
	s_wait_loadcnt 0x0
	v_and_b32_e32 v3, 0xff, v7
	s_delay_alu instid0(VALU_DEP_1)
	v_cmp_ne_u16_e32 vcc_lo, 0, v3
	s_or_b32 s36, vcc_lo, s36
	s_wait_xcnt 0x0
	s_and_not1_b32 exec_lo, exec_lo, s36
	s_cbranch_execnz .LBB596_138
; %bb.139:
	s_or_b32 exec_lo, exec_lo, s36
.LBB596_140:
	s_delay_alu instid0(SALU_CYCLE_1)
	s_or_b32 exec_lo, exec_lo, s31
	v_cmp_ne_u32_e32 vcc_lo, 31, v39
	v_and_b32_e32 v47, 0xffffff, v6
	v_and_b32_e32 v5, 0xff, v7
	v_lshlrev_b32_e64 v18, v39, -1
	v_bfe_u32 v9, v6, 16, 8
	v_add_co_ci_u32_e64 v3, null, 0, v39, vcc_lo
	s_delay_alu instid0(VALU_DEP_4) | instskip(SKIP_1) | instid1(VALU_DEP_2)
	v_cmp_eq_u16_e32 vcc_lo, 2, v5
	s_mov_b32 s31, exec_lo
	v_dual_lshrrev_b32 v8, 16, v6 :: v_dual_lshlrev_b32 v3, 2, v3
	v_and_or_b32 v5, vcc_lo, v18, 0x80000000
	ds_bpermute_b32 v40, v3, v47
	v_ctz_i32_b32_e32 v5, v5
	s_delay_alu instid0(VALU_DEP_1)
	v_cmpx_lt_u32_e64 v39, v5
	s_cbranch_execz .LBB596_142
; %bb.141:
	v_and_b32_e32 v8, 0xff0000, v6
	s_delay_alu instid0(VALU_DEP_1) | instskip(SKIP_3) | instid1(VALU_DEP_1)
	v_and_b32_e32 v41, 0x10000, v8
	v_cmp_eq_u32_e32 vcc_lo, 0, v8
	s_wait_dscnt 0x0
	v_dual_cndmask_b32 v40, 0, v40 :: v_dual_lshrrev_b32 v9, 16, v40
	v_and_b32_e32 v9, 1, v9
	v_cmp_ne_u32_e32 vcc_lo, 0, v41
	s_delay_alu instid0(VALU_DEP_3) | instskip(NEXT) | instid1(VALU_DEP_3)
	v_add_nc_u16 v6, v40, v6
	v_cndmask_b32_e64 v8, v9, 1, vcc_lo
	s_delay_alu instid0(VALU_DEP_2) | instskip(NEXT) | instid1(VALU_DEP_2)
	v_and_b32_e32 v40, 0xffff, v6
	v_lshlrev_b32_e32 v9, 16, v8
	s_delay_alu instid0(VALU_DEP_1)
	v_dual_mov_b32 v9, v8 :: v_dual_bitop2_b32 v47, v9, v40 bitop3:0x54
.LBB596_142:
	s_or_b32 exec_lo, exec_lo, s31
	v_cmp_gt_u32_e32 vcc_lo, 30, v39
	v_add_nc_u32_e32 v41, 2, v39
	s_mov_b32 s31, exec_lo
	s_wait_dscnt 0x0
	v_cndmask_b32_e64 v40, 0, 2, vcc_lo
	s_delay_alu instid0(VALU_DEP_1)
	v_add_lshl_u32 v40, v40, v39, 2
	ds_bpermute_b32 v42, v40, v47
	v_cmpx_le_u32_e64 v41, v5
	s_cbranch_execz .LBB596_144
; %bb.143:
	v_cmp_eq_u16_e32 vcc_lo, 0, v9
	s_wait_dscnt 0x0
	v_dual_lshrrev_b32 v8, 16, v42 :: v_dual_bitop2_b32 v9, 1, v9 bitop3:0x40
	s_delay_alu instid0(VALU_DEP_1) | instskip(NEXT) | instid1(VALU_DEP_2)
	v_dual_cndmask_b32 v42, 0, v42, vcc_lo :: v_dual_bitop2_b32 v8, 1, v8 bitop3:0x40
	v_cmp_eq_u32_e32 vcc_lo, 1, v9
	s_delay_alu instid0(VALU_DEP_2) | instskip(NEXT) | instid1(VALU_DEP_3)
	v_add_nc_u16 v6, v42, v6
	v_cndmask_b32_e64 v8, v8, 1, vcc_lo
	s_delay_alu instid0(VALU_DEP_2) | instskip(NEXT) | instid1(VALU_DEP_2)
	v_and_b32_e32 v9, 0xffff, v6
	v_lshlrev_b32_e32 v42, 16, v8
	s_delay_alu instid0(VALU_DEP_1)
	v_dual_mov_b32 v9, v8 :: v_dual_bitop2_b32 v47, v42, v9 bitop3:0x54
.LBB596_144:
	s_or_b32 exec_lo, exec_lo, s31
	v_cmp_gt_u32_e32 vcc_lo, 28, v39
	v_add_nc_u32_e32 v43, 4, v39
	s_mov_b32 s31, exec_lo
	s_wait_dscnt 0x0
	v_cndmask_b32_e64 v42, 0, 4, vcc_lo
	s_delay_alu instid0(VALU_DEP_1)
	v_add_lshl_u32 v42, v42, v39, 2
	ds_bpermute_b32 v44, v42, v47
	v_cmpx_le_u32_e64 v43, v5
	s_cbranch_execz .LBB596_146
; %bb.145:
	v_cmp_eq_u16_e32 vcc_lo, 0, v9
	s_wait_dscnt 0x0
	v_dual_lshrrev_b32 v8, 16, v44 :: v_dual_bitop2_b32 v9, 1, v9 bitop3:0x40
	v_cndmask_b32_e32 v44, 0, v44, vcc_lo
	s_delay_alu instid0(VALU_DEP_2) | instskip(NEXT) | instid1(VALU_DEP_3)
	v_and_b32_e32 v8, 1, v8
	v_cmp_eq_u32_e32 vcc_lo, 1, v9
	s_delay_alu instid0(VALU_DEP_3) | instskip(NEXT) | instid1(VALU_DEP_3)
	v_add_nc_u16 v6, v44, v6
	v_cndmask_b32_e64 v8, v8, 1, vcc_lo
	s_delay_alu instid0(VALU_DEP_2) | instskip(NEXT) | instid1(VALU_DEP_2)
	v_and_b32_e32 v9, 0xffff, v6
	v_lshlrev_b32_e32 v44, 16, v8
	s_delay_alu instid0(VALU_DEP_1)
	v_or_b32_e32 v47, v44, v9
	v_mov_b32_e32 v9, v8
.LBB596_146:
	s_or_b32 exec_lo, exec_lo, s31
	v_cmp_gt_u32_e32 vcc_lo, 24, v39
	v_add_nc_u32_e32 v45, 8, v39
	s_mov_b32 s31, exec_lo
	s_wait_dscnt 0x0
	v_cndmask_b32_e64 v44, 0, 8, vcc_lo
	s_delay_alu instid0(VALU_DEP_1)
	v_add_lshl_u32 v44, v44, v39, 2
	ds_bpermute_b32 v46, v44, v47
	v_cmpx_le_u32_e64 v45, v5
	s_cbranch_execz .LBB596_148
; %bb.147:
	v_cmp_eq_u16_e32 vcc_lo, 0, v9
	s_wait_dscnt 0x0
	v_dual_lshrrev_b32 v8, 16, v46 :: v_dual_bitop2_b32 v9, 1, v9 bitop3:0x40
	s_delay_alu instid0(VALU_DEP_1) | instskip(NEXT) | instid1(VALU_DEP_2)
	v_dual_cndmask_b32 v46, 0, v46, vcc_lo :: v_dual_bitop2_b32 v8, 1, v8 bitop3:0x40
	v_cmp_eq_u32_e32 vcc_lo, 1, v9
	s_delay_alu instid0(VALU_DEP_2) | instskip(NEXT) | instid1(VALU_DEP_3)
	v_add_nc_u16 v6, v46, v6
	v_cndmask_b32_e64 v8, v8, 1, vcc_lo
	s_delay_alu instid0(VALU_DEP_2) | instskip(NEXT) | instid1(VALU_DEP_2)
	v_and_b32_e32 v9, 0xffff, v6
	v_lshlrev_b32_e32 v46, 16, v8
	s_delay_alu instid0(VALU_DEP_1)
	v_dual_mov_b32 v9, v8 :: v_dual_bitop2_b32 v47, v46, v9 bitop3:0x54
.LBB596_148:
	s_or_b32 exec_lo, exec_lo, s31
	s_wait_dscnt 0x0
	v_lshl_or_b32 v46, v39, 2, 64
	s_mov_b32 s31, exec_lo
	ds_bpermute_b32 v48, v46, v47
	v_add_nc_u32_e32 v47, 16, v39
	s_delay_alu instid0(VALU_DEP_1)
	v_cmpx_le_u32_e64 v47, v5
	s_cbranch_execz .LBB596_150
; %bb.149:
	v_cmp_eq_u16_e32 vcc_lo, 0, v9
	s_wait_dscnt 0x0
	v_dual_lshrrev_b32 v5, 16, v48 :: v_dual_bitop2_b32 v9, 1, v9 bitop3:0x40
	s_delay_alu instid0(VALU_DEP_1) | instskip(NEXT) | instid1(VALU_DEP_2)
	v_dual_cndmask_b32 v8, 0, v48, vcc_lo :: v_dual_bitop2_b32 v5, 1, v5 bitop3:0x40
	v_cmp_eq_u32_e32 vcc_lo, 1, v9
	s_delay_alu instid0(VALU_DEP_2) | instskip(NEXT) | instid1(VALU_DEP_3)
	v_add_nc_u16 v6, v8, v6
	v_cndmask_b32_e64 v8, v5, 1, vcc_lo
.LBB596_150:
	s_or_b32 exec_lo, exec_lo, s31
	v_mov_b32_e32 v5, 0
	s_branch .LBB596_153
.LBB596_151:                            ;   in Loop: Header=BB596_153 Depth=1
	s_or_b32 exec_lo, exec_lo, s31
	v_and_b32_e32 v8, 0xff, v48
	s_delay_alu instid0(VALU_DEP_2) | instskip(SKIP_2) | instid1(VALU_DEP_3)
	v_and_b32_e32 v9, 1, v9
	v_subrev_nc_u32_e32 v4, 32, v4
	s_mov_b32 s31, 0
	v_cmp_eq_u16_e32 vcc_lo, 0, v8
	v_dual_cndmask_b32 v6, 0, v6, vcc_lo :: v_dual_bitop2_b32 v8, 1, v48 bitop3:0x40
	s_delay_alu instid0(VALU_DEP_1) | instskip(NEXT) | instid1(VALU_DEP_2)
	v_cmp_eq_u32_e32 vcc_lo, 1, v8
	v_add_nc_u16 v6, v6, v49
	v_cndmask_b32_e64 v8, v9, 1, vcc_lo
.LBB596_152:                            ;   in Loop: Header=BB596_153 Depth=1
	s_and_b32 vcc_lo, exec_lo, s31
	s_cbranch_vccnz .LBB596_259
.LBB596_153:                            ; =>This Loop Header: Depth=1
                                        ;     Child Loop BB596_156 Depth 2
	v_and_b32_e32 v7, 0xff, v7
	s_wait_dscnt 0x0
	v_dual_mov_b32 v48, v8 :: v_dual_mov_b32 v49, v6
	s_mov_b32 s31, -1
                                        ; implicit-def: $vgpr8
	s_delay_alu instid0(VALU_DEP_2)
	v_cmp_ne_u16_e32 vcc_lo, 2, v7
                                        ; implicit-def: $vgpr6
	s_cmp_lg_u32 vcc_lo, exec_lo
	s_cbranch_scc1 .LBB596_152
; %bb.154:                              ;   in Loop: Header=BB596_153 Depth=1
	global_load_b64 v[6:7], v4, s[28:29] scale_offset scope:SCOPE_DEV
	s_mov_b32 s31, exec_lo
	s_wait_loadcnt 0x0
	v_and_b32_e32 v8, 0xff, v7
	s_wait_xcnt 0x0
	s_delay_alu instid0(VALU_DEP_1)
	v_cmpx_eq_u16_e32 0, v8
	s_cbranch_execz .LBB596_158
; %bb.155:                              ;   in Loop: Header=BB596_153 Depth=1
	v_lshl_add_u64 v[8:9], v[4:5], 3, s[28:29]
	s_mov_b32 s36, 0
.LBB596_156:                            ;   Parent Loop BB596_153 Depth=1
                                        ; =>  This Inner Loop Header: Depth=2
	global_load_b64 v[6:7], v[8:9], off scope:SCOPE_DEV
	s_wait_loadcnt 0x0
	v_and_b32_e32 v50, 0xff, v7
	s_delay_alu instid0(VALU_DEP_1)
	v_cmp_ne_u16_e32 vcc_lo, 0, v50
	s_or_b32 s36, vcc_lo, s36
	s_wait_xcnt 0x0
	s_and_not1_b32 exec_lo, exec_lo, s36
	s_cbranch_execnz .LBB596_156
; %bb.157:                              ;   in Loop: Header=BB596_153 Depth=1
	s_or_b32 exec_lo, exec_lo, s36
.LBB596_158:                            ;   in Loop: Header=BB596_153 Depth=1
	s_delay_alu instid0(SALU_CYCLE_1)
	s_or_b32 exec_lo, exec_lo, s31
	v_and_b32_e32 v51, 0xffffff, v6
	v_and_b32_e32 v8, 0xff, v7
	v_lshrrev_b32_e32 v9, 16, v6
	v_bfe_u32 v50, v6, 16, 8
	s_mov_b32 s31, exec_lo
	ds_bpermute_b32 v52, v3, v51
	v_cmp_eq_u16_e32 vcc_lo, 2, v8
	v_and_or_b32 v8, vcc_lo, v18, 0x80000000
	s_delay_alu instid0(VALU_DEP_1) | instskip(NEXT) | instid1(VALU_DEP_1)
	v_ctz_i32_b32_e32 v8, v8
	v_cmpx_lt_u32_e64 v39, v8
	s_cbranch_execz .LBB596_160
; %bb.159:                              ;   in Loop: Header=BB596_153 Depth=1
	v_and_b32_e32 v9, 0xff0000, v6
	s_delay_alu instid0(VALU_DEP_1) | instskip(SKIP_3) | instid1(VALU_DEP_1)
	v_and_b32_e32 v51, 0x10000, v9
	v_cmp_eq_u32_e32 vcc_lo, 0, v9
	s_wait_dscnt 0x0
	v_dual_lshrrev_b32 v50, 16, v52 :: v_dual_cndmask_b32 v52, 0, v52, vcc_lo
	v_and_b32_e32 v50, 1, v50
	v_cmp_ne_u32_e32 vcc_lo, 0, v51
	s_delay_alu instid0(VALU_DEP_3) | instskip(NEXT) | instid1(VALU_DEP_3)
	v_add_nc_u16 v6, v52, v6
	v_cndmask_b32_e64 v9, v50, 1, vcc_lo
	s_delay_alu instid0(VALU_DEP_2) | instskip(NEXT) | instid1(VALU_DEP_2)
	v_and_b32_e32 v51, 0xffff, v6
	v_lshlrev_b32_e32 v50, 16, v9
	s_delay_alu instid0(VALU_DEP_1)
	v_dual_mov_b32 v50, v9 :: v_dual_bitop2_b32 v51, v50, v51 bitop3:0x54
.LBB596_160:                            ;   in Loop: Header=BB596_153 Depth=1
	s_or_b32 exec_lo, exec_lo, s31
	s_wait_dscnt 0x0
	ds_bpermute_b32 v52, v40, v51
	s_mov_b32 s31, exec_lo
	v_cmpx_le_u32_e64 v41, v8
	s_cbranch_execz .LBB596_162
; %bb.161:                              ;   in Loop: Header=BB596_153 Depth=1
	v_cmp_eq_u16_e32 vcc_lo, 0, v50
	s_wait_dscnt 0x0
	v_dual_lshrrev_b32 v9, 16, v52 :: v_dual_bitop2_b32 v50, 1, v50 bitop3:0x40
	s_delay_alu instid0(VALU_DEP_1) | instskip(NEXT) | instid1(VALU_DEP_2)
	v_dual_cndmask_b32 v51, 0, v52, vcc_lo :: v_dual_bitop2_b32 v9, 1, v9 bitop3:0x40
	v_cmp_eq_u32_e32 vcc_lo, 1, v50
	s_delay_alu instid0(VALU_DEP_2) | instskip(NEXT) | instid1(VALU_DEP_3)
	v_add_nc_u16 v6, v51, v6
	v_cndmask_b32_e64 v9, v9, 1, vcc_lo
	s_delay_alu instid0(VALU_DEP_2) | instskip(NEXT) | instid1(VALU_DEP_2)
	v_and_b32_e32 v50, 0xffff, v6
	v_lshlrev_b32_e32 v51, 16, v9
	s_delay_alu instid0(VALU_DEP_1)
	v_dual_mov_b32 v50, v9 :: v_dual_bitop2_b32 v51, v51, v50 bitop3:0x54
.LBB596_162:                            ;   in Loop: Header=BB596_153 Depth=1
	s_or_b32 exec_lo, exec_lo, s31
	s_wait_dscnt 0x0
	ds_bpermute_b32 v52, v42, v51
	s_mov_b32 s31, exec_lo
	v_cmpx_le_u32_e64 v43, v8
	s_cbranch_execz .LBB596_164
; %bb.163:                              ;   in Loop: Header=BB596_153 Depth=1
	v_cmp_eq_u16_e32 vcc_lo, 0, v50
	s_wait_dscnt 0x0
	v_dual_lshrrev_b32 v9, 16, v52 :: v_dual_bitop2_b32 v50, 1, v50 bitop3:0x40
	s_delay_alu instid0(VALU_DEP_1) | instskip(NEXT) | instid1(VALU_DEP_2)
	v_dual_cndmask_b32 v51, 0, v52, vcc_lo :: v_dual_bitop2_b32 v9, 1, v9 bitop3:0x40
	v_cmp_eq_u32_e32 vcc_lo, 1, v50
	s_delay_alu instid0(VALU_DEP_2) | instskip(NEXT) | instid1(VALU_DEP_3)
	v_add_nc_u16 v6, v51, v6
	v_cndmask_b32_e64 v9, v9, 1, vcc_lo
	s_delay_alu instid0(VALU_DEP_2) | instskip(NEXT) | instid1(VALU_DEP_2)
	v_and_b32_e32 v50, 0xffff, v6
	v_lshlrev_b32_e32 v51, 16, v9
	s_delay_alu instid0(VALU_DEP_1)
	v_dual_mov_b32 v50, v9 :: v_dual_bitop2_b32 v51, v51, v50 bitop3:0x54
.LBB596_164:                            ;   in Loop: Header=BB596_153 Depth=1
	;; [unrolled: 22-line block ×3, first 2 shown]
	s_or_b32 exec_lo, exec_lo, s31
	ds_bpermute_b32 v51, v46, v51
	s_mov_b32 s31, exec_lo
	v_cmpx_le_u32_e64 v47, v8
	s_cbranch_execz .LBB596_151
; %bb.167:                              ;   in Loop: Header=BB596_153 Depth=1
	v_cmp_eq_u16_e32 vcc_lo, 0, v50
	s_wait_dscnt 0x0
	v_dual_lshrrev_b32 v50, 16, v51 :: v_dual_bitop2_b32 v9, 1, v50 bitop3:0x40
	v_cndmask_b32_e32 v8, 0, v51, vcc_lo
	s_delay_alu instid0(VALU_DEP_2) | instskip(NEXT) | instid1(VALU_DEP_2)
	v_cmp_eq_u32_e32 vcc_lo, 1, v9
	v_add_nc_u16 v6, v8, v6
	s_delay_alu instid0(VALU_DEP_4)
	v_cndmask_b32_e64 v9, v50, 1, vcc_lo
	s_branch .LBB596_151
.LBB596_168:
	s_or_b32 exec_lo, exec_lo, s22
                                        ; implicit-def: $vgpr11
	s_and_saveexec_b32 s22, s1
	s_cbranch_execz .LBB596_49
.LBB596_169:
	flat_load_u16 v11, v0, s[36:37] offset:512 scale_offset
	s_wait_xcnt 0x0
	s_or_b32 exec_lo, exec_lo, s22
                                        ; implicit-def: $vgpr12
	s_and_saveexec_b32 s1, s4
	s_cbranch_execnz .LBB596_50
.LBB596_170:
	s_or_b32 exec_lo, exec_lo, s1
                                        ; implicit-def: $vgpr13
	s_and_saveexec_b32 s1, s5
	s_cbranch_execz .LBB596_51
.LBB596_171:
	flat_load_u16 v13, v0, s[36:37] offset:1536 scale_offset
	s_wait_xcnt 0x0
	s_or_b32 exec_lo, exec_lo, s1
                                        ; implicit-def: $vgpr16
	s_and_saveexec_b32 s1, s6
	s_cbranch_execnz .LBB596_52
.LBB596_172:
	s_or_b32 exec_lo, exec_lo, s1
                                        ; implicit-def: $vgpr17
	s_and_saveexec_b32 s1, s7
	s_cbranch_execz .LBB596_53
.LBB596_173:
	flat_load_u16 v17, v0, s[36:37] offset:2560 scale_offset
	s_wait_xcnt 0x0
	s_or_b32 exec_lo, exec_lo, s1
                                        ; implicit-def: $vgpr19
	s_and_saveexec_b32 s1, s8
	s_cbranch_execnz .LBB596_54
.LBB596_174:
	s_or_b32 exec_lo, exec_lo, s1
                                        ; implicit-def: $vgpr20
	s_and_saveexec_b32 s1, s9
	s_cbranch_execz .LBB596_55
.LBB596_175:
	flat_load_u16 v20, v0, s[36:37] offset:3584 scale_offset
	s_wait_xcnt 0x0
	s_or_b32 exec_lo, exec_lo, s1
                                        ; implicit-def: $vgpr21
	s_and_saveexec_b32 s1, s10
	s_cbranch_execnz .LBB596_56
.LBB596_176:
	s_or_b32 exec_lo, exec_lo, s1
                                        ; implicit-def: $vgpr22
	s_and_saveexec_b32 s1, s11
	s_cbranch_execz .LBB596_57
.LBB596_177:
	flat_load_u16 v22, v0, s[36:37] offset:4608 scale_offset
	s_wait_xcnt 0x0
	s_or_b32 exec_lo, exec_lo, s1
                                        ; implicit-def: $vgpr23
	s_and_saveexec_b32 s1, s12
	s_cbranch_execnz .LBB596_58
.LBB596_178:
	s_or_b32 exec_lo, exec_lo, s1
                                        ; implicit-def: $vgpr24
	s_and_saveexec_b32 s1, s13
	s_cbranch_execz .LBB596_59
.LBB596_179:
	flat_load_u16 v24, v0, s[36:37] offset:5632 scale_offset
	s_wait_xcnt 0x0
	s_or_b32 exec_lo, exec_lo, s1
                                        ; implicit-def: $vgpr25
	s_and_saveexec_b32 s1, s14
	s_cbranch_execnz .LBB596_60
.LBB596_180:
	s_or_b32 exec_lo, exec_lo, s1
                                        ; implicit-def: $vgpr26
	s_and_saveexec_b32 s1, s15
	s_cbranch_execz .LBB596_61
.LBB596_181:
	flat_load_u16 v26, v0, s[36:37] offset:6656 scale_offset
	s_wait_xcnt 0x0
	s_or_b32 exec_lo, exec_lo, s1
                                        ; implicit-def: $vgpr27
	s_and_saveexec_b32 s1, s16
	s_cbranch_execnz .LBB596_62
.LBB596_182:
	s_or_b32 exec_lo, exec_lo, s1
                                        ; implicit-def: $vgpr28
	s_and_saveexec_b32 s1, s17
	s_cbranch_execz .LBB596_63
.LBB596_183:
	flat_load_u16 v28, v0, s[36:37] offset:7680 scale_offset
	s_wait_xcnt 0x0
	s_or_b32 exec_lo, exec_lo, s1
                                        ; implicit-def: $vgpr29
	s_and_saveexec_b32 s1, s18
	s_cbranch_execnz .LBB596_64
.LBB596_184:
	s_or_b32 exec_lo, exec_lo, s1
                                        ; implicit-def: $vgpr30
	s_and_saveexec_b32 s1, s19
	s_cbranch_execz .LBB596_65
.LBB596_185:
	flat_load_u16 v30, v0, s[36:37] offset:8704 scale_offset
	s_wait_xcnt 0x0
	s_or_b32 exec_lo, exec_lo, s1
                                        ; implicit-def: $vgpr31
	s_and_saveexec_b32 s1, s20
	s_cbranch_execz .LBB596_67
	s_branch .LBB596_66
.LBB596_186:
                                        ; implicit-def: $vgpr4
                                        ; implicit-def: $vgpr5
                                        ; implicit-def: $vgpr6
                                        ; implicit-def: $vgpr7
                                        ; implicit-def: $vgpr8
                                        ; implicit-def: $vgpr9
                                        ; implicit-def: $vgpr36
                                        ; implicit-def: $vgpr38
                                        ; implicit-def: $vgpr18
                                        ; implicit-def: $vgpr37
                                        ; implicit-def: $vgpr39
                                        ; implicit-def: $vgpr40
                                        ; implicit-def: $vgpr41
                                        ; implicit-def: $vgpr42
                                        ; implicit-def: $vgpr43
                                        ; implicit-def: $vgpr45
                                        ; implicit-def: $vgpr44
                                        ; implicit-def: $vgpr46
                                        ; implicit-def: $vgpr47
                                        ; implicit-def: $vgpr48
	s_cbranch_execnz .LBB596_264
.LBB596_187:
	s_add_nc_u64 s[2:3], s[26:27], s[34:35]
	s_and_b32 vcc_lo, exec_lo, s0
	s_add_nc_u64 s[0:1], s[2:3], s[24:25]
	s_cbranch_vccz .LBB596_283
.LBB596_188:
	v_mul_u32_u24_e32 v1, 20, v0
	s_add_co_i32 s23, s23, s30
	s_mov_b32 s2, exec_lo
	s_delay_alu instid0(VALU_DEP_1)
	v_cmpx_gt_u32_e64 s23, v1
	s_cbranch_execz .LBB596_220
; %bb.189:
	v_or_b32_e32 v2, 1, v1
	s_mov_b32 s3, exec_lo
	s_delay_alu instid0(VALU_DEP_1)
	v_cmpx_gt_u32_e64 s23, v2
	s_cbranch_execz .LBB596_219
; %bb.190:
	v_or_b32_e32 v2, 2, v1
	s_mov_b32 s4, exec_lo
	s_delay_alu instid0(VALU_DEP_1)
	v_cmpx_gt_u32_e64 s23, v2
	s_cbranch_execz .LBB596_218
; %bb.191:
	v_or_b32_e32 v2, 3, v1
	s_mov_b32 s5, exec_lo
	s_delay_alu instid0(VALU_DEP_1)
	v_cmpx_gt_u32_e64 s23, v2
	s_cbranch_execz .LBB596_217
; %bb.192:
	v_add_nc_u32_e32 v2, 4, v1
	s_mov_b32 s6, exec_lo
	s_delay_alu instid0(VALU_DEP_1)
	v_cmpx_gt_u32_e64 s23, v2
	s_cbranch_execz .LBB596_216
; %bb.193:
	v_add_nc_u32_e32 v2, 5, v1
	;; [unrolled: 6-line block ×12, first 2 shown]
	s_mov_b32 s17, exec_lo
	s_delay_alu instid0(VALU_DEP_1)
	v_cmpx_gt_u32_e64 s23, v2
; %bb.204:
	v_add_nc_u32_e32 v2, 16, v1
	s_mov_b32 s18, exec_lo
	s_delay_alu instid0(VALU_DEP_1)
	v_cmpx_gt_u32_e64 s23, v2
	s_or_b32 exec_lo, exec_lo, s18
; %bb.205:
	s_delay_alu instid0(SALU_CYCLE_1)
	s_or_b32 exec_lo, exec_lo, s17
.LBB596_206:
	s_delay_alu instid0(SALU_CYCLE_1)
	s_or_b32 exec_lo, exec_lo, s16
.LBB596_207:
	s_delay_alu instid0(SALU_CYCLE_1)
	s_or_b32 exec_lo, exec_lo, s15
.LBB596_208:
	s_delay_alu instid0(SALU_CYCLE_1)
	s_or_b32 exec_lo, exec_lo, s14
.LBB596_209:
	s_delay_alu instid0(SALU_CYCLE_1)
	s_or_b32 exec_lo, exec_lo, s13
.LBB596_210:
	s_delay_alu instid0(SALU_CYCLE_1)
	s_or_b32 exec_lo, exec_lo, s12
.LBB596_211:
	s_delay_alu instid0(SALU_CYCLE_1)
	s_or_b32 exec_lo, exec_lo, s11
.LBB596_212:
	s_delay_alu instid0(SALU_CYCLE_1)
	s_or_b32 exec_lo, exec_lo, s10
.LBB596_213:
	s_delay_alu instid0(SALU_CYCLE_1)
	s_or_b32 exec_lo, exec_lo, s9
.LBB596_214:
	s_delay_alu instid0(SALU_CYCLE_1)
	s_or_b32 exec_lo, exec_lo, s8
.LBB596_215:
	s_delay_alu instid0(SALU_CYCLE_1)
	s_or_b32 exec_lo, exec_lo, s7
.LBB596_216:
	s_delay_alu instid0(SALU_CYCLE_1)
	s_or_b32 exec_lo, exec_lo, s6
.LBB596_217:
	s_delay_alu instid0(SALU_CYCLE_1)
	s_or_b32 exec_lo, exec_lo, s5
.LBB596_218:
	s_delay_alu instid0(SALU_CYCLE_1)
	s_or_b32 exec_lo, exec_lo, s4
.LBB596_219:
	s_delay_alu instid0(SALU_CYCLE_1)
	s_or_b32 exec_lo, exec_lo, s3
.LBB596_220:
	s_delay_alu instid0(SALU_CYCLE_1)
	s_or_b32 exec_lo, exec_lo, s2
	v_dual_mov_b32 v21, 0 :: v_dual_lshlrev_b32 v28, 1, v1
	v_perm_b32 v3, v38, v36, 0x5040100
	v_perm_b32 v2, v9, v8, 0x5040100
	;; [unrolled: 1-line block ×4, first 2 shown]
	v_mad_i32_i24 v1, 0xffffffda, v0, v28
	v_perm_b32 v13, v45, v43, 0x5040100
	v_perm_b32 v12, v42, v41, 0x5040100
	v_perm_b32 v15, v40, v39, 0x5040100
	v_perm_b32 v14, v37, v18, 0x5040100
	v_perm_b32 v17, v48, v47, 0x5040100
	v_perm_b32 v16, v46, v44, 0x5040100
	s_wait_storecnt 0x0
	s_barrier_signal -1
	s_barrier_wait -1
	ds_store_2addr_b64 v28, v[10:11], v[2:3] offset1:1
	ds_store_2addr_b64 v28, v[14:15], v[12:13] offset0:2 offset1:3
	ds_store_b64 v28, v[16:17] offset:32
	s_wait_dscnt 0x0
	s_barrier_signal -1
	s_barrier_wait -1
	ds_load_u16 v31, v1 offset:512
	ds_load_u16 v30, v1 offset:1024
	;; [unrolled: 1-line block ×19, first 2 shown]
	v_add_nc_u64_e32 v[2:3], s[0:1], v[20:21]
	s_mov_b32 s2, exec_lo
	v_cmpx_gt_u32_e64 s23, v0
	s_cbranch_execz .LBB596_222
; %bb.221:
	v_mul_i32_i24_e32 v20, 0xffffffda, v0
	s_delay_alu instid0(VALU_DEP_1)
	v_add_nc_u32_e32 v20, v28, v20
	ds_load_u16 v20, v20
	s_wait_dscnt 0x0
	flat_store_b16 v[2:3], v20
.LBB596_222:
	s_wait_xcnt 0x0
	s_or_b32 exec_lo, exec_lo, s2
	v_or_b32_e32 v20, 0x100, v0
	s_mov_b32 s2, exec_lo
	s_delay_alu instid0(VALU_DEP_1)
	v_cmpx_gt_u32_e64 s23, v20
	s_cbranch_execz .LBB596_224
; %bb.223:
	s_wait_dscnt 0x12
	flat_store_b16 v[2:3], v31 offset:512
.LBB596_224:
	s_wait_xcnt 0x0
	s_or_b32 exec_lo, exec_lo, s2
	v_or_b32_e32 v20, 0x200, v0
	s_mov_b32 s2, exec_lo
	s_delay_alu instid0(VALU_DEP_1)
	v_cmpx_gt_u32_e64 s23, v20
	s_cbranch_execz .LBB596_226
; %bb.225:
	s_wait_dscnt 0x11
	flat_store_b16 v[2:3], v30 offset:1024
.LBB596_226:
	;; [unrolled: 11-line block ×10, first 2 shown]
	s_wait_xcnt 0x0
	s_or_b32 exec_lo, exec_lo, s2
	s_wait_dscnt 0x9
	v_or_b32_e32 v19, 0xb00, v0
	s_mov_b32 s2, exec_lo
	s_delay_alu instid0(VALU_DEP_1)
	v_cmpx_gt_u32_e64 s23, v19
	s_cbranch_execz .LBB596_244
; %bb.243:
	s_wait_dscnt 0x8
	flat_store_b16 v[2:3], v17 offset:5632
.LBB596_244:
	s_wait_xcnt 0x0
	s_or_b32 exec_lo, exec_lo, s2
	s_wait_dscnt 0x8
	v_or_b32_e32 v17, 0xc00, v0
	s_mov_b32 s2, exec_lo
	s_delay_alu instid0(VALU_DEP_1)
	v_cmpx_gt_u32_e64 s23, v17
	s_cbranch_execz .LBB596_246
; %bb.245:
	s_wait_dscnt 0x7
	flat_store_b16 v[2:3], v16 offset:6144
.LBB596_246:
	s_wait_xcnt 0x0
	s_or_b32 exec_lo, exec_lo, s2
	s_wait_dscnt 0x7
	v_or_b32_e32 v16, 0xd00, v0
	s_mov_b32 s2, exec_lo
	s_delay_alu instid0(VALU_DEP_1)
	v_cmpx_gt_u32_e64 s23, v16
	s_cbranch_execz .LBB596_248
; %bb.247:
	s_wait_dscnt 0x6
	flat_store_b16 v[2:3], v15 offset:6656
.LBB596_248:
	s_wait_xcnt 0x0
	s_or_b32 exec_lo, exec_lo, s2
	s_wait_dscnt 0x6
	v_or_b32_e32 v15, 0xe00, v0
	s_mov_b32 s2, exec_lo
	s_delay_alu instid0(VALU_DEP_1)
	v_cmpx_gt_u32_e64 s23, v15
	s_cbranch_execz .LBB596_250
; %bb.249:
	s_wait_dscnt 0x5
	flat_store_b16 v[2:3], v14 offset:7168
.LBB596_250:
	s_wait_xcnt 0x0
	s_or_b32 exec_lo, exec_lo, s2
	s_wait_dscnt 0x5
	v_or_b32_e32 v14, 0xf00, v0
	s_mov_b32 s2, exec_lo
	s_delay_alu instid0(VALU_DEP_1)
	v_cmpx_gt_u32_e64 s23, v14
	s_cbranch_execz .LBB596_252
; %bb.251:
	s_wait_dscnt 0x4
	flat_store_b16 v[2:3], v13 offset:7680
.LBB596_252:
	s_wait_xcnt 0x0
	s_or_b32 exec_lo, exec_lo, s2
	s_wait_dscnt 0x4
	v_or_b32_e32 v13, 0x1000, v0
	s_mov_b32 s2, exec_lo
	s_delay_alu instid0(VALU_DEP_1)
	v_cmpx_gt_u32_e64 s23, v13
	s_cbranch_execz .LBB596_254
; %bb.253:
	s_wait_dscnt 0x3
	flat_store_b16 v[2:3], v12 offset:8192
.LBB596_254:
	s_wait_xcnt 0x0
	s_or_b32 exec_lo, exec_lo, s2
	s_wait_dscnt 0x3
	v_or_b32_e32 v12, 0x1100, v0
	s_mov_b32 s2, exec_lo
	s_delay_alu instid0(VALU_DEP_1)
	v_cmpx_gt_u32_e64 s23, v12
	s_cbranch_execz .LBB596_256
; %bb.255:
	s_wait_dscnt 0x2
	flat_store_b16 v[2:3], v11 offset:8704
.LBB596_256:
	s_wait_xcnt 0x0
	s_or_b32 exec_lo, exec_lo, s2
	s_wait_dscnt 0x2
	v_or_b32_e32 v11, 0x1200, v0
	s_mov_b32 s2, exec_lo
	s_delay_alu instid0(VALU_DEP_1)
	v_cmpx_gt_u32_e64 s23, v11
	s_cbranch_execz .LBB596_258
; %bb.257:
	s_wait_dscnt 0x1
	flat_store_b16 v[2:3], v10 offset:9216
.LBB596_258:
	s_wait_xcnt 0x0
	s_or_b32 exec_lo, exec_lo, s2
	v_or_b32_e32 v2, 0x1300, v0
	s_delay_alu instid0(VALU_DEP_1)
	v_cmp_gt_u32_e64 s2, s23, v2
	s_branch .LBB596_285
.LBB596_259:
	s_and_saveexec_b32 s31, s21
	s_cbranch_execz .LBB596_261
; %bb.260:
	v_and_b32_e32 v3, 0xff0000, v2
	v_and_b32_e32 v5, 0x10000, v2
	s_delay_alu instid0(VALU_DEP_2) | instskip(SKIP_1) | instid1(VALU_DEP_3)
	v_cmp_eq_u32_e32 vcc_lo, 0, v3
	v_dual_cndmask_b32 v3, 0, v49, vcc_lo :: v_dual_bitop2_b32 v4, 1, v48 bitop3:0x40
	v_cmp_eq_u32_e32 vcc_lo, 0, v5
	s_delay_alu instid0(VALU_DEP_2) | instskip(NEXT) | instid1(VALU_DEP_1)
	v_add_nc_u16 v2, v3, v2
	v_and_b32_e32 v2, 0xffff, v2
	s_delay_alu instid0(VALU_DEP_4) | instskip(NEXT) | instid1(VALU_DEP_1)
	v_lshlrev_b32_e32 v4, 16, v4
	v_cndmask_b32_e32 v3, 0x10000, v4, vcc_lo
	s_delay_alu instid0(VALU_DEP_1)
	v_dual_mov_b32 v3, 2 :: v_dual_bitop2_b32 v2, v3, v2 bitop3:0x54
	global_store_b64 v38, v[2:3], s[28:29] scale_offset scope:SCOPE_DEV
.LBB596_261:
	s_wait_xcnt 0x0
	s_or_b32 exec_lo, exec_lo, s31
	s_delay_alu instid0(SALU_CYCLE_1)
	s_and_b32 exec_lo, exec_lo, s2
	s_cbranch_execz .LBB596_263
; %bb.262:
	v_mov_b32_e32 v2, 0
	ds_store_b16 v2, v49
	ds_store_b8 v2, v48 offset:2
.LBB596_263:
	s_or_b32 exec_lo, exec_lo, s22
	v_mov_b32_e32 v2, 0
	s_wait_storecnt_dscnt 0x0
	s_barrier_signal -1
	s_barrier_wait -1
	ds_load_b32 v2, v2
	v_and_b32_e32 v3, 0xff, v37
	v_and_b32_e32 v5, 0xff0000, v32
	s_delay_alu instid0(VALU_DEP_2) | instskip(SKIP_2) | instid1(VALU_DEP_3)
	v_cmp_eq_u16_e32 vcc_lo, 0, v3
	s_wait_dscnt 0x0
	v_cndmask_b32_e32 v3, 0, v2, vcc_lo
	v_cmp_eq_u32_e32 vcc_lo, 0, v5
	s_delay_alu instid0(VALU_DEP_2) | instskip(NEXT) | instid1(VALU_DEP_1)
	v_add_nc_u16 v3, v3, v36
	v_cndmask_b32_e64 v4, v3, v2, s2
	s_delay_alu instid0(VALU_DEP_1) | instskip(NEXT) | instid1(VALU_DEP_1)
	v_cndmask_b32_e32 v2, 0, v4, vcc_lo
	v_add_nc_u16 v5, v2, v32
	s_delay_alu instid0(VALU_DEP_1) | instskip(NEXT) | instid1(VALU_DEP_1)
	v_cndmask_b32_e64 v2, 0, v5, s20
	v_add_nc_u16 v6, v2, v11
	s_delay_alu instid0(VALU_DEP_1) | instskip(NEXT) | instid1(VALU_DEP_1)
	v_cndmask_b32_e64 v2, 0, v6, s19
	;; [unrolled: 3-line block ×18, first 2 shown]
	v_add_nc_u16 v48, v2, v1
	s_branch .LBB596_187
.LBB596_264:
	s_cmp_eq_u64 s[40:41], 0
	v_mov_b32_e32 v2, s33
	s_cselect_b32 s1, -1, 0
	s_cmp_eq_u64 s[38:39], 0
	s_cselect_b32 s4, -1, 0
	s_delay_alu instid0(SALU_CYCLE_1) | instskip(NEXT) | instid1(SALU_CYCLE_1)
	s_or_b32 s1, s1, s4
	s_and_b32 vcc_lo, exec_lo, s1
	s_cbranch_vccnz .LBB596_266
; %bb.265:
	v_mov_b32_e32 v2, 0
	global_load_u16 v2, v2, s[38:39]
.LBB596_266:
	v_cmp_gt_u32_e32 vcc_lo, 0x10000, v11
	v_cmp_gt_u32_e64 s1, 0x10000, v10
	v_cmp_gt_u32_e64 s4, 0x10000, v33
	;; [unrolled: 1-line block ×4, first 2 shown]
	v_dual_cndmask_b32 v3, 0, v32, vcc_lo :: v_dual_bitop2_b32 v6, 28, v34 bitop3:0x40
	v_cmp_gt_u32_e64 s7, 0x10000, v29
	v_cmp_gt_u32_e64 s8, 0x10000, v28
	;; [unrolled: 1-line block ×3, first 2 shown]
	s_delay_alu instid0(VALU_DEP_4)
	v_add_nc_u16 v3, v3, v11
	v_cmp_gt_u32_e64 s10, 0x10000, v26
	v_cmp_gt_u32_e64 s11, 0x10000, v25
	;; [unrolled: 1-line block ×4, first 2 shown]
	v_cndmask_b32_e64 v3, 0, v3, s1
	v_cmp_gt_u32_e64 s14, 0x10000, v22
	v_cmp_gt_u32_e64 s15, 0x10000, v21
	v_cmp_gt_u32_e64 s16, 0x10000, v19
	v_cmp_gt_u32_e64 s17, 0x10000, v17
	v_add_nc_u16 v3, v3, v10
	v_cmp_gt_u32_e64 s18, 0x10000, v16
	v_or3_b32 v4, v35, v23, v24
	v_or3_b32 v5, v15, v31, v33
	v_cmp_gt_u32_e64 s19, 0x10000, v1
	v_cndmask_b32_e64 v3, 0, v3, s4
	v_cmp_gt_u32_e64 s20, 0x10000, v12
	v_or3_b32 v4, v4, v25, v26
	v_or3_b32 v5, v5, v10, v11
	v_lshl_add_u32 v6, v0, 2, v6
	v_add_nc_u16 v3, v3, v33
	s_mov_b32 s21, exec_lo
	v_or3_b32 v4, v12, v13, v4
	s_delay_alu instid0(VALU_DEP_2) | instskip(NEXT) | instid1(VALU_DEP_2)
	v_cndmask_b32_e64 v3, 0, v3, s5
	v_bitop3_b32 v5, v4, 0xff0000, v5 bitop3:0xc8
	s_delay_alu instid0(VALU_DEP_2) | instskip(NEXT) | instid1(VALU_DEP_1)
	v_add_nc_u16 v3, v3, v31
	v_cndmask_b32_e64 v3, 0, v3, s6
	s_delay_alu instid0(VALU_DEP_1) | instskip(NEXT) | instid1(VALU_DEP_1)
	v_add_nc_u16 v3, v3, v30
	v_cndmask_b32_e64 v3, 0, v3, s7
	s_delay_alu instid0(VALU_DEP_1) | instskip(NEXT) | instid1(VALU_DEP_1)
	;; [unrolled: 3-line block ×14, first 2 shown]
	v_add_nc_u16 v3, v3, v1
	v_cndmask_b32_e64 v3, 0, v3, s20
	v_cmp_eq_u32_e64 s20, 0, v5
	s_delay_alu instid0(VALU_DEP_2) | instskip(NEXT) | instid1(VALU_DEP_2)
	v_add_nc_u16 v4, v3, v12
	v_cndmask_b32_e64 v5, 1, v14, s20
	ds_store_b16 v6, v4
	ds_store_b8 v6, v5 offset:2
	s_wait_loadcnt_dscnt 0x0
	s_barrier_signal -1
	s_barrier_wait -1
	v_cmpx_gt_u32_e32 32, v0
	s_cbranch_execz .LBB596_278
; %bb.267:
	v_and_b32_e32 v3, 0xfc, v0
	v_lshlrev_b32_e32 v6, 5, v0
	s_mov_b32 s22, exec_lo
	s_delay_alu instid0(VALU_DEP_1)
	v_add_nc_u32_e32 v3, v3, v6
	ds_load_u8 v7, v3 offset:6
	ds_load_b32 v6, v3
	ds_load_u16 v8, v3 offset:4
	ds_load_u8 v9, v3 offset:10
	ds_load_u16 v12, v3 offset:8
	ds_load_u16 v13, v3 offset:12
	ds_load_u8 v14, v3 offset:14
	ds_load_u16 v15, v3 offset:16
	s_wait_dscnt 0x7
	v_cmp_eq_u16_e64 s20, 0, v7
	s_wait_dscnt 0x4
	s_delay_alu instid0(VALU_DEP_1) | instskip(SKIP_1) | instid1(VALU_DEP_2)
	v_dual_cndmask_b32 v18, 0, v6, s20 :: v_dual_bitop2_b32 v7, v9, v7 bitop3:0x54
	v_cmp_eq_u16_e64 s20, 0, v9
	v_add_nc_u16 v8, v18, v8
	ds_load_u8 v18, v3 offset:18
	v_cndmask_b32_e64 v8, 0, v8, s20
	s_wait_dscnt 0x2
	v_cmp_eq_u16_e64 s20, 0, v14
	s_delay_alu instid0(VALU_DEP_2) | instskip(SKIP_2) | instid1(VALU_DEP_1)
	v_add_nc_u16 v8, v8, v12
	ds_load_u8 v12, v3 offset:22
	v_cndmask_b32_e64 v8, 0, v8, s20
	v_add_nc_u16 v8, v8, v13
	s_wait_dscnt 0x1
	v_cmp_eq_u16_e64 s20, 0, v18
	ds_load_u16 v13, v3 offset:20
	ds_load_u16 v34, v3 offset:24
	ds_load_u8 v35, v3 offset:26
	ds_load_u16 v36, v3 offset:28
	ds_load_u8 v37, v3 offset:30
	v_bitop3_b16 v9, v7, v18, v14 bitop3:0xfe
	v_and_b32_e32 v7, 0x10000, v6
	v_cndmask_b32_e64 v8, 0, v8, s20
	s_delay_alu instid0(VALU_DEP_1) | instskip(SKIP_2) | instid1(VALU_DEP_1)
	v_add_nc_u16 v8, v8, v15
	s_wait_dscnt 0x5
	v_cmp_eq_u16_e64 s20, 0, v12
	v_cndmask_b32_e64 v8, 0, v8, s20
	s_wait_dscnt 0x2
	v_cmp_eq_u16_e64 s20, 0, v35
	v_bitop3_b16 v9, v9, v35, v12 bitop3:0xfe
	s_delay_alu instid0(VALU_DEP_3) | instskip(SKIP_1) | instid1(VALU_DEP_1)
	v_add_nc_u16 v8, v8, v13
	s_wait_dscnt 0x0
	v_dual_cndmask_b32 v8, 0, v8, s20 :: v_dual_bitop2_b32 v12, 1, v37 bitop3:0x40
	v_cmp_eq_u16_e64 s20, 0, v37
	s_delay_alu instid0(VALU_DEP_2) | instskip(NEXT) | instid1(VALU_DEP_1)
	v_add_nc_u16 v8, v8, v34
	v_cndmask_b32_e64 v8, 0, v8, s20
	v_cmp_eq_u16_e64 s20, 0, v9
	s_delay_alu instid0(VALU_DEP_2) | instskip(NEXT) | instid1(VALU_DEP_2)
	v_add_nc_u16 v9, v8, v36
	v_cndmask_b32_e64 v13, 0x10000, v7, s20
	v_cmp_eq_u32_e64 s20, 1, v12
	v_and_b32_e32 v8, 0xff000000, v6
	v_mbcnt_lo_u32_b32 v12, -1, 0
	v_and_b32_e32 v14, 0xffff, v9
	s_delay_alu instid0(VALU_DEP_4) | instskip(NEXT) | instid1(VALU_DEP_1)
	v_cndmask_b32_e64 v13, v13, 0x10000, s20
	v_or_b32_e32 v15, v13, v8
	s_delay_alu instid0(VALU_DEP_3) | instskip(NEXT) | instid1(VALU_DEP_2)
	v_or3_b32 v18, v8, v14, v13
	v_dual_lshrrev_b32 v14, 16, v15 :: v_dual_bitop2_b32 v13, 15, v12 bitop3:0x40
	s_delay_alu instid0(VALU_DEP_2) | instskip(NEXT) | instid1(VALU_DEP_2)
	v_mov_b32_dpp v34, v18 row_shr:1 row_mask:0xf bank_mask:0xf
	v_cmpx_ne_u32_e32 0, v13
	s_cbranch_execz .LBB596_269
; %bb.268:
	s_delay_alu instid0(VALU_DEP_2) | instskip(SKIP_1) | instid1(VALU_DEP_2)
	v_dual_lshrrev_b32 v14, 16, v15 :: v_dual_lshrrev_b32 v18, 16, v34
	v_and_b32_e32 v15, 0x10000, v15
	v_and_b32_e32 v14, 0xff, v14
	s_delay_alu instid0(VALU_DEP_3) | instskip(NEXT) | instid1(VALU_DEP_2)
	v_and_b32_e32 v18, 1, v18
	v_cmp_eq_u16_e64 s20, 0, v14
	s_delay_alu instid0(VALU_DEP_1) | instskip(SKIP_1) | instid1(VALU_DEP_2)
	v_cndmask_b32_e64 v34, 0, v34, s20
	v_cmp_ne_u32_e64 s20, 0, v15
	v_add_nc_u16 v9, v34, v9
	s_delay_alu instid0(VALU_DEP_2) | instskip(NEXT) | instid1(VALU_DEP_2)
	v_cndmask_b32_e64 v14, v18, 1, s20
	v_and_b32_e32 v18, 0xffff, v9
	s_delay_alu instid0(VALU_DEP_2) | instskip(NEXT) | instid1(VALU_DEP_1)
	v_lshlrev_b32_e32 v15, 16, v14
	v_or3_b32 v18, v15, v18, v8
.LBB596_269:
	s_or_b32 exec_lo, exec_lo, s22
	s_delay_alu instid0(VALU_DEP_1)
	v_lshrrev_b32_e32 v15, 16, v18
	v_mov_b32_dpp v34, v18 row_shr:2 row_mask:0xf bank_mask:0xf
	s_mov_b32 s22, exec_lo
	v_cmpx_lt_u32_e32 1, v13
	s_cbranch_execz .LBB596_271
; %bb.270:
	v_and_b32_e32 v15, 0xff, v15
	v_and_b32_e32 v18, 0x10000, v18
	s_delay_alu instid0(VALU_DEP_2) | instskip(NEXT) | instid1(VALU_DEP_1)
	v_cmp_eq_u16_e64 s20, 0, v15
	v_dual_lshrrev_b32 v14, 16, v34 :: v_dual_cndmask_b32 v15, 0, v34, s20
	s_delay_alu instid0(VALU_DEP_1) | instskip(NEXT) | instid1(VALU_DEP_4)
	v_and_b32_e32 v14, 1, v14
	v_cmp_ne_u32_e64 s20, 0, v18
	s_delay_alu instid0(VALU_DEP_3) | instskip(NEXT) | instid1(VALU_DEP_2)
	v_add_nc_u16 v9, v15, v9
	v_cndmask_b32_e64 v14, v14, 1, s20
	s_delay_alu instid0(VALU_DEP_2) | instskip(NEXT) | instid1(VALU_DEP_2)
	v_and_b32_e32 v18, 0xffff, v9
	v_lshlrev_b32_e32 v15, 16, v14
	s_delay_alu instid0(VALU_DEP_1)
	v_or3_b32 v18, v15, v18, v8
	v_mov_b32_e32 v15, v14
.LBB596_271:
	s_or_b32 exec_lo, exec_lo, s22
	s_delay_alu instid0(VALU_DEP_2)
	v_mov_b32_dpp v34, v18 row_shr:4 row_mask:0xf bank_mask:0xf
	s_mov_b32 s22, exec_lo
	v_cmpx_lt_u32_e32 3, v13
	s_cbranch_execz .LBB596_273
; %bb.272:
	v_and_b32_e32 v18, 0xff, v15
	v_dual_lshrrev_b32 v14, 16, v34 :: v_dual_bitop2_b32 v15, 1, v15 bitop3:0x40
	s_delay_alu instid0(VALU_DEP_2) | instskip(NEXT) | instid1(VALU_DEP_2)
	v_cmp_eq_u16_e64 s20, 0, v18
	v_and_b32_e32 v14, 1, v14
	s_delay_alu instid0(VALU_DEP_2) | instskip(NEXT) | instid1(VALU_DEP_4)
	v_cndmask_b32_e64 v18, 0, v34, s20
	v_cmp_eq_u32_e64 s20, 1, v15
	s_delay_alu instid0(VALU_DEP_2) | instskip(NEXT) | instid1(VALU_DEP_2)
	v_add_nc_u16 v9, v18, v9
	v_cndmask_b32_e64 v14, v14, 1, s20
	s_delay_alu instid0(VALU_DEP_2) | instskip(NEXT) | instid1(VALU_DEP_2)
	v_and_b32_e32 v18, 0xffff, v9
	v_lshlrev_b32_e32 v15, 16, v14
	s_delay_alu instid0(VALU_DEP_1)
	v_or3_b32 v18, v15, v18, v8
	v_mov_b32_e32 v15, v14
.LBB596_273:
	s_or_b32 exec_lo, exec_lo, s22
	s_delay_alu instid0(VALU_DEP_2)
	v_mov_b32_dpp v34, v18 row_shr:8 row_mask:0xf bank_mask:0xf
	s_mov_b32 s22, exec_lo
	v_cmpx_lt_u32_e32 7, v13
	s_cbranch_execz .LBB596_275
; %bb.274:
	v_and_b32_e32 v14, 0xff, v15
	v_dual_lshrrev_b32 v13, 16, v34 :: v_dual_bitop2_b32 v15, 1, v15 bitop3:0x40
	s_delay_alu instid0(VALU_DEP_2) | instskip(NEXT) | instid1(VALU_DEP_1)
	v_cmp_eq_u16_e64 s20, 0, v14
	v_dual_cndmask_b32 v18, 0, v34, s20 :: v_dual_bitop2_b32 v13, 1, v13 bitop3:0x40
	s_delay_alu instid0(VALU_DEP_3) | instskip(NEXT) | instid1(VALU_DEP_2)
	v_cmp_eq_u32_e64 s20, 1, v15
	v_add_nc_u16 v9, v18, v9
	s_delay_alu instid0(VALU_DEP_2) | instskip(NEXT) | instid1(VALU_DEP_2)
	v_cndmask_b32_e64 v14, v13, 1, s20
	v_and_b32_e32 v15, 0xffff, v9
	s_delay_alu instid0(VALU_DEP_2) | instskip(NEXT) | instid1(VALU_DEP_1)
	v_lshlrev_b32_e32 v13, 16, v14
	v_or3_b32 v18, v13, v15, v8
	v_mov_b32_e32 v15, v14
.LBB596_275:
	s_or_b32 exec_lo, exec_lo, s22
	ds_swizzle_b32 v13, v18 offset:swizzle(BROADCAST,32,15)
	v_and_b32_e32 v18, 16, v12
	s_mov_b32 s22, exec_lo
	s_delay_alu instid0(VALU_DEP_1)
	v_cmpx_ne_u32_e32 0, v18
	s_cbranch_execz .LBB596_277
; %bb.276:
	v_and_b32_e32 v14, 0xff, v15
	s_delay_alu instid0(VALU_DEP_1) | instskip(SKIP_2) | instid1(VALU_DEP_1)
	v_cmp_eq_u16_e64 s20, 0, v14
	s_wait_dscnt 0x0
	v_dual_lshrrev_b32 v18, 16, v13 :: v_dual_bitop2_b32 v14, 1, v15 bitop3:0x40
	v_dual_cndmask_b32 v13, 0, v13, s20 :: v_dual_bitop2_b32 v15, 1, v18 bitop3:0x40
	s_delay_alu instid0(VALU_DEP_2) | instskip(NEXT) | instid1(VALU_DEP_2)
	v_cmp_eq_u32_e64 s20, 1, v14
	v_add_nc_u16 v9, v13, v9
	s_delay_alu instid0(VALU_DEP_2)
	v_cndmask_b32_e64 v14, v15, 1, s20
.LBB596_277:
	s_or_b32 exec_lo, exec_lo, s22
	s_wait_dscnt 0x0
	s_delay_alu instid0(VALU_DEP_1) | instskip(SKIP_2) | instid1(VALU_DEP_3)
	v_and_b32_e32 v13, 0xff, v14
	v_add_nc_u32_e32 v14, -1, v12
	v_and_b32_e32 v9, 0xffff, v9
	; wave barrier
	v_lshlrev_b32_e32 v13, 16, v13
	s_delay_alu instid0(VALU_DEP_3) | instskip(NEXT) | instid1(VALU_DEP_2)
	v_cmp_gt_i32_e64 s20, 0, v14
	v_or3_b32 v8, v13, v9, v8
	s_delay_alu instid0(VALU_DEP_2) | instskip(NEXT) | instid1(VALU_DEP_1)
	v_cndmask_b32_e64 v12, v14, v12, s20
	v_lshlrev_b32_e32 v9, 2, v12
	ds_bpermute_b32 v8, v9, v8
	v_and_b32_e32 v9, 0xff0000, v6
	s_delay_alu instid0(VALU_DEP_1) | instskip(SKIP_1) | instid1(VALU_DEP_1)
	v_cmp_eq_u32_e64 s20, 0, v9
	s_wait_dscnt 0x0
	v_dual_lshrrev_b32 v12, 16, v8 :: v_dual_cndmask_b32 v8, 0, v8, s20
	v_cmp_eq_u32_e64 s20, 0, v7
	s_delay_alu instid0(VALU_DEP_2) | instskip(NEXT) | instid1(VALU_DEP_3)
	v_and_b32_e32 v9, 1, v12
	v_add_nc_u16 v6, v8, v6
	s_delay_alu instid0(VALU_DEP_1) | instskip(NEXT) | instid1(VALU_DEP_1)
	v_dual_cndmask_b32 v7, 1, v9, s20 :: v_dual_cndmask_b32 v4, v6, v4, s2
	v_cndmask_b32_e64 v5, v7, v5, s2
	ds_store_b16 v3, v4
	ds_store_b8 v3, v5 offset:2
	; wave barrier
	ds_load_u8 v6, v3 offset:6
	ds_load_u16 v7, v3 offset:4
	ds_load_u8 v8, v3 offset:10
	ds_load_u16 v9, v3 offset:8
	ds_load_u16 v12, v3 offset:12
	ds_load_u8 v13, v3 offset:14
	ds_load_u16 v14, v3 offset:16
	ds_load_u8 v15, v3 offset:18
	s_wait_dscnt 0x7
	v_cmp_eq_u16_e64 s20, 0, v6
	s_delay_alu instid0(VALU_DEP_1) | instskip(SKIP_2) | instid1(VALU_DEP_2)
	v_dual_cndmask_b32 v4, 0, v4, s20 :: v_dual_bitop2_b32 v6, 1, v6 bitop3:0x40
	s_wait_dscnt 0x5
	v_cmp_eq_u16_e64 s20, 0, v8
	v_add_nc_u16 v4, v4, v7
	s_delay_alu instid0(VALU_DEP_1) | instskip(SKIP_2) | instid1(VALU_DEP_2)
	v_cndmask_b32_e64 v7, 0, v4, s20
	s_wait_dscnt 0x2
	v_cmp_eq_u16_e64 s20, 0, v13
	v_add_nc_u16 v7, v7, v9
	ds_load_u8 v9, v3 offset:22
	ds_load_u16 v34, v3 offset:20
	ds_load_u8 v35, v3 offset:26
	ds_load_u8 v36, v3 offset:30
	v_cndmask_b32_e64 v18, 0, v7, s20
	v_cmp_eq_u32_e64 s20, 1, v6
	v_and_b32_e32 v6, 1, v13
	s_delay_alu instid0(VALU_DEP_3) | instskip(NEXT) | instid1(VALU_DEP_3)
	v_add_nc_u16 v12, v18, v12
	v_cndmask_b32_e64 v5, v5, 1, s20
	s_wait_dscnt 0x4
	v_cmp_eq_u16_e64 s20, 0, v15
	ds_load_u16 v18, v3 offset:24
	ds_load_u16 v37, v3 offset:28
	v_cndmask_b32_e64 v13, 0, v12, s20
	s_delay_alu instid0(VALU_DEP_1) | instskip(SKIP_4) | instid1(VALU_DEP_3)
	v_add_nc_u16 v13, v13, v14
	v_and_b32_e32 v8, 1, v8
	v_and_b32_e32 v14, 1, v15
	s_wait_dscnt 0x2
	v_and_b32_e32 v38, 1, v36
	v_cmp_eq_u32_e64 s20, 1, v8
	s_delay_alu instid0(VALU_DEP_1) | instskip(SKIP_1) | instid1(VALU_DEP_1)
	v_cndmask_b32_e64 v8, v5, 1, s20
	v_cmp_eq_u32_e64 s20, 1, v6
	v_cndmask_b32_e64 v6, v8, 1, s20
	v_cmp_eq_u16_e64 s20, 0, v9
	v_and_b32_e32 v9, 1, v9
	s_delay_alu instid0(VALU_DEP_2) | instskip(SKIP_1) | instid1(VALU_DEP_2)
	v_cndmask_b32_e64 v15, 0, v13, s20
	v_cmp_eq_u32_e64 s20, 1, v14
	v_add_nc_u16 v15, v15, v34
	s_delay_alu instid0(VALU_DEP_2)
	v_cndmask_b32_e64 v14, v6, 1, s20
	v_cmp_eq_u32_e64 s20, 1, v9
	v_and_b32_e32 v34, 1, v35
	ds_store_b16 v3, v4 offset:4
	ds_store_b8 v3, v5 offset:6
	ds_store_b16 v3, v7 offset:8
	ds_store_b8 v3, v8 offset:10
	;; [unrolled: 2-line block ×4, first 2 shown]
	v_cndmask_b32_e64 v9, v14, 1, s20
	v_cmp_eq_u16_e64 s20, 0, v35
	s_delay_alu instid0(VALU_DEP_1) | instskip(SKIP_2) | instid1(VALU_DEP_2)
	v_cndmask_b32_e64 v35, 0, v15, s20
	v_cmp_eq_u32_e64 s20, 1, v34
	s_wait_dscnt 0x9
	v_add_nc_u16 v18, v35, v18
	s_delay_alu instid0(VALU_DEP_2) | instskip(SKIP_1) | instid1(VALU_DEP_1)
	v_cndmask_b32_e64 v34, v9, 1, s20
	v_cmp_eq_u32_e64 s20, 1, v38
	v_cndmask_b32_e64 v35, v34, 1, s20
	v_cmp_eq_u16_e64 s20, 0, v36
	s_delay_alu instid0(VALU_DEP_1) | instskip(SKIP_1) | instid1(VALU_DEP_1)
	v_cndmask_b32_e64 v36, 0, v18, s20
	s_wait_dscnt 0x8
	v_add_nc_u16 v4, v36, v37
	ds_store_b16 v3, v15 offset:20
	ds_store_b8 v3, v9 offset:22
	ds_store_b16 v3, v18 offset:24
	ds_store_b8 v3, v34 offset:26
	;; [unrolled: 2-line block ×3, first 2 shown]
.LBB596_278:
	s_or_b32 exec_lo, exec_lo, s21
	v_mov_b32_e32 v4, v2
	s_wait_dscnt 0x0
	s_barrier_signal -1
	s_barrier_wait -1
	s_and_saveexec_b32 s20, s3
	s_cbranch_execz .LBB596_280
; %bb.279:
	v_add_nc_u32_e32 v3, -1, v0
	s_delay_alu instid0(VALU_DEP_1) | instskip(NEXT) | instid1(VALU_DEP_1)
	v_lshrrev_b32_e32 v4, 3, v3
	v_and_b32_e32 v4, 0x1ffffffc, v4
	s_delay_alu instid0(VALU_DEP_1) | instskip(SKIP_4) | instid1(VALU_DEP_1)
	v_lshl_add_u32 v3, v3, 2, v4
	ds_load_u8 v4, v3 offset:2
	ds_load_u16 v3, v3
	s_wait_dscnt 0x1
	v_cmp_eq_u16_e64 s3, 0, v4
	v_cndmask_b32_e64 v4, 0, v2, s3
	s_wait_dscnt 0x0
	s_delay_alu instid0(VALU_DEP_1)
	v_add_nc_u16 v4, v4, v3
.LBB596_280:
	s_or_b32 exec_lo, exec_lo, s20
	v_and_b32_e32 v3, 0xff0000, v32
	s_delay_alu instid0(VALU_DEP_1) | instskip(NEXT) | instid1(VALU_DEP_1)
	v_cmp_eq_u32_e64 s3, 0, v3
	v_cndmask_b32_e64 v3, 0, v4, s3
	s_delay_alu instid0(VALU_DEP_1) | instskip(NEXT) | instid1(VALU_DEP_1)
	v_add_nc_u16 v5, v3, v32
	v_cndmask_b32_e32 v3, 0, v5, vcc_lo
	s_delay_alu instid0(VALU_DEP_1) | instskip(NEXT) | instid1(VALU_DEP_1)
	v_add_nc_u16 v6, v3, v11
	v_cndmask_b32_e64 v3, 0, v6, s1
	s_delay_alu instid0(VALU_DEP_1) | instskip(NEXT) | instid1(VALU_DEP_1)
	v_add_nc_u16 v7, v3, v10
	v_cndmask_b32_e64 v3, 0, v7, s4
	;; [unrolled: 3-line block ×17, first 2 shown]
	s_and_saveexec_b32 s1, s2
	s_cbranch_execz .LBB596_282
; %bb.281:
	v_mov_b32_e32 v12, 0
	ds_load_u8 v10, v12 offset:1050
	ds_load_u16 v11, v12 offset:1048
	s_wait_dscnt 0x1
	v_cmp_eq_u32_e32 vcc_lo, 0, v10
	v_lshlrev_b32_e32 v10, 16, v10
	v_cndmask_b32_e32 v2, 0, v2, vcc_lo
	s_wait_dscnt 0x0
	s_delay_alu instid0(VALU_DEP_1) | instskip(NEXT) | instid1(VALU_DEP_1)
	v_dual_mov_b32 v11, 2 :: v_dual_add_nc_u32 v2, v2, v11
	v_and_b32_e32 v2, 0xffff, v2
	s_delay_alu instid0(VALU_DEP_1)
	v_or_b32_e32 v10, v10, v2
	global_store_b64 v12, v[10:11], s[28:29] offset:256 scope:SCOPE_DEV
.LBB596_282:
	s_wait_xcnt 0x0
	s_or_b32 exec_lo, exec_lo, s1
	v_add_nc_u16 v48, v3, v1
	s_add_nc_u64 s[2:3], s[26:27], s[34:35]
	s_and_b32 vcc_lo, exec_lo, s0
	s_add_nc_u64 s[0:1], s[2:3], s[24:25]
	s_cbranch_vccnz .LBB596_188
.LBB596_283:
	s_mov_b32 s2, 0
                                        ; implicit-def: $vgpr1
	s_cbranch_execz .LBB596_285
; %bb.284:
	s_wait_dscnt 0x0
	v_mul_u32_u24_e32 v1, 40, v0
	v_perm_b32 v3, v38, v36, 0x5040100
	v_perm_b32 v2, v9, v8, 0x5040100
	;; [unrolled: 1-line block ×4, first 2 shown]
	v_mul_i32_i24_e32 v12, 0xffffffda, v0
	v_perm_b32 v5, v45, v43, 0x5040100
	v_perm_b32 v4, v42, v41, 0x5040100
	;; [unrolled: 1-line block ×6, first 2 shown]
	s_wait_storecnt 0x0
	s_barrier_signal -1
	s_barrier_wait -1
	ds_store_2addr_b64 v1, v[6:7], v[2:3] offset1:1
	ds_store_2addr_b64 v1, v[8:9], v[4:5] offset0:2 offset1:3
	ds_store_b64 v1, v[10:11] offset:32
	v_mad_u32_u24 v1, v0, 40, v12
	s_wait_dscnt 0x0
	s_barrier_signal -1
	s_barrier_wait -1
	ds_load_u16 v2, v1
	ds_load_u16 v3, v1 offset:512
	ds_load_u16 v4, v1 offset:1024
	;; [unrolled: 1-line block ×19, first 2 shown]
	s_or_b32 s2, s2, exec_lo
	s_wait_dscnt 0x13
	flat_store_b16 v0, v2, s[0:1] scale_offset
	s_wait_dscnt 0x13
	flat_store_b16 v0, v3, s[0:1] offset:512 scale_offset
	s_wait_dscnt 0x13
	flat_store_b16 v0, v4, s[0:1] offset:1024 scale_offset
	;; [unrolled: 2-line block ×18, first 2 shown]
.LBB596_285:
	s_wait_xcnt 0x0
	s_delay_alu instid0(VALU_DEP_1)
	s_and_saveexec_b32 s3, s2
	s_cbranch_execz .LBB596_287
; %bb.286:
	s_wait_dscnt 0x0
	flat_store_b16 v0, v1, s[0:1] offset:9728 scale_offset
	s_endpgm
.LBB596_287:
	s_endpgm
	.section	.rodata,"a",@progbits
	.p2align	6, 0x0
	.amdhsa_kernel _ZN7rocprim17ROCPRIM_400000_NS6detail17trampoline_kernelINS0_14default_configENS1_27scan_by_key_config_selectorIssEEZZNS1_16scan_by_key_implILNS1_25lookback_scan_determinismE0ELb1ES3_N6thrust23THRUST_200600_302600_NS6detail15normal_iteratorINS9_10device_ptrIsEEEESE_SE_sNS9_4plusIvEENS9_8equal_toIvEEsEE10hipError_tPvRmT2_T3_T4_T5_mT6_T7_P12ihipStream_tbENKUlT_T0_E_clISt17integral_constantIbLb0EESY_IbLb1EEEEDaSU_SV_EUlSU_E_NS1_11comp_targetILNS1_3genE0ELNS1_11target_archE4294967295ELNS1_3gpuE0ELNS1_3repE0EEENS1_30default_config_static_selectorELNS0_4arch9wavefront6targetE0EEEvT1_
		.amdhsa_group_segment_fixed_size 11264
		.amdhsa_private_segment_fixed_size 0
		.amdhsa_kernarg_size 112
		.amdhsa_user_sgpr_count 2
		.amdhsa_user_sgpr_dispatch_ptr 0
		.amdhsa_user_sgpr_queue_ptr 0
		.amdhsa_user_sgpr_kernarg_segment_ptr 1
		.amdhsa_user_sgpr_dispatch_id 0
		.amdhsa_user_sgpr_kernarg_preload_length 0
		.amdhsa_user_sgpr_kernarg_preload_offset 0
		.amdhsa_user_sgpr_private_segment_size 0
		.amdhsa_wavefront_size32 1
		.amdhsa_uses_dynamic_stack 0
		.amdhsa_enable_private_segment 0
		.amdhsa_system_sgpr_workgroup_id_x 1
		.amdhsa_system_sgpr_workgroup_id_y 0
		.amdhsa_system_sgpr_workgroup_id_z 0
		.amdhsa_system_sgpr_workgroup_info 0
		.amdhsa_system_vgpr_workitem_id 0
		.amdhsa_next_free_vgpr 57
		.amdhsa_next_free_sgpr 46
		.amdhsa_named_barrier_count 0
		.amdhsa_reserve_vcc 1
		.amdhsa_float_round_mode_32 0
		.amdhsa_float_round_mode_16_64 0
		.amdhsa_float_denorm_mode_32 3
		.amdhsa_float_denorm_mode_16_64 3
		.amdhsa_fp16_overflow 0
		.amdhsa_memory_ordered 1
		.amdhsa_forward_progress 1
		.amdhsa_inst_pref_size 151
		.amdhsa_round_robin_scheduling 0
		.amdhsa_exception_fp_ieee_invalid_op 0
		.amdhsa_exception_fp_denorm_src 0
		.amdhsa_exception_fp_ieee_div_zero 0
		.amdhsa_exception_fp_ieee_overflow 0
		.amdhsa_exception_fp_ieee_underflow 0
		.amdhsa_exception_fp_ieee_inexact 0
		.amdhsa_exception_int_div_zero 0
	.end_amdhsa_kernel
	.section	.text._ZN7rocprim17ROCPRIM_400000_NS6detail17trampoline_kernelINS0_14default_configENS1_27scan_by_key_config_selectorIssEEZZNS1_16scan_by_key_implILNS1_25lookback_scan_determinismE0ELb1ES3_N6thrust23THRUST_200600_302600_NS6detail15normal_iteratorINS9_10device_ptrIsEEEESE_SE_sNS9_4plusIvEENS9_8equal_toIvEEsEE10hipError_tPvRmT2_T3_T4_T5_mT6_T7_P12ihipStream_tbENKUlT_T0_E_clISt17integral_constantIbLb0EESY_IbLb1EEEEDaSU_SV_EUlSU_E_NS1_11comp_targetILNS1_3genE0ELNS1_11target_archE4294967295ELNS1_3gpuE0ELNS1_3repE0EEENS1_30default_config_static_selectorELNS0_4arch9wavefront6targetE0EEEvT1_,"axG",@progbits,_ZN7rocprim17ROCPRIM_400000_NS6detail17trampoline_kernelINS0_14default_configENS1_27scan_by_key_config_selectorIssEEZZNS1_16scan_by_key_implILNS1_25lookback_scan_determinismE0ELb1ES3_N6thrust23THRUST_200600_302600_NS6detail15normal_iteratorINS9_10device_ptrIsEEEESE_SE_sNS9_4plusIvEENS9_8equal_toIvEEsEE10hipError_tPvRmT2_T3_T4_T5_mT6_T7_P12ihipStream_tbENKUlT_T0_E_clISt17integral_constantIbLb0EESY_IbLb1EEEEDaSU_SV_EUlSU_E_NS1_11comp_targetILNS1_3genE0ELNS1_11target_archE4294967295ELNS1_3gpuE0ELNS1_3repE0EEENS1_30default_config_static_selectorELNS0_4arch9wavefront6targetE0EEEvT1_,comdat
.Lfunc_end596:
	.size	_ZN7rocprim17ROCPRIM_400000_NS6detail17trampoline_kernelINS0_14default_configENS1_27scan_by_key_config_selectorIssEEZZNS1_16scan_by_key_implILNS1_25lookback_scan_determinismE0ELb1ES3_N6thrust23THRUST_200600_302600_NS6detail15normal_iteratorINS9_10device_ptrIsEEEESE_SE_sNS9_4plusIvEENS9_8equal_toIvEEsEE10hipError_tPvRmT2_T3_T4_T5_mT6_T7_P12ihipStream_tbENKUlT_T0_E_clISt17integral_constantIbLb0EESY_IbLb1EEEEDaSU_SV_EUlSU_E_NS1_11comp_targetILNS1_3genE0ELNS1_11target_archE4294967295ELNS1_3gpuE0ELNS1_3repE0EEENS1_30default_config_static_selectorELNS0_4arch9wavefront6targetE0EEEvT1_, .Lfunc_end596-_ZN7rocprim17ROCPRIM_400000_NS6detail17trampoline_kernelINS0_14default_configENS1_27scan_by_key_config_selectorIssEEZZNS1_16scan_by_key_implILNS1_25lookback_scan_determinismE0ELb1ES3_N6thrust23THRUST_200600_302600_NS6detail15normal_iteratorINS9_10device_ptrIsEEEESE_SE_sNS9_4plusIvEENS9_8equal_toIvEEsEE10hipError_tPvRmT2_T3_T4_T5_mT6_T7_P12ihipStream_tbENKUlT_T0_E_clISt17integral_constantIbLb0EESY_IbLb1EEEEDaSU_SV_EUlSU_E_NS1_11comp_targetILNS1_3genE0ELNS1_11target_archE4294967295ELNS1_3gpuE0ELNS1_3repE0EEENS1_30default_config_static_selectorELNS0_4arch9wavefront6targetE0EEEvT1_
                                        ; -- End function
	.set _ZN7rocprim17ROCPRIM_400000_NS6detail17trampoline_kernelINS0_14default_configENS1_27scan_by_key_config_selectorIssEEZZNS1_16scan_by_key_implILNS1_25lookback_scan_determinismE0ELb1ES3_N6thrust23THRUST_200600_302600_NS6detail15normal_iteratorINS9_10device_ptrIsEEEESE_SE_sNS9_4plusIvEENS9_8equal_toIvEEsEE10hipError_tPvRmT2_T3_T4_T5_mT6_T7_P12ihipStream_tbENKUlT_T0_E_clISt17integral_constantIbLb0EESY_IbLb1EEEEDaSU_SV_EUlSU_E_NS1_11comp_targetILNS1_3genE0ELNS1_11target_archE4294967295ELNS1_3gpuE0ELNS1_3repE0EEENS1_30default_config_static_selectorELNS0_4arch9wavefront6targetE0EEEvT1_.num_vgpr, 57
	.set _ZN7rocprim17ROCPRIM_400000_NS6detail17trampoline_kernelINS0_14default_configENS1_27scan_by_key_config_selectorIssEEZZNS1_16scan_by_key_implILNS1_25lookback_scan_determinismE0ELb1ES3_N6thrust23THRUST_200600_302600_NS6detail15normal_iteratorINS9_10device_ptrIsEEEESE_SE_sNS9_4plusIvEENS9_8equal_toIvEEsEE10hipError_tPvRmT2_T3_T4_T5_mT6_T7_P12ihipStream_tbENKUlT_T0_E_clISt17integral_constantIbLb0EESY_IbLb1EEEEDaSU_SV_EUlSU_E_NS1_11comp_targetILNS1_3genE0ELNS1_11target_archE4294967295ELNS1_3gpuE0ELNS1_3repE0EEENS1_30default_config_static_selectorELNS0_4arch9wavefront6targetE0EEEvT1_.num_agpr, 0
	.set _ZN7rocprim17ROCPRIM_400000_NS6detail17trampoline_kernelINS0_14default_configENS1_27scan_by_key_config_selectorIssEEZZNS1_16scan_by_key_implILNS1_25lookback_scan_determinismE0ELb1ES3_N6thrust23THRUST_200600_302600_NS6detail15normal_iteratorINS9_10device_ptrIsEEEESE_SE_sNS9_4plusIvEENS9_8equal_toIvEEsEE10hipError_tPvRmT2_T3_T4_T5_mT6_T7_P12ihipStream_tbENKUlT_T0_E_clISt17integral_constantIbLb0EESY_IbLb1EEEEDaSU_SV_EUlSU_E_NS1_11comp_targetILNS1_3genE0ELNS1_11target_archE4294967295ELNS1_3gpuE0ELNS1_3repE0EEENS1_30default_config_static_selectorELNS0_4arch9wavefront6targetE0EEEvT1_.numbered_sgpr, 46
	.set _ZN7rocprim17ROCPRIM_400000_NS6detail17trampoline_kernelINS0_14default_configENS1_27scan_by_key_config_selectorIssEEZZNS1_16scan_by_key_implILNS1_25lookback_scan_determinismE0ELb1ES3_N6thrust23THRUST_200600_302600_NS6detail15normal_iteratorINS9_10device_ptrIsEEEESE_SE_sNS9_4plusIvEENS9_8equal_toIvEEsEE10hipError_tPvRmT2_T3_T4_T5_mT6_T7_P12ihipStream_tbENKUlT_T0_E_clISt17integral_constantIbLb0EESY_IbLb1EEEEDaSU_SV_EUlSU_E_NS1_11comp_targetILNS1_3genE0ELNS1_11target_archE4294967295ELNS1_3gpuE0ELNS1_3repE0EEENS1_30default_config_static_selectorELNS0_4arch9wavefront6targetE0EEEvT1_.num_named_barrier, 0
	.set _ZN7rocprim17ROCPRIM_400000_NS6detail17trampoline_kernelINS0_14default_configENS1_27scan_by_key_config_selectorIssEEZZNS1_16scan_by_key_implILNS1_25lookback_scan_determinismE0ELb1ES3_N6thrust23THRUST_200600_302600_NS6detail15normal_iteratorINS9_10device_ptrIsEEEESE_SE_sNS9_4plusIvEENS9_8equal_toIvEEsEE10hipError_tPvRmT2_T3_T4_T5_mT6_T7_P12ihipStream_tbENKUlT_T0_E_clISt17integral_constantIbLb0EESY_IbLb1EEEEDaSU_SV_EUlSU_E_NS1_11comp_targetILNS1_3genE0ELNS1_11target_archE4294967295ELNS1_3gpuE0ELNS1_3repE0EEENS1_30default_config_static_selectorELNS0_4arch9wavefront6targetE0EEEvT1_.private_seg_size, 0
	.set _ZN7rocprim17ROCPRIM_400000_NS6detail17trampoline_kernelINS0_14default_configENS1_27scan_by_key_config_selectorIssEEZZNS1_16scan_by_key_implILNS1_25lookback_scan_determinismE0ELb1ES3_N6thrust23THRUST_200600_302600_NS6detail15normal_iteratorINS9_10device_ptrIsEEEESE_SE_sNS9_4plusIvEENS9_8equal_toIvEEsEE10hipError_tPvRmT2_T3_T4_T5_mT6_T7_P12ihipStream_tbENKUlT_T0_E_clISt17integral_constantIbLb0EESY_IbLb1EEEEDaSU_SV_EUlSU_E_NS1_11comp_targetILNS1_3genE0ELNS1_11target_archE4294967295ELNS1_3gpuE0ELNS1_3repE0EEENS1_30default_config_static_selectorELNS0_4arch9wavefront6targetE0EEEvT1_.uses_vcc, 1
	.set _ZN7rocprim17ROCPRIM_400000_NS6detail17trampoline_kernelINS0_14default_configENS1_27scan_by_key_config_selectorIssEEZZNS1_16scan_by_key_implILNS1_25lookback_scan_determinismE0ELb1ES3_N6thrust23THRUST_200600_302600_NS6detail15normal_iteratorINS9_10device_ptrIsEEEESE_SE_sNS9_4plusIvEENS9_8equal_toIvEEsEE10hipError_tPvRmT2_T3_T4_T5_mT6_T7_P12ihipStream_tbENKUlT_T0_E_clISt17integral_constantIbLb0EESY_IbLb1EEEEDaSU_SV_EUlSU_E_NS1_11comp_targetILNS1_3genE0ELNS1_11target_archE4294967295ELNS1_3gpuE0ELNS1_3repE0EEENS1_30default_config_static_selectorELNS0_4arch9wavefront6targetE0EEEvT1_.uses_flat_scratch, 1
	.set _ZN7rocprim17ROCPRIM_400000_NS6detail17trampoline_kernelINS0_14default_configENS1_27scan_by_key_config_selectorIssEEZZNS1_16scan_by_key_implILNS1_25lookback_scan_determinismE0ELb1ES3_N6thrust23THRUST_200600_302600_NS6detail15normal_iteratorINS9_10device_ptrIsEEEESE_SE_sNS9_4plusIvEENS9_8equal_toIvEEsEE10hipError_tPvRmT2_T3_T4_T5_mT6_T7_P12ihipStream_tbENKUlT_T0_E_clISt17integral_constantIbLb0EESY_IbLb1EEEEDaSU_SV_EUlSU_E_NS1_11comp_targetILNS1_3genE0ELNS1_11target_archE4294967295ELNS1_3gpuE0ELNS1_3repE0EEENS1_30default_config_static_selectorELNS0_4arch9wavefront6targetE0EEEvT1_.has_dyn_sized_stack, 0
	.set _ZN7rocprim17ROCPRIM_400000_NS6detail17trampoline_kernelINS0_14default_configENS1_27scan_by_key_config_selectorIssEEZZNS1_16scan_by_key_implILNS1_25lookback_scan_determinismE0ELb1ES3_N6thrust23THRUST_200600_302600_NS6detail15normal_iteratorINS9_10device_ptrIsEEEESE_SE_sNS9_4plusIvEENS9_8equal_toIvEEsEE10hipError_tPvRmT2_T3_T4_T5_mT6_T7_P12ihipStream_tbENKUlT_T0_E_clISt17integral_constantIbLb0EESY_IbLb1EEEEDaSU_SV_EUlSU_E_NS1_11comp_targetILNS1_3genE0ELNS1_11target_archE4294967295ELNS1_3gpuE0ELNS1_3repE0EEENS1_30default_config_static_selectorELNS0_4arch9wavefront6targetE0EEEvT1_.has_recursion, 0
	.set _ZN7rocprim17ROCPRIM_400000_NS6detail17trampoline_kernelINS0_14default_configENS1_27scan_by_key_config_selectorIssEEZZNS1_16scan_by_key_implILNS1_25lookback_scan_determinismE0ELb1ES3_N6thrust23THRUST_200600_302600_NS6detail15normal_iteratorINS9_10device_ptrIsEEEESE_SE_sNS9_4plusIvEENS9_8equal_toIvEEsEE10hipError_tPvRmT2_T3_T4_T5_mT6_T7_P12ihipStream_tbENKUlT_T0_E_clISt17integral_constantIbLb0EESY_IbLb1EEEEDaSU_SV_EUlSU_E_NS1_11comp_targetILNS1_3genE0ELNS1_11target_archE4294967295ELNS1_3gpuE0ELNS1_3repE0EEENS1_30default_config_static_selectorELNS0_4arch9wavefront6targetE0EEEvT1_.has_indirect_call, 0
	.section	.AMDGPU.csdata,"",@progbits
; Kernel info:
; codeLenInByte = 19244
; TotalNumSgprs: 48
; NumVgprs: 57
; ScratchSize: 0
; MemoryBound: 0
; FloatMode: 240
; IeeeMode: 1
; LDSByteSize: 11264 bytes/workgroup (compile time only)
; SGPRBlocks: 0
; VGPRBlocks: 3
; NumSGPRsForWavesPerEU: 48
; NumVGPRsForWavesPerEU: 57
; NamedBarCnt: 0
; Occupancy: 16
; WaveLimiterHint : 1
; COMPUTE_PGM_RSRC2:SCRATCH_EN: 0
; COMPUTE_PGM_RSRC2:USER_SGPR: 2
; COMPUTE_PGM_RSRC2:TRAP_HANDLER: 0
; COMPUTE_PGM_RSRC2:TGID_X_EN: 1
; COMPUTE_PGM_RSRC2:TGID_Y_EN: 0
; COMPUTE_PGM_RSRC2:TGID_Z_EN: 0
; COMPUTE_PGM_RSRC2:TIDIG_COMP_CNT: 0
	.section	.text._ZN7rocprim17ROCPRIM_400000_NS6detail17trampoline_kernelINS0_14default_configENS1_27scan_by_key_config_selectorIssEEZZNS1_16scan_by_key_implILNS1_25lookback_scan_determinismE0ELb1ES3_N6thrust23THRUST_200600_302600_NS6detail15normal_iteratorINS9_10device_ptrIsEEEESE_SE_sNS9_4plusIvEENS9_8equal_toIvEEsEE10hipError_tPvRmT2_T3_T4_T5_mT6_T7_P12ihipStream_tbENKUlT_T0_E_clISt17integral_constantIbLb0EESY_IbLb1EEEEDaSU_SV_EUlSU_E_NS1_11comp_targetILNS1_3genE10ELNS1_11target_archE1201ELNS1_3gpuE5ELNS1_3repE0EEENS1_30default_config_static_selectorELNS0_4arch9wavefront6targetE0EEEvT1_,"axG",@progbits,_ZN7rocprim17ROCPRIM_400000_NS6detail17trampoline_kernelINS0_14default_configENS1_27scan_by_key_config_selectorIssEEZZNS1_16scan_by_key_implILNS1_25lookback_scan_determinismE0ELb1ES3_N6thrust23THRUST_200600_302600_NS6detail15normal_iteratorINS9_10device_ptrIsEEEESE_SE_sNS9_4plusIvEENS9_8equal_toIvEEsEE10hipError_tPvRmT2_T3_T4_T5_mT6_T7_P12ihipStream_tbENKUlT_T0_E_clISt17integral_constantIbLb0EESY_IbLb1EEEEDaSU_SV_EUlSU_E_NS1_11comp_targetILNS1_3genE10ELNS1_11target_archE1201ELNS1_3gpuE5ELNS1_3repE0EEENS1_30default_config_static_selectorELNS0_4arch9wavefront6targetE0EEEvT1_,comdat
	.protected	_ZN7rocprim17ROCPRIM_400000_NS6detail17trampoline_kernelINS0_14default_configENS1_27scan_by_key_config_selectorIssEEZZNS1_16scan_by_key_implILNS1_25lookback_scan_determinismE0ELb1ES3_N6thrust23THRUST_200600_302600_NS6detail15normal_iteratorINS9_10device_ptrIsEEEESE_SE_sNS9_4plusIvEENS9_8equal_toIvEEsEE10hipError_tPvRmT2_T3_T4_T5_mT6_T7_P12ihipStream_tbENKUlT_T0_E_clISt17integral_constantIbLb0EESY_IbLb1EEEEDaSU_SV_EUlSU_E_NS1_11comp_targetILNS1_3genE10ELNS1_11target_archE1201ELNS1_3gpuE5ELNS1_3repE0EEENS1_30default_config_static_selectorELNS0_4arch9wavefront6targetE0EEEvT1_ ; -- Begin function _ZN7rocprim17ROCPRIM_400000_NS6detail17trampoline_kernelINS0_14default_configENS1_27scan_by_key_config_selectorIssEEZZNS1_16scan_by_key_implILNS1_25lookback_scan_determinismE0ELb1ES3_N6thrust23THRUST_200600_302600_NS6detail15normal_iteratorINS9_10device_ptrIsEEEESE_SE_sNS9_4plusIvEENS9_8equal_toIvEEsEE10hipError_tPvRmT2_T3_T4_T5_mT6_T7_P12ihipStream_tbENKUlT_T0_E_clISt17integral_constantIbLb0EESY_IbLb1EEEEDaSU_SV_EUlSU_E_NS1_11comp_targetILNS1_3genE10ELNS1_11target_archE1201ELNS1_3gpuE5ELNS1_3repE0EEENS1_30default_config_static_selectorELNS0_4arch9wavefront6targetE0EEEvT1_
	.globl	_ZN7rocprim17ROCPRIM_400000_NS6detail17trampoline_kernelINS0_14default_configENS1_27scan_by_key_config_selectorIssEEZZNS1_16scan_by_key_implILNS1_25lookback_scan_determinismE0ELb1ES3_N6thrust23THRUST_200600_302600_NS6detail15normal_iteratorINS9_10device_ptrIsEEEESE_SE_sNS9_4plusIvEENS9_8equal_toIvEEsEE10hipError_tPvRmT2_T3_T4_T5_mT6_T7_P12ihipStream_tbENKUlT_T0_E_clISt17integral_constantIbLb0EESY_IbLb1EEEEDaSU_SV_EUlSU_E_NS1_11comp_targetILNS1_3genE10ELNS1_11target_archE1201ELNS1_3gpuE5ELNS1_3repE0EEENS1_30default_config_static_selectorELNS0_4arch9wavefront6targetE0EEEvT1_
	.p2align	8
	.type	_ZN7rocprim17ROCPRIM_400000_NS6detail17trampoline_kernelINS0_14default_configENS1_27scan_by_key_config_selectorIssEEZZNS1_16scan_by_key_implILNS1_25lookback_scan_determinismE0ELb1ES3_N6thrust23THRUST_200600_302600_NS6detail15normal_iteratorINS9_10device_ptrIsEEEESE_SE_sNS9_4plusIvEENS9_8equal_toIvEEsEE10hipError_tPvRmT2_T3_T4_T5_mT6_T7_P12ihipStream_tbENKUlT_T0_E_clISt17integral_constantIbLb0EESY_IbLb1EEEEDaSU_SV_EUlSU_E_NS1_11comp_targetILNS1_3genE10ELNS1_11target_archE1201ELNS1_3gpuE5ELNS1_3repE0EEENS1_30default_config_static_selectorELNS0_4arch9wavefront6targetE0EEEvT1_,@function
_ZN7rocprim17ROCPRIM_400000_NS6detail17trampoline_kernelINS0_14default_configENS1_27scan_by_key_config_selectorIssEEZZNS1_16scan_by_key_implILNS1_25lookback_scan_determinismE0ELb1ES3_N6thrust23THRUST_200600_302600_NS6detail15normal_iteratorINS9_10device_ptrIsEEEESE_SE_sNS9_4plusIvEENS9_8equal_toIvEEsEE10hipError_tPvRmT2_T3_T4_T5_mT6_T7_P12ihipStream_tbENKUlT_T0_E_clISt17integral_constantIbLb0EESY_IbLb1EEEEDaSU_SV_EUlSU_E_NS1_11comp_targetILNS1_3genE10ELNS1_11target_archE1201ELNS1_3gpuE5ELNS1_3repE0EEENS1_30default_config_static_selectorELNS0_4arch9wavefront6targetE0EEEvT1_: ; @_ZN7rocprim17ROCPRIM_400000_NS6detail17trampoline_kernelINS0_14default_configENS1_27scan_by_key_config_selectorIssEEZZNS1_16scan_by_key_implILNS1_25lookback_scan_determinismE0ELb1ES3_N6thrust23THRUST_200600_302600_NS6detail15normal_iteratorINS9_10device_ptrIsEEEESE_SE_sNS9_4plusIvEENS9_8equal_toIvEEsEE10hipError_tPvRmT2_T3_T4_T5_mT6_T7_P12ihipStream_tbENKUlT_T0_E_clISt17integral_constantIbLb0EESY_IbLb1EEEEDaSU_SV_EUlSU_E_NS1_11comp_targetILNS1_3genE10ELNS1_11target_archE1201ELNS1_3gpuE5ELNS1_3repE0EEENS1_30default_config_static_selectorELNS0_4arch9wavefront6targetE0EEEvT1_
; %bb.0:
	.section	.rodata,"a",@progbits
	.p2align	6, 0x0
	.amdhsa_kernel _ZN7rocprim17ROCPRIM_400000_NS6detail17trampoline_kernelINS0_14default_configENS1_27scan_by_key_config_selectorIssEEZZNS1_16scan_by_key_implILNS1_25lookback_scan_determinismE0ELb1ES3_N6thrust23THRUST_200600_302600_NS6detail15normal_iteratorINS9_10device_ptrIsEEEESE_SE_sNS9_4plusIvEENS9_8equal_toIvEEsEE10hipError_tPvRmT2_T3_T4_T5_mT6_T7_P12ihipStream_tbENKUlT_T0_E_clISt17integral_constantIbLb0EESY_IbLb1EEEEDaSU_SV_EUlSU_E_NS1_11comp_targetILNS1_3genE10ELNS1_11target_archE1201ELNS1_3gpuE5ELNS1_3repE0EEENS1_30default_config_static_selectorELNS0_4arch9wavefront6targetE0EEEvT1_
		.amdhsa_group_segment_fixed_size 0
		.amdhsa_private_segment_fixed_size 0
		.amdhsa_kernarg_size 112
		.amdhsa_user_sgpr_count 2
		.amdhsa_user_sgpr_dispatch_ptr 0
		.amdhsa_user_sgpr_queue_ptr 0
		.amdhsa_user_sgpr_kernarg_segment_ptr 1
		.amdhsa_user_sgpr_dispatch_id 0
		.amdhsa_user_sgpr_kernarg_preload_length 0
		.amdhsa_user_sgpr_kernarg_preload_offset 0
		.amdhsa_user_sgpr_private_segment_size 0
		.amdhsa_wavefront_size32 1
		.amdhsa_uses_dynamic_stack 0
		.amdhsa_enable_private_segment 0
		.amdhsa_system_sgpr_workgroup_id_x 1
		.amdhsa_system_sgpr_workgroup_id_y 0
		.amdhsa_system_sgpr_workgroup_id_z 0
		.amdhsa_system_sgpr_workgroup_info 0
		.amdhsa_system_vgpr_workitem_id 0
		.amdhsa_next_free_vgpr 1
		.amdhsa_next_free_sgpr 1
		.amdhsa_named_barrier_count 0
		.amdhsa_reserve_vcc 0
		.amdhsa_float_round_mode_32 0
		.amdhsa_float_round_mode_16_64 0
		.amdhsa_float_denorm_mode_32 3
		.amdhsa_float_denorm_mode_16_64 3
		.amdhsa_fp16_overflow 0
		.amdhsa_memory_ordered 1
		.amdhsa_forward_progress 1
		.amdhsa_inst_pref_size 0
		.amdhsa_round_robin_scheduling 0
		.amdhsa_exception_fp_ieee_invalid_op 0
		.amdhsa_exception_fp_denorm_src 0
		.amdhsa_exception_fp_ieee_div_zero 0
		.amdhsa_exception_fp_ieee_overflow 0
		.amdhsa_exception_fp_ieee_underflow 0
		.amdhsa_exception_fp_ieee_inexact 0
		.amdhsa_exception_int_div_zero 0
	.end_amdhsa_kernel
	.section	.text._ZN7rocprim17ROCPRIM_400000_NS6detail17trampoline_kernelINS0_14default_configENS1_27scan_by_key_config_selectorIssEEZZNS1_16scan_by_key_implILNS1_25lookback_scan_determinismE0ELb1ES3_N6thrust23THRUST_200600_302600_NS6detail15normal_iteratorINS9_10device_ptrIsEEEESE_SE_sNS9_4plusIvEENS9_8equal_toIvEEsEE10hipError_tPvRmT2_T3_T4_T5_mT6_T7_P12ihipStream_tbENKUlT_T0_E_clISt17integral_constantIbLb0EESY_IbLb1EEEEDaSU_SV_EUlSU_E_NS1_11comp_targetILNS1_3genE10ELNS1_11target_archE1201ELNS1_3gpuE5ELNS1_3repE0EEENS1_30default_config_static_selectorELNS0_4arch9wavefront6targetE0EEEvT1_,"axG",@progbits,_ZN7rocprim17ROCPRIM_400000_NS6detail17trampoline_kernelINS0_14default_configENS1_27scan_by_key_config_selectorIssEEZZNS1_16scan_by_key_implILNS1_25lookback_scan_determinismE0ELb1ES3_N6thrust23THRUST_200600_302600_NS6detail15normal_iteratorINS9_10device_ptrIsEEEESE_SE_sNS9_4plusIvEENS9_8equal_toIvEEsEE10hipError_tPvRmT2_T3_T4_T5_mT6_T7_P12ihipStream_tbENKUlT_T0_E_clISt17integral_constantIbLb0EESY_IbLb1EEEEDaSU_SV_EUlSU_E_NS1_11comp_targetILNS1_3genE10ELNS1_11target_archE1201ELNS1_3gpuE5ELNS1_3repE0EEENS1_30default_config_static_selectorELNS0_4arch9wavefront6targetE0EEEvT1_,comdat
.Lfunc_end597:
	.size	_ZN7rocprim17ROCPRIM_400000_NS6detail17trampoline_kernelINS0_14default_configENS1_27scan_by_key_config_selectorIssEEZZNS1_16scan_by_key_implILNS1_25lookback_scan_determinismE0ELb1ES3_N6thrust23THRUST_200600_302600_NS6detail15normal_iteratorINS9_10device_ptrIsEEEESE_SE_sNS9_4plusIvEENS9_8equal_toIvEEsEE10hipError_tPvRmT2_T3_T4_T5_mT6_T7_P12ihipStream_tbENKUlT_T0_E_clISt17integral_constantIbLb0EESY_IbLb1EEEEDaSU_SV_EUlSU_E_NS1_11comp_targetILNS1_3genE10ELNS1_11target_archE1201ELNS1_3gpuE5ELNS1_3repE0EEENS1_30default_config_static_selectorELNS0_4arch9wavefront6targetE0EEEvT1_, .Lfunc_end597-_ZN7rocprim17ROCPRIM_400000_NS6detail17trampoline_kernelINS0_14default_configENS1_27scan_by_key_config_selectorIssEEZZNS1_16scan_by_key_implILNS1_25lookback_scan_determinismE0ELb1ES3_N6thrust23THRUST_200600_302600_NS6detail15normal_iteratorINS9_10device_ptrIsEEEESE_SE_sNS9_4plusIvEENS9_8equal_toIvEEsEE10hipError_tPvRmT2_T3_T4_T5_mT6_T7_P12ihipStream_tbENKUlT_T0_E_clISt17integral_constantIbLb0EESY_IbLb1EEEEDaSU_SV_EUlSU_E_NS1_11comp_targetILNS1_3genE10ELNS1_11target_archE1201ELNS1_3gpuE5ELNS1_3repE0EEENS1_30default_config_static_selectorELNS0_4arch9wavefront6targetE0EEEvT1_
                                        ; -- End function
	.set _ZN7rocprim17ROCPRIM_400000_NS6detail17trampoline_kernelINS0_14default_configENS1_27scan_by_key_config_selectorIssEEZZNS1_16scan_by_key_implILNS1_25lookback_scan_determinismE0ELb1ES3_N6thrust23THRUST_200600_302600_NS6detail15normal_iteratorINS9_10device_ptrIsEEEESE_SE_sNS9_4plusIvEENS9_8equal_toIvEEsEE10hipError_tPvRmT2_T3_T4_T5_mT6_T7_P12ihipStream_tbENKUlT_T0_E_clISt17integral_constantIbLb0EESY_IbLb1EEEEDaSU_SV_EUlSU_E_NS1_11comp_targetILNS1_3genE10ELNS1_11target_archE1201ELNS1_3gpuE5ELNS1_3repE0EEENS1_30default_config_static_selectorELNS0_4arch9wavefront6targetE0EEEvT1_.num_vgpr, 0
	.set _ZN7rocprim17ROCPRIM_400000_NS6detail17trampoline_kernelINS0_14default_configENS1_27scan_by_key_config_selectorIssEEZZNS1_16scan_by_key_implILNS1_25lookback_scan_determinismE0ELb1ES3_N6thrust23THRUST_200600_302600_NS6detail15normal_iteratorINS9_10device_ptrIsEEEESE_SE_sNS9_4plusIvEENS9_8equal_toIvEEsEE10hipError_tPvRmT2_T3_T4_T5_mT6_T7_P12ihipStream_tbENKUlT_T0_E_clISt17integral_constantIbLb0EESY_IbLb1EEEEDaSU_SV_EUlSU_E_NS1_11comp_targetILNS1_3genE10ELNS1_11target_archE1201ELNS1_3gpuE5ELNS1_3repE0EEENS1_30default_config_static_selectorELNS0_4arch9wavefront6targetE0EEEvT1_.num_agpr, 0
	.set _ZN7rocprim17ROCPRIM_400000_NS6detail17trampoline_kernelINS0_14default_configENS1_27scan_by_key_config_selectorIssEEZZNS1_16scan_by_key_implILNS1_25lookback_scan_determinismE0ELb1ES3_N6thrust23THRUST_200600_302600_NS6detail15normal_iteratorINS9_10device_ptrIsEEEESE_SE_sNS9_4plusIvEENS9_8equal_toIvEEsEE10hipError_tPvRmT2_T3_T4_T5_mT6_T7_P12ihipStream_tbENKUlT_T0_E_clISt17integral_constantIbLb0EESY_IbLb1EEEEDaSU_SV_EUlSU_E_NS1_11comp_targetILNS1_3genE10ELNS1_11target_archE1201ELNS1_3gpuE5ELNS1_3repE0EEENS1_30default_config_static_selectorELNS0_4arch9wavefront6targetE0EEEvT1_.numbered_sgpr, 0
	.set _ZN7rocprim17ROCPRIM_400000_NS6detail17trampoline_kernelINS0_14default_configENS1_27scan_by_key_config_selectorIssEEZZNS1_16scan_by_key_implILNS1_25lookback_scan_determinismE0ELb1ES3_N6thrust23THRUST_200600_302600_NS6detail15normal_iteratorINS9_10device_ptrIsEEEESE_SE_sNS9_4plusIvEENS9_8equal_toIvEEsEE10hipError_tPvRmT2_T3_T4_T5_mT6_T7_P12ihipStream_tbENKUlT_T0_E_clISt17integral_constantIbLb0EESY_IbLb1EEEEDaSU_SV_EUlSU_E_NS1_11comp_targetILNS1_3genE10ELNS1_11target_archE1201ELNS1_3gpuE5ELNS1_3repE0EEENS1_30default_config_static_selectorELNS0_4arch9wavefront6targetE0EEEvT1_.num_named_barrier, 0
	.set _ZN7rocprim17ROCPRIM_400000_NS6detail17trampoline_kernelINS0_14default_configENS1_27scan_by_key_config_selectorIssEEZZNS1_16scan_by_key_implILNS1_25lookback_scan_determinismE0ELb1ES3_N6thrust23THRUST_200600_302600_NS6detail15normal_iteratorINS9_10device_ptrIsEEEESE_SE_sNS9_4plusIvEENS9_8equal_toIvEEsEE10hipError_tPvRmT2_T3_T4_T5_mT6_T7_P12ihipStream_tbENKUlT_T0_E_clISt17integral_constantIbLb0EESY_IbLb1EEEEDaSU_SV_EUlSU_E_NS1_11comp_targetILNS1_3genE10ELNS1_11target_archE1201ELNS1_3gpuE5ELNS1_3repE0EEENS1_30default_config_static_selectorELNS0_4arch9wavefront6targetE0EEEvT1_.private_seg_size, 0
	.set _ZN7rocprim17ROCPRIM_400000_NS6detail17trampoline_kernelINS0_14default_configENS1_27scan_by_key_config_selectorIssEEZZNS1_16scan_by_key_implILNS1_25lookback_scan_determinismE0ELb1ES3_N6thrust23THRUST_200600_302600_NS6detail15normal_iteratorINS9_10device_ptrIsEEEESE_SE_sNS9_4plusIvEENS9_8equal_toIvEEsEE10hipError_tPvRmT2_T3_T4_T5_mT6_T7_P12ihipStream_tbENKUlT_T0_E_clISt17integral_constantIbLb0EESY_IbLb1EEEEDaSU_SV_EUlSU_E_NS1_11comp_targetILNS1_3genE10ELNS1_11target_archE1201ELNS1_3gpuE5ELNS1_3repE0EEENS1_30default_config_static_selectorELNS0_4arch9wavefront6targetE0EEEvT1_.uses_vcc, 0
	.set _ZN7rocprim17ROCPRIM_400000_NS6detail17trampoline_kernelINS0_14default_configENS1_27scan_by_key_config_selectorIssEEZZNS1_16scan_by_key_implILNS1_25lookback_scan_determinismE0ELb1ES3_N6thrust23THRUST_200600_302600_NS6detail15normal_iteratorINS9_10device_ptrIsEEEESE_SE_sNS9_4plusIvEENS9_8equal_toIvEEsEE10hipError_tPvRmT2_T3_T4_T5_mT6_T7_P12ihipStream_tbENKUlT_T0_E_clISt17integral_constantIbLb0EESY_IbLb1EEEEDaSU_SV_EUlSU_E_NS1_11comp_targetILNS1_3genE10ELNS1_11target_archE1201ELNS1_3gpuE5ELNS1_3repE0EEENS1_30default_config_static_selectorELNS0_4arch9wavefront6targetE0EEEvT1_.uses_flat_scratch, 0
	.set _ZN7rocprim17ROCPRIM_400000_NS6detail17trampoline_kernelINS0_14default_configENS1_27scan_by_key_config_selectorIssEEZZNS1_16scan_by_key_implILNS1_25lookback_scan_determinismE0ELb1ES3_N6thrust23THRUST_200600_302600_NS6detail15normal_iteratorINS9_10device_ptrIsEEEESE_SE_sNS9_4plusIvEENS9_8equal_toIvEEsEE10hipError_tPvRmT2_T3_T4_T5_mT6_T7_P12ihipStream_tbENKUlT_T0_E_clISt17integral_constantIbLb0EESY_IbLb1EEEEDaSU_SV_EUlSU_E_NS1_11comp_targetILNS1_3genE10ELNS1_11target_archE1201ELNS1_3gpuE5ELNS1_3repE0EEENS1_30default_config_static_selectorELNS0_4arch9wavefront6targetE0EEEvT1_.has_dyn_sized_stack, 0
	.set _ZN7rocprim17ROCPRIM_400000_NS6detail17trampoline_kernelINS0_14default_configENS1_27scan_by_key_config_selectorIssEEZZNS1_16scan_by_key_implILNS1_25lookback_scan_determinismE0ELb1ES3_N6thrust23THRUST_200600_302600_NS6detail15normal_iteratorINS9_10device_ptrIsEEEESE_SE_sNS9_4plusIvEENS9_8equal_toIvEEsEE10hipError_tPvRmT2_T3_T4_T5_mT6_T7_P12ihipStream_tbENKUlT_T0_E_clISt17integral_constantIbLb0EESY_IbLb1EEEEDaSU_SV_EUlSU_E_NS1_11comp_targetILNS1_3genE10ELNS1_11target_archE1201ELNS1_3gpuE5ELNS1_3repE0EEENS1_30default_config_static_selectorELNS0_4arch9wavefront6targetE0EEEvT1_.has_recursion, 0
	.set _ZN7rocprim17ROCPRIM_400000_NS6detail17trampoline_kernelINS0_14default_configENS1_27scan_by_key_config_selectorIssEEZZNS1_16scan_by_key_implILNS1_25lookback_scan_determinismE0ELb1ES3_N6thrust23THRUST_200600_302600_NS6detail15normal_iteratorINS9_10device_ptrIsEEEESE_SE_sNS9_4plusIvEENS9_8equal_toIvEEsEE10hipError_tPvRmT2_T3_T4_T5_mT6_T7_P12ihipStream_tbENKUlT_T0_E_clISt17integral_constantIbLb0EESY_IbLb1EEEEDaSU_SV_EUlSU_E_NS1_11comp_targetILNS1_3genE10ELNS1_11target_archE1201ELNS1_3gpuE5ELNS1_3repE0EEENS1_30default_config_static_selectorELNS0_4arch9wavefront6targetE0EEEvT1_.has_indirect_call, 0
	.section	.AMDGPU.csdata,"",@progbits
; Kernel info:
; codeLenInByte = 0
; TotalNumSgprs: 0
; NumVgprs: 0
; ScratchSize: 0
; MemoryBound: 0
; FloatMode: 240
; IeeeMode: 1
; LDSByteSize: 0 bytes/workgroup (compile time only)
; SGPRBlocks: 0
; VGPRBlocks: 0
; NumSGPRsForWavesPerEU: 1
; NumVGPRsForWavesPerEU: 1
; NamedBarCnt: 0
; Occupancy: 16
; WaveLimiterHint : 0
; COMPUTE_PGM_RSRC2:SCRATCH_EN: 0
; COMPUTE_PGM_RSRC2:USER_SGPR: 2
; COMPUTE_PGM_RSRC2:TRAP_HANDLER: 0
; COMPUTE_PGM_RSRC2:TGID_X_EN: 1
; COMPUTE_PGM_RSRC2:TGID_Y_EN: 0
; COMPUTE_PGM_RSRC2:TGID_Z_EN: 0
; COMPUTE_PGM_RSRC2:TIDIG_COMP_CNT: 0
	.section	.text._ZN7rocprim17ROCPRIM_400000_NS6detail17trampoline_kernelINS0_14default_configENS1_27scan_by_key_config_selectorIssEEZZNS1_16scan_by_key_implILNS1_25lookback_scan_determinismE0ELb1ES3_N6thrust23THRUST_200600_302600_NS6detail15normal_iteratorINS9_10device_ptrIsEEEESE_SE_sNS9_4plusIvEENS9_8equal_toIvEEsEE10hipError_tPvRmT2_T3_T4_T5_mT6_T7_P12ihipStream_tbENKUlT_T0_E_clISt17integral_constantIbLb0EESY_IbLb1EEEEDaSU_SV_EUlSU_E_NS1_11comp_targetILNS1_3genE5ELNS1_11target_archE942ELNS1_3gpuE9ELNS1_3repE0EEENS1_30default_config_static_selectorELNS0_4arch9wavefront6targetE0EEEvT1_,"axG",@progbits,_ZN7rocprim17ROCPRIM_400000_NS6detail17trampoline_kernelINS0_14default_configENS1_27scan_by_key_config_selectorIssEEZZNS1_16scan_by_key_implILNS1_25lookback_scan_determinismE0ELb1ES3_N6thrust23THRUST_200600_302600_NS6detail15normal_iteratorINS9_10device_ptrIsEEEESE_SE_sNS9_4plusIvEENS9_8equal_toIvEEsEE10hipError_tPvRmT2_T3_T4_T5_mT6_T7_P12ihipStream_tbENKUlT_T0_E_clISt17integral_constantIbLb0EESY_IbLb1EEEEDaSU_SV_EUlSU_E_NS1_11comp_targetILNS1_3genE5ELNS1_11target_archE942ELNS1_3gpuE9ELNS1_3repE0EEENS1_30default_config_static_selectorELNS0_4arch9wavefront6targetE0EEEvT1_,comdat
	.protected	_ZN7rocprim17ROCPRIM_400000_NS6detail17trampoline_kernelINS0_14default_configENS1_27scan_by_key_config_selectorIssEEZZNS1_16scan_by_key_implILNS1_25lookback_scan_determinismE0ELb1ES3_N6thrust23THRUST_200600_302600_NS6detail15normal_iteratorINS9_10device_ptrIsEEEESE_SE_sNS9_4plusIvEENS9_8equal_toIvEEsEE10hipError_tPvRmT2_T3_T4_T5_mT6_T7_P12ihipStream_tbENKUlT_T0_E_clISt17integral_constantIbLb0EESY_IbLb1EEEEDaSU_SV_EUlSU_E_NS1_11comp_targetILNS1_3genE5ELNS1_11target_archE942ELNS1_3gpuE9ELNS1_3repE0EEENS1_30default_config_static_selectorELNS0_4arch9wavefront6targetE0EEEvT1_ ; -- Begin function _ZN7rocprim17ROCPRIM_400000_NS6detail17trampoline_kernelINS0_14default_configENS1_27scan_by_key_config_selectorIssEEZZNS1_16scan_by_key_implILNS1_25lookback_scan_determinismE0ELb1ES3_N6thrust23THRUST_200600_302600_NS6detail15normal_iteratorINS9_10device_ptrIsEEEESE_SE_sNS9_4plusIvEENS9_8equal_toIvEEsEE10hipError_tPvRmT2_T3_T4_T5_mT6_T7_P12ihipStream_tbENKUlT_T0_E_clISt17integral_constantIbLb0EESY_IbLb1EEEEDaSU_SV_EUlSU_E_NS1_11comp_targetILNS1_3genE5ELNS1_11target_archE942ELNS1_3gpuE9ELNS1_3repE0EEENS1_30default_config_static_selectorELNS0_4arch9wavefront6targetE0EEEvT1_
	.globl	_ZN7rocprim17ROCPRIM_400000_NS6detail17trampoline_kernelINS0_14default_configENS1_27scan_by_key_config_selectorIssEEZZNS1_16scan_by_key_implILNS1_25lookback_scan_determinismE0ELb1ES3_N6thrust23THRUST_200600_302600_NS6detail15normal_iteratorINS9_10device_ptrIsEEEESE_SE_sNS9_4plusIvEENS9_8equal_toIvEEsEE10hipError_tPvRmT2_T3_T4_T5_mT6_T7_P12ihipStream_tbENKUlT_T0_E_clISt17integral_constantIbLb0EESY_IbLb1EEEEDaSU_SV_EUlSU_E_NS1_11comp_targetILNS1_3genE5ELNS1_11target_archE942ELNS1_3gpuE9ELNS1_3repE0EEENS1_30default_config_static_selectorELNS0_4arch9wavefront6targetE0EEEvT1_
	.p2align	8
	.type	_ZN7rocprim17ROCPRIM_400000_NS6detail17trampoline_kernelINS0_14default_configENS1_27scan_by_key_config_selectorIssEEZZNS1_16scan_by_key_implILNS1_25lookback_scan_determinismE0ELb1ES3_N6thrust23THRUST_200600_302600_NS6detail15normal_iteratorINS9_10device_ptrIsEEEESE_SE_sNS9_4plusIvEENS9_8equal_toIvEEsEE10hipError_tPvRmT2_T3_T4_T5_mT6_T7_P12ihipStream_tbENKUlT_T0_E_clISt17integral_constantIbLb0EESY_IbLb1EEEEDaSU_SV_EUlSU_E_NS1_11comp_targetILNS1_3genE5ELNS1_11target_archE942ELNS1_3gpuE9ELNS1_3repE0EEENS1_30default_config_static_selectorELNS0_4arch9wavefront6targetE0EEEvT1_,@function
_ZN7rocprim17ROCPRIM_400000_NS6detail17trampoline_kernelINS0_14default_configENS1_27scan_by_key_config_selectorIssEEZZNS1_16scan_by_key_implILNS1_25lookback_scan_determinismE0ELb1ES3_N6thrust23THRUST_200600_302600_NS6detail15normal_iteratorINS9_10device_ptrIsEEEESE_SE_sNS9_4plusIvEENS9_8equal_toIvEEsEE10hipError_tPvRmT2_T3_T4_T5_mT6_T7_P12ihipStream_tbENKUlT_T0_E_clISt17integral_constantIbLb0EESY_IbLb1EEEEDaSU_SV_EUlSU_E_NS1_11comp_targetILNS1_3genE5ELNS1_11target_archE942ELNS1_3gpuE9ELNS1_3repE0EEENS1_30default_config_static_selectorELNS0_4arch9wavefront6targetE0EEEvT1_: ; @_ZN7rocprim17ROCPRIM_400000_NS6detail17trampoline_kernelINS0_14default_configENS1_27scan_by_key_config_selectorIssEEZZNS1_16scan_by_key_implILNS1_25lookback_scan_determinismE0ELb1ES3_N6thrust23THRUST_200600_302600_NS6detail15normal_iteratorINS9_10device_ptrIsEEEESE_SE_sNS9_4plusIvEENS9_8equal_toIvEEsEE10hipError_tPvRmT2_T3_T4_T5_mT6_T7_P12ihipStream_tbENKUlT_T0_E_clISt17integral_constantIbLb0EESY_IbLb1EEEEDaSU_SV_EUlSU_E_NS1_11comp_targetILNS1_3genE5ELNS1_11target_archE942ELNS1_3gpuE9ELNS1_3repE0EEENS1_30default_config_static_selectorELNS0_4arch9wavefront6targetE0EEEvT1_
; %bb.0:
	.section	.rodata,"a",@progbits
	.p2align	6, 0x0
	.amdhsa_kernel _ZN7rocprim17ROCPRIM_400000_NS6detail17trampoline_kernelINS0_14default_configENS1_27scan_by_key_config_selectorIssEEZZNS1_16scan_by_key_implILNS1_25lookback_scan_determinismE0ELb1ES3_N6thrust23THRUST_200600_302600_NS6detail15normal_iteratorINS9_10device_ptrIsEEEESE_SE_sNS9_4plusIvEENS9_8equal_toIvEEsEE10hipError_tPvRmT2_T3_T4_T5_mT6_T7_P12ihipStream_tbENKUlT_T0_E_clISt17integral_constantIbLb0EESY_IbLb1EEEEDaSU_SV_EUlSU_E_NS1_11comp_targetILNS1_3genE5ELNS1_11target_archE942ELNS1_3gpuE9ELNS1_3repE0EEENS1_30default_config_static_selectorELNS0_4arch9wavefront6targetE0EEEvT1_
		.amdhsa_group_segment_fixed_size 0
		.amdhsa_private_segment_fixed_size 0
		.amdhsa_kernarg_size 112
		.amdhsa_user_sgpr_count 2
		.amdhsa_user_sgpr_dispatch_ptr 0
		.amdhsa_user_sgpr_queue_ptr 0
		.amdhsa_user_sgpr_kernarg_segment_ptr 1
		.amdhsa_user_sgpr_dispatch_id 0
		.amdhsa_user_sgpr_kernarg_preload_length 0
		.amdhsa_user_sgpr_kernarg_preload_offset 0
		.amdhsa_user_sgpr_private_segment_size 0
		.amdhsa_wavefront_size32 1
		.amdhsa_uses_dynamic_stack 0
		.amdhsa_enable_private_segment 0
		.amdhsa_system_sgpr_workgroup_id_x 1
		.amdhsa_system_sgpr_workgroup_id_y 0
		.amdhsa_system_sgpr_workgroup_id_z 0
		.amdhsa_system_sgpr_workgroup_info 0
		.amdhsa_system_vgpr_workitem_id 0
		.amdhsa_next_free_vgpr 1
		.amdhsa_next_free_sgpr 1
		.amdhsa_named_barrier_count 0
		.amdhsa_reserve_vcc 0
		.amdhsa_float_round_mode_32 0
		.amdhsa_float_round_mode_16_64 0
		.amdhsa_float_denorm_mode_32 3
		.amdhsa_float_denorm_mode_16_64 3
		.amdhsa_fp16_overflow 0
		.amdhsa_memory_ordered 1
		.amdhsa_forward_progress 1
		.amdhsa_inst_pref_size 0
		.amdhsa_round_robin_scheduling 0
		.amdhsa_exception_fp_ieee_invalid_op 0
		.amdhsa_exception_fp_denorm_src 0
		.amdhsa_exception_fp_ieee_div_zero 0
		.amdhsa_exception_fp_ieee_overflow 0
		.amdhsa_exception_fp_ieee_underflow 0
		.amdhsa_exception_fp_ieee_inexact 0
		.amdhsa_exception_int_div_zero 0
	.end_amdhsa_kernel
	.section	.text._ZN7rocprim17ROCPRIM_400000_NS6detail17trampoline_kernelINS0_14default_configENS1_27scan_by_key_config_selectorIssEEZZNS1_16scan_by_key_implILNS1_25lookback_scan_determinismE0ELb1ES3_N6thrust23THRUST_200600_302600_NS6detail15normal_iteratorINS9_10device_ptrIsEEEESE_SE_sNS9_4plusIvEENS9_8equal_toIvEEsEE10hipError_tPvRmT2_T3_T4_T5_mT6_T7_P12ihipStream_tbENKUlT_T0_E_clISt17integral_constantIbLb0EESY_IbLb1EEEEDaSU_SV_EUlSU_E_NS1_11comp_targetILNS1_3genE5ELNS1_11target_archE942ELNS1_3gpuE9ELNS1_3repE0EEENS1_30default_config_static_selectorELNS0_4arch9wavefront6targetE0EEEvT1_,"axG",@progbits,_ZN7rocprim17ROCPRIM_400000_NS6detail17trampoline_kernelINS0_14default_configENS1_27scan_by_key_config_selectorIssEEZZNS1_16scan_by_key_implILNS1_25lookback_scan_determinismE0ELb1ES3_N6thrust23THRUST_200600_302600_NS6detail15normal_iteratorINS9_10device_ptrIsEEEESE_SE_sNS9_4plusIvEENS9_8equal_toIvEEsEE10hipError_tPvRmT2_T3_T4_T5_mT6_T7_P12ihipStream_tbENKUlT_T0_E_clISt17integral_constantIbLb0EESY_IbLb1EEEEDaSU_SV_EUlSU_E_NS1_11comp_targetILNS1_3genE5ELNS1_11target_archE942ELNS1_3gpuE9ELNS1_3repE0EEENS1_30default_config_static_selectorELNS0_4arch9wavefront6targetE0EEEvT1_,comdat
.Lfunc_end598:
	.size	_ZN7rocprim17ROCPRIM_400000_NS6detail17trampoline_kernelINS0_14default_configENS1_27scan_by_key_config_selectorIssEEZZNS1_16scan_by_key_implILNS1_25lookback_scan_determinismE0ELb1ES3_N6thrust23THRUST_200600_302600_NS6detail15normal_iteratorINS9_10device_ptrIsEEEESE_SE_sNS9_4plusIvEENS9_8equal_toIvEEsEE10hipError_tPvRmT2_T3_T4_T5_mT6_T7_P12ihipStream_tbENKUlT_T0_E_clISt17integral_constantIbLb0EESY_IbLb1EEEEDaSU_SV_EUlSU_E_NS1_11comp_targetILNS1_3genE5ELNS1_11target_archE942ELNS1_3gpuE9ELNS1_3repE0EEENS1_30default_config_static_selectorELNS0_4arch9wavefront6targetE0EEEvT1_, .Lfunc_end598-_ZN7rocprim17ROCPRIM_400000_NS6detail17trampoline_kernelINS0_14default_configENS1_27scan_by_key_config_selectorIssEEZZNS1_16scan_by_key_implILNS1_25lookback_scan_determinismE0ELb1ES3_N6thrust23THRUST_200600_302600_NS6detail15normal_iteratorINS9_10device_ptrIsEEEESE_SE_sNS9_4plusIvEENS9_8equal_toIvEEsEE10hipError_tPvRmT2_T3_T4_T5_mT6_T7_P12ihipStream_tbENKUlT_T0_E_clISt17integral_constantIbLb0EESY_IbLb1EEEEDaSU_SV_EUlSU_E_NS1_11comp_targetILNS1_3genE5ELNS1_11target_archE942ELNS1_3gpuE9ELNS1_3repE0EEENS1_30default_config_static_selectorELNS0_4arch9wavefront6targetE0EEEvT1_
                                        ; -- End function
	.set _ZN7rocprim17ROCPRIM_400000_NS6detail17trampoline_kernelINS0_14default_configENS1_27scan_by_key_config_selectorIssEEZZNS1_16scan_by_key_implILNS1_25lookback_scan_determinismE0ELb1ES3_N6thrust23THRUST_200600_302600_NS6detail15normal_iteratorINS9_10device_ptrIsEEEESE_SE_sNS9_4plusIvEENS9_8equal_toIvEEsEE10hipError_tPvRmT2_T3_T4_T5_mT6_T7_P12ihipStream_tbENKUlT_T0_E_clISt17integral_constantIbLb0EESY_IbLb1EEEEDaSU_SV_EUlSU_E_NS1_11comp_targetILNS1_3genE5ELNS1_11target_archE942ELNS1_3gpuE9ELNS1_3repE0EEENS1_30default_config_static_selectorELNS0_4arch9wavefront6targetE0EEEvT1_.num_vgpr, 0
	.set _ZN7rocprim17ROCPRIM_400000_NS6detail17trampoline_kernelINS0_14default_configENS1_27scan_by_key_config_selectorIssEEZZNS1_16scan_by_key_implILNS1_25lookback_scan_determinismE0ELb1ES3_N6thrust23THRUST_200600_302600_NS6detail15normal_iteratorINS9_10device_ptrIsEEEESE_SE_sNS9_4plusIvEENS9_8equal_toIvEEsEE10hipError_tPvRmT2_T3_T4_T5_mT6_T7_P12ihipStream_tbENKUlT_T0_E_clISt17integral_constantIbLb0EESY_IbLb1EEEEDaSU_SV_EUlSU_E_NS1_11comp_targetILNS1_3genE5ELNS1_11target_archE942ELNS1_3gpuE9ELNS1_3repE0EEENS1_30default_config_static_selectorELNS0_4arch9wavefront6targetE0EEEvT1_.num_agpr, 0
	.set _ZN7rocprim17ROCPRIM_400000_NS6detail17trampoline_kernelINS0_14default_configENS1_27scan_by_key_config_selectorIssEEZZNS1_16scan_by_key_implILNS1_25lookback_scan_determinismE0ELb1ES3_N6thrust23THRUST_200600_302600_NS6detail15normal_iteratorINS9_10device_ptrIsEEEESE_SE_sNS9_4plusIvEENS9_8equal_toIvEEsEE10hipError_tPvRmT2_T3_T4_T5_mT6_T7_P12ihipStream_tbENKUlT_T0_E_clISt17integral_constantIbLb0EESY_IbLb1EEEEDaSU_SV_EUlSU_E_NS1_11comp_targetILNS1_3genE5ELNS1_11target_archE942ELNS1_3gpuE9ELNS1_3repE0EEENS1_30default_config_static_selectorELNS0_4arch9wavefront6targetE0EEEvT1_.numbered_sgpr, 0
	.set _ZN7rocprim17ROCPRIM_400000_NS6detail17trampoline_kernelINS0_14default_configENS1_27scan_by_key_config_selectorIssEEZZNS1_16scan_by_key_implILNS1_25lookback_scan_determinismE0ELb1ES3_N6thrust23THRUST_200600_302600_NS6detail15normal_iteratorINS9_10device_ptrIsEEEESE_SE_sNS9_4plusIvEENS9_8equal_toIvEEsEE10hipError_tPvRmT2_T3_T4_T5_mT6_T7_P12ihipStream_tbENKUlT_T0_E_clISt17integral_constantIbLb0EESY_IbLb1EEEEDaSU_SV_EUlSU_E_NS1_11comp_targetILNS1_3genE5ELNS1_11target_archE942ELNS1_3gpuE9ELNS1_3repE0EEENS1_30default_config_static_selectorELNS0_4arch9wavefront6targetE0EEEvT1_.num_named_barrier, 0
	.set _ZN7rocprim17ROCPRIM_400000_NS6detail17trampoline_kernelINS0_14default_configENS1_27scan_by_key_config_selectorIssEEZZNS1_16scan_by_key_implILNS1_25lookback_scan_determinismE0ELb1ES3_N6thrust23THRUST_200600_302600_NS6detail15normal_iteratorINS9_10device_ptrIsEEEESE_SE_sNS9_4plusIvEENS9_8equal_toIvEEsEE10hipError_tPvRmT2_T3_T4_T5_mT6_T7_P12ihipStream_tbENKUlT_T0_E_clISt17integral_constantIbLb0EESY_IbLb1EEEEDaSU_SV_EUlSU_E_NS1_11comp_targetILNS1_3genE5ELNS1_11target_archE942ELNS1_3gpuE9ELNS1_3repE0EEENS1_30default_config_static_selectorELNS0_4arch9wavefront6targetE0EEEvT1_.private_seg_size, 0
	.set _ZN7rocprim17ROCPRIM_400000_NS6detail17trampoline_kernelINS0_14default_configENS1_27scan_by_key_config_selectorIssEEZZNS1_16scan_by_key_implILNS1_25lookback_scan_determinismE0ELb1ES3_N6thrust23THRUST_200600_302600_NS6detail15normal_iteratorINS9_10device_ptrIsEEEESE_SE_sNS9_4plusIvEENS9_8equal_toIvEEsEE10hipError_tPvRmT2_T3_T4_T5_mT6_T7_P12ihipStream_tbENKUlT_T0_E_clISt17integral_constantIbLb0EESY_IbLb1EEEEDaSU_SV_EUlSU_E_NS1_11comp_targetILNS1_3genE5ELNS1_11target_archE942ELNS1_3gpuE9ELNS1_3repE0EEENS1_30default_config_static_selectorELNS0_4arch9wavefront6targetE0EEEvT1_.uses_vcc, 0
	.set _ZN7rocprim17ROCPRIM_400000_NS6detail17trampoline_kernelINS0_14default_configENS1_27scan_by_key_config_selectorIssEEZZNS1_16scan_by_key_implILNS1_25lookback_scan_determinismE0ELb1ES3_N6thrust23THRUST_200600_302600_NS6detail15normal_iteratorINS9_10device_ptrIsEEEESE_SE_sNS9_4plusIvEENS9_8equal_toIvEEsEE10hipError_tPvRmT2_T3_T4_T5_mT6_T7_P12ihipStream_tbENKUlT_T0_E_clISt17integral_constantIbLb0EESY_IbLb1EEEEDaSU_SV_EUlSU_E_NS1_11comp_targetILNS1_3genE5ELNS1_11target_archE942ELNS1_3gpuE9ELNS1_3repE0EEENS1_30default_config_static_selectorELNS0_4arch9wavefront6targetE0EEEvT1_.uses_flat_scratch, 0
	.set _ZN7rocprim17ROCPRIM_400000_NS6detail17trampoline_kernelINS0_14default_configENS1_27scan_by_key_config_selectorIssEEZZNS1_16scan_by_key_implILNS1_25lookback_scan_determinismE0ELb1ES3_N6thrust23THRUST_200600_302600_NS6detail15normal_iteratorINS9_10device_ptrIsEEEESE_SE_sNS9_4plusIvEENS9_8equal_toIvEEsEE10hipError_tPvRmT2_T3_T4_T5_mT6_T7_P12ihipStream_tbENKUlT_T0_E_clISt17integral_constantIbLb0EESY_IbLb1EEEEDaSU_SV_EUlSU_E_NS1_11comp_targetILNS1_3genE5ELNS1_11target_archE942ELNS1_3gpuE9ELNS1_3repE0EEENS1_30default_config_static_selectorELNS0_4arch9wavefront6targetE0EEEvT1_.has_dyn_sized_stack, 0
	.set _ZN7rocprim17ROCPRIM_400000_NS6detail17trampoline_kernelINS0_14default_configENS1_27scan_by_key_config_selectorIssEEZZNS1_16scan_by_key_implILNS1_25lookback_scan_determinismE0ELb1ES3_N6thrust23THRUST_200600_302600_NS6detail15normal_iteratorINS9_10device_ptrIsEEEESE_SE_sNS9_4plusIvEENS9_8equal_toIvEEsEE10hipError_tPvRmT2_T3_T4_T5_mT6_T7_P12ihipStream_tbENKUlT_T0_E_clISt17integral_constantIbLb0EESY_IbLb1EEEEDaSU_SV_EUlSU_E_NS1_11comp_targetILNS1_3genE5ELNS1_11target_archE942ELNS1_3gpuE9ELNS1_3repE0EEENS1_30default_config_static_selectorELNS0_4arch9wavefront6targetE0EEEvT1_.has_recursion, 0
	.set _ZN7rocprim17ROCPRIM_400000_NS6detail17trampoline_kernelINS0_14default_configENS1_27scan_by_key_config_selectorIssEEZZNS1_16scan_by_key_implILNS1_25lookback_scan_determinismE0ELb1ES3_N6thrust23THRUST_200600_302600_NS6detail15normal_iteratorINS9_10device_ptrIsEEEESE_SE_sNS9_4plusIvEENS9_8equal_toIvEEsEE10hipError_tPvRmT2_T3_T4_T5_mT6_T7_P12ihipStream_tbENKUlT_T0_E_clISt17integral_constantIbLb0EESY_IbLb1EEEEDaSU_SV_EUlSU_E_NS1_11comp_targetILNS1_3genE5ELNS1_11target_archE942ELNS1_3gpuE9ELNS1_3repE0EEENS1_30default_config_static_selectorELNS0_4arch9wavefront6targetE0EEEvT1_.has_indirect_call, 0
	.section	.AMDGPU.csdata,"",@progbits
; Kernel info:
; codeLenInByte = 0
; TotalNumSgprs: 0
; NumVgprs: 0
; ScratchSize: 0
; MemoryBound: 0
; FloatMode: 240
; IeeeMode: 1
; LDSByteSize: 0 bytes/workgroup (compile time only)
; SGPRBlocks: 0
; VGPRBlocks: 0
; NumSGPRsForWavesPerEU: 1
; NumVGPRsForWavesPerEU: 1
; NamedBarCnt: 0
; Occupancy: 16
; WaveLimiterHint : 0
; COMPUTE_PGM_RSRC2:SCRATCH_EN: 0
; COMPUTE_PGM_RSRC2:USER_SGPR: 2
; COMPUTE_PGM_RSRC2:TRAP_HANDLER: 0
; COMPUTE_PGM_RSRC2:TGID_X_EN: 1
; COMPUTE_PGM_RSRC2:TGID_Y_EN: 0
; COMPUTE_PGM_RSRC2:TGID_Z_EN: 0
; COMPUTE_PGM_RSRC2:TIDIG_COMP_CNT: 0
	.section	.text._ZN7rocprim17ROCPRIM_400000_NS6detail17trampoline_kernelINS0_14default_configENS1_27scan_by_key_config_selectorIssEEZZNS1_16scan_by_key_implILNS1_25lookback_scan_determinismE0ELb1ES3_N6thrust23THRUST_200600_302600_NS6detail15normal_iteratorINS9_10device_ptrIsEEEESE_SE_sNS9_4plusIvEENS9_8equal_toIvEEsEE10hipError_tPvRmT2_T3_T4_T5_mT6_T7_P12ihipStream_tbENKUlT_T0_E_clISt17integral_constantIbLb0EESY_IbLb1EEEEDaSU_SV_EUlSU_E_NS1_11comp_targetILNS1_3genE4ELNS1_11target_archE910ELNS1_3gpuE8ELNS1_3repE0EEENS1_30default_config_static_selectorELNS0_4arch9wavefront6targetE0EEEvT1_,"axG",@progbits,_ZN7rocprim17ROCPRIM_400000_NS6detail17trampoline_kernelINS0_14default_configENS1_27scan_by_key_config_selectorIssEEZZNS1_16scan_by_key_implILNS1_25lookback_scan_determinismE0ELb1ES3_N6thrust23THRUST_200600_302600_NS6detail15normal_iteratorINS9_10device_ptrIsEEEESE_SE_sNS9_4plusIvEENS9_8equal_toIvEEsEE10hipError_tPvRmT2_T3_T4_T5_mT6_T7_P12ihipStream_tbENKUlT_T0_E_clISt17integral_constantIbLb0EESY_IbLb1EEEEDaSU_SV_EUlSU_E_NS1_11comp_targetILNS1_3genE4ELNS1_11target_archE910ELNS1_3gpuE8ELNS1_3repE0EEENS1_30default_config_static_selectorELNS0_4arch9wavefront6targetE0EEEvT1_,comdat
	.protected	_ZN7rocprim17ROCPRIM_400000_NS6detail17trampoline_kernelINS0_14default_configENS1_27scan_by_key_config_selectorIssEEZZNS1_16scan_by_key_implILNS1_25lookback_scan_determinismE0ELb1ES3_N6thrust23THRUST_200600_302600_NS6detail15normal_iteratorINS9_10device_ptrIsEEEESE_SE_sNS9_4plusIvEENS9_8equal_toIvEEsEE10hipError_tPvRmT2_T3_T4_T5_mT6_T7_P12ihipStream_tbENKUlT_T0_E_clISt17integral_constantIbLb0EESY_IbLb1EEEEDaSU_SV_EUlSU_E_NS1_11comp_targetILNS1_3genE4ELNS1_11target_archE910ELNS1_3gpuE8ELNS1_3repE0EEENS1_30default_config_static_selectorELNS0_4arch9wavefront6targetE0EEEvT1_ ; -- Begin function _ZN7rocprim17ROCPRIM_400000_NS6detail17trampoline_kernelINS0_14default_configENS1_27scan_by_key_config_selectorIssEEZZNS1_16scan_by_key_implILNS1_25lookback_scan_determinismE0ELb1ES3_N6thrust23THRUST_200600_302600_NS6detail15normal_iteratorINS9_10device_ptrIsEEEESE_SE_sNS9_4plusIvEENS9_8equal_toIvEEsEE10hipError_tPvRmT2_T3_T4_T5_mT6_T7_P12ihipStream_tbENKUlT_T0_E_clISt17integral_constantIbLb0EESY_IbLb1EEEEDaSU_SV_EUlSU_E_NS1_11comp_targetILNS1_3genE4ELNS1_11target_archE910ELNS1_3gpuE8ELNS1_3repE0EEENS1_30default_config_static_selectorELNS0_4arch9wavefront6targetE0EEEvT1_
	.globl	_ZN7rocprim17ROCPRIM_400000_NS6detail17trampoline_kernelINS0_14default_configENS1_27scan_by_key_config_selectorIssEEZZNS1_16scan_by_key_implILNS1_25lookback_scan_determinismE0ELb1ES3_N6thrust23THRUST_200600_302600_NS6detail15normal_iteratorINS9_10device_ptrIsEEEESE_SE_sNS9_4plusIvEENS9_8equal_toIvEEsEE10hipError_tPvRmT2_T3_T4_T5_mT6_T7_P12ihipStream_tbENKUlT_T0_E_clISt17integral_constantIbLb0EESY_IbLb1EEEEDaSU_SV_EUlSU_E_NS1_11comp_targetILNS1_3genE4ELNS1_11target_archE910ELNS1_3gpuE8ELNS1_3repE0EEENS1_30default_config_static_selectorELNS0_4arch9wavefront6targetE0EEEvT1_
	.p2align	8
	.type	_ZN7rocprim17ROCPRIM_400000_NS6detail17trampoline_kernelINS0_14default_configENS1_27scan_by_key_config_selectorIssEEZZNS1_16scan_by_key_implILNS1_25lookback_scan_determinismE0ELb1ES3_N6thrust23THRUST_200600_302600_NS6detail15normal_iteratorINS9_10device_ptrIsEEEESE_SE_sNS9_4plusIvEENS9_8equal_toIvEEsEE10hipError_tPvRmT2_T3_T4_T5_mT6_T7_P12ihipStream_tbENKUlT_T0_E_clISt17integral_constantIbLb0EESY_IbLb1EEEEDaSU_SV_EUlSU_E_NS1_11comp_targetILNS1_3genE4ELNS1_11target_archE910ELNS1_3gpuE8ELNS1_3repE0EEENS1_30default_config_static_selectorELNS0_4arch9wavefront6targetE0EEEvT1_,@function
_ZN7rocprim17ROCPRIM_400000_NS6detail17trampoline_kernelINS0_14default_configENS1_27scan_by_key_config_selectorIssEEZZNS1_16scan_by_key_implILNS1_25lookback_scan_determinismE0ELb1ES3_N6thrust23THRUST_200600_302600_NS6detail15normal_iteratorINS9_10device_ptrIsEEEESE_SE_sNS9_4plusIvEENS9_8equal_toIvEEsEE10hipError_tPvRmT2_T3_T4_T5_mT6_T7_P12ihipStream_tbENKUlT_T0_E_clISt17integral_constantIbLb0EESY_IbLb1EEEEDaSU_SV_EUlSU_E_NS1_11comp_targetILNS1_3genE4ELNS1_11target_archE910ELNS1_3gpuE8ELNS1_3repE0EEENS1_30default_config_static_selectorELNS0_4arch9wavefront6targetE0EEEvT1_: ; @_ZN7rocprim17ROCPRIM_400000_NS6detail17trampoline_kernelINS0_14default_configENS1_27scan_by_key_config_selectorIssEEZZNS1_16scan_by_key_implILNS1_25lookback_scan_determinismE0ELb1ES3_N6thrust23THRUST_200600_302600_NS6detail15normal_iteratorINS9_10device_ptrIsEEEESE_SE_sNS9_4plusIvEENS9_8equal_toIvEEsEE10hipError_tPvRmT2_T3_T4_T5_mT6_T7_P12ihipStream_tbENKUlT_T0_E_clISt17integral_constantIbLb0EESY_IbLb1EEEEDaSU_SV_EUlSU_E_NS1_11comp_targetILNS1_3genE4ELNS1_11target_archE910ELNS1_3gpuE8ELNS1_3repE0EEENS1_30default_config_static_selectorELNS0_4arch9wavefront6targetE0EEEvT1_
; %bb.0:
	.section	.rodata,"a",@progbits
	.p2align	6, 0x0
	.amdhsa_kernel _ZN7rocprim17ROCPRIM_400000_NS6detail17trampoline_kernelINS0_14default_configENS1_27scan_by_key_config_selectorIssEEZZNS1_16scan_by_key_implILNS1_25lookback_scan_determinismE0ELb1ES3_N6thrust23THRUST_200600_302600_NS6detail15normal_iteratorINS9_10device_ptrIsEEEESE_SE_sNS9_4plusIvEENS9_8equal_toIvEEsEE10hipError_tPvRmT2_T3_T4_T5_mT6_T7_P12ihipStream_tbENKUlT_T0_E_clISt17integral_constantIbLb0EESY_IbLb1EEEEDaSU_SV_EUlSU_E_NS1_11comp_targetILNS1_3genE4ELNS1_11target_archE910ELNS1_3gpuE8ELNS1_3repE0EEENS1_30default_config_static_selectorELNS0_4arch9wavefront6targetE0EEEvT1_
		.amdhsa_group_segment_fixed_size 0
		.amdhsa_private_segment_fixed_size 0
		.amdhsa_kernarg_size 112
		.amdhsa_user_sgpr_count 2
		.amdhsa_user_sgpr_dispatch_ptr 0
		.amdhsa_user_sgpr_queue_ptr 0
		.amdhsa_user_sgpr_kernarg_segment_ptr 1
		.amdhsa_user_sgpr_dispatch_id 0
		.amdhsa_user_sgpr_kernarg_preload_length 0
		.amdhsa_user_sgpr_kernarg_preload_offset 0
		.amdhsa_user_sgpr_private_segment_size 0
		.amdhsa_wavefront_size32 1
		.amdhsa_uses_dynamic_stack 0
		.amdhsa_enable_private_segment 0
		.amdhsa_system_sgpr_workgroup_id_x 1
		.amdhsa_system_sgpr_workgroup_id_y 0
		.amdhsa_system_sgpr_workgroup_id_z 0
		.amdhsa_system_sgpr_workgroup_info 0
		.amdhsa_system_vgpr_workitem_id 0
		.amdhsa_next_free_vgpr 1
		.amdhsa_next_free_sgpr 1
		.amdhsa_named_barrier_count 0
		.amdhsa_reserve_vcc 0
		.amdhsa_float_round_mode_32 0
		.amdhsa_float_round_mode_16_64 0
		.amdhsa_float_denorm_mode_32 3
		.amdhsa_float_denorm_mode_16_64 3
		.amdhsa_fp16_overflow 0
		.amdhsa_memory_ordered 1
		.amdhsa_forward_progress 1
		.amdhsa_inst_pref_size 0
		.amdhsa_round_robin_scheduling 0
		.amdhsa_exception_fp_ieee_invalid_op 0
		.amdhsa_exception_fp_denorm_src 0
		.amdhsa_exception_fp_ieee_div_zero 0
		.amdhsa_exception_fp_ieee_overflow 0
		.amdhsa_exception_fp_ieee_underflow 0
		.amdhsa_exception_fp_ieee_inexact 0
		.amdhsa_exception_int_div_zero 0
	.end_amdhsa_kernel
	.section	.text._ZN7rocprim17ROCPRIM_400000_NS6detail17trampoline_kernelINS0_14default_configENS1_27scan_by_key_config_selectorIssEEZZNS1_16scan_by_key_implILNS1_25lookback_scan_determinismE0ELb1ES3_N6thrust23THRUST_200600_302600_NS6detail15normal_iteratorINS9_10device_ptrIsEEEESE_SE_sNS9_4plusIvEENS9_8equal_toIvEEsEE10hipError_tPvRmT2_T3_T4_T5_mT6_T7_P12ihipStream_tbENKUlT_T0_E_clISt17integral_constantIbLb0EESY_IbLb1EEEEDaSU_SV_EUlSU_E_NS1_11comp_targetILNS1_3genE4ELNS1_11target_archE910ELNS1_3gpuE8ELNS1_3repE0EEENS1_30default_config_static_selectorELNS0_4arch9wavefront6targetE0EEEvT1_,"axG",@progbits,_ZN7rocprim17ROCPRIM_400000_NS6detail17trampoline_kernelINS0_14default_configENS1_27scan_by_key_config_selectorIssEEZZNS1_16scan_by_key_implILNS1_25lookback_scan_determinismE0ELb1ES3_N6thrust23THRUST_200600_302600_NS6detail15normal_iteratorINS9_10device_ptrIsEEEESE_SE_sNS9_4plusIvEENS9_8equal_toIvEEsEE10hipError_tPvRmT2_T3_T4_T5_mT6_T7_P12ihipStream_tbENKUlT_T0_E_clISt17integral_constantIbLb0EESY_IbLb1EEEEDaSU_SV_EUlSU_E_NS1_11comp_targetILNS1_3genE4ELNS1_11target_archE910ELNS1_3gpuE8ELNS1_3repE0EEENS1_30default_config_static_selectorELNS0_4arch9wavefront6targetE0EEEvT1_,comdat
.Lfunc_end599:
	.size	_ZN7rocprim17ROCPRIM_400000_NS6detail17trampoline_kernelINS0_14default_configENS1_27scan_by_key_config_selectorIssEEZZNS1_16scan_by_key_implILNS1_25lookback_scan_determinismE0ELb1ES3_N6thrust23THRUST_200600_302600_NS6detail15normal_iteratorINS9_10device_ptrIsEEEESE_SE_sNS9_4plusIvEENS9_8equal_toIvEEsEE10hipError_tPvRmT2_T3_T4_T5_mT6_T7_P12ihipStream_tbENKUlT_T0_E_clISt17integral_constantIbLb0EESY_IbLb1EEEEDaSU_SV_EUlSU_E_NS1_11comp_targetILNS1_3genE4ELNS1_11target_archE910ELNS1_3gpuE8ELNS1_3repE0EEENS1_30default_config_static_selectorELNS0_4arch9wavefront6targetE0EEEvT1_, .Lfunc_end599-_ZN7rocprim17ROCPRIM_400000_NS6detail17trampoline_kernelINS0_14default_configENS1_27scan_by_key_config_selectorIssEEZZNS1_16scan_by_key_implILNS1_25lookback_scan_determinismE0ELb1ES3_N6thrust23THRUST_200600_302600_NS6detail15normal_iteratorINS9_10device_ptrIsEEEESE_SE_sNS9_4plusIvEENS9_8equal_toIvEEsEE10hipError_tPvRmT2_T3_T4_T5_mT6_T7_P12ihipStream_tbENKUlT_T0_E_clISt17integral_constantIbLb0EESY_IbLb1EEEEDaSU_SV_EUlSU_E_NS1_11comp_targetILNS1_3genE4ELNS1_11target_archE910ELNS1_3gpuE8ELNS1_3repE0EEENS1_30default_config_static_selectorELNS0_4arch9wavefront6targetE0EEEvT1_
                                        ; -- End function
	.set _ZN7rocprim17ROCPRIM_400000_NS6detail17trampoline_kernelINS0_14default_configENS1_27scan_by_key_config_selectorIssEEZZNS1_16scan_by_key_implILNS1_25lookback_scan_determinismE0ELb1ES3_N6thrust23THRUST_200600_302600_NS6detail15normal_iteratorINS9_10device_ptrIsEEEESE_SE_sNS9_4plusIvEENS9_8equal_toIvEEsEE10hipError_tPvRmT2_T3_T4_T5_mT6_T7_P12ihipStream_tbENKUlT_T0_E_clISt17integral_constantIbLb0EESY_IbLb1EEEEDaSU_SV_EUlSU_E_NS1_11comp_targetILNS1_3genE4ELNS1_11target_archE910ELNS1_3gpuE8ELNS1_3repE0EEENS1_30default_config_static_selectorELNS0_4arch9wavefront6targetE0EEEvT1_.num_vgpr, 0
	.set _ZN7rocprim17ROCPRIM_400000_NS6detail17trampoline_kernelINS0_14default_configENS1_27scan_by_key_config_selectorIssEEZZNS1_16scan_by_key_implILNS1_25lookback_scan_determinismE0ELb1ES3_N6thrust23THRUST_200600_302600_NS6detail15normal_iteratorINS9_10device_ptrIsEEEESE_SE_sNS9_4plusIvEENS9_8equal_toIvEEsEE10hipError_tPvRmT2_T3_T4_T5_mT6_T7_P12ihipStream_tbENKUlT_T0_E_clISt17integral_constantIbLb0EESY_IbLb1EEEEDaSU_SV_EUlSU_E_NS1_11comp_targetILNS1_3genE4ELNS1_11target_archE910ELNS1_3gpuE8ELNS1_3repE0EEENS1_30default_config_static_selectorELNS0_4arch9wavefront6targetE0EEEvT1_.num_agpr, 0
	.set _ZN7rocprim17ROCPRIM_400000_NS6detail17trampoline_kernelINS0_14default_configENS1_27scan_by_key_config_selectorIssEEZZNS1_16scan_by_key_implILNS1_25lookback_scan_determinismE0ELb1ES3_N6thrust23THRUST_200600_302600_NS6detail15normal_iteratorINS9_10device_ptrIsEEEESE_SE_sNS9_4plusIvEENS9_8equal_toIvEEsEE10hipError_tPvRmT2_T3_T4_T5_mT6_T7_P12ihipStream_tbENKUlT_T0_E_clISt17integral_constantIbLb0EESY_IbLb1EEEEDaSU_SV_EUlSU_E_NS1_11comp_targetILNS1_3genE4ELNS1_11target_archE910ELNS1_3gpuE8ELNS1_3repE0EEENS1_30default_config_static_selectorELNS0_4arch9wavefront6targetE0EEEvT1_.numbered_sgpr, 0
	.set _ZN7rocprim17ROCPRIM_400000_NS6detail17trampoline_kernelINS0_14default_configENS1_27scan_by_key_config_selectorIssEEZZNS1_16scan_by_key_implILNS1_25lookback_scan_determinismE0ELb1ES3_N6thrust23THRUST_200600_302600_NS6detail15normal_iteratorINS9_10device_ptrIsEEEESE_SE_sNS9_4plusIvEENS9_8equal_toIvEEsEE10hipError_tPvRmT2_T3_T4_T5_mT6_T7_P12ihipStream_tbENKUlT_T0_E_clISt17integral_constantIbLb0EESY_IbLb1EEEEDaSU_SV_EUlSU_E_NS1_11comp_targetILNS1_3genE4ELNS1_11target_archE910ELNS1_3gpuE8ELNS1_3repE0EEENS1_30default_config_static_selectorELNS0_4arch9wavefront6targetE0EEEvT1_.num_named_barrier, 0
	.set _ZN7rocprim17ROCPRIM_400000_NS6detail17trampoline_kernelINS0_14default_configENS1_27scan_by_key_config_selectorIssEEZZNS1_16scan_by_key_implILNS1_25lookback_scan_determinismE0ELb1ES3_N6thrust23THRUST_200600_302600_NS6detail15normal_iteratorINS9_10device_ptrIsEEEESE_SE_sNS9_4plusIvEENS9_8equal_toIvEEsEE10hipError_tPvRmT2_T3_T4_T5_mT6_T7_P12ihipStream_tbENKUlT_T0_E_clISt17integral_constantIbLb0EESY_IbLb1EEEEDaSU_SV_EUlSU_E_NS1_11comp_targetILNS1_3genE4ELNS1_11target_archE910ELNS1_3gpuE8ELNS1_3repE0EEENS1_30default_config_static_selectorELNS0_4arch9wavefront6targetE0EEEvT1_.private_seg_size, 0
	.set _ZN7rocprim17ROCPRIM_400000_NS6detail17trampoline_kernelINS0_14default_configENS1_27scan_by_key_config_selectorIssEEZZNS1_16scan_by_key_implILNS1_25lookback_scan_determinismE0ELb1ES3_N6thrust23THRUST_200600_302600_NS6detail15normal_iteratorINS9_10device_ptrIsEEEESE_SE_sNS9_4plusIvEENS9_8equal_toIvEEsEE10hipError_tPvRmT2_T3_T4_T5_mT6_T7_P12ihipStream_tbENKUlT_T0_E_clISt17integral_constantIbLb0EESY_IbLb1EEEEDaSU_SV_EUlSU_E_NS1_11comp_targetILNS1_3genE4ELNS1_11target_archE910ELNS1_3gpuE8ELNS1_3repE0EEENS1_30default_config_static_selectorELNS0_4arch9wavefront6targetE0EEEvT1_.uses_vcc, 0
	.set _ZN7rocprim17ROCPRIM_400000_NS6detail17trampoline_kernelINS0_14default_configENS1_27scan_by_key_config_selectorIssEEZZNS1_16scan_by_key_implILNS1_25lookback_scan_determinismE0ELb1ES3_N6thrust23THRUST_200600_302600_NS6detail15normal_iteratorINS9_10device_ptrIsEEEESE_SE_sNS9_4plusIvEENS9_8equal_toIvEEsEE10hipError_tPvRmT2_T3_T4_T5_mT6_T7_P12ihipStream_tbENKUlT_T0_E_clISt17integral_constantIbLb0EESY_IbLb1EEEEDaSU_SV_EUlSU_E_NS1_11comp_targetILNS1_3genE4ELNS1_11target_archE910ELNS1_3gpuE8ELNS1_3repE0EEENS1_30default_config_static_selectorELNS0_4arch9wavefront6targetE0EEEvT1_.uses_flat_scratch, 0
	.set _ZN7rocprim17ROCPRIM_400000_NS6detail17trampoline_kernelINS0_14default_configENS1_27scan_by_key_config_selectorIssEEZZNS1_16scan_by_key_implILNS1_25lookback_scan_determinismE0ELb1ES3_N6thrust23THRUST_200600_302600_NS6detail15normal_iteratorINS9_10device_ptrIsEEEESE_SE_sNS9_4plusIvEENS9_8equal_toIvEEsEE10hipError_tPvRmT2_T3_T4_T5_mT6_T7_P12ihipStream_tbENKUlT_T0_E_clISt17integral_constantIbLb0EESY_IbLb1EEEEDaSU_SV_EUlSU_E_NS1_11comp_targetILNS1_3genE4ELNS1_11target_archE910ELNS1_3gpuE8ELNS1_3repE0EEENS1_30default_config_static_selectorELNS0_4arch9wavefront6targetE0EEEvT1_.has_dyn_sized_stack, 0
	.set _ZN7rocprim17ROCPRIM_400000_NS6detail17trampoline_kernelINS0_14default_configENS1_27scan_by_key_config_selectorIssEEZZNS1_16scan_by_key_implILNS1_25lookback_scan_determinismE0ELb1ES3_N6thrust23THRUST_200600_302600_NS6detail15normal_iteratorINS9_10device_ptrIsEEEESE_SE_sNS9_4plusIvEENS9_8equal_toIvEEsEE10hipError_tPvRmT2_T3_T4_T5_mT6_T7_P12ihipStream_tbENKUlT_T0_E_clISt17integral_constantIbLb0EESY_IbLb1EEEEDaSU_SV_EUlSU_E_NS1_11comp_targetILNS1_3genE4ELNS1_11target_archE910ELNS1_3gpuE8ELNS1_3repE0EEENS1_30default_config_static_selectorELNS0_4arch9wavefront6targetE0EEEvT1_.has_recursion, 0
	.set _ZN7rocprim17ROCPRIM_400000_NS6detail17trampoline_kernelINS0_14default_configENS1_27scan_by_key_config_selectorIssEEZZNS1_16scan_by_key_implILNS1_25lookback_scan_determinismE0ELb1ES3_N6thrust23THRUST_200600_302600_NS6detail15normal_iteratorINS9_10device_ptrIsEEEESE_SE_sNS9_4plusIvEENS9_8equal_toIvEEsEE10hipError_tPvRmT2_T3_T4_T5_mT6_T7_P12ihipStream_tbENKUlT_T0_E_clISt17integral_constantIbLb0EESY_IbLb1EEEEDaSU_SV_EUlSU_E_NS1_11comp_targetILNS1_3genE4ELNS1_11target_archE910ELNS1_3gpuE8ELNS1_3repE0EEENS1_30default_config_static_selectorELNS0_4arch9wavefront6targetE0EEEvT1_.has_indirect_call, 0
	.section	.AMDGPU.csdata,"",@progbits
; Kernel info:
; codeLenInByte = 0
; TotalNumSgprs: 0
; NumVgprs: 0
; ScratchSize: 0
; MemoryBound: 0
; FloatMode: 240
; IeeeMode: 1
; LDSByteSize: 0 bytes/workgroup (compile time only)
; SGPRBlocks: 0
; VGPRBlocks: 0
; NumSGPRsForWavesPerEU: 1
; NumVGPRsForWavesPerEU: 1
; NamedBarCnt: 0
; Occupancy: 16
; WaveLimiterHint : 0
; COMPUTE_PGM_RSRC2:SCRATCH_EN: 0
; COMPUTE_PGM_RSRC2:USER_SGPR: 2
; COMPUTE_PGM_RSRC2:TRAP_HANDLER: 0
; COMPUTE_PGM_RSRC2:TGID_X_EN: 1
; COMPUTE_PGM_RSRC2:TGID_Y_EN: 0
; COMPUTE_PGM_RSRC2:TGID_Z_EN: 0
; COMPUTE_PGM_RSRC2:TIDIG_COMP_CNT: 0
	.section	.text._ZN7rocprim17ROCPRIM_400000_NS6detail17trampoline_kernelINS0_14default_configENS1_27scan_by_key_config_selectorIssEEZZNS1_16scan_by_key_implILNS1_25lookback_scan_determinismE0ELb1ES3_N6thrust23THRUST_200600_302600_NS6detail15normal_iteratorINS9_10device_ptrIsEEEESE_SE_sNS9_4plusIvEENS9_8equal_toIvEEsEE10hipError_tPvRmT2_T3_T4_T5_mT6_T7_P12ihipStream_tbENKUlT_T0_E_clISt17integral_constantIbLb0EESY_IbLb1EEEEDaSU_SV_EUlSU_E_NS1_11comp_targetILNS1_3genE3ELNS1_11target_archE908ELNS1_3gpuE7ELNS1_3repE0EEENS1_30default_config_static_selectorELNS0_4arch9wavefront6targetE0EEEvT1_,"axG",@progbits,_ZN7rocprim17ROCPRIM_400000_NS6detail17trampoline_kernelINS0_14default_configENS1_27scan_by_key_config_selectorIssEEZZNS1_16scan_by_key_implILNS1_25lookback_scan_determinismE0ELb1ES3_N6thrust23THRUST_200600_302600_NS6detail15normal_iteratorINS9_10device_ptrIsEEEESE_SE_sNS9_4plusIvEENS9_8equal_toIvEEsEE10hipError_tPvRmT2_T3_T4_T5_mT6_T7_P12ihipStream_tbENKUlT_T0_E_clISt17integral_constantIbLb0EESY_IbLb1EEEEDaSU_SV_EUlSU_E_NS1_11comp_targetILNS1_3genE3ELNS1_11target_archE908ELNS1_3gpuE7ELNS1_3repE0EEENS1_30default_config_static_selectorELNS0_4arch9wavefront6targetE0EEEvT1_,comdat
	.protected	_ZN7rocprim17ROCPRIM_400000_NS6detail17trampoline_kernelINS0_14default_configENS1_27scan_by_key_config_selectorIssEEZZNS1_16scan_by_key_implILNS1_25lookback_scan_determinismE0ELb1ES3_N6thrust23THRUST_200600_302600_NS6detail15normal_iteratorINS9_10device_ptrIsEEEESE_SE_sNS9_4plusIvEENS9_8equal_toIvEEsEE10hipError_tPvRmT2_T3_T4_T5_mT6_T7_P12ihipStream_tbENKUlT_T0_E_clISt17integral_constantIbLb0EESY_IbLb1EEEEDaSU_SV_EUlSU_E_NS1_11comp_targetILNS1_3genE3ELNS1_11target_archE908ELNS1_3gpuE7ELNS1_3repE0EEENS1_30default_config_static_selectorELNS0_4arch9wavefront6targetE0EEEvT1_ ; -- Begin function _ZN7rocprim17ROCPRIM_400000_NS6detail17trampoline_kernelINS0_14default_configENS1_27scan_by_key_config_selectorIssEEZZNS1_16scan_by_key_implILNS1_25lookback_scan_determinismE0ELb1ES3_N6thrust23THRUST_200600_302600_NS6detail15normal_iteratorINS9_10device_ptrIsEEEESE_SE_sNS9_4plusIvEENS9_8equal_toIvEEsEE10hipError_tPvRmT2_T3_T4_T5_mT6_T7_P12ihipStream_tbENKUlT_T0_E_clISt17integral_constantIbLb0EESY_IbLb1EEEEDaSU_SV_EUlSU_E_NS1_11comp_targetILNS1_3genE3ELNS1_11target_archE908ELNS1_3gpuE7ELNS1_3repE0EEENS1_30default_config_static_selectorELNS0_4arch9wavefront6targetE0EEEvT1_
	.globl	_ZN7rocprim17ROCPRIM_400000_NS6detail17trampoline_kernelINS0_14default_configENS1_27scan_by_key_config_selectorIssEEZZNS1_16scan_by_key_implILNS1_25lookback_scan_determinismE0ELb1ES3_N6thrust23THRUST_200600_302600_NS6detail15normal_iteratorINS9_10device_ptrIsEEEESE_SE_sNS9_4plusIvEENS9_8equal_toIvEEsEE10hipError_tPvRmT2_T3_T4_T5_mT6_T7_P12ihipStream_tbENKUlT_T0_E_clISt17integral_constantIbLb0EESY_IbLb1EEEEDaSU_SV_EUlSU_E_NS1_11comp_targetILNS1_3genE3ELNS1_11target_archE908ELNS1_3gpuE7ELNS1_3repE0EEENS1_30default_config_static_selectorELNS0_4arch9wavefront6targetE0EEEvT1_
	.p2align	8
	.type	_ZN7rocprim17ROCPRIM_400000_NS6detail17trampoline_kernelINS0_14default_configENS1_27scan_by_key_config_selectorIssEEZZNS1_16scan_by_key_implILNS1_25lookback_scan_determinismE0ELb1ES3_N6thrust23THRUST_200600_302600_NS6detail15normal_iteratorINS9_10device_ptrIsEEEESE_SE_sNS9_4plusIvEENS9_8equal_toIvEEsEE10hipError_tPvRmT2_T3_T4_T5_mT6_T7_P12ihipStream_tbENKUlT_T0_E_clISt17integral_constantIbLb0EESY_IbLb1EEEEDaSU_SV_EUlSU_E_NS1_11comp_targetILNS1_3genE3ELNS1_11target_archE908ELNS1_3gpuE7ELNS1_3repE0EEENS1_30default_config_static_selectorELNS0_4arch9wavefront6targetE0EEEvT1_,@function
_ZN7rocprim17ROCPRIM_400000_NS6detail17trampoline_kernelINS0_14default_configENS1_27scan_by_key_config_selectorIssEEZZNS1_16scan_by_key_implILNS1_25lookback_scan_determinismE0ELb1ES3_N6thrust23THRUST_200600_302600_NS6detail15normal_iteratorINS9_10device_ptrIsEEEESE_SE_sNS9_4plusIvEENS9_8equal_toIvEEsEE10hipError_tPvRmT2_T3_T4_T5_mT6_T7_P12ihipStream_tbENKUlT_T0_E_clISt17integral_constantIbLb0EESY_IbLb1EEEEDaSU_SV_EUlSU_E_NS1_11comp_targetILNS1_3genE3ELNS1_11target_archE908ELNS1_3gpuE7ELNS1_3repE0EEENS1_30default_config_static_selectorELNS0_4arch9wavefront6targetE0EEEvT1_: ; @_ZN7rocprim17ROCPRIM_400000_NS6detail17trampoline_kernelINS0_14default_configENS1_27scan_by_key_config_selectorIssEEZZNS1_16scan_by_key_implILNS1_25lookback_scan_determinismE0ELb1ES3_N6thrust23THRUST_200600_302600_NS6detail15normal_iteratorINS9_10device_ptrIsEEEESE_SE_sNS9_4plusIvEENS9_8equal_toIvEEsEE10hipError_tPvRmT2_T3_T4_T5_mT6_T7_P12ihipStream_tbENKUlT_T0_E_clISt17integral_constantIbLb0EESY_IbLb1EEEEDaSU_SV_EUlSU_E_NS1_11comp_targetILNS1_3genE3ELNS1_11target_archE908ELNS1_3gpuE7ELNS1_3repE0EEENS1_30default_config_static_selectorELNS0_4arch9wavefront6targetE0EEEvT1_
; %bb.0:
	.section	.rodata,"a",@progbits
	.p2align	6, 0x0
	.amdhsa_kernel _ZN7rocprim17ROCPRIM_400000_NS6detail17trampoline_kernelINS0_14default_configENS1_27scan_by_key_config_selectorIssEEZZNS1_16scan_by_key_implILNS1_25lookback_scan_determinismE0ELb1ES3_N6thrust23THRUST_200600_302600_NS6detail15normal_iteratorINS9_10device_ptrIsEEEESE_SE_sNS9_4plusIvEENS9_8equal_toIvEEsEE10hipError_tPvRmT2_T3_T4_T5_mT6_T7_P12ihipStream_tbENKUlT_T0_E_clISt17integral_constantIbLb0EESY_IbLb1EEEEDaSU_SV_EUlSU_E_NS1_11comp_targetILNS1_3genE3ELNS1_11target_archE908ELNS1_3gpuE7ELNS1_3repE0EEENS1_30default_config_static_selectorELNS0_4arch9wavefront6targetE0EEEvT1_
		.amdhsa_group_segment_fixed_size 0
		.amdhsa_private_segment_fixed_size 0
		.amdhsa_kernarg_size 112
		.amdhsa_user_sgpr_count 2
		.amdhsa_user_sgpr_dispatch_ptr 0
		.amdhsa_user_sgpr_queue_ptr 0
		.amdhsa_user_sgpr_kernarg_segment_ptr 1
		.amdhsa_user_sgpr_dispatch_id 0
		.amdhsa_user_sgpr_kernarg_preload_length 0
		.amdhsa_user_sgpr_kernarg_preload_offset 0
		.amdhsa_user_sgpr_private_segment_size 0
		.amdhsa_wavefront_size32 1
		.amdhsa_uses_dynamic_stack 0
		.amdhsa_enable_private_segment 0
		.amdhsa_system_sgpr_workgroup_id_x 1
		.amdhsa_system_sgpr_workgroup_id_y 0
		.amdhsa_system_sgpr_workgroup_id_z 0
		.amdhsa_system_sgpr_workgroup_info 0
		.amdhsa_system_vgpr_workitem_id 0
		.amdhsa_next_free_vgpr 1
		.amdhsa_next_free_sgpr 1
		.amdhsa_named_barrier_count 0
		.amdhsa_reserve_vcc 0
		.amdhsa_float_round_mode_32 0
		.amdhsa_float_round_mode_16_64 0
		.amdhsa_float_denorm_mode_32 3
		.amdhsa_float_denorm_mode_16_64 3
		.amdhsa_fp16_overflow 0
		.amdhsa_memory_ordered 1
		.amdhsa_forward_progress 1
		.amdhsa_inst_pref_size 0
		.amdhsa_round_robin_scheduling 0
		.amdhsa_exception_fp_ieee_invalid_op 0
		.amdhsa_exception_fp_denorm_src 0
		.amdhsa_exception_fp_ieee_div_zero 0
		.amdhsa_exception_fp_ieee_overflow 0
		.amdhsa_exception_fp_ieee_underflow 0
		.amdhsa_exception_fp_ieee_inexact 0
		.amdhsa_exception_int_div_zero 0
	.end_amdhsa_kernel
	.section	.text._ZN7rocprim17ROCPRIM_400000_NS6detail17trampoline_kernelINS0_14default_configENS1_27scan_by_key_config_selectorIssEEZZNS1_16scan_by_key_implILNS1_25lookback_scan_determinismE0ELb1ES3_N6thrust23THRUST_200600_302600_NS6detail15normal_iteratorINS9_10device_ptrIsEEEESE_SE_sNS9_4plusIvEENS9_8equal_toIvEEsEE10hipError_tPvRmT2_T3_T4_T5_mT6_T7_P12ihipStream_tbENKUlT_T0_E_clISt17integral_constantIbLb0EESY_IbLb1EEEEDaSU_SV_EUlSU_E_NS1_11comp_targetILNS1_3genE3ELNS1_11target_archE908ELNS1_3gpuE7ELNS1_3repE0EEENS1_30default_config_static_selectorELNS0_4arch9wavefront6targetE0EEEvT1_,"axG",@progbits,_ZN7rocprim17ROCPRIM_400000_NS6detail17trampoline_kernelINS0_14default_configENS1_27scan_by_key_config_selectorIssEEZZNS1_16scan_by_key_implILNS1_25lookback_scan_determinismE0ELb1ES3_N6thrust23THRUST_200600_302600_NS6detail15normal_iteratorINS9_10device_ptrIsEEEESE_SE_sNS9_4plusIvEENS9_8equal_toIvEEsEE10hipError_tPvRmT2_T3_T4_T5_mT6_T7_P12ihipStream_tbENKUlT_T0_E_clISt17integral_constantIbLb0EESY_IbLb1EEEEDaSU_SV_EUlSU_E_NS1_11comp_targetILNS1_3genE3ELNS1_11target_archE908ELNS1_3gpuE7ELNS1_3repE0EEENS1_30default_config_static_selectorELNS0_4arch9wavefront6targetE0EEEvT1_,comdat
.Lfunc_end600:
	.size	_ZN7rocprim17ROCPRIM_400000_NS6detail17trampoline_kernelINS0_14default_configENS1_27scan_by_key_config_selectorIssEEZZNS1_16scan_by_key_implILNS1_25lookback_scan_determinismE0ELb1ES3_N6thrust23THRUST_200600_302600_NS6detail15normal_iteratorINS9_10device_ptrIsEEEESE_SE_sNS9_4plusIvEENS9_8equal_toIvEEsEE10hipError_tPvRmT2_T3_T4_T5_mT6_T7_P12ihipStream_tbENKUlT_T0_E_clISt17integral_constantIbLb0EESY_IbLb1EEEEDaSU_SV_EUlSU_E_NS1_11comp_targetILNS1_3genE3ELNS1_11target_archE908ELNS1_3gpuE7ELNS1_3repE0EEENS1_30default_config_static_selectorELNS0_4arch9wavefront6targetE0EEEvT1_, .Lfunc_end600-_ZN7rocprim17ROCPRIM_400000_NS6detail17trampoline_kernelINS0_14default_configENS1_27scan_by_key_config_selectorIssEEZZNS1_16scan_by_key_implILNS1_25lookback_scan_determinismE0ELb1ES3_N6thrust23THRUST_200600_302600_NS6detail15normal_iteratorINS9_10device_ptrIsEEEESE_SE_sNS9_4plusIvEENS9_8equal_toIvEEsEE10hipError_tPvRmT2_T3_T4_T5_mT6_T7_P12ihipStream_tbENKUlT_T0_E_clISt17integral_constantIbLb0EESY_IbLb1EEEEDaSU_SV_EUlSU_E_NS1_11comp_targetILNS1_3genE3ELNS1_11target_archE908ELNS1_3gpuE7ELNS1_3repE0EEENS1_30default_config_static_selectorELNS0_4arch9wavefront6targetE0EEEvT1_
                                        ; -- End function
	.set _ZN7rocprim17ROCPRIM_400000_NS6detail17trampoline_kernelINS0_14default_configENS1_27scan_by_key_config_selectorIssEEZZNS1_16scan_by_key_implILNS1_25lookback_scan_determinismE0ELb1ES3_N6thrust23THRUST_200600_302600_NS6detail15normal_iteratorINS9_10device_ptrIsEEEESE_SE_sNS9_4plusIvEENS9_8equal_toIvEEsEE10hipError_tPvRmT2_T3_T4_T5_mT6_T7_P12ihipStream_tbENKUlT_T0_E_clISt17integral_constantIbLb0EESY_IbLb1EEEEDaSU_SV_EUlSU_E_NS1_11comp_targetILNS1_3genE3ELNS1_11target_archE908ELNS1_3gpuE7ELNS1_3repE0EEENS1_30default_config_static_selectorELNS0_4arch9wavefront6targetE0EEEvT1_.num_vgpr, 0
	.set _ZN7rocprim17ROCPRIM_400000_NS6detail17trampoline_kernelINS0_14default_configENS1_27scan_by_key_config_selectorIssEEZZNS1_16scan_by_key_implILNS1_25lookback_scan_determinismE0ELb1ES3_N6thrust23THRUST_200600_302600_NS6detail15normal_iteratorINS9_10device_ptrIsEEEESE_SE_sNS9_4plusIvEENS9_8equal_toIvEEsEE10hipError_tPvRmT2_T3_T4_T5_mT6_T7_P12ihipStream_tbENKUlT_T0_E_clISt17integral_constantIbLb0EESY_IbLb1EEEEDaSU_SV_EUlSU_E_NS1_11comp_targetILNS1_3genE3ELNS1_11target_archE908ELNS1_3gpuE7ELNS1_3repE0EEENS1_30default_config_static_selectorELNS0_4arch9wavefront6targetE0EEEvT1_.num_agpr, 0
	.set _ZN7rocprim17ROCPRIM_400000_NS6detail17trampoline_kernelINS0_14default_configENS1_27scan_by_key_config_selectorIssEEZZNS1_16scan_by_key_implILNS1_25lookback_scan_determinismE0ELb1ES3_N6thrust23THRUST_200600_302600_NS6detail15normal_iteratorINS9_10device_ptrIsEEEESE_SE_sNS9_4plusIvEENS9_8equal_toIvEEsEE10hipError_tPvRmT2_T3_T4_T5_mT6_T7_P12ihipStream_tbENKUlT_T0_E_clISt17integral_constantIbLb0EESY_IbLb1EEEEDaSU_SV_EUlSU_E_NS1_11comp_targetILNS1_3genE3ELNS1_11target_archE908ELNS1_3gpuE7ELNS1_3repE0EEENS1_30default_config_static_selectorELNS0_4arch9wavefront6targetE0EEEvT1_.numbered_sgpr, 0
	.set _ZN7rocprim17ROCPRIM_400000_NS6detail17trampoline_kernelINS0_14default_configENS1_27scan_by_key_config_selectorIssEEZZNS1_16scan_by_key_implILNS1_25lookback_scan_determinismE0ELb1ES3_N6thrust23THRUST_200600_302600_NS6detail15normal_iteratorINS9_10device_ptrIsEEEESE_SE_sNS9_4plusIvEENS9_8equal_toIvEEsEE10hipError_tPvRmT2_T3_T4_T5_mT6_T7_P12ihipStream_tbENKUlT_T0_E_clISt17integral_constantIbLb0EESY_IbLb1EEEEDaSU_SV_EUlSU_E_NS1_11comp_targetILNS1_3genE3ELNS1_11target_archE908ELNS1_3gpuE7ELNS1_3repE0EEENS1_30default_config_static_selectorELNS0_4arch9wavefront6targetE0EEEvT1_.num_named_barrier, 0
	.set _ZN7rocprim17ROCPRIM_400000_NS6detail17trampoline_kernelINS0_14default_configENS1_27scan_by_key_config_selectorIssEEZZNS1_16scan_by_key_implILNS1_25lookback_scan_determinismE0ELb1ES3_N6thrust23THRUST_200600_302600_NS6detail15normal_iteratorINS9_10device_ptrIsEEEESE_SE_sNS9_4plusIvEENS9_8equal_toIvEEsEE10hipError_tPvRmT2_T3_T4_T5_mT6_T7_P12ihipStream_tbENKUlT_T0_E_clISt17integral_constantIbLb0EESY_IbLb1EEEEDaSU_SV_EUlSU_E_NS1_11comp_targetILNS1_3genE3ELNS1_11target_archE908ELNS1_3gpuE7ELNS1_3repE0EEENS1_30default_config_static_selectorELNS0_4arch9wavefront6targetE0EEEvT1_.private_seg_size, 0
	.set _ZN7rocprim17ROCPRIM_400000_NS6detail17trampoline_kernelINS0_14default_configENS1_27scan_by_key_config_selectorIssEEZZNS1_16scan_by_key_implILNS1_25lookback_scan_determinismE0ELb1ES3_N6thrust23THRUST_200600_302600_NS6detail15normal_iteratorINS9_10device_ptrIsEEEESE_SE_sNS9_4plusIvEENS9_8equal_toIvEEsEE10hipError_tPvRmT2_T3_T4_T5_mT6_T7_P12ihipStream_tbENKUlT_T0_E_clISt17integral_constantIbLb0EESY_IbLb1EEEEDaSU_SV_EUlSU_E_NS1_11comp_targetILNS1_3genE3ELNS1_11target_archE908ELNS1_3gpuE7ELNS1_3repE0EEENS1_30default_config_static_selectorELNS0_4arch9wavefront6targetE0EEEvT1_.uses_vcc, 0
	.set _ZN7rocprim17ROCPRIM_400000_NS6detail17trampoline_kernelINS0_14default_configENS1_27scan_by_key_config_selectorIssEEZZNS1_16scan_by_key_implILNS1_25lookback_scan_determinismE0ELb1ES3_N6thrust23THRUST_200600_302600_NS6detail15normal_iteratorINS9_10device_ptrIsEEEESE_SE_sNS9_4plusIvEENS9_8equal_toIvEEsEE10hipError_tPvRmT2_T3_T4_T5_mT6_T7_P12ihipStream_tbENKUlT_T0_E_clISt17integral_constantIbLb0EESY_IbLb1EEEEDaSU_SV_EUlSU_E_NS1_11comp_targetILNS1_3genE3ELNS1_11target_archE908ELNS1_3gpuE7ELNS1_3repE0EEENS1_30default_config_static_selectorELNS0_4arch9wavefront6targetE0EEEvT1_.uses_flat_scratch, 0
	.set _ZN7rocprim17ROCPRIM_400000_NS6detail17trampoline_kernelINS0_14default_configENS1_27scan_by_key_config_selectorIssEEZZNS1_16scan_by_key_implILNS1_25lookback_scan_determinismE0ELb1ES3_N6thrust23THRUST_200600_302600_NS6detail15normal_iteratorINS9_10device_ptrIsEEEESE_SE_sNS9_4plusIvEENS9_8equal_toIvEEsEE10hipError_tPvRmT2_T3_T4_T5_mT6_T7_P12ihipStream_tbENKUlT_T0_E_clISt17integral_constantIbLb0EESY_IbLb1EEEEDaSU_SV_EUlSU_E_NS1_11comp_targetILNS1_3genE3ELNS1_11target_archE908ELNS1_3gpuE7ELNS1_3repE0EEENS1_30default_config_static_selectorELNS0_4arch9wavefront6targetE0EEEvT1_.has_dyn_sized_stack, 0
	.set _ZN7rocprim17ROCPRIM_400000_NS6detail17trampoline_kernelINS0_14default_configENS1_27scan_by_key_config_selectorIssEEZZNS1_16scan_by_key_implILNS1_25lookback_scan_determinismE0ELb1ES3_N6thrust23THRUST_200600_302600_NS6detail15normal_iteratorINS9_10device_ptrIsEEEESE_SE_sNS9_4plusIvEENS9_8equal_toIvEEsEE10hipError_tPvRmT2_T3_T4_T5_mT6_T7_P12ihipStream_tbENKUlT_T0_E_clISt17integral_constantIbLb0EESY_IbLb1EEEEDaSU_SV_EUlSU_E_NS1_11comp_targetILNS1_3genE3ELNS1_11target_archE908ELNS1_3gpuE7ELNS1_3repE0EEENS1_30default_config_static_selectorELNS0_4arch9wavefront6targetE0EEEvT1_.has_recursion, 0
	.set _ZN7rocprim17ROCPRIM_400000_NS6detail17trampoline_kernelINS0_14default_configENS1_27scan_by_key_config_selectorIssEEZZNS1_16scan_by_key_implILNS1_25lookback_scan_determinismE0ELb1ES3_N6thrust23THRUST_200600_302600_NS6detail15normal_iteratorINS9_10device_ptrIsEEEESE_SE_sNS9_4plusIvEENS9_8equal_toIvEEsEE10hipError_tPvRmT2_T3_T4_T5_mT6_T7_P12ihipStream_tbENKUlT_T0_E_clISt17integral_constantIbLb0EESY_IbLb1EEEEDaSU_SV_EUlSU_E_NS1_11comp_targetILNS1_3genE3ELNS1_11target_archE908ELNS1_3gpuE7ELNS1_3repE0EEENS1_30default_config_static_selectorELNS0_4arch9wavefront6targetE0EEEvT1_.has_indirect_call, 0
	.section	.AMDGPU.csdata,"",@progbits
; Kernel info:
; codeLenInByte = 0
; TotalNumSgprs: 0
; NumVgprs: 0
; ScratchSize: 0
; MemoryBound: 0
; FloatMode: 240
; IeeeMode: 1
; LDSByteSize: 0 bytes/workgroup (compile time only)
; SGPRBlocks: 0
; VGPRBlocks: 0
; NumSGPRsForWavesPerEU: 1
; NumVGPRsForWavesPerEU: 1
; NamedBarCnt: 0
; Occupancy: 16
; WaveLimiterHint : 0
; COMPUTE_PGM_RSRC2:SCRATCH_EN: 0
; COMPUTE_PGM_RSRC2:USER_SGPR: 2
; COMPUTE_PGM_RSRC2:TRAP_HANDLER: 0
; COMPUTE_PGM_RSRC2:TGID_X_EN: 1
; COMPUTE_PGM_RSRC2:TGID_Y_EN: 0
; COMPUTE_PGM_RSRC2:TGID_Z_EN: 0
; COMPUTE_PGM_RSRC2:TIDIG_COMP_CNT: 0
	.section	.text._ZN7rocprim17ROCPRIM_400000_NS6detail17trampoline_kernelINS0_14default_configENS1_27scan_by_key_config_selectorIssEEZZNS1_16scan_by_key_implILNS1_25lookback_scan_determinismE0ELb1ES3_N6thrust23THRUST_200600_302600_NS6detail15normal_iteratorINS9_10device_ptrIsEEEESE_SE_sNS9_4plusIvEENS9_8equal_toIvEEsEE10hipError_tPvRmT2_T3_T4_T5_mT6_T7_P12ihipStream_tbENKUlT_T0_E_clISt17integral_constantIbLb0EESY_IbLb1EEEEDaSU_SV_EUlSU_E_NS1_11comp_targetILNS1_3genE2ELNS1_11target_archE906ELNS1_3gpuE6ELNS1_3repE0EEENS1_30default_config_static_selectorELNS0_4arch9wavefront6targetE0EEEvT1_,"axG",@progbits,_ZN7rocprim17ROCPRIM_400000_NS6detail17trampoline_kernelINS0_14default_configENS1_27scan_by_key_config_selectorIssEEZZNS1_16scan_by_key_implILNS1_25lookback_scan_determinismE0ELb1ES3_N6thrust23THRUST_200600_302600_NS6detail15normal_iteratorINS9_10device_ptrIsEEEESE_SE_sNS9_4plusIvEENS9_8equal_toIvEEsEE10hipError_tPvRmT2_T3_T4_T5_mT6_T7_P12ihipStream_tbENKUlT_T0_E_clISt17integral_constantIbLb0EESY_IbLb1EEEEDaSU_SV_EUlSU_E_NS1_11comp_targetILNS1_3genE2ELNS1_11target_archE906ELNS1_3gpuE6ELNS1_3repE0EEENS1_30default_config_static_selectorELNS0_4arch9wavefront6targetE0EEEvT1_,comdat
	.protected	_ZN7rocprim17ROCPRIM_400000_NS6detail17trampoline_kernelINS0_14default_configENS1_27scan_by_key_config_selectorIssEEZZNS1_16scan_by_key_implILNS1_25lookback_scan_determinismE0ELb1ES3_N6thrust23THRUST_200600_302600_NS6detail15normal_iteratorINS9_10device_ptrIsEEEESE_SE_sNS9_4plusIvEENS9_8equal_toIvEEsEE10hipError_tPvRmT2_T3_T4_T5_mT6_T7_P12ihipStream_tbENKUlT_T0_E_clISt17integral_constantIbLb0EESY_IbLb1EEEEDaSU_SV_EUlSU_E_NS1_11comp_targetILNS1_3genE2ELNS1_11target_archE906ELNS1_3gpuE6ELNS1_3repE0EEENS1_30default_config_static_selectorELNS0_4arch9wavefront6targetE0EEEvT1_ ; -- Begin function _ZN7rocprim17ROCPRIM_400000_NS6detail17trampoline_kernelINS0_14default_configENS1_27scan_by_key_config_selectorIssEEZZNS1_16scan_by_key_implILNS1_25lookback_scan_determinismE0ELb1ES3_N6thrust23THRUST_200600_302600_NS6detail15normal_iteratorINS9_10device_ptrIsEEEESE_SE_sNS9_4plusIvEENS9_8equal_toIvEEsEE10hipError_tPvRmT2_T3_T4_T5_mT6_T7_P12ihipStream_tbENKUlT_T0_E_clISt17integral_constantIbLb0EESY_IbLb1EEEEDaSU_SV_EUlSU_E_NS1_11comp_targetILNS1_3genE2ELNS1_11target_archE906ELNS1_3gpuE6ELNS1_3repE0EEENS1_30default_config_static_selectorELNS0_4arch9wavefront6targetE0EEEvT1_
	.globl	_ZN7rocprim17ROCPRIM_400000_NS6detail17trampoline_kernelINS0_14default_configENS1_27scan_by_key_config_selectorIssEEZZNS1_16scan_by_key_implILNS1_25lookback_scan_determinismE0ELb1ES3_N6thrust23THRUST_200600_302600_NS6detail15normal_iteratorINS9_10device_ptrIsEEEESE_SE_sNS9_4plusIvEENS9_8equal_toIvEEsEE10hipError_tPvRmT2_T3_T4_T5_mT6_T7_P12ihipStream_tbENKUlT_T0_E_clISt17integral_constantIbLb0EESY_IbLb1EEEEDaSU_SV_EUlSU_E_NS1_11comp_targetILNS1_3genE2ELNS1_11target_archE906ELNS1_3gpuE6ELNS1_3repE0EEENS1_30default_config_static_selectorELNS0_4arch9wavefront6targetE0EEEvT1_
	.p2align	8
	.type	_ZN7rocprim17ROCPRIM_400000_NS6detail17trampoline_kernelINS0_14default_configENS1_27scan_by_key_config_selectorIssEEZZNS1_16scan_by_key_implILNS1_25lookback_scan_determinismE0ELb1ES3_N6thrust23THRUST_200600_302600_NS6detail15normal_iteratorINS9_10device_ptrIsEEEESE_SE_sNS9_4plusIvEENS9_8equal_toIvEEsEE10hipError_tPvRmT2_T3_T4_T5_mT6_T7_P12ihipStream_tbENKUlT_T0_E_clISt17integral_constantIbLb0EESY_IbLb1EEEEDaSU_SV_EUlSU_E_NS1_11comp_targetILNS1_3genE2ELNS1_11target_archE906ELNS1_3gpuE6ELNS1_3repE0EEENS1_30default_config_static_selectorELNS0_4arch9wavefront6targetE0EEEvT1_,@function
_ZN7rocprim17ROCPRIM_400000_NS6detail17trampoline_kernelINS0_14default_configENS1_27scan_by_key_config_selectorIssEEZZNS1_16scan_by_key_implILNS1_25lookback_scan_determinismE0ELb1ES3_N6thrust23THRUST_200600_302600_NS6detail15normal_iteratorINS9_10device_ptrIsEEEESE_SE_sNS9_4plusIvEENS9_8equal_toIvEEsEE10hipError_tPvRmT2_T3_T4_T5_mT6_T7_P12ihipStream_tbENKUlT_T0_E_clISt17integral_constantIbLb0EESY_IbLb1EEEEDaSU_SV_EUlSU_E_NS1_11comp_targetILNS1_3genE2ELNS1_11target_archE906ELNS1_3gpuE6ELNS1_3repE0EEENS1_30default_config_static_selectorELNS0_4arch9wavefront6targetE0EEEvT1_: ; @_ZN7rocprim17ROCPRIM_400000_NS6detail17trampoline_kernelINS0_14default_configENS1_27scan_by_key_config_selectorIssEEZZNS1_16scan_by_key_implILNS1_25lookback_scan_determinismE0ELb1ES3_N6thrust23THRUST_200600_302600_NS6detail15normal_iteratorINS9_10device_ptrIsEEEESE_SE_sNS9_4plusIvEENS9_8equal_toIvEEsEE10hipError_tPvRmT2_T3_T4_T5_mT6_T7_P12ihipStream_tbENKUlT_T0_E_clISt17integral_constantIbLb0EESY_IbLb1EEEEDaSU_SV_EUlSU_E_NS1_11comp_targetILNS1_3genE2ELNS1_11target_archE906ELNS1_3gpuE6ELNS1_3repE0EEENS1_30default_config_static_selectorELNS0_4arch9wavefront6targetE0EEEvT1_
; %bb.0:
	.section	.rodata,"a",@progbits
	.p2align	6, 0x0
	.amdhsa_kernel _ZN7rocprim17ROCPRIM_400000_NS6detail17trampoline_kernelINS0_14default_configENS1_27scan_by_key_config_selectorIssEEZZNS1_16scan_by_key_implILNS1_25lookback_scan_determinismE0ELb1ES3_N6thrust23THRUST_200600_302600_NS6detail15normal_iteratorINS9_10device_ptrIsEEEESE_SE_sNS9_4plusIvEENS9_8equal_toIvEEsEE10hipError_tPvRmT2_T3_T4_T5_mT6_T7_P12ihipStream_tbENKUlT_T0_E_clISt17integral_constantIbLb0EESY_IbLb1EEEEDaSU_SV_EUlSU_E_NS1_11comp_targetILNS1_3genE2ELNS1_11target_archE906ELNS1_3gpuE6ELNS1_3repE0EEENS1_30default_config_static_selectorELNS0_4arch9wavefront6targetE0EEEvT1_
		.amdhsa_group_segment_fixed_size 0
		.amdhsa_private_segment_fixed_size 0
		.amdhsa_kernarg_size 112
		.amdhsa_user_sgpr_count 2
		.amdhsa_user_sgpr_dispatch_ptr 0
		.amdhsa_user_sgpr_queue_ptr 0
		.amdhsa_user_sgpr_kernarg_segment_ptr 1
		.amdhsa_user_sgpr_dispatch_id 0
		.amdhsa_user_sgpr_kernarg_preload_length 0
		.amdhsa_user_sgpr_kernarg_preload_offset 0
		.amdhsa_user_sgpr_private_segment_size 0
		.amdhsa_wavefront_size32 1
		.amdhsa_uses_dynamic_stack 0
		.amdhsa_enable_private_segment 0
		.amdhsa_system_sgpr_workgroup_id_x 1
		.amdhsa_system_sgpr_workgroup_id_y 0
		.amdhsa_system_sgpr_workgroup_id_z 0
		.amdhsa_system_sgpr_workgroup_info 0
		.amdhsa_system_vgpr_workitem_id 0
		.amdhsa_next_free_vgpr 1
		.amdhsa_next_free_sgpr 1
		.amdhsa_named_barrier_count 0
		.amdhsa_reserve_vcc 0
		.amdhsa_float_round_mode_32 0
		.amdhsa_float_round_mode_16_64 0
		.amdhsa_float_denorm_mode_32 3
		.amdhsa_float_denorm_mode_16_64 3
		.amdhsa_fp16_overflow 0
		.amdhsa_memory_ordered 1
		.amdhsa_forward_progress 1
		.amdhsa_inst_pref_size 0
		.amdhsa_round_robin_scheduling 0
		.amdhsa_exception_fp_ieee_invalid_op 0
		.amdhsa_exception_fp_denorm_src 0
		.amdhsa_exception_fp_ieee_div_zero 0
		.amdhsa_exception_fp_ieee_overflow 0
		.amdhsa_exception_fp_ieee_underflow 0
		.amdhsa_exception_fp_ieee_inexact 0
		.amdhsa_exception_int_div_zero 0
	.end_amdhsa_kernel
	.section	.text._ZN7rocprim17ROCPRIM_400000_NS6detail17trampoline_kernelINS0_14default_configENS1_27scan_by_key_config_selectorIssEEZZNS1_16scan_by_key_implILNS1_25lookback_scan_determinismE0ELb1ES3_N6thrust23THRUST_200600_302600_NS6detail15normal_iteratorINS9_10device_ptrIsEEEESE_SE_sNS9_4plusIvEENS9_8equal_toIvEEsEE10hipError_tPvRmT2_T3_T4_T5_mT6_T7_P12ihipStream_tbENKUlT_T0_E_clISt17integral_constantIbLb0EESY_IbLb1EEEEDaSU_SV_EUlSU_E_NS1_11comp_targetILNS1_3genE2ELNS1_11target_archE906ELNS1_3gpuE6ELNS1_3repE0EEENS1_30default_config_static_selectorELNS0_4arch9wavefront6targetE0EEEvT1_,"axG",@progbits,_ZN7rocprim17ROCPRIM_400000_NS6detail17trampoline_kernelINS0_14default_configENS1_27scan_by_key_config_selectorIssEEZZNS1_16scan_by_key_implILNS1_25lookback_scan_determinismE0ELb1ES3_N6thrust23THRUST_200600_302600_NS6detail15normal_iteratorINS9_10device_ptrIsEEEESE_SE_sNS9_4plusIvEENS9_8equal_toIvEEsEE10hipError_tPvRmT2_T3_T4_T5_mT6_T7_P12ihipStream_tbENKUlT_T0_E_clISt17integral_constantIbLb0EESY_IbLb1EEEEDaSU_SV_EUlSU_E_NS1_11comp_targetILNS1_3genE2ELNS1_11target_archE906ELNS1_3gpuE6ELNS1_3repE0EEENS1_30default_config_static_selectorELNS0_4arch9wavefront6targetE0EEEvT1_,comdat
.Lfunc_end601:
	.size	_ZN7rocprim17ROCPRIM_400000_NS6detail17trampoline_kernelINS0_14default_configENS1_27scan_by_key_config_selectorIssEEZZNS1_16scan_by_key_implILNS1_25lookback_scan_determinismE0ELb1ES3_N6thrust23THRUST_200600_302600_NS6detail15normal_iteratorINS9_10device_ptrIsEEEESE_SE_sNS9_4plusIvEENS9_8equal_toIvEEsEE10hipError_tPvRmT2_T3_T4_T5_mT6_T7_P12ihipStream_tbENKUlT_T0_E_clISt17integral_constantIbLb0EESY_IbLb1EEEEDaSU_SV_EUlSU_E_NS1_11comp_targetILNS1_3genE2ELNS1_11target_archE906ELNS1_3gpuE6ELNS1_3repE0EEENS1_30default_config_static_selectorELNS0_4arch9wavefront6targetE0EEEvT1_, .Lfunc_end601-_ZN7rocprim17ROCPRIM_400000_NS6detail17trampoline_kernelINS0_14default_configENS1_27scan_by_key_config_selectorIssEEZZNS1_16scan_by_key_implILNS1_25lookback_scan_determinismE0ELb1ES3_N6thrust23THRUST_200600_302600_NS6detail15normal_iteratorINS9_10device_ptrIsEEEESE_SE_sNS9_4plusIvEENS9_8equal_toIvEEsEE10hipError_tPvRmT2_T3_T4_T5_mT6_T7_P12ihipStream_tbENKUlT_T0_E_clISt17integral_constantIbLb0EESY_IbLb1EEEEDaSU_SV_EUlSU_E_NS1_11comp_targetILNS1_3genE2ELNS1_11target_archE906ELNS1_3gpuE6ELNS1_3repE0EEENS1_30default_config_static_selectorELNS0_4arch9wavefront6targetE0EEEvT1_
                                        ; -- End function
	.set _ZN7rocprim17ROCPRIM_400000_NS6detail17trampoline_kernelINS0_14default_configENS1_27scan_by_key_config_selectorIssEEZZNS1_16scan_by_key_implILNS1_25lookback_scan_determinismE0ELb1ES3_N6thrust23THRUST_200600_302600_NS6detail15normal_iteratorINS9_10device_ptrIsEEEESE_SE_sNS9_4plusIvEENS9_8equal_toIvEEsEE10hipError_tPvRmT2_T3_T4_T5_mT6_T7_P12ihipStream_tbENKUlT_T0_E_clISt17integral_constantIbLb0EESY_IbLb1EEEEDaSU_SV_EUlSU_E_NS1_11comp_targetILNS1_3genE2ELNS1_11target_archE906ELNS1_3gpuE6ELNS1_3repE0EEENS1_30default_config_static_selectorELNS0_4arch9wavefront6targetE0EEEvT1_.num_vgpr, 0
	.set _ZN7rocprim17ROCPRIM_400000_NS6detail17trampoline_kernelINS0_14default_configENS1_27scan_by_key_config_selectorIssEEZZNS1_16scan_by_key_implILNS1_25lookback_scan_determinismE0ELb1ES3_N6thrust23THRUST_200600_302600_NS6detail15normal_iteratorINS9_10device_ptrIsEEEESE_SE_sNS9_4plusIvEENS9_8equal_toIvEEsEE10hipError_tPvRmT2_T3_T4_T5_mT6_T7_P12ihipStream_tbENKUlT_T0_E_clISt17integral_constantIbLb0EESY_IbLb1EEEEDaSU_SV_EUlSU_E_NS1_11comp_targetILNS1_3genE2ELNS1_11target_archE906ELNS1_3gpuE6ELNS1_3repE0EEENS1_30default_config_static_selectorELNS0_4arch9wavefront6targetE0EEEvT1_.num_agpr, 0
	.set _ZN7rocprim17ROCPRIM_400000_NS6detail17trampoline_kernelINS0_14default_configENS1_27scan_by_key_config_selectorIssEEZZNS1_16scan_by_key_implILNS1_25lookback_scan_determinismE0ELb1ES3_N6thrust23THRUST_200600_302600_NS6detail15normal_iteratorINS9_10device_ptrIsEEEESE_SE_sNS9_4plusIvEENS9_8equal_toIvEEsEE10hipError_tPvRmT2_T3_T4_T5_mT6_T7_P12ihipStream_tbENKUlT_T0_E_clISt17integral_constantIbLb0EESY_IbLb1EEEEDaSU_SV_EUlSU_E_NS1_11comp_targetILNS1_3genE2ELNS1_11target_archE906ELNS1_3gpuE6ELNS1_3repE0EEENS1_30default_config_static_selectorELNS0_4arch9wavefront6targetE0EEEvT1_.numbered_sgpr, 0
	.set _ZN7rocprim17ROCPRIM_400000_NS6detail17trampoline_kernelINS0_14default_configENS1_27scan_by_key_config_selectorIssEEZZNS1_16scan_by_key_implILNS1_25lookback_scan_determinismE0ELb1ES3_N6thrust23THRUST_200600_302600_NS6detail15normal_iteratorINS9_10device_ptrIsEEEESE_SE_sNS9_4plusIvEENS9_8equal_toIvEEsEE10hipError_tPvRmT2_T3_T4_T5_mT6_T7_P12ihipStream_tbENKUlT_T0_E_clISt17integral_constantIbLb0EESY_IbLb1EEEEDaSU_SV_EUlSU_E_NS1_11comp_targetILNS1_3genE2ELNS1_11target_archE906ELNS1_3gpuE6ELNS1_3repE0EEENS1_30default_config_static_selectorELNS0_4arch9wavefront6targetE0EEEvT1_.num_named_barrier, 0
	.set _ZN7rocprim17ROCPRIM_400000_NS6detail17trampoline_kernelINS0_14default_configENS1_27scan_by_key_config_selectorIssEEZZNS1_16scan_by_key_implILNS1_25lookback_scan_determinismE0ELb1ES3_N6thrust23THRUST_200600_302600_NS6detail15normal_iteratorINS9_10device_ptrIsEEEESE_SE_sNS9_4plusIvEENS9_8equal_toIvEEsEE10hipError_tPvRmT2_T3_T4_T5_mT6_T7_P12ihipStream_tbENKUlT_T0_E_clISt17integral_constantIbLb0EESY_IbLb1EEEEDaSU_SV_EUlSU_E_NS1_11comp_targetILNS1_3genE2ELNS1_11target_archE906ELNS1_3gpuE6ELNS1_3repE0EEENS1_30default_config_static_selectorELNS0_4arch9wavefront6targetE0EEEvT1_.private_seg_size, 0
	.set _ZN7rocprim17ROCPRIM_400000_NS6detail17trampoline_kernelINS0_14default_configENS1_27scan_by_key_config_selectorIssEEZZNS1_16scan_by_key_implILNS1_25lookback_scan_determinismE0ELb1ES3_N6thrust23THRUST_200600_302600_NS6detail15normal_iteratorINS9_10device_ptrIsEEEESE_SE_sNS9_4plusIvEENS9_8equal_toIvEEsEE10hipError_tPvRmT2_T3_T4_T5_mT6_T7_P12ihipStream_tbENKUlT_T0_E_clISt17integral_constantIbLb0EESY_IbLb1EEEEDaSU_SV_EUlSU_E_NS1_11comp_targetILNS1_3genE2ELNS1_11target_archE906ELNS1_3gpuE6ELNS1_3repE0EEENS1_30default_config_static_selectorELNS0_4arch9wavefront6targetE0EEEvT1_.uses_vcc, 0
	.set _ZN7rocprim17ROCPRIM_400000_NS6detail17trampoline_kernelINS0_14default_configENS1_27scan_by_key_config_selectorIssEEZZNS1_16scan_by_key_implILNS1_25lookback_scan_determinismE0ELb1ES3_N6thrust23THRUST_200600_302600_NS6detail15normal_iteratorINS9_10device_ptrIsEEEESE_SE_sNS9_4plusIvEENS9_8equal_toIvEEsEE10hipError_tPvRmT2_T3_T4_T5_mT6_T7_P12ihipStream_tbENKUlT_T0_E_clISt17integral_constantIbLb0EESY_IbLb1EEEEDaSU_SV_EUlSU_E_NS1_11comp_targetILNS1_3genE2ELNS1_11target_archE906ELNS1_3gpuE6ELNS1_3repE0EEENS1_30default_config_static_selectorELNS0_4arch9wavefront6targetE0EEEvT1_.uses_flat_scratch, 0
	.set _ZN7rocprim17ROCPRIM_400000_NS6detail17trampoline_kernelINS0_14default_configENS1_27scan_by_key_config_selectorIssEEZZNS1_16scan_by_key_implILNS1_25lookback_scan_determinismE0ELb1ES3_N6thrust23THRUST_200600_302600_NS6detail15normal_iteratorINS9_10device_ptrIsEEEESE_SE_sNS9_4plusIvEENS9_8equal_toIvEEsEE10hipError_tPvRmT2_T3_T4_T5_mT6_T7_P12ihipStream_tbENKUlT_T0_E_clISt17integral_constantIbLb0EESY_IbLb1EEEEDaSU_SV_EUlSU_E_NS1_11comp_targetILNS1_3genE2ELNS1_11target_archE906ELNS1_3gpuE6ELNS1_3repE0EEENS1_30default_config_static_selectorELNS0_4arch9wavefront6targetE0EEEvT1_.has_dyn_sized_stack, 0
	.set _ZN7rocprim17ROCPRIM_400000_NS6detail17trampoline_kernelINS0_14default_configENS1_27scan_by_key_config_selectorIssEEZZNS1_16scan_by_key_implILNS1_25lookback_scan_determinismE0ELb1ES3_N6thrust23THRUST_200600_302600_NS6detail15normal_iteratorINS9_10device_ptrIsEEEESE_SE_sNS9_4plusIvEENS9_8equal_toIvEEsEE10hipError_tPvRmT2_T3_T4_T5_mT6_T7_P12ihipStream_tbENKUlT_T0_E_clISt17integral_constantIbLb0EESY_IbLb1EEEEDaSU_SV_EUlSU_E_NS1_11comp_targetILNS1_3genE2ELNS1_11target_archE906ELNS1_3gpuE6ELNS1_3repE0EEENS1_30default_config_static_selectorELNS0_4arch9wavefront6targetE0EEEvT1_.has_recursion, 0
	.set _ZN7rocprim17ROCPRIM_400000_NS6detail17trampoline_kernelINS0_14default_configENS1_27scan_by_key_config_selectorIssEEZZNS1_16scan_by_key_implILNS1_25lookback_scan_determinismE0ELb1ES3_N6thrust23THRUST_200600_302600_NS6detail15normal_iteratorINS9_10device_ptrIsEEEESE_SE_sNS9_4plusIvEENS9_8equal_toIvEEsEE10hipError_tPvRmT2_T3_T4_T5_mT6_T7_P12ihipStream_tbENKUlT_T0_E_clISt17integral_constantIbLb0EESY_IbLb1EEEEDaSU_SV_EUlSU_E_NS1_11comp_targetILNS1_3genE2ELNS1_11target_archE906ELNS1_3gpuE6ELNS1_3repE0EEENS1_30default_config_static_selectorELNS0_4arch9wavefront6targetE0EEEvT1_.has_indirect_call, 0
	.section	.AMDGPU.csdata,"",@progbits
; Kernel info:
; codeLenInByte = 0
; TotalNumSgprs: 0
; NumVgprs: 0
; ScratchSize: 0
; MemoryBound: 0
; FloatMode: 240
; IeeeMode: 1
; LDSByteSize: 0 bytes/workgroup (compile time only)
; SGPRBlocks: 0
; VGPRBlocks: 0
; NumSGPRsForWavesPerEU: 1
; NumVGPRsForWavesPerEU: 1
; NamedBarCnt: 0
; Occupancy: 16
; WaveLimiterHint : 0
; COMPUTE_PGM_RSRC2:SCRATCH_EN: 0
; COMPUTE_PGM_RSRC2:USER_SGPR: 2
; COMPUTE_PGM_RSRC2:TRAP_HANDLER: 0
; COMPUTE_PGM_RSRC2:TGID_X_EN: 1
; COMPUTE_PGM_RSRC2:TGID_Y_EN: 0
; COMPUTE_PGM_RSRC2:TGID_Z_EN: 0
; COMPUTE_PGM_RSRC2:TIDIG_COMP_CNT: 0
	.section	.text._ZN7rocprim17ROCPRIM_400000_NS6detail17trampoline_kernelINS0_14default_configENS1_27scan_by_key_config_selectorIssEEZZNS1_16scan_by_key_implILNS1_25lookback_scan_determinismE0ELb1ES3_N6thrust23THRUST_200600_302600_NS6detail15normal_iteratorINS9_10device_ptrIsEEEESE_SE_sNS9_4plusIvEENS9_8equal_toIvEEsEE10hipError_tPvRmT2_T3_T4_T5_mT6_T7_P12ihipStream_tbENKUlT_T0_E_clISt17integral_constantIbLb0EESY_IbLb1EEEEDaSU_SV_EUlSU_E_NS1_11comp_targetILNS1_3genE10ELNS1_11target_archE1200ELNS1_3gpuE4ELNS1_3repE0EEENS1_30default_config_static_selectorELNS0_4arch9wavefront6targetE0EEEvT1_,"axG",@progbits,_ZN7rocprim17ROCPRIM_400000_NS6detail17trampoline_kernelINS0_14default_configENS1_27scan_by_key_config_selectorIssEEZZNS1_16scan_by_key_implILNS1_25lookback_scan_determinismE0ELb1ES3_N6thrust23THRUST_200600_302600_NS6detail15normal_iteratorINS9_10device_ptrIsEEEESE_SE_sNS9_4plusIvEENS9_8equal_toIvEEsEE10hipError_tPvRmT2_T3_T4_T5_mT6_T7_P12ihipStream_tbENKUlT_T0_E_clISt17integral_constantIbLb0EESY_IbLb1EEEEDaSU_SV_EUlSU_E_NS1_11comp_targetILNS1_3genE10ELNS1_11target_archE1200ELNS1_3gpuE4ELNS1_3repE0EEENS1_30default_config_static_selectorELNS0_4arch9wavefront6targetE0EEEvT1_,comdat
	.protected	_ZN7rocprim17ROCPRIM_400000_NS6detail17trampoline_kernelINS0_14default_configENS1_27scan_by_key_config_selectorIssEEZZNS1_16scan_by_key_implILNS1_25lookback_scan_determinismE0ELb1ES3_N6thrust23THRUST_200600_302600_NS6detail15normal_iteratorINS9_10device_ptrIsEEEESE_SE_sNS9_4plusIvEENS9_8equal_toIvEEsEE10hipError_tPvRmT2_T3_T4_T5_mT6_T7_P12ihipStream_tbENKUlT_T0_E_clISt17integral_constantIbLb0EESY_IbLb1EEEEDaSU_SV_EUlSU_E_NS1_11comp_targetILNS1_3genE10ELNS1_11target_archE1200ELNS1_3gpuE4ELNS1_3repE0EEENS1_30default_config_static_selectorELNS0_4arch9wavefront6targetE0EEEvT1_ ; -- Begin function _ZN7rocprim17ROCPRIM_400000_NS6detail17trampoline_kernelINS0_14default_configENS1_27scan_by_key_config_selectorIssEEZZNS1_16scan_by_key_implILNS1_25lookback_scan_determinismE0ELb1ES3_N6thrust23THRUST_200600_302600_NS6detail15normal_iteratorINS9_10device_ptrIsEEEESE_SE_sNS9_4plusIvEENS9_8equal_toIvEEsEE10hipError_tPvRmT2_T3_T4_T5_mT6_T7_P12ihipStream_tbENKUlT_T0_E_clISt17integral_constantIbLb0EESY_IbLb1EEEEDaSU_SV_EUlSU_E_NS1_11comp_targetILNS1_3genE10ELNS1_11target_archE1200ELNS1_3gpuE4ELNS1_3repE0EEENS1_30default_config_static_selectorELNS0_4arch9wavefront6targetE0EEEvT1_
	.globl	_ZN7rocprim17ROCPRIM_400000_NS6detail17trampoline_kernelINS0_14default_configENS1_27scan_by_key_config_selectorIssEEZZNS1_16scan_by_key_implILNS1_25lookback_scan_determinismE0ELb1ES3_N6thrust23THRUST_200600_302600_NS6detail15normal_iteratorINS9_10device_ptrIsEEEESE_SE_sNS9_4plusIvEENS9_8equal_toIvEEsEE10hipError_tPvRmT2_T3_T4_T5_mT6_T7_P12ihipStream_tbENKUlT_T0_E_clISt17integral_constantIbLb0EESY_IbLb1EEEEDaSU_SV_EUlSU_E_NS1_11comp_targetILNS1_3genE10ELNS1_11target_archE1200ELNS1_3gpuE4ELNS1_3repE0EEENS1_30default_config_static_selectorELNS0_4arch9wavefront6targetE0EEEvT1_
	.p2align	8
	.type	_ZN7rocprim17ROCPRIM_400000_NS6detail17trampoline_kernelINS0_14default_configENS1_27scan_by_key_config_selectorIssEEZZNS1_16scan_by_key_implILNS1_25lookback_scan_determinismE0ELb1ES3_N6thrust23THRUST_200600_302600_NS6detail15normal_iteratorINS9_10device_ptrIsEEEESE_SE_sNS9_4plusIvEENS9_8equal_toIvEEsEE10hipError_tPvRmT2_T3_T4_T5_mT6_T7_P12ihipStream_tbENKUlT_T0_E_clISt17integral_constantIbLb0EESY_IbLb1EEEEDaSU_SV_EUlSU_E_NS1_11comp_targetILNS1_3genE10ELNS1_11target_archE1200ELNS1_3gpuE4ELNS1_3repE0EEENS1_30default_config_static_selectorELNS0_4arch9wavefront6targetE0EEEvT1_,@function
_ZN7rocprim17ROCPRIM_400000_NS6detail17trampoline_kernelINS0_14default_configENS1_27scan_by_key_config_selectorIssEEZZNS1_16scan_by_key_implILNS1_25lookback_scan_determinismE0ELb1ES3_N6thrust23THRUST_200600_302600_NS6detail15normal_iteratorINS9_10device_ptrIsEEEESE_SE_sNS9_4plusIvEENS9_8equal_toIvEEsEE10hipError_tPvRmT2_T3_T4_T5_mT6_T7_P12ihipStream_tbENKUlT_T0_E_clISt17integral_constantIbLb0EESY_IbLb1EEEEDaSU_SV_EUlSU_E_NS1_11comp_targetILNS1_3genE10ELNS1_11target_archE1200ELNS1_3gpuE4ELNS1_3repE0EEENS1_30default_config_static_selectorELNS0_4arch9wavefront6targetE0EEEvT1_: ; @_ZN7rocprim17ROCPRIM_400000_NS6detail17trampoline_kernelINS0_14default_configENS1_27scan_by_key_config_selectorIssEEZZNS1_16scan_by_key_implILNS1_25lookback_scan_determinismE0ELb1ES3_N6thrust23THRUST_200600_302600_NS6detail15normal_iteratorINS9_10device_ptrIsEEEESE_SE_sNS9_4plusIvEENS9_8equal_toIvEEsEE10hipError_tPvRmT2_T3_T4_T5_mT6_T7_P12ihipStream_tbENKUlT_T0_E_clISt17integral_constantIbLb0EESY_IbLb1EEEEDaSU_SV_EUlSU_E_NS1_11comp_targetILNS1_3genE10ELNS1_11target_archE1200ELNS1_3gpuE4ELNS1_3repE0EEENS1_30default_config_static_selectorELNS0_4arch9wavefront6targetE0EEEvT1_
; %bb.0:
	.section	.rodata,"a",@progbits
	.p2align	6, 0x0
	.amdhsa_kernel _ZN7rocprim17ROCPRIM_400000_NS6detail17trampoline_kernelINS0_14default_configENS1_27scan_by_key_config_selectorIssEEZZNS1_16scan_by_key_implILNS1_25lookback_scan_determinismE0ELb1ES3_N6thrust23THRUST_200600_302600_NS6detail15normal_iteratorINS9_10device_ptrIsEEEESE_SE_sNS9_4plusIvEENS9_8equal_toIvEEsEE10hipError_tPvRmT2_T3_T4_T5_mT6_T7_P12ihipStream_tbENKUlT_T0_E_clISt17integral_constantIbLb0EESY_IbLb1EEEEDaSU_SV_EUlSU_E_NS1_11comp_targetILNS1_3genE10ELNS1_11target_archE1200ELNS1_3gpuE4ELNS1_3repE0EEENS1_30default_config_static_selectorELNS0_4arch9wavefront6targetE0EEEvT1_
		.amdhsa_group_segment_fixed_size 0
		.amdhsa_private_segment_fixed_size 0
		.amdhsa_kernarg_size 112
		.amdhsa_user_sgpr_count 2
		.amdhsa_user_sgpr_dispatch_ptr 0
		.amdhsa_user_sgpr_queue_ptr 0
		.amdhsa_user_sgpr_kernarg_segment_ptr 1
		.amdhsa_user_sgpr_dispatch_id 0
		.amdhsa_user_sgpr_kernarg_preload_length 0
		.amdhsa_user_sgpr_kernarg_preload_offset 0
		.amdhsa_user_sgpr_private_segment_size 0
		.amdhsa_wavefront_size32 1
		.amdhsa_uses_dynamic_stack 0
		.amdhsa_enable_private_segment 0
		.amdhsa_system_sgpr_workgroup_id_x 1
		.amdhsa_system_sgpr_workgroup_id_y 0
		.amdhsa_system_sgpr_workgroup_id_z 0
		.amdhsa_system_sgpr_workgroup_info 0
		.amdhsa_system_vgpr_workitem_id 0
		.amdhsa_next_free_vgpr 1
		.amdhsa_next_free_sgpr 1
		.amdhsa_named_barrier_count 0
		.amdhsa_reserve_vcc 0
		.amdhsa_float_round_mode_32 0
		.amdhsa_float_round_mode_16_64 0
		.amdhsa_float_denorm_mode_32 3
		.amdhsa_float_denorm_mode_16_64 3
		.amdhsa_fp16_overflow 0
		.amdhsa_memory_ordered 1
		.amdhsa_forward_progress 1
		.amdhsa_inst_pref_size 0
		.amdhsa_round_robin_scheduling 0
		.amdhsa_exception_fp_ieee_invalid_op 0
		.amdhsa_exception_fp_denorm_src 0
		.amdhsa_exception_fp_ieee_div_zero 0
		.amdhsa_exception_fp_ieee_overflow 0
		.amdhsa_exception_fp_ieee_underflow 0
		.amdhsa_exception_fp_ieee_inexact 0
		.amdhsa_exception_int_div_zero 0
	.end_amdhsa_kernel
	.section	.text._ZN7rocprim17ROCPRIM_400000_NS6detail17trampoline_kernelINS0_14default_configENS1_27scan_by_key_config_selectorIssEEZZNS1_16scan_by_key_implILNS1_25lookback_scan_determinismE0ELb1ES3_N6thrust23THRUST_200600_302600_NS6detail15normal_iteratorINS9_10device_ptrIsEEEESE_SE_sNS9_4plusIvEENS9_8equal_toIvEEsEE10hipError_tPvRmT2_T3_T4_T5_mT6_T7_P12ihipStream_tbENKUlT_T0_E_clISt17integral_constantIbLb0EESY_IbLb1EEEEDaSU_SV_EUlSU_E_NS1_11comp_targetILNS1_3genE10ELNS1_11target_archE1200ELNS1_3gpuE4ELNS1_3repE0EEENS1_30default_config_static_selectorELNS0_4arch9wavefront6targetE0EEEvT1_,"axG",@progbits,_ZN7rocprim17ROCPRIM_400000_NS6detail17trampoline_kernelINS0_14default_configENS1_27scan_by_key_config_selectorIssEEZZNS1_16scan_by_key_implILNS1_25lookback_scan_determinismE0ELb1ES3_N6thrust23THRUST_200600_302600_NS6detail15normal_iteratorINS9_10device_ptrIsEEEESE_SE_sNS9_4plusIvEENS9_8equal_toIvEEsEE10hipError_tPvRmT2_T3_T4_T5_mT6_T7_P12ihipStream_tbENKUlT_T0_E_clISt17integral_constantIbLb0EESY_IbLb1EEEEDaSU_SV_EUlSU_E_NS1_11comp_targetILNS1_3genE10ELNS1_11target_archE1200ELNS1_3gpuE4ELNS1_3repE0EEENS1_30default_config_static_selectorELNS0_4arch9wavefront6targetE0EEEvT1_,comdat
.Lfunc_end602:
	.size	_ZN7rocprim17ROCPRIM_400000_NS6detail17trampoline_kernelINS0_14default_configENS1_27scan_by_key_config_selectorIssEEZZNS1_16scan_by_key_implILNS1_25lookback_scan_determinismE0ELb1ES3_N6thrust23THRUST_200600_302600_NS6detail15normal_iteratorINS9_10device_ptrIsEEEESE_SE_sNS9_4plusIvEENS9_8equal_toIvEEsEE10hipError_tPvRmT2_T3_T4_T5_mT6_T7_P12ihipStream_tbENKUlT_T0_E_clISt17integral_constantIbLb0EESY_IbLb1EEEEDaSU_SV_EUlSU_E_NS1_11comp_targetILNS1_3genE10ELNS1_11target_archE1200ELNS1_3gpuE4ELNS1_3repE0EEENS1_30default_config_static_selectorELNS0_4arch9wavefront6targetE0EEEvT1_, .Lfunc_end602-_ZN7rocprim17ROCPRIM_400000_NS6detail17trampoline_kernelINS0_14default_configENS1_27scan_by_key_config_selectorIssEEZZNS1_16scan_by_key_implILNS1_25lookback_scan_determinismE0ELb1ES3_N6thrust23THRUST_200600_302600_NS6detail15normal_iteratorINS9_10device_ptrIsEEEESE_SE_sNS9_4plusIvEENS9_8equal_toIvEEsEE10hipError_tPvRmT2_T3_T4_T5_mT6_T7_P12ihipStream_tbENKUlT_T0_E_clISt17integral_constantIbLb0EESY_IbLb1EEEEDaSU_SV_EUlSU_E_NS1_11comp_targetILNS1_3genE10ELNS1_11target_archE1200ELNS1_3gpuE4ELNS1_3repE0EEENS1_30default_config_static_selectorELNS0_4arch9wavefront6targetE0EEEvT1_
                                        ; -- End function
	.set _ZN7rocprim17ROCPRIM_400000_NS6detail17trampoline_kernelINS0_14default_configENS1_27scan_by_key_config_selectorIssEEZZNS1_16scan_by_key_implILNS1_25lookback_scan_determinismE0ELb1ES3_N6thrust23THRUST_200600_302600_NS6detail15normal_iteratorINS9_10device_ptrIsEEEESE_SE_sNS9_4plusIvEENS9_8equal_toIvEEsEE10hipError_tPvRmT2_T3_T4_T5_mT6_T7_P12ihipStream_tbENKUlT_T0_E_clISt17integral_constantIbLb0EESY_IbLb1EEEEDaSU_SV_EUlSU_E_NS1_11comp_targetILNS1_3genE10ELNS1_11target_archE1200ELNS1_3gpuE4ELNS1_3repE0EEENS1_30default_config_static_selectorELNS0_4arch9wavefront6targetE0EEEvT1_.num_vgpr, 0
	.set _ZN7rocprim17ROCPRIM_400000_NS6detail17trampoline_kernelINS0_14default_configENS1_27scan_by_key_config_selectorIssEEZZNS1_16scan_by_key_implILNS1_25lookback_scan_determinismE0ELb1ES3_N6thrust23THRUST_200600_302600_NS6detail15normal_iteratorINS9_10device_ptrIsEEEESE_SE_sNS9_4plusIvEENS9_8equal_toIvEEsEE10hipError_tPvRmT2_T3_T4_T5_mT6_T7_P12ihipStream_tbENKUlT_T0_E_clISt17integral_constantIbLb0EESY_IbLb1EEEEDaSU_SV_EUlSU_E_NS1_11comp_targetILNS1_3genE10ELNS1_11target_archE1200ELNS1_3gpuE4ELNS1_3repE0EEENS1_30default_config_static_selectorELNS0_4arch9wavefront6targetE0EEEvT1_.num_agpr, 0
	.set _ZN7rocprim17ROCPRIM_400000_NS6detail17trampoline_kernelINS0_14default_configENS1_27scan_by_key_config_selectorIssEEZZNS1_16scan_by_key_implILNS1_25lookback_scan_determinismE0ELb1ES3_N6thrust23THRUST_200600_302600_NS6detail15normal_iteratorINS9_10device_ptrIsEEEESE_SE_sNS9_4plusIvEENS9_8equal_toIvEEsEE10hipError_tPvRmT2_T3_T4_T5_mT6_T7_P12ihipStream_tbENKUlT_T0_E_clISt17integral_constantIbLb0EESY_IbLb1EEEEDaSU_SV_EUlSU_E_NS1_11comp_targetILNS1_3genE10ELNS1_11target_archE1200ELNS1_3gpuE4ELNS1_3repE0EEENS1_30default_config_static_selectorELNS0_4arch9wavefront6targetE0EEEvT1_.numbered_sgpr, 0
	.set _ZN7rocprim17ROCPRIM_400000_NS6detail17trampoline_kernelINS0_14default_configENS1_27scan_by_key_config_selectorIssEEZZNS1_16scan_by_key_implILNS1_25lookback_scan_determinismE0ELb1ES3_N6thrust23THRUST_200600_302600_NS6detail15normal_iteratorINS9_10device_ptrIsEEEESE_SE_sNS9_4plusIvEENS9_8equal_toIvEEsEE10hipError_tPvRmT2_T3_T4_T5_mT6_T7_P12ihipStream_tbENKUlT_T0_E_clISt17integral_constantIbLb0EESY_IbLb1EEEEDaSU_SV_EUlSU_E_NS1_11comp_targetILNS1_3genE10ELNS1_11target_archE1200ELNS1_3gpuE4ELNS1_3repE0EEENS1_30default_config_static_selectorELNS0_4arch9wavefront6targetE0EEEvT1_.num_named_barrier, 0
	.set _ZN7rocprim17ROCPRIM_400000_NS6detail17trampoline_kernelINS0_14default_configENS1_27scan_by_key_config_selectorIssEEZZNS1_16scan_by_key_implILNS1_25lookback_scan_determinismE0ELb1ES3_N6thrust23THRUST_200600_302600_NS6detail15normal_iteratorINS9_10device_ptrIsEEEESE_SE_sNS9_4plusIvEENS9_8equal_toIvEEsEE10hipError_tPvRmT2_T3_T4_T5_mT6_T7_P12ihipStream_tbENKUlT_T0_E_clISt17integral_constantIbLb0EESY_IbLb1EEEEDaSU_SV_EUlSU_E_NS1_11comp_targetILNS1_3genE10ELNS1_11target_archE1200ELNS1_3gpuE4ELNS1_3repE0EEENS1_30default_config_static_selectorELNS0_4arch9wavefront6targetE0EEEvT1_.private_seg_size, 0
	.set _ZN7rocprim17ROCPRIM_400000_NS6detail17trampoline_kernelINS0_14default_configENS1_27scan_by_key_config_selectorIssEEZZNS1_16scan_by_key_implILNS1_25lookback_scan_determinismE0ELb1ES3_N6thrust23THRUST_200600_302600_NS6detail15normal_iteratorINS9_10device_ptrIsEEEESE_SE_sNS9_4plusIvEENS9_8equal_toIvEEsEE10hipError_tPvRmT2_T3_T4_T5_mT6_T7_P12ihipStream_tbENKUlT_T0_E_clISt17integral_constantIbLb0EESY_IbLb1EEEEDaSU_SV_EUlSU_E_NS1_11comp_targetILNS1_3genE10ELNS1_11target_archE1200ELNS1_3gpuE4ELNS1_3repE0EEENS1_30default_config_static_selectorELNS0_4arch9wavefront6targetE0EEEvT1_.uses_vcc, 0
	.set _ZN7rocprim17ROCPRIM_400000_NS6detail17trampoline_kernelINS0_14default_configENS1_27scan_by_key_config_selectorIssEEZZNS1_16scan_by_key_implILNS1_25lookback_scan_determinismE0ELb1ES3_N6thrust23THRUST_200600_302600_NS6detail15normal_iteratorINS9_10device_ptrIsEEEESE_SE_sNS9_4plusIvEENS9_8equal_toIvEEsEE10hipError_tPvRmT2_T3_T4_T5_mT6_T7_P12ihipStream_tbENKUlT_T0_E_clISt17integral_constantIbLb0EESY_IbLb1EEEEDaSU_SV_EUlSU_E_NS1_11comp_targetILNS1_3genE10ELNS1_11target_archE1200ELNS1_3gpuE4ELNS1_3repE0EEENS1_30default_config_static_selectorELNS0_4arch9wavefront6targetE0EEEvT1_.uses_flat_scratch, 0
	.set _ZN7rocprim17ROCPRIM_400000_NS6detail17trampoline_kernelINS0_14default_configENS1_27scan_by_key_config_selectorIssEEZZNS1_16scan_by_key_implILNS1_25lookback_scan_determinismE0ELb1ES3_N6thrust23THRUST_200600_302600_NS6detail15normal_iteratorINS9_10device_ptrIsEEEESE_SE_sNS9_4plusIvEENS9_8equal_toIvEEsEE10hipError_tPvRmT2_T3_T4_T5_mT6_T7_P12ihipStream_tbENKUlT_T0_E_clISt17integral_constantIbLb0EESY_IbLb1EEEEDaSU_SV_EUlSU_E_NS1_11comp_targetILNS1_3genE10ELNS1_11target_archE1200ELNS1_3gpuE4ELNS1_3repE0EEENS1_30default_config_static_selectorELNS0_4arch9wavefront6targetE0EEEvT1_.has_dyn_sized_stack, 0
	.set _ZN7rocprim17ROCPRIM_400000_NS6detail17trampoline_kernelINS0_14default_configENS1_27scan_by_key_config_selectorIssEEZZNS1_16scan_by_key_implILNS1_25lookback_scan_determinismE0ELb1ES3_N6thrust23THRUST_200600_302600_NS6detail15normal_iteratorINS9_10device_ptrIsEEEESE_SE_sNS9_4plusIvEENS9_8equal_toIvEEsEE10hipError_tPvRmT2_T3_T4_T5_mT6_T7_P12ihipStream_tbENKUlT_T0_E_clISt17integral_constantIbLb0EESY_IbLb1EEEEDaSU_SV_EUlSU_E_NS1_11comp_targetILNS1_3genE10ELNS1_11target_archE1200ELNS1_3gpuE4ELNS1_3repE0EEENS1_30default_config_static_selectorELNS0_4arch9wavefront6targetE0EEEvT1_.has_recursion, 0
	.set _ZN7rocprim17ROCPRIM_400000_NS6detail17trampoline_kernelINS0_14default_configENS1_27scan_by_key_config_selectorIssEEZZNS1_16scan_by_key_implILNS1_25lookback_scan_determinismE0ELb1ES3_N6thrust23THRUST_200600_302600_NS6detail15normal_iteratorINS9_10device_ptrIsEEEESE_SE_sNS9_4plusIvEENS9_8equal_toIvEEsEE10hipError_tPvRmT2_T3_T4_T5_mT6_T7_P12ihipStream_tbENKUlT_T0_E_clISt17integral_constantIbLb0EESY_IbLb1EEEEDaSU_SV_EUlSU_E_NS1_11comp_targetILNS1_3genE10ELNS1_11target_archE1200ELNS1_3gpuE4ELNS1_3repE0EEENS1_30default_config_static_selectorELNS0_4arch9wavefront6targetE0EEEvT1_.has_indirect_call, 0
	.section	.AMDGPU.csdata,"",@progbits
; Kernel info:
; codeLenInByte = 0
; TotalNumSgprs: 0
; NumVgprs: 0
; ScratchSize: 0
; MemoryBound: 0
; FloatMode: 240
; IeeeMode: 1
; LDSByteSize: 0 bytes/workgroup (compile time only)
; SGPRBlocks: 0
; VGPRBlocks: 0
; NumSGPRsForWavesPerEU: 1
; NumVGPRsForWavesPerEU: 1
; NamedBarCnt: 0
; Occupancy: 16
; WaveLimiterHint : 0
; COMPUTE_PGM_RSRC2:SCRATCH_EN: 0
; COMPUTE_PGM_RSRC2:USER_SGPR: 2
; COMPUTE_PGM_RSRC2:TRAP_HANDLER: 0
; COMPUTE_PGM_RSRC2:TGID_X_EN: 1
; COMPUTE_PGM_RSRC2:TGID_Y_EN: 0
; COMPUTE_PGM_RSRC2:TGID_Z_EN: 0
; COMPUTE_PGM_RSRC2:TIDIG_COMP_CNT: 0
	.section	.text._ZN7rocprim17ROCPRIM_400000_NS6detail17trampoline_kernelINS0_14default_configENS1_27scan_by_key_config_selectorIssEEZZNS1_16scan_by_key_implILNS1_25lookback_scan_determinismE0ELb1ES3_N6thrust23THRUST_200600_302600_NS6detail15normal_iteratorINS9_10device_ptrIsEEEESE_SE_sNS9_4plusIvEENS9_8equal_toIvEEsEE10hipError_tPvRmT2_T3_T4_T5_mT6_T7_P12ihipStream_tbENKUlT_T0_E_clISt17integral_constantIbLb0EESY_IbLb1EEEEDaSU_SV_EUlSU_E_NS1_11comp_targetILNS1_3genE9ELNS1_11target_archE1100ELNS1_3gpuE3ELNS1_3repE0EEENS1_30default_config_static_selectorELNS0_4arch9wavefront6targetE0EEEvT1_,"axG",@progbits,_ZN7rocprim17ROCPRIM_400000_NS6detail17trampoline_kernelINS0_14default_configENS1_27scan_by_key_config_selectorIssEEZZNS1_16scan_by_key_implILNS1_25lookback_scan_determinismE0ELb1ES3_N6thrust23THRUST_200600_302600_NS6detail15normal_iteratorINS9_10device_ptrIsEEEESE_SE_sNS9_4plusIvEENS9_8equal_toIvEEsEE10hipError_tPvRmT2_T3_T4_T5_mT6_T7_P12ihipStream_tbENKUlT_T0_E_clISt17integral_constantIbLb0EESY_IbLb1EEEEDaSU_SV_EUlSU_E_NS1_11comp_targetILNS1_3genE9ELNS1_11target_archE1100ELNS1_3gpuE3ELNS1_3repE0EEENS1_30default_config_static_selectorELNS0_4arch9wavefront6targetE0EEEvT1_,comdat
	.protected	_ZN7rocprim17ROCPRIM_400000_NS6detail17trampoline_kernelINS0_14default_configENS1_27scan_by_key_config_selectorIssEEZZNS1_16scan_by_key_implILNS1_25lookback_scan_determinismE0ELb1ES3_N6thrust23THRUST_200600_302600_NS6detail15normal_iteratorINS9_10device_ptrIsEEEESE_SE_sNS9_4plusIvEENS9_8equal_toIvEEsEE10hipError_tPvRmT2_T3_T4_T5_mT6_T7_P12ihipStream_tbENKUlT_T0_E_clISt17integral_constantIbLb0EESY_IbLb1EEEEDaSU_SV_EUlSU_E_NS1_11comp_targetILNS1_3genE9ELNS1_11target_archE1100ELNS1_3gpuE3ELNS1_3repE0EEENS1_30default_config_static_selectorELNS0_4arch9wavefront6targetE0EEEvT1_ ; -- Begin function _ZN7rocprim17ROCPRIM_400000_NS6detail17trampoline_kernelINS0_14default_configENS1_27scan_by_key_config_selectorIssEEZZNS1_16scan_by_key_implILNS1_25lookback_scan_determinismE0ELb1ES3_N6thrust23THRUST_200600_302600_NS6detail15normal_iteratorINS9_10device_ptrIsEEEESE_SE_sNS9_4plusIvEENS9_8equal_toIvEEsEE10hipError_tPvRmT2_T3_T4_T5_mT6_T7_P12ihipStream_tbENKUlT_T0_E_clISt17integral_constantIbLb0EESY_IbLb1EEEEDaSU_SV_EUlSU_E_NS1_11comp_targetILNS1_3genE9ELNS1_11target_archE1100ELNS1_3gpuE3ELNS1_3repE0EEENS1_30default_config_static_selectorELNS0_4arch9wavefront6targetE0EEEvT1_
	.globl	_ZN7rocprim17ROCPRIM_400000_NS6detail17trampoline_kernelINS0_14default_configENS1_27scan_by_key_config_selectorIssEEZZNS1_16scan_by_key_implILNS1_25lookback_scan_determinismE0ELb1ES3_N6thrust23THRUST_200600_302600_NS6detail15normal_iteratorINS9_10device_ptrIsEEEESE_SE_sNS9_4plusIvEENS9_8equal_toIvEEsEE10hipError_tPvRmT2_T3_T4_T5_mT6_T7_P12ihipStream_tbENKUlT_T0_E_clISt17integral_constantIbLb0EESY_IbLb1EEEEDaSU_SV_EUlSU_E_NS1_11comp_targetILNS1_3genE9ELNS1_11target_archE1100ELNS1_3gpuE3ELNS1_3repE0EEENS1_30default_config_static_selectorELNS0_4arch9wavefront6targetE0EEEvT1_
	.p2align	8
	.type	_ZN7rocprim17ROCPRIM_400000_NS6detail17trampoline_kernelINS0_14default_configENS1_27scan_by_key_config_selectorIssEEZZNS1_16scan_by_key_implILNS1_25lookback_scan_determinismE0ELb1ES3_N6thrust23THRUST_200600_302600_NS6detail15normal_iteratorINS9_10device_ptrIsEEEESE_SE_sNS9_4plusIvEENS9_8equal_toIvEEsEE10hipError_tPvRmT2_T3_T4_T5_mT6_T7_P12ihipStream_tbENKUlT_T0_E_clISt17integral_constantIbLb0EESY_IbLb1EEEEDaSU_SV_EUlSU_E_NS1_11comp_targetILNS1_3genE9ELNS1_11target_archE1100ELNS1_3gpuE3ELNS1_3repE0EEENS1_30default_config_static_selectorELNS0_4arch9wavefront6targetE0EEEvT1_,@function
_ZN7rocprim17ROCPRIM_400000_NS6detail17trampoline_kernelINS0_14default_configENS1_27scan_by_key_config_selectorIssEEZZNS1_16scan_by_key_implILNS1_25lookback_scan_determinismE0ELb1ES3_N6thrust23THRUST_200600_302600_NS6detail15normal_iteratorINS9_10device_ptrIsEEEESE_SE_sNS9_4plusIvEENS9_8equal_toIvEEsEE10hipError_tPvRmT2_T3_T4_T5_mT6_T7_P12ihipStream_tbENKUlT_T0_E_clISt17integral_constantIbLb0EESY_IbLb1EEEEDaSU_SV_EUlSU_E_NS1_11comp_targetILNS1_3genE9ELNS1_11target_archE1100ELNS1_3gpuE3ELNS1_3repE0EEENS1_30default_config_static_selectorELNS0_4arch9wavefront6targetE0EEEvT1_: ; @_ZN7rocprim17ROCPRIM_400000_NS6detail17trampoline_kernelINS0_14default_configENS1_27scan_by_key_config_selectorIssEEZZNS1_16scan_by_key_implILNS1_25lookback_scan_determinismE0ELb1ES3_N6thrust23THRUST_200600_302600_NS6detail15normal_iteratorINS9_10device_ptrIsEEEESE_SE_sNS9_4plusIvEENS9_8equal_toIvEEsEE10hipError_tPvRmT2_T3_T4_T5_mT6_T7_P12ihipStream_tbENKUlT_T0_E_clISt17integral_constantIbLb0EESY_IbLb1EEEEDaSU_SV_EUlSU_E_NS1_11comp_targetILNS1_3genE9ELNS1_11target_archE1100ELNS1_3gpuE3ELNS1_3repE0EEENS1_30default_config_static_selectorELNS0_4arch9wavefront6targetE0EEEvT1_
; %bb.0:
	.section	.rodata,"a",@progbits
	.p2align	6, 0x0
	.amdhsa_kernel _ZN7rocprim17ROCPRIM_400000_NS6detail17trampoline_kernelINS0_14default_configENS1_27scan_by_key_config_selectorIssEEZZNS1_16scan_by_key_implILNS1_25lookback_scan_determinismE0ELb1ES3_N6thrust23THRUST_200600_302600_NS6detail15normal_iteratorINS9_10device_ptrIsEEEESE_SE_sNS9_4plusIvEENS9_8equal_toIvEEsEE10hipError_tPvRmT2_T3_T4_T5_mT6_T7_P12ihipStream_tbENKUlT_T0_E_clISt17integral_constantIbLb0EESY_IbLb1EEEEDaSU_SV_EUlSU_E_NS1_11comp_targetILNS1_3genE9ELNS1_11target_archE1100ELNS1_3gpuE3ELNS1_3repE0EEENS1_30default_config_static_selectorELNS0_4arch9wavefront6targetE0EEEvT1_
		.amdhsa_group_segment_fixed_size 0
		.amdhsa_private_segment_fixed_size 0
		.amdhsa_kernarg_size 112
		.amdhsa_user_sgpr_count 2
		.amdhsa_user_sgpr_dispatch_ptr 0
		.amdhsa_user_sgpr_queue_ptr 0
		.amdhsa_user_sgpr_kernarg_segment_ptr 1
		.amdhsa_user_sgpr_dispatch_id 0
		.amdhsa_user_sgpr_kernarg_preload_length 0
		.amdhsa_user_sgpr_kernarg_preload_offset 0
		.amdhsa_user_sgpr_private_segment_size 0
		.amdhsa_wavefront_size32 1
		.amdhsa_uses_dynamic_stack 0
		.amdhsa_enable_private_segment 0
		.amdhsa_system_sgpr_workgroup_id_x 1
		.amdhsa_system_sgpr_workgroup_id_y 0
		.amdhsa_system_sgpr_workgroup_id_z 0
		.amdhsa_system_sgpr_workgroup_info 0
		.amdhsa_system_vgpr_workitem_id 0
		.amdhsa_next_free_vgpr 1
		.amdhsa_next_free_sgpr 1
		.amdhsa_named_barrier_count 0
		.amdhsa_reserve_vcc 0
		.amdhsa_float_round_mode_32 0
		.amdhsa_float_round_mode_16_64 0
		.amdhsa_float_denorm_mode_32 3
		.amdhsa_float_denorm_mode_16_64 3
		.amdhsa_fp16_overflow 0
		.amdhsa_memory_ordered 1
		.amdhsa_forward_progress 1
		.amdhsa_inst_pref_size 0
		.amdhsa_round_robin_scheduling 0
		.amdhsa_exception_fp_ieee_invalid_op 0
		.amdhsa_exception_fp_denorm_src 0
		.amdhsa_exception_fp_ieee_div_zero 0
		.amdhsa_exception_fp_ieee_overflow 0
		.amdhsa_exception_fp_ieee_underflow 0
		.amdhsa_exception_fp_ieee_inexact 0
		.amdhsa_exception_int_div_zero 0
	.end_amdhsa_kernel
	.section	.text._ZN7rocprim17ROCPRIM_400000_NS6detail17trampoline_kernelINS0_14default_configENS1_27scan_by_key_config_selectorIssEEZZNS1_16scan_by_key_implILNS1_25lookback_scan_determinismE0ELb1ES3_N6thrust23THRUST_200600_302600_NS6detail15normal_iteratorINS9_10device_ptrIsEEEESE_SE_sNS9_4plusIvEENS9_8equal_toIvEEsEE10hipError_tPvRmT2_T3_T4_T5_mT6_T7_P12ihipStream_tbENKUlT_T0_E_clISt17integral_constantIbLb0EESY_IbLb1EEEEDaSU_SV_EUlSU_E_NS1_11comp_targetILNS1_3genE9ELNS1_11target_archE1100ELNS1_3gpuE3ELNS1_3repE0EEENS1_30default_config_static_selectorELNS0_4arch9wavefront6targetE0EEEvT1_,"axG",@progbits,_ZN7rocprim17ROCPRIM_400000_NS6detail17trampoline_kernelINS0_14default_configENS1_27scan_by_key_config_selectorIssEEZZNS1_16scan_by_key_implILNS1_25lookback_scan_determinismE0ELb1ES3_N6thrust23THRUST_200600_302600_NS6detail15normal_iteratorINS9_10device_ptrIsEEEESE_SE_sNS9_4plusIvEENS9_8equal_toIvEEsEE10hipError_tPvRmT2_T3_T4_T5_mT6_T7_P12ihipStream_tbENKUlT_T0_E_clISt17integral_constantIbLb0EESY_IbLb1EEEEDaSU_SV_EUlSU_E_NS1_11comp_targetILNS1_3genE9ELNS1_11target_archE1100ELNS1_3gpuE3ELNS1_3repE0EEENS1_30default_config_static_selectorELNS0_4arch9wavefront6targetE0EEEvT1_,comdat
.Lfunc_end603:
	.size	_ZN7rocprim17ROCPRIM_400000_NS6detail17trampoline_kernelINS0_14default_configENS1_27scan_by_key_config_selectorIssEEZZNS1_16scan_by_key_implILNS1_25lookback_scan_determinismE0ELb1ES3_N6thrust23THRUST_200600_302600_NS6detail15normal_iteratorINS9_10device_ptrIsEEEESE_SE_sNS9_4plusIvEENS9_8equal_toIvEEsEE10hipError_tPvRmT2_T3_T4_T5_mT6_T7_P12ihipStream_tbENKUlT_T0_E_clISt17integral_constantIbLb0EESY_IbLb1EEEEDaSU_SV_EUlSU_E_NS1_11comp_targetILNS1_3genE9ELNS1_11target_archE1100ELNS1_3gpuE3ELNS1_3repE0EEENS1_30default_config_static_selectorELNS0_4arch9wavefront6targetE0EEEvT1_, .Lfunc_end603-_ZN7rocprim17ROCPRIM_400000_NS6detail17trampoline_kernelINS0_14default_configENS1_27scan_by_key_config_selectorIssEEZZNS1_16scan_by_key_implILNS1_25lookback_scan_determinismE0ELb1ES3_N6thrust23THRUST_200600_302600_NS6detail15normal_iteratorINS9_10device_ptrIsEEEESE_SE_sNS9_4plusIvEENS9_8equal_toIvEEsEE10hipError_tPvRmT2_T3_T4_T5_mT6_T7_P12ihipStream_tbENKUlT_T0_E_clISt17integral_constantIbLb0EESY_IbLb1EEEEDaSU_SV_EUlSU_E_NS1_11comp_targetILNS1_3genE9ELNS1_11target_archE1100ELNS1_3gpuE3ELNS1_3repE0EEENS1_30default_config_static_selectorELNS0_4arch9wavefront6targetE0EEEvT1_
                                        ; -- End function
	.set _ZN7rocprim17ROCPRIM_400000_NS6detail17trampoline_kernelINS0_14default_configENS1_27scan_by_key_config_selectorIssEEZZNS1_16scan_by_key_implILNS1_25lookback_scan_determinismE0ELb1ES3_N6thrust23THRUST_200600_302600_NS6detail15normal_iteratorINS9_10device_ptrIsEEEESE_SE_sNS9_4plusIvEENS9_8equal_toIvEEsEE10hipError_tPvRmT2_T3_T4_T5_mT6_T7_P12ihipStream_tbENKUlT_T0_E_clISt17integral_constantIbLb0EESY_IbLb1EEEEDaSU_SV_EUlSU_E_NS1_11comp_targetILNS1_3genE9ELNS1_11target_archE1100ELNS1_3gpuE3ELNS1_3repE0EEENS1_30default_config_static_selectorELNS0_4arch9wavefront6targetE0EEEvT1_.num_vgpr, 0
	.set _ZN7rocprim17ROCPRIM_400000_NS6detail17trampoline_kernelINS0_14default_configENS1_27scan_by_key_config_selectorIssEEZZNS1_16scan_by_key_implILNS1_25lookback_scan_determinismE0ELb1ES3_N6thrust23THRUST_200600_302600_NS6detail15normal_iteratorINS9_10device_ptrIsEEEESE_SE_sNS9_4plusIvEENS9_8equal_toIvEEsEE10hipError_tPvRmT2_T3_T4_T5_mT6_T7_P12ihipStream_tbENKUlT_T0_E_clISt17integral_constantIbLb0EESY_IbLb1EEEEDaSU_SV_EUlSU_E_NS1_11comp_targetILNS1_3genE9ELNS1_11target_archE1100ELNS1_3gpuE3ELNS1_3repE0EEENS1_30default_config_static_selectorELNS0_4arch9wavefront6targetE0EEEvT1_.num_agpr, 0
	.set _ZN7rocprim17ROCPRIM_400000_NS6detail17trampoline_kernelINS0_14default_configENS1_27scan_by_key_config_selectorIssEEZZNS1_16scan_by_key_implILNS1_25lookback_scan_determinismE0ELb1ES3_N6thrust23THRUST_200600_302600_NS6detail15normal_iteratorINS9_10device_ptrIsEEEESE_SE_sNS9_4plusIvEENS9_8equal_toIvEEsEE10hipError_tPvRmT2_T3_T4_T5_mT6_T7_P12ihipStream_tbENKUlT_T0_E_clISt17integral_constantIbLb0EESY_IbLb1EEEEDaSU_SV_EUlSU_E_NS1_11comp_targetILNS1_3genE9ELNS1_11target_archE1100ELNS1_3gpuE3ELNS1_3repE0EEENS1_30default_config_static_selectorELNS0_4arch9wavefront6targetE0EEEvT1_.numbered_sgpr, 0
	.set _ZN7rocprim17ROCPRIM_400000_NS6detail17trampoline_kernelINS0_14default_configENS1_27scan_by_key_config_selectorIssEEZZNS1_16scan_by_key_implILNS1_25lookback_scan_determinismE0ELb1ES3_N6thrust23THRUST_200600_302600_NS6detail15normal_iteratorINS9_10device_ptrIsEEEESE_SE_sNS9_4plusIvEENS9_8equal_toIvEEsEE10hipError_tPvRmT2_T3_T4_T5_mT6_T7_P12ihipStream_tbENKUlT_T0_E_clISt17integral_constantIbLb0EESY_IbLb1EEEEDaSU_SV_EUlSU_E_NS1_11comp_targetILNS1_3genE9ELNS1_11target_archE1100ELNS1_3gpuE3ELNS1_3repE0EEENS1_30default_config_static_selectorELNS0_4arch9wavefront6targetE0EEEvT1_.num_named_barrier, 0
	.set _ZN7rocprim17ROCPRIM_400000_NS6detail17trampoline_kernelINS0_14default_configENS1_27scan_by_key_config_selectorIssEEZZNS1_16scan_by_key_implILNS1_25lookback_scan_determinismE0ELb1ES3_N6thrust23THRUST_200600_302600_NS6detail15normal_iteratorINS9_10device_ptrIsEEEESE_SE_sNS9_4plusIvEENS9_8equal_toIvEEsEE10hipError_tPvRmT2_T3_T4_T5_mT6_T7_P12ihipStream_tbENKUlT_T0_E_clISt17integral_constantIbLb0EESY_IbLb1EEEEDaSU_SV_EUlSU_E_NS1_11comp_targetILNS1_3genE9ELNS1_11target_archE1100ELNS1_3gpuE3ELNS1_3repE0EEENS1_30default_config_static_selectorELNS0_4arch9wavefront6targetE0EEEvT1_.private_seg_size, 0
	.set _ZN7rocprim17ROCPRIM_400000_NS6detail17trampoline_kernelINS0_14default_configENS1_27scan_by_key_config_selectorIssEEZZNS1_16scan_by_key_implILNS1_25lookback_scan_determinismE0ELb1ES3_N6thrust23THRUST_200600_302600_NS6detail15normal_iteratorINS9_10device_ptrIsEEEESE_SE_sNS9_4plusIvEENS9_8equal_toIvEEsEE10hipError_tPvRmT2_T3_T4_T5_mT6_T7_P12ihipStream_tbENKUlT_T0_E_clISt17integral_constantIbLb0EESY_IbLb1EEEEDaSU_SV_EUlSU_E_NS1_11comp_targetILNS1_3genE9ELNS1_11target_archE1100ELNS1_3gpuE3ELNS1_3repE0EEENS1_30default_config_static_selectorELNS0_4arch9wavefront6targetE0EEEvT1_.uses_vcc, 0
	.set _ZN7rocprim17ROCPRIM_400000_NS6detail17trampoline_kernelINS0_14default_configENS1_27scan_by_key_config_selectorIssEEZZNS1_16scan_by_key_implILNS1_25lookback_scan_determinismE0ELb1ES3_N6thrust23THRUST_200600_302600_NS6detail15normal_iteratorINS9_10device_ptrIsEEEESE_SE_sNS9_4plusIvEENS9_8equal_toIvEEsEE10hipError_tPvRmT2_T3_T4_T5_mT6_T7_P12ihipStream_tbENKUlT_T0_E_clISt17integral_constantIbLb0EESY_IbLb1EEEEDaSU_SV_EUlSU_E_NS1_11comp_targetILNS1_3genE9ELNS1_11target_archE1100ELNS1_3gpuE3ELNS1_3repE0EEENS1_30default_config_static_selectorELNS0_4arch9wavefront6targetE0EEEvT1_.uses_flat_scratch, 0
	.set _ZN7rocprim17ROCPRIM_400000_NS6detail17trampoline_kernelINS0_14default_configENS1_27scan_by_key_config_selectorIssEEZZNS1_16scan_by_key_implILNS1_25lookback_scan_determinismE0ELb1ES3_N6thrust23THRUST_200600_302600_NS6detail15normal_iteratorINS9_10device_ptrIsEEEESE_SE_sNS9_4plusIvEENS9_8equal_toIvEEsEE10hipError_tPvRmT2_T3_T4_T5_mT6_T7_P12ihipStream_tbENKUlT_T0_E_clISt17integral_constantIbLb0EESY_IbLb1EEEEDaSU_SV_EUlSU_E_NS1_11comp_targetILNS1_3genE9ELNS1_11target_archE1100ELNS1_3gpuE3ELNS1_3repE0EEENS1_30default_config_static_selectorELNS0_4arch9wavefront6targetE0EEEvT1_.has_dyn_sized_stack, 0
	.set _ZN7rocprim17ROCPRIM_400000_NS6detail17trampoline_kernelINS0_14default_configENS1_27scan_by_key_config_selectorIssEEZZNS1_16scan_by_key_implILNS1_25lookback_scan_determinismE0ELb1ES3_N6thrust23THRUST_200600_302600_NS6detail15normal_iteratorINS9_10device_ptrIsEEEESE_SE_sNS9_4plusIvEENS9_8equal_toIvEEsEE10hipError_tPvRmT2_T3_T4_T5_mT6_T7_P12ihipStream_tbENKUlT_T0_E_clISt17integral_constantIbLb0EESY_IbLb1EEEEDaSU_SV_EUlSU_E_NS1_11comp_targetILNS1_3genE9ELNS1_11target_archE1100ELNS1_3gpuE3ELNS1_3repE0EEENS1_30default_config_static_selectorELNS0_4arch9wavefront6targetE0EEEvT1_.has_recursion, 0
	.set _ZN7rocprim17ROCPRIM_400000_NS6detail17trampoline_kernelINS0_14default_configENS1_27scan_by_key_config_selectorIssEEZZNS1_16scan_by_key_implILNS1_25lookback_scan_determinismE0ELb1ES3_N6thrust23THRUST_200600_302600_NS6detail15normal_iteratorINS9_10device_ptrIsEEEESE_SE_sNS9_4plusIvEENS9_8equal_toIvEEsEE10hipError_tPvRmT2_T3_T4_T5_mT6_T7_P12ihipStream_tbENKUlT_T0_E_clISt17integral_constantIbLb0EESY_IbLb1EEEEDaSU_SV_EUlSU_E_NS1_11comp_targetILNS1_3genE9ELNS1_11target_archE1100ELNS1_3gpuE3ELNS1_3repE0EEENS1_30default_config_static_selectorELNS0_4arch9wavefront6targetE0EEEvT1_.has_indirect_call, 0
	.section	.AMDGPU.csdata,"",@progbits
; Kernel info:
; codeLenInByte = 0
; TotalNumSgprs: 0
; NumVgprs: 0
; ScratchSize: 0
; MemoryBound: 0
; FloatMode: 240
; IeeeMode: 1
; LDSByteSize: 0 bytes/workgroup (compile time only)
; SGPRBlocks: 0
; VGPRBlocks: 0
; NumSGPRsForWavesPerEU: 1
; NumVGPRsForWavesPerEU: 1
; NamedBarCnt: 0
; Occupancy: 16
; WaveLimiterHint : 0
; COMPUTE_PGM_RSRC2:SCRATCH_EN: 0
; COMPUTE_PGM_RSRC2:USER_SGPR: 2
; COMPUTE_PGM_RSRC2:TRAP_HANDLER: 0
; COMPUTE_PGM_RSRC2:TGID_X_EN: 1
; COMPUTE_PGM_RSRC2:TGID_Y_EN: 0
; COMPUTE_PGM_RSRC2:TGID_Z_EN: 0
; COMPUTE_PGM_RSRC2:TIDIG_COMP_CNT: 0
	.section	.text._ZN7rocprim17ROCPRIM_400000_NS6detail17trampoline_kernelINS0_14default_configENS1_27scan_by_key_config_selectorIssEEZZNS1_16scan_by_key_implILNS1_25lookback_scan_determinismE0ELb1ES3_N6thrust23THRUST_200600_302600_NS6detail15normal_iteratorINS9_10device_ptrIsEEEESE_SE_sNS9_4plusIvEENS9_8equal_toIvEEsEE10hipError_tPvRmT2_T3_T4_T5_mT6_T7_P12ihipStream_tbENKUlT_T0_E_clISt17integral_constantIbLb0EESY_IbLb1EEEEDaSU_SV_EUlSU_E_NS1_11comp_targetILNS1_3genE8ELNS1_11target_archE1030ELNS1_3gpuE2ELNS1_3repE0EEENS1_30default_config_static_selectorELNS0_4arch9wavefront6targetE0EEEvT1_,"axG",@progbits,_ZN7rocprim17ROCPRIM_400000_NS6detail17trampoline_kernelINS0_14default_configENS1_27scan_by_key_config_selectorIssEEZZNS1_16scan_by_key_implILNS1_25lookback_scan_determinismE0ELb1ES3_N6thrust23THRUST_200600_302600_NS6detail15normal_iteratorINS9_10device_ptrIsEEEESE_SE_sNS9_4plusIvEENS9_8equal_toIvEEsEE10hipError_tPvRmT2_T3_T4_T5_mT6_T7_P12ihipStream_tbENKUlT_T0_E_clISt17integral_constantIbLb0EESY_IbLb1EEEEDaSU_SV_EUlSU_E_NS1_11comp_targetILNS1_3genE8ELNS1_11target_archE1030ELNS1_3gpuE2ELNS1_3repE0EEENS1_30default_config_static_selectorELNS0_4arch9wavefront6targetE0EEEvT1_,comdat
	.protected	_ZN7rocprim17ROCPRIM_400000_NS6detail17trampoline_kernelINS0_14default_configENS1_27scan_by_key_config_selectorIssEEZZNS1_16scan_by_key_implILNS1_25lookback_scan_determinismE0ELb1ES3_N6thrust23THRUST_200600_302600_NS6detail15normal_iteratorINS9_10device_ptrIsEEEESE_SE_sNS9_4plusIvEENS9_8equal_toIvEEsEE10hipError_tPvRmT2_T3_T4_T5_mT6_T7_P12ihipStream_tbENKUlT_T0_E_clISt17integral_constantIbLb0EESY_IbLb1EEEEDaSU_SV_EUlSU_E_NS1_11comp_targetILNS1_3genE8ELNS1_11target_archE1030ELNS1_3gpuE2ELNS1_3repE0EEENS1_30default_config_static_selectorELNS0_4arch9wavefront6targetE0EEEvT1_ ; -- Begin function _ZN7rocprim17ROCPRIM_400000_NS6detail17trampoline_kernelINS0_14default_configENS1_27scan_by_key_config_selectorIssEEZZNS1_16scan_by_key_implILNS1_25lookback_scan_determinismE0ELb1ES3_N6thrust23THRUST_200600_302600_NS6detail15normal_iteratorINS9_10device_ptrIsEEEESE_SE_sNS9_4plusIvEENS9_8equal_toIvEEsEE10hipError_tPvRmT2_T3_T4_T5_mT6_T7_P12ihipStream_tbENKUlT_T0_E_clISt17integral_constantIbLb0EESY_IbLb1EEEEDaSU_SV_EUlSU_E_NS1_11comp_targetILNS1_3genE8ELNS1_11target_archE1030ELNS1_3gpuE2ELNS1_3repE0EEENS1_30default_config_static_selectorELNS0_4arch9wavefront6targetE0EEEvT1_
	.globl	_ZN7rocprim17ROCPRIM_400000_NS6detail17trampoline_kernelINS0_14default_configENS1_27scan_by_key_config_selectorIssEEZZNS1_16scan_by_key_implILNS1_25lookback_scan_determinismE0ELb1ES3_N6thrust23THRUST_200600_302600_NS6detail15normal_iteratorINS9_10device_ptrIsEEEESE_SE_sNS9_4plusIvEENS9_8equal_toIvEEsEE10hipError_tPvRmT2_T3_T4_T5_mT6_T7_P12ihipStream_tbENKUlT_T0_E_clISt17integral_constantIbLb0EESY_IbLb1EEEEDaSU_SV_EUlSU_E_NS1_11comp_targetILNS1_3genE8ELNS1_11target_archE1030ELNS1_3gpuE2ELNS1_3repE0EEENS1_30default_config_static_selectorELNS0_4arch9wavefront6targetE0EEEvT1_
	.p2align	8
	.type	_ZN7rocprim17ROCPRIM_400000_NS6detail17trampoline_kernelINS0_14default_configENS1_27scan_by_key_config_selectorIssEEZZNS1_16scan_by_key_implILNS1_25lookback_scan_determinismE0ELb1ES3_N6thrust23THRUST_200600_302600_NS6detail15normal_iteratorINS9_10device_ptrIsEEEESE_SE_sNS9_4plusIvEENS9_8equal_toIvEEsEE10hipError_tPvRmT2_T3_T4_T5_mT6_T7_P12ihipStream_tbENKUlT_T0_E_clISt17integral_constantIbLb0EESY_IbLb1EEEEDaSU_SV_EUlSU_E_NS1_11comp_targetILNS1_3genE8ELNS1_11target_archE1030ELNS1_3gpuE2ELNS1_3repE0EEENS1_30default_config_static_selectorELNS0_4arch9wavefront6targetE0EEEvT1_,@function
_ZN7rocprim17ROCPRIM_400000_NS6detail17trampoline_kernelINS0_14default_configENS1_27scan_by_key_config_selectorIssEEZZNS1_16scan_by_key_implILNS1_25lookback_scan_determinismE0ELb1ES3_N6thrust23THRUST_200600_302600_NS6detail15normal_iteratorINS9_10device_ptrIsEEEESE_SE_sNS9_4plusIvEENS9_8equal_toIvEEsEE10hipError_tPvRmT2_T3_T4_T5_mT6_T7_P12ihipStream_tbENKUlT_T0_E_clISt17integral_constantIbLb0EESY_IbLb1EEEEDaSU_SV_EUlSU_E_NS1_11comp_targetILNS1_3genE8ELNS1_11target_archE1030ELNS1_3gpuE2ELNS1_3repE0EEENS1_30default_config_static_selectorELNS0_4arch9wavefront6targetE0EEEvT1_: ; @_ZN7rocprim17ROCPRIM_400000_NS6detail17trampoline_kernelINS0_14default_configENS1_27scan_by_key_config_selectorIssEEZZNS1_16scan_by_key_implILNS1_25lookback_scan_determinismE0ELb1ES3_N6thrust23THRUST_200600_302600_NS6detail15normal_iteratorINS9_10device_ptrIsEEEESE_SE_sNS9_4plusIvEENS9_8equal_toIvEEsEE10hipError_tPvRmT2_T3_T4_T5_mT6_T7_P12ihipStream_tbENKUlT_T0_E_clISt17integral_constantIbLb0EESY_IbLb1EEEEDaSU_SV_EUlSU_E_NS1_11comp_targetILNS1_3genE8ELNS1_11target_archE1030ELNS1_3gpuE2ELNS1_3repE0EEENS1_30default_config_static_selectorELNS0_4arch9wavefront6targetE0EEEvT1_
; %bb.0:
	.section	.rodata,"a",@progbits
	.p2align	6, 0x0
	.amdhsa_kernel _ZN7rocprim17ROCPRIM_400000_NS6detail17trampoline_kernelINS0_14default_configENS1_27scan_by_key_config_selectorIssEEZZNS1_16scan_by_key_implILNS1_25lookback_scan_determinismE0ELb1ES3_N6thrust23THRUST_200600_302600_NS6detail15normal_iteratorINS9_10device_ptrIsEEEESE_SE_sNS9_4plusIvEENS9_8equal_toIvEEsEE10hipError_tPvRmT2_T3_T4_T5_mT6_T7_P12ihipStream_tbENKUlT_T0_E_clISt17integral_constantIbLb0EESY_IbLb1EEEEDaSU_SV_EUlSU_E_NS1_11comp_targetILNS1_3genE8ELNS1_11target_archE1030ELNS1_3gpuE2ELNS1_3repE0EEENS1_30default_config_static_selectorELNS0_4arch9wavefront6targetE0EEEvT1_
		.amdhsa_group_segment_fixed_size 0
		.amdhsa_private_segment_fixed_size 0
		.amdhsa_kernarg_size 112
		.amdhsa_user_sgpr_count 2
		.amdhsa_user_sgpr_dispatch_ptr 0
		.amdhsa_user_sgpr_queue_ptr 0
		.amdhsa_user_sgpr_kernarg_segment_ptr 1
		.amdhsa_user_sgpr_dispatch_id 0
		.amdhsa_user_sgpr_kernarg_preload_length 0
		.amdhsa_user_sgpr_kernarg_preload_offset 0
		.amdhsa_user_sgpr_private_segment_size 0
		.amdhsa_wavefront_size32 1
		.amdhsa_uses_dynamic_stack 0
		.amdhsa_enable_private_segment 0
		.amdhsa_system_sgpr_workgroup_id_x 1
		.amdhsa_system_sgpr_workgroup_id_y 0
		.amdhsa_system_sgpr_workgroup_id_z 0
		.amdhsa_system_sgpr_workgroup_info 0
		.amdhsa_system_vgpr_workitem_id 0
		.amdhsa_next_free_vgpr 1
		.amdhsa_next_free_sgpr 1
		.amdhsa_named_barrier_count 0
		.amdhsa_reserve_vcc 0
		.amdhsa_float_round_mode_32 0
		.amdhsa_float_round_mode_16_64 0
		.amdhsa_float_denorm_mode_32 3
		.amdhsa_float_denorm_mode_16_64 3
		.amdhsa_fp16_overflow 0
		.amdhsa_memory_ordered 1
		.amdhsa_forward_progress 1
		.amdhsa_inst_pref_size 0
		.amdhsa_round_robin_scheduling 0
		.amdhsa_exception_fp_ieee_invalid_op 0
		.amdhsa_exception_fp_denorm_src 0
		.amdhsa_exception_fp_ieee_div_zero 0
		.amdhsa_exception_fp_ieee_overflow 0
		.amdhsa_exception_fp_ieee_underflow 0
		.amdhsa_exception_fp_ieee_inexact 0
		.amdhsa_exception_int_div_zero 0
	.end_amdhsa_kernel
	.section	.text._ZN7rocprim17ROCPRIM_400000_NS6detail17trampoline_kernelINS0_14default_configENS1_27scan_by_key_config_selectorIssEEZZNS1_16scan_by_key_implILNS1_25lookback_scan_determinismE0ELb1ES3_N6thrust23THRUST_200600_302600_NS6detail15normal_iteratorINS9_10device_ptrIsEEEESE_SE_sNS9_4plusIvEENS9_8equal_toIvEEsEE10hipError_tPvRmT2_T3_T4_T5_mT6_T7_P12ihipStream_tbENKUlT_T0_E_clISt17integral_constantIbLb0EESY_IbLb1EEEEDaSU_SV_EUlSU_E_NS1_11comp_targetILNS1_3genE8ELNS1_11target_archE1030ELNS1_3gpuE2ELNS1_3repE0EEENS1_30default_config_static_selectorELNS0_4arch9wavefront6targetE0EEEvT1_,"axG",@progbits,_ZN7rocprim17ROCPRIM_400000_NS6detail17trampoline_kernelINS0_14default_configENS1_27scan_by_key_config_selectorIssEEZZNS1_16scan_by_key_implILNS1_25lookback_scan_determinismE0ELb1ES3_N6thrust23THRUST_200600_302600_NS6detail15normal_iteratorINS9_10device_ptrIsEEEESE_SE_sNS9_4plusIvEENS9_8equal_toIvEEsEE10hipError_tPvRmT2_T3_T4_T5_mT6_T7_P12ihipStream_tbENKUlT_T0_E_clISt17integral_constantIbLb0EESY_IbLb1EEEEDaSU_SV_EUlSU_E_NS1_11comp_targetILNS1_3genE8ELNS1_11target_archE1030ELNS1_3gpuE2ELNS1_3repE0EEENS1_30default_config_static_selectorELNS0_4arch9wavefront6targetE0EEEvT1_,comdat
.Lfunc_end604:
	.size	_ZN7rocprim17ROCPRIM_400000_NS6detail17trampoline_kernelINS0_14default_configENS1_27scan_by_key_config_selectorIssEEZZNS1_16scan_by_key_implILNS1_25lookback_scan_determinismE0ELb1ES3_N6thrust23THRUST_200600_302600_NS6detail15normal_iteratorINS9_10device_ptrIsEEEESE_SE_sNS9_4plusIvEENS9_8equal_toIvEEsEE10hipError_tPvRmT2_T3_T4_T5_mT6_T7_P12ihipStream_tbENKUlT_T0_E_clISt17integral_constantIbLb0EESY_IbLb1EEEEDaSU_SV_EUlSU_E_NS1_11comp_targetILNS1_3genE8ELNS1_11target_archE1030ELNS1_3gpuE2ELNS1_3repE0EEENS1_30default_config_static_selectorELNS0_4arch9wavefront6targetE0EEEvT1_, .Lfunc_end604-_ZN7rocprim17ROCPRIM_400000_NS6detail17trampoline_kernelINS0_14default_configENS1_27scan_by_key_config_selectorIssEEZZNS1_16scan_by_key_implILNS1_25lookback_scan_determinismE0ELb1ES3_N6thrust23THRUST_200600_302600_NS6detail15normal_iteratorINS9_10device_ptrIsEEEESE_SE_sNS9_4plusIvEENS9_8equal_toIvEEsEE10hipError_tPvRmT2_T3_T4_T5_mT6_T7_P12ihipStream_tbENKUlT_T0_E_clISt17integral_constantIbLb0EESY_IbLb1EEEEDaSU_SV_EUlSU_E_NS1_11comp_targetILNS1_3genE8ELNS1_11target_archE1030ELNS1_3gpuE2ELNS1_3repE0EEENS1_30default_config_static_selectorELNS0_4arch9wavefront6targetE0EEEvT1_
                                        ; -- End function
	.set _ZN7rocprim17ROCPRIM_400000_NS6detail17trampoline_kernelINS0_14default_configENS1_27scan_by_key_config_selectorIssEEZZNS1_16scan_by_key_implILNS1_25lookback_scan_determinismE0ELb1ES3_N6thrust23THRUST_200600_302600_NS6detail15normal_iteratorINS9_10device_ptrIsEEEESE_SE_sNS9_4plusIvEENS9_8equal_toIvEEsEE10hipError_tPvRmT2_T3_T4_T5_mT6_T7_P12ihipStream_tbENKUlT_T0_E_clISt17integral_constantIbLb0EESY_IbLb1EEEEDaSU_SV_EUlSU_E_NS1_11comp_targetILNS1_3genE8ELNS1_11target_archE1030ELNS1_3gpuE2ELNS1_3repE0EEENS1_30default_config_static_selectorELNS0_4arch9wavefront6targetE0EEEvT1_.num_vgpr, 0
	.set _ZN7rocprim17ROCPRIM_400000_NS6detail17trampoline_kernelINS0_14default_configENS1_27scan_by_key_config_selectorIssEEZZNS1_16scan_by_key_implILNS1_25lookback_scan_determinismE0ELb1ES3_N6thrust23THRUST_200600_302600_NS6detail15normal_iteratorINS9_10device_ptrIsEEEESE_SE_sNS9_4plusIvEENS9_8equal_toIvEEsEE10hipError_tPvRmT2_T3_T4_T5_mT6_T7_P12ihipStream_tbENKUlT_T0_E_clISt17integral_constantIbLb0EESY_IbLb1EEEEDaSU_SV_EUlSU_E_NS1_11comp_targetILNS1_3genE8ELNS1_11target_archE1030ELNS1_3gpuE2ELNS1_3repE0EEENS1_30default_config_static_selectorELNS0_4arch9wavefront6targetE0EEEvT1_.num_agpr, 0
	.set _ZN7rocprim17ROCPRIM_400000_NS6detail17trampoline_kernelINS0_14default_configENS1_27scan_by_key_config_selectorIssEEZZNS1_16scan_by_key_implILNS1_25lookback_scan_determinismE0ELb1ES3_N6thrust23THRUST_200600_302600_NS6detail15normal_iteratorINS9_10device_ptrIsEEEESE_SE_sNS9_4plusIvEENS9_8equal_toIvEEsEE10hipError_tPvRmT2_T3_T4_T5_mT6_T7_P12ihipStream_tbENKUlT_T0_E_clISt17integral_constantIbLb0EESY_IbLb1EEEEDaSU_SV_EUlSU_E_NS1_11comp_targetILNS1_3genE8ELNS1_11target_archE1030ELNS1_3gpuE2ELNS1_3repE0EEENS1_30default_config_static_selectorELNS0_4arch9wavefront6targetE0EEEvT1_.numbered_sgpr, 0
	.set _ZN7rocprim17ROCPRIM_400000_NS6detail17trampoline_kernelINS0_14default_configENS1_27scan_by_key_config_selectorIssEEZZNS1_16scan_by_key_implILNS1_25lookback_scan_determinismE0ELb1ES3_N6thrust23THRUST_200600_302600_NS6detail15normal_iteratorINS9_10device_ptrIsEEEESE_SE_sNS9_4plusIvEENS9_8equal_toIvEEsEE10hipError_tPvRmT2_T3_T4_T5_mT6_T7_P12ihipStream_tbENKUlT_T0_E_clISt17integral_constantIbLb0EESY_IbLb1EEEEDaSU_SV_EUlSU_E_NS1_11comp_targetILNS1_3genE8ELNS1_11target_archE1030ELNS1_3gpuE2ELNS1_3repE0EEENS1_30default_config_static_selectorELNS0_4arch9wavefront6targetE0EEEvT1_.num_named_barrier, 0
	.set _ZN7rocprim17ROCPRIM_400000_NS6detail17trampoline_kernelINS0_14default_configENS1_27scan_by_key_config_selectorIssEEZZNS1_16scan_by_key_implILNS1_25lookback_scan_determinismE0ELb1ES3_N6thrust23THRUST_200600_302600_NS6detail15normal_iteratorINS9_10device_ptrIsEEEESE_SE_sNS9_4plusIvEENS9_8equal_toIvEEsEE10hipError_tPvRmT2_T3_T4_T5_mT6_T7_P12ihipStream_tbENKUlT_T0_E_clISt17integral_constantIbLb0EESY_IbLb1EEEEDaSU_SV_EUlSU_E_NS1_11comp_targetILNS1_3genE8ELNS1_11target_archE1030ELNS1_3gpuE2ELNS1_3repE0EEENS1_30default_config_static_selectorELNS0_4arch9wavefront6targetE0EEEvT1_.private_seg_size, 0
	.set _ZN7rocprim17ROCPRIM_400000_NS6detail17trampoline_kernelINS0_14default_configENS1_27scan_by_key_config_selectorIssEEZZNS1_16scan_by_key_implILNS1_25lookback_scan_determinismE0ELb1ES3_N6thrust23THRUST_200600_302600_NS6detail15normal_iteratorINS9_10device_ptrIsEEEESE_SE_sNS9_4plusIvEENS9_8equal_toIvEEsEE10hipError_tPvRmT2_T3_T4_T5_mT6_T7_P12ihipStream_tbENKUlT_T0_E_clISt17integral_constantIbLb0EESY_IbLb1EEEEDaSU_SV_EUlSU_E_NS1_11comp_targetILNS1_3genE8ELNS1_11target_archE1030ELNS1_3gpuE2ELNS1_3repE0EEENS1_30default_config_static_selectorELNS0_4arch9wavefront6targetE0EEEvT1_.uses_vcc, 0
	.set _ZN7rocprim17ROCPRIM_400000_NS6detail17trampoline_kernelINS0_14default_configENS1_27scan_by_key_config_selectorIssEEZZNS1_16scan_by_key_implILNS1_25lookback_scan_determinismE0ELb1ES3_N6thrust23THRUST_200600_302600_NS6detail15normal_iteratorINS9_10device_ptrIsEEEESE_SE_sNS9_4plusIvEENS9_8equal_toIvEEsEE10hipError_tPvRmT2_T3_T4_T5_mT6_T7_P12ihipStream_tbENKUlT_T0_E_clISt17integral_constantIbLb0EESY_IbLb1EEEEDaSU_SV_EUlSU_E_NS1_11comp_targetILNS1_3genE8ELNS1_11target_archE1030ELNS1_3gpuE2ELNS1_3repE0EEENS1_30default_config_static_selectorELNS0_4arch9wavefront6targetE0EEEvT1_.uses_flat_scratch, 0
	.set _ZN7rocprim17ROCPRIM_400000_NS6detail17trampoline_kernelINS0_14default_configENS1_27scan_by_key_config_selectorIssEEZZNS1_16scan_by_key_implILNS1_25lookback_scan_determinismE0ELb1ES3_N6thrust23THRUST_200600_302600_NS6detail15normal_iteratorINS9_10device_ptrIsEEEESE_SE_sNS9_4plusIvEENS9_8equal_toIvEEsEE10hipError_tPvRmT2_T3_T4_T5_mT6_T7_P12ihipStream_tbENKUlT_T0_E_clISt17integral_constantIbLb0EESY_IbLb1EEEEDaSU_SV_EUlSU_E_NS1_11comp_targetILNS1_3genE8ELNS1_11target_archE1030ELNS1_3gpuE2ELNS1_3repE0EEENS1_30default_config_static_selectorELNS0_4arch9wavefront6targetE0EEEvT1_.has_dyn_sized_stack, 0
	.set _ZN7rocprim17ROCPRIM_400000_NS6detail17trampoline_kernelINS0_14default_configENS1_27scan_by_key_config_selectorIssEEZZNS1_16scan_by_key_implILNS1_25lookback_scan_determinismE0ELb1ES3_N6thrust23THRUST_200600_302600_NS6detail15normal_iteratorINS9_10device_ptrIsEEEESE_SE_sNS9_4plusIvEENS9_8equal_toIvEEsEE10hipError_tPvRmT2_T3_T4_T5_mT6_T7_P12ihipStream_tbENKUlT_T0_E_clISt17integral_constantIbLb0EESY_IbLb1EEEEDaSU_SV_EUlSU_E_NS1_11comp_targetILNS1_3genE8ELNS1_11target_archE1030ELNS1_3gpuE2ELNS1_3repE0EEENS1_30default_config_static_selectorELNS0_4arch9wavefront6targetE0EEEvT1_.has_recursion, 0
	.set _ZN7rocprim17ROCPRIM_400000_NS6detail17trampoline_kernelINS0_14default_configENS1_27scan_by_key_config_selectorIssEEZZNS1_16scan_by_key_implILNS1_25lookback_scan_determinismE0ELb1ES3_N6thrust23THRUST_200600_302600_NS6detail15normal_iteratorINS9_10device_ptrIsEEEESE_SE_sNS9_4plusIvEENS9_8equal_toIvEEsEE10hipError_tPvRmT2_T3_T4_T5_mT6_T7_P12ihipStream_tbENKUlT_T0_E_clISt17integral_constantIbLb0EESY_IbLb1EEEEDaSU_SV_EUlSU_E_NS1_11comp_targetILNS1_3genE8ELNS1_11target_archE1030ELNS1_3gpuE2ELNS1_3repE0EEENS1_30default_config_static_selectorELNS0_4arch9wavefront6targetE0EEEvT1_.has_indirect_call, 0
	.section	.AMDGPU.csdata,"",@progbits
; Kernel info:
; codeLenInByte = 0
; TotalNumSgprs: 0
; NumVgprs: 0
; ScratchSize: 0
; MemoryBound: 0
; FloatMode: 240
; IeeeMode: 1
; LDSByteSize: 0 bytes/workgroup (compile time only)
; SGPRBlocks: 0
; VGPRBlocks: 0
; NumSGPRsForWavesPerEU: 1
; NumVGPRsForWavesPerEU: 1
; NamedBarCnt: 0
; Occupancy: 16
; WaveLimiterHint : 0
; COMPUTE_PGM_RSRC2:SCRATCH_EN: 0
; COMPUTE_PGM_RSRC2:USER_SGPR: 2
; COMPUTE_PGM_RSRC2:TRAP_HANDLER: 0
; COMPUTE_PGM_RSRC2:TGID_X_EN: 1
; COMPUTE_PGM_RSRC2:TGID_Y_EN: 0
; COMPUTE_PGM_RSRC2:TGID_Z_EN: 0
; COMPUTE_PGM_RSRC2:TIDIG_COMP_CNT: 0
	.section	.text._ZN7rocprim17ROCPRIM_400000_NS6detail17trampoline_kernelINS0_14default_configENS1_27scan_by_key_config_selectorIssEEZZNS1_16scan_by_key_implILNS1_25lookback_scan_determinismE0ELb1ES3_N6thrust23THRUST_200600_302600_NS6detail15normal_iteratorINS9_10device_ptrIsEEEESE_SE_sNS9_10multipliesIsEENS9_8equal_toIsEEsEE10hipError_tPvRmT2_T3_T4_T5_mT6_T7_P12ihipStream_tbENKUlT_T0_E_clISt17integral_constantIbLb0EESZ_EEDaSU_SV_EUlSU_E_NS1_11comp_targetILNS1_3genE0ELNS1_11target_archE4294967295ELNS1_3gpuE0ELNS1_3repE0EEENS1_30default_config_static_selectorELNS0_4arch9wavefront6targetE0EEEvT1_,"axG",@progbits,_ZN7rocprim17ROCPRIM_400000_NS6detail17trampoline_kernelINS0_14default_configENS1_27scan_by_key_config_selectorIssEEZZNS1_16scan_by_key_implILNS1_25lookback_scan_determinismE0ELb1ES3_N6thrust23THRUST_200600_302600_NS6detail15normal_iteratorINS9_10device_ptrIsEEEESE_SE_sNS9_10multipliesIsEENS9_8equal_toIsEEsEE10hipError_tPvRmT2_T3_T4_T5_mT6_T7_P12ihipStream_tbENKUlT_T0_E_clISt17integral_constantIbLb0EESZ_EEDaSU_SV_EUlSU_E_NS1_11comp_targetILNS1_3genE0ELNS1_11target_archE4294967295ELNS1_3gpuE0ELNS1_3repE0EEENS1_30default_config_static_selectorELNS0_4arch9wavefront6targetE0EEEvT1_,comdat
	.protected	_ZN7rocprim17ROCPRIM_400000_NS6detail17trampoline_kernelINS0_14default_configENS1_27scan_by_key_config_selectorIssEEZZNS1_16scan_by_key_implILNS1_25lookback_scan_determinismE0ELb1ES3_N6thrust23THRUST_200600_302600_NS6detail15normal_iteratorINS9_10device_ptrIsEEEESE_SE_sNS9_10multipliesIsEENS9_8equal_toIsEEsEE10hipError_tPvRmT2_T3_T4_T5_mT6_T7_P12ihipStream_tbENKUlT_T0_E_clISt17integral_constantIbLb0EESZ_EEDaSU_SV_EUlSU_E_NS1_11comp_targetILNS1_3genE0ELNS1_11target_archE4294967295ELNS1_3gpuE0ELNS1_3repE0EEENS1_30default_config_static_selectorELNS0_4arch9wavefront6targetE0EEEvT1_ ; -- Begin function _ZN7rocprim17ROCPRIM_400000_NS6detail17trampoline_kernelINS0_14default_configENS1_27scan_by_key_config_selectorIssEEZZNS1_16scan_by_key_implILNS1_25lookback_scan_determinismE0ELb1ES3_N6thrust23THRUST_200600_302600_NS6detail15normal_iteratorINS9_10device_ptrIsEEEESE_SE_sNS9_10multipliesIsEENS9_8equal_toIsEEsEE10hipError_tPvRmT2_T3_T4_T5_mT6_T7_P12ihipStream_tbENKUlT_T0_E_clISt17integral_constantIbLb0EESZ_EEDaSU_SV_EUlSU_E_NS1_11comp_targetILNS1_3genE0ELNS1_11target_archE4294967295ELNS1_3gpuE0ELNS1_3repE0EEENS1_30default_config_static_selectorELNS0_4arch9wavefront6targetE0EEEvT1_
	.globl	_ZN7rocprim17ROCPRIM_400000_NS6detail17trampoline_kernelINS0_14default_configENS1_27scan_by_key_config_selectorIssEEZZNS1_16scan_by_key_implILNS1_25lookback_scan_determinismE0ELb1ES3_N6thrust23THRUST_200600_302600_NS6detail15normal_iteratorINS9_10device_ptrIsEEEESE_SE_sNS9_10multipliesIsEENS9_8equal_toIsEEsEE10hipError_tPvRmT2_T3_T4_T5_mT6_T7_P12ihipStream_tbENKUlT_T0_E_clISt17integral_constantIbLb0EESZ_EEDaSU_SV_EUlSU_E_NS1_11comp_targetILNS1_3genE0ELNS1_11target_archE4294967295ELNS1_3gpuE0ELNS1_3repE0EEENS1_30default_config_static_selectorELNS0_4arch9wavefront6targetE0EEEvT1_
	.p2align	8
	.type	_ZN7rocprim17ROCPRIM_400000_NS6detail17trampoline_kernelINS0_14default_configENS1_27scan_by_key_config_selectorIssEEZZNS1_16scan_by_key_implILNS1_25lookback_scan_determinismE0ELb1ES3_N6thrust23THRUST_200600_302600_NS6detail15normal_iteratorINS9_10device_ptrIsEEEESE_SE_sNS9_10multipliesIsEENS9_8equal_toIsEEsEE10hipError_tPvRmT2_T3_T4_T5_mT6_T7_P12ihipStream_tbENKUlT_T0_E_clISt17integral_constantIbLb0EESZ_EEDaSU_SV_EUlSU_E_NS1_11comp_targetILNS1_3genE0ELNS1_11target_archE4294967295ELNS1_3gpuE0ELNS1_3repE0EEENS1_30default_config_static_selectorELNS0_4arch9wavefront6targetE0EEEvT1_,@function
_ZN7rocprim17ROCPRIM_400000_NS6detail17trampoline_kernelINS0_14default_configENS1_27scan_by_key_config_selectorIssEEZZNS1_16scan_by_key_implILNS1_25lookback_scan_determinismE0ELb1ES3_N6thrust23THRUST_200600_302600_NS6detail15normal_iteratorINS9_10device_ptrIsEEEESE_SE_sNS9_10multipliesIsEENS9_8equal_toIsEEsEE10hipError_tPvRmT2_T3_T4_T5_mT6_T7_P12ihipStream_tbENKUlT_T0_E_clISt17integral_constantIbLb0EESZ_EEDaSU_SV_EUlSU_E_NS1_11comp_targetILNS1_3genE0ELNS1_11target_archE4294967295ELNS1_3gpuE0ELNS1_3repE0EEENS1_30default_config_static_selectorELNS0_4arch9wavefront6targetE0EEEvT1_: ; @_ZN7rocprim17ROCPRIM_400000_NS6detail17trampoline_kernelINS0_14default_configENS1_27scan_by_key_config_selectorIssEEZZNS1_16scan_by_key_implILNS1_25lookback_scan_determinismE0ELb1ES3_N6thrust23THRUST_200600_302600_NS6detail15normal_iteratorINS9_10device_ptrIsEEEESE_SE_sNS9_10multipliesIsEENS9_8equal_toIsEEsEE10hipError_tPvRmT2_T3_T4_T5_mT6_T7_P12ihipStream_tbENKUlT_T0_E_clISt17integral_constantIbLb0EESZ_EEDaSU_SV_EUlSU_E_NS1_11comp_targetILNS1_3genE0ELNS1_11target_archE4294967295ELNS1_3gpuE0ELNS1_3repE0EEENS1_30default_config_static_selectorELNS0_4arch9wavefront6targetE0EEEvT1_
; %bb.0:
	s_clause 0x2
	s_load_b96 s[36:38], s[0:1], 0x38
	s_load_b256 s[16:23], s[0:1], 0x0
	s_load_b128 s[28:31], s[0:1], 0x48
	s_bfe_u32 s4, ttmp6, 0x4000c
	s_delay_alu instid0(SALU_CYCLE_1)
	s_add_co_i32 s4, s4, 1
	s_clause 0x1
	s_load_b32 s42, s[0:1], 0x20
	s_load_b128 s[24:27], s[0:1], 0x28
	s_and_b32 s2, ttmp6, 15
	s_wait_xcnt 0x0
	s_mul_i32 s0, ttmp9, s4
	s_getreg_b32 s5, hwreg(HW_REG_IB_STS2, 6, 4)
	s_add_co_i32 s6, s2, s0
	s_mov_b32 s3, 0
	s_barrier_signal -1
	s_mov_b32 s39, s3
	s_barrier_wait -1
	s_wait_kmcnt 0x0
	s_mov_b32 s2, s38
	s_lshl_b64 s[34:35], s[18:19], 1
	s_cmp_eq_u32 s5, 0
	s_mul_u64 s[4:5], s[36:37], s[2:3]
	s_cselect_b32 s38, ttmp9, s6
	s_add_nc_u64 s[8:9], s[28:29], -1
	s_add_nc_u64 s[4:5], s[4:5], s[38:39]
	s_mul_i32 s2, s38, 0x1400
	v_cmp_ge_u64_e64 s27, s[4:5], s[8:9]
	s_add_nc_u64 s[0:1], s[16:17], s[34:35]
	s_add_nc_u64 s[6:7], s[20:21], s[34:35]
	s_lshl_b64 s[20:21], s[2:3], 1
	s_mul_i32 s33, s8, 0xffffec00
	s_add_nc_u64 s[40:41], s[0:1], s[20:21]
	s_add_nc_u64 s[28:29], s[6:7], s[20:21]
	s_and_b32 vcc_lo, exec_lo, s27
	s_cbranch_vccz .LBB605_106
; %bb.1:
	v_mov_b32_e32 v1, 0
	s_add_co_i32 s39, s33, s26
	s_delay_alu instid0(SALU_CYCLE_1)
	v_cmp_gt_u32_e32 vcc_lo, s39, v0
	flat_load_u16 v2, v1, s[40:41]
	s_wait_loadcnt_dscnt 0x0
	v_mov_b32_e32 v3, v2
	s_and_saveexec_b32 s0, vcc_lo
	s_cbranch_execz .LBB605_3
; %bb.2:
	flat_load_u16 v3, v0, s[40:41] scale_offset
.LBB605_3:
	s_wait_xcnt 0x0
	s_or_b32 exec_lo, exec_lo, s0
	v_or_b32_e32 v1, 0x100, v0
	v_mov_b32_e32 v4, v2
	s_delay_alu instid0(VALU_DEP_2)
	v_cmp_gt_u32_e64 s0, s39, v1
	s_and_saveexec_b32 s1, s0
	s_cbranch_execz .LBB605_5
; %bb.4:
	flat_load_u16 v4, v0, s[40:41] offset:512 scale_offset
.LBB605_5:
	s_wait_xcnt 0x0
	s_or_b32 exec_lo, exec_lo, s1
	v_or_b32_e32 v1, 0x200, v0
	v_mov_b32_e32 v5, v2
	s_delay_alu instid0(VALU_DEP_2)
	v_cmp_gt_u32_e64 s1, s39, v1
	s_and_saveexec_b32 s2, s1
	s_cbranch_execz .LBB605_7
; %bb.6:
	flat_load_u16 v5, v0, s[40:41] offset:1024 scale_offset
.LBB605_7:
	;; [unrolled: 11-line block ×18, first 2 shown]
	s_wait_xcnt 0x0
	s_or_b32 exec_lo, exec_lo, s18
	v_or_b32_e32 v1, 0x1300, v0
	s_delay_alu instid0(VALU_DEP_1) | instskip(SKIP_2) | instid1(SALU_CYCLE_1)
	v_cmp_gt_u32_e64 s18, s39, v1
	v_cmp_le_u32_e64 s19, s39, v1
	s_and_saveexec_b32 s43, s19
	s_xor_b32 s19, exec_lo, s43
	s_delay_alu instid0(SALU_CYCLE_1)
	s_and_not1_saveexec_b32 s19, s19
	s_cbranch_execz .LBB605_41
; %bb.40:
	flat_load_u16 v2, v0, s[40:41] offset:9728 scale_offset
.LBB605_41:
	s_wait_xcnt 0x0
	s_or_b32 exec_lo, exec_lo, s19
	v_lshlrev_b32_e32 v1, 1, v0
	s_mov_b32 s43, exec_lo
	s_wait_loadcnt_dscnt 0x0
	ds_store_b16 v1, v3
	ds_store_b16 v1, v4 offset:512
	ds_store_b16 v1, v5 offset:1024
	ds_store_b16 v1, v6 offset:1536
	ds_store_b16 v1, v7 offset:2048
	ds_store_b16 v1, v8 offset:2560
	ds_store_b16 v1, v9 offset:3072
	ds_store_b16 v1, v10 offset:3584
	ds_store_b16 v1, v11 offset:4096
	ds_store_b16 v1, v12 offset:4608
	ds_store_b16 v1, v13 offset:5120
	ds_store_b16 v1, v14 offset:5632
	ds_store_b16 v1, v15 offset:6144
	ds_store_b16 v1, v16 offset:6656
	ds_store_b16 v1, v17 offset:7168
	ds_store_b16 v1, v18 offset:7680
	ds_store_b16 v1, v19 offset:8192
	ds_store_b16 v1, v20 offset:8704
	ds_store_b16 v1, v21 offset:9216
	ds_store_b16 v1, v2 offset:9728
	v_mov_b32_e32 v2, 0
	s_wait_dscnt 0x0
	s_barrier_signal -1
	s_barrier_wait -1
	flat_load_u16 v50, v2, s[40:41]
	v_mad_u32_u24 v51, v0, 38, v1
	ds_load_2addr_b64 v[6:9], v51 offset1:1
	s_wait_xcnt 0x0
	ds_load_2addr_b64 v[2:5], v51 offset0:2 offset1:3
	ds_load_b64 v[14:15], v51 offset:32
	v_mad_i32_i24 v10, 0xffffffda, v0, v51
	s_wait_dscnt 0x2
	ds_store_b16 v10, v6 offset:10752
	s_wait_loadcnt_dscnt 0x0
	s_barrier_signal -1
	s_barrier_wait -1
	v_cmpx_ne_u32_e32 0xff, v0
; %bb.42:
	v_mul_i32_i24_e32 v10, 0xffffffda, v0
	s_delay_alu instid0(VALU_DEP_1)
	v_add_nc_u32_e32 v10, v51, v10
	ds_load_u16 v50, v10 offset:10754
; %bb.43:
	s_or_b32 exec_lo, exec_lo, s43
	s_wait_dscnt 0x0
	s_barrier_signal -1
	s_barrier_wait -1
                                        ; implicit-def: $vgpr10
	s_and_saveexec_b32 s19, vcc_lo
	s_cbranch_execz .LBB605_164
; %bb.44:
	flat_load_u16 v10, v0, s[28:29] scale_offset
	s_wait_xcnt 0x0
	s_or_b32 exec_lo, exec_lo, s19
                                        ; implicit-def: $vgpr11
	s_and_saveexec_b32 s19, s0
	s_cbranch_execnz .LBB605_165
.LBB605_45:
	s_or_b32 exec_lo, exec_lo, s19
                                        ; implicit-def: $vgpr12
	s_and_saveexec_b32 s0, s1
	s_cbranch_execz .LBB605_166
.LBB605_46:
	flat_load_u16 v12, v0, s[28:29] offset:1024 scale_offset
	s_wait_xcnt 0x0
	s_or_b32 exec_lo, exec_lo, s0
                                        ; implicit-def: $vgpr13
	s_and_saveexec_b32 s0, s2
	s_cbranch_execnz .LBB605_167
.LBB605_47:
	s_or_b32 exec_lo, exec_lo, s0
                                        ; implicit-def: $vgpr16
	s_and_saveexec_b32 s0, s3
	s_cbranch_execz .LBB605_168
.LBB605_48:
	flat_load_u16 v16, v0, s[28:29] offset:2048 scale_offset
	s_wait_xcnt 0x0
	s_or_b32 exec_lo, exec_lo, s0
                                        ; implicit-def: $vgpr17
	s_and_saveexec_b32 s0, s4
	s_cbranch_execnz .LBB605_169
.LBB605_49:
	s_or_b32 exec_lo, exec_lo, s0
                                        ; implicit-def: $vgpr18
	s_and_saveexec_b32 s0, s5
	s_cbranch_execz .LBB605_170
.LBB605_50:
	flat_load_u16 v18, v0, s[28:29] offset:3072 scale_offset
	s_wait_xcnt 0x0
	s_or_b32 exec_lo, exec_lo, s0
                                        ; implicit-def: $vgpr19
	s_and_saveexec_b32 s0, s6
	s_cbranch_execnz .LBB605_171
.LBB605_51:
	s_or_b32 exec_lo, exec_lo, s0
                                        ; implicit-def: $vgpr20
	s_and_saveexec_b32 s0, s7
	s_cbranch_execz .LBB605_172
.LBB605_52:
	flat_load_u16 v20, v0, s[28:29] offset:4096 scale_offset
	s_wait_xcnt 0x0
	s_or_b32 exec_lo, exec_lo, s0
                                        ; implicit-def: $vgpr21
	s_and_saveexec_b32 s0, s8
	s_cbranch_execnz .LBB605_173
.LBB605_53:
	s_or_b32 exec_lo, exec_lo, s0
                                        ; implicit-def: $vgpr22
	s_and_saveexec_b32 s0, s9
	s_cbranch_execz .LBB605_174
.LBB605_54:
	flat_load_u16 v22, v0, s[28:29] offset:5120 scale_offset
	s_wait_xcnt 0x0
	s_or_b32 exec_lo, exec_lo, s0
                                        ; implicit-def: $vgpr23
	s_and_saveexec_b32 s0, s10
	s_cbranch_execnz .LBB605_175
.LBB605_55:
	s_or_b32 exec_lo, exec_lo, s0
                                        ; implicit-def: $vgpr24
	s_and_saveexec_b32 s0, s11
	s_cbranch_execz .LBB605_176
.LBB605_56:
	flat_load_u16 v24, v0, s[28:29] offset:6144 scale_offset
	s_wait_xcnt 0x0
	s_or_b32 exec_lo, exec_lo, s0
                                        ; implicit-def: $vgpr25
	s_and_saveexec_b32 s0, s12
	s_cbranch_execnz .LBB605_177
.LBB605_57:
	s_or_b32 exec_lo, exec_lo, s0
                                        ; implicit-def: $vgpr26
	s_and_saveexec_b32 s0, s13
	s_cbranch_execz .LBB605_178
.LBB605_58:
	flat_load_u16 v26, v0, s[28:29] offset:7168 scale_offset
	s_wait_xcnt 0x0
	s_or_b32 exec_lo, exec_lo, s0
                                        ; implicit-def: $vgpr27
	s_and_saveexec_b32 s0, s14
	s_cbranch_execnz .LBB605_179
.LBB605_59:
	s_or_b32 exec_lo, exec_lo, s0
                                        ; implicit-def: $vgpr28
	s_and_saveexec_b32 s0, s15
	s_cbranch_execz .LBB605_180
.LBB605_60:
	flat_load_u16 v28, v0, s[28:29] offset:8192 scale_offset
	s_wait_xcnt 0x0
	s_or_b32 exec_lo, exec_lo, s0
                                        ; implicit-def: $vgpr29
	s_and_saveexec_b32 s0, s16
	s_cbranch_execnz .LBB605_181
.LBB605_61:
	s_or_b32 exec_lo, exec_lo, s0
                                        ; implicit-def: $vgpr30
	s_and_saveexec_b32 s0, s17
	s_cbranch_execz .LBB605_63
.LBB605_62:
	flat_load_u16 v30, v0, s[28:29] offset:9216 scale_offset
.LBB605_63:
	s_wait_xcnt 0x0
	s_or_b32 exec_lo, exec_lo, s0
	v_mul_u32_u24_e32 v54, 20, v0
                                        ; implicit-def: $vgpr31
	s_and_saveexec_b32 s0, s18
	s_cbranch_execz .LBB605_65
; %bb.64:
	flat_load_u16 v31, v0, s[28:29] offset:9728 scale_offset
.LBB605_65:
	s_wait_xcnt 0x0
	s_or_b32 exec_lo, exec_lo, s0
	s_wait_loadcnt_dscnt 0x0
	ds_store_b16 v1, v10
	ds_store_b16 v1, v11 offset:512
	ds_store_b16 v1, v12 offset:1024
	;; [unrolled: 1-line block ×19, first 2 shown]
	v_cmp_gt_u32_e32 vcc_lo, s39, v54
	v_dual_mov_b32 v31, 0 :: v_dual_mov_b32 v39, 0
	v_dual_mov_b32 v55, 0 :: v_dual_mov_b32 v47, 0
	;; [unrolled: 1-line block ×18, first 2 shown]
	v_mov_b32_e32 v1, 0
	s_mov_b32 s1, 0
	s_mov_b32 s3, 0
	s_wait_dscnt 0x0
	s_barrier_signal -1
	s_barrier_wait -1
                                        ; implicit-def: $sgpr5
                                        ; implicit-def: $vgpr44
	s_and_saveexec_b32 s2, vcc_lo
	s_cbranch_execz .LBB605_105
; %bb.66:
	ds_load_u16 v1, v51
	v_dual_mov_b32 v39, 0 :: v_dual_lshrrev_b32 v40, 16, v6
	v_dual_mov_b32 v55, 0 :: v_dual_bitop2_b32 v10, 1, v54 bitop3:0x54
	v_dual_mov_b32 v47, 0 :: v_dual_mov_b32 v53, 0
	s_delay_alu instid0(VALU_DEP_3)
	v_cmp_eq_u16_e32 vcc_lo, v6, v40
	v_dual_mov_b32 v52, 0 :: v_dual_mov_b32 v49, 0
	v_dual_mov_b32 v48, 0 :: v_dual_mov_b32 v46, 0
	;; [unrolled: 1-line block ×6, first 2 shown]
	s_wait_dscnt 0x0
	v_dual_cndmask_b32 v1, s42, v1 :: v_dual_mov_b32 v34, 0
	v_mov_b32_e32 v33, 0
	v_cmp_gt_u32_e64 s0, s39, v10
	v_cndmask_b32_e64 v18, 0x10000, 0, vcc_lo
	s_delay_alu instid0(VALU_DEP_4)
	v_and_b32_e32 v31, 0xffff, v1
	v_dual_mov_b32 v10, 0 :: v_dual_mov_b32 v32, 0
	v_dual_mov_b32 v30, 0 :: v_dual_mov_b32 v29, 0
	;; [unrolled: 1-line block ×8, first 2 shown]
	v_mov_b32_e32 v1, 0
	s_mov_b32 s4, 0
                                        ; implicit-def: $sgpr5
                                        ; implicit-def: $vgpr44
	s_and_saveexec_b32 s3, s0
	s_cbranch_execz .LBB605_104
; %bb.67:
	ds_load_b128 v[10:13], v51 offset:2
	v_cmp_eq_u16_e32 vcc_lo, v40, v7
	v_dual_mov_b32 v55, 0 :: v_dual_bitop2_b32 v1, 2, v54 bitop3:0x54
	v_dual_mov_b32 v47, 0 :: v_dual_mov_b32 v53, 0
	v_dual_mov_b32 v52, 0 :: v_dual_mov_b32 v49, 0
	;; [unrolled: 1-line block ×8, first 2 shown]
	s_wait_dscnt 0x0
	v_dual_cndmask_b32 v6, s42, v10, vcc_lo :: v_dual_mov_b32 v32, 0
	v_dual_mov_b32 v30, 0 :: v_dual_mov_b32 v29, 0
	v_cmp_gt_u32_e64 s0, s39, v1
	v_cndmask_b32_e64 v39, 0x10000, 0, vcc_lo
	s_delay_alu instid0(VALU_DEP_4)
	v_and_b32_e32 v40, 0xffff, v6
	v_dual_mov_b32 v28, 0 :: v_dual_mov_b32 v27, 0
	v_dual_mov_b32 v26, 0 :: v_dual_mov_b32 v25, 0
	;; [unrolled: 1-line block ×6, first 2 shown]
	v_mov_b32_e32 v1, 0
	s_mov_b32 s6, 0
                                        ; implicit-def: $sgpr5
                                        ; implicit-def: $vgpr44
	s_and_saveexec_b32 s4, s0
	s_cbranch_execz .LBB605_103
; %bb.68:
	v_dual_lshrrev_b32 v6, 16, v7 :: v_dual_lshrrev_b32 v1, 16, v10
	v_dual_mov_b32 v47, 0 :: v_dual_mov_b32 v53, 0
	v_dual_mov_b32 v52, 0 :: v_dual_mov_b32 v49, 0
	s_delay_alu instid0(VALU_DEP_3) | instskip(SKIP_3) | instid1(VALU_DEP_3)
	v_cmp_eq_u16_e32 vcc_lo, v7, v6
	v_dual_mov_b32 v48, 0 :: v_dual_bitop2_b32 v10, 3, v54 bitop3:0x54
	v_dual_mov_b32 v46, 0 :: v_dual_mov_b32 v45, 0
	v_dual_mov_b32 v43, 0 :: v_dual_cndmask_b32 v1, s42, v1, vcc_lo
	v_cmp_gt_u32_e64 s0, s39, v10
	v_cndmask_b32_e64 v32, 0x10000, 0, vcc_lo
	v_dual_mov_b32 v42, 0 :: v_dual_mov_b32 v41, 0
	s_delay_alu instid0(VALU_DEP_4)
	v_and_b32_e32 v10, 0xffff, v1
	v_dual_mov_b32 v38, 0 :: v_dual_mov_b32 v37, 0
	v_dual_mov_b32 v36, 0 :: v_dual_mov_b32 v35, 0
	;; [unrolled: 1-line block ×10, first 2 shown]
	v_mov_b32_e32 v1, 0
	s_mov_b32 s7, 0
                                        ; implicit-def: $sgpr5
                                        ; implicit-def: $vgpr44
	s_and_saveexec_b32 s6, s0
	s_cbranch_execz .LBB605_102
; %bb.69:
	v_cmp_eq_u16_e32 vcc_lo, v6, v8
	v_dual_mov_b32 v53, 0 :: v_dual_mov_b32 v52, 0
	v_dual_mov_b32 v49, 0 :: v_dual_mov_b32 v48, 0
	v_dual_cndmask_b32 v1, s42, v11 :: v_dual_add_nc_u32 v6, 4, v54
	v_cndmask_b32_e64 v47, 0x10000, 0, vcc_lo
	v_dual_mov_b32 v46, 0 :: v_dual_mov_b32 v45, 0
	s_delay_alu instid0(VALU_DEP_3) | instskip(NEXT) | instid1(VALU_DEP_4)
	v_and_b32_e32 v30, 0xffff, v1
	v_cmp_gt_u32_e32 vcc_lo, s39, v6
	v_dual_mov_b32 v43, 0 :: v_dual_mov_b32 v42, 0
	v_dual_mov_b32 v41, 0 :: v_dual_mov_b32 v38, 0
	;; [unrolled: 1-line block ×11, first 2 shown]
	v_mov_b32_e32 v1, 0
	s_mov_b32 s0, 0
                                        ; implicit-def: $sgpr5
                                        ; implicit-def: $vgpr44
	s_and_saveexec_b32 s7, vcc_lo
	s_cbranch_execz .LBB605_101
; %bb.70:
	v_dual_lshrrev_b32 v6, 16, v8 :: v_dual_lshrrev_b32 v1, 16, v11
	v_dual_mov_b32 v52, 0 :: v_dual_mov_b32 v49, 0
	v_dual_mov_b32 v48, 0 :: v_dual_mov_b32 v46, 0
	s_delay_alu instid0(VALU_DEP_3) | instskip(SKIP_3) | instid1(VALU_DEP_3)
	v_cmp_eq_u16_e32 vcc_lo, v8, v6
	v_dual_add_nc_u32 v7, 5, v54 :: v_dual_mov_b32 v45, 0
	v_dual_mov_b32 v43, 0 :: v_dual_mov_b32 v42, 0
	v_dual_mov_b32 v41, 0 :: v_dual_cndmask_b32 v1, s42, v1, vcc_lo
	v_cmp_gt_u32_e64 s0, s39, v7
	v_cndmask_b32_e64 v29, 0x10000, 0, vcc_lo
	v_dual_mov_b32 v38, 0 :: v_dual_mov_b32 v37, 0
	s_delay_alu instid0(VALU_DEP_4)
	v_and_b32_e32 v11, 0xffff, v1
	v_dual_mov_b32 v36, 0 :: v_dual_mov_b32 v35, 0
	v_dual_mov_b32 v34, 0 :: v_dual_mov_b32 v33, 0
	;; [unrolled: 1-line block ×8, first 2 shown]
	v_mov_b32_e32 v1, 0
	s_mov_b32 s9, 0
                                        ; implicit-def: $sgpr5
                                        ; implicit-def: $vgpr44
	s_and_saveexec_b32 s8, s0
	s_cbranch_execz .LBB605_100
; %bb.71:
	v_cmp_eq_u16_e32 vcc_lo, v6, v9
	v_dual_mov_b32 v49, 0 :: v_dual_mov_b32 v48, 0
	v_dual_mov_b32 v46, 0 :: v_dual_mov_b32 v45, 0
	v_dual_cndmask_b32 v1, s42, v12 :: v_dual_add_nc_u32 v6, 6, v54
	v_cndmask_b32_e64 v52, 0x10000, 0, vcc_lo
	v_dual_mov_b32 v43, 0 :: v_dual_mov_b32 v42, 0
	s_delay_alu instid0(VALU_DEP_3) | instskip(NEXT) | instid1(VALU_DEP_4)
	v_and_b32_e32 v28, 0xffff, v1
	v_cmp_gt_u32_e32 vcc_lo, s39, v6
	v_dual_mov_b32 v41, 0 :: v_dual_mov_b32 v38, 0
	v_dual_mov_b32 v37, 0 :: v_dual_mov_b32 v36, 0
	;; [unrolled: 1-line block ×9, first 2 shown]
	v_mov_b32_e32 v1, 0
	s_mov_b32 s0, 0
                                        ; implicit-def: $sgpr5
                                        ; implicit-def: $vgpr44
	s_and_saveexec_b32 s9, vcc_lo
	s_cbranch_execz .LBB605_99
; %bb.72:
	v_dual_lshrrev_b32 v6, 16, v9 :: v_dual_lshrrev_b32 v1, 16, v12
	v_dual_mov_b32 v48, 0 :: v_dual_mov_b32 v46, 0
	v_dual_mov_b32 v45, 0 :: v_dual_mov_b32 v43, 0
	s_delay_alu instid0(VALU_DEP_3) | instskip(SKIP_3) | instid1(VALU_DEP_3)
	v_cmp_eq_u16_e32 vcc_lo, v9, v6
	v_dual_mov_b32 v42, 0 :: v_dual_add_nc_u32 v7, 7, v54
	v_dual_mov_b32 v41, 0 :: v_dual_mov_b32 v38, 0
	v_dual_mov_b32 v37, 0 :: v_dual_cndmask_b32 v1, s42, v1, vcc_lo
	v_cmp_gt_u32_e64 s0, s39, v7
	v_cndmask_b32_e64 v27, 0x10000, 0, vcc_lo
	v_dual_mov_b32 v36, 0 :: v_dual_mov_b32 v35, 0
	s_delay_alu instid0(VALU_DEP_4)
	v_and_b32_e32 v12, 0xffff, v1
	v_dual_mov_b32 v34, 0 :: v_dual_mov_b32 v33, 0
	v_dual_mov_b32 v26, 0 :: v_dual_mov_b32 v25, 0
	;; [unrolled: 1-line block ×6, first 2 shown]
	v_mov_b32_e32 v1, 0
	s_mov_b32 s11, 0
                                        ; implicit-def: $sgpr5
                                        ; implicit-def: $vgpr44
	s_and_saveexec_b32 s10, s0
	s_cbranch_execz .LBB605_98
; %bb.73:
	v_cmp_eq_u16_e32 vcc_lo, v6, v2
	v_dual_mov_b32 v46, 0 :: v_dual_mov_b32 v45, 0
	v_dual_mov_b32 v43, 0 :: v_dual_mov_b32 v42, 0
	v_dual_cndmask_b32 v1, s42, v13 :: v_dual_add_nc_u32 v6, 8, v54
	v_cndmask_b32_e64 v48, 0x10000, 0, vcc_lo
	v_dual_mov_b32 v41, 0 :: v_dual_mov_b32 v38, 0
	s_delay_alu instid0(VALU_DEP_3) | instskip(NEXT) | instid1(VALU_DEP_4)
	v_and_b32_e32 v26, 0xffff, v1
	v_cmp_gt_u32_e32 vcc_lo, s39, v6
	v_dual_mov_b32 v37, 0 :: v_dual_mov_b32 v36, 0
	v_dual_mov_b32 v35, 0 :: v_dual_mov_b32 v34, 0
	v_dual_mov_b32 v33, 0 :: v_dual_mov_b32 v25, 0
	v_dual_mov_b32 v24, 0 :: v_dual_mov_b32 v23, 0
	v_dual_mov_b32 v22, 0 :: v_dual_mov_b32 v21, 0
	v_dual_mov_b32 v20, 0 :: v_dual_mov_b32 v19, 0
	v_dual_mov_b32 v17, 0 :: v_dual_mov_b32 v16, 0
	v_mov_b32_e32 v1, 0
	s_mov_b32 s0, 0
                                        ; implicit-def: $sgpr5
                                        ; implicit-def: $vgpr44
	s_and_saveexec_b32 s11, vcc_lo
	s_cbranch_execz .LBB605_97
; %bb.74:
	v_dual_lshrrev_b32 v25, 16, v2 :: v_dual_lshrrev_b32 v1, 16, v13
	v_dual_mov_b32 v45, 0 :: v_dual_mov_b32 v43, 0
	v_dual_mov_b32 v42, 0 :: v_dual_mov_b32 v41, 0
	s_delay_alu instid0(VALU_DEP_3) | instskip(SKIP_3) | instid1(VALU_DEP_3)
	v_cmp_eq_u16_e32 vcc_lo, v2, v25
	v_dual_add_nc_u32 v6, 9, v54 :: v_dual_mov_b32 v38, 0
	v_dual_mov_b32 v37, 0 :: v_dual_mov_b32 v36, 0
	v_dual_mov_b32 v35, 0 :: v_dual_cndmask_b32 v1, s42, v1, vcc_lo
	v_cmp_gt_u32_e64 s0, s39, v6
	v_cndmask_b32_e64 v13, 0x10000, 0, vcc_lo
	v_dual_mov_b32 v34, 0 :: v_dual_mov_b32 v33, 0
	s_delay_alu instid0(VALU_DEP_4)
	v_and_b32_e32 v2, 0xffff, v1
	v_dual_mov_b32 v24, 0 :: v_dual_mov_b32 v23, 0
	v_dual_mov_b32 v22, 0 :: v_dual_mov_b32 v21, 0
	;; [unrolled: 1-line block ×4, first 2 shown]
	v_mov_b32_e32 v1, 0
	s_mov_b32 s13, 0
                                        ; implicit-def: $sgpr5
                                        ; implicit-def: $vgpr44
	s_and_saveexec_b32 s12, s0
	s_cbranch_execz .LBB605_96
; %bb.75:
	ds_load_b128 v[6:9], v51 offset:18
	v_cmp_eq_u16_e32 vcc_lo, v25, v3
	v_dual_mov_b32 v43, 0 :: v_dual_add_nc_u32 v1, 10, v54
	v_dual_mov_b32 v19, 0 :: v_dual_mov_b32 v42, 0
	v_dual_mov_b32 v41, 0 :: v_dual_mov_b32 v38, 0
	;; [unrolled: 1-line block ×7, first 2 shown]
	v_mov_b32_e32 v16, 0
	v_cmp_gt_u32_e64 s0, s39, v1
	s_wait_dscnt 0x0
	v_cndmask_b32_e32 v25, s42, v6, vcc_lo
	v_cndmask_b32_e64 v24, 0x10000, 0, vcc_lo
	v_mov_b32_e32 v1, 0
	s_mov_b32 s14, 0
                                        ; implicit-def: $sgpr5
                                        ; implicit-def: $vgpr44
	s_delay_alu instid0(VALU_DEP_3)
	v_and_b32_e32 v25, 0xffff, v25
	s_and_saveexec_b32 s13, s0
	s_cbranch_execz .LBB605_95
; %bb.76:
	v_dual_lshrrev_b32 v23, 16, v3 :: v_dual_lshrrev_b32 v1, 16, v6
	v_dual_mov_b32 v42, 0 :: v_dual_mov_b32 v41, 0
	v_dual_mov_b32 v38, 0 :: v_dual_mov_b32 v37, 0
	s_delay_alu instid0(VALU_DEP_3) | instskip(SKIP_3) | instid1(VALU_DEP_3)
	v_cmp_eq_u16_e32 vcc_lo, v3, v23
	v_dual_add_nc_u32 v6, 11, v54 :: v_dual_mov_b32 v36, 0
	v_dual_mov_b32 v35, 0 :: v_dual_mov_b32 v34, 0
	v_dual_mov_b32 v33, 0 :: v_dual_cndmask_b32 v1, s42, v1, vcc_lo
	v_cmp_gt_u32_e64 s0, s39, v6
	v_cndmask_b32_e64 v6, 0x10000, 0, vcc_lo
	v_dual_mov_b32 v22, 0 :: v_dual_mov_b32 v21, 0
	s_delay_alu instid0(VALU_DEP_4)
	v_and_b32_e32 v3, 0xffff, v1
	v_dual_mov_b32 v20, 0 :: v_dual_mov_b32 v19, 0
	v_dual_mov_b32 v17, 0 :: v_dual_mov_b32 v16, 0
	v_mov_b32_e32 v1, 0
	s_mov_b32 s15, 0
                                        ; implicit-def: $sgpr5
                                        ; implicit-def: $vgpr44
	s_and_saveexec_b32 s14, s0
	s_cbranch_execz .LBB605_94
; %bb.77:
	v_cmp_eq_u16_e32 vcc_lo, v23, v4
	v_dual_mov_b32 v41, 0 :: v_dual_mov_b32 v38, 0
	v_dual_mov_b32 v37, 0 :: v_dual_mov_b32 v36, 0
	v_dual_cndmask_b32 v1, s42, v7 :: v_dual_add_nc_u32 v16, 12, v54
	v_cndmask_b32_e64 v23, 0x10000, 0, vcc_lo
	v_dual_mov_b32 v35, 0 :: v_dual_mov_b32 v34, 0
	s_delay_alu instid0(VALU_DEP_3) | instskip(NEXT) | instid1(VALU_DEP_4)
	v_and_b32_e32 v22, 0xffff, v1
	v_cmp_gt_u32_e32 vcc_lo, s39, v16
	v_dual_mov_b32 v33, 0 :: v_dual_mov_b32 v21, 0
	v_dual_mov_b32 v20, 0 :: v_dual_mov_b32 v19, 0
	;; [unrolled: 1-line block ×3, first 2 shown]
	v_mov_b32_e32 v1, 0
	s_mov_b32 s0, 0
                                        ; implicit-def: $sgpr5
                                        ; implicit-def: $vgpr44
	s_and_saveexec_b32 s15, vcc_lo
	s_cbranch_execz .LBB605_93
; %bb.78:
	v_dual_lshrrev_b32 v21, 16, v4 :: v_dual_lshrrev_b32 v1, 16, v7
	v_dual_mov_b32 v38, 0 :: v_dual_mov_b32 v37, 0
	v_dual_mov_b32 v36, 0 :: v_dual_mov_b32 v35, 0
	s_delay_alu instid0(VALU_DEP_3) | instskip(SKIP_3) | instid1(VALU_DEP_3)
	v_cmp_eq_u16_e32 vcc_lo, v4, v21
	v_dual_mov_b32 v34, 0 :: v_dual_add_nc_u32 v7, 13, v54
	v_dual_mov_b32 v33, 0 :: v_dual_mov_b32 v20, 0
	v_dual_mov_b32 v19, 0 :: v_dual_cndmask_b32 v1, s42, v1, vcc_lo
	v_cmp_gt_u32_e64 s0, s39, v7
	v_cndmask_b32_e64 v7, 0x10000, 0, vcc_lo
	v_dual_mov_b32 v17, 0 :: v_dual_mov_b32 v16, 0
	s_delay_alu instid0(VALU_DEP_4)
	v_and_b32_e32 v4, 0xffff, v1
	v_mov_b32_e32 v1, 0
	s_mov_b32 s17, 0
                                        ; implicit-def: $sgpr5
                                        ; implicit-def: $vgpr44
	s_and_saveexec_b32 s16, s0
	s_cbranch_execz .LBB605_92
; %bb.79:
	v_cmp_eq_u16_e32 vcc_lo, v21, v5
	v_dual_mov_b32 v37, 0 :: v_dual_mov_b32 v36, 0
	v_dual_mov_b32 v35, 0 :: v_dual_mov_b32 v34, 0
	v_dual_cndmask_b32 v1, s42, v8 :: v_dual_add_nc_u32 v16, 14, v54
	v_cndmask_b32_e64 v21, 0x10000, 0, vcc_lo
	v_dual_mov_b32 v33, 0 :: v_dual_mov_b32 v19, 0
	s_delay_alu instid0(VALU_DEP_3) | instskip(NEXT) | instid1(VALU_DEP_4)
	v_and_b32_e32 v20, 0xffff, v1
	v_cmp_gt_u32_e32 vcc_lo, s39, v16
	v_dual_mov_b32 v17, 0 :: v_dual_mov_b32 v16, 0
	v_mov_b32_e32 v1, 0
	s_mov_b32 s0, 0
                                        ; implicit-def: $sgpr5
                                        ; implicit-def: $vgpr44
	s_and_saveexec_b32 s17, vcc_lo
	s_cbranch_execz .LBB605_91
; %bb.80:
	v_dual_lshrrev_b32 v19, 16, v5 :: v_dual_lshrrev_b32 v1, 16, v8
	v_dual_mov_b32 v36, 0 :: v_dual_mov_b32 v35, 0
	v_dual_mov_b32 v34, 0 :: v_dual_mov_b32 v33, 0
	s_delay_alu instid0(VALU_DEP_3) | instskip(SKIP_4) | instid1(VALU_DEP_3)
	v_cmp_eq_u16_e32 vcc_lo, v5, v19
	v_dual_mov_b32 v17, 0 :: v_dual_add_nc_u32 v8, 15, v54
	v_mov_b32_e32 v16, 0
	s_mov_b32 s19, 0
	v_cndmask_b32_e32 v1, s42, v1, vcc_lo
	v_cmp_gt_u32_e64 s0, s39, v8
	v_cndmask_b32_e64 v8, 0x10000, 0, vcc_lo
                                        ; implicit-def: $sgpr5
                                        ; implicit-def: $vgpr44
	s_delay_alu instid0(VALU_DEP_3)
	v_and_b32_e32 v5, 0xffff, v1
	v_mov_b32_e32 v1, 0
	s_and_saveexec_b32 s18, s0
	s_cbranch_execz .LBB605_90
; %bb.81:
	v_cmp_eq_u16_e32 vcc_lo, v19, v14
	v_dual_mov_b32 v35, 0 :: v_dual_mov_b32 v34, 0
	v_mov_b32_e32 v33, 0
	s_mov_b32 s0, 0
	v_dual_cndmask_b32 v1, s42, v9 :: v_dual_add_nc_u32 v16, 16, v54
	v_cndmask_b32_e64 v19, 0x10000, 0, vcc_lo
                                        ; implicit-def: $sgpr5
                                        ; implicit-def: $vgpr44
	s_delay_alu instid0(VALU_DEP_2) | instskip(NEXT) | instid1(VALU_DEP_3)
	v_and_b32_e32 v17, 0xffff, v1
	v_cmp_gt_u32_e32 vcc_lo, s39, v16
	v_dual_mov_b32 v16, 0 :: v_dual_mov_b32 v1, 0
	s_and_saveexec_b32 s19, vcc_lo
	s_cbranch_execz .LBB605_89
; %bb.82:
	v_dual_lshrrev_b32 v16, 16, v14 :: v_dual_lshrrev_b32 v1, 16, v9
	v_dual_mov_b32 v34, 0 :: v_dual_mov_b32 v33, 0
	s_mov_b32 s44, 0
	s_delay_alu instid0(VALU_DEP_2) | instskip(SKIP_2) | instid1(VALU_DEP_2)
	v_cmp_eq_u16_e32 vcc_lo, v14, v16
	v_add_nc_u32_e32 v9, 17, v54
                                        ; implicit-def: $sgpr5
                                        ; implicit-def: $vgpr44
	v_cndmask_b32_e32 v1, s42, v1, vcc_lo
	v_cmp_gt_u32_e64 s0, s39, v9
	v_cndmask_b32_e64 v14, 0x10000, 0, vcc_lo
	s_delay_alu instid0(VALU_DEP_3)
	v_and_b32_e32 v9, 0xffff, v1
	v_mov_b32_e32 v1, 0
	s_and_saveexec_b32 s43, s0
	s_cbranch_execz .LBB605_88
; %bb.83:
	ds_load_u16 v1, v51 offset:34
	v_cmp_eq_u16_e32 vcc_lo, v16, v15
	v_mov_b32_e32 v33, 0
	s_mov_b32 s0, exec_lo
                                        ; implicit-def: $sgpr5
                                        ; implicit-def: $vgpr44
	s_wait_dscnt 0x0
	v_dual_add_nc_u32 v34, 18, v54 :: v_dual_cndmask_b32 v16, s42, v1, vcc_lo
	v_cndmask_b32_e64 v1, 0x10000, 0, vcc_lo
	s_delay_alu instid0(VALU_DEP_2) | instskip(NEXT) | instid1(VALU_DEP_3)
	v_and_b32_e32 v16, 0xffff, v16
	v_cmpx_gt_u32_e64 s39, v34
	s_cbranch_execz .LBB605_87
; %bb.84:
	ds_load_b32 v34, v51 offset:36
	v_dual_lshrrev_b32 v35, 16, v15 :: v_dual_add_nc_u32 v36, 19, v54
                                        ; implicit-def: $sgpr5
                                        ; implicit-def: $vgpr44
	s_delay_alu instid0(VALU_DEP_1)
	v_cmp_eq_u16_e32 vcc_lo, v15, v35
	v_cndmask_b32_e64 v15, 0x10000, 0, vcc_lo
	s_wait_dscnt 0x0
	v_cndmask_b32_e32 v33, s42, v34, vcc_lo
	v_cmp_gt_u32_e32 vcc_lo, s39, v36
	s_mov_b32 s39, 0
	s_delay_alu instid0(VALU_DEP_2) | instskip(SKIP_1) | instid1(SALU_CYCLE_1)
	v_and_b32_e32 v33, 0xffff, v33
	s_and_saveexec_b32 s44, vcc_lo
	s_xor_b32 s44, exec_lo, s44
; %bb.85:
	v_lshrrev_b32_e32 v34, 16, v34
	v_cmp_ne_u16_e64 s5, v35, v50
	s_mov_b32 s39, exec_lo
	v_cndmask_b32_e64 v44, v34, s42, s5
; %bb.86:
	s_or_b32 exec_lo, exec_lo, s44
	v_or_b32_e32 v33, v15, v33
	s_and_b32 s44, s39, exec_lo
.LBB605_87:
	s_or_b32 exec_lo, exec_lo, s0
	s_delay_alu instid0(VALU_DEP_2) | instskip(NEXT) | instid1(VALU_DEP_2)
	v_or_b32_e32 v34, v1, v16
	v_mov_b32_e32 v1, v33
	s_and_b32 s44, s44, exec_lo
.LBB605_88:
	s_or_b32 exec_lo, exec_lo, s43
	v_or_b32_e32 v35, v14, v9
	v_mov_b32_e32 v16, v34
	s_and_b32 s0, s44, exec_lo
.LBB605_89:
	s_or_b32 exec_lo, exec_lo, s19
	v_or_b32_e32 v36, v19, v17
	v_mov_b32_e32 v17, v35
	s_and_b32 s19, s0, exec_lo
.LBB605_90:
	s_or_b32 exec_lo, exec_lo, s18
	v_or_b32_e32 v37, v8, v5
	v_mov_b32_e32 v19, v36
	s_and_b32 s0, s19, exec_lo
.LBB605_91:
	s_or_b32 exec_lo, exec_lo, s17
	v_or_b32_e32 v38, v21, v20
	v_mov_b32_e32 v20, v37
	s_and_b32 s17, s0, exec_lo
.LBB605_92:
	s_or_b32 exec_lo, exec_lo, s16
	s_delay_alu instid0(VALU_DEP_2)
	v_dual_mov_b32 v21, v38 :: v_dual_bitop2_b32 v41, v7, v4 bitop3:0x54
	s_and_b32 s0, s17, exec_lo
.LBB605_93:
	s_or_b32 exec_lo, exec_lo, s15
	s_delay_alu instid0(VALU_DEP_1)
	v_dual_mov_b32 v22, v41 :: v_dual_bitop2_b32 v42, v23, v22 bitop3:0x54
	s_and_b32 s15, s0, exec_lo
.LBB605_94:
	s_or_b32 exec_lo, exec_lo, s14
	v_or_b32_e32 v43, v6, v3
	s_delay_alu instid0(VALU_DEP_2)
	v_mov_b32_e32 v23, v42
	s_and_b32 s14, s15, exec_lo
.LBB605_95:
	s_or_b32 exec_lo, exec_lo, s13
	s_delay_alu instid0(VALU_DEP_1)
	v_dual_mov_b32 v24, v43 :: v_dual_bitop2_b32 v45, v24, v25 bitop3:0x54
	s_and_b32 s13, s14, exec_lo
.LBB605_96:
	s_or_b32 exec_lo, exec_lo, s12
	v_or_b32_e32 v46, v13, v2
	s_delay_alu instid0(VALU_DEP_2)
	v_mov_b32_e32 v25, v45
	s_and_b32 s0, s13, exec_lo
.LBB605_97:
	s_or_b32 exec_lo, exec_lo, s11
	s_delay_alu instid0(VALU_DEP_2)
	v_dual_mov_b32 v26, v46 :: v_dual_bitop2_b32 v48, v48, v26 bitop3:0x54
	s_and_b32 s11, s0, exec_lo
.LBB605_98:
	s_or_b32 exec_lo, exec_lo, s10
	s_delay_alu instid0(VALU_DEP_1)
	v_dual_mov_b32 v27, v48 :: v_dual_bitop2_b32 v49, v27, v12 bitop3:0x54
	s_and_b32 s0, s11, exec_lo
.LBB605_99:
	s_or_b32 exec_lo, exec_lo, s9
	s_delay_alu instid0(VALU_DEP_1)
	v_dual_mov_b32 v28, v49 :: v_dual_bitop2_b32 v52, v52, v28 bitop3:0x54
	s_and_b32 s9, s0, exec_lo
.LBB605_100:
	s_or_b32 exec_lo, exec_lo, s8
	s_delay_alu instid0(VALU_DEP_1)
	v_dual_mov_b32 v29, v52 :: v_dual_bitop2_b32 v53, v29, v11 bitop3:0x54
	s_and_b32 s0, s9, exec_lo
.LBB605_101:
	s_or_b32 exec_lo, exec_lo, s7
	s_delay_alu instid0(VALU_DEP_1)
	v_dual_mov_b32 v30, v53 :: v_dual_bitop2_b32 v47, v47, v30 bitop3:0x54
	s_and_b32 s7, s0, exec_lo
.LBB605_102:
	s_or_b32 exec_lo, exec_lo, s6
	s_delay_alu instid0(VALU_DEP_1)
	v_dual_mov_b32 v32, v47 :: v_dual_bitop2_b32 v55, v32, v10 bitop3:0x54
	s_and_b32 s6, s7, exec_lo
.LBB605_103:
	s_or_b32 exec_lo, exec_lo, s4
	v_or_b32_e32 v39, v39, v40
	s_delay_alu instid0(VALU_DEP_2)
	v_mov_b32_e32 v10, v55
	s_and_b32 s4, s6, exec_lo
.LBB605_104:
	s_or_b32 exec_lo, exec_lo, s3
	s_delay_alu instid0(VALU_DEP_2)
	v_dual_mov_b32 v11, v39 :: v_dual_bitop2_b32 v31, v18, v31 bitop3:0x54
	s_and_b32 s3, s4, exec_lo
.LBB605_105:
	s_or_b32 exec_lo, exec_lo, s2
	v_lshlrev_b32_e32 v18, 1, v0
	s_and_b32 vcc_lo, exec_lo, s1
	s_cbranch_vccnz .LBB605_107
	s_branch .LBB605_112
.LBB605_106:
                                        ; implicit-def: $sgpr5
                                        ; implicit-def: $vgpr44
                                        ; implicit-def: $vgpr31
                                        ; implicit-def: $vgpr39
                                        ; implicit-def: $vgpr55
                                        ; implicit-def: $vgpr47
                                        ; implicit-def: $vgpr53
                                        ; implicit-def: $vgpr52
                                        ; implicit-def: $vgpr49
                                        ; implicit-def: $vgpr48
                                        ; implicit-def: $vgpr46
                                        ; implicit-def: $vgpr45
                                        ; implicit-def: $vgpr43
                                        ; implicit-def: $vgpr42
                                        ; implicit-def: $vgpr41
                                        ; implicit-def: $vgpr38
                                        ; implicit-def: $vgpr37
                                        ; implicit-def: $vgpr36
                                        ; implicit-def: $vgpr35
                                        ; implicit-def: $vgpr34
                                        ; implicit-def: $vgpr33
                                        ; implicit-def: $vgpr11
                                        ; implicit-def: $vgpr10
                                        ; implicit-def: $vgpr32
                                        ; implicit-def: $vgpr30
                                        ; implicit-def: $vgpr29
                                        ; implicit-def: $vgpr28
                                        ; implicit-def: $vgpr27
                                        ; implicit-def: $vgpr26
                                        ; implicit-def: $vgpr25
                                        ; implicit-def: $vgpr24
                                        ; implicit-def: $vgpr23
                                        ; implicit-def: $vgpr22
                                        ; implicit-def: $vgpr21
                                        ; implicit-def: $vgpr20
                                        ; implicit-def: $vgpr19
                                        ; implicit-def: $vgpr17
                                        ; implicit-def: $vgpr16
                                        ; implicit-def: $vgpr1
	v_lshlrev_b32_e32 v18, 1, v0
	s_cbranch_execz .LBB605_112
.LBB605_107:
	s_clause 0x13
	flat_load_u16 v1, v0, s[40:41] scale_offset
	flat_load_u16 v2, v0, s[40:41] offset:512 scale_offset
	flat_load_u16 v3, v0, s[40:41] offset:1024 scale_offset
	;; [unrolled: 1-line block ×19, first 2 shown]
	v_mov_b32_e32 v22, 0
	v_mad_u32_u24 v23, v0, 38, v18
	s_mov_b32 s0, exec_lo
	s_wait_loadcnt_dscnt 0x1313
	ds_store_b16 v18, v1
	s_wait_loadcnt_dscnt 0x1213
	ds_store_b16 v18, v2 offset:512
	s_wait_loadcnt_dscnt 0x1113
	ds_store_b16 v18, v3 offset:1024
	;; [unrolled: 2-line block ×19, first 2 shown]
	s_wait_dscnt 0x0
	s_barrier_signal -1
	s_barrier_wait -1
	flat_load_u16 v1, v22, s[40:41] offset:10240
	ds_load_2addr_b64 v[6:9], v23 offset1:1
	ds_load_2addr_b64 v[2:5], v23 offset0:2 offset1:3
	ds_load_b64 v[20:21], v23 offset:32
	v_mad_i32_i24 v10, 0xffffffda, v0, v23
	s_wait_dscnt 0x2
	ds_store_b16 v10, v6 offset:10752
	s_wait_loadcnt_dscnt 0x0
	s_barrier_signal -1
	s_barrier_wait -1
	v_cmpx_ne_u32_e32 0xff, v0
; %bb.108:
	v_mul_i32_i24_e32 v1, 0xffffffda, v0
	s_delay_alu instid0(VALU_DEP_1)
	v_add_nc_u32_e32 v1, v23, v1
	ds_load_u16 v1, v1 offset:10754
; %bb.109:
	s_or_b32 exec_lo, exec_lo, s0
	s_wait_dscnt 0x0
	s_barrier_signal -1
	s_barrier_wait -1
	s_clause 0x13
	flat_load_u16 v10, v0, s[28:29] scale_offset
	flat_load_u16 v11, v0, s[28:29] offset:512 scale_offset
	flat_load_u16 v12, v0, s[28:29] offset:1024 scale_offset
	;; [unrolled: 1-line block ×19, first 2 shown]
	s_wait_loadcnt_dscnt 0x1313
	ds_store_b16 v18, v10
	s_wait_loadcnt_dscnt 0x1213
	ds_store_b16 v18, v11 offset:512
	s_wait_loadcnt_dscnt 0x1113
	ds_store_b16 v18, v12 offset:1024
	;; [unrolled: 2-line block ×19, first 2 shown]
	s_wait_dscnt 0x0
	s_barrier_signal -1
	s_barrier_wait -1
	ds_load_b128 v[14:17], v23 offset:2
	ds_load_b128 v[10:13], v23 offset:18
	ds_load_u16 v22, v23 offset:34
	ds_load_b32 v19, v23 offset:36
	v_dual_mov_b32 v24, s42 :: v_dual_lshrrev_b32 v25, 16, v6
	s_delay_alu instid0(VALU_DEP_1)
	v_cmp_eq_u16_e32 vcc_lo, v6, v25
	v_mov_b32_e32 v6, 0x10000
	s_and_saveexec_b32 s0, vcc_lo
; %bb.110:
	ds_load_u16 v24, v23
	v_mov_b32_e32 v6, 0
; %bb.111:
	s_or_b32 exec_lo, exec_lo, s0
	v_dual_lshrrev_b32 v31, 16, v7 :: v_dual_lshrrev_b32 v35, 16, v8
	v_cmp_eq_u16_e32 vcc_lo, v25, v7
	s_wait_dscnt 0x3
	v_dual_lshrrev_b32 v23, 16, v21 :: v_dual_lshrrev_b32 v26, 16, v14
	v_lshrrev_b32_e32 v38, 16, v3
	v_cmp_eq_u16_e64 s0, v31, v8
	v_cndmask_b32_e32 v14, s42, v14, vcc_lo
	v_cndmask_b32_e64 v39, 0x10000, 0, vcc_lo
	v_cmp_eq_u16_e32 vcc_lo, v7, v31
	v_dual_lshrrev_b32 v27, 16, v15 :: v_dual_lshrrev_b32 v28, 16, v16
	v_lshrrev_b32_e32 v44, 16, v20
	s_wait_dscnt 0x0
	v_and_b32_e32 v24, 0xffff, v24
	v_and_b32_e32 v14, 0xffff, v14
	v_cndmask_b32_e32 v7, s42, v26, vcc_lo
	v_dual_cndmask_b32 v15, s42, v15, s0 :: v_dual_lshrrev_b32 v36, 16, v9
	s_delay_alu instid0(VALU_DEP_4) | instskip(NEXT) | instid1(VALU_DEP_3)
	v_dual_lshrrev_b32 v37, 16, v2 :: v_dual_bitop2_b32 v31, v6, v24 bitop3:0x54
	v_and_b32_e32 v6, 0xffff, v7
	v_cndmask_b32_e64 v7, 0x10000, 0, vcc_lo
	v_cmp_eq_u16_e32 vcc_lo, v8, v35
	v_or_b32_e32 v39, v39, v14
	v_and_b32_e32 v14, 0xffff, v15
	v_cndmask_b32_e64 v15, 0x10000, 0, s0
	v_cmp_eq_u16_e64 s0, v35, v9
	v_dual_cndmask_b32 v8, s42, v27, vcc_lo :: v_dual_bitop2_b32 v55, v7, v6 bitop3:0x54
	v_cndmask_b32_e64 v7, 0x10000, 0, vcc_lo
	v_cmp_eq_u16_e32 vcc_lo, v9, v36
	s_delay_alu instid0(VALU_DEP_4) | instskip(SKIP_3) | instid1(VALU_DEP_4)
	v_dual_cndmask_b32 v16, s42, v16, s0 :: v_dual_bitop2_b32 v47, v15, v14 bitop3:0x54
	v_cndmask_b32_e64 v14, 0x10000, 0, s0
	v_cmp_eq_u16_e64 s0, v36, v2
	v_and_b32_e32 v6, 0xffff, v8
	v_and_b32_e32 v8, 0xffff, v16
	v_dual_cndmask_b32 v9, s42, v28, vcc_lo :: v_dual_lshrrev_b32 v29, 16, v17
	s_delay_alu instid0(VALU_DEP_4) | instskip(NEXT) | instid1(VALU_DEP_4)
	v_dual_lshrrev_b32 v30, 16, v10 :: v_dual_cndmask_b32 v15, s42, v17, s0
	v_or_b32_e32 v53, v7, v6
	s_delay_alu instid0(VALU_DEP_3)
	v_and_b32_e32 v6, 0xffff, v9
	v_cndmask_b32_e64 v7, 0x10000, 0, vcc_lo
	v_cndmask_b32_e64 v9, 0x10000, 0, s0
	v_cmp_eq_u16_e32 vcc_lo, v2, v37
	v_or_b32_e32 v52, v14, v8
	v_and_b32_e32 v8, 0xffff, v15
	v_cmp_eq_u16_e64 s0, v37, v3
	v_dual_lshrrev_b32 v25, 16, v4 :: v_dual_lshrrev_b32 v41, 16, v5
	s_delay_alu instid0(VALU_DEP_3) | instskip(NEXT) | instid1(VALU_DEP_3)
	v_dual_cndmask_b32 v2, s42, v29, vcc_lo :: v_dual_bitop2_b32 v48, v9, v8 bitop3:0x54
	v_cndmask_b32_e64 v10, s42, v10, s0
	v_cndmask_b32_e64 v8, 0x10000, 0, s0
	v_cmp_eq_u16_e64 s0, v38, v4
	v_or_b32_e32 v49, v7, v6
	v_cndmask_b32_e64 v6, 0x10000, 0, vcc_lo
	v_cmp_eq_u16_e32 vcc_lo, v3, v38
	v_and_b32_e32 v2, 0xffff, v2
	v_and_b32_e32 v7, 0xffff, v10
	v_dual_lshrrev_b32 v32, 16, v11 :: v_dual_lshrrev_b32 v33, 16, v12
	v_cndmask_b32_e32 v3, s42, v30, vcc_lo
	s_delay_alu instid0(VALU_DEP_4) | instskip(NEXT) | instid1(VALU_DEP_4)
	v_dual_cndmask_b32 v9, s42, v11, s0 :: v_dual_bitop2_b32 v46, v6, v2 bitop3:0x54
	v_or_b32_e32 v45, v8, v7
	v_cndmask_b32_e64 v7, 0x10000, 0, s0
	s_delay_alu instid0(VALU_DEP_4)
	v_and_b32_e32 v2, 0xffff, v3
	v_cndmask_b32_e64 v3, 0x10000, 0, vcc_lo
	v_cmp_eq_u16_e32 vcc_lo, v4, v25
	v_cmp_eq_u16_e64 s0, v25, v5
	v_and_b32_e32 v6, 0xffff, v9
	v_dual_lshrrev_b32 v34, 16, v13 :: v_dual_lshrrev_b32 v40, 16, v19
	v_cndmask_b32_e32 v4, s42, v32, vcc_lo
	s_delay_alu instid0(VALU_DEP_4)
	v_dual_cndmask_b32 v8, s42, v12, s0 :: v_dual_bitop2_b32 v43, v3, v2 bitop3:0x54
	v_cndmask_b32_e64 v3, 0x10000, 0, vcc_lo
	v_cmp_eq_u16_e32 vcc_lo, v5, v41
	v_or_b32_e32 v42, v7, v6
	v_and_b32_e32 v2, 0xffff, v4
	v_cndmask_b32_e64 v6, 0x10000, 0, s0
	v_cmp_eq_u16_e64 s0, v41, v20
	v_cndmask_b32_e32 v5, s42, v33, vcc_lo
	v_and_b32_e32 v4, 0xffff, v8
	v_or_b32_e32 v41, v3, v2
	v_cndmask_b32_e64 v3, 0x10000, 0, vcc_lo
	v_cndmask_b32_e64 v7, s42, v13, s0
	v_and_b32_e32 v2, 0xffff, v5
	v_cndmask_b32_e64 v5, 0x10000, 0, s0
	v_cmp_eq_u16_e32 vcc_lo, v20, v44
	v_cmp_eq_u16_e64 s0, v44, v21
	v_cmp_eq_u16_e64 s1, v21, v23
	v_or_b32_e32 v38, v6, v4
	v_and_b32_e32 v4, 0xffff, v7
	v_cndmask_b32_e32 v6, s42, v34, vcc_lo
	v_cndmask_b32_e64 v7, s42, v22, s0
	v_dual_cndmask_b32 v8, s42, v19, s1 :: v_dual_bitop2_b32 v37, v3, v2 bitop3:0x54
	v_cndmask_b32_e64 v9, 0x10000, 0, vcc_lo
	s_delay_alu instid0(VALU_DEP_4) | instskip(SKIP_1) | instid1(VALU_DEP_4)
	v_and_b32_e32 v6, 0xffff, v6
	v_cndmask_b32_e64 v10, 0x10000, 0, s0
	v_and_b32_e32 v8, 0xffff, v8
	v_cndmask_b32_e64 v11, 0x10000, 0, s1
	v_or_b32_e32 v36, v5, v4
	v_and_b32_e32 v7, 0xffff, v7
	v_or_b32_e32 v35, v9, v6
	v_cmp_ne_u16_e64 s5, v23, v1
	v_dual_mov_b32 v30, v53 :: v_dual_bitop2_b32 v33, v11, v8 bitop3:0x54
	s_delay_alu instid0(VALU_DEP_4) | instskip(NEXT) | instid1(VALU_DEP_3)
	v_dual_mov_b32 v10, v55 :: v_dual_bitop2_b32 v34, v10, v7 bitop3:0x54
	v_cndmask_b32_e64 v44, v40, s42, s5
	v_dual_mov_b32 v11, v39 :: v_dual_mov_b32 v32, v47
	v_dual_mov_b32 v29, v52 :: v_dual_mov_b32 v28, v49
	;; [unrolled: 1-line block ×8, first 2 shown]
	s_mov_b32 s3, -1
.LBB605_112:
	v_mov_b32_e32 v12, 0
	s_and_saveexec_b32 s0, s3
	s_cbranch_execz .LBB605_114
; %bb.113:
	v_and_b32_e32 v2, 0xffff, v44
	v_cndmask_b32_e64 v3, 0, 0x10000, s5
	v_dual_mov_b32 v1, v33 :: v_dual_mov_b32 v16, v34
	v_dual_mov_b32 v17, v35 :: v_dual_mov_b32 v19, v36
	s_delay_alu instid0(VALU_DEP_3)
	v_dual_mov_b32 v20, v37 :: v_dual_bitop2_b32 v12, v3, v2 bitop3:0x54
	v_dual_mov_b32 v21, v38 :: v_dual_mov_b32 v22, v41
	v_dual_mov_b32 v23, v42 :: v_dual_mov_b32 v24, v43
	;; [unrolled: 1-line block ×6, first 2 shown]
	v_mov_b32_e32 v11, v39
.LBB605_114:
	s_or_b32 exec_lo, exec_lo, s0
	v_dual_lshrrev_b32 v14, 16, v31 :: v_dual_bitop2_b32 v2, v27, v26 bitop3:0x54
	v_dual_lshrrev_b32 v33, 3, v0 :: v_dual_bitop2_b32 v3, v19, v17 bitop3:0x54
	v_or_b32_e32 v13, v16, v1
	v_cmp_gt_u32_e64 s17, 0x10000, v11
	v_cmp_gt_u32_e64 s16, 0x10000, v10
	;; [unrolled: 1-line block ×8, first 2 shown]
	v_or3_b32 v15, v2, v28, v29
	v_cmp_gt_u32_e64 s10, 0x10000, v25
	v_cmp_gt_u32_e64 s8, 0x10000, v24
	;; [unrolled: 1-line block ×8, first 2 shown]
	v_or3_b32 v34, v3, v20, v21
	v_cmp_gt_u32_e64 s2, 0x10000, v16
	v_cmp_gt_u32_e64 s0, 0x10000, v1
	;; [unrolled: 1-line block ×3, first 2 shown]
	s_cmp_lg_u32 s38, 0
	v_cmp_gt_u32_e32 vcc_lo, 32, v0
	s_barrier_signal -1
	s_barrier_wait -1
	s_cbranch_scc0 .LBB605_182
; %bb.115:
	v_dual_cndmask_b32 v2, 1, v31, s17 :: v_dual_bitop2_b32 v5, 28, v33 bitop3:0x40
	v_or3_b32 v3, v34, v22, v23
	v_or3_b32 v4, v15, v30, v32
	s_delay_alu instid0(VALU_DEP_3) | instskip(NEXT) | instid1(VALU_DEP_3)
	v_mul_lo_u16 v2, v2, v11
	v_or3_b32 v3, v3, v24, v25
	s_delay_alu instid0(VALU_DEP_3) | instskip(NEXT) | instid1(VALU_DEP_3)
	v_or3_b32 v4, v4, v10, v11
	v_cndmask_b32_e64 v2, 1, v2, s16
	s_delay_alu instid0(VALU_DEP_3) | instskip(NEXT) | instid1(VALU_DEP_2)
	v_or3_b32 v3, v12, v13, v3
	v_mul_lo_u16 v2, v2, v10
	s_delay_alu instid0(VALU_DEP_2) | instskip(SKIP_1) | instid1(VALU_DEP_3)
	v_bitop3_b32 v3, v3, 0xff0000, v4 bitop3:0xc8
	v_lshl_add_u32 v4, v0, 2, v5
	v_cndmask_b32_e64 v2, 1, v2, s15
	s_delay_alu instid0(VALU_DEP_1) | instskip(NEXT) | instid1(VALU_DEP_1)
	v_mul_lo_u16 v2, v2, v32
	v_cndmask_b32_e64 v2, 1, v2, s14
	s_delay_alu instid0(VALU_DEP_1) | instskip(NEXT) | instid1(VALU_DEP_1)
	v_mul_lo_u16 v2, v2, v30
	;; [unrolled: 3-line block ×16, first 2 shown]
	v_cndmask_b32_e64 v2, 1, v2, s18
	v_cmp_eq_u32_e64 s18, 0, v3
	s_delay_alu instid0(VALU_DEP_2) | instskip(NEXT) | instid1(VALU_DEP_2)
	v_mul_lo_u16 v35, v2, v12
	v_cndmask_b32_e64 v36, 1, v14, s18
	ds_store_b16 v4, v35
	ds_store_b8 v4, v36 offset:2
	s_wait_dscnt 0x0
	s_barrier_signal -1
	s_barrier_wait -1
	s_and_saveexec_b32 s19, vcc_lo
	s_cbranch_execz .LBB605_127
; %bb.116:
	v_and_b32_e32 v2, 0xfc, v0
	v_lshlrev_b32_e32 v3, 5, v0
	s_mov_b32 s28, exec_lo
	s_delay_alu instid0(VALU_DEP_1)
	v_add_nc_u32_e32 v2, v2, v3
	ds_load_u8 v4, v2 offset:6
	ds_load_b32 v3, v2
	ds_load_u16 v5, v2 offset:4
	ds_load_u8 v6, v2 offset:10
	ds_load_u16 v7, v2 offset:8
	ds_load_u16 v8, v2 offset:12
	ds_load_u8 v9, v2 offset:14
	ds_load_u16 v37, v2 offset:16
	s_wait_dscnt 0x7
	v_cmp_eq_u16_e64 s18, 0, v4
	s_wait_dscnt 0x4
	s_delay_alu instid0(VALU_DEP_1) | instskip(SKIP_1) | instid1(VALU_DEP_2)
	v_dual_cndmask_b32 v38, 1, v3, s18 :: v_dual_bitop2_b32 v4, v6, v4 bitop3:0x54
	v_cmp_eq_u16_e64 s18, 0, v6
	v_mul_lo_u16 v5, v38, v5
	ds_load_u8 v38, v2 offset:18
	v_cndmask_b32_e64 v5, 1, v5, s18
	s_wait_dscnt 0x2
	v_cmp_eq_u16_e64 s18, 0, v9
	s_delay_alu instid0(VALU_DEP_2) | instskip(SKIP_2) | instid1(VALU_DEP_1)
	v_mul_lo_u16 v5, v5, v7
	ds_load_u8 v7, v2 offset:22
	v_cndmask_b32_e64 v5, 1, v5, s18
	v_mul_lo_u16 v5, v5, v8
	ds_load_u16 v8, v2 offset:20
	ds_load_u16 v39, v2 offset:24
	ds_load_u8 v40, v2 offset:26
	ds_load_u16 v41, v2 offset:28
	ds_load_u8 v42, v2 offset:30
	s_wait_dscnt 0x6
	v_cmp_eq_u16_e64 s18, 0, v38
	v_bitop3_b16 v6, v4, v38, v9 bitop3:0xfe
	v_and_b32_e32 v4, 0x10000, v3
	s_delay_alu instid0(VALU_DEP_3)
	v_cndmask_b32_e64 v5, 1, v5, s18
	s_wait_dscnt 0x5
	v_cmp_eq_u16_e64 s18, 0, v7
	s_wait_dscnt 0x2
	v_bitop3_b16 v6, v6, v40, v7 bitop3:0xfe
	s_wait_dscnt 0x0
	v_and_b32_e32 v7, 1, v42
	v_mul_lo_u16 v5, v5, v37
	s_delay_alu instid0(VALU_DEP_1) | instskip(SKIP_1) | instid1(VALU_DEP_2)
	v_cndmask_b32_e64 v5, 1, v5, s18
	v_cmp_eq_u16_e64 s18, 0, v40
	v_mul_lo_u16 v5, v5, v8
	s_delay_alu instid0(VALU_DEP_1) | instskip(SKIP_1) | instid1(VALU_DEP_2)
	v_cndmask_b32_e64 v5, 1, v5, s18
	v_cmp_eq_u16_e64 s18, 0, v42
	;; [unrolled: 4-line block ×3, first 2 shown]
	v_mul_lo_u16 v6, v5, v41
	s_delay_alu instid0(VALU_DEP_2) | instskip(SKIP_4) | instid1(VALU_DEP_4)
	v_cndmask_b32_e64 v8, 0x10000, v4, s18
	v_cmp_eq_u32_e64 s18, 1, v7
	v_and_b32_e32 v5, 0xff000000, v3
	v_mbcnt_lo_u32_b32 v7, -1, 0
	v_and_b32_e32 v9, 0xffff, v6
	v_cndmask_b32_e64 v8, v8, 0x10000, s18
	s_delay_alu instid0(VALU_DEP_1) | instskip(NEXT) | instid1(VALU_DEP_3)
	v_or_b32_e32 v37, v8, v5
	v_or3_b32 v38, v5, v9, v8
	s_delay_alu instid0(VALU_DEP_2) | instskip(NEXT) | instid1(VALU_DEP_2)
	v_dual_lshrrev_b32 v9, 16, v37 :: v_dual_bitop2_b32 v8, 15, v7 bitop3:0x40
	v_mov_b32_dpp v39, v38 row_shr:1 row_mask:0xf bank_mask:0xf
	s_delay_alu instid0(VALU_DEP_2)
	v_cmpx_ne_u32_e32 0, v8
	s_cbranch_execz .LBB605_118
; %bb.117:
	s_delay_alu instid0(VALU_DEP_2) | instskip(SKIP_1) | instid1(VALU_DEP_2)
	v_dual_lshrrev_b32 v9, 16, v37 :: v_dual_lshrrev_b32 v38, 16, v39
	v_and_b32_e32 v37, 0x10000, v37
	v_and_b32_e32 v9, 0xff, v9
	s_delay_alu instid0(VALU_DEP_1) | instskip(NEXT) | instid1(VALU_DEP_1)
	v_cmp_eq_u16_e64 s18, 0, v9
	v_dual_cndmask_b32 v39, 1, v39, s18 :: v_dual_bitop2_b32 v38, 1, v38 bitop3:0x40
	s_delay_alu instid0(VALU_DEP_4) | instskip(NEXT) | instid1(VALU_DEP_2)
	v_cmp_ne_u32_e64 s18, 0, v37
	v_mul_lo_u16 v6, v39, v6
	s_delay_alu instid0(VALU_DEP_2) | instskip(NEXT) | instid1(VALU_DEP_2)
	v_cndmask_b32_e64 v9, v38, 1, s18
	v_and_b32_e32 v38, 0xffff, v6
	s_delay_alu instid0(VALU_DEP_2) | instskip(NEXT) | instid1(VALU_DEP_1)
	v_lshlrev_b32_e32 v37, 16, v9
	v_or3_b32 v38, v37, v38, v5
.LBB605_118:
	s_or_b32 exec_lo, exec_lo, s28
	s_delay_alu instid0(VALU_DEP_1)
	v_lshrrev_b32_e32 v37, 16, v38
	v_mov_b32_dpp v39, v38 row_shr:2 row_mask:0xf bank_mask:0xf
	s_mov_b32 s28, exec_lo
	v_cmpx_lt_u32_e32 1, v8
	s_cbranch_execz .LBB605_120
; %bb.119:
	v_and_b32_e32 v37, 0xff, v37
	v_and_b32_e32 v38, 0x10000, v38
	s_delay_alu instid0(VALU_DEP_2) | instskip(NEXT) | instid1(VALU_DEP_1)
	v_cmp_eq_u16_e64 s18, 0, v37
	v_dual_lshrrev_b32 v9, 16, v39 :: v_dual_cndmask_b32 v37, 1, v39, s18
	s_delay_alu instid0(VALU_DEP_1) | instskip(NEXT) | instid1(VALU_DEP_4)
	v_and_b32_e32 v9, 1, v9
	v_cmp_ne_u32_e64 s18, 0, v38
	s_delay_alu instid0(VALU_DEP_3) | instskip(NEXT) | instid1(VALU_DEP_2)
	v_mul_lo_u16 v6, v37, v6
	v_cndmask_b32_e64 v9, v9, 1, s18
	s_delay_alu instid0(VALU_DEP_2) | instskip(NEXT) | instid1(VALU_DEP_2)
	v_and_b32_e32 v38, 0xffff, v6
	v_lshlrev_b32_e32 v37, 16, v9
	s_delay_alu instid0(VALU_DEP_1)
	v_or3_b32 v38, v37, v38, v5
	v_mov_b32_e32 v37, v9
.LBB605_120:
	s_or_b32 exec_lo, exec_lo, s28
	s_delay_alu instid0(VALU_DEP_2)
	v_mov_b32_dpp v39, v38 row_shr:4 row_mask:0xf bank_mask:0xf
	s_mov_b32 s28, exec_lo
	v_cmpx_lt_u32_e32 3, v8
	s_cbranch_execz .LBB605_122
; %bb.121:
	v_and_b32_e32 v38, 0xff, v37
	v_dual_lshrrev_b32 v9, 16, v39 :: v_dual_bitop2_b32 v37, 1, v37 bitop3:0x40
	s_delay_alu instid0(VALU_DEP_2) | instskip(NEXT) | instid1(VALU_DEP_1)
	v_cmp_eq_u16_e64 s18, 0, v38
	v_dual_cndmask_b32 v38, 1, v39, s18 :: v_dual_bitop2_b32 v9, 1, v9 bitop3:0x40
	s_delay_alu instid0(VALU_DEP_3) | instskip(NEXT) | instid1(VALU_DEP_2)
	v_cmp_eq_u32_e64 s18, 1, v37
	v_mul_lo_u16 v6, v38, v6
	s_delay_alu instid0(VALU_DEP_2) | instskip(NEXT) | instid1(VALU_DEP_2)
	v_cndmask_b32_e64 v9, v9, 1, s18
	v_and_b32_e32 v38, 0xffff, v6
	s_delay_alu instid0(VALU_DEP_2) | instskip(NEXT) | instid1(VALU_DEP_1)
	v_lshlrev_b32_e32 v37, 16, v9
	v_or3_b32 v38, v37, v38, v5
	v_mov_b32_e32 v37, v9
.LBB605_122:
	s_or_b32 exec_lo, exec_lo, s28
	s_delay_alu instid0(VALU_DEP_2)
	v_mov_b32_dpp v39, v38 row_shr:8 row_mask:0xf bank_mask:0xf
	s_mov_b32 s28, exec_lo
	v_cmpx_lt_u32_e32 7, v8
	s_cbranch_execz .LBB605_124
; %bb.123:
	v_and_b32_e32 v9, 0xff, v37
	v_dual_lshrrev_b32 v8, 16, v39 :: v_dual_bitop2_b32 v37, 1, v37 bitop3:0x40
	s_delay_alu instid0(VALU_DEP_2) | instskip(NEXT) | instid1(VALU_DEP_1)
	v_cmp_eq_u16_e64 s18, 0, v9
	v_dual_cndmask_b32 v38, 1, v39, s18 :: v_dual_bitop2_b32 v8, 1, v8 bitop3:0x40
	s_delay_alu instid0(VALU_DEP_3) | instskip(NEXT) | instid1(VALU_DEP_2)
	v_cmp_eq_u32_e64 s18, 1, v37
	v_mul_lo_u16 v6, v38, v6
	s_delay_alu instid0(VALU_DEP_2) | instskip(NEXT) | instid1(VALU_DEP_2)
	v_cndmask_b32_e64 v9, v8, 1, s18
	v_and_b32_e32 v37, 0xffff, v6
	s_delay_alu instid0(VALU_DEP_2) | instskip(NEXT) | instid1(VALU_DEP_1)
	v_lshlrev_b32_e32 v8, 16, v9
	v_or3_b32 v38, v8, v37, v5
	v_mov_b32_e32 v37, v9
.LBB605_124:
	s_or_b32 exec_lo, exec_lo, s28
	ds_swizzle_b32 v8, v38 offset:swizzle(BROADCAST,32,15)
	v_and_b32_e32 v38, 16, v7
	s_mov_b32 s28, exec_lo
	s_delay_alu instid0(VALU_DEP_1)
	v_cmpx_ne_u32_e32 0, v38
	s_cbranch_execz .LBB605_126
; %bb.125:
	v_and_b32_e32 v9, 0xff, v37
	s_delay_alu instid0(VALU_DEP_1) | instskip(SKIP_2) | instid1(VALU_DEP_1)
	v_cmp_eq_u16_e64 s18, 0, v9
	s_wait_dscnt 0x0
	v_dual_lshrrev_b32 v38, 16, v8 :: v_dual_bitop2_b32 v9, 1, v37 bitop3:0x40
	v_dual_cndmask_b32 v8, 1, v8, s18 :: v_dual_bitop2_b32 v37, 1, v38 bitop3:0x40
	s_delay_alu instid0(VALU_DEP_2) | instskip(NEXT) | instid1(VALU_DEP_2)
	v_cmp_eq_u32_e64 s18, 1, v9
	v_mul_lo_u16 v6, v8, v6
	s_delay_alu instid0(VALU_DEP_2)
	v_cndmask_b32_e64 v9, v37, 1, s18
.LBB605_126:
	s_or_b32 exec_lo, exec_lo, s28
	s_wait_dscnt 0x0
	s_delay_alu instid0(VALU_DEP_1) | instskip(SKIP_2) | instid1(VALU_DEP_3)
	v_and_b32_e32 v8, 0xff, v9
	v_add_nc_u32_e32 v9, -1, v7
	v_and_b32_e32 v6, 0xffff, v6
	; wave barrier
	v_lshlrev_b32_e32 v8, 16, v8
	s_delay_alu instid0(VALU_DEP_3) | instskip(NEXT) | instid1(VALU_DEP_2)
	v_cmp_gt_i32_e64 s18, 0, v9
	v_or3_b32 v5, v8, v6, v5
	s_delay_alu instid0(VALU_DEP_2) | instskip(NEXT) | instid1(VALU_DEP_1)
	v_cndmask_b32_e64 v7, v9, v7, s18
	v_lshlrev_b32_e32 v6, 2, v7
	ds_bpermute_b32 v5, v6, v5
	v_and_b32_e32 v6, 0xff0000, v3
	s_delay_alu instid0(VALU_DEP_1) | instskip(SKIP_1) | instid1(VALU_DEP_1)
	v_cmp_eq_u32_e64 s18, 0, v6
	s_wait_dscnt 0x0
	v_dual_lshrrev_b32 v7, 16, v5 :: v_dual_cndmask_b32 v5, 1, v5, s18
	v_cmp_eq_u32_e64 s18, 0, v4
	s_delay_alu instid0(VALU_DEP_2) | instskip(NEXT) | instid1(VALU_DEP_3)
	v_and_b32_e32 v6, 1, v7
	v_mul_lo_u16 v3, v5, v3
	s_delay_alu instid0(VALU_DEP_2) | instskip(SKIP_1) | instid1(VALU_DEP_1)
	v_cndmask_b32_e64 v4, 1, v6, s18
	v_cmp_eq_u32_e64 s18, 0, v0
	v_dual_cndmask_b32 v3, v3, v35, s18 :: v_dual_cndmask_b32 v4, v4, v36, s18
	ds_store_b16 v2, v3
	ds_store_b8 v2, v4 offset:2
	; wave barrier
	ds_load_u8 v5, v2 offset:6
	ds_load_u16 v6, v2 offset:4
	ds_load_u8 v7, v2 offset:10
	ds_load_u16 v8, v2 offset:8
	ds_load_u16 v9, v2 offset:12
	ds_load_u8 v37, v2 offset:14
	ds_load_u16 v38, v2 offset:16
	ds_load_u8 v39, v2 offset:18
	s_wait_dscnt 0x7
	v_cmp_eq_u16_e64 s18, 0, v5
	s_delay_alu instid0(VALU_DEP_1) | instskip(SKIP_3) | instid1(VALU_DEP_3)
	v_dual_cndmask_b32 v3, 1, v3, s18 :: v_dual_bitop2_b32 v5, 1, v5 bitop3:0x40
	s_wait_dscnt 0x5
	v_cmp_eq_u16_e64 s18, 0, v7
	v_and_b32_e32 v7, 1, v7
	v_mul_lo_u16 v3, v3, v6
	s_delay_alu instid0(VALU_DEP_1) | instskip(SKIP_2) | instid1(VALU_DEP_2)
	v_cndmask_b32_e64 v6, 1, v3, s18
	s_wait_dscnt 0x2
	v_cmp_eq_u16_e64 s18, 0, v37
	v_mul_lo_u16 v6, v6, v8
	ds_load_u8 v8, v2 offset:22
	ds_load_u16 v41, v2 offset:20
	ds_load_u8 v42, v2 offset:26
	ds_load_u8 v43, v2 offset:30
	v_cndmask_b32_e64 v40, 1, v6, s18
	v_cmp_eq_u32_e64 s18, 1, v5
	v_and_b32_e32 v5, 1, v37
	s_delay_alu instid0(VALU_DEP_3) | instskip(NEXT) | instid1(VALU_DEP_3)
	v_mul_lo_u16 v9, v40, v9
	v_cndmask_b32_e64 v4, v4, 1, s18
	s_wait_dscnt 0x4
	v_cmp_eq_u16_e64 s18, 0, v39
	ds_load_u16 v40, v2 offset:24
	ds_load_u16 v44, v2 offset:28
	v_cndmask_b32_e64 v37, 1, v9, s18
	v_cmp_eq_u32_e64 s18, 1, v7
	s_delay_alu instid0(VALU_DEP_2) | instskip(NEXT) | instid1(VALU_DEP_2)
	v_mul_lo_u16 v37, v37, v38
	v_cndmask_b32_e64 v7, v4, 1, s18
	v_cmp_eq_u32_e64 s18, 1, v5
	v_and_b32_e32 v38, 1, v39
	s_delay_alu instid0(VALU_DEP_2) | instskip(SKIP_2) | instid1(VALU_DEP_1)
	v_cndmask_b32_e64 v5, v7, 1, s18
	s_wait_dscnt 0x5
	v_cmp_eq_u16_e64 s18, 0, v8
	v_dual_cndmask_b32 v39, 1, v37, s18 :: v_dual_bitop2_b32 v8, 1, v8 bitop3:0x40
	v_cmp_eq_u32_e64 s18, 1, v38
	s_wait_dscnt 0x4
	s_delay_alu instid0(VALU_DEP_2) | instskip(NEXT) | instid1(VALU_DEP_2)
	v_mul_lo_u16 v39, v39, v41
	v_cndmask_b32_e64 v38, v5, 1, s18
	v_cmp_eq_u32_e64 s18, 1, v8
	ds_store_b16 v2, v3 offset:4
	ds_store_b8 v2, v4 offset:6
	ds_store_b16 v2, v6 offset:8
	ds_store_b8 v2, v7 offset:10
	;; [unrolled: 2-line block ×4, first 2 shown]
	v_cndmask_b32_e64 v8, v38, 1, s18
	s_wait_dscnt 0xb
	v_cmp_eq_u16_e64 s18, 0, v42
	s_delay_alu instid0(VALU_DEP_1) | instskip(NEXT) | instid1(VALU_DEP_1)
	v_dual_cndmask_b32 v42, 1, v39, s18 :: v_dual_bitop2_b32 v41, 1, v42 bitop3:0x40
	v_cmp_eq_u32_e64 s18, 1, v41
	s_wait_dscnt 0x9
	s_delay_alu instid0(VALU_DEP_2) | instskip(SKIP_1) | instid1(VALU_DEP_3)
	v_mul_lo_u16 v40, v42, v40
	v_and_b32_e32 v45, 1, v43
	v_cndmask_b32_e64 v41, v8, 1, s18
	s_delay_alu instid0(VALU_DEP_2) | instskip(NEXT) | instid1(VALU_DEP_1)
	v_cmp_eq_u32_e64 s18, 1, v45
	v_cndmask_b32_e64 v42, v41, 1, s18
	v_cmp_eq_u16_e64 s18, 0, v43
	s_delay_alu instid0(VALU_DEP_1) | instskip(SKIP_1) | instid1(VALU_DEP_1)
	v_cndmask_b32_e64 v43, 1, v40, s18
	s_wait_dscnt 0x8
	v_mul_lo_u16 v3, v43, v44
	ds_store_b16 v2, v39 offset:20
	ds_store_b8 v2, v8 offset:22
	ds_store_b16 v2, v40 offset:24
	ds_store_b8 v2, v41 offset:26
	;; [unrolled: 2-line block ×3, first 2 shown]
.LBB605_127:
	s_or_b32 exec_lo, exec_lo, s19
	v_cmp_eq_u32_e64 s18, 0, v0
	s_mov_b32 s28, exec_lo
	s_wait_dscnt 0x0
	s_barrier_signal -1
	s_barrier_wait -1
	v_cmpx_ne_u32_e32 0, v0
	s_cbranch_execz .LBB605_129
; %bb.128:
	v_add_nc_u32_e32 v2, -1, v0
	s_delay_alu instid0(VALU_DEP_1) | instskip(NEXT) | instid1(VALU_DEP_1)
	v_lshrrev_b32_e32 v3, 3, v2
	v_and_b32_e32 v3, 0x1ffffffc, v3
	s_delay_alu instid0(VALU_DEP_1)
	v_lshl_add_u32 v2, v2, 2, v3
	ds_load_u16 v35, v2
	ds_load_u8 v36, v2 offset:2
.LBB605_129:
	s_or_b32 exec_lo, exec_lo, s28
	s_and_saveexec_b32 s28, vcc_lo
	s_cbranch_execz .LBB605_259
; %bb.130:
	v_mov_b32_e32 v9, 0
	v_mbcnt_lo_u32_b32 v37, -1, 0
	ds_load_b32 v2, v9 offset:1048
	v_cmp_eq_u32_e64 s19, 0, v37
	s_and_saveexec_b32 s29, s19
	s_cbranch_execz .LBB605_132
; %bb.131:
	s_add_co_i32 s39, s38, 32
	s_delay_alu instid0(SALU_CYCLE_1)
	v_dual_mov_b32 v3, 1 :: v_dual_mov_b32 v4, s39
	s_wait_dscnt 0x0
	global_store_b64 v4, v[2:3], s[24:25] scale_offset scope:SCOPE_DEV
.LBB605_132:
	s_wait_xcnt 0x0
	s_or_b32 exec_lo, exec_lo, s29
	v_xad_u32 v4, v37, -1, s38
	s_mov_b32 s29, exec_lo
	s_delay_alu instid0(VALU_DEP_1) | instskip(SKIP_4) | instid1(VALU_DEP_1)
	v_add_nc_u32_e32 v8, 32, v4
	global_load_b64 v[6:7], v8, s[24:25] scale_offset scope:SCOPE_DEV
	s_wait_loadcnt 0x0
	v_and_b32_e32 v3, 0xff, v7
	s_wait_xcnt 0x0
	v_cmpx_eq_u16_e32 0, v3
	s_cbranch_execz .LBB605_136
; %bb.133:
	v_lshl_add_u64 v[8:9], v[8:9], 3, s[24:25]
	s_mov_b32 s39, 0
.LBB605_134:                            ; =>This Inner Loop Header: Depth=1
	global_load_b64 v[6:7], v[8:9], off scope:SCOPE_DEV
	s_wait_loadcnt 0x0
	v_and_b32_e32 v3, 0xff, v7
	s_delay_alu instid0(VALU_DEP_1)
	v_cmp_ne_u16_e32 vcc_lo, 0, v3
	s_or_b32 s39, vcc_lo, s39
	s_wait_xcnt 0x0
	s_and_not1_b32 exec_lo, exec_lo, s39
	s_cbranch_execnz .LBB605_134
; %bb.135:
	s_or_b32 exec_lo, exec_lo, s39
.LBB605_136:
	s_delay_alu instid0(SALU_CYCLE_1)
	s_or_b32 exec_lo, exec_lo, s29
	v_cmp_ne_u32_e32 vcc_lo, 31, v37
	v_and_b32_e32 v46, 0xffffff, v6
	v_and_b32_e32 v5, 0xff, v7
	v_lshlrev_b32_e64 v38, v37, -1
	v_bfe_u32 v9, v6, 16, 8
	v_add_co_ci_u32_e64 v3, null, 0, v37, vcc_lo
	s_delay_alu instid0(VALU_DEP_4) | instskip(SKIP_1) | instid1(VALU_DEP_2)
	v_cmp_eq_u16_e32 vcc_lo, 2, v5
	s_mov_b32 s29, exec_lo
	v_dual_lshrrev_b32 v8, 16, v6 :: v_dual_lshlrev_b32 v3, 2, v3
	v_and_or_b32 v5, vcc_lo, v38, 0x80000000
	ds_bpermute_b32 v39, v3, v46
	v_ctz_i32_b32_e32 v5, v5
	s_delay_alu instid0(VALU_DEP_1)
	v_cmpx_lt_u32_e64 v37, v5
	s_cbranch_execz .LBB605_138
; %bb.137:
	v_and_b32_e32 v8, 0xff0000, v6
	s_delay_alu instid0(VALU_DEP_1) | instskip(SKIP_3) | instid1(VALU_DEP_1)
	v_and_b32_e32 v40, 0x10000, v8
	v_cmp_eq_u32_e32 vcc_lo, 0, v8
	s_wait_dscnt 0x0
	v_dual_lshrrev_b32 v9, 16, v39 :: v_dual_cndmask_b32 v39, 1, v39, vcc_lo
	v_and_b32_e32 v9, 1, v9
	v_cmp_ne_u32_e32 vcc_lo, 0, v40
	s_delay_alu instid0(VALU_DEP_3) | instskip(NEXT) | instid1(VALU_DEP_3)
	v_mul_lo_u16 v6, v39, v6
	v_cndmask_b32_e64 v8, v9, 1, vcc_lo
	s_delay_alu instid0(VALU_DEP_2) | instskip(NEXT) | instid1(VALU_DEP_2)
	v_and_b32_e32 v39, 0xffff, v6
	v_lshlrev_b32_e32 v9, 16, v8
	s_delay_alu instid0(VALU_DEP_1)
	v_dual_mov_b32 v9, v8 :: v_dual_bitop2_b32 v46, v9, v39 bitop3:0x54
.LBB605_138:
	s_or_b32 exec_lo, exec_lo, s29
	v_cmp_gt_u32_e32 vcc_lo, 30, v37
	v_add_nc_u32_e32 v40, 2, v37
	s_mov_b32 s29, exec_lo
	s_wait_dscnt 0x0
	v_cndmask_b32_e64 v39, 0, 2, vcc_lo
	s_delay_alu instid0(VALU_DEP_1)
	v_add_lshl_u32 v39, v39, v37, 2
	ds_bpermute_b32 v41, v39, v46
	v_cmpx_le_u32_e64 v40, v5
	s_cbranch_execz .LBB605_140
; %bb.139:
	v_cmp_eq_u16_e32 vcc_lo, 0, v9
	s_wait_dscnt 0x0
	v_lshrrev_b32_e32 v8, 16, v41
	v_and_b32_e32 v9, 1, v9
	s_delay_alu instid0(VALU_DEP_2) | instskip(NEXT) | instid1(VALU_DEP_2)
	v_dual_cndmask_b32 v41, 1, v41, vcc_lo :: v_dual_bitop2_b32 v8, 1, v8 bitop3:0x40
	v_cmp_eq_u32_e32 vcc_lo, 1, v9
	s_delay_alu instid0(VALU_DEP_2) | instskip(NEXT) | instid1(VALU_DEP_3)
	v_mul_lo_u16 v6, v41, v6
	v_cndmask_b32_e64 v8, v8, 1, vcc_lo
	s_delay_alu instid0(VALU_DEP_2) | instskip(NEXT) | instid1(VALU_DEP_2)
	v_and_b32_e32 v9, 0xffff, v6
	v_lshlrev_b32_e32 v41, 16, v8
	s_delay_alu instid0(VALU_DEP_1)
	v_dual_mov_b32 v9, v8 :: v_dual_bitop2_b32 v46, v41, v9 bitop3:0x54
.LBB605_140:
	s_or_b32 exec_lo, exec_lo, s29
	v_cmp_gt_u32_e32 vcc_lo, 28, v37
	v_add_nc_u32_e32 v42, 4, v37
	s_mov_b32 s29, exec_lo
	s_wait_dscnt 0x0
	v_cndmask_b32_e64 v41, 0, 4, vcc_lo
	s_delay_alu instid0(VALU_DEP_1)
	v_add_lshl_u32 v41, v41, v37, 2
	ds_bpermute_b32 v43, v41, v46
	v_cmpx_le_u32_e64 v42, v5
	s_cbranch_execz .LBB605_142
; %bb.141:
	v_cmp_eq_u16_e32 vcc_lo, 0, v9
	s_wait_dscnt 0x0
	v_dual_lshrrev_b32 v8, 16, v43 :: v_dual_bitop2_b32 v9, 1, v9 bitop3:0x40
	s_delay_alu instid0(VALU_DEP_1) | instskip(NEXT) | instid1(VALU_DEP_2)
	v_dual_cndmask_b32 v43, 1, v43, vcc_lo :: v_dual_bitop2_b32 v8, 1, v8 bitop3:0x40
	v_cmp_eq_u32_e32 vcc_lo, 1, v9
	s_delay_alu instid0(VALU_DEP_2) | instskip(NEXT) | instid1(VALU_DEP_3)
	v_mul_lo_u16 v6, v43, v6
	v_cndmask_b32_e64 v8, v8, 1, vcc_lo
	s_delay_alu instid0(VALU_DEP_2) | instskip(NEXT) | instid1(VALU_DEP_2)
	v_and_b32_e32 v9, 0xffff, v6
	v_lshlrev_b32_e32 v43, 16, v8
	s_delay_alu instid0(VALU_DEP_1)
	v_dual_mov_b32 v9, v8 :: v_dual_bitop2_b32 v46, v43, v9 bitop3:0x54
.LBB605_142:
	s_or_b32 exec_lo, exec_lo, s29
	v_cmp_gt_u32_e32 vcc_lo, 24, v37
	v_add_nc_u32_e32 v44, 8, v37
	s_mov_b32 s29, exec_lo
	s_wait_dscnt 0x0
	v_cndmask_b32_e64 v43, 0, 8, vcc_lo
	s_delay_alu instid0(VALU_DEP_1)
	v_add_lshl_u32 v43, v43, v37, 2
	ds_bpermute_b32 v45, v43, v46
	v_cmpx_le_u32_e64 v44, v5
	s_cbranch_execz .LBB605_144
; %bb.143:
	v_cmp_eq_u16_e32 vcc_lo, 0, v9
	s_wait_dscnt 0x0
	v_lshrrev_b32_e32 v8, 16, v45
	v_and_b32_e32 v9, 1, v9
	s_delay_alu instid0(VALU_DEP_2) | instskip(NEXT) | instid1(VALU_DEP_2)
	v_dual_cndmask_b32 v45, 1, v45, vcc_lo :: v_dual_bitop2_b32 v8, 1, v8 bitop3:0x40
	v_cmp_eq_u32_e32 vcc_lo, 1, v9
	s_delay_alu instid0(VALU_DEP_2) | instskip(NEXT) | instid1(VALU_DEP_3)
	v_mul_lo_u16 v6, v45, v6
	v_cndmask_b32_e64 v8, v8, 1, vcc_lo
	s_delay_alu instid0(VALU_DEP_2) | instskip(NEXT) | instid1(VALU_DEP_2)
	v_and_b32_e32 v9, 0xffff, v6
	v_lshlrev_b32_e32 v45, 16, v8
	s_delay_alu instid0(VALU_DEP_1)
	v_dual_mov_b32 v9, v8 :: v_dual_bitop2_b32 v46, v45, v9 bitop3:0x54
.LBB605_144:
	s_or_b32 exec_lo, exec_lo, s29
	s_wait_dscnt 0x0
	v_lshl_or_b32 v45, v37, 2, 64
	v_add_nc_u32_e32 v47, 16, v37
	s_mov_b32 s29, exec_lo
	ds_bpermute_b32 v46, v45, v46
	v_cmpx_le_u32_e64 v47, v5
	s_cbranch_execz .LBB605_146
; %bb.145:
	v_cmp_eq_u16_e32 vcc_lo, 0, v9
	s_wait_dscnt 0x0
	v_dual_lshrrev_b32 v5, 16, v46 :: v_dual_bitop2_b32 v9, 1, v9 bitop3:0x40
	s_delay_alu instid0(VALU_DEP_1) | instskip(NEXT) | instid1(VALU_DEP_2)
	v_dual_cndmask_b32 v8, 1, v46, vcc_lo :: v_dual_bitop2_b32 v5, 1, v5 bitop3:0x40
	v_cmp_eq_u32_e32 vcc_lo, 1, v9
	s_delay_alu instid0(VALU_DEP_2) | instskip(NEXT) | instid1(VALU_DEP_3)
	v_mul_lo_u16 v6, v8, v6
	v_cndmask_b32_e64 v8, v5, 1, vcc_lo
.LBB605_146:
	s_or_b32 exec_lo, exec_lo, s29
	v_mov_b32_e32 v5, 0
	s_branch .LBB605_149
.LBB605_147:                            ;   in Loop: Header=BB605_149 Depth=1
	s_or_b32 exec_lo, exec_lo, s29
	v_and_b32_e32 v8, 0xff, v46
	v_subrev_nc_u32_e32 v4, 32, v4
	s_mov_b32 s29, 0
	v_and_b32_e32 v9, 1, v9
	s_delay_alu instid0(VALU_DEP_3) | instskip(SKIP_2) | instid1(VALU_DEP_2)
	v_cmp_eq_u16_e32 vcc_lo, 0, v8
	v_and_b32_e32 v8, 1, v46
	v_cndmask_b32_e32 v6, 1, v6, vcc_lo
	v_cmp_eq_u32_e32 vcc_lo, 1, v8
	s_delay_alu instid0(VALU_DEP_2)
	v_mul_lo_u16 v6, v6, v48
	v_cndmask_b32_e64 v8, v9, 1, vcc_lo
.LBB605_148:                            ;   in Loop: Header=BB605_149 Depth=1
	s_and_b32 vcc_lo, exec_lo, s29
	s_cbranch_vccnz .LBB605_255
.LBB605_149:                            ; =>This Loop Header: Depth=1
                                        ;     Child Loop BB605_152 Depth 2
	v_and_b32_e32 v7, 0xff, v7
	s_wait_dscnt 0x0
	v_dual_mov_b32 v46, v8 :: v_dual_mov_b32 v48, v6
	s_mov_b32 s29, -1
                                        ; implicit-def: $vgpr8
	s_delay_alu instid0(VALU_DEP_2)
	v_cmp_ne_u16_e32 vcc_lo, 2, v7
                                        ; implicit-def: $vgpr6
	s_cmp_lg_u32 vcc_lo, exec_lo
	s_cbranch_scc1 .LBB605_148
; %bb.150:                              ;   in Loop: Header=BB605_149 Depth=1
	global_load_b64 v[6:7], v4, s[24:25] scale_offset scope:SCOPE_DEV
	s_mov_b32 s29, exec_lo
	s_wait_loadcnt 0x0
	v_and_b32_e32 v8, 0xff, v7
	s_wait_xcnt 0x0
	s_delay_alu instid0(VALU_DEP_1)
	v_cmpx_eq_u16_e32 0, v8
	s_cbranch_execz .LBB605_154
; %bb.151:                              ;   in Loop: Header=BB605_149 Depth=1
	v_lshl_add_u64 v[8:9], v[4:5], 3, s[24:25]
	s_mov_b32 s39, 0
.LBB605_152:                            ;   Parent Loop BB605_149 Depth=1
                                        ; =>  This Inner Loop Header: Depth=2
	global_load_b64 v[6:7], v[8:9], off scope:SCOPE_DEV
	s_wait_loadcnt 0x0
	v_and_b32_e32 v49, 0xff, v7
	s_delay_alu instid0(VALU_DEP_1)
	v_cmp_ne_u16_e32 vcc_lo, 0, v49
	s_or_b32 s39, vcc_lo, s39
	s_wait_xcnt 0x0
	s_and_not1_b32 exec_lo, exec_lo, s39
	s_cbranch_execnz .LBB605_152
; %bb.153:                              ;   in Loop: Header=BB605_149 Depth=1
	s_or_b32 exec_lo, exec_lo, s39
.LBB605_154:                            ;   in Loop: Header=BB605_149 Depth=1
	s_delay_alu instid0(SALU_CYCLE_1)
	s_or_b32 exec_lo, exec_lo, s29
	v_and_b32_e32 v50, 0xffffff, v6
	v_and_b32_e32 v8, 0xff, v7
	v_lshrrev_b32_e32 v9, 16, v6
	v_bfe_u32 v49, v6, 16, 8
	s_mov_b32 s29, exec_lo
	ds_bpermute_b32 v51, v3, v50
	v_cmp_eq_u16_e32 vcc_lo, 2, v8
	v_and_or_b32 v8, vcc_lo, v38, 0x80000000
	s_delay_alu instid0(VALU_DEP_1) | instskip(NEXT) | instid1(VALU_DEP_1)
	v_ctz_i32_b32_e32 v8, v8
	v_cmpx_lt_u32_e64 v37, v8
	s_cbranch_execz .LBB605_156
; %bb.155:                              ;   in Loop: Header=BB605_149 Depth=1
	v_and_b32_e32 v9, 0xff0000, v6
	s_delay_alu instid0(VALU_DEP_1) | instskip(SKIP_3) | instid1(VALU_DEP_1)
	v_and_b32_e32 v50, 0x10000, v9
	v_cmp_eq_u32_e32 vcc_lo, 0, v9
	s_wait_dscnt 0x0
	v_dual_lshrrev_b32 v49, 16, v51 :: v_dual_cndmask_b32 v51, 1, v51, vcc_lo
	v_and_b32_e32 v49, 1, v49
	v_cmp_ne_u32_e32 vcc_lo, 0, v50
	s_delay_alu instid0(VALU_DEP_3) | instskip(NEXT) | instid1(VALU_DEP_3)
	v_mul_lo_u16 v6, v51, v6
	v_cndmask_b32_e64 v9, v49, 1, vcc_lo
	s_delay_alu instid0(VALU_DEP_2) | instskip(NEXT) | instid1(VALU_DEP_2)
	v_and_b32_e32 v50, 0xffff, v6
	v_lshlrev_b32_e32 v49, 16, v9
	s_delay_alu instid0(VALU_DEP_1)
	v_or_b32_e32 v50, v49, v50
	v_mov_b32_e32 v49, v9
.LBB605_156:                            ;   in Loop: Header=BB605_149 Depth=1
	s_or_b32 exec_lo, exec_lo, s29
	s_wait_dscnt 0x0
	ds_bpermute_b32 v51, v39, v50
	s_mov_b32 s29, exec_lo
	v_cmpx_le_u32_e64 v40, v8
	s_cbranch_execz .LBB605_158
; %bb.157:                              ;   in Loop: Header=BB605_149 Depth=1
	v_cmp_eq_u16_e32 vcc_lo, 0, v49
	s_wait_dscnt 0x0
	v_dual_lshrrev_b32 v9, 16, v51 :: v_dual_bitop2_b32 v49, 1, v49 bitop3:0x40
	s_delay_alu instid0(VALU_DEP_1) | instskip(NEXT) | instid1(VALU_DEP_2)
	v_dual_cndmask_b32 v50, 1, v51, vcc_lo :: v_dual_bitop2_b32 v9, 1, v9 bitop3:0x40
	v_cmp_eq_u32_e32 vcc_lo, 1, v49
	s_delay_alu instid0(VALU_DEP_2) | instskip(NEXT) | instid1(VALU_DEP_3)
	v_mul_lo_u16 v6, v50, v6
	v_cndmask_b32_e64 v9, v9, 1, vcc_lo
	s_delay_alu instid0(VALU_DEP_2) | instskip(NEXT) | instid1(VALU_DEP_2)
	v_and_b32_e32 v49, 0xffff, v6
	v_lshlrev_b32_e32 v50, 16, v9
	s_delay_alu instid0(VALU_DEP_1)
	v_dual_mov_b32 v49, v9 :: v_dual_bitop2_b32 v50, v50, v49 bitop3:0x54
.LBB605_158:                            ;   in Loop: Header=BB605_149 Depth=1
	s_or_b32 exec_lo, exec_lo, s29
	s_wait_dscnt 0x0
	ds_bpermute_b32 v51, v41, v50
	s_mov_b32 s29, exec_lo
	v_cmpx_le_u32_e64 v42, v8
	s_cbranch_execz .LBB605_160
; %bb.159:                              ;   in Loop: Header=BB605_149 Depth=1
	v_cmp_eq_u16_e32 vcc_lo, 0, v49
	s_wait_dscnt 0x0
	v_dual_lshrrev_b32 v9, 16, v51 :: v_dual_bitop2_b32 v49, 1, v49 bitop3:0x40
	s_delay_alu instid0(VALU_DEP_1) | instskip(NEXT) | instid1(VALU_DEP_2)
	v_dual_cndmask_b32 v50, 1, v51, vcc_lo :: v_dual_bitop2_b32 v9, 1, v9 bitop3:0x40
	v_cmp_eq_u32_e32 vcc_lo, 1, v49
	s_delay_alu instid0(VALU_DEP_2) | instskip(NEXT) | instid1(VALU_DEP_3)
	v_mul_lo_u16 v6, v50, v6
	v_cndmask_b32_e64 v9, v9, 1, vcc_lo
	s_delay_alu instid0(VALU_DEP_2) | instskip(NEXT) | instid1(VALU_DEP_2)
	v_and_b32_e32 v49, 0xffff, v6
	v_lshlrev_b32_e32 v50, 16, v9
	s_delay_alu instid0(VALU_DEP_1)
	v_dual_mov_b32 v49, v9 :: v_dual_bitop2_b32 v50, v50, v49 bitop3:0x54
.LBB605_160:                            ;   in Loop: Header=BB605_149 Depth=1
	;; [unrolled: 22-line block ×3, first 2 shown]
	s_or_b32 exec_lo, exec_lo, s29
	ds_bpermute_b32 v50, v45, v50
	s_mov_b32 s29, exec_lo
	v_cmpx_le_u32_e64 v47, v8
	s_cbranch_execz .LBB605_147
; %bb.163:                              ;   in Loop: Header=BB605_149 Depth=1
	v_cmp_eq_u16_e32 vcc_lo, 0, v49
	s_wait_dscnt 0x0
	v_dual_lshrrev_b32 v49, 16, v50 :: v_dual_bitop2_b32 v9, 1, v49 bitop3:0x40
	v_cndmask_b32_e32 v8, 1, v50, vcc_lo
	s_delay_alu instid0(VALU_DEP_2) | instskip(NEXT) | instid1(VALU_DEP_2)
	v_cmp_eq_u32_e32 vcc_lo, 1, v9
	v_mul_lo_u16 v6, v8, v6
	s_delay_alu instid0(VALU_DEP_4)
	v_cndmask_b32_e64 v9, v49, 1, vcc_lo
	s_branch .LBB605_147
.LBB605_164:
	s_or_b32 exec_lo, exec_lo, s19
                                        ; implicit-def: $vgpr11
	s_and_saveexec_b32 s19, s0
	s_cbranch_execz .LBB605_45
.LBB605_165:
	flat_load_u16 v11, v0, s[28:29] offset:512 scale_offset
	s_wait_xcnt 0x0
	s_or_b32 exec_lo, exec_lo, s19
                                        ; implicit-def: $vgpr12
	s_and_saveexec_b32 s0, s1
	s_cbranch_execnz .LBB605_46
.LBB605_166:
	s_or_b32 exec_lo, exec_lo, s0
                                        ; implicit-def: $vgpr13
	s_and_saveexec_b32 s0, s2
	s_cbranch_execz .LBB605_47
.LBB605_167:
	flat_load_u16 v13, v0, s[28:29] offset:1536 scale_offset
	s_wait_xcnt 0x0
	s_or_b32 exec_lo, exec_lo, s0
                                        ; implicit-def: $vgpr16
	s_and_saveexec_b32 s0, s3
	s_cbranch_execnz .LBB605_48
.LBB605_168:
	s_or_b32 exec_lo, exec_lo, s0
                                        ; implicit-def: $vgpr17
	s_and_saveexec_b32 s0, s4
	s_cbranch_execz .LBB605_49
.LBB605_169:
	flat_load_u16 v17, v0, s[28:29] offset:2560 scale_offset
	s_wait_xcnt 0x0
	s_or_b32 exec_lo, exec_lo, s0
                                        ; implicit-def: $vgpr18
	s_and_saveexec_b32 s0, s5
	s_cbranch_execnz .LBB605_50
.LBB605_170:
	s_or_b32 exec_lo, exec_lo, s0
                                        ; implicit-def: $vgpr19
	s_and_saveexec_b32 s0, s6
	s_cbranch_execz .LBB605_51
.LBB605_171:
	flat_load_u16 v19, v0, s[28:29] offset:3584 scale_offset
	s_wait_xcnt 0x0
	s_or_b32 exec_lo, exec_lo, s0
                                        ; implicit-def: $vgpr20
	s_and_saveexec_b32 s0, s7
	s_cbranch_execnz .LBB605_52
.LBB605_172:
	s_or_b32 exec_lo, exec_lo, s0
                                        ; implicit-def: $vgpr21
	s_and_saveexec_b32 s0, s8
	s_cbranch_execz .LBB605_53
.LBB605_173:
	flat_load_u16 v21, v0, s[28:29] offset:4608 scale_offset
	s_wait_xcnt 0x0
	s_or_b32 exec_lo, exec_lo, s0
                                        ; implicit-def: $vgpr22
	s_and_saveexec_b32 s0, s9
	s_cbranch_execnz .LBB605_54
.LBB605_174:
	s_or_b32 exec_lo, exec_lo, s0
                                        ; implicit-def: $vgpr23
	s_and_saveexec_b32 s0, s10
	s_cbranch_execz .LBB605_55
.LBB605_175:
	flat_load_u16 v23, v0, s[28:29] offset:5632 scale_offset
	s_wait_xcnt 0x0
	s_or_b32 exec_lo, exec_lo, s0
                                        ; implicit-def: $vgpr24
	s_and_saveexec_b32 s0, s11
	s_cbranch_execnz .LBB605_56
.LBB605_176:
	s_or_b32 exec_lo, exec_lo, s0
                                        ; implicit-def: $vgpr25
	s_and_saveexec_b32 s0, s12
	s_cbranch_execz .LBB605_57
.LBB605_177:
	flat_load_u16 v25, v0, s[28:29] offset:6656 scale_offset
	s_wait_xcnt 0x0
	s_or_b32 exec_lo, exec_lo, s0
                                        ; implicit-def: $vgpr26
	s_and_saveexec_b32 s0, s13
	s_cbranch_execnz .LBB605_58
.LBB605_178:
	s_or_b32 exec_lo, exec_lo, s0
                                        ; implicit-def: $vgpr27
	s_and_saveexec_b32 s0, s14
	s_cbranch_execz .LBB605_59
.LBB605_179:
	flat_load_u16 v27, v0, s[28:29] offset:7680 scale_offset
	s_wait_xcnt 0x0
	s_or_b32 exec_lo, exec_lo, s0
                                        ; implicit-def: $vgpr28
	s_and_saveexec_b32 s0, s15
	s_cbranch_execnz .LBB605_60
.LBB605_180:
	s_or_b32 exec_lo, exec_lo, s0
                                        ; implicit-def: $vgpr29
	s_and_saveexec_b32 s0, s16
	s_cbranch_execz .LBB605_61
.LBB605_181:
	flat_load_u16 v29, v0, s[28:29] offset:8704 scale_offset
	s_wait_xcnt 0x0
	s_or_b32 exec_lo, exec_lo, s0
                                        ; implicit-def: $vgpr30
	s_and_saveexec_b32 s0, s17
	s_cbranch_execz .LBB605_63
	s_branch .LBB605_62
.LBB605_182:
                                        ; implicit-def: $vgpr4
                                        ; implicit-def: $vgpr5
                                        ; implicit-def: $vgpr6
                                        ; implicit-def: $vgpr7
                                        ; implicit-def: $vgpr8
                                        ; implicit-def: $vgpr9
                                        ; implicit-def: $vgpr36
                                        ; implicit-def: $vgpr38
                                        ; implicit-def: $vgpr35
                                        ; implicit-def: $vgpr37
                                        ; implicit-def: $vgpr39
                                        ; implicit-def: $vgpr40
                                        ; implicit-def: $vgpr41
                                        ; implicit-def: $vgpr42
                                        ; implicit-def: $vgpr43
                                        ; implicit-def: $vgpr45
                                        ; implicit-def: $vgpr44
                                        ; implicit-def: $vgpr46
                                        ; implicit-def: $vgpr47
                                        ; implicit-def: $vgpr48
	s_cbranch_execnz .LBB605_260
.LBB605_183:
	s_add_nc_u64 s[0:1], s[22:23], s[34:35]
	s_and_b32 vcc_lo, exec_lo, s27
	s_add_nc_u64 s[0:1], s[0:1], s[20:21]
	s_cbranch_vccz .LBB605_279
.LBB605_184:
	v_mul_u32_u24_e32 v1, 20, v0
	s_add_co_i32 s33, s33, s26
	s_mov_b32 s2, exec_lo
	s_delay_alu instid0(VALU_DEP_1)
	v_cmpx_gt_u32_e64 s33, v1
	s_cbranch_execz .LBB605_216
; %bb.185:
	v_or_b32_e32 v2, 1, v1
	s_mov_b32 s3, exec_lo
	s_delay_alu instid0(VALU_DEP_1)
	v_cmpx_gt_u32_e64 s33, v2
	s_cbranch_execz .LBB605_215
; %bb.186:
	v_or_b32_e32 v2, 2, v1
	;; [unrolled: 6-line block ×3, first 2 shown]
	s_mov_b32 s5, exec_lo
	s_delay_alu instid0(VALU_DEP_1)
	v_cmpx_gt_u32_e64 s33, v2
	s_cbranch_execz .LBB605_213
; %bb.188:
	v_add_nc_u32_e32 v2, 4, v1
	s_mov_b32 s6, exec_lo
	s_delay_alu instid0(VALU_DEP_1)
	v_cmpx_gt_u32_e64 s33, v2
	s_cbranch_execz .LBB605_212
; %bb.189:
	v_add_nc_u32_e32 v2, 5, v1
	;; [unrolled: 6-line block ×12, first 2 shown]
	s_mov_b32 s17, exec_lo
	s_delay_alu instid0(VALU_DEP_1)
	v_cmpx_gt_u32_e64 s33, v2
; %bb.200:
	v_add_nc_u32_e32 v2, 16, v1
	s_mov_b32 s18, exec_lo
	s_delay_alu instid0(VALU_DEP_1)
	v_cmpx_gt_u32_e64 s33, v2
	s_or_b32 exec_lo, exec_lo, s18
; %bb.201:
	s_delay_alu instid0(SALU_CYCLE_1)
	s_or_b32 exec_lo, exec_lo, s17
.LBB605_202:
	s_delay_alu instid0(SALU_CYCLE_1)
	s_or_b32 exec_lo, exec_lo, s16
.LBB605_203:
	s_delay_alu instid0(SALU_CYCLE_1)
	s_or_b32 exec_lo, exec_lo, s15
.LBB605_204:
	s_delay_alu instid0(SALU_CYCLE_1)
	s_or_b32 exec_lo, exec_lo, s14
.LBB605_205:
	s_delay_alu instid0(SALU_CYCLE_1)
	s_or_b32 exec_lo, exec_lo, s13
.LBB605_206:
	s_delay_alu instid0(SALU_CYCLE_1)
	s_or_b32 exec_lo, exec_lo, s12
.LBB605_207:
	s_delay_alu instid0(SALU_CYCLE_1)
	s_or_b32 exec_lo, exec_lo, s11
.LBB605_208:
	s_delay_alu instid0(SALU_CYCLE_1)
	s_or_b32 exec_lo, exec_lo, s10
.LBB605_209:
	s_delay_alu instid0(SALU_CYCLE_1)
	s_or_b32 exec_lo, exec_lo, s9
.LBB605_210:
	s_delay_alu instid0(SALU_CYCLE_1)
	s_or_b32 exec_lo, exec_lo, s8
.LBB605_211:
	s_delay_alu instid0(SALU_CYCLE_1)
	s_or_b32 exec_lo, exec_lo, s7
.LBB605_212:
	s_delay_alu instid0(SALU_CYCLE_1)
	s_or_b32 exec_lo, exec_lo, s6
.LBB605_213:
	s_delay_alu instid0(SALU_CYCLE_1)
	s_or_b32 exec_lo, exec_lo, s5
.LBB605_214:
	s_delay_alu instid0(SALU_CYCLE_1)
	s_or_b32 exec_lo, exec_lo, s4
.LBB605_215:
	s_delay_alu instid0(SALU_CYCLE_1)
	s_or_b32 exec_lo, exec_lo, s3
.LBB605_216:
	s_delay_alu instid0(SALU_CYCLE_1)
	s_or_b32 exec_lo, exec_lo, s2
	v_dual_lshlrev_b32 v27, 1, v1 :: v_dual_mov_b32 v19, 0
	v_perm_b32 v3, v38, v36, 0x5040100
	v_perm_b32 v2, v9, v8, 0x5040100
	;; [unrolled: 1-line block ×4, first 2 shown]
	v_mad_i32_i24 v1, 0xffffffda, v0, v27
	v_perm_b32 v13, v45, v43, 0x5040100
	v_perm_b32 v12, v42, v41, 0x5040100
	;; [unrolled: 1-line block ×6, first 2 shown]
	s_wait_storecnt 0x0
	s_barrier_signal -1
	s_barrier_wait -1
	ds_store_2addr_b64 v27, v[10:11], v[2:3] offset1:1
	ds_store_2addr_b64 v27, v[14:15], v[12:13] offset0:2 offset1:3
	ds_store_b64 v27, v[16:17] offset:32
	s_wait_dscnt 0x0
	s_barrier_signal -1
	s_barrier_wait -1
	ds_load_u16 v30, v1 offset:512
	ds_load_u16 v29, v1 offset:1024
	;; [unrolled: 1-line block ×19, first 2 shown]
	v_add_nc_u64_e32 v[2:3], s[0:1], v[18:19]
	s_mov_b32 s2, exec_lo
	v_cmpx_gt_u32_e64 s33, v0
	s_cbranch_execz .LBB605_218
; %bb.217:
	v_mul_i32_i24_e32 v18, 0xffffffda, v0
	s_delay_alu instid0(VALU_DEP_1)
	v_add_nc_u32_e32 v18, v27, v18
	ds_load_u16 v18, v18
	s_wait_dscnt 0x0
	flat_store_b16 v[2:3], v18
.LBB605_218:
	s_wait_xcnt 0x0
	s_or_b32 exec_lo, exec_lo, s2
	v_or_b32_e32 v18, 0x100, v0
	s_mov_b32 s2, exec_lo
	s_delay_alu instid0(VALU_DEP_1)
	v_cmpx_gt_u32_e64 s33, v18
	s_cbranch_execz .LBB605_220
; %bb.219:
	s_wait_dscnt 0x12
	flat_store_b16 v[2:3], v30 offset:512
.LBB605_220:
	s_wait_xcnt 0x0
	s_or_b32 exec_lo, exec_lo, s2
	v_or_b32_e32 v18, 0x200, v0
	s_mov_b32 s2, exec_lo
	s_delay_alu instid0(VALU_DEP_1)
	v_cmpx_gt_u32_e64 s33, v18
	s_cbranch_execz .LBB605_222
; %bb.221:
	s_wait_dscnt 0x11
	flat_store_b16 v[2:3], v29 offset:1024
.LBB605_222:
	;; [unrolled: 11-line block ×11, first 2 shown]
	s_wait_xcnt 0x0
	s_or_b32 exec_lo, exec_lo, s2
	s_wait_dscnt 0x8
	v_or_b32_e32 v17, 0xc00, v0
	s_mov_b32 s2, exec_lo
	s_delay_alu instid0(VALU_DEP_1)
	v_cmpx_gt_u32_e64 s33, v17
	s_cbranch_execz .LBB605_242
; %bb.241:
	s_wait_dscnt 0x7
	flat_store_b16 v[2:3], v16 offset:6144
.LBB605_242:
	s_wait_xcnt 0x0
	s_or_b32 exec_lo, exec_lo, s2
	s_wait_dscnt 0x7
	v_or_b32_e32 v16, 0xd00, v0
	s_mov_b32 s2, exec_lo
	s_delay_alu instid0(VALU_DEP_1)
	v_cmpx_gt_u32_e64 s33, v16
	s_cbranch_execz .LBB605_244
; %bb.243:
	s_wait_dscnt 0x6
	flat_store_b16 v[2:3], v15 offset:6656
.LBB605_244:
	;; [unrolled: 12-line block ×7, first 2 shown]
	s_wait_xcnt 0x0
	s_or_b32 exec_lo, exec_lo, s2
	v_or_b32_e32 v2, 0x1300, v0
	s_delay_alu instid0(VALU_DEP_1)
	v_cmp_gt_u32_e64 s2, s33, v2
	s_branch .LBB605_281
.LBB605_255:
	s_and_saveexec_b32 s29, s19
	s_cbranch_execz .LBB605_257
; %bb.256:
	v_and_b32_e32 v3, 0xff0000, v2
	v_and_b32_e32 v5, 0x10000, v2
	s_add_co_i32 s19, s38, 32
	s_delay_alu instid0(VALU_DEP_2) | instskip(SKIP_1) | instid1(VALU_DEP_1)
	v_cmp_eq_u32_e32 vcc_lo, 0, v3
	v_dual_cndmask_b32 v3, 1, v48, vcc_lo :: v_dual_bitop2_b32 v4, 1, v46 bitop3:0x40
	v_lshlrev_b32_e32 v4, 16, v4
	v_cmp_eq_u32_e32 vcc_lo, 0, v5
	s_delay_alu instid0(VALU_DEP_3) | instskip(NEXT) | instid1(VALU_DEP_3)
	v_mul_lo_u16 v2, v3, v2
	v_dual_mov_b32 v3, 2 :: v_dual_cndmask_b32 v4, 0x10000, v4
	s_delay_alu instid0(VALU_DEP_2) | instskip(NEXT) | instid1(VALU_DEP_1)
	v_and_b32_e32 v2, 0xffff, v2
	v_dual_mov_b32 v4, s19 :: v_dual_bitop2_b32 v2, v4, v2 bitop3:0x54
	global_store_b64 v4, v[2:3], s[24:25] scale_offset scope:SCOPE_DEV
.LBB605_257:
	s_wait_xcnt 0x0
	s_or_b32 exec_lo, exec_lo, s29
	s_delay_alu instid0(SALU_CYCLE_1)
	s_and_b32 exec_lo, exec_lo, s18
	s_cbranch_execz .LBB605_259
; %bb.258:
	v_mov_b32_e32 v2, 0
	ds_store_b16 v2, v48
	ds_store_b8 v2, v46 offset:2
.LBB605_259:
	s_or_b32 exec_lo, exec_lo, s28
	v_mov_b32_e32 v2, 0
	s_wait_storecnt_dscnt 0x0
	s_barrier_signal -1
	s_barrier_wait -1
	ds_load_b32 v2, v2
	v_and_b32_e32 v3, 0xff, v36
	v_and_b32_e32 v5, 0xff0000, v31
	s_delay_alu instid0(VALU_DEP_2) | instskip(SKIP_2) | instid1(VALU_DEP_3)
	v_cmp_eq_u16_e32 vcc_lo, 0, v3
	s_wait_dscnt 0x0
	v_cndmask_b32_e32 v3, 1, v2, vcc_lo
	v_cmp_eq_u32_e32 vcc_lo, 0, v5
	s_delay_alu instid0(VALU_DEP_2) | instskip(NEXT) | instid1(VALU_DEP_1)
	v_mul_lo_u16 v3, v3, v35
	v_cndmask_b32_e64 v4, v3, v2, s18
	s_delay_alu instid0(VALU_DEP_1) | instskip(NEXT) | instid1(VALU_DEP_1)
	v_cndmask_b32_e32 v2, 1, v4, vcc_lo
	v_mul_lo_u16 v5, v2, v31
	s_delay_alu instid0(VALU_DEP_1) | instskip(NEXT) | instid1(VALU_DEP_1)
	v_cndmask_b32_e64 v2, 1, v5, s17
	v_mul_lo_u16 v6, v2, v11
	s_delay_alu instid0(VALU_DEP_1) | instskip(NEXT) | instid1(VALU_DEP_1)
	v_cndmask_b32_e64 v2, 1, v6, s16
	;; [unrolled: 3-line block ×18, first 2 shown]
	v_mul_lo_u16 v48, v2, v1
	s_branch .LBB605_183
.LBB605_260:
	s_cmp_eq_u64 s[36:37], 0
	v_mov_b32_e32 v2, s42
	s_cselect_b32 s0, -1, 0
	s_cmp_eq_u64 s[30:31], 0
	s_cselect_b32 s1, -1, 0
	s_delay_alu instid0(SALU_CYCLE_1) | instskip(NEXT) | instid1(SALU_CYCLE_1)
	s_or_b32 s0, s0, s1
	s_and_b32 vcc_lo, exec_lo, s0
	s_cbranch_vccnz .LBB605_262
; %bb.261:
	v_mov_b32_e32 v2, 0
	global_load_u16 v2, v2, s[30:31]
.LBB605_262:
	v_cmp_gt_u32_e32 vcc_lo, 0x10000, v11
	v_cmp_gt_u32_e64 s0, 0x10000, v10
	v_cmp_gt_u32_e64 s1, 0x10000, v32
	;; [unrolled: 1-line block ×4, first 2 shown]
	v_dual_cndmask_b32 v3, 1, v31, vcc_lo :: v_dual_bitop2_b32 v6, 28, v33 bitop3:0x40
	v_cmp_gt_u32_e64 s4, 0x10000, v28
	v_cmp_gt_u32_e64 s5, 0x10000, v27
	;; [unrolled: 1-line block ×3, first 2 shown]
	s_delay_alu instid0(VALU_DEP_4)
	v_mul_lo_u16 v3, v3, v11
	v_cmp_gt_u32_e64 s7, 0x10000, v25
	v_cmp_gt_u32_e64 s8, 0x10000, v24
	;; [unrolled: 1-line block ×4, first 2 shown]
	v_cndmask_b32_e64 v3, 1, v3, s0
	v_cmp_gt_u32_e64 s11, 0x10000, v21
	v_cmp_gt_u32_e64 s12, 0x10000, v20
	;; [unrolled: 1-line block ×4, first 2 shown]
	v_mul_lo_u16 v3, v3, v10
	v_cmp_gt_u32_e64 s15, 0x10000, v16
	v_or3_b32 v4, v34, v22, v23
	v_or3_b32 v5, v15, v30, v32
	v_cmp_gt_u32_e64 s16, 0x10000, v1
	v_cndmask_b32_e64 v3, 1, v3, s1
	v_cmp_gt_u32_e64 s17, 0x10000, v12
	v_or3_b32 v4, v4, v24, v25
	v_or3_b32 v5, v5, v10, v11
	v_lshl_add_u32 v6, v0, 2, v6
	v_mul_lo_u16 v3, v3, v32
	s_mov_b32 s18, exec_lo
	v_or3_b32 v4, v12, v13, v4
	s_delay_alu instid0(VALU_DEP_2) | instskip(NEXT) | instid1(VALU_DEP_2)
	v_cndmask_b32_e64 v3, 1, v3, s2
	v_bitop3_b32 v5, v4, 0xff0000, v5 bitop3:0xc8
	s_delay_alu instid0(VALU_DEP_2) | instskip(NEXT) | instid1(VALU_DEP_1)
	v_mul_lo_u16 v3, v3, v30
	v_cndmask_b32_e64 v3, 1, v3, s3
	s_delay_alu instid0(VALU_DEP_1) | instskip(NEXT) | instid1(VALU_DEP_1)
	v_mul_lo_u16 v3, v3, v29
	v_cndmask_b32_e64 v3, 1, v3, s4
	s_delay_alu instid0(VALU_DEP_1) | instskip(NEXT) | instid1(VALU_DEP_1)
	;; [unrolled: 3-line block ×14, first 2 shown]
	v_mul_lo_u16 v3, v3, v1
	v_cndmask_b32_e64 v3, 1, v3, s17
	v_cmp_eq_u32_e64 s17, 0, v5
	s_delay_alu instid0(VALU_DEP_2) | instskip(NEXT) | instid1(VALU_DEP_2)
	v_mul_lo_u16 v4, v3, v12
	v_cndmask_b32_e64 v5, 1, v14, s17
	ds_store_b16 v6, v4
	ds_store_b8 v6, v5 offset:2
	s_wait_loadcnt_dscnt 0x0
	s_barrier_signal -1
	s_barrier_wait -1
	v_cmpx_gt_u32_e32 32, v0
	s_cbranch_execz .LBB605_274
; %bb.263:
	v_and_b32_e32 v3, 0xfc, v0
	v_lshlrev_b32_e32 v6, 5, v0
	s_mov_b32 s19, exec_lo
	s_delay_alu instid0(VALU_DEP_1)
	v_add_nc_u32_e32 v3, v3, v6
	ds_load_u8 v7, v3 offset:6
	ds_load_b32 v6, v3
	ds_load_u16 v8, v3 offset:4
	ds_load_u8 v9, v3 offset:10
	ds_load_u16 v12, v3 offset:8
	ds_load_u16 v13, v3 offset:12
	ds_load_u8 v14, v3 offset:14
	ds_load_u16 v15, v3 offset:16
	s_wait_dscnt 0x7
	v_cmp_eq_u16_e64 s17, 0, v7
	s_wait_dscnt 0x4
	s_delay_alu instid0(VALU_DEP_1) | instskip(SKIP_1) | instid1(VALU_DEP_2)
	v_dual_cndmask_b32 v33, 1, v6, s17 :: v_dual_bitop2_b32 v7, v9, v7 bitop3:0x54
	v_cmp_eq_u16_e64 s17, 0, v9
	v_mul_lo_u16 v8, v33, v8
	ds_load_u8 v33, v3 offset:18
	v_cndmask_b32_e64 v8, 1, v8, s17
	s_wait_dscnt 0x2
	v_cmp_eq_u16_e64 s17, 0, v14
	s_delay_alu instid0(VALU_DEP_2) | instskip(SKIP_2) | instid1(VALU_DEP_1)
	v_mul_lo_u16 v8, v8, v12
	ds_load_u8 v12, v3 offset:22
	v_cndmask_b32_e64 v8, 1, v8, s17
	v_mul_lo_u16 v8, v8, v13
	s_wait_dscnt 0x1
	v_cmp_eq_u16_e64 s17, 0, v33
	ds_load_u16 v13, v3 offset:20
	ds_load_u16 v34, v3 offset:24
	ds_load_u8 v35, v3 offset:26
	ds_load_u16 v36, v3 offset:28
	ds_load_u8 v37, v3 offset:30
	v_bitop3_b16 v9, v7, v33, v14 bitop3:0xfe
	v_and_b32_e32 v7, 0x10000, v6
	v_cndmask_b32_e64 v8, 1, v8, s17
	s_delay_alu instid0(VALU_DEP_1) | instskip(SKIP_2) | instid1(VALU_DEP_1)
	v_mul_lo_u16 v8, v8, v15
	s_wait_dscnt 0x5
	v_cmp_eq_u16_e64 s17, 0, v12
	v_cndmask_b32_e64 v8, 1, v8, s17
	s_wait_dscnt 0x2
	v_cmp_eq_u16_e64 s17, 0, v35
	v_bitop3_b16 v9, v9, v35, v12 bitop3:0xfe
	s_delay_alu instid0(VALU_DEP_3) | instskip(SKIP_1) | instid1(VALU_DEP_1)
	v_mul_lo_u16 v8, v8, v13
	s_wait_dscnt 0x0
	v_dual_cndmask_b32 v8, 1, v8, s17 :: v_dual_bitop2_b32 v12, 1, v37 bitop3:0x40
	v_cmp_eq_u16_e64 s17, 0, v37
	s_delay_alu instid0(VALU_DEP_2) | instskip(NEXT) | instid1(VALU_DEP_1)
	v_mul_lo_u16 v8, v8, v34
	v_cndmask_b32_e64 v8, 1, v8, s17
	v_cmp_eq_u16_e64 s17, 0, v9
	s_delay_alu instid0(VALU_DEP_2) | instskip(NEXT) | instid1(VALU_DEP_2)
	v_mul_lo_u16 v9, v8, v36
	v_cndmask_b32_e64 v13, 0x10000, v7, s17
	v_cmp_eq_u32_e64 s17, 1, v12
	v_and_b32_e32 v8, 0xff000000, v6
	v_mbcnt_lo_u32_b32 v12, -1, 0
	v_and_b32_e32 v14, 0xffff, v9
	s_delay_alu instid0(VALU_DEP_4) | instskip(NEXT) | instid1(VALU_DEP_1)
	v_cndmask_b32_e64 v13, v13, 0x10000, s17
	v_or_b32_e32 v15, v13, v8
	s_delay_alu instid0(VALU_DEP_3) | instskip(NEXT) | instid1(VALU_DEP_2)
	v_or3_b32 v33, v8, v14, v13
	v_dual_lshrrev_b32 v14, 16, v15 :: v_dual_bitop2_b32 v13, 15, v12 bitop3:0x40
	s_delay_alu instid0(VALU_DEP_2) | instskip(NEXT) | instid1(VALU_DEP_2)
	v_mov_b32_dpp v34, v33 row_shr:1 row_mask:0xf bank_mask:0xf
	v_cmpx_ne_u32_e32 0, v13
	s_cbranch_execz .LBB605_265
; %bb.264:
	s_delay_alu instid0(VALU_DEP_2) | instskip(SKIP_1) | instid1(VALU_DEP_2)
	v_dual_lshrrev_b32 v14, 16, v15 :: v_dual_lshrrev_b32 v33, 16, v34
	v_and_b32_e32 v15, 0x10000, v15
	v_and_b32_e32 v14, 0xff, v14
	s_delay_alu instid0(VALU_DEP_1) | instskip(NEXT) | instid1(VALU_DEP_1)
	v_cmp_eq_u16_e64 s17, 0, v14
	v_dual_cndmask_b32 v34, 1, v34, s17 :: v_dual_bitop2_b32 v33, 1, v33 bitop3:0x40
	s_delay_alu instid0(VALU_DEP_4) | instskip(NEXT) | instid1(VALU_DEP_2)
	v_cmp_ne_u32_e64 s17, 0, v15
	v_mul_lo_u16 v9, v34, v9
	s_delay_alu instid0(VALU_DEP_2) | instskip(NEXT) | instid1(VALU_DEP_2)
	v_cndmask_b32_e64 v14, v33, 1, s17
	v_and_b32_e32 v33, 0xffff, v9
	s_delay_alu instid0(VALU_DEP_2) | instskip(NEXT) | instid1(VALU_DEP_1)
	v_lshlrev_b32_e32 v15, 16, v14
	v_or3_b32 v33, v15, v33, v8
.LBB605_265:
	s_or_b32 exec_lo, exec_lo, s19
	s_delay_alu instid0(VALU_DEP_1)
	v_lshrrev_b32_e32 v15, 16, v33
	v_mov_b32_dpp v34, v33 row_shr:2 row_mask:0xf bank_mask:0xf
	s_mov_b32 s19, exec_lo
	v_cmpx_lt_u32_e32 1, v13
	s_cbranch_execz .LBB605_267
; %bb.266:
	v_and_b32_e32 v15, 0xff, v15
	v_and_b32_e32 v33, 0x10000, v33
	s_delay_alu instid0(VALU_DEP_2) | instskip(NEXT) | instid1(VALU_DEP_1)
	v_cmp_eq_u16_e64 s17, 0, v15
	v_dual_lshrrev_b32 v14, 16, v34 :: v_dual_cndmask_b32 v15, 1, v34, s17
	s_delay_alu instid0(VALU_DEP_1) | instskip(NEXT) | instid1(VALU_DEP_4)
	v_and_b32_e32 v14, 1, v14
	v_cmp_ne_u32_e64 s17, 0, v33
	s_delay_alu instid0(VALU_DEP_3) | instskip(NEXT) | instid1(VALU_DEP_2)
	v_mul_lo_u16 v9, v15, v9
	v_cndmask_b32_e64 v14, v14, 1, s17
	s_delay_alu instid0(VALU_DEP_2) | instskip(NEXT) | instid1(VALU_DEP_2)
	v_and_b32_e32 v33, 0xffff, v9
	v_lshlrev_b32_e32 v15, 16, v14
	s_delay_alu instid0(VALU_DEP_1)
	v_or3_b32 v33, v15, v33, v8
	v_mov_b32_e32 v15, v14
.LBB605_267:
	s_or_b32 exec_lo, exec_lo, s19
	s_delay_alu instid0(VALU_DEP_2)
	v_mov_b32_dpp v34, v33 row_shr:4 row_mask:0xf bank_mask:0xf
	s_mov_b32 s19, exec_lo
	v_cmpx_lt_u32_e32 3, v13
	s_cbranch_execz .LBB605_269
; %bb.268:
	v_and_b32_e32 v33, 0xff, v15
	v_dual_lshrrev_b32 v14, 16, v34 :: v_dual_bitop2_b32 v15, 1, v15 bitop3:0x40
	s_delay_alu instid0(VALU_DEP_2) | instskip(NEXT) | instid1(VALU_DEP_2)
	v_cmp_eq_u16_e64 s17, 0, v33
	v_and_b32_e32 v14, 1, v14
	s_delay_alu instid0(VALU_DEP_2) | instskip(NEXT) | instid1(VALU_DEP_4)
	v_cndmask_b32_e64 v33, 1, v34, s17
	v_cmp_eq_u32_e64 s17, 1, v15
	s_delay_alu instid0(VALU_DEP_2) | instskip(NEXT) | instid1(VALU_DEP_2)
	v_mul_lo_u16 v9, v33, v9
	v_cndmask_b32_e64 v14, v14, 1, s17
	s_delay_alu instid0(VALU_DEP_2) | instskip(NEXT) | instid1(VALU_DEP_2)
	v_and_b32_e32 v33, 0xffff, v9
	v_lshlrev_b32_e32 v15, 16, v14
	s_delay_alu instid0(VALU_DEP_1)
	v_or3_b32 v33, v15, v33, v8
	v_mov_b32_e32 v15, v14
.LBB605_269:
	s_or_b32 exec_lo, exec_lo, s19
	s_delay_alu instid0(VALU_DEP_2)
	v_mov_b32_dpp v34, v33 row_shr:8 row_mask:0xf bank_mask:0xf
	s_mov_b32 s19, exec_lo
	v_cmpx_lt_u32_e32 7, v13
	s_cbranch_execz .LBB605_271
; %bb.270:
	v_and_b32_e32 v14, 0xff, v15
	v_dual_lshrrev_b32 v13, 16, v34 :: v_dual_bitop2_b32 v15, 1, v15 bitop3:0x40
	s_delay_alu instid0(VALU_DEP_2) | instskip(NEXT) | instid1(VALU_DEP_1)
	v_cmp_eq_u16_e64 s17, 0, v14
	v_dual_cndmask_b32 v33, 1, v34, s17 :: v_dual_bitop2_b32 v13, 1, v13 bitop3:0x40
	s_delay_alu instid0(VALU_DEP_3) | instskip(NEXT) | instid1(VALU_DEP_2)
	v_cmp_eq_u32_e64 s17, 1, v15
	v_mul_lo_u16 v9, v33, v9
	s_delay_alu instid0(VALU_DEP_2) | instskip(NEXT) | instid1(VALU_DEP_2)
	v_cndmask_b32_e64 v14, v13, 1, s17
	v_and_b32_e32 v15, 0xffff, v9
	s_delay_alu instid0(VALU_DEP_2) | instskip(NEXT) | instid1(VALU_DEP_1)
	v_lshlrev_b32_e32 v13, 16, v14
	v_or3_b32 v33, v13, v15, v8
	v_mov_b32_e32 v15, v14
.LBB605_271:
	s_or_b32 exec_lo, exec_lo, s19
	ds_swizzle_b32 v13, v33 offset:swizzle(BROADCAST,32,15)
	v_and_b32_e32 v33, 16, v12
	s_mov_b32 s19, exec_lo
	s_delay_alu instid0(VALU_DEP_1)
	v_cmpx_ne_u32_e32 0, v33
	s_cbranch_execz .LBB605_273
; %bb.272:
	v_and_b32_e32 v14, 0xff, v15
	s_delay_alu instid0(VALU_DEP_1) | instskip(SKIP_2) | instid1(VALU_DEP_2)
	v_cmp_eq_u16_e64 s17, 0, v14
	s_wait_dscnt 0x0
	v_dual_lshrrev_b32 v33, 16, v13 :: v_dual_bitop2_b32 v14, 1, v15 bitop3:0x40
	v_cndmask_b32_e64 v13, 1, v13, s17
	s_delay_alu instid0(VALU_DEP_2) | instskip(NEXT) | instid1(VALU_DEP_3)
	v_and_b32_e32 v15, 1, v33
	v_cmp_eq_u32_e64 s17, 1, v14
	s_delay_alu instid0(VALU_DEP_3) | instskip(NEXT) | instid1(VALU_DEP_2)
	v_mul_lo_u16 v9, v13, v9
	v_cndmask_b32_e64 v14, v15, 1, s17
.LBB605_273:
	s_or_b32 exec_lo, exec_lo, s19
	s_wait_dscnt 0x0
	s_delay_alu instid0(VALU_DEP_1) | instskip(SKIP_2) | instid1(VALU_DEP_3)
	v_and_b32_e32 v13, 0xff, v14
	v_add_nc_u32_e32 v14, -1, v12
	v_and_b32_e32 v9, 0xffff, v9
	; wave barrier
	v_lshlrev_b32_e32 v13, 16, v13
	s_delay_alu instid0(VALU_DEP_3) | instskip(NEXT) | instid1(VALU_DEP_2)
	v_cmp_gt_i32_e64 s17, 0, v14
	v_or3_b32 v8, v13, v9, v8
	s_delay_alu instid0(VALU_DEP_2) | instskip(NEXT) | instid1(VALU_DEP_1)
	v_cndmask_b32_e64 v12, v14, v12, s17
	v_lshlrev_b32_e32 v9, 2, v12
	ds_bpermute_b32 v8, v9, v8
	v_and_b32_e32 v9, 0xff0000, v6
	s_delay_alu instid0(VALU_DEP_1) | instskip(SKIP_1) | instid1(VALU_DEP_1)
	v_cmp_eq_u32_e64 s17, 0, v9
	s_wait_dscnt 0x0
	v_dual_lshrrev_b32 v12, 16, v8 :: v_dual_cndmask_b32 v8, 1, v8, s17
	v_cmp_eq_u32_e64 s17, 0, v7
	s_delay_alu instid0(VALU_DEP_2) | instskip(NEXT) | instid1(VALU_DEP_3)
	v_and_b32_e32 v9, 1, v12
	v_mul_lo_u16 v6, v8, v6
	s_delay_alu instid0(VALU_DEP_2) | instskip(SKIP_1) | instid1(VALU_DEP_1)
	v_cndmask_b32_e64 v7, 1, v9, s17
	v_cmp_eq_u32_e64 s17, 0, v0
	v_dual_cndmask_b32 v4, v6, v4, s17 :: v_dual_cndmask_b32 v5, v7, v5, s17
	ds_store_b16 v3, v4
	ds_store_b8 v3, v5 offset:2
	; wave barrier
	ds_load_u8 v6, v3 offset:6
	ds_load_u16 v7, v3 offset:4
	ds_load_u8 v8, v3 offset:10
	ds_load_u16 v9, v3 offset:8
	ds_load_u16 v12, v3 offset:12
	ds_load_u8 v13, v3 offset:14
	ds_load_u16 v14, v3 offset:16
	ds_load_u8 v15, v3 offset:18
	s_wait_dscnt 0x7
	v_cmp_eq_u16_e64 s17, 0, v6
	s_delay_alu instid0(VALU_DEP_1) | instskip(SKIP_2) | instid1(VALU_DEP_2)
	v_dual_cndmask_b32 v4, 1, v4, s17 :: v_dual_bitop2_b32 v6, 1, v6 bitop3:0x40
	s_wait_dscnt 0x5
	v_cmp_eq_u16_e64 s17, 0, v8
	v_mul_lo_u16 v4, v4, v7
	s_delay_alu instid0(VALU_DEP_1) | instskip(SKIP_2) | instid1(VALU_DEP_2)
	v_cndmask_b32_e64 v7, 1, v4, s17
	s_wait_dscnt 0x2
	v_cmp_eq_u16_e64 s17, 0, v13
	v_mul_lo_u16 v7, v7, v9
	ds_load_u8 v9, v3 offset:22
	ds_load_u16 v34, v3 offset:20
	ds_load_u8 v35, v3 offset:26
	ds_load_u8 v36, v3 offset:30
	v_cndmask_b32_e64 v33, 1, v7, s17
	v_cmp_eq_u32_e64 s17, 1, v6
	v_and_b32_e32 v6, 1, v13
	s_delay_alu instid0(VALU_DEP_3) | instskip(NEXT) | instid1(VALU_DEP_3)
	v_mul_lo_u16 v12, v33, v12
	v_cndmask_b32_e64 v5, v5, 1, s17
	s_wait_dscnt 0x4
	v_cmp_eq_u16_e64 s17, 0, v15
	ds_load_u16 v33, v3 offset:24
	ds_load_u16 v37, v3 offset:28
	v_cndmask_b32_e64 v13, 1, v12, s17
	s_delay_alu instid0(VALU_DEP_1) | instskip(SKIP_4) | instid1(VALU_DEP_3)
	v_mul_lo_u16 v13, v13, v14
	v_and_b32_e32 v8, 1, v8
	v_and_b32_e32 v14, 1, v15
	s_wait_dscnt 0x2
	v_and_b32_e32 v38, 1, v36
	v_cmp_eq_u32_e64 s17, 1, v8
	s_delay_alu instid0(VALU_DEP_1) | instskip(SKIP_1) | instid1(VALU_DEP_1)
	v_cndmask_b32_e64 v8, v5, 1, s17
	v_cmp_eq_u32_e64 s17, 1, v6
	v_cndmask_b32_e64 v6, v8, 1, s17
	v_cmp_eq_u16_e64 s17, 0, v9
	v_and_b32_e32 v9, 1, v9
	s_delay_alu instid0(VALU_DEP_2) | instskip(SKIP_1) | instid1(VALU_DEP_2)
	v_cndmask_b32_e64 v15, 1, v13, s17
	v_cmp_eq_u32_e64 s17, 1, v14
	v_mul_lo_u16 v15, v15, v34
	s_delay_alu instid0(VALU_DEP_2)
	v_cndmask_b32_e64 v14, v6, 1, s17
	v_cmp_eq_u32_e64 s17, 1, v9
	v_and_b32_e32 v34, 1, v35
	ds_store_b16 v3, v4 offset:4
	ds_store_b8 v3, v5 offset:6
	ds_store_b16 v3, v7 offset:8
	ds_store_b8 v3, v8 offset:10
	;; [unrolled: 2-line block ×4, first 2 shown]
	v_cndmask_b32_e64 v9, v14, 1, s17
	v_cmp_eq_u16_e64 s17, 0, v35
	s_delay_alu instid0(VALU_DEP_1) | instskip(SKIP_2) | instid1(VALU_DEP_2)
	v_cndmask_b32_e64 v35, 1, v15, s17
	v_cmp_eq_u32_e64 s17, 1, v34
	s_wait_dscnt 0x9
	v_mul_lo_u16 v33, v35, v33
	s_delay_alu instid0(VALU_DEP_2) | instskip(SKIP_1) | instid1(VALU_DEP_1)
	v_cndmask_b32_e64 v34, v9, 1, s17
	v_cmp_eq_u32_e64 s17, 1, v38
	v_cndmask_b32_e64 v35, v34, 1, s17
	v_cmp_eq_u16_e64 s17, 0, v36
	s_delay_alu instid0(VALU_DEP_1) | instskip(SKIP_1) | instid1(VALU_DEP_1)
	v_cndmask_b32_e64 v36, 1, v33, s17
	s_wait_dscnt 0x8
	v_mul_lo_u16 v4, v36, v37
	ds_store_b16 v3, v15 offset:20
	ds_store_b8 v3, v9 offset:22
	ds_store_b16 v3, v33 offset:24
	ds_store_b8 v3, v34 offset:26
	;; [unrolled: 2-line block ×3, first 2 shown]
.LBB605_274:
	s_or_b32 exec_lo, exec_lo, s18
	v_cmp_eq_u32_e64 s17, 0, v0
	v_mov_b32_e32 v4, v2
	s_mov_b32 s19, exec_lo
	s_wait_dscnt 0x0
	s_barrier_signal -1
	s_barrier_wait -1
	v_cmpx_ne_u32_e32 0, v0
	s_cbranch_execz .LBB605_276
; %bb.275:
	v_add_nc_u32_e32 v3, -1, v0
	s_delay_alu instid0(VALU_DEP_1) | instskip(NEXT) | instid1(VALU_DEP_1)
	v_lshrrev_b32_e32 v4, 3, v3
	v_and_b32_e32 v4, 0x1ffffffc, v4
	s_delay_alu instid0(VALU_DEP_1) | instskip(SKIP_4) | instid1(VALU_DEP_1)
	v_lshl_add_u32 v3, v3, 2, v4
	ds_load_u8 v4, v3 offset:2
	ds_load_u16 v3, v3
	s_wait_dscnt 0x1
	v_cmp_eq_u16_e64 s18, 0, v4
	v_cndmask_b32_e64 v4, 1, v2, s18
	s_wait_dscnt 0x0
	s_delay_alu instid0(VALU_DEP_1)
	v_mul_lo_u16 v4, v4, v3
.LBB605_276:
	s_or_b32 exec_lo, exec_lo, s19
	v_and_b32_e32 v3, 0xff0000, v31
	s_delay_alu instid0(VALU_DEP_1) | instskip(NEXT) | instid1(VALU_DEP_1)
	v_cmp_eq_u32_e64 s18, 0, v3
	v_cndmask_b32_e64 v3, 1, v4, s18
	s_delay_alu instid0(VALU_DEP_1) | instskip(NEXT) | instid1(VALU_DEP_1)
	v_mul_lo_u16 v5, v3, v31
	v_cndmask_b32_e32 v3, 1, v5, vcc_lo
	s_delay_alu instid0(VALU_DEP_1) | instskip(NEXT) | instid1(VALU_DEP_1)
	v_mul_lo_u16 v6, v3, v11
	v_cndmask_b32_e64 v3, 1, v6, s0
	s_delay_alu instid0(VALU_DEP_1) | instskip(NEXT) | instid1(VALU_DEP_1)
	v_mul_lo_u16 v7, v3, v10
	v_cndmask_b32_e64 v3, 1, v7, s1
	;; [unrolled: 3-line block ×17, first 2 shown]
	s_and_saveexec_b32 s0, s17
	s_cbranch_execz .LBB605_278
; %bb.277:
	v_mov_b32_e32 v12, 0
	ds_load_u8 v10, v12 offset:1050
	ds_load_u16 v11, v12 offset:1048
	s_wait_dscnt 0x1
	v_cmp_eq_u32_e32 vcc_lo, 0, v10
	v_lshlrev_b32_e32 v10, 16, v10
	v_cndmask_b32_e32 v2, 1, v2, vcc_lo
	s_wait_dscnt 0x0
	s_delay_alu instid0(VALU_DEP_1) | instskip(SKIP_1) | instid1(VALU_DEP_2)
	v_mul_lo_u32 v2, v2, v11
	v_mov_b32_e32 v11, 2
	v_and_b32_e32 v2, 0xffff, v2
	s_delay_alu instid0(VALU_DEP_1)
	v_or_b32_e32 v10, v10, v2
	global_store_b64 v12, v[10:11], s[24:25] offset:256 scope:SCOPE_DEV
.LBB605_278:
	s_wait_xcnt 0x0
	s_or_b32 exec_lo, exec_lo, s0
	v_mul_lo_u16 v48, v3, v1
	s_add_nc_u64 s[0:1], s[22:23], s[34:35]
	s_and_b32 vcc_lo, exec_lo, s27
	s_add_nc_u64 s[0:1], s[0:1], s[20:21]
	s_cbranch_vccnz .LBB605_184
.LBB605_279:
	s_mov_b32 s2, 0
                                        ; implicit-def: $vgpr1
	s_cbranch_execz .LBB605_281
; %bb.280:
	s_wait_dscnt 0x0
	v_mul_u32_u24_e32 v1, 40, v0
	v_perm_b32 v3, v38, v36, 0x5040100
	v_perm_b32 v2, v9, v8, 0x5040100
	;; [unrolled: 1-line block ×4, first 2 shown]
	v_mul_i32_i24_e32 v12, 0xffffffda, v0
	v_perm_b32 v5, v45, v43, 0x5040100
	v_perm_b32 v4, v42, v41, 0x5040100
	v_perm_b32 v9, v40, v39, 0x5040100
	v_perm_b32 v8, v37, v35, 0x5040100
	v_perm_b32 v11, v48, v47, 0x5040100
	v_perm_b32 v10, v46, v44, 0x5040100
	s_wait_storecnt 0x0
	s_barrier_signal -1
	s_barrier_wait -1
	ds_store_2addr_b64 v1, v[6:7], v[2:3] offset1:1
	ds_store_2addr_b64 v1, v[8:9], v[4:5] offset0:2 offset1:3
	ds_store_b64 v1, v[10:11] offset:32
	v_mad_u32_u24 v1, v0, 40, v12
	s_wait_dscnt 0x0
	s_barrier_signal -1
	s_barrier_wait -1
	ds_load_u16 v2, v1
	ds_load_u16 v3, v1 offset:512
	ds_load_u16 v4, v1 offset:1024
	;; [unrolled: 1-line block ×19, first 2 shown]
	s_or_b32 s2, s2, exec_lo
	s_wait_dscnt 0x13
	flat_store_b16 v0, v2, s[0:1] scale_offset
	s_wait_dscnt 0x13
	flat_store_b16 v0, v3, s[0:1] offset:512 scale_offset
	s_wait_dscnt 0x13
	flat_store_b16 v0, v4, s[0:1] offset:1024 scale_offset
	;; [unrolled: 2-line block ×18, first 2 shown]
.LBB605_281:
	s_wait_xcnt 0x0
	s_delay_alu instid0(VALU_DEP_1)
	s_and_saveexec_b32 s3, s2
	s_cbranch_execz .LBB605_283
; %bb.282:
	s_wait_dscnt 0x0
	flat_store_b16 v0, v1, s[0:1] offset:9728 scale_offset
	s_endpgm
.LBB605_283:
	s_endpgm
	.section	.rodata,"a",@progbits
	.p2align	6, 0x0
	.amdhsa_kernel _ZN7rocprim17ROCPRIM_400000_NS6detail17trampoline_kernelINS0_14default_configENS1_27scan_by_key_config_selectorIssEEZZNS1_16scan_by_key_implILNS1_25lookback_scan_determinismE0ELb1ES3_N6thrust23THRUST_200600_302600_NS6detail15normal_iteratorINS9_10device_ptrIsEEEESE_SE_sNS9_10multipliesIsEENS9_8equal_toIsEEsEE10hipError_tPvRmT2_T3_T4_T5_mT6_T7_P12ihipStream_tbENKUlT_T0_E_clISt17integral_constantIbLb0EESZ_EEDaSU_SV_EUlSU_E_NS1_11comp_targetILNS1_3genE0ELNS1_11target_archE4294967295ELNS1_3gpuE0ELNS1_3repE0EEENS1_30default_config_static_selectorELNS0_4arch9wavefront6targetE0EEEvT1_
		.amdhsa_group_segment_fixed_size 11264
		.amdhsa_private_segment_fixed_size 0
		.amdhsa_kernarg_size 112
		.amdhsa_user_sgpr_count 2
		.amdhsa_user_sgpr_dispatch_ptr 0
		.amdhsa_user_sgpr_queue_ptr 0
		.amdhsa_user_sgpr_kernarg_segment_ptr 1
		.amdhsa_user_sgpr_dispatch_id 0
		.amdhsa_user_sgpr_kernarg_preload_length 0
		.amdhsa_user_sgpr_kernarg_preload_offset 0
		.amdhsa_user_sgpr_private_segment_size 0
		.amdhsa_wavefront_size32 1
		.amdhsa_uses_dynamic_stack 0
		.amdhsa_enable_private_segment 0
		.amdhsa_system_sgpr_workgroup_id_x 1
		.amdhsa_system_sgpr_workgroup_id_y 0
		.amdhsa_system_sgpr_workgroup_id_z 0
		.amdhsa_system_sgpr_workgroup_info 0
		.amdhsa_system_vgpr_workitem_id 0
		.amdhsa_next_free_vgpr 56
		.amdhsa_next_free_sgpr 45
		.amdhsa_named_barrier_count 0
		.amdhsa_reserve_vcc 1
		.amdhsa_float_round_mode_32 0
		.amdhsa_float_round_mode_16_64 0
		.amdhsa_float_denorm_mode_32 3
		.amdhsa_float_denorm_mode_16_64 3
		.amdhsa_fp16_overflow 0
		.amdhsa_memory_ordered 1
		.amdhsa_forward_progress 1
		.amdhsa_inst_pref_size 152
		.amdhsa_round_robin_scheduling 0
		.amdhsa_exception_fp_ieee_invalid_op 0
		.amdhsa_exception_fp_denorm_src 0
		.amdhsa_exception_fp_ieee_div_zero 0
		.amdhsa_exception_fp_ieee_overflow 0
		.amdhsa_exception_fp_ieee_underflow 0
		.amdhsa_exception_fp_ieee_inexact 0
		.amdhsa_exception_int_div_zero 0
	.end_amdhsa_kernel
	.section	.text._ZN7rocprim17ROCPRIM_400000_NS6detail17trampoline_kernelINS0_14default_configENS1_27scan_by_key_config_selectorIssEEZZNS1_16scan_by_key_implILNS1_25lookback_scan_determinismE0ELb1ES3_N6thrust23THRUST_200600_302600_NS6detail15normal_iteratorINS9_10device_ptrIsEEEESE_SE_sNS9_10multipliesIsEENS9_8equal_toIsEEsEE10hipError_tPvRmT2_T3_T4_T5_mT6_T7_P12ihipStream_tbENKUlT_T0_E_clISt17integral_constantIbLb0EESZ_EEDaSU_SV_EUlSU_E_NS1_11comp_targetILNS1_3genE0ELNS1_11target_archE4294967295ELNS1_3gpuE0ELNS1_3repE0EEENS1_30default_config_static_selectorELNS0_4arch9wavefront6targetE0EEEvT1_,"axG",@progbits,_ZN7rocprim17ROCPRIM_400000_NS6detail17trampoline_kernelINS0_14default_configENS1_27scan_by_key_config_selectorIssEEZZNS1_16scan_by_key_implILNS1_25lookback_scan_determinismE0ELb1ES3_N6thrust23THRUST_200600_302600_NS6detail15normal_iteratorINS9_10device_ptrIsEEEESE_SE_sNS9_10multipliesIsEENS9_8equal_toIsEEsEE10hipError_tPvRmT2_T3_T4_T5_mT6_T7_P12ihipStream_tbENKUlT_T0_E_clISt17integral_constantIbLb0EESZ_EEDaSU_SV_EUlSU_E_NS1_11comp_targetILNS1_3genE0ELNS1_11target_archE4294967295ELNS1_3gpuE0ELNS1_3repE0EEENS1_30default_config_static_selectorELNS0_4arch9wavefront6targetE0EEEvT1_,comdat
.Lfunc_end605:
	.size	_ZN7rocprim17ROCPRIM_400000_NS6detail17trampoline_kernelINS0_14default_configENS1_27scan_by_key_config_selectorIssEEZZNS1_16scan_by_key_implILNS1_25lookback_scan_determinismE0ELb1ES3_N6thrust23THRUST_200600_302600_NS6detail15normal_iteratorINS9_10device_ptrIsEEEESE_SE_sNS9_10multipliesIsEENS9_8equal_toIsEEsEE10hipError_tPvRmT2_T3_T4_T5_mT6_T7_P12ihipStream_tbENKUlT_T0_E_clISt17integral_constantIbLb0EESZ_EEDaSU_SV_EUlSU_E_NS1_11comp_targetILNS1_3genE0ELNS1_11target_archE4294967295ELNS1_3gpuE0ELNS1_3repE0EEENS1_30default_config_static_selectorELNS0_4arch9wavefront6targetE0EEEvT1_, .Lfunc_end605-_ZN7rocprim17ROCPRIM_400000_NS6detail17trampoline_kernelINS0_14default_configENS1_27scan_by_key_config_selectorIssEEZZNS1_16scan_by_key_implILNS1_25lookback_scan_determinismE0ELb1ES3_N6thrust23THRUST_200600_302600_NS6detail15normal_iteratorINS9_10device_ptrIsEEEESE_SE_sNS9_10multipliesIsEENS9_8equal_toIsEEsEE10hipError_tPvRmT2_T3_T4_T5_mT6_T7_P12ihipStream_tbENKUlT_T0_E_clISt17integral_constantIbLb0EESZ_EEDaSU_SV_EUlSU_E_NS1_11comp_targetILNS1_3genE0ELNS1_11target_archE4294967295ELNS1_3gpuE0ELNS1_3repE0EEENS1_30default_config_static_selectorELNS0_4arch9wavefront6targetE0EEEvT1_
                                        ; -- End function
	.set _ZN7rocprim17ROCPRIM_400000_NS6detail17trampoline_kernelINS0_14default_configENS1_27scan_by_key_config_selectorIssEEZZNS1_16scan_by_key_implILNS1_25lookback_scan_determinismE0ELb1ES3_N6thrust23THRUST_200600_302600_NS6detail15normal_iteratorINS9_10device_ptrIsEEEESE_SE_sNS9_10multipliesIsEENS9_8equal_toIsEEsEE10hipError_tPvRmT2_T3_T4_T5_mT6_T7_P12ihipStream_tbENKUlT_T0_E_clISt17integral_constantIbLb0EESZ_EEDaSU_SV_EUlSU_E_NS1_11comp_targetILNS1_3genE0ELNS1_11target_archE4294967295ELNS1_3gpuE0ELNS1_3repE0EEENS1_30default_config_static_selectorELNS0_4arch9wavefront6targetE0EEEvT1_.num_vgpr, 56
	.set _ZN7rocprim17ROCPRIM_400000_NS6detail17trampoline_kernelINS0_14default_configENS1_27scan_by_key_config_selectorIssEEZZNS1_16scan_by_key_implILNS1_25lookback_scan_determinismE0ELb1ES3_N6thrust23THRUST_200600_302600_NS6detail15normal_iteratorINS9_10device_ptrIsEEEESE_SE_sNS9_10multipliesIsEENS9_8equal_toIsEEsEE10hipError_tPvRmT2_T3_T4_T5_mT6_T7_P12ihipStream_tbENKUlT_T0_E_clISt17integral_constantIbLb0EESZ_EEDaSU_SV_EUlSU_E_NS1_11comp_targetILNS1_3genE0ELNS1_11target_archE4294967295ELNS1_3gpuE0ELNS1_3repE0EEENS1_30default_config_static_selectorELNS0_4arch9wavefront6targetE0EEEvT1_.num_agpr, 0
	.set _ZN7rocprim17ROCPRIM_400000_NS6detail17trampoline_kernelINS0_14default_configENS1_27scan_by_key_config_selectorIssEEZZNS1_16scan_by_key_implILNS1_25lookback_scan_determinismE0ELb1ES3_N6thrust23THRUST_200600_302600_NS6detail15normal_iteratorINS9_10device_ptrIsEEEESE_SE_sNS9_10multipliesIsEENS9_8equal_toIsEEsEE10hipError_tPvRmT2_T3_T4_T5_mT6_T7_P12ihipStream_tbENKUlT_T0_E_clISt17integral_constantIbLb0EESZ_EEDaSU_SV_EUlSU_E_NS1_11comp_targetILNS1_3genE0ELNS1_11target_archE4294967295ELNS1_3gpuE0ELNS1_3repE0EEENS1_30default_config_static_selectorELNS0_4arch9wavefront6targetE0EEEvT1_.numbered_sgpr, 45
	.set _ZN7rocprim17ROCPRIM_400000_NS6detail17trampoline_kernelINS0_14default_configENS1_27scan_by_key_config_selectorIssEEZZNS1_16scan_by_key_implILNS1_25lookback_scan_determinismE0ELb1ES3_N6thrust23THRUST_200600_302600_NS6detail15normal_iteratorINS9_10device_ptrIsEEEESE_SE_sNS9_10multipliesIsEENS9_8equal_toIsEEsEE10hipError_tPvRmT2_T3_T4_T5_mT6_T7_P12ihipStream_tbENKUlT_T0_E_clISt17integral_constantIbLb0EESZ_EEDaSU_SV_EUlSU_E_NS1_11comp_targetILNS1_3genE0ELNS1_11target_archE4294967295ELNS1_3gpuE0ELNS1_3repE0EEENS1_30default_config_static_selectorELNS0_4arch9wavefront6targetE0EEEvT1_.num_named_barrier, 0
	.set _ZN7rocprim17ROCPRIM_400000_NS6detail17trampoline_kernelINS0_14default_configENS1_27scan_by_key_config_selectorIssEEZZNS1_16scan_by_key_implILNS1_25lookback_scan_determinismE0ELb1ES3_N6thrust23THRUST_200600_302600_NS6detail15normal_iteratorINS9_10device_ptrIsEEEESE_SE_sNS9_10multipliesIsEENS9_8equal_toIsEEsEE10hipError_tPvRmT2_T3_T4_T5_mT6_T7_P12ihipStream_tbENKUlT_T0_E_clISt17integral_constantIbLb0EESZ_EEDaSU_SV_EUlSU_E_NS1_11comp_targetILNS1_3genE0ELNS1_11target_archE4294967295ELNS1_3gpuE0ELNS1_3repE0EEENS1_30default_config_static_selectorELNS0_4arch9wavefront6targetE0EEEvT1_.private_seg_size, 0
	.set _ZN7rocprim17ROCPRIM_400000_NS6detail17trampoline_kernelINS0_14default_configENS1_27scan_by_key_config_selectorIssEEZZNS1_16scan_by_key_implILNS1_25lookback_scan_determinismE0ELb1ES3_N6thrust23THRUST_200600_302600_NS6detail15normal_iteratorINS9_10device_ptrIsEEEESE_SE_sNS9_10multipliesIsEENS9_8equal_toIsEEsEE10hipError_tPvRmT2_T3_T4_T5_mT6_T7_P12ihipStream_tbENKUlT_T0_E_clISt17integral_constantIbLb0EESZ_EEDaSU_SV_EUlSU_E_NS1_11comp_targetILNS1_3genE0ELNS1_11target_archE4294967295ELNS1_3gpuE0ELNS1_3repE0EEENS1_30default_config_static_selectorELNS0_4arch9wavefront6targetE0EEEvT1_.uses_vcc, 1
	.set _ZN7rocprim17ROCPRIM_400000_NS6detail17trampoline_kernelINS0_14default_configENS1_27scan_by_key_config_selectorIssEEZZNS1_16scan_by_key_implILNS1_25lookback_scan_determinismE0ELb1ES3_N6thrust23THRUST_200600_302600_NS6detail15normal_iteratorINS9_10device_ptrIsEEEESE_SE_sNS9_10multipliesIsEENS9_8equal_toIsEEsEE10hipError_tPvRmT2_T3_T4_T5_mT6_T7_P12ihipStream_tbENKUlT_T0_E_clISt17integral_constantIbLb0EESZ_EEDaSU_SV_EUlSU_E_NS1_11comp_targetILNS1_3genE0ELNS1_11target_archE4294967295ELNS1_3gpuE0ELNS1_3repE0EEENS1_30default_config_static_selectorELNS0_4arch9wavefront6targetE0EEEvT1_.uses_flat_scratch, 1
	.set _ZN7rocprim17ROCPRIM_400000_NS6detail17trampoline_kernelINS0_14default_configENS1_27scan_by_key_config_selectorIssEEZZNS1_16scan_by_key_implILNS1_25lookback_scan_determinismE0ELb1ES3_N6thrust23THRUST_200600_302600_NS6detail15normal_iteratorINS9_10device_ptrIsEEEESE_SE_sNS9_10multipliesIsEENS9_8equal_toIsEEsEE10hipError_tPvRmT2_T3_T4_T5_mT6_T7_P12ihipStream_tbENKUlT_T0_E_clISt17integral_constantIbLb0EESZ_EEDaSU_SV_EUlSU_E_NS1_11comp_targetILNS1_3genE0ELNS1_11target_archE4294967295ELNS1_3gpuE0ELNS1_3repE0EEENS1_30default_config_static_selectorELNS0_4arch9wavefront6targetE0EEEvT1_.has_dyn_sized_stack, 0
	.set _ZN7rocprim17ROCPRIM_400000_NS6detail17trampoline_kernelINS0_14default_configENS1_27scan_by_key_config_selectorIssEEZZNS1_16scan_by_key_implILNS1_25lookback_scan_determinismE0ELb1ES3_N6thrust23THRUST_200600_302600_NS6detail15normal_iteratorINS9_10device_ptrIsEEEESE_SE_sNS9_10multipliesIsEENS9_8equal_toIsEEsEE10hipError_tPvRmT2_T3_T4_T5_mT6_T7_P12ihipStream_tbENKUlT_T0_E_clISt17integral_constantIbLb0EESZ_EEDaSU_SV_EUlSU_E_NS1_11comp_targetILNS1_3genE0ELNS1_11target_archE4294967295ELNS1_3gpuE0ELNS1_3repE0EEENS1_30default_config_static_selectorELNS0_4arch9wavefront6targetE0EEEvT1_.has_recursion, 0
	.set _ZN7rocprim17ROCPRIM_400000_NS6detail17trampoline_kernelINS0_14default_configENS1_27scan_by_key_config_selectorIssEEZZNS1_16scan_by_key_implILNS1_25lookback_scan_determinismE0ELb1ES3_N6thrust23THRUST_200600_302600_NS6detail15normal_iteratorINS9_10device_ptrIsEEEESE_SE_sNS9_10multipliesIsEENS9_8equal_toIsEEsEE10hipError_tPvRmT2_T3_T4_T5_mT6_T7_P12ihipStream_tbENKUlT_T0_E_clISt17integral_constantIbLb0EESZ_EEDaSU_SV_EUlSU_E_NS1_11comp_targetILNS1_3genE0ELNS1_11target_archE4294967295ELNS1_3gpuE0ELNS1_3repE0EEENS1_30default_config_static_selectorELNS0_4arch9wavefront6targetE0EEEvT1_.has_indirect_call, 0
	.section	.AMDGPU.csdata,"",@progbits
; Kernel info:
; codeLenInByte = 19380
; TotalNumSgprs: 47
; NumVgprs: 56
; ScratchSize: 0
; MemoryBound: 0
; FloatMode: 240
; IeeeMode: 1
; LDSByteSize: 11264 bytes/workgroup (compile time only)
; SGPRBlocks: 0
; VGPRBlocks: 3
; NumSGPRsForWavesPerEU: 47
; NumVGPRsForWavesPerEU: 56
; NamedBarCnt: 0
; Occupancy: 16
; WaveLimiterHint : 1
; COMPUTE_PGM_RSRC2:SCRATCH_EN: 0
; COMPUTE_PGM_RSRC2:USER_SGPR: 2
; COMPUTE_PGM_RSRC2:TRAP_HANDLER: 0
; COMPUTE_PGM_RSRC2:TGID_X_EN: 1
; COMPUTE_PGM_RSRC2:TGID_Y_EN: 0
; COMPUTE_PGM_RSRC2:TGID_Z_EN: 0
; COMPUTE_PGM_RSRC2:TIDIG_COMP_CNT: 0
	.section	.text._ZN7rocprim17ROCPRIM_400000_NS6detail17trampoline_kernelINS0_14default_configENS1_27scan_by_key_config_selectorIssEEZZNS1_16scan_by_key_implILNS1_25lookback_scan_determinismE0ELb1ES3_N6thrust23THRUST_200600_302600_NS6detail15normal_iteratorINS9_10device_ptrIsEEEESE_SE_sNS9_10multipliesIsEENS9_8equal_toIsEEsEE10hipError_tPvRmT2_T3_T4_T5_mT6_T7_P12ihipStream_tbENKUlT_T0_E_clISt17integral_constantIbLb0EESZ_EEDaSU_SV_EUlSU_E_NS1_11comp_targetILNS1_3genE10ELNS1_11target_archE1201ELNS1_3gpuE5ELNS1_3repE0EEENS1_30default_config_static_selectorELNS0_4arch9wavefront6targetE0EEEvT1_,"axG",@progbits,_ZN7rocprim17ROCPRIM_400000_NS6detail17trampoline_kernelINS0_14default_configENS1_27scan_by_key_config_selectorIssEEZZNS1_16scan_by_key_implILNS1_25lookback_scan_determinismE0ELb1ES3_N6thrust23THRUST_200600_302600_NS6detail15normal_iteratorINS9_10device_ptrIsEEEESE_SE_sNS9_10multipliesIsEENS9_8equal_toIsEEsEE10hipError_tPvRmT2_T3_T4_T5_mT6_T7_P12ihipStream_tbENKUlT_T0_E_clISt17integral_constantIbLb0EESZ_EEDaSU_SV_EUlSU_E_NS1_11comp_targetILNS1_3genE10ELNS1_11target_archE1201ELNS1_3gpuE5ELNS1_3repE0EEENS1_30default_config_static_selectorELNS0_4arch9wavefront6targetE0EEEvT1_,comdat
	.protected	_ZN7rocprim17ROCPRIM_400000_NS6detail17trampoline_kernelINS0_14default_configENS1_27scan_by_key_config_selectorIssEEZZNS1_16scan_by_key_implILNS1_25lookback_scan_determinismE0ELb1ES3_N6thrust23THRUST_200600_302600_NS6detail15normal_iteratorINS9_10device_ptrIsEEEESE_SE_sNS9_10multipliesIsEENS9_8equal_toIsEEsEE10hipError_tPvRmT2_T3_T4_T5_mT6_T7_P12ihipStream_tbENKUlT_T0_E_clISt17integral_constantIbLb0EESZ_EEDaSU_SV_EUlSU_E_NS1_11comp_targetILNS1_3genE10ELNS1_11target_archE1201ELNS1_3gpuE5ELNS1_3repE0EEENS1_30default_config_static_selectorELNS0_4arch9wavefront6targetE0EEEvT1_ ; -- Begin function _ZN7rocprim17ROCPRIM_400000_NS6detail17trampoline_kernelINS0_14default_configENS1_27scan_by_key_config_selectorIssEEZZNS1_16scan_by_key_implILNS1_25lookback_scan_determinismE0ELb1ES3_N6thrust23THRUST_200600_302600_NS6detail15normal_iteratorINS9_10device_ptrIsEEEESE_SE_sNS9_10multipliesIsEENS9_8equal_toIsEEsEE10hipError_tPvRmT2_T3_T4_T5_mT6_T7_P12ihipStream_tbENKUlT_T0_E_clISt17integral_constantIbLb0EESZ_EEDaSU_SV_EUlSU_E_NS1_11comp_targetILNS1_3genE10ELNS1_11target_archE1201ELNS1_3gpuE5ELNS1_3repE0EEENS1_30default_config_static_selectorELNS0_4arch9wavefront6targetE0EEEvT1_
	.globl	_ZN7rocprim17ROCPRIM_400000_NS6detail17trampoline_kernelINS0_14default_configENS1_27scan_by_key_config_selectorIssEEZZNS1_16scan_by_key_implILNS1_25lookback_scan_determinismE0ELb1ES3_N6thrust23THRUST_200600_302600_NS6detail15normal_iteratorINS9_10device_ptrIsEEEESE_SE_sNS9_10multipliesIsEENS9_8equal_toIsEEsEE10hipError_tPvRmT2_T3_T4_T5_mT6_T7_P12ihipStream_tbENKUlT_T0_E_clISt17integral_constantIbLb0EESZ_EEDaSU_SV_EUlSU_E_NS1_11comp_targetILNS1_3genE10ELNS1_11target_archE1201ELNS1_3gpuE5ELNS1_3repE0EEENS1_30default_config_static_selectorELNS0_4arch9wavefront6targetE0EEEvT1_
	.p2align	8
	.type	_ZN7rocprim17ROCPRIM_400000_NS6detail17trampoline_kernelINS0_14default_configENS1_27scan_by_key_config_selectorIssEEZZNS1_16scan_by_key_implILNS1_25lookback_scan_determinismE0ELb1ES3_N6thrust23THRUST_200600_302600_NS6detail15normal_iteratorINS9_10device_ptrIsEEEESE_SE_sNS9_10multipliesIsEENS9_8equal_toIsEEsEE10hipError_tPvRmT2_T3_T4_T5_mT6_T7_P12ihipStream_tbENKUlT_T0_E_clISt17integral_constantIbLb0EESZ_EEDaSU_SV_EUlSU_E_NS1_11comp_targetILNS1_3genE10ELNS1_11target_archE1201ELNS1_3gpuE5ELNS1_3repE0EEENS1_30default_config_static_selectorELNS0_4arch9wavefront6targetE0EEEvT1_,@function
_ZN7rocprim17ROCPRIM_400000_NS6detail17trampoline_kernelINS0_14default_configENS1_27scan_by_key_config_selectorIssEEZZNS1_16scan_by_key_implILNS1_25lookback_scan_determinismE0ELb1ES3_N6thrust23THRUST_200600_302600_NS6detail15normal_iteratorINS9_10device_ptrIsEEEESE_SE_sNS9_10multipliesIsEENS9_8equal_toIsEEsEE10hipError_tPvRmT2_T3_T4_T5_mT6_T7_P12ihipStream_tbENKUlT_T0_E_clISt17integral_constantIbLb0EESZ_EEDaSU_SV_EUlSU_E_NS1_11comp_targetILNS1_3genE10ELNS1_11target_archE1201ELNS1_3gpuE5ELNS1_3repE0EEENS1_30default_config_static_selectorELNS0_4arch9wavefront6targetE0EEEvT1_: ; @_ZN7rocprim17ROCPRIM_400000_NS6detail17trampoline_kernelINS0_14default_configENS1_27scan_by_key_config_selectorIssEEZZNS1_16scan_by_key_implILNS1_25lookback_scan_determinismE0ELb1ES3_N6thrust23THRUST_200600_302600_NS6detail15normal_iteratorINS9_10device_ptrIsEEEESE_SE_sNS9_10multipliesIsEENS9_8equal_toIsEEsEE10hipError_tPvRmT2_T3_T4_T5_mT6_T7_P12ihipStream_tbENKUlT_T0_E_clISt17integral_constantIbLb0EESZ_EEDaSU_SV_EUlSU_E_NS1_11comp_targetILNS1_3genE10ELNS1_11target_archE1201ELNS1_3gpuE5ELNS1_3repE0EEENS1_30default_config_static_selectorELNS0_4arch9wavefront6targetE0EEEvT1_
; %bb.0:
	.section	.rodata,"a",@progbits
	.p2align	6, 0x0
	.amdhsa_kernel _ZN7rocprim17ROCPRIM_400000_NS6detail17trampoline_kernelINS0_14default_configENS1_27scan_by_key_config_selectorIssEEZZNS1_16scan_by_key_implILNS1_25lookback_scan_determinismE0ELb1ES3_N6thrust23THRUST_200600_302600_NS6detail15normal_iteratorINS9_10device_ptrIsEEEESE_SE_sNS9_10multipliesIsEENS9_8equal_toIsEEsEE10hipError_tPvRmT2_T3_T4_T5_mT6_T7_P12ihipStream_tbENKUlT_T0_E_clISt17integral_constantIbLb0EESZ_EEDaSU_SV_EUlSU_E_NS1_11comp_targetILNS1_3genE10ELNS1_11target_archE1201ELNS1_3gpuE5ELNS1_3repE0EEENS1_30default_config_static_selectorELNS0_4arch9wavefront6targetE0EEEvT1_
		.amdhsa_group_segment_fixed_size 0
		.amdhsa_private_segment_fixed_size 0
		.amdhsa_kernarg_size 112
		.amdhsa_user_sgpr_count 2
		.amdhsa_user_sgpr_dispatch_ptr 0
		.amdhsa_user_sgpr_queue_ptr 0
		.amdhsa_user_sgpr_kernarg_segment_ptr 1
		.amdhsa_user_sgpr_dispatch_id 0
		.amdhsa_user_sgpr_kernarg_preload_length 0
		.amdhsa_user_sgpr_kernarg_preload_offset 0
		.amdhsa_user_sgpr_private_segment_size 0
		.amdhsa_wavefront_size32 1
		.amdhsa_uses_dynamic_stack 0
		.amdhsa_enable_private_segment 0
		.amdhsa_system_sgpr_workgroup_id_x 1
		.amdhsa_system_sgpr_workgroup_id_y 0
		.amdhsa_system_sgpr_workgroup_id_z 0
		.amdhsa_system_sgpr_workgroup_info 0
		.amdhsa_system_vgpr_workitem_id 0
		.amdhsa_next_free_vgpr 1
		.amdhsa_next_free_sgpr 1
		.amdhsa_named_barrier_count 0
		.amdhsa_reserve_vcc 0
		.amdhsa_float_round_mode_32 0
		.amdhsa_float_round_mode_16_64 0
		.amdhsa_float_denorm_mode_32 3
		.amdhsa_float_denorm_mode_16_64 3
		.amdhsa_fp16_overflow 0
		.amdhsa_memory_ordered 1
		.amdhsa_forward_progress 1
		.amdhsa_inst_pref_size 0
		.amdhsa_round_robin_scheduling 0
		.amdhsa_exception_fp_ieee_invalid_op 0
		.amdhsa_exception_fp_denorm_src 0
		.amdhsa_exception_fp_ieee_div_zero 0
		.amdhsa_exception_fp_ieee_overflow 0
		.amdhsa_exception_fp_ieee_underflow 0
		.amdhsa_exception_fp_ieee_inexact 0
		.amdhsa_exception_int_div_zero 0
	.end_amdhsa_kernel
	.section	.text._ZN7rocprim17ROCPRIM_400000_NS6detail17trampoline_kernelINS0_14default_configENS1_27scan_by_key_config_selectorIssEEZZNS1_16scan_by_key_implILNS1_25lookback_scan_determinismE0ELb1ES3_N6thrust23THRUST_200600_302600_NS6detail15normal_iteratorINS9_10device_ptrIsEEEESE_SE_sNS9_10multipliesIsEENS9_8equal_toIsEEsEE10hipError_tPvRmT2_T3_T4_T5_mT6_T7_P12ihipStream_tbENKUlT_T0_E_clISt17integral_constantIbLb0EESZ_EEDaSU_SV_EUlSU_E_NS1_11comp_targetILNS1_3genE10ELNS1_11target_archE1201ELNS1_3gpuE5ELNS1_3repE0EEENS1_30default_config_static_selectorELNS0_4arch9wavefront6targetE0EEEvT1_,"axG",@progbits,_ZN7rocprim17ROCPRIM_400000_NS6detail17trampoline_kernelINS0_14default_configENS1_27scan_by_key_config_selectorIssEEZZNS1_16scan_by_key_implILNS1_25lookback_scan_determinismE0ELb1ES3_N6thrust23THRUST_200600_302600_NS6detail15normal_iteratorINS9_10device_ptrIsEEEESE_SE_sNS9_10multipliesIsEENS9_8equal_toIsEEsEE10hipError_tPvRmT2_T3_T4_T5_mT6_T7_P12ihipStream_tbENKUlT_T0_E_clISt17integral_constantIbLb0EESZ_EEDaSU_SV_EUlSU_E_NS1_11comp_targetILNS1_3genE10ELNS1_11target_archE1201ELNS1_3gpuE5ELNS1_3repE0EEENS1_30default_config_static_selectorELNS0_4arch9wavefront6targetE0EEEvT1_,comdat
.Lfunc_end606:
	.size	_ZN7rocprim17ROCPRIM_400000_NS6detail17trampoline_kernelINS0_14default_configENS1_27scan_by_key_config_selectorIssEEZZNS1_16scan_by_key_implILNS1_25lookback_scan_determinismE0ELb1ES3_N6thrust23THRUST_200600_302600_NS6detail15normal_iteratorINS9_10device_ptrIsEEEESE_SE_sNS9_10multipliesIsEENS9_8equal_toIsEEsEE10hipError_tPvRmT2_T3_T4_T5_mT6_T7_P12ihipStream_tbENKUlT_T0_E_clISt17integral_constantIbLb0EESZ_EEDaSU_SV_EUlSU_E_NS1_11comp_targetILNS1_3genE10ELNS1_11target_archE1201ELNS1_3gpuE5ELNS1_3repE0EEENS1_30default_config_static_selectorELNS0_4arch9wavefront6targetE0EEEvT1_, .Lfunc_end606-_ZN7rocprim17ROCPRIM_400000_NS6detail17trampoline_kernelINS0_14default_configENS1_27scan_by_key_config_selectorIssEEZZNS1_16scan_by_key_implILNS1_25lookback_scan_determinismE0ELb1ES3_N6thrust23THRUST_200600_302600_NS6detail15normal_iteratorINS9_10device_ptrIsEEEESE_SE_sNS9_10multipliesIsEENS9_8equal_toIsEEsEE10hipError_tPvRmT2_T3_T4_T5_mT6_T7_P12ihipStream_tbENKUlT_T0_E_clISt17integral_constantIbLb0EESZ_EEDaSU_SV_EUlSU_E_NS1_11comp_targetILNS1_3genE10ELNS1_11target_archE1201ELNS1_3gpuE5ELNS1_3repE0EEENS1_30default_config_static_selectorELNS0_4arch9wavefront6targetE0EEEvT1_
                                        ; -- End function
	.set _ZN7rocprim17ROCPRIM_400000_NS6detail17trampoline_kernelINS0_14default_configENS1_27scan_by_key_config_selectorIssEEZZNS1_16scan_by_key_implILNS1_25lookback_scan_determinismE0ELb1ES3_N6thrust23THRUST_200600_302600_NS6detail15normal_iteratorINS9_10device_ptrIsEEEESE_SE_sNS9_10multipliesIsEENS9_8equal_toIsEEsEE10hipError_tPvRmT2_T3_T4_T5_mT6_T7_P12ihipStream_tbENKUlT_T0_E_clISt17integral_constantIbLb0EESZ_EEDaSU_SV_EUlSU_E_NS1_11comp_targetILNS1_3genE10ELNS1_11target_archE1201ELNS1_3gpuE5ELNS1_3repE0EEENS1_30default_config_static_selectorELNS0_4arch9wavefront6targetE0EEEvT1_.num_vgpr, 0
	.set _ZN7rocprim17ROCPRIM_400000_NS6detail17trampoline_kernelINS0_14default_configENS1_27scan_by_key_config_selectorIssEEZZNS1_16scan_by_key_implILNS1_25lookback_scan_determinismE0ELb1ES3_N6thrust23THRUST_200600_302600_NS6detail15normal_iteratorINS9_10device_ptrIsEEEESE_SE_sNS9_10multipliesIsEENS9_8equal_toIsEEsEE10hipError_tPvRmT2_T3_T4_T5_mT6_T7_P12ihipStream_tbENKUlT_T0_E_clISt17integral_constantIbLb0EESZ_EEDaSU_SV_EUlSU_E_NS1_11comp_targetILNS1_3genE10ELNS1_11target_archE1201ELNS1_3gpuE5ELNS1_3repE0EEENS1_30default_config_static_selectorELNS0_4arch9wavefront6targetE0EEEvT1_.num_agpr, 0
	.set _ZN7rocprim17ROCPRIM_400000_NS6detail17trampoline_kernelINS0_14default_configENS1_27scan_by_key_config_selectorIssEEZZNS1_16scan_by_key_implILNS1_25lookback_scan_determinismE0ELb1ES3_N6thrust23THRUST_200600_302600_NS6detail15normal_iteratorINS9_10device_ptrIsEEEESE_SE_sNS9_10multipliesIsEENS9_8equal_toIsEEsEE10hipError_tPvRmT2_T3_T4_T5_mT6_T7_P12ihipStream_tbENKUlT_T0_E_clISt17integral_constantIbLb0EESZ_EEDaSU_SV_EUlSU_E_NS1_11comp_targetILNS1_3genE10ELNS1_11target_archE1201ELNS1_3gpuE5ELNS1_3repE0EEENS1_30default_config_static_selectorELNS0_4arch9wavefront6targetE0EEEvT1_.numbered_sgpr, 0
	.set _ZN7rocprim17ROCPRIM_400000_NS6detail17trampoline_kernelINS0_14default_configENS1_27scan_by_key_config_selectorIssEEZZNS1_16scan_by_key_implILNS1_25lookback_scan_determinismE0ELb1ES3_N6thrust23THRUST_200600_302600_NS6detail15normal_iteratorINS9_10device_ptrIsEEEESE_SE_sNS9_10multipliesIsEENS9_8equal_toIsEEsEE10hipError_tPvRmT2_T3_T4_T5_mT6_T7_P12ihipStream_tbENKUlT_T0_E_clISt17integral_constantIbLb0EESZ_EEDaSU_SV_EUlSU_E_NS1_11comp_targetILNS1_3genE10ELNS1_11target_archE1201ELNS1_3gpuE5ELNS1_3repE0EEENS1_30default_config_static_selectorELNS0_4arch9wavefront6targetE0EEEvT1_.num_named_barrier, 0
	.set _ZN7rocprim17ROCPRIM_400000_NS6detail17trampoline_kernelINS0_14default_configENS1_27scan_by_key_config_selectorIssEEZZNS1_16scan_by_key_implILNS1_25lookback_scan_determinismE0ELb1ES3_N6thrust23THRUST_200600_302600_NS6detail15normal_iteratorINS9_10device_ptrIsEEEESE_SE_sNS9_10multipliesIsEENS9_8equal_toIsEEsEE10hipError_tPvRmT2_T3_T4_T5_mT6_T7_P12ihipStream_tbENKUlT_T0_E_clISt17integral_constantIbLb0EESZ_EEDaSU_SV_EUlSU_E_NS1_11comp_targetILNS1_3genE10ELNS1_11target_archE1201ELNS1_3gpuE5ELNS1_3repE0EEENS1_30default_config_static_selectorELNS0_4arch9wavefront6targetE0EEEvT1_.private_seg_size, 0
	.set _ZN7rocprim17ROCPRIM_400000_NS6detail17trampoline_kernelINS0_14default_configENS1_27scan_by_key_config_selectorIssEEZZNS1_16scan_by_key_implILNS1_25lookback_scan_determinismE0ELb1ES3_N6thrust23THRUST_200600_302600_NS6detail15normal_iteratorINS9_10device_ptrIsEEEESE_SE_sNS9_10multipliesIsEENS9_8equal_toIsEEsEE10hipError_tPvRmT2_T3_T4_T5_mT6_T7_P12ihipStream_tbENKUlT_T0_E_clISt17integral_constantIbLb0EESZ_EEDaSU_SV_EUlSU_E_NS1_11comp_targetILNS1_3genE10ELNS1_11target_archE1201ELNS1_3gpuE5ELNS1_3repE0EEENS1_30default_config_static_selectorELNS0_4arch9wavefront6targetE0EEEvT1_.uses_vcc, 0
	.set _ZN7rocprim17ROCPRIM_400000_NS6detail17trampoline_kernelINS0_14default_configENS1_27scan_by_key_config_selectorIssEEZZNS1_16scan_by_key_implILNS1_25lookback_scan_determinismE0ELb1ES3_N6thrust23THRUST_200600_302600_NS6detail15normal_iteratorINS9_10device_ptrIsEEEESE_SE_sNS9_10multipliesIsEENS9_8equal_toIsEEsEE10hipError_tPvRmT2_T3_T4_T5_mT6_T7_P12ihipStream_tbENKUlT_T0_E_clISt17integral_constantIbLb0EESZ_EEDaSU_SV_EUlSU_E_NS1_11comp_targetILNS1_3genE10ELNS1_11target_archE1201ELNS1_3gpuE5ELNS1_3repE0EEENS1_30default_config_static_selectorELNS0_4arch9wavefront6targetE0EEEvT1_.uses_flat_scratch, 0
	.set _ZN7rocprim17ROCPRIM_400000_NS6detail17trampoline_kernelINS0_14default_configENS1_27scan_by_key_config_selectorIssEEZZNS1_16scan_by_key_implILNS1_25lookback_scan_determinismE0ELb1ES3_N6thrust23THRUST_200600_302600_NS6detail15normal_iteratorINS9_10device_ptrIsEEEESE_SE_sNS9_10multipliesIsEENS9_8equal_toIsEEsEE10hipError_tPvRmT2_T3_T4_T5_mT6_T7_P12ihipStream_tbENKUlT_T0_E_clISt17integral_constantIbLb0EESZ_EEDaSU_SV_EUlSU_E_NS1_11comp_targetILNS1_3genE10ELNS1_11target_archE1201ELNS1_3gpuE5ELNS1_3repE0EEENS1_30default_config_static_selectorELNS0_4arch9wavefront6targetE0EEEvT1_.has_dyn_sized_stack, 0
	.set _ZN7rocprim17ROCPRIM_400000_NS6detail17trampoline_kernelINS0_14default_configENS1_27scan_by_key_config_selectorIssEEZZNS1_16scan_by_key_implILNS1_25lookback_scan_determinismE0ELb1ES3_N6thrust23THRUST_200600_302600_NS6detail15normal_iteratorINS9_10device_ptrIsEEEESE_SE_sNS9_10multipliesIsEENS9_8equal_toIsEEsEE10hipError_tPvRmT2_T3_T4_T5_mT6_T7_P12ihipStream_tbENKUlT_T0_E_clISt17integral_constantIbLb0EESZ_EEDaSU_SV_EUlSU_E_NS1_11comp_targetILNS1_3genE10ELNS1_11target_archE1201ELNS1_3gpuE5ELNS1_3repE0EEENS1_30default_config_static_selectorELNS0_4arch9wavefront6targetE0EEEvT1_.has_recursion, 0
	.set _ZN7rocprim17ROCPRIM_400000_NS6detail17trampoline_kernelINS0_14default_configENS1_27scan_by_key_config_selectorIssEEZZNS1_16scan_by_key_implILNS1_25lookback_scan_determinismE0ELb1ES3_N6thrust23THRUST_200600_302600_NS6detail15normal_iteratorINS9_10device_ptrIsEEEESE_SE_sNS9_10multipliesIsEENS9_8equal_toIsEEsEE10hipError_tPvRmT2_T3_T4_T5_mT6_T7_P12ihipStream_tbENKUlT_T0_E_clISt17integral_constantIbLb0EESZ_EEDaSU_SV_EUlSU_E_NS1_11comp_targetILNS1_3genE10ELNS1_11target_archE1201ELNS1_3gpuE5ELNS1_3repE0EEENS1_30default_config_static_selectorELNS0_4arch9wavefront6targetE0EEEvT1_.has_indirect_call, 0
	.section	.AMDGPU.csdata,"",@progbits
; Kernel info:
; codeLenInByte = 0
; TotalNumSgprs: 0
; NumVgprs: 0
; ScratchSize: 0
; MemoryBound: 0
; FloatMode: 240
; IeeeMode: 1
; LDSByteSize: 0 bytes/workgroup (compile time only)
; SGPRBlocks: 0
; VGPRBlocks: 0
; NumSGPRsForWavesPerEU: 1
; NumVGPRsForWavesPerEU: 1
; NamedBarCnt: 0
; Occupancy: 16
; WaveLimiterHint : 0
; COMPUTE_PGM_RSRC2:SCRATCH_EN: 0
; COMPUTE_PGM_RSRC2:USER_SGPR: 2
; COMPUTE_PGM_RSRC2:TRAP_HANDLER: 0
; COMPUTE_PGM_RSRC2:TGID_X_EN: 1
; COMPUTE_PGM_RSRC2:TGID_Y_EN: 0
; COMPUTE_PGM_RSRC2:TGID_Z_EN: 0
; COMPUTE_PGM_RSRC2:TIDIG_COMP_CNT: 0
	.section	.text._ZN7rocprim17ROCPRIM_400000_NS6detail17trampoline_kernelINS0_14default_configENS1_27scan_by_key_config_selectorIssEEZZNS1_16scan_by_key_implILNS1_25lookback_scan_determinismE0ELb1ES3_N6thrust23THRUST_200600_302600_NS6detail15normal_iteratorINS9_10device_ptrIsEEEESE_SE_sNS9_10multipliesIsEENS9_8equal_toIsEEsEE10hipError_tPvRmT2_T3_T4_T5_mT6_T7_P12ihipStream_tbENKUlT_T0_E_clISt17integral_constantIbLb0EESZ_EEDaSU_SV_EUlSU_E_NS1_11comp_targetILNS1_3genE5ELNS1_11target_archE942ELNS1_3gpuE9ELNS1_3repE0EEENS1_30default_config_static_selectorELNS0_4arch9wavefront6targetE0EEEvT1_,"axG",@progbits,_ZN7rocprim17ROCPRIM_400000_NS6detail17trampoline_kernelINS0_14default_configENS1_27scan_by_key_config_selectorIssEEZZNS1_16scan_by_key_implILNS1_25lookback_scan_determinismE0ELb1ES3_N6thrust23THRUST_200600_302600_NS6detail15normal_iteratorINS9_10device_ptrIsEEEESE_SE_sNS9_10multipliesIsEENS9_8equal_toIsEEsEE10hipError_tPvRmT2_T3_T4_T5_mT6_T7_P12ihipStream_tbENKUlT_T0_E_clISt17integral_constantIbLb0EESZ_EEDaSU_SV_EUlSU_E_NS1_11comp_targetILNS1_3genE5ELNS1_11target_archE942ELNS1_3gpuE9ELNS1_3repE0EEENS1_30default_config_static_selectorELNS0_4arch9wavefront6targetE0EEEvT1_,comdat
	.protected	_ZN7rocprim17ROCPRIM_400000_NS6detail17trampoline_kernelINS0_14default_configENS1_27scan_by_key_config_selectorIssEEZZNS1_16scan_by_key_implILNS1_25lookback_scan_determinismE0ELb1ES3_N6thrust23THRUST_200600_302600_NS6detail15normal_iteratorINS9_10device_ptrIsEEEESE_SE_sNS9_10multipliesIsEENS9_8equal_toIsEEsEE10hipError_tPvRmT2_T3_T4_T5_mT6_T7_P12ihipStream_tbENKUlT_T0_E_clISt17integral_constantIbLb0EESZ_EEDaSU_SV_EUlSU_E_NS1_11comp_targetILNS1_3genE5ELNS1_11target_archE942ELNS1_3gpuE9ELNS1_3repE0EEENS1_30default_config_static_selectorELNS0_4arch9wavefront6targetE0EEEvT1_ ; -- Begin function _ZN7rocprim17ROCPRIM_400000_NS6detail17trampoline_kernelINS0_14default_configENS1_27scan_by_key_config_selectorIssEEZZNS1_16scan_by_key_implILNS1_25lookback_scan_determinismE0ELb1ES3_N6thrust23THRUST_200600_302600_NS6detail15normal_iteratorINS9_10device_ptrIsEEEESE_SE_sNS9_10multipliesIsEENS9_8equal_toIsEEsEE10hipError_tPvRmT2_T3_T4_T5_mT6_T7_P12ihipStream_tbENKUlT_T0_E_clISt17integral_constantIbLb0EESZ_EEDaSU_SV_EUlSU_E_NS1_11comp_targetILNS1_3genE5ELNS1_11target_archE942ELNS1_3gpuE9ELNS1_3repE0EEENS1_30default_config_static_selectorELNS0_4arch9wavefront6targetE0EEEvT1_
	.globl	_ZN7rocprim17ROCPRIM_400000_NS6detail17trampoline_kernelINS0_14default_configENS1_27scan_by_key_config_selectorIssEEZZNS1_16scan_by_key_implILNS1_25lookback_scan_determinismE0ELb1ES3_N6thrust23THRUST_200600_302600_NS6detail15normal_iteratorINS9_10device_ptrIsEEEESE_SE_sNS9_10multipliesIsEENS9_8equal_toIsEEsEE10hipError_tPvRmT2_T3_T4_T5_mT6_T7_P12ihipStream_tbENKUlT_T0_E_clISt17integral_constantIbLb0EESZ_EEDaSU_SV_EUlSU_E_NS1_11comp_targetILNS1_3genE5ELNS1_11target_archE942ELNS1_3gpuE9ELNS1_3repE0EEENS1_30default_config_static_selectorELNS0_4arch9wavefront6targetE0EEEvT1_
	.p2align	8
	.type	_ZN7rocprim17ROCPRIM_400000_NS6detail17trampoline_kernelINS0_14default_configENS1_27scan_by_key_config_selectorIssEEZZNS1_16scan_by_key_implILNS1_25lookback_scan_determinismE0ELb1ES3_N6thrust23THRUST_200600_302600_NS6detail15normal_iteratorINS9_10device_ptrIsEEEESE_SE_sNS9_10multipliesIsEENS9_8equal_toIsEEsEE10hipError_tPvRmT2_T3_T4_T5_mT6_T7_P12ihipStream_tbENKUlT_T0_E_clISt17integral_constantIbLb0EESZ_EEDaSU_SV_EUlSU_E_NS1_11comp_targetILNS1_3genE5ELNS1_11target_archE942ELNS1_3gpuE9ELNS1_3repE0EEENS1_30default_config_static_selectorELNS0_4arch9wavefront6targetE0EEEvT1_,@function
_ZN7rocprim17ROCPRIM_400000_NS6detail17trampoline_kernelINS0_14default_configENS1_27scan_by_key_config_selectorIssEEZZNS1_16scan_by_key_implILNS1_25lookback_scan_determinismE0ELb1ES3_N6thrust23THRUST_200600_302600_NS6detail15normal_iteratorINS9_10device_ptrIsEEEESE_SE_sNS9_10multipliesIsEENS9_8equal_toIsEEsEE10hipError_tPvRmT2_T3_T4_T5_mT6_T7_P12ihipStream_tbENKUlT_T0_E_clISt17integral_constantIbLb0EESZ_EEDaSU_SV_EUlSU_E_NS1_11comp_targetILNS1_3genE5ELNS1_11target_archE942ELNS1_3gpuE9ELNS1_3repE0EEENS1_30default_config_static_selectorELNS0_4arch9wavefront6targetE0EEEvT1_: ; @_ZN7rocprim17ROCPRIM_400000_NS6detail17trampoline_kernelINS0_14default_configENS1_27scan_by_key_config_selectorIssEEZZNS1_16scan_by_key_implILNS1_25lookback_scan_determinismE0ELb1ES3_N6thrust23THRUST_200600_302600_NS6detail15normal_iteratorINS9_10device_ptrIsEEEESE_SE_sNS9_10multipliesIsEENS9_8equal_toIsEEsEE10hipError_tPvRmT2_T3_T4_T5_mT6_T7_P12ihipStream_tbENKUlT_T0_E_clISt17integral_constantIbLb0EESZ_EEDaSU_SV_EUlSU_E_NS1_11comp_targetILNS1_3genE5ELNS1_11target_archE942ELNS1_3gpuE9ELNS1_3repE0EEENS1_30default_config_static_selectorELNS0_4arch9wavefront6targetE0EEEvT1_
; %bb.0:
	.section	.rodata,"a",@progbits
	.p2align	6, 0x0
	.amdhsa_kernel _ZN7rocprim17ROCPRIM_400000_NS6detail17trampoline_kernelINS0_14default_configENS1_27scan_by_key_config_selectorIssEEZZNS1_16scan_by_key_implILNS1_25lookback_scan_determinismE0ELb1ES3_N6thrust23THRUST_200600_302600_NS6detail15normal_iteratorINS9_10device_ptrIsEEEESE_SE_sNS9_10multipliesIsEENS9_8equal_toIsEEsEE10hipError_tPvRmT2_T3_T4_T5_mT6_T7_P12ihipStream_tbENKUlT_T0_E_clISt17integral_constantIbLb0EESZ_EEDaSU_SV_EUlSU_E_NS1_11comp_targetILNS1_3genE5ELNS1_11target_archE942ELNS1_3gpuE9ELNS1_3repE0EEENS1_30default_config_static_selectorELNS0_4arch9wavefront6targetE0EEEvT1_
		.amdhsa_group_segment_fixed_size 0
		.amdhsa_private_segment_fixed_size 0
		.amdhsa_kernarg_size 112
		.amdhsa_user_sgpr_count 2
		.amdhsa_user_sgpr_dispatch_ptr 0
		.amdhsa_user_sgpr_queue_ptr 0
		.amdhsa_user_sgpr_kernarg_segment_ptr 1
		.amdhsa_user_sgpr_dispatch_id 0
		.amdhsa_user_sgpr_kernarg_preload_length 0
		.amdhsa_user_sgpr_kernarg_preload_offset 0
		.amdhsa_user_sgpr_private_segment_size 0
		.amdhsa_wavefront_size32 1
		.amdhsa_uses_dynamic_stack 0
		.amdhsa_enable_private_segment 0
		.amdhsa_system_sgpr_workgroup_id_x 1
		.amdhsa_system_sgpr_workgroup_id_y 0
		.amdhsa_system_sgpr_workgroup_id_z 0
		.amdhsa_system_sgpr_workgroup_info 0
		.amdhsa_system_vgpr_workitem_id 0
		.amdhsa_next_free_vgpr 1
		.amdhsa_next_free_sgpr 1
		.amdhsa_named_barrier_count 0
		.amdhsa_reserve_vcc 0
		.amdhsa_float_round_mode_32 0
		.amdhsa_float_round_mode_16_64 0
		.amdhsa_float_denorm_mode_32 3
		.amdhsa_float_denorm_mode_16_64 3
		.amdhsa_fp16_overflow 0
		.amdhsa_memory_ordered 1
		.amdhsa_forward_progress 1
		.amdhsa_inst_pref_size 0
		.amdhsa_round_robin_scheduling 0
		.amdhsa_exception_fp_ieee_invalid_op 0
		.amdhsa_exception_fp_denorm_src 0
		.amdhsa_exception_fp_ieee_div_zero 0
		.amdhsa_exception_fp_ieee_overflow 0
		.amdhsa_exception_fp_ieee_underflow 0
		.amdhsa_exception_fp_ieee_inexact 0
		.amdhsa_exception_int_div_zero 0
	.end_amdhsa_kernel
	.section	.text._ZN7rocprim17ROCPRIM_400000_NS6detail17trampoline_kernelINS0_14default_configENS1_27scan_by_key_config_selectorIssEEZZNS1_16scan_by_key_implILNS1_25lookback_scan_determinismE0ELb1ES3_N6thrust23THRUST_200600_302600_NS6detail15normal_iteratorINS9_10device_ptrIsEEEESE_SE_sNS9_10multipliesIsEENS9_8equal_toIsEEsEE10hipError_tPvRmT2_T3_T4_T5_mT6_T7_P12ihipStream_tbENKUlT_T0_E_clISt17integral_constantIbLb0EESZ_EEDaSU_SV_EUlSU_E_NS1_11comp_targetILNS1_3genE5ELNS1_11target_archE942ELNS1_3gpuE9ELNS1_3repE0EEENS1_30default_config_static_selectorELNS0_4arch9wavefront6targetE0EEEvT1_,"axG",@progbits,_ZN7rocprim17ROCPRIM_400000_NS6detail17trampoline_kernelINS0_14default_configENS1_27scan_by_key_config_selectorIssEEZZNS1_16scan_by_key_implILNS1_25lookback_scan_determinismE0ELb1ES3_N6thrust23THRUST_200600_302600_NS6detail15normal_iteratorINS9_10device_ptrIsEEEESE_SE_sNS9_10multipliesIsEENS9_8equal_toIsEEsEE10hipError_tPvRmT2_T3_T4_T5_mT6_T7_P12ihipStream_tbENKUlT_T0_E_clISt17integral_constantIbLb0EESZ_EEDaSU_SV_EUlSU_E_NS1_11comp_targetILNS1_3genE5ELNS1_11target_archE942ELNS1_3gpuE9ELNS1_3repE0EEENS1_30default_config_static_selectorELNS0_4arch9wavefront6targetE0EEEvT1_,comdat
.Lfunc_end607:
	.size	_ZN7rocprim17ROCPRIM_400000_NS6detail17trampoline_kernelINS0_14default_configENS1_27scan_by_key_config_selectorIssEEZZNS1_16scan_by_key_implILNS1_25lookback_scan_determinismE0ELb1ES3_N6thrust23THRUST_200600_302600_NS6detail15normal_iteratorINS9_10device_ptrIsEEEESE_SE_sNS9_10multipliesIsEENS9_8equal_toIsEEsEE10hipError_tPvRmT2_T3_T4_T5_mT6_T7_P12ihipStream_tbENKUlT_T0_E_clISt17integral_constantIbLb0EESZ_EEDaSU_SV_EUlSU_E_NS1_11comp_targetILNS1_3genE5ELNS1_11target_archE942ELNS1_3gpuE9ELNS1_3repE0EEENS1_30default_config_static_selectorELNS0_4arch9wavefront6targetE0EEEvT1_, .Lfunc_end607-_ZN7rocprim17ROCPRIM_400000_NS6detail17trampoline_kernelINS0_14default_configENS1_27scan_by_key_config_selectorIssEEZZNS1_16scan_by_key_implILNS1_25lookback_scan_determinismE0ELb1ES3_N6thrust23THRUST_200600_302600_NS6detail15normal_iteratorINS9_10device_ptrIsEEEESE_SE_sNS9_10multipliesIsEENS9_8equal_toIsEEsEE10hipError_tPvRmT2_T3_T4_T5_mT6_T7_P12ihipStream_tbENKUlT_T0_E_clISt17integral_constantIbLb0EESZ_EEDaSU_SV_EUlSU_E_NS1_11comp_targetILNS1_3genE5ELNS1_11target_archE942ELNS1_3gpuE9ELNS1_3repE0EEENS1_30default_config_static_selectorELNS0_4arch9wavefront6targetE0EEEvT1_
                                        ; -- End function
	.set _ZN7rocprim17ROCPRIM_400000_NS6detail17trampoline_kernelINS0_14default_configENS1_27scan_by_key_config_selectorIssEEZZNS1_16scan_by_key_implILNS1_25lookback_scan_determinismE0ELb1ES3_N6thrust23THRUST_200600_302600_NS6detail15normal_iteratorINS9_10device_ptrIsEEEESE_SE_sNS9_10multipliesIsEENS9_8equal_toIsEEsEE10hipError_tPvRmT2_T3_T4_T5_mT6_T7_P12ihipStream_tbENKUlT_T0_E_clISt17integral_constantIbLb0EESZ_EEDaSU_SV_EUlSU_E_NS1_11comp_targetILNS1_3genE5ELNS1_11target_archE942ELNS1_3gpuE9ELNS1_3repE0EEENS1_30default_config_static_selectorELNS0_4arch9wavefront6targetE0EEEvT1_.num_vgpr, 0
	.set _ZN7rocprim17ROCPRIM_400000_NS6detail17trampoline_kernelINS0_14default_configENS1_27scan_by_key_config_selectorIssEEZZNS1_16scan_by_key_implILNS1_25lookback_scan_determinismE0ELb1ES3_N6thrust23THRUST_200600_302600_NS6detail15normal_iteratorINS9_10device_ptrIsEEEESE_SE_sNS9_10multipliesIsEENS9_8equal_toIsEEsEE10hipError_tPvRmT2_T3_T4_T5_mT6_T7_P12ihipStream_tbENKUlT_T0_E_clISt17integral_constantIbLb0EESZ_EEDaSU_SV_EUlSU_E_NS1_11comp_targetILNS1_3genE5ELNS1_11target_archE942ELNS1_3gpuE9ELNS1_3repE0EEENS1_30default_config_static_selectorELNS0_4arch9wavefront6targetE0EEEvT1_.num_agpr, 0
	.set _ZN7rocprim17ROCPRIM_400000_NS6detail17trampoline_kernelINS0_14default_configENS1_27scan_by_key_config_selectorIssEEZZNS1_16scan_by_key_implILNS1_25lookback_scan_determinismE0ELb1ES3_N6thrust23THRUST_200600_302600_NS6detail15normal_iteratorINS9_10device_ptrIsEEEESE_SE_sNS9_10multipliesIsEENS9_8equal_toIsEEsEE10hipError_tPvRmT2_T3_T4_T5_mT6_T7_P12ihipStream_tbENKUlT_T0_E_clISt17integral_constantIbLb0EESZ_EEDaSU_SV_EUlSU_E_NS1_11comp_targetILNS1_3genE5ELNS1_11target_archE942ELNS1_3gpuE9ELNS1_3repE0EEENS1_30default_config_static_selectorELNS0_4arch9wavefront6targetE0EEEvT1_.numbered_sgpr, 0
	.set _ZN7rocprim17ROCPRIM_400000_NS6detail17trampoline_kernelINS0_14default_configENS1_27scan_by_key_config_selectorIssEEZZNS1_16scan_by_key_implILNS1_25lookback_scan_determinismE0ELb1ES3_N6thrust23THRUST_200600_302600_NS6detail15normal_iteratorINS9_10device_ptrIsEEEESE_SE_sNS9_10multipliesIsEENS9_8equal_toIsEEsEE10hipError_tPvRmT2_T3_T4_T5_mT6_T7_P12ihipStream_tbENKUlT_T0_E_clISt17integral_constantIbLb0EESZ_EEDaSU_SV_EUlSU_E_NS1_11comp_targetILNS1_3genE5ELNS1_11target_archE942ELNS1_3gpuE9ELNS1_3repE0EEENS1_30default_config_static_selectorELNS0_4arch9wavefront6targetE0EEEvT1_.num_named_barrier, 0
	.set _ZN7rocprim17ROCPRIM_400000_NS6detail17trampoline_kernelINS0_14default_configENS1_27scan_by_key_config_selectorIssEEZZNS1_16scan_by_key_implILNS1_25lookback_scan_determinismE0ELb1ES3_N6thrust23THRUST_200600_302600_NS6detail15normal_iteratorINS9_10device_ptrIsEEEESE_SE_sNS9_10multipliesIsEENS9_8equal_toIsEEsEE10hipError_tPvRmT2_T3_T4_T5_mT6_T7_P12ihipStream_tbENKUlT_T0_E_clISt17integral_constantIbLb0EESZ_EEDaSU_SV_EUlSU_E_NS1_11comp_targetILNS1_3genE5ELNS1_11target_archE942ELNS1_3gpuE9ELNS1_3repE0EEENS1_30default_config_static_selectorELNS0_4arch9wavefront6targetE0EEEvT1_.private_seg_size, 0
	.set _ZN7rocprim17ROCPRIM_400000_NS6detail17trampoline_kernelINS0_14default_configENS1_27scan_by_key_config_selectorIssEEZZNS1_16scan_by_key_implILNS1_25lookback_scan_determinismE0ELb1ES3_N6thrust23THRUST_200600_302600_NS6detail15normal_iteratorINS9_10device_ptrIsEEEESE_SE_sNS9_10multipliesIsEENS9_8equal_toIsEEsEE10hipError_tPvRmT2_T3_T4_T5_mT6_T7_P12ihipStream_tbENKUlT_T0_E_clISt17integral_constantIbLb0EESZ_EEDaSU_SV_EUlSU_E_NS1_11comp_targetILNS1_3genE5ELNS1_11target_archE942ELNS1_3gpuE9ELNS1_3repE0EEENS1_30default_config_static_selectorELNS0_4arch9wavefront6targetE0EEEvT1_.uses_vcc, 0
	.set _ZN7rocprim17ROCPRIM_400000_NS6detail17trampoline_kernelINS0_14default_configENS1_27scan_by_key_config_selectorIssEEZZNS1_16scan_by_key_implILNS1_25lookback_scan_determinismE0ELb1ES3_N6thrust23THRUST_200600_302600_NS6detail15normal_iteratorINS9_10device_ptrIsEEEESE_SE_sNS9_10multipliesIsEENS9_8equal_toIsEEsEE10hipError_tPvRmT2_T3_T4_T5_mT6_T7_P12ihipStream_tbENKUlT_T0_E_clISt17integral_constantIbLb0EESZ_EEDaSU_SV_EUlSU_E_NS1_11comp_targetILNS1_3genE5ELNS1_11target_archE942ELNS1_3gpuE9ELNS1_3repE0EEENS1_30default_config_static_selectorELNS0_4arch9wavefront6targetE0EEEvT1_.uses_flat_scratch, 0
	.set _ZN7rocprim17ROCPRIM_400000_NS6detail17trampoline_kernelINS0_14default_configENS1_27scan_by_key_config_selectorIssEEZZNS1_16scan_by_key_implILNS1_25lookback_scan_determinismE0ELb1ES3_N6thrust23THRUST_200600_302600_NS6detail15normal_iteratorINS9_10device_ptrIsEEEESE_SE_sNS9_10multipliesIsEENS9_8equal_toIsEEsEE10hipError_tPvRmT2_T3_T4_T5_mT6_T7_P12ihipStream_tbENKUlT_T0_E_clISt17integral_constantIbLb0EESZ_EEDaSU_SV_EUlSU_E_NS1_11comp_targetILNS1_3genE5ELNS1_11target_archE942ELNS1_3gpuE9ELNS1_3repE0EEENS1_30default_config_static_selectorELNS0_4arch9wavefront6targetE0EEEvT1_.has_dyn_sized_stack, 0
	.set _ZN7rocprim17ROCPRIM_400000_NS6detail17trampoline_kernelINS0_14default_configENS1_27scan_by_key_config_selectorIssEEZZNS1_16scan_by_key_implILNS1_25lookback_scan_determinismE0ELb1ES3_N6thrust23THRUST_200600_302600_NS6detail15normal_iteratorINS9_10device_ptrIsEEEESE_SE_sNS9_10multipliesIsEENS9_8equal_toIsEEsEE10hipError_tPvRmT2_T3_T4_T5_mT6_T7_P12ihipStream_tbENKUlT_T0_E_clISt17integral_constantIbLb0EESZ_EEDaSU_SV_EUlSU_E_NS1_11comp_targetILNS1_3genE5ELNS1_11target_archE942ELNS1_3gpuE9ELNS1_3repE0EEENS1_30default_config_static_selectorELNS0_4arch9wavefront6targetE0EEEvT1_.has_recursion, 0
	.set _ZN7rocprim17ROCPRIM_400000_NS6detail17trampoline_kernelINS0_14default_configENS1_27scan_by_key_config_selectorIssEEZZNS1_16scan_by_key_implILNS1_25lookback_scan_determinismE0ELb1ES3_N6thrust23THRUST_200600_302600_NS6detail15normal_iteratorINS9_10device_ptrIsEEEESE_SE_sNS9_10multipliesIsEENS9_8equal_toIsEEsEE10hipError_tPvRmT2_T3_T4_T5_mT6_T7_P12ihipStream_tbENKUlT_T0_E_clISt17integral_constantIbLb0EESZ_EEDaSU_SV_EUlSU_E_NS1_11comp_targetILNS1_3genE5ELNS1_11target_archE942ELNS1_3gpuE9ELNS1_3repE0EEENS1_30default_config_static_selectorELNS0_4arch9wavefront6targetE0EEEvT1_.has_indirect_call, 0
	.section	.AMDGPU.csdata,"",@progbits
; Kernel info:
; codeLenInByte = 0
; TotalNumSgprs: 0
; NumVgprs: 0
; ScratchSize: 0
; MemoryBound: 0
; FloatMode: 240
; IeeeMode: 1
; LDSByteSize: 0 bytes/workgroup (compile time only)
; SGPRBlocks: 0
; VGPRBlocks: 0
; NumSGPRsForWavesPerEU: 1
; NumVGPRsForWavesPerEU: 1
; NamedBarCnt: 0
; Occupancy: 16
; WaveLimiterHint : 0
; COMPUTE_PGM_RSRC2:SCRATCH_EN: 0
; COMPUTE_PGM_RSRC2:USER_SGPR: 2
; COMPUTE_PGM_RSRC2:TRAP_HANDLER: 0
; COMPUTE_PGM_RSRC2:TGID_X_EN: 1
; COMPUTE_PGM_RSRC2:TGID_Y_EN: 0
; COMPUTE_PGM_RSRC2:TGID_Z_EN: 0
; COMPUTE_PGM_RSRC2:TIDIG_COMP_CNT: 0
	.section	.text._ZN7rocprim17ROCPRIM_400000_NS6detail17trampoline_kernelINS0_14default_configENS1_27scan_by_key_config_selectorIssEEZZNS1_16scan_by_key_implILNS1_25lookback_scan_determinismE0ELb1ES3_N6thrust23THRUST_200600_302600_NS6detail15normal_iteratorINS9_10device_ptrIsEEEESE_SE_sNS9_10multipliesIsEENS9_8equal_toIsEEsEE10hipError_tPvRmT2_T3_T4_T5_mT6_T7_P12ihipStream_tbENKUlT_T0_E_clISt17integral_constantIbLb0EESZ_EEDaSU_SV_EUlSU_E_NS1_11comp_targetILNS1_3genE4ELNS1_11target_archE910ELNS1_3gpuE8ELNS1_3repE0EEENS1_30default_config_static_selectorELNS0_4arch9wavefront6targetE0EEEvT1_,"axG",@progbits,_ZN7rocprim17ROCPRIM_400000_NS6detail17trampoline_kernelINS0_14default_configENS1_27scan_by_key_config_selectorIssEEZZNS1_16scan_by_key_implILNS1_25lookback_scan_determinismE0ELb1ES3_N6thrust23THRUST_200600_302600_NS6detail15normal_iteratorINS9_10device_ptrIsEEEESE_SE_sNS9_10multipliesIsEENS9_8equal_toIsEEsEE10hipError_tPvRmT2_T3_T4_T5_mT6_T7_P12ihipStream_tbENKUlT_T0_E_clISt17integral_constantIbLb0EESZ_EEDaSU_SV_EUlSU_E_NS1_11comp_targetILNS1_3genE4ELNS1_11target_archE910ELNS1_3gpuE8ELNS1_3repE0EEENS1_30default_config_static_selectorELNS0_4arch9wavefront6targetE0EEEvT1_,comdat
	.protected	_ZN7rocprim17ROCPRIM_400000_NS6detail17trampoline_kernelINS0_14default_configENS1_27scan_by_key_config_selectorIssEEZZNS1_16scan_by_key_implILNS1_25lookback_scan_determinismE0ELb1ES3_N6thrust23THRUST_200600_302600_NS6detail15normal_iteratorINS9_10device_ptrIsEEEESE_SE_sNS9_10multipliesIsEENS9_8equal_toIsEEsEE10hipError_tPvRmT2_T3_T4_T5_mT6_T7_P12ihipStream_tbENKUlT_T0_E_clISt17integral_constantIbLb0EESZ_EEDaSU_SV_EUlSU_E_NS1_11comp_targetILNS1_3genE4ELNS1_11target_archE910ELNS1_3gpuE8ELNS1_3repE0EEENS1_30default_config_static_selectorELNS0_4arch9wavefront6targetE0EEEvT1_ ; -- Begin function _ZN7rocprim17ROCPRIM_400000_NS6detail17trampoline_kernelINS0_14default_configENS1_27scan_by_key_config_selectorIssEEZZNS1_16scan_by_key_implILNS1_25lookback_scan_determinismE0ELb1ES3_N6thrust23THRUST_200600_302600_NS6detail15normal_iteratorINS9_10device_ptrIsEEEESE_SE_sNS9_10multipliesIsEENS9_8equal_toIsEEsEE10hipError_tPvRmT2_T3_T4_T5_mT6_T7_P12ihipStream_tbENKUlT_T0_E_clISt17integral_constantIbLb0EESZ_EEDaSU_SV_EUlSU_E_NS1_11comp_targetILNS1_3genE4ELNS1_11target_archE910ELNS1_3gpuE8ELNS1_3repE0EEENS1_30default_config_static_selectorELNS0_4arch9wavefront6targetE0EEEvT1_
	.globl	_ZN7rocprim17ROCPRIM_400000_NS6detail17trampoline_kernelINS0_14default_configENS1_27scan_by_key_config_selectorIssEEZZNS1_16scan_by_key_implILNS1_25lookback_scan_determinismE0ELb1ES3_N6thrust23THRUST_200600_302600_NS6detail15normal_iteratorINS9_10device_ptrIsEEEESE_SE_sNS9_10multipliesIsEENS9_8equal_toIsEEsEE10hipError_tPvRmT2_T3_T4_T5_mT6_T7_P12ihipStream_tbENKUlT_T0_E_clISt17integral_constantIbLb0EESZ_EEDaSU_SV_EUlSU_E_NS1_11comp_targetILNS1_3genE4ELNS1_11target_archE910ELNS1_3gpuE8ELNS1_3repE0EEENS1_30default_config_static_selectorELNS0_4arch9wavefront6targetE0EEEvT1_
	.p2align	8
	.type	_ZN7rocprim17ROCPRIM_400000_NS6detail17trampoline_kernelINS0_14default_configENS1_27scan_by_key_config_selectorIssEEZZNS1_16scan_by_key_implILNS1_25lookback_scan_determinismE0ELb1ES3_N6thrust23THRUST_200600_302600_NS6detail15normal_iteratorINS9_10device_ptrIsEEEESE_SE_sNS9_10multipliesIsEENS9_8equal_toIsEEsEE10hipError_tPvRmT2_T3_T4_T5_mT6_T7_P12ihipStream_tbENKUlT_T0_E_clISt17integral_constantIbLb0EESZ_EEDaSU_SV_EUlSU_E_NS1_11comp_targetILNS1_3genE4ELNS1_11target_archE910ELNS1_3gpuE8ELNS1_3repE0EEENS1_30default_config_static_selectorELNS0_4arch9wavefront6targetE0EEEvT1_,@function
_ZN7rocprim17ROCPRIM_400000_NS6detail17trampoline_kernelINS0_14default_configENS1_27scan_by_key_config_selectorIssEEZZNS1_16scan_by_key_implILNS1_25lookback_scan_determinismE0ELb1ES3_N6thrust23THRUST_200600_302600_NS6detail15normal_iteratorINS9_10device_ptrIsEEEESE_SE_sNS9_10multipliesIsEENS9_8equal_toIsEEsEE10hipError_tPvRmT2_T3_T4_T5_mT6_T7_P12ihipStream_tbENKUlT_T0_E_clISt17integral_constantIbLb0EESZ_EEDaSU_SV_EUlSU_E_NS1_11comp_targetILNS1_3genE4ELNS1_11target_archE910ELNS1_3gpuE8ELNS1_3repE0EEENS1_30default_config_static_selectorELNS0_4arch9wavefront6targetE0EEEvT1_: ; @_ZN7rocprim17ROCPRIM_400000_NS6detail17trampoline_kernelINS0_14default_configENS1_27scan_by_key_config_selectorIssEEZZNS1_16scan_by_key_implILNS1_25lookback_scan_determinismE0ELb1ES3_N6thrust23THRUST_200600_302600_NS6detail15normal_iteratorINS9_10device_ptrIsEEEESE_SE_sNS9_10multipliesIsEENS9_8equal_toIsEEsEE10hipError_tPvRmT2_T3_T4_T5_mT6_T7_P12ihipStream_tbENKUlT_T0_E_clISt17integral_constantIbLb0EESZ_EEDaSU_SV_EUlSU_E_NS1_11comp_targetILNS1_3genE4ELNS1_11target_archE910ELNS1_3gpuE8ELNS1_3repE0EEENS1_30default_config_static_selectorELNS0_4arch9wavefront6targetE0EEEvT1_
; %bb.0:
	.section	.rodata,"a",@progbits
	.p2align	6, 0x0
	.amdhsa_kernel _ZN7rocprim17ROCPRIM_400000_NS6detail17trampoline_kernelINS0_14default_configENS1_27scan_by_key_config_selectorIssEEZZNS1_16scan_by_key_implILNS1_25lookback_scan_determinismE0ELb1ES3_N6thrust23THRUST_200600_302600_NS6detail15normal_iteratorINS9_10device_ptrIsEEEESE_SE_sNS9_10multipliesIsEENS9_8equal_toIsEEsEE10hipError_tPvRmT2_T3_T4_T5_mT6_T7_P12ihipStream_tbENKUlT_T0_E_clISt17integral_constantIbLb0EESZ_EEDaSU_SV_EUlSU_E_NS1_11comp_targetILNS1_3genE4ELNS1_11target_archE910ELNS1_3gpuE8ELNS1_3repE0EEENS1_30default_config_static_selectorELNS0_4arch9wavefront6targetE0EEEvT1_
		.amdhsa_group_segment_fixed_size 0
		.amdhsa_private_segment_fixed_size 0
		.amdhsa_kernarg_size 112
		.amdhsa_user_sgpr_count 2
		.amdhsa_user_sgpr_dispatch_ptr 0
		.amdhsa_user_sgpr_queue_ptr 0
		.amdhsa_user_sgpr_kernarg_segment_ptr 1
		.amdhsa_user_sgpr_dispatch_id 0
		.amdhsa_user_sgpr_kernarg_preload_length 0
		.amdhsa_user_sgpr_kernarg_preload_offset 0
		.amdhsa_user_sgpr_private_segment_size 0
		.amdhsa_wavefront_size32 1
		.amdhsa_uses_dynamic_stack 0
		.amdhsa_enable_private_segment 0
		.amdhsa_system_sgpr_workgroup_id_x 1
		.amdhsa_system_sgpr_workgroup_id_y 0
		.amdhsa_system_sgpr_workgroup_id_z 0
		.amdhsa_system_sgpr_workgroup_info 0
		.amdhsa_system_vgpr_workitem_id 0
		.amdhsa_next_free_vgpr 1
		.amdhsa_next_free_sgpr 1
		.amdhsa_named_barrier_count 0
		.amdhsa_reserve_vcc 0
		.amdhsa_float_round_mode_32 0
		.amdhsa_float_round_mode_16_64 0
		.amdhsa_float_denorm_mode_32 3
		.amdhsa_float_denorm_mode_16_64 3
		.amdhsa_fp16_overflow 0
		.amdhsa_memory_ordered 1
		.amdhsa_forward_progress 1
		.amdhsa_inst_pref_size 0
		.amdhsa_round_robin_scheduling 0
		.amdhsa_exception_fp_ieee_invalid_op 0
		.amdhsa_exception_fp_denorm_src 0
		.amdhsa_exception_fp_ieee_div_zero 0
		.amdhsa_exception_fp_ieee_overflow 0
		.amdhsa_exception_fp_ieee_underflow 0
		.amdhsa_exception_fp_ieee_inexact 0
		.amdhsa_exception_int_div_zero 0
	.end_amdhsa_kernel
	.section	.text._ZN7rocprim17ROCPRIM_400000_NS6detail17trampoline_kernelINS0_14default_configENS1_27scan_by_key_config_selectorIssEEZZNS1_16scan_by_key_implILNS1_25lookback_scan_determinismE0ELb1ES3_N6thrust23THRUST_200600_302600_NS6detail15normal_iteratorINS9_10device_ptrIsEEEESE_SE_sNS9_10multipliesIsEENS9_8equal_toIsEEsEE10hipError_tPvRmT2_T3_T4_T5_mT6_T7_P12ihipStream_tbENKUlT_T0_E_clISt17integral_constantIbLb0EESZ_EEDaSU_SV_EUlSU_E_NS1_11comp_targetILNS1_3genE4ELNS1_11target_archE910ELNS1_3gpuE8ELNS1_3repE0EEENS1_30default_config_static_selectorELNS0_4arch9wavefront6targetE0EEEvT1_,"axG",@progbits,_ZN7rocprim17ROCPRIM_400000_NS6detail17trampoline_kernelINS0_14default_configENS1_27scan_by_key_config_selectorIssEEZZNS1_16scan_by_key_implILNS1_25lookback_scan_determinismE0ELb1ES3_N6thrust23THRUST_200600_302600_NS6detail15normal_iteratorINS9_10device_ptrIsEEEESE_SE_sNS9_10multipliesIsEENS9_8equal_toIsEEsEE10hipError_tPvRmT2_T3_T4_T5_mT6_T7_P12ihipStream_tbENKUlT_T0_E_clISt17integral_constantIbLb0EESZ_EEDaSU_SV_EUlSU_E_NS1_11comp_targetILNS1_3genE4ELNS1_11target_archE910ELNS1_3gpuE8ELNS1_3repE0EEENS1_30default_config_static_selectorELNS0_4arch9wavefront6targetE0EEEvT1_,comdat
.Lfunc_end608:
	.size	_ZN7rocprim17ROCPRIM_400000_NS6detail17trampoline_kernelINS0_14default_configENS1_27scan_by_key_config_selectorIssEEZZNS1_16scan_by_key_implILNS1_25lookback_scan_determinismE0ELb1ES3_N6thrust23THRUST_200600_302600_NS6detail15normal_iteratorINS9_10device_ptrIsEEEESE_SE_sNS9_10multipliesIsEENS9_8equal_toIsEEsEE10hipError_tPvRmT2_T3_T4_T5_mT6_T7_P12ihipStream_tbENKUlT_T0_E_clISt17integral_constantIbLb0EESZ_EEDaSU_SV_EUlSU_E_NS1_11comp_targetILNS1_3genE4ELNS1_11target_archE910ELNS1_3gpuE8ELNS1_3repE0EEENS1_30default_config_static_selectorELNS0_4arch9wavefront6targetE0EEEvT1_, .Lfunc_end608-_ZN7rocprim17ROCPRIM_400000_NS6detail17trampoline_kernelINS0_14default_configENS1_27scan_by_key_config_selectorIssEEZZNS1_16scan_by_key_implILNS1_25lookback_scan_determinismE0ELb1ES3_N6thrust23THRUST_200600_302600_NS6detail15normal_iteratorINS9_10device_ptrIsEEEESE_SE_sNS9_10multipliesIsEENS9_8equal_toIsEEsEE10hipError_tPvRmT2_T3_T4_T5_mT6_T7_P12ihipStream_tbENKUlT_T0_E_clISt17integral_constantIbLb0EESZ_EEDaSU_SV_EUlSU_E_NS1_11comp_targetILNS1_3genE4ELNS1_11target_archE910ELNS1_3gpuE8ELNS1_3repE0EEENS1_30default_config_static_selectorELNS0_4arch9wavefront6targetE0EEEvT1_
                                        ; -- End function
	.set _ZN7rocprim17ROCPRIM_400000_NS6detail17trampoline_kernelINS0_14default_configENS1_27scan_by_key_config_selectorIssEEZZNS1_16scan_by_key_implILNS1_25lookback_scan_determinismE0ELb1ES3_N6thrust23THRUST_200600_302600_NS6detail15normal_iteratorINS9_10device_ptrIsEEEESE_SE_sNS9_10multipliesIsEENS9_8equal_toIsEEsEE10hipError_tPvRmT2_T3_T4_T5_mT6_T7_P12ihipStream_tbENKUlT_T0_E_clISt17integral_constantIbLb0EESZ_EEDaSU_SV_EUlSU_E_NS1_11comp_targetILNS1_3genE4ELNS1_11target_archE910ELNS1_3gpuE8ELNS1_3repE0EEENS1_30default_config_static_selectorELNS0_4arch9wavefront6targetE0EEEvT1_.num_vgpr, 0
	.set _ZN7rocprim17ROCPRIM_400000_NS6detail17trampoline_kernelINS0_14default_configENS1_27scan_by_key_config_selectorIssEEZZNS1_16scan_by_key_implILNS1_25lookback_scan_determinismE0ELb1ES3_N6thrust23THRUST_200600_302600_NS6detail15normal_iteratorINS9_10device_ptrIsEEEESE_SE_sNS9_10multipliesIsEENS9_8equal_toIsEEsEE10hipError_tPvRmT2_T3_T4_T5_mT6_T7_P12ihipStream_tbENKUlT_T0_E_clISt17integral_constantIbLb0EESZ_EEDaSU_SV_EUlSU_E_NS1_11comp_targetILNS1_3genE4ELNS1_11target_archE910ELNS1_3gpuE8ELNS1_3repE0EEENS1_30default_config_static_selectorELNS0_4arch9wavefront6targetE0EEEvT1_.num_agpr, 0
	.set _ZN7rocprim17ROCPRIM_400000_NS6detail17trampoline_kernelINS0_14default_configENS1_27scan_by_key_config_selectorIssEEZZNS1_16scan_by_key_implILNS1_25lookback_scan_determinismE0ELb1ES3_N6thrust23THRUST_200600_302600_NS6detail15normal_iteratorINS9_10device_ptrIsEEEESE_SE_sNS9_10multipliesIsEENS9_8equal_toIsEEsEE10hipError_tPvRmT2_T3_T4_T5_mT6_T7_P12ihipStream_tbENKUlT_T0_E_clISt17integral_constantIbLb0EESZ_EEDaSU_SV_EUlSU_E_NS1_11comp_targetILNS1_3genE4ELNS1_11target_archE910ELNS1_3gpuE8ELNS1_3repE0EEENS1_30default_config_static_selectorELNS0_4arch9wavefront6targetE0EEEvT1_.numbered_sgpr, 0
	.set _ZN7rocprim17ROCPRIM_400000_NS6detail17trampoline_kernelINS0_14default_configENS1_27scan_by_key_config_selectorIssEEZZNS1_16scan_by_key_implILNS1_25lookback_scan_determinismE0ELb1ES3_N6thrust23THRUST_200600_302600_NS6detail15normal_iteratorINS9_10device_ptrIsEEEESE_SE_sNS9_10multipliesIsEENS9_8equal_toIsEEsEE10hipError_tPvRmT2_T3_T4_T5_mT6_T7_P12ihipStream_tbENKUlT_T0_E_clISt17integral_constantIbLb0EESZ_EEDaSU_SV_EUlSU_E_NS1_11comp_targetILNS1_3genE4ELNS1_11target_archE910ELNS1_3gpuE8ELNS1_3repE0EEENS1_30default_config_static_selectorELNS0_4arch9wavefront6targetE0EEEvT1_.num_named_barrier, 0
	.set _ZN7rocprim17ROCPRIM_400000_NS6detail17trampoline_kernelINS0_14default_configENS1_27scan_by_key_config_selectorIssEEZZNS1_16scan_by_key_implILNS1_25lookback_scan_determinismE0ELb1ES3_N6thrust23THRUST_200600_302600_NS6detail15normal_iteratorINS9_10device_ptrIsEEEESE_SE_sNS9_10multipliesIsEENS9_8equal_toIsEEsEE10hipError_tPvRmT2_T3_T4_T5_mT6_T7_P12ihipStream_tbENKUlT_T0_E_clISt17integral_constantIbLb0EESZ_EEDaSU_SV_EUlSU_E_NS1_11comp_targetILNS1_3genE4ELNS1_11target_archE910ELNS1_3gpuE8ELNS1_3repE0EEENS1_30default_config_static_selectorELNS0_4arch9wavefront6targetE0EEEvT1_.private_seg_size, 0
	.set _ZN7rocprim17ROCPRIM_400000_NS6detail17trampoline_kernelINS0_14default_configENS1_27scan_by_key_config_selectorIssEEZZNS1_16scan_by_key_implILNS1_25lookback_scan_determinismE0ELb1ES3_N6thrust23THRUST_200600_302600_NS6detail15normal_iteratorINS9_10device_ptrIsEEEESE_SE_sNS9_10multipliesIsEENS9_8equal_toIsEEsEE10hipError_tPvRmT2_T3_T4_T5_mT6_T7_P12ihipStream_tbENKUlT_T0_E_clISt17integral_constantIbLb0EESZ_EEDaSU_SV_EUlSU_E_NS1_11comp_targetILNS1_3genE4ELNS1_11target_archE910ELNS1_3gpuE8ELNS1_3repE0EEENS1_30default_config_static_selectorELNS0_4arch9wavefront6targetE0EEEvT1_.uses_vcc, 0
	.set _ZN7rocprim17ROCPRIM_400000_NS6detail17trampoline_kernelINS0_14default_configENS1_27scan_by_key_config_selectorIssEEZZNS1_16scan_by_key_implILNS1_25lookback_scan_determinismE0ELb1ES3_N6thrust23THRUST_200600_302600_NS6detail15normal_iteratorINS9_10device_ptrIsEEEESE_SE_sNS9_10multipliesIsEENS9_8equal_toIsEEsEE10hipError_tPvRmT2_T3_T4_T5_mT6_T7_P12ihipStream_tbENKUlT_T0_E_clISt17integral_constantIbLb0EESZ_EEDaSU_SV_EUlSU_E_NS1_11comp_targetILNS1_3genE4ELNS1_11target_archE910ELNS1_3gpuE8ELNS1_3repE0EEENS1_30default_config_static_selectorELNS0_4arch9wavefront6targetE0EEEvT1_.uses_flat_scratch, 0
	.set _ZN7rocprim17ROCPRIM_400000_NS6detail17trampoline_kernelINS0_14default_configENS1_27scan_by_key_config_selectorIssEEZZNS1_16scan_by_key_implILNS1_25lookback_scan_determinismE0ELb1ES3_N6thrust23THRUST_200600_302600_NS6detail15normal_iteratorINS9_10device_ptrIsEEEESE_SE_sNS9_10multipliesIsEENS9_8equal_toIsEEsEE10hipError_tPvRmT2_T3_T4_T5_mT6_T7_P12ihipStream_tbENKUlT_T0_E_clISt17integral_constantIbLb0EESZ_EEDaSU_SV_EUlSU_E_NS1_11comp_targetILNS1_3genE4ELNS1_11target_archE910ELNS1_3gpuE8ELNS1_3repE0EEENS1_30default_config_static_selectorELNS0_4arch9wavefront6targetE0EEEvT1_.has_dyn_sized_stack, 0
	.set _ZN7rocprim17ROCPRIM_400000_NS6detail17trampoline_kernelINS0_14default_configENS1_27scan_by_key_config_selectorIssEEZZNS1_16scan_by_key_implILNS1_25lookback_scan_determinismE0ELb1ES3_N6thrust23THRUST_200600_302600_NS6detail15normal_iteratorINS9_10device_ptrIsEEEESE_SE_sNS9_10multipliesIsEENS9_8equal_toIsEEsEE10hipError_tPvRmT2_T3_T4_T5_mT6_T7_P12ihipStream_tbENKUlT_T0_E_clISt17integral_constantIbLb0EESZ_EEDaSU_SV_EUlSU_E_NS1_11comp_targetILNS1_3genE4ELNS1_11target_archE910ELNS1_3gpuE8ELNS1_3repE0EEENS1_30default_config_static_selectorELNS0_4arch9wavefront6targetE0EEEvT1_.has_recursion, 0
	.set _ZN7rocprim17ROCPRIM_400000_NS6detail17trampoline_kernelINS0_14default_configENS1_27scan_by_key_config_selectorIssEEZZNS1_16scan_by_key_implILNS1_25lookback_scan_determinismE0ELb1ES3_N6thrust23THRUST_200600_302600_NS6detail15normal_iteratorINS9_10device_ptrIsEEEESE_SE_sNS9_10multipliesIsEENS9_8equal_toIsEEsEE10hipError_tPvRmT2_T3_T4_T5_mT6_T7_P12ihipStream_tbENKUlT_T0_E_clISt17integral_constantIbLb0EESZ_EEDaSU_SV_EUlSU_E_NS1_11comp_targetILNS1_3genE4ELNS1_11target_archE910ELNS1_3gpuE8ELNS1_3repE0EEENS1_30default_config_static_selectorELNS0_4arch9wavefront6targetE0EEEvT1_.has_indirect_call, 0
	.section	.AMDGPU.csdata,"",@progbits
; Kernel info:
; codeLenInByte = 0
; TotalNumSgprs: 0
; NumVgprs: 0
; ScratchSize: 0
; MemoryBound: 0
; FloatMode: 240
; IeeeMode: 1
; LDSByteSize: 0 bytes/workgroup (compile time only)
; SGPRBlocks: 0
; VGPRBlocks: 0
; NumSGPRsForWavesPerEU: 1
; NumVGPRsForWavesPerEU: 1
; NamedBarCnt: 0
; Occupancy: 16
; WaveLimiterHint : 0
; COMPUTE_PGM_RSRC2:SCRATCH_EN: 0
; COMPUTE_PGM_RSRC2:USER_SGPR: 2
; COMPUTE_PGM_RSRC2:TRAP_HANDLER: 0
; COMPUTE_PGM_RSRC2:TGID_X_EN: 1
; COMPUTE_PGM_RSRC2:TGID_Y_EN: 0
; COMPUTE_PGM_RSRC2:TGID_Z_EN: 0
; COMPUTE_PGM_RSRC2:TIDIG_COMP_CNT: 0
	.section	.text._ZN7rocprim17ROCPRIM_400000_NS6detail17trampoline_kernelINS0_14default_configENS1_27scan_by_key_config_selectorIssEEZZNS1_16scan_by_key_implILNS1_25lookback_scan_determinismE0ELb1ES3_N6thrust23THRUST_200600_302600_NS6detail15normal_iteratorINS9_10device_ptrIsEEEESE_SE_sNS9_10multipliesIsEENS9_8equal_toIsEEsEE10hipError_tPvRmT2_T3_T4_T5_mT6_T7_P12ihipStream_tbENKUlT_T0_E_clISt17integral_constantIbLb0EESZ_EEDaSU_SV_EUlSU_E_NS1_11comp_targetILNS1_3genE3ELNS1_11target_archE908ELNS1_3gpuE7ELNS1_3repE0EEENS1_30default_config_static_selectorELNS0_4arch9wavefront6targetE0EEEvT1_,"axG",@progbits,_ZN7rocprim17ROCPRIM_400000_NS6detail17trampoline_kernelINS0_14default_configENS1_27scan_by_key_config_selectorIssEEZZNS1_16scan_by_key_implILNS1_25lookback_scan_determinismE0ELb1ES3_N6thrust23THRUST_200600_302600_NS6detail15normal_iteratorINS9_10device_ptrIsEEEESE_SE_sNS9_10multipliesIsEENS9_8equal_toIsEEsEE10hipError_tPvRmT2_T3_T4_T5_mT6_T7_P12ihipStream_tbENKUlT_T0_E_clISt17integral_constantIbLb0EESZ_EEDaSU_SV_EUlSU_E_NS1_11comp_targetILNS1_3genE3ELNS1_11target_archE908ELNS1_3gpuE7ELNS1_3repE0EEENS1_30default_config_static_selectorELNS0_4arch9wavefront6targetE0EEEvT1_,comdat
	.protected	_ZN7rocprim17ROCPRIM_400000_NS6detail17trampoline_kernelINS0_14default_configENS1_27scan_by_key_config_selectorIssEEZZNS1_16scan_by_key_implILNS1_25lookback_scan_determinismE0ELb1ES3_N6thrust23THRUST_200600_302600_NS6detail15normal_iteratorINS9_10device_ptrIsEEEESE_SE_sNS9_10multipliesIsEENS9_8equal_toIsEEsEE10hipError_tPvRmT2_T3_T4_T5_mT6_T7_P12ihipStream_tbENKUlT_T0_E_clISt17integral_constantIbLb0EESZ_EEDaSU_SV_EUlSU_E_NS1_11comp_targetILNS1_3genE3ELNS1_11target_archE908ELNS1_3gpuE7ELNS1_3repE0EEENS1_30default_config_static_selectorELNS0_4arch9wavefront6targetE0EEEvT1_ ; -- Begin function _ZN7rocprim17ROCPRIM_400000_NS6detail17trampoline_kernelINS0_14default_configENS1_27scan_by_key_config_selectorIssEEZZNS1_16scan_by_key_implILNS1_25lookback_scan_determinismE0ELb1ES3_N6thrust23THRUST_200600_302600_NS6detail15normal_iteratorINS9_10device_ptrIsEEEESE_SE_sNS9_10multipliesIsEENS9_8equal_toIsEEsEE10hipError_tPvRmT2_T3_T4_T5_mT6_T7_P12ihipStream_tbENKUlT_T0_E_clISt17integral_constantIbLb0EESZ_EEDaSU_SV_EUlSU_E_NS1_11comp_targetILNS1_3genE3ELNS1_11target_archE908ELNS1_3gpuE7ELNS1_3repE0EEENS1_30default_config_static_selectorELNS0_4arch9wavefront6targetE0EEEvT1_
	.globl	_ZN7rocprim17ROCPRIM_400000_NS6detail17trampoline_kernelINS0_14default_configENS1_27scan_by_key_config_selectorIssEEZZNS1_16scan_by_key_implILNS1_25lookback_scan_determinismE0ELb1ES3_N6thrust23THRUST_200600_302600_NS6detail15normal_iteratorINS9_10device_ptrIsEEEESE_SE_sNS9_10multipliesIsEENS9_8equal_toIsEEsEE10hipError_tPvRmT2_T3_T4_T5_mT6_T7_P12ihipStream_tbENKUlT_T0_E_clISt17integral_constantIbLb0EESZ_EEDaSU_SV_EUlSU_E_NS1_11comp_targetILNS1_3genE3ELNS1_11target_archE908ELNS1_3gpuE7ELNS1_3repE0EEENS1_30default_config_static_selectorELNS0_4arch9wavefront6targetE0EEEvT1_
	.p2align	8
	.type	_ZN7rocprim17ROCPRIM_400000_NS6detail17trampoline_kernelINS0_14default_configENS1_27scan_by_key_config_selectorIssEEZZNS1_16scan_by_key_implILNS1_25lookback_scan_determinismE0ELb1ES3_N6thrust23THRUST_200600_302600_NS6detail15normal_iteratorINS9_10device_ptrIsEEEESE_SE_sNS9_10multipliesIsEENS9_8equal_toIsEEsEE10hipError_tPvRmT2_T3_T4_T5_mT6_T7_P12ihipStream_tbENKUlT_T0_E_clISt17integral_constantIbLb0EESZ_EEDaSU_SV_EUlSU_E_NS1_11comp_targetILNS1_3genE3ELNS1_11target_archE908ELNS1_3gpuE7ELNS1_3repE0EEENS1_30default_config_static_selectorELNS0_4arch9wavefront6targetE0EEEvT1_,@function
_ZN7rocprim17ROCPRIM_400000_NS6detail17trampoline_kernelINS0_14default_configENS1_27scan_by_key_config_selectorIssEEZZNS1_16scan_by_key_implILNS1_25lookback_scan_determinismE0ELb1ES3_N6thrust23THRUST_200600_302600_NS6detail15normal_iteratorINS9_10device_ptrIsEEEESE_SE_sNS9_10multipliesIsEENS9_8equal_toIsEEsEE10hipError_tPvRmT2_T3_T4_T5_mT6_T7_P12ihipStream_tbENKUlT_T0_E_clISt17integral_constantIbLb0EESZ_EEDaSU_SV_EUlSU_E_NS1_11comp_targetILNS1_3genE3ELNS1_11target_archE908ELNS1_3gpuE7ELNS1_3repE0EEENS1_30default_config_static_selectorELNS0_4arch9wavefront6targetE0EEEvT1_: ; @_ZN7rocprim17ROCPRIM_400000_NS6detail17trampoline_kernelINS0_14default_configENS1_27scan_by_key_config_selectorIssEEZZNS1_16scan_by_key_implILNS1_25lookback_scan_determinismE0ELb1ES3_N6thrust23THRUST_200600_302600_NS6detail15normal_iteratorINS9_10device_ptrIsEEEESE_SE_sNS9_10multipliesIsEENS9_8equal_toIsEEsEE10hipError_tPvRmT2_T3_T4_T5_mT6_T7_P12ihipStream_tbENKUlT_T0_E_clISt17integral_constantIbLb0EESZ_EEDaSU_SV_EUlSU_E_NS1_11comp_targetILNS1_3genE3ELNS1_11target_archE908ELNS1_3gpuE7ELNS1_3repE0EEENS1_30default_config_static_selectorELNS0_4arch9wavefront6targetE0EEEvT1_
; %bb.0:
	.section	.rodata,"a",@progbits
	.p2align	6, 0x0
	.amdhsa_kernel _ZN7rocprim17ROCPRIM_400000_NS6detail17trampoline_kernelINS0_14default_configENS1_27scan_by_key_config_selectorIssEEZZNS1_16scan_by_key_implILNS1_25lookback_scan_determinismE0ELb1ES3_N6thrust23THRUST_200600_302600_NS6detail15normal_iteratorINS9_10device_ptrIsEEEESE_SE_sNS9_10multipliesIsEENS9_8equal_toIsEEsEE10hipError_tPvRmT2_T3_T4_T5_mT6_T7_P12ihipStream_tbENKUlT_T0_E_clISt17integral_constantIbLb0EESZ_EEDaSU_SV_EUlSU_E_NS1_11comp_targetILNS1_3genE3ELNS1_11target_archE908ELNS1_3gpuE7ELNS1_3repE0EEENS1_30default_config_static_selectorELNS0_4arch9wavefront6targetE0EEEvT1_
		.amdhsa_group_segment_fixed_size 0
		.amdhsa_private_segment_fixed_size 0
		.amdhsa_kernarg_size 112
		.amdhsa_user_sgpr_count 2
		.amdhsa_user_sgpr_dispatch_ptr 0
		.amdhsa_user_sgpr_queue_ptr 0
		.amdhsa_user_sgpr_kernarg_segment_ptr 1
		.amdhsa_user_sgpr_dispatch_id 0
		.amdhsa_user_sgpr_kernarg_preload_length 0
		.amdhsa_user_sgpr_kernarg_preload_offset 0
		.amdhsa_user_sgpr_private_segment_size 0
		.amdhsa_wavefront_size32 1
		.amdhsa_uses_dynamic_stack 0
		.amdhsa_enable_private_segment 0
		.amdhsa_system_sgpr_workgroup_id_x 1
		.amdhsa_system_sgpr_workgroup_id_y 0
		.amdhsa_system_sgpr_workgroup_id_z 0
		.amdhsa_system_sgpr_workgroup_info 0
		.amdhsa_system_vgpr_workitem_id 0
		.amdhsa_next_free_vgpr 1
		.amdhsa_next_free_sgpr 1
		.amdhsa_named_barrier_count 0
		.amdhsa_reserve_vcc 0
		.amdhsa_float_round_mode_32 0
		.amdhsa_float_round_mode_16_64 0
		.amdhsa_float_denorm_mode_32 3
		.amdhsa_float_denorm_mode_16_64 3
		.amdhsa_fp16_overflow 0
		.amdhsa_memory_ordered 1
		.amdhsa_forward_progress 1
		.amdhsa_inst_pref_size 0
		.amdhsa_round_robin_scheduling 0
		.amdhsa_exception_fp_ieee_invalid_op 0
		.amdhsa_exception_fp_denorm_src 0
		.amdhsa_exception_fp_ieee_div_zero 0
		.amdhsa_exception_fp_ieee_overflow 0
		.amdhsa_exception_fp_ieee_underflow 0
		.amdhsa_exception_fp_ieee_inexact 0
		.amdhsa_exception_int_div_zero 0
	.end_amdhsa_kernel
	.section	.text._ZN7rocprim17ROCPRIM_400000_NS6detail17trampoline_kernelINS0_14default_configENS1_27scan_by_key_config_selectorIssEEZZNS1_16scan_by_key_implILNS1_25lookback_scan_determinismE0ELb1ES3_N6thrust23THRUST_200600_302600_NS6detail15normal_iteratorINS9_10device_ptrIsEEEESE_SE_sNS9_10multipliesIsEENS9_8equal_toIsEEsEE10hipError_tPvRmT2_T3_T4_T5_mT6_T7_P12ihipStream_tbENKUlT_T0_E_clISt17integral_constantIbLb0EESZ_EEDaSU_SV_EUlSU_E_NS1_11comp_targetILNS1_3genE3ELNS1_11target_archE908ELNS1_3gpuE7ELNS1_3repE0EEENS1_30default_config_static_selectorELNS0_4arch9wavefront6targetE0EEEvT1_,"axG",@progbits,_ZN7rocprim17ROCPRIM_400000_NS6detail17trampoline_kernelINS0_14default_configENS1_27scan_by_key_config_selectorIssEEZZNS1_16scan_by_key_implILNS1_25lookback_scan_determinismE0ELb1ES3_N6thrust23THRUST_200600_302600_NS6detail15normal_iteratorINS9_10device_ptrIsEEEESE_SE_sNS9_10multipliesIsEENS9_8equal_toIsEEsEE10hipError_tPvRmT2_T3_T4_T5_mT6_T7_P12ihipStream_tbENKUlT_T0_E_clISt17integral_constantIbLb0EESZ_EEDaSU_SV_EUlSU_E_NS1_11comp_targetILNS1_3genE3ELNS1_11target_archE908ELNS1_3gpuE7ELNS1_3repE0EEENS1_30default_config_static_selectorELNS0_4arch9wavefront6targetE0EEEvT1_,comdat
.Lfunc_end609:
	.size	_ZN7rocprim17ROCPRIM_400000_NS6detail17trampoline_kernelINS0_14default_configENS1_27scan_by_key_config_selectorIssEEZZNS1_16scan_by_key_implILNS1_25lookback_scan_determinismE0ELb1ES3_N6thrust23THRUST_200600_302600_NS6detail15normal_iteratorINS9_10device_ptrIsEEEESE_SE_sNS9_10multipliesIsEENS9_8equal_toIsEEsEE10hipError_tPvRmT2_T3_T4_T5_mT6_T7_P12ihipStream_tbENKUlT_T0_E_clISt17integral_constantIbLb0EESZ_EEDaSU_SV_EUlSU_E_NS1_11comp_targetILNS1_3genE3ELNS1_11target_archE908ELNS1_3gpuE7ELNS1_3repE0EEENS1_30default_config_static_selectorELNS0_4arch9wavefront6targetE0EEEvT1_, .Lfunc_end609-_ZN7rocprim17ROCPRIM_400000_NS6detail17trampoline_kernelINS0_14default_configENS1_27scan_by_key_config_selectorIssEEZZNS1_16scan_by_key_implILNS1_25lookback_scan_determinismE0ELb1ES3_N6thrust23THRUST_200600_302600_NS6detail15normal_iteratorINS9_10device_ptrIsEEEESE_SE_sNS9_10multipliesIsEENS9_8equal_toIsEEsEE10hipError_tPvRmT2_T3_T4_T5_mT6_T7_P12ihipStream_tbENKUlT_T0_E_clISt17integral_constantIbLb0EESZ_EEDaSU_SV_EUlSU_E_NS1_11comp_targetILNS1_3genE3ELNS1_11target_archE908ELNS1_3gpuE7ELNS1_3repE0EEENS1_30default_config_static_selectorELNS0_4arch9wavefront6targetE0EEEvT1_
                                        ; -- End function
	.set _ZN7rocprim17ROCPRIM_400000_NS6detail17trampoline_kernelINS0_14default_configENS1_27scan_by_key_config_selectorIssEEZZNS1_16scan_by_key_implILNS1_25lookback_scan_determinismE0ELb1ES3_N6thrust23THRUST_200600_302600_NS6detail15normal_iteratorINS9_10device_ptrIsEEEESE_SE_sNS9_10multipliesIsEENS9_8equal_toIsEEsEE10hipError_tPvRmT2_T3_T4_T5_mT6_T7_P12ihipStream_tbENKUlT_T0_E_clISt17integral_constantIbLb0EESZ_EEDaSU_SV_EUlSU_E_NS1_11comp_targetILNS1_3genE3ELNS1_11target_archE908ELNS1_3gpuE7ELNS1_3repE0EEENS1_30default_config_static_selectorELNS0_4arch9wavefront6targetE0EEEvT1_.num_vgpr, 0
	.set _ZN7rocprim17ROCPRIM_400000_NS6detail17trampoline_kernelINS0_14default_configENS1_27scan_by_key_config_selectorIssEEZZNS1_16scan_by_key_implILNS1_25lookback_scan_determinismE0ELb1ES3_N6thrust23THRUST_200600_302600_NS6detail15normal_iteratorINS9_10device_ptrIsEEEESE_SE_sNS9_10multipliesIsEENS9_8equal_toIsEEsEE10hipError_tPvRmT2_T3_T4_T5_mT6_T7_P12ihipStream_tbENKUlT_T0_E_clISt17integral_constantIbLb0EESZ_EEDaSU_SV_EUlSU_E_NS1_11comp_targetILNS1_3genE3ELNS1_11target_archE908ELNS1_3gpuE7ELNS1_3repE0EEENS1_30default_config_static_selectorELNS0_4arch9wavefront6targetE0EEEvT1_.num_agpr, 0
	.set _ZN7rocprim17ROCPRIM_400000_NS6detail17trampoline_kernelINS0_14default_configENS1_27scan_by_key_config_selectorIssEEZZNS1_16scan_by_key_implILNS1_25lookback_scan_determinismE0ELb1ES3_N6thrust23THRUST_200600_302600_NS6detail15normal_iteratorINS9_10device_ptrIsEEEESE_SE_sNS9_10multipliesIsEENS9_8equal_toIsEEsEE10hipError_tPvRmT2_T3_T4_T5_mT6_T7_P12ihipStream_tbENKUlT_T0_E_clISt17integral_constantIbLb0EESZ_EEDaSU_SV_EUlSU_E_NS1_11comp_targetILNS1_3genE3ELNS1_11target_archE908ELNS1_3gpuE7ELNS1_3repE0EEENS1_30default_config_static_selectorELNS0_4arch9wavefront6targetE0EEEvT1_.numbered_sgpr, 0
	.set _ZN7rocprim17ROCPRIM_400000_NS6detail17trampoline_kernelINS0_14default_configENS1_27scan_by_key_config_selectorIssEEZZNS1_16scan_by_key_implILNS1_25lookback_scan_determinismE0ELb1ES3_N6thrust23THRUST_200600_302600_NS6detail15normal_iteratorINS9_10device_ptrIsEEEESE_SE_sNS9_10multipliesIsEENS9_8equal_toIsEEsEE10hipError_tPvRmT2_T3_T4_T5_mT6_T7_P12ihipStream_tbENKUlT_T0_E_clISt17integral_constantIbLb0EESZ_EEDaSU_SV_EUlSU_E_NS1_11comp_targetILNS1_3genE3ELNS1_11target_archE908ELNS1_3gpuE7ELNS1_3repE0EEENS1_30default_config_static_selectorELNS0_4arch9wavefront6targetE0EEEvT1_.num_named_barrier, 0
	.set _ZN7rocprim17ROCPRIM_400000_NS6detail17trampoline_kernelINS0_14default_configENS1_27scan_by_key_config_selectorIssEEZZNS1_16scan_by_key_implILNS1_25lookback_scan_determinismE0ELb1ES3_N6thrust23THRUST_200600_302600_NS6detail15normal_iteratorINS9_10device_ptrIsEEEESE_SE_sNS9_10multipliesIsEENS9_8equal_toIsEEsEE10hipError_tPvRmT2_T3_T4_T5_mT6_T7_P12ihipStream_tbENKUlT_T0_E_clISt17integral_constantIbLb0EESZ_EEDaSU_SV_EUlSU_E_NS1_11comp_targetILNS1_3genE3ELNS1_11target_archE908ELNS1_3gpuE7ELNS1_3repE0EEENS1_30default_config_static_selectorELNS0_4arch9wavefront6targetE0EEEvT1_.private_seg_size, 0
	.set _ZN7rocprim17ROCPRIM_400000_NS6detail17trampoline_kernelINS0_14default_configENS1_27scan_by_key_config_selectorIssEEZZNS1_16scan_by_key_implILNS1_25lookback_scan_determinismE0ELb1ES3_N6thrust23THRUST_200600_302600_NS6detail15normal_iteratorINS9_10device_ptrIsEEEESE_SE_sNS9_10multipliesIsEENS9_8equal_toIsEEsEE10hipError_tPvRmT2_T3_T4_T5_mT6_T7_P12ihipStream_tbENKUlT_T0_E_clISt17integral_constantIbLb0EESZ_EEDaSU_SV_EUlSU_E_NS1_11comp_targetILNS1_3genE3ELNS1_11target_archE908ELNS1_3gpuE7ELNS1_3repE0EEENS1_30default_config_static_selectorELNS0_4arch9wavefront6targetE0EEEvT1_.uses_vcc, 0
	.set _ZN7rocprim17ROCPRIM_400000_NS6detail17trampoline_kernelINS0_14default_configENS1_27scan_by_key_config_selectorIssEEZZNS1_16scan_by_key_implILNS1_25lookback_scan_determinismE0ELb1ES3_N6thrust23THRUST_200600_302600_NS6detail15normal_iteratorINS9_10device_ptrIsEEEESE_SE_sNS9_10multipliesIsEENS9_8equal_toIsEEsEE10hipError_tPvRmT2_T3_T4_T5_mT6_T7_P12ihipStream_tbENKUlT_T0_E_clISt17integral_constantIbLb0EESZ_EEDaSU_SV_EUlSU_E_NS1_11comp_targetILNS1_3genE3ELNS1_11target_archE908ELNS1_3gpuE7ELNS1_3repE0EEENS1_30default_config_static_selectorELNS0_4arch9wavefront6targetE0EEEvT1_.uses_flat_scratch, 0
	.set _ZN7rocprim17ROCPRIM_400000_NS6detail17trampoline_kernelINS0_14default_configENS1_27scan_by_key_config_selectorIssEEZZNS1_16scan_by_key_implILNS1_25lookback_scan_determinismE0ELb1ES3_N6thrust23THRUST_200600_302600_NS6detail15normal_iteratorINS9_10device_ptrIsEEEESE_SE_sNS9_10multipliesIsEENS9_8equal_toIsEEsEE10hipError_tPvRmT2_T3_T4_T5_mT6_T7_P12ihipStream_tbENKUlT_T0_E_clISt17integral_constantIbLb0EESZ_EEDaSU_SV_EUlSU_E_NS1_11comp_targetILNS1_3genE3ELNS1_11target_archE908ELNS1_3gpuE7ELNS1_3repE0EEENS1_30default_config_static_selectorELNS0_4arch9wavefront6targetE0EEEvT1_.has_dyn_sized_stack, 0
	.set _ZN7rocprim17ROCPRIM_400000_NS6detail17trampoline_kernelINS0_14default_configENS1_27scan_by_key_config_selectorIssEEZZNS1_16scan_by_key_implILNS1_25lookback_scan_determinismE0ELb1ES3_N6thrust23THRUST_200600_302600_NS6detail15normal_iteratorINS9_10device_ptrIsEEEESE_SE_sNS9_10multipliesIsEENS9_8equal_toIsEEsEE10hipError_tPvRmT2_T3_T4_T5_mT6_T7_P12ihipStream_tbENKUlT_T0_E_clISt17integral_constantIbLb0EESZ_EEDaSU_SV_EUlSU_E_NS1_11comp_targetILNS1_3genE3ELNS1_11target_archE908ELNS1_3gpuE7ELNS1_3repE0EEENS1_30default_config_static_selectorELNS0_4arch9wavefront6targetE0EEEvT1_.has_recursion, 0
	.set _ZN7rocprim17ROCPRIM_400000_NS6detail17trampoline_kernelINS0_14default_configENS1_27scan_by_key_config_selectorIssEEZZNS1_16scan_by_key_implILNS1_25lookback_scan_determinismE0ELb1ES3_N6thrust23THRUST_200600_302600_NS6detail15normal_iteratorINS9_10device_ptrIsEEEESE_SE_sNS9_10multipliesIsEENS9_8equal_toIsEEsEE10hipError_tPvRmT2_T3_T4_T5_mT6_T7_P12ihipStream_tbENKUlT_T0_E_clISt17integral_constantIbLb0EESZ_EEDaSU_SV_EUlSU_E_NS1_11comp_targetILNS1_3genE3ELNS1_11target_archE908ELNS1_3gpuE7ELNS1_3repE0EEENS1_30default_config_static_selectorELNS0_4arch9wavefront6targetE0EEEvT1_.has_indirect_call, 0
	.section	.AMDGPU.csdata,"",@progbits
; Kernel info:
; codeLenInByte = 0
; TotalNumSgprs: 0
; NumVgprs: 0
; ScratchSize: 0
; MemoryBound: 0
; FloatMode: 240
; IeeeMode: 1
; LDSByteSize: 0 bytes/workgroup (compile time only)
; SGPRBlocks: 0
; VGPRBlocks: 0
; NumSGPRsForWavesPerEU: 1
; NumVGPRsForWavesPerEU: 1
; NamedBarCnt: 0
; Occupancy: 16
; WaveLimiterHint : 0
; COMPUTE_PGM_RSRC2:SCRATCH_EN: 0
; COMPUTE_PGM_RSRC2:USER_SGPR: 2
; COMPUTE_PGM_RSRC2:TRAP_HANDLER: 0
; COMPUTE_PGM_RSRC2:TGID_X_EN: 1
; COMPUTE_PGM_RSRC2:TGID_Y_EN: 0
; COMPUTE_PGM_RSRC2:TGID_Z_EN: 0
; COMPUTE_PGM_RSRC2:TIDIG_COMP_CNT: 0
	.section	.text._ZN7rocprim17ROCPRIM_400000_NS6detail17trampoline_kernelINS0_14default_configENS1_27scan_by_key_config_selectorIssEEZZNS1_16scan_by_key_implILNS1_25lookback_scan_determinismE0ELb1ES3_N6thrust23THRUST_200600_302600_NS6detail15normal_iteratorINS9_10device_ptrIsEEEESE_SE_sNS9_10multipliesIsEENS9_8equal_toIsEEsEE10hipError_tPvRmT2_T3_T4_T5_mT6_T7_P12ihipStream_tbENKUlT_T0_E_clISt17integral_constantIbLb0EESZ_EEDaSU_SV_EUlSU_E_NS1_11comp_targetILNS1_3genE2ELNS1_11target_archE906ELNS1_3gpuE6ELNS1_3repE0EEENS1_30default_config_static_selectorELNS0_4arch9wavefront6targetE0EEEvT1_,"axG",@progbits,_ZN7rocprim17ROCPRIM_400000_NS6detail17trampoline_kernelINS0_14default_configENS1_27scan_by_key_config_selectorIssEEZZNS1_16scan_by_key_implILNS1_25lookback_scan_determinismE0ELb1ES3_N6thrust23THRUST_200600_302600_NS6detail15normal_iteratorINS9_10device_ptrIsEEEESE_SE_sNS9_10multipliesIsEENS9_8equal_toIsEEsEE10hipError_tPvRmT2_T3_T4_T5_mT6_T7_P12ihipStream_tbENKUlT_T0_E_clISt17integral_constantIbLb0EESZ_EEDaSU_SV_EUlSU_E_NS1_11comp_targetILNS1_3genE2ELNS1_11target_archE906ELNS1_3gpuE6ELNS1_3repE0EEENS1_30default_config_static_selectorELNS0_4arch9wavefront6targetE0EEEvT1_,comdat
	.protected	_ZN7rocprim17ROCPRIM_400000_NS6detail17trampoline_kernelINS0_14default_configENS1_27scan_by_key_config_selectorIssEEZZNS1_16scan_by_key_implILNS1_25lookback_scan_determinismE0ELb1ES3_N6thrust23THRUST_200600_302600_NS6detail15normal_iteratorINS9_10device_ptrIsEEEESE_SE_sNS9_10multipliesIsEENS9_8equal_toIsEEsEE10hipError_tPvRmT2_T3_T4_T5_mT6_T7_P12ihipStream_tbENKUlT_T0_E_clISt17integral_constantIbLb0EESZ_EEDaSU_SV_EUlSU_E_NS1_11comp_targetILNS1_3genE2ELNS1_11target_archE906ELNS1_3gpuE6ELNS1_3repE0EEENS1_30default_config_static_selectorELNS0_4arch9wavefront6targetE0EEEvT1_ ; -- Begin function _ZN7rocprim17ROCPRIM_400000_NS6detail17trampoline_kernelINS0_14default_configENS1_27scan_by_key_config_selectorIssEEZZNS1_16scan_by_key_implILNS1_25lookback_scan_determinismE0ELb1ES3_N6thrust23THRUST_200600_302600_NS6detail15normal_iteratorINS9_10device_ptrIsEEEESE_SE_sNS9_10multipliesIsEENS9_8equal_toIsEEsEE10hipError_tPvRmT2_T3_T4_T5_mT6_T7_P12ihipStream_tbENKUlT_T0_E_clISt17integral_constantIbLb0EESZ_EEDaSU_SV_EUlSU_E_NS1_11comp_targetILNS1_3genE2ELNS1_11target_archE906ELNS1_3gpuE6ELNS1_3repE0EEENS1_30default_config_static_selectorELNS0_4arch9wavefront6targetE0EEEvT1_
	.globl	_ZN7rocprim17ROCPRIM_400000_NS6detail17trampoline_kernelINS0_14default_configENS1_27scan_by_key_config_selectorIssEEZZNS1_16scan_by_key_implILNS1_25lookback_scan_determinismE0ELb1ES3_N6thrust23THRUST_200600_302600_NS6detail15normal_iteratorINS9_10device_ptrIsEEEESE_SE_sNS9_10multipliesIsEENS9_8equal_toIsEEsEE10hipError_tPvRmT2_T3_T4_T5_mT6_T7_P12ihipStream_tbENKUlT_T0_E_clISt17integral_constantIbLb0EESZ_EEDaSU_SV_EUlSU_E_NS1_11comp_targetILNS1_3genE2ELNS1_11target_archE906ELNS1_3gpuE6ELNS1_3repE0EEENS1_30default_config_static_selectorELNS0_4arch9wavefront6targetE0EEEvT1_
	.p2align	8
	.type	_ZN7rocprim17ROCPRIM_400000_NS6detail17trampoline_kernelINS0_14default_configENS1_27scan_by_key_config_selectorIssEEZZNS1_16scan_by_key_implILNS1_25lookback_scan_determinismE0ELb1ES3_N6thrust23THRUST_200600_302600_NS6detail15normal_iteratorINS9_10device_ptrIsEEEESE_SE_sNS9_10multipliesIsEENS9_8equal_toIsEEsEE10hipError_tPvRmT2_T3_T4_T5_mT6_T7_P12ihipStream_tbENKUlT_T0_E_clISt17integral_constantIbLb0EESZ_EEDaSU_SV_EUlSU_E_NS1_11comp_targetILNS1_3genE2ELNS1_11target_archE906ELNS1_3gpuE6ELNS1_3repE0EEENS1_30default_config_static_selectorELNS0_4arch9wavefront6targetE0EEEvT1_,@function
_ZN7rocprim17ROCPRIM_400000_NS6detail17trampoline_kernelINS0_14default_configENS1_27scan_by_key_config_selectorIssEEZZNS1_16scan_by_key_implILNS1_25lookback_scan_determinismE0ELb1ES3_N6thrust23THRUST_200600_302600_NS6detail15normal_iteratorINS9_10device_ptrIsEEEESE_SE_sNS9_10multipliesIsEENS9_8equal_toIsEEsEE10hipError_tPvRmT2_T3_T4_T5_mT6_T7_P12ihipStream_tbENKUlT_T0_E_clISt17integral_constantIbLb0EESZ_EEDaSU_SV_EUlSU_E_NS1_11comp_targetILNS1_3genE2ELNS1_11target_archE906ELNS1_3gpuE6ELNS1_3repE0EEENS1_30default_config_static_selectorELNS0_4arch9wavefront6targetE0EEEvT1_: ; @_ZN7rocprim17ROCPRIM_400000_NS6detail17trampoline_kernelINS0_14default_configENS1_27scan_by_key_config_selectorIssEEZZNS1_16scan_by_key_implILNS1_25lookback_scan_determinismE0ELb1ES3_N6thrust23THRUST_200600_302600_NS6detail15normal_iteratorINS9_10device_ptrIsEEEESE_SE_sNS9_10multipliesIsEENS9_8equal_toIsEEsEE10hipError_tPvRmT2_T3_T4_T5_mT6_T7_P12ihipStream_tbENKUlT_T0_E_clISt17integral_constantIbLb0EESZ_EEDaSU_SV_EUlSU_E_NS1_11comp_targetILNS1_3genE2ELNS1_11target_archE906ELNS1_3gpuE6ELNS1_3repE0EEENS1_30default_config_static_selectorELNS0_4arch9wavefront6targetE0EEEvT1_
; %bb.0:
	.section	.rodata,"a",@progbits
	.p2align	6, 0x0
	.amdhsa_kernel _ZN7rocprim17ROCPRIM_400000_NS6detail17trampoline_kernelINS0_14default_configENS1_27scan_by_key_config_selectorIssEEZZNS1_16scan_by_key_implILNS1_25lookback_scan_determinismE0ELb1ES3_N6thrust23THRUST_200600_302600_NS6detail15normal_iteratorINS9_10device_ptrIsEEEESE_SE_sNS9_10multipliesIsEENS9_8equal_toIsEEsEE10hipError_tPvRmT2_T3_T4_T5_mT6_T7_P12ihipStream_tbENKUlT_T0_E_clISt17integral_constantIbLb0EESZ_EEDaSU_SV_EUlSU_E_NS1_11comp_targetILNS1_3genE2ELNS1_11target_archE906ELNS1_3gpuE6ELNS1_3repE0EEENS1_30default_config_static_selectorELNS0_4arch9wavefront6targetE0EEEvT1_
		.amdhsa_group_segment_fixed_size 0
		.amdhsa_private_segment_fixed_size 0
		.amdhsa_kernarg_size 112
		.amdhsa_user_sgpr_count 2
		.amdhsa_user_sgpr_dispatch_ptr 0
		.amdhsa_user_sgpr_queue_ptr 0
		.amdhsa_user_sgpr_kernarg_segment_ptr 1
		.amdhsa_user_sgpr_dispatch_id 0
		.amdhsa_user_sgpr_kernarg_preload_length 0
		.amdhsa_user_sgpr_kernarg_preload_offset 0
		.amdhsa_user_sgpr_private_segment_size 0
		.amdhsa_wavefront_size32 1
		.amdhsa_uses_dynamic_stack 0
		.amdhsa_enable_private_segment 0
		.amdhsa_system_sgpr_workgroup_id_x 1
		.amdhsa_system_sgpr_workgroup_id_y 0
		.amdhsa_system_sgpr_workgroup_id_z 0
		.amdhsa_system_sgpr_workgroup_info 0
		.amdhsa_system_vgpr_workitem_id 0
		.amdhsa_next_free_vgpr 1
		.amdhsa_next_free_sgpr 1
		.amdhsa_named_barrier_count 0
		.amdhsa_reserve_vcc 0
		.amdhsa_float_round_mode_32 0
		.amdhsa_float_round_mode_16_64 0
		.amdhsa_float_denorm_mode_32 3
		.amdhsa_float_denorm_mode_16_64 3
		.amdhsa_fp16_overflow 0
		.amdhsa_memory_ordered 1
		.amdhsa_forward_progress 1
		.amdhsa_inst_pref_size 0
		.amdhsa_round_robin_scheduling 0
		.amdhsa_exception_fp_ieee_invalid_op 0
		.amdhsa_exception_fp_denorm_src 0
		.amdhsa_exception_fp_ieee_div_zero 0
		.amdhsa_exception_fp_ieee_overflow 0
		.amdhsa_exception_fp_ieee_underflow 0
		.amdhsa_exception_fp_ieee_inexact 0
		.amdhsa_exception_int_div_zero 0
	.end_amdhsa_kernel
	.section	.text._ZN7rocprim17ROCPRIM_400000_NS6detail17trampoline_kernelINS0_14default_configENS1_27scan_by_key_config_selectorIssEEZZNS1_16scan_by_key_implILNS1_25lookback_scan_determinismE0ELb1ES3_N6thrust23THRUST_200600_302600_NS6detail15normal_iteratorINS9_10device_ptrIsEEEESE_SE_sNS9_10multipliesIsEENS9_8equal_toIsEEsEE10hipError_tPvRmT2_T3_T4_T5_mT6_T7_P12ihipStream_tbENKUlT_T0_E_clISt17integral_constantIbLb0EESZ_EEDaSU_SV_EUlSU_E_NS1_11comp_targetILNS1_3genE2ELNS1_11target_archE906ELNS1_3gpuE6ELNS1_3repE0EEENS1_30default_config_static_selectorELNS0_4arch9wavefront6targetE0EEEvT1_,"axG",@progbits,_ZN7rocprim17ROCPRIM_400000_NS6detail17trampoline_kernelINS0_14default_configENS1_27scan_by_key_config_selectorIssEEZZNS1_16scan_by_key_implILNS1_25lookback_scan_determinismE0ELb1ES3_N6thrust23THRUST_200600_302600_NS6detail15normal_iteratorINS9_10device_ptrIsEEEESE_SE_sNS9_10multipliesIsEENS9_8equal_toIsEEsEE10hipError_tPvRmT2_T3_T4_T5_mT6_T7_P12ihipStream_tbENKUlT_T0_E_clISt17integral_constantIbLb0EESZ_EEDaSU_SV_EUlSU_E_NS1_11comp_targetILNS1_3genE2ELNS1_11target_archE906ELNS1_3gpuE6ELNS1_3repE0EEENS1_30default_config_static_selectorELNS0_4arch9wavefront6targetE0EEEvT1_,comdat
.Lfunc_end610:
	.size	_ZN7rocprim17ROCPRIM_400000_NS6detail17trampoline_kernelINS0_14default_configENS1_27scan_by_key_config_selectorIssEEZZNS1_16scan_by_key_implILNS1_25lookback_scan_determinismE0ELb1ES3_N6thrust23THRUST_200600_302600_NS6detail15normal_iteratorINS9_10device_ptrIsEEEESE_SE_sNS9_10multipliesIsEENS9_8equal_toIsEEsEE10hipError_tPvRmT2_T3_T4_T5_mT6_T7_P12ihipStream_tbENKUlT_T0_E_clISt17integral_constantIbLb0EESZ_EEDaSU_SV_EUlSU_E_NS1_11comp_targetILNS1_3genE2ELNS1_11target_archE906ELNS1_3gpuE6ELNS1_3repE0EEENS1_30default_config_static_selectorELNS0_4arch9wavefront6targetE0EEEvT1_, .Lfunc_end610-_ZN7rocprim17ROCPRIM_400000_NS6detail17trampoline_kernelINS0_14default_configENS1_27scan_by_key_config_selectorIssEEZZNS1_16scan_by_key_implILNS1_25lookback_scan_determinismE0ELb1ES3_N6thrust23THRUST_200600_302600_NS6detail15normal_iteratorINS9_10device_ptrIsEEEESE_SE_sNS9_10multipliesIsEENS9_8equal_toIsEEsEE10hipError_tPvRmT2_T3_T4_T5_mT6_T7_P12ihipStream_tbENKUlT_T0_E_clISt17integral_constantIbLb0EESZ_EEDaSU_SV_EUlSU_E_NS1_11comp_targetILNS1_3genE2ELNS1_11target_archE906ELNS1_3gpuE6ELNS1_3repE0EEENS1_30default_config_static_selectorELNS0_4arch9wavefront6targetE0EEEvT1_
                                        ; -- End function
	.set _ZN7rocprim17ROCPRIM_400000_NS6detail17trampoline_kernelINS0_14default_configENS1_27scan_by_key_config_selectorIssEEZZNS1_16scan_by_key_implILNS1_25lookback_scan_determinismE0ELb1ES3_N6thrust23THRUST_200600_302600_NS6detail15normal_iteratorINS9_10device_ptrIsEEEESE_SE_sNS9_10multipliesIsEENS9_8equal_toIsEEsEE10hipError_tPvRmT2_T3_T4_T5_mT6_T7_P12ihipStream_tbENKUlT_T0_E_clISt17integral_constantIbLb0EESZ_EEDaSU_SV_EUlSU_E_NS1_11comp_targetILNS1_3genE2ELNS1_11target_archE906ELNS1_3gpuE6ELNS1_3repE0EEENS1_30default_config_static_selectorELNS0_4arch9wavefront6targetE0EEEvT1_.num_vgpr, 0
	.set _ZN7rocprim17ROCPRIM_400000_NS6detail17trampoline_kernelINS0_14default_configENS1_27scan_by_key_config_selectorIssEEZZNS1_16scan_by_key_implILNS1_25lookback_scan_determinismE0ELb1ES3_N6thrust23THRUST_200600_302600_NS6detail15normal_iteratorINS9_10device_ptrIsEEEESE_SE_sNS9_10multipliesIsEENS9_8equal_toIsEEsEE10hipError_tPvRmT2_T3_T4_T5_mT6_T7_P12ihipStream_tbENKUlT_T0_E_clISt17integral_constantIbLb0EESZ_EEDaSU_SV_EUlSU_E_NS1_11comp_targetILNS1_3genE2ELNS1_11target_archE906ELNS1_3gpuE6ELNS1_3repE0EEENS1_30default_config_static_selectorELNS0_4arch9wavefront6targetE0EEEvT1_.num_agpr, 0
	.set _ZN7rocprim17ROCPRIM_400000_NS6detail17trampoline_kernelINS0_14default_configENS1_27scan_by_key_config_selectorIssEEZZNS1_16scan_by_key_implILNS1_25lookback_scan_determinismE0ELb1ES3_N6thrust23THRUST_200600_302600_NS6detail15normal_iteratorINS9_10device_ptrIsEEEESE_SE_sNS9_10multipliesIsEENS9_8equal_toIsEEsEE10hipError_tPvRmT2_T3_T4_T5_mT6_T7_P12ihipStream_tbENKUlT_T0_E_clISt17integral_constantIbLb0EESZ_EEDaSU_SV_EUlSU_E_NS1_11comp_targetILNS1_3genE2ELNS1_11target_archE906ELNS1_3gpuE6ELNS1_3repE0EEENS1_30default_config_static_selectorELNS0_4arch9wavefront6targetE0EEEvT1_.numbered_sgpr, 0
	.set _ZN7rocprim17ROCPRIM_400000_NS6detail17trampoline_kernelINS0_14default_configENS1_27scan_by_key_config_selectorIssEEZZNS1_16scan_by_key_implILNS1_25lookback_scan_determinismE0ELb1ES3_N6thrust23THRUST_200600_302600_NS6detail15normal_iteratorINS9_10device_ptrIsEEEESE_SE_sNS9_10multipliesIsEENS9_8equal_toIsEEsEE10hipError_tPvRmT2_T3_T4_T5_mT6_T7_P12ihipStream_tbENKUlT_T0_E_clISt17integral_constantIbLb0EESZ_EEDaSU_SV_EUlSU_E_NS1_11comp_targetILNS1_3genE2ELNS1_11target_archE906ELNS1_3gpuE6ELNS1_3repE0EEENS1_30default_config_static_selectorELNS0_4arch9wavefront6targetE0EEEvT1_.num_named_barrier, 0
	.set _ZN7rocprim17ROCPRIM_400000_NS6detail17trampoline_kernelINS0_14default_configENS1_27scan_by_key_config_selectorIssEEZZNS1_16scan_by_key_implILNS1_25lookback_scan_determinismE0ELb1ES3_N6thrust23THRUST_200600_302600_NS6detail15normal_iteratorINS9_10device_ptrIsEEEESE_SE_sNS9_10multipliesIsEENS9_8equal_toIsEEsEE10hipError_tPvRmT2_T3_T4_T5_mT6_T7_P12ihipStream_tbENKUlT_T0_E_clISt17integral_constantIbLb0EESZ_EEDaSU_SV_EUlSU_E_NS1_11comp_targetILNS1_3genE2ELNS1_11target_archE906ELNS1_3gpuE6ELNS1_3repE0EEENS1_30default_config_static_selectorELNS0_4arch9wavefront6targetE0EEEvT1_.private_seg_size, 0
	.set _ZN7rocprim17ROCPRIM_400000_NS6detail17trampoline_kernelINS0_14default_configENS1_27scan_by_key_config_selectorIssEEZZNS1_16scan_by_key_implILNS1_25lookback_scan_determinismE0ELb1ES3_N6thrust23THRUST_200600_302600_NS6detail15normal_iteratorINS9_10device_ptrIsEEEESE_SE_sNS9_10multipliesIsEENS9_8equal_toIsEEsEE10hipError_tPvRmT2_T3_T4_T5_mT6_T7_P12ihipStream_tbENKUlT_T0_E_clISt17integral_constantIbLb0EESZ_EEDaSU_SV_EUlSU_E_NS1_11comp_targetILNS1_3genE2ELNS1_11target_archE906ELNS1_3gpuE6ELNS1_3repE0EEENS1_30default_config_static_selectorELNS0_4arch9wavefront6targetE0EEEvT1_.uses_vcc, 0
	.set _ZN7rocprim17ROCPRIM_400000_NS6detail17trampoline_kernelINS0_14default_configENS1_27scan_by_key_config_selectorIssEEZZNS1_16scan_by_key_implILNS1_25lookback_scan_determinismE0ELb1ES3_N6thrust23THRUST_200600_302600_NS6detail15normal_iteratorINS9_10device_ptrIsEEEESE_SE_sNS9_10multipliesIsEENS9_8equal_toIsEEsEE10hipError_tPvRmT2_T3_T4_T5_mT6_T7_P12ihipStream_tbENKUlT_T0_E_clISt17integral_constantIbLb0EESZ_EEDaSU_SV_EUlSU_E_NS1_11comp_targetILNS1_3genE2ELNS1_11target_archE906ELNS1_3gpuE6ELNS1_3repE0EEENS1_30default_config_static_selectorELNS0_4arch9wavefront6targetE0EEEvT1_.uses_flat_scratch, 0
	.set _ZN7rocprim17ROCPRIM_400000_NS6detail17trampoline_kernelINS0_14default_configENS1_27scan_by_key_config_selectorIssEEZZNS1_16scan_by_key_implILNS1_25lookback_scan_determinismE0ELb1ES3_N6thrust23THRUST_200600_302600_NS6detail15normal_iteratorINS9_10device_ptrIsEEEESE_SE_sNS9_10multipliesIsEENS9_8equal_toIsEEsEE10hipError_tPvRmT2_T3_T4_T5_mT6_T7_P12ihipStream_tbENKUlT_T0_E_clISt17integral_constantIbLb0EESZ_EEDaSU_SV_EUlSU_E_NS1_11comp_targetILNS1_3genE2ELNS1_11target_archE906ELNS1_3gpuE6ELNS1_3repE0EEENS1_30default_config_static_selectorELNS0_4arch9wavefront6targetE0EEEvT1_.has_dyn_sized_stack, 0
	.set _ZN7rocprim17ROCPRIM_400000_NS6detail17trampoline_kernelINS0_14default_configENS1_27scan_by_key_config_selectorIssEEZZNS1_16scan_by_key_implILNS1_25lookback_scan_determinismE0ELb1ES3_N6thrust23THRUST_200600_302600_NS6detail15normal_iteratorINS9_10device_ptrIsEEEESE_SE_sNS9_10multipliesIsEENS9_8equal_toIsEEsEE10hipError_tPvRmT2_T3_T4_T5_mT6_T7_P12ihipStream_tbENKUlT_T0_E_clISt17integral_constantIbLb0EESZ_EEDaSU_SV_EUlSU_E_NS1_11comp_targetILNS1_3genE2ELNS1_11target_archE906ELNS1_3gpuE6ELNS1_3repE0EEENS1_30default_config_static_selectorELNS0_4arch9wavefront6targetE0EEEvT1_.has_recursion, 0
	.set _ZN7rocprim17ROCPRIM_400000_NS6detail17trampoline_kernelINS0_14default_configENS1_27scan_by_key_config_selectorIssEEZZNS1_16scan_by_key_implILNS1_25lookback_scan_determinismE0ELb1ES3_N6thrust23THRUST_200600_302600_NS6detail15normal_iteratorINS9_10device_ptrIsEEEESE_SE_sNS9_10multipliesIsEENS9_8equal_toIsEEsEE10hipError_tPvRmT2_T3_T4_T5_mT6_T7_P12ihipStream_tbENKUlT_T0_E_clISt17integral_constantIbLb0EESZ_EEDaSU_SV_EUlSU_E_NS1_11comp_targetILNS1_3genE2ELNS1_11target_archE906ELNS1_3gpuE6ELNS1_3repE0EEENS1_30default_config_static_selectorELNS0_4arch9wavefront6targetE0EEEvT1_.has_indirect_call, 0
	.section	.AMDGPU.csdata,"",@progbits
; Kernel info:
; codeLenInByte = 0
; TotalNumSgprs: 0
; NumVgprs: 0
; ScratchSize: 0
; MemoryBound: 0
; FloatMode: 240
; IeeeMode: 1
; LDSByteSize: 0 bytes/workgroup (compile time only)
; SGPRBlocks: 0
; VGPRBlocks: 0
; NumSGPRsForWavesPerEU: 1
; NumVGPRsForWavesPerEU: 1
; NamedBarCnt: 0
; Occupancy: 16
; WaveLimiterHint : 0
; COMPUTE_PGM_RSRC2:SCRATCH_EN: 0
; COMPUTE_PGM_RSRC2:USER_SGPR: 2
; COMPUTE_PGM_RSRC2:TRAP_HANDLER: 0
; COMPUTE_PGM_RSRC2:TGID_X_EN: 1
; COMPUTE_PGM_RSRC2:TGID_Y_EN: 0
; COMPUTE_PGM_RSRC2:TGID_Z_EN: 0
; COMPUTE_PGM_RSRC2:TIDIG_COMP_CNT: 0
	.section	.text._ZN7rocprim17ROCPRIM_400000_NS6detail17trampoline_kernelINS0_14default_configENS1_27scan_by_key_config_selectorIssEEZZNS1_16scan_by_key_implILNS1_25lookback_scan_determinismE0ELb1ES3_N6thrust23THRUST_200600_302600_NS6detail15normal_iteratorINS9_10device_ptrIsEEEESE_SE_sNS9_10multipliesIsEENS9_8equal_toIsEEsEE10hipError_tPvRmT2_T3_T4_T5_mT6_T7_P12ihipStream_tbENKUlT_T0_E_clISt17integral_constantIbLb0EESZ_EEDaSU_SV_EUlSU_E_NS1_11comp_targetILNS1_3genE10ELNS1_11target_archE1200ELNS1_3gpuE4ELNS1_3repE0EEENS1_30default_config_static_selectorELNS0_4arch9wavefront6targetE0EEEvT1_,"axG",@progbits,_ZN7rocprim17ROCPRIM_400000_NS6detail17trampoline_kernelINS0_14default_configENS1_27scan_by_key_config_selectorIssEEZZNS1_16scan_by_key_implILNS1_25lookback_scan_determinismE0ELb1ES3_N6thrust23THRUST_200600_302600_NS6detail15normal_iteratorINS9_10device_ptrIsEEEESE_SE_sNS9_10multipliesIsEENS9_8equal_toIsEEsEE10hipError_tPvRmT2_T3_T4_T5_mT6_T7_P12ihipStream_tbENKUlT_T0_E_clISt17integral_constantIbLb0EESZ_EEDaSU_SV_EUlSU_E_NS1_11comp_targetILNS1_3genE10ELNS1_11target_archE1200ELNS1_3gpuE4ELNS1_3repE0EEENS1_30default_config_static_selectorELNS0_4arch9wavefront6targetE0EEEvT1_,comdat
	.protected	_ZN7rocprim17ROCPRIM_400000_NS6detail17trampoline_kernelINS0_14default_configENS1_27scan_by_key_config_selectorIssEEZZNS1_16scan_by_key_implILNS1_25lookback_scan_determinismE0ELb1ES3_N6thrust23THRUST_200600_302600_NS6detail15normal_iteratorINS9_10device_ptrIsEEEESE_SE_sNS9_10multipliesIsEENS9_8equal_toIsEEsEE10hipError_tPvRmT2_T3_T4_T5_mT6_T7_P12ihipStream_tbENKUlT_T0_E_clISt17integral_constantIbLb0EESZ_EEDaSU_SV_EUlSU_E_NS1_11comp_targetILNS1_3genE10ELNS1_11target_archE1200ELNS1_3gpuE4ELNS1_3repE0EEENS1_30default_config_static_selectorELNS0_4arch9wavefront6targetE0EEEvT1_ ; -- Begin function _ZN7rocprim17ROCPRIM_400000_NS6detail17trampoline_kernelINS0_14default_configENS1_27scan_by_key_config_selectorIssEEZZNS1_16scan_by_key_implILNS1_25lookback_scan_determinismE0ELb1ES3_N6thrust23THRUST_200600_302600_NS6detail15normal_iteratorINS9_10device_ptrIsEEEESE_SE_sNS9_10multipliesIsEENS9_8equal_toIsEEsEE10hipError_tPvRmT2_T3_T4_T5_mT6_T7_P12ihipStream_tbENKUlT_T0_E_clISt17integral_constantIbLb0EESZ_EEDaSU_SV_EUlSU_E_NS1_11comp_targetILNS1_3genE10ELNS1_11target_archE1200ELNS1_3gpuE4ELNS1_3repE0EEENS1_30default_config_static_selectorELNS0_4arch9wavefront6targetE0EEEvT1_
	.globl	_ZN7rocprim17ROCPRIM_400000_NS6detail17trampoline_kernelINS0_14default_configENS1_27scan_by_key_config_selectorIssEEZZNS1_16scan_by_key_implILNS1_25lookback_scan_determinismE0ELb1ES3_N6thrust23THRUST_200600_302600_NS6detail15normal_iteratorINS9_10device_ptrIsEEEESE_SE_sNS9_10multipliesIsEENS9_8equal_toIsEEsEE10hipError_tPvRmT2_T3_T4_T5_mT6_T7_P12ihipStream_tbENKUlT_T0_E_clISt17integral_constantIbLb0EESZ_EEDaSU_SV_EUlSU_E_NS1_11comp_targetILNS1_3genE10ELNS1_11target_archE1200ELNS1_3gpuE4ELNS1_3repE0EEENS1_30default_config_static_selectorELNS0_4arch9wavefront6targetE0EEEvT1_
	.p2align	8
	.type	_ZN7rocprim17ROCPRIM_400000_NS6detail17trampoline_kernelINS0_14default_configENS1_27scan_by_key_config_selectorIssEEZZNS1_16scan_by_key_implILNS1_25lookback_scan_determinismE0ELb1ES3_N6thrust23THRUST_200600_302600_NS6detail15normal_iteratorINS9_10device_ptrIsEEEESE_SE_sNS9_10multipliesIsEENS9_8equal_toIsEEsEE10hipError_tPvRmT2_T3_T4_T5_mT6_T7_P12ihipStream_tbENKUlT_T0_E_clISt17integral_constantIbLb0EESZ_EEDaSU_SV_EUlSU_E_NS1_11comp_targetILNS1_3genE10ELNS1_11target_archE1200ELNS1_3gpuE4ELNS1_3repE0EEENS1_30default_config_static_selectorELNS0_4arch9wavefront6targetE0EEEvT1_,@function
_ZN7rocprim17ROCPRIM_400000_NS6detail17trampoline_kernelINS0_14default_configENS1_27scan_by_key_config_selectorIssEEZZNS1_16scan_by_key_implILNS1_25lookback_scan_determinismE0ELb1ES3_N6thrust23THRUST_200600_302600_NS6detail15normal_iteratorINS9_10device_ptrIsEEEESE_SE_sNS9_10multipliesIsEENS9_8equal_toIsEEsEE10hipError_tPvRmT2_T3_T4_T5_mT6_T7_P12ihipStream_tbENKUlT_T0_E_clISt17integral_constantIbLb0EESZ_EEDaSU_SV_EUlSU_E_NS1_11comp_targetILNS1_3genE10ELNS1_11target_archE1200ELNS1_3gpuE4ELNS1_3repE0EEENS1_30default_config_static_selectorELNS0_4arch9wavefront6targetE0EEEvT1_: ; @_ZN7rocprim17ROCPRIM_400000_NS6detail17trampoline_kernelINS0_14default_configENS1_27scan_by_key_config_selectorIssEEZZNS1_16scan_by_key_implILNS1_25lookback_scan_determinismE0ELb1ES3_N6thrust23THRUST_200600_302600_NS6detail15normal_iteratorINS9_10device_ptrIsEEEESE_SE_sNS9_10multipliesIsEENS9_8equal_toIsEEsEE10hipError_tPvRmT2_T3_T4_T5_mT6_T7_P12ihipStream_tbENKUlT_T0_E_clISt17integral_constantIbLb0EESZ_EEDaSU_SV_EUlSU_E_NS1_11comp_targetILNS1_3genE10ELNS1_11target_archE1200ELNS1_3gpuE4ELNS1_3repE0EEENS1_30default_config_static_selectorELNS0_4arch9wavefront6targetE0EEEvT1_
; %bb.0:
	.section	.rodata,"a",@progbits
	.p2align	6, 0x0
	.amdhsa_kernel _ZN7rocprim17ROCPRIM_400000_NS6detail17trampoline_kernelINS0_14default_configENS1_27scan_by_key_config_selectorIssEEZZNS1_16scan_by_key_implILNS1_25lookback_scan_determinismE0ELb1ES3_N6thrust23THRUST_200600_302600_NS6detail15normal_iteratorINS9_10device_ptrIsEEEESE_SE_sNS9_10multipliesIsEENS9_8equal_toIsEEsEE10hipError_tPvRmT2_T3_T4_T5_mT6_T7_P12ihipStream_tbENKUlT_T0_E_clISt17integral_constantIbLb0EESZ_EEDaSU_SV_EUlSU_E_NS1_11comp_targetILNS1_3genE10ELNS1_11target_archE1200ELNS1_3gpuE4ELNS1_3repE0EEENS1_30default_config_static_selectorELNS0_4arch9wavefront6targetE0EEEvT1_
		.amdhsa_group_segment_fixed_size 0
		.amdhsa_private_segment_fixed_size 0
		.amdhsa_kernarg_size 112
		.amdhsa_user_sgpr_count 2
		.amdhsa_user_sgpr_dispatch_ptr 0
		.amdhsa_user_sgpr_queue_ptr 0
		.amdhsa_user_sgpr_kernarg_segment_ptr 1
		.amdhsa_user_sgpr_dispatch_id 0
		.amdhsa_user_sgpr_kernarg_preload_length 0
		.amdhsa_user_sgpr_kernarg_preload_offset 0
		.amdhsa_user_sgpr_private_segment_size 0
		.amdhsa_wavefront_size32 1
		.amdhsa_uses_dynamic_stack 0
		.amdhsa_enable_private_segment 0
		.amdhsa_system_sgpr_workgroup_id_x 1
		.amdhsa_system_sgpr_workgroup_id_y 0
		.amdhsa_system_sgpr_workgroup_id_z 0
		.amdhsa_system_sgpr_workgroup_info 0
		.amdhsa_system_vgpr_workitem_id 0
		.amdhsa_next_free_vgpr 1
		.amdhsa_next_free_sgpr 1
		.amdhsa_named_barrier_count 0
		.amdhsa_reserve_vcc 0
		.amdhsa_float_round_mode_32 0
		.amdhsa_float_round_mode_16_64 0
		.amdhsa_float_denorm_mode_32 3
		.amdhsa_float_denorm_mode_16_64 3
		.amdhsa_fp16_overflow 0
		.amdhsa_memory_ordered 1
		.amdhsa_forward_progress 1
		.amdhsa_inst_pref_size 0
		.amdhsa_round_robin_scheduling 0
		.amdhsa_exception_fp_ieee_invalid_op 0
		.amdhsa_exception_fp_denorm_src 0
		.amdhsa_exception_fp_ieee_div_zero 0
		.amdhsa_exception_fp_ieee_overflow 0
		.amdhsa_exception_fp_ieee_underflow 0
		.amdhsa_exception_fp_ieee_inexact 0
		.amdhsa_exception_int_div_zero 0
	.end_amdhsa_kernel
	.section	.text._ZN7rocprim17ROCPRIM_400000_NS6detail17trampoline_kernelINS0_14default_configENS1_27scan_by_key_config_selectorIssEEZZNS1_16scan_by_key_implILNS1_25lookback_scan_determinismE0ELb1ES3_N6thrust23THRUST_200600_302600_NS6detail15normal_iteratorINS9_10device_ptrIsEEEESE_SE_sNS9_10multipliesIsEENS9_8equal_toIsEEsEE10hipError_tPvRmT2_T3_T4_T5_mT6_T7_P12ihipStream_tbENKUlT_T0_E_clISt17integral_constantIbLb0EESZ_EEDaSU_SV_EUlSU_E_NS1_11comp_targetILNS1_3genE10ELNS1_11target_archE1200ELNS1_3gpuE4ELNS1_3repE0EEENS1_30default_config_static_selectorELNS0_4arch9wavefront6targetE0EEEvT1_,"axG",@progbits,_ZN7rocprim17ROCPRIM_400000_NS6detail17trampoline_kernelINS0_14default_configENS1_27scan_by_key_config_selectorIssEEZZNS1_16scan_by_key_implILNS1_25lookback_scan_determinismE0ELb1ES3_N6thrust23THRUST_200600_302600_NS6detail15normal_iteratorINS9_10device_ptrIsEEEESE_SE_sNS9_10multipliesIsEENS9_8equal_toIsEEsEE10hipError_tPvRmT2_T3_T4_T5_mT6_T7_P12ihipStream_tbENKUlT_T0_E_clISt17integral_constantIbLb0EESZ_EEDaSU_SV_EUlSU_E_NS1_11comp_targetILNS1_3genE10ELNS1_11target_archE1200ELNS1_3gpuE4ELNS1_3repE0EEENS1_30default_config_static_selectorELNS0_4arch9wavefront6targetE0EEEvT1_,comdat
.Lfunc_end611:
	.size	_ZN7rocprim17ROCPRIM_400000_NS6detail17trampoline_kernelINS0_14default_configENS1_27scan_by_key_config_selectorIssEEZZNS1_16scan_by_key_implILNS1_25lookback_scan_determinismE0ELb1ES3_N6thrust23THRUST_200600_302600_NS6detail15normal_iteratorINS9_10device_ptrIsEEEESE_SE_sNS9_10multipliesIsEENS9_8equal_toIsEEsEE10hipError_tPvRmT2_T3_T4_T5_mT6_T7_P12ihipStream_tbENKUlT_T0_E_clISt17integral_constantIbLb0EESZ_EEDaSU_SV_EUlSU_E_NS1_11comp_targetILNS1_3genE10ELNS1_11target_archE1200ELNS1_3gpuE4ELNS1_3repE0EEENS1_30default_config_static_selectorELNS0_4arch9wavefront6targetE0EEEvT1_, .Lfunc_end611-_ZN7rocprim17ROCPRIM_400000_NS6detail17trampoline_kernelINS0_14default_configENS1_27scan_by_key_config_selectorIssEEZZNS1_16scan_by_key_implILNS1_25lookback_scan_determinismE0ELb1ES3_N6thrust23THRUST_200600_302600_NS6detail15normal_iteratorINS9_10device_ptrIsEEEESE_SE_sNS9_10multipliesIsEENS9_8equal_toIsEEsEE10hipError_tPvRmT2_T3_T4_T5_mT6_T7_P12ihipStream_tbENKUlT_T0_E_clISt17integral_constantIbLb0EESZ_EEDaSU_SV_EUlSU_E_NS1_11comp_targetILNS1_3genE10ELNS1_11target_archE1200ELNS1_3gpuE4ELNS1_3repE0EEENS1_30default_config_static_selectorELNS0_4arch9wavefront6targetE0EEEvT1_
                                        ; -- End function
	.set _ZN7rocprim17ROCPRIM_400000_NS6detail17trampoline_kernelINS0_14default_configENS1_27scan_by_key_config_selectorIssEEZZNS1_16scan_by_key_implILNS1_25lookback_scan_determinismE0ELb1ES3_N6thrust23THRUST_200600_302600_NS6detail15normal_iteratorINS9_10device_ptrIsEEEESE_SE_sNS9_10multipliesIsEENS9_8equal_toIsEEsEE10hipError_tPvRmT2_T3_T4_T5_mT6_T7_P12ihipStream_tbENKUlT_T0_E_clISt17integral_constantIbLb0EESZ_EEDaSU_SV_EUlSU_E_NS1_11comp_targetILNS1_3genE10ELNS1_11target_archE1200ELNS1_3gpuE4ELNS1_3repE0EEENS1_30default_config_static_selectorELNS0_4arch9wavefront6targetE0EEEvT1_.num_vgpr, 0
	.set _ZN7rocprim17ROCPRIM_400000_NS6detail17trampoline_kernelINS0_14default_configENS1_27scan_by_key_config_selectorIssEEZZNS1_16scan_by_key_implILNS1_25lookback_scan_determinismE0ELb1ES3_N6thrust23THRUST_200600_302600_NS6detail15normal_iteratorINS9_10device_ptrIsEEEESE_SE_sNS9_10multipliesIsEENS9_8equal_toIsEEsEE10hipError_tPvRmT2_T3_T4_T5_mT6_T7_P12ihipStream_tbENKUlT_T0_E_clISt17integral_constantIbLb0EESZ_EEDaSU_SV_EUlSU_E_NS1_11comp_targetILNS1_3genE10ELNS1_11target_archE1200ELNS1_3gpuE4ELNS1_3repE0EEENS1_30default_config_static_selectorELNS0_4arch9wavefront6targetE0EEEvT1_.num_agpr, 0
	.set _ZN7rocprim17ROCPRIM_400000_NS6detail17trampoline_kernelINS0_14default_configENS1_27scan_by_key_config_selectorIssEEZZNS1_16scan_by_key_implILNS1_25lookback_scan_determinismE0ELb1ES3_N6thrust23THRUST_200600_302600_NS6detail15normal_iteratorINS9_10device_ptrIsEEEESE_SE_sNS9_10multipliesIsEENS9_8equal_toIsEEsEE10hipError_tPvRmT2_T3_T4_T5_mT6_T7_P12ihipStream_tbENKUlT_T0_E_clISt17integral_constantIbLb0EESZ_EEDaSU_SV_EUlSU_E_NS1_11comp_targetILNS1_3genE10ELNS1_11target_archE1200ELNS1_3gpuE4ELNS1_3repE0EEENS1_30default_config_static_selectorELNS0_4arch9wavefront6targetE0EEEvT1_.numbered_sgpr, 0
	.set _ZN7rocprim17ROCPRIM_400000_NS6detail17trampoline_kernelINS0_14default_configENS1_27scan_by_key_config_selectorIssEEZZNS1_16scan_by_key_implILNS1_25lookback_scan_determinismE0ELb1ES3_N6thrust23THRUST_200600_302600_NS6detail15normal_iteratorINS9_10device_ptrIsEEEESE_SE_sNS9_10multipliesIsEENS9_8equal_toIsEEsEE10hipError_tPvRmT2_T3_T4_T5_mT6_T7_P12ihipStream_tbENKUlT_T0_E_clISt17integral_constantIbLb0EESZ_EEDaSU_SV_EUlSU_E_NS1_11comp_targetILNS1_3genE10ELNS1_11target_archE1200ELNS1_3gpuE4ELNS1_3repE0EEENS1_30default_config_static_selectorELNS0_4arch9wavefront6targetE0EEEvT1_.num_named_barrier, 0
	.set _ZN7rocprim17ROCPRIM_400000_NS6detail17trampoline_kernelINS0_14default_configENS1_27scan_by_key_config_selectorIssEEZZNS1_16scan_by_key_implILNS1_25lookback_scan_determinismE0ELb1ES3_N6thrust23THRUST_200600_302600_NS6detail15normal_iteratorINS9_10device_ptrIsEEEESE_SE_sNS9_10multipliesIsEENS9_8equal_toIsEEsEE10hipError_tPvRmT2_T3_T4_T5_mT6_T7_P12ihipStream_tbENKUlT_T0_E_clISt17integral_constantIbLb0EESZ_EEDaSU_SV_EUlSU_E_NS1_11comp_targetILNS1_3genE10ELNS1_11target_archE1200ELNS1_3gpuE4ELNS1_3repE0EEENS1_30default_config_static_selectorELNS0_4arch9wavefront6targetE0EEEvT1_.private_seg_size, 0
	.set _ZN7rocprim17ROCPRIM_400000_NS6detail17trampoline_kernelINS0_14default_configENS1_27scan_by_key_config_selectorIssEEZZNS1_16scan_by_key_implILNS1_25lookback_scan_determinismE0ELb1ES3_N6thrust23THRUST_200600_302600_NS6detail15normal_iteratorINS9_10device_ptrIsEEEESE_SE_sNS9_10multipliesIsEENS9_8equal_toIsEEsEE10hipError_tPvRmT2_T3_T4_T5_mT6_T7_P12ihipStream_tbENKUlT_T0_E_clISt17integral_constantIbLb0EESZ_EEDaSU_SV_EUlSU_E_NS1_11comp_targetILNS1_3genE10ELNS1_11target_archE1200ELNS1_3gpuE4ELNS1_3repE0EEENS1_30default_config_static_selectorELNS0_4arch9wavefront6targetE0EEEvT1_.uses_vcc, 0
	.set _ZN7rocprim17ROCPRIM_400000_NS6detail17trampoline_kernelINS0_14default_configENS1_27scan_by_key_config_selectorIssEEZZNS1_16scan_by_key_implILNS1_25lookback_scan_determinismE0ELb1ES3_N6thrust23THRUST_200600_302600_NS6detail15normal_iteratorINS9_10device_ptrIsEEEESE_SE_sNS9_10multipliesIsEENS9_8equal_toIsEEsEE10hipError_tPvRmT2_T3_T4_T5_mT6_T7_P12ihipStream_tbENKUlT_T0_E_clISt17integral_constantIbLb0EESZ_EEDaSU_SV_EUlSU_E_NS1_11comp_targetILNS1_3genE10ELNS1_11target_archE1200ELNS1_3gpuE4ELNS1_3repE0EEENS1_30default_config_static_selectorELNS0_4arch9wavefront6targetE0EEEvT1_.uses_flat_scratch, 0
	.set _ZN7rocprim17ROCPRIM_400000_NS6detail17trampoline_kernelINS0_14default_configENS1_27scan_by_key_config_selectorIssEEZZNS1_16scan_by_key_implILNS1_25lookback_scan_determinismE0ELb1ES3_N6thrust23THRUST_200600_302600_NS6detail15normal_iteratorINS9_10device_ptrIsEEEESE_SE_sNS9_10multipliesIsEENS9_8equal_toIsEEsEE10hipError_tPvRmT2_T3_T4_T5_mT6_T7_P12ihipStream_tbENKUlT_T0_E_clISt17integral_constantIbLb0EESZ_EEDaSU_SV_EUlSU_E_NS1_11comp_targetILNS1_3genE10ELNS1_11target_archE1200ELNS1_3gpuE4ELNS1_3repE0EEENS1_30default_config_static_selectorELNS0_4arch9wavefront6targetE0EEEvT1_.has_dyn_sized_stack, 0
	.set _ZN7rocprim17ROCPRIM_400000_NS6detail17trampoline_kernelINS0_14default_configENS1_27scan_by_key_config_selectorIssEEZZNS1_16scan_by_key_implILNS1_25lookback_scan_determinismE0ELb1ES3_N6thrust23THRUST_200600_302600_NS6detail15normal_iteratorINS9_10device_ptrIsEEEESE_SE_sNS9_10multipliesIsEENS9_8equal_toIsEEsEE10hipError_tPvRmT2_T3_T4_T5_mT6_T7_P12ihipStream_tbENKUlT_T0_E_clISt17integral_constantIbLb0EESZ_EEDaSU_SV_EUlSU_E_NS1_11comp_targetILNS1_3genE10ELNS1_11target_archE1200ELNS1_3gpuE4ELNS1_3repE0EEENS1_30default_config_static_selectorELNS0_4arch9wavefront6targetE0EEEvT1_.has_recursion, 0
	.set _ZN7rocprim17ROCPRIM_400000_NS6detail17trampoline_kernelINS0_14default_configENS1_27scan_by_key_config_selectorIssEEZZNS1_16scan_by_key_implILNS1_25lookback_scan_determinismE0ELb1ES3_N6thrust23THRUST_200600_302600_NS6detail15normal_iteratorINS9_10device_ptrIsEEEESE_SE_sNS9_10multipliesIsEENS9_8equal_toIsEEsEE10hipError_tPvRmT2_T3_T4_T5_mT6_T7_P12ihipStream_tbENKUlT_T0_E_clISt17integral_constantIbLb0EESZ_EEDaSU_SV_EUlSU_E_NS1_11comp_targetILNS1_3genE10ELNS1_11target_archE1200ELNS1_3gpuE4ELNS1_3repE0EEENS1_30default_config_static_selectorELNS0_4arch9wavefront6targetE0EEEvT1_.has_indirect_call, 0
	.section	.AMDGPU.csdata,"",@progbits
; Kernel info:
; codeLenInByte = 0
; TotalNumSgprs: 0
; NumVgprs: 0
; ScratchSize: 0
; MemoryBound: 0
; FloatMode: 240
; IeeeMode: 1
; LDSByteSize: 0 bytes/workgroup (compile time only)
; SGPRBlocks: 0
; VGPRBlocks: 0
; NumSGPRsForWavesPerEU: 1
; NumVGPRsForWavesPerEU: 1
; NamedBarCnt: 0
; Occupancy: 16
; WaveLimiterHint : 0
; COMPUTE_PGM_RSRC2:SCRATCH_EN: 0
; COMPUTE_PGM_RSRC2:USER_SGPR: 2
; COMPUTE_PGM_RSRC2:TRAP_HANDLER: 0
; COMPUTE_PGM_RSRC2:TGID_X_EN: 1
; COMPUTE_PGM_RSRC2:TGID_Y_EN: 0
; COMPUTE_PGM_RSRC2:TGID_Z_EN: 0
; COMPUTE_PGM_RSRC2:TIDIG_COMP_CNT: 0
	.section	.text._ZN7rocprim17ROCPRIM_400000_NS6detail17trampoline_kernelINS0_14default_configENS1_27scan_by_key_config_selectorIssEEZZNS1_16scan_by_key_implILNS1_25lookback_scan_determinismE0ELb1ES3_N6thrust23THRUST_200600_302600_NS6detail15normal_iteratorINS9_10device_ptrIsEEEESE_SE_sNS9_10multipliesIsEENS9_8equal_toIsEEsEE10hipError_tPvRmT2_T3_T4_T5_mT6_T7_P12ihipStream_tbENKUlT_T0_E_clISt17integral_constantIbLb0EESZ_EEDaSU_SV_EUlSU_E_NS1_11comp_targetILNS1_3genE9ELNS1_11target_archE1100ELNS1_3gpuE3ELNS1_3repE0EEENS1_30default_config_static_selectorELNS0_4arch9wavefront6targetE0EEEvT1_,"axG",@progbits,_ZN7rocprim17ROCPRIM_400000_NS6detail17trampoline_kernelINS0_14default_configENS1_27scan_by_key_config_selectorIssEEZZNS1_16scan_by_key_implILNS1_25lookback_scan_determinismE0ELb1ES3_N6thrust23THRUST_200600_302600_NS6detail15normal_iteratorINS9_10device_ptrIsEEEESE_SE_sNS9_10multipliesIsEENS9_8equal_toIsEEsEE10hipError_tPvRmT2_T3_T4_T5_mT6_T7_P12ihipStream_tbENKUlT_T0_E_clISt17integral_constantIbLb0EESZ_EEDaSU_SV_EUlSU_E_NS1_11comp_targetILNS1_3genE9ELNS1_11target_archE1100ELNS1_3gpuE3ELNS1_3repE0EEENS1_30default_config_static_selectorELNS0_4arch9wavefront6targetE0EEEvT1_,comdat
	.protected	_ZN7rocprim17ROCPRIM_400000_NS6detail17trampoline_kernelINS0_14default_configENS1_27scan_by_key_config_selectorIssEEZZNS1_16scan_by_key_implILNS1_25lookback_scan_determinismE0ELb1ES3_N6thrust23THRUST_200600_302600_NS6detail15normal_iteratorINS9_10device_ptrIsEEEESE_SE_sNS9_10multipliesIsEENS9_8equal_toIsEEsEE10hipError_tPvRmT2_T3_T4_T5_mT6_T7_P12ihipStream_tbENKUlT_T0_E_clISt17integral_constantIbLb0EESZ_EEDaSU_SV_EUlSU_E_NS1_11comp_targetILNS1_3genE9ELNS1_11target_archE1100ELNS1_3gpuE3ELNS1_3repE0EEENS1_30default_config_static_selectorELNS0_4arch9wavefront6targetE0EEEvT1_ ; -- Begin function _ZN7rocprim17ROCPRIM_400000_NS6detail17trampoline_kernelINS0_14default_configENS1_27scan_by_key_config_selectorIssEEZZNS1_16scan_by_key_implILNS1_25lookback_scan_determinismE0ELb1ES3_N6thrust23THRUST_200600_302600_NS6detail15normal_iteratorINS9_10device_ptrIsEEEESE_SE_sNS9_10multipliesIsEENS9_8equal_toIsEEsEE10hipError_tPvRmT2_T3_T4_T5_mT6_T7_P12ihipStream_tbENKUlT_T0_E_clISt17integral_constantIbLb0EESZ_EEDaSU_SV_EUlSU_E_NS1_11comp_targetILNS1_3genE9ELNS1_11target_archE1100ELNS1_3gpuE3ELNS1_3repE0EEENS1_30default_config_static_selectorELNS0_4arch9wavefront6targetE0EEEvT1_
	.globl	_ZN7rocprim17ROCPRIM_400000_NS6detail17trampoline_kernelINS0_14default_configENS1_27scan_by_key_config_selectorIssEEZZNS1_16scan_by_key_implILNS1_25lookback_scan_determinismE0ELb1ES3_N6thrust23THRUST_200600_302600_NS6detail15normal_iteratorINS9_10device_ptrIsEEEESE_SE_sNS9_10multipliesIsEENS9_8equal_toIsEEsEE10hipError_tPvRmT2_T3_T4_T5_mT6_T7_P12ihipStream_tbENKUlT_T0_E_clISt17integral_constantIbLb0EESZ_EEDaSU_SV_EUlSU_E_NS1_11comp_targetILNS1_3genE9ELNS1_11target_archE1100ELNS1_3gpuE3ELNS1_3repE0EEENS1_30default_config_static_selectorELNS0_4arch9wavefront6targetE0EEEvT1_
	.p2align	8
	.type	_ZN7rocprim17ROCPRIM_400000_NS6detail17trampoline_kernelINS0_14default_configENS1_27scan_by_key_config_selectorIssEEZZNS1_16scan_by_key_implILNS1_25lookback_scan_determinismE0ELb1ES3_N6thrust23THRUST_200600_302600_NS6detail15normal_iteratorINS9_10device_ptrIsEEEESE_SE_sNS9_10multipliesIsEENS9_8equal_toIsEEsEE10hipError_tPvRmT2_T3_T4_T5_mT6_T7_P12ihipStream_tbENKUlT_T0_E_clISt17integral_constantIbLb0EESZ_EEDaSU_SV_EUlSU_E_NS1_11comp_targetILNS1_3genE9ELNS1_11target_archE1100ELNS1_3gpuE3ELNS1_3repE0EEENS1_30default_config_static_selectorELNS0_4arch9wavefront6targetE0EEEvT1_,@function
_ZN7rocprim17ROCPRIM_400000_NS6detail17trampoline_kernelINS0_14default_configENS1_27scan_by_key_config_selectorIssEEZZNS1_16scan_by_key_implILNS1_25lookback_scan_determinismE0ELb1ES3_N6thrust23THRUST_200600_302600_NS6detail15normal_iteratorINS9_10device_ptrIsEEEESE_SE_sNS9_10multipliesIsEENS9_8equal_toIsEEsEE10hipError_tPvRmT2_T3_T4_T5_mT6_T7_P12ihipStream_tbENKUlT_T0_E_clISt17integral_constantIbLb0EESZ_EEDaSU_SV_EUlSU_E_NS1_11comp_targetILNS1_3genE9ELNS1_11target_archE1100ELNS1_3gpuE3ELNS1_3repE0EEENS1_30default_config_static_selectorELNS0_4arch9wavefront6targetE0EEEvT1_: ; @_ZN7rocprim17ROCPRIM_400000_NS6detail17trampoline_kernelINS0_14default_configENS1_27scan_by_key_config_selectorIssEEZZNS1_16scan_by_key_implILNS1_25lookback_scan_determinismE0ELb1ES3_N6thrust23THRUST_200600_302600_NS6detail15normal_iteratorINS9_10device_ptrIsEEEESE_SE_sNS9_10multipliesIsEENS9_8equal_toIsEEsEE10hipError_tPvRmT2_T3_T4_T5_mT6_T7_P12ihipStream_tbENKUlT_T0_E_clISt17integral_constantIbLb0EESZ_EEDaSU_SV_EUlSU_E_NS1_11comp_targetILNS1_3genE9ELNS1_11target_archE1100ELNS1_3gpuE3ELNS1_3repE0EEENS1_30default_config_static_selectorELNS0_4arch9wavefront6targetE0EEEvT1_
; %bb.0:
	.section	.rodata,"a",@progbits
	.p2align	6, 0x0
	.amdhsa_kernel _ZN7rocprim17ROCPRIM_400000_NS6detail17trampoline_kernelINS0_14default_configENS1_27scan_by_key_config_selectorIssEEZZNS1_16scan_by_key_implILNS1_25lookback_scan_determinismE0ELb1ES3_N6thrust23THRUST_200600_302600_NS6detail15normal_iteratorINS9_10device_ptrIsEEEESE_SE_sNS9_10multipliesIsEENS9_8equal_toIsEEsEE10hipError_tPvRmT2_T3_T4_T5_mT6_T7_P12ihipStream_tbENKUlT_T0_E_clISt17integral_constantIbLb0EESZ_EEDaSU_SV_EUlSU_E_NS1_11comp_targetILNS1_3genE9ELNS1_11target_archE1100ELNS1_3gpuE3ELNS1_3repE0EEENS1_30default_config_static_selectorELNS0_4arch9wavefront6targetE0EEEvT1_
		.amdhsa_group_segment_fixed_size 0
		.amdhsa_private_segment_fixed_size 0
		.amdhsa_kernarg_size 112
		.amdhsa_user_sgpr_count 2
		.amdhsa_user_sgpr_dispatch_ptr 0
		.amdhsa_user_sgpr_queue_ptr 0
		.amdhsa_user_sgpr_kernarg_segment_ptr 1
		.amdhsa_user_sgpr_dispatch_id 0
		.amdhsa_user_sgpr_kernarg_preload_length 0
		.amdhsa_user_sgpr_kernarg_preload_offset 0
		.amdhsa_user_sgpr_private_segment_size 0
		.amdhsa_wavefront_size32 1
		.amdhsa_uses_dynamic_stack 0
		.amdhsa_enable_private_segment 0
		.amdhsa_system_sgpr_workgroup_id_x 1
		.amdhsa_system_sgpr_workgroup_id_y 0
		.amdhsa_system_sgpr_workgroup_id_z 0
		.amdhsa_system_sgpr_workgroup_info 0
		.amdhsa_system_vgpr_workitem_id 0
		.amdhsa_next_free_vgpr 1
		.amdhsa_next_free_sgpr 1
		.amdhsa_named_barrier_count 0
		.amdhsa_reserve_vcc 0
		.amdhsa_float_round_mode_32 0
		.amdhsa_float_round_mode_16_64 0
		.amdhsa_float_denorm_mode_32 3
		.amdhsa_float_denorm_mode_16_64 3
		.amdhsa_fp16_overflow 0
		.amdhsa_memory_ordered 1
		.amdhsa_forward_progress 1
		.amdhsa_inst_pref_size 0
		.amdhsa_round_robin_scheduling 0
		.amdhsa_exception_fp_ieee_invalid_op 0
		.amdhsa_exception_fp_denorm_src 0
		.amdhsa_exception_fp_ieee_div_zero 0
		.amdhsa_exception_fp_ieee_overflow 0
		.amdhsa_exception_fp_ieee_underflow 0
		.amdhsa_exception_fp_ieee_inexact 0
		.amdhsa_exception_int_div_zero 0
	.end_amdhsa_kernel
	.section	.text._ZN7rocprim17ROCPRIM_400000_NS6detail17trampoline_kernelINS0_14default_configENS1_27scan_by_key_config_selectorIssEEZZNS1_16scan_by_key_implILNS1_25lookback_scan_determinismE0ELb1ES3_N6thrust23THRUST_200600_302600_NS6detail15normal_iteratorINS9_10device_ptrIsEEEESE_SE_sNS9_10multipliesIsEENS9_8equal_toIsEEsEE10hipError_tPvRmT2_T3_T4_T5_mT6_T7_P12ihipStream_tbENKUlT_T0_E_clISt17integral_constantIbLb0EESZ_EEDaSU_SV_EUlSU_E_NS1_11comp_targetILNS1_3genE9ELNS1_11target_archE1100ELNS1_3gpuE3ELNS1_3repE0EEENS1_30default_config_static_selectorELNS0_4arch9wavefront6targetE0EEEvT1_,"axG",@progbits,_ZN7rocprim17ROCPRIM_400000_NS6detail17trampoline_kernelINS0_14default_configENS1_27scan_by_key_config_selectorIssEEZZNS1_16scan_by_key_implILNS1_25lookback_scan_determinismE0ELb1ES3_N6thrust23THRUST_200600_302600_NS6detail15normal_iteratorINS9_10device_ptrIsEEEESE_SE_sNS9_10multipliesIsEENS9_8equal_toIsEEsEE10hipError_tPvRmT2_T3_T4_T5_mT6_T7_P12ihipStream_tbENKUlT_T0_E_clISt17integral_constantIbLb0EESZ_EEDaSU_SV_EUlSU_E_NS1_11comp_targetILNS1_3genE9ELNS1_11target_archE1100ELNS1_3gpuE3ELNS1_3repE0EEENS1_30default_config_static_selectorELNS0_4arch9wavefront6targetE0EEEvT1_,comdat
.Lfunc_end612:
	.size	_ZN7rocprim17ROCPRIM_400000_NS6detail17trampoline_kernelINS0_14default_configENS1_27scan_by_key_config_selectorIssEEZZNS1_16scan_by_key_implILNS1_25lookback_scan_determinismE0ELb1ES3_N6thrust23THRUST_200600_302600_NS6detail15normal_iteratorINS9_10device_ptrIsEEEESE_SE_sNS9_10multipliesIsEENS9_8equal_toIsEEsEE10hipError_tPvRmT2_T3_T4_T5_mT6_T7_P12ihipStream_tbENKUlT_T0_E_clISt17integral_constantIbLb0EESZ_EEDaSU_SV_EUlSU_E_NS1_11comp_targetILNS1_3genE9ELNS1_11target_archE1100ELNS1_3gpuE3ELNS1_3repE0EEENS1_30default_config_static_selectorELNS0_4arch9wavefront6targetE0EEEvT1_, .Lfunc_end612-_ZN7rocprim17ROCPRIM_400000_NS6detail17trampoline_kernelINS0_14default_configENS1_27scan_by_key_config_selectorIssEEZZNS1_16scan_by_key_implILNS1_25lookback_scan_determinismE0ELb1ES3_N6thrust23THRUST_200600_302600_NS6detail15normal_iteratorINS9_10device_ptrIsEEEESE_SE_sNS9_10multipliesIsEENS9_8equal_toIsEEsEE10hipError_tPvRmT2_T3_T4_T5_mT6_T7_P12ihipStream_tbENKUlT_T0_E_clISt17integral_constantIbLb0EESZ_EEDaSU_SV_EUlSU_E_NS1_11comp_targetILNS1_3genE9ELNS1_11target_archE1100ELNS1_3gpuE3ELNS1_3repE0EEENS1_30default_config_static_selectorELNS0_4arch9wavefront6targetE0EEEvT1_
                                        ; -- End function
	.set _ZN7rocprim17ROCPRIM_400000_NS6detail17trampoline_kernelINS0_14default_configENS1_27scan_by_key_config_selectorIssEEZZNS1_16scan_by_key_implILNS1_25lookback_scan_determinismE0ELb1ES3_N6thrust23THRUST_200600_302600_NS6detail15normal_iteratorINS9_10device_ptrIsEEEESE_SE_sNS9_10multipliesIsEENS9_8equal_toIsEEsEE10hipError_tPvRmT2_T3_T4_T5_mT6_T7_P12ihipStream_tbENKUlT_T0_E_clISt17integral_constantIbLb0EESZ_EEDaSU_SV_EUlSU_E_NS1_11comp_targetILNS1_3genE9ELNS1_11target_archE1100ELNS1_3gpuE3ELNS1_3repE0EEENS1_30default_config_static_selectorELNS0_4arch9wavefront6targetE0EEEvT1_.num_vgpr, 0
	.set _ZN7rocprim17ROCPRIM_400000_NS6detail17trampoline_kernelINS0_14default_configENS1_27scan_by_key_config_selectorIssEEZZNS1_16scan_by_key_implILNS1_25lookback_scan_determinismE0ELb1ES3_N6thrust23THRUST_200600_302600_NS6detail15normal_iteratorINS9_10device_ptrIsEEEESE_SE_sNS9_10multipliesIsEENS9_8equal_toIsEEsEE10hipError_tPvRmT2_T3_T4_T5_mT6_T7_P12ihipStream_tbENKUlT_T0_E_clISt17integral_constantIbLb0EESZ_EEDaSU_SV_EUlSU_E_NS1_11comp_targetILNS1_3genE9ELNS1_11target_archE1100ELNS1_3gpuE3ELNS1_3repE0EEENS1_30default_config_static_selectorELNS0_4arch9wavefront6targetE0EEEvT1_.num_agpr, 0
	.set _ZN7rocprim17ROCPRIM_400000_NS6detail17trampoline_kernelINS0_14default_configENS1_27scan_by_key_config_selectorIssEEZZNS1_16scan_by_key_implILNS1_25lookback_scan_determinismE0ELb1ES3_N6thrust23THRUST_200600_302600_NS6detail15normal_iteratorINS9_10device_ptrIsEEEESE_SE_sNS9_10multipliesIsEENS9_8equal_toIsEEsEE10hipError_tPvRmT2_T3_T4_T5_mT6_T7_P12ihipStream_tbENKUlT_T0_E_clISt17integral_constantIbLb0EESZ_EEDaSU_SV_EUlSU_E_NS1_11comp_targetILNS1_3genE9ELNS1_11target_archE1100ELNS1_3gpuE3ELNS1_3repE0EEENS1_30default_config_static_selectorELNS0_4arch9wavefront6targetE0EEEvT1_.numbered_sgpr, 0
	.set _ZN7rocprim17ROCPRIM_400000_NS6detail17trampoline_kernelINS0_14default_configENS1_27scan_by_key_config_selectorIssEEZZNS1_16scan_by_key_implILNS1_25lookback_scan_determinismE0ELb1ES3_N6thrust23THRUST_200600_302600_NS6detail15normal_iteratorINS9_10device_ptrIsEEEESE_SE_sNS9_10multipliesIsEENS9_8equal_toIsEEsEE10hipError_tPvRmT2_T3_T4_T5_mT6_T7_P12ihipStream_tbENKUlT_T0_E_clISt17integral_constantIbLb0EESZ_EEDaSU_SV_EUlSU_E_NS1_11comp_targetILNS1_3genE9ELNS1_11target_archE1100ELNS1_3gpuE3ELNS1_3repE0EEENS1_30default_config_static_selectorELNS0_4arch9wavefront6targetE0EEEvT1_.num_named_barrier, 0
	.set _ZN7rocprim17ROCPRIM_400000_NS6detail17trampoline_kernelINS0_14default_configENS1_27scan_by_key_config_selectorIssEEZZNS1_16scan_by_key_implILNS1_25lookback_scan_determinismE0ELb1ES3_N6thrust23THRUST_200600_302600_NS6detail15normal_iteratorINS9_10device_ptrIsEEEESE_SE_sNS9_10multipliesIsEENS9_8equal_toIsEEsEE10hipError_tPvRmT2_T3_T4_T5_mT6_T7_P12ihipStream_tbENKUlT_T0_E_clISt17integral_constantIbLb0EESZ_EEDaSU_SV_EUlSU_E_NS1_11comp_targetILNS1_3genE9ELNS1_11target_archE1100ELNS1_3gpuE3ELNS1_3repE0EEENS1_30default_config_static_selectorELNS0_4arch9wavefront6targetE0EEEvT1_.private_seg_size, 0
	.set _ZN7rocprim17ROCPRIM_400000_NS6detail17trampoline_kernelINS0_14default_configENS1_27scan_by_key_config_selectorIssEEZZNS1_16scan_by_key_implILNS1_25lookback_scan_determinismE0ELb1ES3_N6thrust23THRUST_200600_302600_NS6detail15normal_iteratorINS9_10device_ptrIsEEEESE_SE_sNS9_10multipliesIsEENS9_8equal_toIsEEsEE10hipError_tPvRmT2_T3_T4_T5_mT6_T7_P12ihipStream_tbENKUlT_T0_E_clISt17integral_constantIbLb0EESZ_EEDaSU_SV_EUlSU_E_NS1_11comp_targetILNS1_3genE9ELNS1_11target_archE1100ELNS1_3gpuE3ELNS1_3repE0EEENS1_30default_config_static_selectorELNS0_4arch9wavefront6targetE0EEEvT1_.uses_vcc, 0
	.set _ZN7rocprim17ROCPRIM_400000_NS6detail17trampoline_kernelINS0_14default_configENS1_27scan_by_key_config_selectorIssEEZZNS1_16scan_by_key_implILNS1_25lookback_scan_determinismE0ELb1ES3_N6thrust23THRUST_200600_302600_NS6detail15normal_iteratorINS9_10device_ptrIsEEEESE_SE_sNS9_10multipliesIsEENS9_8equal_toIsEEsEE10hipError_tPvRmT2_T3_T4_T5_mT6_T7_P12ihipStream_tbENKUlT_T0_E_clISt17integral_constantIbLb0EESZ_EEDaSU_SV_EUlSU_E_NS1_11comp_targetILNS1_3genE9ELNS1_11target_archE1100ELNS1_3gpuE3ELNS1_3repE0EEENS1_30default_config_static_selectorELNS0_4arch9wavefront6targetE0EEEvT1_.uses_flat_scratch, 0
	.set _ZN7rocprim17ROCPRIM_400000_NS6detail17trampoline_kernelINS0_14default_configENS1_27scan_by_key_config_selectorIssEEZZNS1_16scan_by_key_implILNS1_25lookback_scan_determinismE0ELb1ES3_N6thrust23THRUST_200600_302600_NS6detail15normal_iteratorINS9_10device_ptrIsEEEESE_SE_sNS9_10multipliesIsEENS9_8equal_toIsEEsEE10hipError_tPvRmT2_T3_T4_T5_mT6_T7_P12ihipStream_tbENKUlT_T0_E_clISt17integral_constantIbLb0EESZ_EEDaSU_SV_EUlSU_E_NS1_11comp_targetILNS1_3genE9ELNS1_11target_archE1100ELNS1_3gpuE3ELNS1_3repE0EEENS1_30default_config_static_selectorELNS0_4arch9wavefront6targetE0EEEvT1_.has_dyn_sized_stack, 0
	.set _ZN7rocprim17ROCPRIM_400000_NS6detail17trampoline_kernelINS0_14default_configENS1_27scan_by_key_config_selectorIssEEZZNS1_16scan_by_key_implILNS1_25lookback_scan_determinismE0ELb1ES3_N6thrust23THRUST_200600_302600_NS6detail15normal_iteratorINS9_10device_ptrIsEEEESE_SE_sNS9_10multipliesIsEENS9_8equal_toIsEEsEE10hipError_tPvRmT2_T3_T4_T5_mT6_T7_P12ihipStream_tbENKUlT_T0_E_clISt17integral_constantIbLb0EESZ_EEDaSU_SV_EUlSU_E_NS1_11comp_targetILNS1_3genE9ELNS1_11target_archE1100ELNS1_3gpuE3ELNS1_3repE0EEENS1_30default_config_static_selectorELNS0_4arch9wavefront6targetE0EEEvT1_.has_recursion, 0
	.set _ZN7rocprim17ROCPRIM_400000_NS6detail17trampoline_kernelINS0_14default_configENS1_27scan_by_key_config_selectorIssEEZZNS1_16scan_by_key_implILNS1_25lookback_scan_determinismE0ELb1ES3_N6thrust23THRUST_200600_302600_NS6detail15normal_iteratorINS9_10device_ptrIsEEEESE_SE_sNS9_10multipliesIsEENS9_8equal_toIsEEsEE10hipError_tPvRmT2_T3_T4_T5_mT6_T7_P12ihipStream_tbENKUlT_T0_E_clISt17integral_constantIbLb0EESZ_EEDaSU_SV_EUlSU_E_NS1_11comp_targetILNS1_3genE9ELNS1_11target_archE1100ELNS1_3gpuE3ELNS1_3repE0EEENS1_30default_config_static_selectorELNS0_4arch9wavefront6targetE0EEEvT1_.has_indirect_call, 0
	.section	.AMDGPU.csdata,"",@progbits
; Kernel info:
; codeLenInByte = 0
; TotalNumSgprs: 0
; NumVgprs: 0
; ScratchSize: 0
; MemoryBound: 0
; FloatMode: 240
; IeeeMode: 1
; LDSByteSize: 0 bytes/workgroup (compile time only)
; SGPRBlocks: 0
; VGPRBlocks: 0
; NumSGPRsForWavesPerEU: 1
; NumVGPRsForWavesPerEU: 1
; NamedBarCnt: 0
; Occupancy: 16
; WaveLimiterHint : 0
; COMPUTE_PGM_RSRC2:SCRATCH_EN: 0
; COMPUTE_PGM_RSRC2:USER_SGPR: 2
; COMPUTE_PGM_RSRC2:TRAP_HANDLER: 0
; COMPUTE_PGM_RSRC2:TGID_X_EN: 1
; COMPUTE_PGM_RSRC2:TGID_Y_EN: 0
; COMPUTE_PGM_RSRC2:TGID_Z_EN: 0
; COMPUTE_PGM_RSRC2:TIDIG_COMP_CNT: 0
	.section	.text._ZN7rocprim17ROCPRIM_400000_NS6detail17trampoline_kernelINS0_14default_configENS1_27scan_by_key_config_selectorIssEEZZNS1_16scan_by_key_implILNS1_25lookback_scan_determinismE0ELb1ES3_N6thrust23THRUST_200600_302600_NS6detail15normal_iteratorINS9_10device_ptrIsEEEESE_SE_sNS9_10multipliesIsEENS9_8equal_toIsEEsEE10hipError_tPvRmT2_T3_T4_T5_mT6_T7_P12ihipStream_tbENKUlT_T0_E_clISt17integral_constantIbLb0EESZ_EEDaSU_SV_EUlSU_E_NS1_11comp_targetILNS1_3genE8ELNS1_11target_archE1030ELNS1_3gpuE2ELNS1_3repE0EEENS1_30default_config_static_selectorELNS0_4arch9wavefront6targetE0EEEvT1_,"axG",@progbits,_ZN7rocprim17ROCPRIM_400000_NS6detail17trampoline_kernelINS0_14default_configENS1_27scan_by_key_config_selectorIssEEZZNS1_16scan_by_key_implILNS1_25lookback_scan_determinismE0ELb1ES3_N6thrust23THRUST_200600_302600_NS6detail15normal_iteratorINS9_10device_ptrIsEEEESE_SE_sNS9_10multipliesIsEENS9_8equal_toIsEEsEE10hipError_tPvRmT2_T3_T4_T5_mT6_T7_P12ihipStream_tbENKUlT_T0_E_clISt17integral_constantIbLb0EESZ_EEDaSU_SV_EUlSU_E_NS1_11comp_targetILNS1_3genE8ELNS1_11target_archE1030ELNS1_3gpuE2ELNS1_3repE0EEENS1_30default_config_static_selectorELNS0_4arch9wavefront6targetE0EEEvT1_,comdat
	.protected	_ZN7rocprim17ROCPRIM_400000_NS6detail17trampoline_kernelINS0_14default_configENS1_27scan_by_key_config_selectorIssEEZZNS1_16scan_by_key_implILNS1_25lookback_scan_determinismE0ELb1ES3_N6thrust23THRUST_200600_302600_NS6detail15normal_iteratorINS9_10device_ptrIsEEEESE_SE_sNS9_10multipliesIsEENS9_8equal_toIsEEsEE10hipError_tPvRmT2_T3_T4_T5_mT6_T7_P12ihipStream_tbENKUlT_T0_E_clISt17integral_constantIbLb0EESZ_EEDaSU_SV_EUlSU_E_NS1_11comp_targetILNS1_3genE8ELNS1_11target_archE1030ELNS1_3gpuE2ELNS1_3repE0EEENS1_30default_config_static_selectorELNS0_4arch9wavefront6targetE0EEEvT1_ ; -- Begin function _ZN7rocprim17ROCPRIM_400000_NS6detail17trampoline_kernelINS0_14default_configENS1_27scan_by_key_config_selectorIssEEZZNS1_16scan_by_key_implILNS1_25lookback_scan_determinismE0ELb1ES3_N6thrust23THRUST_200600_302600_NS6detail15normal_iteratorINS9_10device_ptrIsEEEESE_SE_sNS9_10multipliesIsEENS9_8equal_toIsEEsEE10hipError_tPvRmT2_T3_T4_T5_mT6_T7_P12ihipStream_tbENKUlT_T0_E_clISt17integral_constantIbLb0EESZ_EEDaSU_SV_EUlSU_E_NS1_11comp_targetILNS1_3genE8ELNS1_11target_archE1030ELNS1_3gpuE2ELNS1_3repE0EEENS1_30default_config_static_selectorELNS0_4arch9wavefront6targetE0EEEvT1_
	.globl	_ZN7rocprim17ROCPRIM_400000_NS6detail17trampoline_kernelINS0_14default_configENS1_27scan_by_key_config_selectorIssEEZZNS1_16scan_by_key_implILNS1_25lookback_scan_determinismE0ELb1ES3_N6thrust23THRUST_200600_302600_NS6detail15normal_iteratorINS9_10device_ptrIsEEEESE_SE_sNS9_10multipliesIsEENS9_8equal_toIsEEsEE10hipError_tPvRmT2_T3_T4_T5_mT6_T7_P12ihipStream_tbENKUlT_T0_E_clISt17integral_constantIbLb0EESZ_EEDaSU_SV_EUlSU_E_NS1_11comp_targetILNS1_3genE8ELNS1_11target_archE1030ELNS1_3gpuE2ELNS1_3repE0EEENS1_30default_config_static_selectorELNS0_4arch9wavefront6targetE0EEEvT1_
	.p2align	8
	.type	_ZN7rocprim17ROCPRIM_400000_NS6detail17trampoline_kernelINS0_14default_configENS1_27scan_by_key_config_selectorIssEEZZNS1_16scan_by_key_implILNS1_25lookback_scan_determinismE0ELb1ES3_N6thrust23THRUST_200600_302600_NS6detail15normal_iteratorINS9_10device_ptrIsEEEESE_SE_sNS9_10multipliesIsEENS9_8equal_toIsEEsEE10hipError_tPvRmT2_T3_T4_T5_mT6_T7_P12ihipStream_tbENKUlT_T0_E_clISt17integral_constantIbLb0EESZ_EEDaSU_SV_EUlSU_E_NS1_11comp_targetILNS1_3genE8ELNS1_11target_archE1030ELNS1_3gpuE2ELNS1_3repE0EEENS1_30default_config_static_selectorELNS0_4arch9wavefront6targetE0EEEvT1_,@function
_ZN7rocprim17ROCPRIM_400000_NS6detail17trampoline_kernelINS0_14default_configENS1_27scan_by_key_config_selectorIssEEZZNS1_16scan_by_key_implILNS1_25lookback_scan_determinismE0ELb1ES3_N6thrust23THRUST_200600_302600_NS6detail15normal_iteratorINS9_10device_ptrIsEEEESE_SE_sNS9_10multipliesIsEENS9_8equal_toIsEEsEE10hipError_tPvRmT2_T3_T4_T5_mT6_T7_P12ihipStream_tbENKUlT_T0_E_clISt17integral_constantIbLb0EESZ_EEDaSU_SV_EUlSU_E_NS1_11comp_targetILNS1_3genE8ELNS1_11target_archE1030ELNS1_3gpuE2ELNS1_3repE0EEENS1_30default_config_static_selectorELNS0_4arch9wavefront6targetE0EEEvT1_: ; @_ZN7rocprim17ROCPRIM_400000_NS6detail17trampoline_kernelINS0_14default_configENS1_27scan_by_key_config_selectorIssEEZZNS1_16scan_by_key_implILNS1_25lookback_scan_determinismE0ELb1ES3_N6thrust23THRUST_200600_302600_NS6detail15normal_iteratorINS9_10device_ptrIsEEEESE_SE_sNS9_10multipliesIsEENS9_8equal_toIsEEsEE10hipError_tPvRmT2_T3_T4_T5_mT6_T7_P12ihipStream_tbENKUlT_T0_E_clISt17integral_constantIbLb0EESZ_EEDaSU_SV_EUlSU_E_NS1_11comp_targetILNS1_3genE8ELNS1_11target_archE1030ELNS1_3gpuE2ELNS1_3repE0EEENS1_30default_config_static_selectorELNS0_4arch9wavefront6targetE0EEEvT1_
; %bb.0:
	.section	.rodata,"a",@progbits
	.p2align	6, 0x0
	.amdhsa_kernel _ZN7rocprim17ROCPRIM_400000_NS6detail17trampoline_kernelINS0_14default_configENS1_27scan_by_key_config_selectorIssEEZZNS1_16scan_by_key_implILNS1_25lookback_scan_determinismE0ELb1ES3_N6thrust23THRUST_200600_302600_NS6detail15normal_iteratorINS9_10device_ptrIsEEEESE_SE_sNS9_10multipliesIsEENS9_8equal_toIsEEsEE10hipError_tPvRmT2_T3_T4_T5_mT6_T7_P12ihipStream_tbENKUlT_T0_E_clISt17integral_constantIbLb0EESZ_EEDaSU_SV_EUlSU_E_NS1_11comp_targetILNS1_3genE8ELNS1_11target_archE1030ELNS1_3gpuE2ELNS1_3repE0EEENS1_30default_config_static_selectorELNS0_4arch9wavefront6targetE0EEEvT1_
		.amdhsa_group_segment_fixed_size 0
		.amdhsa_private_segment_fixed_size 0
		.amdhsa_kernarg_size 112
		.amdhsa_user_sgpr_count 2
		.amdhsa_user_sgpr_dispatch_ptr 0
		.amdhsa_user_sgpr_queue_ptr 0
		.amdhsa_user_sgpr_kernarg_segment_ptr 1
		.amdhsa_user_sgpr_dispatch_id 0
		.amdhsa_user_sgpr_kernarg_preload_length 0
		.amdhsa_user_sgpr_kernarg_preload_offset 0
		.amdhsa_user_sgpr_private_segment_size 0
		.amdhsa_wavefront_size32 1
		.amdhsa_uses_dynamic_stack 0
		.amdhsa_enable_private_segment 0
		.amdhsa_system_sgpr_workgroup_id_x 1
		.amdhsa_system_sgpr_workgroup_id_y 0
		.amdhsa_system_sgpr_workgroup_id_z 0
		.amdhsa_system_sgpr_workgroup_info 0
		.amdhsa_system_vgpr_workitem_id 0
		.amdhsa_next_free_vgpr 1
		.amdhsa_next_free_sgpr 1
		.amdhsa_named_barrier_count 0
		.amdhsa_reserve_vcc 0
		.amdhsa_float_round_mode_32 0
		.amdhsa_float_round_mode_16_64 0
		.amdhsa_float_denorm_mode_32 3
		.amdhsa_float_denorm_mode_16_64 3
		.amdhsa_fp16_overflow 0
		.amdhsa_memory_ordered 1
		.amdhsa_forward_progress 1
		.amdhsa_inst_pref_size 0
		.amdhsa_round_robin_scheduling 0
		.amdhsa_exception_fp_ieee_invalid_op 0
		.amdhsa_exception_fp_denorm_src 0
		.amdhsa_exception_fp_ieee_div_zero 0
		.amdhsa_exception_fp_ieee_overflow 0
		.amdhsa_exception_fp_ieee_underflow 0
		.amdhsa_exception_fp_ieee_inexact 0
		.amdhsa_exception_int_div_zero 0
	.end_amdhsa_kernel
	.section	.text._ZN7rocprim17ROCPRIM_400000_NS6detail17trampoline_kernelINS0_14default_configENS1_27scan_by_key_config_selectorIssEEZZNS1_16scan_by_key_implILNS1_25lookback_scan_determinismE0ELb1ES3_N6thrust23THRUST_200600_302600_NS6detail15normal_iteratorINS9_10device_ptrIsEEEESE_SE_sNS9_10multipliesIsEENS9_8equal_toIsEEsEE10hipError_tPvRmT2_T3_T4_T5_mT6_T7_P12ihipStream_tbENKUlT_T0_E_clISt17integral_constantIbLb0EESZ_EEDaSU_SV_EUlSU_E_NS1_11comp_targetILNS1_3genE8ELNS1_11target_archE1030ELNS1_3gpuE2ELNS1_3repE0EEENS1_30default_config_static_selectorELNS0_4arch9wavefront6targetE0EEEvT1_,"axG",@progbits,_ZN7rocprim17ROCPRIM_400000_NS6detail17trampoline_kernelINS0_14default_configENS1_27scan_by_key_config_selectorIssEEZZNS1_16scan_by_key_implILNS1_25lookback_scan_determinismE0ELb1ES3_N6thrust23THRUST_200600_302600_NS6detail15normal_iteratorINS9_10device_ptrIsEEEESE_SE_sNS9_10multipliesIsEENS9_8equal_toIsEEsEE10hipError_tPvRmT2_T3_T4_T5_mT6_T7_P12ihipStream_tbENKUlT_T0_E_clISt17integral_constantIbLb0EESZ_EEDaSU_SV_EUlSU_E_NS1_11comp_targetILNS1_3genE8ELNS1_11target_archE1030ELNS1_3gpuE2ELNS1_3repE0EEENS1_30default_config_static_selectorELNS0_4arch9wavefront6targetE0EEEvT1_,comdat
.Lfunc_end613:
	.size	_ZN7rocprim17ROCPRIM_400000_NS6detail17trampoline_kernelINS0_14default_configENS1_27scan_by_key_config_selectorIssEEZZNS1_16scan_by_key_implILNS1_25lookback_scan_determinismE0ELb1ES3_N6thrust23THRUST_200600_302600_NS6detail15normal_iteratorINS9_10device_ptrIsEEEESE_SE_sNS9_10multipliesIsEENS9_8equal_toIsEEsEE10hipError_tPvRmT2_T3_T4_T5_mT6_T7_P12ihipStream_tbENKUlT_T0_E_clISt17integral_constantIbLb0EESZ_EEDaSU_SV_EUlSU_E_NS1_11comp_targetILNS1_3genE8ELNS1_11target_archE1030ELNS1_3gpuE2ELNS1_3repE0EEENS1_30default_config_static_selectorELNS0_4arch9wavefront6targetE0EEEvT1_, .Lfunc_end613-_ZN7rocprim17ROCPRIM_400000_NS6detail17trampoline_kernelINS0_14default_configENS1_27scan_by_key_config_selectorIssEEZZNS1_16scan_by_key_implILNS1_25lookback_scan_determinismE0ELb1ES3_N6thrust23THRUST_200600_302600_NS6detail15normal_iteratorINS9_10device_ptrIsEEEESE_SE_sNS9_10multipliesIsEENS9_8equal_toIsEEsEE10hipError_tPvRmT2_T3_T4_T5_mT6_T7_P12ihipStream_tbENKUlT_T0_E_clISt17integral_constantIbLb0EESZ_EEDaSU_SV_EUlSU_E_NS1_11comp_targetILNS1_3genE8ELNS1_11target_archE1030ELNS1_3gpuE2ELNS1_3repE0EEENS1_30default_config_static_selectorELNS0_4arch9wavefront6targetE0EEEvT1_
                                        ; -- End function
	.set _ZN7rocprim17ROCPRIM_400000_NS6detail17trampoline_kernelINS0_14default_configENS1_27scan_by_key_config_selectorIssEEZZNS1_16scan_by_key_implILNS1_25lookback_scan_determinismE0ELb1ES3_N6thrust23THRUST_200600_302600_NS6detail15normal_iteratorINS9_10device_ptrIsEEEESE_SE_sNS9_10multipliesIsEENS9_8equal_toIsEEsEE10hipError_tPvRmT2_T3_T4_T5_mT6_T7_P12ihipStream_tbENKUlT_T0_E_clISt17integral_constantIbLb0EESZ_EEDaSU_SV_EUlSU_E_NS1_11comp_targetILNS1_3genE8ELNS1_11target_archE1030ELNS1_3gpuE2ELNS1_3repE0EEENS1_30default_config_static_selectorELNS0_4arch9wavefront6targetE0EEEvT1_.num_vgpr, 0
	.set _ZN7rocprim17ROCPRIM_400000_NS6detail17trampoline_kernelINS0_14default_configENS1_27scan_by_key_config_selectorIssEEZZNS1_16scan_by_key_implILNS1_25lookback_scan_determinismE0ELb1ES3_N6thrust23THRUST_200600_302600_NS6detail15normal_iteratorINS9_10device_ptrIsEEEESE_SE_sNS9_10multipliesIsEENS9_8equal_toIsEEsEE10hipError_tPvRmT2_T3_T4_T5_mT6_T7_P12ihipStream_tbENKUlT_T0_E_clISt17integral_constantIbLb0EESZ_EEDaSU_SV_EUlSU_E_NS1_11comp_targetILNS1_3genE8ELNS1_11target_archE1030ELNS1_3gpuE2ELNS1_3repE0EEENS1_30default_config_static_selectorELNS0_4arch9wavefront6targetE0EEEvT1_.num_agpr, 0
	.set _ZN7rocprim17ROCPRIM_400000_NS6detail17trampoline_kernelINS0_14default_configENS1_27scan_by_key_config_selectorIssEEZZNS1_16scan_by_key_implILNS1_25lookback_scan_determinismE0ELb1ES3_N6thrust23THRUST_200600_302600_NS6detail15normal_iteratorINS9_10device_ptrIsEEEESE_SE_sNS9_10multipliesIsEENS9_8equal_toIsEEsEE10hipError_tPvRmT2_T3_T4_T5_mT6_T7_P12ihipStream_tbENKUlT_T0_E_clISt17integral_constantIbLb0EESZ_EEDaSU_SV_EUlSU_E_NS1_11comp_targetILNS1_3genE8ELNS1_11target_archE1030ELNS1_3gpuE2ELNS1_3repE0EEENS1_30default_config_static_selectorELNS0_4arch9wavefront6targetE0EEEvT1_.numbered_sgpr, 0
	.set _ZN7rocprim17ROCPRIM_400000_NS6detail17trampoline_kernelINS0_14default_configENS1_27scan_by_key_config_selectorIssEEZZNS1_16scan_by_key_implILNS1_25lookback_scan_determinismE0ELb1ES3_N6thrust23THRUST_200600_302600_NS6detail15normal_iteratorINS9_10device_ptrIsEEEESE_SE_sNS9_10multipliesIsEENS9_8equal_toIsEEsEE10hipError_tPvRmT2_T3_T4_T5_mT6_T7_P12ihipStream_tbENKUlT_T0_E_clISt17integral_constantIbLb0EESZ_EEDaSU_SV_EUlSU_E_NS1_11comp_targetILNS1_3genE8ELNS1_11target_archE1030ELNS1_3gpuE2ELNS1_3repE0EEENS1_30default_config_static_selectorELNS0_4arch9wavefront6targetE0EEEvT1_.num_named_barrier, 0
	.set _ZN7rocprim17ROCPRIM_400000_NS6detail17trampoline_kernelINS0_14default_configENS1_27scan_by_key_config_selectorIssEEZZNS1_16scan_by_key_implILNS1_25lookback_scan_determinismE0ELb1ES3_N6thrust23THRUST_200600_302600_NS6detail15normal_iteratorINS9_10device_ptrIsEEEESE_SE_sNS9_10multipliesIsEENS9_8equal_toIsEEsEE10hipError_tPvRmT2_T3_T4_T5_mT6_T7_P12ihipStream_tbENKUlT_T0_E_clISt17integral_constantIbLb0EESZ_EEDaSU_SV_EUlSU_E_NS1_11comp_targetILNS1_3genE8ELNS1_11target_archE1030ELNS1_3gpuE2ELNS1_3repE0EEENS1_30default_config_static_selectorELNS0_4arch9wavefront6targetE0EEEvT1_.private_seg_size, 0
	.set _ZN7rocprim17ROCPRIM_400000_NS6detail17trampoline_kernelINS0_14default_configENS1_27scan_by_key_config_selectorIssEEZZNS1_16scan_by_key_implILNS1_25lookback_scan_determinismE0ELb1ES3_N6thrust23THRUST_200600_302600_NS6detail15normal_iteratorINS9_10device_ptrIsEEEESE_SE_sNS9_10multipliesIsEENS9_8equal_toIsEEsEE10hipError_tPvRmT2_T3_T4_T5_mT6_T7_P12ihipStream_tbENKUlT_T0_E_clISt17integral_constantIbLb0EESZ_EEDaSU_SV_EUlSU_E_NS1_11comp_targetILNS1_3genE8ELNS1_11target_archE1030ELNS1_3gpuE2ELNS1_3repE0EEENS1_30default_config_static_selectorELNS0_4arch9wavefront6targetE0EEEvT1_.uses_vcc, 0
	.set _ZN7rocprim17ROCPRIM_400000_NS6detail17trampoline_kernelINS0_14default_configENS1_27scan_by_key_config_selectorIssEEZZNS1_16scan_by_key_implILNS1_25lookback_scan_determinismE0ELb1ES3_N6thrust23THRUST_200600_302600_NS6detail15normal_iteratorINS9_10device_ptrIsEEEESE_SE_sNS9_10multipliesIsEENS9_8equal_toIsEEsEE10hipError_tPvRmT2_T3_T4_T5_mT6_T7_P12ihipStream_tbENKUlT_T0_E_clISt17integral_constantIbLb0EESZ_EEDaSU_SV_EUlSU_E_NS1_11comp_targetILNS1_3genE8ELNS1_11target_archE1030ELNS1_3gpuE2ELNS1_3repE0EEENS1_30default_config_static_selectorELNS0_4arch9wavefront6targetE0EEEvT1_.uses_flat_scratch, 0
	.set _ZN7rocprim17ROCPRIM_400000_NS6detail17trampoline_kernelINS0_14default_configENS1_27scan_by_key_config_selectorIssEEZZNS1_16scan_by_key_implILNS1_25lookback_scan_determinismE0ELb1ES3_N6thrust23THRUST_200600_302600_NS6detail15normal_iteratorINS9_10device_ptrIsEEEESE_SE_sNS9_10multipliesIsEENS9_8equal_toIsEEsEE10hipError_tPvRmT2_T3_T4_T5_mT6_T7_P12ihipStream_tbENKUlT_T0_E_clISt17integral_constantIbLb0EESZ_EEDaSU_SV_EUlSU_E_NS1_11comp_targetILNS1_3genE8ELNS1_11target_archE1030ELNS1_3gpuE2ELNS1_3repE0EEENS1_30default_config_static_selectorELNS0_4arch9wavefront6targetE0EEEvT1_.has_dyn_sized_stack, 0
	.set _ZN7rocprim17ROCPRIM_400000_NS6detail17trampoline_kernelINS0_14default_configENS1_27scan_by_key_config_selectorIssEEZZNS1_16scan_by_key_implILNS1_25lookback_scan_determinismE0ELb1ES3_N6thrust23THRUST_200600_302600_NS6detail15normal_iteratorINS9_10device_ptrIsEEEESE_SE_sNS9_10multipliesIsEENS9_8equal_toIsEEsEE10hipError_tPvRmT2_T3_T4_T5_mT6_T7_P12ihipStream_tbENKUlT_T0_E_clISt17integral_constantIbLb0EESZ_EEDaSU_SV_EUlSU_E_NS1_11comp_targetILNS1_3genE8ELNS1_11target_archE1030ELNS1_3gpuE2ELNS1_3repE0EEENS1_30default_config_static_selectorELNS0_4arch9wavefront6targetE0EEEvT1_.has_recursion, 0
	.set _ZN7rocprim17ROCPRIM_400000_NS6detail17trampoline_kernelINS0_14default_configENS1_27scan_by_key_config_selectorIssEEZZNS1_16scan_by_key_implILNS1_25lookback_scan_determinismE0ELb1ES3_N6thrust23THRUST_200600_302600_NS6detail15normal_iteratorINS9_10device_ptrIsEEEESE_SE_sNS9_10multipliesIsEENS9_8equal_toIsEEsEE10hipError_tPvRmT2_T3_T4_T5_mT6_T7_P12ihipStream_tbENKUlT_T0_E_clISt17integral_constantIbLb0EESZ_EEDaSU_SV_EUlSU_E_NS1_11comp_targetILNS1_3genE8ELNS1_11target_archE1030ELNS1_3gpuE2ELNS1_3repE0EEENS1_30default_config_static_selectorELNS0_4arch9wavefront6targetE0EEEvT1_.has_indirect_call, 0
	.section	.AMDGPU.csdata,"",@progbits
; Kernel info:
; codeLenInByte = 0
; TotalNumSgprs: 0
; NumVgprs: 0
; ScratchSize: 0
; MemoryBound: 0
; FloatMode: 240
; IeeeMode: 1
; LDSByteSize: 0 bytes/workgroup (compile time only)
; SGPRBlocks: 0
; VGPRBlocks: 0
; NumSGPRsForWavesPerEU: 1
; NumVGPRsForWavesPerEU: 1
; NamedBarCnt: 0
; Occupancy: 16
; WaveLimiterHint : 0
; COMPUTE_PGM_RSRC2:SCRATCH_EN: 0
; COMPUTE_PGM_RSRC2:USER_SGPR: 2
; COMPUTE_PGM_RSRC2:TRAP_HANDLER: 0
; COMPUTE_PGM_RSRC2:TGID_X_EN: 1
; COMPUTE_PGM_RSRC2:TGID_Y_EN: 0
; COMPUTE_PGM_RSRC2:TGID_Z_EN: 0
; COMPUTE_PGM_RSRC2:TIDIG_COMP_CNT: 0
	.section	.text._ZN7rocprim17ROCPRIM_400000_NS6detail17trampoline_kernelINS0_14default_configENS1_27scan_by_key_config_selectorIssEEZZNS1_16scan_by_key_implILNS1_25lookback_scan_determinismE0ELb1ES3_N6thrust23THRUST_200600_302600_NS6detail15normal_iteratorINS9_10device_ptrIsEEEESE_SE_sNS9_10multipliesIsEENS9_8equal_toIsEEsEE10hipError_tPvRmT2_T3_T4_T5_mT6_T7_P12ihipStream_tbENKUlT_T0_E_clISt17integral_constantIbLb1EESZ_EEDaSU_SV_EUlSU_E_NS1_11comp_targetILNS1_3genE0ELNS1_11target_archE4294967295ELNS1_3gpuE0ELNS1_3repE0EEENS1_30default_config_static_selectorELNS0_4arch9wavefront6targetE0EEEvT1_,"axG",@progbits,_ZN7rocprim17ROCPRIM_400000_NS6detail17trampoline_kernelINS0_14default_configENS1_27scan_by_key_config_selectorIssEEZZNS1_16scan_by_key_implILNS1_25lookback_scan_determinismE0ELb1ES3_N6thrust23THRUST_200600_302600_NS6detail15normal_iteratorINS9_10device_ptrIsEEEESE_SE_sNS9_10multipliesIsEENS9_8equal_toIsEEsEE10hipError_tPvRmT2_T3_T4_T5_mT6_T7_P12ihipStream_tbENKUlT_T0_E_clISt17integral_constantIbLb1EESZ_EEDaSU_SV_EUlSU_E_NS1_11comp_targetILNS1_3genE0ELNS1_11target_archE4294967295ELNS1_3gpuE0ELNS1_3repE0EEENS1_30default_config_static_selectorELNS0_4arch9wavefront6targetE0EEEvT1_,comdat
	.protected	_ZN7rocprim17ROCPRIM_400000_NS6detail17trampoline_kernelINS0_14default_configENS1_27scan_by_key_config_selectorIssEEZZNS1_16scan_by_key_implILNS1_25lookback_scan_determinismE0ELb1ES3_N6thrust23THRUST_200600_302600_NS6detail15normal_iteratorINS9_10device_ptrIsEEEESE_SE_sNS9_10multipliesIsEENS9_8equal_toIsEEsEE10hipError_tPvRmT2_T3_T4_T5_mT6_T7_P12ihipStream_tbENKUlT_T0_E_clISt17integral_constantIbLb1EESZ_EEDaSU_SV_EUlSU_E_NS1_11comp_targetILNS1_3genE0ELNS1_11target_archE4294967295ELNS1_3gpuE0ELNS1_3repE0EEENS1_30default_config_static_selectorELNS0_4arch9wavefront6targetE0EEEvT1_ ; -- Begin function _ZN7rocprim17ROCPRIM_400000_NS6detail17trampoline_kernelINS0_14default_configENS1_27scan_by_key_config_selectorIssEEZZNS1_16scan_by_key_implILNS1_25lookback_scan_determinismE0ELb1ES3_N6thrust23THRUST_200600_302600_NS6detail15normal_iteratorINS9_10device_ptrIsEEEESE_SE_sNS9_10multipliesIsEENS9_8equal_toIsEEsEE10hipError_tPvRmT2_T3_T4_T5_mT6_T7_P12ihipStream_tbENKUlT_T0_E_clISt17integral_constantIbLb1EESZ_EEDaSU_SV_EUlSU_E_NS1_11comp_targetILNS1_3genE0ELNS1_11target_archE4294967295ELNS1_3gpuE0ELNS1_3repE0EEENS1_30default_config_static_selectorELNS0_4arch9wavefront6targetE0EEEvT1_
	.globl	_ZN7rocprim17ROCPRIM_400000_NS6detail17trampoline_kernelINS0_14default_configENS1_27scan_by_key_config_selectorIssEEZZNS1_16scan_by_key_implILNS1_25lookback_scan_determinismE0ELb1ES3_N6thrust23THRUST_200600_302600_NS6detail15normal_iteratorINS9_10device_ptrIsEEEESE_SE_sNS9_10multipliesIsEENS9_8equal_toIsEEsEE10hipError_tPvRmT2_T3_T4_T5_mT6_T7_P12ihipStream_tbENKUlT_T0_E_clISt17integral_constantIbLb1EESZ_EEDaSU_SV_EUlSU_E_NS1_11comp_targetILNS1_3genE0ELNS1_11target_archE4294967295ELNS1_3gpuE0ELNS1_3repE0EEENS1_30default_config_static_selectorELNS0_4arch9wavefront6targetE0EEEvT1_
	.p2align	8
	.type	_ZN7rocprim17ROCPRIM_400000_NS6detail17trampoline_kernelINS0_14default_configENS1_27scan_by_key_config_selectorIssEEZZNS1_16scan_by_key_implILNS1_25lookback_scan_determinismE0ELb1ES3_N6thrust23THRUST_200600_302600_NS6detail15normal_iteratorINS9_10device_ptrIsEEEESE_SE_sNS9_10multipliesIsEENS9_8equal_toIsEEsEE10hipError_tPvRmT2_T3_T4_T5_mT6_T7_P12ihipStream_tbENKUlT_T0_E_clISt17integral_constantIbLb1EESZ_EEDaSU_SV_EUlSU_E_NS1_11comp_targetILNS1_3genE0ELNS1_11target_archE4294967295ELNS1_3gpuE0ELNS1_3repE0EEENS1_30default_config_static_selectorELNS0_4arch9wavefront6targetE0EEEvT1_,@function
_ZN7rocprim17ROCPRIM_400000_NS6detail17trampoline_kernelINS0_14default_configENS1_27scan_by_key_config_selectorIssEEZZNS1_16scan_by_key_implILNS1_25lookback_scan_determinismE0ELb1ES3_N6thrust23THRUST_200600_302600_NS6detail15normal_iteratorINS9_10device_ptrIsEEEESE_SE_sNS9_10multipliesIsEENS9_8equal_toIsEEsEE10hipError_tPvRmT2_T3_T4_T5_mT6_T7_P12ihipStream_tbENKUlT_T0_E_clISt17integral_constantIbLb1EESZ_EEDaSU_SV_EUlSU_E_NS1_11comp_targetILNS1_3genE0ELNS1_11target_archE4294967295ELNS1_3gpuE0ELNS1_3repE0EEENS1_30default_config_static_selectorELNS0_4arch9wavefront6targetE0EEEvT1_: ; @_ZN7rocprim17ROCPRIM_400000_NS6detail17trampoline_kernelINS0_14default_configENS1_27scan_by_key_config_selectorIssEEZZNS1_16scan_by_key_implILNS1_25lookback_scan_determinismE0ELb1ES3_N6thrust23THRUST_200600_302600_NS6detail15normal_iteratorINS9_10device_ptrIsEEEESE_SE_sNS9_10multipliesIsEENS9_8equal_toIsEEsEE10hipError_tPvRmT2_T3_T4_T5_mT6_T7_P12ihipStream_tbENKUlT_T0_E_clISt17integral_constantIbLb1EESZ_EEDaSU_SV_EUlSU_E_NS1_11comp_targetILNS1_3genE0ELNS1_11target_archE4294967295ELNS1_3gpuE0ELNS1_3repE0EEENS1_30default_config_static_selectorELNS0_4arch9wavefront6targetE0EEEvT1_
; %bb.0:
	s_endpgm
	.section	.rodata,"a",@progbits
	.p2align	6, 0x0
	.amdhsa_kernel _ZN7rocprim17ROCPRIM_400000_NS6detail17trampoline_kernelINS0_14default_configENS1_27scan_by_key_config_selectorIssEEZZNS1_16scan_by_key_implILNS1_25lookback_scan_determinismE0ELb1ES3_N6thrust23THRUST_200600_302600_NS6detail15normal_iteratorINS9_10device_ptrIsEEEESE_SE_sNS9_10multipliesIsEENS9_8equal_toIsEEsEE10hipError_tPvRmT2_T3_T4_T5_mT6_T7_P12ihipStream_tbENKUlT_T0_E_clISt17integral_constantIbLb1EESZ_EEDaSU_SV_EUlSU_E_NS1_11comp_targetILNS1_3genE0ELNS1_11target_archE4294967295ELNS1_3gpuE0ELNS1_3repE0EEENS1_30default_config_static_selectorELNS0_4arch9wavefront6targetE0EEEvT1_
		.amdhsa_group_segment_fixed_size 0
		.amdhsa_private_segment_fixed_size 0
		.amdhsa_kernarg_size 112
		.amdhsa_user_sgpr_count 2
		.amdhsa_user_sgpr_dispatch_ptr 0
		.amdhsa_user_sgpr_queue_ptr 0
		.amdhsa_user_sgpr_kernarg_segment_ptr 1
		.amdhsa_user_sgpr_dispatch_id 0
		.amdhsa_user_sgpr_kernarg_preload_length 0
		.amdhsa_user_sgpr_kernarg_preload_offset 0
		.amdhsa_user_sgpr_private_segment_size 0
		.amdhsa_wavefront_size32 1
		.amdhsa_uses_dynamic_stack 0
		.amdhsa_enable_private_segment 0
		.amdhsa_system_sgpr_workgroup_id_x 1
		.amdhsa_system_sgpr_workgroup_id_y 0
		.amdhsa_system_sgpr_workgroup_id_z 0
		.amdhsa_system_sgpr_workgroup_info 0
		.amdhsa_system_vgpr_workitem_id 0
		.amdhsa_next_free_vgpr 1
		.amdhsa_next_free_sgpr 1
		.amdhsa_named_barrier_count 0
		.amdhsa_reserve_vcc 0
		.amdhsa_float_round_mode_32 0
		.amdhsa_float_round_mode_16_64 0
		.amdhsa_float_denorm_mode_32 3
		.amdhsa_float_denorm_mode_16_64 3
		.amdhsa_fp16_overflow 0
		.amdhsa_memory_ordered 1
		.amdhsa_forward_progress 1
		.amdhsa_inst_pref_size 1
		.amdhsa_round_robin_scheduling 0
		.amdhsa_exception_fp_ieee_invalid_op 0
		.amdhsa_exception_fp_denorm_src 0
		.amdhsa_exception_fp_ieee_div_zero 0
		.amdhsa_exception_fp_ieee_overflow 0
		.amdhsa_exception_fp_ieee_underflow 0
		.amdhsa_exception_fp_ieee_inexact 0
		.amdhsa_exception_int_div_zero 0
	.end_amdhsa_kernel
	.section	.text._ZN7rocprim17ROCPRIM_400000_NS6detail17trampoline_kernelINS0_14default_configENS1_27scan_by_key_config_selectorIssEEZZNS1_16scan_by_key_implILNS1_25lookback_scan_determinismE0ELb1ES3_N6thrust23THRUST_200600_302600_NS6detail15normal_iteratorINS9_10device_ptrIsEEEESE_SE_sNS9_10multipliesIsEENS9_8equal_toIsEEsEE10hipError_tPvRmT2_T3_T4_T5_mT6_T7_P12ihipStream_tbENKUlT_T0_E_clISt17integral_constantIbLb1EESZ_EEDaSU_SV_EUlSU_E_NS1_11comp_targetILNS1_3genE0ELNS1_11target_archE4294967295ELNS1_3gpuE0ELNS1_3repE0EEENS1_30default_config_static_selectorELNS0_4arch9wavefront6targetE0EEEvT1_,"axG",@progbits,_ZN7rocprim17ROCPRIM_400000_NS6detail17trampoline_kernelINS0_14default_configENS1_27scan_by_key_config_selectorIssEEZZNS1_16scan_by_key_implILNS1_25lookback_scan_determinismE0ELb1ES3_N6thrust23THRUST_200600_302600_NS6detail15normal_iteratorINS9_10device_ptrIsEEEESE_SE_sNS9_10multipliesIsEENS9_8equal_toIsEEsEE10hipError_tPvRmT2_T3_T4_T5_mT6_T7_P12ihipStream_tbENKUlT_T0_E_clISt17integral_constantIbLb1EESZ_EEDaSU_SV_EUlSU_E_NS1_11comp_targetILNS1_3genE0ELNS1_11target_archE4294967295ELNS1_3gpuE0ELNS1_3repE0EEENS1_30default_config_static_selectorELNS0_4arch9wavefront6targetE0EEEvT1_,comdat
.Lfunc_end614:
	.size	_ZN7rocprim17ROCPRIM_400000_NS6detail17trampoline_kernelINS0_14default_configENS1_27scan_by_key_config_selectorIssEEZZNS1_16scan_by_key_implILNS1_25lookback_scan_determinismE0ELb1ES3_N6thrust23THRUST_200600_302600_NS6detail15normal_iteratorINS9_10device_ptrIsEEEESE_SE_sNS9_10multipliesIsEENS9_8equal_toIsEEsEE10hipError_tPvRmT2_T3_T4_T5_mT6_T7_P12ihipStream_tbENKUlT_T0_E_clISt17integral_constantIbLb1EESZ_EEDaSU_SV_EUlSU_E_NS1_11comp_targetILNS1_3genE0ELNS1_11target_archE4294967295ELNS1_3gpuE0ELNS1_3repE0EEENS1_30default_config_static_selectorELNS0_4arch9wavefront6targetE0EEEvT1_, .Lfunc_end614-_ZN7rocprim17ROCPRIM_400000_NS6detail17trampoline_kernelINS0_14default_configENS1_27scan_by_key_config_selectorIssEEZZNS1_16scan_by_key_implILNS1_25lookback_scan_determinismE0ELb1ES3_N6thrust23THRUST_200600_302600_NS6detail15normal_iteratorINS9_10device_ptrIsEEEESE_SE_sNS9_10multipliesIsEENS9_8equal_toIsEEsEE10hipError_tPvRmT2_T3_T4_T5_mT6_T7_P12ihipStream_tbENKUlT_T0_E_clISt17integral_constantIbLb1EESZ_EEDaSU_SV_EUlSU_E_NS1_11comp_targetILNS1_3genE0ELNS1_11target_archE4294967295ELNS1_3gpuE0ELNS1_3repE0EEENS1_30default_config_static_selectorELNS0_4arch9wavefront6targetE0EEEvT1_
                                        ; -- End function
	.set _ZN7rocprim17ROCPRIM_400000_NS6detail17trampoline_kernelINS0_14default_configENS1_27scan_by_key_config_selectorIssEEZZNS1_16scan_by_key_implILNS1_25lookback_scan_determinismE0ELb1ES3_N6thrust23THRUST_200600_302600_NS6detail15normal_iteratorINS9_10device_ptrIsEEEESE_SE_sNS9_10multipliesIsEENS9_8equal_toIsEEsEE10hipError_tPvRmT2_T3_T4_T5_mT6_T7_P12ihipStream_tbENKUlT_T0_E_clISt17integral_constantIbLb1EESZ_EEDaSU_SV_EUlSU_E_NS1_11comp_targetILNS1_3genE0ELNS1_11target_archE4294967295ELNS1_3gpuE0ELNS1_3repE0EEENS1_30default_config_static_selectorELNS0_4arch9wavefront6targetE0EEEvT1_.num_vgpr, 0
	.set _ZN7rocprim17ROCPRIM_400000_NS6detail17trampoline_kernelINS0_14default_configENS1_27scan_by_key_config_selectorIssEEZZNS1_16scan_by_key_implILNS1_25lookback_scan_determinismE0ELb1ES3_N6thrust23THRUST_200600_302600_NS6detail15normal_iteratorINS9_10device_ptrIsEEEESE_SE_sNS9_10multipliesIsEENS9_8equal_toIsEEsEE10hipError_tPvRmT2_T3_T4_T5_mT6_T7_P12ihipStream_tbENKUlT_T0_E_clISt17integral_constantIbLb1EESZ_EEDaSU_SV_EUlSU_E_NS1_11comp_targetILNS1_3genE0ELNS1_11target_archE4294967295ELNS1_3gpuE0ELNS1_3repE0EEENS1_30default_config_static_selectorELNS0_4arch9wavefront6targetE0EEEvT1_.num_agpr, 0
	.set _ZN7rocprim17ROCPRIM_400000_NS6detail17trampoline_kernelINS0_14default_configENS1_27scan_by_key_config_selectorIssEEZZNS1_16scan_by_key_implILNS1_25lookback_scan_determinismE0ELb1ES3_N6thrust23THRUST_200600_302600_NS6detail15normal_iteratorINS9_10device_ptrIsEEEESE_SE_sNS9_10multipliesIsEENS9_8equal_toIsEEsEE10hipError_tPvRmT2_T3_T4_T5_mT6_T7_P12ihipStream_tbENKUlT_T0_E_clISt17integral_constantIbLb1EESZ_EEDaSU_SV_EUlSU_E_NS1_11comp_targetILNS1_3genE0ELNS1_11target_archE4294967295ELNS1_3gpuE0ELNS1_3repE0EEENS1_30default_config_static_selectorELNS0_4arch9wavefront6targetE0EEEvT1_.numbered_sgpr, 0
	.set _ZN7rocprim17ROCPRIM_400000_NS6detail17trampoline_kernelINS0_14default_configENS1_27scan_by_key_config_selectorIssEEZZNS1_16scan_by_key_implILNS1_25lookback_scan_determinismE0ELb1ES3_N6thrust23THRUST_200600_302600_NS6detail15normal_iteratorINS9_10device_ptrIsEEEESE_SE_sNS9_10multipliesIsEENS9_8equal_toIsEEsEE10hipError_tPvRmT2_T3_T4_T5_mT6_T7_P12ihipStream_tbENKUlT_T0_E_clISt17integral_constantIbLb1EESZ_EEDaSU_SV_EUlSU_E_NS1_11comp_targetILNS1_3genE0ELNS1_11target_archE4294967295ELNS1_3gpuE0ELNS1_3repE0EEENS1_30default_config_static_selectorELNS0_4arch9wavefront6targetE0EEEvT1_.num_named_barrier, 0
	.set _ZN7rocprim17ROCPRIM_400000_NS6detail17trampoline_kernelINS0_14default_configENS1_27scan_by_key_config_selectorIssEEZZNS1_16scan_by_key_implILNS1_25lookback_scan_determinismE0ELb1ES3_N6thrust23THRUST_200600_302600_NS6detail15normal_iteratorINS9_10device_ptrIsEEEESE_SE_sNS9_10multipliesIsEENS9_8equal_toIsEEsEE10hipError_tPvRmT2_T3_T4_T5_mT6_T7_P12ihipStream_tbENKUlT_T0_E_clISt17integral_constantIbLb1EESZ_EEDaSU_SV_EUlSU_E_NS1_11comp_targetILNS1_3genE0ELNS1_11target_archE4294967295ELNS1_3gpuE0ELNS1_3repE0EEENS1_30default_config_static_selectorELNS0_4arch9wavefront6targetE0EEEvT1_.private_seg_size, 0
	.set _ZN7rocprim17ROCPRIM_400000_NS6detail17trampoline_kernelINS0_14default_configENS1_27scan_by_key_config_selectorIssEEZZNS1_16scan_by_key_implILNS1_25lookback_scan_determinismE0ELb1ES3_N6thrust23THRUST_200600_302600_NS6detail15normal_iteratorINS9_10device_ptrIsEEEESE_SE_sNS9_10multipliesIsEENS9_8equal_toIsEEsEE10hipError_tPvRmT2_T3_T4_T5_mT6_T7_P12ihipStream_tbENKUlT_T0_E_clISt17integral_constantIbLb1EESZ_EEDaSU_SV_EUlSU_E_NS1_11comp_targetILNS1_3genE0ELNS1_11target_archE4294967295ELNS1_3gpuE0ELNS1_3repE0EEENS1_30default_config_static_selectorELNS0_4arch9wavefront6targetE0EEEvT1_.uses_vcc, 0
	.set _ZN7rocprim17ROCPRIM_400000_NS6detail17trampoline_kernelINS0_14default_configENS1_27scan_by_key_config_selectorIssEEZZNS1_16scan_by_key_implILNS1_25lookback_scan_determinismE0ELb1ES3_N6thrust23THRUST_200600_302600_NS6detail15normal_iteratorINS9_10device_ptrIsEEEESE_SE_sNS9_10multipliesIsEENS9_8equal_toIsEEsEE10hipError_tPvRmT2_T3_T4_T5_mT6_T7_P12ihipStream_tbENKUlT_T0_E_clISt17integral_constantIbLb1EESZ_EEDaSU_SV_EUlSU_E_NS1_11comp_targetILNS1_3genE0ELNS1_11target_archE4294967295ELNS1_3gpuE0ELNS1_3repE0EEENS1_30default_config_static_selectorELNS0_4arch9wavefront6targetE0EEEvT1_.uses_flat_scratch, 0
	.set _ZN7rocprim17ROCPRIM_400000_NS6detail17trampoline_kernelINS0_14default_configENS1_27scan_by_key_config_selectorIssEEZZNS1_16scan_by_key_implILNS1_25lookback_scan_determinismE0ELb1ES3_N6thrust23THRUST_200600_302600_NS6detail15normal_iteratorINS9_10device_ptrIsEEEESE_SE_sNS9_10multipliesIsEENS9_8equal_toIsEEsEE10hipError_tPvRmT2_T3_T4_T5_mT6_T7_P12ihipStream_tbENKUlT_T0_E_clISt17integral_constantIbLb1EESZ_EEDaSU_SV_EUlSU_E_NS1_11comp_targetILNS1_3genE0ELNS1_11target_archE4294967295ELNS1_3gpuE0ELNS1_3repE0EEENS1_30default_config_static_selectorELNS0_4arch9wavefront6targetE0EEEvT1_.has_dyn_sized_stack, 0
	.set _ZN7rocprim17ROCPRIM_400000_NS6detail17trampoline_kernelINS0_14default_configENS1_27scan_by_key_config_selectorIssEEZZNS1_16scan_by_key_implILNS1_25lookback_scan_determinismE0ELb1ES3_N6thrust23THRUST_200600_302600_NS6detail15normal_iteratorINS9_10device_ptrIsEEEESE_SE_sNS9_10multipliesIsEENS9_8equal_toIsEEsEE10hipError_tPvRmT2_T3_T4_T5_mT6_T7_P12ihipStream_tbENKUlT_T0_E_clISt17integral_constantIbLb1EESZ_EEDaSU_SV_EUlSU_E_NS1_11comp_targetILNS1_3genE0ELNS1_11target_archE4294967295ELNS1_3gpuE0ELNS1_3repE0EEENS1_30default_config_static_selectorELNS0_4arch9wavefront6targetE0EEEvT1_.has_recursion, 0
	.set _ZN7rocprim17ROCPRIM_400000_NS6detail17trampoline_kernelINS0_14default_configENS1_27scan_by_key_config_selectorIssEEZZNS1_16scan_by_key_implILNS1_25lookback_scan_determinismE0ELb1ES3_N6thrust23THRUST_200600_302600_NS6detail15normal_iteratorINS9_10device_ptrIsEEEESE_SE_sNS9_10multipliesIsEENS9_8equal_toIsEEsEE10hipError_tPvRmT2_T3_T4_T5_mT6_T7_P12ihipStream_tbENKUlT_T0_E_clISt17integral_constantIbLb1EESZ_EEDaSU_SV_EUlSU_E_NS1_11comp_targetILNS1_3genE0ELNS1_11target_archE4294967295ELNS1_3gpuE0ELNS1_3repE0EEENS1_30default_config_static_selectorELNS0_4arch9wavefront6targetE0EEEvT1_.has_indirect_call, 0
	.section	.AMDGPU.csdata,"",@progbits
; Kernel info:
; codeLenInByte = 4
; TotalNumSgprs: 0
; NumVgprs: 0
; ScratchSize: 0
; MemoryBound: 0
; FloatMode: 240
; IeeeMode: 1
; LDSByteSize: 0 bytes/workgroup (compile time only)
; SGPRBlocks: 0
; VGPRBlocks: 0
; NumSGPRsForWavesPerEU: 1
; NumVGPRsForWavesPerEU: 1
; NamedBarCnt: 0
; Occupancy: 16
; WaveLimiterHint : 0
; COMPUTE_PGM_RSRC2:SCRATCH_EN: 0
; COMPUTE_PGM_RSRC2:USER_SGPR: 2
; COMPUTE_PGM_RSRC2:TRAP_HANDLER: 0
; COMPUTE_PGM_RSRC2:TGID_X_EN: 1
; COMPUTE_PGM_RSRC2:TGID_Y_EN: 0
; COMPUTE_PGM_RSRC2:TGID_Z_EN: 0
; COMPUTE_PGM_RSRC2:TIDIG_COMP_CNT: 0
	.section	.text._ZN7rocprim17ROCPRIM_400000_NS6detail17trampoline_kernelINS0_14default_configENS1_27scan_by_key_config_selectorIssEEZZNS1_16scan_by_key_implILNS1_25lookback_scan_determinismE0ELb1ES3_N6thrust23THRUST_200600_302600_NS6detail15normal_iteratorINS9_10device_ptrIsEEEESE_SE_sNS9_10multipliesIsEENS9_8equal_toIsEEsEE10hipError_tPvRmT2_T3_T4_T5_mT6_T7_P12ihipStream_tbENKUlT_T0_E_clISt17integral_constantIbLb1EESZ_EEDaSU_SV_EUlSU_E_NS1_11comp_targetILNS1_3genE10ELNS1_11target_archE1201ELNS1_3gpuE5ELNS1_3repE0EEENS1_30default_config_static_selectorELNS0_4arch9wavefront6targetE0EEEvT1_,"axG",@progbits,_ZN7rocprim17ROCPRIM_400000_NS6detail17trampoline_kernelINS0_14default_configENS1_27scan_by_key_config_selectorIssEEZZNS1_16scan_by_key_implILNS1_25lookback_scan_determinismE0ELb1ES3_N6thrust23THRUST_200600_302600_NS6detail15normal_iteratorINS9_10device_ptrIsEEEESE_SE_sNS9_10multipliesIsEENS9_8equal_toIsEEsEE10hipError_tPvRmT2_T3_T4_T5_mT6_T7_P12ihipStream_tbENKUlT_T0_E_clISt17integral_constantIbLb1EESZ_EEDaSU_SV_EUlSU_E_NS1_11comp_targetILNS1_3genE10ELNS1_11target_archE1201ELNS1_3gpuE5ELNS1_3repE0EEENS1_30default_config_static_selectorELNS0_4arch9wavefront6targetE0EEEvT1_,comdat
	.protected	_ZN7rocprim17ROCPRIM_400000_NS6detail17trampoline_kernelINS0_14default_configENS1_27scan_by_key_config_selectorIssEEZZNS1_16scan_by_key_implILNS1_25lookback_scan_determinismE0ELb1ES3_N6thrust23THRUST_200600_302600_NS6detail15normal_iteratorINS9_10device_ptrIsEEEESE_SE_sNS9_10multipliesIsEENS9_8equal_toIsEEsEE10hipError_tPvRmT2_T3_T4_T5_mT6_T7_P12ihipStream_tbENKUlT_T0_E_clISt17integral_constantIbLb1EESZ_EEDaSU_SV_EUlSU_E_NS1_11comp_targetILNS1_3genE10ELNS1_11target_archE1201ELNS1_3gpuE5ELNS1_3repE0EEENS1_30default_config_static_selectorELNS0_4arch9wavefront6targetE0EEEvT1_ ; -- Begin function _ZN7rocprim17ROCPRIM_400000_NS6detail17trampoline_kernelINS0_14default_configENS1_27scan_by_key_config_selectorIssEEZZNS1_16scan_by_key_implILNS1_25lookback_scan_determinismE0ELb1ES3_N6thrust23THRUST_200600_302600_NS6detail15normal_iteratorINS9_10device_ptrIsEEEESE_SE_sNS9_10multipliesIsEENS9_8equal_toIsEEsEE10hipError_tPvRmT2_T3_T4_T5_mT6_T7_P12ihipStream_tbENKUlT_T0_E_clISt17integral_constantIbLb1EESZ_EEDaSU_SV_EUlSU_E_NS1_11comp_targetILNS1_3genE10ELNS1_11target_archE1201ELNS1_3gpuE5ELNS1_3repE0EEENS1_30default_config_static_selectorELNS0_4arch9wavefront6targetE0EEEvT1_
	.globl	_ZN7rocprim17ROCPRIM_400000_NS6detail17trampoline_kernelINS0_14default_configENS1_27scan_by_key_config_selectorIssEEZZNS1_16scan_by_key_implILNS1_25lookback_scan_determinismE0ELb1ES3_N6thrust23THRUST_200600_302600_NS6detail15normal_iteratorINS9_10device_ptrIsEEEESE_SE_sNS9_10multipliesIsEENS9_8equal_toIsEEsEE10hipError_tPvRmT2_T3_T4_T5_mT6_T7_P12ihipStream_tbENKUlT_T0_E_clISt17integral_constantIbLb1EESZ_EEDaSU_SV_EUlSU_E_NS1_11comp_targetILNS1_3genE10ELNS1_11target_archE1201ELNS1_3gpuE5ELNS1_3repE0EEENS1_30default_config_static_selectorELNS0_4arch9wavefront6targetE0EEEvT1_
	.p2align	8
	.type	_ZN7rocprim17ROCPRIM_400000_NS6detail17trampoline_kernelINS0_14default_configENS1_27scan_by_key_config_selectorIssEEZZNS1_16scan_by_key_implILNS1_25lookback_scan_determinismE0ELb1ES3_N6thrust23THRUST_200600_302600_NS6detail15normal_iteratorINS9_10device_ptrIsEEEESE_SE_sNS9_10multipliesIsEENS9_8equal_toIsEEsEE10hipError_tPvRmT2_T3_T4_T5_mT6_T7_P12ihipStream_tbENKUlT_T0_E_clISt17integral_constantIbLb1EESZ_EEDaSU_SV_EUlSU_E_NS1_11comp_targetILNS1_3genE10ELNS1_11target_archE1201ELNS1_3gpuE5ELNS1_3repE0EEENS1_30default_config_static_selectorELNS0_4arch9wavefront6targetE0EEEvT1_,@function
_ZN7rocprim17ROCPRIM_400000_NS6detail17trampoline_kernelINS0_14default_configENS1_27scan_by_key_config_selectorIssEEZZNS1_16scan_by_key_implILNS1_25lookback_scan_determinismE0ELb1ES3_N6thrust23THRUST_200600_302600_NS6detail15normal_iteratorINS9_10device_ptrIsEEEESE_SE_sNS9_10multipliesIsEENS9_8equal_toIsEEsEE10hipError_tPvRmT2_T3_T4_T5_mT6_T7_P12ihipStream_tbENKUlT_T0_E_clISt17integral_constantIbLb1EESZ_EEDaSU_SV_EUlSU_E_NS1_11comp_targetILNS1_3genE10ELNS1_11target_archE1201ELNS1_3gpuE5ELNS1_3repE0EEENS1_30default_config_static_selectorELNS0_4arch9wavefront6targetE0EEEvT1_: ; @_ZN7rocprim17ROCPRIM_400000_NS6detail17trampoline_kernelINS0_14default_configENS1_27scan_by_key_config_selectorIssEEZZNS1_16scan_by_key_implILNS1_25lookback_scan_determinismE0ELb1ES3_N6thrust23THRUST_200600_302600_NS6detail15normal_iteratorINS9_10device_ptrIsEEEESE_SE_sNS9_10multipliesIsEENS9_8equal_toIsEEsEE10hipError_tPvRmT2_T3_T4_T5_mT6_T7_P12ihipStream_tbENKUlT_T0_E_clISt17integral_constantIbLb1EESZ_EEDaSU_SV_EUlSU_E_NS1_11comp_targetILNS1_3genE10ELNS1_11target_archE1201ELNS1_3gpuE5ELNS1_3repE0EEENS1_30default_config_static_selectorELNS0_4arch9wavefront6targetE0EEEvT1_
; %bb.0:
	.section	.rodata,"a",@progbits
	.p2align	6, 0x0
	.amdhsa_kernel _ZN7rocprim17ROCPRIM_400000_NS6detail17trampoline_kernelINS0_14default_configENS1_27scan_by_key_config_selectorIssEEZZNS1_16scan_by_key_implILNS1_25lookback_scan_determinismE0ELb1ES3_N6thrust23THRUST_200600_302600_NS6detail15normal_iteratorINS9_10device_ptrIsEEEESE_SE_sNS9_10multipliesIsEENS9_8equal_toIsEEsEE10hipError_tPvRmT2_T3_T4_T5_mT6_T7_P12ihipStream_tbENKUlT_T0_E_clISt17integral_constantIbLb1EESZ_EEDaSU_SV_EUlSU_E_NS1_11comp_targetILNS1_3genE10ELNS1_11target_archE1201ELNS1_3gpuE5ELNS1_3repE0EEENS1_30default_config_static_selectorELNS0_4arch9wavefront6targetE0EEEvT1_
		.amdhsa_group_segment_fixed_size 0
		.amdhsa_private_segment_fixed_size 0
		.amdhsa_kernarg_size 112
		.amdhsa_user_sgpr_count 2
		.amdhsa_user_sgpr_dispatch_ptr 0
		.amdhsa_user_sgpr_queue_ptr 0
		.amdhsa_user_sgpr_kernarg_segment_ptr 1
		.amdhsa_user_sgpr_dispatch_id 0
		.amdhsa_user_sgpr_kernarg_preload_length 0
		.amdhsa_user_sgpr_kernarg_preload_offset 0
		.amdhsa_user_sgpr_private_segment_size 0
		.amdhsa_wavefront_size32 1
		.amdhsa_uses_dynamic_stack 0
		.amdhsa_enable_private_segment 0
		.amdhsa_system_sgpr_workgroup_id_x 1
		.amdhsa_system_sgpr_workgroup_id_y 0
		.amdhsa_system_sgpr_workgroup_id_z 0
		.amdhsa_system_sgpr_workgroup_info 0
		.amdhsa_system_vgpr_workitem_id 0
		.amdhsa_next_free_vgpr 1
		.amdhsa_next_free_sgpr 1
		.amdhsa_named_barrier_count 0
		.amdhsa_reserve_vcc 0
		.amdhsa_float_round_mode_32 0
		.amdhsa_float_round_mode_16_64 0
		.amdhsa_float_denorm_mode_32 3
		.amdhsa_float_denorm_mode_16_64 3
		.amdhsa_fp16_overflow 0
		.amdhsa_memory_ordered 1
		.amdhsa_forward_progress 1
		.amdhsa_inst_pref_size 0
		.amdhsa_round_robin_scheduling 0
		.amdhsa_exception_fp_ieee_invalid_op 0
		.amdhsa_exception_fp_denorm_src 0
		.amdhsa_exception_fp_ieee_div_zero 0
		.amdhsa_exception_fp_ieee_overflow 0
		.amdhsa_exception_fp_ieee_underflow 0
		.amdhsa_exception_fp_ieee_inexact 0
		.amdhsa_exception_int_div_zero 0
	.end_amdhsa_kernel
	.section	.text._ZN7rocprim17ROCPRIM_400000_NS6detail17trampoline_kernelINS0_14default_configENS1_27scan_by_key_config_selectorIssEEZZNS1_16scan_by_key_implILNS1_25lookback_scan_determinismE0ELb1ES3_N6thrust23THRUST_200600_302600_NS6detail15normal_iteratorINS9_10device_ptrIsEEEESE_SE_sNS9_10multipliesIsEENS9_8equal_toIsEEsEE10hipError_tPvRmT2_T3_T4_T5_mT6_T7_P12ihipStream_tbENKUlT_T0_E_clISt17integral_constantIbLb1EESZ_EEDaSU_SV_EUlSU_E_NS1_11comp_targetILNS1_3genE10ELNS1_11target_archE1201ELNS1_3gpuE5ELNS1_3repE0EEENS1_30default_config_static_selectorELNS0_4arch9wavefront6targetE0EEEvT1_,"axG",@progbits,_ZN7rocprim17ROCPRIM_400000_NS6detail17trampoline_kernelINS0_14default_configENS1_27scan_by_key_config_selectorIssEEZZNS1_16scan_by_key_implILNS1_25lookback_scan_determinismE0ELb1ES3_N6thrust23THRUST_200600_302600_NS6detail15normal_iteratorINS9_10device_ptrIsEEEESE_SE_sNS9_10multipliesIsEENS9_8equal_toIsEEsEE10hipError_tPvRmT2_T3_T4_T5_mT6_T7_P12ihipStream_tbENKUlT_T0_E_clISt17integral_constantIbLb1EESZ_EEDaSU_SV_EUlSU_E_NS1_11comp_targetILNS1_3genE10ELNS1_11target_archE1201ELNS1_3gpuE5ELNS1_3repE0EEENS1_30default_config_static_selectorELNS0_4arch9wavefront6targetE0EEEvT1_,comdat
.Lfunc_end615:
	.size	_ZN7rocprim17ROCPRIM_400000_NS6detail17trampoline_kernelINS0_14default_configENS1_27scan_by_key_config_selectorIssEEZZNS1_16scan_by_key_implILNS1_25lookback_scan_determinismE0ELb1ES3_N6thrust23THRUST_200600_302600_NS6detail15normal_iteratorINS9_10device_ptrIsEEEESE_SE_sNS9_10multipliesIsEENS9_8equal_toIsEEsEE10hipError_tPvRmT2_T3_T4_T5_mT6_T7_P12ihipStream_tbENKUlT_T0_E_clISt17integral_constantIbLb1EESZ_EEDaSU_SV_EUlSU_E_NS1_11comp_targetILNS1_3genE10ELNS1_11target_archE1201ELNS1_3gpuE5ELNS1_3repE0EEENS1_30default_config_static_selectorELNS0_4arch9wavefront6targetE0EEEvT1_, .Lfunc_end615-_ZN7rocprim17ROCPRIM_400000_NS6detail17trampoline_kernelINS0_14default_configENS1_27scan_by_key_config_selectorIssEEZZNS1_16scan_by_key_implILNS1_25lookback_scan_determinismE0ELb1ES3_N6thrust23THRUST_200600_302600_NS6detail15normal_iteratorINS9_10device_ptrIsEEEESE_SE_sNS9_10multipliesIsEENS9_8equal_toIsEEsEE10hipError_tPvRmT2_T3_T4_T5_mT6_T7_P12ihipStream_tbENKUlT_T0_E_clISt17integral_constantIbLb1EESZ_EEDaSU_SV_EUlSU_E_NS1_11comp_targetILNS1_3genE10ELNS1_11target_archE1201ELNS1_3gpuE5ELNS1_3repE0EEENS1_30default_config_static_selectorELNS0_4arch9wavefront6targetE0EEEvT1_
                                        ; -- End function
	.set _ZN7rocprim17ROCPRIM_400000_NS6detail17trampoline_kernelINS0_14default_configENS1_27scan_by_key_config_selectorIssEEZZNS1_16scan_by_key_implILNS1_25lookback_scan_determinismE0ELb1ES3_N6thrust23THRUST_200600_302600_NS6detail15normal_iteratorINS9_10device_ptrIsEEEESE_SE_sNS9_10multipliesIsEENS9_8equal_toIsEEsEE10hipError_tPvRmT2_T3_T4_T5_mT6_T7_P12ihipStream_tbENKUlT_T0_E_clISt17integral_constantIbLb1EESZ_EEDaSU_SV_EUlSU_E_NS1_11comp_targetILNS1_3genE10ELNS1_11target_archE1201ELNS1_3gpuE5ELNS1_3repE0EEENS1_30default_config_static_selectorELNS0_4arch9wavefront6targetE0EEEvT1_.num_vgpr, 0
	.set _ZN7rocprim17ROCPRIM_400000_NS6detail17trampoline_kernelINS0_14default_configENS1_27scan_by_key_config_selectorIssEEZZNS1_16scan_by_key_implILNS1_25lookback_scan_determinismE0ELb1ES3_N6thrust23THRUST_200600_302600_NS6detail15normal_iteratorINS9_10device_ptrIsEEEESE_SE_sNS9_10multipliesIsEENS9_8equal_toIsEEsEE10hipError_tPvRmT2_T3_T4_T5_mT6_T7_P12ihipStream_tbENKUlT_T0_E_clISt17integral_constantIbLb1EESZ_EEDaSU_SV_EUlSU_E_NS1_11comp_targetILNS1_3genE10ELNS1_11target_archE1201ELNS1_3gpuE5ELNS1_3repE0EEENS1_30default_config_static_selectorELNS0_4arch9wavefront6targetE0EEEvT1_.num_agpr, 0
	.set _ZN7rocprim17ROCPRIM_400000_NS6detail17trampoline_kernelINS0_14default_configENS1_27scan_by_key_config_selectorIssEEZZNS1_16scan_by_key_implILNS1_25lookback_scan_determinismE0ELb1ES3_N6thrust23THRUST_200600_302600_NS6detail15normal_iteratorINS9_10device_ptrIsEEEESE_SE_sNS9_10multipliesIsEENS9_8equal_toIsEEsEE10hipError_tPvRmT2_T3_T4_T5_mT6_T7_P12ihipStream_tbENKUlT_T0_E_clISt17integral_constantIbLb1EESZ_EEDaSU_SV_EUlSU_E_NS1_11comp_targetILNS1_3genE10ELNS1_11target_archE1201ELNS1_3gpuE5ELNS1_3repE0EEENS1_30default_config_static_selectorELNS0_4arch9wavefront6targetE0EEEvT1_.numbered_sgpr, 0
	.set _ZN7rocprim17ROCPRIM_400000_NS6detail17trampoline_kernelINS0_14default_configENS1_27scan_by_key_config_selectorIssEEZZNS1_16scan_by_key_implILNS1_25lookback_scan_determinismE0ELb1ES3_N6thrust23THRUST_200600_302600_NS6detail15normal_iteratorINS9_10device_ptrIsEEEESE_SE_sNS9_10multipliesIsEENS9_8equal_toIsEEsEE10hipError_tPvRmT2_T3_T4_T5_mT6_T7_P12ihipStream_tbENKUlT_T0_E_clISt17integral_constantIbLb1EESZ_EEDaSU_SV_EUlSU_E_NS1_11comp_targetILNS1_3genE10ELNS1_11target_archE1201ELNS1_3gpuE5ELNS1_3repE0EEENS1_30default_config_static_selectorELNS0_4arch9wavefront6targetE0EEEvT1_.num_named_barrier, 0
	.set _ZN7rocprim17ROCPRIM_400000_NS6detail17trampoline_kernelINS0_14default_configENS1_27scan_by_key_config_selectorIssEEZZNS1_16scan_by_key_implILNS1_25lookback_scan_determinismE0ELb1ES3_N6thrust23THRUST_200600_302600_NS6detail15normal_iteratorINS9_10device_ptrIsEEEESE_SE_sNS9_10multipliesIsEENS9_8equal_toIsEEsEE10hipError_tPvRmT2_T3_T4_T5_mT6_T7_P12ihipStream_tbENKUlT_T0_E_clISt17integral_constantIbLb1EESZ_EEDaSU_SV_EUlSU_E_NS1_11comp_targetILNS1_3genE10ELNS1_11target_archE1201ELNS1_3gpuE5ELNS1_3repE0EEENS1_30default_config_static_selectorELNS0_4arch9wavefront6targetE0EEEvT1_.private_seg_size, 0
	.set _ZN7rocprim17ROCPRIM_400000_NS6detail17trampoline_kernelINS0_14default_configENS1_27scan_by_key_config_selectorIssEEZZNS1_16scan_by_key_implILNS1_25lookback_scan_determinismE0ELb1ES3_N6thrust23THRUST_200600_302600_NS6detail15normal_iteratorINS9_10device_ptrIsEEEESE_SE_sNS9_10multipliesIsEENS9_8equal_toIsEEsEE10hipError_tPvRmT2_T3_T4_T5_mT6_T7_P12ihipStream_tbENKUlT_T0_E_clISt17integral_constantIbLb1EESZ_EEDaSU_SV_EUlSU_E_NS1_11comp_targetILNS1_3genE10ELNS1_11target_archE1201ELNS1_3gpuE5ELNS1_3repE0EEENS1_30default_config_static_selectorELNS0_4arch9wavefront6targetE0EEEvT1_.uses_vcc, 0
	.set _ZN7rocprim17ROCPRIM_400000_NS6detail17trampoline_kernelINS0_14default_configENS1_27scan_by_key_config_selectorIssEEZZNS1_16scan_by_key_implILNS1_25lookback_scan_determinismE0ELb1ES3_N6thrust23THRUST_200600_302600_NS6detail15normal_iteratorINS9_10device_ptrIsEEEESE_SE_sNS9_10multipliesIsEENS9_8equal_toIsEEsEE10hipError_tPvRmT2_T3_T4_T5_mT6_T7_P12ihipStream_tbENKUlT_T0_E_clISt17integral_constantIbLb1EESZ_EEDaSU_SV_EUlSU_E_NS1_11comp_targetILNS1_3genE10ELNS1_11target_archE1201ELNS1_3gpuE5ELNS1_3repE0EEENS1_30default_config_static_selectorELNS0_4arch9wavefront6targetE0EEEvT1_.uses_flat_scratch, 0
	.set _ZN7rocprim17ROCPRIM_400000_NS6detail17trampoline_kernelINS0_14default_configENS1_27scan_by_key_config_selectorIssEEZZNS1_16scan_by_key_implILNS1_25lookback_scan_determinismE0ELb1ES3_N6thrust23THRUST_200600_302600_NS6detail15normal_iteratorINS9_10device_ptrIsEEEESE_SE_sNS9_10multipliesIsEENS9_8equal_toIsEEsEE10hipError_tPvRmT2_T3_T4_T5_mT6_T7_P12ihipStream_tbENKUlT_T0_E_clISt17integral_constantIbLb1EESZ_EEDaSU_SV_EUlSU_E_NS1_11comp_targetILNS1_3genE10ELNS1_11target_archE1201ELNS1_3gpuE5ELNS1_3repE0EEENS1_30default_config_static_selectorELNS0_4arch9wavefront6targetE0EEEvT1_.has_dyn_sized_stack, 0
	.set _ZN7rocprim17ROCPRIM_400000_NS6detail17trampoline_kernelINS0_14default_configENS1_27scan_by_key_config_selectorIssEEZZNS1_16scan_by_key_implILNS1_25lookback_scan_determinismE0ELb1ES3_N6thrust23THRUST_200600_302600_NS6detail15normal_iteratorINS9_10device_ptrIsEEEESE_SE_sNS9_10multipliesIsEENS9_8equal_toIsEEsEE10hipError_tPvRmT2_T3_T4_T5_mT6_T7_P12ihipStream_tbENKUlT_T0_E_clISt17integral_constantIbLb1EESZ_EEDaSU_SV_EUlSU_E_NS1_11comp_targetILNS1_3genE10ELNS1_11target_archE1201ELNS1_3gpuE5ELNS1_3repE0EEENS1_30default_config_static_selectorELNS0_4arch9wavefront6targetE0EEEvT1_.has_recursion, 0
	.set _ZN7rocprim17ROCPRIM_400000_NS6detail17trampoline_kernelINS0_14default_configENS1_27scan_by_key_config_selectorIssEEZZNS1_16scan_by_key_implILNS1_25lookback_scan_determinismE0ELb1ES3_N6thrust23THRUST_200600_302600_NS6detail15normal_iteratorINS9_10device_ptrIsEEEESE_SE_sNS9_10multipliesIsEENS9_8equal_toIsEEsEE10hipError_tPvRmT2_T3_T4_T5_mT6_T7_P12ihipStream_tbENKUlT_T0_E_clISt17integral_constantIbLb1EESZ_EEDaSU_SV_EUlSU_E_NS1_11comp_targetILNS1_3genE10ELNS1_11target_archE1201ELNS1_3gpuE5ELNS1_3repE0EEENS1_30default_config_static_selectorELNS0_4arch9wavefront6targetE0EEEvT1_.has_indirect_call, 0
	.section	.AMDGPU.csdata,"",@progbits
; Kernel info:
; codeLenInByte = 0
; TotalNumSgprs: 0
; NumVgprs: 0
; ScratchSize: 0
; MemoryBound: 0
; FloatMode: 240
; IeeeMode: 1
; LDSByteSize: 0 bytes/workgroup (compile time only)
; SGPRBlocks: 0
; VGPRBlocks: 0
; NumSGPRsForWavesPerEU: 1
; NumVGPRsForWavesPerEU: 1
; NamedBarCnt: 0
; Occupancy: 16
; WaveLimiterHint : 0
; COMPUTE_PGM_RSRC2:SCRATCH_EN: 0
; COMPUTE_PGM_RSRC2:USER_SGPR: 2
; COMPUTE_PGM_RSRC2:TRAP_HANDLER: 0
; COMPUTE_PGM_RSRC2:TGID_X_EN: 1
; COMPUTE_PGM_RSRC2:TGID_Y_EN: 0
; COMPUTE_PGM_RSRC2:TGID_Z_EN: 0
; COMPUTE_PGM_RSRC2:TIDIG_COMP_CNT: 0
	.section	.text._ZN7rocprim17ROCPRIM_400000_NS6detail17trampoline_kernelINS0_14default_configENS1_27scan_by_key_config_selectorIssEEZZNS1_16scan_by_key_implILNS1_25lookback_scan_determinismE0ELb1ES3_N6thrust23THRUST_200600_302600_NS6detail15normal_iteratorINS9_10device_ptrIsEEEESE_SE_sNS9_10multipliesIsEENS9_8equal_toIsEEsEE10hipError_tPvRmT2_T3_T4_T5_mT6_T7_P12ihipStream_tbENKUlT_T0_E_clISt17integral_constantIbLb1EESZ_EEDaSU_SV_EUlSU_E_NS1_11comp_targetILNS1_3genE5ELNS1_11target_archE942ELNS1_3gpuE9ELNS1_3repE0EEENS1_30default_config_static_selectorELNS0_4arch9wavefront6targetE0EEEvT1_,"axG",@progbits,_ZN7rocprim17ROCPRIM_400000_NS6detail17trampoline_kernelINS0_14default_configENS1_27scan_by_key_config_selectorIssEEZZNS1_16scan_by_key_implILNS1_25lookback_scan_determinismE0ELb1ES3_N6thrust23THRUST_200600_302600_NS6detail15normal_iteratorINS9_10device_ptrIsEEEESE_SE_sNS9_10multipliesIsEENS9_8equal_toIsEEsEE10hipError_tPvRmT2_T3_T4_T5_mT6_T7_P12ihipStream_tbENKUlT_T0_E_clISt17integral_constantIbLb1EESZ_EEDaSU_SV_EUlSU_E_NS1_11comp_targetILNS1_3genE5ELNS1_11target_archE942ELNS1_3gpuE9ELNS1_3repE0EEENS1_30default_config_static_selectorELNS0_4arch9wavefront6targetE0EEEvT1_,comdat
	.protected	_ZN7rocprim17ROCPRIM_400000_NS6detail17trampoline_kernelINS0_14default_configENS1_27scan_by_key_config_selectorIssEEZZNS1_16scan_by_key_implILNS1_25lookback_scan_determinismE0ELb1ES3_N6thrust23THRUST_200600_302600_NS6detail15normal_iteratorINS9_10device_ptrIsEEEESE_SE_sNS9_10multipliesIsEENS9_8equal_toIsEEsEE10hipError_tPvRmT2_T3_T4_T5_mT6_T7_P12ihipStream_tbENKUlT_T0_E_clISt17integral_constantIbLb1EESZ_EEDaSU_SV_EUlSU_E_NS1_11comp_targetILNS1_3genE5ELNS1_11target_archE942ELNS1_3gpuE9ELNS1_3repE0EEENS1_30default_config_static_selectorELNS0_4arch9wavefront6targetE0EEEvT1_ ; -- Begin function _ZN7rocprim17ROCPRIM_400000_NS6detail17trampoline_kernelINS0_14default_configENS1_27scan_by_key_config_selectorIssEEZZNS1_16scan_by_key_implILNS1_25lookback_scan_determinismE0ELb1ES3_N6thrust23THRUST_200600_302600_NS6detail15normal_iteratorINS9_10device_ptrIsEEEESE_SE_sNS9_10multipliesIsEENS9_8equal_toIsEEsEE10hipError_tPvRmT2_T3_T4_T5_mT6_T7_P12ihipStream_tbENKUlT_T0_E_clISt17integral_constantIbLb1EESZ_EEDaSU_SV_EUlSU_E_NS1_11comp_targetILNS1_3genE5ELNS1_11target_archE942ELNS1_3gpuE9ELNS1_3repE0EEENS1_30default_config_static_selectorELNS0_4arch9wavefront6targetE0EEEvT1_
	.globl	_ZN7rocprim17ROCPRIM_400000_NS6detail17trampoline_kernelINS0_14default_configENS1_27scan_by_key_config_selectorIssEEZZNS1_16scan_by_key_implILNS1_25lookback_scan_determinismE0ELb1ES3_N6thrust23THRUST_200600_302600_NS6detail15normal_iteratorINS9_10device_ptrIsEEEESE_SE_sNS9_10multipliesIsEENS9_8equal_toIsEEsEE10hipError_tPvRmT2_T3_T4_T5_mT6_T7_P12ihipStream_tbENKUlT_T0_E_clISt17integral_constantIbLb1EESZ_EEDaSU_SV_EUlSU_E_NS1_11comp_targetILNS1_3genE5ELNS1_11target_archE942ELNS1_3gpuE9ELNS1_3repE0EEENS1_30default_config_static_selectorELNS0_4arch9wavefront6targetE0EEEvT1_
	.p2align	8
	.type	_ZN7rocprim17ROCPRIM_400000_NS6detail17trampoline_kernelINS0_14default_configENS1_27scan_by_key_config_selectorIssEEZZNS1_16scan_by_key_implILNS1_25lookback_scan_determinismE0ELb1ES3_N6thrust23THRUST_200600_302600_NS6detail15normal_iteratorINS9_10device_ptrIsEEEESE_SE_sNS9_10multipliesIsEENS9_8equal_toIsEEsEE10hipError_tPvRmT2_T3_T4_T5_mT6_T7_P12ihipStream_tbENKUlT_T0_E_clISt17integral_constantIbLb1EESZ_EEDaSU_SV_EUlSU_E_NS1_11comp_targetILNS1_3genE5ELNS1_11target_archE942ELNS1_3gpuE9ELNS1_3repE0EEENS1_30default_config_static_selectorELNS0_4arch9wavefront6targetE0EEEvT1_,@function
_ZN7rocprim17ROCPRIM_400000_NS6detail17trampoline_kernelINS0_14default_configENS1_27scan_by_key_config_selectorIssEEZZNS1_16scan_by_key_implILNS1_25lookback_scan_determinismE0ELb1ES3_N6thrust23THRUST_200600_302600_NS6detail15normal_iteratorINS9_10device_ptrIsEEEESE_SE_sNS9_10multipliesIsEENS9_8equal_toIsEEsEE10hipError_tPvRmT2_T3_T4_T5_mT6_T7_P12ihipStream_tbENKUlT_T0_E_clISt17integral_constantIbLb1EESZ_EEDaSU_SV_EUlSU_E_NS1_11comp_targetILNS1_3genE5ELNS1_11target_archE942ELNS1_3gpuE9ELNS1_3repE0EEENS1_30default_config_static_selectorELNS0_4arch9wavefront6targetE0EEEvT1_: ; @_ZN7rocprim17ROCPRIM_400000_NS6detail17trampoline_kernelINS0_14default_configENS1_27scan_by_key_config_selectorIssEEZZNS1_16scan_by_key_implILNS1_25lookback_scan_determinismE0ELb1ES3_N6thrust23THRUST_200600_302600_NS6detail15normal_iteratorINS9_10device_ptrIsEEEESE_SE_sNS9_10multipliesIsEENS9_8equal_toIsEEsEE10hipError_tPvRmT2_T3_T4_T5_mT6_T7_P12ihipStream_tbENKUlT_T0_E_clISt17integral_constantIbLb1EESZ_EEDaSU_SV_EUlSU_E_NS1_11comp_targetILNS1_3genE5ELNS1_11target_archE942ELNS1_3gpuE9ELNS1_3repE0EEENS1_30default_config_static_selectorELNS0_4arch9wavefront6targetE0EEEvT1_
; %bb.0:
	.section	.rodata,"a",@progbits
	.p2align	6, 0x0
	.amdhsa_kernel _ZN7rocprim17ROCPRIM_400000_NS6detail17trampoline_kernelINS0_14default_configENS1_27scan_by_key_config_selectorIssEEZZNS1_16scan_by_key_implILNS1_25lookback_scan_determinismE0ELb1ES3_N6thrust23THRUST_200600_302600_NS6detail15normal_iteratorINS9_10device_ptrIsEEEESE_SE_sNS9_10multipliesIsEENS9_8equal_toIsEEsEE10hipError_tPvRmT2_T3_T4_T5_mT6_T7_P12ihipStream_tbENKUlT_T0_E_clISt17integral_constantIbLb1EESZ_EEDaSU_SV_EUlSU_E_NS1_11comp_targetILNS1_3genE5ELNS1_11target_archE942ELNS1_3gpuE9ELNS1_3repE0EEENS1_30default_config_static_selectorELNS0_4arch9wavefront6targetE0EEEvT1_
		.amdhsa_group_segment_fixed_size 0
		.amdhsa_private_segment_fixed_size 0
		.amdhsa_kernarg_size 112
		.amdhsa_user_sgpr_count 2
		.amdhsa_user_sgpr_dispatch_ptr 0
		.amdhsa_user_sgpr_queue_ptr 0
		.amdhsa_user_sgpr_kernarg_segment_ptr 1
		.amdhsa_user_sgpr_dispatch_id 0
		.amdhsa_user_sgpr_kernarg_preload_length 0
		.amdhsa_user_sgpr_kernarg_preload_offset 0
		.amdhsa_user_sgpr_private_segment_size 0
		.amdhsa_wavefront_size32 1
		.amdhsa_uses_dynamic_stack 0
		.amdhsa_enable_private_segment 0
		.amdhsa_system_sgpr_workgroup_id_x 1
		.amdhsa_system_sgpr_workgroup_id_y 0
		.amdhsa_system_sgpr_workgroup_id_z 0
		.amdhsa_system_sgpr_workgroup_info 0
		.amdhsa_system_vgpr_workitem_id 0
		.amdhsa_next_free_vgpr 1
		.amdhsa_next_free_sgpr 1
		.amdhsa_named_barrier_count 0
		.amdhsa_reserve_vcc 0
		.amdhsa_float_round_mode_32 0
		.amdhsa_float_round_mode_16_64 0
		.amdhsa_float_denorm_mode_32 3
		.amdhsa_float_denorm_mode_16_64 3
		.amdhsa_fp16_overflow 0
		.amdhsa_memory_ordered 1
		.amdhsa_forward_progress 1
		.amdhsa_inst_pref_size 0
		.amdhsa_round_robin_scheduling 0
		.amdhsa_exception_fp_ieee_invalid_op 0
		.amdhsa_exception_fp_denorm_src 0
		.amdhsa_exception_fp_ieee_div_zero 0
		.amdhsa_exception_fp_ieee_overflow 0
		.amdhsa_exception_fp_ieee_underflow 0
		.amdhsa_exception_fp_ieee_inexact 0
		.amdhsa_exception_int_div_zero 0
	.end_amdhsa_kernel
	.section	.text._ZN7rocprim17ROCPRIM_400000_NS6detail17trampoline_kernelINS0_14default_configENS1_27scan_by_key_config_selectorIssEEZZNS1_16scan_by_key_implILNS1_25lookback_scan_determinismE0ELb1ES3_N6thrust23THRUST_200600_302600_NS6detail15normal_iteratorINS9_10device_ptrIsEEEESE_SE_sNS9_10multipliesIsEENS9_8equal_toIsEEsEE10hipError_tPvRmT2_T3_T4_T5_mT6_T7_P12ihipStream_tbENKUlT_T0_E_clISt17integral_constantIbLb1EESZ_EEDaSU_SV_EUlSU_E_NS1_11comp_targetILNS1_3genE5ELNS1_11target_archE942ELNS1_3gpuE9ELNS1_3repE0EEENS1_30default_config_static_selectorELNS0_4arch9wavefront6targetE0EEEvT1_,"axG",@progbits,_ZN7rocprim17ROCPRIM_400000_NS6detail17trampoline_kernelINS0_14default_configENS1_27scan_by_key_config_selectorIssEEZZNS1_16scan_by_key_implILNS1_25lookback_scan_determinismE0ELb1ES3_N6thrust23THRUST_200600_302600_NS6detail15normal_iteratorINS9_10device_ptrIsEEEESE_SE_sNS9_10multipliesIsEENS9_8equal_toIsEEsEE10hipError_tPvRmT2_T3_T4_T5_mT6_T7_P12ihipStream_tbENKUlT_T0_E_clISt17integral_constantIbLb1EESZ_EEDaSU_SV_EUlSU_E_NS1_11comp_targetILNS1_3genE5ELNS1_11target_archE942ELNS1_3gpuE9ELNS1_3repE0EEENS1_30default_config_static_selectorELNS0_4arch9wavefront6targetE0EEEvT1_,comdat
.Lfunc_end616:
	.size	_ZN7rocprim17ROCPRIM_400000_NS6detail17trampoline_kernelINS0_14default_configENS1_27scan_by_key_config_selectorIssEEZZNS1_16scan_by_key_implILNS1_25lookback_scan_determinismE0ELb1ES3_N6thrust23THRUST_200600_302600_NS6detail15normal_iteratorINS9_10device_ptrIsEEEESE_SE_sNS9_10multipliesIsEENS9_8equal_toIsEEsEE10hipError_tPvRmT2_T3_T4_T5_mT6_T7_P12ihipStream_tbENKUlT_T0_E_clISt17integral_constantIbLb1EESZ_EEDaSU_SV_EUlSU_E_NS1_11comp_targetILNS1_3genE5ELNS1_11target_archE942ELNS1_3gpuE9ELNS1_3repE0EEENS1_30default_config_static_selectorELNS0_4arch9wavefront6targetE0EEEvT1_, .Lfunc_end616-_ZN7rocprim17ROCPRIM_400000_NS6detail17trampoline_kernelINS0_14default_configENS1_27scan_by_key_config_selectorIssEEZZNS1_16scan_by_key_implILNS1_25lookback_scan_determinismE0ELb1ES3_N6thrust23THRUST_200600_302600_NS6detail15normal_iteratorINS9_10device_ptrIsEEEESE_SE_sNS9_10multipliesIsEENS9_8equal_toIsEEsEE10hipError_tPvRmT2_T3_T4_T5_mT6_T7_P12ihipStream_tbENKUlT_T0_E_clISt17integral_constantIbLb1EESZ_EEDaSU_SV_EUlSU_E_NS1_11comp_targetILNS1_3genE5ELNS1_11target_archE942ELNS1_3gpuE9ELNS1_3repE0EEENS1_30default_config_static_selectorELNS0_4arch9wavefront6targetE0EEEvT1_
                                        ; -- End function
	.set _ZN7rocprim17ROCPRIM_400000_NS6detail17trampoline_kernelINS0_14default_configENS1_27scan_by_key_config_selectorIssEEZZNS1_16scan_by_key_implILNS1_25lookback_scan_determinismE0ELb1ES3_N6thrust23THRUST_200600_302600_NS6detail15normal_iteratorINS9_10device_ptrIsEEEESE_SE_sNS9_10multipliesIsEENS9_8equal_toIsEEsEE10hipError_tPvRmT2_T3_T4_T5_mT6_T7_P12ihipStream_tbENKUlT_T0_E_clISt17integral_constantIbLb1EESZ_EEDaSU_SV_EUlSU_E_NS1_11comp_targetILNS1_3genE5ELNS1_11target_archE942ELNS1_3gpuE9ELNS1_3repE0EEENS1_30default_config_static_selectorELNS0_4arch9wavefront6targetE0EEEvT1_.num_vgpr, 0
	.set _ZN7rocprim17ROCPRIM_400000_NS6detail17trampoline_kernelINS0_14default_configENS1_27scan_by_key_config_selectorIssEEZZNS1_16scan_by_key_implILNS1_25lookback_scan_determinismE0ELb1ES3_N6thrust23THRUST_200600_302600_NS6detail15normal_iteratorINS9_10device_ptrIsEEEESE_SE_sNS9_10multipliesIsEENS9_8equal_toIsEEsEE10hipError_tPvRmT2_T3_T4_T5_mT6_T7_P12ihipStream_tbENKUlT_T0_E_clISt17integral_constantIbLb1EESZ_EEDaSU_SV_EUlSU_E_NS1_11comp_targetILNS1_3genE5ELNS1_11target_archE942ELNS1_3gpuE9ELNS1_3repE0EEENS1_30default_config_static_selectorELNS0_4arch9wavefront6targetE0EEEvT1_.num_agpr, 0
	.set _ZN7rocprim17ROCPRIM_400000_NS6detail17trampoline_kernelINS0_14default_configENS1_27scan_by_key_config_selectorIssEEZZNS1_16scan_by_key_implILNS1_25lookback_scan_determinismE0ELb1ES3_N6thrust23THRUST_200600_302600_NS6detail15normal_iteratorINS9_10device_ptrIsEEEESE_SE_sNS9_10multipliesIsEENS9_8equal_toIsEEsEE10hipError_tPvRmT2_T3_T4_T5_mT6_T7_P12ihipStream_tbENKUlT_T0_E_clISt17integral_constantIbLb1EESZ_EEDaSU_SV_EUlSU_E_NS1_11comp_targetILNS1_3genE5ELNS1_11target_archE942ELNS1_3gpuE9ELNS1_3repE0EEENS1_30default_config_static_selectorELNS0_4arch9wavefront6targetE0EEEvT1_.numbered_sgpr, 0
	.set _ZN7rocprim17ROCPRIM_400000_NS6detail17trampoline_kernelINS0_14default_configENS1_27scan_by_key_config_selectorIssEEZZNS1_16scan_by_key_implILNS1_25lookback_scan_determinismE0ELb1ES3_N6thrust23THRUST_200600_302600_NS6detail15normal_iteratorINS9_10device_ptrIsEEEESE_SE_sNS9_10multipliesIsEENS9_8equal_toIsEEsEE10hipError_tPvRmT2_T3_T4_T5_mT6_T7_P12ihipStream_tbENKUlT_T0_E_clISt17integral_constantIbLb1EESZ_EEDaSU_SV_EUlSU_E_NS1_11comp_targetILNS1_3genE5ELNS1_11target_archE942ELNS1_3gpuE9ELNS1_3repE0EEENS1_30default_config_static_selectorELNS0_4arch9wavefront6targetE0EEEvT1_.num_named_barrier, 0
	.set _ZN7rocprim17ROCPRIM_400000_NS6detail17trampoline_kernelINS0_14default_configENS1_27scan_by_key_config_selectorIssEEZZNS1_16scan_by_key_implILNS1_25lookback_scan_determinismE0ELb1ES3_N6thrust23THRUST_200600_302600_NS6detail15normal_iteratorINS9_10device_ptrIsEEEESE_SE_sNS9_10multipliesIsEENS9_8equal_toIsEEsEE10hipError_tPvRmT2_T3_T4_T5_mT6_T7_P12ihipStream_tbENKUlT_T0_E_clISt17integral_constantIbLb1EESZ_EEDaSU_SV_EUlSU_E_NS1_11comp_targetILNS1_3genE5ELNS1_11target_archE942ELNS1_3gpuE9ELNS1_3repE0EEENS1_30default_config_static_selectorELNS0_4arch9wavefront6targetE0EEEvT1_.private_seg_size, 0
	.set _ZN7rocprim17ROCPRIM_400000_NS6detail17trampoline_kernelINS0_14default_configENS1_27scan_by_key_config_selectorIssEEZZNS1_16scan_by_key_implILNS1_25lookback_scan_determinismE0ELb1ES3_N6thrust23THRUST_200600_302600_NS6detail15normal_iteratorINS9_10device_ptrIsEEEESE_SE_sNS9_10multipliesIsEENS9_8equal_toIsEEsEE10hipError_tPvRmT2_T3_T4_T5_mT6_T7_P12ihipStream_tbENKUlT_T0_E_clISt17integral_constantIbLb1EESZ_EEDaSU_SV_EUlSU_E_NS1_11comp_targetILNS1_3genE5ELNS1_11target_archE942ELNS1_3gpuE9ELNS1_3repE0EEENS1_30default_config_static_selectorELNS0_4arch9wavefront6targetE0EEEvT1_.uses_vcc, 0
	.set _ZN7rocprim17ROCPRIM_400000_NS6detail17trampoline_kernelINS0_14default_configENS1_27scan_by_key_config_selectorIssEEZZNS1_16scan_by_key_implILNS1_25lookback_scan_determinismE0ELb1ES3_N6thrust23THRUST_200600_302600_NS6detail15normal_iteratorINS9_10device_ptrIsEEEESE_SE_sNS9_10multipliesIsEENS9_8equal_toIsEEsEE10hipError_tPvRmT2_T3_T4_T5_mT6_T7_P12ihipStream_tbENKUlT_T0_E_clISt17integral_constantIbLb1EESZ_EEDaSU_SV_EUlSU_E_NS1_11comp_targetILNS1_3genE5ELNS1_11target_archE942ELNS1_3gpuE9ELNS1_3repE0EEENS1_30default_config_static_selectorELNS0_4arch9wavefront6targetE0EEEvT1_.uses_flat_scratch, 0
	.set _ZN7rocprim17ROCPRIM_400000_NS6detail17trampoline_kernelINS0_14default_configENS1_27scan_by_key_config_selectorIssEEZZNS1_16scan_by_key_implILNS1_25lookback_scan_determinismE0ELb1ES3_N6thrust23THRUST_200600_302600_NS6detail15normal_iteratorINS9_10device_ptrIsEEEESE_SE_sNS9_10multipliesIsEENS9_8equal_toIsEEsEE10hipError_tPvRmT2_T3_T4_T5_mT6_T7_P12ihipStream_tbENKUlT_T0_E_clISt17integral_constantIbLb1EESZ_EEDaSU_SV_EUlSU_E_NS1_11comp_targetILNS1_3genE5ELNS1_11target_archE942ELNS1_3gpuE9ELNS1_3repE0EEENS1_30default_config_static_selectorELNS0_4arch9wavefront6targetE0EEEvT1_.has_dyn_sized_stack, 0
	.set _ZN7rocprim17ROCPRIM_400000_NS6detail17trampoline_kernelINS0_14default_configENS1_27scan_by_key_config_selectorIssEEZZNS1_16scan_by_key_implILNS1_25lookback_scan_determinismE0ELb1ES3_N6thrust23THRUST_200600_302600_NS6detail15normal_iteratorINS9_10device_ptrIsEEEESE_SE_sNS9_10multipliesIsEENS9_8equal_toIsEEsEE10hipError_tPvRmT2_T3_T4_T5_mT6_T7_P12ihipStream_tbENKUlT_T0_E_clISt17integral_constantIbLb1EESZ_EEDaSU_SV_EUlSU_E_NS1_11comp_targetILNS1_3genE5ELNS1_11target_archE942ELNS1_3gpuE9ELNS1_3repE0EEENS1_30default_config_static_selectorELNS0_4arch9wavefront6targetE0EEEvT1_.has_recursion, 0
	.set _ZN7rocprim17ROCPRIM_400000_NS6detail17trampoline_kernelINS0_14default_configENS1_27scan_by_key_config_selectorIssEEZZNS1_16scan_by_key_implILNS1_25lookback_scan_determinismE0ELb1ES3_N6thrust23THRUST_200600_302600_NS6detail15normal_iteratorINS9_10device_ptrIsEEEESE_SE_sNS9_10multipliesIsEENS9_8equal_toIsEEsEE10hipError_tPvRmT2_T3_T4_T5_mT6_T7_P12ihipStream_tbENKUlT_T0_E_clISt17integral_constantIbLb1EESZ_EEDaSU_SV_EUlSU_E_NS1_11comp_targetILNS1_3genE5ELNS1_11target_archE942ELNS1_3gpuE9ELNS1_3repE0EEENS1_30default_config_static_selectorELNS0_4arch9wavefront6targetE0EEEvT1_.has_indirect_call, 0
	.section	.AMDGPU.csdata,"",@progbits
; Kernel info:
; codeLenInByte = 0
; TotalNumSgprs: 0
; NumVgprs: 0
; ScratchSize: 0
; MemoryBound: 0
; FloatMode: 240
; IeeeMode: 1
; LDSByteSize: 0 bytes/workgroup (compile time only)
; SGPRBlocks: 0
; VGPRBlocks: 0
; NumSGPRsForWavesPerEU: 1
; NumVGPRsForWavesPerEU: 1
; NamedBarCnt: 0
; Occupancy: 16
; WaveLimiterHint : 0
; COMPUTE_PGM_RSRC2:SCRATCH_EN: 0
; COMPUTE_PGM_RSRC2:USER_SGPR: 2
; COMPUTE_PGM_RSRC2:TRAP_HANDLER: 0
; COMPUTE_PGM_RSRC2:TGID_X_EN: 1
; COMPUTE_PGM_RSRC2:TGID_Y_EN: 0
; COMPUTE_PGM_RSRC2:TGID_Z_EN: 0
; COMPUTE_PGM_RSRC2:TIDIG_COMP_CNT: 0
	.section	.text._ZN7rocprim17ROCPRIM_400000_NS6detail17trampoline_kernelINS0_14default_configENS1_27scan_by_key_config_selectorIssEEZZNS1_16scan_by_key_implILNS1_25lookback_scan_determinismE0ELb1ES3_N6thrust23THRUST_200600_302600_NS6detail15normal_iteratorINS9_10device_ptrIsEEEESE_SE_sNS9_10multipliesIsEENS9_8equal_toIsEEsEE10hipError_tPvRmT2_T3_T4_T5_mT6_T7_P12ihipStream_tbENKUlT_T0_E_clISt17integral_constantIbLb1EESZ_EEDaSU_SV_EUlSU_E_NS1_11comp_targetILNS1_3genE4ELNS1_11target_archE910ELNS1_3gpuE8ELNS1_3repE0EEENS1_30default_config_static_selectorELNS0_4arch9wavefront6targetE0EEEvT1_,"axG",@progbits,_ZN7rocprim17ROCPRIM_400000_NS6detail17trampoline_kernelINS0_14default_configENS1_27scan_by_key_config_selectorIssEEZZNS1_16scan_by_key_implILNS1_25lookback_scan_determinismE0ELb1ES3_N6thrust23THRUST_200600_302600_NS6detail15normal_iteratorINS9_10device_ptrIsEEEESE_SE_sNS9_10multipliesIsEENS9_8equal_toIsEEsEE10hipError_tPvRmT2_T3_T4_T5_mT6_T7_P12ihipStream_tbENKUlT_T0_E_clISt17integral_constantIbLb1EESZ_EEDaSU_SV_EUlSU_E_NS1_11comp_targetILNS1_3genE4ELNS1_11target_archE910ELNS1_3gpuE8ELNS1_3repE0EEENS1_30default_config_static_selectorELNS0_4arch9wavefront6targetE0EEEvT1_,comdat
	.protected	_ZN7rocprim17ROCPRIM_400000_NS6detail17trampoline_kernelINS0_14default_configENS1_27scan_by_key_config_selectorIssEEZZNS1_16scan_by_key_implILNS1_25lookback_scan_determinismE0ELb1ES3_N6thrust23THRUST_200600_302600_NS6detail15normal_iteratorINS9_10device_ptrIsEEEESE_SE_sNS9_10multipliesIsEENS9_8equal_toIsEEsEE10hipError_tPvRmT2_T3_T4_T5_mT6_T7_P12ihipStream_tbENKUlT_T0_E_clISt17integral_constantIbLb1EESZ_EEDaSU_SV_EUlSU_E_NS1_11comp_targetILNS1_3genE4ELNS1_11target_archE910ELNS1_3gpuE8ELNS1_3repE0EEENS1_30default_config_static_selectorELNS0_4arch9wavefront6targetE0EEEvT1_ ; -- Begin function _ZN7rocprim17ROCPRIM_400000_NS6detail17trampoline_kernelINS0_14default_configENS1_27scan_by_key_config_selectorIssEEZZNS1_16scan_by_key_implILNS1_25lookback_scan_determinismE0ELb1ES3_N6thrust23THRUST_200600_302600_NS6detail15normal_iteratorINS9_10device_ptrIsEEEESE_SE_sNS9_10multipliesIsEENS9_8equal_toIsEEsEE10hipError_tPvRmT2_T3_T4_T5_mT6_T7_P12ihipStream_tbENKUlT_T0_E_clISt17integral_constantIbLb1EESZ_EEDaSU_SV_EUlSU_E_NS1_11comp_targetILNS1_3genE4ELNS1_11target_archE910ELNS1_3gpuE8ELNS1_3repE0EEENS1_30default_config_static_selectorELNS0_4arch9wavefront6targetE0EEEvT1_
	.globl	_ZN7rocprim17ROCPRIM_400000_NS6detail17trampoline_kernelINS0_14default_configENS1_27scan_by_key_config_selectorIssEEZZNS1_16scan_by_key_implILNS1_25lookback_scan_determinismE0ELb1ES3_N6thrust23THRUST_200600_302600_NS6detail15normal_iteratorINS9_10device_ptrIsEEEESE_SE_sNS9_10multipliesIsEENS9_8equal_toIsEEsEE10hipError_tPvRmT2_T3_T4_T5_mT6_T7_P12ihipStream_tbENKUlT_T0_E_clISt17integral_constantIbLb1EESZ_EEDaSU_SV_EUlSU_E_NS1_11comp_targetILNS1_3genE4ELNS1_11target_archE910ELNS1_3gpuE8ELNS1_3repE0EEENS1_30default_config_static_selectorELNS0_4arch9wavefront6targetE0EEEvT1_
	.p2align	8
	.type	_ZN7rocprim17ROCPRIM_400000_NS6detail17trampoline_kernelINS0_14default_configENS1_27scan_by_key_config_selectorIssEEZZNS1_16scan_by_key_implILNS1_25lookback_scan_determinismE0ELb1ES3_N6thrust23THRUST_200600_302600_NS6detail15normal_iteratorINS9_10device_ptrIsEEEESE_SE_sNS9_10multipliesIsEENS9_8equal_toIsEEsEE10hipError_tPvRmT2_T3_T4_T5_mT6_T7_P12ihipStream_tbENKUlT_T0_E_clISt17integral_constantIbLb1EESZ_EEDaSU_SV_EUlSU_E_NS1_11comp_targetILNS1_3genE4ELNS1_11target_archE910ELNS1_3gpuE8ELNS1_3repE0EEENS1_30default_config_static_selectorELNS0_4arch9wavefront6targetE0EEEvT1_,@function
_ZN7rocprim17ROCPRIM_400000_NS6detail17trampoline_kernelINS0_14default_configENS1_27scan_by_key_config_selectorIssEEZZNS1_16scan_by_key_implILNS1_25lookback_scan_determinismE0ELb1ES3_N6thrust23THRUST_200600_302600_NS6detail15normal_iteratorINS9_10device_ptrIsEEEESE_SE_sNS9_10multipliesIsEENS9_8equal_toIsEEsEE10hipError_tPvRmT2_T3_T4_T5_mT6_T7_P12ihipStream_tbENKUlT_T0_E_clISt17integral_constantIbLb1EESZ_EEDaSU_SV_EUlSU_E_NS1_11comp_targetILNS1_3genE4ELNS1_11target_archE910ELNS1_3gpuE8ELNS1_3repE0EEENS1_30default_config_static_selectorELNS0_4arch9wavefront6targetE0EEEvT1_: ; @_ZN7rocprim17ROCPRIM_400000_NS6detail17trampoline_kernelINS0_14default_configENS1_27scan_by_key_config_selectorIssEEZZNS1_16scan_by_key_implILNS1_25lookback_scan_determinismE0ELb1ES3_N6thrust23THRUST_200600_302600_NS6detail15normal_iteratorINS9_10device_ptrIsEEEESE_SE_sNS9_10multipliesIsEENS9_8equal_toIsEEsEE10hipError_tPvRmT2_T3_T4_T5_mT6_T7_P12ihipStream_tbENKUlT_T0_E_clISt17integral_constantIbLb1EESZ_EEDaSU_SV_EUlSU_E_NS1_11comp_targetILNS1_3genE4ELNS1_11target_archE910ELNS1_3gpuE8ELNS1_3repE0EEENS1_30default_config_static_selectorELNS0_4arch9wavefront6targetE0EEEvT1_
; %bb.0:
	.section	.rodata,"a",@progbits
	.p2align	6, 0x0
	.amdhsa_kernel _ZN7rocprim17ROCPRIM_400000_NS6detail17trampoline_kernelINS0_14default_configENS1_27scan_by_key_config_selectorIssEEZZNS1_16scan_by_key_implILNS1_25lookback_scan_determinismE0ELb1ES3_N6thrust23THRUST_200600_302600_NS6detail15normal_iteratorINS9_10device_ptrIsEEEESE_SE_sNS9_10multipliesIsEENS9_8equal_toIsEEsEE10hipError_tPvRmT2_T3_T4_T5_mT6_T7_P12ihipStream_tbENKUlT_T0_E_clISt17integral_constantIbLb1EESZ_EEDaSU_SV_EUlSU_E_NS1_11comp_targetILNS1_3genE4ELNS1_11target_archE910ELNS1_3gpuE8ELNS1_3repE0EEENS1_30default_config_static_selectorELNS0_4arch9wavefront6targetE0EEEvT1_
		.amdhsa_group_segment_fixed_size 0
		.amdhsa_private_segment_fixed_size 0
		.amdhsa_kernarg_size 112
		.amdhsa_user_sgpr_count 2
		.amdhsa_user_sgpr_dispatch_ptr 0
		.amdhsa_user_sgpr_queue_ptr 0
		.amdhsa_user_sgpr_kernarg_segment_ptr 1
		.amdhsa_user_sgpr_dispatch_id 0
		.amdhsa_user_sgpr_kernarg_preload_length 0
		.amdhsa_user_sgpr_kernarg_preload_offset 0
		.amdhsa_user_sgpr_private_segment_size 0
		.amdhsa_wavefront_size32 1
		.amdhsa_uses_dynamic_stack 0
		.amdhsa_enable_private_segment 0
		.amdhsa_system_sgpr_workgroup_id_x 1
		.amdhsa_system_sgpr_workgroup_id_y 0
		.amdhsa_system_sgpr_workgroup_id_z 0
		.amdhsa_system_sgpr_workgroup_info 0
		.amdhsa_system_vgpr_workitem_id 0
		.amdhsa_next_free_vgpr 1
		.amdhsa_next_free_sgpr 1
		.amdhsa_named_barrier_count 0
		.amdhsa_reserve_vcc 0
		.amdhsa_float_round_mode_32 0
		.amdhsa_float_round_mode_16_64 0
		.amdhsa_float_denorm_mode_32 3
		.amdhsa_float_denorm_mode_16_64 3
		.amdhsa_fp16_overflow 0
		.amdhsa_memory_ordered 1
		.amdhsa_forward_progress 1
		.amdhsa_inst_pref_size 0
		.amdhsa_round_robin_scheduling 0
		.amdhsa_exception_fp_ieee_invalid_op 0
		.amdhsa_exception_fp_denorm_src 0
		.amdhsa_exception_fp_ieee_div_zero 0
		.amdhsa_exception_fp_ieee_overflow 0
		.amdhsa_exception_fp_ieee_underflow 0
		.amdhsa_exception_fp_ieee_inexact 0
		.amdhsa_exception_int_div_zero 0
	.end_amdhsa_kernel
	.section	.text._ZN7rocprim17ROCPRIM_400000_NS6detail17trampoline_kernelINS0_14default_configENS1_27scan_by_key_config_selectorIssEEZZNS1_16scan_by_key_implILNS1_25lookback_scan_determinismE0ELb1ES3_N6thrust23THRUST_200600_302600_NS6detail15normal_iteratorINS9_10device_ptrIsEEEESE_SE_sNS9_10multipliesIsEENS9_8equal_toIsEEsEE10hipError_tPvRmT2_T3_T4_T5_mT6_T7_P12ihipStream_tbENKUlT_T0_E_clISt17integral_constantIbLb1EESZ_EEDaSU_SV_EUlSU_E_NS1_11comp_targetILNS1_3genE4ELNS1_11target_archE910ELNS1_3gpuE8ELNS1_3repE0EEENS1_30default_config_static_selectorELNS0_4arch9wavefront6targetE0EEEvT1_,"axG",@progbits,_ZN7rocprim17ROCPRIM_400000_NS6detail17trampoline_kernelINS0_14default_configENS1_27scan_by_key_config_selectorIssEEZZNS1_16scan_by_key_implILNS1_25lookback_scan_determinismE0ELb1ES3_N6thrust23THRUST_200600_302600_NS6detail15normal_iteratorINS9_10device_ptrIsEEEESE_SE_sNS9_10multipliesIsEENS9_8equal_toIsEEsEE10hipError_tPvRmT2_T3_T4_T5_mT6_T7_P12ihipStream_tbENKUlT_T0_E_clISt17integral_constantIbLb1EESZ_EEDaSU_SV_EUlSU_E_NS1_11comp_targetILNS1_3genE4ELNS1_11target_archE910ELNS1_3gpuE8ELNS1_3repE0EEENS1_30default_config_static_selectorELNS0_4arch9wavefront6targetE0EEEvT1_,comdat
.Lfunc_end617:
	.size	_ZN7rocprim17ROCPRIM_400000_NS6detail17trampoline_kernelINS0_14default_configENS1_27scan_by_key_config_selectorIssEEZZNS1_16scan_by_key_implILNS1_25lookback_scan_determinismE0ELb1ES3_N6thrust23THRUST_200600_302600_NS6detail15normal_iteratorINS9_10device_ptrIsEEEESE_SE_sNS9_10multipliesIsEENS9_8equal_toIsEEsEE10hipError_tPvRmT2_T3_T4_T5_mT6_T7_P12ihipStream_tbENKUlT_T0_E_clISt17integral_constantIbLb1EESZ_EEDaSU_SV_EUlSU_E_NS1_11comp_targetILNS1_3genE4ELNS1_11target_archE910ELNS1_3gpuE8ELNS1_3repE0EEENS1_30default_config_static_selectorELNS0_4arch9wavefront6targetE0EEEvT1_, .Lfunc_end617-_ZN7rocprim17ROCPRIM_400000_NS6detail17trampoline_kernelINS0_14default_configENS1_27scan_by_key_config_selectorIssEEZZNS1_16scan_by_key_implILNS1_25lookback_scan_determinismE0ELb1ES3_N6thrust23THRUST_200600_302600_NS6detail15normal_iteratorINS9_10device_ptrIsEEEESE_SE_sNS9_10multipliesIsEENS9_8equal_toIsEEsEE10hipError_tPvRmT2_T3_T4_T5_mT6_T7_P12ihipStream_tbENKUlT_T0_E_clISt17integral_constantIbLb1EESZ_EEDaSU_SV_EUlSU_E_NS1_11comp_targetILNS1_3genE4ELNS1_11target_archE910ELNS1_3gpuE8ELNS1_3repE0EEENS1_30default_config_static_selectorELNS0_4arch9wavefront6targetE0EEEvT1_
                                        ; -- End function
	.set _ZN7rocprim17ROCPRIM_400000_NS6detail17trampoline_kernelINS0_14default_configENS1_27scan_by_key_config_selectorIssEEZZNS1_16scan_by_key_implILNS1_25lookback_scan_determinismE0ELb1ES3_N6thrust23THRUST_200600_302600_NS6detail15normal_iteratorINS9_10device_ptrIsEEEESE_SE_sNS9_10multipliesIsEENS9_8equal_toIsEEsEE10hipError_tPvRmT2_T3_T4_T5_mT6_T7_P12ihipStream_tbENKUlT_T0_E_clISt17integral_constantIbLb1EESZ_EEDaSU_SV_EUlSU_E_NS1_11comp_targetILNS1_3genE4ELNS1_11target_archE910ELNS1_3gpuE8ELNS1_3repE0EEENS1_30default_config_static_selectorELNS0_4arch9wavefront6targetE0EEEvT1_.num_vgpr, 0
	.set _ZN7rocprim17ROCPRIM_400000_NS6detail17trampoline_kernelINS0_14default_configENS1_27scan_by_key_config_selectorIssEEZZNS1_16scan_by_key_implILNS1_25lookback_scan_determinismE0ELb1ES3_N6thrust23THRUST_200600_302600_NS6detail15normal_iteratorINS9_10device_ptrIsEEEESE_SE_sNS9_10multipliesIsEENS9_8equal_toIsEEsEE10hipError_tPvRmT2_T3_T4_T5_mT6_T7_P12ihipStream_tbENKUlT_T0_E_clISt17integral_constantIbLb1EESZ_EEDaSU_SV_EUlSU_E_NS1_11comp_targetILNS1_3genE4ELNS1_11target_archE910ELNS1_3gpuE8ELNS1_3repE0EEENS1_30default_config_static_selectorELNS0_4arch9wavefront6targetE0EEEvT1_.num_agpr, 0
	.set _ZN7rocprim17ROCPRIM_400000_NS6detail17trampoline_kernelINS0_14default_configENS1_27scan_by_key_config_selectorIssEEZZNS1_16scan_by_key_implILNS1_25lookback_scan_determinismE0ELb1ES3_N6thrust23THRUST_200600_302600_NS6detail15normal_iteratorINS9_10device_ptrIsEEEESE_SE_sNS9_10multipliesIsEENS9_8equal_toIsEEsEE10hipError_tPvRmT2_T3_T4_T5_mT6_T7_P12ihipStream_tbENKUlT_T0_E_clISt17integral_constantIbLb1EESZ_EEDaSU_SV_EUlSU_E_NS1_11comp_targetILNS1_3genE4ELNS1_11target_archE910ELNS1_3gpuE8ELNS1_3repE0EEENS1_30default_config_static_selectorELNS0_4arch9wavefront6targetE0EEEvT1_.numbered_sgpr, 0
	.set _ZN7rocprim17ROCPRIM_400000_NS6detail17trampoline_kernelINS0_14default_configENS1_27scan_by_key_config_selectorIssEEZZNS1_16scan_by_key_implILNS1_25lookback_scan_determinismE0ELb1ES3_N6thrust23THRUST_200600_302600_NS6detail15normal_iteratorINS9_10device_ptrIsEEEESE_SE_sNS9_10multipliesIsEENS9_8equal_toIsEEsEE10hipError_tPvRmT2_T3_T4_T5_mT6_T7_P12ihipStream_tbENKUlT_T0_E_clISt17integral_constantIbLb1EESZ_EEDaSU_SV_EUlSU_E_NS1_11comp_targetILNS1_3genE4ELNS1_11target_archE910ELNS1_3gpuE8ELNS1_3repE0EEENS1_30default_config_static_selectorELNS0_4arch9wavefront6targetE0EEEvT1_.num_named_barrier, 0
	.set _ZN7rocprim17ROCPRIM_400000_NS6detail17trampoline_kernelINS0_14default_configENS1_27scan_by_key_config_selectorIssEEZZNS1_16scan_by_key_implILNS1_25lookback_scan_determinismE0ELb1ES3_N6thrust23THRUST_200600_302600_NS6detail15normal_iteratorINS9_10device_ptrIsEEEESE_SE_sNS9_10multipliesIsEENS9_8equal_toIsEEsEE10hipError_tPvRmT2_T3_T4_T5_mT6_T7_P12ihipStream_tbENKUlT_T0_E_clISt17integral_constantIbLb1EESZ_EEDaSU_SV_EUlSU_E_NS1_11comp_targetILNS1_3genE4ELNS1_11target_archE910ELNS1_3gpuE8ELNS1_3repE0EEENS1_30default_config_static_selectorELNS0_4arch9wavefront6targetE0EEEvT1_.private_seg_size, 0
	.set _ZN7rocprim17ROCPRIM_400000_NS6detail17trampoline_kernelINS0_14default_configENS1_27scan_by_key_config_selectorIssEEZZNS1_16scan_by_key_implILNS1_25lookback_scan_determinismE0ELb1ES3_N6thrust23THRUST_200600_302600_NS6detail15normal_iteratorINS9_10device_ptrIsEEEESE_SE_sNS9_10multipliesIsEENS9_8equal_toIsEEsEE10hipError_tPvRmT2_T3_T4_T5_mT6_T7_P12ihipStream_tbENKUlT_T0_E_clISt17integral_constantIbLb1EESZ_EEDaSU_SV_EUlSU_E_NS1_11comp_targetILNS1_3genE4ELNS1_11target_archE910ELNS1_3gpuE8ELNS1_3repE0EEENS1_30default_config_static_selectorELNS0_4arch9wavefront6targetE0EEEvT1_.uses_vcc, 0
	.set _ZN7rocprim17ROCPRIM_400000_NS6detail17trampoline_kernelINS0_14default_configENS1_27scan_by_key_config_selectorIssEEZZNS1_16scan_by_key_implILNS1_25lookback_scan_determinismE0ELb1ES3_N6thrust23THRUST_200600_302600_NS6detail15normal_iteratorINS9_10device_ptrIsEEEESE_SE_sNS9_10multipliesIsEENS9_8equal_toIsEEsEE10hipError_tPvRmT2_T3_T4_T5_mT6_T7_P12ihipStream_tbENKUlT_T0_E_clISt17integral_constantIbLb1EESZ_EEDaSU_SV_EUlSU_E_NS1_11comp_targetILNS1_3genE4ELNS1_11target_archE910ELNS1_3gpuE8ELNS1_3repE0EEENS1_30default_config_static_selectorELNS0_4arch9wavefront6targetE0EEEvT1_.uses_flat_scratch, 0
	.set _ZN7rocprim17ROCPRIM_400000_NS6detail17trampoline_kernelINS0_14default_configENS1_27scan_by_key_config_selectorIssEEZZNS1_16scan_by_key_implILNS1_25lookback_scan_determinismE0ELb1ES3_N6thrust23THRUST_200600_302600_NS6detail15normal_iteratorINS9_10device_ptrIsEEEESE_SE_sNS9_10multipliesIsEENS9_8equal_toIsEEsEE10hipError_tPvRmT2_T3_T4_T5_mT6_T7_P12ihipStream_tbENKUlT_T0_E_clISt17integral_constantIbLb1EESZ_EEDaSU_SV_EUlSU_E_NS1_11comp_targetILNS1_3genE4ELNS1_11target_archE910ELNS1_3gpuE8ELNS1_3repE0EEENS1_30default_config_static_selectorELNS0_4arch9wavefront6targetE0EEEvT1_.has_dyn_sized_stack, 0
	.set _ZN7rocprim17ROCPRIM_400000_NS6detail17trampoline_kernelINS0_14default_configENS1_27scan_by_key_config_selectorIssEEZZNS1_16scan_by_key_implILNS1_25lookback_scan_determinismE0ELb1ES3_N6thrust23THRUST_200600_302600_NS6detail15normal_iteratorINS9_10device_ptrIsEEEESE_SE_sNS9_10multipliesIsEENS9_8equal_toIsEEsEE10hipError_tPvRmT2_T3_T4_T5_mT6_T7_P12ihipStream_tbENKUlT_T0_E_clISt17integral_constantIbLb1EESZ_EEDaSU_SV_EUlSU_E_NS1_11comp_targetILNS1_3genE4ELNS1_11target_archE910ELNS1_3gpuE8ELNS1_3repE0EEENS1_30default_config_static_selectorELNS0_4arch9wavefront6targetE0EEEvT1_.has_recursion, 0
	.set _ZN7rocprim17ROCPRIM_400000_NS6detail17trampoline_kernelINS0_14default_configENS1_27scan_by_key_config_selectorIssEEZZNS1_16scan_by_key_implILNS1_25lookback_scan_determinismE0ELb1ES3_N6thrust23THRUST_200600_302600_NS6detail15normal_iteratorINS9_10device_ptrIsEEEESE_SE_sNS9_10multipliesIsEENS9_8equal_toIsEEsEE10hipError_tPvRmT2_T3_T4_T5_mT6_T7_P12ihipStream_tbENKUlT_T0_E_clISt17integral_constantIbLb1EESZ_EEDaSU_SV_EUlSU_E_NS1_11comp_targetILNS1_3genE4ELNS1_11target_archE910ELNS1_3gpuE8ELNS1_3repE0EEENS1_30default_config_static_selectorELNS0_4arch9wavefront6targetE0EEEvT1_.has_indirect_call, 0
	.section	.AMDGPU.csdata,"",@progbits
; Kernel info:
; codeLenInByte = 0
; TotalNumSgprs: 0
; NumVgprs: 0
; ScratchSize: 0
; MemoryBound: 0
; FloatMode: 240
; IeeeMode: 1
; LDSByteSize: 0 bytes/workgroup (compile time only)
; SGPRBlocks: 0
; VGPRBlocks: 0
; NumSGPRsForWavesPerEU: 1
; NumVGPRsForWavesPerEU: 1
; NamedBarCnt: 0
; Occupancy: 16
; WaveLimiterHint : 0
; COMPUTE_PGM_RSRC2:SCRATCH_EN: 0
; COMPUTE_PGM_RSRC2:USER_SGPR: 2
; COMPUTE_PGM_RSRC2:TRAP_HANDLER: 0
; COMPUTE_PGM_RSRC2:TGID_X_EN: 1
; COMPUTE_PGM_RSRC2:TGID_Y_EN: 0
; COMPUTE_PGM_RSRC2:TGID_Z_EN: 0
; COMPUTE_PGM_RSRC2:TIDIG_COMP_CNT: 0
	.section	.text._ZN7rocprim17ROCPRIM_400000_NS6detail17trampoline_kernelINS0_14default_configENS1_27scan_by_key_config_selectorIssEEZZNS1_16scan_by_key_implILNS1_25lookback_scan_determinismE0ELb1ES3_N6thrust23THRUST_200600_302600_NS6detail15normal_iteratorINS9_10device_ptrIsEEEESE_SE_sNS9_10multipliesIsEENS9_8equal_toIsEEsEE10hipError_tPvRmT2_T3_T4_T5_mT6_T7_P12ihipStream_tbENKUlT_T0_E_clISt17integral_constantIbLb1EESZ_EEDaSU_SV_EUlSU_E_NS1_11comp_targetILNS1_3genE3ELNS1_11target_archE908ELNS1_3gpuE7ELNS1_3repE0EEENS1_30default_config_static_selectorELNS0_4arch9wavefront6targetE0EEEvT1_,"axG",@progbits,_ZN7rocprim17ROCPRIM_400000_NS6detail17trampoline_kernelINS0_14default_configENS1_27scan_by_key_config_selectorIssEEZZNS1_16scan_by_key_implILNS1_25lookback_scan_determinismE0ELb1ES3_N6thrust23THRUST_200600_302600_NS6detail15normal_iteratorINS9_10device_ptrIsEEEESE_SE_sNS9_10multipliesIsEENS9_8equal_toIsEEsEE10hipError_tPvRmT2_T3_T4_T5_mT6_T7_P12ihipStream_tbENKUlT_T0_E_clISt17integral_constantIbLb1EESZ_EEDaSU_SV_EUlSU_E_NS1_11comp_targetILNS1_3genE3ELNS1_11target_archE908ELNS1_3gpuE7ELNS1_3repE0EEENS1_30default_config_static_selectorELNS0_4arch9wavefront6targetE0EEEvT1_,comdat
	.protected	_ZN7rocprim17ROCPRIM_400000_NS6detail17trampoline_kernelINS0_14default_configENS1_27scan_by_key_config_selectorIssEEZZNS1_16scan_by_key_implILNS1_25lookback_scan_determinismE0ELb1ES3_N6thrust23THRUST_200600_302600_NS6detail15normal_iteratorINS9_10device_ptrIsEEEESE_SE_sNS9_10multipliesIsEENS9_8equal_toIsEEsEE10hipError_tPvRmT2_T3_T4_T5_mT6_T7_P12ihipStream_tbENKUlT_T0_E_clISt17integral_constantIbLb1EESZ_EEDaSU_SV_EUlSU_E_NS1_11comp_targetILNS1_3genE3ELNS1_11target_archE908ELNS1_3gpuE7ELNS1_3repE0EEENS1_30default_config_static_selectorELNS0_4arch9wavefront6targetE0EEEvT1_ ; -- Begin function _ZN7rocprim17ROCPRIM_400000_NS6detail17trampoline_kernelINS0_14default_configENS1_27scan_by_key_config_selectorIssEEZZNS1_16scan_by_key_implILNS1_25lookback_scan_determinismE0ELb1ES3_N6thrust23THRUST_200600_302600_NS6detail15normal_iteratorINS9_10device_ptrIsEEEESE_SE_sNS9_10multipliesIsEENS9_8equal_toIsEEsEE10hipError_tPvRmT2_T3_T4_T5_mT6_T7_P12ihipStream_tbENKUlT_T0_E_clISt17integral_constantIbLb1EESZ_EEDaSU_SV_EUlSU_E_NS1_11comp_targetILNS1_3genE3ELNS1_11target_archE908ELNS1_3gpuE7ELNS1_3repE0EEENS1_30default_config_static_selectorELNS0_4arch9wavefront6targetE0EEEvT1_
	.globl	_ZN7rocprim17ROCPRIM_400000_NS6detail17trampoline_kernelINS0_14default_configENS1_27scan_by_key_config_selectorIssEEZZNS1_16scan_by_key_implILNS1_25lookback_scan_determinismE0ELb1ES3_N6thrust23THRUST_200600_302600_NS6detail15normal_iteratorINS9_10device_ptrIsEEEESE_SE_sNS9_10multipliesIsEENS9_8equal_toIsEEsEE10hipError_tPvRmT2_T3_T4_T5_mT6_T7_P12ihipStream_tbENKUlT_T0_E_clISt17integral_constantIbLb1EESZ_EEDaSU_SV_EUlSU_E_NS1_11comp_targetILNS1_3genE3ELNS1_11target_archE908ELNS1_3gpuE7ELNS1_3repE0EEENS1_30default_config_static_selectorELNS0_4arch9wavefront6targetE0EEEvT1_
	.p2align	8
	.type	_ZN7rocprim17ROCPRIM_400000_NS6detail17trampoline_kernelINS0_14default_configENS1_27scan_by_key_config_selectorIssEEZZNS1_16scan_by_key_implILNS1_25lookback_scan_determinismE0ELb1ES3_N6thrust23THRUST_200600_302600_NS6detail15normal_iteratorINS9_10device_ptrIsEEEESE_SE_sNS9_10multipliesIsEENS9_8equal_toIsEEsEE10hipError_tPvRmT2_T3_T4_T5_mT6_T7_P12ihipStream_tbENKUlT_T0_E_clISt17integral_constantIbLb1EESZ_EEDaSU_SV_EUlSU_E_NS1_11comp_targetILNS1_3genE3ELNS1_11target_archE908ELNS1_3gpuE7ELNS1_3repE0EEENS1_30default_config_static_selectorELNS0_4arch9wavefront6targetE0EEEvT1_,@function
_ZN7rocprim17ROCPRIM_400000_NS6detail17trampoline_kernelINS0_14default_configENS1_27scan_by_key_config_selectorIssEEZZNS1_16scan_by_key_implILNS1_25lookback_scan_determinismE0ELb1ES3_N6thrust23THRUST_200600_302600_NS6detail15normal_iteratorINS9_10device_ptrIsEEEESE_SE_sNS9_10multipliesIsEENS9_8equal_toIsEEsEE10hipError_tPvRmT2_T3_T4_T5_mT6_T7_P12ihipStream_tbENKUlT_T0_E_clISt17integral_constantIbLb1EESZ_EEDaSU_SV_EUlSU_E_NS1_11comp_targetILNS1_3genE3ELNS1_11target_archE908ELNS1_3gpuE7ELNS1_3repE0EEENS1_30default_config_static_selectorELNS0_4arch9wavefront6targetE0EEEvT1_: ; @_ZN7rocprim17ROCPRIM_400000_NS6detail17trampoline_kernelINS0_14default_configENS1_27scan_by_key_config_selectorIssEEZZNS1_16scan_by_key_implILNS1_25lookback_scan_determinismE0ELb1ES3_N6thrust23THRUST_200600_302600_NS6detail15normal_iteratorINS9_10device_ptrIsEEEESE_SE_sNS9_10multipliesIsEENS9_8equal_toIsEEsEE10hipError_tPvRmT2_T3_T4_T5_mT6_T7_P12ihipStream_tbENKUlT_T0_E_clISt17integral_constantIbLb1EESZ_EEDaSU_SV_EUlSU_E_NS1_11comp_targetILNS1_3genE3ELNS1_11target_archE908ELNS1_3gpuE7ELNS1_3repE0EEENS1_30default_config_static_selectorELNS0_4arch9wavefront6targetE0EEEvT1_
; %bb.0:
	.section	.rodata,"a",@progbits
	.p2align	6, 0x0
	.amdhsa_kernel _ZN7rocprim17ROCPRIM_400000_NS6detail17trampoline_kernelINS0_14default_configENS1_27scan_by_key_config_selectorIssEEZZNS1_16scan_by_key_implILNS1_25lookback_scan_determinismE0ELb1ES3_N6thrust23THRUST_200600_302600_NS6detail15normal_iteratorINS9_10device_ptrIsEEEESE_SE_sNS9_10multipliesIsEENS9_8equal_toIsEEsEE10hipError_tPvRmT2_T3_T4_T5_mT6_T7_P12ihipStream_tbENKUlT_T0_E_clISt17integral_constantIbLb1EESZ_EEDaSU_SV_EUlSU_E_NS1_11comp_targetILNS1_3genE3ELNS1_11target_archE908ELNS1_3gpuE7ELNS1_3repE0EEENS1_30default_config_static_selectorELNS0_4arch9wavefront6targetE0EEEvT1_
		.amdhsa_group_segment_fixed_size 0
		.amdhsa_private_segment_fixed_size 0
		.amdhsa_kernarg_size 112
		.amdhsa_user_sgpr_count 2
		.amdhsa_user_sgpr_dispatch_ptr 0
		.amdhsa_user_sgpr_queue_ptr 0
		.amdhsa_user_sgpr_kernarg_segment_ptr 1
		.amdhsa_user_sgpr_dispatch_id 0
		.amdhsa_user_sgpr_kernarg_preload_length 0
		.amdhsa_user_sgpr_kernarg_preload_offset 0
		.amdhsa_user_sgpr_private_segment_size 0
		.amdhsa_wavefront_size32 1
		.amdhsa_uses_dynamic_stack 0
		.amdhsa_enable_private_segment 0
		.amdhsa_system_sgpr_workgroup_id_x 1
		.amdhsa_system_sgpr_workgroup_id_y 0
		.amdhsa_system_sgpr_workgroup_id_z 0
		.amdhsa_system_sgpr_workgroup_info 0
		.amdhsa_system_vgpr_workitem_id 0
		.amdhsa_next_free_vgpr 1
		.amdhsa_next_free_sgpr 1
		.amdhsa_named_barrier_count 0
		.amdhsa_reserve_vcc 0
		.amdhsa_float_round_mode_32 0
		.amdhsa_float_round_mode_16_64 0
		.amdhsa_float_denorm_mode_32 3
		.amdhsa_float_denorm_mode_16_64 3
		.amdhsa_fp16_overflow 0
		.amdhsa_memory_ordered 1
		.amdhsa_forward_progress 1
		.amdhsa_inst_pref_size 0
		.amdhsa_round_robin_scheduling 0
		.amdhsa_exception_fp_ieee_invalid_op 0
		.amdhsa_exception_fp_denorm_src 0
		.amdhsa_exception_fp_ieee_div_zero 0
		.amdhsa_exception_fp_ieee_overflow 0
		.amdhsa_exception_fp_ieee_underflow 0
		.amdhsa_exception_fp_ieee_inexact 0
		.amdhsa_exception_int_div_zero 0
	.end_amdhsa_kernel
	.section	.text._ZN7rocprim17ROCPRIM_400000_NS6detail17trampoline_kernelINS0_14default_configENS1_27scan_by_key_config_selectorIssEEZZNS1_16scan_by_key_implILNS1_25lookback_scan_determinismE0ELb1ES3_N6thrust23THRUST_200600_302600_NS6detail15normal_iteratorINS9_10device_ptrIsEEEESE_SE_sNS9_10multipliesIsEENS9_8equal_toIsEEsEE10hipError_tPvRmT2_T3_T4_T5_mT6_T7_P12ihipStream_tbENKUlT_T0_E_clISt17integral_constantIbLb1EESZ_EEDaSU_SV_EUlSU_E_NS1_11comp_targetILNS1_3genE3ELNS1_11target_archE908ELNS1_3gpuE7ELNS1_3repE0EEENS1_30default_config_static_selectorELNS0_4arch9wavefront6targetE0EEEvT1_,"axG",@progbits,_ZN7rocprim17ROCPRIM_400000_NS6detail17trampoline_kernelINS0_14default_configENS1_27scan_by_key_config_selectorIssEEZZNS1_16scan_by_key_implILNS1_25lookback_scan_determinismE0ELb1ES3_N6thrust23THRUST_200600_302600_NS6detail15normal_iteratorINS9_10device_ptrIsEEEESE_SE_sNS9_10multipliesIsEENS9_8equal_toIsEEsEE10hipError_tPvRmT2_T3_T4_T5_mT6_T7_P12ihipStream_tbENKUlT_T0_E_clISt17integral_constantIbLb1EESZ_EEDaSU_SV_EUlSU_E_NS1_11comp_targetILNS1_3genE3ELNS1_11target_archE908ELNS1_3gpuE7ELNS1_3repE0EEENS1_30default_config_static_selectorELNS0_4arch9wavefront6targetE0EEEvT1_,comdat
.Lfunc_end618:
	.size	_ZN7rocprim17ROCPRIM_400000_NS6detail17trampoline_kernelINS0_14default_configENS1_27scan_by_key_config_selectorIssEEZZNS1_16scan_by_key_implILNS1_25lookback_scan_determinismE0ELb1ES3_N6thrust23THRUST_200600_302600_NS6detail15normal_iteratorINS9_10device_ptrIsEEEESE_SE_sNS9_10multipliesIsEENS9_8equal_toIsEEsEE10hipError_tPvRmT2_T3_T4_T5_mT6_T7_P12ihipStream_tbENKUlT_T0_E_clISt17integral_constantIbLb1EESZ_EEDaSU_SV_EUlSU_E_NS1_11comp_targetILNS1_3genE3ELNS1_11target_archE908ELNS1_3gpuE7ELNS1_3repE0EEENS1_30default_config_static_selectorELNS0_4arch9wavefront6targetE0EEEvT1_, .Lfunc_end618-_ZN7rocprim17ROCPRIM_400000_NS6detail17trampoline_kernelINS0_14default_configENS1_27scan_by_key_config_selectorIssEEZZNS1_16scan_by_key_implILNS1_25lookback_scan_determinismE0ELb1ES3_N6thrust23THRUST_200600_302600_NS6detail15normal_iteratorINS9_10device_ptrIsEEEESE_SE_sNS9_10multipliesIsEENS9_8equal_toIsEEsEE10hipError_tPvRmT2_T3_T4_T5_mT6_T7_P12ihipStream_tbENKUlT_T0_E_clISt17integral_constantIbLb1EESZ_EEDaSU_SV_EUlSU_E_NS1_11comp_targetILNS1_3genE3ELNS1_11target_archE908ELNS1_3gpuE7ELNS1_3repE0EEENS1_30default_config_static_selectorELNS0_4arch9wavefront6targetE0EEEvT1_
                                        ; -- End function
	.set _ZN7rocprim17ROCPRIM_400000_NS6detail17trampoline_kernelINS0_14default_configENS1_27scan_by_key_config_selectorIssEEZZNS1_16scan_by_key_implILNS1_25lookback_scan_determinismE0ELb1ES3_N6thrust23THRUST_200600_302600_NS6detail15normal_iteratorINS9_10device_ptrIsEEEESE_SE_sNS9_10multipliesIsEENS9_8equal_toIsEEsEE10hipError_tPvRmT2_T3_T4_T5_mT6_T7_P12ihipStream_tbENKUlT_T0_E_clISt17integral_constantIbLb1EESZ_EEDaSU_SV_EUlSU_E_NS1_11comp_targetILNS1_3genE3ELNS1_11target_archE908ELNS1_3gpuE7ELNS1_3repE0EEENS1_30default_config_static_selectorELNS0_4arch9wavefront6targetE0EEEvT1_.num_vgpr, 0
	.set _ZN7rocprim17ROCPRIM_400000_NS6detail17trampoline_kernelINS0_14default_configENS1_27scan_by_key_config_selectorIssEEZZNS1_16scan_by_key_implILNS1_25lookback_scan_determinismE0ELb1ES3_N6thrust23THRUST_200600_302600_NS6detail15normal_iteratorINS9_10device_ptrIsEEEESE_SE_sNS9_10multipliesIsEENS9_8equal_toIsEEsEE10hipError_tPvRmT2_T3_T4_T5_mT6_T7_P12ihipStream_tbENKUlT_T0_E_clISt17integral_constantIbLb1EESZ_EEDaSU_SV_EUlSU_E_NS1_11comp_targetILNS1_3genE3ELNS1_11target_archE908ELNS1_3gpuE7ELNS1_3repE0EEENS1_30default_config_static_selectorELNS0_4arch9wavefront6targetE0EEEvT1_.num_agpr, 0
	.set _ZN7rocprim17ROCPRIM_400000_NS6detail17trampoline_kernelINS0_14default_configENS1_27scan_by_key_config_selectorIssEEZZNS1_16scan_by_key_implILNS1_25lookback_scan_determinismE0ELb1ES3_N6thrust23THRUST_200600_302600_NS6detail15normal_iteratorINS9_10device_ptrIsEEEESE_SE_sNS9_10multipliesIsEENS9_8equal_toIsEEsEE10hipError_tPvRmT2_T3_T4_T5_mT6_T7_P12ihipStream_tbENKUlT_T0_E_clISt17integral_constantIbLb1EESZ_EEDaSU_SV_EUlSU_E_NS1_11comp_targetILNS1_3genE3ELNS1_11target_archE908ELNS1_3gpuE7ELNS1_3repE0EEENS1_30default_config_static_selectorELNS0_4arch9wavefront6targetE0EEEvT1_.numbered_sgpr, 0
	.set _ZN7rocprim17ROCPRIM_400000_NS6detail17trampoline_kernelINS0_14default_configENS1_27scan_by_key_config_selectorIssEEZZNS1_16scan_by_key_implILNS1_25lookback_scan_determinismE0ELb1ES3_N6thrust23THRUST_200600_302600_NS6detail15normal_iteratorINS9_10device_ptrIsEEEESE_SE_sNS9_10multipliesIsEENS9_8equal_toIsEEsEE10hipError_tPvRmT2_T3_T4_T5_mT6_T7_P12ihipStream_tbENKUlT_T0_E_clISt17integral_constantIbLb1EESZ_EEDaSU_SV_EUlSU_E_NS1_11comp_targetILNS1_3genE3ELNS1_11target_archE908ELNS1_3gpuE7ELNS1_3repE0EEENS1_30default_config_static_selectorELNS0_4arch9wavefront6targetE0EEEvT1_.num_named_barrier, 0
	.set _ZN7rocprim17ROCPRIM_400000_NS6detail17trampoline_kernelINS0_14default_configENS1_27scan_by_key_config_selectorIssEEZZNS1_16scan_by_key_implILNS1_25lookback_scan_determinismE0ELb1ES3_N6thrust23THRUST_200600_302600_NS6detail15normal_iteratorINS9_10device_ptrIsEEEESE_SE_sNS9_10multipliesIsEENS9_8equal_toIsEEsEE10hipError_tPvRmT2_T3_T4_T5_mT6_T7_P12ihipStream_tbENKUlT_T0_E_clISt17integral_constantIbLb1EESZ_EEDaSU_SV_EUlSU_E_NS1_11comp_targetILNS1_3genE3ELNS1_11target_archE908ELNS1_3gpuE7ELNS1_3repE0EEENS1_30default_config_static_selectorELNS0_4arch9wavefront6targetE0EEEvT1_.private_seg_size, 0
	.set _ZN7rocprim17ROCPRIM_400000_NS6detail17trampoline_kernelINS0_14default_configENS1_27scan_by_key_config_selectorIssEEZZNS1_16scan_by_key_implILNS1_25lookback_scan_determinismE0ELb1ES3_N6thrust23THRUST_200600_302600_NS6detail15normal_iteratorINS9_10device_ptrIsEEEESE_SE_sNS9_10multipliesIsEENS9_8equal_toIsEEsEE10hipError_tPvRmT2_T3_T4_T5_mT6_T7_P12ihipStream_tbENKUlT_T0_E_clISt17integral_constantIbLb1EESZ_EEDaSU_SV_EUlSU_E_NS1_11comp_targetILNS1_3genE3ELNS1_11target_archE908ELNS1_3gpuE7ELNS1_3repE0EEENS1_30default_config_static_selectorELNS0_4arch9wavefront6targetE0EEEvT1_.uses_vcc, 0
	.set _ZN7rocprim17ROCPRIM_400000_NS6detail17trampoline_kernelINS0_14default_configENS1_27scan_by_key_config_selectorIssEEZZNS1_16scan_by_key_implILNS1_25lookback_scan_determinismE0ELb1ES3_N6thrust23THRUST_200600_302600_NS6detail15normal_iteratorINS9_10device_ptrIsEEEESE_SE_sNS9_10multipliesIsEENS9_8equal_toIsEEsEE10hipError_tPvRmT2_T3_T4_T5_mT6_T7_P12ihipStream_tbENKUlT_T0_E_clISt17integral_constantIbLb1EESZ_EEDaSU_SV_EUlSU_E_NS1_11comp_targetILNS1_3genE3ELNS1_11target_archE908ELNS1_3gpuE7ELNS1_3repE0EEENS1_30default_config_static_selectorELNS0_4arch9wavefront6targetE0EEEvT1_.uses_flat_scratch, 0
	.set _ZN7rocprim17ROCPRIM_400000_NS6detail17trampoline_kernelINS0_14default_configENS1_27scan_by_key_config_selectorIssEEZZNS1_16scan_by_key_implILNS1_25lookback_scan_determinismE0ELb1ES3_N6thrust23THRUST_200600_302600_NS6detail15normal_iteratorINS9_10device_ptrIsEEEESE_SE_sNS9_10multipliesIsEENS9_8equal_toIsEEsEE10hipError_tPvRmT2_T3_T4_T5_mT6_T7_P12ihipStream_tbENKUlT_T0_E_clISt17integral_constantIbLb1EESZ_EEDaSU_SV_EUlSU_E_NS1_11comp_targetILNS1_3genE3ELNS1_11target_archE908ELNS1_3gpuE7ELNS1_3repE0EEENS1_30default_config_static_selectorELNS0_4arch9wavefront6targetE0EEEvT1_.has_dyn_sized_stack, 0
	.set _ZN7rocprim17ROCPRIM_400000_NS6detail17trampoline_kernelINS0_14default_configENS1_27scan_by_key_config_selectorIssEEZZNS1_16scan_by_key_implILNS1_25lookback_scan_determinismE0ELb1ES3_N6thrust23THRUST_200600_302600_NS6detail15normal_iteratorINS9_10device_ptrIsEEEESE_SE_sNS9_10multipliesIsEENS9_8equal_toIsEEsEE10hipError_tPvRmT2_T3_T4_T5_mT6_T7_P12ihipStream_tbENKUlT_T0_E_clISt17integral_constantIbLb1EESZ_EEDaSU_SV_EUlSU_E_NS1_11comp_targetILNS1_3genE3ELNS1_11target_archE908ELNS1_3gpuE7ELNS1_3repE0EEENS1_30default_config_static_selectorELNS0_4arch9wavefront6targetE0EEEvT1_.has_recursion, 0
	.set _ZN7rocprim17ROCPRIM_400000_NS6detail17trampoline_kernelINS0_14default_configENS1_27scan_by_key_config_selectorIssEEZZNS1_16scan_by_key_implILNS1_25lookback_scan_determinismE0ELb1ES3_N6thrust23THRUST_200600_302600_NS6detail15normal_iteratorINS9_10device_ptrIsEEEESE_SE_sNS9_10multipliesIsEENS9_8equal_toIsEEsEE10hipError_tPvRmT2_T3_T4_T5_mT6_T7_P12ihipStream_tbENKUlT_T0_E_clISt17integral_constantIbLb1EESZ_EEDaSU_SV_EUlSU_E_NS1_11comp_targetILNS1_3genE3ELNS1_11target_archE908ELNS1_3gpuE7ELNS1_3repE0EEENS1_30default_config_static_selectorELNS0_4arch9wavefront6targetE0EEEvT1_.has_indirect_call, 0
	.section	.AMDGPU.csdata,"",@progbits
; Kernel info:
; codeLenInByte = 0
; TotalNumSgprs: 0
; NumVgprs: 0
; ScratchSize: 0
; MemoryBound: 0
; FloatMode: 240
; IeeeMode: 1
; LDSByteSize: 0 bytes/workgroup (compile time only)
; SGPRBlocks: 0
; VGPRBlocks: 0
; NumSGPRsForWavesPerEU: 1
; NumVGPRsForWavesPerEU: 1
; NamedBarCnt: 0
; Occupancy: 16
; WaveLimiterHint : 0
; COMPUTE_PGM_RSRC2:SCRATCH_EN: 0
; COMPUTE_PGM_RSRC2:USER_SGPR: 2
; COMPUTE_PGM_RSRC2:TRAP_HANDLER: 0
; COMPUTE_PGM_RSRC2:TGID_X_EN: 1
; COMPUTE_PGM_RSRC2:TGID_Y_EN: 0
; COMPUTE_PGM_RSRC2:TGID_Z_EN: 0
; COMPUTE_PGM_RSRC2:TIDIG_COMP_CNT: 0
	.section	.text._ZN7rocprim17ROCPRIM_400000_NS6detail17trampoline_kernelINS0_14default_configENS1_27scan_by_key_config_selectorIssEEZZNS1_16scan_by_key_implILNS1_25lookback_scan_determinismE0ELb1ES3_N6thrust23THRUST_200600_302600_NS6detail15normal_iteratorINS9_10device_ptrIsEEEESE_SE_sNS9_10multipliesIsEENS9_8equal_toIsEEsEE10hipError_tPvRmT2_T3_T4_T5_mT6_T7_P12ihipStream_tbENKUlT_T0_E_clISt17integral_constantIbLb1EESZ_EEDaSU_SV_EUlSU_E_NS1_11comp_targetILNS1_3genE2ELNS1_11target_archE906ELNS1_3gpuE6ELNS1_3repE0EEENS1_30default_config_static_selectorELNS0_4arch9wavefront6targetE0EEEvT1_,"axG",@progbits,_ZN7rocprim17ROCPRIM_400000_NS6detail17trampoline_kernelINS0_14default_configENS1_27scan_by_key_config_selectorIssEEZZNS1_16scan_by_key_implILNS1_25lookback_scan_determinismE0ELb1ES3_N6thrust23THRUST_200600_302600_NS6detail15normal_iteratorINS9_10device_ptrIsEEEESE_SE_sNS9_10multipliesIsEENS9_8equal_toIsEEsEE10hipError_tPvRmT2_T3_T4_T5_mT6_T7_P12ihipStream_tbENKUlT_T0_E_clISt17integral_constantIbLb1EESZ_EEDaSU_SV_EUlSU_E_NS1_11comp_targetILNS1_3genE2ELNS1_11target_archE906ELNS1_3gpuE6ELNS1_3repE0EEENS1_30default_config_static_selectorELNS0_4arch9wavefront6targetE0EEEvT1_,comdat
	.protected	_ZN7rocprim17ROCPRIM_400000_NS6detail17trampoline_kernelINS0_14default_configENS1_27scan_by_key_config_selectorIssEEZZNS1_16scan_by_key_implILNS1_25lookback_scan_determinismE0ELb1ES3_N6thrust23THRUST_200600_302600_NS6detail15normal_iteratorINS9_10device_ptrIsEEEESE_SE_sNS9_10multipliesIsEENS9_8equal_toIsEEsEE10hipError_tPvRmT2_T3_T4_T5_mT6_T7_P12ihipStream_tbENKUlT_T0_E_clISt17integral_constantIbLb1EESZ_EEDaSU_SV_EUlSU_E_NS1_11comp_targetILNS1_3genE2ELNS1_11target_archE906ELNS1_3gpuE6ELNS1_3repE0EEENS1_30default_config_static_selectorELNS0_4arch9wavefront6targetE0EEEvT1_ ; -- Begin function _ZN7rocprim17ROCPRIM_400000_NS6detail17trampoline_kernelINS0_14default_configENS1_27scan_by_key_config_selectorIssEEZZNS1_16scan_by_key_implILNS1_25lookback_scan_determinismE0ELb1ES3_N6thrust23THRUST_200600_302600_NS6detail15normal_iteratorINS9_10device_ptrIsEEEESE_SE_sNS9_10multipliesIsEENS9_8equal_toIsEEsEE10hipError_tPvRmT2_T3_T4_T5_mT6_T7_P12ihipStream_tbENKUlT_T0_E_clISt17integral_constantIbLb1EESZ_EEDaSU_SV_EUlSU_E_NS1_11comp_targetILNS1_3genE2ELNS1_11target_archE906ELNS1_3gpuE6ELNS1_3repE0EEENS1_30default_config_static_selectorELNS0_4arch9wavefront6targetE0EEEvT1_
	.globl	_ZN7rocprim17ROCPRIM_400000_NS6detail17trampoline_kernelINS0_14default_configENS1_27scan_by_key_config_selectorIssEEZZNS1_16scan_by_key_implILNS1_25lookback_scan_determinismE0ELb1ES3_N6thrust23THRUST_200600_302600_NS6detail15normal_iteratorINS9_10device_ptrIsEEEESE_SE_sNS9_10multipliesIsEENS9_8equal_toIsEEsEE10hipError_tPvRmT2_T3_T4_T5_mT6_T7_P12ihipStream_tbENKUlT_T0_E_clISt17integral_constantIbLb1EESZ_EEDaSU_SV_EUlSU_E_NS1_11comp_targetILNS1_3genE2ELNS1_11target_archE906ELNS1_3gpuE6ELNS1_3repE0EEENS1_30default_config_static_selectorELNS0_4arch9wavefront6targetE0EEEvT1_
	.p2align	8
	.type	_ZN7rocprim17ROCPRIM_400000_NS6detail17trampoline_kernelINS0_14default_configENS1_27scan_by_key_config_selectorIssEEZZNS1_16scan_by_key_implILNS1_25lookback_scan_determinismE0ELb1ES3_N6thrust23THRUST_200600_302600_NS6detail15normal_iteratorINS9_10device_ptrIsEEEESE_SE_sNS9_10multipliesIsEENS9_8equal_toIsEEsEE10hipError_tPvRmT2_T3_T4_T5_mT6_T7_P12ihipStream_tbENKUlT_T0_E_clISt17integral_constantIbLb1EESZ_EEDaSU_SV_EUlSU_E_NS1_11comp_targetILNS1_3genE2ELNS1_11target_archE906ELNS1_3gpuE6ELNS1_3repE0EEENS1_30default_config_static_selectorELNS0_4arch9wavefront6targetE0EEEvT1_,@function
_ZN7rocprim17ROCPRIM_400000_NS6detail17trampoline_kernelINS0_14default_configENS1_27scan_by_key_config_selectorIssEEZZNS1_16scan_by_key_implILNS1_25lookback_scan_determinismE0ELb1ES3_N6thrust23THRUST_200600_302600_NS6detail15normal_iteratorINS9_10device_ptrIsEEEESE_SE_sNS9_10multipliesIsEENS9_8equal_toIsEEsEE10hipError_tPvRmT2_T3_T4_T5_mT6_T7_P12ihipStream_tbENKUlT_T0_E_clISt17integral_constantIbLb1EESZ_EEDaSU_SV_EUlSU_E_NS1_11comp_targetILNS1_3genE2ELNS1_11target_archE906ELNS1_3gpuE6ELNS1_3repE0EEENS1_30default_config_static_selectorELNS0_4arch9wavefront6targetE0EEEvT1_: ; @_ZN7rocprim17ROCPRIM_400000_NS6detail17trampoline_kernelINS0_14default_configENS1_27scan_by_key_config_selectorIssEEZZNS1_16scan_by_key_implILNS1_25lookback_scan_determinismE0ELb1ES3_N6thrust23THRUST_200600_302600_NS6detail15normal_iteratorINS9_10device_ptrIsEEEESE_SE_sNS9_10multipliesIsEENS9_8equal_toIsEEsEE10hipError_tPvRmT2_T3_T4_T5_mT6_T7_P12ihipStream_tbENKUlT_T0_E_clISt17integral_constantIbLb1EESZ_EEDaSU_SV_EUlSU_E_NS1_11comp_targetILNS1_3genE2ELNS1_11target_archE906ELNS1_3gpuE6ELNS1_3repE0EEENS1_30default_config_static_selectorELNS0_4arch9wavefront6targetE0EEEvT1_
; %bb.0:
	.section	.rodata,"a",@progbits
	.p2align	6, 0x0
	.amdhsa_kernel _ZN7rocprim17ROCPRIM_400000_NS6detail17trampoline_kernelINS0_14default_configENS1_27scan_by_key_config_selectorIssEEZZNS1_16scan_by_key_implILNS1_25lookback_scan_determinismE0ELb1ES3_N6thrust23THRUST_200600_302600_NS6detail15normal_iteratorINS9_10device_ptrIsEEEESE_SE_sNS9_10multipliesIsEENS9_8equal_toIsEEsEE10hipError_tPvRmT2_T3_T4_T5_mT6_T7_P12ihipStream_tbENKUlT_T0_E_clISt17integral_constantIbLb1EESZ_EEDaSU_SV_EUlSU_E_NS1_11comp_targetILNS1_3genE2ELNS1_11target_archE906ELNS1_3gpuE6ELNS1_3repE0EEENS1_30default_config_static_selectorELNS0_4arch9wavefront6targetE0EEEvT1_
		.amdhsa_group_segment_fixed_size 0
		.amdhsa_private_segment_fixed_size 0
		.amdhsa_kernarg_size 112
		.amdhsa_user_sgpr_count 2
		.amdhsa_user_sgpr_dispatch_ptr 0
		.amdhsa_user_sgpr_queue_ptr 0
		.amdhsa_user_sgpr_kernarg_segment_ptr 1
		.amdhsa_user_sgpr_dispatch_id 0
		.amdhsa_user_sgpr_kernarg_preload_length 0
		.amdhsa_user_sgpr_kernarg_preload_offset 0
		.amdhsa_user_sgpr_private_segment_size 0
		.amdhsa_wavefront_size32 1
		.amdhsa_uses_dynamic_stack 0
		.amdhsa_enable_private_segment 0
		.amdhsa_system_sgpr_workgroup_id_x 1
		.amdhsa_system_sgpr_workgroup_id_y 0
		.amdhsa_system_sgpr_workgroup_id_z 0
		.amdhsa_system_sgpr_workgroup_info 0
		.amdhsa_system_vgpr_workitem_id 0
		.amdhsa_next_free_vgpr 1
		.amdhsa_next_free_sgpr 1
		.amdhsa_named_barrier_count 0
		.amdhsa_reserve_vcc 0
		.amdhsa_float_round_mode_32 0
		.amdhsa_float_round_mode_16_64 0
		.amdhsa_float_denorm_mode_32 3
		.amdhsa_float_denorm_mode_16_64 3
		.amdhsa_fp16_overflow 0
		.amdhsa_memory_ordered 1
		.amdhsa_forward_progress 1
		.amdhsa_inst_pref_size 0
		.amdhsa_round_robin_scheduling 0
		.amdhsa_exception_fp_ieee_invalid_op 0
		.amdhsa_exception_fp_denorm_src 0
		.amdhsa_exception_fp_ieee_div_zero 0
		.amdhsa_exception_fp_ieee_overflow 0
		.amdhsa_exception_fp_ieee_underflow 0
		.amdhsa_exception_fp_ieee_inexact 0
		.amdhsa_exception_int_div_zero 0
	.end_amdhsa_kernel
	.section	.text._ZN7rocprim17ROCPRIM_400000_NS6detail17trampoline_kernelINS0_14default_configENS1_27scan_by_key_config_selectorIssEEZZNS1_16scan_by_key_implILNS1_25lookback_scan_determinismE0ELb1ES3_N6thrust23THRUST_200600_302600_NS6detail15normal_iteratorINS9_10device_ptrIsEEEESE_SE_sNS9_10multipliesIsEENS9_8equal_toIsEEsEE10hipError_tPvRmT2_T3_T4_T5_mT6_T7_P12ihipStream_tbENKUlT_T0_E_clISt17integral_constantIbLb1EESZ_EEDaSU_SV_EUlSU_E_NS1_11comp_targetILNS1_3genE2ELNS1_11target_archE906ELNS1_3gpuE6ELNS1_3repE0EEENS1_30default_config_static_selectorELNS0_4arch9wavefront6targetE0EEEvT1_,"axG",@progbits,_ZN7rocprim17ROCPRIM_400000_NS6detail17trampoline_kernelINS0_14default_configENS1_27scan_by_key_config_selectorIssEEZZNS1_16scan_by_key_implILNS1_25lookback_scan_determinismE0ELb1ES3_N6thrust23THRUST_200600_302600_NS6detail15normal_iteratorINS9_10device_ptrIsEEEESE_SE_sNS9_10multipliesIsEENS9_8equal_toIsEEsEE10hipError_tPvRmT2_T3_T4_T5_mT6_T7_P12ihipStream_tbENKUlT_T0_E_clISt17integral_constantIbLb1EESZ_EEDaSU_SV_EUlSU_E_NS1_11comp_targetILNS1_3genE2ELNS1_11target_archE906ELNS1_3gpuE6ELNS1_3repE0EEENS1_30default_config_static_selectorELNS0_4arch9wavefront6targetE0EEEvT1_,comdat
.Lfunc_end619:
	.size	_ZN7rocprim17ROCPRIM_400000_NS6detail17trampoline_kernelINS0_14default_configENS1_27scan_by_key_config_selectorIssEEZZNS1_16scan_by_key_implILNS1_25lookback_scan_determinismE0ELb1ES3_N6thrust23THRUST_200600_302600_NS6detail15normal_iteratorINS9_10device_ptrIsEEEESE_SE_sNS9_10multipliesIsEENS9_8equal_toIsEEsEE10hipError_tPvRmT2_T3_T4_T5_mT6_T7_P12ihipStream_tbENKUlT_T0_E_clISt17integral_constantIbLb1EESZ_EEDaSU_SV_EUlSU_E_NS1_11comp_targetILNS1_3genE2ELNS1_11target_archE906ELNS1_3gpuE6ELNS1_3repE0EEENS1_30default_config_static_selectorELNS0_4arch9wavefront6targetE0EEEvT1_, .Lfunc_end619-_ZN7rocprim17ROCPRIM_400000_NS6detail17trampoline_kernelINS0_14default_configENS1_27scan_by_key_config_selectorIssEEZZNS1_16scan_by_key_implILNS1_25lookback_scan_determinismE0ELb1ES3_N6thrust23THRUST_200600_302600_NS6detail15normal_iteratorINS9_10device_ptrIsEEEESE_SE_sNS9_10multipliesIsEENS9_8equal_toIsEEsEE10hipError_tPvRmT2_T3_T4_T5_mT6_T7_P12ihipStream_tbENKUlT_T0_E_clISt17integral_constantIbLb1EESZ_EEDaSU_SV_EUlSU_E_NS1_11comp_targetILNS1_3genE2ELNS1_11target_archE906ELNS1_3gpuE6ELNS1_3repE0EEENS1_30default_config_static_selectorELNS0_4arch9wavefront6targetE0EEEvT1_
                                        ; -- End function
	.set _ZN7rocprim17ROCPRIM_400000_NS6detail17trampoline_kernelINS0_14default_configENS1_27scan_by_key_config_selectorIssEEZZNS1_16scan_by_key_implILNS1_25lookback_scan_determinismE0ELb1ES3_N6thrust23THRUST_200600_302600_NS6detail15normal_iteratorINS9_10device_ptrIsEEEESE_SE_sNS9_10multipliesIsEENS9_8equal_toIsEEsEE10hipError_tPvRmT2_T3_T4_T5_mT6_T7_P12ihipStream_tbENKUlT_T0_E_clISt17integral_constantIbLb1EESZ_EEDaSU_SV_EUlSU_E_NS1_11comp_targetILNS1_3genE2ELNS1_11target_archE906ELNS1_3gpuE6ELNS1_3repE0EEENS1_30default_config_static_selectorELNS0_4arch9wavefront6targetE0EEEvT1_.num_vgpr, 0
	.set _ZN7rocprim17ROCPRIM_400000_NS6detail17trampoline_kernelINS0_14default_configENS1_27scan_by_key_config_selectorIssEEZZNS1_16scan_by_key_implILNS1_25lookback_scan_determinismE0ELb1ES3_N6thrust23THRUST_200600_302600_NS6detail15normal_iteratorINS9_10device_ptrIsEEEESE_SE_sNS9_10multipliesIsEENS9_8equal_toIsEEsEE10hipError_tPvRmT2_T3_T4_T5_mT6_T7_P12ihipStream_tbENKUlT_T0_E_clISt17integral_constantIbLb1EESZ_EEDaSU_SV_EUlSU_E_NS1_11comp_targetILNS1_3genE2ELNS1_11target_archE906ELNS1_3gpuE6ELNS1_3repE0EEENS1_30default_config_static_selectorELNS0_4arch9wavefront6targetE0EEEvT1_.num_agpr, 0
	.set _ZN7rocprim17ROCPRIM_400000_NS6detail17trampoline_kernelINS0_14default_configENS1_27scan_by_key_config_selectorIssEEZZNS1_16scan_by_key_implILNS1_25lookback_scan_determinismE0ELb1ES3_N6thrust23THRUST_200600_302600_NS6detail15normal_iteratorINS9_10device_ptrIsEEEESE_SE_sNS9_10multipliesIsEENS9_8equal_toIsEEsEE10hipError_tPvRmT2_T3_T4_T5_mT6_T7_P12ihipStream_tbENKUlT_T0_E_clISt17integral_constantIbLb1EESZ_EEDaSU_SV_EUlSU_E_NS1_11comp_targetILNS1_3genE2ELNS1_11target_archE906ELNS1_3gpuE6ELNS1_3repE0EEENS1_30default_config_static_selectorELNS0_4arch9wavefront6targetE0EEEvT1_.numbered_sgpr, 0
	.set _ZN7rocprim17ROCPRIM_400000_NS6detail17trampoline_kernelINS0_14default_configENS1_27scan_by_key_config_selectorIssEEZZNS1_16scan_by_key_implILNS1_25lookback_scan_determinismE0ELb1ES3_N6thrust23THRUST_200600_302600_NS6detail15normal_iteratorINS9_10device_ptrIsEEEESE_SE_sNS9_10multipliesIsEENS9_8equal_toIsEEsEE10hipError_tPvRmT2_T3_T4_T5_mT6_T7_P12ihipStream_tbENKUlT_T0_E_clISt17integral_constantIbLb1EESZ_EEDaSU_SV_EUlSU_E_NS1_11comp_targetILNS1_3genE2ELNS1_11target_archE906ELNS1_3gpuE6ELNS1_3repE0EEENS1_30default_config_static_selectorELNS0_4arch9wavefront6targetE0EEEvT1_.num_named_barrier, 0
	.set _ZN7rocprim17ROCPRIM_400000_NS6detail17trampoline_kernelINS0_14default_configENS1_27scan_by_key_config_selectorIssEEZZNS1_16scan_by_key_implILNS1_25lookback_scan_determinismE0ELb1ES3_N6thrust23THRUST_200600_302600_NS6detail15normal_iteratorINS9_10device_ptrIsEEEESE_SE_sNS9_10multipliesIsEENS9_8equal_toIsEEsEE10hipError_tPvRmT2_T3_T4_T5_mT6_T7_P12ihipStream_tbENKUlT_T0_E_clISt17integral_constantIbLb1EESZ_EEDaSU_SV_EUlSU_E_NS1_11comp_targetILNS1_3genE2ELNS1_11target_archE906ELNS1_3gpuE6ELNS1_3repE0EEENS1_30default_config_static_selectorELNS0_4arch9wavefront6targetE0EEEvT1_.private_seg_size, 0
	.set _ZN7rocprim17ROCPRIM_400000_NS6detail17trampoline_kernelINS0_14default_configENS1_27scan_by_key_config_selectorIssEEZZNS1_16scan_by_key_implILNS1_25lookback_scan_determinismE0ELb1ES3_N6thrust23THRUST_200600_302600_NS6detail15normal_iteratorINS9_10device_ptrIsEEEESE_SE_sNS9_10multipliesIsEENS9_8equal_toIsEEsEE10hipError_tPvRmT2_T3_T4_T5_mT6_T7_P12ihipStream_tbENKUlT_T0_E_clISt17integral_constantIbLb1EESZ_EEDaSU_SV_EUlSU_E_NS1_11comp_targetILNS1_3genE2ELNS1_11target_archE906ELNS1_3gpuE6ELNS1_3repE0EEENS1_30default_config_static_selectorELNS0_4arch9wavefront6targetE0EEEvT1_.uses_vcc, 0
	.set _ZN7rocprim17ROCPRIM_400000_NS6detail17trampoline_kernelINS0_14default_configENS1_27scan_by_key_config_selectorIssEEZZNS1_16scan_by_key_implILNS1_25lookback_scan_determinismE0ELb1ES3_N6thrust23THRUST_200600_302600_NS6detail15normal_iteratorINS9_10device_ptrIsEEEESE_SE_sNS9_10multipliesIsEENS9_8equal_toIsEEsEE10hipError_tPvRmT2_T3_T4_T5_mT6_T7_P12ihipStream_tbENKUlT_T0_E_clISt17integral_constantIbLb1EESZ_EEDaSU_SV_EUlSU_E_NS1_11comp_targetILNS1_3genE2ELNS1_11target_archE906ELNS1_3gpuE6ELNS1_3repE0EEENS1_30default_config_static_selectorELNS0_4arch9wavefront6targetE0EEEvT1_.uses_flat_scratch, 0
	.set _ZN7rocprim17ROCPRIM_400000_NS6detail17trampoline_kernelINS0_14default_configENS1_27scan_by_key_config_selectorIssEEZZNS1_16scan_by_key_implILNS1_25lookback_scan_determinismE0ELb1ES3_N6thrust23THRUST_200600_302600_NS6detail15normal_iteratorINS9_10device_ptrIsEEEESE_SE_sNS9_10multipliesIsEENS9_8equal_toIsEEsEE10hipError_tPvRmT2_T3_T4_T5_mT6_T7_P12ihipStream_tbENKUlT_T0_E_clISt17integral_constantIbLb1EESZ_EEDaSU_SV_EUlSU_E_NS1_11comp_targetILNS1_3genE2ELNS1_11target_archE906ELNS1_3gpuE6ELNS1_3repE0EEENS1_30default_config_static_selectorELNS0_4arch9wavefront6targetE0EEEvT1_.has_dyn_sized_stack, 0
	.set _ZN7rocprim17ROCPRIM_400000_NS6detail17trampoline_kernelINS0_14default_configENS1_27scan_by_key_config_selectorIssEEZZNS1_16scan_by_key_implILNS1_25lookback_scan_determinismE0ELb1ES3_N6thrust23THRUST_200600_302600_NS6detail15normal_iteratorINS9_10device_ptrIsEEEESE_SE_sNS9_10multipliesIsEENS9_8equal_toIsEEsEE10hipError_tPvRmT2_T3_T4_T5_mT6_T7_P12ihipStream_tbENKUlT_T0_E_clISt17integral_constantIbLb1EESZ_EEDaSU_SV_EUlSU_E_NS1_11comp_targetILNS1_3genE2ELNS1_11target_archE906ELNS1_3gpuE6ELNS1_3repE0EEENS1_30default_config_static_selectorELNS0_4arch9wavefront6targetE0EEEvT1_.has_recursion, 0
	.set _ZN7rocprim17ROCPRIM_400000_NS6detail17trampoline_kernelINS0_14default_configENS1_27scan_by_key_config_selectorIssEEZZNS1_16scan_by_key_implILNS1_25lookback_scan_determinismE0ELb1ES3_N6thrust23THRUST_200600_302600_NS6detail15normal_iteratorINS9_10device_ptrIsEEEESE_SE_sNS9_10multipliesIsEENS9_8equal_toIsEEsEE10hipError_tPvRmT2_T3_T4_T5_mT6_T7_P12ihipStream_tbENKUlT_T0_E_clISt17integral_constantIbLb1EESZ_EEDaSU_SV_EUlSU_E_NS1_11comp_targetILNS1_3genE2ELNS1_11target_archE906ELNS1_3gpuE6ELNS1_3repE0EEENS1_30default_config_static_selectorELNS0_4arch9wavefront6targetE0EEEvT1_.has_indirect_call, 0
	.section	.AMDGPU.csdata,"",@progbits
; Kernel info:
; codeLenInByte = 0
; TotalNumSgprs: 0
; NumVgprs: 0
; ScratchSize: 0
; MemoryBound: 0
; FloatMode: 240
; IeeeMode: 1
; LDSByteSize: 0 bytes/workgroup (compile time only)
; SGPRBlocks: 0
; VGPRBlocks: 0
; NumSGPRsForWavesPerEU: 1
; NumVGPRsForWavesPerEU: 1
; NamedBarCnt: 0
; Occupancy: 16
; WaveLimiterHint : 0
; COMPUTE_PGM_RSRC2:SCRATCH_EN: 0
; COMPUTE_PGM_RSRC2:USER_SGPR: 2
; COMPUTE_PGM_RSRC2:TRAP_HANDLER: 0
; COMPUTE_PGM_RSRC2:TGID_X_EN: 1
; COMPUTE_PGM_RSRC2:TGID_Y_EN: 0
; COMPUTE_PGM_RSRC2:TGID_Z_EN: 0
; COMPUTE_PGM_RSRC2:TIDIG_COMP_CNT: 0
	.section	.text._ZN7rocprim17ROCPRIM_400000_NS6detail17trampoline_kernelINS0_14default_configENS1_27scan_by_key_config_selectorIssEEZZNS1_16scan_by_key_implILNS1_25lookback_scan_determinismE0ELb1ES3_N6thrust23THRUST_200600_302600_NS6detail15normal_iteratorINS9_10device_ptrIsEEEESE_SE_sNS9_10multipliesIsEENS9_8equal_toIsEEsEE10hipError_tPvRmT2_T3_T4_T5_mT6_T7_P12ihipStream_tbENKUlT_T0_E_clISt17integral_constantIbLb1EESZ_EEDaSU_SV_EUlSU_E_NS1_11comp_targetILNS1_3genE10ELNS1_11target_archE1200ELNS1_3gpuE4ELNS1_3repE0EEENS1_30default_config_static_selectorELNS0_4arch9wavefront6targetE0EEEvT1_,"axG",@progbits,_ZN7rocprim17ROCPRIM_400000_NS6detail17trampoline_kernelINS0_14default_configENS1_27scan_by_key_config_selectorIssEEZZNS1_16scan_by_key_implILNS1_25lookback_scan_determinismE0ELb1ES3_N6thrust23THRUST_200600_302600_NS6detail15normal_iteratorINS9_10device_ptrIsEEEESE_SE_sNS9_10multipliesIsEENS9_8equal_toIsEEsEE10hipError_tPvRmT2_T3_T4_T5_mT6_T7_P12ihipStream_tbENKUlT_T0_E_clISt17integral_constantIbLb1EESZ_EEDaSU_SV_EUlSU_E_NS1_11comp_targetILNS1_3genE10ELNS1_11target_archE1200ELNS1_3gpuE4ELNS1_3repE0EEENS1_30default_config_static_selectorELNS0_4arch9wavefront6targetE0EEEvT1_,comdat
	.protected	_ZN7rocprim17ROCPRIM_400000_NS6detail17trampoline_kernelINS0_14default_configENS1_27scan_by_key_config_selectorIssEEZZNS1_16scan_by_key_implILNS1_25lookback_scan_determinismE0ELb1ES3_N6thrust23THRUST_200600_302600_NS6detail15normal_iteratorINS9_10device_ptrIsEEEESE_SE_sNS9_10multipliesIsEENS9_8equal_toIsEEsEE10hipError_tPvRmT2_T3_T4_T5_mT6_T7_P12ihipStream_tbENKUlT_T0_E_clISt17integral_constantIbLb1EESZ_EEDaSU_SV_EUlSU_E_NS1_11comp_targetILNS1_3genE10ELNS1_11target_archE1200ELNS1_3gpuE4ELNS1_3repE0EEENS1_30default_config_static_selectorELNS0_4arch9wavefront6targetE0EEEvT1_ ; -- Begin function _ZN7rocprim17ROCPRIM_400000_NS6detail17trampoline_kernelINS0_14default_configENS1_27scan_by_key_config_selectorIssEEZZNS1_16scan_by_key_implILNS1_25lookback_scan_determinismE0ELb1ES3_N6thrust23THRUST_200600_302600_NS6detail15normal_iteratorINS9_10device_ptrIsEEEESE_SE_sNS9_10multipliesIsEENS9_8equal_toIsEEsEE10hipError_tPvRmT2_T3_T4_T5_mT6_T7_P12ihipStream_tbENKUlT_T0_E_clISt17integral_constantIbLb1EESZ_EEDaSU_SV_EUlSU_E_NS1_11comp_targetILNS1_3genE10ELNS1_11target_archE1200ELNS1_3gpuE4ELNS1_3repE0EEENS1_30default_config_static_selectorELNS0_4arch9wavefront6targetE0EEEvT1_
	.globl	_ZN7rocprim17ROCPRIM_400000_NS6detail17trampoline_kernelINS0_14default_configENS1_27scan_by_key_config_selectorIssEEZZNS1_16scan_by_key_implILNS1_25lookback_scan_determinismE0ELb1ES3_N6thrust23THRUST_200600_302600_NS6detail15normal_iteratorINS9_10device_ptrIsEEEESE_SE_sNS9_10multipliesIsEENS9_8equal_toIsEEsEE10hipError_tPvRmT2_T3_T4_T5_mT6_T7_P12ihipStream_tbENKUlT_T0_E_clISt17integral_constantIbLb1EESZ_EEDaSU_SV_EUlSU_E_NS1_11comp_targetILNS1_3genE10ELNS1_11target_archE1200ELNS1_3gpuE4ELNS1_3repE0EEENS1_30default_config_static_selectorELNS0_4arch9wavefront6targetE0EEEvT1_
	.p2align	8
	.type	_ZN7rocprim17ROCPRIM_400000_NS6detail17trampoline_kernelINS0_14default_configENS1_27scan_by_key_config_selectorIssEEZZNS1_16scan_by_key_implILNS1_25lookback_scan_determinismE0ELb1ES3_N6thrust23THRUST_200600_302600_NS6detail15normal_iteratorINS9_10device_ptrIsEEEESE_SE_sNS9_10multipliesIsEENS9_8equal_toIsEEsEE10hipError_tPvRmT2_T3_T4_T5_mT6_T7_P12ihipStream_tbENKUlT_T0_E_clISt17integral_constantIbLb1EESZ_EEDaSU_SV_EUlSU_E_NS1_11comp_targetILNS1_3genE10ELNS1_11target_archE1200ELNS1_3gpuE4ELNS1_3repE0EEENS1_30default_config_static_selectorELNS0_4arch9wavefront6targetE0EEEvT1_,@function
_ZN7rocprim17ROCPRIM_400000_NS6detail17trampoline_kernelINS0_14default_configENS1_27scan_by_key_config_selectorIssEEZZNS1_16scan_by_key_implILNS1_25lookback_scan_determinismE0ELb1ES3_N6thrust23THRUST_200600_302600_NS6detail15normal_iteratorINS9_10device_ptrIsEEEESE_SE_sNS9_10multipliesIsEENS9_8equal_toIsEEsEE10hipError_tPvRmT2_T3_T4_T5_mT6_T7_P12ihipStream_tbENKUlT_T0_E_clISt17integral_constantIbLb1EESZ_EEDaSU_SV_EUlSU_E_NS1_11comp_targetILNS1_3genE10ELNS1_11target_archE1200ELNS1_3gpuE4ELNS1_3repE0EEENS1_30default_config_static_selectorELNS0_4arch9wavefront6targetE0EEEvT1_: ; @_ZN7rocprim17ROCPRIM_400000_NS6detail17trampoline_kernelINS0_14default_configENS1_27scan_by_key_config_selectorIssEEZZNS1_16scan_by_key_implILNS1_25lookback_scan_determinismE0ELb1ES3_N6thrust23THRUST_200600_302600_NS6detail15normal_iteratorINS9_10device_ptrIsEEEESE_SE_sNS9_10multipliesIsEENS9_8equal_toIsEEsEE10hipError_tPvRmT2_T3_T4_T5_mT6_T7_P12ihipStream_tbENKUlT_T0_E_clISt17integral_constantIbLb1EESZ_EEDaSU_SV_EUlSU_E_NS1_11comp_targetILNS1_3genE10ELNS1_11target_archE1200ELNS1_3gpuE4ELNS1_3repE0EEENS1_30default_config_static_selectorELNS0_4arch9wavefront6targetE0EEEvT1_
; %bb.0:
	.section	.rodata,"a",@progbits
	.p2align	6, 0x0
	.amdhsa_kernel _ZN7rocprim17ROCPRIM_400000_NS6detail17trampoline_kernelINS0_14default_configENS1_27scan_by_key_config_selectorIssEEZZNS1_16scan_by_key_implILNS1_25lookback_scan_determinismE0ELb1ES3_N6thrust23THRUST_200600_302600_NS6detail15normal_iteratorINS9_10device_ptrIsEEEESE_SE_sNS9_10multipliesIsEENS9_8equal_toIsEEsEE10hipError_tPvRmT2_T3_T4_T5_mT6_T7_P12ihipStream_tbENKUlT_T0_E_clISt17integral_constantIbLb1EESZ_EEDaSU_SV_EUlSU_E_NS1_11comp_targetILNS1_3genE10ELNS1_11target_archE1200ELNS1_3gpuE4ELNS1_3repE0EEENS1_30default_config_static_selectorELNS0_4arch9wavefront6targetE0EEEvT1_
		.amdhsa_group_segment_fixed_size 0
		.amdhsa_private_segment_fixed_size 0
		.amdhsa_kernarg_size 112
		.amdhsa_user_sgpr_count 2
		.amdhsa_user_sgpr_dispatch_ptr 0
		.amdhsa_user_sgpr_queue_ptr 0
		.amdhsa_user_sgpr_kernarg_segment_ptr 1
		.amdhsa_user_sgpr_dispatch_id 0
		.amdhsa_user_sgpr_kernarg_preload_length 0
		.amdhsa_user_sgpr_kernarg_preload_offset 0
		.amdhsa_user_sgpr_private_segment_size 0
		.amdhsa_wavefront_size32 1
		.amdhsa_uses_dynamic_stack 0
		.amdhsa_enable_private_segment 0
		.amdhsa_system_sgpr_workgroup_id_x 1
		.amdhsa_system_sgpr_workgroup_id_y 0
		.amdhsa_system_sgpr_workgroup_id_z 0
		.amdhsa_system_sgpr_workgroup_info 0
		.amdhsa_system_vgpr_workitem_id 0
		.amdhsa_next_free_vgpr 1
		.amdhsa_next_free_sgpr 1
		.amdhsa_named_barrier_count 0
		.amdhsa_reserve_vcc 0
		.amdhsa_float_round_mode_32 0
		.amdhsa_float_round_mode_16_64 0
		.amdhsa_float_denorm_mode_32 3
		.amdhsa_float_denorm_mode_16_64 3
		.amdhsa_fp16_overflow 0
		.amdhsa_memory_ordered 1
		.amdhsa_forward_progress 1
		.amdhsa_inst_pref_size 0
		.amdhsa_round_robin_scheduling 0
		.amdhsa_exception_fp_ieee_invalid_op 0
		.amdhsa_exception_fp_denorm_src 0
		.amdhsa_exception_fp_ieee_div_zero 0
		.amdhsa_exception_fp_ieee_overflow 0
		.amdhsa_exception_fp_ieee_underflow 0
		.amdhsa_exception_fp_ieee_inexact 0
		.amdhsa_exception_int_div_zero 0
	.end_amdhsa_kernel
	.section	.text._ZN7rocprim17ROCPRIM_400000_NS6detail17trampoline_kernelINS0_14default_configENS1_27scan_by_key_config_selectorIssEEZZNS1_16scan_by_key_implILNS1_25lookback_scan_determinismE0ELb1ES3_N6thrust23THRUST_200600_302600_NS6detail15normal_iteratorINS9_10device_ptrIsEEEESE_SE_sNS9_10multipliesIsEENS9_8equal_toIsEEsEE10hipError_tPvRmT2_T3_T4_T5_mT6_T7_P12ihipStream_tbENKUlT_T0_E_clISt17integral_constantIbLb1EESZ_EEDaSU_SV_EUlSU_E_NS1_11comp_targetILNS1_3genE10ELNS1_11target_archE1200ELNS1_3gpuE4ELNS1_3repE0EEENS1_30default_config_static_selectorELNS0_4arch9wavefront6targetE0EEEvT1_,"axG",@progbits,_ZN7rocprim17ROCPRIM_400000_NS6detail17trampoline_kernelINS0_14default_configENS1_27scan_by_key_config_selectorIssEEZZNS1_16scan_by_key_implILNS1_25lookback_scan_determinismE0ELb1ES3_N6thrust23THRUST_200600_302600_NS6detail15normal_iteratorINS9_10device_ptrIsEEEESE_SE_sNS9_10multipliesIsEENS9_8equal_toIsEEsEE10hipError_tPvRmT2_T3_T4_T5_mT6_T7_P12ihipStream_tbENKUlT_T0_E_clISt17integral_constantIbLb1EESZ_EEDaSU_SV_EUlSU_E_NS1_11comp_targetILNS1_3genE10ELNS1_11target_archE1200ELNS1_3gpuE4ELNS1_3repE0EEENS1_30default_config_static_selectorELNS0_4arch9wavefront6targetE0EEEvT1_,comdat
.Lfunc_end620:
	.size	_ZN7rocprim17ROCPRIM_400000_NS6detail17trampoline_kernelINS0_14default_configENS1_27scan_by_key_config_selectorIssEEZZNS1_16scan_by_key_implILNS1_25lookback_scan_determinismE0ELb1ES3_N6thrust23THRUST_200600_302600_NS6detail15normal_iteratorINS9_10device_ptrIsEEEESE_SE_sNS9_10multipliesIsEENS9_8equal_toIsEEsEE10hipError_tPvRmT2_T3_T4_T5_mT6_T7_P12ihipStream_tbENKUlT_T0_E_clISt17integral_constantIbLb1EESZ_EEDaSU_SV_EUlSU_E_NS1_11comp_targetILNS1_3genE10ELNS1_11target_archE1200ELNS1_3gpuE4ELNS1_3repE0EEENS1_30default_config_static_selectorELNS0_4arch9wavefront6targetE0EEEvT1_, .Lfunc_end620-_ZN7rocprim17ROCPRIM_400000_NS6detail17trampoline_kernelINS0_14default_configENS1_27scan_by_key_config_selectorIssEEZZNS1_16scan_by_key_implILNS1_25lookback_scan_determinismE0ELb1ES3_N6thrust23THRUST_200600_302600_NS6detail15normal_iteratorINS9_10device_ptrIsEEEESE_SE_sNS9_10multipliesIsEENS9_8equal_toIsEEsEE10hipError_tPvRmT2_T3_T4_T5_mT6_T7_P12ihipStream_tbENKUlT_T0_E_clISt17integral_constantIbLb1EESZ_EEDaSU_SV_EUlSU_E_NS1_11comp_targetILNS1_3genE10ELNS1_11target_archE1200ELNS1_3gpuE4ELNS1_3repE0EEENS1_30default_config_static_selectorELNS0_4arch9wavefront6targetE0EEEvT1_
                                        ; -- End function
	.set _ZN7rocprim17ROCPRIM_400000_NS6detail17trampoline_kernelINS0_14default_configENS1_27scan_by_key_config_selectorIssEEZZNS1_16scan_by_key_implILNS1_25lookback_scan_determinismE0ELb1ES3_N6thrust23THRUST_200600_302600_NS6detail15normal_iteratorINS9_10device_ptrIsEEEESE_SE_sNS9_10multipliesIsEENS9_8equal_toIsEEsEE10hipError_tPvRmT2_T3_T4_T5_mT6_T7_P12ihipStream_tbENKUlT_T0_E_clISt17integral_constantIbLb1EESZ_EEDaSU_SV_EUlSU_E_NS1_11comp_targetILNS1_3genE10ELNS1_11target_archE1200ELNS1_3gpuE4ELNS1_3repE0EEENS1_30default_config_static_selectorELNS0_4arch9wavefront6targetE0EEEvT1_.num_vgpr, 0
	.set _ZN7rocprim17ROCPRIM_400000_NS6detail17trampoline_kernelINS0_14default_configENS1_27scan_by_key_config_selectorIssEEZZNS1_16scan_by_key_implILNS1_25lookback_scan_determinismE0ELb1ES3_N6thrust23THRUST_200600_302600_NS6detail15normal_iteratorINS9_10device_ptrIsEEEESE_SE_sNS9_10multipliesIsEENS9_8equal_toIsEEsEE10hipError_tPvRmT2_T3_T4_T5_mT6_T7_P12ihipStream_tbENKUlT_T0_E_clISt17integral_constantIbLb1EESZ_EEDaSU_SV_EUlSU_E_NS1_11comp_targetILNS1_3genE10ELNS1_11target_archE1200ELNS1_3gpuE4ELNS1_3repE0EEENS1_30default_config_static_selectorELNS0_4arch9wavefront6targetE0EEEvT1_.num_agpr, 0
	.set _ZN7rocprim17ROCPRIM_400000_NS6detail17trampoline_kernelINS0_14default_configENS1_27scan_by_key_config_selectorIssEEZZNS1_16scan_by_key_implILNS1_25lookback_scan_determinismE0ELb1ES3_N6thrust23THRUST_200600_302600_NS6detail15normal_iteratorINS9_10device_ptrIsEEEESE_SE_sNS9_10multipliesIsEENS9_8equal_toIsEEsEE10hipError_tPvRmT2_T3_T4_T5_mT6_T7_P12ihipStream_tbENKUlT_T0_E_clISt17integral_constantIbLb1EESZ_EEDaSU_SV_EUlSU_E_NS1_11comp_targetILNS1_3genE10ELNS1_11target_archE1200ELNS1_3gpuE4ELNS1_3repE0EEENS1_30default_config_static_selectorELNS0_4arch9wavefront6targetE0EEEvT1_.numbered_sgpr, 0
	.set _ZN7rocprim17ROCPRIM_400000_NS6detail17trampoline_kernelINS0_14default_configENS1_27scan_by_key_config_selectorIssEEZZNS1_16scan_by_key_implILNS1_25lookback_scan_determinismE0ELb1ES3_N6thrust23THRUST_200600_302600_NS6detail15normal_iteratorINS9_10device_ptrIsEEEESE_SE_sNS9_10multipliesIsEENS9_8equal_toIsEEsEE10hipError_tPvRmT2_T3_T4_T5_mT6_T7_P12ihipStream_tbENKUlT_T0_E_clISt17integral_constantIbLb1EESZ_EEDaSU_SV_EUlSU_E_NS1_11comp_targetILNS1_3genE10ELNS1_11target_archE1200ELNS1_3gpuE4ELNS1_3repE0EEENS1_30default_config_static_selectorELNS0_4arch9wavefront6targetE0EEEvT1_.num_named_barrier, 0
	.set _ZN7rocprim17ROCPRIM_400000_NS6detail17trampoline_kernelINS0_14default_configENS1_27scan_by_key_config_selectorIssEEZZNS1_16scan_by_key_implILNS1_25lookback_scan_determinismE0ELb1ES3_N6thrust23THRUST_200600_302600_NS6detail15normal_iteratorINS9_10device_ptrIsEEEESE_SE_sNS9_10multipliesIsEENS9_8equal_toIsEEsEE10hipError_tPvRmT2_T3_T4_T5_mT6_T7_P12ihipStream_tbENKUlT_T0_E_clISt17integral_constantIbLb1EESZ_EEDaSU_SV_EUlSU_E_NS1_11comp_targetILNS1_3genE10ELNS1_11target_archE1200ELNS1_3gpuE4ELNS1_3repE0EEENS1_30default_config_static_selectorELNS0_4arch9wavefront6targetE0EEEvT1_.private_seg_size, 0
	.set _ZN7rocprim17ROCPRIM_400000_NS6detail17trampoline_kernelINS0_14default_configENS1_27scan_by_key_config_selectorIssEEZZNS1_16scan_by_key_implILNS1_25lookback_scan_determinismE0ELb1ES3_N6thrust23THRUST_200600_302600_NS6detail15normal_iteratorINS9_10device_ptrIsEEEESE_SE_sNS9_10multipliesIsEENS9_8equal_toIsEEsEE10hipError_tPvRmT2_T3_T4_T5_mT6_T7_P12ihipStream_tbENKUlT_T0_E_clISt17integral_constantIbLb1EESZ_EEDaSU_SV_EUlSU_E_NS1_11comp_targetILNS1_3genE10ELNS1_11target_archE1200ELNS1_3gpuE4ELNS1_3repE0EEENS1_30default_config_static_selectorELNS0_4arch9wavefront6targetE0EEEvT1_.uses_vcc, 0
	.set _ZN7rocprim17ROCPRIM_400000_NS6detail17trampoline_kernelINS0_14default_configENS1_27scan_by_key_config_selectorIssEEZZNS1_16scan_by_key_implILNS1_25lookback_scan_determinismE0ELb1ES3_N6thrust23THRUST_200600_302600_NS6detail15normal_iteratorINS9_10device_ptrIsEEEESE_SE_sNS9_10multipliesIsEENS9_8equal_toIsEEsEE10hipError_tPvRmT2_T3_T4_T5_mT6_T7_P12ihipStream_tbENKUlT_T0_E_clISt17integral_constantIbLb1EESZ_EEDaSU_SV_EUlSU_E_NS1_11comp_targetILNS1_3genE10ELNS1_11target_archE1200ELNS1_3gpuE4ELNS1_3repE0EEENS1_30default_config_static_selectorELNS0_4arch9wavefront6targetE0EEEvT1_.uses_flat_scratch, 0
	.set _ZN7rocprim17ROCPRIM_400000_NS6detail17trampoline_kernelINS0_14default_configENS1_27scan_by_key_config_selectorIssEEZZNS1_16scan_by_key_implILNS1_25lookback_scan_determinismE0ELb1ES3_N6thrust23THRUST_200600_302600_NS6detail15normal_iteratorINS9_10device_ptrIsEEEESE_SE_sNS9_10multipliesIsEENS9_8equal_toIsEEsEE10hipError_tPvRmT2_T3_T4_T5_mT6_T7_P12ihipStream_tbENKUlT_T0_E_clISt17integral_constantIbLb1EESZ_EEDaSU_SV_EUlSU_E_NS1_11comp_targetILNS1_3genE10ELNS1_11target_archE1200ELNS1_3gpuE4ELNS1_3repE0EEENS1_30default_config_static_selectorELNS0_4arch9wavefront6targetE0EEEvT1_.has_dyn_sized_stack, 0
	.set _ZN7rocprim17ROCPRIM_400000_NS6detail17trampoline_kernelINS0_14default_configENS1_27scan_by_key_config_selectorIssEEZZNS1_16scan_by_key_implILNS1_25lookback_scan_determinismE0ELb1ES3_N6thrust23THRUST_200600_302600_NS6detail15normal_iteratorINS9_10device_ptrIsEEEESE_SE_sNS9_10multipliesIsEENS9_8equal_toIsEEsEE10hipError_tPvRmT2_T3_T4_T5_mT6_T7_P12ihipStream_tbENKUlT_T0_E_clISt17integral_constantIbLb1EESZ_EEDaSU_SV_EUlSU_E_NS1_11comp_targetILNS1_3genE10ELNS1_11target_archE1200ELNS1_3gpuE4ELNS1_3repE0EEENS1_30default_config_static_selectorELNS0_4arch9wavefront6targetE0EEEvT1_.has_recursion, 0
	.set _ZN7rocprim17ROCPRIM_400000_NS6detail17trampoline_kernelINS0_14default_configENS1_27scan_by_key_config_selectorIssEEZZNS1_16scan_by_key_implILNS1_25lookback_scan_determinismE0ELb1ES3_N6thrust23THRUST_200600_302600_NS6detail15normal_iteratorINS9_10device_ptrIsEEEESE_SE_sNS9_10multipliesIsEENS9_8equal_toIsEEsEE10hipError_tPvRmT2_T3_T4_T5_mT6_T7_P12ihipStream_tbENKUlT_T0_E_clISt17integral_constantIbLb1EESZ_EEDaSU_SV_EUlSU_E_NS1_11comp_targetILNS1_3genE10ELNS1_11target_archE1200ELNS1_3gpuE4ELNS1_3repE0EEENS1_30default_config_static_selectorELNS0_4arch9wavefront6targetE0EEEvT1_.has_indirect_call, 0
	.section	.AMDGPU.csdata,"",@progbits
; Kernel info:
; codeLenInByte = 0
; TotalNumSgprs: 0
; NumVgprs: 0
; ScratchSize: 0
; MemoryBound: 0
; FloatMode: 240
; IeeeMode: 1
; LDSByteSize: 0 bytes/workgroup (compile time only)
; SGPRBlocks: 0
; VGPRBlocks: 0
; NumSGPRsForWavesPerEU: 1
; NumVGPRsForWavesPerEU: 1
; NamedBarCnt: 0
; Occupancy: 16
; WaveLimiterHint : 0
; COMPUTE_PGM_RSRC2:SCRATCH_EN: 0
; COMPUTE_PGM_RSRC2:USER_SGPR: 2
; COMPUTE_PGM_RSRC2:TRAP_HANDLER: 0
; COMPUTE_PGM_RSRC2:TGID_X_EN: 1
; COMPUTE_PGM_RSRC2:TGID_Y_EN: 0
; COMPUTE_PGM_RSRC2:TGID_Z_EN: 0
; COMPUTE_PGM_RSRC2:TIDIG_COMP_CNT: 0
	.section	.text._ZN7rocprim17ROCPRIM_400000_NS6detail17trampoline_kernelINS0_14default_configENS1_27scan_by_key_config_selectorIssEEZZNS1_16scan_by_key_implILNS1_25lookback_scan_determinismE0ELb1ES3_N6thrust23THRUST_200600_302600_NS6detail15normal_iteratorINS9_10device_ptrIsEEEESE_SE_sNS9_10multipliesIsEENS9_8equal_toIsEEsEE10hipError_tPvRmT2_T3_T4_T5_mT6_T7_P12ihipStream_tbENKUlT_T0_E_clISt17integral_constantIbLb1EESZ_EEDaSU_SV_EUlSU_E_NS1_11comp_targetILNS1_3genE9ELNS1_11target_archE1100ELNS1_3gpuE3ELNS1_3repE0EEENS1_30default_config_static_selectorELNS0_4arch9wavefront6targetE0EEEvT1_,"axG",@progbits,_ZN7rocprim17ROCPRIM_400000_NS6detail17trampoline_kernelINS0_14default_configENS1_27scan_by_key_config_selectorIssEEZZNS1_16scan_by_key_implILNS1_25lookback_scan_determinismE0ELb1ES3_N6thrust23THRUST_200600_302600_NS6detail15normal_iteratorINS9_10device_ptrIsEEEESE_SE_sNS9_10multipliesIsEENS9_8equal_toIsEEsEE10hipError_tPvRmT2_T3_T4_T5_mT6_T7_P12ihipStream_tbENKUlT_T0_E_clISt17integral_constantIbLb1EESZ_EEDaSU_SV_EUlSU_E_NS1_11comp_targetILNS1_3genE9ELNS1_11target_archE1100ELNS1_3gpuE3ELNS1_3repE0EEENS1_30default_config_static_selectorELNS0_4arch9wavefront6targetE0EEEvT1_,comdat
	.protected	_ZN7rocprim17ROCPRIM_400000_NS6detail17trampoline_kernelINS0_14default_configENS1_27scan_by_key_config_selectorIssEEZZNS1_16scan_by_key_implILNS1_25lookback_scan_determinismE0ELb1ES3_N6thrust23THRUST_200600_302600_NS6detail15normal_iteratorINS9_10device_ptrIsEEEESE_SE_sNS9_10multipliesIsEENS9_8equal_toIsEEsEE10hipError_tPvRmT2_T3_T4_T5_mT6_T7_P12ihipStream_tbENKUlT_T0_E_clISt17integral_constantIbLb1EESZ_EEDaSU_SV_EUlSU_E_NS1_11comp_targetILNS1_3genE9ELNS1_11target_archE1100ELNS1_3gpuE3ELNS1_3repE0EEENS1_30default_config_static_selectorELNS0_4arch9wavefront6targetE0EEEvT1_ ; -- Begin function _ZN7rocprim17ROCPRIM_400000_NS6detail17trampoline_kernelINS0_14default_configENS1_27scan_by_key_config_selectorIssEEZZNS1_16scan_by_key_implILNS1_25lookback_scan_determinismE0ELb1ES3_N6thrust23THRUST_200600_302600_NS6detail15normal_iteratorINS9_10device_ptrIsEEEESE_SE_sNS9_10multipliesIsEENS9_8equal_toIsEEsEE10hipError_tPvRmT2_T3_T4_T5_mT6_T7_P12ihipStream_tbENKUlT_T0_E_clISt17integral_constantIbLb1EESZ_EEDaSU_SV_EUlSU_E_NS1_11comp_targetILNS1_3genE9ELNS1_11target_archE1100ELNS1_3gpuE3ELNS1_3repE0EEENS1_30default_config_static_selectorELNS0_4arch9wavefront6targetE0EEEvT1_
	.globl	_ZN7rocprim17ROCPRIM_400000_NS6detail17trampoline_kernelINS0_14default_configENS1_27scan_by_key_config_selectorIssEEZZNS1_16scan_by_key_implILNS1_25lookback_scan_determinismE0ELb1ES3_N6thrust23THRUST_200600_302600_NS6detail15normal_iteratorINS9_10device_ptrIsEEEESE_SE_sNS9_10multipliesIsEENS9_8equal_toIsEEsEE10hipError_tPvRmT2_T3_T4_T5_mT6_T7_P12ihipStream_tbENKUlT_T0_E_clISt17integral_constantIbLb1EESZ_EEDaSU_SV_EUlSU_E_NS1_11comp_targetILNS1_3genE9ELNS1_11target_archE1100ELNS1_3gpuE3ELNS1_3repE0EEENS1_30default_config_static_selectorELNS0_4arch9wavefront6targetE0EEEvT1_
	.p2align	8
	.type	_ZN7rocprim17ROCPRIM_400000_NS6detail17trampoline_kernelINS0_14default_configENS1_27scan_by_key_config_selectorIssEEZZNS1_16scan_by_key_implILNS1_25lookback_scan_determinismE0ELb1ES3_N6thrust23THRUST_200600_302600_NS6detail15normal_iteratorINS9_10device_ptrIsEEEESE_SE_sNS9_10multipliesIsEENS9_8equal_toIsEEsEE10hipError_tPvRmT2_T3_T4_T5_mT6_T7_P12ihipStream_tbENKUlT_T0_E_clISt17integral_constantIbLb1EESZ_EEDaSU_SV_EUlSU_E_NS1_11comp_targetILNS1_3genE9ELNS1_11target_archE1100ELNS1_3gpuE3ELNS1_3repE0EEENS1_30default_config_static_selectorELNS0_4arch9wavefront6targetE0EEEvT1_,@function
_ZN7rocprim17ROCPRIM_400000_NS6detail17trampoline_kernelINS0_14default_configENS1_27scan_by_key_config_selectorIssEEZZNS1_16scan_by_key_implILNS1_25lookback_scan_determinismE0ELb1ES3_N6thrust23THRUST_200600_302600_NS6detail15normal_iteratorINS9_10device_ptrIsEEEESE_SE_sNS9_10multipliesIsEENS9_8equal_toIsEEsEE10hipError_tPvRmT2_T3_T4_T5_mT6_T7_P12ihipStream_tbENKUlT_T0_E_clISt17integral_constantIbLb1EESZ_EEDaSU_SV_EUlSU_E_NS1_11comp_targetILNS1_3genE9ELNS1_11target_archE1100ELNS1_3gpuE3ELNS1_3repE0EEENS1_30default_config_static_selectorELNS0_4arch9wavefront6targetE0EEEvT1_: ; @_ZN7rocprim17ROCPRIM_400000_NS6detail17trampoline_kernelINS0_14default_configENS1_27scan_by_key_config_selectorIssEEZZNS1_16scan_by_key_implILNS1_25lookback_scan_determinismE0ELb1ES3_N6thrust23THRUST_200600_302600_NS6detail15normal_iteratorINS9_10device_ptrIsEEEESE_SE_sNS9_10multipliesIsEENS9_8equal_toIsEEsEE10hipError_tPvRmT2_T3_T4_T5_mT6_T7_P12ihipStream_tbENKUlT_T0_E_clISt17integral_constantIbLb1EESZ_EEDaSU_SV_EUlSU_E_NS1_11comp_targetILNS1_3genE9ELNS1_11target_archE1100ELNS1_3gpuE3ELNS1_3repE0EEENS1_30default_config_static_selectorELNS0_4arch9wavefront6targetE0EEEvT1_
; %bb.0:
	.section	.rodata,"a",@progbits
	.p2align	6, 0x0
	.amdhsa_kernel _ZN7rocprim17ROCPRIM_400000_NS6detail17trampoline_kernelINS0_14default_configENS1_27scan_by_key_config_selectorIssEEZZNS1_16scan_by_key_implILNS1_25lookback_scan_determinismE0ELb1ES3_N6thrust23THRUST_200600_302600_NS6detail15normal_iteratorINS9_10device_ptrIsEEEESE_SE_sNS9_10multipliesIsEENS9_8equal_toIsEEsEE10hipError_tPvRmT2_T3_T4_T5_mT6_T7_P12ihipStream_tbENKUlT_T0_E_clISt17integral_constantIbLb1EESZ_EEDaSU_SV_EUlSU_E_NS1_11comp_targetILNS1_3genE9ELNS1_11target_archE1100ELNS1_3gpuE3ELNS1_3repE0EEENS1_30default_config_static_selectorELNS0_4arch9wavefront6targetE0EEEvT1_
		.amdhsa_group_segment_fixed_size 0
		.amdhsa_private_segment_fixed_size 0
		.amdhsa_kernarg_size 112
		.amdhsa_user_sgpr_count 2
		.amdhsa_user_sgpr_dispatch_ptr 0
		.amdhsa_user_sgpr_queue_ptr 0
		.amdhsa_user_sgpr_kernarg_segment_ptr 1
		.amdhsa_user_sgpr_dispatch_id 0
		.amdhsa_user_sgpr_kernarg_preload_length 0
		.amdhsa_user_sgpr_kernarg_preload_offset 0
		.amdhsa_user_sgpr_private_segment_size 0
		.amdhsa_wavefront_size32 1
		.amdhsa_uses_dynamic_stack 0
		.amdhsa_enable_private_segment 0
		.amdhsa_system_sgpr_workgroup_id_x 1
		.amdhsa_system_sgpr_workgroup_id_y 0
		.amdhsa_system_sgpr_workgroup_id_z 0
		.amdhsa_system_sgpr_workgroup_info 0
		.amdhsa_system_vgpr_workitem_id 0
		.amdhsa_next_free_vgpr 1
		.amdhsa_next_free_sgpr 1
		.amdhsa_named_barrier_count 0
		.amdhsa_reserve_vcc 0
		.amdhsa_float_round_mode_32 0
		.amdhsa_float_round_mode_16_64 0
		.amdhsa_float_denorm_mode_32 3
		.amdhsa_float_denorm_mode_16_64 3
		.amdhsa_fp16_overflow 0
		.amdhsa_memory_ordered 1
		.amdhsa_forward_progress 1
		.amdhsa_inst_pref_size 0
		.amdhsa_round_robin_scheduling 0
		.amdhsa_exception_fp_ieee_invalid_op 0
		.amdhsa_exception_fp_denorm_src 0
		.amdhsa_exception_fp_ieee_div_zero 0
		.amdhsa_exception_fp_ieee_overflow 0
		.amdhsa_exception_fp_ieee_underflow 0
		.amdhsa_exception_fp_ieee_inexact 0
		.amdhsa_exception_int_div_zero 0
	.end_amdhsa_kernel
	.section	.text._ZN7rocprim17ROCPRIM_400000_NS6detail17trampoline_kernelINS0_14default_configENS1_27scan_by_key_config_selectorIssEEZZNS1_16scan_by_key_implILNS1_25lookback_scan_determinismE0ELb1ES3_N6thrust23THRUST_200600_302600_NS6detail15normal_iteratorINS9_10device_ptrIsEEEESE_SE_sNS9_10multipliesIsEENS9_8equal_toIsEEsEE10hipError_tPvRmT2_T3_T4_T5_mT6_T7_P12ihipStream_tbENKUlT_T0_E_clISt17integral_constantIbLb1EESZ_EEDaSU_SV_EUlSU_E_NS1_11comp_targetILNS1_3genE9ELNS1_11target_archE1100ELNS1_3gpuE3ELNS1_3repE0EEENS1_30default_config_static_selectorELNS0_4arch9wavefront6targetE0EEEvT1_,"axG",@progbits,_ZN7rocprim17ROCPRIM_400000_NS6detail17trampoline_kernelINS0_14default_configENS1_27scan_by_key_config_selectorIssEEZZNS1_16scan_by_key_implILNS1_25lookback_scan_determinismE0ELb1ES3_N6thrust23THRUST_200600_302600_NS6detail15normal_iteratorINS9_10device_ptrIsEEEESE_SE_sNS9_10multipliesIsEENS9_8equal_toIsEEsEE10hipError_tPvRmT2_T3_T4_T5_mT6_T7_P12ihipStream_tbENKUlT_T0_E_clISt17integral_constantIbLb1EESZ_EEDaSU_SV_EUlSU_E_NS1_11comp_targetILNS1_3genE9ELNS1_11target_archE1100ELNS1_3gpuE3ELNS1_3repE0EEENS1_30default_config_static_selectorELNS0_4arch9wavefront6targetE0EEEvT1_,comdat
.Lfunc_end621:
	.size	_ZN7rocprim17ROCPRIM_400000_NS6detail17trampoline_kernelINS0_14default_configENS1_27scan_by_key_config_selectorIssEEZZNS1_16scan_by_key_implILNS1_25lookback_scan_determinismE0ELb1ES3_N6thrust23THRUST_200600_302600_NS6detail15normal_iteratorINS9_10device_ptrIsEEEESE_SE_sNS9_10multipliesIsEENS9_8equal_toIsEEsEE10hipError_tPvRmT2_T3_T4_T5_mT6_T7_P12ihipStream_tbENKUlT_T0_E_clISt17integral_constantIbLb1EESZ_EEDaSU_SV_EUlSU_E_NS1_11comp_targetILNS1_3genE9ELNS1_11target_archE1100ELNS1_3gpuE3ELNS1_3repE0EEENS1_30default_config_static_selectorELNS0_4arch9wavefront6targetE0EEEvT1_, .Lfunc_end621-_ZN7rocprim17ROCPRIM_400000_NS6detail17trampoline_kernelINS0_14default_configENS1_27scan_by_key_config_selectorIssEEZZNS1_16scan_by_key_implILNS1_25lookback_scan_determinismE0ELb1ES3_N6thrust23THRUST_200600_302600_NS6detail15normal_iteratorINS9_10device_ptrIsEEEESE_SE_sNS9_10multipliesIsEENS9_8equal_toIsEEsEE10hipError_tPvRmT2_T3_T4_T5_mT6_T7_P12ihipStream_tbENKUlT_T0_E_clISt17integral_constantIbLb1EESZ_EEDaSU_SV_EUlSU_E_NS1_11comp_targetILNS1_3genE9ELNS1_11target_archE1100ELNS1_3gpuE3ELNS1_3repE0EEENS1_30default_config_static_selectorELNS0_4arch9wavefront6targetE0EEEvT1_
                                        ; -- End function
	.set _ZN7rocprim17ROCPRIM_400000_NS6detail17trampoline_kernelINS0_14default_configENS1_27scan_by_key_config_selectorIssEEZZNS1_16scan_by_key_implILNS1_25lookback_scan_determinismE0ELb1ES3_N6thrust23THRUST_200600_302600_NS6detail15normal_iteratorINS9_10device_ptrIsEEEESE_SE_sNS9_10multipliesIsEENS9_8equal_toIsEEsEE10hipError_tPvRmT2_T3_T4_T5_mT6_T7_P12ihipStream_tbENKUlT_T0_E_clISt17integral_constantIbLb1EESZ_EEDaSU_SV_EUlSU_E_NS1_11comp_targetILNS1_3genE9ELNS1_11target_archE1100ELNS1_3gpuE3ELNS1_3repE0EEENS1_30default_config_static_selectorELNS0_4arch9wavefront6targetE0EEEvT1_.num_vgpr, 0
	.set _ZN7rocprim17ROCPRIM_400000_NS6detail17trampoline_kernelINS0_14default_configENS1_27scan_by_key_config_selectorIssEEZZNS1_16scan_by_key_implILNS1_25lookback_scan_determinismE0ELb1ES3_N6thrust23THRUST_200600_302600_NS6detail15normal_iteratorINS9_10device_ptrIsEEEESE_SE_sNS9_10multipliesIsEENS9_8equal_toIsEEsEE10hipError_tPvRmT2_T3_T4_T5_mT6_T7_P12ihipStream_tbENKUlT_T0_E_clISt17integral_constantIbLb1EESZ_EEDaSU_SV_EUlSU_E_NS1_11comp_targetILNS1_3genE9ELNS1_11target_archE1100ELNS1_3gpuE3ELNS1_3repE0EEENS1_30default_config_static_selectorELNS0_4arch9wavefront6targetE0EEEvT1_.num_agpr, 0
	.set _ZN7rocprim17ROCPRIM_400000_NS6detail17trampoline_kernelINS0_14default_configENS1_27scan_by_key_config_selectorIssEEZZNS1_16scan_by_key_implILNS1_25lookback_scan_determinismE0ELb1ES3_N6thrust23THRUST_200600_302600_NS6detail15normal_iteratorINS9_10device_ptrIsEEEESE_SE_sNS9_10multipliesIsEENS9_8equal_toIsEEsEE10hipError_tPvRmT2_T3_T4_T5_mT6_T7_P12ihipStream_tbENKUlT_T0_E_clISt17integral_constantIbLb1EESZ_EEDaSU_SV_EUlSU_E_NS1_11comp_targetILNS1_3genE9ELNS1_11target_archE1100ELNS1_3gpuE3ELNS1_3repE0EEENS1_30default_config_static_selectorELNS0_4arch9wavefront6targetE0EEEvT1_.numbered_sgpr, 0
	.set _ZN7rocprim17ROCPRIM_400000_NS6detail17trampoline_kernelINS0_14default_configENS1_27scan_by_key_config_selectorIssEEZZNS1_16scan_by_key_implILNS1_25lookback_scan_determinismE0ELb1ES3_N6thrust23THRUST_200600_302600_NS6detail15normal_iteratorINS9_10device_ptrIsEEEESE_SE_sNS9_10multipliesIsEENS9_8equal_toIsEEsEE10hipError_tPvRmT2_T3_T4_T5_mT6_T7_P12ihipStream_tbENKUlT_T0_E_clISt17integral_constantIbLb1EESZ_EEDaSU_SV_EUlSU_E_NS1_11comp_targetILNS1_3genE9ELNS1_11target_archE1100ELNS1_3gpuE3ELNS1_3repE0EEENS1_30default_config_static_selectorELNS0_4arch9wavefront6targetE0EEEvT1_.num_named_barrier, 0
	.set _ZN7rocprim17ROCPRIM_400000_NS6detail17trampoline_kernelINS0_14default_configENS1_27scan_by_key_config_selectorIssEEZZNS1_16scan_by_key_implILNS1_25lookback_scan_determinismE0ELb1ES3_N6thrust23THRUST_200600_302600_NS6detail15normal_iteratorINS9_10device_ptrIsEEEESE_SE_sNS9_10multipliesIsEENS9_8equal_toIsEEsEE10hipError_tPvRmT2_T3_T4_T5_mT6_T7_P12ihipStream_tbENKUlT_T0_E_clISt17integral_constantIbLb1EESZ_EEDaSU_SV_EUlSU_E_NS1_11comp_targetILNS1_3genE9ELNS1_11target_archE1100ELNS1_3gpuE3ELNS1_3repE0EEENS1_30default_config_static_selectorELNS0_4arch9wavefront6targetE0EEEvT1_.private_seg_size, 0
	.set _ZN7rocprim17ROCPRIM_400000_NS6detail17trampoline_kernelINS0_14default_configENS1_27scan_by_key_config_selectorIssEEZZNS1_16scan_by_key_implILNS1_25lookback_scan_determinismE0ELb1ES3_N6thrust23THRUST_200600_302600_NS6detail15normal_iteratorINS9_10device_ptrIsEEEESE_SE_sNS9_10multipliesIsEENS9_8equal_toIsEEsEE10hipError_tPvRmT2_T3_T4_T5_mT6_T7_P12ihipStream_tbENKUlT_T0_E_clISt17integral_constantIbLb1EESZ_EEDaSU_SV_EUlSU_E_NS1_11comp_targetILNS1_3genE9ELNS1_11target_archE1100ELNS1_3gpuE3ELNS1_3repE0EEENS1_30default_config_static_selectorELNS0_4arch9wavefront6targetE0EEEvT1_.uses_vcc, 0
	.set _ZN7rocprim17ROCPRIM_400000_NS6detail17trampoline_kernelINS0_14default_configENS1_27scan_by_key_config_selectorIssEEZZNS1_16scan_by_key_implILNS1_25lookback_scan_determinismE0ELb1ES3_N6thrust23THRUST_200600_302600_NS6detail15normal_iteratorINS9_10device_ptrIsEEEESE_SE_sNS9_10multipliesIsEENS9_8equal_toIsEEsEE10hipError_tPvRmT2_T3_T4_T5_mT6_T7_P12ihipStream_tbENKUlT_T0_E_clISt17integral_constantIbLb1EESZ_EEDaSU_SV_EUlSU_E_NS1_11comp_targetILNS1_3genE9ELNS1_11target_archE1100ELNS1_3gpuE3ELNS1_3repE0EEENS1_30default_config_static_selectorELNS0_4arch9wavefront6targetE0EEEvT1_.uses_flat_scratch, 0
	.set _ZN7rocprim17ROCPRIM_400000_NS6detail17trampoline_kernelINS0_14default_configENS1_27scan_by_key_config_selectorIssEEZZNS1_16scan_by_key_implILNS1_25lookback_scan_determinismE0ELb1ES3_N6thrust23THRUST_200600_302600_NS6detail15normal_iteratorINS9_10device_ptrIsEEEESE_SE_sNS9_10multipliesIsEENS9_8equal_toIsEEsEE10hipError_tPvRmT2_T3_T4_T5_mT6_T7_P12ihipStream_tbENKUlT_T0_E_clISt17integral_constantIbLb1EESZ_EEDaSU_SV_EUlSU_E_NS1_11comp_targetILNS1_3genE9ELNS1_11target_archE1100ELNS1_3gpuE3ELNS1_3repE0EEENS1_30default_config_static_selectorELNS0_4arch9wavefront6targetE0EEEvT1_.has_dyn_sized_stack, 0
	.set _ZN7rocprim17ROCPRIM_400000_NS6detail17trampoline_kernelINS0_14default_configENS1_27scan_by_key_config_selectorIssEEZZNS1_16scan_by_key_implILNS1_25lookback_scan_determinismE0ELb1ES3_N6thrust23THRUST_200600_302600_NS6detail15normal_iteratorINS9_10device_ptrIsEEEESE_SE_sNS9_10multipliesIsEENS9_8equal_toIsEEsEE10hipError_tPvRmT2_T3_T4_T5_mT6_T7_P12ihipStream_tbENKUlT_T0_E_clISt17integral_constantIbLb1EESZ_EEDaSU_SV_EUlSU_E_NS1_11comp_targetILNS1_3genE9ELNS1_11target_archE1100ELNS1_3gpuE3ELNS1_3repE0EEENS1_30default_config_static_selectorELNS0_4arch9wavefront6targetE0EEEvT1_.has_recursion, 0
	.set _ZN7rocprim17ROCPRIM_400000_NS6detail17trampoline_kernelINS0_14default_configENS1_27scan_by_key_config_selectorIssEEZZNS1_16scan_by_key_implILNS1_25lookback_scan_determinismE0ELb1ES3_N6thrust23THRUST_200600_302600_NS6detail15normal_iteratorINS9_10device_ptrIsEEEESE_SE_sNS9_10multipliesIsEENS9_8equal_toIsEEsEE10hipError_tPvRmT2_T3_T4_T5_mT6_T7_P12ihipStream_tbENKUlT_T0_E_clISt17integral_constantIbLb1EESZ_EEDaSU_SV_EUlSU_E_NS1_11comp_targetILNS1_3genE9ELNS1_11target_archE1100ELNS1_3gpuE3ELNS1_3repE0EEENS1_30default_config_static_selectorELNS0_4arch9wavefront6targetE0EEEvT1_.has_indirect_call, 0
	.section	.AMDGPU.csdata,"",@progbits
; Kernel info:
; codeLenInByte = 0
; TotalNumSgprs: 0
; NumVgprs: 0
; ScratchSize: 0
; MemoryBound: 0
; FloatMode: 240
; IeeeMode: 1
; LDSByteSize: 0 bytes/workgroup (compile time only)
; SGPRBlocks: 0
; VGPRBlocks: 0
; NumSGPRsForWavesPerEU: 1
; NumVGPRsForWavesPerEU: 1
; NamedBarCnt: 0
; Occupancy: 16
; WaveLimiterHint : 0
; COMPUTE_PGM_RSRC2:SCRATCH_EN: 0
; COMPUTE_PGM_RSRC2:USER_SGPR: 2
; COMPUTE_PGM_RSRC2:TRAP_HANDLER: 0
; COMPUTE_PGM_RSRC2:TGID_X_EN: 1
; COMPUTE_PGM_RSRC2:TGID_Y_EN: 0
; COMPUTE_PGM_RSRC2:TGID_Z_EN: 0
; COMPUTE_PGM_RSRC2:TIDIG_COMP_CNT: 0
	.section	.text._ZN7rocprim17ROCPRIM_400000_NS6detail17trampoline_kernelINS0_14default_configENS1_27scan_by_key_config_selectorIssEEZZNS1_16scan_by_key_implILNS1_25lookback_scan_determinismE0ELb1ES3_N6thrust23THRUST_200600_302600_NS6detail15normal_iteratorINS9_10device_ptrIsEEEESE_SE_sNS9_10multipliesIsEENS9_8equal_toIsEEsEE10hipError_tPvRmT2_T3_T4_T5_mT6_T7_P12ihipStream_tbENKUlT_T0_E_clISt17integral_constantIbLb1EESZ_EEDaSU_SV_EUlSU_E_NS1_11comp_targetILNS1_3genE8ELNS1_11target_archE1030ELNS1_3gpuE2ELNS1_3repE0EEENS1_30default_config_static_selectorELNS0_4arch9wavefront6targetE0EEEvT1_,"axG",@progbits,_ZN7rocprim17ROCPRIM_400000_NS6detail17trampoline_kernelINS0_14default_configENS1_27scan_by_key_config_selectorIssEEZZNS1_16scan_by_key_implILNS1_25lookback_scan_determinismE0ELb1ES3_N6thrust23THRUST_200600_302600_NS6detail15normal_iteratorINS9_10device_ptrIsEEEESE_SE_sNS9_10multipliesIsEENS9_8equal_toIsEEsEE10hipError_tPvRmT2_T3_T4_T5_mT6_T7_P12ihipStream_tbENKUlT_T0_E_clISt17integral_constantIbLb1EESZ_EEDaSU_SV_EUlSU_E_NS1_11comp_targetILNS1_3genE8ELNS1_11target_archE1030ELNS1_3gpuE2ELNS1_3repE0EEENS1_30default_config_static_selectorELNS0_4arch9wavefront6targetE0EEEvT1_,comdat
	.protected	_ZN7rocprim17ROCPRIM_400000_NS6detail17trampoline_kernelINS0_14default_configENS1_27scan_by_key_config_selectorIssEEZZNS1_16scan_by_key_implILNS1_25lookback_scan_determinismE0ELb1ES3_N6thrust23THRUST_200600_302600_NS6detail15normal_iteratorINS9_10device_ptrIsEEEESE_SE_sNS9_10multipliesIsEENS9_8equal_toIsEEsEE10hipError_tPvRmT2_T3_T4_T5_mT6_T7_P12ihipStream_tbENKUlT_T0_E_clISt17integral_constantIbLb1EESZ_EEDaSU_SV_EUlSU_E_NS1_11comp_targetILNS1_3genE8ELNS1_11target_archE1030ELNS1_3gpuE2ELNS1_3repE0EEENS1_30default_config_static_selectorELNS0_4arch9wavefront6targetE0EEEvT1_ ; -- Begin function _ZN7rocprim17ROCPRIM_400000_NS6detail17trampoline_kernelINS0_14default_configENS1_27scan_by_key_config_selectorIssEEZZNS1_16scan_by_key_implILNS1_25lookback_scan_determinismE0ELb1ES3_N6thrust23THRUST_200600_302600_NS6detail15normal_iteratorINS9_10device_ptrIsEEEESE_SE_sNS9_10multipliesIsEENS9_8equal_toIsEEsEE10hipError_tPvRmT2_T3_T4_T5_mT6_T7_P12ihipStream_tbENKUlT_T0_E_clISt17integral_constantIbLb1EESZ_EEDaSU_SV_EUlSU_E_NS1_11comp_targetILNS1_3genE8ELNS1_11target_archE1030ELNS1_3gpuE2ELNS1_3repE0EEENS1_30default_config_static_selectorELNS0_4arch9wavefront6targetE0EEEvT1_
	.globl	_ZN7rocprim17ROCPRIM_400000_NS6detail17trampoline_kernelINS0_14default_configENS1_27scan_by_key_config_selectorIssEEZZNS1_16scan_by_key_implILNS1_25lookback_scan_determinismE0ELb1ES3_N6thrust23THRUST_200600_302600_NS6detail15normal_iteratorINS9_10device_ptrIsEEEESE_SE_sNS9_10multipliesIsEENS9_8equal_toIsEEsEE10hipError_tPvRmT2_T3_T4_T5_mT6_T7_P12ihipStream_tbENKUlT_T0_E_clISt17integral_constantIbLb1EESZ_EEDaSU_SV_EUlSU_E_NS1_11comp_targetILNS1_3genE8ELNS1_11target_archE1030ELNS1_3gpuE2ELNS1_3repE0EEENS1_30default_config_static_selectorELNS0_4arch9wavefront6targetE0EEEvT1_
	.p2align	8
	.type	_ZN7rocprim17ROCPRIM_400000_NS6detail17trampoline_kernelINS0_14default_configENS1_27scan_by_key_config_selectorIssEEZZNS1_16scan_by_key_implILNS1_25lookback_scan_determinismE0ELb1ES3_N6thrust23THRUST_200600_302600_NS6detail15normal_iteratorINS9_10device_ptrIsEEEESE_SE_sNS9_10multipliesIsEENS9_8equal_toIsEEsEE10hipError_tPvRmT2_T3_T4_T5_mT6_T7_P12ihipStream_tbENKUlT_T0_E_clISt17integral_constantIbLb1EESZ_EEDaSU_SV_EUlSU_E_NS1_11comp_targetILNS1_3genE8ELNS1_11target_archE1030ELNS1_3gpuE2ELNS1_3repE0EEENS1_30default_config_static_selectorELNS0_4arch9wavefront6targetE0EEEvT1_,@function
_ZN7rocprim17ROCPRIM_400000_NS6detail17trampoline_kernelINS0_14default_configENS1_27scan_by_key_config_selectorIssEEZZNS1_16scan_by_key_implILNS1_25lookback_scan_determinismE0ELb1ES3_N6thrust23THRUST_200600_302600_NS6detail15normal_iteratorINS9_10device_ptrIsEEEESE_SE_sNS9_10multipliesIsEENS9_8equal_toIsEEsEE10hipError_tPvRmT2_T3_T4_T5_mT6_T7_P12ihipStream_tbENKUlT_T0_E_clISt17integral_constantIbLb1EESZ_EEDaSU_SV_EUlSU_E_NS1_11comp_targetILNS1_3genE8ELNS1_11target_archE1030ELNS1_3gpuE2ELNS1_3repE0EEENS1_30default_config_static_selectorELNS0_4arch9wavefront6targetE0EEEvT1_: ; @_ZN7rocprim17ROCPRIM_400000_NS6detail17trampoline_kernelINS0_14default_configENS1_27scan_by_key_config_selectorIssEEZZNS1_16scan_by_key_implILNS1_25lookback_scan_determinismE0ELb1ES3_N6thrust23THRUST_200600_302600_NS6detail15normal_iteratorINS9_10device_ptrIsEEEESE_SE_sNS9_10multipliesIsEENS9_8equal_toIsEEsEE10hipError_tPvRmT2_T3_T4_T5_mT6_T7_P12ihipStream_tbENKUlT_T0_E_clISt17integral_constantIbLb1EESZ_EEDaSU_SV_EUlSU_E_NS1_11comp_targetILNS1_3genE8ELNS1_11target_archE1030ELNS1_3gpuE2ELNS1_3repE0EEENS1_30default_config_static_selectorELNS0_4arch9wavefront6targetE0EEEvT1_
; %bb.0:
	.section	.rodata,"a",@progbits
	.p2align	6, 0x0
	.amdhsa_kernel _ZN7rocprim17ROCPRIM_400000_NS6detail17trampoline_kernelINS0_14default_configENS1_27scan_by_key_config_selectorIssEEZZNS1_16scan_by_key_implILNS1_25lookback_scan_determinismE0ELb1ES3_N6thrust23THRUST_200600_302600_NS6detail15normal_iteratorINS9_10device_ptrIsEEEESE_SE_sNS9_10multipliesIsEENS9_8equal_toIsEEsEE10hipError_tPvRmT2_T3_T4_T5_mT6_T7_P12ihipStream_tbENKUlT_T0_E_clISt17integral_constantIbLb1EESZ_EEDaSU_SV_EUlSU_E_NS1_11comp_targetILNS1_3genE8ELNS1_11target_archE1030ELNS1_3gpuE2ELNS1_3repE0EEENS1_30default_config_static_selectorELNS0_4arch9wavefront6targetE0EEEvT1_
		.amdhsa_group_segment_fixed_size 0
		.amdhsa_private_segment_fixed_size 0
		.amdhsa_kernarg_size 112
		.amdhsa_user_sgpr_count 2
		.amdhsa_user_sgpr_dispatch_ptr 0
		.amdhsa_user_sgpr_queue_ptr 0
		.amdhsa_user_sgpr_kernarg_segment_ptr 1
		.amdhsa_user_sgpr_dispatch_id 0
		.amdhsa_user_sgpr_kernarg_preload_length 0
		.amdhsa_user_sgpr_kernarg_preload_offset 0
		.amdhsa_user_sgpr_private_segment_size 0
		.amdhsa_wavefront_size32 1
		.amdhsa_uses_dynamic_stack 0
		.amdhsa_enable_private_segment 0
		.amdhsa_system_sgpr_workgroup_id_x 1
		.amdhsa_system_sgpr_workgroup_id_y 0
		.amdhsa_system_sgpr_workgroup_id_z 0
		.amdhsa_system_sgpr_workgroup_info 0
		.amdhsa_system_vgpr_workitem_id 0
		.amdhsa_next_free_vgpr 1
		.amdhsa_next_free_sgpr 1
		.amdhsa_named_barrier_count 0
		.amdhsa_reserve_vcc 0
		.amdhsa_float_round_mode_32 0
		.amdhsa_float_round_mode_16_64 0
		.amdhsa_float_denorm_mode_32 3
		.amdhsa_float_denorm_mode_16_64 3
		.amdhsa_fp16_overflow 0
		.amdhsa_memory_ordered 1
		.amdhsa_forward_progress 1
		.amdhsa_inst_pref_size 0
		.amdhsa_round_robin_scheduling 0
		.amdhsa_exception_fp_ieee_invalid_op 0
		.amdhsa_exception_fp_denorm_src 0
		.amdhsa_exception_fp_ieee_div_zero 0
		.amdhsa_exception_fp_ieee_overflow 0
		.amdhsa_exception_fp_ieee_underflow 0
		.amdhsa_exception_fp_ieee_inexact 0
		.amdhsa_exception_int_div_zero 0
	.end_amdhsa_kernel
	.section	.text._ZN7rocprim17ROCPRIM_400000_NS6detail17trampoline_kernelINS0_14default_configENS1_27scan_by_key_config_selectorIssEEZZNS1_16scan_by_key_implILNS1_25lookback_scan_determinismE0ELb1ES3_N6thrust23THRUST_200600_302600_NS6detail15normal_iteratorINS9_10device_ptrIsEEEESE_SE_sNS9_10multipliesIsEENS9_8equal_toIsEEsEE10hipError_tPvRmT2_T3_T4_T5_mT6_T7_P12ihipStream_tbENKUlT_T0_E_clISt17integral_constantIbLb1EESZ_EEDaSU_SV_EUlSU_E_NS1_11comp_targetILNS1_3genE8ELNS1_11target_archE1030ELNS1_3gpuE2ELNS1_3repE0EEENS1_30default_config_static_selectorELNS0_4arch9wavefront6targetE0EEEvT1_,"axG",@progbits,_ZN7rocprim17ROCPRIM_400000_NS6detail17trampoline_kernelINS0_14default_configENS1_27scan_by_key_config_selectorIssEEZZNS1_16scan_by_key_implILNS1_25lookback_scan_determinismE0ELb1ES3_N6thrust23THRUST_200600_302600_NS6detail15normal_iteratorINS9_10device_ptrIsEEEESE_SE_sNS9_10multipliesIsEENS9_8equal_toIsEEsEE10hipError_tPvRmT2_T3_T4_T5_mT6_T7_P12ihipStream_tbENKUlT_T0_E_clISt17integral_constantIbLb1EESZ_EEDaSU_SV_EUlSU_E_NS1_11comp_targetILNS1_3genE8ELNS1_11target_archE1030ELNS1_3gpuE2ELNS1_3repE0EEENS1_30default_config_static_selectorELNS0_4arch9wavefront6targetE0EEEvT1_,comdat
.Lfunc_end622:
	.size	_ZN7rocprim17ROCPRIM_400000_NS6detail17trampoline_kernelINS0_14default_configENS1_27scan_by_key_config_selectorIssEEZZNS1_16scan_by_key_implILNS1_25lookback_scan_determinismE0ELb1ES3_N6thrust23THRUST_200600_302600_NS6detail15normal_iteratorINS9_10device_ptrIsEEEESE_SE_sNS9_10multipliesIsEENS9_8equal_toIsEEsEE10hipError_tPvRmT2_T3_T4_T5_mT6_T7_P12ihipStream_tbENKUlT_T0_E_clISt17integral_constantIbLb1EESZ_EEDaSU_SV_EUlSU_E_NS1_11comp_targetILNS1_3genE8ELNS1_11target_archE1030ELNS1_3gpuE2ELNS1_3repE0EEENS1_30default_config_static_selectorELNS0_4arch9wavefront6targetE0EEEvT1_, .Lfunc_end622-_ZN7rocprim17ROCPRIM_400000_NS6detail17trampoline_kernelINS0_14default_configENS1_27scan_by_key_config_selectorIssEEZZNS1_16scan_by_key_implILNS1_25lookback_scan_determinismE0ELb1ES3_N6thrust23THRUST_200600_302600_NS6detail15normal_iteratorINS9_10device_ptrIsEEEESE_SE_sNS9_10multipliesIsEENS9_8equal_toIsEEsEE10hipError_tPvRmT2_T3_T4_T5_mT6_T7_P12ihipStream_tbENKUlT_T0_E_clISt17integral_constantIbLb1EESZ_EEDaSU_SV_EUlSU_E_NS1_11comp_targetILNS1_3genE8ELNS1_11target_archE1030ELNS1_3gpuE2ELNS1_3repE0EEENS1_30default_config_static_selectorELNS0_4arch9wavefront6targetE0EEEvT1_
                                        ; -- End function
	.set _ZN7rocprim17ROCPRIM_400000_NS6detail17trampoline_kernelINS0_14default_configENS1_27scan_by_key_config_selectorIssEEZZNS1_16scan_by_key_implILNS1_25lookback_scan_determinismE0ELb1ES3_N6thrust23THRUST_200600_302600_NS6detail15normal_iteratorINS9_10device_ptrIsEEEESE_SE_sNS9_10multipliesIsEENS9_8equal_toIsEEsEE10hipError_tPvRmT2_T3_T4_T5_mT6_T7_P12ihipStream_tbENKUlT_T0_E_clISt17integral_constantIbLb1EESZ_EEDaSU_SV_EUlSU_E_NS1_11comp_targetILNS1_3genE8ELNS1_11target_archE1030ELNS1_3gpuE2ELNS1_3repE0EEENS1_30default_config_static_selectorELNS0_4arch9wavefront6targetE0EEEvT1_.num_vgpr, 0
	.set _ZN7rocprim17ROCPRIM_400000_NS6detail17trampoline_kernelINS0_14default_configENS1_27scan_by_key_config_selectorIssEEZZNS1_16scan_by_key_implILNS1_25lookback_scan_determinismE0ELb1ES3_N6thrust23THRUST_200600_302600_NS6detail15normal_iteratorINS9_10device_ptrIsEEEESE_SE_sNS9_10multipliesIsEENS9_8equal_toIsEEsEE10hipError_tPvRmT2_T3_T4_T5_mT6_T7_P12ihipStream_tbENKUlT_T0_E_clISt17integral_constantIbLb1EESZ_EEDaSU_SV_EUlSU_E_NS1_11comp_targetILNS1_3genE8ELNS1_11target_archE1030ELNS1_3gpuE2ELNS1_3repE0EEENS1_30default_config_static_selectorELNS0_4arch9wavefront6targetE0EEEvT1_.num_agpr, 0
	.set _ZN7rocprim17ROCPRIM_400000_NS6detail17trampoline_kernelINS0_14default_configENS1_27scan_by_key_config_selectorIssEEZZNS1_16scan_by_key_implILNS1_25lookback_scan_determinismE0ELb1ES3_N6thrust23THRUST_200600_302600_NS6detail15normal_iteratorINS9_10device_ptrIsEEEESE_SE_sNS9_10multipliesIsEENS9_8equal_toIsEEsEE10hipError_tPvRmT2_T3_T4_T5_mT6_T7_P12ihipStream_tbENKUlT_T0_E_clISt17integral_constantIbLb1EESZ_EEDaSU_SV_EUlSU_E_NS1_11comp_targetILNS1_3genE8ELNS1_11target_archE1030ELNS1_3gpuE2ELNS1_3repE0EEENS1_30default_config_static_selectorELNS0_4arch9wavefront6targetE0EEEvT1_.numbered_sgpr, 0
	.set _ZN7rocprim17ROCPRIM_400000_NS6detail17trampoline_kernelINS0_14default_configENS1_27scan_by_key_config_selectorIssEEZZNS1_16scan_by_key_implILNS1_25lookback_scan_determinismE0ELb1ES3_N6thrust23THRUST_200600_302600_NS6detail15normal_iteratorINS9_10device_ptrIsEEEESE_SE_sNS9_10multipliesIsEENS9_8equal_toIsEEsEE10hipError_tPvRmT2_T3_T4_T5_mT6_T7_P12ihipStream_tbENKUlT_T0_E_clISt17integral_constantIbLb1EESZ_EEDaSU_SV_EUlSU_E_NS1_11comp_targetILNS1_3genE8ELNS1_11target_archE1030ELNS1_3gpuE2ELNS1_3repE0EEENS1_30default_config_static_selectorELNS0_4arch9wavefront6targetE0EEEvT1_.num_named_barrier, 0
	.set _ZN7rocprim17ROCPRIM_400000_NS6detail17trampoline_kernelINS0_14default_configENS1_27scan_by_key_config_selectorIssEEZZNS1_16scan_by_key_implILNS1_25lookback_scan_determinismE0ELb1ES3_N6thrust23THRUST_200600_302600_NS6detail15normal_iteratorINS9_10device_ptrIsEEEESE_SE_sNS9_10multipliesIsEENS9_8equal_toIsEEsEE10hipError_tPvRmT2_T3_T4_T5_mT6_T7_P12ihipStream_tbENKUlT_T0_E_clISt17integral_constantIbLb1EESZ_EEDaSU_SV_EUlSU_E_NS1_11comp_targetILNS1_3genE8ELNS1_11target_archE1030ELNS1_3gpuE2ELNS1_3repE0EEENS1_30default_config_static_selectorELNS0_4arch9wavefront6targetE0EEEvT1_.private_seg_size, 0
	.set _ZN7rocprim17ROCPRIM_400000_NS6detail17trampoline_kernelINS0_14default_configENS1_27scan_by_key_config_selectorIssEEZZNS1_16scan_by_key_implILNS1_25lookback_scan_determinismE0ELb1ES3_N6thrust23THRUST_200600_302600_NS6detail15normal_iteratorINS9_10device_ptrIsEEEESE_SE_sNS9_10multipliesIsEENS9_8equal_toIsEEsEE10hipError_tPvRmT2_T3_T4_T5_mT6_T7_P12ihipStream_tbENKUlT_T0_E_clISt17integral_constantIbLb1EESZ_EEDaSU_SV_EUlSU_E_NS1_11comp_targetILNS1_3genE8ELNS1_11target_archE1030ELNS1_3gpuE2ELNS1_3repE0EEENS1_30default_config_static_selectorELNS0_4arch9wavefront6targetE0EEEvT1_.uses_vcc, 0
	.set _ZN7rocprim17ROCPRIM_400000_NS6detail17trampoline_kernelINS0_14default_configENS1_27scan_by_key_config_selectorIssEEZZNS1_16scan_by_key_implILNS1_25lookback_scan_determinismE0ELb1ES3_N6thrust23THRUST_200600_302600_NS6detail15normal_iteratorINS9_10device_ptrIsEEEESE_SE_sNS9_10multipliesIsEENS9_8equal_toIsEEsEE10hipError_tPvRmT2_T3_T4_T5_mT6_T7_P12ihipStream_tbENKUlT_T0_E_clISt17integral_constantIbLb1EESZ_EEDaSU_SV_EUlSU_E_NS1_11comp_targetILNS1_3genE8ELNS1_11target_archE1030ELNS1_3gpuE2ELNS1_3repE0EEENS1_30default_config_static_selectorELNS0_4arch9wavefront6targetE0EEEvT1_.uses_flat_scratch, 0
	.set _ZN7rocprim17ROCPRIM_400000_NS6detail17trampoline_kernelINS0_14default_configENS1_27scan_by_key_config_selectorIssEEZZNS1_16scan_by_key_implILNS1_25lookback_scan_determinismE0ELb1ES3_N6thrust23THRUST_200600_302600_NS6detail15normal_iteratorINS9_10device_ptrIsEEEESE_SE_sNS9_10multipliesIsEENS9_8equal_toIsEEsEE10hipError_tPvRmT2_T3_T4_T5_mT6_T7_P12ihipStream_tbENKUlT_T0_E_clISt17integral_constantIbLb1EESZ_EEDaSU_SV_EUlSU_E_NS1_11comp_targetILNS1_3genE8ELNS1_11target_archE1030ELNS1_3gpuE2ELNS1_3repE0EEENS1_30default_config_static_selectorELNS0_4arch9wavefront6targetE0EEEvT1_.has_dyn_sized_stack, 0
	.set _ZN7rocprim17ROCPRIM_400000_NS6detail17trampoline_kernelINS0_14default_configENS1_27scan_by_key_config_selectorIssEEZZNS1_16scan_by_key_implILNS1_25lookback_scan_determinismE0ELb1ES3_N6thrust23THRUST_200600_302600_NS6detail15normal_iteratorINS9_10device_ptrIsEEEESE_SE_sNS9_10multipliesIsEENS9_8equal_toIsEEsEE10hipError_tPvRmT2_T3_T4_T5_mT6_T7_P12ihipStream_tbENKUlT_T0_E_clISt17integral_constantIbLb1EESZ_EEDaSU_SV_EUlSU_E_NS1_11comp_targetILNS1_3genE8ELNS1_11target_archE1030ELNS1_3gpuE2ELNS1_3repE0EEENS1_30default_config_static_selectorELNS0_4arch9wavefront6targetE0EEEvT1_.has_recursion, 0
	.set _ZN7rocprim17ROCPRIM_400000_NS6detail17trampoline_kernelINS0_14default_configENS1_27scan_by_key_config_selectorIssEEZZNS1_16scan_by_key_implILNS1_25lookback_scan_determinismE0ELb1ES3_N6thrust23THRUST_200600_302600_NS6detail15normal_iteratorINS9_10device_ptrIsEEEESE_SE_sNS9_10multipliesIsEENS9_8equal_toIsEEsEE10hipError_tPvRmT2_T3_T4_T5_mT6_T7_P12ihipStream_tbENKUlT_T0_E_clISt17integral_constantIbLb1EESZ_EEDaSU_SV_EUlSU_E_NS1_11comp_targetILNS1_3genE8ELNS1_11target_archE1030ELNS1_3gpuE2ELNS1_3repE0EEENS1_30default_config_static_selectorELNS0_4arch9wavefront6targetE0EEEvT1_.has_indirect_call, 0
	.section	.AMDGPU.csdata,"",@progbits
; Kernel info:
; codeLenInByte = 0
; TotalNumSgprs: 0
; NumVgprs: 0
; ScratchSize: 0
; MemoryBound: 0
; FloatMode: 240
; IeeeMode: 1
; LDSByteSize: 0 bytes/workgroup (compile time only)
; SGPRBlocks: 0
; VGPRBlocks: 0
; NumSGPRsForWavesPerEU: 1
; NumVGPRsForWavesPerEU: 1
; NamedBarCnt: 0
; Occupancy: 16
; WaveLimiterHint : 0
; COMPUTE_PGM_RSRC2:SCRATCH_EN: 0
; COMPUTE_PGM_RSRC2:USER_SGPR: 2
; COMPUTE_PGM_RSRC2:TRAP_HANDLER: 0
; COMPUTE_PGM_RSRC2:TGID_X_EN: 1
; COMPUTE_PGM_RSRC2:TGID_Y_EN: 0
; COMPUTE_PGM_RSRC2:TGID_Z_EN: 0
; COMPUTE_PGM_RSRC2:TIDIG_COMP_CNT: 0
	.section	.text._ZN7rocprim17ROCPRIM_400000_NS6detail17trampoline_kernelINS0_14default_configENS1_27scan_by_key_config_selectorIssEEZZNS1_16scan_by_key_implILNS1_25lookback_scan_determinismE0ELb1ES3_N6thrust23THRUST_200600_302600_NS6detail15normal_iteratorINS9_10device_ptrIsEEEESE_SE_sNS9_10multipliesIsEENS9_8equal_toIsEEsEE10hipError_tPvRmT2_T3_T4_T5_mT6_T7_P12ihipStream_tbENKUlT_T0_E_clISt17integral_constantIbLb1EESY_IbLb0EEEEDaSU_SV_EUlSU_E_NS1_11comp_targetILNS1_3genE0ELNS1_11target_archE4294967295ELNS1_3gpuE0ELNS1_3repE0EEENS1_30default_config_static_selectorELNS0_4arch9wavefront6targetE0EEEvT1_,"axG",@progbits,_ZN7rocprim17ROCPRIM_400000_NS6detail17trampoline_kernelINS0_14default_configENS1_27scan_by_key_config_selectorIssEEZZNS1_16scan_by_key_implILNS1_25lookback_scan_determinismE0ELb1ES3_N6thrust23THRUST_200600_302600_NS6detail15normal_iteratorINS9_10device_ptrIsEEEESE_SE_sNS9_10multipliesIsEENS9_8equal_toIsEEsEE10hipError_tPvRmT2_T3_T4_T5_mT6_T7_P12ihipStream_tbENKUlT_T0_E_clISt17integral_constantIbLb1EESY_IbLb0EEEEDaSU_SV_EUlSU_E_NS1_11comp_targetILNS1_3genE0ELNS1_11target_archE4294967295ELNS1_3gpuE0ELNS1_3repE0EEENS1_30default_config_static_selectorELNS0_4arch9wavefront6targetE0EEEvT1_,comdat
	.protected	_ZN7rocprim17ROCPRIM_400000_NS6detail17trampoline_kernelINS0_14default_configENS1_27scan_by_key_config_selectorIssEEZZNS1_16scan_by_key_implILNS1_25lookback_scan_determinismE0ELb1ES3_N6thrust23THRUST_200600_302600_NS6detail15normal_iteratorINS9_10device_ptrIsEEEESE_SE_sNS9_10multipliesIsEENS9_8equal_toIsEEsEE10hipError_tPvRmT2_T3_T4_T5_mT6_T7_P12ihipStream_tbENKUlT_T0_E_clISt17integral_constantIbLb1EESY_IbLb0EEEEDaSU_SV_EUlSU_E_NS1_11comp_targetILNS1_3genE0ELNS1_11target_archE4294967295ELNS1_3gpuE0ELNS1_3repE0EEENS1_30default_config_static_selectorELNS0_4arch9wavefront6targetE0EEEvT1_ ; -- Begin function _ZN7rocprim17ROCPRIM_400000_NS6detail17trampoline_kernelINS0_14default_configENS1_27scan_by_key_config_selectorIssEEZZNS1_16scan_by_key_implILNS1_25lookback_scan_determinismE0ELb1ES3_N6thrust23THRUST_200600_302600_NS6detail15normal_iteratorINS9_10device_ptrIsEEEESE_SE_sNS9_10multipliesIsEENS9_8equal_toIsEEsEE10hipError_tPvRmT2_T3_T4_T5_mT6_T7_P12ihipStream_tbENKUlT_T0_E_clISt17integral_constantIbLb1EESY_IbLb0EEEEDaSU_SV_EUlSU_E_NS1_11comp_targetILNS1_3genE0ELNS1_11target_archE4294967295ELNS1_3gpuE0ELNS1_3repE0EEENS1_30default_config_static_selectorELNS0_4arch9wavefront6targetE0EEEvT1_
	.globl	_ZN7rocprim17ROCPRIM_400000_NS6detail17trampoline_kernelINS0_14default_configENS1_27scan_by_key_config_selectorIssEEZZNS1_16scan_by_key_implILNS1_25lookback_scan_determinismE0ELb1ES3_N6thrust23THRUST_200600_302600_NS6detail15normal_iteratorINS9_10device_ptrIsEEEESE_SE_sNS9_10multipliesIsEENS9_8equal_toIsEEsEE10hipError_tPvRmT2_T3_T4_T5_mT6_T7_P12ihipStream_tbENKUlT_T0_E_clISt17integral_constantIbLb1EESY_IbLb0EEEEDaSU_SV_EUlSU_E_NS1_11comp_targetILNS1_3genE0ELNS1_11target_archE4294967295ELNS1_3gpuE0ELNS1_3repE0EEENS1_30default_config_static_selectorELNS0_4arch9wavefront6targetE0EEEvT1_
	.p2align	8
	.type	_ZN7rocprim17ROCPRIM_400000_NS6detail17trampoline_kernelINS0_14default_configENS1_27scan_by_key_config_selectorIssEEZZNS1_16scan_by_key_implILNS1_25lookback_scan_determinismE0ELb1ES3_N6thrust23THRUST_200600_302600_NS6detail15normal_iteratorINS9_10device_ptrIsEEEESE_SE_sNS9_10multipliesIsEENS9_8equal_toIsEEsEE10hipError_tPvRmT2_T3_T4_T5_mT6_T7_P12ihipStream_tbENKUlT_T0_E_clISt17integral_constantIbLb1EESY_IbLb0EEEEDaSU_SV_EUlSU_E_NS1_11comp_targetILNS1_3genE0ELNS1_11target_archE4294967295ELNS1_3gpuE0ELNS1_3repE0EEENS1_30default_config_static_selectorELNS0_4arch9wavefront6targetE0EEEvT1_,@function
_ZN7rocprim17ROCPRIM_400000_NS6detail17trampoline_kernelINS0_14default_configENS1_27scan_by_key_config_selectorIssEEZZNS1_16scan_by_key_implILNS1_25lookback_scan_determinismE0ELb1ES3_N6thrust23THRUST_200600_302600_NS6detail15normal_iteratorINS9_10device_ptrIsEEEESE_SE_sNS9_10multipliesIsEENS9_8equal_toIsEEsEE10hipError_tPvRmT2_T3_T4_T5_mT6_T7_P12ihipStream_tbENKUlT_T0_E_clISt17integral_constantIbLb1EESY_IbLb0EEEEDaSU_SV_EUlSU_E_NS1_11comp_targetILNS1_3genE0ELNS1_11target_archE4294967295ELNS1_3gpuE0ELNS1_3repE0EEENS1_30default_config_static_selectorELNS0_4arch9wavefront6targetE0EEEvT1_: ; @_ZN7rocprim17ROCPRIM_400000_NS6detail17trampoline_kernelINS0_14default_configENS1_27scan_by_key_config_selectorIssEEZZNS1_16scan_by_key_implILNS1_25lookback_scan_determinismE0ELb1ES3_N6thrust23THRUST_200600_302600_NS6detail15normal_iteratorINS9_10device_ptrIsEEEESE_SE_sNS9_10multipliesIsEENS9_8equal_toIsEEsEE10hipError_tPvRmT2_T3_T4_T5_mT6_T7_P12ihipStream_tbENKUlT_T0_E_clISt17integral_constantIbLb1EESY_IbLb0EEEEDaSU_SV_EUlSU_E_NS1_11comp_targetILNS1_3genE0ELNS1_11target_archE4294967295ELNS1_3gpuE0ELNS1_3repE0EEENS1_30default_config_static_selectorELNS0_4arch9wavefront6targetE0EEEvT1_
; %bb.0:
	s_endpgm
	.section	.rodata,"a",@progbits
	.p2align	6, 0x0
	.amdhsa_kernel _ZN7rocprim17ROCPRIM_400000_NS6detail17trampoline_kernelINS0_14default_configENS1_27scan_by_key_config_selectorIssEEZZNS1_16scan_by_key_implILNS1_25lookback_scan_determinismE0ELb1ES3_N6thrust23THRUST_200600_302600_NS6detail15normal_iteratorINS9_10device_ptrIsEEEESE_SE_sNS9_10multipliesIsEENS9_8equal_toIsEEsEE10hipError_tPvRmT2_T3_T4_T5_mT6_T7_P12ihipStream_tbENKUlT_T0_E_clISt17integral_constantIbLb1EESY_IbLb0EEEEDaSU_SV_EUlSU_E_NS1_11comp_targetILNS1_3genE0ELNS1_11target_archE4294967295ELNS1_3gpuE0ELNS1_3repE0EEENS1_30default_config_static_selectorELNS0_4arch9wavefront6targetE0EEEvT1_
		.amdhsa_group_segment_fixed_size 0
		.amdhsa_private_segment_fixed_size 0
		.amdhsa_kernarg_size 112
		.amdhsa_user_sgpr_count 2
		.amdhsa_user_sgpr_dispatch_ptr 0
		.amdhsa_user_sgpr_queue_ptr 0
		.amdhsa_user_sgpr_kernarg_segment_ptr 1
		.amdhsa_user_sgpr_dispatch_id 0
		.amdhsa_user_sgpr_kernarg_preload_length 0
		.amdhsa_user_sgpr_kernarg_preload_offset 0
		.amdhsa_user_sgpr_private_segment_size 0
		.amdhsa_wavefront_size32 1
		.amdhsa_uses_dynamic_stack 0
		.amdhsa_enable_private_segment 0
		.amdhsa_system_sgpr_workgroup_id_x 1
		.amdhsa_system_sgpr_workgroup_id_y 0
		.amdhsa_system_sgpr_workgroup_id_z 0
		.amdhsa_system_sgpr_workgroup_info 0
		.amdhsa_system_vgpr_workitem_id 0
		.amdhsa_next_free_vgpr 1
		.amdhsa_next_free_sgpr 1
		.amdhsa_named_barrier_count 0
		.amdhsa_reserve_vcc 0
		.amdhsa_float_round_mode_32 0
		.amdhsa_float_round_mode_16_64 0
		.amdhsa_float_denorm_mode_32 3
		.amdhsa_float_denorm_mode_16_64 3
		.amdhsa_fp16_overflow 0
		.amdhsa_memory_ordered 1
		.amdhsa_forward_progress 1
		.amdhsa_inst_pref_size 1
		.amdhsa_round_robin_scheduling 0
		.amdhsa_exception_fp_ieee_invalid_op 0
		.amdhsa_exception_fp_denorm_src 0
		.amdhsa_exception_fp_ieee_div_zero 0
		.amdhsa_exception_fp_ieee_overflow 0
		.amdhsa_exception_fp_ieee_underflow 0
		.amdhsa_exception_fp_ieee_inexact 0
		.amdhsa_exception_int_div_zero 0
	.end_amdhsa_kernel
	.section	.text._ZN7rocprim17ROCPRIM_400000_NS6detail17trampoline_kernelINS0_14default_configENS1_27scan_by_key_config_selectorIssEEZZNS1_16scan_by_key_implILNS1_25lookback_scan_determinismE0ELb1ES3_N6thrust23THRUST_200600_302600_NS6detail15normal_iteratorINS9_10device_ptrIsEEEESE_SE_sNS9_10multipliesIsEENS9_8equal_toIsEEsEE10hipError_tPvRmT2_T3_T4_T5_mT6_T7_P12ihipStream_tbENKUlT_T0_E_clISt17integral_constantIbLb1EESY_IbLb0EEEEDaSU_SV_EUlSU_E_NS1_11comp_targetILNS1_3genE0ELNS1_11target_archE4294967295ELNS1_3gpuE0ELNS1_3repE0EEENS1_30default_config_static_selectorELNS0_4arch9wavefront6targetE0EEEvT1_,"axG",@progbits,_ZN7rocprim17ROCPRIM_400000_NS6detail17trampoline_kernelINS0_14default_configENS1_27scan_by_key_config_selectorIssEEZZNS1_16scan_by_key_implILNS1_25lookback_scan_determinismE0ELb1ES3_N6thrust23THRUST_200600_302600_NS6detail15normal_iteratorINS9_10device_ptrIsEEEESE_SE_sNS9_10multipliesIsEENS9_8equal_toIsEEsEE10hipError_tPvRmT2_T3_T4_T5_mT6_T7_P12ihipStream_tbENKUlT_T0_E_clISt17integral_constantIbLb1EESY_IbLb0EEEEDaSU_SV_EUlSU_E_NS1_11comp_targetILNS1_3genE0ELNS1_11target_archE4294967295ELNS1_3gpuE0ELNS1_3repE0EEENS1_30default_config_static_selectorELNS0_4arch9wavefront6targetE0EEEvT1_,comdat
.Lfunc_end623:
	.size	_ZN7rocprim17ROCPRIM_400000_NS6detail17trampoline_kernelINS0_14default_configENS1_27scan_by_key_config_selectorIssEEZZNS1_16scan_by_key_implILNS1_25lookback_scan_determinismE0ELb1ES3_N6thrust23THRUST_200600_302600_NS6detail15normal_iteratorINS9_10device_ptrIsEEEESE_SE_sNS9_10multipliesIsEENS9_8equal_toIsEEsEE10hipError_tPvRmT2_T3_T4_T5_mT6_T7_P12ihipStream_tbENKUlT_T0_E_clISt17integral_constantIbLb1EESY_IbLb0EEEEDaSU_SV_EUlSU_E_NS1_11comp_targetILNS1_3genE0ELNS1_11target_archE4294967295ELNS1_3gpuE0ELNS1_3repE0EEENS1_30default_config_static_selectorELNS0_4arch9wavefront6targetE0EEEvT1_, .Lfunc_end623-_ZN7rocprim17ROCPRIM_400000_NS6detail17trampoline_kernelINS0_14default_configENS1_27scan_by_key_config_selectorIssEEZZNS1_16scan_by_key_implILNS1_25lookback_scan_determinismE0ELb1ES3_N6thrust23THRUST_200600_302600_NS6detail15normal_iteratorINS9_10device_ptrIsEEEESE_SE_sNS9_10multipliesIsEENS9_8equal_toIsEEsEE10hipError_tPvRmT2_T3_T4_T5_mT6_T7_P12ihipStream_tbENKUlT_T0_E_clISt17integral_constantIbLb1EESY_IbLb0EEEEDaSU_SV_EUlSU_E_NS1_11comp_targetILNS1_3genE0ELNS1_11target_archE4294967295ELNS1_3gpuE0ELNS1_3repE0EEENS1_30default_config_static_selectorELNS0_4arch9wavefront6targetE0EEEvT1_
                                        ; -- End function
	.set _ZN7rocprim17ROCPRIM_400000_NS6detail17trampoline_kernelINS0_14default_configENS1_27scan_by_key_config_selectorIssEEZZNS1_16scan_by_key_implILNS1_25lookback_scan_determinismE0ELb1ES3_N6thrust23THRUST_200600_302600_NS6detail15normal_iteratorINS9_10device_ptrIsEEEESE_SE_sNS9_10multipliesIsEENS9_8equal_toIsEEsEE10hipError_tPvRmT2_T3_T4_T5_mT6_T7_P12ihipStream_tbENKUlT_T0_E_clISt17integral_constantIbLb1EESY_IbLb0EEEEDaSU_SV_EUlSU_E_NS1_11comp_targetILNS1_3genE0ELNS1_11target_archE4294967295ELNS1_3gpuE0ELNS1_3repE0EEENS1_30default_config_static_selectorELNS0_4arch9wavefront6targetE0EEEvT1_.num_vgpr, 0
	.set _ZN7rocprim17ROCPRIM_400000_NS6detail17trampoline_kernelINS0_14default_configENS1_27scan_by_key_config_selectorIssEEZZNS1_16scan_by_key_implILNS1_25lookback_scan_determinismE0ELb1ES3_N6thrust23THRUST_200600_302600_NS6detail15normal_iteratorINS9_10device_ptrIsEEEESE_SE_sNS9_10multipliesIsEENS9_8equal_toIsEEsEE10hipError_tPvRmT2_T3_T4_T5_mT6_T7_P12ihipStream_tbENKUlT_T0_E_clISt17integral_constantIbLb1EESY_IbLb0EEEEDaSU_SV_EUlSU_E_NS1_11comp_targetILNS1_3genE0ELNS1_11target_archE4294967295ELNS1_3gpuE0ELNS1_3repE0EEENS1_30default_config_static_selectorELNS0_4arch9wavefront6targetE0EEEvT1_.num_agpr, 0
	.set _ZN7rocprim17ROCPRIM_400000_NS6detail17trampoline_kernelINS0_14default_configENS1_27scan_by_key_config_selectorIssEEZZNS1_16scan_by_key_implILNS1_25lookback_scan_determinismE0ELb1ES3_N6thrust23THRUST_200600_302600_NS6detail15normal_iteratorINS9_10device_ptrIsEEEESE_SE_sNS9_10multipliesIsEENS9_8equal_toIsEEsEE10hipError_tPvRmT2_T3_T4_T5_mT6_T7_P12ihipStream_tbENKUlT_T0_E_clISt17integral_constantIbLb1EESY_IbLb0EEEEDaSU_SV_EUlSU_E_NS1_11comp_targetILNS1_3genE0ELNS1_11target_archE4294967295ELNS1_3gpuE0ELNS1_3repE0EEENS1_30default_config_static_selectorELNS0_4arch9wavefront6targetE0EEEvT1_.numbered_sgpr, 0
	.set _ZN7rocprim17ROCPRIM_400000_NS6detail17trampoline_kernelINS0_14default_configENS1_27scan_by_key_config_selectorIssEEZZNS1_16scan_by_key_implILNS1_25lookback_scan_determinismE0ELb1ES3_N6thrust23THRUST_200600_302600_NS6detail15normal_iteratorINS9_10device_ptrIsEEEESE_SE_sNS9_10multipliesIsEENS9_8equal_toIsEEsEE10hipError_tPvRmT2_T3_T4_T5_mT6_T7_P12ihipStream_tbENKUlT_T0_E_clISt17integral_constantIbLb1EESY_IbLb0EEEEDaSU_SV_EUlSU_E_NS1_11comp_targetILNS1_3genE0ELNS1_11target_archE4294967295ELNS1_3gpuE0ELNS1_3repE0EEENS1_30default_config_static_selectorELNS0_4arch9wavefront6targetE0EEEvT1_.num_named_barrier, 0
	.set _ZN7rocprim17ROCPRIM_400000_NS6detail17trampoline_kernelINS0_14default_configENS1_27scan_by_key_config_selectorIssEEZZNS1_16scan_by_key_implILNS1_25lookback_scan_determinismE0ELb1ES3_N6thrust23THRUST_200600_302600_NS6detail15normal_iteratorINS9_10device_ptrIsEEEESE_SE_sNS9_10multipliesIsEENS9_8equal_toIsEEsEE10hipError_tPvRmT2_T3_T4_T5_mT6_T7_P12ihipStream_tbENKUlT_T0_E_clISt17integral_constantIbLb1EESY_IbLb0EEEEDaSU_SV_EUlSU_E_NS1_11comp_targetILNS1_3genE0ELNS1_11target_archE4294967295ELNS1_3gpuE0ELNS1_3repE0EEENS1_30default_config_static_selectorELNS0_4arch9wavefront6targetE0EEEvT1_.private_seg_size, 0
	.set _ZN7rocprim17ROCPRIM_400000_NS6detail17trampoline_kernelINS0_14default_configENS1_27scan_by_key_config_selectorIssEEZZNS1_16scan_by_key_implILNS1_25lookback_scan_determinismE0ELb1ES3_N6thrust23THRUST_200600_302600_NS6detail15normal_iteratorINS9_10device_ptrIsEEEESE_SE_sNS9_10multipliesIsEENS9_8equal_toIsEEsEE10hipError_tPvRmT2_T3_T4_T5_mT6_T7_P12ihipStream_tbENKUlT_T0_E_clISt17integral_constantIbLb1EESY_IbLb0EEEEDaSU_SV_EUlSU_E_NS1_11comp_targetILNS1_3genE0ELNS1_11target_archE4294967295ELNS1_3gpuE0ELNS1_3repE0EEENS1_30default_config_static_selectorELNS0_4arch9wavefront6targetE0EEEvT1_.uses_vcc, 0
	.set _ZN7rocprim17ROCPRIM_400000_NS6detail17trampoline_kernelINS0_14default_configENS1_27scan_by_key_config_selectorIssEEZZNS1_16scan_by_key_implILNS1_25lookback_scan_determinismE0ELb1ES3_N6thrust23THRUST_200600_302600_NS6detail15normal_iteratorINS9_10device_ptrIsEEEESE_SE_sNS9_10multipliesIsEENS9_8equal_toIsEEsEE10hipError_tPvRmT2_T3_T4_T5_mT6_T7_P12ihipStream_tbENKUlT_T0_E_clISt17integral_constantIbLb1EESY_IbLb0EEEEDaSU_SV_EUlSU_E_NS1_11comp_targetILNS1_3genE0ELNS1_11target_archE4294967295ELNS1_3gpuE0ELNS1_3repE0EEENS1_30default_config_static_selectorELNS0_4arch9wavefront6targetE0EEEvT1_.uses_flat_scratch, 0
	.set _ZN7rocprim17ROCPRIM_400000_NS6detail17trampoline_kernelINS0_14default_configENS1_27scan_by_key_config_selectorIssEEZZNS1_16scan_by_key_implILNS1_25lookback_scan_determinismE0ELb1ES3_N6thrust23THRUST_200600_302600_NS6detail15normal_iteratorINS9_10device_ptrIsEEEESE_SE_sNS9_10multipliesIsEENS9_8equal_toIsEEsEE10hipError_tPvRmT2_T3_T4_T5_mT6_T7_P12ihipStream_tbENKUlT_T0_E_clISt17integral_constantIbLb1EESY_IbLb0EEEEDaSU_SV_EUlSU_E_NS1_11comp_targetILNS1_3genE0ELNS1_11target_archE4294967295ELNS1_3gpuE0ELNS1_3repE0EEENS1_30default_config_static_selectorELNS0_4arch9wavefront6targetE0EEEvT1_.has_dyn_sized_stack, 0
	.set _ZN7rocprim17ROCPRIM_400000_NS6detail17trampoline_kernelINS0_14default_configENS1_27scan_by_key_config_selectorIssEEZZNS1_16scan_by_key_implILNS1_25lookback_scan_determinismE0ELb1ES3_N6thrust23THRUST_200600_302600_NS6detail15normal_iteratorINS9_10device_ptrIsEEEESE_SE_sNS9_10multipliesIsEENS9_8equal_toIsEEsEE10hipError_tPvRmT2_T3_T4_T5_mT6_T7_P12ihipStream_tbENKUlT_T0_E_clISt17integral_constantIbLb1EESY_IbLb0EEEEDaSU_SV_EUlSU_E_NS1_11comp_targetILNS1_3genE0ELNS1_11target_archE4294967295ELNS1_3gpuE0ELNS1_3repE0EEENS1_30default_config_static_selectorELNS0_4arch9wavefront6targetE0EEEvT1_.has_recursion, 0
	.set _ZN7rocprim17ROCPRIM_400000_NS6detail17trampoline_kernelINS0_14default_configENS1_27scan_by_key_config_selectorIssEEZZNS1_16scan_by_key_implILNS1_25lookback_scan_determinismE0ELb1ES3_N6thrust23THRUST_200600_302600_NS6detail15normal_iteratorINS9_10device_ptrIsEEEESE_SE_sNS9_10multipliesIsEENS9_8equal_toIsEEsEE10hipError_tPvRmT2_T3_T4_T5_mT6_T7_P12ihipStream_tbENKUlT_T0_E_clISt17integral_constantIbLb1EESY_IbLb0EEEEDaSU_SV_EUlSU_E_NS1_11comp_targetILNS1_3genE0ELNS1_11target_archE4294967295ELNS1_3gpuE0ELNS1_3repE0EEENS1_30default_config_static_selectorELNS0_4arch9wavefront6targetE0EEEvT1_.has_indirect_call, 0
	.section	.AMDGPU.csdata,"",@progbits
; Kernel info:
; codeLenInByte = 4
; TotalNumSgprs: 0
; NumVgprs: 0
; ScratchSize: 0
; MemoryBound: 0
; FloatMode: 240
; IeeeMode: 1
; LDSByteSize: 0 bytes/workgroup (compile time only)
; SGPRBlocks: 0
; VGPRBlocks: 0
; NumSGPRsForWavesPerEU: 1
; NumVGPRsForWavesPerEU: 1
; NamedBarCnt: 0
; Occupancy: 16
; WaveLimiterHint : 0
; COMPUTE_PGM_RSRC2:SCRATCH_EN: 0
; COMPUTE_PGM_RSRC2:USER_SGPR: 2
; COMPUTE_PGM_RSRC2:TRAP_HANDLER: 0
; COMPUTE_PGM_RSRC2:TGID_X_EN: 1
; COMPUTE_PGM_RSRC2:TGID_Y_EN: 0
; COMPUTE_PGM_RSRC2:TGID_Z_EN: 0
; COMPUTE_PGM_RSRC2:TIDIG_COMP_CNT: 0
	.section	.text._ZN7rocprim17ROCPRIM_400000_NS6detail17trampoline_kernelINS0_14default_configENS1_27scan_by_key_config_selectorIssEEZZNS1_16scan_by_key_implILNS1_25lookback_scan_determinismE0ELb1ES3_N6thrust23THRUST_200600_302600_NS6detail15normal_iteratorINS9_10device_ptrIsEEEESE_SE_sNS9_10multipliesIsEENS9_8equal_toIsEEsEE10hipError_tPvRmT2_T3_T4_T5_mT6_T7_P12ihipStream_tbENKUlT_T0_E_clISt17integral_constantIbLb1EESY_IbLb0EEEEDaSU_SV_EUlSU_E_NS1_11comp_targetILNS1_3genE10ELNS1_11target_archE1201ELNS1_3gpuE5ELNS1_3repE0EEENS1_30default_config_static_selectorELNS0_4arch9wavefront6targetE0EEEvT1_,"axG",@progbits,_ZN7rocprim17ROCPRIM_400000_NS6detail17trampoline_kernelINS0_14default_configENS1_27scan_by_key_config_selectorIssEEZZNS1_16scan_by_key_implILNS1_25lookback_scan_determinismE0ELb1ES3_N6thrust23THRUST_200600_302600_NS6detail15normal_iteratorINS9_10device_ptrIsEEEESE_SE_sNS9_10multipliesIsEENS9_8equal_toIsEEsEE10hipError_tPvRmT2_T3_T4_T5_mT6_T7_P12ihipStream_tbENKUlT_T0_E_clISt17integral_constantIbLb1EESY_IbLb0EEEEDaSU_SV_EUlSU_E_NS1_11comp_targetILNS1_3genE10ELNS1_11target_archE1201ELNS1_3gpuE5ELNS1_3repE0EEENS1_30default_config_static_selectorELNS0_4arch9wavefront6targetE0EEEvT1_,comdat
	.protected	_ZN7rocprim17ROCPRIM_400000_NS6detail17trampoline_kernelINS0_14default_configENS1_27scan_by_key_config_selectorIssEEZZNS1_16scan_by_key_implILNS1_25lookback_scan_determinismE0ELb1ES3_N6thrust23THRUST_200600_302600_NS6detail15normal_iteratorINS9_10device_ptrIsEEEESE_SE_sNS9_10multipliesIsEENS9_8equal_toIsEEsEE10hipError_tPvRmT2_T3_T4_T5_mT6_T7_P12ihipStream_tbENKUlT_T0_E_clISt17integral_constantIbLb1EESY_IbLb0EEEEDaSU_SV_EUlSU_E_NS1_11comp_targetILNS1_3genE10ELNS1_11target_archE1201ELNS1_3gpuE5ELNS1_3repE0EEENS1_30default_config_static_selectorELNS0_4arch9wavefront6targetE0EEEvT1_ ; -- Begin function _ZN7rocprim17ROCPRIM_400000_NS6detail17trampoline_kernelINS0_14default_configENS1_27scan_by_key_config_selectorIssEEZZNS1_16scan_by_key_implILNS1_25lookback_scan_determinismE0ELb1ES3_N6thrust23THRUST_200600_302600_NS6detail15normal_iteratorINS9_10device_ptrIsEEEESE_SE_sNS9_10multipliesIsEENS9_8equal_toIsEEsEE10hipError_tPvRmT2_T3_T4_T5_mT6_T7_P12ihipStream_tbENKUlT_T0_E_clISt17integral_constantIbLb1EESY_IbLb0EEEEDaSU_SV_EUlSU_E_NS1_11comp_targetILNS1_3genE10ELNS1_11target_archE1201ELNS1_3gpuE5ELNS1_3repE0EEENS1_30default_config_static_selectorELNS0_4arch9wavefront6targetE0EEEvT1_
	.globl	_ZN7rocprim17ROCPRIM_400000_NS6detail17trampoline_kernelINS0_14default_configENS1_27scan_by_key_config_selectorIssEEZZNS1_16scan_by_key_implILNS1_25lookback_scan_determinismE0ELb1ES3_N6thrust23THRUST_200600_302600_NS6detail15normal_iteratorINS9_10device_ptrIsEEEESE_SE_sNS9_10multipliesIsEENS9_8equal_toIsEEsEE10hipError_tPvRmT2_T3_T4_T5_mT6_T7_P12ihipStream_tbENKUlT_T0_E_clISt17integral_constantIbLb1EESY_IbLb0EEEEDaSU_SV_EUlSU_E_NS1_11comp_targetILNS1_3genE10ELNS1_11target_archE1201ELNS1_3gpuE5ELNS1_3repE0EEENS1_30default_config_static_selectorELNS0_4arch9wavefront6targetE0EEEvT1_
	.p2align	8
	.type	_ZN7rocprim17ROCPRIM_400000_NS6detail17trampoline_kernelINS0_14default_configENS1_27scan_by_key_config_selectorIssEEZZNS1_16scan_by_key_implILNS1_25lookback_scan_determinismE0ELb1ES3_N6thrust23THRUST_200600_302600_NS6detail15normal_iteratorINS9_10device_ptrIsEEEESE_SE_sNS9_10multipliesIsEENS9_8equal_toIsEEsEE10hipError_tPvRmT2_T3_T4_T5_mT6_T7_P12ihipStream_tbENKUlT_T0_E_clISt17integral_constantIbLb1EESY_IbLb0EEEEDaSU_SV_EUlSU_E_NS1_11comp_targetILNS1_3genE10ELNS1_11target_archE1201ELNS1_3gpuE5ELNS1_3repE0EEENS1_30default_config_static_selectorELNS0_4arch9wavefront6targetE0EEEvT1_,@function
_ZN7rocprim17ROCPRIM_400000_NS6detail17trampoline_kernelINS0_14default_configENS1_27scan_by_key_config_selectorIssEEZZNS1_16scan_by_key_implILNS1_25lookback_scan_determinismE0ELb1ES3_N6thrust23THRUST_200600_302600_NS6detail15normal_iteratorINS9_10device_ptrIsEEEESE_SE_sNS9_10multipliesIsEENS9_8equal_toIsEEsEE10hipError_tPvRmT2_T3_T4_T5_mT6_T7_P12ihipStream_tbENKUlT_T0_E_clISt17integral_constantIbLb1EESY_IbLb0EEEEDaSU_SV_EUlSU_E_NS1_11comp_targetILNS1_3genE10ELNS1_11target_archE1201ELNS1_3gpuE5ELNS1_3repE0EEENS1_30default_config_static_selectorELNS0_4arch9wavefront6targetE0EEEvT1_: ; @_ZN7rocprim17ROCPRIM_400000_NS6detail17trampoline_kernelINS0_14default_configENS1_27scan_by_key_config_selectorIssEEZZNS1_16scan_by_key_implILNS1_25lookback_scan_determinismE0ELb1ES3_N6thrust23THRUST_200600_302600_NS6detail15normal_iteratorINS9_10device_ptrIsEEEESE_SE_sNS9_10multipliesIsEENS9_8equal_toIsEEsEE10hipError_tPvRmT2_T3_T4_T5_mT6_T7_P12ihipStream_tbENKUlT_T0_E_clISt17integral_constantIbLb1EESY_IbLb0EEEEDaSU_SV_EUlSU_E_NS1_11comp_targetILNS1_3genE10ELNS1_11target_archE1201ELNS1_3gpuE5ELNS1_3repE0EEENS1_30default_config_static_selectorELNS0_4arch9wavefront6targetE0EEEvT1_
; %bb.0:
	.section	.rodata,"a",@progbits
	.p2align	6, 0x0
	.amdhsa_kernel _ZN7rocprim17ROCPRIM_400000_NS6detail17trampoline_kernelINS0_14default_configENS1_27scan_by_key_config_selectorIssEEZZNS1_16scan_by_key_implILNS1_25lookback_scan_determinismE0ELb1ES3_N6thrust23THRUST_200600_302600_NS6detail15normal_iteratorINS9_10device_ptrIsEEEESE_SE_sNS9_10multipliesIsEENS9_8equal_toIsEEsEE10hipError_tPvRmT2_T3_T4_T5_mT6_T7_P12ihipStream_tbENKUlT_T0_E_clISt17integral_constantIbLb1EESY_IbLb0EEEEDaSU_SV_EUlSU_E_NS1_11comp_targetILNS1_3genE10ELNS1_11target_archE1201ELNS1_3gpuE5ELNS1_3repE0EEENS1_30default_config_static_selectorELNS0_4arch9wavefront6targetE0EEEvT1_
		.amdhsa_group_segment_fixed_size 0
		.amdhsa_private_segment_fixed_size 0
		.amdhsa_kernarg_size 112
		.amdhsa_user_sgpr_count 2
		.amdhsa_user_sgpr_dispatch_ptr 0
		.amdhsa_user_sgpr_queue_ptr 0
		.amdhsa_user_sgpr_kernarg_segment_ptr 1
		.amdhsa_user_sgpr_dispatch_id 0
		.amdhsa_user_sgpr_kernarg_preload_length 0
		.amdhsa_user_sgpr_kernarg_preload_offset 0
		.amdhsa_user_sgpr_private_segment_size 0
		.amdhsa_wavefront_size32 1
		.amdhsa_uses_dynamic_stack 0
		.amdhsa_enable_private_segment 0
		.amdhsa_system_sgpr_workgroup_id_x 1
		.amdhsa_system_sgpr_workgroup_id_y 0
		.amdhsa_system_sgpr_workgroup_id_z 0
		.amdhsa_system_sgpr_workgroup_info 0
		.amdhsa_system_vgpr_workitem_id 0
		.amdhsa_next_free_vgpr 1
		.amdhsa_next_free_sgpr 1
		.amdhsa_named_barrier_count 0
		.amdhsa_reserve_vcc 0
		.amdhsa_float_round_mode_32 0
		.amdhsa_float_round_mode_16_64 0
		.amdhsa_float_denorm_mode_32 3
		.amdhsa_float_denorm_mode_16_64 3
		.amdhsa_fp16_overflow 0
		.amdhsa_memory_ordered 1
		.amdhsa_forward_progress 1
		.amdhsa_inst_pref_size 0
		.amdhsa_round_robin_scheduling 0
		.amdhsa_exception_fp_ieee_invalid_op 0
		.amdhsa_exception_fp_denorm_src 0
		.amdhsa_exception_fp_ieee_div_zero 0
		.amdhsa_exception_fp_ieee_overflow 0
		.amdhsa_exception_fp_ieee_underflow 0
		.amdhsa_exception_fp_ieee_inexact 0
		.amdhsa_exception_int_div_zero 0
	.end_amdhsa_kernel
	.section	.text._ZN7rocprim17ROCPRIM_400000_NS6detail17trampoline_kernelINS0_14default_configENS1_27scan_by_key_config_selectorIssEEZZNS1_16scan_by_key_implILNS1_25lookback_scan_determinismE0ELb1ES3_N6thrust23THRUST_200600_302600_NS6detail15normal_iteratorINS9_10device_ptrIsEEEESE_SE_sNS9_10multipliesIsEENS9_8equal_toIsEEsEE10hipError_tPvRmT2_T3_T4_T5_mT6_T7_P12ihipStream_tbENKUlT_T0_E_clISt17integral_constantIbLb1EESY_IbLb0EEEEDaSU_SV_EUlSU_E_NS1_11comp_targetILNS1_3genE10ELNS1_11target_archE1201ELNS1_3gpuE5ELNS1_3repE0EEENS1_30default_config_static_selectorELNS0_4arch9wavefront6targetE0EEEvT1_,"axG",@progbits,_ZN7rocprim17ROCPRIM_400000_NS6detail17trampoline_kernelINS0_14default_configENS1_27scan_by_key_config_selectorIssEEZZNS1_16scan_by_key_implILNS1_25lookback_scan_determinismE0ELb1ES3_N6thrust23THRUST_200600_302600_NS6detail15normal_iteratorINS9_10device_ptrIsEEEESE_SE_sNS9_10multipliesIsEENS9_8equal_toIsEEsEE10hipError_tPvRmT2_T3_T4_T5_mT6_T7_P12ihipStream_tbENKUlT_T0_E_clISt17integral_constantIbLb1EESY_IbLb0EEEEDaSU_SV_EUlSU_E_NS1_11comp_targetILNS1_3genE10ELNS1_11target_archE1201ELNS1_3gpuE5ELNS1_3repE0EEENS1_30default_config_static_selectorELNS0_4arch9wavefront6targetE0EEEvT1_,comdat
.Lfunc_end624:
	.size	_ZN7rocprim17ROCPRIM_400000_NS6detail17trampoline_kernelINS0_14default_configENS1_27scan_by_key_config_selectorIssEEZZNS1_16scan_by_key_implILNS1_25lookback_scan_determinismE0ELb1ES3_N6thrust23THRUST_200600_302600_NS6detail15normal_iteratorINS9_10device_ptrIsEEEESE_SE_sNS9_10multipliesIsEENS9_8equal_toIsEEsEE10hipError_tPvRmT2_T3_T4_T5_mT6_T7_P12ihipStream_tbENKUlT_T0_E_clISt17integral_constantIbLb1EESY_IbLb0EEEEDaSU_SV_EUlSU_E_NS1_11comp_targetILNS1_3genE10ELNS1_11target_archE1201ELNS1_3gpuE5ELNS1_3repE0EEENS1_30default_config_static_selectorELNS0_4arch9wavefront6targetE0EEEvT1_, .Lfunc_end624-_ZN7rocprim17ROCPRIM_400000_NS6detail17trampoline_kernelINS0_14default_configENS1_27scan_by_key_config_selectorIssEEZZNS1_16scan_by_key_implILNS1_25lookback_scan_determinismE0ELb1ES3_N6thrust23THRUST_200600_302600_NS6detail15normal_iteratorINS9_10device_ptrIsEEEESE_SE_sNS9_10multipliesIsEENS9_8equal_toIsEEsEE10hipError_tPvRmT2_T3_T4_T5_mT6_T7_P12ihipStream_tbENKUlT_T0_E_clISt17integral_constantIbLb1EESY_IbLb0EEEEDaSU_SV_EUlSU_E_NS1_11comp_targetILNS1_3genE10ELNS1_11target_archE1201ELNS1_3gpuE5ELNS1_3repE0EEENS1_30default_config_static_selectorELNS0_4arch9wavefront6targetE0EEEvT1_
                                        ; -- End function
	.set _ZN7rocprim17ROCPRIM_400000_NS6detail17trampoline_kernelINS0_14default_configENS1_27scan_by_key_config_selectorIssEEZZNS1_16scan_by_key_implILNS1_25lookback_scan_determinismE0ELb1ES3_N6thrust23THRUST_200600_302600_NS6detail15normal_iteratorINS9_10device_ptrIsEEEESE_SE_sNS9_10multipliesIsEENS9_8equal_toIsEEsEE10hipError_tPvRmT2_T3_T4_T5_mT6_T7_P12ihipStream_tbENKUlT_T0_E_clISt17integral_constantIbLb1EESY_IbLb0EEEEDaSU_SV_EUlSU_E_NS1_11comp_targetILNS1_3genE10ELNS1_11target_archE1201ELNS1_3gpuE5ELNS1_3repE0EEENS1_30default_config_static_selectorELNS0_4arch9wavefront6targetE0EEEvT1_.num_vgpr, 0
	.set _ZN7rocprim17ROCPRIM_400000_NS6detail17trampoline_kernelINS0_14default_configENS1_27scan_by_key_config_selectorIssEEZZNS1_16scan_by_key_implILNS1_25lookback_scan_determinismE0ELb1ES3_N6thrust23THRUST_200600_302600_NS6detail15normal_iteratorINS9_10device_ptrIsEEEESE_SE_sNS9_10multipliesIsEENS9_8equal_toIsEEsEE10hipError_tPvRmT2_T3_T4_T5_mT6_T7_P12ihipStream_tbENKUlT_T0_E_clISt17integral_constantIbLb1EESY_IbLb0EEEEDaSU_SV_EUlSU_E_NS1_11comp_targetILNS1_3genE10ELNS1_11target_archE1201ELNS1_3gpuE5ELNS1_3repE0EEENS1_30default_config_static_selectorELNS0_4arch9wavefront6targetE0EEEvT1_.num_agpr, 0
	.set _ZN7rocprim17ROCPRIM_400000_NS6detail17trampoline_kernelINS0_14default_configENS1_27scan_by_key_config_selectorIssEEZZNS1_16scan_by_key_implILNS1_25lookback_scan_determinismE0ELb1ES3_N6thrust23THRUST_200600_302600_NS6detail15normal_iteratorINS9_10device_ptrIsEEEESE_SE_sNS9_10multipliesIsEENS9_8equal_toIsEEsEE10hipError_tPvRmT2_T3_T4_T5_mT6_T7_P12ihipStream_tbENKUlT_T0_E_clISt17integral_constantIbLb1EESY_IbLb0EEEEDaSU_SV_EUlSU_E_NS1_11comp_targetILNS1_3genE10ELNS1_11target_archE1201ELNS1_3gpuE5ELNS1_3repE0EEENS1_30default_config_static_selectorELNS0_4arch9wavefront6targetE0EEEvT1_.numbered_sgpr, 0
	.set _ZN7rocprim17ROCPRIM_400000_NS6detail17trampoline_kernelINS0_14default_configENS1_27scan_by_key_config_selectorIssEEZZNS1_16scan_by_key_implILNS1_25lookback_scan_determinismE0ELb1ES3_N6thrust23THRUST_200600_302600_NS6detail15normal_iteratorINS9_10device_ptrIsEEEESE_SE_sNS9_10multipliesIsEENS9_8equal_toIsEEsEE10hipError_tPvRmT2_T3_T4_T5_mT6_T7_P12ihipStream_tbENKUlT_T0_E_clISt17integral_constantIbLb1EESY_IbLb0EEEEDaSU_SV_EUlSU_E_NS1_11comp_targetILNS1_3genE10ELNS1_11target_archE1201ELNS1_3gpuE5ELNS1_3repE0EEENS1_30default_config_static_selectorELNS0_4arch9wavefront6targetE0EEEvT1_.num_named_barrier, 0
	.set _ZN7rocprim17ROCPRIM_400000_NS6detail17trampoline_kernelINS0_14default_configENS1_27scan_by_key_config_selectorIssEEZZNS1_16scan_by_key_implILNS1_25lookback_scan_determinismE0ELb1ES3_N6thrust23THRUST_200600_302600_NS6detail15normal_iteratorINS9_10device_ptrIsEEEESE_SE_sNS9_10multipliesIsEENS9_8equal_toIsEEsEE10hipError_tPvRmT2_T3_T4_T5_mT6_T7_P12ihipStream_tbENKUlT_T0_E_clISt17integral_constantIbLb1EESY_IbLb0EEEEDaSU_SV_EUlSU_E_NS1_11comp_targetILNS1_3genE10ELNS1_11target_archE1201ELNS1_3gpuE5ELNS1_3repE0EEENS1_30default_config_static_selectorELNS0_4arch9wavefront6targetE0EEEvT1_.private_seg_size, 0
	.set _ZN7rocprim17ROCPRIM_400000_NS6detail17trampoline_kernelINS0_14default_configENS1_27scan_by_key_config_selectorIssEEZZNS1_16scan_by_key_implILNS1_25lookback_scan_determinismE0ELb1ES3_N6thrust23THRUST_200600_302600_NS6detail15normal_iteratorINS9_10device_ptrIsEEEESE_SE_sNS9_10multipliesIsEENS9_8equal_toIsEEsEE10hipError_tPvRmT2_T3_T4_T5_mT6_T7_P12ihipStream_tbENKUlT_T0_E_clISt17integral_constantIbLb1EESY_IbLb0EEEEDaSU_SV_EUlSU_E_NS1_11comp_targetILNS1_3genE10ELNS1_11target_archE1201ELNS1_3gpuE5ELNS1_3repE0EEENS1_30default_config_static_selectorELNS0_4arch9wavefront6targetE0EEEvT1_.uses_vcc, 0
	.set _ZN7rocprim17ROCPRIM_400000_NS6detail17trampoline_kernelINS0_14default_configENS1_27scan_by_key_config_selectorIssEEZZNS1_16scan_by_key_implILNS1_25lookback_scan_determinismE0ELb1ES3_N6thrust23THRUST_200600_302600_NS6detail15normal_iteratorINS9_10device_ptrIsEEEESE_SE_sNS9_10multipliesIsEENS9_8equal_toIsEEsEE10hipError_tPvRmT2_T3_T4_T5_mT6_T7_P12ihipStream_tbENKUlT_T0_E_clISt17integral_constantIbLb1EESY_IbLb0EEEEDaSU_SV_EUlSU_E_NS1_11comp_targetILNS1_3genE10ELNS1_11target_archE1201ELNS1_3gpuE5ELNS1_3repE0EEENS1_30default_config_static_selectorELNS0_4arch9wavefront6targetE0EEEvT1_.uses_flat_scratch, 0
	.set _ZN7rocprim17ROCPRIM_400000_NS6detail17trampoline_kernelINS0_14default_configENS1_27scan_by_key_config_selectorIssEEZZNS1_16scan_by_key_implILNS1_25lookback_scan_determinismE0ELb1ES3_N6thrust23THRUST_200600_302600_NS6detail15normal_iteratorINS9_10device_ptrIsEEEESE_SE_sNS9_10multipliesIsEENS9_8equal_toIsEEsEE10hipError_tPvRmT2_T3_T4_T5_mT6_T7_P12ihipStream_tbENKUlT_T0_E_clISt17integral_constantIbLb1EESY_IbLb0EEEEDaSU_SV_EUlSU_E_NS1_11comp_targetILNS1_3genE10ELNS1_11target_archE1201ELNS1_3gpuE5ELNS1_3repE0EEENS1_30default_config_static_selectorELNS0_4arch9wavefront6targetE0EEEvT1_.has_dyn_sized_stack, 0
	.set _ZN7rocprim17ROCPRIM_400000_NS6detail17trampoline_kernelINS0_14default_configENS1_27scan_by_key_config_selectorIssEEZZNS1_16scan_by_key_implILNS1_25lookback_scan_determinismE0ELb1ES3_N6thrust23THRUST_200600_302600_NS6detail15normal_iteratorINS9_10device_ptrIsEEEESE_SE_sNS9_10multipliesIsEENS9_8equal_toIsEEsEE10hipError_tPvRmT2_T3_T4_T5_mT6_T7_P12ihipStream_tbENKUlT_T0_E_clISt17integral_constantIbLb1EESY_IbLb0EEEEDaSU_SV_EUlSU_E_NS1_11comp_targetILNS1_3genE10ELNS1_11target_archE1201ELNS1_3gpuE5ELNS1_3repE0EEENS1_30default_config_static_selectorELNS0_4arch9wavefront6targetE0EEEvT1_.has_recursion, 0
	.set _ZN7rocprim17ROCPRIM_400000_NS6detail17trampoline_kernelINS0_14default_configENS1_27scan_by_key_config_selectorIssEEZZNS1_16scan_by_key_implILNS1_25lookback_scan_determinismE0ELb1ES3_N6thrust23THRUST_200600_302600_NS6detail15normal_iteratorINS9_10device_ptrIsEEEESE_SE_sNS9_10multipliesIsEENS9_8equal_toIsEEsEE10hipError_tPvRmT2_T3_T4_T5_mT6_T7_P12ihipStream_tbENKUlT_T0_E_clISt17integral_constantIbLb1EESY_IbLb0EEEEDaSU_SV_EUlSU_E_NS1_11comp_targetILNS1_3genE10ELNS1_11target_archE1201ELNS1_3gpuE5ELNS1_3repE0EEENS1_30default_config_static_selectorELNS0_4arch9wavefront6targetE0EEEvT1_.has_indirect_call, 0
	.section	.AMDGPU.csdata,"",@progbits
; Kernel info:
; codeLenInByte = 0
; TotalNumSgprs: 0
; NumVgprs: 0
; ScratchSize: 0
; MemoryBound: 0
; FloatMode: 240
; IeeeMode: 1
; LDSByteSize: 0 bytes/workgroup (compile time only)
; SGPRBlocks: 0
; VGPRBlocks: 0
; NumSGPRsForWavesPerEU: 1
; NumVGPRsForWavesPerEU: 1
; NamedBarCnt: 0
; Occupancy: 16
; WaveLimiterHint : 0
; COMPUTE_PGM_RSRC2:SCRATCH_EN: 0
; COMPUTE_PGM_RSRC2:USER_SGPR: 2
; COMPUTE_PGM_RSRC2:TRAP_HANDLER: 0
; COMPUTE_PGM_RSRC2:TGID_X_EN: 1
; COMPUTE_PGM_RSRC2:TGID_Y_EN: 0
; COMPUTE_PGM_RSRC2:TGID_Z_EN: 0
; COMPUTE_PGM_RSRC2:TIDIG_COMP_CNT: 0
	.section	.text._ZN7rocprim17ROCPRIM_400000_NS6detail17trampoline_kernelINS0_14default_configENS1_27scan_by_key_config_selectorIssEEZZNS1_16scan_by_key_implILNS1_25lookback_scan_determinismE0ELb1ES3_N6thrust23THRUST_200600_302600_NS6detail15normal_iteratorINS9_10device_ptrIsEEEESE_SE_sNS9_10multipliesIsEENS9_8equal_toIsEEsEE10hipError_tPvRmT2_T3_T4_T5_mT6_T7_P12ihipStream_tbENKUlT_T0_E_clISt17integral_constantIbLb1EESY_IbLb0EEEEDaSU_SV_EUlSU_E_NS1_11comp_targetILNS1_3genE5ELNS1_11target_archE942ELNS1_3gpuE9ELNS1_3repE0EEENS1_30default_config_static_selectorELNS0_4arch9wavefront6targetE0EEEvT1_,"axG",@progbits,_ZN7rocprim17ROCPRIM_400000_NS6detail17trampoline_kernelINS0_14default_configENS1_27scan_by_key_config_selectorIssEEZZNS1_16scan_by_key_implILNS1_25lookback_scan_determinismE0ELb1ES3_N6thrust23THRUST_200600_302600_NS6detail15normal_iteratorINS9_10device_ptrIsEEEESE_SE_sNS9_10multipliesIsEENS9_8equal_toIsEEsEE10hipError_tPvRmT2_T3_T4_T5_mT6_T7_P12ihipStream_tbENKUlT_T0_E_clISt17integral_constantIbLb1EESY_IbLb0EEEEDaSU_SV_EUlSU_E_NS1_11comp_targetILNS1_3genE5ELNS1_11target_archE942ELNS1_3gpuE9ELNS1_3repE0EEENS1_30default_config_static_selectorELNS0_4arch9wavefront6targetE0EEEvT1_,comdat
	.protected	_ZN7rocprim17ROCPRIM_400000_NS6detail17trampoline_kernelINS0_14default_configENS1_27scan_by_key_config_selectorIssEEZZNS1_16scan_by_key_implILNS1_25lookback_scan_determinismE0ELb1ES3_N6thrust23THRUST_200600_302600_NS6detail15normal_iteratorINS9_10device_ptrIsEEEESE_SE_sNS9_10multipliesIsEENS9_8equal_toIsEEsEE10hipError_tPvRmT2_T3_T4_T5_mT6_T7_P12ihipStream_tbENKUlT_T0_E_clISt17integral_constantIbLb1EESY_IbLb0EEEEDaSU_SV_EUlSU_E_NS1_11comp_targetILNS1_3genE5ELNS1_11target_archE942ELNS1_3gpuE9ELNS1_3repE0EEENS1_30default_config_static_selectorELNS0_4arch9wavefront6targetE0EEEvT1_ ; -- Begin function _ZN7rocprim17ROCPRIM_400000_NS6detail17trampoline_kernelINS0_14default_configENS1_27scan_by_key_config_selectorIssEEZZNS1_16scan_by_key_implILNS1_25lookback_scan_determinismE0ELb1ES3_N6thrust23THRUST_200600_302600_NS6detail15normal_iteratorINS9_10device_ptrIsEEEESE_SE_sNS9_10multipliesIsEENS9_8equal_toIsEEsEE10hipError_tPvRmT2_T3_T4_T5_mT6_T7_P12ihipStream_tbENKUlT_T0_E_clISt17integral_constantIbLb1EESY_IbLb0EEEEDaSU_SV_EUlSU_E_NS1_11comp_targetILNS1_3genE5ELNS1_11target_archE942ELNS1_3gpuE9ELNS1_3repE0EEENS1_30default_config_static_selectorELNS0_4arch9wavefront6targetE0EEEvT1_
	.globl	_ZN7rocprim17ROCPRIM_400000_NS6detail17trampoline_kernelINS0_14default_configENS1_27scan_by_key_config_selectorIssEEZZNS1_16scan_by_key_implILNS1_25lookback_scan_determinismE0ELb1ES3_N6thrust23THRUST_200600_302600_NS6detail15normal_iteratorINS9_10device_ptrIsEEEESE_SE_sNS9_10multipliesIsEENS9_8equal_toIsEEsEE10hipError_tPvRmT2_T3_T4_T5_mT6_T7_P12ihipStream_tbENKUlT_T0_E_clISt17integral_constantIbLb1EESY_IbLb0EEEEDaSU_SV_EUlSU_E_NS1_11comp_targetILNS1_3genE5ELNS1_11target_archE942ELNS1_3gpuE9ELNS1_3repE0EEENS1_30default_config_static_selectorELNS0_4arch9wavefront6targetE0EEEvT1_
	.p2align	8
	.type	_ZN7rocprim17ROCPRIM_400000_NS6detail17trampoline_kernelINS0_14default_configENS1_27scan_by_key_config_selectorIssEEZZNS1_16scan_by_key_implILNS1_25lookback_scan_determinismE0ELb1ES3_N6thrust23THRUST_200600_302600_NS6detail15normal_iteratorINS9_10device_ptrIsEEEESE_SE_sNS9_10multipliesIsEENS9_8equal_toIsEEsEE10hipError_tPvRmT2_T3_T4_T5_mT6_T7_P12ihipStream_tbENKUlT_T0_E_clISt17integral_constantIbLb1EESY_IbLb0EEEEDaSU_SV_EUlSU_E_NS1_11comp_targetILNS1_3genE5ELNS1_11target_archE942ELNS1_3gpuE9ELNS1_3repE0EEENS1_30default_config_static_selectorELNS0_4arch9wavefront6targetE0EEEvT1_,@function
_ZN7rocprim17ROCPRIM_400000_NS6detail17trampoline_kernelINS0_14default_configENS1_27scan_by_key_config_selectorIssEEZZNS1_16scan_by_key_implILNS1_25lookback_scan_determinismE0ELb1ES3_N6thrust23THRUST_200600_302600_NS6detail15normal_iteratorINS9_10device_ptrIsEEEESE_SE_sNS9_10multipliesIsEENS9_8equal_toIsEEsEE10hipError_tPvRmT2_T3_T4_T5_mT6_T7_P12ihipStream_tbENKUlT_T0_E_clISt17integral_constantIbLb1EESY_IbLb0EEEEDaSU_SV_EUlSU_E_NS1_11comp_targetILNS1_3genE5ELNS1_11target_archE942ELNS1_3gpuE9ELNS1_3repE0EEENS1_30default_config_static_selectorELNS0_4arch9wavefront6targetE0EEEvT1_: ; @_ZN7rocprim17ROCPRIM_400000_NS6detail17trampoline_kernelINS0_14default_configENS1_27scan_by_key_config_selectorIssEEZZNS1_16scan_by_key_implILNS1_25lookback_scan_determinismE0ELb1ES3_N6thrust23THRUST_200600_302600_NS6detail15normal_iteratorINS9_10device_ptrIsEEEESE_SE_sNS9_10multipliesIsEENS9_8equal_toIsEEsEE10hipError_tPvRmT2_T3_T4_T5_mT6_T7_P12ihipStream_tbENKUlT_T0_E_clISt17integral_constantIbLb1EESY_IbLb0EEEEDaSU_SV_EUlSU_E_NS1_11comp_targetILNS1_3genE5ELNS1_11target_archE942ELNS1_3gpuE9ELNS1_3repE0EEENS1_30default_config_static_selectorELNS0_4arch9wavefront6targetE0EEEvT1_
; %bb.0:
	.section	.rodata,"a",@progbits
	.p2align	6, 0x0
	.amdhsa_kernel _ZN7rocprim17ROCPRIM_400000_NS6detail17trampoline_kernelINS0_14default_configENS1_27scan_by_key_config_selectorIssEEZZNS1_16scan_by_key_implILNS1_25lookback_scan_determinismE0ELb1ES3_N6thrust23THRUST_200600_302600_NS6detail15normal_iteratorINS9_10device_ptrIsEEEESE_SE_sNS9_10multipliesIsEENS9_8equal_toIsEEsEE10hipError_tPvRmT2_T3_T4_T5_mT6_T7_P12ihipStream_tbENKUlT_T0_E_clISt17integral_constantIbLb1EESY_IbLb0EEEEDaSU_SV_EUlSU_E_NS1_11comp_targetILNS1_3genE5ELNS1_11target_archE942ELNS1_3gpuE9ELNS1_3repE0EEENS1_30default_config_static_selectorELNS0_4arch9wavefront6targetE0EEEvT1_
		.amdhsa_group_segment_fixed_size 0
		.amdhsa_private_segment_fixed_size 0
		.amdhsa_kernarg_size 112
		.amdhsa_user_sgpr_count 2
		.amdhsa_user_sgpr_dispatch_ptr 0
		.amdhsa_user_sgpr_queue_ptr 0
		.amdhsa_user_sgpr_kernarg_segment_ptr 1
		.amdhsa_user_sgpr_dispatch_id 0
		.amdhsa_user_sgpr_kernarg_preload_length 0
		.amdhsa_user_sgpr_kernarg_preload_offset 0
		.amdhsa_user_sgpr_private_segment_size 0
		.amdhsa_wavefront_size32 1
		.amdhsa_uses_dynamic_stack 0
		.amdhsa_enable_private_segment 0
		.amdhsa_system_sgpr_workgroup_id_x 1
		.amdhsa_system_sgpr_workgroup_id_y 0
		.amdhsa_system_sgpr_workgroup_id_z 0
		.amdhsa_system_sgpr_workgroup_info 0
		.amdhsa_system_vgpr_workitem_id 0
		.amdhsa_next_free_vgpr 1
		.amdhsa_next_free_sgpr 1
		.amdhsa_named_barrier_count 0
		.amdhsa_reserve_vcc 0
		.amdhsa_float_round_mode_32 0
		.amdhsa_float_round_mode_16_64 0
		.amdhsa_float_denorm_mode_32 3
		.amdhsa_float_denorm_mode_16_64 3
		.amdhsa_fp16_overflow 0
		.amdhsa_memory_ordered 1
		.amdhsa_forward_progress 1
		.amdhsa_inst_pref_size 0
		.amdhsa_round_robin_scheduling 0
		.amdhsa_exception_fp_ieee_invalid_op 0
		.amdhsa_exception_fp_denorm_src 0
		.amdhsa_exception_fp_ieee_div_zero 0
		.amdhsa_exception_fp_ieee_overflow 0
		.amdhsa_exception_fp_ieee_underflow 0
		.amdhsa_exception_fp_ieee_inexact 0
		.amdhsa_exception_int_div_zero 0
	.end_amdhsa_kernel
	.section	.text._ZN7rocprim17ROCPRIM_400000_NS6detail17trampoline_kernelINS0_14default_configENS1_27scan_by_key_config_selectorIssEEZZNS1_16scan_by_key_implILNS1_25lookback_scan_determinismE0ELb1ES3_N6thrust23THRUST_200600_302600_NS6detail15normal_iteratorINS9_10device_ptrIsEEEESE_SE_sNS9_10multipliesIsEENS9_8equal_toIsEEsEE10hipError_tPvRmT2_T3_T4_T5_mT6_T7_P12ihipStream_tbENKUlT_T0_E_clISt17integral_constantIbLb1EESY_IbLb0EEEEDaSU_SV_EUlSU_E_NS1_11comp_targetILNS1_3genE5ELNS1_11target_archE942ELNS1_3gpuE9ELNS1_3repE0EEENS1_30default_config_static_selectorELNS0_4arch9wavefront6targetE0EEEvT1_,"axG",@progbits,_ZN7rocprim17ROCPRIM_400000_NS6detail17trampoline_kernelINS0_14default_configENS1_27scan_by_key_config_selectorIssEEZZNS1_16scan_by_key_implILNS1_25lookback_scan_determinismE0ELb1ES3_N6thrust23THRUST_200600_302600_NS6detail15normal_iteratorINS9_10device_ptrIsEEEESE_SE_sNS9_10multipliesIsEENS9_8equal_toIsEEsEE10hipError_tPvRmT2_T3_T4_T5_mT6_T7_P12ihipStream_tbENKUlT_T0_E_clISt17integral_constantIbLb1EESY_IbLb0EEEEDaSU_SV_EUlSU_E_NS1_11comp_targetILNS1_3genE5ELNS1_11target_archE942ELNS1_3gpuE9ELNS1_3repE0EEENS1_30default_config_static_selectorELNS0_4arch9wavefront6targetE0EEEvT1_,comdat
.Lfunc_end625:
	.size	_ZN7rocprim17ROCPRIM_400000_NS6detail17trampoline_kernelINS0_14default_configENS1_27scan_by_key_config_selectorIssEEZZNS1_16scan_by_key_implILNS1_25lookback_scan_determinismE0ELb1ES3_N6thrust23THRUST_200600_302600_NS6detail15normal_iteratorINS9_10device_ptrIsEEEESE_SE_sNS9_10multipliesIsEENS9_8equal_toIsEEsEE10hipError_tPvRmT2_T3_T4_T5_mT6_T7_P12ihipStream_tbENKUlT_T0_E_clISt17integral_constantIbLb1EESY_IbLb0EEEEDaSU_SV_EUlSU_E_NS1_11comp_targetILNS1_3genE5ELNS1_11target_archE942ELNS1_3gpuE9ELNS1_3repE0EEENS1_30default_config_static_selectorELNS0_4arch9wavefront6targetE0EEEvT1_, .Lfunc_end625-_ZN7rocprim17ROCPRIM_400000_NS6detail17trampoline_kernelINS0_14default_configENS1_27scan_by_key_config_selectorIssEEZZNS1_16scan_by_key_implILNS1_25lookback_scan_determinismE0ELb1ES3_N6thrust23THRUST_200600_302600_NS6detail15normal_iteratorINS9_10device_ptrIsEEEESE_SE_sNS9_10multipliesIsEENS9_8equal_toIsEEsEE10hipError_tPvRmT2_T3_T4_T5_mT6_T7_P12ihipStream_tbENKUlT_T0_E_clISt17integral_constantIbLb1EESY_IbLb0EEEEDaSU_SV_EUlSU_E_NS1_11comp_targetILNS1_3genE5ELNS1_11target_archE942ELNS1_3gpuE9ELNS1_3repE0EEENS1_30default_config_static_selectorELNS0_4arch9wavefront6targetE0EEEvT1_
                                        ; -- End function
	.set _ZN7rocprim17ROCPRIM_400000_NS6detail17trampoline_kernelINS0_14default_configENS1_27scan_by_key_config_selectorIssEEZZNS1_16scan_by_key_implILNS1_25lookback_scan_determinismE0ELb1ES3_N6thrust23THRUST_200600_302600_NS6detail15normal_iteratorINS9_10device_ptrIsEEEESE_SE_sNS9_10multipliesIsEENS9_8equal_toIsEEsEE10hipError_tPvRmT2_T3_T4_T5_mT6_T7_P12ihipStream_tbENKUlT_T0_E_clISt17integral_constantIbLb1EESY_IbLb0EEEEDaSU_SV_EUlSU_E_NS1_11comp_targetILNS1_3genE5ELNS1_11target_archE942ELNS1_3gpuE9ELNS1_3repE0EEENS1_30default_config_static_selectorELNS0_4arch9wavefront6targetE0EEEvT1_.num_vgpr, 0
	.set _ZN7rocprim17ROCPRIM_400000_NS6detail17trampoline_kernelINS0_14default_configENS1_27scan_by_key_config_selectorIssEEZZNS1_16scan_by_key_implILNS1_25lookback_scan_determinismE0ELb1ES3_N6thrust23THRUST_200600_302600_NS6detail15normal_iteratorINS9_10device_ptrIsEEEESE_SE_sNS9_10multipliesIsEENS9_8equal_toIsEEsEE10hipError_tPvRmT2_T3_T4_T5_mT6_T7_P12ihipStream_tbENKUlT_T0_E_clISt17integral_constantIbLb1EESY_IbLb0EEEEDaSU_SV_EUlSU_E_NS1_11comp_targetILNS1_3genE5ELNS1_11target_archE942ELNS1_3gpuE9ELNS1_3repE0EEENS1_30default_config_static_selectorELNS0_4arch9wavefront6targetE0EEEvT1_.num_agpr, 0
	.set _ZN7rocprim17ROCPRIM_400000_NS6detail17trampoline_kernelINS0_14default_configENS1_27scan_by_key_config_selectorIssEEZZNS1_16scan_by_key_implILNS1_25lookback_scan_determinismE0ELb1ES3_N6thrust23THRUST_200600_302600_NS6detail15normal_iteratorINS9_10device_ptrIsEEEESE_SE_sNS9_10multipliesIsEENS9_8equal_toIsEEsEE10hipError_tPvRmT2_T3_T4_T5_mT6_T7_P12ihipStream_tbENKUlT_T0_E_clISt17integral_constantIbLb1EESY_IbLb0EEEEDaSU_SV_EUlSU_E_NS1_11comp_targetILNS1_3genE5ELNS1_11target_archE942ELNS1_3gpuE9ELNS1_3repE0EEENS1_30default_config_static_selectorELNS0_4arch9wavefront6targetE0EEEvT1_.numbered_sgpr, 0
	.set _ZN7rocprim17ROCPRIM_400000_NS6detail17trampoline_kernelINS0_14default_configENS1_27scan_by_key_config_selectorIssEEZZNS1_16scan_by_key_implILNS1_25lookback_scan_determinismE0ELb1ES3_N6thrust23THRUST_200600_302600_NS6detail15normal_iteratorINS9_10device_ptrIsEEEESE_SE_sNS9_10multipliesIsEENS9_8equal_toIsEEsEE10hipError_tPvRmT2_T3_T4_T5_mT6_T7_P12ihipStream_tbENKUlT_T0_E_clISt17integral_constantIbLb1EESY_IbLb0EEEEDaSU_SV_EUlSU_E_NS1_11comp_targetILNS1_3genE5ELNS1_11target_archE942ELNS1_3gpuE9ELNS1_3repE0EEENS1_30default_config_static_selectorELNS0_4arch9wavefront6targetE0EEEvT1_.num_named_barrier, 0
	.set _ZN7rocprim17ROCPRIM_400000_NS6detail17trampoline_kernelINS0_14default_configENS1_27scan_by_key_config_selectorIssEEZZNS1_16scan_by_key_implILNS1_25lookback_scan_determinismE0ELb1ES3_N6thrust23THRUST_200600_302600_NS6detail15normal_iteratorINS9_10device_ptrIsEEEESE_SE_sNS9_10multipliesIsEENS9_8equal_toIsEEsEE10hipError_tPvRmT2_T3_T4_T5_mT6_T7_P12ihipStream_tbENKUlT_T0_E_clISt17integral_constantIbLb1EESY_IbLb0EEEEDaSU_SV_EUlSU_E_NS1_11comp_targetILNS1_3genE5ELNS1_11target_archE942ELNS1_3gpuE9ELNS1_3repE0EEENS1_30default_config_static_selectorELNS0_4arch9wavefront6targetE0EEEvT1_.private_seg_size, 0
	.set _ZN7rocprim17ROCPRIM_400000_NS6detail17trampoline_kernelINS0_14default_configENS1_27scan_by_key_config_selectorIssEEZZNS1_16scan_by_key_implILNS1_25lookback_scan_determinismE0ELb1ES3_N6thrust23THRUST_200600_302600_NS6detail15normal_iteratorINS9_10device_ptrIsEEEESE_SE_sNS9_10multipliesIsEENS9_8equal_toIsEEsEE10hipError_tPvRmT2_T3_T4_T5_mT6_T7_P12ihipStream_tbENKUlT_T0_E_clISt17integral_constantIbLb1EESY_IbLb0EEEEDaSU_SV_EUlSU_E_NS1_11comp_targetILNS1_3genE5ELNS1_11target_archE942ELNS1_3gpuE9ELNS1_3repE0EEENS1_30default_config_static_selectorELNS0_4arch9wavefront6targetE0EEEvT1_.uses_vcc, 0
	.set _ZN7rocprim17ROCPRIM_400000_NS6detail17trampoline_kernelINS0_14default_configENS1_27scan_by_key_config_selectorIssEEZZNS1_16scan_by_key_implILNS1_25lookback_scan_determinismE0ELb1ES3_N6thrust23THRUST_200600_302600_NS6detail15normal_iteratorINS9_10device_ptrIsEEEESE_SE_sNS9_10multipliesIsEENS9_8equal_toIsEEsEE10hipError_tPvRmT2_T3_T4_T5_mT6_T7_P12ihipStream_tbENKUlT_T0_E_clISt17integral_constantIbLb1EESY_IbLb0EEEEDaSU_SV_EUlSU_E_NS1_11comp_targetILNS1_3genE5ELNS1_11target_archE942ELNS1_3gpuE9ELNS1_3repE0EEENS1_30default_config_static_selectorELNS0_4arch9wavefront6targetE0EEEvT1_.uses_flat_scratch, 0
	.set _ZN7rocprim17ROCPRIM_400000_NS6detail17trampoline_kernelINS0_14default_configENS1_27scan_by_key_config_selectorIssEEZZNS1_16scan_by_key_implILNS1_25lookback_scan_determinismE0ELb1ES3_N6thrust23THRUST_200600_302600_NS6detail15normal_iteratorINS9_10device_ptrIsEEEESE_SE_sNS9_10multipliesIsEENS9_8equal_toIsEEsEE10hipError_tPvRmT2_T3_T4_T5_mT6_T7_P12ihipStream_tbENKUlT_T0_E_clISt17integral_constantIbLb1EESY_IbLb0EEEEDaSU_SV_EUlSU_E_NS1_11comp_targetILNS1_3genE5ELNS1_11target_archE942ELNS1_3gpuE9ELNS1_3repE0EEENS1_30default_config_static_selectorELNS0_4arch9wavefront6targetE0EEEvT1_.has_dyn_sized_stack, 0
	.set _ZN7rocprim17ROCPRIM_400000_NS6detail17trampoline_kernelINS0_14default_configENS1_27scan_by_key_config_selectorIssEEZZNS1_16scan_by_key_implILNS1_25lookback_scan_determinismE0ELb1ES3_N6thrust23THRUST_200600_302600_NS6detail15normal_iteratorINS9_10device_ptrIsEEEESE_SE_sNS9_10multipliesIsEENS9_8equal_toIsEEsEE10hipError_tPvRmT2_T3_T4_T5_mT6_T7_P12ihipStream_tbENKUlT_T0_E_clISt17integral_constantIbLb1EESY_IbLb0EEEEDaSU_SV_EUlSU_E_NS1_11comp_targetILNS1_3genE5ELNS1_11target_archE942ELNS1_3gpuE9ELNS1_3repE0EEENS1_30default_config_static_selectorELNS0_4arch9wavefront6targetE0EEEvT1_.has_recursion, 0
	.set _ZN7rocprim17ROCPRIM_400000_NS6detail17trampoline_kernelINS0_14default_configENS1_27scan_by_key_config_selectorIssEEZZNS1_16scan_by_key_implILNS1_25lookback_scan_determinismE0ELb1ES3_N6thrust23THRUST_200600_302600_NS6detail15normal_iteratorINS9_10device_ptrIsEEEESE_SE_sNS9_10multipliesIsEENS9_8equal_toIsEEsEE10hipError_tPvRmT2_T3_T4_T5_mT6_T7_P12ihipStream_tbENKUlT_T0_E_clISt17integral_constantIbLb1EESY_IbLb0EEEEDaSU_SV_EUlSU_E_NS1_11comp_targetILNS1_3genE5ELNS1_11target_archE942ELNS1_3gpuE9ELNS1_3repE0EEENS1_30default_config_static_selectorELNS0_4arch9wavefront6targetE0EEEvT1_.has_indirect_call, 0
	.section	.AMDGPU.csdata,"",@progbits
; Kernel info:
; codeLenInByte = 0
; TotalNumSgprs: 0
; NumVgprs: 0
; ScratchSize: 0
; MemoryBound: 0
; FloatMode: 240
; IeeeMode: 1
; LDSByteSize: 0 bytes/workgroup (compile time only)
; SGPRBlocks: 0
; VGPRBlocks: 0
; NumSGPRsForWavesPerEU: 1
; NumVGPRsForWavesPerEU: 1
; NamedBarCnt: 0
; Occupancy: 16
; WaveLimiterHint : 0
; COMPUTE_PGM_RSRC2:SCRATCH_EN: 0
; COMPUTE_PGM_RSRC2:USER_SGPR: 2
; COMPUTE_PGM_RSRC2:TRAP_HANDLER: 0
; COMPUTE_PGM_RSRC2:TGID_X_EN: 1
; COMPUTE_PGM_RSRC2:TGID_Y_EN: 0
; COMPUTE_PGM_RSRC2:TGID_Z_EN: 0
; COMPUTE_PGM_RSRC2:TIDIG_COMP_CNT: 0
	.section	.text._ZN7rocprim17ROCPRIM_400000_NS6detail17trampoline_kernelINS0_14default_configENS1_27scan_by_key_config_selectorIssEEZZNS1_16scan_by_key_implILNS1_25lookback_scan_determinismE0ELb1ES3_N6thrust23THRUST_200600_302600_NS6detail15normal_iteratorINS9_10device_ptrIsEEEESE_SE_sNS9_10multipliesIsEENS9_8equal_toIsEEsEE10hipError_tPvRmT2_T3_T4_T5_mT6_T7_P12ihipStream_tbENKUlT_T0_E_clISt17integral_constantIbLb1EESY_IbLb0EEEEDaSU_SV_EUlSU_E_NS1_11comp_targetILNS1_3genE4ELNS1_11target_archE910ELNS1_3gpuE8ELNS1_3repE0EEENS1_30default_config_static_selectorELNS0_4arch9wavefront6targetE0EEEvT1_,"axG",@progbits,_ZN7rocprim17ROCPRIM_400000_NS6detail17trampoline_kernelINS0_14default_configENS1_27scan_by_key_config_selectorIssEEZZNS1_16scan_by_key_implILNS1_25lookback_scan_determinismE0ELb1ES3_N6thrust23THRUST_200600_302600_NS6detail15normal_iteratorINS9_10device_ptrIsEEEESE_SE_sNS9_10multipliesIsEENS9_8equal_toIsEEsEE10hipError_tPvRmT2_T3_T4_T5_mT6_T7_P12ihipStream_tbENKUlT_T0_E_clISt17integral_constantIbLb1EESY_IbLb0EEEEDaSU_SV_EUlSU_E_NS1_11comp_targetILNS1_3genE4ELNS1_11target_archE910ELNS1_3gpuE8ELNS1_3repE0EEENS1_30default_config_static_selectorELNS0_4arch9wavefront6targetE0EEEvT1_,comdat
	.protected	_ZN7rocprim17ROCPRIM_400000_NS6detail17trampoline_kernelINS0_14default_configENS1_27scan_by_key_config_selectorIssEEZZNS1_16scan_by_key_implILNS1_25lookback_scan_determinismE0ELb1ES3_N6thrust23THRUST_200600_302600_NS6detail15normal_iteratorINS9_10device_ptrIsEEEESE_SE_sNS9_10multipliesIsEENS9_8equal_toIsEEsEE10hipError_tPvRmT2_T3_T4_T5_mT6_T7_P12ihipStream_tbENKUlT_T0_E_clISt17integral_constantIbLb1EESY_IbLb0EEEEDaSU_SV_EUlSU_E_NS1_11comp_targetILNS1_3genE4ELNS1_11target_archE910ELNS1_3gpuE8ELNS1_3repE0EEENS1_30default_config_static_selectorELNS0_4arch9wavefront6targetE0EEEvT1_ ; -- Begin function _ZN7rocprim17ROCPRIM_400000_NS6detail17trampoline_kernelINS0_14default_configENS1_27scan_by_key_config_selectorIssEEZZNS1_16scan_by_key_implILNS1_25lookback_scan_determinismE0ELb1ES3_N6thrust23THRUST_200600_302600_NS6detail15normal_iteratorINS9_10device_ptrIsEEEESE_SE_sNS9_10multipliesIsEENS9_8equal_toIsEEsEE10hipError_tPvRmT2_T3_T4_T5_mT6_T7_P12ihipStream_tbENKUlT_T0_E_clISt17integral_constantIbLb1EESY_IbLb0EEEEDaSU_SV_EUlSU_E_NS1_11comp_targetILNS1_3genE4ELNS1_11target_archE910ELNS1_3gpuE8ELNS1_3repE0EEENS1_30default_config_static_selectorELNS0_4arch9wavefront6targetE0EEEvT1_
	.globl	_ZN7rocprim17ROCPRIM_400000_NS6detail17trampoline_kernelINS0_14default_configENS1_27scan_by_key_config_selectorIssEEZZNS1_16scan_by_key_implILNS1_25lookback_scan_determinismE0ELb1ES3_N6thrust23THRUST_200600_302600_NS6detail15normal_iteratorINS9_10device_ptrIsEEEESE_SE_sNS9_10multipliesIsEENS9_8equal_toIsEEsEE10hipError_tPvRmT2_T3_T4_T5_mT6_T7_P12ihipStream_tbENKUlT_T0_E_clISt17integral_constantIbLb1EESY_IbLb0EEEEDaSU_SV_EUlSU_E_NS1_11comp_targetILNS1_3genE4ELNS1_11target_archE910ELNS1_3gpuE8ELNS1_3repE0EEENS1_30default_config_static_selectorELNS0_4arch9wavefront6targetE0EEEvT1_
	.p2align	8
	.type	_ZN7rocprim17ROCPRIM_400000_NS6detail17trampoline_kernelINS0_14default_configENS1_27scan_by_key_config_selectorIssEEZZNS1_16scan_by_key_implILNS1_25lookback_scan_determinismE0ELb1ES3_N6thrust23THRUST_200600_302600_NS6detail15normal_iteratorINS9_10device_ptrIsEEEESE_SE_sNS9_10multipliesIsEENS9_8equal_toIsEEsEE10hipError_tPvRmT2_T3_T4_T5_mT6_T7_P12ihipStream_tbENKUlT_T0_E_clISt17integral_constantIbLb1EESY_IbLb0EEEEDaSU_SV_EUlSU_E_NS1_11comp_targetILNS1_3genE4ELNS1_11target_archE910ELNS1_3gpuE8ELNS1_3repE0EEENS1_30default_config_static_selectorELNS0_4arch9wavefront6targetE0EEEvT1_,@function
_ZN7rocprim17ROCPRIM_400000_NS6detail17trampoline_kernelINS0_14default_configENS1_27scan_by_key_config_selectorIssEEZZNS1_16scan_by_key_implILNS1_25lookback_scan_determinismE0ELb1ES3_N6thrust23THRUST_200600_302600_NS6detail15normal_iteratorINS9_10device_ptrIsEEEESE_SE_sNS9_10multipliesIsEENS9_8equal_toIsEEsEE10hipError_tPvRmT2_T3_T4_T5_mT6_T7_P12ihipStream_tbENKUlT_T0_E_clISt17integral_constantIbLb1EESY_IbLb0EEEEDaSU_SV_EUlSU_E_NS1_11comp_targetILNS1_3genE4ELNS1_11target_archE910ELNS1_3gpuE8ELNS1_3repE0EEENS1_30default_config_static_selectorELNS0_4arch9wavefront6targetE0EEEvT1_: ; @_ZN7rocprim17ROCPRIM_400000_NS6detail17trampoline_kernelINS0_14default_configENS1_27scan_by_key_config_selectorIssEEZZNS1_16scan_by_key_implILNS1_25lookback_scan_determinismE0ELb1ES3_N6thrust23THRUST_200600_302600_NS6detail15normal_iteratorINS9_10device_ptrIsEEEESE_SE_sNS9_10multipliesIsEENS9_8equal_toIsEEsEE10hipError_tPvRmT2_T3_T4_T5_mT6_T7_P12ihipStream_tbENKUlT_T0_E_clISt17integral_constantIbLb1EESY_IbLb0EEEEDaSU_SV_EUlSU_E_NS1_11comp_targetILNS1_3genE4ELNS1_11target_archE910ELNS1_3gpuE8ELNS1_3repE0EEENS1_30default_config_static_selectorELNS0_4arch9wavefront6targetE0EEEvT1_
; %bb.0:
	.section	.rodata,"a",@progbits
	.p2align	6, 0x0
	.amdhsa_kernel _ZN7rocprim17ROCPRIM_400000_NS6detail17trampoline_kernelINS0_14default_configENS1_27scan_by_key_config_selectorIssEEZZNS1_16scan_by_key_implILNS1_25lookback_scan_determinismE0ELb1ES3_N6thrust23THRUST_200600_302600_NS6detail15normal_iteratorINS9_10device_ptrIsEEEESE_SE_sNS9_10multipliesIsEENS9_8equal_toIsEEsEE10hipError_tPvRmT2_T3_T4_T5_mT6_T7_P12ihipStream_tbENKUlT_T0_E_clISt17integral_constantIbLb1EESY_IbLb0EEEEDaSU_SV_EUlSU_E_NS1_11comp_targetILNS1_3genE4ELNS1_11target_archE910ELNS1_3gpuE8ELNS1_3repE0EEENS1_30default_config_static_selectorELNS0_4arch9wavefront6targetE0EEEvT1_
		.amdhsa_group_segment_fixed_size 0
		.amdhsa_private_segment_fixed_size 0
		.amdhsa_kernarg_size 112
		.amdhsa_user_sgpr_count 2
		.amdhsa_user_sgpr_dispatch_ptr 0
		.amdhsa_user_sgpr_queue_ptr 0
		.amdhsa_user_sgpr_kernarg_segment_ptr 1
		.amdhsa_user_sgpr_dispatch_id 0
		.amdhsa_user_sgpr_kernarg_preload_length 0
		.amdhsa_user_sgpr_kernarg_preload_offset 0
		.amdhsa_user_sgpr_private_segment_size 0
		.amdhsa_wavefront_size32 1
		.amdhsa_uses_dynamic_stack 0
		.amdhsa_enable_private_segment 0
		.amdhsa_system_sgpr_workgroup_id_x 1
		.amdhsa_system_sgpr_workgroup_id_y 0
		.amdhsa_system_sgpr_workgroup_id_z 0
		.amdhsa_system_sgpr_workgroup_info 0
		.amdhsa_system_vgpr_workitem_id 0
		.amdhsa_next_free_vgpr 1
		.amdhsa_next_free_sgpr 1
		.amdhsa_named_barrier_count 0
		.amdhsa_reserve_vcc 0
		.amdhsa_float_round_mode_32 0
		.amdhsa_float_round_mode_16_64 0
		.amdhsa_float_denorm_mode_32 3
		.amdhsa_float_denorm_mode_16_64 3
		.amdhsa_fp16_overflow 0
		.amdhsa_memory_ordered 1
		.amdhsa_forward_progress 1
		.amdhsa_inst_pref_size 0
		.amdhsa_round_robin_scheduling 0
		.amdhsa_exception_fp_ieee_invalid_op 0
		.amdhsa_exception_fp_denorm_src 0
		.amdhsa_exception_fp_ieee_div_zero 0
		.amdhsa_exception_fp_ieee_overflow 0
		.amdhsa_exception_fp_ieee_underflow 0
		.amdhsa_exception_fp_ieee_inexact 0
		.amdhsa_exception_int_div_zero 0
	.end_amdhsa_kernel
	.section	.text._ZN7rocprim17ROCPRIM_400000_NS6detail17trampoline_kernelINS0_14default_configENS1_27scan_by_key_config_selectorIssEEZZNS1_16scan_by_key_implILNS1_25lookback_scan_determinismE0ELb1ES3_N6thrust23THRUST_200600_302600_NS6detail15normal_iteratorINS9_10device_ptrIsEEEESE_SE_sNS9_10multipliesIsEENS9_8equal_toIsEEsEE10hipError_tPvRmT2_T3_T4_T5_mT6_T7_P12ihipStream_tbENKUlT_T0_E_clISt17integral_constantIbLb1EESY_IbLb0EEEEDaSU_SV_EUlSU_E_NS1_11comp_targetILNS1_3genE4ELNS1_11target_archE910ELNS1_3gpuE8ELNS1_3repE0EEENS1_30default_config_static_selectorELNS0_4arch9wavefront6targetE0EEEvT1_,"axG",@progbits,_ZN7rocprim17ROCPRIM_400000_NS6detail17trampoline_kernelINS0_14default_configENS1_27scan_by_key_config_selectorIssEEZZNS1_16scan_by_key_implILNS1_25lookback_scan_determinismE0ELb1ES3_N6thrust23THRUST_200600_302600_NS6detail15normal_iteratorINS9_10device_ptrIsEEEESE_SE_sNS9_10multipliesIsEENS9_8equal_toIsEEsEE10hipError_tPvRmT2_T3_T4_T5_mT6_T7_P12ihipStream_tbENKUlT_T0_E_clISt17integral_constantIbLb1EESY_IbLb0EEEEDaSU_SV_EUlSU_E_NS1_11comp_targetILNS1_3genE4ELNS1_11target_archE910ELNS1_3gpuE8ELNS1_3repE0EEENS1_30default_config_static_selectorELNS0_4arch9wavefront6targetE0EEEvT1_,comdat
.Lfunc_end626:
	.size	_ZN7rocprim17ROCPRIM_400000_NS6detail17trampoline_kernelINS0_14default_configENS1_27scan_by_key_config_selectorIssEEZZNS1_16scan_by_key_implILNS1_25lookback_scan_determinismE0ELb1ES3_N6thrust23THRUST_200600_302600_NS6detail15normal_iteratorINS9_10device_ptrIsEEEESE_SE_sNS9_10multipliesIsEENS9_8equal_toIsEEsEE10hipError_tPvRmT2_T3_T4_T5_mT6_T7_P12ihipStream_tbENKUlT_T0_E_clISt17integral_constantIbLb1EESY_IbLb0EEEEDaSU_SV_EUlSU_E_NS1_11comp_targetILNS1_3genE4ELNS1_11target_archE910ELNS1_3gpuE8ELNS1_3repE0EEENS1_30default_config_static_selectorELNS0_4arch9wavefront6targetE0EEEvT1_, .Lfunc_end626-_ZN7rocprim17ROCPRIM_400000_NS6detail17trampoline_kernelINS0_14default_configENS1_27scan_by_key_config_selectorIssEEZZNS1_16scan_by_key_implILNS1_25lookback_scan_determinismE0ELb1ES3_N6thrust23THRUST_200600_302600_NS6detail15normal_iteratorINS9_10device_ptrIsEEEESE_SE_sNS9_10multipliesIsEENS9_8equal_toIsEEsEE10hipError_tPvRmT2_T3_T4_T5_mT6_T7_P12ihipStream_tbENKUlT_T0_E_clISt17integral_constantIbLb1EESY_IbLb0EEEEDaSU_SV_EUlSU_E_NS1_11comp_targetILNS1_3genE4ELNS1_11target_archE910ELNS1_3gpuE8ELNS1_3repE0EEENS1_30default_config_static_selectorELNS0_4arch9wavefront6targetE0EEEvT1_
                                        ; -- End function
	.set _ZN7rocprim17ROCPRIM_400000_NS6detail17trampoline_kernelINS0_14default_configENS1_27scan_by_key_config_selectorIssEEZZNS1_16scan_by_key_implILNS1_25lookback_scan_determinismE0ELb1ES3_N6thrust23THRUST_200600_302600_NS6detail15normal_iteratorINS9_10device_ptrIsEEEESE_SE_sNS9_10multipliesIsEENS9_8equal_toIsEEsEE10hipError_tPvRmT2_T3_T4_T5_mT6_T7_P12ihipStream_tbENKUlT_T0_E_clISt17integral_constantIbLb1EESY_IbLb0EEEEDaSU_SV_EUlSU_E_NS1_11comp_targetILNS1_3genE4ELNS1_11target_archE910ELNS1_3gpuE8ELNS1_3repE0EEENS1_30default_config_static_selectorELNS0_4arch9wavefront6targetE0EEEvT1_.num_vgpr, 0
	.set _ZN7rocprim17ROCPRIM_400000_NS6detail17trampoline_kernelINS0_14default_configENS1_27scan_by_key_config_selectorIssEEZZNS1_16scan_by_key_implILNS1_25lookback_scan_determinismE0ELb1ES3_N6thrust23THRUST_200600_302600_NS6detail15normal_iteratorINS9_10device_ptrIsEEEESE_SE_sNS9_10multipliesIsEENS9_8equal_toIsEEsEE10hipError_tPvRmT2_T3_T4_T5_mT6_T7_P12ihipStream_tbENKUlT_T0_E_clISt17integral_constantIbLb1EESY_IbLb0EEEEDaSU_SV_EUlSU_E_NS1_11comp_targetILNS1_3genE4ELNS1_11target_archE910ELNS1_3gpuE8ELNS1_3repE0EEENS1_30default_config_static_selectorELNS0_4arch9wavefront6targetE0EEEvT1_.num_agpr, 0
	.set _ZN7rocprim17ROCPRIM_400000_NS6detail17trampoline_kernelINS0_14default_configENS1_27scan_by_key_config_selectorIssEEZZNS1_16scan_by_key_implILNS1_25lookback_scan_determinismE0ELb1ES3_N6thrust23THRUST_200600_302600_NS6detail15normal_iteratorINS9_10device_ptrIsEEEESE_SE_sNS9_10multipliesIsEENS9_8equal_toIsEEsEE10hipError_tPvRmT2_T3_T4_T5_mT6_T7_P12ihipStream_tbENKUlT_T0_E_clISt17integral_constantIbLb1EESY_IbLb0EEEEDaSU_SV_EUlSU_E_NS1_11comp_targetILNS1_3genE4ELNS1_11target_archE910ELNS1_3gpuE8ELNS1_3repE0EEENS1_30default_config_static_selectorELNS0_4arch9wavefront6targetE0EEEvT1_.numbered_sgpr, 0
	.set _ZN7rocprim17ROCPRIM_400000_NS6detail17trampoline_kernelINS0_14default_configENS1_27scan_by_key_config_selectorIssEEZZNS1_16scan_by_key_implILNS1_25lookback_scan_determinismE0ELb1ES3_N6thrust23THRUST_200600_302600_NS6detail15normal_iteratorINS9_10device_ptrIsEEEESE_SE_sNS9_10multipliesIsEENS9_8equal_toIsEEsEE10hipError_tPvRmT2_T3_T4_T5_mT6_T7_P12ihipStream_tbENKUlT_T0_E_clISt17integral_constantIbLb1EESY_IbLb0EEEEDaSU_SV_EUlSU_E_NS1_11comp_targetILNS1_3genE4ELNS1_11target_archE910ELNS1_3gpuE8ELNS1_3repE0EEENS1_30default_config_static_selectorELNS0_4arch9wavefront6targetE0EEEvT1_.num_named_barrier, 0
	.set _ZN7rocprim17ROCPRIM_400000_NS6detail17trampoline_kernelINS0_14default_configENS1_27scan_by_key_config_selectorIssEEZZNS1_16scan_by_key_implILNS1_25lookback_scan_determinismE0ELb1ES3_N6thrust23THRUST_200600_302600_NS6detail15normal_iteratorINS9_10device_ptrIsEEEESE_SE_sNS9_10multipliesIsEENS9_8equal_toIsEEsEE10hipError_tPvRmT2_T3_T4_T5_mT6_T7_P12ihipStream_tbENKUlT_T0_E_clISt17integral_constantIbLb1EESY_IbLb0EEEEDaSU_SV_EUlSU_E_NS1_11comp_targetILNS1_3genE4ELNS1_11target_archE910ELNS1_3gpuE8ELNS1_3repE0EEENS1_30default_config_static_selectorELNS0_4arch9wavefront6targetE0EEEvT1_.private_seg_size, 0
	.set _ZN7rocprim17ROCPRIM_400000_NS6detail17trampoline_kernelINS0_14default_configENS1_27scan_by_key_config_selectorIssEEZZNS1_16scan_by_key_implILNS1_25lookback_scan_determinismE0ELb1ES3_N6thrust23THRUST_200600_302600_NS6detail15normal_iteratorINS9_10device_ptrIsEEEESE_SE_sNS9_10multipliesIsEENS9_8equal_toIsEEsEE10hipError_tPvRmT2_T3_T4_T5_mT6_T7_P12ihipStream_tbENKUlT_T0_E_clISt17integral_constantIbLb1EESY_IbLb0EEEEDaSU_SV_EUlSU_E_NS1_11comp_targetILNS1_3genE4ELNS1_11target_archE910ELNS1_3gpuE8ELNS1_3repE0EEENS1_30default_config_static_selectorELNS0_4arch9wavefront6targetE0EEEvT1_.uses_vcc, 0
	.set _ZN7rocprim17ROCPRIM_400000_NS6detail17trampoline_kernelINS0_14default_configENS1_27scan_by_key_config_selectorIssEEZZNS1_16scan_by_key_implILNS1_25lookback_scan_determinismE0ELb1ES3_N6thrust23THRUST_200600_302600_NS6detail15normal_iteratorINS9_10device_ptrIsEEEESE_SE_sNS9_10multipliesIsEENS9_8equal_toIsEEsEE10hipError_tPvRmT2_T3_T4_T5_mT6_T7_P12ihipStream_tbENKUlT_T0_E_clISt17integral_constantIbLb1EESY_IbLb0EEEEDaSU_SV_EUlSU_E_NS1_11comp_targetILNS1_3genE4ELNS1_11target_archE910ELNS1_3gpuE8ELNS1_3repE0EEENS1_30default_config_static_selectorELNS0_4arch9wavefront6targetE0EEEvT1_.uses_flat_scratch, 0
	.set _ZN7rocprim17ROCPRIM_400000_NS6detail17trampoline_kernelINS0_14default_configENS1_27scan_by_key_config_selectorIssEEZZNS1_16scan_by_key_implILNS1_25lookback_scan_determinismE0ELb1ES3_N6thrust23THRUST_200600_302600_NS6detail15normal_iteratorINS9_10device_ptrIsEEEESE_SE_sNS9_10multipliesIsEENS9_8equal_toIsEEsEE10hipError_tPvRmT2_T3_T4_T5_mT6_T7_P12ihipStream_tbENKUlT_T0_E_clISt17integral_constantIbLb1EESY_IbLb0EEEEDaSU_SV_EUlSU_E_NS1_11comp_targetILNS1_3genE4ELNS1_11target_archE910ELNS1_3gpuE8ELNS1_3repE0EEENS1_30default_config_static_selectorELNS0_4arch9wavefront6targetE0EEEvT1_.has_dyn_sized_stack, 0
	.set _ZN7rocprim17ROCPRIM_400000_NS6detail17trampoline_kernelINS0_14default_configENS1_27scan_by_key_config_selectorIssEEZZNS1_16scan_by_key_implILNS1_25lookback_scan_determinismE0ELb1ES3_N6thrust23THRUST_200600_302600_NS6detail15normal_iteratorINS9_10device_ptrIsEEEESE_SE_sNS9_10multipliesIsEENS9_8equal_toIsEEsEE10hipError_tPvRmT2_T3_T4_T5_mT6_T7_P12ihipStream_tbENKUlT_T0_E_clISt17integral_constantIbLb1EESY_IbLb0EEEEDaSU_SV_EUlSU_E_NS1_11comp_targetILNS1_3genE4ELNS1_11target_archE910ELNS1_3gpuE8ELNS1_3repE0EEENS1_30default_config_static_selectorELNS0_4arch9wavefront6targetE0EEEvT1_.has_recursion, 0
	.set _ZN7rocprim17ROCPRIM_400000_NS6detail17trampoline_kernelINS0_14default_configENS1_27scan_by_key_config_selectorIssEEZZNS1_16scan_by_key_implILNS1_25lookback_scan_determinismE0ELb1ES3_N6thrust23THRUST_200600_302600_NS6detail15normal_iteratorINS9_10device_ptrIsEEEESE_SE_sNS9_10multipliesIsEENS9_8equal_toIsEEsEE10hipError_tPvRmT2_T3_T4_T5_mT6_T7_P12ihipStream_tbENKUlT_T0_E_clISt17integral_constantIbLb1EESY_IbLb0EEEEDaSU_SV_EUlSU_E_NS1_11comp_targetILNS1_3genE4ELNS1_11target_archE910ELNS1_3gpuE8ELNS1_3repE0EEENS1_30default_config_static_selectorELNS0_4arch9wavefront6targetE0EEEvT1_.has_indirect_call, 0
	.section	.AMDGPU.csdata,"",@progbits
; Kernel info:
; codeLenInByte = 0
; TotalNumSgprs: 0
; NumVgprs: 0
; ScratchSize: 0
; MemoryBound: 0
; FloatMode: 240
; IeeeMode: 1
; LDSByteSize: 0 bytes/workgroup (compile time only)
; SGPRBlocks: 0
; VGPRBlocks: 0
; NumSGPRsForWavesPerEU: 1
; NumVGPRsForWavesPerEU: 1
; NamedBarCnt: 0
; Occupancy: 16
; WaveLimiterHint : 0
; COMPUTE_PGM_RSRC2:SCRATCH_EN: 0
; COMPUTE_PGM_RSRC2:USER_SGPR: 2
; COMPUTE_PGM_RSRC2:TRAP_HANDLER: 0
; COMPUTE_PGM_RSRC2:TGID_X_EN: 1
; COMPUTE_PGM_RSRC2:TGID_Y_EN: 0
; COMPUTE_PGM_RSRC2:TGID_Z_EN: 0
; COMPUTE_PGM_RSRC2:TIDIG_COMP_CNT: 0
	.section	.text._ZN7rocprim17ROCPRIM_400000_NS6detail17trampoline_kernelINS0_14default_configENS1_27scan_by_key_config_selectorIssEEZZNS1_16scan_by_key_implILNS1_25lookback_scan_determinismE0ELb1ES3_N6thrust23THRUST_200600_302600_NS6detail15normal_iteratorINS9_10device_ptrIsEEEESE_SE_sNS9_10multipliesIsEENS9_8equal_toIsEEsEE10hipError_tPvRmT2_T3_T4_T5_mT6_T7_P12ihipStream_tbENKUlT_T0_E_clISt17integral_constantIbLb1EESY_IbLb0EEEEDaSU_SV_EUlSU_E_NS1_11comp_targetILNS1_3genE3ELNS1_11target_archE908ELNS1_3gpuE7ELNS1_3repE0EEENS1_30default_config_static_selectorELNS0_4arch9wavefront6targetE0EEEvT1_,"axG",@progbits,_ZN7rocprim17ROCPRIM_400000_NS6detail17trampoline_kernelINS0_14default_configENS1_27scan_by_key_config_selectorIssEEZZNS1_16scan_by_key_implILNS1_25lookback_scan_determinismE0ELb1ES3_N6thrust23THRUST_200600_302600_NS6detail15normal_iteratorINS9_10device_ptrIsEEEESE_SE_sNS9_10multipliesIsEENS9_8equal_toIsEEsEE10hipError_tPvRmT2_T3_T4_T5_mT6_T7_P12ihipStream_tbENKUlT_T0_E_clISt17integral_constantIbLb1EESY_IbLb0EEEEDaSU_SV_EUlSU_E_NS1_11comp_targetILNS1_3genE3ELNS1_11target_archE908ELNS1_3gpuE7ELNS1_3repE0EEENS1_30default_config_static_selectorELNS0_4arch9wavefront6targetE0EEEvT1_,comdat
	.protected	_ZN7rocprim17ROCPRIM_400000_NS6detail17trampoline_kernelINS0_14default_configENS1_27scan_by_key_config_selectorIssEEZZNS1_16scan_by_key_implILNS1_25lookback_scan_determinismE0ELb1ES3_N6thrust23THRUST_200600_302600_NS6detail15normal_iteratorINS9_10device_ptrIsEEEESE_SE_sNS9_10multipliesIsEENS9_8equal_toIsEEsEE10hipError_tPvRmT2_T3_T4_T5_mT6_T7_P12ihipStream_tbENKUlT_T0_E_clISt17integral_constantIbLb1EESY_IbLb0EEEEDaSU_SV_EUlSU_E_NS1_11comp_targetILNS1_3genE3ELNS1_11target_archE908ELNS1_3gpuE7ELNS1_3repE0EEENS1_30default_config_static_selectorELNS0_4arch9wavefront6targetE0EEEvT1_ ; -- Begin function _ZN7rocprim17ROCPRIM_400000_NS6detail17trampoline_kernelINS0_14default_configENS1_27scan_by_key_config_selectorIssEEZZNS1_16scan_by_key_implILNS1_25lookback_scan_determinismE0ELb1ES3_N6thrust23THRUST_200600_302600_NS6detail15normal_iteratorINS9_10device_ptrIsEEEESE_SE_sNS9_10multipliesIsEENS9_8equal_toIsEEsEE10hipError_tPvRmT2_T3_T4_T5_mT6_T7_P12ihipStream_tbENKUlT_T0_E_clISt17integral_constantIbLb1EESY_IbLb0EEEEDaSU_SV_EUlSU_E_NS1_11comp_targetILNS1_3genE3ELNS1_11target_archE908ELNS1_3gpuE7ELNS1_3repE0EEENS1_30default_config_static_selectorELNS0_4arch9wavefront6targetE0EEEvT1_
	.globl	_ZN7rocprim17ROCPRIM_400000_NS6detail17trampoline_kernelINS0_14default_configENS1_27scan_by_key_config_selectorIssEEZZNS1_16scan_by_key_implILNS1_25lookback_scan_determinismE0ELb1ES3_N6thrust23THRUST_200600_302600_NS6detail15normal_iteratorINS9_10device_ptrIsEEEESE_SE_sNS9_10multipliesIsEENS9_8equal_toIsEEsEE10hipError_tPvRmT2_T3_T4_T5_mT6_T7_P12ihipStream_tbENKUlT_T0_E_clISt17integral_constantIbLb1EESY_IbLb0EEEEDaSU_SV_EUlSU_E_NS1_11comp_targetILNS1_3genE3ELNS1_11target_archE908ELNS1_3gpuE7ELNS1_3repE0EEENS1_30default_config_static_selectorELNS0_4arch9wavefront6targetE0EEEvT1_
	.p2align	8
	.type	_ZN7rocprim17ROCPRIM_400000_NS6detail17trampoline_kernelINS0_14default_configENS1_27scan_by_key_config_selectorIssEEZZNS1_16scan_by_key_implILNS1_25lookback_scan_determinismE0ELb1ES3_N6thrust23THRUST_200600_302600_NS6detail15normal_iteratorINS9_10device_ptrIsEEEESE_SE_sNS9_10multipliesIsEENS9_8equal_toIsEEsEE10hipError_tPvRmT2_T3_T4_T5_mT6_T7_P12ihipStream_tbENKUlT_T0_E_clISt17integral_constantIbLb1EESY_IbLb0EEEEDaSU_SV_EUlSU_E_NS1_11comp_targetILNS1_3genE3ELNS1_11target_archE908ELNS1_3gpuE7ELNS1_3repE0EEENS1_30default_config_static_selectorELNS0_4arch9wavefront6targetE0EEEvT1_,@function
_ZN7rocprim17ROCPRIM_400000_NS6detail17trampoline_kernelINS0_14default_configENS1_27scan_by_key_config_selectorIssEEZZNS1_16scan_by_key_implILNS1_25lookback_scan_determinismE0ELb1ES3_N6thrust23THRUST_200600_302600_NS6detail15normal_iteratorINS9_10device_ptrIsEEEESE_SE_sNS9_10multipliesIsEENS9_8equal_toIsEEsEE10hipError_tPvRmT2_T3_T4_T5_mT6_T7_P12ihipStream_tbENKUlT_T0_E_clISt17integral_constantIbLb1EESY_IbLb0EEEEDaSU_SV_EUlSU_E_NS1_11comp_targetILNS1_3genE3ELNS1_11target_archE908ELNS1_3gpuE7ELNS1_3repE0EEENS1_30default_config_static_selectorELNS0_4arch9wavefront6targetE0EEEvT1_: ; @_ZN7rocprim17ROCPRIM_400000_NS6detail17trampoline_kernelINS0_14default_configENS1_27scan_by_key_config_selectorIssEEZZNS1_16scan_by_key_implILNS1_25lookback_scan_determinismE0ELb1ES3_N6thrust23THRUST_200600_302600_NS6detail15normal_iteratorINS9_10device_ptrIsEEEESE_SE_sNS9_10multipliesIsEENS9_8equal_toIsEEsEE10hipError_tPvRmT2_T3_T4_T5_mT6_T7_P12ihipStream_tbENKUlT_T0_E_clISt17integral_constantIbLb1EESY_IbLb0EEEEDaSU_SV_EUlSU_E_NS1_11comp_targetILNS1_3genE3ELNS1_11target_archE908ELNS1_3gpuE7ELNS1_3repE0EEENS1_30default_config_static_selectorELNS0_4arch9wavefront6targetE0EEEvT1_
; %bb.0:
	.section	.rodata,"a",@progbits
	.p2align	6, 0x0
	.amdhsa_kernel _ZN7rocprim17ROCPRIM_400000_NS6detail17trampoline_kernelINS0_14default_configENS1_27scan_by_key_config_selectorIssEEZZNS1_16scan_by_key_implILNS1_25lookback_scan_determinismE0ELb1ES3_N6thrust23THRUST_200600_302600_NS6detail15normal_iteratorINS9_10device_ptrIsEEEESE_SE_sNS9_10multipliesIsEENS9_8equal_toIsEEsEE10hipError_tPvRmT2_T3_T4_T5_mT6_T7_P12ihipStream_tbENKUlT_T0_E_clISt17integral_constantIbLb1EESY_IbLb0EEEEDaSU_SV_EUlSU_E_NS1_11comp_targetILNS1_3genE3ELNS1_11target_archE908ELNS1_3gpuE7ELNS1_3repE0EEENS1_30default_config_static_selectorELNS0_4arch9wavefront6targetE0EEEvT1_
		.amdhsa_group_segment_fixed_size 0
		.amdhsa_private_segment_fixed_size 0
		.amdhsa_kernarg_size 112
		.amdhsa_user_sgpr_count 2
		.amdhsa_user_sgpr_dispatch_ptr 0
		.amdhsa_user_sgpr_queue_ptr 0
		.amdhsa_user_sgpr_kernarg_segment_ptr 1
		.amdhsa_user_sgpr_dispatch_id 0
		.amdhsa_user_sgpr_kernarg_preload_length 0
		.amdhsa_user_sgpr_kernarg_preload_offset 0
		.amdhsa_user_sgpr_private_segment_size 0
		.amdhsa_wavefront_size32 1
		.amdhsa_uses_dynamic_stack 0
		.amdhsa_enable_private_segment 0
		.amdhsa_system_sgpr_workgroup_id_x 1
		.amdhsa_system_sgpr_workgroup_id_y 0
		.amdhsa_system_sgpr_workgroup_id_z 0
		.amdhsa_system_sgpr_workgroup_info 0
		.amdhsa_system_vgpr_workitem_id 0
		.amdhsa_next_free_vgpr 1
		.amdhsa_next_free_sgpr 1
		.amdhsa_named_barrier_count 0
		.amdhsa_reserve_vcc 0
		.amdhsa_float_round_mode_32 0
		.amdhsa_float_round_mode_16_64 0
		.amdhsa_float_denorm_mode_32 3
		.amdhsa_float_denorm_mode_16_64 3
		.amdhsa_fp16_overflow 0
		.amdhsa_memory_ordered 1
		.amdhsa_forward_progress 1
		.amdhsa_inst_pref_size 0
		.amdhsa_round_robin_scheduling 0
		.amdhsa_exception_fp_ieee_invalid_op 0
		.amdhsa_exception_fp_denorm_src 0
		.amdhsa_exception_fp_ieee_div_zero 0
		.amdhsa_exception_fp_ieee_overflow 0
		.amdhsa_exception_fp_ieee_underflow 0
		.amdhsa_exception_fp_ieee_inexact 0
		.amdhsa_exception_int_div_zero 0
	.end_amdhsa_kernel
	.section	.text._ZN7rocprim17ROCPRIM_400000_NS6detail17trampoline_kernelINS0_14default_configENS1_27scan_by_key_config_selectorIssEEZZNS1_16scan_by_key_implILNS1_25lookback_scan_determinismE0ELb1ES3_N6thrust23THRUST_200600_302600_NS6detail15normal_iteratorINS9_10device_ptrIsEEEESE_SE_sNS9_10multipliesIsEENS9_8equal_toIsEEsEE10hipError_tPvRmT2_T3_T4_T5_mT6_T7_P12ihipStream_tbENKUlT_T0_E_clISt17integral_constantIbLb1EESY_IbLb0EEEEDaSU_SV_EUlSU_E_NS1_11comp_targetILNS1_3genE3ELNS1_11target_archE908ELNS1_3gpuE7ELNS1_3repE0EEENS1_30default_config_static_selectorELNS0_4arch9wavefront6targetE0EEEvT1_,"axG",@progbits,_ZN7rocprim17ROCPRIM_400000_NS6detail17trampoline_kernelINS0_14default_configENS1_27scan_by_key_config_selectorIssEEZZNS1_16scan_by_key_implILNS1_25lookback_scan_determinismE0ELb1ES3_N6thrust23THRUST_200600_302600_NS6detail15normal_iteratorINS9_10device_ptrIsEEEESE_SE_sNS9_10multipliesIsEENS9_8equal_toIsEEsEE10hipError_tPvRmT2_T3_T4_T5_mT6_T7_P12ihipStream_tbENKUlT_T0_E_clISt17integral_constantIbLb1EESY_IbLb0EEEEDaSU_SV_EUlSU_E_NS1_11comp_targetILNS1_3genE3ELNS1_11target_archE908ELNS1_3gpuE7ELNS1_3repE0EEENS1_30default_config_static_selectorELNS0_4arch9wavefront6targetE0EEEvT1_,comdat
.Lfunc_end627:
	.size	_ZN7rocprim17ROCPRIM_400000_NS6detail17trampoline_kernelINS0_14default_configENS1_27scan_by_key_config_selectorIssEEZZNS1_16scan_by_key_implILNS1_25lookback_scan_determinismE0ELb1ES3_N6thrust23THRUST_200600_302600_NS6detail15normal_iteratorINS9_10device_ptrIsEEEESE_SE_sNS9_10multipliesIsEENS9_8equal_toIsEEsEE10hipError_tPvRmT2_T3_T4_T5_mT6_T7_P12ihipStream_tbENKUlT_T0_E_clISt17integral_constantIbLb1EESY_IbLb0EEEEDaSU_SV_EUlSU_E_NS1_11comp_targetILNS1_3genE3ELNS1_11target_archE908ELNS1_3gpuE7ELNS1_3repE0EEENS1_30default_config_static_selectorELNS0_4arch9wavefront6targetE0EEEvT1_, .Lfunc_end627-_ZN7rocprim17ROCPRIM_400000_NS6detail17trampoline_kernelINS0_14default_configENS1_27scan_by_key_config_selectorIssEEZZNS1_16scan_by_key_implILNS1_25lookback_scan_determinismE0ELb1ES3_N6thrust23THRUST_200600_302600_NS6detail15normal_iteratorINS9_10device_ptrIsEEEESE_SE_sNS9_10multipliesIsEENS9_8equal_toIsEEsEE10hipError_tPvRmT2_T3_T4_T5_mT6_T7_P12ihipStream_tbENKUlT_T0_E_clISt17integral_constantIbLb1EESY_IbLb0EEEEDaSU_SV_EUlSU_E_NS1_11comp_targetILNS1_3genE3ELNS1_11target_archE908ELNS1_3gpuE7ELNS1_3repE0EEENS1_30default_config_static_selectorELNS0_4arch9wavefront6targetE0EEEvT1_
                                        ; -- End function
	.set _ZN7rocprim17ROCPRIM_400000_NS6detail17trampoline_kernelINS0_14default_configENS1_27scan_by_key_config_selectorIssEEZZNS1_16scan_by_key_implILNS1_25lookback_scan_determinismE0ELb1ES3_N6thrust23THRUST_200600_302600_NS6detail15normal_iteratorINS9_10device_ptrIsEEEESE_SE_sNS9_10multipliesIsEENS9_8equal_toIsEEsEE10hipError_tPvRmT2_T3_T4_T5_mT6_T7_P12ihipStream_tbENKUlT_T0_E_clISt17integral_constantIbLb1EESY_IbLb0EEEEDaSU_SV_EUlSU_E_NS1_11comp_targetILNS1_3genE3ELNS1_11target_archE908ELNS1_3gpuE7ELNS1_3repE0EEENS1_30default_config_static_selectorELNS0_4arch9wavefront6targetE0EEEvT1_.num_vgpr, 0
	.set _ZN7rocprim17ROCPRIM_400000_NS6detail17trampoline_kernelINS0_14default_configENS1_27scan_by_key_config_selectorIssEEZZNS1_16scan_by_key_implILNS1_25lookback_scan_determinismE0ELb1ES3_N6thrust23THRUST_200600_302600_NS6detail15normal_iteratorINS9_10device_ptrIsEEEESE_SE_sNS9_10multipliesIsEENS9_8equal_toIsEEsEE10hipError_tPvRmT2_T3_T4_T5_mT6_T7_P12ihipStream_tbENKUlT_T0_E_clISt17integral_constantIbLb1EESY_IbLb0EEEEDaSU_SV_EUlSU_E_NS1_11comp_targetILNS1_3genE3ELNS1_11target_archE908ELNS1_3gpuE7ELNS1_3repE0EEENS1_30default_config_static_selectorELNS0_4arch9wavefront6targetE0EEEvT1_.num_agpr, 0
	.set _ZN7rocprim17ROCPRIM_400000_NS6detail17trampoline_kernelINS0_14default_configENS1_27scan_by_key_config_selectorIssEEZZNS1_16scan_by_key_implILNS1_25lookback_scan_determinismE0ELb1ES3_N6thrust23THRUST_200600_302600_NS6detail15normal_iteratorINS9_10device_ptrIsEEEESE_SE_sNS9_10multipliesIsEENS9_8equal_toIsEEsEE10hipError_tPvRmT2_T3_T4_T5_mT6_T7_P12ihipStream_tbENKUlT_T0_E_clISt17integral_constantIbLb1EESY_IbLb0EEEEDaSU_SV_EUlSU_E_NS1_11comp_targetILNS1_3genE3ELNS1_11target_archE908ELNS1_3gpuE7ELNS1_3repE0EEENS1_30default_config_static_selectorELNS0_4arch9wavefront6targetE0EEEvT1_.numbered_sgpr, 0
	.set _ZN7rocprim17ROCPRIM_400000_NS6detail17trampoline_kernelINS0_14default_configENS1_27scan_by_key_config_selectorIssEEZZNS1_16scan_by_key_implILNS1_25lookback_scan_determinismE0ELb1ES3_N6thrust23THRUST_200600_302600_NS6detail15normal_iteratorINS9_10device_ptrIsEEEESE_SE_sNS9_10multipliesIsEENS9_8equal_toIsEEsEE10hipError_tPvRmT2_T3_T4_T5_mT6_T7_P12ihipStream_tbENKUlT_T0_E_clISt17integral_constantIbLb1EESY_IbLb0EEEEDaSU_SV_EUlSU_E_NS1_11comp_targetILNS1_3genE3ELNS1_11target_archE908ELNS1_3gpuE7ELNS1_3repE0EEENS1_30default_config_static_selectorELNS0_4arch9wavefront6targetE0EEEvT1_.num_named_barrier, 0
	.set _ZN7rocprim17ROCPRIM_400000_NS6detail17trampoline_kernelINS0_14default_configENS1_27scan_by_key_config_selectorIssEEZZNS1_16scan_by_key_implILNS1_25lookback_scan_determinismE0ELb1ES3_N6thrust23THRUST_200600_302600_NS6detail15normal_iteratorINS9_10device_ptrIsEEEESE_SE_sNS9_10multipliesIsEENS9_8equal_toIsEEsEE10hipError_tPvRmT2_T3_T4_T5_mT6_T7_P12ihipStream_tbENKUlT_T0_E_clISt17integral_constantIbLb1EESY_IbLb0EEEEDaSU_SV_EUlSU_E_NS1_11comp_targetILNS1_3genE3ELNS1_11target_archE908ELNS1_3gpuE7ELNS1_3repE0EEENS1_30default_config_static_selectorELNS0_4arch9wavefront6targetE0EEEvT1_.private_seg_size, 0
	.set _ZN7rocprim17ROCPRIM_400000_NS6detail17trampoline_kernelINS0_14default_configENS1_27scan_by_key_config_selectorIssEEZZNS1_16scan_by_key_implILNS1_25lookback_scan_determinismE0ELb1ES3_N6thrust23THRUST_200600_302600_NS6detail15normal_iteratorINS9_10device_ptrIsEEEESE_SE_sNS9_10multipliesIsEENS9_8equal_toIsEEsEE10hipError_tPvRmT2_T3_T4_T5_mT6_T7_P12ihipStream_tbENKUlT_T0_E_clISt17integral_constantIbLb1EESY_IbLb0EEEEDaSU_SV_EUlSU_E_NS1_11comp_targetILNS1_3genE3ELNS1_11target_archE908ELNS1_3gpuE7ELNS1_3repE0EEENS1_30default_config_static_selectorELNS0_4arch9wavefront6targetE0EEEvT1_.uses_vcc, 0
	.set _ZN7rocprim17ROCPRIM_400000_NS6detail17trampoline_kernelINS0_14default_configENS1_27scan_by_key_config_selectorIssEEZZNS1_16scan_by_key_implILNS1_25lookback_scan_determinismE0ELb1ES3_N6thrust23THRUST_200600_302600_NS6detail15normal_iteratorINS9_10device_ptrIsEEEESE_SE_sNS9_10multipliesIsEENS9_8equal_toIsEEsEE10hipError_tPvRmT2_T3_T4_T5_mT6_T7_P12ihipStream_tbENKUlT_T0_E_clISt17integral_constantIbLb1EESY_IbLb0EEEEDaSU_SV_EUlSU_E_NS1_11comp_targetILNS1_3genE3ELNS1_11target_archE908ELNS1_3gpuE7ELNS1_3repE0EEENS1_30default_config_static_selectorELNS0_4arch9wavefront6targetE0EEEvT1_.uses_flat_scratch, 0
	.set _ZN7rocprim17ROCPRIM_400000_NS6detail17trampoline_kernelINS0_14default_configENS1_27scan_by_key_config_selectorIssEEZZNS1_16scan_by_key_implILNS1_25lookback_scan_determinismE0ELb1ES3_N6thrust23THRUST_200600_302600_NS6detail15normal_iteratorINS9_10device_ptrIsEEEESE_SE_sNS9_10multipliesIsEENS9_8equal_toIsEEsEE10hipError_tPvRmT2_T3_T4_T5_mT6_T7_P12ihipStream_tbENKUlT_T0_E_clISt17integral_constantIbLb1EESY_IbLb0EEEEDaSU_SV_EUlSU_E_NS1_11comp_targetILNS1_3genE3ELNS1_11target_archE908ELNS1_3gpuE7ELNS1_3repE0EEENS1_30default_config_static_selectorELNS0_4arch9wavefront6targetE0EEEvT1_.has_dyn_sized_stack, 0
	.set _ZN7rocprim17ROCPRIM_400000_NS6detail17trampoline_kernelINS0_14default_configENS1_27scan_by_key_config_selectorIssEEZZNS1_16scan_by_key_implILNS1_25lookback_scan_determinismE0ELb1ES3_N6thrust23THRUST_200600_302600_NS6detail15normal_iteratorINS9_10device_ptrIsEEEESE_SE_sNS9_10multipliesIsEENS9_8equal_toIsEEsEE10hipError_tPvRmT2_T3_T4_T5_mT6_T7_P12ihipStream_tbENKUlT_T0_E_clISt17integral_constantIbLb1EESY_IbLb0EEEEDaSU_SV_EUlSU_E_NS1_11comp_targetILNS1_3genE3ELNS1_11target_archE908ELNS1_3gpuE7ELNS1_3repE0EEENS1_30default_config_static_selectorELNS0_4arch9wavefront6targetE0EEEvT1_.has_recursion, 0
	.set _ZN7rocprim17ROCPRIM_400000_NS6detail17trampoline_kernelINS0_14default_configENS1_27scan_by_key_config_selectorIssEEZZNS1_16scan_by_key_implILNS1_25lookback_scan_determinismE0ELb1ES3_N6thrust23THRUST_200600_302600_NS6detail15normal_iteratorINS9_10device_ptrIsEEEESE_SE_sNS9_10multipliesIsEENS9_8equal_toIsEEsEE10hipError_tPvRmT2_T3_T4_T5_mT6_T7_P12ihipStream_tbENKUlT_T0_E_clISt17integral_constantIbLb1EESY_IbLb0EEEEDaSU_SV_EUlSU_E_NS1_11comp_targetILNS1_3genE3ELNS1_11target_archE908ELNS1_3gpuE7ELNS1_3repE0EEENS1_30default_config_static_selectorELNS0_4arch9wavefront6targetE0EEEvT1_.has_indirect_call, 0
	.section	.AMDGPU.csdata,"",@progbits
; Kernel info:
; codeLenInByte = 0
; TotalNumSgprs: 0
; NumVgprs: 0
; ScratchSize: 0
; MemoryBound: 0
; FloatMode: 240
; IeeeMode: 1
; LDSByteSize: 0 bytes/workgroup (compile time only)
; SGPRBlocks: 0
; VGPRBlocks: 0
; NumSGPRsForWavesPerEU: 1
; NumVGPRsForWavesPerEU: 1
; NamedBarCnt: 0
; Occupancy: 16
; WaveLimiterHint : 0
; COMPUTE_PGM_RSRC2:SCRATCH_EN: 0
; COMPUTE_PGM_RSRC2:USER_SGPR: 2
; COMPUTE_PGM_RSRC2:TRAP_HANDLER: 0
; COMPUTE_PGM_RSRC2:TGID_X_EN: 1
; COMPUTE_PGM_RSRC2:TGID_Y_EN: 0
; COMPUTE_PGM_RSRC2:TGID_Z_EN: 0
; COMPUTE_PGM_RSRC2:TIDIG_COMP_CNT: 0
	.section	.text._ZN7rocprim17ROCPRIM_400000_NS6detail17trampoline_kernelINS0_14default_configENS1_27scan_by_key_config_selectorIssEEZZNS1_16scan_by_key_implILNS1_25lookback_scan_determinismE0ELb1ES3_N6thrust23THRUST_200600_302600_NS6detail15normal_iteratorINS9_10device_ptrIsEEEESE_SE_sNS9_10multipliesIsEENS9_8equal_toIsEEsEE10hipError_tPvRmT2_T3_T4_T5_mT6_T7_P12ihipStream_tbENKUlT_T0_E_clISt17integral_constantIbLb1EESY_IbLb0EEEEDaSU_SV_EUlSU_E_NS1_11comp_targetILNS1_3genE2ELNS1_11target_archE906ELNS1_3gpuE6ELNS1_3repE0EEENS1_30default_config_static_selectorELNS0_4arch9wavefront6targetE0EEEvT1_,"axG",@progbits,_ZN7rocprim17ROCPRIM_400000_NS6detail17trampoline_kernelINS0_14default_configENS1_27scan_by_key_config_selectorIssEEZZNS1_16scan_by_key_implILNS1_25lookback_scan_determinismE0ELb1ES3_N6thrust23THRUST_200600_302600_NS6detail15normal_iteratorINS9_10device_ptrIsEEEESE_SE_sNS9_10multipliesIsEENS9_8equal_toIsEEsEE10hipError_tPvRmT2_T3_T4_T5_mT6_T7_P12ihipStream_tbENKUlT_T0_E_clISt17integral_constantIbLb1EESY_IbLb0EEEEDaSU_SV_EUlSU_E_NS1_11comp_targetILNS1_3genE2ELNS1_11target_archE906ELNS1_3gpuE6ELNS1_3repE0EEENS1_30default_config_static_selectorELNS0_4arch9wavefront6targetE0EEEvT1_,comdat
	.protected	_ZN7rocprim17ROCPRIM_400000_NS6detail17trampoline_kernelINS0_14default_configENS1_27scan_by_key_config_selectorIssEEZZNS1_16scan_by_key_implILNS1_25lookback_scan_determinismE0ELb1ES3_N6thrust23THRUST_200600_302600_NS6detail15normal_iteratorINS9_10device_ptrIsEEEESE_SE_sNS9_10multipliesIsEENS9_8equal_toIsEEsEE10hipError_tPvRmT2_T3_T4_T5_mT6_T7_P12ihipStream_tbENKUlT_T0_E_clISt17integral_constantIbLb1EESY_IbLb0EEEEDaSU_SV_EUlSU_E_NS1_11comp_targetILNS1_3genE2ELNS1_11target_archE906ELNS1_3gpuE6ELNS1_3repE0EEENS1_30default_config_static_selectorELNS0_4arch9wavefront6targetE0EEEvT1_ ; -- Begin function _ZN7rocprim17ROCPRIM_400000_NS6detail17trampoline_kernelINS0_14default_configENS1_27scan_by_key_config_selectorIssEEZZNS1_16scan_by_key_implILNS1_25lookback_scan_determinismE0ELb1ES3_N6thrust23THRUST_200600_302600_NS6detail15normal_iteratorINS9_10device_ptrIsEEEESE_SE_sNS9_10multipliesIsEENS9_8equal_toIsEEsEE10hipError_tPvRmT2_T3_T4_T5_mT6_T7_P12ihipStream_tbENKUlT_T0_E_clISt17integral_constantIbLb1EESY_IbLb0EEEEDaSU_SV_EUlSU_E_NS1_11comp_targetILNS1_3genE2ELNS1_11target_archE906ELNS1_3gpuE6ELNS1_3repE0EEENS1_30default_config_static_selectorELNS0_4arch9wavefront6targetE0EEEvT1_
	.globl	_ZN7rocprim17ROCPRIM_400000_NS6detail17trampoline_kernelINS0_14default_configENS1_27scan_by_key_config_selectorIssEEZZNS1_16scan_by_key_implILNS1_25lookback_scan_determinismE0ELb1ES3_N6thrust23THRUST_200600_302600_NS6detail15normal_iteratorINS9_10device_ptrIsEEEESE_SE_sNS9_10multipliesIsEENS9_8equal_toIsEEsEE10hipError_tPvRmT2_T3_T4_T5_mT6_T7_P12ihipStream_tbENKUlT_T0_E_clISt17integral_constantIbLb1EESY_IbLb0EEEEDaSU_SV_EUlSU_E_NS1_11comp_targetILNS1_3genE2ELNS1_11target_archE906ELNS1_3gpuE6ELNS1_3repE0EEENS1_30default_config_static_selectorELNS0_4arch9wavefront6targetE0EEEvT1_
	.p2align	8
	.type	_ZN7rocprim17ROCPRIM_400000_NS6detail17trampoline_kernelINS0_14default_configENS1_27scan_by_key_config_selectorIssEEZZNS1_16scan_by_key_implILNS1_25lookback_scan_determinismE0ELb1ES3_N6thrust23THRUST_200600_302600_NS6detail15normal_iteratorINS9_10device_ptrIsEEEESE_SE_sNS9_10multipliesIsEENS9_8equal_toIsEEsEE10hipError_tPvRmT2_T3_T4_T5_mT6_T7_P12ihipStream_tbENKUlT_T0_E_clISt17integral_constantIbLb1EESY_IbLb0EEEEDaSU_SV_EUlSU_E_NS1_11comp_targetILNS1_3genE2ELNS1_11target_archE906ELNS1_3gpuE6ELNS1_3repE0EEENS1_30default_config_static_selectorELNS0_4arch9wavefront6targetE0EEEvT1_,@function
_ZN7rocprim17ROCPRIM_400000_NS6detail17trampoline_kernelINS0_14default_configENS1_27scan_by_key_config_selectorIssEEZZNS1_16scan_by_key_implILNS1_25lookback_scan_determinismE0ELb1ES3_N6thrust23THRUST_200600_302600_NS6detail15normal_iteratorINS9_10device_ptrIsEEEESE_SE_sNS9_10multipliesIsEENS9_8equal_toIsEEsEE10hipError_tPvRmT2_T3_T4_T5_mT6_T7_P12ihipStream_tbENKUlT_T0_E_clISt17integral_constantIbLb1EESY_IbLb0EEEEDaSU_SV_EUlSU_E_NS1_11comp_targetILNS1_3genE2ELNS1_11target_archE906ELNS1_3gpuE6ELNS1_3repE0EEENS1_30default_config_static_selectorELNS0_4arch9wavefront6targetE0EEEvT1_: ; @_ZN7rocprim17ROCPRIM_400000_NS6detail17trampoline_kernelINS0_14default_configENS1_27scan_by_key_config_selectorIssEEZZNS1_16scan_by_key_implILNS1_25lookback_scan_determinismE0ELb1ES3_N6thrust23THRUST_200600_302600_NS6detail15normal_iteratorINS9_10device_ptrIsEEEESE_SE_sNS9_10multipliesIsEENS9_8equal_toIsEEsEE10hipError_tPvRmT2_T3_T4_T5_mT6_T7_P12ihipStream_tbENKUlT_T0_E_clISt17integral_constantIbLb1EESY_IbLb0EEEEDaSU_SV_EUlSU_E_NS1_11comp_targetILNS1_3genE2ELNS1_11target_archE906ELNS1_3gpuE6ELNS1_3repE0EEENS1_30default_config_static_selectorELNS0_4arch9wavefront6targetE0EEEvT1_
; %bb.0:
	.section	.rodata,"a",@progbits
	.p2align	6, 0x0
	.amdhsa_kernel _ZN7rocprim17ROCPRIM_400000_NS6detail17trampoline_kernelINS0_14default_configENS1_27scan_by_key_config_selectorIssEEZZNS1_16scan_by_key_implILNS1_25lookback_scan_determinismE0ELb1ES3_N6thrust23THRUST_200600_302600_NS6detail15normal_iteratorINS9_10device_ptrIsEEEESE_SE_sNS9_10multipliesIsEENS9_8equal_toIsEEsEE10hipError_tPvRmT2_T3_T4_T5_mT6_T7_P12ihipStream_tbENKUlT_T0_E_clISt17integral_constantIbLb1EESY_IbLb0EEEEDaSU_SV_EUlSU_E_NS1_11comp_targetILNS1_3genE2ELNS1_11target_archE906ELNS1_3gpuE6ELNS1_3repE0EEENS1_30default_config_static_selectorELNS0_4arch9wavefront6targetE0EEEvT1_
		.amdhsa_group_segment_fixed_size 0
		.amdhsa_private_segment_fixed_size 0
		.amdhsa_kernarg_size 112
		.amdhsa_user_sgpr_count 2
		.amdhsa_user_sgpr_dispatch_ptr 0
		.amdhsa_user_sgpr_queue_ptr 0
		.amdhsa_user_sgpr_kernarg_segment_ptr 1
		.amdhsa_user_sgpr_dispatch_id 0
		.amdhsa_user_sgpr_kernarg_preload_length 0
		.amdhsa_user_sgpr_kernarg_preload_offset 0
		.amdhsa_user_sgpr_private_segment_size 0
		.amdhsa_wavefront_size32 1
		.amdhsa_uses_dynamic_stack 0
		.amdhsa_enable_private_segment 0
		.amdhsa_system_sgpr_workgroup_id_x 1
		.amdhsa_system_sgpr_workgroup_id_y 0
		.amdhsa_system_sgpr_workgroup_id_z 0
		.amdhsa_system_sgpr_workgroup_info 0
		.amdhsa_system_vgpr_workitem_id 0
		.amdhsa_next_free_vgpr 1
		.amdhsa_next_free_sgpr 1
		.amdhsa_named_barrier_count 0
		.amdhsa_reserve_vcc 0
		.amdhsa_float_round_mode_32 0
		.amdhsa_float_round_mode_16_64 0
		.amdhsa_float_denorm_mode_32 3
		.amdhsa_float_denorm_mode_16_64 3
		.amdhsa_fp16_overflow 0
		.amdhsa_memory_ordered 1
		.amdhsa_forward_progress 1
		.amdhsa_inst_pref_size 0
		.amdhsa_round_robin_scheduling 0
		.amdhsa_exception_fp_ieee_invalid_op 0
		.amdhsa_exception_fp_denorm_src 0
		.amdhsa_exception_fp_ieee_div_zero 0
		.amdhsa_exception_fp_ieee_overflow 0
		.amdhsa_exception_fp_ieee_underflow 0
		.amdhsa_exception_fp_ieee_inexact 0
		.amdhsa_exception_int_div_zero 0
	.end_amdhsa_kernel
	.section	.text._ZN7rocprim17ROCPRIM_400000_NS6detail17trampoline_kernelINS0_14default_configENS1_27scan_by_key_config_selectorIssEEZZNS1_16scan_by_key_implILNS1_25lookback_scan_determinismE0ELb1ES3_N6thrust23THRUST_200600_302600_NS6detail15normal_iteratorINS9_10device_ptrIsEEEESE_SE_sNS9_10multipliesIsEENS9_8equal_toIsEEsEE10hipError_tPvRmT2_T3_T4_T5_mT6_T7_P12ihipStream_tbENKUlT_T0_E_clISt17integral_constantIbLb1EESY_IbLb0EEEEDaSU_SV_EUlSU_E_NS1_11comp_targetILNS1_3genE2ELNS1_11target_archE906ELNS1_3gpuE6ELNS1_3repE0EEENS1_30default_config_static_selectorELNS0_4arch9wavefront6targetE0EEEvT1_,"axG",@progbits,_ZN7rocprim17ROCPRIM_400000_NS6detail17trampoline_kernelINS0_14default_configENS1_27scan_by_key_config_selectorIssEEZZNS1_16scan_by_key_implILNS1_25lookback_scan_determinismE0ELb1ES3_N6thrust23THRUST_200600_302600_NS6detail15normal_iteratorINS9_10device_ptrIsEEEESE_SE_sNS9_10multipliesIsEENS9_8equal_toIsEEsEE10hipError_tPvRmT2_T3_T4_T5_mT6_T7_P12ihipStream_tbENKUlT_T0_E_clISt17integral_constantIbLb1EESY_IbLb0EEEEDaSU_SV_EUlSU_E_NS1_11comp_targetILNS1_3genE2ELNS1_11target_archE906ELNS1_3gpuE6ELNS1_3repE0EEENS1_30default_config_static_selectorELNS0_4arch9wavefront6targetE0EEEvT1_,comdat
.Lfunc_end628:
	.size	_ZN7rocprim17ROCPRIM_400000_NS6detail17trampoline_kernelINS0_14default_configENS1_27scan_by_key_config_selectorIssEEZZNS1_16scan_by_key_implILNS1_25lookback_scan_determinismE0ELb1ES3_N6thrust23THRUST_200600_302600_NS6detail15normal_iteratorINS9_10device_ptrIsEEEESE_SE_sNS9_10multipliesIsEENS9_8equal_toIsEEsEE10hipError_tPvRmT2_T3_T4_T5_mT6_T7_P12ihipStream_tbENKUlT_T0_E_clISt17integral_constantIbLb1EESY_IbLb0EEEEDaSU_SV_EUlSU_E_NS1_11comp_targetILNS1_3genE2ELNS1_11target_archE906ELNS1_3gpuE6ELNS1_3repE0EEENS1_30default_config_static_selectorELNS0_4arch9wavefront6targetE0EEEvT1_, .Lfunc_end628-_ZN7rocprim17ROCPRIM_400000_NS6detail17trampoline_kernelINS0_14default_configENS1_27scan_by_key_config_selectorIssEEZZNS1_16scan_by_key_implILNS1_25lookback_scan_determinismE0ELb1ES3_N6thrust23THRUST_200600_302600_NS6detail15normal_iteratorINS9_10device_ptrIsEEEESE_SE_sNS9_10multipliesIsEENS9_8equal_toIsEEsEE10hipError_tPvRmT2_T3_T4_T5_mT6_T7_P12ihipStream_tbENKUlT_T0_E_clISt17integral_constantIbLb1EESY_IbLb0EEEEDaSU_SV_EUlSU_E_NS1_11comp_targetILNS1_3genE2ELNS1_11target_archE906ELNS1_3gpuE6ELNS1_3repE0EEENS1_30default_config_static_selectorELNS0_4arch9wavefront6targetE0EEEvT1_
                                        ; -- End function
	.set _ZN7rocprim17ROCPRIM_400000_NS6detail17trampoline_kernelINS0_14default_configENS1_27scan_by_key_config_selectorIssEEZZNS1_16scan_by_key_implILNS1_25lookback_scan_determinismE0ELb1ES3_N6thrust23THRUST_200600_302600_NS6detail15normal_iteratorINS9_10device_ptrIsEEEESE_SE_sNS9_10multipliesIsEENS9_8equal_toIsEEsEE10hipError_tPvRmT2_T3_T4_T5_mT6_T7_P12ihipStream_tbENKUlT_T0_E_clISt17integral_constantIbLb1EESY_IbLb0EEEEDaSU_SV_EUlSU_E_NS1_11comp_targetILNS1_3genE2ELNS1_11target_archE906ELNS1_3gpuE6ELNS1_3repE0EEENS1_30default_config_static_selectorELNS0_4arch9wavefront6targetE0EEEvT1_.num_vgpr, 0
	.set _ZN7rocprim17ROCPRIM_400000_NS6detail17trampoline_kernelINS0_14default_configENS1_27scan_by_key_config_selectorIssEEZZNS1_16scan_by_key_implILNS1_25lookback_scan_determinismE0ELb1ES3_N6thrust23THRUST_200600_302600_NS6detail15normal_iteratorINS9_10device_ptrIsEEEESE_SE_sNS9_10multipliesIsEENS9_8equal_toIsEEsEE10hipError_tPvRmT2_T3_T4_T5_mT6_T7_P12ihipStream_tbENKUlT_T0_E_clISt17integral_constantIbLb1EESY_IbLb0EEEEDaSU_SV_EUlSU_E_NS1_11comp_targetILNS1_3genE2ELNS1_11target_archE906ELNS1_3gpuE6ELNS1_3repE0EEENS1_30default_config_static_selectorELNS0_4arch9wavefront6targetE0EEEvT1_.num_agpr, 0
	.set _ZN7rocprim17ROCPRIM_400000_NS6detail17trampoline_kernelINS0_14default_configENS1_27scan_by_key_config_selectorIssEEZZNS1_16scan_by_key_implILNS1_25lookback_scan_determinismE0ELb1ES3_N6thrust23THRUST_200600_302600_NS6detail15normal_iteratorINS9_10device_ptrIsEEEESE_SE_sNS9_10multipliesIsEENS9_8equal_toIsEEsEE10hipError_tPvRmT2_T3_T4_T5_mT6_T7_P12ihipStream_tbENKUlT_T0_E_clISt17integral_constantIbLb1EESY_IbLb0EEEEDaSU_SV_EUlSU_E_NS1_11comp_targetILNS1_3genE2ELNS1_11target_archE906ELNS1_3gpuE6ELNS1_3repE0EEENS1_30default_config_static_selectorELNS0_4arch9wavefront6targetE0EEEvT1_.numbered_sgpr, 0
	.set _ZN7rocprim17ROCPRIM_400000_NS6detail17trampoline_kernelINS0_14default_configENS1_27scan_by_key_config_selectorIssEEZZNS1_16scan_by_key_implILNS1_25lookback_scan_determinismE0ELb1ES3_N6thrust23THRUST_200600_302600_NS6detail15normal_iteratorINS9_10device_ptrIsEEEESE_SE_sNS9_10multipliesIsEENS9_8equal_toIsEEsEE10hipError_tPvRmT2_T3_T4_T5_mT6_T7_P12ihipStream_tbENKUlT_T0_E_clISt17integral_constantIbLb1EESY_IbLb0EEEEDaSU_SV_EUlSU_E_NS1_11comp_targetILNS1_3genE2ELNS1_11target_archE906ELNS1_3gpuE6ELNS1_3repE0EEENS1_30default_config_static_selectorELNS0_4arch9wavefront6targetE0EEEvT1_.num_named_barrier, 0
	.set _ZN7rocprim17ROCPRIM_400000_NS6detail17trampoline_kernelINS0_14default_configENS1_27scan_by_key_config_selectorIssEEZZNS1_16scan_by_key_implILNS1_25lookback_scan_determinismE0ELb1ES3_N6thrust23THRUST_200600_302600_NS6detail15normal_iteratorINS9_10device_ptrIsEEEESE_SE_sNS9_10multipliesIsEENS9_8equal_toIsEEsEE10hipError_tPvRmT2_T3_T4_T5_mT6_T7_P12ihipStream_tbENKUlT_T0_E_clISt17integral_constantIbLb1EESY_IbLb0EEEEDaSU_SV_EUlSU_E_NS1_11comp_targetILNS1_3genE2ELNS1_11target_archE906ELNS1_3gpuE6ELNS1_3repE0EEENS1_30default_config_static_selectorELNS0_4arch9wavefront6targetE0EEEvT1_.private_seg_size, 0
	.set _ZN7rocprim17ROCPRIM_400000_NS6detail17trampoline_kernelINS0_14default_configENS1_27scan_by_key_config_selectorIssEEZZNS1_16scan_by_key_implILNS1_25lookback_scan_determinismE0ELb1ES3_N6thrust23THRUST_200600_302600_NS6detail15normal_iteratorINS9_10device_ptrIsEEEESE_SE_sNS9_10multipliesIsEENS9_8equal_toIsEEsEE10hipError_tPvRmT2_T3_T4_T5_mT6_T7_P12ihipStream_tbENKUlT_T0_E_clISt17integral_constantIbLb1EESY_IbLb0EEEEDaSU_SV_EUlSU_E_NS1_11comp_targetILNS1_3genE2ELNS1_11target_archE906ELNS1_3gpuE6ELNS1_3repE0EEENS1_30default_config_static_selectorELNS0_4arch9wavefront6targetE0EEEvT1_.uses_vcc, 0
	.set _ZN7rocprim17ROCPRIM_400000_NS6detail17trampoline_kernelINS0_14default_configENS1_27scan_by_key_config_selectorIssEEZZNS1_16scan_by_key_implILNS1_25lookback_scan_determinismE0ELb1ES3_N6thrust23THRUST_200600_302600_NS6detail15normal_iteratorINS9_10device_ptrIsEEEESE_SE_sNS9_10multipliesIsEENS9_8equal_toIsEEsEE10hipError_tPvRmT2_T3_T4_T5_mT6_T7_P12ihipStream_tbENKUlT_T0_E_clISt17integral_constantIbLb1EESY_IbLb0EEEEDaSU_SV_EUlSU_E_NS1_11comp_targetILNS1_3genE2ELNS1_11target_archE906ELNS1_3gpuE6ELNS1_3repE0EEENS1_30default_config_static_selectorELNS0_4arch9wavefront6targetE0EEEvT1_.uses_flat_scratch, 0
	.set _ZN7rocprim17ROCPRIM_400000_NS6detail17trampoline_kernelINS0_14default_configENS1_27scan_by_key_config_selectorIssEEZZNS1_16scan_by_key_implILNS1_25lookback_scan_determinismE0ELb1ES3_N6thrust23THRUST_200600_302600_NS6detail15normal_iteratorINS9_10device_ptrIsEEEESE_SE_sNS9_10multipliesIsEENS9_8equal_toIsEEsEE10hipError_tPvRmT2_T3_T4_T5_mT6_T7_P12ihipStream_tbENKUlT_T0_E_clISt17integral_constantIbLb1EESY_IbLb0EEEEDaSU_SV_EUlSU_E_NS1_11comp_targetILNS1_3genE2ELNS1_11target_archE906ELNS1_3gpuE6ELNS1_3repE0EEENS1_30default_config_static_selectorELNS0_4arch9wavefront6targetE0EEEvT1_.has_dyn_sized_stack, 0
	.set _ZN7rocprim17ROCPRIM_400000_NS6detail17trampoline_kernelINS0_14default_configENS1_27scan_by_key_config_selectorIssEEZZNS1_16scan_by_key_implILNS1_25lookback_scan_determinismE0ELb1ES3_N6thrust23THRUST_200600_302600_NS6detail15normal_iteratorINS9_10device_ptrIsEEEESE_SE_sNS9_10multipliesIsEENS9_8equal_toIsEEsEE10hipError_tPvRmT2_T3_T4_T5_mT6_T7_P12ihipStream_tbENKUlT_T0_E_clISt17integral_constantIbLb1EESY_IbLb0EEEEDaSU_SV_EUlSU_E_NS1_11comp_targetILNS1_3genE2ELNS1_11target_archE906ELNS1_3gpuE6ELNS1_3repE0EEENS1_30default_config_static_selectorELNS0_4arch9wavefront6targetE0EEEvT1_.has_recursion, 0
	.set _ZN7rocprim17ROCPRIM_400000_NS6detail17trampoline_kernelINS0_14default_configENS1_27scan_by_key_config_selectorIssEEZZNS1_16scan_by_key_implILNS1_25lookback_scan_determinismE0ELb1ES3_N6thrust23THRUST_200600_302600_NS6detail15normal_iteratorINS9_10device_ptrIsEEEESE_SE_sNS9_10multipliesIsEENS9_8equal_toIsEEsEE10hipError_tPvRmT2_T3_T4_T5_mT6_T7_P12ihipStream_tbENKUlT_T0_E_clISt17integral_constantIbLb1EESY_IbLb0EEEEDaSU_SV_EUlSU_E_NS1_11comp_targetILNS1_3genE2ELNS1_11target_archE906ELNS1_3gpuE6ELNS1_3repE0EEENS1_30default_config_static_selectorELNS0_4arch9wavefront6targetE0EEEvT1_.has_indirect_call, 0
	.section	.AMDGPU.csdata,"",@progbits
; Kernel info:
; codeLenInByte = 0
; TotalNumSgprs: 0
; NumVgprs: 0
; ScratchSize: 0
; MemoryBound: 0
; FloatMode: 240
; IeeeMode: 1
; LDSByteSize: 0 bytes/workgroup (compile time only)
; SGPRBlocks: 0
; VGPRBlocks: 0
; NumSGPRsForWavesPerEU: 1
; NumVGPRsForWavesPerEU: 1
; NamedBarCnt: 0
; Occupancy: 16
; WaveLimiterHint : 0
; COMPUTE_PGM_RSRC2:SCRATCH_EN: 0
; COMPUTE_PGM_RSRC2:USER_SGPR: 2
; COMPUTE_PGM_RSRC2:TRAP_HANDLER: 0
; COMPUTE_PGM_RSRC2:TGID_X_EN: 1
; COMPUTE_PGM_RSRC2:TGID_Y_EN: 0
; COMPUTE_PGM_RSRC2:TGID_Z_EN: 0
; COMPUTE_PGM_RSRC2:TIDIG_COMP_CNT: 0
	.section	.text._ZN7rocprim17ROCPRIM_400000_NS6detail17trampoline_kernelINS0_14default_configENS1_27scan_by_key_config_selectorIssEEZZNS1_16scan_by_key_implILNS1_25lookback_scan_determinismE0ELb1ES3_N6thrust23THRUST_200600_302600_NS6detail15normal_iteratorINS9_10device_ptrIsEEEESE_SE_sNS9_10multipliesIsEENS9_8equal_toIsEEsEE10hipError_tPvRmT2_T3_T4_T5_mT6_T7_P12ihipStream_tbENKUlT_T0_E_clISt17integral_constantIbLb1EESY_IbLb0EEEEDaSU_SV_EUlSU_E_NS1_11comp_targetILNS1_3genE10ELNS1_11target_archE1200ELNS1_3gpuE4ELNS1_3repE0EEENS1_30default_config_static_selectorELNS0_4arch9wavefront6targetE0EEEvT1_,"axG",@progbits,_ZN7rocprim17ROCPRIM_400000_NS6detail17trampoline_kernelINS0_14default_configENS1_27scan_by_key_config_selectorIssEEZZNS1_16scan_by_key_implILNS1_25lookback_scan_determinismE0ELb1ES3_N6thrust23THRUST_200600_302600_NS6detail15normal_iteratorINS9_10device_ptrIsEEEESE_SE_sNS9_10multipliesIsEENS9_8equal_toIsEEsEE10hipError_tPvRmT2_T3_T4_T5_mT6_T7_P12ihipStream_tbENKUlT_T0_E_clISt17integral_constantIbLb1EESY_IbLb0EEEEDaSU_SV_EUlSU_E_NS1_11comp_targetILNS1_3genE10ELNS1_11target_archE1200ELNS1_3gpuE4ELNS1_3repE0EEENS1_30default_config_static_selectorELNS0_4arch9wavefront6targetE0EEEvT1_,comdat
	.protected	_ZN7rocprim17ROCPRIM_400000_NS6detail17trampoline_kernelINS0_14default_configENS1_27scan_by_key_config_selectorIssEEZZNS1_16scan_by_key_implILNS1_25lookback_scan_determinismE0ELb1ES3_N6thrust23THRUST_200600_302600_NS6detail15normal_iteratorINS9_10device_ptrIsEEEESE_SE_sNS9_10multipliesIsEENS9_8equal_toIsEEsEE10hipError_tPvRmT2_T3_T4_T5_mT6_T7_P12ihipStream_tbENKUlT_T0_E_clISt17integral_constantIbLb1EESY_IbLb0EEEEDaSU_SV_EUlSU_E_NS1_11comp_targetILNS1_3genE10ELNS1_11target_archE1200ELNS1_3gpuE4ELNS1_3repE0EEENS1_30default_config_static_selectorELNS0_4arch9wavefront6targetE0EEEvT1_ ; -- Begin function _ZN7rocprim17ROCPRIM_400000_NS6detail17trampoline_kernelINS0_14default_configENS1_27scan_by_key_config_selectorIssEEZZNS1_16scan_by_key_implILNS1_25lookback_scan_determinismE0ELb1ES3_N6thrust23THRUST_200600_302600_NS6detail15normal_iteratorINS9_10device_ptrIsEEEESE_SE_sNS9_10multipliesIsEENS9_8equal_toIsEEsEE10hipError_tPvRmT2_T3_T4_T5_mT6_T7_P12ihipStream_tbENKUlT_T0_E_clISt17integral_constantIbLb1EESY_IbLb0EEEEDaSU_SV_EUlSU_E_NS1_11comp_targetILNS1_3genE10ELNS1_11target_archE1200ELNS1_3gpuE4ELNS1_3repE0EEENS1_30default_config_static_selectorELNS0_4arch9wavefront6targetE0EEEvT1_
	.globl	_ZN7rocprim17ROCPRIM_400000_NS6detail17trampoline_kernelINS0_14default_configENS1_27scan_by_key_config_selectorIssEEZZNS1_16scan_by_key_implILNS1_25lookback_scan_determinismE0ELb1ES3_N6thrust23THRUST_200600_302600_NS6detail15normal_iteratorINS9_10device_ptrIsEEEESE_SE_sNS9_10multipliesIsEENS9_8equal_toIsEEsEE10hipError_tPvRmT2_T3_T4_T5_mT6_T7_P12ihipStream_tbENKUlT_T0_E_clISt17integral_constantIbLb1EESY_IbLb0EEEEDaSU_SV_EUlSU_E_NS1_11comp_targetILNS1_3genE10ELNS1_11target_archE1200ELNS1_3gpuE4ELNS1_3repE0EEENS1_30default_config_static_selectorELNS0_4arch9wavefront6targetE0EEEvT1_
	.p2align	8
	.type	_ZN7rocprim17ROCPRIM_400000_NS6detail17trampoline_kernelINS0_14default_configENS1_27scan_by_key_config_selectorIssEEZZNS1_16scan_by_key_implILNS1_25lookback_scan_determinismE0ELb1ES3_N6thrust23THRUST_200600_302600_NS6detail15normal_iteratorINS9_10device_ptrIsEEEESE_SE_sNS9_10multipliesIsEENS9_8equal_toIsEEsEE10hipError_tPvRmT2_T3_T4_T5_mT6_T7_P12ihipStream_tbENKUlT_T0_E_clISt17integral_constantIbLb1EESY_IbLb0EEEEDaSU_SV_EUlSU_E_NS1_11comp_targetILNS1_3genE10ELNS1_11target_archE1200ELNS1_3gpuE4ELNS1_3repE0EEENS1_30default_config_static_selectorELNS0_4arch9wavefront6targetE0EEEvT1_,@function
_ZN7rocprim17ROCPRIM_400000_NS6detail17trampoline_kernelINS0_14default_configENS1_27scan_by_key_config_selectorIssEEZZNS1_16scan_by_key_implILNS1_25lookback_scan_determinismE0ELb1ES3_N6thrust23THRUST_200600_302600_NS6detail15normal_iteratorINS9_10device_ptrIsEEEESE_SE_sNS9_10multipliesIsEENS9_8equal_toIsEEsEE10hipError_tPvRmT2_T3_T4_T5_mT6_T7_P12ihipStream_tbENKUlT_T0_E_clISt17integral_constantIbLb1EESY_IbLb0EEEEDaSU_SV_EUlSU_E_NS1_11comp_targetILNS1_3genE10ELNS1_11target_archE1200ELNS1_3gpuE4ELNS1_3repE0EEENS1_30default_config_static_selectorELNS0_4arch9wavefront6targetE0EEEvT1_: ; @_ZN7rocprim17ROCPRIM_400000_NS6detail17trampoline_kernelINS0_14default_configENS1_27scan_by_key_config_selectorIssEEZZNS1_16scan_by_key_implILNS1_25lookback_scan_determinismE0ELb1ES3_N6thrust23THRUST_200600_302600_NS6detail15normal_iteratorINS9_10device_ptrIsEEEESE_SE_sNS9_10multipliesIsEENS9_8equal_toIsEEsEE10hipError_tPvRmT2_T3_T4_T5_mT6_T7_P12ihipStream_tbENKUlT_T0_E_clISt17integral_constantIbLb1EESY_IbLb0EEEEDaSU_SV_EUlSU_E_NS1_11comp_targetILNS1_3genE10ELNS1_11target_archE1200ELNS1_3gpuE4ELNS1_3repE0EEENS1_30default_config_static_selectorELNS0_4arch9wavefront6targetE0EEEvT1_
; %bb.0:
	.section	.rodata,"a",@progbits
	.p2align	6, 0x0
	.amdhsa_kernel _ZN7rocprim17ROCPRIM_400000_NS6detail17trampoline_kernelINS0_14default_configENS1_27scan_by_key_config_selectorIssEEZZNS1_16scan_by_key_implILNS1_25lookback_scan_determinismE0ELb1ES3_N6thrust23THRUST_200600_302600_NS6detail15normal_iteratorINS9_10device_ptrIsEEEESE_SE_sNS9_10multipliesIsEENS9_8equal_toIsEEsEE10hipError_tPvRmT2_T3_T4_T5_mT6_T7_P12ihipStream_tbENKUlT_T0_E_clISt17integral_constantIbLb1EESY_IbLb0EEEEDaSU_SV_EUlSU_E_NS1_11comp_targetILNS1_3genE10ELNS1_11target_archE1200ELNS1_3gpuE4ELNS1_3repE0EEENS1_30default_config_static_selectorELNS0_4arch9wavefront6targetE0EEEvT1_
		.amdhsa_group_segment_fixed_size 0
		.amdhsa_private_segment_fixed_size 0
		.amdhsa_kernarg_size 112
		.amdhsa_user_sgpr_count 2
		.amdhsa_user_sgpr_dispatch_ptr 0
		.amdhsa_user_sgpr_queue_ptr 0
		.amdhsa_user_sgpr_kernarg_segment_ptr 1
		.amdhsa_user_sgpr_dispatch_id 0
		.amdhsa_user_sgpr_kernarg_preload_length 0
		.amdhsa_user_sgpr_kernarg_preload_offset 0
		.amdhsa_user_sgpr_private_segment_size 0
		.amdhsa_wavefront_size32 1
		.amdhsa_uses_dynamic_stack 0
		.amdhsa_enable_private_segment 0
		.amdhsa_system_sgpr_workgroup_id_x 1
		.amdhsa_system_sgpr_workgroup_id_y 0
		.amdhsa_system_sgpr_workgroup_id_z 0
		.amdhsa_system_sgpr_workgroup_info 0
		.amdhsa_system_vgpr_workitem_id 0
		.amdhsa_next_free_vgpr 1
		.amdhsa_next_free_sgpr 1
		.amdhsa_named_barrier_count 0
		.amdhsa_reserve_vcc 0
		.amdhsa_float_round_mode_32 0
		.amdhsa_float_round_mode_16_64 0
		.amdhsa_float_denorm_mode_32 3
		.amdhsa_float_denorm_mode_16_64 3
		.amdhsa_fp16_overflow 0
		.amdhsa_memory_ordered 1
		.amdhsa_forward_progress 1
		.amdhsa_inst_pref_size 0
		.amdhsa_round_robin_scheduling 0
		.amdhsa_exception_fp_ieee_invalid_op 0
		.amdhsa_exception_fp_denorm_src 0
		.amdhsa_exception_fp_ieee_div_zero 0
		.amdhsa_exception_fp_ieee_overflow 0
		.amdhsa_exception_fp_ieee_underflow 0
		.amdhsa_exception_fp_ieee_inexact 0
		.amdhsa_exception_int_div_zero 0
	.end_amdhsa_kernel
	.section	.text._ZN7rocprim17ROCPRIM_400000_NS6detail17trampoline_kernelINS0_14default_configENS1_27scan_by_key_config_selectorIssEEZZNS1_16scan_by_key_implILNS1_25lookback_scan_determinismE0ELb1ES3_N6thrust23THRUST_200600_302600_NS6detail15normal_iteratorINS9_10device_ptrIsEEEESE_SE_sNS9_10multipliesIsEENS9_8equal_toIsEEsEE10hipError_tPvRmT2_T3_T4_T5_mT6_T7_P12ihipStream_tbENKUlT_T0_E_clISt17integral_constantIbLb1EESY_IbLb0EEEEDaSU_SV_EUlSU_E_NS1_11comp_targetILNS1_3genE10ELNS1_11target_archE1200ELNS1_3gpuE4ELNS1_3repE0EEENS1_30default_config_static_selectorELNS0_4arch9wavefront6targetE0EEEvT1_,"axG",@progbits,_ZN7rocprim17ROCPRIM_400000_NS6detail17trampoline_kernelINS0_14default_configENS1_27scan_by_key_config_selectorIssEEZZNS1_16scan_by_key_implILNS1_25lookback_scan_determinismE0ELb1ES3_N6thrust23THRUST_200600_302600_NS6detail15normal_iteratorINS9_10device_ptrIsEEEESE_SE_sNS9_10multipliesIsEENS9_8equal_toIsEEsEE10hipError_tPvRmT2_T3_T4_T5_mT6_T7_P12ihipStream_tbENKUlT_T0_E_clISt17integral_constantIbLb1EESY_IbLb0EEEEDaSU_SV_EUlSU_E_NS1_11comp_targetILNS1_3genE10ELNS1_11target_archE1200ELNS1_3gpuE4ELNS1_3repE0EEENS1_30default_config_static_selectorELNS0_4arch9wavefront6targetE0EEEvT1_,comdat
.Lfunc_end629:
	.size	_ZN7rocprim17ROCPRIM_400000_NS6detail17trampoline_kernelINS0_14default_configENS1_27scan_by_key_config_selectorIssEEZZNS1_16scan_by_key_implILNS1_25lookback_scan_determinismE0ELb1ES3_N6thrust23THRUST_200600_302600_NS6detail15normal_iteratorINS9_10device_ptrIsEEEESE_SE_sNS9_10multipliesIsEENS9_8equal_toIsEEsEE10hipError_tPvRmT2_T3_T4_T5_mT6_T7_P12ihipStream_tbENKUlT_T0_E_clISt17integral_constantIbLb1EESY_IbLb0EEEEDaSU_SV_EUlSU_E_NS1_11comp_targetILNS1_3genE10ELNS1_11target_archE1200ELNS1_3gpuE4ELNS1_3repE0EEENS1_30default_config_static_selectorELNS0_4arch9wavefront6targetE0EEEvT1_, .Lfunc_end629-_ZN7rocprim17ROCPRIM_400000_NS6detail17trampoline_kernelINS0_14default_configENS1_27scan_by_key_config_selectorIssEEZZNS1_16scan_by_key_implILNS1_25lookback_scan_determinismE0ELb1ES3_N6thrust23THRUST_200600_302600_NS6detail15normal_iteratorINS9_10device_ptrIsEEEESE_SE_sNS9_10multipliesIsEENS9_8equal_toIsEEsEE10hipError_tPvRmT2_T3_T4_T5_mT6_T7_P12ihipStream_tbENKUlT_T0_E_clISt17integral_constantIbLb1EESY_IbLb0EEEEDaSU_SV_EUlSU_E_NS1_11comp_targetILNS1_3genE10ELNS1_11target_archE1200ELNS1_3gpuE4ELNS1_3repE0EEENS1_30default_config_static_selectorELNS0_4arch9wavefront6targetE0EEEvT1_
                                        ; -- End function
	.set _ZN7rocprim17ROCPRIM_400000_NS6detail17trampoline_kernelINS0_14default_configENS1_27scan_by_key_config_selectorIssEEZZNS1_16scan_by_key_implILNS1_25lookback_scan_determinismE0ELb1ES3_N6thrust23THRUST_200600_302600_NS6detail15normal_iteratorINS9_10device_ptrIsEEEESE_SE_sNS9_10multipliesIsEENS9_8equal_toIsEEsEE10hipError_tPvRmT2_T3_T4_T5_mT6_T7_P12ihipStream_tbENKUlT_T0_E_clISt17integral_constantIbLb1EESY_IbLb0EEEEDaSU_SV_EUlSU_E_NS1_11comp_targetILNS1_3genE10ELNS1_11target_archE1200ELNS1_3gpuE4ELNS1_3repE0EEENS1_30default_config_static_selectorELNS0_4arch9wavefront6targetE0EEEvT1_.num_vgpr, 0
	.set _ZN7rocprim17ROCPRIM_400000_NS6detail17trampoline_kernelINS0_14default_configENS1_27scan_by_key_config_selectorIssEEZZNS1_16scan_by_key_implILNS1_25lookback_scan_determinismE0ELb1ES3_N6thrust23THRUST_200600_302600_NS6detail15normal_iteratorINS9_10device_ptrIsEEEESE_SE_sNS9_10multipliesIsEENS9_8equal_toIsEEsEE10hipError_tPvRmT2_T3_T4_T5_mT6_T7_P12ihipStream_tbENKUlT_T0_E_clISt17integral_constantIbLb1EESY_IbLb0EEEEDaSU_SV_EUlSU_E_NS1_11comp_targetILNS1_3genE10ELNS1_11target_archE1200ELNS1_3gpuE4ELNS1_3repE0EEENS1_30default_config_static_selectorELNS0_4arch9wavefront6targetE0EEEvT1_.num_agpr, 0
	.set _ZN7rocprim17ROCPRIM_400000_NS6detail17trampoline_kernelINS0_14default_configENS1_27scan_by_key_config_selectorIssEEZZNS1_16scan_by_key_implILNS1_25lookback_scan_determinismE0ELb1ES3_N6thrust23THRUST_200600_302600_NS6detail15normal_iteratorINS9_10device_ptrIsEEEESE_SE_sNS9_10multipliesIsEENS9_8equal_toIsEEsEE10hipError_tPvRmT2_T3_T4_T5_mT6_T7_P12ihipStream_tbENKUlT_T0_E_clISt17integral_constantIbLb1EESY_IbLb0EEEEDaSU_SV_EUlSU_E_NS1_11comp_targetILNS1_3genE10ELNS1_11target_archE1200ELNS1_3gpuE4ELNS1_3repE0EEENS1_30default_config_static_selectorELNS0_4arch9wavefront6targetE0EEEvT1_.numbered_sgpr, 0
	.set _ZN7rocprim17ROCPRIM_400000_NS6detail17trampoline_kernelINS0_14default_configENS1_27scan_by_key_config_selectorIssEEZZNS1_16scan_by_key_implILNS1_25lookback_scan_determinismE0ELb1ES3_N6thrust23THRUST_200600_302600_NS6detail15normal_iteratorINS9_10device_ptrIsEEEESE_SE_sNS9_10multipliesIsEENS9_8equal_toIsEEsEE10hipError_tPvRmT2_T3_T4_T5_mT6_T7_P12ihipStream_tbENKUlT_T0_E_clISt17integral_constantIbLb1EESY_IbLb0EEEEDaSU_SV_EUlSU_E_NS1_11comp_targetILNS1_3genE10ELNS1_11target_archE1200ELNS1_3gpuE4ELNS1_3repE0EEENS1_30default_config_static_selectorELNS0_4arch9wavefront6targetE0EEEvT1_.num_named_barrier, 0
	.set _ZN7rocprim17ROCPRIM_400000_NS6detail17trampoline_kernelINS0_14default_configENS1_27scan_by_key_config_selectorIssEEZZNS1_16scan_by_key_implILNS1_25lookback_scan_determinismE0ELb1ES3_N6thrust23THRUST_200600_302600_NS6detail15normal_iteratorINS9_10device_ptrIsEEEESE_SE_sNS9_10multipliesIsEENS9_8equal_toIsEEsEE10hipError_tPvRmT2_T3_T4_T5_mT6_T7_P12ihipStream_tbENKUlT_T0_E_clISt17integral_constantIbLb1EESY_IbLb0EEEEDaSU_SV_EUlSU_E_NS1_11comp_targetILNS1_3genE10ELNS1_11target_archE1200ELNS1_3gpuE4ELNS1_3repE0EEENS1_30default_config_static_selectorELNS0_4arch9wavefront6targetE0EEEvT1_.private_seg_size, 0
	.set _ZN7rocprim17ROCPRIM_400000_NS6detail17trampoline_kernelINS0_14default_configENS1_27scan_by_key_config_selectorIssEEZZNS1_16scan_by_key_implILNS1_25lookback_scan_determinismE0ELb1ES3_N6thrust23THRUST_200600_302600_NS6detail15normal_iteratorINS9_10device_ptrIsEEEESE_SE_sNS9_10multipliesIsEENS9_8equal_toIsEEsEE10hipError_tPvRmT2_T3_T4_T5_mT6_T7_P12ihipStream_tbENKUlT_T0_E_clISt17integral_constantIbLb1EESY_IbLb0EEEEDaSU_SV_EUlSU_E_NS1_11comp_targetILNS1_3genE10ELNS1_11target_archE1200ELNS1_3gpuE4ELNS1_3repE0EEENS1_30default_config_static_selectorELNS0_4arch9wavefront6targetE0EEEvT1_.uses_vcc, 0
	.set _ZN7rocprim17ROCPRIM_400000_NS6detail17trampoline_kernelINS0_14default_configENS1_27scan_by_key_config_selectorIssEEZZNS1_16scan_by_key_implILNS1_25lookback_scan_determinismE0ELb1ES3_N6thrust23THRUST_200600_302600_NS6detail15normal_iteratorINS9_10device_ptrIsEEEESE_SE_sNS9_10multipliesIsEENS9_8equal_toIsEEsEE10hipError_tPvRmT2_T3_T4_T5_mT6_T7_P12ihipStream_tbENKUlT_T0_E_clISt17integral_constantIbLb1EESY_IbLb0EEEEDaSU_SV_EUlSU_E_NS1_11comp_targetILNS1_3genE10ELNS1_11target_archE1200ELNS1_3gpuE4ELNS1_3repE0EEENS1_30default_config_static_selectorELNS0_4arch9wavefront6targetE0EEEvT1_.uses_flat_scratch, 0
	.set _ZN7rocprim17ROCPRIM_400000_NS6detail17trampoline_kernelINS0_14default_configENS1_27scan_by_key_config_selectorIssEEZZNS1_16scan_by_key_implILNS1_25lookback_scan_determinismE0ELb1ES3_N6thrust23THRUST_200600_302600_NS6detail15normal_iteratorINS9_10device_ptrIsEEEESE_SE_sNS9_10multipliesIsEENS9_8equal_toIsEEsEE10hipError_tPvRmT2_T3_T4_T5_mT6_T7_P12ihipStream_tbENKUlT_T0_E_clISt17integral_constantIbLb1EESY_IbLb0EEEEDaSU_SV_EUlSU_E_NS1_11comp_targetILNS1_3genE10ELNS1_11target_archE1200ELNS1_3gpuE4ELNS1_3repE0EEENS1_30default_config_static_selectorELNS0_4arch9wavefront6targetE0EEEvT1_.has_dyn_sized_stack, 0
	.set _ZN7rocprim17ROCPRIM_400000_NS6detail17trampoline_kernelINS0_14default_configENS1_27scan_by_key_config_selectorIssEEZZNS1_16scan_by_key_implILNS1_25lookback_scan_determinismE0ELb1ES3_N6thrust23THRUST_200600_302600_NS6detail15normal_iteratorINS9_10device_ptrIsEEEESE_SE_sNS9_10multipliesIsEENS9_8equal_toIsEEsEE10hipError_tPvRmT2_T3_T4_T5_mT6_T7_P12ihipStream_tbENKUlT_T0_E_clISt17integral_constantIbLb1EESY_IbLb0EEEEDaSU_SV_EUlSU_E_NS1_11comp_targetILNS1_3genE10ELNS1_11target_archE1200ELNS1_3gpuE4ELNS1_3repE0EEENS1_30default_config_static_selectorELNS0_4arch9wavefront6targetE0EEEvT1_.has_recursion, 0
	.set _ZN7rocprim17ROCPRIM_400000_NS6detail17trampoline_kernelINS0_14default_configENS1_27scan_by_key_config_selectorIssEEZZNS1_16scan_by_key_implILNS1_25lookback_scan_determinismE0ELb1ES3_N6thrust23THRUST_200600_302600_NS6detail15normal_iteratorINS9_10device_ptrIsEEEESE_SE_sNS9_10multipliesIsEENS9_8equal_toIsEEsEE10hipError_tPvRmT2_T3_T4_T5_mT6_T7_P12ihipStream_tbENKUlT_T0_E_clISt17integral_constantIbLb1EESY_IbLb0EEEEDaSU_SV_EUlSU_E_NS1_11comp_targetILNS1_3genE10ELNS1_11target_archE1200ELNS1_3gpuE4ELNS1_3repE0EEENS1_30default_config_static_selectorELNS0_4arch9wavefront6targetE0EEEvT1_.has_indirect_call, 0
	.section	.AMDGPU.csdata,"",@progbits
; Kernel info:
; codeLenInByte = 0
; TotalNumSgprs: 0
; NumVgprs: 0
; ScratchSize: 0
; MemoryBound: 0
; FloatMode: 240
; IeeeMode: 1
; LDSByteSize: 0 bytes/workgroup (compile time only)
; SGPRBlocks: 0
; VGPRBlocks: 0
; NumSGPRsForWavesPerEU: 1
; NumVGPRsForWavesPerEU: 1
; NamedBarCnt: 0
; Occupancy: 16
; WaveLimiterHint : 0
; COMPUTE_PGM_RSRC2:SCRATCH_EN: 0
; COMPUTE_PGM_RSRC2:USER_SGPR: 2
; COMPUTE_PGM_RSRC2:TRAP_HANDLER: 0
; COMPUTE_PGM_RSRC2:TGID_X_EN: 1
; COMPUTE_PGM_RSRC2:TGID_Y_EN: 0
; COMPUTE_PGM_RSRC2:TGID_Z_EN: 0
; COMPUTE_PGM_RSRC2:TIDIG_COMP_CNT: 0
	.section	.text._ZN7rocprim17ROCPRIM_400000_NS6detail17trampoline_kernelINS0_14default_configENS1_27scan_by_key_config_selectorIssEEZZNS1_16scan_by_key_implILNS1_25lookback_scan_determinismE0ELb1ES3_N6thrust23THRUST_200600_302600_NS6detail15normal_iteratorINS9_10device_ptrIsEEEESE_SE_sNS9_10multipliesIsEENS9_8equal_toIsEEsEE10hipError_tPvRmT2_T3_T4_T5_mT6_T7_P12ihipStream_tbENKUlT_T0_E_clISt17integral_constantIbLb1EESY_IbLb0EEEEDaSU_SV_EUlSU_E_NS1_11comp_targetILNS1_3genE9ELNS1_11target_archE1100ELNS1_3gpuE3ELNS1_3repE0EEENS1_30default_config_static_selectorELNS0_4arch9wavefront6targetE0EEEvT1_,"axG",@progbits,_ZN7rocprim17ROCPRIM_400000_NS6detail17trampoline_kernelINS0_14default_configENS1_27scan_by_key_config_selectorIssEEZZNS1_16scan_by_key_implILNS1_25lookback_scan_determinismE0ELb1ES3_N6thrust23THRUST_200600_302600_NS6detail15normal_iteratorINS9_10device_ptrIsEEEESE_SE_sNS9_10multipliesIsEENS9_8equal_toIsEEsEE10hipError_tPvRmT2_T3_T4_T5_mT6_T7_P12ihipStream_tbENKUlT_T0_E_clISt17integral_constantIbLb1EESY_IbLb0EEEEDaSU_SV_EUlSU_E_NS1_11comp_targetILNS1_3genE9ELNS1_11target_archE1100ELNS1_3gpuE3ELNS1_3repE0EEENS1_30default_config_static_selectorELNS0_4arch9wavefront6targetE0EEEvT1_,comdat
	.protected	_ZN7rocprim17ROCPRIM_400000_NS6detail17trampoline_kernelINS0_14default_configENS1_27scan_by_key_config_selectorIssEEZZNS1_16scan_by_key_implILNS1_25lookback_scan_determinismE0ELb1ES3_N6thrust23THRUST_200600_302600_NS6detail15normal_iteratorINS9_10device_ptrIsEEEESE_SE_sNS9_10multipliesIsEENS9_8equal_toIsEEsEE10hipError_tPvRmT2_T3_T4_T5_mT6_T7_P12ihipStream_tbENKUlT_T0_E_clISt17integral_constantIbLb1EESY_IbLb0EEEEDaSU_SV_EUlSU_E_NS1_11comp_targetILNS1_3genE9ELNS1_11target_archE1100ELNS1_3gpuE3ELNS1_3repE0EEENS1_30default_config_static_selectorELNS0_4arch9wavefront6targetE0EEEvT1_ ; -- Begin function _ZN7rocprim17ROCPRIM_400000_NS6detail17trampoline_kernelINS0_14default_configENS1_27scan_by_key_config_selectorIssEEZZNS1_16scan_by_key_implILNS1_25lookback_scan_determinismE0ELb1ES3_N6thrust23THRUST_200600_302600_NS6detail15normal_iteratorINS9_10device_ptrIsEEEESE_SE_sNS9_10multipliesIsEENS9_8equal_toIsEEsEE10hipError_tPvRmT2_T3_T4_T5_mT6_T7_P12ihipStream_tbENKUlT_T0_E_clISt17integral_constantIbLb1EESY_IbLb0EEEEDaSU_SV_EUlSU_E_NS1_11comp_targetILNS1_3genE9ELNS1_11target_archE1100ELNS1_3gpuE3ELNS1_3repE0EEENS1_30default_config_static_selectorELNS0_4arch9wavefront6targetE0EEEvT1_
	.globl	_ZN7rocprim17ROCPRIM_400000_NS6detail17trampoline_kernelINS0_14default_configENS1_27scan_by_key_config_selectorIssEEZZNS1_16scan_by_key_implILNS1_25lookback_scan_determinismE0ELb1ES3_N6thrust23THRUST_200600_302600_NS6detail15normal_iteratorINS9_10device_ptrIsEEEESE_SE_sNS9_10multipliesIsEENS9_8equal_toIsEEsEE10hipError_tPvRmT2_T3_T4_T5_mT6_T7_P12ihipStream_tbENKUlT_T0_E_clISt17integral_constantIbLb1EESY_IbLb0EEEEDaSU_SV_EUlSU_E_NS1_11comp_targetILNS1_3genE9ELNS1_11target_archE1100ELNS1_3gpuE3ELNS1_3repE0EEENS1_30default_config_static_selectorELNS0_4arch9wavefront6targetE0EEEvT1_
	.p2align	8
	.type	_ZN7rocprim17ROCPRIM_400000_NS6detail17trampoline_kernelINS0_14default_configENS1_27scan_by_key_config_selectorIssEEZZNS1_16scan_by_key_implILNS1_25lookback_scan_determinismE0ELb1ES3_N6thrust23THRUST_200600_302600_NS6detail15normal_iteratorINS9_10device_ptrIsEEEESE_SE_sNS9_10multipliesIsEENS9_8equal_toIsEEsEE10hipError_tPvRmT2_T3_T4_T5_mT6_T7_P12ihipStream_tbENKUlT_T0_E_clISt17integral_constantIbLb1EESY_IbLb0EEEEDaSU_SV_EUlSU_E_NS1_11comp_targetILNS1_3genE9ELNS1_11target_archE1100ELNS1_3gpuE3ELNS1_3repE0EEENS1_30default_config_static_selectorELNS0_4arch9wavefront6targetE0EEEvT1_,@function
_ZN7rocprim17ROCPRIM_400000_NS6detail17trampoline_kernelINS0_14default_configENS1_27scan_by_key_config_selectorIssEEZZNS1_16scan_by_key_implILNS1_25lookback_scan_determinismE0ELb1ES3_N6thrust23THRUST_200600_302600_NS6detail15normal_iteratorINS9_10device_ptrIsEEEESE_SE_sNS9_10multipliesIsEENS9_8equal_toIsEEsEE10hipError_tPvRmT2_T3_T4_T5_mT6_T7_P12ihipStream_tbENKUlT_T0_E_clISt17integral_constantIbLb1EESY_IbLb0EEEEDaSU_SV_EUlSU_E_NS1_11comp_targetILNS1_3genE9ELNS1_11target_archE1100ELNS1_3gpuE3ELNS1_3repE0EEENS1_30default_config_static_selectorELNS0_4arch9wavefront6targetE0EEEvT1_: ; @_ZN7rocprim17ROCPRIM_400000_NS6detail17trampoline_kernelINS0_14default_configENS1_27scan_by_key_config_selectorIssEEZZNS1_16scan_by_key_implILNS1_25lookback_scan_determinismE0ELb1ES3_N6thrust23THRUST_200600_302600_NS6detail15normal_iteratorINS9_10device_ptrIsEEEESE_SE_sNS9_10multipliesIsEENS9_8equal_toIsEEsEE10hipError_tPvRmT2_T3_T4_T5_mT6_T7_P12ihipStream_tbENKUlT_T0_E_clISt17integral_constantIbLb1EESY_IbLb0EEEEDaSU_SV_EUlSU_E_NS1_11comp_targetILNS1_3genE9ELNS1_11target_archE1100ELNS1_3gpuE3ELNS1_3repE0EEENS1_30default_config_static_selectorELNS0_4arch9wavefront6targetE0EEEvT1_
; %bb.0:
	.section	.rodata,"a",@progbits
	.p2align	6, 0x0
	.amdhsa_kernel _ZN7rocprim17ROCPRIM_400000_NS6detail17trampoline_kernelINS0_14default_configENS1_27scan_by_key_config_selectorIssEEZZNS1_16scan_by_key_implILNS1_25lookback_scan_determinismE0ELb1ES3_N6thrust23THRUST_200600_302600_NS6detail15normal_iteratorINS9_10device_ptrIsEEEESE_SE_sNS9_10multipliesIsEENS9_8equal_toIsEEsEE10hipError_tPvRmT2_T3_T4_T5_mT6_T7_P12ihipStream_tbENKUlT_T0_E_clISt17integral_constantIbLb1EESY_IbLb0EEEEDaSU_SV_EUlSU_E_NS1_11comp_targetILNS1_3genE9ELNS1_11target_archE1100ELNS1_3gpuE3ELNS1_3repE0EEENS1_30default_config_static_selectorELNS0_4arch9wavefront6targetE0EEEvT1_
		.amdhsa_group_segment_fixed_size 0
		.amdhsa_private_segment_fixed_size 0
		.amdhsa_kernarg_size 112
		.amdhsa_user_sgpr_count 2
		.amdhsa_user_sgpr_dispatch_ptr 0
		.amdhsa_user_sgpr_queue_ptr 0
		.amdhsa_user_sgpr_kernarg_segment_ptr 1
		.amdhsa_user_sgpr_dispatch_id 0
		.amdhsa_user_sgpr_kernarg_preload_length 0
		.amdhsa_user_sgpr_kernarg_preload_offset 0
		.amdhsa_user_sgpr_private_segment_size 0
		.amdhsa_wavefront_size32 1
		.amdhsa_uses_dynamic_stack 0
		.amdhsa_enable_private_segment 0
		.amdhsa_system_sgpr_workgroup_id_x 1
		.amdhsa_system_sgpr_workgroup_id_y 0
		.amdhsa_system_sgpr_workgroup_id_z 0
		.amdhsa_system_sgpr_workgroup_info 0
		.amdhsa_system_vgpr_workitem_id 0
		.amdhsa_next_free_vgpr 1
		.amdhsa_next_free_sgpr 1
		.amdhsa_named_barrier_count 0
		.amdhsa_reserve_vcc 0
		.amdhsa_float_round_mode_32 0
		.amdhsa_float_round_mode_16_64 0
		.amdhsa_float_denorm_mode_32 3
		.amdhsa_float_denorm_mode_16_64 3
		.amdhsa_fp16_overflow 0
		.amdhsa_memory_ordered 1
		.amdhsa_forward_progress 1
		.amdhsa_inst_pref_size 0
		.amdhsa_round_robin_scheduling 0
		.amdhsa_exception_fp_ieee_invalid_op 0
		.amdhsa_exception_fp_denorm_src 0
		.amdhsa_exception_fp_ieee_div_zero 0
		.amdhsa_exception_fp_ieee_overflow 0
		.amdhsa_exception_fp_ieee_underflow 0
		.amdhsa_exception_fp_ieee_inexact 0
		.amdhsa_exception_int_div_zero 0
	.end_amdhsa_kernel
	.section	.text._ZN7rocprim17ROCPRIM_400000_NS6detail17trampoline_kernelINS0_14default_configENS1_27scan_by_key_config_selectorIssEEZZNS1_16scan_by_key_implILNS1_25lookback_scan_determinismE0ELb1ES3_N6thrust23THRUST_200600_302600_NS6detail15normal_iteratorINS9_10device_ptrIsEEEESE_SE_sNS9_10multipliesIsEENS9_8equal_toIsEEsEE10hipError_tPvRmT2_T3_T4_T5_mT6_T7_P12ihipStream_tbENKUlT_T0_E_clISt17integral_constantIbLb1EESY_IbLb0EEEEDaSU_SV_EUlSU_E_NS1_11comp_targetILNS1_3genE9ELNS1_11target_archE1100ELNS1_3gpuE3ELNS1_3repE0EEENS1_30default_config_static_selectorELNS0_4arch9wavefront6targetE0EEEvT1_,"axG",@progbits,_ZN7rocprim17ROCPRIM_400000_NS6detail17trampoline_kernelINS0_14default_configENS1_27scan_by_key_config_selectorIssEEZZNS1_16scan_by_key_implILNS1_25lookback_scan_determinismE0ELb1ES3_N6thrust23THRUST_200600_302600_NS6detail15normal_iteratorINS9_10device_ptrIsEEEESE_SE_sNS9_10multipliesIsEENS9_8equal_toIsEEsEE10hipError_tPvRmT2_T3_T4_T5_mT6_T7_P12ihipStream_tbENKUlT_T0_E_clISt17integral_constantIbLb1EESY_IbLb0EEEEDaSU_SV_EUlSU_E_NS1_11comp_targetILNS1_3genE9ELNS1_11target_archE1100ELNS1_3gpuE3ELNS1_3repE0EEENS1_30default_config_static_selectorELNS0_4arch9wavefront6targetE0EEEvT1_,comdat
.Lfunc_end630:
	.size	_ZN7rocprim17ROCPRIM_400000_NS6detail17trampoline_kernelINS0_14default_configENS1_27scan_by_key_config_selectorIssEEZZNS1_16scan_by_key_implILNS1_25lookback_scan_determinismE0ELb1ES3_N6thrust23THRUST_200600_302600_NS6detail15normal_iteratorINS9_10device_ptrIsEEEESE_SE_sNS9_10multipliesIsEENS9_8equal_toIsEEsEE10hipError_tPvRmT2_T3_T4_T5_mT6_T7_P12ihipStream_tbENKUlT_T0_E_clISt17integral_constantIbLb1EESY_IbLb0EEEEDaSU_SV_EUlSU_E_NS1_11comp_targetILNS1_3genE9ELNS1_11target_archE1100ELNS1_3gpuE3ELNS1_3repE0EEENS1_30default_config_static_selectorELNS0_4arch9wavefront6targetE0EEEvT1_, .Lfunc_end630-_ZN7rocprim17ROCPRIM_400000_NS6detail17trampoline_kernelINS0_14default_configENS1_27scan_by_key_config_selectorIssEEZZNS1_16scan_by_key_implILNS1_25lookback_scan_determinismE0ELb1ES3_N6thrust23THRUST_200600_302600_NS6detail15normal_iteratorINS9_10device_ptrIsEEEESE_SE_sNS9_10multipliesIsEENS9_8equal_toIsEEsEE10hipError_tPvRmT2_T3_T4_T5_mT6_T7_P12ihipStream_tbENKUlT_T0_E_clISt17integral_constantIbLb1EESY_IbLb0EEEEDaSU_SV_EUlSU_E_NS1_11comp_targetILNS1_3genE9ELNS1_11target_archE1100ELNS1_3gpuE3ELNS1_3repE0EEENS1_30default_config_static_selectorELNS0_4arch9wavefront6targetE0EEEvT1_
                                        ; -- End function
	.set _ZN7rocprim17ROCPRIM_400000_NS6detail17trampoline_kernelINS0_14default_configENS1_27scan_by_key_config_selectorIssEEZZNS1_16scan_by_key_implILNS1_25lookback_scan_determinismE0ELb1ES3_N6thrust23THRUST_200600_302600_NS6detail15normal_iteratorINS9_10device_ptrIsEEEESE_SE_sNS9_10multipliesIsEENS9_8equal_toIsEEsEE10hipError_tPvRmT2_T3_T4_T5_mT6_T7_P12ihipStream_tbENKUlT_T0_E_clISt17integral_constantIbLb1EESY_IbLb0EEEEDaSU_SV_EUlSU_E_NS1_11comp_targetILNS1_3genE9ELNS1_11target_archE1100ELNS1_3gpuE3ELNS1_3repE0EEENS1_30default_config_static_selectorELNS0_4arch9wavefront6targetE0EEEvT1_.num_vgpr, 0
	.set _ZN7rocprim17ROCPRIM_400000_NS6detail17trampoline_kernelINS0_14default_configENS1_27scan_by_key_config_selectorIssEEZZNS1_16scan_by_key_implILNS1_25lookback_scan_determinismE0ELb1ES3_N6thrust23THRUST_200600_302600_NS6detail15normal_iteratorINS9_10device_ptrIsEEEESE_SE_sNS9_10multipliesIsEENS9_8equal_toIsEEsEE10hipError_tPvRmT2_T3_T4_T5_mT6_T7_P12ihipStream_tbENKUlT_T0_E_clISt17integral_constantIbLb1EESY_IbLb0EEEEDaSU_SV_EUlSU_E_NS1_11comp_targetILNS1_3genE9ELNS1_11target_archE1100ELNS1_3gpuE3ELNS1_3repE0EEENS1_30default_config_static_selectorELNS0_4arch9wavefront6targetE0EEEvT1_.num_agpr, 0
	.set _ZN7rocprim17ROCPRIM_400000_NS6detail17trampoline_kernelINS0_14default_configENS1_27scan_by_key_config_selectorIssEEZZNS1_16scan_by_key_implILNS1_25lookback_scan_determinismE0ELb1ES3_N6thrust23THRUST_200600_302600_NS6detail15normal_iteratorINS9_10device_ptrIsEEEESE_SE_sNS9_10multipliesIsEENS9_8equal_toIsEEsEE10hipError_tPvRmT2_T3_T4_T5_mT6_T7_P12ihipStream_tbENKUlT_T0_E_clISt17integral_constantIbLb1EESY_IbLb0EEEEDaSU_SV_EUlSU_E_NS1_11comp_targetILNS1_3genE9ELNS1_11target_archE1100ELNS1_3gpuE3ELNS1_3repE0EEENS1_30default_config_static_selectorELNS0_4arch9wavefront6targetE0EEEvT1_.numbered_sgpr, 0
	.set _ZN7rocprim17ROCPRIM_400000_NS6detail17trampoline_kernelINS0_14default_configENS1_27scan_by_key_config_selectorIssEEZZNS1_16scan_by_key_implILNS1_25lookback_scan_determinismE0ELb1ES3_N6thrust23THRUST_200600_302600_NS6detail15normal_iteratorINS9_10device_ptrIsEEEESE_SE_sNS9_10multipliesIsEENS9_8equal_toIsEEsEE10hipError_tPvRmT2_T3_T4_T5_mT6_T7_P12ihipStream_tbENKUlT_T0_E_clISt17integral_constantIbLb1EESY_IbLb0EEEEDaSU_SV_EUlSU_E_NS1_11comp_targetILNS1_3genE9ELNS1_11target_archE1100ELNS1_3gpuE3ELNS1_3repE0EEENS1_30default_config_static_selectorELNS0_4arch9wavefront6targetE0EEEvT1_.num_named_barrier, 0
	.set _ZN7rocprim17ROCPRIM_400000_NS6detail17trampoline_kernelINS0_14default_configENS1_27scan_by_key_config_selectorIssEEZZNS1_16scan_by_key_implILNS1_25lookback_scan_determinismE0ELb1ES3_N6thrust23THRUST_200600_302600_NS6detail15normal_iteratorINS9_10device_ptrIsEEEESE_SE_sNS9_10multipliesIsEENS9_8equal_toIsEEsEE10hipError_tPvRmT2_T3_T4_T5_mT6_T7_P12ihipStream_tbENKUlT_T0_E_clISt17integral_constantIbLb1EESY_IbLb0EEEEDaSU_SV_EUlSU_E_NS1_11comp_targetILNS1_3genE9ELNS1_11target_archE1100ELNS1_3gpuE3ELNS1_3repE0EEENS1_30default_config_static_selectorELNS0_4arch9wavefront6targetE0EEEvT1_.private_seg_size, 0
	.set _ZN7rocprim17ROCPRIM_400000_NS6detail17trampoline_kernelINS0_14default_configENS1_27scan_by_key_config_selectorIssEEZZNS1_16scan_by_key_implILNS1_25lookback_scan_determinismE0ELb1ES3_N6thrust23THRUST_200600_302600_NS6detail15normal_iteratorINS9_10device_ptrIsEEEESE_SE_sNS9_10multipliesIsEENS9_8equal_toIsEEsEE10hipError_tPvRmT2_T3_T4_T5_mT6_T7_P12ihipStream_tbENKUlT_T0_E_clISt17integral_constantIbLb1EESY_IbLb0EEEEDaSU_SV_EUlSU_E_NS1_11comp_targetILNS1_3genE9ELNS1_11target_archE1100ELNS1_3gpuE3ELNS1_3repE0EEENS1_30default_config_static_selectorELNS0_4arch9wavefront6targetE0EEEvT1_.uses_vcc, 0
	.set _ZN7rocprim17ROCPRIM_400000_NS6detail17trampoline_kernelINS0_14default_configENS1_27scan_by_key_config_selectorIssEEZZNS1_16scan_by_key_implILNS1_25lookback_scan_determinismE0ELb1ES3_N6thrust23THRUST_200600_302600_NS6detail15normal_iteratorINS9_10device_ptrIsEEEESE_SE_sNS9_10multipliesIsEENS9_8equal_toIsEEsEE10hipError_tPvRmT2_T3_T4_T5_mT6_T7_P12ihipStream_tbENKUlT_T0_E_clISt17integral_constantIbLb1EESY_IbLb0EEEEDaSU_SV_EUlSU_E_NS1_11comp_targetILNS1_3genE9ELNS1_11target_archE1100ELNS1_3gpuE3ELNS1_3repE0EEENS1_30default_config_static_selectorELNS0_4arch9wavefront6targetE0EEEvT1_.uses_flat_scratch, 0
	.set _ZN7rocprim17ROCPRIM_400000_NS6detail17trampoline_kernelINS0_14default_configENS1_27scan_by_key_config_selectorIssEEZZNS1_16scan_by_key_implILNS1_25lookback_scan_determinismE0ELb1ES3_N6thrust23THRUST_200600_302600_NS6detail15normal_iteratorINS9_10device_ptrIsEEEESE_SE_sNS9_10multipliesIsEENS9_8equal_toIsEEsEE10hipError_tPvRmT2_T3_T4_T5_mT6_T7_P12ihipStream_tbENKUlT_T0_E_clISt17integral_constantIbLb1EESY_IbLb0EEEEDaSU_SV_EUlSU_E_NS1_11comp_targetILNS1_3genE9ELNS1_11target_archE1100ELNS1_3gpuE3ELNS1_3repE0EEENS1_30default_config_static_selectorELNS0_4arch9wavefront6targetE0EEEvT1_.has_dyn_sized_stack, 0
	.set _ZN7rocprim17ROCPRIM_400000_NS6detail17trampoline_kernelINS0_14default_configENS1_27scan_by_key_config_selectorIssEEZZNS1_16scan_by_key_implILNS1_25lookback_scan_determinismE0ELb1ES3_N6thrust23THRUST_200600_302600_NS6detail15normal_iteratorINS9_10device_ptrIsEEEESE_SE_sNS9_10multipliesIsEENS9_8equal_toIsEEsEE10hipError_tPvRmT2_T3_T4_T5_mT6_T7_P12ihipStream_tbENKUlT_T0_E_clISt17integral_constantIbLb1EESY_IbLb0EEEEDaSU_SV_EUlSU_E_NS1_11comp_targetILNS1_3genE9ELNS1_11target_archE1100ELNS1_3gpuE3ELNS1_3repE0EEENS1_30default_config_static_selectorELNS0_4arch9wavefront6targetE0EEEvT1_.has_recursion, 0
	.set _ZN7rocprim17ROCPRIM_400000_NS6detail17trampoline_kernelINS0_14default_configENS1_27scan_by_key_config_selectorIssEEZZNS1_16scan_by_key_implILNS1_25lookback_scan_determinismE0ELb1ES3_N6thrust23THRUST_200600_302600_NS6detail15normal_iteratorINS9_10device_ptrIsEEEESE_SE_sNS9_10multipliesIsEENS9_8equal_toIsEEsEE10hipError_tPvRmT2_T3_T4_T5_mT6_T7_P12ihipStream_tbENKUlT_T0_E_clISt17integral_constantIbLb1EESY_IbLb0EEEEDaSU_SV_EUlSU_E_NS1_11comp_targetILNS1_3genE9ELNS1_11target_archE1100ELNS1_3gpuE3ELNS1_3repE0EEENS1_30default_config_static_selectorELNS0_4arch9wavefront6targetE0EEEvT1_.has_indirect_call, 0
	.section	.AMDGPU.csdata,"",@progbits
; Kernel info:
; codeLenInByte = 0
; TotalNumSgprs: 0
; NumVgprs: 0
; ScratchSize: 0
; MemoryBound: 0
; FloatMode: 240
; IeeeMode: 1
; LDSByteSize: 0 bytes/workgroup (compile time only)
; SGPRBlocks: 0
; VGPRBlocks: 0
; NumSGPRsForWavesPerEU: 1
; NumVGPRsForWavesPerEU: 1
; NamedBarCnt: 0
; Occupancy: 16
; WaveLimiterHint : 0
; COMPUTE_PGM_RSRC2:SCRATCH_EN: 0
; COMPUTE_PGM_RSRC2:USER_SGPR: 2
; COMPUTE_PGM_RSRC2:TRAP_HANDLER: 0
; COMPUTE_PGM_RSRC2:TGID_X_EN: 1
; COMPUTE_PGM_RSRC2:TGID_Y_EN: 0
; COMPUTE_PGM_RSRC2:TGID_Z_EN: 0
; COMPUTE_PGM_RSRC2:TIDIG_COMP_CNT: 0
	.section	.text._ZN7rocprim17ROCPRIM_400000_NS6detail17trampoline_kernelINS0_14default_configENS1_27scan_by_key_config_selectorIssEEZZNS1_16scan_by_key_implILNS1_25lookback_scan_determinismE0ELb1ES3_N6thrust23THRUST_200600_302600_NS6detail15normal_iteratorINS9_10device_ptrIsEEEESE_SE_sNS9_10multipliesIsEENS9_8equal_toIsEEsEE10hipError_tPvRmT2_T3_T4_T5_mT6_T7_P12ihipStream_tbENKUlT_T0_E_clISt17integral_constantIbLb1EESY_IbLb0EEEEDaSU_SV_EUlSU_E_NS1_11comp_targetILNS1_3genE8ELNS1_11target_archE1030ELNS1_3gpuE2ELNS1_3repE0EEENS1_30default_config_static_selectorELNS0_4arch9wavefront6targetE0EEEvT1_,"axG",@progbits,_ZN7rocprim17ROCPRIM_400000_NS6detail17trampoline_kernelINS0_14default_configENS1_27scan_by_key_config_selectorIssEEZZNS1_16scan_by_key_implILNS1_25lookback_scan_determinismE0ELb1ES3_N6thrust23THRUST_200600_302600_NS6detail15normal_iteratorINS9_10device_ptrIsEEEESE_SE_sNS9_10multipliesIsEENS9_8equal_toIsEEsEE10hipError_tPvRmT2_T3_T4_T5_mT6_T7_P12ihipStream_tbENKUlT_T0_E_clISt17integral_constantIbLb1EESY_IbLb0EEEEDaSU_SV_EUlSU_E_NS1_11comp_targetILNS1_3genE8ELNS1_11target_archE1030ELNS1_3gpuE2ELNS1_3repE0EEENS1_30default_config_static_selectorELNS0_4arch9wavefront6targetE0EEEvT1_,comdat
	.protected	_ZN7rocprim17ROCPRIM_400000_NS6detail17trampoline_kernelINS0_14default_configENS1_27scan_by_key_config_selectorIssEEZZNS1_16scan_by_key_implILNS1_25lookback_scan_determinismE0ELb1ES3_N6thrust23THRUST_200600_302600_NS6detail15normal_iteratorINS9_10device_ptrIsEEEESE_SE_sNS9_10multipliesIsEENS9_8equal_toIsEEsEE10hipError_tPvRmT2_T3_T4_T5_mT6_T7_P12ihipStream_tbENKUlT_T0_E_clISt17integral_constantIbLb1EESY_IbLb0EEEEDaSU_SV_EUlSU_E_NS1_11comp_targetILNS1_3genE8ELNS1_11target_archE1030ELNS1_3gpuE2ELNS1_3repE0EEENS1_30default_config_static_selectorELNS0_4arch9wavefront6targetE0EEEvT1_ ; -- Begin function _ZN7rocprim17ROCPRIM_400000_NS6detail17trampoline_kernelINS0_14default_configENS1_27scan_by_key_config_selectorIssEEZZNS1_16scan_by_key_implILNS1_25lookback_scan_determinismE0ELb1ES3_N6thrust23THRUST_200600_302600_NS6detail15normal_iteratorINS9_10device_ptrIsEEEESE_SE_sNS9_10multipliesIsEENS9_8equal_toIsEEsEE10hipError_tPvRmT2_T3_T4_T5_mT6_T7_P12ihipStream_tbENKUlT_T0_E_clISt17integral_constantIbLb1EESY_IbLb0EEEEDaSU_SV_EUlSU_E_NS1_11comp_targetILNS1_3genE8ELNS1_11target_archE1030ELNS1_3gpuE2ELNS1_3repE0EEENS1_30default_config_static_selectorELNS0_4arch9wavefront6targetE0EEEvT1_
	.globl	_ZN7rocprim17ROCPRIM_400000_NS6detail17trampoline_kernelINS0_14default_configENS1_27scan_by_key_config_selectorIssEEZZNS1_16scan_by_key_implILNS1_25lookback_scan_determinismE0ELb1ES3_N6thrust23THRUST_200600_302600_NS6detail15normal_iteratorINS9_10device_ptrIsEEEESE_SE_sNS9_10multipliesIsEENS9_8equal_toIsEEsEE10hipError_tPvRmT2_T3_T4_T5_mT6_T7_P12ihipStream_tbENKUlT_T0_E_clISt17integral_constantIbLb1EESY_IbLb0EEEEDaSU_SV_EUlSU_E_NS1_11comp_targetILNS1_3genE8ELNS1_11target_archE1030ELNS1_3gpuE2ELNS1_3repE0EEENS1_30default_config_static_selectorELNS0_4arch9wavefront6targetE0EEEvT1_
	.p2align	8
	.type	_ZN7rocprim17ROCPRIM_400000_NS6detail17trampoline_kernelINS0_14default_configENS1_27scan_by_key_config_selectorIssEEZZNS1_16scan_by_key_implILNS1_25lookback_scan_determinismE0ELb1ES3_N6thrust23THRUST_200600_302600_NS6detail15normal_iteratorINS9_10device_ptrIsEEEESE_SE_sNS9_10multipliesIsEENS9_8equal_toIsEEsEE10hipError_tPvRmT2_T3_T4_T5_mT6_T7_P12ihipStream_tbENKUlT_T0_E_clISt17integral_constantIbLb1EESY_IbLb0EEEEDaSU_SV_EUlSU_E_NS1_11comp_targetILNS1_3genE8ELNS1_11target_archE1030ELNS1_3gpuE2ELNS1_3repE0EEENS1_30default_config_static_selectorELNS0_4arch9wavefront6targetE0EEEvT1_,@function
_ZN7rocprim17ROCPRIM_400000_NS6detail17trampoline_kernelINS0_14default_configENS1_27scan_by_key_config_selectorIssEEZZNS1_16scan_by_key_implILNS1_25lookback_scan_determinismE0ELb1ES3_N6thrust23THRUST_200600_302600_NS6detail15normal_iteratorINS9_10device_ptrIsEEEESE_SE_sNS9_10multipliesIsEENS9_8equal_toIsEEsEE10hipError_tPvRmT2_T3_T4_T5_mT6_T7_P12ihipStream_tbENKUlT_T0_E_clISt17integral_constantIbLb1EESY_IbLb0EEEEDaSU_SV_EUlSU_E_NS1_11comp_targetILNS1_3genE8ELNS1_11target_archE1030ELNS1_3gpuE2ELNS1_3repE0EEENS1_30default_config_static_selectorELNS0_4arch9wavefront6targetE0EEEvT1_: ; @_ZN7rocprim17ROCPRIM_400000_NS6detail17trampoline_kernelINS0_14default_configENS1_27scan_by_key_config_selectorIssEEZZNS1_16scan_by_key_implILNS1_25lookback_scan_determinismE0ELb1ES3_N6thrust23THRUST_200600_302600_NS6detail15normal_iteratorINS9_10device_ptrIsEEEESE_SE_sNS9_10multipliesIsEENS9_8equal_toIsEEsEE10hipError_tPvRmT2_T3_T4_T5_mT6_T7_P12ihipStream_tbENKUlT_T0_E_clISt17integral_constantIbLb1EESY_IbLb0EEEEDaSU_SV_EUlSU_E_NS1_11comp_targetILNS1_3genE8ELNS1_11target_archE1030ELNS1_3gpuE2ELNS1_3repE0EEENS1_30default_config_static_selectorELNS0_4arch9wavefront6targetE0EEEvT1_
; %bb.0:
	.section	.rodata,"a",@progbits
	.p2align	6, 0x0
	.amdhsa_kernel _ZN7rocprim17ROCPRIM_400000_NS6detail17trampoline_kernelINS0_14default_configENS1_27scan_by_key_config_selectorIssEEZZNS1_16scan_by_key_implILNS1_25lookback_scan_determinismE0ELb1ES3_N6thrust23THRUST_200600_302600_NS6detail15normal_iteratorINS9_10device_ptrIsEEEESE_SE_sNS9_10multipliesIsEENS9_8equal_toIsEEsEE10hipError_tPvRmT2_T3_T4_T5_mT6_T7_P12ihipStream_tbENKUlT_T0_E_clISt17integral_constantIbLb1EESY_IbLb0EEEEDaSU_SV_EUlSU_E_NS1_11comp_targetILNS1_3genE8ELNS1_11target_archE1030ELNS1_3gpuE2ELNS1_3repE0EEENS1_30default_config_static_selectorELNS0_4arch9wavefront6targetE0EEEvT1_
		.amdhsa_group_segment_fixed_size 0
		.amdhsa_private_segment_fixed_size 0
		.amdhsa_kernarg_size 112
		.amdhsa_user_sgpr_count 2
		.amdhsa_user_sgpr_dispatch_ptr 0
		.amdhsa_user_sgpr_queue_ptr 0
		.amdhsa_user_sgpr_kernarg_segment_ptr 1
		.amdhsa_user_sgpr_dispatch_id 0
		.amdhsa_user_sgpr_kernarg_preload_length 0
		.amdhsa_user_sgpr_kernarg_preload_offset 0
		.amdhsa_user_sgpr_private_segment_size 0
		.amdhsa_wavefront_size32 1
		.amdhsa_uses_dynamic_stack 0
		.amdhsa_enable_private_segment 0
		.amdhsa_system_sgpr_workgroup_id_x 1
		.amdhsa_system_sgpr_workgroup_id_y 0
		.amdhsa_system_sgpr_workgroup_id_z 0
		.amdhsa_system_sgpr_workgroup_info 0
		.amdhsa_system_vgpr_workitem_id 0
		.amdhsa_next_free_vgpr 1
		.amdhsa_next_free_sgpr 1
		.amdhsa_named_barrier_count 0
		.amdhsa_reserve_vcc 0
		.amdhsa_float_round_mode_32 0
		.amdhsa_float_round_mode_16_64 0
		.amdhsa_float_denorm_mode_32 3
		.amdhsa_float_denorm_mode_16_64 3
		.amdhsa_fp16_overflow 0
		.amdhsa_memory_ordered 1
		.amdhsa_forward_progress 1
		.amdhsa_inst_pref_size 0
		.amdhsa_round_robin_scheduling 0
		.amdhsa_exception_fp_ieee_invalid_op 0
		.amdhsa_exception_fp_denorm_src 0
		.amdhsa_exception_fp_ieee_div_zero 0
		.amdhsa_exception_fp_ieee_overflow 0
		.amdhsa_exception_fp_ieee_underflow 0
		.amdhsa_exception_fp_ieee_inexact 0
		.amdhsa_exception_int_div_zero 0
	.end_amdhsa_kernel
	.section	.text._ZN7rocprim17ROCPRIM_400000_NS6detail17trampoline_kernelINS0_14default_configENS1_27scan_by_key_config_selectorIssEEZZNS1_16scan_by_key_implILNS1_25lookback_scan_determinismE0ELb1ES3_N6thrust23THRUST_200600_302600_NS6detail15normal_iteratorINS9_10device_ptrIsEEEESE_SE_sNS9_10multipliesIsEENS9_8equal_toIsEEsEE10hipError_tPvRmT2_T3_T4_T5_mT6_T7_P12ihipStream_tbENKUlT_T0_E_clISt17integral_constantIbLb1EESY_IbLb0EEEEDaSU_SV_EUlSU_E_NS1_11comp_targetILNS1_3genE8ELNS1_11target_archE1030ELNS1_3gpuE2ELNS1_3repE0EEENS1_30default_config_static_selectorELNS0_4arch9wavefront6targetE0EEEvT1_,"axG",@progbits,_ZN7rocprim17ROCPRIM_400000_NS6detail17trampoline_kernelINS0_14default_configENS1_27scan_by_key_config_selectorIssEEZZNS1_16scan_by_key_implILNS1_25lookback_scan_determinismE0ELb1ES3_N6thrust23THRUST_200600_302600_NS6detail15normal_iteratorINS9_10device_ptrIsEEEESE_SE_sNS9_10multipliesIsEENS9_8equal_toIsEEsEE10hipError_tPvRmT2_T3_T4_T5_mT6_T7_P12ihipStream_tbENKUlT_T0_E_clISt17integral_constantIbLb1EESY_IbLb0EEEEDaSU_SV_EUlSU_E_NS1_11comp_targetILNS1_3genE8ELNS1_11target_archE1030ELNS1_3gpuE2ELNS1_3repE0EEENS1_30default_config_static_selectorELNS0_4arch9wavefront6targetE0EEEvT1_,comdat
.Lfunc_end631:
	.size	_ZN7rocprim17ROCPRIM_400000_NS6detail17trampoline_kernelINS0_14default_configENS1_27scan_by_key_config_selectorIssEEZZNS1_16scan_by_key_implILNS1_25lookback_scan_determinismE0ELb1ES3_N6thrust23THRUST_200600_302600_NS6detail15normal_iteratorINS9_10device_ptrIsEEEESE_SE_sNS9_10multipliesIsEENS9_8equal_toIsEEsEE10hipError_tPvRmT2_T3_T4_T5_mT6_T7_P12ihipStream_tbENKUlT_T0_E_clISt17integral_constantIbLb1EESY_IbLb0EEEEDaSU_SV_EUlSU_E_NS1_11comp_targetILNS1_3genE8ELNS1_11target_archE1030ELNS1_3gpuE2ELNS1_3repE0EEENS1_30default_config_static_selectorELNS0_4arch9wavefront6targetE0EEEvT1_, .Lfunc_end631-_ZN7rocprim17ROCPRIM_400000_NS6detail17trampoline_kernelINS0_14default_configENS1_27scan_by_key_config_selectorIssEEZZNS1_16scan_by_key_implILNS1_25lookback_scan_determinismE0ELb1ES3_N6thrust23THRUST_200600_302600_NS6detail15normal_iteratorINS9_10device_ptrIsEEEESE_SE_sNS9_10multipliesIsEENS9_8equal_toIsEEsEE10hipError_tPvRmT2_T3_T4_T5_mT6_T7_P12ihipStream_tbENKUlT_T0_E_clISt17integral_constantIbLb1EESY_IbLb0EEEEDaSU_SV_EUlSU_E_NS1_11comp_targetILNS1_3genE8ELNS1_11target_archE1030ELNS1_3gpuE2ELNS1_3repE0EEENS1_30default_config_static_selectorELNS0_4arch9wavefront6targetE0EEEvT1_
                                        ; -- End function
	.set _ZN7rocprim17ROCPRIM_400000_NS6detail17trampoline_kernelINS0_14default_configENS1_27scan_by_key_config_selectorIssEEZZNS1_16scan_by_key_implILNS1_25lookback_scan_determinismE0ELb1ES3_N6thrust23THRUST_200600_302600_NS6detail15normal_iteratorINS9_10device_ptrIsEEEESE_SE_sNS9_10multipliesIsEENS9_8equal_toIsEEsEE10hipError_tPvRmT2_T3_T4_T5_mT6_T7_P12ihipStream_tbENKUlT_T0_E_clISt17integral_constantIbLb1EESY_IbLb0EEEEDaSU_SV_EUlSU_E_NS1_11comp_targetILNS1_3genE8ELNS1_11target_archE1030ELNS1_3gpuE2ELNS1_3repE0EEENS1_30default_config_static_selectorELNS0_4arch9wavefront6targetE0EEEvT1_.num_vgpr, 0
	.set _ZN7rocprim17ROCPRIM_400000_NS6detail17trampoline_kernelINS0_14default_configENS1_27scan_by_key_config_selectorIssEEZZNS1_16scan_by_key_implILNS1_25lookback_scan_determinismE0ELb1ES3_N6thrust23THRUST_200600_302600_NS6detail15normal_iteratorINS9_10device_ptrIsEEEESE_SE_sNS9_10multipliesIsEENS9_8equal_toIsEEsEE10hipError_tPvRmT2_T3_T4_T5_mT6_T7_P12ihipStream_tbENKUlT_T0_E_clISt17integral_constantIbLb1EESY_IbLb0EEEEDaSU_SV_EUlSU_E_NS1_11comp_targetILNS1_3genE8ELNS1_11target_archE1030ELNS1_3gpuE2ELNS1_3repE0EEENS1_30default_config_static_selectorELNS0_4arch9wavefront6targetE0EEEvT1_.num_agpr, 0
	.set _ZN7rocprim17ROCPRIM_400000_NS6detail17trampoline_kernelINS0_14default_configENS1_27scan_by_key_config_selectorIssEEZZNS1_16scan_by_key_implILNS1_25lookback_scan_determinismE0ELb1ES3_N6thrust23THRUST_200600_302600_NS6detail15normal_iteratorINS9_10device_ptrIsEEEESE_SE_sNS9_10multipliesIsEENS9_8equal_toIsEEsEE10hipError_tPvRmT2_T3_T4_T5_mT6_T7_P12ihipStream_tbENKUlT_T0_E_clISt17integral_constantIbLb1EESY_IbLb0EEEEDaSU_SV_EUlSU_E_NS1_11comp_targetILNS1_3genE8ELNS1_11target_archE1030ELNS1_3gpuE2ELNS1_3repE0EEENS1_30default_config_static_selectorELNS0_4arch9wavefront6targetE0EEEvT1_.numbered_sgpr, 0
	.set _ZN7rocprim17ROCPRIM_400000_NS6detail17trampoline_kernelINS0_14default_configENS1_27scan_by_key_config_selectorIssEEZZNS1_16scan_by_key_implILNS1_25lookback_scan_determinismE0ELb1ES3_N6thrust23THRUST_200600_302600_NS6detail15normal_iteratorINS9_10device_ptrIsEEEESE_SE_sNS9_10multipliesIsEENS9_8equal_toIsEEsEE10hipError_tPvRmT2_T3_T4_T5_mT6_T7_P12ihipStream_tbENKUlT_T0_E_clISt17integral_constantIbLb1EESY_IbLb0EEEEDaSU_SV_EUlSU_E_NS1_11comp_targetILNS1_3genE8ELNS1_11target_archE1030ELNS1_3gpuE2ELNS1_3repE0EEENS1_30default_config_static_selectorELNS0_4arch9wavefront6targetE0EEEvT1_.num_named_barrier, 0
	.set _ZN7rocprim17ROCPRIM_400000_NS6detail17trampoline_kernelINS0_14default_configENS1_27scan_by_key_config_selectorIssEEZZNS1_16scan_by_key_implILNS1_25lookback_scan_determinismE0ELb1ES3_N6thrust23THRUST_200600_302600_NS6detail15normal_iteratorINS9_10device_ptrIsEEEESE_SE_sNS9_10multipliesIsEENS9_8equal_toIsEEsEE10hipError_tPvRmT2_T3_T4_T5_mT6_T7_P12ihipStream_tbENKUlT_T0_E_clISt17integral_constantIbLb1EESY_IbLb0EEEEDaSU_SV_EUlSU_E_NS1_11comp_targetILNS1_3genE8ELNS1_11target_archE1030ELNS1_3gpuE2ELNS1_3repE0EEENS1_30default_config_static_selectorELNS0_4arch9wavefront6targetE0EEEvT1_.private_seg_size, 0
	.set _ZN7rocprim17ROCPRIM_400000_NS6detail17trampoline_kernelINS0_14default_configENS1_27scan_by_key_config_selectorIssEEZZNS1_16scan_by_key_implILNS1_25lookback_scan_determinismE0ELb1ES3_N6thrust23THRUST_200600_302600_NS6detail15normal_iteratorINS9_10device_ptrIsEEEESE_SE_sNS9_10multipliesIsEENS9_8equal_toIsEEsEE10hipError_tPvRmT2_T3_T4_T5_mT6_T7_P12ihipStream_tbENKUlT_T0_E_clISt17integral_constantIbLb1EESY_IbLb0EEEEDaSU_SV_EUlSU_E_NS1_11comp_targetILNS1_3genE8ELNS1_11target_archE1030ELNS1_3gpuE2ELNS1_3repE0EEENS1_30default_config_static_selectorELNS0_4arch9wavefront6targetE0EEEvT1_.uses_vcc, 0
	.set _ZN7rocprim17ROCPRIM_400000_NS6detail17trampoline_kernelINS0_14default_configENS1_27scan_by_key_config_selectorIssEEZZNS1_16scan_by_key_implILNS1_25lookback_scan_determinismE0ELb1ES3_N6thrust23THRUST_200600_302600_NS6detail15normal_iteratorINS9_10device_ptrIsEEEESE_SE_sNS9_10multipliesIsEENS9_8equal_toIsEEsEE10hipError_tPvRmT2_T3_T4_T5_mT6_T7_P12ihipStream_tbENKUlT_T0_E_clISt17integral_constantIbLb1EESY_IbLb0EEEEDaSU_SV_EUlSU_E_NS1_11comp_targetILNS1_3genE8ELNS1_11target_archE1030ELNS1_3gpuE2ELNS1_3repE0EEENS1_30default_config_static_selectorELNS0_4arch9wavefront6targetE0EEEvT1_.uses_flat_scratch, 0
	.set _ZN7rocprim17ROCPRIM_400000_NS6detail17trampoline_kernelINS0_14default_configENS1_27scan_by_key_config_selectorIssEEZZNS1_16scan_by_key_implILNS1_25lookback_scan_determinismE0ELb1ES3_N6thrust23THRUST_200600_302600_NS6detail15normal_iteratorINS9_10device_ptrIsEEEESE_SE_sNS9_10multipliesIsEENS9_8equal_toIsEEsEE10hipError_tPvRmT2_T3_T4_T5_mT6_T7_P12ihipStream_tbENKUlT_T0_E_clISt17integral_constantIbLb1EESY_IbLb0EEEEDaSU_SV_EUlSU_E_NS1_11comp_targetILNS1_3genE8ELNS1_11target_archE1030ELNS1_3gpuE2ELNS1_3repE0EEENS1_30default_config_static_selectorELNS0_4arch9wavefront6targetE0EEEvT1_.has_dyn_sized_stack, 0
	.set _ZN7rocprim17ROCPRIM_400000_NS6detail17trampoline_kernelINS0_14default_configENS1_27scan_by_key_config_selectorIssEEZZNS1_16scan_by_key_implILNS1_25lookback_scan_determinismE0ELb1ES3_N6thrust23THRUST_200600_302600_NS6detail15normal_iteratorINS9_10device_ptrIsEEEESE_SE_sNS9_10multipliesIsEENS9_8equal_toIsEEsEE10hipError_tPvRmT2_T3_T4_T5_mT6_T7_P12ihipStream_tbENKUlT_T0_E_clISt17integral_constantIbLb1EESY_IbLb0EEEEDaSU_SV_EUlSU_E_NS1_11comp_targetILNS1_3genE8ELNS1_11target_archE1030ELNS1_3gpuE2ELNS1_3repE0EEENS1_30default_config_static_selectorELNS0_4arch9wavefront6targetE0EEEvT1_.has_recursion, 0
	.set _ZN7rocprim17ROCPRIM_400000_NS6detail17trampoline_kernelINS0_14default_configENS1_27scan_by_key_config_selectorIssEEZZNS1_16scan_by_key_implILNS1_25lookback_scan_determinismE0ELb1ES3_N6thrust23THRUST_200600_302600_NS6detail15normal_iteratorINS9_10device_ptrIsEEEESE_SE_sNS9_10multipliesIsEENS9_8equal_toIsEEsEE10hipError_tPvRmT2_T3_T4_T5_mT6_T7_P12ihipStream_tbENKUlT_T0_E_clISt17integral_constantIbLb1EESY_IbLb0EEEEDaSU_SV_EUlSU_E_NS1_11comp_targetILNS1_3genE8ELNS1_11target_archE1030ELNS1_3gpuE2ELNS1_3repE0EEENS1_30default_config_static_selectorELNS0_4arch9wavefront6targetE0EEEvT1_.has_indirect_call, 0
	.section	.AMDGPU.csdata,"",@progbits
; Kernel info:
; codeLenInByte = 0
; TotalNumSgprs: 0
; NumVgprs: 0
; ScratchSize: 0
; MemoryBound: 0
; FloatMode: 240
; IeeeMode: 1
; LDSByteSize: 0 bytes/workgroup (compile time only)
; SGPRBlocks: 0
; VGPRBlocks: 0
; NumSGPRsForWavesPerEU: 1
; NumVGPRsForWavesPerEU: 1
; NamedBarCnt: 0
; Occupancy: 16
; WaveLimiterHint : 0
; COMPUTE_PGM_RSRC2:SCRATCH_EN: 0
; COMPUTE_PGM_RSRC2:USER_SGPR: 2
; COMPUTE_PGM_RSRC2:TRAP_HANDLER: 0
; COMPUTE_PGM_RSRC2:TGID_X_EN: 1
; COMPUTE_PGM_RSRC2:TGID_Y_EN: 0
; COMPUTE_PGM_RSRC2:TGID_Z_EN: 0
; COMPUTE_PGM_RSRC2:TIDIG_COMP_CNT: 0
	.section	.text._ZN7rocprim17ROCPRIM_400000_NS6detail17trampoline_kernelINS0_14default_configENS1_27scan_by_key_config_selectorIssEEZZNS1_16scan_by_key_implILNS1_25lookback_scan_determinismE0ELb1ES3_N6thrust23THRUST_200600_302600_NS6detail15normal_iteratorINS9_10device_ptrIsEEEESE_SE_sNS9_10multipliesIsEENS9_8equal_toIsEEsEE10hipError_tPvRmT2_T3_T4_T5_mT6_T7_P12ihipStream_tbENKUlT_T0_E_clISt17integral_constantIbLb0EESY_IbLb1EEEEDaSU_SV_EUlSU_E_NS1_11comp_targetILNS1_3genE0ELNS1_11target_archE4294967295ELNS1_3gpuE0ELNS1_3repE0EEENS1_30default_config_static_selectorELNS0_4arch9wavefront6targetE0EEEvT1_,"axG",@progbits,_ZN7rocprim17ROCPRIM_400000_NS6detail17trampoline_kernelINS0_14default_configENS1_27scan_by_key_config_selectorIssEEZZNS1_16scan_by_key_implILNS1_25lookback_scan_determinismE0ELb1ES3_N6thrust23THRUST_200600_302600_NS6detail15normal_iteratorINS9_10device_ptrIsEEEESE_SE_sNS9_10multipliesIsEENS9_8equal_toIsEEsEE10hipError_tPvRmT2_T3_T4_T5_mT6_T7_P12ihipStream_tbENKUlT_T0_E_clISt17integral_constantIbLb0EESY_IbLb1EEEEDaSU_SV_EUlSU_E_NS1_11comp_targetILNS1_3genE0ELNS1_11target_archE4294967295ELNS1_3gpuE0ELNS1_3repE0EEENS1_30default_config_static_selectorELNS0_4arch9wavefront6targetE0EEEvT1_,comdat
	.protected	_ZN7rocprim17ROCPRIM_400000_NS6detail17trampoline_kernelINS0_14default_configENS1_27scan_by_key_config_selectorIssEEZZNS1_16scan_by_key_implILNS1_25lookback_scan_determinismE0ELb1ES3_N6thrust23THRUST_200600_302600_NS6detail15normal_iteratorINS9_10device_ptrIsEEEESE_SE_sNS9_10multipliesIsEENS9_8equal_toIsEEsEE10hipError_tPvRmT2_T3_T4_T5_mT6_T7_P12ihipStream_tbENKUlT_T0_E_clISt17integral_constantIbLb0EESY_IbLb1EEEEDaSU_SV_EUlSU_E_NS1_11comp_targetILNS1_3genE0ELNS1_11target_archE4294967295ELNS1_3gpuE0ELNS1_3repE0EEENS1_30default_config_static_selectorELNS0_4arch9wavefront6targetE0EEEvT1_ ; -- Begin function _ZN7rocprim17ROCPRIM_400000_NS6detail17trampoline_kernelINS0_14default_configENS1_27scan_by_key_config_selectorIssEEZZNS1_16scan_by_key_implILNS1_25lookback_scan_determinismE0ELb1ES3_N6thrust23THRUST_200600_302600_NS6detail15normal_iteratorINS9_10device_ptrIsEEEESE_SE_sNS9_10multipliesIsEENS9_8equal_toIsEEsEE10hipError_tPvRmT2_T3_T4_T5_mT6_T7_P12ihipStream_tbENKUlT_T0_E_clISt17integral_constantIbLb0EESY_IbLb1EEEEDaSU_SV_EUlSU_E_NS1_11comp_targetILNS1_3genE0ELNS1_11target_archE4294967295ELNS1_3gpuE0ELNS1_3repE0EEENS1_30default_config_static_selectorELNS0_4arch9wavefront6targetE0EEEvT1_
	.globl	_ZN7rocprim17ROCPRIM_400000_NS6detail17trampoline_kernelINS0_14default_configENS1_27scan_by_key_config_selectorIssEEZZNS1_16scan_by_key_implILNS1_25lookback_scan_determinismE0ELb1ES3_N6thrust23THRUST_200600_302600_NS6detail15normal_iteratorINS9_10device_ptrIsEEEESE_SE_sNS9_10multipliesIsEENS9_8equal_toIsEEsEE10hipError_tPvRmT2_T3_T4_T5_mT6_T7_P12ihipStream_tbENKUlT_T0_E_clISt17integral_constantIbLb0EESY_IbLb1EEEEDaSU_SV_EUlSU_E_NS1_11comp_targetILNS1_3genE0ELNS1_11target_archE4294967295ELNS1_3gpuE0ELNS1_3repE0EEENS1_30default_config_static_selectorELNS0_4arch9wavefront6targetE0EEEvT1_
	.p2align	8
	.type	_ZN7rocprim17ROCPRIM_400000_NS6detail17trampoline_kernelINS0_14default_configENS1_27scan_by_key_config_selectorIssEEZZNS1_16scan_by_key_implILNS1_25lookback_scan_determinismE0ELb1ES3_N6thrust23THRUST_200600_302600_NS6detail15normal_iteratorINS9_10device_ptrIsEEEESE_SE_sNS9_10multipliesIsEENS9_8equal_toIsEEsEE10hipError_tPvRmT2_T3_T4_T5_mT6_T7_P12ihipStream_tbENKUlT_T0_E_clISt17integral_constantIbLb0EESY_IbLb1EEEEDaSU_SV_EUlSU_E_NS1_11comp_targetILNS1_3genE0ELNS1_11target_archE4294967295ELNS1_3gpuE0ELNS1_3repE0EEENS1_30default_config_static_selectorELNS0_4arch9wavefront6targetE0EEEvT1_,@function
_ZN7rocprim17ROCPRIM_400000_NS6detail17trampoline_kernelINS0_14default_configENS1_27scan_by_key_config_selectorIssEEZZNS1_16scan_by_key_implILNS1_25lookback_scan_determinismE0ELb1ES3_N6thrust23THRUST_200600_302600_NS6detail15normal_iteratorINS9_10device_ptrIsEEEESE_SE_sNS9_10multipliesIsEENS9_8equal_toIsEEsEE10hipError_tPvRmT2_T3_T4_T5_mT6_T7_P12ihipStream_tbENKUlT_T0_E_clISt17integral_constantIbLb0EESY_IbLb1EEEEDaSU_SV_EUlSU_E_NS1_11comp_targetILNS1_3genE0ELNS1_11target_archE4294967295ELNS1_3gpuE0ELNS1_3repE0EEENS1_30default_config_static_selectorELNS0_4arch9wavefront6targetE0EEEvT1_: ; @_ZN7rocprim17ROCPRIM_400000_NS6detail17trampoline_kernelINS0_14default_configENS1_27scan_by_key_config_selectorIssEEZZNS1_16scan_by_key_implILNS1_25lookback_scan_determinismE0ELb1ES3_N6thrust23THRUST_200600_302600_NS6detail15normal_iteratorINS9_10device_ptrIsEEEESE_SE_sNS9_10multipliesIsEENS9_8equal_toIsEEsEE10hipError_tPvRmT2_T3_T4_T5_mT6_T7_P12ihipStream_tbENKUlT_T0_E_clISt17integral_constantIbLb0EESY_IbLb1EEEEDaSU_SV_EUlSU_E_NS1_11comp_targetILNS1_3genE0ELNS1_11target_archE4294967295ELNS1_3gpuE0ELNS1_3repE0EEENS1_30default_config_static_selectorELNS0_4arch9wavefront6targetE0EEEvT1_
; %bb.0:
	s_clause 0x2
	s_load_b32 s33, s[0:1], 0x20
	s_load_b128 s[28:31], s[0:1], 0x28
	s_load_b64 s[40:41], s[0:1], 0x38
	v_cmp_ne_u32_e64 s3, 0, v0
	v_cmp_eq_u32_e64 s2, 0, v0
	s_and_saveexec_b32 s4, s2
	s_cbranch_execz .LBB632_4
; %bb.1:
	s_mov_b32 s6, exec_lo
	s_mov_b32 s5, exec_lo
	v_mbcnt_lo_u32_b32 v1, s6, 0
                                        ; implicit-def: $vgpr2
	s_delay_alu instid0(VALU_DEP_1)
	v_cmpx_eq_u32_e32 0, v1
	s_cbranch_execz .LBB632_3
; %bb.2:
	s_load_b64 s[8:9], s[0:1], 0x68
	s_bcnt1_i32_b32 s6, s6
	s_delay_alu instid0(SALU_CYCLE_1)
	v_dual_mov_b32 v2, 0 :: v_dual_mov_b32 v3, s6
	s_wait_xcnt 0x0
	s_wait_kmcnt 0x0
	global_atomic_add_u32 v2, v2, v3, s[8:9] th:TH_ATOMIC_RETURN scope:SCOPE_DEV
.LBB632_3:
	s_wait_xcnt 0x0
	s_or_b32 exec_lo, exec_lo, s5
	s_wait_loadcnt 0x0
	v_readfirstlane_b32 s5, v2
	s_delay_alu instid0(VALU_DEP_1)
	v_dual_mov_b32 v2, 0 :: v_dual_add_nc_u32 v1, s5, v1
	ds_store_b32 v2, v1
.LBB632_4:
	s_or_b32 exec_lo, exec_lo, s4
	v_mov_b32_e32 v19, 0
	s_clause 0x2
	s_load_b256 s[20:27], s[0:1], 0x0
	s_load_b32 s4, s[0:1], 0x40
	s_load_b128 s[36:39], s[0:1], 0x48
	s_wait_dscnt 0x0
	s_barrier_signal -1
	s_barrier_wait -1
	ds_load_b32 v18, v19
	s_mov_b32 s5, 0
	s_wait_dscnt 0x0
	s_barrier_signal -1
	s_barrier_wait -1
	s_barrier_signal -1
	s_barrier_wait -1
	s_wait_kmcnt 0x0
	s_lshl_b64 s[34:35], s[22:23], 1
	s_mul_u64 s[0:1], s[40:41], s[4:5]
	s_add_nc_u64 s[10:11], s[36:37], -1
	s_add_nc_u64 s[6:7], s[20:21], s[34:35]
	s_add_nc_u64 s[8:9], s[24:25], s[34:35]
	s_mul_i32 s23, s10, 0xffffec00
	v_add_nc_u64_e32 v[2:3], s[0:1], v[18:19]
	v_readfirstlane_b32 s1, v18
	s_mul_i32 s4, s1, 0x1400
	v_cmp_le_u64_e64 s0, s[10:11], v[2:3]
	s_lshl_b64 s[24:25], s[4:5], 1
	s_delay_alu instid0(SALU_CYCLE_1)
	s_add_nc_u64 s[42:43], s[6:7], s[24:25]
	s_add_nc_u64 s[36:37], s[8:9], s[24:25]
	s_and_b32 vcc_lo, exec_lo, s0
	s_cbranch_vccz .LBB632_110
; %bb.5:
	flat_load_u16 v2, v19, s[42:43]
	s_add_co_i32 s31, s23, s30
	s_delay_alu instid0(SALU_CYCLE_1)
	v_cmp_gt_u32_e32 vcc_lo, s31, v0
	s_wait_loadcnt_dscnt 0x0
	v_mov_b32_e32 v3, v2
	s_and_saveexec_b32 s1, vcc_lo
	s_cbranch_execz .LBB632_7
; %bb.6:
	flat_load_u16 v3, v0, s[42:43] scale_offset
.LBB632_7:
	s_wait_xcnt 0x0
	s_or_b32 exec_lo, exec_lo, s1
	v_or_b32_e32 v1, 0x100, v0
	v_mov_b32_e32 v4, v2
	s_delay_alu instid0(VALU_DEP_2)
	v_cmp_gt_u32_e64 s1, s31, v1
	s_and_saveexec_b32 s4, s1
	s_cbranch_execz .LBB632_9
; %bb.8:
	flat_load_u16 v4, v0, s[42:43] offset:512 scale_offset
.LBB632_9:
	s_wait_xcnt 0x0
	s_or_b32 exec_lo, exec_lo, s4
	v_or_b32_e32 v1, 0x200, v0
	v_mov_b32_e32 v5, v2
	s_delay_alu instid0(VALU_DEP_2)
	v_cmp_gt_u32_e64 s4, s31, v1
	s_and_saveexec_b32 s5, s4
	s_cbranch_execz .LBB632_11
; %bb.10:
	flat_load_u16 v5, v0, s[42:43] offset:1024 scale_offset
.LBB632_11:
	;; [unrolled: 11-line block ×18, first 2 shown]
	s_wait_xcnt 0x0
	s_or_b32 exec_lo, exec_lo, s21
	v_or_b32_e32 v1, 0x1300, v0
	s_delay_alu instid0(VALU_DEP_1) | instskip(SKIP_2) | instid1(SALU_CYCLE_1)
	v_cmp_gt_u32_e64 s21, s31, v1
	v_cmp_le_u32_e64 s22, s31, v1
	s_and_saveexec_b32 s44, s22
	s_xor_b32 s22, exec_lo, s44
	s_delay_alu instid0(SALU_CYCLE_1)
	s_and_not1_saveexec_b32 s22, s22
	s_cbranch_execz .LBB632_45
; %bb.44:
	flat_load_u16 v2, v0, s[42:43] offset:9728 scale_offset
.LBB632_45:
	s_wait_xcnt 0x0
	s_or_b32 exec_lo, exec_lo, s22
	v_lshlrev_b32_e32 v1, 1, v0
	s_mov_b32 s44, exec_lo
	s_wait_loadcnt_dscnt 0x0
	ds_store_b16 v1, v3
	ds_store_b16 v1, v4 offset:512
	ds_store_b16 v1, v5 offset:1024
	;; [unrolled: 1-line block ×19, first 2 shown]
	v_mov_b32_e32 v2, 0
	s_wait_dscnt 0x0
	s_barrier_signal -1
	s_barrier_wait -1
	flat_load_u16 v51, v2, s[42:43]
	v_mad_u32_u24 v52, v0, 38, v1
	ds_load_2addr_b64 v[6:9], v52 offset1:1
	s_wait_xcnt 0x0
	ds_load_2addr_b64 v[2:5], v52 offset0:2 offset1:3
	ds_load_b64 v[14:15], v52 offset:32
	v_mad_i32_i24 v10, 0xffffffda, v0, v52
	s_wait_dscnt 0x2
	ds_store_b16 v10, v6 offset:10752
	s_wait_loadcnt_dscnt 0x0
	s_barrier_signal -1
	s_barrier_wait -1
	v_cmpx_ne_u32_e32 0xff, v0
; %bb.46:
	v_mul_i32_i24_e32 v10, 0xffffffda, v0
	s_delay_alu instid0(VALU_DEP_1)
	v_add_nc_u32_e32 v10, v52, v10
	ds_load_u16 v51, v10 offset:10754
; %bb.47:
	s_or_b32 exec_lo, exec_lo, s44
	s_wait_dscnt 0x0
	s_barrier_signal -1
	s_barrier_wait -1
                                        ; implicit-def: $vgpr10
	s_and_saveexec_b32 s22, vcc_lo
	s_cbranch_execz .LBB632_168
; %bb.48:
	flat_load_u16 v10, v0, s[36:37] scale_offset
	s_wait_xcnt 0x0
	s_or_b32 exec_lo, exec_lo, s22
                                        ; implicit-def: $vgpr11
	s_and_saveexec_b32 s22, s1
	s_cbranch_execnz .LBB632_169
.LBB632_49:
	s_or_b32 exec_lo, exec_lo, s22
                                        ; implicit-def: $vgpr12
	s_and_saveexec_b32 s1, s4
	s_cbranch_execz .LBB632_170
.LBB632_50:
	flat_load_u16 v12, v0, s[36:37] offset:1024 scale_offset
	s_wait_xcnt 0x0
	s_or_b32 exec_lo, exec_lo, s1
                                        ; implicit-def: $vgpr13
	s_and_saveexec_b32 s1, s5
	s_cbranch_execnz .LBB632_171
.LBB632_51:
	s_or_b32 exec_lo, exec_lo, s1
                                        ; implicit-def: $vgpr16
	s_and_saveexec_b32 s1, s6
	s_cbranch_execz .LBB632_172
.LBB632_52:
	flat_load_u16 v16, v0, s[36:37] offset:2048 scale_offset
	s_wait_xcnt 0x0
	s_or_b32 exec_lo, exec_lo, s1
                                        ; implicit-def: $vgpr17
	s_and_saveexec_b32 s1, s7
	s_cbranch_execnz .LBB632_173
.LBB632_53:
	s_or_b32 exec_lo, exec_lo, s1
                                        ; implicit-def: $vgpr19
	s_and_saveexec_b32 s1, s8
	s_cbranch_execz .LBB632_174
.LBB632_54:
	flat_load_u16 v19, v0, s[36:37] offset:3072 scale_offset
	s_wait_xcnt 0x0
	s_or_b32 exec_lo, exec_lo, s1
                                        ; implicit-def: $vgpr20
	s_and_saveexec_b32 s1, s9
	s_cbranch_execnz .LBB632_175
.LBB632_55:
	s_or_b32 exec_lo, exec_lo, s1
                                        ; implicit-def: $vgpr21
	s_and_saveexec_b32 s1, s10
	s_cbranch_execz .LBB632_176
.LBB632_56:
	flat_load_u16 v21, v0, s[36:37] offset:4096 scale_offset
	s_wait_xcnt 0x0
	s_or_b32 exec_lo, exec_lo, s1
                                        ; implicit-def: $vgpr22
	s_and_saveexec_b32 s1, s11
	s_cbranch_execnz .LBB632_177
.LBB632_57:
	s_or_b32 exec_lo, exec_lo, s1
                                        ; implicit-def: $vgpr23
	s_and_saveexec_b32 s1, s12
	s_cbranch_execz .LBB632_178
.LBB632_58:
	flat_load_u16 v23, v0, s[36:37] offset:5120 scale_offset
	s_wait_xcnt 0x0
	s_or_b32 exec_lo, exec_lo, s1
                                        ; implicit-def: $vgpr24
	s_and_saveexec_b32 s1, s13
	s_cbranch_execnz .LBB632_179
.LBB632_59:
	s_or_b32 exec_lo, exec_lo, s1
                                        ; implicit-def: $vgpr25
	s_and_saveexec_b32 s1, s14
	s_cbranch_execz .LBB632_180
.LBB632_60:
	flat_load_u16 v25, v0, s[36:37] offset:6144 scale_offset
	s_wait_xcnt 0x0
	s_or_b32 exec_lo, exec_lo, s1
                                        ; implicit-def: $vgpr26
	s_and_saveexec_b32 s1, s15
	s_cbranch_execnz .LBB632_181
.LBB632_61:
	s_or_b32 exec_lo, exec_lo, s1
                                        ; implicit-def: $vgpr27
	s_and_saveexec_b32 s1, s16
	s_cbranch_execz .LBB632_182
.LBB632_62:
	flat_load_u16 v27, v0, s[36:37] offset:7168 scale_offset
	s_wait_xcnt 0x0
	s_or_b32 exec_lo, exec_lo, s1
                                        ; implicit-def: $vgpr28
	s_and_saveexec_b32 s1, s17
	s_cbranch_execnz .LBB632_183
.LBB632_63:
	s_or_b32 exec_lo, exec_lo, s1
                                        ; implicit-def: $vgpr29
	s_and_saveexec_b32 s1, s18
	s_cbranch_execz .LBB632_184
.LBB632_64:
	flat_load_u16 v29, v0, s[36:37] offset:8192 scale_offset
	s_wait_xcnt 0x0
	s_or_b32 exec_lo, exec_lo, s1
                                        ; implicit-def: $vgpr30
	s_and_saveexec_b32 s1, s19
	s_cbranch_execnz .LBB632_185
.LBB632_65:
	s_or_b32 exec_lo, exec_lo, s1
                                        ; implicit-def: $vgpr31
	s_and_saveexec_b32 s1, s20
	s_cbranch_execz .LBB632_67
.LBB632_66:
	flat_load_u16 v31, v0, s[36:37] offset:9216 scale_offset
.LBB632_67:
	s_wait_xcnt 0x0
	s_or_b32 exec_lo, exec_lo, s1
	v_mul_u32_u24_e32 v55, 20, v0
                                        ; implicit-def: $vgpr32
	s_and_saveexec_b32 s1, s21
	s_cbranch_execz .LBB632_69
; %bb.68:
	flat_load_u16 v32, v0, s[36:37] offset:9728 scale_offset
.LBB632_69:
	s_wait_xcnt 0x0
	s_or_b32 exec_lo, exec_lo, s1
	s_wait_loadcnt_dscnt 0x0
	ds_store_b16 v1, v10
	ds_store_b16 v1, v11 offset:512
	ds_store_b16 v1, v12 offset:1024
	;; [unrolled: 1-line block ×19, first 2 shown]
	v_cmp_gt_u32_e32 vcc_lo, s31, v55
	v_dual_mov_b32 v32, 0 :: v_dual_mov_b32 v40, 0
	v_dual_mov_b32 v56, 0 :: v_dual_mov_b32 v48, 0
	;; [unrolled: 1-line block ×18, first 2 shown]
	v_mov_b32_e32 v1, 0
	s_mov_b32 s4, 0
	s_mov_b32 s5, 0
	s_wait_dscnt 0x0
	s_barrier_signal -1
	s_barrier_wait -1
                                        ; implicit-def: $sgpr8
                                        ; implicit-def: $vgpr45
	s_and_saveexec_b32 s6, vcc_lo
	s_cbranch_execz .LBB632_109
; %bb.70:
	ds_load_u16 v1, v52
	v_dual_mov_b32 v40, 0 :: v_dual_lshrrev_b32 v41, 16, v6
	v_dual_mov_b32 v56, 0 :: v_dual_bitop2_b32 v10, 1, v55 bitop3:0x54
	v_dual_mov_b32 v48, 0 :: v_dual_mov_b32 v54, 0
	s_delay_alu instid0(VALU_DEP_3)
	v_cmp_eq_u16_e32 vcc_lo, v6, v41
	v_dual_mov_b32 v53, 0 :: v_dual_mov_b32 v50, 0
	v_dual_mov_b32 v49, 0 :: v_dual_mov_b32 v47, 0
	;; [unrolled: 1-line block ×6, first 2 shown]
	s_wait_dscnt 0x0
	v_dual_cndmask_b32 v1, s33, v1, vcc_lo :: v_dual_mov_b32 v35, 0
	v_mov_b32_e32 v34, 0
	v_cmp_gt_u32_e64 s1, s31, v10
	v_cndmask_b32_e64 v20, 0x10000, 0, vcc_lo
	s_delay_alu instid0(VALU_DEP_4)
	v_and_b32_e32 v32, 0xffff, v1
	v_dual_mov_b32 v10, 0 :: v_dual_mov_b32 v33, 0
	v_dual_mov_b32 v31, 0 :: v_dual_mov_b32 v30, 0
	;; [unrolled: 1-line block ×8, first 2 shown]
	v_mov_b32_e32 v1, 0
	s_mov_b32 s7, 0
                                        ; implicit-def: $sgpr8
                                        ; implicit-def: $vgpr45
	s_and_saveexec_b32 s5, s1
	s_cbranch_execz .LBB632_108
; %bb.71:
	ds_load_b128 v[10:13], v52 offset:2
	v_cmp_eq_u16_e32 vcc_lo, v41, v7
	v_dual_mov_b32 v56, 0 :: v_dual_bitop2_b32 v1, 2, v55 bitop3:0x54
	v_dual_mov_b32 v48, 0 :: v_dual_mov_b32 v54, 0
	v_dual_mov_b32 v53, 0 :: v_dual_mov_b32 v50, 0
	;; [unrolled: 1-line block ×8, first 2 shown]
	s_wait_dscnt 0x0
	v_dual_cndmask_b32 v6, s33, v10 :: v_dual_mov_b32 v33, 0
	v_dual_mov_b32 v31, 0 :: v_dual_mov_b32 v30, 0
	v_cmp_gt_u32_e64 s1, s31, v1
	v_cndmask_b32_e64 v40, 0x10000, 0, vcc_lo
	s_delay_alu instid0(VALU_DEP_4)
	v_and_b32_e32 v41, 0xffff, v6
	v_dual_mov_b32 v29, 0 :: v_dual_mov_b32 v28, 0
	v_dual_mov_b32 v27, 0 :: v_dual_mov_b32 v26, 0
	;; [unrolled: 1-line block ×6, first 2 shown]
	v_mov_b32_e32 v1, 0
	s_mov_b32 s9, 0
                                        ; implicit-def: $sgpr8
                                        ; implicit-def: $vgpr45
	s_and_saveexec_b32 s7, s1
	s_cbranch_execz .LBB632_107
; %bb.72:
	v_dual_lshrrev_b32 v6, 16, v7 :: v_dual_lshrrev_b32 v1, 16, v10
	v_dual_mov_b32 v48, 0 :: v_dual_mov_b32 v54, 0
	v_dual_mov_b32 v53, 0 :: v_dual_mov_b32 v50, 0
	s_delay_alu instid0(VALU_DEP_3) | instskip(SKIP_3) | instid1(VALU_DEP_3)
	v_cmp_eq_u16_e32 vcc_lo, v7, v6
	v_dual_mov_b32 v49, 0 :: v_dual_bitop2_b32 v10, 3, v55 bitop3:0x54
	v_dual_mov_b32 v47, 0 :: v_dual_mov_b32 v46, 0
	v_dual_mov_b32 v44, 0 :: v_dual_cndmask_b32 v1, s33, v1
	v_cmp_gt_u32_e64 s1, s31, v10
	v_cndmask_b32_e64 v33, 0x10000, 0, vcc_lo
	v_dual_mov_b32 v43, 0 :: v_dual_mov_b32 v42, 0
	s_delay_alu instid0(VALU_DEP_4)
	v_and_b32_e32 v10, 0xffff, v1
	v_dual_mov_b32 v39, 0 :: v_dual_mov_b32 v38, 0
	v_dual_mov_b32 v37, 0 :: v_dual_mov_b32 v36, 0
	;; [unrolled: 1-line block ×10, first 2 shown]
	v_mov_b32_e32 v1, 0
	s_mov_b32 s10, 0
                                        ; implicit-def: $sgpr8
                                        ; implicit-def: $vgpr45
	s_and_saveexec_b32 s9, s1
	s_cbranch_execz .LBB632_106
; %bb.73:
	v_cmp_eq_u16_e32 vcc_lo, v6, v8
	v_dual_mov_b32 v53, 0 :: v_dual_add_nc_u32 v6, 4, v55
	v_dual_mov_b32 v50, 0 :: v_dual_mov_b32 v49, 0
	v_dual_cndmask_b32 v1, s33, v11 :: v_dual_mov_b32 v54, 0
	v_cndmask_b32_e64 v48, 0x10000, 0, vcc_lo
	s_delay_alu instid0(VALU_DEP_4) | instskip(SKIP_1) | instid1(VALU_DEP_4)
	v_cmp_gt_u32_e32 vcc_lo, s31, v6
	v_dual_mov_b32 v47, 0 :: v_dual_mov_b32 v46, 0
	v_and_b32_e32 v31, 0xffff, v1
	v_dual_mov_b32 v44, 0 :: v_dual_mov_b32 v43, 0
	v_dual_mov_b32 v42, 0 :: v_dual_mov_b32 v39, 0
	;; [unrolled: 1-line block ×11, first 2 shown]
	v_mov_b32_e32 v1, 0
	s_mov_b32 s1, 0
                                        ; implicit-def: $sgpr8
                                        ; implicit-def: $vgpr45
	s_and_saveexec_b32 s10, vcc_lo
	s_cbranch_execz .LBB632_105
; %bb.74:
	v_dual_lshrrev_b32 v6, 16, v8 :: v_dual_lshrrev_b32 v1, 16, v11
	v_dual_mov_b32 v53, 0 :: v_dual_mov_b32 v50, 0
	v_dual_mov_b32 v49, 0 :: v_dual_mov_b32 v47, 0
	s_delay_alu instid0(VALU_DEP_3) | instskip(SKIP_3) | instid1(VALU_DEP_3)
	v_cmp_eq_u16_e32 vcc_lo, v8, v6
	v_dual_mov_b32 v46, 0 :: v_dual_add_nc_u32 v7, 5, v55
	v_dual_mov_b32 v44, 0 :: v_dual_mov_b32 v43, 0
	v_dual_mov_b32 v42, 0 :: v_dual_cndmask_b32 v1, s33, v1
	v_cmp_gt_u32_e64 s1, s31, v7
	v_cndmask_b32_e64 v30, 0x10000, 0, vcc_lo
	v_dual_mov_b32 v39, 0 :: v_dual_mov_b32 v38, 0
	s_delay_alu instid0(VALU_DEP_4)
	v_and_b32_e32 v11, 0xffff, v1
	v_dual_mov_b32 v37, 0 :: v_dual_mov_b32 v36, 0
	v_dual_mov_b32 v35, 0 :: v_dual_mov_b32 v34, 0
	;; [unrolled: 1-line block ×8, first 2 shown]
	v_mov_b32_e32 v1, 0
	s_mov_b32 s12, 0
                                        ; implicit-def: $sgpr8
                                        ; implicit-def: $vgpr45
	s_and_saveexec_b32 s11, s1
	s_cbranch_execz .LBB632_104
; %bb.75:
	v_cmp_eq_u16_e32 vcc_lo, v6, v9
	v_dual_mov_b32 v50, 0 :: v_dual_mov_b32 v49, 0
	v_dual_mov_b32 v47, 0 :: v_dual_mov_b32 v46, 0
	v_dual_cndmask_b32 v1, s33, v12 :: v_dual_add_nc_u32 v6, 6, v55
	v_cndmask_b32_e64 v53, 0x10000, 0, vcc_lo
	v_dual_mov_b32 v44, 0 :: v_dual_mov_b32 v43, 0
	s_delay_alu instid0(VALU_DEP_3) | instskip(NEXT) | instid1(VALU_DEP_4)
	v_and_b32_e32 v29, 0xffff, v1
	v_cmp_gt_u32_e32 vcc_lo, s31, v6
	v_dual_mov_b32 v42, 0 :: v_dual_mov_b32 v39, 0
	v_dual_mov_b32 v38, 0 :: v_dual_mov_b32 v37, 0
	;; [unrolled: 1-line block ×9, first 2 shown]
	v_mov_b32_e32 v1, 0
	s_mov_b32 s1, 0
                                        ; implicit-def: $sgpr8
                                        ; implicit-def: $vgpr45
	s_and_saveexec_b32 s12, vcc_lo
	s_cbranch_execz .LBB632_103
; %bb.76:
	v_dual_lshrrev_b32 v6, 16, v9 :: v_dual_lshrrev_b32 v1, 16, v12
	v_dual_mov_b32 v49, 0 :: v_dual_mov_b32 v47, 0
	v_dual_mov_b32 v46, 0 :: v_dual_mov_b32 v44, 0
	s_delay_alu instid0(VALU_DEP_3) | instskip(SKIP_3) | instid1(VALU_DEP_3)
	v_cmp_eq_u16_e32 vcc_lo, v9, v6
	v_dual_add_nc_u32 v7, 7, v55 :: v_dual_mov_b32 v43, 0
	v_dual_mov_b32 v42, 0 :: v_dual_mov_b32 v39, 0
	v_dual_mov_b32 v38, 0 :: v_dual_cndmask_b32 v1, s33, v1
	v_cmp_gt_u32_e64 s1, s31, v7
	v_cndmask_b32_e64 v28, 0x10000, 0, vcc_lo
	v_dual_mov_b32 v37, 0 :: v_dual_mov_b32 v36, 0
	s_delay_alu instid0(VALU_DEP_4)
	v_and_b32_e32 v12, 0xffff, v1
	v_dual_mov_b32 v35, 0 :: v_dual_mov_b32 v34, 0
	v_dual_mov_b32 v27, 0 :: v_dual_mov_b32 v26, 0
	v_dual_mov_b32 v25, 0 :: v_dual_mov_b32 v24, 0
	v_dual_mov_b32 v23, 0 :: v_dual_mov_b32 v22, 0
	v_dual_mov_b32 v21, 0 :: v_dual_mov_b32 v19, 0
	v_dual_mov_b32 v17, 0 :: v_dual_mov_b32 v16, 0
	v_mov_b32_e32 v1, 0
	s_mov_b32 s14, 0
                                        ; implicit-def: $sgpr8
                                        ; implicit-def: $vgpr45
	s_and_saveexec_b32 s13, s1
	s_cbranch_execz .LBB632_102
; %bb.77:
	v_cmp_eq_u16_e32 vcc_lo, v6, v2
	v_dual_mov_b32 v47, 0 :: v_dual_mov_b32 v46, 0
	v_dual_mov_b32 v44, 0 :: v_dual_mov_b32 v43, 0
	v_dual_cndmask_b32 v1, s33, v13 :: v_dual_add_nc_u32 v6, 8, v55
	v_cndmask_b32_e64 v49, 0x10000, 0, vcc_lo
	v_dual_mov_b32 v42, 0 :: v_dual_mov_b32 v39, 0
	s_delay_alu instid0(VALU_DEP_3) | instskip(NEXT) | instid1(VALU_DEP_4)
	v_and_b32_e32 v27, 0xffff, v1
	v_cmp_gt_u32_e32 vcc_lo, s31, v6
	v_dual_mov_b32 v38, 0 :: v_dual_mov_b32 v37, 0
	v_dual_mov_b32 v36, 0 :: v_dual_mov_b32 v35, 0
	;; [unrolled: 1-line block ×7, first 2 shown]
	v_mov_b32_e32 v1, 0
	s_mov_b32 s1, 0
                                        ; implicit-def: $sgpr8
                                        ; implicit-def: $vgpr45
	s_and_saveexec_b32 s14, vcc_lo
	s_cbranch_execz .LBB632_101
; %bb.78:
	v_dual_lshrrev_b32 v26, 16, v2 :: v_dual_lshrrev_b32 v1, 16, v13
	v_dual_mov_b32 v46, 0 :: v_dual_mov_b32 v44, 0
	v_dual_mov_b32 v43, 0 :: v_dual_mov_b32 v42, 0
	s_delay_alu instid0(VALU_DEP_3) | instskip(SKIP_3) | instid1(VALU_DEP_3)
	v_cmp_eq_u16_e32 vcc_lo, v2, v26
	v_dual_mov_b32 v39, 0 :: v_dual_add_nc_u32 v6, 9, v55
	v_dual_mov_b32 v38, 0 :: v_dual_mov_b32 v37, 0
	v_dual_mov_b32 v36, 0 :: v_dual_cndmask_b32 v1, s33, v1
	v_cmp_gt_u32_e64 s1, s31, v6
	v_cndmask_b32_e64 v13, 0x10000, 0, vcc_lo
	v_dual_mov_b32 v35, 0 :: v_dual_mov_b32 v34, 0
	s_delay_alu instid0(VALU_DEP_4)
	v_and_b32_e32 v2, 0xffff, v1
	v_dual_mov_b32 v25, 0 :: v_dual_mov_b32 v24, 0
	v_dual_mov_b32 v23, 0 :: v_dual_mov_b32 v22, 0
	;; [unrolled: 1-line block ×4, first 2 shown]
	v_mov_b32_e32 v1, 0
	s_mov_b32 s16, 0
                                        ; implicit-def: $sgpr8
                                        ; implicit-def: $vgpr45
	s_and_saveexec_b32 s15, s1
	s_cbranch_execz .LBB632_100
; %bb.79:
	ds_load_b128 v[6:9], v52 offset:18
	v_cmp_eq_u16_e32 vcc_lo, v26, v3
	v_dual_mov_b32 v44, 0 :: v_dual_add_nc_u32 v1, 10, v55
	v_dual_mov_b32 v19, 0 :: v_dual_mov_b32 v43, 0
	v_dual_mov_b32 v42, 0 :: v_dual_mov_b32 v39, 0
	;; [unrolled: 1-line block ×7, first 2 shown]
	v_mov_b32_e32 v16, 0
	v_cmp_gt_u32_e64 s1, s31, v1
	s_wait_dscnt 0x0
	v_cndmask_b32_e32 v26, s33, v6, vcc_lo
	v_cndmask_b32_e64 v25, 0x10000, 0, vcc_lo
	v_mov_b32_e32 v1, 0
	s_mov_b32 s17, 0
                                        ; implicit-def: $sgpr8
                                        ; implicit-def: $vgpr45
	s_delay_alu instid0(VALU_DEP_3)
	v_and_b32_e32 v26, 0xffff, v26
	s_and_saveexec_b32 s16, s1
	s_cbranch_execz .LBB632_99
; %bb.80:
	v_dual_lshrrev_b32 v24, 16, v3 :: v_dual_lshrrev_b32 v1, 16, v6
	v_dual_mov_b32 v43, 0 :: v_dual_mov_b32 v42, 0
	v_dual_mov_b32 v39, 0 :: v_dual_mov_b32 v38, 0
	s_delay_alu instid0(VALU_DEP_3) | instskip(SKIP_3) | instid1(VALU_DEP_3)
	v_cmp_eq_u16_e32 vcc_lo, v3, v24
	v_dual_mov_b32 v37, 0 :: v_dual_add_nc_u32 v6, 11, v55
	v_dual_mov_b32 v36, 0 :: v_dual_mov_b32 v35, 0
	v_dual_mov_b32 v34, 0 :: v_dual_cndmask_b32 v1, s33, v1
	v_cmp_gt_u32_e64 s1, s31, v6
	v_cndmask_b32_e64 v6, 0x10000, 0, vcc_lo
	v_dual_mov_b32 v23, 0 :: v_dual_mov_b32 v22, 0
	s_delay_alu instid0(VALU_DEP_4)
	v_and_b32_e32 v3, 0xffff, v1
	v_dual_mov_b32 v21, 0 :: v_dual_mov_b32 v19, 0
	v_dual_mov_b32 v17, 0 :: v_dual_mov_b32 v16, 0
	v_mov_b32_e32 v1, 0
	s_mov_b32 s18, 0
                                        ; implicit-def: $sgpr8
                                        ; implicit-def: $vgpr45
	s_and_saveexec_b32 s17, s1
	s_cbranch_execz .LBB632_98
; %bb.81:
	v_cmp_eq_u16_e32 vcc_lo, v24, v4
	v_dual_mov_b32 v39, 0 :: v_dual_add_nc_u32 v16, 12, v55
	v_dual_mov_b32 v38, 0 :: v_dual_mov_b32 v37, 0
	v_dual_cndmask_b32 v1, s33, v7 :: v_dual_mov_b32 v42, 0
	v_cndmask_b32_e64 v24, 0x10000, 0, vcc_lo
	s_delay_alu instid0(VALU_DEP_4) | instskip(SKIP_1) | instid1(VALU_DEP_4)
	v_cmp_gt_u32_e32 vcc_lo, s31, v16
	v_dual_mov_b32 v36, 0 :: v_dual_mov_b32 v35, 0
	v_and_b32_e32 v23, 0xffff, v1
	v_dual_mov_b32 v34, 0 :: v_dual_mov_b32 v22, 0
	v_dual_mov_b32 v21, 0 :: v_dual_mov_b32 v19, 0
	v_dual_mov_b32 v17, 0 :: v_dual_mov_b32 v16, 0
	v_mov_b32_e32 v1, 0
	s_mov_b32 s1, 0
                                        ; implicit-def: $sgpr8
                                        ; implicit-def: $vgpr45
	s_and_saveexec_b32 s18, vcc_lo
	s_cbranch_execz .LBB632_97
; %bb.82:
	v_dual_lshrrev_b32 v22, 16, v4 :: v_dual_lshrrev_b32 v1, 16, v7
	v_dual_mov_b32 v39, 0 :: v_dual_mov_b32 v38, 0
	v_dual_mov_b32 v37, 0 :: v_dual_mov_b32 v36, 0
	s_delay_alu instid0(VALU_DEP_3) | instskip(SKIP_3) | instid1(VALU_DEP_3)
	v_cmp_eq_u16_e32 vcc_lo, v4, v22
	v_dual_add_nc_u32 v7, 13, v55 :: v_dual_mov_b32 v35, 0
	v_dual_mov_b32 v34, 0 :: v_dual_mov_b32 v21, 0
	v_dual_mov_b32 v19, 0 :: v_dual_cndmask_b32 v1, s33, v1, vcc_lo
	v_cmp_gt_u32_e64 s1, s31, v7
	v_cndmask_b32_e64 v7, 0x10000, 0, vcc_lo
	v_dual_mov_b32 v17, 0 :: v_dual_mov_b32 v16, 0
	s_delay_alu instid0(VALU_DEP_4)
	v_and_b32_e32 v4, 0xffff, v1
	v_mov_b32_e32 v1, 0
	s_mov_b32 s20, 0
                                        ; implicit-def: $sgpr8
                                        ; implicit-def: $vgpr45
	s_and_saveexec_b32 s19, s1
	s_cbranch_execz .LBB632_96
; %bb.83:
	v_cmp_eq_u16_e32 vcc_lo, v22, v5
	v_dual_mov_b32 v38, 0 :: v_dual_mov_b32 v37, 0
	v_dual_mov_b32 v36, 0 :: v_dual_mov_b32 v35, 0
	v_dual_cndmask_b32 v1, s33, v8 :: v_dual_add_nc_u32 v16, 14, v55
	v_cndmask_b32_e64 v22, 0x10000, 0, vcc_lo
	v_dual_mov_b32 v34, 0 :: v_dual_mov_b32 v19, 0
	s_delay_alu instid0(VALU_DEP_3) | instskip(NEXT) | instid1(VALU_DEP_4)
	v_and_b32_e32 v21, 0xffff, v1
	v_cmp_gt_u32_e32 vcc_lo, s31, v16
	v_dual_mov_b32 v17, 0 :: v_dual_mov_b32 v16, 0
	v_mov_b32_e32 v1, 0
	s_mov_b32 s1, 0
                                        ; implicit-def: $sgpr8
                                        ; implicit-def: $vgpr45
	s_and_saveexec_b32 s20, vcc_lo
	s_cbranch_execz .LBB632_95
; %bb.84:
	v_dual_lshrrev_b32 v19, 16, v5 :: v_dual_lshrrev_b32 v1, 16, v8
	v_dual_mov_b32 v37, 0 :: v_dual_mov_b32 v36, 0
	v_dual_mov_b32 v35, 0 :: v_dual_mov_b32 v34, 0
	s_delay_alu instid0(VALU_DEP_3) | instskip(SKIP_4) | instid1(VALU_DEP_3)
	v_cmp_eq_u16_e32 vcc_lo, v5, v19
	v_dual_mov_b32 v17, 0 :: v_dual_add_nc_u32 v8, 15, v55
	v_mov_b32_e32 v16, 0
	s_mov_b32 s22, 0
	v_cndmask_b32_e32 v1, s33, v1, vcc_lo
	v_cmp_gt_u32_e64 s1, s31, v8
	v_cndmask_b32_e64 v8, 0x10000, 0, vcc_lo
                                        ; implicit-def: $sgpr8
                                        ; implicit-def: $vgpr45
	s_delay_alu instid0(VALU_DEP_3)
	v_and_b32_e32 v5, 0xffff, v1
	v_mov_b32_e32 v1, 0
	s_and_saveexec_b32 s21, s1
	s_cbranch_execz .LBB632_94
; %bb.85:
	v_cmp_eq_u16_e32 vcc_lo, v19, v14
	v_dual_mov_b32 v36, 0 :: v_dual_mov_b32 v35, 0
	v_mov_b32_e32 v34, 0
	s_mov_b32 s1, 0
	v_dual_cndmask_b32 v1, s33, v9 :: v_dual_add_nc_u32 v16, 16, v55
	v_cndmask_b32_e64 v19, 0x10000, 0, vcc_lo
                                        ; implicit-def: $sgpr8
                                        ; implicit-def: $vgpr45
	s_delay_alu instid0(VALU_DEP_2) | instskip(NEXT) | instid1(VALU_DEP_3)
	v_and_b32_e32 v17, 0xffff, v1
	v_cmp_gt_u32_e32 vcc_lo, s31, v16
	v_dual_mov_b32 v16, 0 :: v_dual_mov_b32 v1, 0
	s_and_saveexec_b32 s22, vcc_lo
	s_cbranch_execz .LBB632_93
; %bb.86:
	v_dual_lshrrev_b32 v16, 16, v14 :: v_dual_lshrrev_b32 v1, 16, v9
	v_dual_mov_b32 v35, 0 :: v_dual_mov_b32 v34, 0
	s_mov_b32 s45, 0
	s_delay_alu instid0(VALU_DEP_2) | instskip(SKIP_2) | instid1(VALU_DEP_2)
	v_cmp_eq_u16_e32 vcc_lo, v14, v16
	v_add_nc_u32_e32 v9, 17, v55
                                        ; implicit-def: $sgpr8
                                        ; implicit-def: $vgpr45
	v_cndmask_b32_e32 v1, s33, v1, vcc_lo
	v_cmp_gt_u32_e64 s1, s31, v9
	v_cndmask_b32_e64 v14, 0x10000, 0, vcc_lo
	s_delay_alu instid0(VALU_DEP_3)
	v_and_b32_e32 v9, 0xffff, v1
	v_mov_b32_e32 v1, 0
	s_and_saveexec_b32 s44, s1
	s_cbranch_execz .LBB632_92
; %bb.87:
	ds_load_u16 v1, v52 offset:34
	v_cmp_eq_u16_e32 vcc_lo, v16, v15
	v_mov_b32_e32 v34, 0
	s_mov_b32 s1, exec_lo
                                        ; implicit-def: $sgpr8
                                        ; implicit-def: $vgpr45
	s_wait_dscnt 0x0
	v_dual_cndmask_b32 v16, s33, v1 :: v_dual_add_nc_u32 v35, 18, v55
	v_cndmask_b32_e64 v1, 0x10000, 0, vcc_lo
	s_delay_alu instid0(VALU_DEP_2) | instskip(NEXT) | instid1(VALU_DEP_3)
	v_and_b32_e32 v16, 0xffff, v16
	v_cmpx_gt_u32_e64 s31, v35
	s_cbranch_execz .LBB632_91
; %bb.88:
	ds_load_b32 v35, v52 offset:36
	v_lshrrev_b32_e32 v36, 16, v15
	v_add_nc_u32_e32 v37, 19, v55
                                        ; implicit-def: $sgpr8
                                        ; implicit-def: $vgpr45
	s_delay_alu instid0(VALU_DEP_2)
	v_cmp_eq_u16_e32 vcc_lo, v15, v36
	v_cndmask_b32_e64 v15, 0x10000, 0, vcc_lo
	s_wait_dscnt 0x0
	v_cndmask_b32_e32 v34, s33, v35, vcc_lo
	v_cmp_gt_u32_e32 vcc_lo, s31, v37
	s_mov_b32 s31, 0
	s_delay_alu instid0(VALU_DEP_2) | instskip(SKIP_1) | instid1(SALU_CYCLE_1)
	v_and_b32_e32 v34, 0xffff, v34
	s_and_saveexec_b32 s45, vcc_lo
	s_xor_b32 s45, exec_lo, s45
; %bb.89:
	v_lshrrev_b32_e32 v35, 16, v35
	v_cmp_ne_u16_e64 s8, v36, v51
	s_mov_b32 s31, exec_lo
	v_cndmask_b32_e64 v45, v35, s33, s8
; %bb.90:
	s_or_b32 exec_lo, exec_lo, s45
	v_or_b32_e32 v34, v15, v34
	s_and_b32 s45, s31, exec_lo
.LBB632_91:
	s_or_b32 exec_lo, exec_lo, s1
	s_delay_alu instid0(VALU_DEP_1)
	v_dual_mov_b32 v1, v34 :: v_dual_bitop2_b32 v35, v1, v16 bitop3:0x54
	s_and_b32 s45, s45, exec_lo
.LBB632_92:
	s_or_b32 exec_lo, exec_lo, s44
	s_delay_alu instid0(VALU_DEP_1)
	v_dual_mov_b32 v16, v35 :: v_dual_bitop2_b32 v36, v14, v9 bitop3:0x54
	s_and_b32 s1, s45, exec_lo
.LBB632_93:
	s_or_b32 exec_lo, exec_lo, s22
	s_delay_alu instid0(VALU_DEP_1)
	v_dual_mov_b32 v17, v36 :: v_dual_bitop2_b32 v37, v19, v17 bitop3:0x54
	s_and_b32 s22, s1, exec_lo
.LBB632_94:
	s_or_b32 exec_lo, exec_lo, s21
	s_delay_alu instid0(VALU_DEP_1)
	v_dual_mov_b32 v19, v37 :: v_dual_bitop2_b32 v38, v8, v5 bitop3:0x54
	s_and_b32 s1, s22, exec_lo
.LBB632_95:
	s_or_b32 exec_lo, exec_lo, s20
	v_or_b32_e32 v39, v22, v21
	s_delay_alu instid0(VALU_DEP_2)
	v_mov_b32_e32 v21, v38
	s_and_b32 s20, s1, exec_lo
.LBB632_96:
	s_or_b32 exec_lo, exec_lo, s19
	v_or_b32_e32 v42, v7, v4
	v_mov_b32_e32 v22, v39
	s_and_b32 s1, s20, exec_lo
.LBB632_97:
	s_or_b32 exec_lo, exec_lo, s18
	s_delay_alu instid0(VALU_DEP_2)
	v_dual_mov_b32 v23, v42 :: v_dual_bitop2_b32 v43, v24, v23 bitop3:0x54
	s_and_b32 s18, s1, exec_lo
.LBB632_98:
	s_or_b32 exec_lo, exec_lo, s17
	s_delay_alu instid0(VALU_DEP_1)
	v_dual_mov_b32 v24, v43 :: v_dual_bitop2_b32 v44, v6, v3 bitop3:0x54
	s_and_b32 s17, s18, exec_lo
.LBB632_99:
	s_or_b32 exec_lo, exec_lo, s16
	s_delay_alu instid0(VALU_DEP_1)
	v_dual_mov_b32 v25, v44 :: v_dual_bitop2_b32 v46, v25, v26 bitop3:0x54
	s_and_b32 s16, s17, exec_lo
.LBB632_100:
	s_or_b32 exec_lo, exec_lo, s15
	s_delay_alu instid0(VALU_DEP_1)
	v_dual_mov_b32 v26, v46 :: v_dual_bitop2_b32 v47, v13, v2 bitop3:0x54
	s_and_b32 s1, s16, exec_lo
.LBB632_101:
	s_or_b32 exec_lo, exec_lo, s14
	s_delay_alu instid0(VALU_DEP_1)
	v_dual_mov_b32 v27, v47 :: v_dual_bitop2_b32 v49, v49, v27 bitop3:0x54
	s_and_b32 s14, s1, exec_lo
.LBB632_102:
	s_or_b32 exec_lo, exec_lo, s13
	s_delay_alu instid0(VALU_DEP_1)
	v_dual_mov_b32 v28, v49 :: v_dual_bitop2_b32 v50, v28, v12 bitop3:0x54
	s_and_b32 s1, s14, exec_lo
.LBB632_103:
	s_or_b32 exec_lo, exec_lo, s12
	s_delay_alu instid0(VALU_DEP_1)
	v_dual_mov_b32 v29, v50 :: v_dual_bitop2_b32 v53, v53, v29 bitop3:0x54
	s_and_b32 s12, s1, exec_lo
.LBB632_104:
	s_or_b32 exec_lo, exec_lo, s11
	s_delay_alu instid0(VALU_DEP_1)
	v_dual_mov_b32 v30, v53 :: v_dual_bitop2_b32 v54, v30, v11 bitop3:0x54
	s_and_b32 s1, s12, exec_lo
.LBB632_105:
	s_or_b32 exec_lo, exec_lo, s10
	s_delay_alu instid0(VALU_DEP_1)
	v_dual_mov_b32 v31, v54 :: v_dual_bitop2_b32 v48, v48, v31 bitop3:0x54
	s_and_b32 s10, s1, exec_lo
.LBB632_106:
	s_or_b32 exec_lo, exec_lo, s9
	s_delay_alu instid0(VALU_DEP_1)
	v_dual_mov_b32 v33, v48 :: v_dual_bitop2_b32 v56, v33, v10 bitop3:0x54
	s_and_b32 s9, s10, exec_lo
.LBB632_107:
	s_or_b32 exec_lo, exec_lo, s7
	v_or_b32_e32 v40, v40, v41
	s_delay_alu instid0(VALU_DEP_2)
	v_mov_b32_e32 v10, v56
	s_and_b32 s7, s9, exec_lo
.LBB632_108:
	s_or_b32 exec_lo, exec_lo, s5
	v_or_b32_e32 v32, v20, v32
	v_mov_b32_e32 v11, v40
	s_and_b32 s5, s7, exec_lo
.LBB632_109:
	s_or_b32 exec_lo, exec_lo, s6
	v_lshlrev_b32_e32 v20, 1, v0
	s_and_b32 vcc_lo, exec_lo, s4
	s_cbranch_vccnz .LBB632_111
	s_branch .LBB632_116
.LBB632_110:
                                        ; implicit-def: $sgpr8
                                        ; implicit-def: $vgpr45
                                        ; implicit-def: $vgpr32
                                        ; implicit-def: $vgpr40
                                        ; implicit-def: $vgpr56
                                        ; implicit-def: $vgpr48
                                        ; implicit-def: $vgpr54
                                        ; implicit-def: $vgpr53
                                        ; implicit-def: $vgpr50
                                        ; implicit-def: $vgpr49
                                        ; implicit-def: $vgpr47
                                        ; implicit-def: $vgpr46
                                        ; implicit-def: $vgpr44
                                        ; implicit-def: $vgpr43
                                        ; implicit-def: $vgpr42
                                        ; implicit-def: $vgpr39
                                        ; implicit-def: $vgpr38
                                        ; implicit-def: $vgpr37
                                        ; implicit-def: $vgpr36
                                        ; implicit-def: $vgpr35
                                        ; implicit-def: $vgpr34
                                        ; implicit-def: $vgpr11
                                        ; implicit-def: $vgpr10
                                        ; implicit-def: $vgpr33
                                        ; implicit-def: $vgpr31
                                        ; implicit-def: $vgpr30
                                        ; implicit-def: $vgpr29
                                        ; implicit-def: $vgpr28
                                        ; implicit-def: $vgpr27
                                        ; implicit-def: $vgpr26
                                        ; implicit-def: $vgpr25
                                        ; implicit-def: $vgpr24
                                        ; implicit-def: $vgpr23
                                        ; implicit-def: $vgpr22
                                        ; implicit-def: $vgpr21
                                        ; implicit-def: $vgpr19
                                        ; implicit-def: $vgpr17
                                        ; implicit-def: $vgpr16
                                        ; implicit-def: $vgpr1
	v_lshlrev_b32_e32 v20, 1, v0
	s_cbranch_execz .LBB632_116
.LBB632_111:
	s_clause 0x13
	flat_load_u16 v1, v0, s[42:43] scale_offset
	flat_load_u16 v2, v0, s[42:43] offset:512 scale_offset
	flat_load_u16 v3, v0, s[42:43] offset:1024 scale_offset
	;; [unrolled: 1-line block ×19, first 2 shown]
	v_mov_b32_e32 v23, 0
	v_mad_u32_u24 v24, v0, 38, v20
	s_mov_b32 s1, exec_lo
	s_wait_loadcnt_dscnt 0x1313
	ds_store_b16 v20, v1
	s_wait_loadcnt_dscnt 0x1213
	ds_store_b16 v20, v2 offset:512
	s_wait_loadcnt_dscnt 0x1113
	ds_store_b16 v20, v3 offset:1024
	s_wait_loadcnt_dscnt 0x1013
	ds_store_b16 v20, v4 offset:1536
	s_wait_loadcnt_dscnt 0xf13
	ds_store_b16 v20, v5 offset:2048
	s_wait_loadcnt_dscnt 0xe13
	ds_store_b16 v20, v6 offset:2560
	s_wait_loadcnt_dscnt 0xd13
	ds_store_b16 v20, v7 offset:3072
	s_wait_loadcnt_dscnt 0xc13
	ds_store_b16 v20, v8 offset:3584
	s_wait_loadcnt_dscnt 0xb13
	ds_store_b16 v20, v9 offset:4096
	s_wait_loadcnt_dscnt 0xa13
	ds_store_b16 v20, v10 offset:4608
	s_wait_loadcnt_dscnt 0x913
	ds_store_b16 v20, v11 offset:5120
	s_wait_loadcnt_dscnt 0x813
	ds_store_b16 v20, v12 offset:5632
	s_wait_loadcnt_dscnt 0x713
	ds_store_b16 v20, v13 offset:6144
	s_wait_loadcnt_dscnt 0x613
	ds_store_b16 v20, v14 offset:6656
	s_wait_loadcnt_dscnt 0x513
	ds_store_b16 v20, v15 offset:7168
	s_wait_loadcnt_dscnt 0x413
	ds_store_b16 v20, v16 offset:7680
	s_wait_loadcnt_dscnt 0x313
	ds_store_b16 v20, v17 offset:8192
	s_wait_loadcnt_dscnt 0x213
	ds_store_b16 v20, v19 offset:8704
	s_wait_loadcnt_dscnt 0x113
	ds_store_b16 v20, v21 offset:9216
	s_wait_loadcnt_dscnt 0x13
	ds_store_b16 v20, v22 offset:9728
	s_wait_dscnt 0x0
	s_barrier_signal -1
	s_barrier_wait -1
	flat_load_u16 v1, v23, s[42:43] offset:10240
	ds_load_2addr_b64 v[6:9], v24 offset1:1
	ds_load_2addr_b64 v[2:5], v24 offset0:2 offset1:3
	s_wait_xcnt 0x0
	ds_load_b64 v[22:23], v24 offset:32
	v_mad_i32_i24 v10, 0xffffffda, v0, v24
	s_wait_dscnt 0x2
	ds_store_b16 v10, v6 offset:10752
	s_wait_loadcnt_dscnt 0x0
	s_barrier_signal -1
	s_barrier_wait -1
	v_cmpx_ne_u32_e32 0xff, v0
; %bb.112:
	v_mul_i32_i24_e32 v1, 0xffffffda, v0
	s_delay_alu instid0(VALU_DEP_1)
	v_add_nc_u32_e32 v1, v24, v1
	ds_load_u16 v1, v1 offset:10754
; %bb.113:
	s_or_b32 exec_lo, exec_lo, s1
	s_wait_dscnt 0x0
	s_barrier_signal -1
	s_barrier_wait -1
	s_clause 0x13
	flat_load_u16 v10, v0, s[36:37] scale_offset
	flat_load_u16 v11, v0, s[36:37] offset:512 scale_offset
	flat_load_u16 v12, v0, s[36:37] offset:1024 scale_offset
	;; [unrolled: 1-line block ×19, first 2 shown]
	s_wait_loadcnt_dscnt 0x1313
	ds_store_b16 v20, v10
	s_wait_loadcnt_dscnt 0x1213
	ds_store_b16 v20, v11 offset:512
	s_wait_loadcnt_dscnt 0x1113
	ds_store_b16 v20, v12 offset:1024
	;; [unrolled: 2-line block ×19, first 2 shown]
	s_wait_dscnt 0x0
	s_barrier_signal -1
	s_barrier_wait -1
	ds_load_b128 v[14:17], v24 offset:2
	ds_load_b128 v[10:13], v24 offset:18
	ds_load_u16 v21, v24 offset:34
	ds_load_b32 v19, v24 offset:36
	v_dual_mov_b32 v25, s33 :: v_dual_lshrrev_b32 v26, 16, v6
	s_delay_alu instid0(VALU_DEP_1)
	v_cmp_eq_u16_e32 vcc_lo, v6, v26
	v_mov_b32_e32 v6, 0x10000
	s_and_saveexec_b32 s1, vcc_lo
; %bb.114:
	ds_load_u16 v25, v24
	v_mov_b32_e32 v6, 0
; %bb.115:
	s_or_b32 exec_lo, exec_lo, s1
	v_dual_lshrrev_b32 v32, 16, v7 :: v_dual_lshrrev_b32 v36, 16, v8
	v_cmp_eq_u16_e32 vcc_lo, v26, v7
	s_wait_dscnt 0x3
	v_dual_lshrrev_b32 v24, 16, v23 :: v_dual_lshrrev_b32 v27, 16, v14
	v_lshrrev_b32_e32 v39, 16, v3
	v_cmp_eq_u16_e64 s1, v32, v8
	v_cndmask_b32_e32 v14, s33, v14, vcc_lo
	v_cndmask_b32_e64 v40, 0x10000, 0, vcc_lo
	v_cmp_eq_u16_e32 vcc_lo, v7, v32
	v_dual_lshrrev_b32 v28, 16, v15 :: v_dual_lshrrev_b32 v29, 16, v16
	v_lshrrev_b32_e32 v45, 16, v22
	s_wait_dscnt 0x0
	v_and_b32_e32 v25, 0xffff, v25
	v_and_b32_e32 v14, 0xffff, v14
	v_cndmask_b32_e32 v7, s33, v27, vcc_lo
	v_dual_cndmask_b32 v15, s33, v15, s1 :: v_dual_lshrrev_b32 v37, 16, v9
	s_delay_alu instid0(VALU_DEP_4) | instskip(NEXT) | instid1(VALU_DEP_3)
	v_dual_lshrrev_b32 v38, 16, v2 :: v_dual_bitop2_b32 v32, v6, v25 bitop3:0x54
	v_and_b32_e32 v6, 0xffff, v7
	v_cndmask_b32_e64 v7, 0x10000, 0, vcc_lo
	v_cmp_eq_u16_e32 vcc_lo, v8, v36
	v_or_b32_e32 v40, v40, v14
	v_and_b32_e32 v14, 0xffff, v15
	v_cndmask_b32_e64 v15, 0x10000, 0, s1
	v_cmp_eq_u16_e64 s1, v36, v9
	v_dual_cndmask_b32 v8, s33, v28, vcc_lo :: v_dual_bitop2_b32 v56, v7, v6 bitop3:0x54
	v_cndmask_b32_e64 v7, 0x10000, 0, vcc_lo
	v_cmp_eq_u16_e32 vcc_lo, v9, v37
	s_delay_alu instid0(VALU_DEP_4) | instskip(NEXT) | instid1(VALU_DEP_4)
	v_dual_cndmask_b32 v16, s33, v16, s1 :: v_dual_bitop2_b32 v48, v15, v14 bitop3:0x54
	v_and_b32_e32 v6, 0xffff, v8
	v_cndmask_b32_e64 v14, 0x10000, 0, s1
	v_cndmask_b32_e32 v9, s33, v29, vcc_lo
	v_cmp_eq_u16_e64 s1, v37, v2
	v_dual_lshrrev_b32 v30, 16, v17 :: v_dual_lshrrev_b32 v31, 16, v10
	v_and_b32_e32 v8, 0xffff, v16
	s_delay_alu instid0(VALU_DEP_3)
	v_dual_cndmask_b32 v15, s33, v17, s1 :: v_dual_bitop2_b32 v54, v7, v6 bitop3:0x54
	v_and_b32_e32 v6, 0xffff, v9
	v_cndmask_b32_e64 v7, 0x10000, 0, vcc_lo
	v_cndmask_b32_e64 v9, 0x10000, 0, s1
	v_cmp_eq_u16_e32 vcc_lo, v2, v38
	v_cmp_eq_u16_e64 s1, v38, v3
	v_or_b32_e32 v53, v14, v8
	v_and_b32_e32 v8, 0xffff, v15
	v_or_b32_e32 v50, v7, v6
	v_cndmask_b32_e32 v2, s33, v30, vcc_lo
	v_cndmask_b32_e64 v10, s33, v10, s1
	v_cndmask_b32_e64 v6, 0x10000, 0, vcc_lo
	v_cmp_eq_u16_e32 vcc_lo, v3, v39
	v_dual_lshrrev_b32 v26, 16, v4 :: v_dual_lshrrev_b32 v42, 16, v5
	v_or_b32_e32 v49, v9, v8
	v_and_b32_e32 v2, 0xffff, v2
	v_and_b32_e32 v7, 0xffff, v10
	v_cndmask_b32_e64 v8, 0x10000, 0, s1
	v_cndmask_b32_e32 v3, s33, v31, vcc_lo
	v_cmp_eq_u16_e64 s1, v39, v4
	v_dual_lshrrev_b32 v33, 16, v11 :: v_dual_lshrrev_b32 v34, 16, v12
	v_or_b32_e32 v47, v6, v2
	s_delay_alu instid0(VALU_DEP_4) | instskip(NEXT) | instid1(VALU_DEP_4)
	v_and_b32_e32 v2, 0xffff, v3
	v_cndmask_b32_e64 v9, s33, v11, s1
	v_cndmask_b32_e64 v3, 0x10000, 0, vcc_lo
	v_cmp_eq_u16_e32 vcc_lo, v4, v26
	v_or_b32_e32 v46, v8, v7
	v_cndmask_b32_e64 v7, 0x10000, 0, s1
	v_cmp_eq_u16_e64 s1, v26, v5
	v_and_b32_e32 v6, 0xffff, v9
	v_dual_cndmask_b32 v4, s33, v33, vcc_lo :: v_dual_bitop2_b32 v44, v3, v2 bitop3:0x54
	v_cndmask_b32_e64 v3, 0x10000, 0, vcc_lo
	s_delay_alu instid0(VALU_DEP_4)
	v_cndmask_b32_e64 v8, s33, v12, s1
	v_cmp_eq_u16_e32 vcc_lo, v5, v42
	v_or_b32_e32 v43, v7, v6
	v_and_b32_e32 v2, 0xffff, v4
	v_cndmask_b32_e64 v6, 0x10000, 0, s1
	v_and_b32_e32 v4, 0xffff, v8
	v_cndmask_b32_e32 v5, s33, v34, vcc_lo
	v_cmp_eq_u16_e64 s1, v42, v22
	v_dual_lshrrev_b32 v35, 16, v13 :: v_dual_lshrrev_b32 v41, 16, v19
	v_or_b32_e32 v42, v3, v2
	s_delay_alu instid0(VALU_DEP_3)
	v_dual_cndmask_b32 v7, s33, v13, s1 :: v_dual_bitop2_b32 v39, v6, v4 bitop3:0x54
	v_and_b32_e32 v2, 0xffff, v5
	v_cndmask_b32_e64 v3, 0x10000, 0, vcc_lo
	v_cndmask_b32_e64 v5, 0x10000, 0, s1
	v_cmp_eq_u16_e32 vcc_lo, v22, v45
	v_cmp_eq_u16_e64 s1, v45, v23
	v_cmp_eq_u16_e64 s4, v23, v24
	v_and_b32_e32 v4, 0xffff, v7
	v_dual_cndmask_b32 v6, s33, v35, vcc_lo :: v_dual_bitop2_b32 v38, v3, v2 bitop3:0x54
	s_delay_alu instid0(VALU_DEP_4) | instskip(NEXT) | instid1(VALU_DEP_3)
	v_cndmask_b32_e64 v7, s33, v21, s1
	v_dual_cndmask_b32 v8, s33, v19, s4 :: v_dual_bitop2_b32 v37, v5, v4 bitop3:0x54
	v_cndmask_b32_e64 v9, 0x10000, 0, vcc_lo
	s_delay_alu instid0(VALU_DEP_4) | instskip(NEXT) | instid1(VALU_DEP_4)
	v_and_b32_e32 v6, 0xffff, v6
	v_and_b32_e32 v7, 0xffff, v7
	v_cndmask_b32_e64 v10, 0x10000, 0, s1
	v_and_b32_e32 v8, 0xffff, v8
	v_cndmask_b32_e64 v11, 0x10000, 0, s4
	v_or_b32_e32 v36, v9, v6
	v_cmp_ne_u16_e64 s8, v24, v1
	v_dual_mov_b32 v10, v56 :: v_dual_bitop2_b32 v35, v10, v7 bitop3:0x54
	s_delay_alu instid0(VALU_DEP_4) | instskip(NEXT) | instid1(VALU_DEP_3)
	v_dual_mov_b32 v33, v48 :: v_dual_bitop2_b32 v34, v11, v8 bitop3:0x54
	v_cndmask_b32_e64 v45, v41, s33, s8
	v_dual_mov_b32 v11, v40 :: v_dual_mov_b32 v31, v54
	v_dual_mov_b32 v30, v53 :: v_dual_mov_b32 v29, v50
	v_dual_mov_b32 v28, v49 :: v_dual_mov_b32 v27, v47
	v_dual_mov_b32 v26, v46 :: v_dual_mov_b32 v25, v44
	v_dual_mov_b32 v24, v43 :: v_dual_mov_b32 v23, v42
	v_dual_mov_b32 v22, v39 :: v_dual_mov_b32 v21, v38
	v_dual_mov_b32 v19, v37 :: v_dual_mov_b32 v17, v36
	v_dual_mov_b32 v16, v35 :: v_dual_mov_b32 v1, v34
	s_mov_b32 s5, -1
.LBB632_116:
	v_mov_b32_e32 v12, 0
	s_and_saveexec_b32 s1, s5
	s_cbranch_execz .LBB632_118
; %bb.117:
	v_and_b32_e32 v2, 0xffff, v45
	v_cndmask_b32_e64 v3, 0, 0x10000, s8
	v_dual_mov_b32 v1, v34 :: v_dual_mov_b32 v16, v35
	v_dual_mov_b32 v17, v36 :: v_dual_mov_b32 v19, v37
	s_delay_alu instid0(VALU_DEP_3)
	v_dual_mov_b32 v21, v38 :: v_dual_bitop2_b32 v12, v3, v2 bitop3:0x54
	v_dual_mov_b32 v22, v39 :: v_dual_mov_b32 v23, v42
	v_dual_mov_b32 v24, v43 :: v_dual_mov_b32 v25, v44
	;; [unrolled: 1-line block ×6, first 2 shown]
	v_mov_b32_e32 v11, v40
.LBB632_118:
	s_or_b32 exec_lo, exec_lo, s1
	v_dual_lshrrev_b32 v14, 16, v32 :: v_dual_bitop2_b32 v2, v28, v27 bitop3:0x54
	v_dual_lshrrev_b32 v34, 3, v0 :: v_dual_bitop2_b32 v3, v19, v17 bitop3:0x54
	v_cmp_ne_u32_e32 vcc_lo, 0, v18
	v_or_b32_e32 v13, v16, v1
	v_cmp_gt_u32_e64 s20, 0x10000, v11
	v_cmp_gt_u32_e64 s19, 0x10000, v10
	;; [unrolled: 1-line block ×8, first 2 shown]
	v_or3_b32 v15, v2, v29, v30
	v_cmp_gt_u32_e64 s13, 0x10000, v26
	v_cmp_gt_u32_e64 s11, 0x10000, v25
	;; [unrolled: 1-line block ×8, first 2 shown]
	v_or3_b32 v35, v3, v21, v22
	v_cmp_gt_u32_e64 s5, 0x10000, v16
	v_cmp_gt_u32_e64 s1, 0x10000, v1
	v_cmp_gt_u32_e64 s22, 0x10000, v12
	v_cmp_gt_u32_e64 s21, 32, v0
	s_barrier_signal -1
	s_barrier_wait -1
	s_cbranch_vccz .LBB632_186
; %bb.119:
	v_dual_cndmask_b32 v2, 1, v32, s20 :: v_dual_bitop2_b32 v5, 28, v34 bitop3:0x40
	v_or3_b32 v3, v35, v23, v24
	v_or3_b32 v4, v15, v31, v33
	s_delay_alu instid0(VALU_DEP_3) | instskip(NEXT) | instid1(VALU_DEP_3)
	v_mul_lo_u16 v2, v2, v11
	v_or3_b32 v3, v3, v25, v26
	s_delay_alu instid0(VALU_DEP_3) | instskip(NEXT) | instid1(VALU_DEP_3)
	v_or3_b32 v4, v4, v10, v11
	v_cndmask_b32_e64 v2, 1, v2, s19
	s_delay_alu instid0(VALU_DEP_3) | instskip(NEXT) | instid1(VALU_DEP_2)
	v_or3_b32 v3, v12, v13, v3
	v_mul_lo_u16 v2, v2, v10
	s_delay_alu instid0(VALU_DEP_2) | instskip(SKIP_1) | instid1(VALU_DEP_3)
	v_bitop3_b32 v3, v3, 0xff0000, v4 bitop3:0xc8
	v_lshl_add_u32 v4, v0, 2, v5
	v_cndmask_b32_e64 v2, 1, v2, s18
	s_delay_alu instid0(VALU_DEP_3) | instskip(NEXT) | instid1(VALU_DEP_2)
	v_cmp_eq_u32_e32 vcc_lo, 0, v3
	v_mul_lo_u16 v2, v2, v33
	v_cndmask_b32_e32 v37, 1, v14, vcc_lo
	s_delay_alu instid0(VALU_DEP_2) | instskip(NEXT) | instid1(VALU_DEP_1)
	v_cndmask_b32_e64 v2, 1, v2, s17
	v_mul_lo_u16 v2, v2, v31
	s_delay_alu instid0(VALU_DEP_1) | instskip(NEXT) | instid1(VALU_DEP_1)
	v_cndmask_b32_e64 v2, 1, v2, s16
	v_mul_lo_u16 v2, v2, v30
	s_delay_alu instid0(VALU_DEP_1) | instskip(NEXT) | instid1(VALU_DEP_1)
	;; [unrolled: 3-line block ×15, first 2 shown]
	v_cndmask_b32_e64 v2, 1, v2, s22
	v_mul_lo_u16 v36, v2, v12
	ds_store_b16 v4, v36
	ds_store_b8 v4, v37 offset:2
	s_wait_dscnt 0x0
	s_barrier_signal -1
	s_barrier_wait -1
	s_and_saveexec_b32 s22, s21
	s_cbranch_execz .LBB632_131
; %bb.120:
	v_and_b32_e32 v2, 0xfc, v0
	v_lshlrev_b32_e32 v3, 5, v0
	s_mov_b32 s31, exec_lo
	s_delay_alu instid0(VALU_DEP_1)
	v_add_nc_u32_e32 v2, v2, v3
	ds_load_u8 v4, v2 offset:6
	ds_load_b32 v3, v2
	ds_load_u16 v5, v2 offset:4
	ds_load_u8 v6, v2 offset:10
	ds_load_u16 v7, v2 offset:8
	ds_load_u16 v8, v2 offset:12
	ds_load_u8 v9, v2 offset:14
	ds_load_u16 v38, v2 offset:16
	s_wait_dscnt 0x7
	v_cmp_eq_u16_e32 vcc_lo, 0, v4
	s_wait_dscnt 0x4
	v_dual_cndmask_b32 v39, 1, v3, vcc_lo :: v_dual_bitop2_b32 v4, v6, v4 bitop3:0x54
	v_cmp_eq_u16_e32 vcc_lo, 0, v6
	s_delay_alu instid0(VALU_DEP_2) | instskip(SKIP_4) | instid1(VALU_DEP_2)
	v_mul_lo_u16 v5, v39, v5
	ds_load_u8 v39, v2 offset:18
	v_cndmask_b32_e32 v5, 1, v5, vcc_lo
	s_wait_dscnt 0x2
	v_cmp_eq_u16_e32 vcc_lo, 0, v9
	v_mul_lo_u16 v5, v5, v7
	ds_load_u8 v7, v2 offset:22
	v_cndmask_b32_e32 v5, 1, v5, vcc_lo
	s_delay_alu instid0(VALU_DEP_1)
	v_mul_lo_u16 v5, v5, v8
	ds_load_u16 v8, v2 offset:20
	ds_load_u16 v40, v2 offset:24
	ds_load_u8 v41, v2 offset:26
	ds_load_u16 v42, v2 offset:28
	ds_load_u8 v43, v2 offset:30
	s_wait_dscnt 0x6
	v_cmp_eq_u16_e32 vcc_lo, 0, v39
	v_bitop3_b16 v6, v4, v39, v9 bitop3:0xfe
	v_and_b32_e32 v4, 0x10000, v3
	v_cndmask_b32_e32 v5, 1, v5, vcc_lo
	s_wait_dscnt 0x5
	v_cmp_eq_u16_e32 vcc_lo, 0, v7
	s_wait_dscnt 0x2
	v_bitop3_b16 v6, v6, v41, v7 bitop3:0xfe
	s_wait_dscnt 0x0
	v_and_b32_e32 v7, 1, v43
	v_mul_lo_u16 v5, v5, v38
	s_delay_alu instid0(VALU_DEP_1) | instskip(SKIP_1) | instid1(VALU_DEP_2)
	v_cndmask_b32_e32 v5, 1, v5, vcc_lo
	v_cmp_eq_u16_e32 vcc_lo, 0, v41
	v_mul_lo_u16 v5, v5, v8
	s_delay_alu instid0(VALU_DEP_1) | instskip(SKIP_1) | instid1(VALU_DEP_2)
	v_cndmask_b32_e32 v5, 1, v5, vcc_lo
	v_cmp_eq_u16_e32 vcc_lo, 0, v43
	;; [unrolled: 4-line block ×3, first 2 shown]
	v_mul_lo_u16 v6, v5, v42
	v_cndmask_b32_e32 v8, 0x10000, v4, vcc_lo
	v_cmp_eq_u32_e32 vcc_lo, 1, v7
	v_and_b32_e32 v5, 0xff000000, v3
	v_mbcnt_lo_u32_b32 v7, -1, 0
	v_and_b32_e32 v9, 0xffff, v6
	v_cndmask_b32_e64 v8, v8, 0x10000, vcc_lo
	s_delay_alu instid0(VALU_DEP_1) | instskip(NEXT) | instid1(VALU_DEP_3)
	v_or_b32_e32 v38, v8, v5
	v_or3_b32 v39, v5, v9, v8
	s_delay_alu instid0(VALU_DEP_2) | instskip(NEXT) | instid1(VALU_DEP_2)
	v_dual_lshrrev_b32 v9, 16, v38 :: v_dual_bitop2_b32 v8, 15, v7 bitop3:0x40
	v_mov_b32_dpp v40, v39 row_shr:1 row_mask:0xf bank_mask:0xf
	s_delay_alu instid0(VALU_DEP_2)
	v_cmpx_ne_u32_e32 0, v8
	s_cbranch_execz .LBB632_122
; %bb.121:
	s_delay_alu instid0(VALU_DEP_2) | instskip(SKIP_1) | instid1(VALU_DEP_2)
	v_dual_lshrrev_b32 v9, 16, v38 :: v_dual_lshrrev_b32 v39, 16, v40
	v_and_b32_e32 v38, 0x10000, v38
	v_and_b32_e32 v9, 0xff, v9
	s_delay_alu instid0(VALU_DEP_1) | instskip(NEXT) | instid1(VALU_DEP_4)
	v_cmp_eq_u16_e32 vcc_lo, 0, v9
	v_dual_cndmask_b32 v40, 1, v40, vcc_lo :: v_dual_bitop2_b32 v39, 1, v39 bitop3:0x40
	s_delay_alu instid0(VALU_DEP_4) | instskip(NEXT) | instid1(VALU_DEP_2)
	v_cmp_ne_u32_e32 vcc_lo, 0, v38
	v_mul_lo_u16 v6, v40, v6
	s_delay_alu instid0(VALU_DEP_3) | instskip(NEXT) | instid1(VALU_DEP_2)
	v_cndmask_b32_e64 v9, v39, 1, vcc_lo
	v_and_b32_e32 v39, 0xffff, v6
	s_delay_alu instid0(VALU_DEP_2) | instskip(NEXT) | instid1(VALU_DEP_1)
	v_lshlrev_b32_e32 v38, 16, v9
	v_or3_b32 v39, v38, v39, v5
.LBB632_122:
	s_or_b32 exec_lo, exec_lo, s31
	s_delay_alu instid0(VALU_DEP_1)
	v_lshrrev_b32_e32 v38, 16, v39
	v_mov_b32_dpp v40, v39 row_shr:2 row_mask:0xf bank_mask:0xf
	s_mov_b32 s31, exec_lo
	v_cmpx_lt_u32_e32 1, v8
	s_cbranch_execz .LBB632_124
; %bb.123:
	v_and_b32_e32 v38, 0xff, v38
	v_and_b32_e32 v39, 0x10000, v39
	s_delay_alu instid0(VALU_DEP_2) | instskip(SKIP_1) | instid1(VALU_DEP_1)
	v_cmp_eq_u16_e32 vcc_lo, 0, v38
	v_dual_cndmask_b32 v38, 1, v40 :: v_dual_lshrrev_b32 v9, 16, v40
	v_and_b32_e32 v9, 1, v9
	s_delay_alu instid0(VALU_DEP_4) | instskip(NEXT) | instid1(VALU_DEP_3)
	v_cmp_ne_u32_e32 vcc_lo, 0, v39
	v_mul_lo_u16 v6, v38, v6
	s_delay_alu instid0(VALU_DEP_3) | instskip(NEXT) | instid1(VALU_DEP_2)
	v_cndmask_b32_e64 v9, v9, 1, vcc_lo
	v_and_b32_e32 v39, 0xffff, v6
	s_delay_alu instid0(VALU_DEP_2) | instskip(NEXT) | instid1(VALU_DEP_1)
	v_lshlrev_b32_e32 v38, 16, v9
	v_or3_b32 v39, v38, v39, v5
	v_mov_b32_e32 v38, v9
.LBB632_124:
	s_or_b32 exec_lo, exec_lo, s31
	s_delay_alu instid0(VALU_DEP_2)
	v_mov_b32_dpp v40, v39 row_shr:4 row_mask:0xf bank_mask:0xf
	s_mov_b32 s31, exec_lo
	v_cmpx_lt_u32_e32 3, v8
	s_cbranch_execz .LBB632_126
; %bb.125:
	v_and_b32_e32 v39, 0xff, v38
	v_dual_lshrrev_b32 v9, 16, v40 :: v_dual_bitop2_b32 v38, 1, v38 bitop3:0x40
	s_delay_alu instid0(VALU_DEP_2) | instskip(NEXT) | instid1(VALU_DEP_2)
	v_cmp_eq_u16_e32 vcc_lo, 0, v39
	v_dual_cndmask_b32 v39, 1, v40, vcc_lo :: v_dual_bitop2_b32 v9, 1, v9 bitop3:0x40
	s_delay_alu instid0(VALU_DEP_3) | instskip(NEXT) | instid1(VALU_DEP_2)
	v_cmp_eq_u32_e32 vcc_lo, 1, v38
	v_mul_lo_u16 v6, v39, v6
	s_delay_alu instid0(VALU_DEP_3) | instskip(NEXT) | instid1(VALU_DEP_2)
	v_cndmask_b32_e64 v9, v9, 1, vcc_lo
	v_and_b32_e32 v39, 0xffff, v6
	s_delay_alu instid0(VALU_DEP_2) | instskip(NEXT) | instid1(VALU_DEP_1)
	v_lshlrev_b32_e32 v38, 16, v9
	v_or3_b32 v39, v38, v39, v5
	v_mov_b32_e32 v38, v9
.LBB632_126:
	s_or_b32 exec_lo, exec_lo, s31
	s_delay_alu instid0(VALU_DEP_2)
	v_mov_b32_dpp v40, v39 row_shr:8 row_mask:0xf bank_mask:0xf
	s_mov_b32 s31, exec_lo
	v_cmpx_lt_u32_e32 7, v8
	s_cbranch_execz .LBB632_128
; %bb.127:
	v_and_b32_e32 v9, 0xff, v38
	v_dual_lshrrev_b32 v8, 16, v40 :: v_dual_bitop2_b32 v38, 1, v38 bitop3:0x40
	s_delay_alu instid0(VALU_DEP_2) | instskip(NEXT) | instid1(VALU_DEP_2)
	v_cmp_eq_u16_e32 vcc_lo, 0, v9
	v_and_b32_e32 v8, 1, v8
	v_cndmask_b32_e32 v39, 1, v40, vcc_lo
	s_delay_alu instid0(VALU_DEP_4) | instskip(NEXT) | instid1(VALU_DEP_3)
	v_cmp_eq_u32_e32 vcc_lo, 1, v38
	v_cndmask_b32_e64 v9, v8, 1, vcc_lo
	s_delay_alu instid0(VALU_DEP_1) | instskip(NEXT) | instid1(VALU_DEP_4)
	v_lshlrev_b32_e32 v8, 16, v9
	v_mul_lo_u16 v6, v39, v6
	s_delay_alu instid0(VALU_DEP_1) | instskip(NEXT) | instid1(VALU_DEP_1)
	v_and_b32_e32 v38, 0xffff, v6
	v_or3_b32 v39, v8, v38, v5
	v_mov_b32_e32 v38, v9
.LBB632_128:
	s_or_b32 exec_lo, exec_lo, s31
	ds_swizzle_b32 v8, v39 offset:swizzle(BROADCAST,32,15)
	v_and_b32_e32 v39, 16, v7
	s_mov_b32 s31, exec_lo
	s_delay_alu instid0(VALU_DEP_1)
	v_cmpx_ne_u32_e32 0, v39
	s_cbranch_execz .LBB632_130
; %bb.129:
	v_and_b32_e32 v9, 0xff, v38
	s_delay_alu instid0(VALU_DEP_1) | instskip(SKIP_2) | instid1(VALU_DEP_1)
	v_cmp_eq_u16_e32 vcc_lo, 0, v9
	s_wait_dscnt 0x0
	v_dual_lshrrev_b32 v39, 16, v8 :: v_dual_bitop2_b32 v9, 1, v38 bitop3:0x40
	v_dual_cndmask_b32 v8, 1, v8, vcc_lo :: v_dual_bitop2_b32 v38, 1, v39 bitop3:0x40
	s_delay_alu instid0(VALU_DEP_2) | instskip(NEXT) | instid1(VALU_DEP_2)
	v_cmp_eq_u32_e32 vcc_lo, 1, v9
	v_mul_lo_u16 v6, v8, v6
	s_delay_alu instid0(VALU_DEP_3)
	v_cndmask_b32_e64 v9, v38, 1, vcc_lo
.LBB632_130:
	s_or_b32 exec_lo, exec_lo, s31
	s_wait_dscnt 0x0
	s_delay_alu instid0(VALU_DEP_1) | instskip(SKIP_2) | instid1(VALU_DEP_3)
	v_and_b32_e32 v8, 0xff, v9
	v_add_nc_u32_e32 v9, -1, v7
	v_and_b32_e32 v6, 0xffff, v6
	; wave barrier
	v_lshlrev_b32_e32 v8, 16, v8
	s_delay_alu instid0(VALU_DEP_3) | instskip(NEXT) | instid1(VALU_DEP_2)
	v_cmp_gt_i32_e32 vcc_lo, 0, v9
	v_or3_b32 v5, v8, v6, v5
	v_cndmask_b32_e32 v7, v9, v7, vcc_lo
	s_delay_alu instid0(VALU_DEP_1) | instskip(SKIP_2) | instid1(VALU_DEP_1)
	v_lshlrev_b32_e32 v6, 2, v7
	ds_bpermute_b32 v5, v6, v5
	v_and_b32_e32 v6, 0xff0000, v3
	v_cmp_eq_u32_e32 vcc_lo, 0, v6
	s_wait_dscnt 0x0
	v_dual_lshrrev_b32 v7, 16, v5 :: v_dual_cndmask_b32 v5, 1, v5, vcc_lo
	v_cmp_eq_u32_e32 vcc_lo, 0, v4
	s_delay_alu instid0(VALU_DEP_2) | instskip(NEXT) | instid1(VALU_DEP_1)
	v_mul_lo_u16 v3, v5, v3
	v_dual_cndmask_b32 v3, v3, v36, s2 :: v_dual_bitop2_b32 v6, 1, v7 bitop3:0x40
	s_delay_alu instid0(VALU_DEP_1) | instskip(NEXT) | instid1(VALU_DEP_1)
	v_cndmask_b32_e32 v4, 1, v6, vcc_lo
	v_cndmask_b32_e64 v4, v4, v37, s2
	ds_store_b16 v2, v3
	ds_store_b8 v2, v4 offset:2
	; wave barrier
	ds_load_u8 v5, v2 offset:6
	ds_load_u16 v6, v2 offset:4
	ds_load_u8 v7, v2 offset:10
	ds_load_u16 v8, v2 offset:8
	ds_load_u16 v9, v2 offset:12
	ds_load_u8 v38, v2 offset:14
	ds_load_u16 v39, v2 offset:16
	ds_load_u8 v40, v2 offset:18
	s_wait_dscnt 0x7
	v_cmp_eq_u16_e32 vcc_lo, 0, v5
	v_cndmask_b32_e32 v3, 1, v3, vcc_lo
	s_wait_dscnt 0x5
	v_cmp_eq_u16_e32 vcc_lo, 0, v7
	s_delay_alu instid0(VALU_DEP_2) | instskip(NEXT) | instid1(VALU_DEP_1)
	v_mul_lo_u16 v3, v3, v6
	v_cndmask_b32_e32 v6, 1, v3, vcc_lo
	s_wait_dscnt 0x2
	v_cmp_eq_u16_e32 vcc_lo, 0, v38
	s_delay_alu instid0(VALU_DEP_2)
	v_mul_lo_u16 v6, v6, v8
	v_and_b32_e32 v5, 1, v5
	ds_load_u8 v8, v2 offset:22
	ds_load_u16 v42, v2 offset:20
	ds_load_u8 v43, v2 offset:26
	ds_load_u8 v44, v2 offset:30
	v_cndmask_b32_e32 v41, 1, v6, vcc_lo
	v_cmp_eq_u32_e32 vcc_lo, 1, v5
	v_and_b32_e32 v5, 1, v38
	s_delay_alu instid0(VALU_DEP_3)
	v_mul_lo_u16 v9, v41, v9
	v_cndmask_b32_e64 v4, v4, 1, vcc_lo
	s_wait_dscnt 0x4
	v_cmp_eq_u16_e32 vcc_lo, 0, v40
	v_and_b32_e32 v7, 1, v7
	ds_load_u16 v41, v2 offset:24
	ds_load_u16 v45, v2 offset:28
	v_cndmask_b32_e32 v38, 1, v9, vcc_lo
	v_cmp_eq_u32_e32 vcc_lo, 1, v7
	s_delay_alu instid0(VALU_DEP_2)
	v_mul_lo_u16 v38, v38, v39
	v_cndmask_b32_e64 v7, v4, 1, vcc_lo
	v_cmp_eq_u32_e32 vcc_lo, 1, v5
	v_and_b32_e32 v39, 1, v40
	s_wait_dscnt 0x2
	v_and_b32_e32 v46, 1, v44
	v_cndmask_b32_e64 v5, v7, 1, vcc_lo
	v_cmp_eq_u16_e32 vcc_lo, 0, v8
	v_dual_cndmask_b32 v40, 1, v38, vcc_lo :: v_dual_bitop2_b32 v8, 1, v8 bitop3:0x40
	v_cmp_eq_u32_e32 vcc_lo, 1, v39
	s_delay_alu instid0(VALU_DEP_2) | instskip(SKIP_1) | instid1(VALU_DEP_4)
	v_mul_lo_u16 v40, v40, v42
	v_cndmask_b32_e64 v39, v5, 1, vcc_lo
	v_cmp_eq_u32_e32 vcc_lo, 1, v8
	v_and_b32_e32 v42, 1, v43
	ds_store_b16 v2, v3 offset:4
	ds_store_b8 v2, v4 offset:6
	ds_store_b16 v2, v6 offset:8
	ds_store_b8 v2, v7 offset:10
	;; [unrolled: 2-line block ×4, first 2 shown]
	v_cndmask_b32_e64 v8, v39, 1, vcc_lo
	v_cmp_eq_u16_e32 vcc_lo, 0, v43
	v_cndmask_b32_e32 v43, 1, v40, vcc_lo
	v_cmp_eq_u32_e32 vcc_lo, 1, v42
	s_wait_dscnt 0x9
	s_delay_alu instid0(VALU_DEP_2) | instskip(SKIP_2) | instid1(VALU_DEP_2)
	v_mul_lo_u16 v41, v43, v41
	v_cndmask_b32_e64 v42, v8, 1, vcc_lo
	v_cmp_eq_u32_e32 vcc_lo, 1, v46
	v_cndmask_b32_e64 v43, v42, 1, vcc_lo
	v_cmp_eq_u16_e32 vcc_lo, 0, v44
	v_cndmask_b32_e32 v44, 1, v41, vcc_lo
	s_wait_dscnt 0x8
	s_delay_alu instid0(VALU_DEP_1)
	v_mul_lo_u16 v3, v44, v45
	ds_store_b16 v2, v40 offset:20
	ds_store_b8 v2, v8 offset:22
	ds_store_b16 v2, v41 offset:24
	ds_store_b8 v2, v42 offset:26
	;; [unrolled: 2-line block ×3, first 2 shown]
.LBB632_131:
	s_or_b32 exec_lo, exec_lo, s22
	s_wait_dscnt 0x0
	s_barrier_signal -1
	s_barrier_wait -1
	s_and_saveexec_b32 s22, s3
	s_cbranch_execz .LBB632_133
; %bb.132:
	v_add_nc_u32_e32 v2, -1, v0
	s_delay_alu instid0(VALU_DEP_1) | instskip(NEXT) | instid1(VALU_DEP_1)
	v_lshrrev_b32_e32 v3, 3, v2
	v_and_b32_e32 v3, 0x1ffffffc, v3
	s_delay_alu instid0(VALU_DEP_1)
	v_lshl_add_u32 v2, v2, 2, v3
	ds_load_u16 v36, v2
	ds_load_u8 v37, v2 offset:2
.LBB632_133:
	s_or_b32 exec_lo, exec_lo, s22
	s_and_saveexec_b32 s22, s21
	s_cbranch_execz .LBB632_263
; %bb.134:
	v_dual_mov_b32 v9, 0 :: v_dual_add_nc_u32 v38, 32, v18
	v_mbcnt_lo_u32_b32 v39, -1, 0
	ds_load_b32 v2, v9 offset:1048
	v_cmp_eq_u32_e64 s21, 0, v39
	s_and_saveexec_b32 s31, s21
	s_cbranch_execz .LBB632_136
; %bb.135:
	v_mov_b32_e32 v3, 1
	s_wait_dscnt 0x0
	global_store_b64 v38, v[2:3], s[28:29] scale_offset scope:SCOPE_DEV
.LBB632_136:
	s_wait_xcnt 0x0
	s_or_b32 exec_lo, exec_lo, s31
	v_xad_u32 v4, v39, -1, v18
	s_mov_b32 s31, exec_lo
	s_delay_alu instid0(VALU_DEP_1) | instskip(SKIP_4) | instid1(VALU_DEP_1)
	v_add_nc_u32_e32 v8, 32, v4
	global_load_b64 v[6:7], v8, s[28:29] scale_offset scope:SCOPE_DEV
	s_wait_loadcnt 0x0
	v_and_b32_e32 v3, 0xff, v7
	s_wait_xcnt 0x0
	v_cmpx_eq_u16_e32 0, v3
	s_cbranch_execz .LBB632_140
; %bb.137:
	v_lshl_add_u64 v[8:9], v[8:9], 3, s[28:29]
	s_mov_b32 s36, 0
.LBB632_138:                            ; =>This Inner Loop Header: Depth=1
	global_load_b64 v[6:7], v[8:9], off scope:SCOPE_DEV
	s_wait_loadcnt 0x0
	v_and_b32_e32 v3, 0xff, v7
	s_delay_alu instid0(VALU_DEP_1)
	v_cmp_ne_u16_e32 vcc_lo, 0, v3
	s_or_b32 s36, vcc_lo, s36
	s_wait_xcnt 0x0
	s_and_not1_b32 exec_lo, exec_lo, s36
	s_cbranch_execnz .LBB632_138
; %bb.139:
	s_or_b32 exec_lo, exec_lo, s36
.LBB632_140:
	s_delay_alu instid0(SALU_CYCLE_1)
	s_or_b32 exec_lo, exec_lo, s31
	v_cmp_ne_u32_e32 vcc_lo, 31, v39
	v_and_b32_e32 v47, 0xffffff, v6
	v_and_b32_e32 v5, 0xff, v7
	v_lshlrev_b32_e64 v18, v39, -1
	v_bfe_u32 v9, v6, 16, 8
	v_add_co_ci_u32_e64 v3, null, 0, v39, vcc_lo
	s_delay_alu instid0(VALU_DEP_4) | instskip(SKIP_1) | instid1(VALU_DEP_2)
	v_cmp_eq_u16_e32 vcc_lo, 2, v5
	s_mov_b32 s31, exec_lo
	v_dual_lshrrev_b32 v8, 16, v6 :: v_dual_lshlrev_b32 v3, 2, v3
	v_and_or_b32 v5, vcc_lo, v18, 0x80000000
	ds_bpermute_b32 v40, v3, v47
	v_ctz_i32_b32_e32 v5, v5
	s_delay_alu instid0(VALU_DEP_1)
	v_cmpx_lt_u32_e64 v39, v5
	s_cbranch_execz .LBB632_142
; %bb.141:
	v_and_b32_e32 v8, 0xff0000, v6
	s_delay_alu instid0(VALU_DEP_1) | instskip(SKIP_3) | instid1(VALU_DEP_1)
	v_and_b32_e32 v41, 0x10000, v8
	v_cmp_eq_u32_e32 vcc_lo, 0, v8
	s_wait_dscnt 0x0
	v_dual_cndmask_b32 v40, 1, v40 :: v_dual_lshrrev_b32 v9, 16, v40
	v_and_b32_e32 v9, 1, v9
	v_cmp_ne_u32_e32 vcc_lo, 0, v41
	s_delay_alu instid0(VALU_DEP_3) | instskip(NEXT) | instid1(VALU_DEP_3)
	v_mul_lo_u16 v6, v40, v6
	v_cndmask_b32_e64 v8, v9, 1, vcc_lo
	s_delay_alu instid0(VALU_DEP_2) | instskip(NEXT) | instid1(VALU_DEP_2)
	v_and_b32_e32 v40, 0xffff, v6
	v_lshlrev_b32_e32 v9, 16, v8
	s_delay_alu instid0(VALU_DEP_1)
	v_dual_mov_b32 v9, v8 :: v_dual_bitop2_b32 v47, v9, v40 bitop3:0x54
.LBB632_142:
	s_or_b32 exec_lo, exec_lo, s31
	v_cmp_gt_u32_e32 vcc_lo, 30, v39
	v_add_nc_u32_e32 v41, 2, v39
	s_mov_b32 s31, exec_lo
	s_wait_dscnt 0x0
	v_cndmask_b32_e64 v40, 0, 2, vcc_lo
	s_delay_alu instid0(VALU_DEP_1)
	v_add_lshl_u32 v40, v40, v39, 2
	ds_bpermute_b32 v42, v40, v47
	v_cmpx_le_u32_e64 v41, v5
	s_cbranch_execz .LBB632_144
; %bb.143:
	v_cmp_eq_u16_e32 vcc_lo, 0, v9
	s_wait_dscnt 0x0
	v_dual_lshrrev_b32 v8, 16, v42 :: v_dual_bitop2_b32 v9, 1, v9 bitop3:0x40
	s_delay_alu instid0(VALU_DEP_1) | instskip(NEXT) | instid1(VALU_DEP_2)
	v_dual_cndmask_b32 v42, 1, v42, vcc_lo :: v_dual_bitop2_b32 v8, 1, v8 bitop3:0x40
	v_cmp_eq_u32_e32 vcc_lo, 1, v9
	s_delay_alu instid0(VALU_DEP_2) | instskip(NEXT) | instid1(VALU_DEP_3)
	v_mul_lo_u16 v6, v42, v6
	v_cndmask_b32_e64 v8, v8, 1, vcc_lo
	s_delay_alu instid0(VALU_DEP_2) | instskip(NEXT) | instid1(VALU_DEP_2)
	v_and_b32_e32 v9, 0xffff, v6
	v_lshlrev_b32_e32 v42, 16, v8
	s_delay_alu instid0(VALU_DEP_1)
	v_dual_mov_b32 v9, v8 :: v_dual_bitop2_b32 v47, v42, v9 bitop3:0x54
.LBB632_144:
	s_or_b32 exec_lo, exec_lo, s31
	v_cmp_gt_u32_e32 vcc_lo, 28, v39
	v_add_nc_u32_e32 v43, 4, v39
	s_mov_b32 s31, exec_lo
	s_wait_dscnt 0x0
	v_cndmask_b32_e64 v42, 0, 4, vcc_lo
	s_delay_alu instid0(VALU_DEP_1)
	v_add_lshl_u32 v42, v42, v39, 2
	ds_bpermute_b32 v44, v42, v47
	v_cmpx_le_u32_e64 v43, v5
	s_cbranch_execz .LBB632_146
; %bb.145:
	v_cmp_eq_u16_e32 vcc_lo, 0, v9
	s_wait_dscnt 0x0
	v_dual_lshrrev_b32 v8, 16, v44 :: v_dual_bitop2_b32 v9, 1, v9 bitop3:0x40
	v_cndmask_b32_e32 v44, 1, v44, vcc_lo
	s_delay_alu instid0(VALU_DEP_2) | instskip(NEXT) | instid1(VALU_DEP_3)
	v_and_b32_e32 v8, 1, v8
	v_cmp_eq_u32_e32 vcc_lo, 1, v9
	s_delay_alu instid0(VALU_DEP_3) | instskip(NEXT) | instid1(VALU_DEP_3)
	v_mul_lo_u16 v6, v44, v6
	v_cndmask_b32_e64 v8, v8, 1, vcc_lo
	s_delay_alu instid0(VALU_DEP_2) | instskip(NEXT) | instid1(VALU_DEP_2)
	v_and_b32_e32 v9, 0xffff, v6
	v_lshlrev_b32_e32 v44, 16, v8
	s_delay_alu instid0(VALU_DEP_1)
	v_or_b32_e32 v47, v44, v9
	v_mov_b32_e32 v9, v8
.LBB632_146:
	s_or_b32 exec_lo, exec_lo, s31
	v_cmp_gt_u32_e32 vcc_lo, 24, v39
	v_add_nc_u32_e32 v45, 8, v39
	s_mov_b32 s31, exec_lo
	s_wait_dscnt 0x0
	v_cndmask_b32_e64 v44, 0, 8, vcc_lo
	s_delay_alu instid0(VALU_DEP_1)
	v_add_lshl_u32 v44, v44, v39, 2
	ds_bpermute_b32 v46, v44, v47
	v_cmpx_le_u32_e64 v45, v5
	s_cbranch_execz .LBB632_148
; %bb.147:
	v_cmp_eq_u16_e32 vcc_lo, 0, v9
	s_wait_dscnt 0x0
	v_dual_lshrrev_b32 v8, 16, v46 :: v_dual_bitop2_b32 v9, 1, v9 bitop3:0x40
	s_delay_alu instid0(VALU_DEP_1) | instskip(NEXT) | instid1(VALU_DEP_2)
	v_dual_cndmask_b32 v46, 1, v46, vcc_lo :: v_dual_bitop2_b32 v8, 1, v8 bitop3:0x40
	v_cmp_eq_u32_e32 vcc_lo, 1, v9
	s_delay_alu instid0(VALU_DEP_2) | instskip(NEXT) | instid1(VALU_DEP_3)
	v_mul_lo_u16 v6, v46, v6
	v_cndmask_b32_e64 v8, v8, 1, vcc_lo
	s_delay_alu instid0(VALU_DEP_2) | instskip(NEXT) | instid1(VALU_DEP_2)
	v_and_b32_e32 v9, 0xffff, v6
	v_lshlrev_b32_e32 v46, 16, v8
	s_delay_alu instid0(VALU_DEP_1)
	v_dual_mov_b32 v9, v8 :: v_dual_bitop2_b32 v47, v46, v9 bitop3:0x54
.LBB632_148:
	s_or_b32 exec_lo, exec_lo, s31
	s_wait_dscnt 0x0
	v_lshl_or_b32 v46, v39, 2, 64
	s_mov_b32 s31, exec_lo
	ds_bpermute_b32 v48, v46, v47
	v_add_nc_u32_e32 v47, 16, v39
	s_delay_alu instid0(VALU_DEP_1)
	v_cmpx_le_u32_e64 v47, v5
	s_cbranch_execz .LBB632_150
; %bb.149:
	v_cmp_eq_u16_e32 vcc_lo, 0, v9
	s_wait_dscnt 0x0
	v_dual_lshrrev_b32 v5, 16, v48 :: v_dual_bitop2_b32 v9, 1, v9 bitop3:0x40
	s_delay_alu instid0(VALU_DEP_1) | instskip(NEXT) | instid1(VALU_DEP_2)
	v_dual_cndmask_b32 v8, 1, v48, vcc_lo :: v_dual_bitop2_b32 v5, 1, v5 bitop3:0x40
	v_cmp_eq_u32_e32 vcc_lo, 1, v9
	s_delay_alu instid0(VALU_DEP_2) | instskip(NEXT) | instid1(VALU_DEP_3)
	v_mul_lo_u16 v6, v8, v6
	v_cndmask_b32_e64 v8, v5, 1, vcc_lo
.LBB632_150:
	s_or_b32 exec_lo, exec_lo, s31
	v_mov_b32_e32 v5, 0
	s_branch .LBB632_153
.LBB632_151:                            ;   in Loop: Header=BB632_153 Depth=1
	s_or_b32 exec_lo, exec_lo, s31
	v_and_b32_e32 v8, 0xff, v48
	s_delay_alu instid0(VALU_DEP_2) | instskip(SKIP_2) | instid1(VALU_DEP_3)
	v_and_b32_e32 v9, 1, v9
	v_subrev_nc_u32_e32 v4, 32, v4
	s_mov_b32 s31, 0
	v_cmp_eq_u16_e32 vcc_lo, 0, v8
	v_dual_cndmask_b32 v6, 1, v6, vcc_lo :: v_dual_bitop2_b32 v8, 1, v48 bitop3:0x40
	s_delay_alu instid0(VALU_DEP_1) | instskip(NEXT) | instid1(VALU_DEP_2)
	v_cmp_eq_u32_e32 vcc_lo, 1, v8
	v_mul_lo_u16 v6, v6, v49
	v_cndmask_b32_e64 v8, v9, 1, vcc_lo
.LBB632_152:                            ;   in Loop: Header=BB632_153 Depth=1
	s_and_b32 vcc_lo, exec_lo, s31
	s_cbranch_vccnz .LBB632_259
.LBB632_153:                            ; =>This Loop Header: Depth=1
                                        ;     Child Loop BB632_156 Depth 2
	v_and_b32_e32 v7, 0xff, v7
	s_wait_dscnt 0x0
	v_dual_mov_b32 v48, v8 :: v_dual_mov_b32 v49, v6
	s_mov_b32 s31, -1
                                        ; implicit-def: $vgpr8
	s_delay_alu instid0(VALU_DEP_2)
	v_cmp_ne_u16_e32 vcc_lo, 2, v7
                                        ; implicit-def: $vgpr6
	s_cmp_lg_u32 vcc_lo, exec_lo
	s_cbranch_scc1 .LBB632_152
; %bb.154:                              ;   in Loop: Header=BB632_153 Depth=1
	global_load_b64 v[6:7], v4, s[28:29] scale_offset scope:SCOPE_DEV
	s_mov_b32 s31, exec_lo
	s_wait_loadcnt 0x0
	v_and_b32_e32 v8, 0xff, v7
	s_wait_xcnt 0x0
	s_delay_alu instid0(VALU_DEP_1)
	v_cmpx_eq_u16_e32 0, v8
	s_cbranch_execz .LBB632_158
; %bb.155:                              ;   in Loop: Header=BB632_153 Depth=1
	v_lshl_add_u64 v[8:9], v[4:5], 3, s[28:29]
	s_mov_b32 s36, 0
.LBB632_156:                            ;   Parent Loop BB632_153 Depth=1
                                        ; =>  This Inner Loop Header: Depth=2
	global_load_b64 v[6:7], v[8:9], off scope:SCOPE_DEV
	s_wait_loadcnt 0x0
	v_and_b32_e32 v50, 0xff, v7
	s_delay_alu instid0(VALU_DEP_1)
	v_cmp_ne_u16_e32 vcc_lo, 0, v50
	s_or_b32 s36, vcc_lo, s36
	s_wait_xcnt 0x0
	s_and_not1_b32 exec_lo, exec_lo, s36
	s_cbranch_execnz .LBB632_156
; %bb.157:                              ;   in Loop: Header=BB632_153 Depth=1
	s_or_b32 exec_lo, exec_lo, s36
.LBB632_158:                            ;   in Loop: Header=BB632_153 Depth=1
	s_delay_alu instid0(SALU_CYCLE_1)
	s_or_b32 exec_lo, exec_lo, s31
	v_and_b32_e32 v51, 0xffffff, v6
	v_and_b32_e32 v8, 0xff, v7
	v_lshrrev_b32_e32 v9, 16, v6
	v_bfe_u32 v50, v6, 16, 8
	s_mov_b32 s31, exec_lo
	ds_bpermute_b32 v52, v3, v51
	v_cmp_eq_u16_e32 vcc_lo, 2, v8
	v_and_or_b32 v8, vcc_lo, v18, 0x80000000
	s_delay_alu instid0(VALU_DEP_1) | instskip(NEXT) | instid1(VALU_DEP_1)
	v_ctz_i32_b32_e32 v8, v8
	v_cmpx_lt_u32_e64 v39, v8
	s_cbranch_execz .LBB632_160
; %bb.159:                              ;   in Loop: Header=BB632_153 Depth=1
	v_and_b32_e32 v9, 0xff0000, v6
	s_delay_alu instid0(VALU_DEP_1) | instskip(SKIP_3) | instid1(VALU_DEP_1)
	v_and_b32_e32 v51, 0x10000, v9
	v_cmp_eq_u32_e32 vcc_lo, 0, v9
	s_wait_dscnt 0x0
	v_dual_lshrrev_b32 v50, 16, v52 :: v_dual_cndmask_b32 v52, 1, v52, vcc_lo
	v_and_b32_e32 v50, 1, v50
	v_cmp_ne_u32_e32 vcc_lo, 0, v51
	s_delay_alu instid0(VALU_DEP_3) | instskip(NEXT) | instid1(VALU_DEP_3)
	v_mul_lo_u16 v6, v52, v6
	v_cndmask_b32_e64 v9, v50, 1, vcc_lo
	s_delay_alu instid0(VALU_DEP_2) | instskip(NEXT) | instid1(VALU_DEP_2)
	v_and_b32_e32 v51, 0xffff, v6
	v_lshlrev_b32_e32 v50, 16, v9
	s_delay_alu instid0(VALU_DEP_1)
	v_dual_mov_b32 v50, v9 :: v_dual_bitop2_b32 v51, v50, v51 bitop3:0x54
.LBB632_160:                            ;   in Loop: Header=BB632_153 Depth=1
	s_or_b32 exec_lo, exec_lo, s31
	s_wait_dscnt 0x0
	ds_bpermute_b32 v52, v40, v51
	s_mov_b32 s31, exec_lo
	v_cmpx_le_u32_e64 v41, v8
	s_cbranch_execz .LBB632_162
; %bb.161:                              ;   in Loop: Header=BB632_153 Depth=1
	v_cmp_eq_u16_e32 vcc_lo, 0, v50
	s_wait_dscnt 0x0
	v_dual_lshrrev_b32 v9, 16, v52 :: v_dual_bitop2_b32 v50, 1, v50 bitop3:0x40
	s_delay_alu instid0(VALU_DEP_1) | instskip(NEXT) | instid1(VALU_DEP_2)
	v_dual_cndmask_b32 v51, 1, v52, vcc_lo :: v_dual_bitop2_b32 v9, 1, v9 bitop3:0x40
	v_cmp_eq_u32_e32 vcc_lo, 1, v50
	s_delay_alu instid0(VALU_DEP_2) | instskip(NEXT) | instid1(VALU_DEP_3)
	v_mul_lo_u16 v6, v51, v6
	v_cndmask_b32_e64 v9, v9, 1, vcc_lo
	s_delay_alu instid0(VALU_DEP_2) | instskip(NEXT) | instid1(VALU_DEP_2)
	v_and_b32_e32 v50, 0xffff, v6
	v_lshlrev_b32_e32 v51, 16, v9
	s_delay_alu instid0(VALU_DEP_1)
	v_dual_mov_b32 v50, v9 :: v_dual_bitop2_b32 v51, v51, v50 bitop3:0x54
.LBB632_162:                            ;   in Loop: Header=BB632_153 Depth=1
	s_or_b32 exec_lo, exec_lo, s31
	s_wait_dscnt 0x0
	ds_bpermute_b32 v52, v42, v51
	s_mov_b32 s31, exec_lo
	v_cmpx_le_u32_e64 v43, v8
	s_cbranch_execz .LBB632_164
; %bb.163:                              ;   in Loop: Header=BB632_153 Depth=1
	v_cmp_eq_u16_e32 vcc_lo, 0, v50
	s_wait_dscnt 0x0
	v_dual_lshrrev_b32 v9, 16, v52 :: v_dual_bitop2_b32 v50, 1, v50 bitop3:0x40
	s_delay_alu instid0(VALU_DEP_1) | instskip(NEXT) | instid1(VALU_DEP_2)
	v_dual_cndmask_b32 v51, 1, v52, vcc_lo :: v_dual_bitop2_b32 v9, 1, v9 bitop3:0x40
	v_cmp_eq_u32_e32 vcc_lo, 1, v50
	s_delay_alu instid0(VALU_DEP_2) | instskip(NEXT) | instid1(VALU_DEP_3)
	v_mul_lo_u16 v6, v51, v6
	v_cndmask_b32_e64 v9, v9, 1, vcc_lo
	s_delay_alu instid0(VALU_DEP_2) | instskip(NEXT) | instid1(VALU_DEP_2)
	v_and_b32_e32 v50, 0xffff, v6
	v_lshlrev_b32_e32 v51, 16, v9
	s_delay_alu instid0(VALU_DEP_1)
	v_dual_mov_b32 v50, v9 :: v_dual_bitop2_b32 v51, v51, v50 bitop3:0x54
.LBB632_164:                            ;   in Loop: Header=BB632_153 Depth=1
	;; [unrolled: 22-line block ×3, first 2 shown]
	s_or_b32 exec_lo, exec_lo, s31
	ds_bpermute_b32 v51, v46, v51
	s_mov_b32 s31, exec_lo
	v_cmpx_le_u32_e64 v47, v8
	s_cbranch_execz .LBB632_151
; %bb.167:                              ;   in Loop: Header=BB632_153 Depth=1
	v_cmp_eq_u16_e32 vcc_lo, 0, v50
	s_wait_dscnt 0x0
	v_dual_lshrrev_b32 v50, 16, v51 :: v_dual_bitop2_b32 v9, 1, v50 bitop3:0x40
	v_cndmask_b32_e32 v8, 1, v51, vcc_lo
	s_delay_alu instid0(VALU_DEP_2) | instskip(NEXT) | instid1(VALU_DEP_2)
	v_cmp_eq_u32_e32 vcc_lo, 1, v9
	v_mul_lo_u16 v6, v8, v6
	s_delay_alu instid0(VALU_DEP_4)
	v_cndmask_b32_e64 v9, v50, 1, vcc_lo
	s_branch .LBB632_151
.LBB632_168:
	s_or_b32 exec_lo, exec_lo, s22
                                        ; implicit-def: $vgpr11
	s_and_saveexec_b32 s22, s1
	s_cbranch_execz .LBB632_49
.LBB632_169:
	flat_load_u16 v11, v0, s[36:37] offset:512 scale_offset
	s_wait_xcnt 0x0
	s_or_b32 exec_lo, exec_lo, s22
                                        ; implicit-def: $vgpr12
	s_and_saveexec_b32 s1, s4
	s_cbranch_execnz .LBB632_50
.LBB632_170:
	s_or_b32 exec_lo, exec_lo, s1
                                        ; implicit-def: $vgpr13
	s_and_saveexec_b32 s1, s5
	s_cbranch_execz .LBB632_51
.LBB632_171:
	flat_load_u16 v13, v0, s[36:37] offset:1536 scale_offset
	s_wait_xcnt 0x0
	s_or_b32 exec_lo, exec_lo, s1
                                        ; implicit-def: $vgpr16
	s_and_saveexec_b32 s1, s6
	s_cbranch_execnz .LBB632_52
.LBB632_172:
	s_or_b32 exec_lo, exec_lo, s1
                                        ; implicit-def: $vgpr17
	s_and_saveexec_b32 s1, s7
	s_cbranch_execz .LBB632_53
.LBB632_173:
	flat_load_u16 v17, v0, s[36:37] offset:2560 scale_offset
	s_wait_xcnt 0x0
	s_or_b32 exec_lo, exec_lo, s1
                                        ; implicit-def: $vgpr19
	s_and_saveexec_b32 s1, s8
	s_cbranch_execnz .LBB632_54
.LBB632_174:
	s_or_b32 exec_lo, exec_lo, s1
                                        ; implicit-def: $vgpr20
	s_and_saveexec_b32 s1, s9
	s_cbranch_execz .LBB632_55
.LBB632_175:
	flat_load_u16 v20, v0, s[36:37] offset:3584 scale_offset
	s_wait_xcnt 0x0
	s_or_b32 exec_lo, exec_lo, s1
                                        ; implicit-def: $vgpr21
	s_and_saveexec_b32 s1, s10
	s_cbranch_execnz .LBB632_56
.LBB632_176:
	s_or_b32 exec_lo, exec_lo, s1
                                        ; implicit-def: $vgpr22
	s_and_saveexec_b32 s1, s11
	s_cbranch_execz .LBB632_57
.LBB632_177:
	flat_load_u16 v22, v0, s[36:37] offset:4608 scale_offset
	s_wait_xcnt 0x0
	s_or_b32 exec_lo, exec_lo, s1
                                        ; implicit-def: $vgpr23
	s_and_saveexec_b32 s1, s12
	s_cbranch_execnz .LBB632_58
.LBB632_178:
	s_or_b32 exec_lo, exec_lo, s1
                                        ; implicit-def: $vgpr24
	s_and_saveexec_b32 s1, s13
	s_cbranch_execz .LBB632_59
.LBB632_179:
	flat_load_u16 v24, v0, s[36:37] offset:5632 scale_offset
	s_wait_xcnt 0x0
	s_or_b32 exec_lo, exec_lo, s1
                                        ; implicit-def: $vgpr25
	s_and_saveexec_b32 s1, s14
	s_cbranch_execnz .LBB632_60
.LBB632_180:
	s_or_b32 exec_lo, exec_lo, s1
                                        ; implicit-def: $vgpr26
	s_and_saveexec_b32 s1, s15
	s_cbranch_execz .LBB632_61
.LBB632_181:
	flat_load_u16 v26, v0, s[36:37] offset:6656 scale_offset
	s_wait_xcnt 0x0
	s_or_b32 exec_lo, exec_lo, s1
                                        ; implicit-def: $vgpr27
	s_and_saveexec_b32 s1, s16
	s_cbranch_execnz .LBB632_62
.LBB632_182:
	s_or_b32 exec_lo, exec_lo, s1
                                        ; implicit-def: $vgpr28
	s_and_saveexec_b32 s1, s17
	s_cbranch_execz .LBB632_63
.LBB632_183:
	flat_load_u16 v28, v0, s[36:37] offset:7680 scale_offset
	s_wait_xcnt 0x0
	s_or_b32 exec_lo, exec_lo, s1
                                        ; implicit-def: $vgpr29
	s_and_saveexec_b32 s1, s18
	s_cbranch_execnz .LBB632_64
.LBB632_184:
	s_or_b32 exec_lo, exec_lo, s1
                                        ; implicit-def: $vgpr30
	s_and_saveexec_b32 s1, s19
	s_cbranch_execz .LBB632_65
.LBB632_185:
	flat_load_u16 v30, v0, s[36:37] offset:8704 scale_offset
	s_wait_xcnt 0x0
	s_or_b32 exec_lo, exec_lo, s1
                                        ; implicit-def: $vgpr31
	s_and_saveexec_b32 s1, s20
	s_cbranch_execz .LBB632_67
	s_branch .LBB632_66
.LBB632_186:
                                        ; implicit-def: $vgpr4
                                        ; implicit-def: $vgpr5
                                        ; implicit-def: $vgpr6
                                        ; implicit-def: $vgpr7
                                        ; implicit-def: $vgpr8
                                        ; implicit-def: $vgpr9
                                        ; implicit-def: $vgpr36
                                        ; implicit-def: $vgpr38
                                        ; implicit-def: $vgpr18
                                        ; implicit-def: $vgpr37
                                        ; implicit-def: $vgpr39
                                        ; implicit-def: $vgpr40
                                        ; implicit-def: $vgpr41
                                        ; implicit-def: $vgpr42
                                        ; implicit-def: $vgpr43
                                        ; implicit-def: $vgpr45
                                        ; implicit-def: $vgpr44
                                        ; implicit-def: $vgpr46
                                        ; implicit-def: $vgpr47
                                        ; implicit-def: $vgpr48
	s_cbranch_execnz .LBB632_264
.LBB632_187:
	s_add_nc_u64 s[2:3], s[26:27], s[34:35]
	s_and_b32 vcc_lo, exec_lo, s0
	s_add_nc_u64 s[0:1], s[2:3], s[24:25]
	s_cbranch_vccz .LBB632_283
.LBB632_188:
	v_mul_u32_u24_e32 v1, 20, v0
	s_add_co_i32 s23, s23, s30
	s_mov_b32 s2, exec_lo
	s_delay_alu instid0(VALU_DEP_1)
	v_cmpx_gt_u32_e64 s23, v1
	s_cbranch_execz .LBB632_220
; %bb.189:
	v_or_b32_e32 v2, 1, v1
	s_mov_b32 s3, exec_lo
	s_delay_alu instid0(VALU_DEP_1)
	v_cmpx_gt_u32_e64 s23, v2
	s_cbranch_execz .LBB632_219
; %bb.190:
	v_or_b32_e32 v2, 2, v1
	;; [unrolled: 6-line block ×3, first 2 shown]
	s_mov_b32 s5, exec_lo
	s_delay_alu instid0(VALU_DEP_1)
	v_cmpx_gt_u32_e64 s23, v2
	s_cbranch_execz .LBB632_217
; %bb.192:
	v_add_nc_u32_e32 v2, 4, v1
	s_mov_b32 s6, exec_lo
	s_delay_alu instid0(VALU_DEP_1)
	v_cmpx_gt_u32_e64 s23, v2
	s_cbranch_execz .LBB632_216
; %bb.193:
	v_add_nc_u32_e32 v2, 5, v1
	s_mov_b32 s7, exec_lo
	s_delay_alu instid0(VALU_DEP_1)
	v_cmpx_gt_u32_e64 s23, v2
	s_cbranch_execz .LBB632_215
; %bb.194:
	v_add_nc_u32_e32 v2, 6, v1
	s_mov_b32 s8, exec_lo
	s_delay_alu instid0(VALU_DEP_1)
	v_cmpx_gt_u32_e64 s23, v2
	s_cbranch_execz .LBB632_214
; %bb.195:
	v_add_nc_u32_e32 v2, 7, v1
	s_mov_b32 s9, exec_lo
	s_delay_alu instid0(VALU_DEP_1)
	v_cmpx_gt_u32_e64 s23, v2
	s_cbranch_execz .LBB632_213
; %bb.196:
	v_add_nc_u32_e32 v2, 8, v1
	s_mov_b32 s10, exec_lo
	s_delay_alu instid0(VALU_DEP_1)
	v_cmpx_gt_u32_e64 s23, v2
	s_cbranch_execz .LBB632_212
; %bb.197:
	v_add_nc_u32_e32 v2, 9, v1
	s_mov_b32 s11, exec_lo
	s_delay_alu instid0(VALU_DEP_1)
	v_cmpx_gt_u32_e64 s23, v2
	s_cbranch_execz .LBB632_211
; %bb.198:
	v_add_nc_u32_e32 v2, 10, v1
	s_mov_b32 s12, exec_lo
	s_delay_alu instid0(VALU_DEP_1)
	v_cmpx_gt_u32_e64 s23, v2
	s_cbranch_execz .LBB632_210
; %bb.199:
	v_add_nc_u32_e32 v2, 11, v1
	s_mov_b32 s13, exec_lo
	s_delay_alu instid0(VALU_DEP_1)
	v_cmpx_gt_u32_e64 s23, v2
	s_cbranch_execz .LBB632_209
; %bb.200:
	v_add_nc_u32_e32 v2, 12, v1
	s_mov_b32 s14, exec_lo
	s_delay_alu instid0(VALU_DEP_1)
	v_cmpx_gt_u32_e64 s23, v2
	s_cbranch_execz .LBB632_208
; %bb.201:
	v_add_nc_u32_e32 v2, 13, v1
	s_mov_b32 s15, exec_lo
	s_delay_alu instid0(VALU_DEP_1)
	v_cmpx_gt_u32_e64 s23, v2
	s_cbranch_execz .LBB632_207
; %bb.202:
	v_add_nc_u32_e32 v2, 14, v1
	s_mov_b32 s16, exec_lo
	s_delay_alu instid0(VALU_DEP_1)
	v_cmpx_gt_u32_e64 s23, v2
	s_cbranch_execz .LBB632_206
; %bb.203:
	v_add_nc_u32_e32 v2, 15, v1
	s_mov_b32 s17, exec_lo
	s_delay_alu instid0(VALU_DEP_1)
	v_cmpx_gt_u32_e64 s23, v2
; %bb.204:
	v_add_nc_u32_e32 v2, 16, v1
	s_mov_b32 s18, exec_lo
	s_delay_alu instid0(VALU_DEP_1)
	v_cmpx_gt_u32_e64 s23, v2
	s_or_b32 exec_lo, exec_lo, s18
; %bb.205:
	s_delay_alu instid0(SALU_CYCLE_1)
	s_or_b32 exec_lo, exec_lo, s17
.LBB632_206:
	s_delay_alu instid0(SALU_CYCLE_1)
	s_or_b32 exec_lo, exec_lo, s16
.LBB632_207:
	s_delay_alu instid0(SALU_CYCLE_1)
	s_or_b32 exec_lo, exec_lo, s15
.LBB632_208:
	s_delay_alu instid0(SALU_CYCLE_1)
	s_or_b32 exec_lo, exec_lo, s14
.LBB632_209:
	s_delay_alu instid0(SALU_CYCLE_1)
	s_or_b32 exec_lo, exec_lo, s13
.LBB632_210:
	s_delay_alu instid0(SALU_CYCLE_1)
	s_or_b32 exec_lo, exec_lo, s12
.LBB632_211:
	s_delay_alu instid0(SALU_CYCLE_1)
	s_or_b32 exec_lo, exec_lo, s11
.LBB632_212:
	s_delay_alu instid0(SALU_CYCLE_1)
	s_or_b32 exec_lo, exec_lo, s10
.LBB632_213:
	s_delay_alu instid0(SALU_CYCLE_1)
	s_or_b32 exec_lo, exec_lo, s9
.LBB632_214:
	s_delay_alu instid0(SALU_CYCLE_1)
	s_or_b32 exec_lo, exec_lo, s8
.LBB632_215:
	s_delay_alu instid0(SALU_CYCLE_1)
	s_or_b32 exec_lo, exec_lo, s7
.LBB632_216:
	s_delay_alu instid0(SALU_CYCLE_1)
	s_or_b32 exec_lo, exec_lo, s6
.LBB632_217:
	s_delay_alu instid0(SALU_CYCLE_1)
	s_or_b32 exec_lo, exec_lo, s5
.LBB632_218:
	s_delay_alu instid0(SALU_CYCLE_1)
	s_or_b32 exec_lo, exec_lo, s4
.LBB632_219:
	s_delay_alu instid0(SALU_CYCLE_1)
	s_or_b32 exec_lo, exec_lo, s3
.LBB632_220:
	s_delay_alu instid0(SALU_CYCLE_1)
	s_or_b32 exec_lo, exec_lo, s2
	v_dual_mov_b32 v21, 0 :: v_dual_lshlrev_b32 v28, 1, v1
	v_perm_b32 v3, v38, v36, 0x5040100
	v_perm_b32 v2, v9, v8, 0x5040100
	;; [unrolled: 1-line block ×4, first 2 shown]
	v_mad_i32_i24 v1, 0xffffffda, v0, v28
	v_perm_b32 v13, v45, v43, 0x5040100
	v_perm_b32 v12, v42, v41, 0x5040100
	;; [unrolled: 1-line block ×6, first 2 shown]
	s_wait_storecnt 0x0
	s_barrier_signal -1
	s_barrier_wait -1
	ds_store_2addr_b64 v28, v[10:11], v[2:3] offset1:1
	ds_store_2addr_b64 v28, v[14:15], v[12:13] offset0:2 offset1:3
	ds_store_b64 v28, v[16:17] offset:32
	s_wait_dscnt 0x0
	s_barrier_signal -1
	s_barrier_wait -1
	ds_load_u16 v31, v1 offset:512
	ds_load_u16 v30, v1 offset:1024
	ds_load_u16 v29, v1 offset:1536
	ds_load_u16 v27, v1 offset:2048
	ds_load_u16 v26, v1 offset:2560
	ds_load_u16 v25, v1 offset:3072
	ds_load_u16 v24, v1 offset:3584
	ds_load_u16 v23, v1 offset:4096
	ds_load_u16 v22, v1 offset:4608
	ds_load_u16 v19, v1 offset:5120
	ds_load_u16 v17, v1 offset:5632
	ds_load_u16 v16, v1 offset:6144
	ds_load_u16 v15, v1 offset:6656
	ds_load_u16 v14, v1 offset:7168
	ds_load_u16 v13, v1 offset:7680
	ds_load_u16 v12, v1 offset:8192
	ds_load_u16 v11, v1 offset:8704
	ds_load_u16 v10, v1 offset:9216
	ds_load_u16 v1, v1 offset:9728
	v_add_nc_u64_e32 v[2:3], s[0:1], v[20:21]
	s_mov_b32 s2, exec_lo
	v_cmpx_gt_u32_e64 s23, v0
	s_cbranch_execz .LBB632_222
; %bb.221:
	v_mul_i32_i24_e32 v20, 0xffffffda, v0
	s_delay_alu instid0(VALU_DEP_1)
	v_add_nc_u32_e32 v20, v28, v20
	ds_load_u16 v20, v20
	s_wait_dscnt 0x0
	flat_store_b16 v[2:3], v20
.LBB632_222:
	s_wait_xcnt 0x0
	s_or_b32 exec_lo, exec_lo, s2
	v_or_b32_e32 v20, 0x100, v0
	s_mov_b32 s2, exec_lo
	s_delay_alu instid0(VALU_DEP_1)
	v_cmpx_gt_u32_e64 s23, v20
	s_cbranch_execz .LBB632_224
; %bb.223:
	s_wait_dscnt 0x12
	flat_store_b16 v[2:3], v31 offset:512
.LBB632_224:
	s_wait_xcnt 0x0
	s_or_b32 exec_lo, exec_lo, s2
	v_or_b32_e32 v20, 0x200, v0
	s_mov_b32 s2, exec_lo
	s_delay_alu instid0(VALU_DEP_1)
	v_cmpx_gt_u32_e64 s23, v20
	s_cbranch_execz .LBB632_226
; %bb.225:
	s_wait_dscnt 0x11
	flat_store_b16 v[2:3], v30 offset:1024
.LBB632_226:
	s_wait_xcnt 0x0
	s_or_b32 exec_lo, exec_lo, s2
	v_or_b32_e32 v20, 0x300, v0
	s_mov_b32 s2, exec_lo
	s_delay_alu instid0(VALU_DEP_1)
	v_cmpx_gt_u32_e64 s23, v20
	s_cbranch_execz .LBB632_228
; %bb.227:
	s_wait_dscnt 0x10
	flat_store_b16 v[2:3], v29 offset:1536
.LBB632_228:
	s_wait_xcnt 0x0
	s_or_b32 exec_lo, exec_lo, s2
	v_or_b32_e32 v20, 0x400, v0
	s_mov_b32 s2, exec_lo
	s_delay_alu instid0(VALU_DEP_1)
	v_cmpx_gt_u32_e64 s23, v20
	s_cbranch_execz .LBB632_230
; %bb.229:
	s_wait_dscnt 0xf
	flat_store_b16 v[2:3], v27 offset:2048
.LBB632_230:
	s_wait_xcnt 0x0
	s_or_b32 exec_lo, exec_lo, s2
	v_or_b32_e32 v20, 0x500, v0
	s_mov_b32 s2, exec_lo
	s_delay_alu instid0(VALU_DEP_1)
	v_cmpx_gt_u32_e64 s23, v20
	s_cbranch_execz .LBB632_232
; %bb.231:
	s_wait_dscnt 0xe
	flat_store_b16 v[2:3], v26 offset:2560
.LBB632_232:
	s_wait_xcnt 0x0
	s_or_b32 exec_lo, exec_lo, s2
	v_or_b32_e32 v20, 0x600, v0
	s_mov_b32 s2, exec_lo
	s_delay_alu instid0(VALU_DEP_1)
	v_cmpx_gt_u32_e64 s23, v20
	s_cbranch_execz .LBB632_234
; %bb.233:
	s_wait_dscnt 0xd
	flat_store_b16 v[2:3], v25 offset:3072
.LBB632_234:
	s_wait_xcnt 0x0
	s_or_b32 exec_lo, exec_lo, s2
	v_or_b32_e32 v20, 0x700, v0
	s_mov_b32 s2, exec_lo
	s_delay_alu instid0(VALU_DEP_1)
	v_cmpx_gt_u32_e64 s23, v20
	s_cbranch_execz .LBB632_236
; %bb.235:
	s_wait_dscnt 0xc
	flat_store_b16 v[2:3], v24 offset:3584
.LBB632_236:
	s_wait_xcnt 0x0
	s_or_b32 exec_lo, exec_lo, s2
	v_or_b32_e32 v20, 0x800, v0
	s_mov_b32 s2, exec_lo
	s_delay_alu instid0(VALU_DEP_1)
	v_cmpx_gt_u32_e64 s23, v20
	s_cbranch_execz .LBB632_238
; %bb.237:
	s_wait_dscnt 0xb
	flat_store_b16 v[2:3], v23 offset:4096
.LBB632_238:
	s_wait_xcnt 0x0
	s_or_b32 exec_lo, exec_lo, s2
	v_or_b32_e32 v20, 0x900, v0
	s_mov_b32 s2, exec_lo
	s_delay_alu instid0(VALU_DEP_1)
	v_cmpx_gt_u32_e64 s23, v20
	s_cbranch_execz .LBB632_240
; %bb.239:
	s_wait_dscnt 0xa
	flat_store_b16 v[2:3], v22 offset:4608
.LBB632_240:
	s_wait_xcnt 0x0
	s_or_b32 exec_lo, exec_lo, s2
	v_or_b32_e32 v20, 0xa00, v0
	s_mov_b32 s2, exec_lo
	s_delay_alu instid0(VALU_DEP_1)
	v_cmpx_gt_u32_e64 s23, v20
	s_cbranch_execz .LBB632_242
; %bb.241:
	s_wait_dscnt 0x9
	flat_store_b16 v[2:3], v19 offset:5120
.LBB632_242:
	s_wait_xcnt 0x0
	s_or_b32 exec_lo, exec_lo, s2
	s_wait_dscnt 0x9
	v_or_b32_e32 v19, 0xb00, v0
	s_mov_b32 s2, exec_lo
	s_delay_alu instid0(VALU_DEP_1)
	v_cmpx_gt_u32_e64 s23, v19
	s_cbranch_execz .LBB632_244
; %bb.243:
	s_wait_dscnt 0x8
	flat_store_b16 v[2:3], v17 offset:5632
.LBB632_244:
	s_wait_xcnt 0x0
	s_or_b32 exec_lo, exec_lo, s2
	s_wait_dscnt 0x8
	v_or_b32_e32 v17, 0xc00, v0
	s_mov_b32 s2, exec_lo
	s_delay_alu instid0(VALU_DEP_1)
	v_cmpx_gt_u32_e64 s23, v17
	s_cbranch_execz .LBB632_246
; %bb.245:
	s_wait_dscnt 0x7
	flat_store_b16 v[2:3], v16 offset:6144
.LBB632_246:
	;; [unrolled: 12-line block ×8, first 2 shown]
	s_wait_xcnt 0x0
	s_or_b32 exec_lo, exec_lo, s2
	v_or_b32_e32 v2, 0x1300, v0
	s_delay_alu instid0(VALU_DEP_1)
	v_cmp_gt_u32_e64 s2, s23, v2
	s_branch .LBB632_285
.LBB632_259:
	s_and_saveexec_b32 s31, s21
	s_cbranch_execz .LBB632_261
; %bb.260:
	v_and_b32_e32 v3, 0xff0000, v2
	v_and_b32_e32 v5, 0x10000, v2
	s_delay_alu instid0(VALU_DEP_2) | instskip(SKIP_1) | instid1(VALU_DEP_3)
	v_cmp_eq_u32_e32 vcc_lo, 0, v3
	v_dual_cndmask_b32 v3, 1, v49, vcc_lo :: v_dual_bitop2_b32 v4, 1, v48 bitop3:0x40
	v_cmp_eq_u32_e32 vcc_lo, 0, v5
	s_delay_alu instid0(VALU_DEP_2) | instskip(NEXT) | instid1(VALU_DEP_1)
	v_mul_lo_u16 v2, v3, v2
	v_and_b32_e32 v2, 0xffff, v2
	s_delay_alu instid0(VALU_DEP_4) | instskip(NEXT) | instid1(VALU_DEP_1)
	v_lshlrev_b32_e32 v4, 16, v4
	v_cndmask_b32_e32 v3, 0x10000, v4, vcc_lo
	s_delay_alu instid0(VALU_DEP_1)
	v_dual_mov_b32 v3, 2 :: v_dual_bitop2_b32 v2, v3, v2 bitop3:0x54
	global_store_b64 v38, v[2:3], s[28:29] scale_offset scope:SCOPE_DEV
.LBB632_261:
	s_wait_xcnt 0x0
	s_or_b32 exec_lo, exec_lo, s31
	s_delay_alu instid0(SALU_CYCLE_1)
	s_and_b32 exec_lo, exec_lo, s2
	s_cbranch_execz .LBB632_263
; %bb.262:
	v_mov_b32_e32 v2, 0
	ds_store_b16 v2, v49
	ds_store_b8 v2, v48 offset:2
.LBB632_263:
	s_or_b32 exec_lo, exec_lo, s22
	v_mov_b32_e32 v2, 0
	s_wait_storecnt_dscnt 0x0
	s_barrier_signal -1
	s_barrier_wait -1
	ds_load_b32 v2, v2
	v_and_b32_e32 v3, 0xff, v37
	v_and_b32_e32 v5, 0xff0000, v32
	s_delay_alu instid0(VALU_DEP_2) | instskip(SKIP_2) | instid1(VALU_DEP_3)
	v_cmp_eq_u16_e32 vcc_lo, 0, v3
	s_wait_dscnt 0x0
	v_cndmask_b32_e32 v3, 1, v2, vcc_lo
	v_cmp_eq_u32_e32 vcc_lo, 0, v5
	s_delay_alu instid0(VALU_DEP_2) | instskip(NEXT) | instid1(VALU_DEP_1)
	v_mul_lo_u16 v3, v3, v36
	v_cndmask_b32_e64 v4, v3, v2, s2
	s_delay_alu instid0(VALU_DEP_1) | instskip(NEXT) | instid1(VALU_DEP_1)
	v_cndmask_b32_e32 v2, 1, v4, vcc_lo
	v_mul_lo_u16 v5, v2, v32
	s_delay_alu instid0(VALU_DEP_1) | instskip(NEXT) | instid1(VALU_DEP_1)
	v_cndmask_b32_e64 v2, 1, v5, s20
	v_mul_lo_u16 v6, v2, v11
	s_delay_alu instid0(VALU_DEP_1) | instskip(NEXT) | instid1(VALU_DEP_1)
	v_cndmask_b32_e64 v2, 1, v6, s19
	;; [unrolled: 3-line block ×18, first 2 shown]
	v_mul_lo_u16 v48, v2, v1
	s_branch .LBB632_187
.LBB632_264:
	s_cmp_eq_u64 s[40:41], 0
	v_mov_b32_e32 v2, s33
	s_cselect_b32 s1, -1, 0
	s_cmp_eq_u64 s[38:39], 0
	s_cselect_b32 s4, -1, 0
	s_delay_alu instid0(SALU_CYCLE_1) | instskip(NEXT) | instid1(SALU_CYCLE_1)
	s_or_b32 s1, s1, s4
	s_and_b32 vcc_lo, exec_lo, s1
	s_cbranch_vccnz .LBB632_266
; %bb.265:
	v_mov_b32_e32 v2, 0
	global_load_u16 v2, v2, s[38:39]
.LBB632_266:
	v_cmp_gt_u32_e32 vcc_lo, 0x10000, v11
	v_cmp_gt_u32_e64 s1, 0x10000, v10
	v_cmp_gt_u32_e64 s4, 0x10000, v33
	v_cmp_gt_u32_e64 s5, 0x10000, v31
	v_cmp_gt_u32_e64 s6, 0x10000, v30
	v_dual_cndmask_b32 v3, 1, v32, vcc_lo :: v_dual_bitop2_b32 v6, 28, v34 bitop3:0x40
	v_cmp_gt_u32_e64 s7, 0x10000, v29
	v_cmp_gt_u32_e64 s8, 0x10000, v28
	;; [unrolled: 1-line block ×3, first 2 shown]
	s_delay_alu instid0(VALU_DEP_4)
	v_mul_lo_u16 v3, v3, v11
	v_cmp_gt_u32_e64 s10, 0x10000, v26
	v_cmp_gt_u32_e64 s11, 0x10000, v25
	;; [unrolled: 1-line block ×4, first 2 shown]
	v_cndmask_b32_e64 v3, 1, v3, s1
	v_cmp_gt_u32_e64 s14, 0x10000, v22
	v_cmp_gt_u32_e64 s15, 0x10000, v21
	;; [unrolled: 1-line block ×4, first 2 shown]
	v_mul_lo_u16 v3, v3, v10
	v_cmp_gt_u32_e64 s18, 0x10000, v16
	v_or3_b32 v4, v35, v23, v24
	v_or3_b32 v5, v15, v31, v33
	v_cmp_gt_u32_e64 s19, 0x10000, v1
	v_cndmask_b32_e64 v3, 1, v3, s4
	v_cmp_gt_u32_e64 s20, 0x10000, v12
	v_or3_b32 v4, v4, v25, v26
	v_or3_b32 v5, v5, v10, v11
	v_lshl_add_u32 v6, v0, 2, v6
	v_mul_lo_u16 v3, v3, v33
	s_mov_b32 s21, exec_lo
	v_or3_b32 v4, v12, v13, v4
	s_delay_alu instid0(VALU_DEP_2) | instskip(NEXT) | instid1(VALU_DEP_2)
	v_cndmask_b32_e64 v3, 1, v3, s5
	v_bitop3_b32 v5, v4, 0xff0000, v5 bitop3:0xc8
	s_delay_alu instid0(VALU_DEP_2) | instskip(NEXT) | instid1(VALU_DEP_1)
	v_mul_lo_u16 v3, v3, v31
	v_cndmask_b32_e64 v3, 1, v3, s6
	s_delay_alu instid0(VALU_DEP_1) | instskip(NEXT) | instid1(VALU_DEP_1)
	v_mul_lo_u16 v3, v3, v30
	v_cndmask_b32_e64 v3, 1, v3, s7
	s_delay_alu instid0(VALU_DEP_1) | instskip(NEXT) | instid1(VALU_DEP_1)
	;; [unrolled: 3-line block ×14, first 2 shown]
	v_mul_lo_u16 v3, v3, v1
	v_cndmask_b32_e64 v3, 1, v3, s20
	v_cmp_eq_u32_e64 s20, 0, v5
	s_delay_alu instid0(VALU_DEP_2) | instskip(NEXT) | instid1(VALU_DEP_2)
	v_mul_lo_u16 v4, v3, v12
	v_cndmask_b32_e64 v5, 1, v14, s20
	ds_store_b16 v6, v4
	ds_store_b8 v6, v5 offset:2
	s_wait_loadcnt_dscnt 0x0
	s_barrier_signal -1
	s_barrier_wait -1
	v_cmpx_gt_u32_e32 32, v0
	s_cbranch_execz .LBB632_278
; %bb.267:
	v_and_b32_e32 v3, 0xfc, v0
	v_lshlrev_b32_e32 v6, 5, v0
	s_mov_b32 s22, exec_lo
	s_delay_alu instid0(VALU_DEP_1)
	v_add_nc_u32_e32 v3, v3, v6
	ds_load_u8 v7, v3 offset:6
	ds_load_b32 v6, v3
	ds_load_u16 v8, v3 offset:4
	ds_load_u8 v9, v3 offset:10
	ds_load_u16 v12, v3 offset:8
	ds_load_u16 v13, v3 offset:12
	ds_load_u8 v14, v3 offset:14
	ds_load_u16 v15, v3 offset:16
	s_wait_dscnt 0x7
	v_cmp_eq_u16_e64 s20, 0, v7
	s_wait_dscnt 0x4
	s_delay_alu instid0(VALU_DEP_1) | instskip(SKIP_1) | instid1(VALU_DEP_2)
	v_dual_cndmask_b32 v18, 1, v6, s20 :: v_dual_bitop2_b32 v7, v9, v7 bitop3:0x54
	v_cmp_eq_u16_e64 s20, 0, v9
	v_mul_lo_u16 v8, v18, v8
	ds_load_u8 v18, v3 offset:18
	v_cndmask_b32_e64 v8, 1, v8, s20
	s_wait_dscnt 0x2
	v_cmp_eq_u16_e64 s20, 0, v14
	s_delay_alu instid0(VALU_DEP_2) | instskip(SKIP_2) | instid1(VALU_DEP_1)
	v_mul_lo_u16 v8, v8, v12
	ds_load_u8 v12, v3 offset:22
	v_cndmask_b32_e64 v8, 1, v8, s20
	v_mul_lo_u16 v8, v8, v13
	s_wait_dscnt 0x1
	v_cmp_eq_u16_e64 s20, 0, v18
	ds_load_u16 v13, v3 offset:20
	ds_load_u16 v34, v3 offset:24
	ds_load_u8 v35, v3 offset:26
	ds_load_u16 v36, v3 offset:28
	ds_load_u8 v37, v3 offset:30
	v_bitop3_b16 v9, v7, v18, v14 bitop3:0xfe
	v_and_b32_e32 v7, 0x10000, v6
	v_cndmask_b32_e64 v8, 1, v8, s20
	s_delay_alu instid0(VALU_DEP_1) | instskip(SKIP_2) | instid1(VALU_DEP_1)
	v_mul_lo_u16 v8, v8, v15
	s_wait_dscnt 0x5
	v_cmp_eq_u16_e64 s20, 0, v12
	v_cndmask_b32_e64 v8, 1, v8, s20
	s_wait_dscnt 0x2
	v_cmp_eq_u16_e64 s20, 0, v35
	v_bitop3_b16 v9, v9, v35, v12 bitop3:0xfe
	s_delay_alu instid0(VALU_DEP_3) | instskip(SKIP_1) | instid1(VALU_DEP_1)
	v_mul_lo_u16 v8, v8, v13
	s_wait_dscnt 0x0
	v_dual_cndmask_b32 v8, 1, v8, s20 :: v_dual_bitop2_b32 v12, 1, v37 bitop3:0x40
	v_cmp_eq_u16_e64 s20, 0, v37
	s_delay_alu instid0(VALU_DEP_2) | instskip(NEXT) | instid1(VALU_DEP_1)
	v_mul_lo_u16 v8, v8, v34
	v_cndmask_b32_e64 v8, 1, v8, s20
	v_cmp_eq_u16_e64 s20, 0, v9
	s_delay_alu instid0(VALU_DEP_2) | instskip(NEXT) | instid1(VALU_DEP_2)
	v_mul_lo_u16 v9, v8, v36
	v_cndmask_b32_e64 v13, 0x10000, v7, s20
	v_cmp_eq_u32_e64 s20, 1, v12
	v_and_b32_e32 v8, 0xff000000, v6
	v_mbcnt_lo_u32_b32 v12, -1, 0
	v_and_b32_e32 v14, 0xffff, v9
	s_delay_alu instid0(VALU_DEP_4) | instskip(NEXT) | instid1(VALU_DEP_1)
	v_cndmask_b32_e64 v13, v13, 0x10000, s20
	v_or_b32_e32 v15, v13, v8
	s_delay_alu instid0(VALU_DEP_3) | instskip(NEXT) | instid1(VALU_DEP_2)
	v_or3_b32 v18, v8, v14, v13
	v_dual_lshrrev_b32 v14, 16, v15 :: v_dual_bitop2_b32 v13, 15, v12 bitop3:0x40
	s_delay_alu instid0(VALU_DEP_2) | instskip(NEXT) | instid1(VALU_DEP_2)
	v_mov_b32_dpp v34, v18 row_shr:1 row_mask:0xf bank_mask:0xf
	v_cmpx_ne_u32_e32 0, v13
	s_cbranch_execz .LBB632_269
; %bb.268:
	s_delay_alu instid0(VALU_DEP_2) | instskip(SKIP_1) | instid1(VALU_DEP_2)
	v_dual_lshrrev_b32 v14, 16, v15 :: v_dual_lshrrev_b32 v18, 16, v34
	v_and_b32_e32 v15, 0x10000, v15
	v_and_b32_e32 v14, 0xff, v14
	s_delay_alu instid0(VALU_DEP_3) | instskip(NEXT) | instid1(VALU_DEP_2)
	v_and_b32_e32 v18, 1, v18
	v_cmp_eq_u16_e64 s20, 0, v14
	s_delay_alu instid0(VALU_DEP_1) | instskip(SKIP_1) | instid1(VALU_DEP_2)
	v_cndmask_b32_e64 v34, 1, v34, s20
	v_cmp_ne_u32_e64 s20, 0, v15
	v_mul_lo_u16 v9, v34, v9
	s_delay_alu instid0(VALU_DEP_2) | instskip(NEXT) | instid1(VALU_DEP_2)
	v_cndmask_b32_e64 v14, v18, 1, s20
	v_and_b32_e32 v18, 0xffff, v9
	s_delay_alu instid0(VALU_DEP_2) | instskip(NEXT) | instid1(VALU_DEP_1)
	v_lshlrev_b32_e32 v15, 16, v14
	v_or3_b32 v18, v15, v18, v8
.LBB632_269:
	s_or_b32 exec_lo, exec_lo, s22
	s_delay_alu instid0(VALU_DEP_1)
	v_lshrrev_b32_e32 v15, 16, v18
	v_mov_b32_dpp v34, v18 row_shr:2 row_mask:0xf bank_mask:0xf
	s_mov_b32 s22, exec_lo
	v_cmpx_lt_u32_e32 1, v13
	s_cbranch_execz .LBB632_271
; %bb.270:
	v_and_b32_e32 v15, 0xff, v15
	v_and_b32_e32 v18, 0x10000, v18
	s_delay_alu instid0(VALU_DEP_2) | instskip(NEXT) | instid1(VALU_DEP_1)
	v_cmp_eq_u16_e64 s20, 0, v15
	v_dual_lshrrev_b32 v14, 16, v34 :: v_dual_cndmask_b32 v15, 1, v34, s20
	s_delay_alu instid0(VALU_DEP_1) | instskip(NEXT) | instid1(VALU_DEP_4)
	v_and_b32_e32 v14, 1, v14
	v_cmp_ne_u32_e64 s20, 0, v18
	s_delay_alu instid0(VALU_DEP_3) | instskip(NEXT) | instid1(VALU_DEP_2)
	v_mul_lo_u16 v9, v15, v9
	v_cndmask_b32_e64 v14, v14, 1, s20
	s_delay_alu instid0(VALU_DEP_2) | instskip(NEXT) | instid1(VALU_DEP_2)
	v_and_b32_e32 v18, 0xffff, v9
	v_lshlrev_b32_e32 v15, 16, v14
	s_delay_alu instid0(VALU_DEP_1)
	v_or3_b32 v18, v15, v18, v8
	v_mov_b32_e32 v15, v14
.LBB632_271:
	s_or_b32 exec_lo, exec_lo, s22
	s_delay_alu instid0(VALU_DEP_2)
	v_mov_b32_dpp v34, v18 row_shr:4 row_mask:0xf bank_mask:0xf
	s_mov_b32 s22, exec_lo
	v_cmpx_lt_u32_e32 3, v13
	s_cbranch_execz .LBB632_273
; %bb.272:
	v_and_b32_e32 v18, 0xff, v15
	v_dual_lshrrev_b32 v14, 16, v34 :: v_dual_bitop2_b32 v15, 1, v15 bitop3:0x40
	s_delay_alu instid0(VALU_DEP_2) | instskip(NEXT) | instid1(VALU_DEP_2)
	v_cmp_eq_u16_e64 s20, 0, v18
	v_and_b32_e32 v14, 1, v14
	s_delay_alu instid0(VALU_DEP_2) | instskip(NEXT) | instid1(VALU_DEP_4)
	v_cndmask_b32_e64 v18, 1, v34, s20
	v_cmp_eq_u32_e64 s20, 1, v15
	s_delay_alu instid0(VALU_DEP_2) | instskip(NEXT) | instid1(VALU_DEP_2)
	v_mul_lo_u16 v9, v18, v9
	v_cndmask_b32_e64 v14, v14, 1, s20
	s_delay_alu instid0(VALU_DEP_2) | instskip(NEXT) | instid1(VALU_DEP_2)
	v_and_b32_e32 v18, 0xffff, v9
	v_lshlrev_b32_e32 v15, 16, v14
	s_delay_alu instid0(VALU_DEP_1)
	v_or3_b32 v18, v15, v18, v8
	v_mov_b32_e32 v15, v14
.LBB632_273:
	s_or_b32 exec_lo, exec_lo, s22
	s_delay_alu instid0(VALU_DEP_2)
	v_mov_b32_dpp v34, v18 row_shr:8 row_mask:0xf bank_mask:0xf
	s_mov_b32 s22, exec_lo
	v_cmpx_lt_u32_e32 7, v13
	s_cbranch_execz .LBB632_275
; %bb.274:
	v_and_b32_e32 v14, 0xff, v15
	v_dual_lshrrev_b32 v13, 16, v34 :: v_dual_bitop2_b32 v15, 1, v15 bitop3:0x40
	s_delay_alu instid0(VALU_DEP_2) | instskip(NEXT) | instid1(VALU_DEP_1)
	v_cmp_eq_u16_e64 s20, 0, v14
	v_dual_cndmask_b32 v18, 1, v34, s20 :: v_dual_bitop2_b32 v13, 1, v13 bitop3:0x40
	s_delay_alu instid0(VALU_DEP_3) | instskip(NEXT) | instid1(VALU_DEP_2)
	v_cmp_eq_u32_e64 s20, 1, v15
	v_mul_lo_u16 v9, v18, v9
	s_delay_alu instid0(VALU_DEP_2) | instskip(NEXT) | instid1(VALU_DEP_2)
	v_cndmask_b32_e64 v14, v13, 1, s20
	v_and_b32_e32 v15, 0xffff, v9
	s_delay_alu instid0(VALU_DEP_2) | instskip(NEXT) | instid1(VALU_DEP_1)
	v_lshlrev_b32_e32 v13, 16, v14
	v_or3_b32 v18, v13, v15, v8
	v_mov_b32_e32 v15, v14
.LBB632_275:
	s_or_b32 exec_lo, exec_lo, s22
	ds_swizzle_b32 v13, v18 offset:swizzle(BROADCAST,32,15)
	v_and_b32_e32 v18, 16, v12
	s_mov_b32 s22, exec_lo
	s_delay_alu instid0(VALU_DEP_1)
	v_cmpx_ne_u32_e32 0, v18
	s_cbranch_execz .LBB632_277
; %bb.276:
	v_and_b32_e32 v14, 0xff, v15
	s_delay_alu instid0(VALU_DEP_1) | instskip(SKIP_2) | instid1(VALU_DEP_1)
	v_cmp_eq_u16_e64 s20, 0, v14
	s_wait_dscnt 0x0
	v_dual_lshrrev_b32 v18, 16, v13 :: v_dual_bitop2_b32 v14, 1, v15 bitop3:0x40
	v_dual_cndmask_b32 v13, 1, v13, s20 :: v_dual_bitop2_b32 v15, 1, v18 bitop3:0x40
	s_delay_alu instid0(VALU_DEP_2) | instskip(NEXT) | instid1(VALU_DEP_2)
	v_cmp_eq_u32_e64 s20, 1, v14
	v_mul_lo_u16 v9, v13, v9
	s_delay_alu instid0(VALU_DEP_2)
	v_cndmask_b32_e64 v14, v15, 1, s20
.LBB632_277:
	s_or_b32 exec_lo, exec_lo, s22
	s_wait_dscnt 0x0
	s_delay_alu instid0(VALU_DEP_1) | instskip(SKIP_2) | instid1(VALU_DEP_3)
	v_and_b32_e32 v13, 0xff, v14
	v_add_nc_u32_e32 v14, -1, v12
	v_and_b32_e32 v9, 0xffff, v9
	; wave barrier
	v_lshlrev_b32_e32 v13, 16, v13
	s_delay_alu instid0(VALU_DEP_3) | instskip(NEXT) | instid1(VALU_DEP_2)
	v_cmp_gt_i32_e64 s20, 0, v14
	v_or3_b32 v8, v13, v9, v8
	s_delay_alu instid0(VALU_DEP_2) | instskip(NEXT) | instid1(VALU_DEP_1)
	v_cndmask_b32_e64 v12, v14, v12, s20
	v_lshlrev_b32_e32 v9, 2, v12
	ds_bpermute_b32 v8, v9, v8
	v_and_b32_e32 v9, 0xff0000, v6
	s_delay_alu instid0(VALU_DEP_1) | instskip(SKIP_1) | instid1(VALU_DEP_1)
	v_cmp_eq_u32_e64 s20, 0, v9
	s_wait_dscnt 0x0
	v_dual_lshrrev_b32 v12, 16, v8 :: v_dual_cndmask_b32 v8, 1, v8, s20
	v_cmp_eq_u32_e64 s20, 0, v7
	s_delay_alu instid0(VALU_DEP_2) | instskip(NEXT) | instid1(VALU_DEP_3)
	v_and_b32_e32 v9, 1, v12
	v_mul_lo_u16 v6, v8, v6
	s_delay_alu instid0(VALU_DEP_1) | instskip(NEXT) | instid1(VALU_DEP_1)
	v_dual_cndmask_b32 v7, 1, v9, s20 :: v_dual_cndmask_b32 v4, v6, v4, s2
	v_cndmask_b32_e64 v5, v7, v5, s2
	ds_store_b16 v3, v4
	ds_store_b8 v3, v5 offset:2
	; wave barrier
	ds_load_u8 v6, v3 offset:6
	ds_load_u16 v7, v3 offset:4
	ds_load_u8 v8, v3 offset:10
	ds_load_u16 v9, v3 offset:8
	ds_load_u16 v12, v3 offset:12
	ds_load_u8 v13, v3 offset:14
	ds_load_u16 v14, v3 offset:16
	ds_load_u8 v15, v3 offset:18
	s_wait_dscnt 0x7
	v_cmp_eq_u16_e64 s20, 0, v6
	s_delay_alu instid0(VALU_DEP_1) | instskip(SKIP_2) | instid1(VALU_DEP_2)
	v_dual_cndmask_b32 v4, 1, v4, s20 :: v_dual_bitop2_b32 v6, 1, v6 bitop3:0x40
	s_wait_dscnt 0x5
	v_cmp_eq_u16_e64 s20, 0, v8
	v_mul_lo_u16 v4, v4, v7
	s_delay_alu instid0(VALU_DEP_1) | instskip(SKIP_2) | instid1(VALU_DEP_2)
	v_cndmask_b32_e64 v7, 1, v4, s20
	s_wait_dscnt 0x2
	v_cmp_eq_u16_e64 s20, 0, v13
	v_mul_lo_u16 v7, v7, v9
	ds_load_u8 v9, v3 offset:22
	ds_load_u16 v34, v3 offset:20
	ds_load_u8 v35, v3 offset:26
	ds_load_u8 v36, v3 offset:30
	v_cndmask_b32_e64 v18, 1, v7, s20
	v_cmp_eq_u32_e64 s20, 1, v6
	v_and_b32_e32 v6, 1, v13
	s_delay_alu instid0(VALU_DEP_3) | instskip(NEXT) | instid1(VALU_DEP_3)
	v_mul_lo_u16 v12, v18, v12
	v_cndmask_b32_e64 v5, v5, 1, s20
	s_wait_dscnt 0x4
	v_cmp_eq_u16_e64 s20, 0, v15
	ds_load_u16 v18, v3 offset:24
	ds_load_u16 v37, v3 offset:28
	v_cndmask_b32_e64 v13, 1, v12, s20
	s_delay_alu instid0(VALU_DEP_1) | instskip(SKIP_4) | instid1(VALU_DEP_3)
	v_mul_lo_u16 v13, v13, v14
	v_and_b32_e32 v8, 1, v8
	v_and_b32_e32 v14, 1, v15
	s_wait_dscnt 0x2
	v_and_b32_e32 v38, 1, v36
	v_cmp_eq_u32_e64 s20, 1, v8
	s_delay_alu instid0(VALU_DEP_1) | instskip(SKIP_1) | instid1(VALU_DEP_1)
	v_cndmask_b32_e64 v8, v5, 1, s20
	v_cmp_eq_u32_e64 s20, 1, v6
	v_cndmask_b32_e64 v6, v8, 1, s20
	v_cmp_eq_u16_e64 s20, 0, v9
	v_and_b32_e32 v9, 1, v9
	s_delay_alu instid0(VALU_DEP_2) | instskip(SKIP_1) | instid1(VALU_DEP_2)
	v_cndmask_b32_e64 v15, 1, v13, s20
	v_cmp_eq_u32_e64 s20, 1, v14
	v_mul_lo_u16 v15, v15, v34
	s_delay_alu instid0(VALU_DEP_2)
	v_cndmask_b32_e64 v14, v6, 1, s20
	v_cmp_eq_u32_e64 s20, 1, v9
	v_and_b32_e32 v34, 1, v35
	ds_store_b16 v3, v4 offset:4
	ds_store_b8 v3, v5 offset:6
	ds_store_b16 v3, v7 offset:8
	ds_store_b8 v3, v8 offset:10
	;; [unrolled: 2-line block ×4, first 2 shown]
	v_cndmask_b32_e64 v9, v14, 1, s20
	v_cmp_eq_u16_e64 s20, 0, v35
	s_delay_alu instid0(VALU_DEP_1) | instskip(SKIP_2) | instid1(VALU_DEP_2)
	v_cndmask_b32_e64 v35, 1, v15, s20
	v_cmp_eq_u32_e64 s20, 1, v34
	s_wait_dscnt 0x9
	v_mul_lo_u16 v18, v35, v18
	s_delay_alu instid0(VALU_DEP_2) | instskip(SKIP_1) | instid1(VALU_DEP_1)
	v_cndmask_b32_e64 v34, v9, 1, s20
	v_cmp_eq_u32_e64 s20, 1, v38
	v_cndmask_b32_e64 v35, v34, 1, s20
	v_cmp_eq_u16_e64 s20, 0, v36
	s_delay_alu instid0(VALU_DEP_1) | instskip(SKIP_1) | instid1(VALU_DEP_1)
	v_cndmask_b32_e64 v36, 1, v18, s20
	s_wait_dscnt 0x8
	v_mul_lo_u16 v4, v36, v37
	ds_store_b16 v3, v15 offset:20
	ds_store_b8 v3, v9 offset:22
	ds_store_b16 v3, v18 offset:24
	ds_store_b8 v3, v34 offset:26
	;; [unrolled: 2-line block ×3, first 2 shown]
.LBB632_278:
	s_or_b32 exec_lo, exec_lo, s21
	v_mov_b32_e32 v4, v2
	s_wait_dscnt 0x0
	s_barrier_signal -1
	s_barrier_wait -1
	s_and_saveexec_b32 s20, s3
	s_cbranch_execz .LBB632_280
; %bb.279:
	v_add_nc_u32_e32 v3, -1, v0
	s_delay_alu instid0(VALU_DEP_1) | instskip(NEXT) | instid1(VALU_DEP_1)
	v_lshrrev_b32_e32 v4, 3, v3
	v_and_b32_e32 v4, 0x1ffffffc, v4
	s_delay_alu instid0(VALU_DEP_1) | instskip(SKIP_4) | instid1(VALU_DEP_1)
	v_lshl_add_u32 v3, v3, 2, v4
	ds_load_u8 v4, v3 offset:2
	ds_load_u16 v3, v3
	s_wait_dscnt 0x1
	v_cmp_eq_u16_e64 s3, 0, v4
	v_cndmask_b32_e64 v4, 1, v2, s3
	s_wait_dscnt 0x0
	s_delay_alu instid0(VALU_DEP_1)
	v_mul_lo_u16 v4, v4, v3
.LBB632_280:
	s_or_b32 exec_lo, exec_lo, s20
	v_and_b32_e32 v3, 0xff0000, v32
	s_delay_alu instid0(VALU_DEP_1) | instskip(NEXT) | instid1(VALU_DEP_1)
	v_cmp_eq_u32_e64 s3, 0, v3
	v_cndmask_b32_e64 v3, 1, v4, s3
	s_delay_alu instid0(VALU_DEP_1) | instskip(NEXT) | instid1(VALU_DEP_1)
	v_mul_lo_u16 v5, v3, v32
	v_cndmask_b32_e32 v3, 1, v5, vcc_lo
	s_delay_alu instid0(VALU_DEP_1) | instskip(NEXT) | instid1(VALU_DEP_1)
	v_mul_lo_u16 v6, v3, v11
	v_cndmask_b32_e64 v3, 1, v6, s1
	s_delay_alu instid0(VALU_DEP_1) | instskip(NEXT) | instid1(VALU_DEP_1)
	v_mul_lo_u16 v7, v3, v10
	v_cndmask_b32_e64 v3, 1, v7, s4
	;; [unrolled: 3-line block ×17, first 2 shown]
	s_and_saveexec_b32 s1, s2
	s_cbranch_execz .LBB632_282
; %bb.281:
	v_mov_b32_e32 v12, 0
	ds_load_u8 v10, v12 offset:1050
	ds_load_u16 v11, v12 offset:1048
	s_wait_dscnt 0x1
	v_cmp_eq_u32_e32 vcc_lo, 0, v10
	v_lshlrev_b32_e32 v10, 16, v10
	v_cndmask_b32_e32 v2, 1, v2, vcc_lo
	s_wait_dscnt 0x0
	s_delay_alu instid0(VALU_DEP_1) | instskip(SKIP_1) | instid1(VALU_DEP_2)
	v_mul_lo_u32 v2, v2, v11
	v_mov_b32_e32 v11, 2
	v_and_b32_e32 v2, 0xffff, v2
	s_delay_alu instid0(VALU_DEP_1)
	v_or_b32_e32 v10, v10, v2
	global_store_b64 v12, v[10:11], s[28:29] offset:256 scope:SCOPE_DEV
.LBB632_282:
	s_wait_xcnt 0x0
	s_or_b32 exec_lo, exec_lo, s1
	v_mul_lo_u16 v48, v3, v1
	s_add_nc_u64 s[2:3], s[26:27], s[34:35]
	s_and_b32 vcc_lo, exec_lo, s0
	s_add_nc_u64 s[0:1], s[2:3], s[24:25]
	s_cbranch_vccnz .LBB632_188
.LBB632_283:
	s_mov_b32 s2, 0
                                        ; implicit-def: $vgpr1
	s_cbranch_execz .LBB632_285
; %bb.284:
	s_wait_dscnt 0x0
	v_mul_u32_u24_e32 v1, 40, v0
	v_perm_b32 v3, v38, v36, 0x5040100
	v_perm_b32 v2, v9, v8, 0x5040100
	v_perm_b32 v7, v7, v6, 0x5040100
	v_perm_b32 v6, v5, v4, 0x5040100
	v_mul_i32_i24_e32 v12, 0xffffffda, v0
	v_perm_b32 v5, v45, v43, 0x5040100
	v_perm_b32 v4, v42, v41, 0x5040100
	;; [unrolled: 1-line block ×6, first 2 shown]
	s_wait_storecnt 0x0
	s_barrier_signal -1
	s_barrier_wait -1
	ds_store_2addr_b64 v1, v[6:7], v[2:3] offset1:1
	ds_store_2addr_b64 v1, v[8:9], v[4:5] offset0:2 offset1:3
	ds_store_b64 v1, v[10:11] offset:32
	v_mad_u32_u24 v1, v0, 40, v12
	s_wait_dscnt 0x0
	s_barrier_signal -1
	s_barrier_wait -1
	ds_load_u16 v2, v1
	ds_load_u16 v3, v1 offset:512
	ds_load_u16 v4, v1 offset:1024
	;; [unrolled: 1-line block ×19, first 2 shown]
	s_or_b32 s2, s2, exec_lo
	s_wait_dscnt 0x13
	flat_store_b16 v0, v2, s[0:1] scale_offset
	s_wait_dscnt 0x13
	flat_store_b16 v0, v3, s[0:1] offset:512 scale_offset
	s_wait_dscnt 0x13
	flat_store_b16 v0, v4, s[0:1] offset:1024 scale_offset
	;; [unrolled: 2-line block ×18, first 2 shown]
.LBB632_285:
	s_wait_xcnt 0x0
	s_delay_alu instid0(VALU_DEP_1)
	s_and_saveexec_b32 s3, s2
	s_cbranch_execz .LBB632_287
; %bb.286:
	s_wait_dscnt 0x0
	flat_store_b16 v0, v1, s[0:1] offset:9728 scale_offset
	s_endpgm
.LBB632_287:
	s_endpgm
	.section	.rodata,"a",@progbits
	.p2align	6, 0x0
	.amdhsa_kernel _ZN7rocprim17ROCPRIM_400000_NS6detail17trampoline_kernelINS0_14default_configENS1_27scan_by_key_config_selectorIssEEZZNS1_16scan_by_key_implILNS1_25lookback_scan_determinismE0ELb1ES3_N6thrust23THRUST_200600_302600_NS6detail15normal_iteratorINS9_10device_ptrIsEEEESE_SE_sNS9_10multipliesIsEENS9_8equal_toIsEEsEE10hipError_tPvRmT2_T3_T4_T5_mT6_T7_P12ihipStream_tbENKUlT_T0_E_clISt17integral_constantIbLb0EESY_IbLb1EEEEDaSU_SV_EUlSU_E_NS1_11comp_targetILNS1_3genE0ELNS1_11target_archE4294967295ELNS1_3gpuE0ELNS1_3repE0EEENS1_30default_config_static_selectorELNS0_4arch9wavefront6targetE0EEEvT1_
		.amdhsa_group_segment_fixed_size 11264
		.amdhsa_private_segment_fixed_size 0
		.amdhsa_kernarg_size 112
		.amdhsa_user_sgpr_count 2
		.amdhsa_user_sgpr_dispatch_ptr 0
		.amdhsa_user_sgpr_queue_ptr 0
		.amdhsa_user_sgpr_kernarg_segment_ptr 1
		.amdhsa_user_sgpr_dispatch_id 0
		.amdhsa_user_sgpr_kernarg_preload_length 0
		.amdhsa_user_sgpr_kernarg_preload_offset 0
		.amdhsa_user_sgpr_private_segment_size 0
		.amdhsa_wavefront_size32 1
		.amdhsa_uses_dynamic_stack 0
		.amdhsa_enable_private_segment 0
		.amdhsa_system_sgpr_workgroup_id_x 1
		.amdhsa_system_sgpr_workgroup_id_y 0
		.amdhsa_system_sgpr_workgroup_id_z 0
		.amdhsa_system_sgpr_workgroup_info 0
		.amdhsa_system_vgpr_workitem_id 0
		.amdhsa_next_free_vgpr 57
		.amdhsa_next_free_sgpr 46
		.amdhsa_named_barrier_count 0
		.amdhsa_reserve_vcc 1
		.amdhsa_float_round_mode_32 0
		.amdhsa_float_round_mode_16_64 0
		.amdhsa_float_denorm_mode_32 3
		.amdhsa_float_denorm_mode_16_64 3
		.amdhsa_fp16_overflow 0
		.amdhsa_memory_ordered 1
		.amdhsa_forward_progress 1
		.amdhsa_inst_pref_size 151
		.amdhsa_round_robin_scheduling 0
		.amdhsa_exception_fp_ieee_invalid_op 0
		.amdhsa_exception_fp_denorm_src 0
		.amdhsa_exception_fp_ieee_div_zero 0
		.amdhsa_exception_fp_ieee_overflow 0
		.amdhsa_exception_fp_ieee_underflow 0
		.amdhsa_exception_fp_ieee_inexact 0
		.amdhsa_exception_int_div_zero 0
	.end_amdhsa_kernel
	.section	.text._ZN7rocprim17ROCPRIM_400000_NS6detail17trampoline_kernelINS0_14default_configENS1_27scan_by_key_config_selectorIssEEZZNS1_16scan_by_key_implILNS1_25lookback_scan_determinismE0ELb1ES3_N6thrust23THRUST_200600_302600_NS6detail15normal_iteratorINS9_10device_ptrIsEEEESE_SE_sNS9_10multipliesIsEENS9_8equal_toIsEEsEE10hipError_tPvRmT2_T3_T4_T5_mT6_T7_P12ihipStream_tbENKUlT_T0_E_clISt17integral_constantIbLb0EESY_IbLb1EEEEDaSU_SV_EUlSU_E_NS1_11comp_targetILNS1_3genE0ELNS1_11target_archE4294967295ELNS1_3gpuE0ELNS1_3repE0EEENS1_30default_config_static_selectorELNS0_4arch9wavefront6targetE0EEEvT1_,"axG",@progbits,_ZN7rocprim17ROCPRIM_400000_NS6detail17trampoline_kernelINS0_14default_configENS1_27scan_by_key_config_selectorIssEEZZNS1_16scan_by_key_implILNS1_25lookback_scan_determinismE0ELb1ES3_N6thrust23THRUST_200600_302600_NS6detail15normal_iteratorINS9_10device_ptrIsEEEESE_SE_sNS9_10multipliesIsEENS9_8equal_toIsEEsEE10hipError_tPvRmT2_T3_T4_T5_mT6_T7_P12ihipStream_tbENKUlT_T0_E_clISt17integral_constantIbLb0EESY_IbLb1EEEEDaSU_SV_EUlSU_E_NS1_11comp_targetILNS1_3genE0ELNS1_11target_archE4294967295ELNS1_3gpuE0ELNS1_3repE0EEENS1_30default_config_static_selectorELNS0_4arch9wavefront6targetE0EEEvT1_,comdat
.Lfunc_end632:
	.size	_ZN7rocprim17ROCPRIM_400000_NS6detail17trampoline_kernelINS0_14default_configENS1_27scan_by_key_config_selectorIssEEZZNS1_16scan_by_key_implILNS1_25lookback_scan_determinismE0ELb1ES3_N6thrust23THRUST_200600_302600_NS6detail15normal_iteratorINS9_10device_ptrIsEEEESE_SE_sNS9_10multipliesIsEENS9_8equal_toIsEEsEE10hipError_tPvRmT2_T3_T4_T5_mT6_T7_P12ihipStream_tbENKUlT_T0_E_clISt17integral_constantIbLb0EESY_IbLb1EEEEDaSU_SV_EUlSU_E_NS1_11comp_targetILNS1_3genE0ELNS1_11target_archE4294967295ELNS1_3gpuE0ELNS1_3repE0EEENS1_30default_config_static_selectorELNS0_4arch9wavefront6targetE0EEEvT1_, .Lfunc_end632-_ZN7rocprim17ROCPRIM_400000_NS6detail17trampoline_kernelINS0_14default_configENS1_27scan_by_key_config_selectorIssEEZZNS1_16scan_by_key_implILNS1_25lookback_scan_determinismE0ELb1ES3_N6thrust23THRUST_200600_302600_NS6detail15normal_iteratorINS9_10device_ptrIsEEEESE_SE_sNS9_10multipliesIsEENS9_8equal_toIsEEsEE10hipError_tPvRmT2_T3_T4_T5_mT6_T7_P12ihipStream_tbENKUlT_T0_E_clISt17integral_constantIbLb0EESY_IbLb1EEEEDaSU_SV_EUlSU_E_NS1_11comp_targetILNS1_3genE0ELNS1_11target_archE4294967295ELNS1_3gpuE0ELNS1_3repE0EEENS1_30default_config_static_selectorELNS0_4arch9wavefront6targetE0EEEvT1_
                                        ; -- End function
	.set _ZN7rocprim17ROCPRIM_400000_NS6detail17trampoline_kernelINS0_14default_configENS1_27scan_by_key_config_selectorIssEEZZNS1_16scan_by_key_implILNS1_25lookback_scan_determinismE0ELb1ES3_N6thrust23THRUST_200600_302600_NS6detail15normal_iteratorINS9_10device_ptrIsEEEESE_SE_sNS9_10multipliesIsEENS9_8equal_toIsEEsEE10hipError_tPvRmT2_T3_T4_T5_mT6_T7_P12ihipStream_tbENKUlT_T0_E_clISt17integral_constantIbLb0EESY_IbLb1EEEEDaSU_SV_EUlSU_E_NS1_11comp_targetILNS1_3genE0ELNS1_11target_archE4294967295ELNS1_3gpuE0ELNS1_3repE0EEENS1_30default_config_static_selectorELNS0_4arch9wavefront6targetE0EEEvT1_.num_vgpr, 57
	.set _ZN7rocprim17ROCPRIM_400000_NS6detail17trampoline_kernelINS0_14default_configENS1_27scan_by_key_config_selectorIssEEZZNS1_16scan_by_key_implILNS1_25lookback_scan_determinismE0ELb1ES3_N6thrust23THRUST_200600_302600_NS6detail15normal_iteratorINS9_10device_ptrIsEEEESE_SE_sNS9_10multipliesIsEENS9_8equal_toIsEEsEE10hipError_tPvRmT2_T3_T4_T5_mT6_T7_P12ihipStream_tbENKUlT_T0_E_clISt17integral_constantIbLb0EESY_IbLb1EEEEDaSU_SV_EUlSU_E_NS1_11comp_targetILNS1_3genE0ELNS1_11target_archE4294967295ELNS1_3gpuE0ELNS1_3repE0EEENS1_30default_config_static_selectorELNS0_4arch9wavefront6targetE0EEEvT1_.num_agpr, 0
	.set _ZN7rocprim17ROCPRIM_400000_NS6detail17trampoline_kernelINS0_14default_configENS1_27scan_by_key_config_selectorIssEEZZNS1_16scan_by_key_implILNS1_25lookback_scan_determinismE0ELb1ES3_N6thrust23THRUST_200600_302600_NS6detail15normal_iteratorINS9_10device_ptrIsEEEESE_SE_sNS9_10multipliesIsEENS9_8equal_toIsEEsEE10hipError_tPvRmT2_T3_T4_T5_mT6_T7_P12ihipStream_tbENKUlT_T0_E_clISt17integral_constantIbLb0EESY_IbLb1EEEEDaSU_SV_EUlSU_E_NS1_11comp_targetILNS1_3genE0ELNS1_11target_archE4294967295ELNS1_3gpuE0ELNS1_3repE0EEENS1_30default_config_static_selectorELNS0_4arch9wavefront6targetE0EEEvT1_.numbered_sgpr, 46
	.set _ZN7rocprim17ROCPRIM_400000_NS6detail17trampoline_kernelINS0_14default_configENS1_27scan_by_key_config_selectorIssEEZZNS1_16scan_by_key_implILNS1_25lookback_scan_determinismE0ELb1ES3_N6thrust23THRUST_200600_302600_NS6detail15normal_iteratorINS9_10device_ptrIsEEEESE_SE_sNS9_10multipliesIsEENS9_8equal_toIsEEsEE10hipError_tPvRmT2_T3_T4_T5_mT6_T7_P12ihipStream_tbENKUlT_T0_E_clISt17integral_constantIbLb0EESY_IbLb1EEEEDaSU_SV_EUlSU_E_NS1_11comp_targetILNS1_3genE0ELNS1_11target_archE4294967295ELNS1_3gpuE0ELNS1_3repE0EEENS1_30default_config_static_selectorELNS0_4arch9wavefront6targetE0EEEvT1_.num_named_barrier, 0
	.set _ZN7rocprim17ROCPRIM_400000_NS6detail17trampoline_kernelINS0_14default_configENS1_27scan_by_key_config_selectorIssEEZZNS1_16scan_by_key_implILNS1_25lookback_scan_determinismE0ELb1ES3_N6thrust23THRUST_200600_302600_NS6detail15normal_iteratorINS9_10device_ptrIsEEEESE_SE_sNS9_10multipliesIsEENS9_8equal_toIsEEsEE10hipError_tPvRmT2_T3_T4_T5_mT6_T7_P12ihipStream_tbENKUlT_T0_E_clISt17integral_constantIbLb0EESY_IbLb1EEEEDaSU_SV_EUlSU_E_NS1_11comp_targetILNS1_3genE0ELNS1_11target_archE4294967295ELNS1_3gpuE0ELNS1_3repE0EEENS1_30default_config_static_selectorELNS0_4arch9wavefront6targetE0EEEvT1_.private_seg_size, 0
	.set _ZN7rocprim17ROCPRIM_400000_NS6detail17trampoline_kernelINS0_14default_configENS1_27scan_by_key_config_selectorIssEEZZNS1_16scan_by_key_implILNS1_25lookback_scan_determinismE0ELb1ES3_N6thrust23THRUST_200600_302600_NS6detail15normal_iteratorINS9_10device_ptrIsEEEESE_SE_sNS9_10multipliesIsEENS9_8equal_toIsEEsEE10hipError_tPvRmT2_T3_T4_T5_mT6_T7_P12ihipStream_tbENKUlT_T0_E_clISt17integral_constantIbLb0EESY_IbLb1EEEEDaSU_SV_EUlSU_E_NS1_11comp_targetILNS1_3genE0ELNS1_11target_archE4294967295ELNS1_3gpuE0ELNS1_3repE0EEENS1_30default_config_static_selectorELNS0_4arch9wavefront6targetE0EEEvT1_.uses_vcc, 1
	.set _ZN7rocprim17ROCPRIM_400000_NS6detail17trampoline_kernelINS0_14default_configENS1_27scan_by_key_config_selectorIssEEZZNS1_16scan_by_key_implILNS1_25lookback_scan_determinismE0ELb1ES3_N6thrust23THRUST_200600_302600_NS6detail15normal_iteratorINS9_10device_ptrIsEEEESE_SE_sNS9_10multipliesIsEENS9_8equal_toIsEEsEE10hipError_tPvRmT2_T3_T4_T5_mT6_T7_P12ihipStream_tbENKUlT_T0_E_clISt17integral_constantIbLb0EESY_IbLb1EEEEDaSU_SV_EUlSU_E_NS1_11comp_targetILNS1_3genE0ELNS1_11target_archE4294967295ELNS1_3gpuE0ELNS1_3repE0EEENS1_30default_config_static_selectorELNS0_4arch9wavefront6targetE0EEEvT1_.uses_flat_scratch, 1
	.set _ZN7rocprim17ROCPRIM_400000_NS6detail17trampoline_kernelINS0_14default_configENS1_27scan_by_key_config_selectorIssEEZZNS1_16scan_by_key_implILNS1_25lookback_scan_determinismE0ELb1ES3_N6thrust23THRUST_200600_302600_NS6detail15normal_iteratorINS9_10device_ptrIsEEEESE_SE_sNS9_10multipliesIsEENS9_8equal_toIsEEsEE10hipError_tPvRmT2_T3_T4_T5_mT6_T7_P12ihipStream_tbENKUlT_T0_E_clISt17integral_constantIbLb0EESY_IbLb1EEEEDaSU_SV_EUlSU_E_NS1_11comp_targetILNS1_3genE0ELNS1_11target_archE4294967295ELNS1_3gpuE0ELNS1_3repE0EEENS1_30default_config_static_selectorELNS0_4arch9wavefront6targetE0EEEvT1_.has_dyn_sized_stack, 0
	.set _ZN7rocprim17ROCPRIM_400000_NS6detail17trampoline_kernelINS0_14default_configENS1_27scan_by_key_config_selectorIssEEZZNS1_16scan_by_key_implILNS1_25lookback_scan_determinismE0ELb1ES3_N6thrust23THRUST_200600_302600_NS6detail15normal_iteratorINS9_10device_ptrIsEEEESE_SE_sNS9_10multipliesIsEENS9_8equal_toIsEEsEE10hipError_tPvRmT2_T3_T4_T5_mT6_T7_P12ihipStream_tbENKUlT_T0_E_clISt17integral_constantIbLb0EESY_IbLb1EEEEDaSU_SV_EUlSU_E_NS1_11comp_targetILNS1_3genE0ELNS1_11target_archE4294967295ELNS1_3gpuE0ELNS1_3repE0EEENS1_30default_config_static_selectorELNS0_4arch9wavefront6targetE0EEEvT1_.has_recursion, 0
	.set _ZN7rocprim17ROCPRIM_400000_NS6detail17trampoline_kernelINS0_14default_configENS1_27scan_by_key_config_selectorIssEEZZNS1_16scan_by_key_implILNS1_25lookback_scan_determinismE0ELb1ES3_N6thrust23THRUST_200600_302600_NS6detail15normal_iteratorINS9_10device_ptrIsEEEESE_SE_sNS9_10multipliesIsEENS9_8equal_toIsEEsEE10hipError_tPvRmT2_T3_T4_T5_mT6_T7_P12ihipStream_tbENKUlT_T0_E_clISt17integral_constantIbLb0EESY_IbLb1EEEEDaSU_SV_EUlSU_E_NS1_11comp_targetILNS1_3genE0ELNS1_11target_archE4294967295ELNS1_3gpuE0ELNS1_3repE0EEENS1_30default_config_static_selectorELNS0_4arch9wavefront6targetE0EEEvT1_.has_indirect_call, 0
	.section	.AMDGPU.csdata,"",@progbits
; Kernel info:
; codeLenInByte = 19248
; TotalNumSgprs: 48
; NumVgprs: 57
; ScratchSize: 0
; MemoryBound: 0
; FloatMode: 240
; IeeeMode: 1
; LDSByteSize: 11264 bytes/workgroup (compile time only)
; SGPRBlocks: 0
; VGPRBlocks: 3
; NumSGPRsForWavesPerEU: 48
; NumVGPRsForWavesPerEU: 57
; NamedBarCnt: 0
; Occupancy: 16
; WaveLimiterHint : 1
; COMPUTE_PGM_RSRC2:SCRATCH_EN: 0
; COMPUTE_PGM_RSRC2:USER_SGPR: 2
; COMPUTE_PGM_RSRC2:TRAP_HANDLER: 0
; COMPUTE_PGM_RSRC2:TGID_X_EN: 1
; COMPUTE_PGM_RSRC2:TGID_Y_EN: 0
; COMPUTE_PGM_RSRC2:TGID_Z_EN: 0
; COMPUTE_PGM_RSRC2:TIDIG_COMP_CNT: 0
	.section	.text._ZN7rocprim17ROCPRIM_400000_NS6detail17trampoline_kernelINS0_14default_configENS1_27scan_by_key_config_selectorIssEEZZNS1_16scan_by_key_implILNS1_25lookback_scan_determinismE0ELb1ES3_N6thrust23THRUST_200600_302600_NS6detail15normal_iteratorINS9_10device_ptrIsEEEESE_SE_sNS9_10multipliesIsEENS9_8equal_toIsEEsEE10hipError_tPvRmT2_T3_T4_T5_mT6_T7_P12ihipStream_tbENKUlT_T0_E_clISt17integral_constantIbLb0EESY_IbLb1EEEEDaSU_SV_EUlSU_E_NS1_11comp_targetILNS1_3genE10ELNS1_11target_archE1201ELNS1_3gpuE5ELNS1_3repE0EEENS1_30default_config_static_selectorELNS0_4arch9wavefront6targetE0EEEvT1_,"axG",@progbits,_ZN7rocprim17ROCPRIM_400000_NS6detail17trampoline_kernelINS0_14default_configENS1_27scan_by_key_config_selectorIssEEZZNS1_16scan_by_key_implILNS1_25lookback_scan_determinismE0ELb1ES3_N6thrust23THRUST_200600_302600_NS6detail15normal_iteratorINS9_10device_ptrIsEEEESE_SE_sNS9_10multipliesIsEENS9_8equal_toIsEEsEE10hipError_tPvRmT2_T3_T4_T5_mT6_T7_P12ihipStream_tbENKUlT_T0_E_clISt17integral_constantIbLb0EESY_IbLb1EEEEDaSU_SV_EUlSU_E_NS1_11comp_targetILNS1_3genE10ELNS1_11target_archE1201ELNS1_3gpuE5ELNS1_3repE0EEENS1_30default_config_static_selectorELNS0_4arch9wavefront6targetE0EEEvT1_,comdat
	.protected	_ZN7rocprim17ROCPRIM_400000_NS6detail17trampoline_kernelINS0_14default_configENS1_27scan_by_key_config_selectorIssEEZZNS1_16scan_by_key_implILNS1_25lookback_scan_determinismE0ELb1ES3_N6thrust23THRUST_200600_302600_NS6detail15normal_iteratorINS9_10device_ptrIsEEEESE_SE_sNS9_10multipliesIsEENS9_8equal_toIsEEsEE10hipError_tPvRmT2_T3_T4_T5_mT6_T7_P12ihipStream_tbENKUlT_T0_E_clISt17integral_constantIbLb0EESY_IbLb1EEEEDaSU_SV_EUlSU_E_NS1_11comp_targetILNS1_3genE10ELNS1_11target_archE1201ELNS1_3gpuE5ELNS1_3repE0EEENS1_30default_config_static_selectorELNS0_4arch9wavefront6targetE0EEEvT1_ ; -- Begin function _ZN7rocprim17ROCPRIM_400000_NS6detail17trampoline_kernelINS0_14default_configENS1_27scan_by_key_config_selectorIssEEZZNS1_16scan_by_key_implILNS1_25lookback_scan_determinismE0ELb1ES3_N6thrust23THRUST_200600_302600_NS6detail15normal_iteratorINS9_10device_ptrIsEEEESE_SE_sNS9_10multipliesIsEENS9_8equal_toIsEEsEE10hipError_tPvRmT2_T3_T4_T5_mT6_T7_P12ihipStream_tbENKUlT_T0_E_clISt17integral_constantIbLb0EESY_IbLb1EEEEDaSU_SV_EUlSU_E_NS1_11comp_targetILNS1_3genE10ELNS1_11target_archE1201ELNS1_3gpuE5ELNS1_3repE0EEENS1_30default_config_static_selectorELNS0_4arch9wavefront6targetE0EEEvT1_
	.globl	_ZN7rocprim17ROCPRIM_400000_NS6detail17trampoline_kernelINS0_14default_configENS1_27scan_by_key_config_selectorIssEEZZNS1_16scan_by_key_implILNS1_25lookback_scan_determinismE0ELb1ES3_N6thrust23THRUST_200600_302600_NS6detail15normal_iteratorINS9_10device_ptrIsEEEESE_SE_sNS9_10multipliesIsEENS9_8equal_toIsEEsEE10hipError_tPvRmT2_T3_T4_T5_mT6_T7_P12ihipStream_tbENKUlT_T0_E_clISt17integral_constantIbLb0EESY_IbLb1EEEEDaSU_SV_EUlSU_E_NS1_11comp_targetILNS1_3genE10ELNS1_11target_archE1201ELNS1_3gpuE5ELNS1_3repE0EEENS1_30default_config_static_selectorELNS0_4arch9wavefront6targetE0EEEvT1_
	.p2align	8
	.type	_ZN7rocprim17ROCPRIM_400000_NS6detail17trampoline_kernelINS0_14default_configENS1_27scan_by_key_config_selectorIssEEZZNS1_16scan_by_key_implILNS1_25lookback_scan_determinismE0ELb1ES3_N6thrust23THRUST_200600_302600_NS6detail15normal_iteratorINS9_10device_ptrIsEEEESE_SE_sNS9_10multipliesIsEENS9_8equal_toIsEEsEE10hipError_tPvRmT2_T3_T4_T5_mT6_T7_P12ihipStream_tbENKUlT_T0_E_clISt17integral_constantIbLb0EESY_IbLb1EEEEDaSU_SV_EUlSU_E_NS1_11comp_targetILNS1_3genE10ELNS1_11target_archE1201ELNS1_3gpuE5ELNS1_3repE0EEENS1_30default_config_static_selectorELNS0_4arch9wavefront6targetE0EEEvT1_,@function
_ZN7rocprim17ROCPRIM_400000_NS6detail17trampoline_kernelINS0_14default_configENS1_27scan_by_key_config_selectorIssEEZZNS1_16scan_by_key_implILNS1_25lookback_scan_determinismE0ELb1ES3_N6thrust23THRUST_200600_302600_NS6detail15normal_iteratorINS9_10device_ptrIsEEEESE_SE_sNS9_10multipliesIsEENS9_8equal_toIsEEsEE10hipError_tPvRmT2_T3_T4_T5_mT6_T7_P12ihipStream_tbENKUlT_T0_E_clISt17integral_constantIbLb0EESY_IbLb1EEEEDaSU_SV_EUlSU_E_NS1_11comp_targetILNS1_3genE10ELNS1_11target_archE1201ELNS1_3gpuE5ELNS1_3repE0EEENS1_30default_config_static_selectorELNS0_4arch9wavefront6targetE0EEEvT1_: ; @_ZN7rocprim17ROCPRIM_400000_NS6detail17trampoline_kernelINS0_14default_configENS1_27scan_by_key_config_selectorIssEEZZNS1_16scan_by_key_implILNS1_25lookback_scan_determinismE0ELb1ES3_N6thrust23THRUST_200600_302600_NS6detail15normal_iteratorINS9_10device_ptrIsEEEESE_SE_sNS9_10multipliesIsEENS9_8equal_toIsEEsEE10hipError_tPvRmT2_T3_T4_T5_mT6_T7_P12ihipStream_tbENKUlT_T0_E_clISt17integral_constantIbLb0EESY_IbLb1EEEEDaSU_SV_EUlSU_E_NS1_11comp_targetILNS1_3genE10ELNS1_11target_archE1201ELNS1_3gpuE5ELNS1_3repE0EEENS1_30default_config_static_selectorELNS0_4arch9wavefront6targetE0EEEvT1_
; %bb.0:
	.section	.rodata,"a",@progbits
	.p2align	6, 0x0
	.amdhsa_kernel _ZN7rocprim17ROCPRIM_400000_NS6detail17trampoline_kernelINS0_14default_configENS1_27scan_by_key_config_selectorIssEEZZNS1_16scan_by_key_implILNS1_25lookback_scan_determinismE0ELb1ES3_N6thrust23THRUST_200600_302600_NS6detail15normal_iteratorINS9_10device_ptrIsEEEESE_SE_sNS9_10multipliesIsEENS9_8equal_toIsEEsEE10hipError_tPvRmT2_T3_T4_T5_mT6_T7_P12ihipStream_tbENKUlT_T0_E_clISt17integral_constantIbLb0EESY_IbLb1EEEEDaSU_SV_EUlSU_E_NS1_11comp_targetILNS1_3genE10ELNS1_11target_archE1201ELNS1_3gpuE5ELNS1_3repE0EEENS1_30default_config_static_selectorELNS0_4arch9wavefront6targetE0EEEvT1_
		.amdhsa_group_segment_fixed_size 0
		.amdhsa_private_segment_fixed_size 0
		.amdhsa_kernarg_size 112
		.amdhsa_user_sgpr_count 2
		.amdhsa_user_sgpr_dispatch_ptr 0
		.amdhsa_user_sgpr_queue_ptr 0
		.amdhsa_user_sgpr_kernarg_segment_ptr 1
		.amdhsa_user_sgpr_dispatch_id 0
		.amdhsa_user_sgpr_kernarg_preload_length 0
		.amdhsa_user_sgpr_kernarg_preload_offset 0
		.amdhsa_user_sgpr_private_segment_size 0
		.amdhsa_wavefront_size32 1
		.amdhsa_uses_dynamic_stack 0
		.amdhsa_enable_private_segment 0
		.amdhsa_system_sgpr_workgroup_id_x 1
		.amdhsa_system_sgpr_workgroup_id_y 0
		.amdhsa_system_sgpr_workgroup_id_z 0
		.amdhsa_system_sgpr_workgroup_info 0
		.amdhsa_system_vgpr_workitem_id 0
		.amdhsa_next_free_vgpr 1
		.amdhsa_next_free_sgpr 1
		.amdhsa_named_barrier_count 0
		.amdhsa_reserve_vcc 0
		.amdhsa_float_round_mode_32 0
		.amdhsa_float_round_mode_16_64 0
		.amdhsa_float_denorm_mode_32 3
		.amdhsa_float_denorm_mode_16_64 3
		.amdhsa_fp16_overflow 0
		.amdhsa_memory_ordered 1
		.amdhsa_forward_progress 1
		.amdhsa_inst_pref_size 0
		.amdhsa_round_robin_scheduling 0
		.amdhsa_exception_fp_ieee_invalid_op 0
		.amdhsa_exception_fp_denorm_src 0
		.amdhsa_exception_fp_ieee_div_zero 0
		.amdhsa_exception_fp_ieee_overflow 0
		.amdhsa_exception_fp_ieee_underflow 0
		.amdhsa_exception_fp_ieee_inexact 0
		.amdhsa_exception_int_div_zero 0
	.end_amdhsa_kernel
	.section	.text._ZN7rocprim17ROCPRIM_400000_NS6detail17trampoline_kernelINS0_14default_configENS1_27scan_by_key_config_selectorIssEEZZNS1_16scan_by_key_implILNS1_25lookback_scan_determinismE0ELb1ES3_N6thrust23THRUST_200600_302600_NS6detail15normal_iteratorINS9_10device_ptrIsEEEESE_SE_sNS9_10multipliesIsEENS9_8equal_toIsEEsEE10hipError_tPvRmT2_T3_T4_T5_mT6_T7_P12ihipStream_tbENKUlT_T0_E_clISt17integral_constantIbLb0EESY_IbLb1EEEEDaSU_SV_EUlSU_E_NS1_11comp_targetILNS1_3genE10ELNS1_11target_archE1201ELNS1_3gpuE5ELNS1_3repE0EEENS1_30default_config_static_selectorELNS0_4arch9wavefront6targetE0EEEvT1_,"axG",@progbits,_ZN7rocprim17ROCPRIM_400000_NS6detail17trampoline_kernelINS0_14default_configENS1_27scan_by_key_config_selectorIssEEZZNS1_16scan_by_key_implILNS1_25lookback_scan_determinismE0ELb1ES3_N6thrust23THRUST_200600_302600_NS6detail15normal_iteratorINS9_10device_ptrIsEEEESE_SE_sNS9_10multipliesIsEENS9_8equal_toIsEEsEE10hipError_tPvRmT2_T3_T4_T5_mT6_T7_P12ihipStream_tbENKUlT_T0_E_clISt17integral_constantIbLb0EESY_IbLb1EEEEDaSU_SV_EUlSU_E_NS1_11comp_targetILNS1_3genE10ELNS1_11target_archE1201ELNS1_3gpuE5ELNS1_3repE0EEENS1_30default_config_static_selectorELNS0_4arch9wavefront6targetE0EEEvT1_,comdat
.Lfunc_end633:
	.size	_ZN7rocprim17ROCPRIM_400000_NS6detail17trampoline_kernelINS0_14default_configENS1_27scan_by_key_config_selectorIssEEZZNS1_16scan_by_key_implILNS1_25lookback_scan_determinismE0ELb1ES3_N6thrust23THRUST_200600_302600_NS6detail15normal_iteratorINS9_10device_ptrIsEEEESE_SE_sNS9_10multipliesIsEENS9_8equal_toIsEEsEE10hipError_tPvRmT2_T3_T4_T5_mT6_T7_P12ihipStream_tbENKUlT_T0_E_clISt17integral_constantIbLb0EESY_IbLb1EEEEDaSU_SV_EUlSU_E_NS1_11comp_targetILNS1_3genE10ELNS1_11target_archE1201ELNS1_3gpuE5ELNS1_3repE0EEENS1_30default_config_static_selectorELNS0_4arch9wavefront6targetE0EEEvT1_, .Lfunc_end633-_ZN7rocprim17ROCPRIM_400000_NS6detail17trampoline_kernelINS0_14default_configENS1_27scan_by_key_config_selectorIssEEZZNS1_16scan_by_key_implILNS1_25lookback_scan_determinismE0ELb1ES3_N6thrust23THRUST_200600_302600_NS6detail15normal_iteratorINS9_10device_ptrIsEEEESE_SE_sNS9_10multipliesIsEENS9_8equal_toIsEEsEE10hipError_tPvRmT2_T3_T4_T5_mT6_T7_P12ihipStream_tbENKUlT_T0_E_clISt17integral_constantIbLb0EESY_IbLb1EEEEDaSU_SV_EUlSU_E_NS1_11comp_targetILNS1_3genE10ELNS1_11target_archE1201ELNS1_3gpuE5ELNS1_3repE0EEENS1_30default_config_static_selectorELNS0_4arch9wavefront6targetE0EEEvT1_
                                        ; -- End function
	.set _ZN7rocprim17ROCPRIM_400000_NS6detail17trampoline_kernelINS0_14default_configENS1_27scan_by_key_config_selectorIssEEZZNS1_16scan_by_key_implILNS1_25lookback_scan_determinismE0ELb1ES3_N6thrust23THRUST_200600_302600_NS6detail15normal_iteratorINS9_10device_ptrIsEEEESE_SE_sNS9_10multipliesIsEENS9_8equal_toIsEEsEE10hipError_tPvRmT2_T3_T4_T5_mT6_T7_P12ihipStream_tbENKUlT_T0_E_clISt17integral_constantIbLb0EESY_IbLb1EEEEDaSU_SV_EUlSU_E_NS1_11comp_targetILNS1_3genE10ELNS1_11target_archE1201ELNS1_3gpuE5ELNS1_3repE0EEENS1_30default_config_static_selectorELNS0_4arch9wavefront6targetE0EEEvT1_.num_vgpr, 0
	.set _ZN7rocprim17ROCPRIM_400000_NS6detail17trampoline_kernelINS0_14default_configENS1_27scan_by_key_config_selectorIssEEZZNS1_16scan_by_key_implILNS1_25lookback_scan_determinismE0ELb1ES3_N6thrust23THRUST_200600_302600_NS6detail15normal_iteratorINS9_10device_ptrIsEEEESE_SE_sNS9_10multipliesIsEENS9_8equal_toIsEEsEE10hipError_tPvRmT2_T3_T4_T5_mT6_T7_P12ihipStream_tbENKUlT_T0_E_clISt17integral_constantIbLb0EESY_IbLb1EEEEDaSU_SV_EUlSU_E_NS1_11comp_targetILNS1_3genE10ELNS1_11target_archE1201ELNS1_3gpuE5ELNS1_3repE0EEENS1_30default_config_static_selectorELNS0_4arch9wavefront6targetE0EEEvT1_.num_agpr, 0
	.set _ZN7rocprim17ROCPRIM_400000_NS6detail17trampoline_kernelINS0_14default_configENS1_27scan_by_key_config_selectorIssEEZZNS1_16scan_by_key_implILNS1_25lookback_scan_determinismE0ELb1ES3_N6thrust23THRUST_200600_302600_NS6detail15normal_iteratorINS9_10device_ptrIsEEEESE_SE_sNS9_10multipliesIsEENS9_8equal_toIsEEsEE10hipError_tPvRmT2_T3_T4_T5_mT6_T7_P12ihipStream_tbENKUlT_T0_E_clISt17integral_constantIbLb0EESY_IbLb1EEEEDaSU_SV_EUlSU_E_NS1_11comp_targetILNS1_3genE10ELNS1_11target_archE1201ELNS1_3gpuE5ELNS1_3repE0EEENS1_30default_config_static_selectorELNS0_4arch9wavefront6targetE0EEEvT1_.numbered_sgpr, 0
	.set _ZN7rocprim17ROCPRIM_400000_NS6detail17trampoline_kernelINS0_14default_configENS1_27scan_by_key_config_selectorIssEEZZNS1_16scan_by_key_implILNS1_25lookback_scan_determinismE0ELb1ES3_N6thrust23THRUST_200600_302600_NS6detail15normal_iteratorINS9_10device_ptrIsEEEESE_SE_sNS9_10multipliesIsEENS9_8equal_toIsEEsEE10hipError_tPvRmT2_T3_T4_T5_mT6_T7_P12ihipStream_tbENKUlT_T0_E_clISt17integral_constantIbLb0EESY_IbLb1EEEEDaSU_SV_EUlSU_E_NS1_11comp_targetILNS1_3genE10ELNS1_11target_archE1201ELNS1_3gpuE5ELNS1_3repE0EEENS1_30default_config_static_selectorELNS0_4arch9wavefront6targetE0EEEvT1_.num_named_barrier, 0
	.set _ZN7rocprim17ROCPRIM_400000_NS6detail17trampoline_kernelINS0_14default_configENS1_27scan_by_key_config_selectorIssEEZZNS1_16scan_by_key_implILNS1_25lookback_scan_determinismE0ELb1ES3_N6thrust23THRUST_200600_302600_NS6detail15normal_iteratorINS9_10device_ptrIsEEEESE_SE_sNS9_10multipliesIsEENS9_8equal_toIsEEsEE10hipError_tPvRmT2_T3_T4_T5_mT6_T7_P12ihipStream_tbENKUlT_T0_E_clISt17integral_constantIbLb0EESY_IbLb1EEEEDaSU_SV_EUlSU_E_NS1_11comp_targetILNS1_3genE10ELNS1_11target_archE1201ELNS1_3gpuE5ELNS1_3repE0EEENS1_30default_config_static_selectorELNS0_4arch9wavefront6targetE0EEEvT1_.private_seg_size, 0
	.set _ZN7rocprim17ROCPRIM_400000_NS6detail17trampoline_kernelINS0_14default_configENS1_27scan_by_key_config_selectorIssEEZZNS1_16scan_by_key_implILNS1_25lookback_scan_determinismE0ELb1ES3_N6thrust23THRUST_200600_302600_NS6detail15normal_iteratorINS9_10device_ptrIsEEEESE_SE_sNS9_10multipliesIsEENS9_8equal_toIsEEsEE10hipError_tPvRmT2_T3_T4_T5_mT6_T7_P12ihipStream_tbENKUlT_T0_E_clISt17integral_constantIbLb0EESY_IbLb1EEEEDaSU_SV_EUlSU_E_NS1_11comp_targetILNS1_3genE10ELNS1_11target_archE1201ELNS1_3gpuE5ELNS1_3repE0EEENS1_30default_config_static_selectorELNS0_4arch9wavefront6targetE0EEEvT1_.uses_vcc, 0
	.set _ZN7rocprim17ROCPRIM_400000_NS6detail17trampoline_kernelINS0_14default_configENS1_27scan_by_key_config_selectorIssEEZZNS1_16scan_by_key_implILNS1_25lookback_scan_determinismE0ELb1ES3_N6thrust23THRUST_200600_302600_NS6detail15normal_iteratorINS9_10device_ptrIsEEEESE_SE_sNS9_10multipliesIsEENS9_8equal_toIsEEsEE10hipError_tPvRmT2_T3_T4_T5_mT6_T7_P12ihipStream_tbENKUlT_T0_E_clISt17integral_constantIbLb0EESY_IbLb1EEEEDaSU_SV_EUlSU_E_NS1_11comp_targetILNS1_3genE10ELNS1_11target_archE1201ELNS1_3gpuE5ELNS1_3repE0EEENS1_30default_config_static_selectorELNS0_4arch9wavefront6targetE0EEEvT1_.uses_flat_scratch, 0
	.set _ZN7rocprim17ROCPRIM_400000_NS6detail17trampoline_kernelINS0_14default_configENS1_27scan_by_key_config_selectorIssEEZZNS1_16scan_by_key_implILNS1_25lookback_scan_determinismE0ELb1ES3_N6thrust23THRUST_200600_302600_NS6detail15normal_iteratorINS9_10device_ptrIsEEEESE_SE_sNS9_10multipliesIsEENS9_8equal_toIsEEsEE10hipError_tPvRmT2_T3_T4_T5_mT6_T7_P12ihipStream_tbENKUlT_T0_E_clISt17integral_constantIbLb0EESY_IbLb1EEEEDaSU_SV_EUlSU_E_NS1_11comp_targetILNS1_3genE10ELNS1_11target_archE1201ELNS1_3gpuE5ELNS1_3repE0EEENS1_30default_config_static_selectorELNS0_4arch9wavefront6targetE0EEEvT1_.has_dyn_sized_stack, 0
	.set _ZN7rocprim17ROCPRIM_400000_NS6detail17trampoline_kernelINS0_14default_configENS1_27scan_by_key_config_selectorIssEEZZNS1_16scan_by_key_implILNS1_25lookback_scan_determinismE0ELb1ES3_N6thrust23THRUST_200600_302600_NS6detail15normal_iteratorINS9_10device_ptrIsEEEESE_SE_sNS9_10multipliesIsEENS9_8equal_toIsEEsEE10hipError_tPvRmT2_T3_T4_T5_mT6_T7_P12ihipStream_tbENKUlT_T0_E_clISt17integral_constantIbLb0EESY_IbLb1EEEEDaSU_SV_EUlSU_E_NS1_11comp_targetILNS1_3genE10ELNS1_11target_archE1201ELNS1_3gpuE5ELNS1_3repE0EEENS1_30default_config_static_selectorELNS0_4arch9wavefront6targetE0EEEvT1_.has_recursion, 0
	.set _ZN7rocprim17ROCPRIM_400000_NS6detail17trampoline_kernelINS0_14default_configENS1_27scan_by_key_config_selectorIssEEZZNS1_16scan_by_key_implILNS1_25lookback_scan_determinismE0ELb1ES3_N6thrust23THRUST_200600_302600_NS6detail15normal_iteratorINS9_10device_ptrIsEEEESE_SE_sNS9_10multipliesIsEENS9_8equal_toIsEEsEE10hipError_tPvRmT2_T3_T4_T5_mT6_T7_P12ihipStream_tbENKUlT_T0_E_clISt17integral_constantIbLb0EESY_IbLb1EEEEDaSU_SV_EUlSU_E_NS1_11comp_targetILNS1_3genE10ELNS1_11target_archE1201ELNS1_3gpuE5ELNS1_3repE0EEENS1_30default_config_static_selectorELNS0_4arch9wavefront6targetE0EEEvT1_.has_indirect_call, 0
	.section	.AMDGPU.csdata,"",@progbits
; Kernel info:
; codeLenInByte = 0
; TotalNumSgprs: 0
; NumVgprs: 0
; ScratchSize: 0
; MemoryBound: 0
; FloatMode: 240
; IeeeMode: 1
; LDSByteSize: 0 bytes/workgroup (compile time only)
; SGPRBlocks: 0
; VGPRBlocks: 0
; NumSGPRsForWavesPerEU: 1
; NumVGPRsForWavesPerEU: 1
; NamedBarCnt: 0
; Occupancy: 16
; WaveLimiterHint : 0
; COMPUTE_PGM_RSRC2:SCRATCH_EN: 0
; COMPUTE_PGM_RSRC2:USER_SGPR: 2
; COMPUTE_PGM_RSRC2:TRAP_HANDLER: 0
; COMPUTE_PGM_RSRC2:TGID_X_EN: 1
; COMPUTE_PGM_RSRC2:TGID_Y_EN: 0
; COMPUTE_PGM_RSRC2:TGID_Z_EN: 0
; COMPUTE_PGM_RSRC2:TIDIG_COMP_CNT: 0
	.section	.text._ZN7rocprim17ROCPRIM_400000_NS6detail17trampoline_kernelINS0_14default_configENS1_27scan_by_key_config_selectorIssEEZZNS1_16scan_by_key_implILNS1_25lookback_scan_determinismE0ELb1ES3_N6thrust23THRUST_200600_302600_NS6detail15normal_iteratorINS9_10device_ptrIsEEEESE_SE_sNS9_10multipliesIsEENS9_8equal_toIsEEsEE10hipError_tPvRmT2_T3_T4_T5_mT6_T7_P12ihipStream_tbENKUlT_T0_E_clISt17integral_constantIbLb0EESY_IbLb1EEEEDaSU_SV_EUlSU_E_NS1_11comp_targetILNS1_3genE5ELNS1_11target_archE942ELNS1_3gpuE9ELNS1_3repE0EEENS1_30default_config_static_selectorELNS0_4arch9wavefront6targetE0EEEvT1_,"axG",@progbits,_ZN7rocprim17ROCPRIM_400000_NS6detail17trampoline_kernelINS0_14default_configENS1_27scan_by_key_config_selectorIssEEZZNS1_16scan_by_key_implILNS1_25lookback_scan_determinismE0ELb1ES3_N6thrust23THRUST_200600_302600_NS6detail15normal_iteratorINS9_10device_ptrIsEEEESE_SE_sNS9_10multipliesIsEENS9_8equal_toIsEEsEE10hipError_tPvRmT2_T3_T4_T5_mT6_T7_P12ihipStream_tbENKUlT_T0_E_clISt17integral_constantIbLb0EESY_IbLb1EEEEDaSU_SV_EUlSU_E_NS1_11comp_targetILNS1_3genE5ELNS1_11target_archE942ELNS1_3gpuE9ELNS1_3repE0EEENS1_30default_config_static_selectorELNS0_4arch9wavefront6targetE0EEEvT1_,comdat
	.protected	_ZN7rocprim17ROCPRIM_400000_NS6detail17trampoline_kernelINS0_14default_configENS1_27scan_by_key_config_selectorIssEEZZNS1_16scan_by_key_implILNS1_25lookback_scan_determinismE0ELb1ES3_N6thrust23THRUST_200600_302600_NS6detail15normal_iteratorINS9_10device_ptrIsEEEESE_SE_sNS9_10multipliesIsEENS9_8equal_toIsEEsEE10hipError_tPvRmT2_T3_T4_T5_mT6_T7_P12ihipStream_tbENKUlT_T0_E_clISt17integral_constantIbLb0EESY_IbLb1EEEEDaSU_SV_EUlSU_E_NS1_11comp_targetILNS1_3genE5ELNS1_11target_archE942ELNS1_3gpuE9ELNS1_3repE0EEENS1_30default_config_static_selectorELNS0_4arch9wavefront6targetE0EEEvT1_ ; -- Begin function _ZN7rocprim17ROCPRIM_400000_NS6detail17trampoline_kernelINS0_14default_configENS1_27scan_by_key_config_selectorIssEEZZNS1_16scan_by_key_implILNS1_25lookback_scan_determinismE0ELb1ES3_N6thrust23THRUST_200600_302600_NS6detail15normal_iteratorINS9_10device_ptrIsEEEESE_SE_sNS9_10multipliesIsEENS9_8equal_toIsEEsEE10hipError_tPvRmT2_T3_T4_T5_mT6_T7_P12ihipStream_tbENKUlT_T0_E_clISt17integral_constantIbLb0EESY_IbLb1EEEEDaSU_SV_EUlSU_E_NS1_11comp_targetILNS1_3genE5ELNS1_11target_archE942ELNS1_3gpuE9ELNS1_3repE0EEENS1_30default_config_static_selectorELNS0_4arch9wavefront6targetE0EEEvT1_
	.globl	_ZN7rocprim17ROCPRIM_400000_NS6detail17trampoline_kernelINS0_14default_configENS1_27scan_by_key_config_selectorIssEEZZNS1_16scan_by_key_implILNS1_25lookback_scan_determinismE0ELb1ES3_N6thrust23THRUST_200600_302600_NS6detail15normal_iteratorINS9_10device_ptrIsEEEESE_SE_sNS9_10multipliesIsEENS9_8equal_toIsEEsEE10hipError_tPvRmT2_T3_T4_T5_mT6_T7_P12ihipStream_tbENKUlT_T0_E_clISt17integral_constantIbLb0EESY_IbLb1EEEEDaSU_SV_EUlSU_E_NS1_11comp_targetILNS1_3genE5ELNS1_11target_archE942ELNS1_3gpuE9ELNS1_3repE0EEENS1_30default_config_static_selectorELNS0_4arch9wavefront6targetE0EEEvT1_
	.p2align	8
	.type	_ZN7rocprim17ROCPRIM_400000_NS6detail17trampoline_kernelINS0_14default_configENS1_27scan_by_key_config_selectorIssEEZZNS1_16scan_by_key_implILNS1_25lookback_scan_determinismE0ELb1ES3_N6thrust23THRUST_200600_302600_NS6detail15normal_iteratorINS9_10device_ptrIsEEEESE_SE_sNS9_10multipliesIsEENS9_8equal_toIsEEsEE10hipError_tPvRmT2_T3_T4_T5_mT6_T7_P12ihipStream_tbENKUlT_T0_E_clISt17integral_constantIbLb0EESY_IbLb1EEEEDaSU_SV_EUlSU_E_NS1_11comp_targetILNS1_3genE5ELNS1_11target_archE942ELNS1_3gpuE9ELNS1_3repE0EEENS1_30default_config_static_selectorELNS0_4arch9wavefront6targetE0EEEvT1_,@function
_ZN7rocprim17ROCPRIM_400000_NS6detail17trampoline_kernelINS0_14default_configENS1_27scan_by_key_config_selectorIssEEZZNS1_16scan_by_key_implILNS1_25lookback_scan_determinismE0ELb1ES3_N6thrust23THRUST_200600_302600_NS6detail15normal_iteratorINS9_10device_ptrIsEEEESE_SE_sNS9_10multipliesIsEENS9_8equal_toIsEEsEE10hipError_tPvRmT2_T3_T4_T5_mT6_T7_P12ihipStream_tbENKUlT_T0_E_clISt17integral_constantIbLb0EESY_IbLb1EEEEDaSU_SV_EUlSU_E_NS1_11comp_targetILNS1_3genE5ELNS1_11target_archE942ELNS1_3gpuE9ELNS1_3repE0EEENS1_30default_config_static_selectorELNS0_4arch9wavefront6targetE0EEEvT1_: ; @_ZN7rocprim17ROCPRIM_400000_NS6detail17trampoline_kernelINS0_14default_configENS1_27scan_by_key_config_selectorIssEEZZNS1_16scan_by_key_implILNS1_25lookback_scan_determinismE0ELb1ES3_N6thrust23THRUST_200600_302600_NS6detail15normal_iteratorINS9_10device_ptrIsEEEESE_SE_sNS9_10multipliesIsEENS9_8equal_toIsEEsEE10hipError_tPvRmT2_T3_T4_T5_mT6_T7_P12ihipStream_tbENKUlT_T0_E_clISt17integral_constantIbLb0EESY_IbLb1EEEEDaSU_SV_EUlSU_E_NS1_11comp_targetILNS1_3genE5ELNS1_11target_archE942ELNS1_3gpuE9ELNS1_3repE0EEENS1_30default_config_static_selectorELNS0_4arch9wavefront6targetE0EEEvT1_
; %bb.0:
	.section	.rodata,"a",@progbits
	.p2align	6, 0x0
	.amdhsa_kernel _ZN7rocprim17ROCPRIM_400000_NS6detail17trampoline_kernelINS0_14default_configENS1_27scan_by_key_config_selectorIssEEZZNS1_16scan_by_key_implILNS1_25lookback_scan_determinismE0ELb1ES3_N6thrust23THRUST_200600_302600_NS6detail15normal_iteratorINS9_10device_ptrIsEEEESE_SE_sNS9_10multipliesIsEENS9_8equal_toIsEEsEE10hipError_tPvRmT2_T3_T4_T5_mT6_T7_P12ihipStream_tbENKUlT_T0_E_clISt17integral_constantIbLb0EESY_IbLb1EEEEDaSU_SV_EUlSU_E_NS1_11comp_targetILNS1_3genE5ELNS1_11target_archE942ELNS1_3gpuE9ELNS1_3repE0EEENS1_30default_config_static_selectorELNS0_4arch9wavefront6targetE0EEEvT1_
		.amdhsa_group_segment_fixed_size 0
		.amdhsa_private_segment_fixed_size 0
		.amdhsa_kernarg_size 112
		.amdhsa_user_sgpr_count 2
		.amdhsa_user_sgpr_dispatch_ptr 0
		.amdhsa_user_sgpr_queue_ptr 0
		.amdhsa_user_sgpr_kernarg_segment_ptr 1
		.amdhsa_user_sgpr_dispatch_id 0
		.amdhsa_user_sgpr_kernarg_preload_length 0
		.amdhsa_user_sgpr_kernarg_preload_offset 0
		.amdhsa_user_sgpr_private_segment_size 0
		.amdhsa_wavefront_size32 1
		.amdhsa_uses_dynamic_stack 0
		.amdhsa_enable_private_segment 0
		.amdhsa_system_sgpr_workgroup_id_x 1
		.amdhsa_system_sgpr_workgroup_id_y 0
		.amdhsa_system_sgpr_workgroup_id_z 0
		.amdhsa_system_sgpr_workgroup_info 0
		.amdhsa_system_vgpr_workitem_id 0
		.amdhsa_next_free_vgpr 1
		.amdhsa_next_free_sgpr 1
		.amdhsa_named_barrier_count 0
		.amdhsa_reserve_vcc 0
		.amdhsa_float_round_mode_32 0
		.amdhsa_float_round_mode_16_64 0
		.amdhsa_float_denorm_mode_32 3
		.amdhsa_float_denorm_mode_16_64 3
		.amdhsa_fp16_overflow 0
		.amdhsa_memory_ordered 1
		.amdhsa_forward_progress 1
		.amdhsa_inst_pref_size 0
		.amdhsa_round_robin_scheduling 0
		.amdhsa_exception_fp_ieee_invalid_op 0
		.amdhsa_exception_fp_denorm_src 0
		.amdhsa_exception_fp_ieee_div_zero 0
		.amdhsa_exception_fp_ieee_overflow 0
		.amdhsa_exception_fp_ieee_underflow 0
		.amdhsa_exception_fp_ieee_inexact 0
		.amdhsa_exception_int_div_zero 0
	.end_amdhsa_kernel
	.section	.text._ZN7rocprim17ROCPRIM_400000_NS6detail17trampoline_kernelINS0_14default_configENS1_27scan_by_key_config_selectorIssEEZZNS1_16scan_by_key_implILNS1_25lookback_scan_determinismE0ELb1ES3_N6thrust23THRUST_200600_302600_NS6detail15normal_iteratorINS9_10device_ptrIsEEEESE_SE_sNS9_10multipliesIsEENS9_8equal_toIsEEsEE10hipError_tPvRmT2_T3_T4_T5_mT6_T7_P12ihipStream_tbENKUlT_T0_E_clISt17integral_constantIbLb0EESY_IbLb1EEEEDaSU_SV_EUlSU_E_NS1_11comp_targetILNS1_3genE5ELNS1_11target_archE942ELNS1_3gpuE9ELNS1_3repE0EEENS1_30default_config_static_selectorELNS0_4arch9wavefront6targetE0EEEvT1_,"axG",@progbits,_ZN7rocprim17ROCPRIM_400000_NS6detail17trampoline_kernelINS0_14default_configENS1_27scan_by_key_config_selectorIssEEZZNS1_16scan_by_key_implILNS1_25lookback_scan_determinismE0ELb1ES3_N6thrust23THRUST_200600_302600_NS6detail15normal_iteratorINS9_10device_ptrIsEEEESE_SE_sNS9_10multipliesIsEENS9_8equal_toIsEEsEE10hipError_tPvRmT2_T3_T4_T5_mT6_T7_P12ihipStream_tbENKUlT_T0_E_clISt17integral_constantIbLb0EESY_IbLb1EEEEDaSU_SV_EUlSU_E_NS1_11comp_targetILNS1_3genE5ELNS1_11target_archE942ELNS1_3gpuE9ELNS1_3repE0EEENS1_30default_config_static_selectorELNS0_4arch9wavefront6targetE0EEEvT1_,comdat
.Lfunc_end634:
	.size	_ZN7rocprim17ROCPRIM_400000_NS6detail17trampoline_kernelINS0_14default_configENS1_27scan_by_key_config_selectorIssEEZZNS1_16scan_by_key_implILNS1_25lookback_scan_determinismE0ELb1ES3_N6thrust23THRUST_200600_302600_NS6detail15normal_iteratorINS9_10device_ptrIsEEEESE_SE_sNS9_10multipliesIsEENS9_8equal_toIsEEsEE10hipError_tPvRmT2_T3_T4_T5_mT6_T7_P12ihipStream_tbENKUlT_T0_E_clISt17integral_constantIbLb0EESY_IbLb1EEEEDaSU_SV_EUlSU_E_NS1_11comp_targetILNS1_3genE5ELNS1_11target_archE942ELNS1_3gpuE9ELNS1_3repE0EEENS1_30default_config_static_selectorELNS0_4arch9wavefront6targetE0EEEvT1_, .Lfunc_end634-_ZN7rocprim17ROCPRIM_400000_NS6detail17trampoline_kernelINS0_14default_configENS1_27scan_by_key_config_selectorIssEEZZNS1_16scan_by_key_implILNS1_25lookback_scan_determinismE0ELb1ES3_N6thrust23THRUST_200600_302600_NS6detail15normal_iteratorINS9_10device_ptrIsEEEESE_SE_sNS9_10multipliesIsEENS9_8equal_toIsEEsEE10hipError_tPvRmT2_T3_T4_T5_mT6_T7_P12ihipStream_tbENKUlT_T0_E_clISt17integral_constantIbLb0EESY_IbLb1EEEEDaSU_SV_EUlSU_E_NS1_11comp_targetILNS1_3genE5ELNS1_11target_archE942ELNS1_3gpuE9ELNS1_3repE0EEENS1_30default_config_static_selectorELNS0_4arch9wavefront6targetE0EEEvT1_
                                        ; -- End function
	.set _ZN7rocprim17ROCPRIM_400000_NS6detail17trampoline_kernelINS0_14default_configENS1_27scan_by_key_config_selectorIssEEZZNS1_16scan_by_key_implILNS1_25lookback_scan_determinismE0ELb1ES3_N6thrust23THRUST_200600_302600_NS6detail15normal_iteratorINS9_10device_ptrIsEEEESE_SE_sNS9_10multipliesIsEENS9_8equal_toIsEEsEE10hipError_tPvRmT2_T3_T4_T5_mT6_T7_P12ihipStream_tbENKUlT_T0_E_clISt17integral_constantIbLb0EESY_IbLb1EEEEDaSU_SV_EUlSU_E_NS1_11comp_targetILNS1_3genE5ELNS1_11target_archE942ELNS1_3gpuE9ELNS1_3repE0EEENS1_30default_config_static_selectorELNS0_4arch9wavefront6targetE0EEEvT1_.num_vgpr, 0
	.set _ZN7rocprim17ROCPRIM_400000_NS6detail17trampoline_kernelINS0_14default_configENS1_27scan_by_key_config_selectorIssEEZZNS1_16scan_by_key_implILNS1_25lookback_scan_determinismE0ELb1ES3_N6thrust23THRUST_200600_302600_NS6detail15normal_iteratorINS9_10device_ptrIsEEEESE_SE_sNS9_10multipliesIsEENS9_8equal_toIsEEsEE10hipError_tPvRmT2_T3_T4_T5_mT6_T7_P12ihipStream_tbENKUlT_T0_E_clISt17integral_constantIbLb0EESY_IbLb1EEEEDaSU_SV_EUlSU_E_NS1_11comp_targetILNS1_3genE5ELNS1_11target_archE942ELNS1_3gpuE9ELNS1_3repE0EEENS1_30default_config_static_selectorELNS0_4arch9wavefront6targetE0EEEvT1_.num_agpr, 0
	.set _ZN7rocprim17ROCPRIM_400000_NS6detail17trampoline_kernelINS0_14default_configENS1_27scan_by_key_config_selectorIssEEZZNS1_16scan_by_key_implILNS1_25lookback_scan_determinismE0ELb1ES3_N6thrust23THRUST_200600_302600_NS6detail15normal_iteratorINS9_10device_ptrIsEEEESE_SE_sNS9_10multipliesIsEENS9_8equal_toIsEEsEE10hipError_tPvRmT2_T3_T4_T5_mT6_T7_P12ihipStream_tbENKUlT_T0_E_clISt17integral_constantIbLb0EESY_IbLb1EEEEDaSU_SV_EUlSU_E_NS1_11comp_targetILNS1_3genE5ELNS1_11target_archE942ELNS1_3gpuE9ELNS1_3repE0EEENS1_30default_config_static_selectorELNS0_4arch9wavefront6targetE0EEEvT1_.numbered_sgpr, 0
	.set _ZN7rocprim17ROCPRIM_400000_NS6detail17trampoline_kernelINS0_14default_configENS1_27scan_by_key_config_selectorIssEEZZNS1_16scan_by_key_implILNS1_25lookback_scan_determinismE0ELb1ES3_N6thrust23THRUST_200600_302600_NS6detail15normal_iteratorINS9_10device_ptrIsEEEESE_SE_sNS9_10multipliesIsEENS9_8equal_toIsEEsEE10hipError_tPvRmT2_T3_T4_T5_mT6_T7_P12ihipStream_tbENKUlT_T0_E_clISt17integral_constantIbLb0EESY_IbLb1EEEEDaSU_SV_EUlSU_E_NS1_11comp_targetILNS1_3genE5ELNS1_11target_archE942ELNS1_3gpuE9ELNS1_3repE0EEENS1_30default_config_static_selectorELNS0_4arch9wavefront6targetE0EEEvT1_.num_named_barrier, 0
	.set _ZN7rocprim17ROCPRIM_400000_NS6detail17trampoline_kernelINS0_14default_configENS1_27scan_by_key_config_selectorIssEEZZNS1_16scan_by_key_implILNS1_25lookback_scan_determinismE0ELb1ES3_N6thrust23THRUST_200600_302600_NS6detail15normal_iteratorINS9_10device_ptrIsEEEESE_SE_sNS9_10multipliesIsEENS9_8equal_toIsEEsEE10hipError_tPvRmT2_T3_T4_T5_mT6_T7_P12ihipStream_tbENKUlT_T0_E_clISt17integral_constantIbLb0EESY_IbLb1EEEEDaSU_SV_EUlSU_E_NS1_11comp_targetILNS1_3genE5ELNS1_11target_archE942ELNS1_3gpuE9ELNS1_3repE0EEENS1_30default_config_static_selectorELNS0_4arch9wavefront6targetE0EEEvT1_.private_seg_size, 0
	.set _ZN7rocprim17ROCPRIM_400000_NS6detail17trampoline_kernelINS0_14default_configENS1_27scan_by_key_config_selectorIssEEZZNS1_16scan_by_key_implILNS1_25lookback_scan_determinismE0ELb1ES3_N6thrust23THRUST_200600_302600_NS6detail15normal_iteratorINS9_10device_ptrIsEEEESE_SE_sNS9_10multipliesIsEENS9_8equal_toIsEEsEE10hipError_tPvRmT2_T3_T4_T5_mT6_T7_P12ihipStream_tbENKUlT_T0_E_clISt17integral_constantIbLb0EESY_IbLb1EEEEDaSU_SV_EUlSU_E_NS1_11comp_targetILNS1_3genE5ELNS1_11target_archE942ELNS1_3gpuE9ELNS1_3repE0EEENS1_30default_config_static_selectorELNS0_4arch9wavefront6targetE0EEEvT1_.uses_vcc, 0
	.set _ZN7rocprim17ROCPRIM_400000_NS6detail17trampoline_kernelINS0_14default_configENS1_27scan_by_key_config_selectorIssEEZZNS1_16scan_by_key_implILNS1_25lookback_scan_determinismE0ELb1ES3_N6thrust23THRUST_200600_302600_NS6detail15normal_iteratorINS9_10device_ptrIsEEEESE_SE_sNS9_10multipliesIsEENS9_8equal_toIsEEsEE10hipError_tPvRmT2_T3_T4_T5_mT6_T7_P12ihipStream_tbENKUlT_T0_E_clISt17integral_constantIbLb0EESY_IbLb1EEEEDaSU_SV_EUlSU_E_NS1_11comp_targetILNS1_3genE5ELNS1_11target_archE942ELNS1_3gpuE9ELNS1_3repE0EEENS1_30default_config_static_selectorELNS0_4arch9wavefront6targetE0EEEvT1_.uses_flat_scratch, 0
	.set _ZN7rocprim17ROCPRIM_400000_NS6detail17trampoline_kernelINS0_14default_configENS1_27scan_by_key_config_selectorIssEEZZNS1_16scan_by_key_implILNS1_25lookback_scan_determinismE0ELb1ES3_N6thrust23THRUST_200600_302600_NS6detail15normal_iteratorINS9_10device_ptrIsEEEESE_SE_sNS9_10multipliesIsEENS9_8equal_toIsEEsEE10hipError_tPvRmT2_T3_T4_T5_mT6_T7_P12ihipStream_tbENKUlT_T0_E_clISt17integral_constantIbLb0EESY_IbLb1EEEEDaSU_SV_EUlSU_E_NS1_11comp_targetILNS1_3genE5ELNS1_11target_archE942ELNS1_3gpuE9ELNS1_3repE0EEENS1_30default_config_static_selectorELNS0_4arch9wavefront6targetE0EEEvT1_.has_dyn_sized_stack, 0
	.set _ZN7rocprim17ROCPRIM_400000_NS6detail17trampoline_kernelINS0_14default_configENS1_27scan_by_key_config_selectorIssEEZZNS1_16scan_by_key_implILNS1_25lookback_scan_determinismE0ELb1ES3_N6thrust23THRUST_200600_302600_NS6detail15normal_iteratorINS9_10device_ptrIsEEEESE_SE_sNS9_10multipliesIsEENS9_8equal_toIsEEsEE10hipError_tPvRmT2_T3_T4_T5_mT6_T7_P12ihipStream_tbENKUlT_T0_E_clISt17integral_constantIbLb0EESY_IbLb1EEEEDaSU_SV_EUlSU_E_NS1_11comp_targetILNS1_3genE5ELNS1_11target_archE942ELNS1_3gpuE9ELNS1_3repE0EEENS1_30default_config_static_selectorELNS0_4arch9wavefront6targetE0EEEvT1_.has_recursion, 0
	.set _ZN7rocprim17ROCPRIM_400000_NS6detail17trampoline_kernelINS0_14default_configENS1_27scan_by_key_config_selectorIssEEZZNS1_16scan_by_key_implILNS1_25lookback_scan_determinismE0ELb1ES3_N6thrust23THRUST_200600_302600_NS6detail15normal_iteratorINS9_10device_ptrIsEEEESE_SE_sNS9_10multipliesIsEENS9_8equal_toIsEEsEE10hipError_tPvRmT2_T3_T4_T5_mT6_T7_P12ihipStream_tbENKUlT_T0_E_clISt17integral_constantIbLb0EESY_IbLb1EEEEDaSU_SV_EUlSU_E_NS1_11comp_targetILNS1_3genE5ELNS1_11target_archE942ELNS1_3gpuE9ELNS1_3repE0EEENS1_30default_config_static_selectorELNS0_4arch9wavefront6targetE0EEEvT1_.has_indirect_call, 0
	.section	.AMDGPU.csdata,"",@progbits
; Kernel info:
; codeLenInByte = 0
; TotalNumSgprs: 0
; NumVgprs: 0
; ScratchSize: 0
; MemoryBound: 0
; FloatMode: 240
; IeeeMode: 1
; LDSByteSize: 0 bytes/workgroup (compile time only)
; SGPRBlocks: 0
; VGPRBlocks: 0
; NumSGPRsForWavesPerEU: 1
; NumVGPRsForWavesPerEU: 1
; NamedBarCnt: 0
; Occupancy: 16
; WaveLimiterHint : 0
; COMPUTE_PGM_RSRC2:SCRATCH_EN: 0
; COMPUTE_PGM_RSRC2:USER_SGPR: 2
; COMPUTE_PGM_RSRC2:TRAP_HANDLER: 0
; COMPUTE_PGM_RSRC2:TGID_X_EN: 1
; COMPUTE_PGM_RSRC2:TGID_Y_EN: 0
; COMPUTE_PGM_RSRC2:TGID_Z_EN: 0
; COMPUTE_PGM_RSRC2:TIDIG_COMP_CNT: 0
	.section	.text._ZN7rocprim17ROCPRIM_400000_NS6detail17trampoline_kernelINS0_14default_configENS1_27scan_by_key_config_selectorIssEEZZNS1_16scan_by_key_implILNS1_25lookback_scan_determinismE0ELb1ES3_N6thrust23THRUST_200600_302600_NS6detail15normal_iteratorINS9_10device_ptrIsEEEESE_SE_sNS9_10multipliesIsEENS9_8equal_toIsEEsEE10hipError_tPvRmT2_T3_T4_T5_mT6_T7_P12ihipStream_tbENKUlT_T0_E_clISt17integral_constantIbLb0EESY_IbLb1EEEEDaSU_SV_EUlSU_E_NS1_11comp_targetILNS1_3genE4ELNS1_11target_archE910ELNS1_3gpuE8ELNS1_3repE0EEENS1_30default_config_static_selectorELNS0_4arch9wavefront6targetE0EEEvT1_,"axG",@progbits,_ZN7rocprim17ROCPRIM_400000_NS6detail17trampoline_kernelINS0_14default_configENS1_27scan_by_key_config_selectorIssEEZZNS1_16scan_by_key_implILNS1_25lookback_scan_determinismE0ELb1ES3_N6thrust23THRUST_200600_302600_NS6detail15normal_iteratorINS9_10device_ptrIsEEEESE_SE_sNS9_10multipliesIsEENS9_8equal_toIsEEsEE10hipError_tPvRmT2_T3_T4_T5_mT6_T7_P12ihipStream_tbENKUlT_T0_E_clISt17integral_constantIbLb0EESY_IbLb1EEEEDaSU_SV_EUlSU_E_NS1_11comp_targetILNS1_3genE4ELNS1_11target_archE910ELNS1_3gpuE8ELNS1_3repE0EEENS1_30default_config_static_selectorELNS0_4arch9wavefront6targetE0EEEvT1_,comdat
	.protected	_ZN7rocprim17ROCPRIM_400000_NS6detail17trampoline_kernelINS0_14default_configENS1_27scan_by_key_config_selectorIssEEZZNS1_16scan_by_key_implILNS1_25lookback_scan_determinismE0ELb1ES3_N6thrust23THRUST_200600_302600_NS6detail15normal_iteratorINS9_10device_ptrIsEEEESE_SE_sNS9_10multipliesIsEENS9_8equal_toIsEEsEE10hipError_tPvRmT2_T3_T4_T5_mT6_T7_P12ihipStream_tbENKUlT_T0_E_clISt17integral_constantIbLb0EESY_IbLb1EEEEDaSU_SV_EUlSU_E_NS1_11comp_targetILNS1_3genE4ELNS1_11target_archE910ELNS1_3gpuE8ELNS1_3repE0EEENS1_30default_config_static_selectorELNS0_4arch9wavefront6targetE0EEEvT1_ ; -- Begin function _ZN7rocprim17ROCPRIM_400000_NS6detail17trampoline_kernelINS0_14default_configENS1_27scan_by_key_config_selectorIssEEZZNS1_16scan_by_key_implILNS1_25lookback_scan_determinismE0ELb1ES3_N6thrust23THRUST_200600_302600_NS6detail15normal_iteratorINS9_10device_ptrIsEEEESE_SE_sNS9_10multipliesIsEENS9_8equal_toIsEEsEE10hipError_tPvRmT2_T3_T4_T5_mT6_T7_P12ihipStream_tbENKUlT_T0_E_clISt17integral_constantIbLb0EESY_IbLb1EEEEDaSU_SV_EUlSU_E_NS1_11comp_targetILNS1_3genE4ELNS1_11target_archE910ELNS1_3gpuE8ELNS1_3repE0EEENS1_30default_config_static_selectorELNS0_4arch9wavefront6targetE0EEEvT1_
	.globl	_ZN7rocprim17ROCPRIM_400000_NS6detail17trampoline_kernelINS0_14default_configENS1_27scan_by_key_config_selectorIssEEZZNS1_16scan_by_key_implILNS1_25lookback_scan_determinismE0ELb1ES3_N6thrust23THRUST_200600_302600_NS6detail15normal_iteratorINS9_10device_ptrIsEEEESE_SE_sNS9_10multipliesIsEENS9_8equal_toIsEEsEE10hipError_tPvRmT2_T3_T4_T5_mT6_T7_P12ihipStream_tbENKUlT_T0_E_clISt17integral_constantIbLb0EESY_IbLb1EEEEDaSU_SV_EUlSU_E_NS1_11comp_targetILNS1_3genE4ELNS1_11target_archE910ELNS1_3gpuE8ELNS1_3repE0EEENS1_30default_config_static_selectorELNS0_4arch9wavefront6targetE0EEEvT1_
	.p2align	8
	.type	_ZN7rocprim17ROCPRIM_400000_NS6detail17trampoline_kernelINS0_14default_configENS1_27scan_by_key_config_selectorIssEEZZNS1_16scan_by_key_implILNS1_25lookback_scan_determinismE0ELb1ES3_N6thrust23THRUST_200600_302600_NS6detail15normal_iteratorINS9_10device_ptrIsEEEESE_SE_sNS9_10multipliesIsEENS9_8equal_toIsEEsEE10hipError_tPvRmT2_T3_T4_T5_mT6_T7_P12ihipStream_tbENKUlT_T0_E_clISt17integral_constantIbLb0EESY_IbLb1EEEEDaSU_SV_EUlSU_E_NS1_11comp_targetILNS1_3genE4ELNS1_11target_archE910ELNS1_3gpuE8ELNS1_3repE0EEENS1_30default_config_static_selectorELNS0_4arch9wavefront6targetE0EEEvT1_,@function
_ZN7rocprim17ROCPRIM_400000_NS6detail17trampoline_kernelINS0_14default_configENS1_27scan_by_key_config_selectorIssEEZZNS1_16scan_by_key_implILNS1_25lookback_scan_determinismE0ELb1ES3_N6thrust23THRUST_200600_302600_NS6detail15normal_iteratorINS9_10device_ptrIsEEEESE_SE_sNS9_10multipliesIsEENS9_8equal_toIsEEsEE10hipError_tPvRmT2_T3_T4_T5_mT6_T7_P12ihipStream_tbENKUlT_T0_E_clISt17integral_constantIbLb0EESY_IbLb1EEEEDaSU_SV_EUlSU_E_NS1_11comp_targetILNS1_3genE4ELNS1_11target_archE910ELNS1_3gpuE8ELNS1_3repE0EEENS1_30default_config_static_selectorELNS0_4arch9wavefront6targetE0EEEvT1_: ; @_ZN7rocprim17ROCPRIM_400000_NS6detail17trampoline_kernelINS0_14default_configENS1_27scan_by_key_config_selectorIssEEZZNS1_16scan_by_key_implILNS1_25lookback_scan_determinismE0ELb1ES3_N6thrust23THRUST_200600_302600_NS6detail15normal_iteratorINS9_10device_ptrIsEEEESE_SE_sNS9_10multipliesIsEENS9_8equal_toIsEEsEE10hipError_tPvRmT2_T3_T4_T5_mT6_T7_P12ihipStream_tbENKUlT_T0_E_clISt17integral_constantIbLb0EESY_IbLb1EEEEDaSU_SV_EUlSU_E_NS1_11comp_targetILNS1_3genE4ELNS1_11target_archE910ELNS1_3gpuE8ELNS1_3repE0EEENS1_30default_config_static_selectorELNS0_4arch9wavefront6targetE0EEEvT1_
; %bb.0:
	.section	.rodata,"a",@progbits
	.p2align	6, 0x0
	.amdhsa_kernel _ZN7rocprim17ROCPRIM_400000_NS6detail17trampoline_kernelINS0_14default_configENS1_27scan_by_key_config_selectorIssEEZZNS1_16scan_by_key_implILNS1_25lookback_scan_determinismE0ELb1ES3_N6thrust23THRUST_200600_302600_NS6detail15normal_iteratorINS9_10device_ptrIsEEEESE_SE_sNS9_10multipliesIsEENS9_8equal_toIsEEsEE10hipError_tPvRmT2_T3_T4_T5_mT6_T7_P12ihipStream_tbENKUlT_T0_E_clISt17integral_constantIbLb0EESY_IbLb1EEEEDaSU_SV_EUlSU_E_NS1_11comp_targetILNS1_3genE4ELNS1_11target_archE910ELNS1_3gpuE8ELNS1_3repE0EEENS1_30default_config_static_selectorELNS0_4arch9wavefront6targetE0EEEvT1_
		.amdhsa_group_segment_fixed_size 0
		.amdhsa_private_segment_fixed_size 0
		.amdhsa_kernarg_size 112
		.amdhsa_user_sgpr_count 2
		.amdhsa_user_sgpr_dispatch_ptr 0
		.amdhsa_user_sgpr_queue_ptr 0
		.amdhsa_user_sgpr_kernarg_segment_ptr 1
		.amdhsa_user_sgpr_dispatch_id 0
		.amdhsa_user_sgpr_kernarg_preload_length 0
		.amdhsa_user_sgpr_kernarg_preload_offset 0
		.amdhsa_user_sgpr_private_segment_size 0
		.amdhsa_wavefront_size32 1
		.amdhsa_uses_dynamic_stack 0
		.amdhsa_enable_private_segment 0
		.amdhsa_system_sgpr_workgroup_id_x 1
		.amdhsa_system_sgpr_workgroup_id_y 0
		.amdhsa_system_sgpr_workgroup_id_z 0
		.amdhsa_system_sgpr_workgroup_info 0
		.amdhsa_system_vgpr_workitem_id 0
		.amdhsa_next_free_vgpr 1
		.amdhsa_next_free_sgpr 1
		.amdhsa_named_barrier_count 0
		.amdhsa_reserve_vcc 0
		.amdhsa_float_round_mode_32 0
		.amdhsa_float_round_mode_16_64 0
		.amdhsa_float_denorm_mode_32 3
		.amdhsa_float_denorm_mode_16_64 3
		.amdhsa_fp16_overflow 0
		.amdhsa_memory_ordered 1
		.amdhsa_forward_progress 1
		.amdhsa_inst_pref_size 0
		.amdhsa_round_robin_scheduling 0
		.amdhsa_exception_fp_ieee_invalid_op 0
		.amdhsa_exception_fp_denorm_src 0
		.amdhsa_exception_fp_ieee_div_zero 0
		.amdhsa_exception_fp_ieee_overflow 0
		.amdhsa_exception_fp_ieee_underflow 0
		.amdhsa_exception_fp_ieee_inexact 0
		.amdhsa_exception_int_div_zero 0
	.end_amdhsa_kernel
	.section	.text._ZN7rocprim17ROCPRIM_400000_NS6detail17trampoline_kernelINS0_14default_configENS1_27scan_by_key_config_selectorIssEEZZNS1_16scan_by_key_implILNS1_25lookback_scan_determinismE0ELb1ES3_N6thrust23THRUST_200600_302600_NS6detail15normal_iteratorINS9_10device_ptrIsEEEESE_SE_sNS9_10multipliesIsEENS9_8equal_toIsEEsEE10hipError_tPvRmT2_T3_T4_T5_mT6_T7_P12ihipStream_tbENKUlT_T0_E_clISt17integral_constantIbLb0EESY_IbLb1EEEEDaSU_SV_EUlSU_E_NS1_11comp_targetILNS1_3genE4ELNS1_11target_archE910ELNS1_3gpuE8ELNS1_3repE0EEENS1_30default_config_static_selectorELNS0_4arch9wavefront6targetE0EEEvT1_,"axG",@progbits,_ZN7rocprim17ROCPRIM_400000_NS6detail17trampoline_kernelINS0_14default_configENS1_27scan_by_key_config_selectorIssEEZZNS1_16scan_by_key_implILNS1_25lookback_scan_determinismE0ELb1ES3_N6thrust23THRUST_200600_302600_NS6detail15normal_iteratorINS9_10device_ptrIsEEEESE_SE_sNS9_10multipliesIsEENS9_8equal_toIsEEsEE10hipError_tPvRmT2_T3_T4_T5_mT6_T7_P12ihipStream_tbENKUlT_T0_E_clISt17integral_constantIbLb0EESY_IbLb1EEEEDaSU_SV_EUlSU_E_NS1_11comp_targetILNS1_3genE4ELNS1_11target_archE910ELNS1_3gpuE8ELNS1_3repE0EEENS1_30default_config_static_selectorELNS0_4arch9wavefront6targetE0EEEvT1_,comdat
.Lfunc_end635:
	.size	_ZN7rocprim17ROCPRIM_400000_NS6detail17trampoline_kernelINS0_14default_configENS1_27scan_by_key_config_selectorIssEEZZNS1_16scan_by_key_implILNS1_25lookback_scan_determinismE0ELb1ES3_N6thrust23THRUST_200600_302600_NS6detail15normal_iteratorINS9_10device_ptrIsEEEESE_SE_sNS9_10multipliesIsEENS9_8equal_toIsEEsEE10hipError_tPvRmT2_T3_T4_T5_mT6_T7_P12ihipStream_tbENKUlT_T0_E_clISt17integral_constantIbLb0EESY_IbLb1EEEEDaSU_SV_EUlSU_E_NS1_11comp_targetILNS1_3genE4ELNS1_11target_archE910ELNS1_3gpuE8ELNS1_3repE0EEENS1_30default_config_static_selectorELNS0_4arch9wavefront6targetE0EEEvT1_, .Lfunc_end635-_ZN7rocprim17ROCPRIM_400000_NS6detail17trampoline_kernelINS0_14default_configENS1_27scan_by_key_config_selectorIssEEZZNS1_16scan_by_key_implILNS1_25lookback_scan_determinismE0ELb1ES3_N6thrust23THRUST_200600_302600_NS6detail15normal_iteratorINS9_10device_ptrIsEEEESE_SE_sNS9_10multipliesIsEENS9_8equal_toIsEEsEE10hipError_tPvRmT2_T3_T4_T5_mT6_T7_P12ihipStream_tbENKUlT_T0_E_clISt17integral_constantIbLb0EESY_IbLb1EEEEDaSU_SV_EUlSU_E_NS1_11comp_targetILNS1_3genE4ELNS1_11target_archE910ELNS1_3gpuE8ELNS1_3repE0EEENS1_30default_config_static_selectorELNS0_4arch9wavefront6targetE0EEEvT1_
                                        ; -- End function
	.set _ZN7rocprim17ROCPRIM_400000_NS6detail17trampoline_kernelINS0_14default_configENS1_27scan_by_key_config_selectorIssEEZZNS1_16scan_by_key_implILNS1_25lookback_scan_determinismE0ELb1ES3_N6thrust23THRUST_200600_302600_NS6detail15normal_iteratorINS9_10device_ptrIsEEEESE_SE_sNS9_10multipliesIsEENS9_8equal_toIsEEsEE10hipError_tPvRmT2_T3_T4_T5_mT6_T7_P12ihipStream_tbENKUlT_T0_E_clISt17integral_constantIbLb0EESY_IbLb1EEEEDaSU_SV_EUlSU_E_NS1_11comp_targetILNS1_3genE4ELNS1_11target_archE910ELNS1_3gpuE8ELNS1_3repE0EEENS1_30default_config_static_selectorELNS0_4arch9wavefront6targetE0EEEvT1_.num_vgpr, 0
	.set _ZN7rocprim17ROCPRIM_400000_NS6detail17trampoline_kernelINS0_14default_configENS1_27scan_by_key_config_selectorIssEEZZNS1_16scan_by_key_implILNS1_25lookback_scan_determinismE0ELb1ES3_N6thrust23THRUST_200600_302600_NS6detail15normal_iteratorINS9_10device_ptrIsEEEESE_SE_sNS9_10multipliesIsEENS9_8equal_toIsEEsEE10hipError_tPvRmT2_T3_T4_T5_mT6_T7_P12ihipStream_tbENKUlT_T0_E_clISt17integral_constantIbLb0EESY_IbLb1EEEEDaSU_SV_EUlSU_E_NS1_11comp_targetILNS1_3genE4ELNS1_11target_archE910ELNS1_3gpuE8ELNS1_3repE0EEENS1_30default_config_static_selectorELNS0_4arch9wavefront6targetE0EEEvT1_.num_agpr, 0
	.set _ZN7rocprim17ROCPRIM_400000_NS6detail17trampoline_kernelINS0_14default_configENS1_27scan_by_key_config_selectorIssEEZZNS1_16scan_by_key_implILNS1_25lookback_scan_determinismE0ELb1ES3_N6thrust23THRUST_200600_302600_NS6detail15normal_iteratorINS9_10device_ptrIsEEEESE_SE_sNS9_10multipliesIsEENS9_8equal_toIsEEsEE10hipError_tPvRmT2_T3_T4_T5_mT6_T7_P12ihipStream_tbENKUlT_T0_E_clISt17integral_constantIbLb0EESY_IbLb1EEEEDaSU_SV_EUlSU_E_NS1_11comp_targetILNS1_3genE4ELNS1_11target_archE910ELNS1_3gpuE8ELNS1_3repE0EEENS1_30default_config_static_selectorELNS0_4arch9wavefront6targetE0EEEvT1_.numbered_sgpr, 0
	.set _ZN7rocprim17ROCPRIM_400000_NS6detail17trampoline_kernelINS0_14default_configENS1_27scan_by_key_config_selectorIssEEZZNS1_16scan_by_key_implILNS1_25lookback_scan_determinismE0ELb1ES3_N6thrust23THRUST_200600_302600_NS6detail15normal_iteratorINS9_10device_ptrIsEEEESE_SE_sNS9_10multipliesIsEENS9_8equal_toIsEEsEE10hipError_tPvRmT2_T3_T4_T5_mT6_T7_P12ihipStream_tbENKUlT_T0_E_clISt17integral_constantIbLb0EESY_IbLb1EEEEDaSU_SV_EUlSU_E_NS1_11comp_targetILNS1_3genE4ELNS1_11target_archE910ELNS1_3gpuE8ELNS1_3repE0EEENS1_30default_config_static_selectorELNS0_4arch9wavefront6targetE0EEEvT1_.num_named_barrier, 0
	.set _ZN7rocprim17ROCPRIM_400000_NS6detail17trampoline_kernelINS0_14default_configENS1_27scan_by_key_config_selectorIssEEZZNS1_16scan_by_key_implILNS1_25lookback_scan_determinismE0ELb1ES3_N6thrust23THRUST_200600_302600_NS6detail15normal_iteratorINS9_10device_ptrIsEEEESE_SE_sNS9_10multipliesIsEENS9_8equal_toIsEEsEE10hipError_tPvRmT2_T3_T4_T5_mT6_T7_P12ihipStream_tbENKUlT_T0_E_clISt17integral_constantIbLb0EESY_IbLb1EEEEDaSU_SV_EUlSU_E_NS1_11comp_targetILNS1_3genE4ELNS1_11target_archE910ELNS1_3gpuE8ELNS1_3repE0EEENS1_30default_config_static_selectorELNS0_4arch9wavefront6targetE0EEEvT1_.private_seg_size, 0
	.set _ZN7rocprim17ROCPRIM_400000_NS6detail17trampoline_kernelINS0_14default_configENS1_27scan_by_key_config_selectorIssEEZZNS1_16scan_by_key_implILNS1_25lookback_scan_determinismE0ELb1ES3_N6thrust23THRUST_200600_302600_NS6detail15normal_iteratorINS9_10device_ptrIsEEEESE_SE_sNS9_10multipliesIsEENS9_8equal_toIsEEsEE10hipError_tPvRmT2_T3_T4_T5_mT6_T7_P12ihipStream_tbENKUlT_T0_E_clISt17integral_constantIbLb0EESY_IbLb1EEEEDaSU_SV_EUlSU_E_NS1_11comp_targetILNS1_3genE4ELNS1_11target_archE910ELNS1_3gpuE8ELNS1_3repE0EEENS1_30default_config_static_selectorELNS0_4arch9wavefront6targetE0EEEvT1_.uses_vcc, 0
	.set _ZN7rocprim17ROCPRIM_400000_NS6detail17trampoline_kernelINS0_14default_configENS1_27scan_by_key_config_selectorIssEEZZNS1_16scan_by_key_implILNS1_25lookback_scan_determinismE0ELb1ES3_N6thrust23THRUST_200600_302600_NS6detail15normal_iteratorINS9_10device_ptrIsEEEESE_SE_sNS9_10multipliesIsEENS9_8equal_toIsEEsEE10hipError_tPvRmT2_T3_T4_T5_mT6_T7_P12ihipStream_tbENKUlT_T0_E_clISt17integral_constantIbLb0EESY_IbLb1EEEEDaSU_SV_EUlSU_E_NS1_11comp_targetILNS1_3genE4ELNS1_11target_archE910ELNS1_3gpuE8ELNS1_3repE0EEENS1_30default_config_static_selectorELNS0_4arch9wavefront6targetE0EEEvT1_.uses_flat_scratch, 0
	.set _ZN7rocprim17ROCPRIM_400000_NS6detail17trampoline_kernelINS0_14default_configENS1_27scan_by_key_config_selectorIssEEZZNS1_16scan_by_key_implILNS1_25lookback_scan_determinismE0ELb1ES3_N6thrust23THRUST_200600_302600_NS6detail15normal_iteratorINS9_10device_ptrIsEEEESE_SE_sNS9_10multipliesIsEENS9_8equal_toIsEEsEE10hipError_tPvRmT2_T3_T4_T5_mT6_T7_P12ihipStream_tbENKUlT_T0_E_clISt17integral_constantIbLb0EESY_IbLb1EEEEDaSU_SV_EUlSU_E_NS1_11comp_targetILNS1_3genE4ELNS1_11target_archE910ELNS1_3gpuE8ELNS1_3repE0EEENS1_30default_config_static_selectorELNS0_4arch9wavefront6targetE0EEEvT1_.has_dyn_sized_stack, 0
	.set _ZN7rocprim17ROCPRIM_400000_NS6detail17trampoline_kernelINS0_14default_configENS1_27scan_by_key_config_selectorIssEEZZNS1_16scan_by_key_implILNS1_25lookback_scan_determinismE0ELb1ES3_N6thrust23THRUST_200600_302600_NS6detail15normal_iteratorINS9_10device_ptrIsEEEESE_SE_sNS9_10multipliesIsEENS9_8equal_toIsEEsEE10hipError_tPvRmT2_T3_T4_T5_mT6_T7_P12ihipStream_tbENKUlT_T0_E_clISt17integral_constantIbLb0EESY_IbLb1EEEEDaSU_SV_EUlSU_E_NS1_11comp_targetILNS1_3genE4ELNS1_11target_archE910ELNS1_3gpuE8ELNS1_3repE0EEENS1_30default_config_static_selectorELNS0_4arch9wavefront6targetE0EEEvT1_.has_recursion, 0
	.set _ZN7rocprim17ROCPRIM_400000_NS6detail17trampoline_kernelINS0_14default_configENS1_27scan_by_key_config_selectorIssEEZZNS1_16scan_by_key_implILNS1_25lookback_scan_determinismE0ELb1ES3_N6thrust23THRUST_200600_302600_NS6detail15normal_iteratorINS9_10device_ptrIsEEEESE_SE_sNS9_10multipliesIsEENS9_8equal_toIsEEsEE10hipError_tPvRmT2_T3_T4_T5_mT6_T7_P12ihipStream_tbENKUlT_T0_E_clISt17integral_constantIbLb0EESY_IbLb1EEEEDaSU_SV_EUlSU_E_NS1_11comp_targetILNS1_3genE4ELNS1_11target_archE910ELNS1_3gpuE8ELNS1_3repE0EEENS1_30default_config_static_selectorELNS0_4arch9wavefront6targetE0EEEvT1_.has_indirect_call, 0
	.section	.AMDGPU.csdata,"",@progbits
; Kernel info:
; codeLenInByte = 0
; TotalNumSgprs: 0
; NumVgprs: 0
; ScratchSize: 0
; MemoryBound: 0
; FloatMode: 240
; IeeeMode: 1
; LDSByteSize: 0 bytes/workgroup (compile time only)
; SGPRBlocks: 0
; VGPRBlocks: 0
; NumSGPRsForWavesPerEU: 1
; NumVGPRsForWavesPerEU: 1
; NamedBarCnt: 0
; Occupancy: 16
; WaveLimiterHint : 0
; COMPUTE_PGM_RSRC2:SCRATCH_EN: 0
; COMPUTE_PGM_RSRC2:USER_SGPR: 2
; COMPUTE_PGM_RSRC2:TRAP_HANDLER: 0
; COMPUTE_PGM_RSRC2:TGID_X_EN: 1
; COMPUTE_PGM_RSRC2:TGID_Y_EN: 0
; COMPUTE_PGM_RSRC2:TGID_Z_EN: 0
; COMPUTE_PGM_RSRC2:TIDIG_COMP_CNT: 0
	.section	.text._ZN7rocprim17ROCPRIM_400000_NS6detail17trampoline_kernelINS0_14default_configENS1_27scan_by_key_config_selectorIssEEZZNS1_16scan_by_key_implILNS1_25lookback_scan_determinismE0ELb1ES3_N6thrust23THRUST_200600_302600_NS6detail15normal_iteratorINS9_10device_ptrIsEEEESE_SE_sNS9_10multipliesIsEENS9_8equal_toIsEEsEE10hipError_tPvRmT2_T3_T4_T5_mT6_T7_P12ihipStream_tbENKUlT_T0_E_clISt17integral_constantIbLb0EESY_IbLb1EEEEDaSU_SV_EUlSU_E_NS1_11comp_targetILNS1_3genE3ELNS1_11target_archE908ELNS1_3gpuE7ELNS1_3repE0EEENS1_30default_config_static_selectorELNS0_4arch9wavefront6targetE0EEEvT1_,"axG",@progbits,_ZN7rocprim17ROCPRIM_400000_NS6detail17trampoline_kernelINS0_14default_configENS1_27scan_by_key_config_selectorIssEEZZNS1_16scan_by_key_implILNS1_25lookback_scan_determinismE0ELb1ES3_N6thrust23THRUST_200600_302600_NS6detail15normal_iteratorINS9_10device_ptrIsEEEESE_SE_sNS9_10multipliesIsEENS9_8equal_toIsEEsEE10hipError_tPvRmT2_T3_T4_T5_mT6_T7_P12ihipStream_tbENKUlT_T0_E_clISt17integral_constantIbLb0EESY_IbLb1EEEEDaSU_SV_EUlSU_E_NS1_11comp_targetILNS1_3genE3ELNS1_11target_archE908ELNS1_3gpuE7ELNS1_3repE0EEENS1_30default_config_static_selectorELNS0_4arch9wavefront6targetE0EEEvT1_,comdat
	.protected	_ZN7rocprim17ROCPRIM_400000_NS6detail17trampoline_kernelINS0_14default_configENS1_27scan_by_key_config_selectorIssEEZZNS1_16scan_by_key_implILNS1_25lookback_scan_determinismE0ELb1ES3_N6thrust23THRUST_200600_302600_NS6detail15normal_iteratorINS9_10device_ptrIsEEEESE_SE_sNS9_10multipliesIsEENS9_8equal_toIsEEsEE10hipError_tPvRmT2_T3_T4_T5_mT6_T7_P12ihipStream_tbENKUlT_T0_E_clISt17integral_constantIbLb0EESY_IbLb1EEEEDaSU_SV_EUlSU_E_NS1_11comp_targetILNS1_3genE3ELNS1_11target_archE908ELNS1_3gpuE7ELNS1_3repE0EEENS1_30default_config_static_selectorELNS0_4arch9wavefront6targetE0EEEvT1_ ; -- Begin function _ZN7rocprim17ROCPRIM_400000_NS6detail17trampoline_kernelINS0_14default_configENS1_27scan_by_key_config_selectorIssEEZZNS1_16scan_by_key_implILNS1_25lookback_scan_determinismE0ELb1ES3_N6thrust23THRUST_200600_302600_NS6detail15normal_iteratorINS9_10device_ptrIsEEEESE_SE_sNS9_10multipliesIsEENS9_8equal_toIsEEsEE10hipError_tPvRmT2_T3_T4_T5_mT6_T7_P12ihipStream_tbENKUlT_T0_E_clISt17integral_constantIbLb0EESY_IbLb1EEEEDaSU_SV_EUlSU_E_NS1_11comp_targetILNS1_3genE3ELNS1_11target_archE908ELNS1_3gpuE7ELNS1_3repE0EEENS1_30default_config_static_selectorELNS0_4arch9wavefront6targetE0EEEvT1_
	.globl	_ZN7rocprim17ROCPRIM_400000_NS6detail17trampoline_kernelINS0_14default_configENS1_27scan_by_key_config_selectorIssEEZZNS1_16scan_by_key_implILNS1_25lookback_scan_determinismE0ELb1ES3_N6thrust23THRUST_200600_302600_NS6detail15normal_iteratorINS9_10device_ptrIsEEEESE_SE_sNS9_10multipliesIsEENS9_8equal_toIsEEsEE10hipError_tPvRmT2_T3_T4_T5_mT6_T7_P12ihipStream_tbENKUlT_T0_E_clISt17integral_constantIbLb0EESY_IbLb1EEEEDaSU_SV_EUlSU_E_NS1_11comp_targetILNS1_3genE3ELNS1_11target_archE908ELNS1_3gpuE7ELNS1_3repE0EEENS1_30default_config_static_selectorELNS0_4arch9wavefront6targetE0EEEvT1_
	.p2align	8
	.type	_ZN7rocprim17ROCPRIM_400000_NS6detail17trampoline_kernelINS0_14default_configENS1_27scan_by_key_config_selectorIssEEZZNS1_16scan_by_key_implILNS1_25lookback_scan_determinismE0ELb1ES3_N6thrust23THRUST_200600_302600_NS6detail15normal_iteratorINS9_10device_ptrIsEEEESE_SE_sNS9_10multipliesIsEENS9_8equal_toIsEEsEE10hipError_tPvRmT2_T3_T4_T5_mT6_T7_P12ihipStream_tbENKUlT_T0_E_clISt17integral_constantIbLb0EESY_IbLb1EEEEDaSU_SV_EUlSU_E_NS1_11comp_targetILNS1_3genE3ELNS1_11target_archE908ELNS1_3gpuE7ELNS1_3repE0EEENS1_30default_config_static_selectorELNS0_4arch9wavefront6targetE0EEEvT1_,@function
_ZN7rocprim17ROCPRIM_400000_NS6detail17trampoline_kernelINS0_14default_configENS1_27scan_by_key_config_selectorIssEEZZNS1_16scan_by_key_implILNS1_25lookback_scan_determinismE0ELb1ES3_N6thrust23THRUST_200600_302600_NS6detail15normal_iteratorINS9_10device_ptrIsEEEESE_SE_sNS9_10multipliesIsEENS9_8equal_toIsEEsEE10hipError_tPvRmT2_T3_T4_T5_mT6_T7_P12ihipStream_tbENKUlT_T0_E_clISt17integral_constantIbLb0EESY_IbLb1EEEEDaSU_SV_EUlSU_E_NS1_11comp_targetILNS1_3genE3ELNS1_11target_archE908ELNS1_3gpuE7ELNS1_3repE0EEENS1_30default_config_static_selectorELNS0_4arch9wavefront6targetE0EEEvT1_: ; @_ZN7rocprim17ROCPRIM_400000_NS6detail17trampoline_kernelINS0_14default_configENS1_27scan_by_key_config_selectorIssEEZZNS1_16scan_by_key_implILNS1_25lookback_scan_determinismE0ELb1ES3_N6thrust23THRUST_200600_302600_NS6detail15normal_iteratorINS9_10device_ptrIsEEEESE_SE_sNS9_10multipliesIsEENS9_8equal_toIsEEsEE10hipError_tPvRmT2_T3_T4_T5_mT6_T7_P12ihipStream_tbENKUlT_T0_E_clISt17integral_constantIbLb0EESY_IbLb1EEEEDaSU_SV_EUlSU_E_NS1_11comp_targetILNS1_3genE3ELNS1_11target_archE908ELNS1_3gpuE7ELNS1_3repE0EEENS1_30default_config_static_selectorELNS0_4arch9wavefront6targetE0EEEvT1_
; %bb.0:
	.section	.rodata,"a",@progbits
	.p2align	6, 0x0
	.amdhsa_kernel _ZN7rocprim17ROCPRIM_400000_NS6detail17trampoline_kernelINS0_14default_configENS1_27scan_by_key_config_selectorIssEEZZNS1_16scan_by_key_implILNS1_25lookback_scan_determinismE0ELb1ES3_N6thrust23THRUST_200600_302600_NS6detail15normal_iteratorINS9_10device_ptrIsEEEESE_SE_sNS9_10multipliesIsEENS9_8equal_toIsEEsEE10hipError_tPvRmT2_T3_T4_T5_mT6_T7_P12ihipStream_tbENKUlT_T0_E_clISt17integral_constantIbLb0EESY_IbLb1EEEEDaSU_SV_EUlSU_E_NS1_11comp_targetILNS1_3genE3ELNS1_11target_archE908ELNS1_3gpuE7ELNS1_3repE0EEENS1_30default_config_static_selectorELNS0_4arch9wavefront6targetE0EEEvT1_
		.amdhsa_group_segment_fixed_size 0
		.amdhsa_private_segment_fixed_size 0
		.amdhsa_kernarg_size 112
		.amdhsa_user_sgpr_count 2
		.amdhsa_user_sgpr_dispatch_ptr 0
		.amdhsa_user_sgpr_queue_ptr 0
		.amdhsa_user_sgpr_kernarg_segment_ptr 1
		.amdhsa_user_sgpr_dispatch_id 0
		.amdhsa_user_sgpr_kernarg_preload_length 0
		.amdhsa_user_sgpr_kernarg_preload_offset 0
		.amdhsa_user_sgpr_private_segment_size 0
		.amdhsa_wavefront_size32 1
		.amdhsa_uses_dynamic_stack 0
		.amdhsa_enable_private_segment 0
		.amdhsa_system_sgpr_workgroup_id_x 1
		.amdhsa_system_sgpr_workgroup_id_y 0
		.amdhsa_system_sgpr_workgroup_id_z 0
		.amdhsa_system_sgpr_workgroup_info 0
		.amdhsa_system_vgpr_workitem_id 0
		.amdhsa_next_free_vgpr 1
		.amdhsa_next_free_sgpr 1
		.amdhsa_named_barrier_count 0
		.amdhsa_reserve_vcc 0
		.amdhsa_float_round_mode_32 0
		.amdhsa_float_round_mode_16_64 0
		.amdhsa_float_denorm_mode_32 3
		.amdhsa_float_denorm_mode_16_64 3
		.amdhsa_fp16_overflow 0
		.amdhsa_memory_ordered 1
		.amdhsa_forward_progress 1
		.amdhsa_inst_pref_size 0
		.amdhsa_round_robin_scheduling 0
		.amdhsa_exception_fp_ieee_invalid_op 0
		.amdhsa_exception_fp_denorm_src 0
		.amdhsa_exception_fp_ieee_div_zero 0
		.amdhsa_exception_fp_ieee_overflow 0
		.amdhsa_exception_fp_ieee_underflow 0
		.amdhsa_exception_fp_ieee_inexact 0
		.amdhsa_exception_int_div_zero 0
	.end_amdhsa_kernel
	.section	.text._ZN7rocprim17ROCPRIM_400000_NS6detail17trampoline_kernelINS0_14default_configENS1_27scan_by_key_config_selectorIssEEZZNS1_16scan_by_key_implILNS1_25lookback_scan_determinismE0ELb1ES3_N6thrust23THRUST_200600_302600_NS6detail15normal_iteratorINS9_10device_ptrIsEEEESE_SE_sNS9_10multipliesIsEENS9_8equal_toIsEEsEE10hipError_tPvRmT2_T3_T4_T5_mT6_T7_P12ihipStream_tbENKUlT_T0_E_clISt17integral_constantIbLb0EESY_IbLb1EEEEDaSU_SV_EUlSU_E_NS1_11comp_targetILNS1_3genE3ELNS1_11target_archE908ELNS1_3gpuE7ELNS1_3repE0EEENS1_30default_config_static_selectorELNS0_4arch9wavefront6targetE0EEEvT1_,"axG",@progbits,_ZN7rocprim17ROCPRIM_400000_NS6detail17trampoline_kernelINS0_14default_configENS1_27scan_by_key_config_selectorIssEEZZNS1_16scan_by_key_implILNS1_25lookback_scan_determinismE0ELb1ES3_N6thrust23THRUST_200600_302600_NS6detail15normal_iteratorINS9_10device_ptrIsEEEESE_SE_sNS9_10multipliesIsEENS9_8equal_toIsEEsEE10hipError_tPvRmT2_T3_T4_T5_mT6_T7_P12ihipStream_tbENKUlT_T0_E_clISt17integral_constantIbLb0EESY_IbLb1EEEEDaSU_SV_EUlSU_E_NS1_11comp_targetILNS1_3genE3ELNS1_11target_archE908ELNS1_3gpuE7ELNS1_3repE0EEENS1_30default_config_static_selectorELNS0_4arch9wavefront6targetE0EEEvT1_,comdat
.Lfunc_end636:
	.size	_ZN7rocprim17ROCPRIM_400000_NS6detail17trampoline_kernelINS0_14default_configENS1_27scan_by_key_config_selectorIssEEZZNS1_16scan_by_key_implILNS1_25lookback_scan_determinismE0ELb1ES3_N6thrust23THRUST_200600_302600_NS6detail15normal_iteratorINS9_10device_ptrIsEEEESE_SE_sNS9_10multipliesIsEENS9_8equal_toIsEEsEE10hipError_tPvRmT2_T3_T4_T5_mT6_T7_P12ihipStream_tbENKUlT_T0_E_clISt17integral_constantIbLb0EESY_IbLb1EEEEDaSU_SV_EUlSU_E_NS1_11comp_targetILNS1_3genE3ELNS1_11target_archE908ELNS1_3gpuE7ELNS1_3repE0EEENS1_30default_config_static_selectorELNS0_4arch9wavefront6targetE0EEEvT1_, .Lfunc_end636-_ZN7rocprim17ROCPRIM_400000_NS6detail17trampoline_kernelINS0_14default_configENS1_27scan_by_key_config_selectorIssEEZZNS1_16scan_by_key_implILNS1_25lookback_scan_determinismE0ELb1ES3_N6thrust23THRUST_200600_302600_NS6detail15normal_iteratorINS9_10device_ptrIsEEEESE_SE_sNS9_10multipliesIsEENS9_8equal_toIsEEsEE10hipError_tPvRmT2_T3_T4_T5_mT6_T7_P12ihipStream_tbENKUlT_T0_E_clISt17integral_constantIbLb0EESY_IbLb1EEEEDaSU_SV_EUlSU_E_NS1_11comp_targetILNS1_3genE3ELNS1_11target_archE908ELNS1_3gpuE7ELNS1_3repE0EEENS1_30default_config_static_selectorELNS0_4arch9wavefront6targetE0EEEvT1_
                                        ; -- End function
	.set _ZN7rocprim17ROCPRIM_400000_NS6detail17trampoline_kernelINS0_14default_configENS1_27scan_by_key_config_selectorIssEEZZNS1_16scan_by_key_implILNS1_25lookback_scan_determinismE0ELb1ES3_N6thrust23THRUST_200600_302600_NS6detail15normal_iteratorINS9_10device_ptrIsEEEESE_SE_sNS9_10multipliesIsEENS9_8equal_toIsEEsEE10hipError_tPvRmT2_T3_T4_T5_mT6_T7_P12ihipStream_tbENKUlT_T0_E_clISt17integral_constantIbLb0EESY_IbLb1EEEEDaSU_SV_EUlSU_E_NS1_11comp_targetILNS1_3genE3ELNS1_11target_archE908ELNS1_3gpuE7ELNS1_3repE0EEENS1_30default_config_static_selectorELNS0_4arch9wavefront6targetE0EEEvT1_.num_vgpr, 0
	.set _ZN7rocprim17ROCPRIM_400000_NS6detail17trampoline_kernelINS0_14default_configENS1_27scan_by_key_config_selectorIssEEZZNS1_16scan_by_key_implILNS1_25lookback_scan_determinismE0ELb1ES3_N6thrust23THRUST_200600_302600_NS6detail15normal_iteratorINS9_10device_ptrIsEEEESE_SE_sNS9_10multipliesIsEENS9_8equal_toIsEEsEE10hipError_tPvRmT2_T3_T4_T5_mT6_T7_P12ihipStream_tbENKUlT_T0_E_clISt17integral_constantIbLb0EESY_IbLb1EEEEDaSU_SV_EUlSU_E_NS1_11comp_targetILNS1_3genE3ELNS1_11target_archE908ELNS1_3gpuE7ELNS1_3repE0EEENS1_30default_config_static_selectorELNS0_4arch9wavefront6targetE0EEEvT1_.num_agpr, 0
	.set _ZN7rocprim17ROCPRIM_400000_NS6detail17trampoline_kernelINS0_14default_configENS1_27scan_by_key_config_selectorIssEEZZNS1_16scan_by_key_implILNS1_25lookback_scan_determinismE0ELb1ES3_N6thrust23THRUST_200600_302600_NS6detail15normal_iteratorINS9_10device_ptrIsEEEESE_SE_sNS9_10multipliesIsEENS9_8equal_toIsEEsEE10hipError_tPvRmT2_T3_T4_T5_mT6_T7_P12ihipStream_tbENKUlT_T0_E_clISt17integral_constantIbLb0EESY_IbLb1EEEEDaSU_SV_EUlSU_E_NS1_11comp_targetILNS1_3genE3ELNS1_11target_archE908ELNS1_3gpuE7ELNS1_3repE0EEENS1_30default_config_static_selectorELNS0_4arch9wavefront6targetE0EEEvT1_.numbered_sgpr, 0
	.set _ZN7rocprim17ROCPRIM_400000_NS6detail17trampoline_kernelINS0_14default_configENS1_27scan_by_key_config_selectorIssEEZZNS1_16scan_by_key_implILNS1_25lookback_scan_determinismE0ELb1ES3_N6thrust23THRUST_200600_302600_NS6detail15normal_iteratorINS9_10device_ptrIsEEEESE_SE_sNS9_10multipliesIsEENS9_8equal_toIsEEsEE10hipError_tPvRmT2_T3_T4_T5_mT6_T7_P12ihipStream_tbENKUlT_T0_E_clISt17integral_constantIbLb0EESY_IbLb1EEEEDaSU_SV_EUlSU_E_NS1_11comp_targetILNS1_3genE3ELNS1_11target_archE908ELNS1_3gpuE7ELNS1_3repE0EEENS1_30default_config_static_selectorELNS0_4arch9wavefront6targetE0EEEvT1_.num_named_barrier, 0
	.set _ZN7rocprim17ROCPRIM_400000_NS6detail17trampoline_kernelINS0_14default_configENS1_27scan_by_key_config_selectorIssEEZZNS1_16scan_by_key_implILNS1_25lookback_scan_determinismE0ELb1ES3_N6thrust23THRUST_200600_302600_NS6detail15normal_iteratorINS9_10device_ptrIsEEEESE_SE_sNS9_10multipliesIsEENS9_8equal_toIsEEsEE10hipError_tPvRmT2_T3_T4_T5_mT6_T7_P12ihipStream_tbENKUlT_T0_E_clISt17integral_constantIbLb0EESY_IbLb1EEEEDaSU_SV_EUlSU_E_NS1_11comp_targetILNS1_3genE3ELNS1_11target_archE908ELNS1_3gpuE7ELNS1_3repE0EEENS1_30default_config_static_selectorELNS0_4arch9wavefront6targetE0EEEvT1_.private_seg_size, 0
	.set _ZN7rocprim17ROCPRIM_400000_NS6detail17trampoline_kernelINS0_14default_configENS1_27scan_by_key_config_selectorIssEEZZNS1_16scan_by_key_implILNS1_25lookback_scan_determinismE0ELb1ES3_N6thrust23THRUST_200600_302600_NS6detail15normal_iteratorINS9_10device_ptrIsEEEESE_SE_sNS9_10multipliesIsEENS9_8equal_toIsEEsEE10hipError_tPvRmT2_T3_T4_T5_mT6_T7_P12ihipStream_tbENKUlT_T0_E_clISt17integral_constantIbLb0EESY_IbLb1EEEEDaSU_SV_EUlSU_E_NS1_11comp_targetILNS1_3genE3ELNS1_11target_archE908ELNS1_3gpuE7ELNS1_3repE0EEENS1_30default_config_static_selectorELNS0_4arch9wavefront6targetE0EEEvT1_.uses_vcc, 0
	.set _ZN7rocprim17ROCPRIM_400000_NS6detail17trampoline_kernelINS0_14default_configENS1_27scan_by_key_config_selectorIssEEZZNS1_16scan_by_key_implILNS1_25lookback_scan_determinismE0ELb1ES3_N6thrust23THRUST_200600_302600_NS6detail15normal_iteratorINS9_10device_ptrIsEEEESE_SE_sNS9_10multipliesIsEENS9_8equal_toIsEEsEE10hipError_tPvRmT2_T3_T4_T5_mT6_T7_P12ihipStream_tbENKUlT_T0_E_clISt17integral_constantIbLb0EESY_IbLb1EEEEDaSU_SV_EUlSU_E_NS1_11comp_targetILNS1_3genE3ELNS1_11target_archE908ELNS1_3gpuE7ELNS1_3repE0EEENS1_30default_config_static_selectorELNS0_4arch9wavefront6targetE0EEEvT1_.uses_flat_scratch, 0
	.set _ZN7rocprim17ROCPRIM_400000_NS6detail17trampoline_kernelINS0_14default_configENS1_27scan_by_key_config_selectorIssEEZZNS1_16scan_by_key_implILNS1_25lookback_scan_determinismE0ELb1ES3_N6thrust23THRUST_200600_302600_NS6detail15normal_iteratorINS9_10device_ptrIsEEEESE_SE_sNS9_10multipliesIsEENS9_8equal_toIsEEsEE10hipError_tPvRmT2_T3_T4_T5_mT6_T7_P12ihipStream_tbENKUlT_T0_E_clISt17integral_constantIbLb0EESY_IbLb1EEEEDaSU_SV_EUlSU_E_NS1_11comp_targetILNS1_3genE3ELNS1_11target_archE908ELNS1_3gpuE7ELNS1_3repE0EEENS1_30default_config_static_selectorELNS0_4arch9wavefront6targetE0EEEvT1_.has_dyn_sized_stack, 0
	.set _ZN7rocprim17ROCPRIM_400000_NS6detail17trampoline_kernelINS0_14default_configENS1_27scan_by_key_config_selectorIssEEZZNS1_16scan_by_key_implILNS1_25lookback_scan_determinismE0ELb1ES3_N6thrust23THRUST_200600_302600_NS6detail15normal_iteratorINS9_10device_ptrIsEEEESE_SE_sNS9_10multipliesIsEENS9_8equal_toIsEEsEE10hipError_tPvRmT2_T3_T4_T5_mT6_T7_P12ihipStream_tbENKUlT_T0_E_clISt17integral_constantIbLb0EESY_IbLb1EEEEDaSU_SV_EUlSU_E_NS1_11comp_targetILNS1_3genE3ELNS1_11target_archE908ELNS1_3gpuE7ELNS1_3repE0EEENS1_30default_config_static_selectorELNS0_4arch9wavefront6targetE0EEEvT1_.has_recursion, 0
	.set _ZN7rocprim17ROCPRIM_400000_NS6detail17trampoline_kernelINS0_14default_configENS1_27scan_by_key_config_selectorIssEEZZNS1_16scan_by_key_implILNS1_25lookback_scan_determinismE0ELb1ES3_N6thrust23THRUST_200600_302600_NS6detail15normal_iteratorINS9_10device_ptrIsEEEESE_SE_sNS9_10multipliesIsEENS9_8equal_toIsEEsEE10hipError_tPvRmT2_T3_T4_T5_mT6_T7_P12ihipStream_tbENKUlT_T0_E_clISt17integral_constantIbLb0EESY_IbLb1EEEEDaSU_SV_EUlSU_E_NS1_11comp_targetILNS1_3genE3ELNS1_11target_archE908ELNS1_3gpuE7ELNS1_3repE0EEENS1_30default_config_static_selectorELNS0_4arch9wavefront6targetE0EEEvT1_.has_indirect_call, 0
	.section	.AMDGPU.csdata,"",@progbits
; Kernel info:
; codeLenInByte = 0
; TotalNumSgprs: 0
; NumVgprs: 0
; ScratchSize: 0
; MemoryBound: 0
; FloatMode: 240
; IeeeMode: 1
; LDSByteSize: 0 bytes/workgroup (compile time only)
; SGPRBlocks: 0
; VGPRBlocks: 0
; NumSGPRsForWavesPerEU: 1
; NumVGPRsForWavesPerEU: 1
; NamedBarCnt: 0
; Occupancy: 16
; WaveLimiterHint : 0
; COMPUTE_PGM_RSRC2:SCRATCH_EN: 0
; COMPUTE_PGM_RSRC2:USER_SGPR: 2
; COMPUTE_PGM_RSRC2:TRAP_HANDLER: 0
; COMPUTE_PGM_RSRC2:TGID_X_EN: 1
; COMPUTE_PGM_RSRC2:TGID_Y_EN: 0
; COMPUTE_PGM_RSRC2:TGID_Z_EN: 0
; COMPUTE_PGM_RSRC2:TIDIG_COMP_CNT: 0
	.section	.text._ZN7rocprim17ROCPRIM_400000_NS6detail17trampoline_kernelINS0_14default_configENS1_27scan_by_key_config_selectorIssEEZZNS1_16scan_by_key_implILNS1_25lookback_scan_determinismE0ELb1ES3_N6thrust23THRUST_200600_302600_NS6detail15normal_iteratorINS9_10device_ptrIsEEEESE_SE_sNS9_10multipliesIsEENS9_8equal_toIsEEsEE10hipError_tPvRmT2_T3_T4_T5_mT6_T7_P12ihipStream_tbENKUlT_T0_E_clISt17integral_constantIbLb0EESY_IbLb1EEEEDaSU_SV_EUlSU_E_NS1_11comp_targetILNS1_3genE2ELNS1_11target_archE906ELNS1_3gpuE6ELNS1_3repE0EEENS1_30default_config_static_selectorELNS0_4arch9wavefront6targetE0EEEvT1_,"axG",@progbits,_ZN7rocprim17ROCPRIM_400000_NS6detail17trampoline_kernelINS0_14default_configENS1_27scan_by_key_config_selectorIssEEZZNS1_16scan_by_key_implILNS1_25lookback_scan_determinismE0ELb1ES3_N6thrust23THRUST_200600_302600_NS6detail15normal_iteratorINS9_10device_ptrIsEEEESE_SE_sNS9_10multipliesIsEENS9_8equal_toIsEEsEE10hipError_tPvRmT2_T3_T4_T5_mT6_T7_P12ihipStream_tbENKUlT_T0_E_clISt17integral_constantIbLb0EESY_IbLb1EEEEDaSU_SV_EUlSU_E_NS1_11comp_targetILNS1_3genE2ELNS1_11target_archE906ELNS1_3gpuE6ELNS1_3repE0EEENS1_30default_config_static_selectorELNS0_4arch9wavefront6targetE0EEEvT1_,comdat
	.protected	_ZN7rocprim17ROCPRIM_400000_NS6detail17trampoline_kernelINS0_14default_configENS1_27scan_by_key_config_selectorIssEEZZNS1_16scan_by_key_implILNS1_25lookback_scan_determinismE0ELb1ES3_N6thrust23THRUST_200600_302600_NS6detail15normal_iteratorINS9_10device_ptrIsEEEESE_SE_sNS9_10multipliesIsEENS9_8equal_toIsEEsEE10hipError_tPvRmT2_T3_T4_T5_mT6_T7_P12ihipStream_tbENKUlT_T0_E_clISt17integral_constantIbLb0EESY_IbLb1EEEEDaSU_SV_EUlSU_E_NS1_11comp_targetILNS1_3genE2ELNS1_11target_archE906ELNS1_3gpuE6ELNS1_3repE0EEENS1_30default_config_static_selectorELNS0_4arch9wavefront6targetE0EEEvT1_ ; -- Begin function _ZN7rocprim17ROCPRIM_400000_NS6detail17trampoline_kernelINS0_14default_configENS1_27scan_by_key_config_selectorIssEEZZNS1_16scan_by_key_implILNS1_25lookback_scan_determinismE0ELb1ES3_N6thrust23THRUST_200600_302600_NS6detail15normal_iteratorINS9_10device_ptrIsEEEESE_SE_sNS9_10multipliesIsEENS9_8equal_toIsEEsEE10hipError_tPvRmT2_T3_T4_T5_mT6_T7_P12ihipStream_tbENKUlT_T0_E_clISt17integral_constantIbLb0EESY_IbLb1EEEEDaSU_SV_EUlSU_E_NS1_11comp_targetILNS1_3genE2ELNS1_11target_archE906ELNS1_3gpuE6ELNS1_3repE0EEENS1_30default_config_static_selectorELNS0_4arch9wavefront6targetE0EEEvT1_
	.globl	_ZN7rocprim17ROCPRIM_400000_NS6detail17trampoline_kernelINS0_14default_configENS1_27scan_by_key_config_selectorIssEEZZNS1_16scan_by_key_implILNS1_25lookback_scan_determinismE0ELb1ES3_N6thrust23THRUST_200600_302600_NS6detail15normal_iteratorINS9_10device_ptrIsEEEESE_SE_sNS9_10multipliesIsEENS9_8equal_toIsEEsEE10hipError_tPvRmT2_T3_T4_T5_mT6_T7_P12ihipStream_tbENKUlT_T0_E_clISt17integral_constantIbLb0EESY_IbLb1EEEEDaSU_SV_EUlSU_E_NS1_11comp_targetILNS1_3genE2ELNS1_11target_archE906ELNS1_3gpuE6ELNS1_3repE0EEENS1_30default_config_static_selectorELNS0_4arch9wavefront6targetE0EEEvT1_
	.p2align	8
	.type	_ZN7rocprim17ROCPRIM_400000_NS6detail17trampoline_kernelINS0_14default_configENS1_27scan_by_key_config_selectorIssEEZZNS1_16scan_by_key_implILNS1_25lookback_scan_determinismE0ELb1ES3_N6thrust23THRUST_200600_302600_NS6detail15normal_iteratorINS9_10device_ptrIsEEEESE_SE_sNS9_10multipliesIsEENS9_8equal_toIsEEsEE10hipError_tPvRmT2_T3_T4_T5_mT6_T7_P12ihipStream_tbENKUlT_T0_E_clISt17integral_constantIbLb0EESY_IbLb1EEEEDaSU_SV_EUlSU_E_NS1_11comp_targetILNS1_3genE2ELNS1_11target_archE906ELNS1_3gpuE6ELNS1_3repE0EEENS1_30default_config_static_selectorELNS0_4arch9wavefront6targetE0EEEvT1_,@function
_ZN7rocprim17ROCPRIM_400000_NS6detail17trampoline_kernelINS0_14default_configENS1_27scan_by_key_config_selectorIssEEZZNS1_16scan_by_key_implILNS1_25lookback_scan_determinismE0ELb1ES3_N6thrust23THRUST_200600_302600_NS6detail15normal_iteratorINS9_10device_ptrIsEEEESE_SE_sNS9_10multipliesIsEENS9_8equal_toIsEEsEE10hipError_tPvRmT2_T3_T4_T5_mT6_T7_P12ihipStream_tbENKUlT_T0_E_clISt17integral_constantIbLb0EESY_IbLb1EEEEDaSU_SV_EUlSU_E_NS1_11comp_targetILNS1_3genE2ELNS1_11target_archE906ELNS1_3gpuE6ELNS1_3repE0EEENS1_30default_config_static_selectorELNS0_4arch9wavefront6targetE0EEEvT1_: ; @_ZN7rocprim17ROCPRIM_400000_NS6detail17trampoline_kernelINS0_14default_configENS1_27scan_by_key_config_selectorIssEEZZNS1_16scan_by_key_implILNS1_25lookback_scan_determinismE0ELb1ES3_N6thrust23THRUST_200600_302600_NS6detail15normal_iteratorINS9_10device_ptrIsEEEESE_SE_sNS9_10multipliesIsEENS9_8equal_toIsEEsEE10hipError_tPvRmT2_T3_T4_T5_mT6_T7_P12ihipStream_tbENKUlT_T0_E_clISt17integral_constantIbLb0EESY_IbLb1EEEEDaSU_SV_EUlSU_E_NS1_11comp_targetILNS1_3genE2ELNS1_11target_archE906ELNS1_3gpuE6ELNS1_3repE0EEENS1_30default_config_static_selectorELNS0_4arch9wavefront6targetE0EEEvT1_
; %bb.0:
	.section	.rodata,"a",@progbits
	.p2align	6, 0x0
	.amdhsa_kernel _ZN7rocprim17ROCPRIM_400000_NS6detail17trampoline_kernelINS0_14default_configENS1_27scan_by_key_config_selectorIssEEZZNS1_16scan_by_key_implILNS1_25lookback_scan_determinismE0ELb1ES3_N6thrust23THRUST_200600_302600_NS6detail15normal_iteratorINS9_10device_ptrIsEEEESE_SE_sNS9_10multipliesIsEENS9_8equal_toIsEEsEE10hipError_tPvRmT2_T3_T4_T5_mT6_T7_P12ihipStream_tbENKUlT_T0_E_clISt17integral_constantIbLb0EESY_IbLb1EEEEDaSU_SV_EUlSU_E_NS1_11comp_targetILNS1_3genE2ELNS1_11target_archE906ELNS1_3gpuE6ELNS1_3repE0EEENS1_30default_config_static_selectorELNS0_4arch9wavefront6targetE0EEEvT1_
		.amdhsa_group_segment_fixed_size 0
		.amdhsa_private_segment_fixed_size 0
		.amdhsa_kernarg_size 112
		.amdhsa_user_sgpr_count 2
		.amdhsa_user_sgpr_dispatch_ptr 0
		.amdhsa_user_sgpr_queue_ptr 0
		.amdhsa_user_sgpr_kernarg_segment_ptr 1
		.amdhsa_user_sgpr_dispatch_id 0
		.amdhsa_user_sgpr_kernarg_preload_length 0
		.amdhsa_user_sgpr_kernarg_preload_offset 0
		.amdhsa_user_sgpr_private_segment_size 0
		.amdhsa_wavefront_size32 1
		.amdhsa_uses_dynamic_stack 0
		.amdhsa_enable_private_segment 0
		.amdhsa_system_sgpr_workgroup_id_x 1
		.amdhsa_system_sgpr_workgroup_id_y 0
		.amdhsa_system_sgpr_workgroup_id_z 0
		.amdhsa_system_sgpr_workgroup_info 0
		.amdhsa_system_vgpr_workitem_id 0
		.amdhsa_next_free_vgpr 1
		.amdhsa_next_free_sgpr 1
		.amdhsa_named_barrier_count 0
		.amdhsa_reserve_vcc 0
		.amdhsa_float_round_mode_32 0
		.amdhsa_float_round_mode_16_64 0
		.amdhsa_float_denorm_mode_32 3
		.amdhsa_float_denorm_mode_16_64 3
		.amdhsa_fp16_overflow 0
		.amdhsa_memory_ordered 1
		.amdhsa_forward_progress 1
		.amdhsa_inst_pref_size 0
		.amdhsa_round_robin_scheduling 0
		.amdhsa_exception_fp_ieee_invalid_op 0
		.amdhsa_exception_fp_denorm_src 0
		.amdhsa_exception_fp_ieee_div_zero 0
		.amdhsa_exception_fp_ieee_overflow 0
		.amdhsa_exception_fp_ieee_underflow 0
		.amdhsa_exception_fp_ieee_inexact 0
		.amdhsa_exception_int_div_zero 0
	.end_amdhsa_kernel
	.section	.text._ZN7rocprim17ROCPRIM_400000_NS6detail17trampoline_kernelINS0_14default_configENS1_27scan_by_key_config_selectorIssEEZZNS1_16scan_by_key_implILNS1_25lookback_scan_determinismE0ELb1ES3_N6thrust23THRUST_200600_302600_NS6detail15normal_iteratorINS9_10device_ptrIsEEEESE_SE_sNS9_10multipliesIsEENS9_8equal_toIsEEsEE10hipError_tPvRmT2_T3_T4_T5_mT6_T7_P12ihipStream_tbENKUlT_T0_E_clISt17integral_constantIbLb0EESY_IbLb1EEEEDaSU_SV_EUlSU_E_NS1_11comp_targetILNS1_3genE2ELNS1_11target_archE906ELNS1_3gpuE6ELNS1_3repE0EEENS1_30default_config_static_selectorELNS0_4arch9wavefront6targetE0EEEvT1_,"axG",@progbits,_ZN7rocprim17ROCPRIM_400000_NS6detail17trampoline_kernelINS0_14default_configENS1_27scan_by_key_config_selectorIssEEZZNS1_16scan_by_key_implILNS1_25lookback_scan_determinismE0ELb1ES3_N6thrust23THRUST_200600_302600_NS6detail15normal_iteratorINS9_10device_ptrIsEEEESE_SE_sNS9_10multipliesIsEENS9_8equal_toIsEEsEE10hipError_tPvRmT2_T3_T4_T5_mT6_T7_P12ihipStream_tbENKUlT_T0_E_clISt17integral_constantIbLb0EESY_IbLb1EEEEDaSU_SV_EUlSU_E_NS1_11comp_targetILNS1_3genE2ELNS1_11target_archE906ELNS1_3gpuE6ELNS1_3repE0EEENS1_30default_config_static_selectorELNS0_4arch9wavefront6targetE0EEEvT1_,comdat
.Lfunc_end637:
	.size	_ZN7rocprim17ROCPRIM_400000_NS6detail17trampoline_kernelINS0_14default_configENS1_27scan_by_key_config_selectorIssEEZZNS1_16scan_by_key_implILNS1_25lookback_scan_determinismE0ELb1ES3_N6thrust23THRUST_200600_302600_NS6detail15normal_iteratorINS9_10device_ptrIsEEEESE_SE_sNS9_10multipliesIsEENS9_8equal_toIsEEsEE10hipError_tPvRmT2_T3_T4_T5_mT6_T7_P12ihipStream_tbENKUlT_T0_E_clISt17integral_constantIbLb0EESY_IbLb1EEEEDaSU_SV_EUlSU_E_NS1_11comp_targetILNS1_3genE2ELNS1_11target_archE906ELNS1_3gpuE6ELNS1_3repE0EEENS1_30default_config_static_selectorELNS0_4arch9wavefront6targetE0EEEvT1_, .Lfunc_end637-_ZN7rocprim17ROCPRIM_400000_NS6detail17trampoline_kernelINS0_14default_configENS1_27scan_by_key_config_selectorIssEEZZNS1_16scan_by_key_implILNS1_25lookback_scan_determinismE0ELb1ES3_N6thrust23THRUST_200600_302600_NS6detail15normal_iteratorINS9_10device_ptrIsEEEESE_SE_sNS9_10multipliesIsEENS9_8equal_toIsEEsEE10hipError_tPvRmT2_T3_T4_T5_mT6_T7_P12ihipStream_tbENKUlT_T0_E_clISt17integral_constantIbLb0EESY_IbLb1EEEEDaSU_SV_EUlSU_E_NS1_11comp_targetILNS1_3genE2ELNS1_11target_archE906ELNS1_3gpuE6ELNS1_3repE0EEENS1_30default_config_static_selectorELNS0_4arch9wavefront6targetE0EEEvT1_
                                        ; -- End function
	.set _ZN7rocprim17ROCPRIM_400000_NS6detail17trampoline_kernelINS0_14default_configENS1_27scan_by_key_config_selectorIssEEZZNS1_16scan_by_key_implILNS1_25lookback_scan_determinismE0ELb1ES3_N6thrust23THRUST_200600_302600_NS6detail15normal_iteratorINS9_10device_ptrIsEEEESE_SE_sNS9_10multipliesIsEENS9_8equal_toIsEEsEE10hipError_tPvRmT2_T3_T4_T5_mT6_T7_P12ihipStream_tbENKUlT_T0_E_clISt17integral_constantIbLb0EESY_IbLb1EEEEDaSU_SV_EUlSU_E_NS1_11comp_targetILNS1_3genE2ELNS1_11target_archE906ELNS1_3gpuE6ELNS1_3repE0EEENS1_30default_config_static_selectorELNS0_4arch9wavefront6targetE0EEEvT1_.num_vgpr, 0
	.set _ZN7rocprim17ROCPRIM_400000_NS6detail17trampoline_kernelINS0_14default_configENS1_27scan_by_key_config_selectorIssEEZZNS1_16scan_by_key_implILNS1_25lookback_scan_determinismE0ELb1ES3_N6thrust23THRUST_200600_302600_NS6detail15normal_iteratorINS9_10device_ptrIsEEEESE_SE_sNS9_10multipliesIsEENS9_8equal_toIsEEsEE10hipError_tPvRmT2_T3_T4_T5_mT6_T7_P12ihipStream_tbENKUlT_T0_E_clISt17integral_constantIbLb0EESY_IbLb1EEEEDaSU_SV_EUlSU_E_NS1_11comp_targetILNS1_3genE2ELNS1_11target_archE906ELNS1_3gpuE6ELNS1_3repE0EEENS1_30default_config_static_selectorELNS0_4arch9wavefront6targetE0EEEvT1_.num_agpr, 0
	.set _ZN7rocprim17ROCPRIM_400000_NS6detail17trampoline_kernelINS0_14default_configENS1_27scan_by_key_config_selectorIssEEZZNS1_16scan_by_key_implILNS1_25lookback_scan_determinismE0ELb1ES3_N6thrust23THRUST_200600_302600_NS6detail15normal_iteratorINS9_10device_ptrIsEEEESE_SE_sNS9_10multipliesIsEENS9_8equal_toIsEEsEE10hipError_tPvRmT2_T3_T4_T5_mT6_T7_P12ihipStream_tbENKUlT_T0_E_clISt17integral_constantIbLb0EESY_IbLb1EEEEDaSU_SV_EUlSU_E_NS1_11comp_targetILNS1_3genE2ELNS1_11target_archE906ELNS1_3gpuE6ELNS1_3repE0EEENS1_30default_config_static_selectorELNS0_4arch9wavefront6targetE0EEEvT1_.numbered_sgpr, 0
	.set _ZN7rocprim17ROCPRIM_400000_NS6detail17trampoline_kernelINS0_14default_configENS1_27scan_by_key_config_selectorIssEEZZNS1_16scan_by_key_implILNS1_25lookback_scan_determinismE0ELb1ES3_N6thrust23THRUST_200600_302600_NS6detail15normal_iteratorINS9_10device_ptrIsEEEESE_SE_sNS9_10multipliesIsEENS9_8equal_toIsEEsEE10hipError_tPvRmT2_T3_T4_T5_mT6_T7_P12ihipStream_tbENKUlT_T0_E_clISt17integral_constantIbLb0EESY_IbLb1EEEEDaSU_SV_EUlSU_E_NS1_11comp_targetILNS1_3genE2ELNS1_11target_archE906ELNS1_3gpuE6ELNS1_3repE0EEENS1_30default_config_static_selectorELNS0_4arch9wavefront6targetE0EEEvT1_.num_named_barrier, 0
	.set _ZN7rocprim17ROCPRIM_400000_NS6detail17trampoline_kernelINS0_14default_configENS1_27scan_by_key_config_selectorIssEEZZNS1_16scan_by_key_implILNS1_25lookback_scan_determinismE0ELb1ES3_N6thrust23THRUST_200600_302600_NS6detail15normal_iteratorINS9_10device_ptrIsEEEESE_SE_sNS9_10multipliesIsEENS9_8equal_toIsEEsEE10hipError_tPvRmT2_T3_T4_T5_mT6_T7_P12ihipStream_tbENKUlT_T0_E_clISt17integral_constantIbLb0EESY_IbLb1EEEEDaSU_SV_EUlSU_E_NS1_11comp_targetILNS1_3genE2ELNS1_11target_archE906ELNS1_3gpuE6ELNS1_3repE0EEENS1_30default_config_static_selectorELNS0_4arch9wavefront6targetE0EEEvT1_.private_seg_size, 0
	.set _ZN7rocprim17ROCPRIM_400000_NS6detail17trampoline_kernelINS0_14default_configENS1_27scan_by_key_config_selectorIssEEZZNS1_16scan_by_key_implILNS1_25lookback_scan_determinismE0ELb1ES3_N6thrust23THRUST_200600_302600_NS6detail15normal_iteratorINS9_10device_ptrIsEEEESE_SE_sNS9_10multipliesIsEENS9_8equal_toIsEEsEE10hipError_tPvRmT2_T3_T4_T5_mT6_T7_P12ihipStream_tbENKUlT_T0_E_clISt17integral_constantIbLb0EESY_IbLb1EEEEDaSU_SV_EUlSU_E_NS1_11comp_targetILNS1_3genE2ELNS1_11target_archE906ELNS1_3gpuE6ELNS1_3repE0EEENS1_30default_config_static_selectorELNS0_4arch9wavefront6targetE0EEEvT1_.uses_vcc, 0
	.set _ZN7rocprim17ROCPRIM_400000_NS6detail17trampoline_kernelINS0_14default_configENS1_27scan_by_key_config_selectorIssEEZZNS1_16scan_by_key_implILNS1_25lookback_scan_determinismE0ELb1ES3_N6thrust23THRUST_200600_302600_NS6detail15normal_iteratorINS9_10device_ptrIsEEEESE_SE_sNS9_10multipliesIsEENS9_8equal_toIsEEsEE10hipError_tPvRmT2_T3_T4_T5_mT6_T7_P12ihipStream_tbENKUlT_T0_E_clISt17integral_constantIbLb0EESY_IbLb1EEEEDaSU_SV_EUlSU_E_NS1_11comp_targetILNS1_3genE2ELNS1_11target_archE906ELNS1_3gpuE6ELNS1_3repE0EEENS1_30default_config_static_selectorELNS0_4arch9wavefront6targetE0EEEvT1_.uses_flat_scratch, 0
	.set _ZN7rocprim17ROCPRIM_400000_NS6detail17trampoline_kernelINS0_14default_configENS1_27scan_by_key_config_selectorIssEEZZNS1_16scan_by_key_implILNS1_25lookback_scan_determinismE0ELb1ES3_N6thrust23THRUST_200600_302600_NS6detail15normal_iteratorINS9_10device_ptrIsEEEESE_SE_sNS9_10multipliesIsEENS9_8equal_toIsEEsEE10hipError_tPvRmT2_T3_T4_T5_mT6_T7_P12ihipStream_tbENKUlT_T0_E_clISt17integral_constantIbLb0EESY_IbLb1EEEEDaSU_SV_EUlSU_E_NS1_11comp_targetILNS1_3genE2ELNS1_11target_archE906ELNS1_3gpuE6ELNS1_3repE0EEENS1_30default_config_static_selectorELNS0_4arch9wavefront6targetE0EEEvT1_.has_dyn_sized_stack, 0
	.set _ZN7rocprim17ROCPRIM_400000_NS6detail17trampoline_kernelINS0_14default_configENS1_27scan_by_key_config_selectorIssEEZZNS1_16scan_by_key_implILNS1_25lookback_scan_determinismE0ELb1ES3_N6thrust23THRUST_200600_302600_NS6detail15normal_iteratorINS9_10device_ptrIsEEEESE_SE_sNS9_10multipliesIsEENS9_8equal_toIsEEsEE10hipError_tPvRmT2_T3_T4_T5_mT6_T7_P12ihipStream_tbENKUlT_T0_E_clISt17integral_constantIbLb0EESY_IbLb1EEEEDaSU_SV_EUlSU_E_NS1_11comp_targetILNS1_3genE2ELNS1_11target_archE906ELNS1_3gpuE6ELNS1_3repE0EEENS1_30default_config_static_selectorELNS0_4arch9wavefront6targetE0EEEvT1_.has_recursion, 0
	.set _ZN7rocprim17ROCPRIM_400000_NS6detail17trampoline_kernelINS0_14default_configENS1_27scan_by_key_config_selectorIssEEZZNS1_16scan_by_key_implILNS1_25lookback_scan_determinismE0ELb1ES3_N6thrust23THRUST_200600_302600_NS6detail15normal_iteratorINS9_10device_ptrIsEEEESE_SE_sNS9_10multipliesIsEENS9_8equal_toIsEEsEE10hipError_tPvRmT2_T3_T4_T5_mT6_T7_P12ihipStream_tbENKUlT_T0_E_clISt17integral_constantIbLb0EESY_IbLb1EEEEDaSU_SV_EUlSU_E_NS1_11comp_targetILNS1_3genE2ELNS1_11target_archE906ELNS1_3gpuE6ELNS1_3repE0EEENS1_30default_config_static_selectorELNS0_4arch9wavefront6targetE0EEEvT1_.has_indirect_call, 0
	.section	.AMDGPU.csdata,"",@progbits
; Kernel info:
; codeLenInByte = 0
; TotalNumSgprs: 0
; NumVgprs: 0
; ScratchSize: 0
; MemoryBound: 0
; FloatMode: 240
; IeeeMode: 1
; LDSByteSize: 0 bytes/workgroup (compile time only)
; SGPRBlocks: 0
; VGPRBlocks: 0
; NumSGPRsForWavesPerEU: 1
; NumVGPRsForWavesPerEU: 1
; NamedBarCnt: 0
; Occupancy: 16
; WaveLimiterHint : 0
; COMPUTE_PGM_RSRC2:SCRATCH_EN: 0
; COMPUTE_PGM_RSRC2:USER_SGPR: 2
; COMPUTE_PGM_RSRC2:TRAP_HANDLER: 0
; COMPUTE_PGM_RSRC2:TGID_X_EN: 1
; COMPUTE_PGM_RSRC2:TGID_Y_EN: 0
; COMPUTE_PGM_RSRC2:TGID_Z_EN: 0
; COMPUTE_PGM_RSRC2:TIDIG_COMP_CNT: 0
	.section	.text._ZN7rocprim17ROCPRIM_400000_NS6detail17trampoline_kernelINS0_14default_configENS1_27scan_by_key_config_selectorIssEEZZNS1_16scan_by_key_implILNS1_25lookback_scan_determinismE0ELb1ES3_N6thrust23THRUST_200600_302600_NS6detail15normal_iteratorINS9_10device_ptrIsEEEESE_SE_sNS9_10multipliesIsEENS9_8equal_toIsEEsEE10hipError_tPvRmT2_T3_T4_T5_mT6_T7_P12ihipStream_tbENKUlT_T0_E_clISt17integral_constantIbLb0EESY_IbLb1EEEEDaSU_SV_EUlSU_E_NS1_11comp_targetILNS1_3genE10ELNS1_11target_archE1200ELNS1_3gpuE4ELNS1_3repE0EEENS1_30default_config_static_selectorELNS0_4arch9wavefront6targetE0EEEvT1_,"axG",@progbits,_ZN7rocprim17ROCPRIM_400000_NS6detail17trampoline_kernelINS0_14default_configENS1_27scan_by_key_config_selectorIssEEZZNS1_16scan_by_key_implILNS1_25lookback_scan_determinismE0ELb1ES3_N6thrust23THRUST_200600_302600_NS6detail15normal_iteratorINS9_10device_ptrIsEEEESE_SE_sNS9_10multipliesIsEENS9_8equal_toIsEEsEE10hipError_tPvRmT2_T3_T4_T5_mT6_T7_P12ihipStream_tbENKUlT_T0_E_clISt17integral_constantIbLb0EESY_IbLb1EEEEDaSU_SV_EUlSU_E_NS1_11comp_targetILNS1_3genE10ELNS1_11target_archE1200ELNS1_3gpuE4ELNS1_3repE0EEENS1_30default_config_static_selectorELNS0_4arch9wavefront6targetE0EEEvT1_,comdat
	.protected	_ZN7rocprim17ROCPRIM_400000_NS6detail17trampoline_kernelINS0_14default_configENS1_27scan_by_key_config_selectorIssEEZZNS1_16scan_by_key_implILNS1_25lookback_scan_determinismE0ELb1ES3_N6thrust23THRUST_200600_302600_NS6detail15normal_iteratorINS9_10device_ptrIsEEEESE_SE_sNS9_10multipliesIsEENS9_8equal_toIsEEsEE10hipError_tPvRmT2_T3_T4_T5_mT6_T7_P12ihipStream_tbENKUlT_T0_E_clISt17integral_constantIbLb0EESY_IbLb1EEEEDaSU_SV_EUlSU_E_NS1_11comp_targetILNS1_3genE10ELNS1_11target_archE1200ELNS1_3gpuE4ELNS1_3repE0EEENS1_30default_config_static_selectorELNS0_4arch9wavefront6targetE0EEEvT1_ ; -- Begin function _ZN7rocprim17ROCPRIM_400000_NS6detail17trampoline_kernelINS0_14default_configENS1_27scan_by_key_config_selectorIssEEZZNS1_16scan_by_key_implILNS1_25lookback_scan_determinismE0ELb1ES3_N6thrust23THRUST_200600_302600_NS6detail15normal_iteratorINS9_10device_ptrIsEEEESE_SE_sNS9_10multipliesIsEENS9_8equal_toIsEEsEE10hipError_tPvRmT2_T3_T4_T5_mT6_T7_P12ihipStream_tbENKUlT_T0_E_clISt17integral_constantIbLb0EESY_IbLb1EEEEDaSU_SV_EUlSU_E_NS1_11comp_targetILNS1_3genE10ELNS1_11target_archE1200ELNS1_3gpuE4ELNS1_3repE0EEENS1_30default_config_static_selectorELNS0_4arch9wavefront6targetE0EEEvT1_
	.globl	_ZN7rocprim17ROCPRIM_400000_NS6detail17trampoline_kernelINS0_14default_configENS1_27scan_by_key_config_selectorIssEEZZNS1_16scan_by_key_implILNS1_25lookback_scan_determinismE0ELb1ES3_N6thrust23THRUST_200600_302600_NS6detail15normal_iteratorINS9_10device_ptrIsEEEESE_SE_sNS9_10multipliesIsEENS9_8equal_toIsEEsEE10hipError_tPvRmT2_T3_T4_T5_mT6_T7_P12ihipStream_tbENKUlT_T0_E_clISt17integral_constantIbLb0EESY_IbLb1EEEEDaSU_SV_EUlSU_E_NS1_11comp_targetILNS1_3genE10ELNS1_11target_archE1200ELNS1_3gpuE4ELNS1_3repE0EEENS1_30default_config_static_selectorELNS0_4arch9wavefront6targetE0EEEvT1_
	.p2align	8
	.type	_ZN7rocprim17ROCPRIM_400000_NS6detail17trampoline_kernelINS0_14default_configENS1_27scan_by_key_config_selectorIssEEZZNS1_16scan_by_key_implILNS1_25lookback_scan_determinismE0ELb1ES3_N6thrust23THRUST_200600_302600_NS6detail15normal_iteratorINS9_10device_ptrIsEEEESE_SE_sNS9_10multipliesIsEENS9_8equal_toIsEEsEE10hipError_tPvRmT2_T3_T4_T5_mT6_T7_P12ihipStream_tbENKUlT_T0_E_clISt17integral_constantIbLb0EESY_IbLb1EEEEDaSU_SV_EUlSU_E_NS1_11comp_targetILNS1_3genE10ELNS1_11target_archE1200ELNS1_3gpuE4ELNS1_3repE0EEENS1_30default_config_static_selectorELNS0_4arch9wavefront6targetE0EEEvT1_,@function
_ZN7rocprim17ROCPRIM_400000_NS6detail17trampoline_kernelINS0_14default_configENS1_27scan_by_key_config_selectorIssEEZZNS1_16scan_by_key_implILNS1_25lookback_scan_determinismE0ELb1ES3_N6thrust23THRUST_200600_302600_NS6detail15normal_iteratorINS9_10device_ptrIsEEEESE_SE_sNS9_10multipliesIsEENS9_8equal_toIsEEsEE10hipError_tPvRmT2_T3_T4_T5_mT6_T7_P12ihipStream_tbENKUlT_T0_E_clISt17integral_constantIbLb0EESY_IbLb1EEEEDaSU_SV_EUlSU_E_NS1_11comp_targetILNS1_3genE10ELNS1_11target_archE1200ELNS1_3gpuE4ELNS1_3repE0EEENS1_30default_config_static_selectorELNS0_4arch9wavefront6targetE0EEEvT1_: ; @_ZN7rocprim17ROCPRIM_400000_NS6detail17trampoline_kernelINS0_14default_configENS1_27scan_by_key_config_selectorIssEEZZNS1_16scan_by_key_implILNS1_25lookback_scan_determinismE0ELb1ES3_N6thrust23THRUST_200600_302600_NS6detail15normal_iteratorINS9_10device_ptrIsEEEESE_SE_sNS9_10multipliesIsEENS9_8equal_toIsEEsEE10hipError_tPvRmT2_T3_T4_T5_mT6_T7_P12ihipStream_tbENKUlT_T0_E_clISt17integral_constantIbLb0EESY_IbLb1EEEEDaSU_SV_EUlSU_E_NS1_11comp_targetILNS1_3genE10ELNS1_11target_archE1200ELNS1_3gpuE4ELNS1_3repE0EEENS1_30default_config_static_selectorELNS0_4arch9wavefront6targetE0EEEvT1_
; %bb.0:
	.section	.rodata,"a",@progbits
	.p2align	6, 0x0
	.amdhsa_kernel _ZN7rocprim17ROCPRIM_400000_NS6detail17trampoline_kernelINS0_14default_configENS1_27scan_by_key_config_selectorIssEEZZNS1_16scan_by_key_implILNS1_25lookback_scan_determinismE0ELb1ES3_N6thrust23THRUST_200600_302600_NS6detail15normal_iteratorINS9_10device_ptrIsEEEESE_SE_sNS9_10multipliesIsEENS9_8equal_toIsEEsEE10hipError_tPvRmT2_T3_T4_T5_mT6_T7_P12ihipStream_tbENKUlT_T0_E_clISt17integral_constantIbLb0EESY_IbLb1EEEEDaSU_SV_EUlSU_E_NS1_11comp_targetILNS1_3genE10ELNS1_11target_archE1200ELNS1_3gpuE4ELNS1_3repE0EEENS1_30default_config_static_selectorELNS0_4arch9wavefront6targetE0EEEvT1_
		.amdhsa_group_segment_fixed_size 0
		.amdhsa_private_segment_fixed_size 0
		.amdhsa_kernarg_size 112
		.amdhsa_user_sgpr_count 2
		.amdhsa_user_sgpr_dispatch_ptr 0
		.amdhsa_user_sgpr_queue_ptr 0
		.amdhsa_user_sgpr_kernarg_segment_ptr 1
		.amdhsa_user_sgpr_dispatch_id 0
		.amdhsa_user_sgpr_kernarg_preload_length 0
		.amdhsa_user_sgpr_kernarg_preload_offset 0
		.amdhsa_user_sgpr_private_segment_size 0
		.amdhsa_wavefront_size32 1
		.amdhsa_uses_dynamic_stack 0
		.amdhsa_enable_private_segment 0
		.amdhsa_system_sgpr_workgroup_id_x 1
		.amdhsa_system_sgpr_workgroup_id_y 0
		.amdhsa_system_sgpr_workgroup_id_z 0
		.amdhsa_system_sgpr_workgroup_info 0
		.amdhsa_system_vgpr_workitem_id 0
		.amdhsa_next_free_vgpr 1
		.amdhsa_next_free_sgpr 1
		.amdhsa_named_barrier_count 0
		.amdhsa_reserve_vcc 0
		.amdhsa_float_round_mode_32 0
		.amdhsa_float_round_mode_16_64 0
		.amdhsa_float_denorm_mode_32 3
		.amdhsa_float_denorm_mode_16_64 3
		.amdhsa_fp16_overflow 0
		.amdhsa_memory_ordered 1
		.amdhsa_forward_progress 1
		.amdhsa_inst_pref_size 0
		.amdhsa_round_robin_scheduling 0
		.amdhsa_exception_fp_ieee_invalid_op 0
		.amdhsa_exception_fp_denorm_src 0
		.amdhsa_exception_fp_ieee_div_zero 0
		.amdhsa_exception_fp_ieee_overflow 0
		.amdhsa_exception_fp_ieee_underflow 0
		.amdhsa_exception_fp_ieee_inexact 0
		.amdhsa_exception_int_div_zero 0
	.end_amdhsa_kernel
	.section	.text._ZN7rocprim17ROCPRIM_400000_NS6detail17trampoline_kernelINS0_14default_configENS1_27scan_by_key_config_selectorIssEEZZNS1_16scan_by_key_implILNS1_25lookback_scan_determinismE0ELb1ES3_N6thrust23THRUST_200600_302600_NS6detail15normal_iteratorINS9_10device_ptrIsEEEESE_SE_sNS9_10multipliesIsEENS9_8equal_toIsEEsEE10hipError_tPvRmT2_T3_T4_T5_mT6_T7_P12ihipStream_tbENKUlT_T0_E_clISt17integral_constantIbLb0EESY_IbLb1EEEEDaSU_SV_EUlSU_E_NS1_11comp_targetILNS1_3genE10ELNS1_11target_archE1200ELNS1_3gpuE4ELNS1_3repE0EEENS1_30default_config_static_selectorELNS0_4arch9wavefront6targetE0EEEvT1_,"axG",@progbits,_ZN7rocprim17ROCPRIM_400000_NS6detail17trampoline_kernelINS0_14default_configENS1_27scan_by_key_config_selectorIssEEZZNS1_16scan_by_key_implILNS1_25lookback_scan_determinismE0ELb1ES3_N6thrust23THRUST_200600_302600_NS6detail15normal_iteratorINS9_10device_ptrIsEEEESE_SE_sNS9_10multipliesIsEENS9_8equal_toIsEEsEE10hipError_tPvRmT2_T3_T4_T5_mT6_T7_P12ihipStream_tbENKUlT_T0_E_clISt17integral_constantIbLb0EESY_IbLb1EEEEDaSU_SV_EUlSU_E_NS1_11comp_targetILNS1_3genE10ELNS1_11target_archE1200ELNS1_3gpuE4ELNS1_3repE0EEENS1_30default_config_static_selectorELNS0_4arch9wavefront6targetE0EEEvT1_,comdat
.Lfunc_end638:
	.size	_ZN7rocprim17ROCPRIM_400000_NS6detail17trampoline_kernelINS0_14default_configENS1_27scan_by_key_config_selectorIssEEZZNS1_16scan_by_key_implILNS1_25lookback_scan_determinismE0ELb1ES3_N6thrust23THRUST_200600_302600_NS6detail15normal_iteratorINS9_10device_ptrIsEEEESE_SE_sNS9_10multipliesIsEENS9_8equal_toIsEEsEE10hipError_tPvRmT2_T3_T4_T5_mT6_T7_P12ihipStream_tbENKUlT_T0_E_clISt17integral_constantIbLb0EESY_IbLb1EEEEDaSU_SV_EUlSU_E_NS1_11comp_targetILNS1_3genE10ELNS1_11target_archE1200ELNS1_3gpuE4ELNS1_3repE0EEENS1_30default_config_static_selectorELNS0_4arch9wavefront6targetE0EEEvT1_, .Lfunc_end638-_ZN7rocprim17ROCPRIM_400000_NS6detail17trampoline_kernelINS0_14default_configENS1_27scan_by_key_config_selectorIssEEZZNS1_16scan_by_key_implILNS1_25lookback_scan_determinismE0ELb1ES3_N6thrust23THRUST_200600_302600_NS6detail15normal_iteratorINS9_10device_ptrIsEEEESE_SE_sNS9_10multipliesIsEENS9_8equal_toIsEEsEE10hipError_tPvRmT2_T3_T4_T5_mT6_T7_P12ihipStream_tbENKUlT_T0_E_clISt17integral_constantIbLb0EESY_IbLb1EEEEDaSU_SV_EUlSU_E_NS1_11comp_targetILNS1_3genE10ELNS1_11target_archE1200ELNS1_3gpuE4ELNS1_3repE0EEENS1_30default_config_static_selectorELNS0_4arch9wavefront6targetE0EEEvT1_
                                        ; -- End function
	.set _ZN7rocprim17ROCPRIM_400000_NS6detail17trampoline_kernelINS0_14default_configENS1_27scan_by_key_config_selectorIssEEZZNS1_16scan_by_key_implILNS1_25lookback_scan_determinismE0ELb1ES3_N6thrust23THRUST_200600_302600_NS6detail15normal_iteratorINS9_10device_ptrIsEEEESE_SE_sNS9_10multipliesIsEENS9_8equal_toIsEEsEE10hipError_tPvRmT2_T3_T4_T5_mT6_T7_P12ihipStream_tbENKUlT_T0_E_clISt17integral_constantIbLb0EESY_IbLb1EEEEDaSU_SV_EUlSU_E_NS1_11comp_targetILNS1_3genE10ELNS1_11target_archE1200ELNS1_3gpuE4ELNS1_3repE0EEENS1_30default_config_static_selectorELNS0_4arch9wavefront6targetE0EEEvT1_.num_vgpr, 0
	.set _ZN7rocprim17ROCPRIM_400000_NS6detail17trampoline_kernelINS0_14default_configENS1_27scan_by_key_config_selectorIssEEZZNS1_16scan_by_key_implILNS1_25lookback_scan_determinismE0ELb1ES3_N6thrust23THRUST_200600_302600_NS6detail15normal_iteratorINS9_10device_ptrIsEEEESE_SE_sNS9_10multipliesIsEENS9_8equal_toIsEEsEE10hipError_tPvRmT2_T3_T4_T5_mT6_T7_P12ihipStream_tbENKUlT_T0_E_clISt17integral_constantIbLb0EESY_IbLb1EEEEDaSU_SV_EUlSU_E_NS1_11comp_targetILNS1_3genE10ELNS1_11target_archE1200ELNS1_3gpuE4ELNS1_3repE0EEENS1_30default_config_static_selectorELNS0_4arch9wavefront6targetE0EEEvT1_.num_agpr, 0
	.set _ZN7rocprim17ROCPRIM_400000_NS6detail17trampoline_kernelINS0_14default_configENS1_27scan_by_key_config_selectorIssEEZZNS1_16scan_by_key_implILNS1_25lookback_scan_determinismE0ELb1ES3_N6thrust23THRUST_200600_302600_NS6detail15normal_iteratorINS9_10device_ptrIsEEEESE_SE_sNS9_10multipliesIsEENS9_8equal_toIsEEsEE10hipError_tPvRmT2_T3_T4_T5_mT6_T7_P12ihipStream_tbENKUlT_T0_E_clISt17integral_constantIbLb0EESY_IbLb1EEEEDaSU_SV_EUlSU_E_NS1_11comp_targetILNS1_3genE10ELNS1_11target_archE1200ELNS1_3gpuE4ELNS1_3repE0EEENS1_30default_config_static_selectorELNS0_4arch9wavefront6targetE0EEEvT1_.numbered_sgpr, 0
	.set _ZN7rocprim17ROCPRIM_400000_NS6detail17trampoline_kernelINS0_14default_configENS1_27scan_by_key_config_selectorIssEEZZNS1_16scan_by_key_implILNS1_25lookback_scan_determinismE0ELb1ES3_N6thrust23THRUST_200600_302600_NS6detail15normal_iteratorINS9_10device_ptrIsEEEESE_SE_sNS9_10multipliesIsEENS9_8equal_toIsEEsEE10hipError_tPvRmT2_T3_T4_T5_mT6_T7_P12ihipStream_tbENKUlT_T0_E_clISt17integral_constantIbLb0EESY_IbLb1EEEEDaSU_SV_EUlSU_E_NS1_11comp_targetILNS1_3genE10ELNS1_11target_archE1200ELNS1_3gpuE4ELNS1_3repE0EEENS1_30default_config_static_selectorELNS0_4arch9wavefront6targetE0EEEvT1_.num_named_barrier, 0
	.set _ZN7rocprim17ROCPRIM_400000_NS6detail17trampoline_kernelINS0_14default_configENS1_27scan_by_key_config_selectorIssEEZZNS1_16scan_by_key_implILNS1_25lookback_scan_determinismE0ELb1ES3_N6thrust23THRUST_200600_302600_NS6detail15normal_iteratorINS9_10device_ptrIsEEEESE_SE_sNS9_10multipliesIsEENS9_8equal_toIsEEsEE10hipError_tPvRmT2_T3_T4_T5_mT6_T7_P12ihipStream_tbENKUlT_T0_E_clISt17integral_constantIbLb0EESY_IbLb1EEEEDaSU_SV_EUlSU_E_NS1_11comp_targetILNS1_3genE10ELNS1_11target_archE1200ELNS1_3gpuE4ELNS1_3repE0EEENS1_30default_config_static_selectorELNS0_4arch9wavefront6targetE0EEEvT1_.private_seg_size, 0
	.set _ZN7rocprim17ROCPRIM_400000_NS6detail17trampoline_kernelINS0_14default_configENS1_27scan_by_key_config_selectorIssEEZZNS1_16scan_by_key_implILNS1_25lookback_scan_determinismE0ELb1ES3_N6thrust23THRUST_200600_302600_NS6detail15normal_iteratorINS9_10device_ptrIsEEEESE_SE_sNS9_10multipliesIsEENS9_8equal_toIsEEsEE10hipError_tPvRmT2_T3_T4_T5_mT6_T7_P12ihipStream_tbENKUlT_T0_E_clISt17integral_constantIbLb0EESY_IbLb1EEEEDaSU_SV_EUlSU_E_NS1_11comp_targetILNS1_3genE10ELNS1_11target_archE1200ELNS1_3gpuE4ELNS1_3repE0EEENS1_30default_config_static_selectorELNS0_4arch9wavefront6targetE0EEEvT1_.uses_vcc, 0
	.set _ZN7rocprim17ROCPRIM_400000_NS6detail17trampoline_kernelINS0_14default_configENS1_27scan_by_key_config_selectorIssEEZZNS1_16scan_by_key_implILNS1_25lookback_scan_determinismE0ELb1ES3_N6thrust23THRUST_200600_302600_NS6detail15normal_iteratorINS9_10device_ptrIsEEEESE_SE_sNS9_10multipliesIsEENS9_8equal_toIsEEsEE10hipError_tPvRmT2_T3_T4_T5_mT6_T7_P12ihipStream_tbENKUlT_T0_E_clISt17integral_constantIbLb0EESY_IbLb1EEEEDaSU_SV_EUlSU_E_NS1_11comp_targetILNS1_3genE10ELNS1_11target_archE1200ELNS1_3gpuE4ELNS1_3repE0EEENS1_30default_config_static_selectorELNS0_4arch9wavefront6targetE0EEEvT1_.uses_flat_scratch, 0
	.set _ZN7rocprim17ROCPRIM_400000_NS6detail17trampoline_kernelINS0_14default_configENS1_27scan_by_key_config_selectorIssEEZZNS1_16scan_by_key_implILNS1_25lookback_scan_determinismE0ELb1ES3_N6thrust23THRUST_200600_302600_NS6detail15normal_iteratorINS9_10device_ptrIsEEEESE_SE_sNS9_10multipliesIsEENS9_8equal_toIsEEsEE10hipError_tPvRmT2_T3_T4_T5_mT6_T7_P12ihipStream_tbENKUlT_T0_E_clISt17integral_constantIbLb0EESY_IbLb1EEEEDaSU_SV_EUlSU_E_NS1_11comp_targetILNS1_3genE10ELNS1_11target_archE1200ELNS1_3gpuE4ELNS1_3repE0EEENS1_30default_config_static_selectorELNS0_4arch9wavefront6targetE0EEEvT1_.has_dyn_sized_stack, 0
	.set _ZN7rocprim17ROCPRIM_400000_NS6detail17trampoline_kernelINS0_14default_configENS1_27scan_by_key_config_selectorIssEEZZNS1_16scan_by_key_implILNS1_25lookback_scan_determinismE0ELb1ES3_N6thrust23THRUST_200600_302600_NS6detail15normal_iteratorINS9_10device_ptrIsEEEESE_SE_sNS9_10multipliesIsEENS9_8equal_toIsEEsEE10hipError_tPvRmT2_T3_T4_T5_mT6_T7_P12ihipStream_tbENKUlT_T0_E_clISt17integral_constantIbLb0EESY_IbLb1EEEEDaSU_SV_EUlSU_E_NS1_11comp_targetILNS1_3genE10ELNS1_11target_archE1200ELNS1_3gpuE4ELNS1_3repE0EEENS1_30default_config_static_selectorELNS0_4arch9wavefront6targetE0EEEvT1_.has_recursion, 0
	.set _ZN7rocprim17ROCPRIM_400000_NS6detail17trampoline_kernelINS0_14default_configENS1_27scan_by_key_config_selectorIssEEZZNS1_16scan_by_key_implILNS1_25lookback_scan_determinismE0ELb1ES3_N6thrust23THRUST_200600_302600_NS6detail15normal_iteratorINS9_10device_ptrIsEEEESE_SE_sNS9_10multipliesIsEENS9_8equal_toIsEEsEE10hipError_tPvRmT2_T3_T4_T5_mT6_T7_P12ihipStream_tbENKUlT_T0_E_clISt17integral_constantIbLb0EESY_IbLb1EEEEDaSU_SV_EUlSU_E_NS1_11comp_targetILNS1_3genE10ELNS1_11target_archE1200ELNS1_3gpuE4ELNS1_3repE0EEENS1_30default_config_static_selectorELNS0_4arch9wavefront6targetE0EEEvT1_.has_indirect_call, 0
	.section	.AMDGPU.csdata,"",@progbits
; Kernel info:
; codeLenInByte = 0
; TotalNumSgprs: 0
; NumVgprs: 0
; ScratchSize: 0
; MemoryBound: 0
; FloatMode: 240
; IeeeMode: 1
; LDSByteSize: 0 bytes/workgroup (compile time only)
; SGPRBlocks: 0
; VGPRBlocks: 0
; NumSGPRsForWavesPerEU: 1
; NumVGPRsForWavesPerEU: 1
; NamedBarCnt: 0
; Occupancy: 16
; WaveLimiterHint : 0
; COMPUTE_PGM_RSRC2:SCRATCH_EN: 0
; COMPUTE_PGM_RSRC2:USER_SGPR: 2
; COMPUTE_PGM_RSRC2:TRAP_HANDLER: 0
; COMPUTE_PGM_RSRC2:TGID_X_EN: 1
; COMPUTE_PGM_RSRC2:TGID_Y_EN: 0
; COMPUTE_PGM_RSRC2:TGID_Z_EN: 0
; COMPUTE_PGM_RSRC2:TIDIG_COMP_CNT: 0
	.section	.text._ZN7rocprim17ROCPRIM_400000_NS6detail17trampoline_kernelINS0_14default_configENS1_27scan_by_key_config_selectorIssEEZZNS1_16scan_by_key_implILNS1_25lookback_scan_determinismE0ELb1ES3_N6thrust23THRUST_200600_302600_NS6detail15normal_iteratorINS9_10device_ptrIsEEEESE_SE_sNS9_10multipliesIsEENS9_8equal_toIsEEsEE10hipError_tPvRmT2_T3_T4_T5_mT6_T7_P12ihipStream_tbENKUlT_T0_E_clISt17integral_constantIbLb0EESY_IbLb1EEEEDaSU_SV_EUlSU_E_NS1_11comp_targetILNS1_3genE9ELNS1_11target_archE1100ELNS1_3gpuE3ELNS1_3repE0EEENS1_30default_config_static_selectorELNS0_4arch9wavefront6targetE0EEEvT1_,"axG",@progbits,_ZN7rocprim17ROCPRIM_400000_NS6detail17trampoline_kernelINS0_14default_configENS1_27scan_by_key_config_selectorIssEEZZNS1_16scan_by_key_implILNS1_25lookback_scan_determinismE0ELb1ES3_N6thrust23THRUST_200600_302600_NS6detail15normal_iteratorINS9_10device_ptrIsEEEESE_SE_sNS9_10multipliesIsEENS9_8equal_toIsEEsEE10hipError_tPvRmT2_T3_T4_T5_mT6_T7_P12ihipStream_tbENKUlT_T0_E_clISt17integral_constantIbLb0EESY_IbLb1EEEEDaSU_SV_EUlSU_E_NS1_11comp_targetILNS1_3genE9ELNS1_11target_archE1100ELNS1_3gpuE3ELNS1_3repE0EEENS1_30default_config_static_selectorELNS0_4arch9wavefront6targetE0EEEvT1_,comdat
	.protected	_ZN7rocprim17ROCPRIM_400000_NS6detail17trampoline_kernelINS0_14default_configENS1_27scan_by_key_config_selectorIssEEZZNS1_16scan_by_key_implILNS1_25lookback_scan_determinismE0ELb1ES3_N6thrust23THRUST_200600_302600_NS6detail15normal_iteratorINS9_10device_ptrIsEEEESE_SE_sNS9_10multipliesIsEENS9_8equal_toIsEEsEE10hipError_tPvRmT2_T3_T4_T5_mT6_T7_P12ihipStream_tbENKUlT_T0_E_clISt17integral_constantIbLb0EESY_IbLb1EEEEDaSU_SV_EUlSU_E_NS1_11comp_targetILNS1_3genE9ELNS1_11target_archE1100ELNS1_3gpuE3ELNS1_3repE0EEENS1_30default_config_static_selectorELNS0_4arch9wavefront6targetE0EEEvT1_ ; -- Begin function _ZN7rocprim17ROCPRIM_400000_NS6detail17trampoline_kernelINS0_14default_configENS1_27scan_by_key_config_selectorIssEEZZNS1_16scan_by_key_implILNS1_25lookback_scan_determinismE0ELb1ES3_N6thrust23THRUST_200600_302600_NS6detail15normal_iteratorINS9_10device_ptrIsEEEESE_SE_sNS9_10multipliesIsEENS9_8equal_toIsEEsEE10hipError_tPvRmT2_T3_T4_T5_mT6_T7_P12ihipStream_tbENKUlT_T0_E_clISt17integral_constantIbLb0EESY_IbLb1EEEEDaSU_SV_EUlSU_E_NS1_11comp_targetILNS1_3genE9ELNS1_11target_archE1100ELNS1_3gpuE3ELNS1_3repE0EEENS1_30default_config_static_selectorELNS0_4arch9wavefront6targetE0EEEvT1_
	.globl	_ZN7rocprim17ROCPRIM_400000_NS6detail17trampoline_kernelINS0_14default_configENS1_27scan_by_key_config_selectorIssEEZZNS1_16scan_by_key_implILNS1_25lookback_scan_determinismE0ELb1ES3_N6thrust23THRUST_200600_302600_NS6detail15normal_iteratorINS9_10device_ptrIsEEEESE_SE_sNS9_10multipliesIsEENS9_8equal_toIsEEsEE10hipError_tPvRmT2_T3_T4_T5_mT6_T7_P12ihipStream_tbENKUlT_T0_E_clISt17integral_constantIbLb0EESY_IbLb1EEEEDaSU_SV_EUlSU_E_NS1_11comp_targetILNS1_3genE9ELNS1_11target_archE1100ELNS1_3gpuE3ELNS1_3repE0EEENS1_30default_config_static_selectorELNS0_4arch9wavefront6targetE0EEEvT1_
	.p2align	8
	.type	_ZN7rocprim17ROCPRIM_400000_NS6detail17trampoline_kernelINS0_14default_configENS1_27scan_by_key_config_selectorIssEEZZNS1_16scan_by_key_implILNS1_25lookback_scan_determinismE0ELb1ES3_N6thrust23THRUST_200600_302600_NS6detail15normal_iteratorINS9_10device_ptrIsEEEESE_SE_sNS9_10multipliesIsEENS9_8equal_toIsEEsEE10hipError_tPvRmT2_T3_T4_T5_mT6_T7_P12ihipStream_tbENKUlT_T0_E_clISt17integral_constantIbLb0EESY_IbLb1EEEEDaSU_SV_EUlSU_E_NS1_11comp_targetILNS1_3genE9ELNS1_11target_archE1100ELNS1_3gpuE3ELNS1_3repE0EEENS1_30default_config_static_selectorELNS0_4arch9wavefront6targetE0EEEvT1_,@function
_ZN7rocprim17ROCPRIM_400000_NS6detail17trampoline_kernelINS0_14default_configENS1_27scan_by_key_config_selectorIssEEZZNS1_16scan_by_key_implILNS1_25lookback_scan_determinismE0ELb1ES3_N6thrust23THRUST_200600_302600_NS6detail15normal_iteratorINS9_10device_ptrIsEEEESE_SE_sNS9_10multipliesIsEENS9_8equal_toIsEEsEE10hipError_tPvRmT2_T3_T4_T5_mT6_T7_P12ihipStream_tbENKUlT_T0_E_clISt17integral_constantIbLb0EESY_IbLb1EEEEDaSU_SV_EUlSU_E_NS1_11comp_targetILNS1_3genE9ELNS1_11target_archE1100ELNS1_3gpuE3ELNS1_3repE0EEENS1_30default_config_static_selectorELNS0_4arch9wavefront6targetE0EEEvT1_: ; @_ZN7rocprim17ROCPRIM_400000_NS6detail17trampoline_kernelINS0_14default_configENS1_27scan_by_key_config_selectorIssEEZZNS1_16scan_by_key_implILNS1_25lookback_scan_determinismE0ELb1ES3_N6thrust23THRUST_200600_302600_NS6detail15normal_iteratorINS9_10device_ptrIsEEEESE_SE_sNS9_10multipliesIsEENS9_8equal_toIsEEsEE10hipError_tPvRmT2_T3_T4_T5_mT6_T7_P12ihipStream_tbENKUlT_T0_E_clISt17integral_constantIbLb0EESY_IbLb1EEEEDaSU_SV_EUlSU_E_NS1_11comp_targetILNS1_3genE9ELNS1_11target_archE1100ELNS1_3gpuE3ELNS1_3repE0EEENS1_30default_config_static_selectorELNS0_4arch9wavefront6targetE0EEEvT1_
; %bb.0:
	.section	.rodata,"a",@progbits
	.p2align	6, 0x0
	.amdhsa_kernel _ZN7rocprim17ROCPRIM_400000_NS6detail17trampoline_kernelINS0_14default_configENS1_27scan_by_key_config_selectorIssEEZZNS1_16scan_by_key_implILNS1_25lookback_scan_determinismE0ELb1ES3_N6thrust23THRUST_200600_302600_NS6detail15normal_iteratorINS9_10device_ptrIsEEEESE_SE_sNS9_10multipliesIsEENS9_8equal_toIsEEsEE10hipError_tPvRmT2_T3_T4_T5_mT6_T7_P12ihipStream_tbENKUlT_T0_E_clISt17integral_constantIbLb0EESY_IbLb1EEEEDaSU_SV_EUlSU_E_NS1_11comp_targetILNS1_3genE9ELNS1_11target_archE1100ELNS1_3gpuE3ELNS1_3repE0EEENS1_30default_config_static_selectorELNS0_4arch9wavefront6targetE0EEEvT1_
		.amdhsa_group_segment_fixed_size 0
		.amdhsa_private_segment_fixed_size 0
		.amdhsa_kernarg_size 112
		.amdhsa_user_sgpr_count 2
		.amdhsa_user_sgpr_dispatch_ptr 0
		.amdhsa_user_sgpr_queue_ptr 0
		.amdhsa_user_sgpr_kernarg_segment_ptr 1
		.amdhsa_user_sgpr_dispatch_id 0
		.amdhsa_user_sgpr_kernarg_preload_length 0
		.amdhsa_user_sgpr_kernarg_preload_offset 0
		.amdhsa_user_sgpr_private_segment_size 0
		.amdhsa_wavefront_size32 1
		.amdhsa_uses_dynamic_stack 0
		.amdhsa_enable_private_segment 0
		.amdhsa_system_sgpr_workgroup_id_x 1
		.amdhsa_system_sgpr_workgroup_id_y 0
		.amdhsa_system_sgpr_workgroup_id_z 0
		.amdhsa_system_sgpr_workgroup_info 0
		.amdhsa_system_vgpr_workitem_id 0
		.amdhsa_next_free_vgpr 1
		.amdhsa_next_free_sgpr 1
		.amdhsa_named_barrier_count 0
		.amdhsa_reserve_vcc 0
		.amdhsa_float_round_mode_32 0
		.amdhsa_float_round_mode_16_64 0
		.amdhsa_float_denorm_mode_32 3
		.amdhsa_float_denorm_mode_16_64 3
		.amdhsa_fp16_overflow 0
		.amdhsa_memory_ordered 1
		.amdhsa_forward_progress 1
		.amdhsa_inst_pref_size 0
		.amdhsa_round_robin_scheduling 0
		.amdhsa_exception_fp_ieee_invalid_op 0
		.amdhsa_exception_fp_denorm_src 0
		.amdhsa_exception_fp_ieee_div_zero 0
		.amdhsa_exception_fp_ieee_overflow 0
		.amdhsa_exception_fp_ieee_underflow 0
		.amdhsa_exception_fp_ieee_inexact 0
		.amdhsa_exception_int_div_zero 0
	.end_amdhsa_kernel
	.section	.text._ZN7rocprim17ROCPRIM_400000_NS6detail17trampoline_kernelINS0_14default_configENS1_27scan_by_key_config_selectorIssEEZZNS1_16scan_by_key_implILNS1_25lookback_scan_determinismE0ELb1ES3_N6thrust23THRUST_200600_302600_NS6detail15normal_iteratorINS9_10device_ptrIsEEEESE_SE_sNS9_10multipliesIsEENS9_8equal_toIsEEsEE10hipError_tPvRmT2_T3_T4_T5_mT6_T7_P12ihipStream_tbENKUlT_T0_E_clISt17integral_constantIbLb0EESY_IbLb1EEEEDaSU_SV_EUlSU_E_NS1_11comp_targetILNS1_3genE9ELNS1_11target_archE1100ELNS1_3gpuE3ELNS1_3repE0EEENS1_30default_config_static_selectorELNS0_4arch9wavefront6targetE0EEEvT1_,"axG",@progbits,_ZN7rocprim17ROCPRIM_400000_NS6detail17trampoline_kernelINS0_14default_configENS1_27scan_by_key_config_selectorIssEEZZNS1_16scan_by_key_implILNS1_25lookback_scan_determinismE0ELb1ES3_N6thrust23THRUST_200600_302600_NS6detail15normal_iteratorINS9_10device_ptrIsEEEESE_SE_sNS9_10multipliesIsEENS9_8equal_toIsEEsEE10hipError_tPvRmT2_T3_T4_T5_mT6_T7_P12ihipStream_tbENKUlT_T0_E_clISt17integral_constantIbLb0EESY_IbLb1EEEEDaSU_SV_EUlSU_E_NS1_11comp_targetILNS1_3genE9ELNS1_11target_archE1100ELNS1_3gpuE3ELNS1_3repE0EEENS1_30default_config_static_selectorELNS0_4arch9wavefront6targetE0EEEvT1_,comdat
.Lfunc_end639:
	.size	_ZN7rocprim17ROCPRIM_400000_NS6detail17trampoline_kernelINS0_14default_configENS1_27scan_by_key_config_selectorIssEEZZNS1_16scan_by_key_implILNS1_25lookback_scan_determinismE0ELb1ES3_N6thrust23THRUST_200600_302600_NS6detail15normal_iteratorINS9_10device_ptrIsEEEESE_SE_sNS9_10multipliesIsEENS9_8equal_toIsEEsEE10hipError_tPvRmT2_T3_T4_T5_mT6_T7_P12ihipStream_tbENKUlT_T0_E_clISt17integral_constantIbLb0EESY_IbLb1EEEEDaSU_SV_EUlSU_E_NS1_11comp_targetILNS1_3genE9ELNS1_11target_archE1100ELNS1_3gpuE3ELNS1_3repE0EEENS1_30default_config_static_selectorELNS0_4arch9wavefront6targetE0EEEvT1_, .Lfunc_end639-_ZN7rocprim17ROCPRIM_400000_NS6detail17trampoline_kernelINS0_14default_configENS1_27scan_by_key_config_selectorIssEEZZNS1_16scan_by_key_implILNS1_25lookback_scan_determinismE0ELb1ES3_N6thrust23THRUST_200600_302600_NS6detail15normal_iteratorINS9_10device_ptrIsEEEESE_SE_sNS9_10multipliesIsEENS9_8equal_toIsEEsEE10hipError_tPvRmT2_T3_T4_T5_mT6_T7_P12ihipStream_tbENKUlT_T0_E_clISt17integral_constantIbLb0EESY_IbLb1EEEEDaSU_SV_EUlSU_E_NS1_11comp_targetILNS1_3genE9ELNS1_11target_archE1100ELNS1_3gpuE3ELNS1_3repE0EEENS1_30default_config_static_selectorELNS0_4arch9wavefront6targetE0EEEvT1_
                                        ; -- End function
	.set _ZN7rocprim17ROCPRIM_400000_NS6detail17trampoline_kernelINS0_14default_configENS1_27scan_by_key_config_selectorIssEEZZNS1_16scan_by_key_implILNS1_25lookback_scan_determinismE0ELb1ES3_N6thrust23THRUST_200600_302600_NS6detail15normal_iteratorINS9_10device_ptrIsEEEESE_SE_sNS9_10multipliesIsEENS9_8equal_toIsEEsEE10hipError_tPvRmT2_T3_T4_T5_mT6_T7_P12ihipStream_tbENKUlT_T0_E_clISt17integral_constantIbLb0EESY_IbLb1EEEEDaSU_SV_EUlSU_E_NS1_11comp_targetILNS1_3genE9ELNS1_11target_archE1100ELNS1_3gpuE3ELNS1_3repE0EEENS1_30default_config_static_selectorELNS0_4arch9wavefront6targetE0EEEvT1_.num_vgpr, 0
	.set _ZN7rocprim17ROCPRIM_400000_NS6detail17trampoline_kernelINS0_14default_configENS1_27scan_by_key_config_selectorIssEEZZNS1_16scan_by_key_implILNS1_25lookback_scan_determinismE0ELb1ES3_N6thrust23THRUST_200600_302600_NS6detail15normal_iteratorINS9_10device_ptrIsEEEESE_SE_sNS9_10multipliesIsEENS9_8equal_toIsEEsEE10hipError_tPvRmT2_T3_T4_T5_mT6_T7_P12ihipStream_tbENKUlT_T0_E_clISt17integral_constantIbLb0EESY_IbLb1EEEEDaSU_SV_EUlSU_E_NS1_11comp_targetILNS1_3genE9ELNS1_11target_archE1100ELNS1_3gpuE3ELNS1_3repE0EEENS1_30default_config_static_selectorELNS0_4arch9wavefront6targetE0EEEvT1_.num_agpr, 0
	.set _ZN7rocprim17ROCPRIM_400000_NS6detail17trampoline_kernelINS0_14default_configENS1_27scan_by_key_config_selectorIssEEZZNS1_16scan_by_key_implILNS1_25lookback_scan_determinismE0ELb1ES3_N6thrust23THRUST_200600_302600_NS6detail15normal_iteratorINS9_10device_ptrIsEEEESE_SE_sNS9_10multipliesIsEENS9_8equal_toIsEEsEE10hipError_tPvRmT2_T3_T4_T5_mT6_T7_P12ihipStream_tbENKUlT_T0_E_clISt17integral_constantIbLb0EESY_IbLb1EEEEDaSU_SV_EUlSU_E_NS1_11comp_targetILNS1_3genE9ELNS1_11target_archE1100ELNS1_3gpuE3ELNS1_3repE0EEENS1_30default_config_static_selectorELNS0_4arch9wavefront6targetE0EEEvT1_.numbered_sgpr, 0
	.set _ZN7rocprim17ROCPRIM_400000_NS6detail17trampoline_kernelINS0_14default_configENS1_27scan_by_key_config_selectorIssEEZZNS1_16scan_by_key_implILNS1_25lookback_scan_determinismE0ELb1ES3_N6thrust23THRUST_200600_302600_NS6detail15normal_iteratorINS9_10device_ptrIsEEEESE_SE_sNS9_10multipliesIsEENS9_8equal_toIsEEsEE10hipError_tPvRmT2_T3_T4_T5_mT6_T7_P12ihipStream_tbENKUlT_T0_E_clISt17integral_constantIbLb0EESY_IbLb1EEEEDaSU_SV_EUlSU_E_NS1_11comp_targetILNS1_3genE9ELNS1_11target_archE1100ELNS1_3gpuE3ELNS1_3repE0EEENS1_30default_config_static_selectorELNS0_4arch9wavefront6targetE0EEEvT1_.num_named_barrier, 0
	.set _ZN7rocprim17ROCPRIM_400000_NS6detail17trampoline_kernelINS0_14default_configENS1_27scan_by_key_config_selectorIssEEZZNS1_16scan_by_key_implILNS1_25lookback_scan_determinismE0ELb1ES3_N6thrust23THRUST_200600_302600_NS6detail15normal_iteratorINS9_10device_ptrIsEEEESE_SE_sNS9_10multipliesIsEENS9_8equal_toIsEEsEE10hipError_tPvRmT2_T3_T4_T5_mT6_T7_P12ihipStream_tbENKUlT_T0_E_clISt17integral_constantIbLb0EESY_IbLb1EEEEDaSU_SV_EUlSU_E_NS1_11comp_targetILNS1_3genE9ELNS1_11target_archE1100ELNS1_3gpuE3ELNS1_3repE0EEENS1_30default_config_static_selectorELNS0_4arch9wavefront6targetE0EEEvT1_.private_seg_size, 0
	.set _ZN7rocprim17ROCPRIM_400000_NS6detail17trampoline_kernelINS0_14default_configENS1_27scan_by_key_config_selectorIssEEZZNS1_16scan_by_key_implILNS1_25lookback_scan_determinismE0ELb1ES3_N6thrust23THRUST_200600_302600_NS6detail15normal_iteratorINS9_10device_ptrIsEEEESE_SE_sNS9_10multipliesIsEENS9_8equal_toIsEEsEE10hipError_tPvRmT2_T3_T4_T5_mT6_T7_P12ihipStream_tbENKUlT_T0_E_clISt17integral_constantIbLb0EESY_IbLb1EEEEDaSU_SV_EUlSU_E_NS1_11comp_targetILNS1_3genE9ELNS1_11target_archE1100ELNS1_3gpuE3ELNS1_3repE0EEENS1_30default_config_static_selectorELNS0_4arch9wavefront6targetE0EEEvT1_.uses_vcc, 0
	.set _ZN7rocprim17ROCPRIM_400000_NS6detail17trampoline_kernelINS0_14default_configENS1_27scan_by_key_config_selectorIssEEZZNS1_16scan_by_key_implILNS1_25lookback_scan_determinismE0ELb1ES3_N6thrust23THRUST_200600_302600_NS6detail15normal_iteratorINS9_10device_ptrIsEEEESE_SE_sNS9_10multipliesIsEENS9_8equal_toIsEEsEE10hipError_tPvRmT2_T3_T4_T5_mT6_T7_P12ihipStream_tbENKUlT_T0_E_clISt17integral_constantIbLb0EESY_IbLb1EEEEDaSU_SV_EUlSU_E_NS1_11comp_targetILNS1_3genE9ELNS1_11target_archE1100ELNS1_3gpuE3ELNS1_3repE0EEENS1_30default_config_static_selectorELNS0_4arch9wavefront6targetE0EEEvT1_.uses_flat_scratch, 0
	.set _ZN7rocprim17ROCPRIM_400000_NS6detail17trampoline_kernelINS0_14default_configENS1_27scan_by_key_config_selectorIssEEZZNS1_16scan_by_key_implILNS1_25lookback_scan_determinismE0ELb1ES3_N6thrust23THRUST_200600_302600_NS6detail15normal_iteratorINS9_10device_ptrIsEEEESE_SE_sNS9_10multipliesIsEENS9_8equal_toIsEEsEE10hipError_tPvRmT2_T3_T4_T5_mT6_T7_P12ihipStream_tbENKUlT_T0_E_clISt17integral_constantIbLb0EESY_IbLb1EEEEDaSU_SV_EUlSU_E_NS1_11comp_targetILNS1_3genE9ELNS1_11target_archE1100ELNS1_3gpuE3ELNS1_3repE0EEENS1_30default_config_static_selectorELNS0_4arch9wavefront6targetE0EEEvT1_.has_dyn_sized_stack, 0
	.set _ZN7rocprim17ROCPRIM_400000_NS6detail17trampoline_kernelINS0_14default_configENS1_27scan_by_key_config_selectorIssEEZZNS1_16scan_by_key_implILNS1_25lookback_scan_determinismE0ELb1ES3_N6thrust23THRUST_200600_302600_NS6detail15normal_iteratorINS9_10device_ptrIsEEEESE_SE_sNS9_10multipliesIsEENS9_8equal_toIsEEsEE10hipError_tPvRmT2_T3_T4_T5_mT6_T7_P12ihipStream_tbENKUlT_T0_E_clISt17integral_constantIbLb0EESY_IbLb1EEEEDaSU_SV_EUlSU_E_NS1_11comp_targetILNS1_3genE9ELNS1_11target_archE1100ELNS1_3gpuE3ELNS1_3repE0EEENS1_30default_config_static_selectorELNS0_4arch9wavefront6targetE0EEEvT1_.has_recursion, 0
	.set _ZN7rocprim17ROCPRIM_400000_NS6detail17trampoline_kernelINS0_14default_configENS1_27scan_by_key_config_selectorIssEEZZNS1_16scan_by_key_implILNS1_25lookback_scan_determinismE0ELb1ES3_N6thrust23THRUST_200600_302600_NS6detail15normal_iteratorINS9_10device_ptrIsEEEESE_SE_sNS9_10multipliesIsEENS9_8equal_toIsEEsEE10hipError_tPvRmT2_T3_T4_T5_mT6_T7_P12ihipStream_tbENKUlT_T0_E_clISt17integral_constantIbLb0EESY_IbLb1EEEEDaSU_SV_EUlSU_E_NS1_11comp_targetILNS1_3genE9ELNS1_11target_archE1100ELNS1_3gpuE3ELNS1_3repE0EEENS1_30default_config_static_selectorELNS0_4arch9wavefront6targetE0EEEvT1_.has_indirect_call, 0
	.section	.AMDGPU.csdata,"",@progbits
; Kernel info:
; codeLenInByte = 0
; TotalNumSgprs: 0
; NumVgprs: 0
; ScratchSize: 0
; MemoryBound: 0
; FloatMode: 240
; IeeeMode: 1
; LDSByteSize: 0 bytes/workgroup (compile time only)
; SGPRBlocks: 0
; VGPRBlocks: 0
; NumSGPRsForWavesPerEU: 1
; NumVGPRsForWavesPerEU: 1
; NamedBarCnt: 0
; Occupancy: 16
; WaveLimiterHint : 0
; COMPUTE_PGM_RSRC2:SCRATCH_EN: 0
; COMPUTE_PGM_RSRC2:USER_SGPR: 2
; COMPUTE_PGM_RSRC2:TRAP_HANDLER: 0
; COMPUTE_PGM_RSRC2:TGID_X_EN: 1
; COMPUTE_PGM_RSRC2:TGID_Y_EN: 0
; COMPUTE_PGM_RSRC2:TGID_Z_EN: 0
; COMPUTE_PGM_RSRC2:TIDIG_COMP_CNT: 0
	.section	.text._ZN7rocprim17ROCPRIM_400000_NS6detail17trampoline_kernelINS0_14default_configENS1_27scan_by_key_config_selectorIssEEZZNS1_16scan_by_key_implILNS1_25lookback_scan_determinismE0ELb1ES3_N6thrust23THRUST_200600_302600_NS6detail15normal_iteratorINS9_10device_ptrIsEEEESE_SE_sNS9_10multipliesIsEENS9_8equal_toIsEEsEE10hipError_tPvRmT2_T3_T4_T5_mT6_T7_P12ihipStream_tbENKUlT_T0_E_clISt17integral_constantIbLb0EESY_IbLb1EEEEDaSU_SV_EUlSU_E_NS1_11comp_targetILNS1_3genE8ELNS1_11target_archE1030ELNS1_3gpuE2ELNS1_3repE0EEENS1_30default_config_static_selectorELNS0_4arch9wavefront6targetE0EEEvT1_,"axG",@progbits,_ZN7rocprim17ROCPRIM_400000_NS6detail17trampoline_kernelINS0_14default_configENS1_27scan_by_key_config_selectorIssEEZZNS1_16scan_by_key_implILNS1_25lookback_scan_determinismE0ELb1ES3_N6thrust23THRUST_200600_302600_NS6detail15normal_iteratorINS9_10device_ptrIsEEEESE_SE_sNS9_10multipliesIsEENS9_8equal_toIsEEsEE10hipError_tPvRmT2_T3_T4_T5_mT6_T7_P12ihipStream_tbENKUlT_T0_E_clISt17integral_constantIbLb0EESY_IbLb1EEEEDaSU_SV_EUlSU_E_NS1_11comp_targetILNS1_3genE8ELNS1_11target_archE1030ELNS1_3gpuE2ELNS1_3repE0EEENS1_30default_config_static_selectorELNS0_4arch9wavefront6targetE0EEEvT1_,comdat
	.protected	_ZN7rocprim17ROCPRIM_400000_NS6detail17trampoline_kernelINS0_14default_configENS1_27scan_by_key_config_selectorIssEEZZNS1_16scan_by_key_implILNS1_25lookback_scan_determinismE0ELb1ES3_N6thrust23THRUST_200600_302600_NS6detail15normal_iteratorINS9_10device_ptrIsEEEESE_SE_sNS9_10multipliesIsEENS9_8equal_toIsEEsEE10hipError_tPvRmT2_T3_T4_T5_mT6_T7_P12ihipStream_tbENKUlT_T0_E_clISt17integral_constantIbLb0EESY_IbLb1EEEEDaSU_SV_EUlSU_E_NS1_11comp_targetILNS1_3genE8ELNS1_11target_archE1030ELNS1_3gpuE2ELNS1_3repE0EEENS1_30default_config_static_selectorELNS0_4arch9wavefront6targetE0EEEvT1_ ; -- Begin function _ZN7rocprim17ROCPRIM_400000_NS6detail17trampoline_kernelINS0_14default_configENS1_27scan_by_key_config_selectorIssEEZZNS1_16scan_by_key_implILNS1_25lookback_scan_determinismE0ELb1ES3_N6thrust23THRUST_200600_302600_NS6detail15normal_iteratorINS9_10device_ptrIsEEEESE_SE_sNS9_10multipliesIsEENS9_8equal_toIsEEsEE10hipError_tPvRmT2_T3_T4_T5_mT6_T7_P12ihipStream_tbENKUlT_T0_E_clISt17integral_constantIbLb0EESY_IbLb1EEEEDaSU_SV_EUlSU_E_NS1_11comp_targetILNS1_3genE8ELNS1_11target_archE1030ELNS1_3gpuE2ELNS1_3repE0EEENS1_30default_config_static_selectorELNS0_4arch9wavefront6targetE0EEEvT1_
	.globl	_ZN7rocprim17ROCPRIM_400000_NS6detail17trampoline_kernelINS0_14default_configENS1_27scan_by_key_config_selectorIssEEZZNS1_16scan_by_key_implILNS1_25lookback_scan_determinismE0ELb1ES3_N6thrust23THRUST_200600_302600_NS6detail15normal_iteratorINS9_10device_ptrIsEEEESE_SE_sNS9_10multipliesIsEENS9_8equal_toIsEEsEE10hipError_tPvRmT2_T3_T4_T5_mT6_T7_P12ihipStream_tbENKUlT_T0_E_clISt17integral_constantIbLb0EESY_IbLb1EEEEDaSU_SV_EUlSU_E_NS1_11comp_targetILNS1_3genE8ELNS1_11target_archE1030ELNS1_3gpuE2ELNS1_3repE0EEENS1_30default_config_static_selectorELNS0_4arch9wavefront6targetE0EEEvT1_
	.p2align	8
	.type	_ZN7rocprim17ROCPRIM_400000_NS6detail17trampoline_kernelINS0_14default_configENS1_27scan_by_key_config_selectorIssEEZZNS1_16scan_by_key_implILNS1_25lookback_scan_determinismE0ELb1ES3_N6thrust23THRUST_200600_302600_NS6detail15normal_iteratorINS9_10device_ptrIsEEEESE_SE_sNS9_10multipliesIsEENS9_8equal_toIsEEsEE10hipError_tPvRmT2_T3_T4_T5_mT6_T7_P12ihipStream_tbENKUlT_T0_E_clISt17integral_constantIbLb0EESY_IbLb1EEEEDaSU_SV_EUlSU_E_NS1_11comp_targetILNS1_3genE8ELNS1_11target_archE1030ELNS1_3gpuE2ELNS1_3repE0EEENS1_30default_config_static_selectorELNS0_4arch9wavefront6targetE0EEEvT1_,@function
_ZN7rocprim17ROCPRIM_400000_NS6detail17trampoline_kernelINS0_14default_configENS1_27scan_by_key_config_selectorIssEEZZNS1_16scan_by_key_implILNS1_25lookback_scan_determinismE0ELb1ES3_N6thrust23THRUST_200600_302600_NS6detail15normal_iteratorINS9_10device_ptrIsEEEESE_SE_sNS9_10multipliesIsEENS9_8equal_toIsEEsEE10hipError_tPvRmT2_T3_T4_T5_mT6_T7_P12ihipStream_tbENKUlT_T0_E_clISt17integral_constantIbLb0EESY_IbLb1EEEEDaSU_SV_EUlSU_E_NS1_11comp_targetILNS1_3genE8ELNS1_11target_archE1030ELNS1_3gpuE2ELNS1_3repE0EEENS1_30default_config_static_selectorELNS0_4arch9wavefront6targetE0EEEvT1_: ; @_ZN7rocprim17ROCPRIM_400000_NS6detail17trampoline_kernelINS0_14default_configENS1_27scan_by_key_config_selectorIssEEZZNS1_16scan_by_key_implILNS1_25lookback_scan_determinismE0ELb1ES3_N6thrust23THRUST_200600_302600_NS6detail15normal_iteratorINS9_10device_ptrIsEEEESE_SE_sNS9_10multipliesIsEENS9_8equal_toIsEEsEE10hipError_tPvRmT2_T3_T4_T5_mT6_T7_P12ihipStream_tbENKUlT_T0_E_clISt17integral_constantIbLb0EESY_IbLb1EEEEDaSU_SV_EUlSU_E_NS1_11comp_targetILNS1_3genE8ELNS1_11target_archE1030ELNS1_3gpuE2ELNS1_3repE0EEENS1_30default_config_static_selectorELNS0_4arch9wavefront6targetE0EEEvT1_
; %bb.0:
	.section	.rodata,"a",@progbits
	.p2align	6, 0x0
	.amdhsa_kernel _ZN7rocprim17ROCPRIM_400000_NS6detail17trampoline_kernelINS0_14default_configENS1_27scan_by_key_config_selectorIssEEZZNS1_16scan_by_key_implILNS1_25lookback_scan_determinismE0ELb1ES3_N6thrust23THRUST_200600_302600_NS6detail15normal_iteratorINS9_10device_ptrIsEEEESE_SE_sNS9_10multipliesIsEENS9_8equal_toIsEEsEE10hipError_tPvRmT2_T3_T4_T5_mT6_T7_P12ihipStream_tbENKUlT_T0_E_clISt17integral_constantIbLb0EESY_IbLb1EEEEDaSU_SV_EUlSU_E_NS1_11comp_targetILNS1_3genE8ELNS1_11target_archE1030ELNS1_3gpuE2ELNS1_3repE0EEENS1_30default_config_static_selectorELNS0_4arch9wavefront6targetE0EEEvT1_
		.amdhsa_group_segment_fixed_size 0
		.amdhsa_private_segment_fixed_size 0
		.amdhsa_kernarg_size 112
		.amdhsa_user_sgpr_count 2
		.amdhsa_user_sgpr_dispatch_ptr 0
		.amdhsa_user_sgpr_queue_ptr 0
		.amdhsa_user_sgpr_kernarg_segment_ptr 1
		.amdhsa_user_sgpr_dispatch_id 0
		.amdhsa_user_sgpr_kernarg_preload_length 0
		.amdhsa_user_sgpr_kernarg_preload_offset 0
		.amdhsa_user_sgpr_private_segment_size 0
		.amdhsa_wavefront_size32 1
		.amdhsa_uses_dynamic_stack 0
		.amdhsa_enable_private_segment 0
		.amdhsa_system_sgpr_workgroup_id_x 1
		.amdhsa_system_sgpr_workgroup_id_y 0
		.amdhsa_system_sgpr_workgroup_id_z 0
		.amdhsa_system_sgpr_workgroup_info 0
		.amdhsa_system_vgpr_workitem_id 0
		.amdhsa_next_free_vgpr 1
		.amdhsa_next_free_sgpr 1
		.amdhsa_named_barrier_count 0
		.amdhsa_reserve_vcc 0
		.amdhsa_float_round_mode_32 0
		.amdhsa_float_round_mode_16_64 0
		.amdhsa_float_denorm_mode_32 3
		.amdhsa_float_denorm_mode_16_64 3
		.amdhsa_fp16_overflow 0
		.amdhsa_memory_ordered 1
		.amdhsa_forward_progress 1
		.amdhsa_inst_pref_size 0
		.amdhsa_round_robin_scheduling 0
		.amdhsa_exception_fp_ieee_invalid_op 0
		.amdhsa_exception_fp_denorm_src 0
		.amdhsa_exception_fp_ieee_div_zero 0
		.amdhsa_exception_fp_ieee_overflow 0
		.amdhsa_exception_fp_ieee_underflow 0
		.amdhsa_exception_fp_ieee_inexact 0
		.amdhsa_exception_int_div_zero 0
	.end_amdhsa_kernel
	.section	.text._ZN7rocprim17ROCPRIM_400000_NS6detail17trampoline_kernelINS0_14default_configENS1_27scan_by_key_config_selectorIssEEZZNS1_16scan_by_key_implILNS1_25lookback_scan_determinismE0ELb1ES3_N6thrust23THRUST_200600_302600_NS6detail15normal_iteratorINS9_10device_ptrIsEEEESE_SE_sNS9_10multipliesIsEENS9_8equal_toIsEEsEE10hipError_tPvRmT2_T3_T4_T5_mT6_T7_P12ihipStream_tbENKUlT_T0_E_clISt17integral_constantIbLb0EESY_IbLb1EEEEDaSU_SV_EUlSU_E_NS1_11comp_targetILNS1_3genE8ELNS1_11target_archE1030ELNS1_3gpuE2ELNS1_3repE0EEENS1_30default_config_static_selectorELNS0_4arch9wavefront6targetE0EEEvT1_,"axG",@progbits,_ZN7rocprim17ROCPRIM_400000_NS6detail17trampoline_kernelINS0_14default_configENS1_27scan_by_key_config_selectorIssEEZZNS1_16scan_by_key_implILNS1_25lookback_scan_determinismE0ELb1ES3_N6thrust23THRUST_200600_302600_NS6detail15normal_iteratorINS9_10device_ptrIsEEEESE_SE_sNS9_10multipliesIsEENS9_8equal_toIsEEsEE10hipError_tPvRmT2_T3_T4_T5_mT6_T7_P12ihipStream_tbENKUlT_T0_E_clISt17integral_constantIbLb0EESY_IbLb1EEEEDaSU_SV_EUlSU_E_NS1_11comp_targetILNS1_3genE8ELNS1_11target_archE1030ELNS1_3gpuE2ELNS1_3repE0EEENS1_30default_config_static_selectorELNS0_4arch9wavefront6targetE0EEEvT1_,comdat
.Lfunc_end640:
	.size	_ZN7rocprim17ROCPRIM_400000_NS6detail17trampoline_kernelINS0_14default_configENS1_27scan_by_key_config_selectorIssEEZZNS1_16scan_by_key_implILNS1_25lookback_scan_determinismE0ELb1ES3_N6thrust23THRUST_200600_302600_NS6detail15normal_iteratorINS9_10device_ptrIsEEEESE_SE_sNS9_10multipliesIsEENS9_8equal_toIsEEsEE10hipError_tPvRmT2_T3_T4_T5_mT6_T7_P12ihipStream_tbENKUlT_T0_E_clISt17integral_constantIbLb0EESY_IbLb1EEEEDaSU_SV_EUlSU_E_NS1_11comp_targetILNS1_3genE8ELNS1_11target_archE1030ELNS1_3gpuE2ELNS1_3repE0EEENS1_30default_config_static_selectorELNS0_4arch9wavefront6targetE0EEEvT1_, .Lfunc_end640-_ZN7rocprim17ROCPRIM_400000_NS6detail17trampoline_kernelINS0_14default_configENS1_27scan_by_key_config_selectorIssEEZZNS1_16scan_by_key_implILNS1_25lookback_scan_determinismE0ELb1ES3_N6thrust23THRUST_200600_302600_NS6detail15normal_iteratorINS9_10device_ptrIsEEEESE_SE_sNS9_10multipliesIsEENS9_8equal_toIsEEsEE10hipError_tPvRmT2_T3_T4_T5_mT6_T7_P12ihipStream_tbENKUlT_T0_E_clISt17integral_constantIbLb0EESY_IbLb1EEEEDaSU_SV_EUlSU_E_NS1_11comp_targetILNS1_3genE8ELNS1_11target_archE1030ELNS1_3gpuE2ELNS1_3repE0EEENS1_30default_config_static_selectorELNS0_4arch9wavefront6targetE0EEEvT1_
                                        ; -- End function
	.set _ZN7rocprim17ROCPRIM_400000_NS6detail17trampoline_kernelINS0_14default_configENS1_27scan_by_key_config_selectorIssEEZZNS1_16scan_by_key_implILNS1_25lookback_scan_determinismE0ELb1ES3_N6thrust23THRUST_200600_302600_NS6detail15normal_iteratorINS9_10device_ptrIsEEEESE_SE_sNS9_10multipliesIsEENS9_8equal_toIsEEsEE10hipError_tPvRmT2_T3_T4_T5_mT6_T7_P12ihipStream_tbENKUlT_T0_E_clISt17integral_constantIbLb0EESY_IbLb1EEEEDaSU_SV_EUlSU_E_NS1_11comp_targetILNS1_3genE8ELNS1_11target_archE1030ELNS1_3gpuE2ELNS1_3repE0EEENS1_30default_config_static_selectorELNS0_4arch9wavefront6targetE0EEEvT1_.num_vgpr, 0
	.set _ZN7rocprim17ROCPRIM_400000_NS6detail17trampoline_kernelINS0_14default_configENS1_27scan_by_key_config_selectorIssEEZZNS1_16scan_by_key_implILNS1_25lookback_scan_determinismE0ELb1ES3_N6thrust23THRUST_200600_302600_NS6detail15normal_iteratorINS9_10device_ptrIsEEEESE_SE_sNS9_10multipliesIsEENS9_8equal_toIsEEsEE10hipError_tPvRmT2_T3_T4_T5_mT6_T7_P12ihipStream_tbENKUlT_T0_E_clISt17integral_constantIbLb0EESY_IbLb1EEEEDaSU_SV_EUlSU_E_NS1_11comp_targetILNS1_3genE8ELNS1_11target_archE1030ELNS1_3gpuE2ELNS1_3repE0EEENS1_30default_config_static_selectorELNS0_4arch9wavefront6targetE0EEEvT1_.num_agpr, 0
	.set _ZN7rocprim17ROCPRIM_400000_NS6detail17trampoline_kernelINS0_14default_configENS1_27scan_by_key_config_selectorIssEEZZNS1_16scan_by_key_implILNS1_25lookback_scan_determinismE0ELb1ES3_N6thrust23THRUST_200600_302600_NS6detail15normal_iteratorINS9_10device_ptrIsEEEESE_SE_sNS9_10multipliesIsEENS9_8equal_toIsEEsEE10hipError_tPvRmT2_T3_T4_T5_mT6_T7_P12ihipStream_tbENKUlT_T0_E_clISt17integral_constantIbLb0EESY_IbLb1EEEEDaSU_SV_EUlSU_E_NS1_11comp_targetILNS1_3genE8ELNS1_11target_archE1030ELNS1_3gpuE2ELNS1_3repE0EEENS1_30default_config_static_selectorELNS0_4arch9wavefront6targetE0EEEvT1_.numbered_sgpr, 0
	.set _ZN7rocprim17ROCPRIM_400000_NS6detail17trampoline_kernelINS0_14default_configENS1_27scan_by_key_config_selectorIssEEZZNS1_16scan_by_key_implILNS1_25lookback_scan_determinismE0ELb1ES3_N6thrust23THRUST_200600_302600_NS6detail15normal_iteratorINS9_10device_ptrIsEEEESE_SE_sNS9_10multipliesIsEENS9_8equal_toIsEEsEE10hipError_tPvRmT2_T3_T4_T5_mT6_T7_P12ihipStream_tbENKUlT_T0_E_clISt17integral_constantIbLb0EESY_IbLb1EEEEDaSU_SV_EUlSU_E_NS1_11comp_targetILNS1_3genE8ELNS1_11target_archE1030ELNS1_3gpuE2ELNS1_3repE0EEENS1_30default_config_static_selectorELNS0_4arch9wavefront6targetE0EEEvT1_.num_named_barrier, 0
	.set _ZN7rocprim17ROCPRIM_400000_NS6detail17trampoline_kernelINS0_14default_configENS1_27scan_by_key_config_selectorIssEEZZNS1_16scan_by_key_implILNS1_25lookback_scan_determinismE0ELb1ES3_N6thrust23THRUST_200600_302600_NS6detail15normal_iteratorINS9_10device_ptrIsEEEESE_SE_sNS9_10multipliesIsEENS9_8equal_toIsEEsEE10hipError_tPvRmT2_T3_T4_T5_mT6_T7_P12ihipStream_tbENKUlT_T0_E_clISt17integral_constantIbLb0EESY_IbLb1EEEEDaSU_SV_EUlSU_E_NS1_11comp_targetILNS1_3genE8ELNS1_11target_archE1030ELNS1_3gpuE2ELNS1_3repE0EEENS1_30default_config_static_selectorELNS0_4arch9wavefront6targetE0EEEvT1_.private_seg_size, 0
	.set _ZN7rocprim17ROCPRIM_400000_NS6detail17trampoline_kernelINS0_14default_configENS1_27scan_by_key_config_selectorIssEEZZNS1_16scan_by_key_implILNS1_25lookback_scan_determinismE0ELb1ES3_N6thrust23THRUST_200600_302600_NS6detail15normal_iteratorINS9_10device_ptrIsEEEESE_SE_sNS9_10multipliesIsEENS9_8equal_toIsEEsEE10hipError_tPvRmT2_T3_T4_T5_mT6_T7_P12ihipStream_tbENKUlT_T0_E_clISt17integral_constantIbLb0EESY_IbLb1EEEEDaSU_SV_EUlSU_E_NS1_11comp_targetILNS1_3genE8ELNS1_11target_archE1030ELNS1_3gpuE2ELNS1_3repE0EEENS1_30default_config_static_selectorELNS0_4arch9wavefront6targetE0EEEvT1_.uses_vcc, 0
	.set _ZN7rocprim17ROCPRIM_400000_NS6detail17trampoline_kernelINS0_14default_configENS1_27scan_by_key_config_selectorIssEEZZNS1_16scan_by_key_implILNS1_25lookback_scan_determinismE0ELb1ES3_N6thrust23THRUST_200600_302600_NS6detail15normal_iteratorINS9_10device_ptrIsEEEESE_SE_sNS9_10multipliesIsEENS9_8equal_toIsEEsEE10hipError_tPvRmT2_T3_T4_T5_mT6_T7_P12ihipStream_tbENKUlT_T0_E_clISt17integral_constantIbLb0EESY_IbLb1EEEEDaSU_SV_EUlSU_E_NS1_11comp_targetILNS1_3genE8ELNS1_11target_archE1030ELNS1_3gpuE2ELNS1_3repE0EEENS1_30default_config_static_selectorELNS0_4arch9wavefront6targetE0EEEvT1_.uses_flat_scratch, 0
	.set _ZN7rocprim17ROCPRIM_400000_NS6detail17trampoline_kernelINS0_14default_configENS1_27scan_by_key_config_selectorIssEEZZNS1_16scan_by_key_implILNS1_25lookback_scan_determinismE0ELb1ES3_N6thrust23THRUST_200600_302600_NS6detail15normal_iteratorINS9_10device_ptrIsEEEESE_SE_sNS9_10multipliesIsEENS9_8equal_toIsEEsEE10hipError_tPvRmT2_T3_T4_T5_mT6_T7_P12ihipStream_tbENKUlT_T0_E_clISt17integral_constantIbLb0EESY_IbLb1EEEEDaSU_SV_EUlSU_E_NS1_11comp_targetILNS1_3genE8ELNS1_11target_archE1030ELNS1_3gpuE2ELNS1_3repE0EEENS1_30default_config_static_selectorELNS0_4arch9wavefront6targetE0EEEvT1_.has_dyn_sized_stack, 0
	.set _ZN7rocprim17ROCPRIM_400000_NS6detail17trampoline_kernelINS0_14default_configENS1_27scan_by_key_config_selectorIssEEZZNS1_16scan_by_key_implILNS1_25lookback_scan_determinismE0ELb1ES3_N6thrust23THRUST_200600_302600_NS6detail15normal_iteratorINS9_10device_ptrIsEEEESE_SE_sNS9_10multipliesIsEENS9_8equal_toIsEEsEE10hipError_tPvRmT2_T3_T4_T5_mT6_T7_P12ihipStream_tbENKUlT_T0_E_clISt17integral_constantIbLb0EESY_IbLb1EEEEDaSU_SV_EUlSU_E_NS1_11comp_targetILNS1_3genE8ELNS1_11target_archE1030ELNS1_3gpuE2ELNS1_3repE0EEENS1_30default_config_static_selectorELNS0_4arch9wavefront6targetE0EEEvT1_.has_recursion, 0
	.set _ZN7rocprim17ROCPRIM_400000_NS6detail17trampoline_kernelINS0_14default_configENS1_27scan_by_key_config_selectorIssEEZZNS1_16scan_by_key_implILNS1_25lookback_scan_determinismE0ELb1ES3_N6thrust23THRUST_200600_302600_NS6detail15normal_iteratorINS9_10device_ptrIsEEEESE_SE_sNS9_10multipliesIsEENS9_8equal_toIsEEsEE10hipError_tPvRmT2_T3_T4_T5_mT6_T7_P12ihipStream_tbENKUlT_T0_E_clISt17integral_constantIbLb0EESY_IbLb1EEEEDaSU_SV_EUlSU_E_NS1_11comp_targetILNS1_3genE8ELNS1_11target_archE1030ELNS1_3gpuE2ELNS1_3repE0EEENS1_30default_config_static_selectorELNS0_4arch9wavefront6targetE0EEEvT1_.has_indirect_call, 0
	.section	.AMDGPU.csdata,"",@progbits
; Kernel info:
; codeLenInByte = 0
; TotalNumSgprs: 0
; NumVgprs: 0
; ScratchSize: 0
; MemoryBound: 0
; FloatMode: 240
; IeeeMode: 1
; LDSByteSize: 0 bytes/workgroup (compile time only)
; SGPRBlocks: 0
; VGPRBlocks: 0
; NumSGPRsForWavesPerEU: 1
; NumVGPRsForWavesPerEU: 1
; NamedBarCnt: 0
; Occupancy: 16
; WaveLimiterHint : 0
; COMPUTE_PGM_RSRC2:SCRATCH_EN: 0
; COMPUTE_PGM_RSRC2:USER_SGPR: 2
; COMPUTE_PGM_RSRC2:TRAP_HANDLER: 0
; COMPUTE_PGM_RSRC2:TGID_X_EN: 1
; COMPUTE_PGM_RSRC2:TGID_Y_EN: 0
; COMPUTE_PGM_RSRC2:TGID_Z_EN: 0
; COMPUTE_PGM_RSRC2:TIDIG_COMP_CNT: 0
	.section	.text._ZN7rocprim17ROCPRIM_400000_NS6detail17trampoline_kernelINS0_14default_configENS1_27scan_by_key_config_selectorIssEEZZNS1_16scan_by_key_implILNS1_25lookback_scan_determinismE0ELb1ES3_N6thrust23THRUST_200600_302600_NS6detail15normal_iteratorINS9_10device_ptrIsEEEESE_SE_sNS9_4plusIvEENS9_8equal_toIsEEsEE10hipError_tPvRmT2_T3_T4_T5_mT6_T7_P12ihipStream_tbENKUlT_T0_E_clISt17integral_constantIbLb0EESZ_EEDaSU_SV_EUlSU_E_NS1_11comp_targetILNS1_3genE0ELNS1_11target_archE4294967295ELNS1_3gpuE0ELNS1_3repE0EEENS1_30default_config_static_selectorELNS0_4arch9wavefront6targetE0EEEvT1_,"axG",@progbits,_ZN7rocprim17ROCPRIM_400000_NS6detail17trampoline_kernelINS0_14default_configENS1_27scan_by_key_config_selectorIssEEZZNS1_16scan_by_key_implILNS1_25lookback_scan_determinismE0ELb1ES3_N6thrust23THRUST_200600_302600_NS6detail15normal_iteratorINS9_10device_ptrIsEEEESE_SE_sNS9_4plusIvEENS9_8equal_toIsEEsEE10hipError_tPvRmT2_T3_T4_T5_mT6_T7_P12ihipStream_tbENKUlT_T0_E_clISt17integral_constantIbLb0EESZ_EEDaSU_SV_EUlSU_E_NS1_11comp_targetILNS1_3genE0ELNS1_11target_archE4294967295ELNS1_3gpuE0ELNS1_3repE0EEENS1_30default_config_static_selectorELNS0_4arch9wavefront6targetE0EEEvT1_,comdat
	.protected	_ZN7rocprim17ROCPRIM_400000_NS6detail17trampoline_kernelINS0_14default_configENS1_27scan_by_key_config_selectorIssEEZZNS1_16scan_by_key_implILNS1_25lookback_scan_determinismE0ELb1ES3_N6thrust23THRUST_200600_302600_NS6detail15normal_iteratorINS9_10device_ptrIsEEEESE_SE_sNS9_4plusIvEENS9_8equal_toIsEEsEE10hipError_tPvRmT2_T3_T4_T5_mT6_T7_P12ihipStream_tbENKUlT_T0_E_clISt17integral_constantIbLb0EESZ_EEDaSU_SV_EUlSU_E_NS1_11comp_targetILNS1_3genE0ELNS1_11target_archE4294967295ELNS1_3gpuE0ELNS1_3repE0EEENS1_30default_config_static_selectorELNS0_4arch9wavefront6targetE0EEEvT1_ ; -- Begin function _ZN7rocprim17ROCPRIM_400000_NS6detail17trampoline_kernelINS0_14default_configENS1_27scan_by_key_config_selectorIssEEZZNS1_16scan_by_key_implILNS1_25lookback_scan_determinismE0ELb1ES3_N6thrust23THRUST_200600_302600_NS6detail15normal_iteratorINS9_10device_ptrIsEEEESE_SE_sNS9_4plusIvEENS9_8equal_toIsEEsEE10hipError_tPvRmT2_T3_T4_T5_mT6_T7_P12ihipStream_tbENKUlT_T0_E_clISt17integral_constantIbLb0EESZ_EEDaSU_SV_EUlSU_E_NS1_11comp_targetILNS1_3genE0ELNS1_11target_archE4294967295ELNS1_3gpuE0ELNS1_3repE0EEENS1_30default_config_static_selectorELNS0_4arch9wavefront6targetE0EEEvT1_
	.globl	_ZN7rocprim17ROCPRIM_400000_NS6detail17trampoline_kernelINS0_14default_configENS1_27scan_by_key_config_selectorIssEEZZNS1_16scan_by_key_implILNS1_25lookback_scan_determinismE0ELb1ES3_N6thrust23THRUST_200600_302600_NS6detail15normal_iteratorINS9_10device_ptrIsEEEESE_SE_sNS9_4plusIvEENS9_8equal_toIsEEsEE10hipError_tPvRmT2_T3_T4_T5_mT6_T7_P12ihipStream_tbENKUlT_T0_E_clISt17integral_constantIbLb0EESZ_EEDaSU_SV_EUlSU_E_NS1_11comp_targetILNS1_3genE0ELNS1_11target_archE4294967295ELNS1_3gpuE0ELNS1_3repE0EEENS1_30default_config_static_selectorELNS0_4arch9wavefront6targetE0EEEvT1_
	.p2align	8
	.type	_ZN7rocprim17ROCPRIM_400000_NS6detail17trampoline_kernelINS0_14default_configENS1_27scan_by_key_config_selectorIssEEZZNS1_16scan_by_key_implILNS1_25lookback_scan_determinismE0ELb1ES3_N6thrust23THRUST_200600_302600_NS6detail15normal_iteratorINS9_10device_ptrIsEEEESE_SE_sNS9_4plusIvEENS9_8equal_toIsEEsEE10hipError_tPvRmT2_T3_T4_T5_mT6_T7_P12ihipStream_tbENKUlT_T0_E_clISt17integral_constantIbLb0EESZ_EEDaSU_SV_EUlSU_E_NS1_11comp_targetILNS1_3genE0ELNS1_11target_archE4294967295ELNS1_3gpuE0ELNS1_3repE0EEENS1_30default_config_static_selectorELNS0_4arch9wavefront6targetE0EEEvT1_,@function
_ZN7rocprim17ROCPRIM_400000_NS6detail17trampoline_kernelINS0_14default_configENS1_27scan_by_key_config_selectorIssEEZZNS1_16scan_by_key_implILNS1_25lookback_scan_determinismE0ELb1ES3_N6thrust23THRUST_200600_302600_NS6detail15normal_iteratorINS9_10device_ptrIsEEEESE_SE_sNS9_4plusIvEENS9_8equal_toIsEEsEE10hipError_tPvRmT2_T3_T4_T5_mT6_T7_P12ihipStream_tbENKUlT_T0_E_clISt17integral_constantIbLb0EESZ_EEDaSU_SV_EUlSU_E_NS1_11comp_targetILNS1_3genE0ELNS1_11target_archE4294967295ELNS1_3gpuE0ELNS1_3repE0EEENS1_30default_config_static_selectorELNS0_4arch9wavefront6targetE0EEEvT1_: ; @_ZN7rocprim17ROCPRIM_400000_NS6detail17trampoline_kernelINS0_14default_configENS1_27scan_by_key_config_selectorIssEEZZNS1_16scan_by_key_implILNS1_25lookback_scan_determinismE0ELb1ES3_N6thrust23THRUST_200600_302600_NS6detail15normal_iteratorINS9_10device_ptrIsEEEESE_SE_sNS9_4plusIvEENS9_8equal_toIsEEsEE10hipError_tPvRmT2_T3_T4_T5_mT6_T7_P12ihipStream_tbENKUlT_T0_E_clISt17integral_constantIbLb0EESZ_EEDaSU_SV_EUlSU_E_NS1_11comp_targetILNS1_3genE0ELNS1_11target_archE4294967295ELNS1_3gpuE0ELNS1_3repE0EEENS1_30default_config_static_selectorELNS0_4arch9wavefront6targetE0EEEvT1_
; %bb.0:
	s_clause 0x2
	s_load_b96 s[36:38], s[0:1], 0x38
	s_load_b256 s[16:23], s[0:1], 0x0
	s_load_b128 s[28:31], s[0:1], 0x48
	s_bfe_u32 s4, ttmp6, 0x4000c
	s_delay_alu instid0(SALU_CYCLE_1)
	s_add_co_i32 s4, s4, 1
	s_clause 0x1
	s_load_b32 s42, s[0:1], 0x20
	s_load_b128 s[24:27], s[0:1], 0x28
	s_and_b32 s2, ttmp6, 15
	s_wait_xcnt 0x0
	s_mul_i32 s0, ttmp9, s4
	s_getreg_b32 s5, hwreg(HW_REG_IB_STS2, 6, 4)
	s_add_co_i32 s6, s2, s0
	s_mov_b32 s3, 0
	s_barrier_signal -1
	s_mov_b32 s39, s3
	s_barrier_wait -1
	s_wait_kmcnt 0x0
	s_mov_b32 s2, s38
	s_lshl_b64 s[34:35], s[18:19], 1
	s_cmp_eq_u32 s5, 0
	s_mul_u64 s[4:5], s[36:37], s[2:3]
	s_cselect_b32 s38, ttmp9, s6
	s_add_nc_u64 s[8:9], s[28:29], -1
	s_add_nc_u64 s[4:5], s[4:5], s[38:39]
	s_mul_i32 s2, s38, 0x1400
	v_cmp_ge_u64_e64 s27, s[4:5], s[8:9]
	s_add_nc_u64 s[0:1], s[16:17], s[34:35]
	s_add_nc_u64 s[6:7], s[20:21], s[34:35]
	s_lshl_b64 s[20:21], s[2:3], 1
	s_mul_i32 s33, s8, 0xffffec00
	s_add_nc_u64 s[40:41], s[0:1], s[20:21]
	s_add_nc_u64 s[28:29], s[6:7], s[20:21]
	s_and_b32 vcc_lo, exec_lo, s27
	s_cbranch_vccz .LBB641_106
; %bb.1:
	v_mov_b32_e32 v1, 0
	s_add_co_i32 s39, s33, s26
	s_delay_alu instid0(SALU_CYCLE_1)
	v_cmp_gt_u32_e32 vcc_lo, s39, v0
	flat_load_u16 v2, v1, s[40:41]
	s_wait_loadcnt_dscnt 0x0
	v_mov_b32_e32 v3, v2
	s_and_saveexec_b32 s0, vcc_lo
	s_cbranch_execz .LBB641_3
; %bb.2:
	flat_load_u16 v3, v0, s[40:41] scale_offset
.LBB641_3:
	s_wait_xcnt 0x0
	s_or_b32 exec_lo, exec_lo, s0
	v_or_b32_e32 v1, 0x100, v0
	v_mov_b32_e32 v4, v2
	s_delay_alu instid0(VALU_DEP_2)
	v_cmp_gt_u32_e64 s0, s39, v1
	s_and_saveexec_b32 s1, s0
	s_cbranch_execz .LBB641_5
; %bb.4:
	flat_load_u16 v4, v0, s[40:41] offset:512 scale_offset
.LBB641_5:
	s_wait_xcnt 0x0
	s_or_b32 exec_lo, exec_lo, s1
	v_or_b32_e32 v1, 0x200, v0
	v_mov_b32_e32 v5, v2
	s_delay_alu instid0(VALU_DEP_2)
	v_cmp_gt_u32_e64 s1, s39, v1
	s_and_saveexec_b32 s2, s1
	s_cbranch_execz .LBB641_7
; %bb.6:
	flat_load_u16 v5, v0, s[40:41] offset:1024 scale_offset
.LBB641_7:
	;; [unrolled: 11-line block ×18, first 2 shown]
	s_wait_xcnt 0x0
	s_or_b32 exec_lo, exec_lo, s18
	v_or_b32_e32 v1, 0x1300, v0
	s_delay_alu instid0(VALU_DEP_1) | instskip(SKIP_2) | instid1(SALU_CYCLE_1)
	v_cmp_gt_u32_e64 s18, s39, v1
	v_cmp_le_u32_e64 s19, s39, v1
	s_and_saveexec_b32 s43, s19
	s_xor_b32 s19, exec_lo, s43
	s_delay_alu instid0(SALU_CYCLE_1)
	s_and_not1_saveexec_b32 s19, s19
	s_cbranch_execz .LBB641_41
; %bb.40:
	flat_load_u16 v2, v0, s[40:41] offset:9728 scale_offset
.LBB641_41:
	s_wait_xcnt 0x0
	s_or_b32 exec_lo, exec_lo, s19
	v_lshlrev_b32_e32 v1, 1, v0
	s_mov_b32 s43, exec_lo
	s_wait_loadcnt_dscnt 0x0
	ds_store_b16 v1, v3
	ds_store_b16 v1, v4 offset:512
	ds_store_b16 v1, v5 offset:1024
	;; [unrolled: 1-line block ×19, first 2 shown]
	v_mov_b32_e32 v2, 0
	s_wait_dscnt 0x0
	s_barrier_signal -1
	s_barrier_wait -1
	flat_load_u16 v50, v2, s[40:41]
	v_mad_u32_u24 v51, v0, 38, v1
	ds_load_2addr_b64 v[6:9], v51 offset1:1
	s_wait_xcnt 0x0
	ds_load_2addr_b64 v[2:5], v51 offset0:2 offset1:3
	ds_load_b64 v[14:15], v51 offset:32
	v_mad_i32_i24 v10, 0xffffffda, v0, v51
	s_wait_dscnt 0x2
	ds_store_b16 v10, v6 offset:10752
	s_wait_loadcnt_dscnt 0x0
	s_barrier_signal -1
	s_barrier_wait -1
	v_cmpx_ne_u32_e32 0xff, v0
; %bb.42:
	v_mul_i32_i24_e32 v10, 0xffffffda, v0
	s_delay_alu instid0(VALU_DEP_1)
	v_add_nc_u32_e32 v10, v51, v10
	ds_load_u16 v50, v10 offset:10754
; %bb.43:
	s_or_b32 exec_lo, exec_lo, s43
	s_wait_dscnt 0x0
	s_barrier_signal -1
	s_barrier_wait -1
                                        ; implicit-def: $vgpr10
	s_and_saveexec_b32 s19, vcc_lo
	s_cbranch_execz .LBB641_164
; %bb.44:
	flat_load_u16 v10, v0, s[28:29] scale_offset
	s_wait_xcnt 0x0
	s_or_b32 exec_lo, exec_lo, s19
                                        ; implicit-def: $vgpr11
	s_and_saveexec_b32 s19, s0
	s_cbranch_execnz .LBB641_165
.LBB641_45:
	s_or_b32 exec_lo, exec_lo, s19
                                        ; implicit-def: $vgpr12
	s_and_saveexec_b32 s0, s1
	s_cbranch_execz .LBB641_166
.LBB641_46:
	flat_load_u16 v12, v0, s[28:29] offset:1024 scale_offset
	s_wait_xcnt 0x0
	s_or_b32 exec_lo, exec_lo, s0
                                        ; implicit-def: $vgpr13
	s_and_saveexec_b32 s0, s2
	s_cbranch_execnz .LBB641_167
.LBB641_47:
	s_or_b32 exec_lo, exec_lo, s0
                                        ; implicit-def: $vgpr16
	s_and_saveexec_b32 s0, s3
	s_cbranch_execz .LBB641_168
.LBB641_48:
	flat_load_u16 v16, v0, s[28:29] offset:2048 scale_offset
	s_wait_xcnt 0x0
	s_or_b32 exec_lo, exec_lo, s0
                                        ; implicit-def: $vgpr17
	s_and_saveexec_b32 s0, s4
	s_cbranch_execnz .LBB641_169
.LBB641_49:
	s_or_b32 exec_lo, exec_lo, s0
                                        ; implicit-def: $vgpr18
	s_and_saveexec_b32 s0, s5
	s_cbranch_execz .LBB641_170
.LBB641_50:
	flat_load_u16 v18, v0, s[28:29] offset:3072 scale_offset
	s_wait_xcnt 0x0
	s_or_b32 exec_lo, exec_lo, s0
                                        ; implicit-def: $vgpr19
	s_and_saveexec_b32 s0, s6
	s_cbranch_execnz .LBB641_171
.LBB641_51:
	s_or_b32 exec_lo, exec_lo, s0
                                        ; implicit-def: $vgpr20
	s_and_saveexec_b32 s0, s7
	s_cbranch_execz .LBB641_172
.LBB641_52:
	flat_load_u16 v20, v0, s[28:29] offset:4096 scale_offset
	s_wait_xcnt 0x0
	s_or_b32 exec_lo, exec_lo, s0
                                        ; implicit-def: $vgpr21
	s_and_saveexec_b32 s0, s8
	s_cbranch_execnz .LBB641_173
.LBB641_53:
	s_or_b32 exec_lo, exec_lo, s0
                                        ; implicit-def: $vgpr22
	s_and_saveexec_b32 s0, s9
	s_cbranch_execz .LBB641_174
.LBB641_54:
	flat_load_u16 v22, v0, s[28:29] offset:5120 scale_offset
	s_wait_xcnt 0x0
	s_or_b32 exec_lo, exec_lo, s0
                                        ; implicit-def: $vgpr23
	s_and_saveexec_b32 s0, s10
	s_cbranch_execnz .LBB641_175
.LBB641_55:
	s_or_b32 exec_lo, exec_lo, s0
                                        ; implicit-def: $vgpr24
	s_and_saveexec_b32 s0, s11
	s_cbranch_execz .LBB641_176
.LBB641_56:
	flat_load_u16 v24, v0, s[28:29] offset:6144 scale_offset
	s_wait_xcnt 0x0
	s_or_b32 exec_lo, exec_lo, s0
                                        ; implicit-def: $vgpr25
	s_and_saveexec_b32 s0, s12
	s_cbranch_execnz .LBB641_177
.LBB641_57:
	s_or_b32 exec_lo, exec_lo, s0
                                        ; implicit-def: $vgpr26
	s_and_saveexec_b32 s0, s13
	s_cbranch_execz .LBB641_178
.LBB641_58:
	flat_load_u16 v26, v0, s[28:29] offset:7168 scale_offset
	s_wait_xcnt 0x0
	s_or_b32 exec_lo, exec_lo, s0
                                        ; implicit-def: $vgpr27
	s_and_saveexec_b32 s0, s14
	s_cbranch_execnz .LBB641_179
.LBB641_59:
	s_or_b32 exec_lo, exec_lo, s0
                                        ; implicit-def: $vgpr28
	s_and_saveexec_b32 s0, s15
	s_cbranch_execz .LBB641_180
.LBB641_60:
	flat_load_u16 v28, v0, s[28:29] offset:8192 scale_offset
	s_wait_xcnt 0x0
	s_or_b32 exec_lo, exec_lo, s0
                                        ; implicit-def: $vgpr29
	s_and_saveexec_b32 s0, s16
	s_cbranch_execnz .LBB641_181
.LBB641_61:
	s_or_b32 exec_lo, exec_lo, s0
                                        ; implicit-def: $vgpr30
	s_and_saveexec_b32 s0, s17
	s_cbranch_execz .LBB641_63
.LBB641_62:
	flat_load_u16 v30, v0, s[28:29] offset:9216 scale_offset
.LBB641_63:
	s_wait_xcnt 0x0
	s_or_b32 exec_lo, exec_lo, s0
	v_mul_u32_u24_e32 v54, 20, v0
                                        ; implicit-def: $vgpr31
	s_and_saveexec_b32 s0, s18
	s_cbranch_execz .LBB641_65
; %bb.64:
	flat_load_u16 v31, v0, s[28:29] offset:9728 scale_offset
.LBB641_65:
	s_wait_xcnt 0x0
	s_or_b32 exec_lo, exec_lo, s0
	s_wait_loadcnt_dscnt 0x0
	ds_store_b16 v1, v10
	ds_store_b16 v1, v11 offset:512
	ds_store_b16 v1, v12 offset:1024
	;; [unrolled: 1-line block ×19, first 2 shown]
	v_cmp_gt_u32_e32 vcc_lo, s39, v54
	v_dual_mov_b32 v31, 0 :: v_dual_mov_b32 v39, 0
	v_dual_mov_b32 v55, 0 :: v_dual_mov_b32 v47, 0
	;; [unrolled: 1-line block ×18, first 2 shown]
	v_mov_b32_e32 v1, 0
	s_mov_b32 s1, 0
	s_mov_b32 s3, 0
	s_wait_dscnt 0x0
	s_barrier_signal -1
	s_barrier_wait -1
                                        ; implicit-def: $sgpr5
                                        ; implicit-def: $vgpr44
	s_and_saveexec_b32 s2, vcc_lo
	s_cbranch_execz .LBB641_105
; %bb.66:
	ds_load_u16 v1, v51
	v_dual_mov_b32 v39, 0 :: v_dual_lshrrev_b32 v40, 16, v6
	v_dual_mov_b32 v55, 0 :: v_dual_bitop2_b32 v10, 1, v54 bitop3:0x54
	v_dual_mov_b32 v47, 0 :: v_dual_mov_b32 v53, 0
	s_delay_alu instid0(VALU_DEP_3)
	v_cmp_eq_u16_e32 vcc_lo, v6, v40
	v_dual_mov_b32 v52, 0 :: v_dual_mov_b32 v49, 0
	v_dual_mov_b32 v48, 0 :: v_dual_mov_b32 v46, 0
	;; [unrolled: 1-line block ×6, first 2 shown]
	s_wait_dscnt 0x0
	v_dual_cndmask_b32 v1, s42, v1 :: v_dual_mov_b32 v34, 0
	v_mov_b32_e32 v33, 0
	v_cmp_gt_u32_e64 s0, s39, v10
	v_cndmask_b32_e64 v18, 0x10000, 0, vcc_lo
	s_delay_alu instid0(VALU_DEP_4)
	v_and_b32_e32 v31, 0xffff, v1
	v_dual_mov_b32 v10, 0 :: v_dual_mov_b32 v32, 0
	v_dual_mov_b32 v30, 0 :: v_dual_mov_b32 v29, 0
	;; [unrolled: 1-line block ×8, first 2 shown]
	v_mov_b32_e32 v1, 0
	s_mov_b32 s4, 0
                                        ; implicit-def: $sgpr5
                                        ; implicit-def: $vgpr44
	s_and_saveexec_b32 s3, s0
	s_cbranch_execz .LBB641_104
; %bb.67:
	ds_load_b128 v[10:13], v51 offset:2
	v_cmp_eq_u16_e32 vcc_lo, v40, v7
	v_dual_mov_b32 v55, 0 :: v_dual_bitop2_b32 v1, 2, v54 bitop3:0x54
	v_dual_mov_b32 v47, 0 :: v_dual_mov_b32 v53, 0
	v_dual_mov_b32 v52, 0 :: v_dual_mov_b32 v49, 0
	;; [unrolled: 1-line block ×8, first 2 shown]
	s_wait_dscnt 0x0
	v_dual_cndmask_b32 v6, s42, v10, vcc_lo :: v_dual_mov_b32 v32, 0
	v_dual_mov_b32 v30, 0 :: v_dual_mov_b32 v29, 0
	v_cmp_gt_u32_e64 s0, s39, v1
	v_cndmask_b32_e64 v39, 0x10000, 0, vcc_lo
	s_delay_alu instid0(VALU_DEP_4)
	v_and_b32_e32 v40, 0xffff, v6
	v_dual_mov_b32 v28, 0 :: v_dual_mov_b32 v27, 0
	v_dual_mov_b32 v26, 0 :: v_dual_mov_b32 v25, 0
	;; [unrolled: 1-line block ×6, first 2 shown]
	v_mov_b32_e32 v1, 0
	s_mov_b32 s6, 0
                                        ; implicit-def: $sgpr5
                                        ; implicit-def: $vgpr44
	s_and_saveexec_b32 s4, s0
	s_cbranch_execz .LBB641_103
; %bb.68:
	v_dual_lshrrev_b32 v6, 16, v7 :: v_dual_lshrrev_b32 v1, 16, v10
	v_dual_mov_b32 v47, 0 :: v_dual_mov_b32 v53, 0
	v_dual_mov_b32 v52, 0 :: v_dual_mov_b32 v49, 0
	s_delay_alu instid0(VALU_DEP_3) | instskip(SKIP_3) | instid1(VALU_DEP_3)
	v_cmp_eq_u16_e32 vcc_lo, v7, v6
	v_dual_mov_b32 v48, 0 :: v_dual_bitop2_b32 v10, 3, v54 bitop3:0x54
	v_dual_mov_b32 v46, 0 :: v_dual_mov_b32 v45, 0
	v_dual_mov_b32 v43, 0 :: v_dual_cndmask_b32 v1, s42, v1, vcc_lo
	v_cmp_gt_u32_e64 s0, s39, v10
	v_cndmask_b32_e64 v32, 0x10000, 0, vcc_lo
	v_dual_mov_b32 v42, 0 :: v_dual_mov_b32 v41, 0
	s_delay_alu instid0(VALU_DEP_4)
	v_and_b32_e32 v10, 0xffff, v1
	v_dual_mov_b32 v38, 0 :: v_dual_mov_b32 v37, 0
	v_dual_mov_b32 v36, 0 :: v_dual_mov_b32 v35, 0
	;; [unrolled: 1-line block ×10, first 2 shown]
	v_mov_b32_e32 v1, 0
	s_mov_b32 s7, 0
                                        ; implicit-def: $sgpr5
                                        ; implicit-def: $vgpr44
	s_and_saveexec_b32 s6, s0
	s_cbranch_execz .LBB641_102
; %bb.69:
	v_cmp_eq_u16_e32 vcc_lo, v6, v8
	v_dual_mov_b32 v53, 0 :: v_dual_mov_b32 v52, 0
	v_dual_mov_b32 v49, 0 :: v_dual_mov_b32 v48, 0
	v_dual_cndmask_b32 v1, s42, v11 :: v_dual_add_nc_u32 v6, 4, v54
	v_cndmask_b32_e64 v47, 0x10000, 0, vcc_lo
	v_dual_mov_b32 v46, 0 :: v_dual_mov_b32 v45, 0
	s_delay_alu instid0(VALU_DEP_3) | instskip(NEXT) | instid1(VALU_DEP_4)
	v_and_b32_e32 v30, 0xffff, v1
	v_cmp_gt_u32_e32 vcc_lo, s39, v6
	v_dual_mov_b32 v43, 0 :: v_dual_mov_b32 v42, 0
	v_dual_mov_b32 v41, 0 :: v_dual_mov_b32 v38, 0
	;; [unrolled: 1-line block ×11, first 2 shown]
	v_mov_b32_e32 v1, 0
	s_mov_b32 s0, 0
                                        ; implicit-def: $sgpr5
                                        ; implicit-def: $vgpr44
	s_and_saveexec_b32 s7, vcc_lo
	s_cbranch_execz .LBB641_101
; %bb.70:
	v_dual_lshrrev_b32 v6, 16, v8 :: v_dual_lshrrev_b32 v1, 16, v11
	v_dual_mov_b32 v52, 0 :: v_dual_mov_b32 v49, 0
	v_dual_mov_b32 v48, 0 :: v_dual_mov_b32 v46, 0
	s_delay_alu instid0(VALU_DEP_3) | instskip(SKIP_3) | instid1(VALU_DEP_3)
	v_cmp_eq_u16_e32 vcc_lo, v8, v6
	v_dual_add_nc_u32 v7, 5, v54 :: v_dual_mov_b32 v45, 0
	v_dual_mov_b32 v43, 0 :: v_dual_mov_b32 v42, 0
	v_dual_mov_b32 v41, 0 :: v_dual_cndmask_b32 v1, s42, v1, vcc_lo
	v_cmp_gt_u32_e64 s0, s39, v7
	v_cndmask_b32_e64 v29, 0x10000, 0, vcc_lo
	v_dual_mov_b32 v38, 0 :: v_dual_mov_b32 v37, 0
	s_delay_alu instid0(VALU_DEP_4)
	v_and_b32_e32 v11, 0xffff, v1
	v_dual_mov_b32 v36, 0 :: v_dual_mov_b32 v35, 0
	v_dual_mov_b32 v34, 0 :: v_dual_mov_b32 v33, 0
	;; [unrolled: 1-line block ×8, first 2 shown]
	v_mov_b32_e32 v1, 0
	s_mov_b32 s9, 0
                                        ; implicit-def: $sgpr5
                                        ; implicit-def: $vgpr44
	s_and_saveexec_b32 s8, s0
	s_cbranch_execz .LBB641_100
; %bb.71:
	v_cmp_eq_u16_e32 vcc_lo, v6, v9
	v_dual_mov_b32 v49, 0 :: v_dual_mov_b32 v48, 0
	v_dual_mov_b32 v46, 0 :: v_dual_mov_b32 v45, 0
	v_dual_cndmask_b32 v1, s42, v12 :: v_dual_add_nc_u32 v6, 6, v54
	v_cndmask_b32_e64 v52, 0x10000, 0, vcc_lo
	v_dual_mov_b32 v43, 0 :: v_dual_mov_b32 v42, 0
	s_delay_alu instid0(VALU_DEP_3) | instskip(NEXT) | instid1(VALU_DEP_4)
	v_and_b32_e32 v28, 0xffff, v1
	v_cmp_gt_u32_e32 vcc_lo, s39, v6
	v_dual_mov_b32 v41, 0 :: v_dual_mov_b32 v38, 0
	v_dual_mov_b32 v37, 0 :: v_dual_mov_b32 v36, 0
	;; [unrolled: 1-line block ×9, first 2 shown]
	v_mov_b32_e32 v1, 0
	s_mov_b32 s0, 0
                                        ; implicit-def: $sgpr5
                                        ; implicit-def: $vgpr44
	s_and_saveexec_b32 s9, vcc_lo
	s_cbranch_execz .LBB641_99
; %bb.72:
	v_dual_lshrrev_b32 v6, 16, v9 :: v_dual_lshrrev_b32 v1, 16, v12
	v_dual_mov_b32 v48, 0 :: v_dual_mov_b32 v46, 0
	v_dual_mov_b32 v45, 0 :: v_dual_mov_b32 v43, 0
	s_delay_alu instid0(VALU_DEP_3) | instskip(SKIP_3) | instid1(VALU_DEP_3)
	v_cmp_eq_u16_e32 vcc_lo, v9, v6
	v_dual_mov_b32 v42, 0 :: v_dual_add_nc_u32 v7, 7, v54
	v_dual_mov_b32 v41, 0 :: v_dual_mov_b32 v38, 0
	v_dual_mov_b32 v37, 0 :: v_dual_cndmask_b32 v1, s42, v1, vcc_lo
	v_cmp_gt_u32_e64 s0, s39, v7
	v_cndmask_b32_e64 v27, 0x10000, 0, vcc_lo
	v_dual_mov_b32 v36, 0 :: v_dual_mov_b32 v35, 0
	s_delay_alu instid0(VALU_DEP_4)
	v_and_b32_e32 v12, 0xffff, v1
	v_dual_mov_b32 v34, 0 :: v_dual_mov_b32 v33, 0
	v_dual_mov_b32 v26, 0 :: v_dual_mov_b32 v25, 0
	;; [unrolled: 1-line block ×6, first 2 shown]
	v_mov_b32_e32 v1, 0
	s_mov_b32 s11, 0
                                        ; implicit-def: $sgpr5
                                        ; implicit-def: $vgpr44
	s_and_saveexec_b32 s10, s0
	s_cbranch_execz .LBB641_98
; %bb.73:
	v_cmp_eq_u16_e32 vcc_lo, v6, v2
	v_dual_mov_b32 v46, 0 :: v_dual_mov_b32 v45, 0
	v_dual_mov_b32 v43, 0 :: v_dual_mov_b32 v42, 0
	v_dual_cndmask_b32 v1, s42, v13 :: v_dual_add_nc_u32 v6, 8, v54
	v_cndmask_b32_e64 v48, 0x10000, 0, vcc_lo
	v_dual_mov_b32 v41, 0 :: v_dual_mov_b32 v38, 0
	s_delay_alu instid0(VALU_DEP_3) | instskip(NEXT) | instid1(VALU_DEP_4)
	v_and_b32_e32 v26, 0xffff, v1
	v_cmp_gt_u32_e32 vcc_lo, s39, v6
	v_dual_mov_b32 v37, 0 :: v_dual_mov_b32 v36, 0
	v_dual_mov_b32 v35, 0 :: v_dual_mov_b32 v34, 0
	;; [unrolled: 1-line block ×7, first 2 shown]
	v_mov_b32_e32 v1, 0
	s_mov_b32 s0, 0
                                        ; implicit-def: $sgpr5
                                        ; implicit-def: $vgpr44
	s_and_saveexec_b32 s11, vcc_lo
	s_cbranch_execz .LBB641_97
; %bb.74:
	v_dual_lshrrev_b32 v25, 16, v2 :: v_dual_lshrrev_b32 v1, 16, v13
	v_dual_mov_b32 v45, 0 :: v_dual_mov_b32 v43, 0
	v_dual_mov_b32 v42, 0 :: v_dual_mov_b32 v41, 0
	s_delay_alu instid0(VALU_DEP_3) | instskip(SKIP_3) | instid1(VALU_DEP_3)
	v_cmp_eq_u16_e32 vcc_lo, v2, v25
	v_dual_add_nc_u32 v6, 9, v54 :: v_dual_mov_b32 v38, 0
	v_dual_mov_b32 v37, 0 :: v_dual_mov_b32 v36, 0
	v_dual_mov_b32 v35, 0 :: v_dual_cndmask_b32 v1, s42, v1, vcc_lo
	v_cmp_gt_u32_e64 s0, s39, v6
	v_cndmask_b32_e64 v13, 0x10000, 0, vcc_lo
	v_dual_mov_b32 v34, 0 :: v_dual_mov_b32 v33, 0
	s_delay_alu instid0(VALU_DEP_4)
	v_and_b32_e32 v2, 0xffff, v1
	v_dual_mov_b32 v24, 0 :: v_dual_mov_b32 v23, 0
	v_dual_mov_b32 v22, 0 :: v_dual_mov_b32 v21, 0
	v_dual_mov_b32 v20, 0 :: v_dual_mov_b32 v19, 0
	v_dual_mov_b32 v17, 0 :: v_dual_mov_b32 v16, 0
	v_mov_b32_e32 v1, 0
	s_mov_b32 s13, 0
                                        ; implicit-def: $sgpr5
                                        ; implicit-def: $vgpr44
	s_and_saveexec_b32 s12, s0
	s_cbranch_execz .LBB641_96
; %bb.75:
	ds_load_b128 v[6:9], v51 offset:18
	v_cmp_eq_u16_e32 vcc_lo, v25, v3
	v_dual_mov_b32 v43, 0 :: v_dual_add_nc_u32 v1, 10, v54
	v_dual_mov_b32 v19, 0 :: v_dual_mov_b32 v42, 0
	v_dual_mov_b32 v41, 0 :: v_dual_mov_b32 v38, 0
	;; [unrolled: 1-line block ×7, first 2 shown]
	v_mov_b32_e32 v16, 0
	v_cmp_gt_u32_e64 s0, s39, v1
	s_wait_dscnt 0x0
	v_cndmask_b32_e32 v25, s42, v6, vcc_lo
	v_cndmask_b32_e64 v24, 0x10000, 0, vcc_lo
	v_mov_b32_e32 v1, 0
	s_mov_b32 s14, 0
                                        ; implicit-def: $sgpr5
                                        ; implicit-def: $vgpr44
	s_delay_alu instid0(VALU_DEP_3)
	v_and_b32_e32 v25, 0xffff, v25
	s_and_saveexec_b32 s13, s0
	s_cbranch_execz .LBB641_95
; %bb.76:
	v_dual_lshrrev_b32 v23, 16, v3 :: v_dual_lshrrev_b32 v1, 16, v6
	v_dual_mov_b32 v42, 0 :: v_dual_mov_b32 v41, 0
	v_dual_mov_b32 v38, 0 :: v_dual_mov_b32 v37, 0
	s_delay_alu instid0(VALU_DEP_3) | instskip(SKIP_3) | instid1(VALU_DEP_3)
	v_cmp_eq_u16_e32 vcc_lo, v3, v23
	v_dual_add_nc_u32 v6, 11, v54 :: v_dual_mov_b32 v36, 0
	v_dual_mov_b32 v35, 0 :: v_dual_mov_b32 v34, 0
	v_dual_mov_b32 v33, 0 :: v_dual_cndmask_b32 v1, s42, v1, vcc_lo
	v_cmp_gt_u32_e64 s0, s39, v6
	v_cndmask_b32_e64 v6, 0x10000, 0, vcc_lo
	v_dual_mov_b32 v22, 0 :: v_dual_mov_b32 v21, 0
	s_delay_alu instid0(VALU_DEP_4)
	v_and_b32_e32 v3, 0xffff, v1
	v_dual_mov_b32 v20, 0 :: v_dual_mov_b32 v19, 0
	v_dual_mov_b32 v17, 0 :: v_dual_mov_b32 v16, 0
	v_mov_b32_e32 v1, 0
	s_mov_b32 s15, 0
                                        ; implicit-def: $sgpr5
                                        ; implicit-def: $vgpr44
	s_and_saveexec_b32 s14, s0
	s_cbranch_execz .LBB641_94
; %bb.77:
	v_cmp_eq_u16_e32 vcc_lo, v23, v4
	v_dual_mov_b32 v41, 0 :: v_dual_mov_b32 v38, 0
	v_dual_mov_b32 v37, 0 :: v_dual_mov_b32 v36, 0
	v_dual_cndmask_b32 v1, s42, v7 :: v_dual_add_nc_u32 v16, 12, v54
	v_cndmask_b32_e64 v23, 0x10000, 0, vcc_lo
	v_dual_mov_b32 v35, 0 :: v_dual_mov_b32 v34, 0
	s_delay_alu instid0(VALU_DEP_3) | instskip(NEXT) | instid1(VALU_DEP_4)
	v_and_b32_e32 v22, 0xffff, v1
	v_cmp_gt_u32_e32 vcc_lo, s39, v16
	v_dual_mov_b32 v33, 0 :: v_dual_mov_b32 v21, 0
	v_dual_mov_b32 v20, 0 :: v_dual_mov_b32 v19, 0
	;; [unrolled: 1-line block ×3, first 2 shown]
	v_mov_b32_e32 v1, 0
	s_mov_b32 s0, 0
                                        ; implicit-def: $sgpr5
                                        ; implicit-def: $vgpr44
	s_and_saveexec_b32 s15, vcc_lo
	s_cbranch_execz .LBB641_93
; %bb.78:
	v_dual_lshrrev_b32 v21, 16, v4 :: v_dual_lshrrev_b32 v1, 16, v7
	v_dual_mov_b32 v38, 0 :: v_dual_mov_b32 v37, 0
	v_dual_mov_b32 v36, 0 :: v_dual_mov_b32 v35, 0
	s_delay_alu instid0(VALU_DEP_3) | instskip(SKIP_3) | instid1(VALU_DEP_3)
	v_cmp_eq_u16_e32 vcc_lo, v4, v21
	v_dual_mov_b32 v34, 0 :: v_dual_add_nc_u32 v7, 13, v54
	v_dual_mov_b32 v33, 0 :: v_dual_mov_b32 v20, 0
	v_dual_mov_b32 v19, 0 :: v_dual_cndmask_b32 v1, s42, v1, vcc_lo
	v_cmp_gt_u32_e64 s0, s39, v7
	v_cndmask_b32_e64 v7, 0x10000, 0, vcc_lo
	v_dual_mov_b32 v17, 0 :: v_dual_mov_b32 v16, 0
	s_delay_alu instid0(VALU_DEP_4)
	v_and_b32_e32 v4, 0xffff, v1
	v_mov_b32_e32 v1, 0
	s_mov_b32 s17, 0
                                        ; implicit-def: $sgpr5
                                        ; implicit-def: $vgpr44
	s_and_saveexec_b32 s16, s0
	s_cbranch_execz .LBB641_92
; %bb.79:
	v_cmp_eq_u16_e32 vcc_lo, v21, v5
	v_dual_mov_b32 v37, 0 :: v_dual_mov_b32 v36, 0
	v_dual_mov_b32 v35, 0 :: v_dual_mov_b32 v34, 0
	v_dual_cndmask_b32 v1, s42, v8 :: v_dual_add_nc_u32 v16, 14, v54
	v_cndmask_b32_e64 v21, 0x10000, 0, vcc_lo
	v_dual_mov_b32 v33, 0 :: v_dual_mov_b32 v19, 0
	s_delay_alu instid0(VALU_DEP_3) | instskip(NEXT) | instid1(VALU_DEP_4)
	v_and_b32_e32 v20, 0xffff, v1
	v_cmp_gt_u32_e32 vcc_lo, s39, v16
	v_dual_mov_b32 v17, 0 :: v_dual_mov_b32 v16, 0
	v_mov_b32_e32 v1, 0
	s_mov_b32 s0, 0
                                        ; implicit-def: $sgpr5
                                        ; implicit-def: $vgpr44
	s_and_saveexec_b32 s17, vcc_lo
	s_cbranch_execz .LBB641_91
; %bb.80:
	v_dual_lshrrev_b32 v19, 16, v5 :: v_dual_lshrrev_b32 v1, 16, v8
	v_dual_mov_b32 v36, 0 :: v_dual_mov_b32 v35, 0
	v_dual_mov_b32 v34, 0 :: v_dual_mov_b32 v33, 0
	s_delay_alu instid0(VALU_DEP_3) | instskip(SKIP_4) | instid1(VALU_DEP_3)
	v_cmp_eq_u16_e32 vcc_lo, v5, v19
	v_dual_mov_b32 v17, 0 :: v_dual_add_nc_u32 v8, 15, v54
	v_mov_b32_e32 v16, 0
	s_mov_b32 s19, 0
	v_cndmask_b32_e32 v1, s42, v1, vcc_lo
	v_cmp_gt_u32_e64 s0, s39, v8
	v_cndmask_b32_e64 v8, 0x10000, 0, vcc_lo
                                        ; implicit-def: $sgpr5
                                        ; implicit-def: $vgpr44
	s_delay_alu instid0(VALU_DEP_3)
	v_and_b32_e32 v5, 0xffff, v1
	v_mov_b32_e32 v1, 0
	s_and_saveexec_b32 s18, s0
	s_cbranch_execz .LBB641_90
; %bb.81:
	v_cmp_eq_u16_e32 vcc_lo, v19, v14
	v_dual_mov_b32 v35, 0 :: v_dual_mov_b32 v34, 0
	v_mov_b32_e32 v33, 0
	s_mov_b32 s0, 0
	v_dual_cndmask_b32 v1, s42, v9 :: v_dual_add_nc_u32 v16, 16, v54
	v_cndmask_b32_e64 v19, 0x10000, 0, vcc_lo
                                        ; implicit-def: $sgpr5
                                        ; implicit-def: $vgpr44
	s_delay_alu instid0(VALU_DEP_2) | instskip(NEXT) | instid1(VALU_DEP_3)
	v_and_b32_e32 v17, 0xffff, v1
	v_cmp_gt_u32_e32 vcc_lo, s39, v16
	v_dual_mov_b32 v16, 0 :: v_dual_mov_b32 v1, 0
	s_and_saveexec_b32 s19, vcc_lo
	s_cbranch_execz .LBB641_89
; %bb.82:
	v_dual_lshrrev_b32 v16, 16, v14 :: v_dual_lshrrev_b32 v1, 16, v9
	v_dual_mov_b32 v34, 0 :: v_dual_mov_b32 v33, 0
	s_mov_b32 s44, 0
	s_delay_alu instid0(VALU_DEP_2) | instskip(SKIP_2) | instid1(VALU_DEP_2)
	v_cmp_eq_u16_e32 vcc_lo, v14, v16
	v_add_nc_u32_e32 v9, 17, v54
                                        ; implicit-def: $sgpr5
                                        ; implicit-def: $vgpr44
	v_cndmask_b32_e32 v1, s42, v1, vcc_lo
	v_cmp_gt_u32_e64 s0, s39, v9
	v_cndmask_b32_e64 v14, 0x10000, 0, vcc_lo
	s_delay_alu instid0(VALU_DEP_3)
	v_and_b32_e32 v9, 0xffff, v1
	v_mov_b32_e32 v1, 0
	s_and_saveexec_b32 s43, s0
	s_cbranch_execz .LBB641_88
; %bb.83:
	ds_load_u16 v1, v51 offset:34
	v_cmp_eq_u16_e32 vcc_lo, v16, v15
	v_mov_b32_e32 v33, 0
	s_mov_b32 s0, exec_lo
                                        ; implicit-def: $sgpr5
                                        ; implicit-def: $vgpr44
	s_wait_dscnt 0x0
	v_dual_add_nc_u32 v34, 18, v54 :: v_dual_cndmask_b32 v16, s42, v1, vcc_lo
	v_cndmask_b32_e64 v1, 0x10000, 0, vcc_lo
	s_delay_alu instid0(VALU_DEP_2) | instskip(NEXT) | instid1(VALU_DEP_3)
	v_and_b32_e32 v16, 0xffff, v16
	v_cmpx_gt_u32_e64 s39, v34
	s_cbranch_execz .LBB641_87
; %bb.84:
	ds_load_b32 v34, v51 offset:36
	v_dual_lshrrev_b32 v35, 16, v15 :: v_dual_add_nc_u32 v36, 19, v54
                                        ; implicit-def: $sgpr5
                                        ; implicit-def: $vgpr44
	s_delay_alu instid0(VALU_DEP_1)
	v_cmp_eq_u16_e32 vcc_lo, v15, v35
	v_cndmask_b32_e64 v15, 0x10000, 0, vcc_lo
	s_wait_dscnt 0x0
	v_cndmask_b32_e32 v33, s42, v34, vcc_lo
	v_cmp_gt_u32_e32 vcc_lo, s39, v36
	s_mov_b32 s39, 0
	s_delay_alu instid0(VALU_DEP_2) | instskip(SKIP_1) | instid1(SALU_CYCLE_1)
	v_and_b32_e32 v33, 0xffff, v33
	s_and_saveexec_b32 s44, vcc_lo
	s_xor_b32 s44, exec_lo, s44
; %bb.85:
	v_lshrrev_b32_e32 v34, 16, v34
	v_cmp_ne_u16_e64 s5, v35, v50
	s_mov_b32 s39, exec_lo
	v_cndmask_b32_e64 v44, v34, s42, s5
; %bb.86:
	s_or_b32 exec_lo, exec_lo, s44
	v_or_b32_e32 v33, v15, v33
	s_and_b32 s44, s39, exec_lo
.LBB641_87:
	s_or_b32 exec_lo, exec_lo, s0
	s_delay_alu instid0(VALU_DEP_2) | instskip(NEXT) | instid1(VALU_DEP_2)
	v_or_b32_e32 v34, v1, v16
	v_mov_b32_e32 v1, v33
	s_and_b32 s44, s44, exec_lo
.LBB641_88:
	s_or_b32 exec_lo, exec_lo, s43
	v_or_b32_e32 v35, v14, v9
	v_mov_b32_e32 v16, v34
	s_and_b32 s0, s44, exec_lo
.LBB641_89:
	s_or_b32 exec_lo, exec_lo, s19
	v_or_b32_e32 v36, v19, v17
	v_mov_b32_e32 v17, v35
	s_and_b32 s19, s0, exec_lo
.LBB641_90:
	s_or_b32 exec_lo, exec_lo, s18
	v_or_b32_e32 v37, v8, v5
	v_mov_b32_e32 v19, v36
	s_and_b32 s0, s19, exec_lo
.LBB641_91:
	s_or_b32 exec_lo, exec_lo, s17
	v_or_b32_e32 v38, v21, v20
	v_mov_b32_e32 v20, v37
	s_and_b32 s17, s0, exec_lo
.LBB641_92:
	s_or_b32 exec_lo, exec_lo, s16
	s_delay_alu instid0(VALU_DEP_2)
	v_dual_mov_b32 v21, v38 :: v_dual_bitop2_b32 v41, v7, v4 bitop3:0x54
	s_and_b32 s0, s17, exec_lo
.LBB641_93:
	s_or_b32 exec_lo, exec_lo, s15
	s_delay_alu instid0(VALU_DEP_1)
	v_dual_mov_b32 v22, v41 :: v_dual_bitop2_b32 v42, v23, v22 bitop3:0x54
	s_and_b32 s15, s0, exec_lo
.LBB641_94:
	s_or_b32 exec_lo, exec_lo, s14
	v_or_b32_e32 v43, v6, v3
	s_delay_alu instid0(VALU_DEP_2)
	v_mov_b32_e32 v23, v42
	s_and_b32 s14, s15, exec_lo
.LBB641_95:
	s_or_b32 exec_lo, exec_lo, s13
	s_delay_alu instid0(VALU_DEP_1)
	v_dual_mov_b32 v24, v43 :: v_dual_bitop2_b32 v45, v24, v25 bitop3:0x54
	s_and_b32 s13, s14, exec_lo
.LBB641_96:
	s_or_b32 exec_lo, exec_lo, s12
	v_or_b32_e32 v46, v13, v2
	s_delay_alu instid0(VALU_DEP_2)
	v_mov_b32_e32 v25, v45
	s_and_b32 s0, s13, exec_lo
.LBB641_97:
	s_or_b32 exec_lo, exec_lo, s11
	s_delay_alu instid0(VALU_DEP_2)
	v_dual_mov_b32 v26, v46 :: v_dual_bitop2_b32 v48, v48, v26 bitop3:0x54
	s_and_b32 s11, s0, exec_lo
.LBB641_98:
	s_or_b32 exec_lo, exec_lo, s10
	s_delay_alu instid0(VALU_DEP_1)
	v_dual_mov_b32 v27, v48 :: v_dual_bitop2_b32 v49, v27, v12 bitop3:0x54
	s_and_b32 s0, s11, exec_lo
.LBB641_99:
	s_or_b32 exec_lo, exec_lo, s9
	s_delay_alu instid0(VALU_DEP_1)
	v_dual_mov_b32 v28, v49 :: v_dual_bitop2_b32 v52, v52, v28 bitop3:0x54
	s_and_b32 s9, s0, exec_lo
.LBB641_100:
	s_or_b32 exec_lo, exec_lo, s8
	s_delay_alu instid0(VALU_DEP_1)
	v_dual_mov_b32 v29, v52 :: v_dual_bitop2_b32 v53, v29, v11 bitop3:0x54
	s_and_b32 s0, s9, exec_lo
.LBB641_101:
	s_or_b32 exec_lo, exec_lo, s7
	s_delay_alu instid0(VALU_DEP_1)
	v_dual_mov_b32 v30, v53 :: v_dual_bitop2_b32 v47, v47, v30 bitop3:0x54
	s_and_b32 s7, s0, exec_lo
.LBB641_102:
	s_or_b32 exec_lo, exec_lo, s6
	s_delay_alu instid0(VALU_DEP_1)
	v_dual_mov_b32 v32, v47 :: v_dual_bitop2_b32 v55, v32, v10 bitop3:0x54
	s_and_b32 s6, s7, exec_lo
.LBB641_103:
	s_or_b32 exec_lo, exec_lo, s4
	v_or_b32_e32 v39, v39, v40
	s_delay_alu instid0(VALU_DEP_2)
	v_mov_b32_e32 v10, v55
	s_and_b32 s4, s6, exec_lo
.LBB641_104:
	s_or_b32 exec_lo, exec_lo, s3
	s_delay_alu instid0(VALU_DEP_2)
	v_dual_mov_b32 v11, v39 :: v_dual_bitop2_b32 v31, v18, v31 bitop3:0x54
	s_and_b32 s3, s4, exec_lo
.LBB641_105:
	s_or_b32 exec_lo, exec_lo, s2
	v_lshlrev_b32_e32 v18, 1, v0
	s_and_b32 vcc_lo, exec_lo, s1
	s_cbranch_vccnz .LBB641_107
	s_branch .LBB641_112
.LBB641_106:
                                        ; implicit-def: $sgpr5
                                        ; implicit-def: $vgpr44
                                        ; implicit-def: $vgpr31
                                        ; implicit-def: $vgpr39
                                        ; implicit-def: $vgpr55
                                        ; implicit-def: $vgpr47
                                        ; implicit-def: $vgpr53
                                        ; implicit-def: $vgpr52
                                        ; implicit-def: $vgpr49
                                        ; implicit-def: $vgpr48
                                        ; implicit-def: $vgpr46
                                        ; implicit-def: $vgpr45
                                        ; implicit-def: $vgpr43
                                        ; implicit-def: $vgpr42
                                        ; implicit-def: $vgpr41
                                        ; implicit-def: $vgpr38
                                        ; implicit-def: $vgpr37
                                        ; implicit-def: $vgpr36
                                        ; implicit-def: $vgpr35
                                        ; implicit-def: $vgpr34
                                        ; implicit-def: $vgpr33
                                        ; implicit-def: $vgpr11
                                        ; implicit-def: $vgpr10
                                        ; implicit-def: $vgpr32
                                        ; implicit-def: $vgpr30
                                        ; implicit-def: $vgpr29
                                        ; implicit-def: $vgpr28
                                        ; implicit-def: $vgpr27
                                        ; implicit-def: $vgpr26
                                        ; implicit-def: $vgpr25
                                        ; implicit-def: $vgpr24
                                        ; implicit-def: $vgpr23
                                        ; implicit-def: $vgpr22
                                        ; implicit-def: $vgpr21
                                        ; implicit-def: $vgpr20
                                        ; implicit-def: $vgpr19
                                        ; implicit-def: $vgpr17
                                        ; implicit-def: $vgpr16
                                        ; implicit-def: $vgpr1
	v_lshlrev_b32_e32 v18, 1, v0
	s_cbranch_execz .LBB641_112
.LBB641_107:
	s_clause 0x13
	flat_load_u16 v1, v0, s[40:41] scale_offset
	flat_load_u16 v2, v0, s[40:41] offset:512 scale_offset
	flat_load_u16 v3, v0, s[40:41] offset:1024 scale_offset
	;; [unrolled: 1-line block ×19, first 2 shown]
	v_mov_b32_e32 v22, 0
	v_mad_u32_u24 v23, v0, 38, v18
	s_mov_b32 s0, exec_lo
	s_wait_loadcnt_dscnt 0x1313
	ds_store_b16 v18, v1
	s_wait_loadcnt_dscnt 0x1213
	ds_store_b16 v18, v2 offset:512
	s_wait_loadcnt_dscnt 0x1113
	ds_store_b16 v18, v3 offset:1024
	;; [unrolled: 2-line block ×19, first 2 shown]
	s_wait_dscnt 0x0
	s_barrier_signal -1
	s_barrier_wait -1
	flat_load_u16 v1, v22, s[40:41] offset:10240
	ds_load_2addr_b64 v[6:9], v23 offset1:1
	ds_load_2addr_b64 v[2:5], v23 offset0:2 offset1:3
	ds_load_b64 v[20:21], v23 offset:32
	v_mad_i32_i24 v10, 0xffffffda, v0, v23
	s_wait_dscnt 0x2
	ds_store_b16 v10, v6 offset:10752
	s_wait_loadcnt_dscnt 0x0
	s_barrier_signal -1
	s_barrier_wait -1
	v_cmpx_ne_u32_e32 0xff, v0
; %bb.108:
	v_mul_i32_i24_e32 v1, 0xffffffda, v0
	s_delay_alu instid0(VALU_DEP_1)
	v_add_nc_u32_e32 v1, v23, v1
	ds_load_u16 v1, v1 offset:10754
; %bb.109:
	s_or_b32 exec_lo, exec_lo, s0
	s_wait_dscnt 0x0
	s_barrier_signal -1
	s_barrier_wait -1
	s_clause 0x13
	flat_load_u16 v10, v0, s[28:29] scale_offset
	flat_load_u16 v11, v0, s[28:29] offset:512 scale_offset
	flat_load_u16 v12, v0, s[28:29] offset:1024 scale_offset
	;; [unrolled: 1-line block ×19, first 2 shown]
	s_wait_loadcnt_dscnt 0x1313
	ds_store_b16 v18, v10
	s_wait_loadcnt_dscnt 0x1213
	ds_store_b16 v18, v11 offset:512
	s_wait_loadcnt_dscnt 0x1113
	ds_store_b16 v18, v12 offset:1024
	;; [unrolled: 2-line block ×19, first 2 shown]
	s_wait_dscnt 0x0
	s_barrier_signal -1
	s_barrier_wait -1
	ds_load_b128 v[14:17], v23 offset:2
	ds_load_b128 v[10:13], v23 offset:18
	ds_load_u16 v22, v23 offset:34
	ds_load_b32 v19, v23 offset:36
	v_dual_mov_b32 v24, s42 :: v_dual_lshrrev_b32 v25, 16, v6
	s_delay_alu instid0(VALU_DEP_1)
	v_cmp_eq_u16_e32 vcc_lo, v6, v25
	v_mov_b32_e32 v6, 0x10000
	s_and_saveexec_b32 s0, vcc_lo
; %bb.110:
	ds_load_u16 v24, v23
	v_mov_b32_e32 v6, 0
; %bb.111:
	s_or_b32 exec_lo, exec_lo, s0
	v_dual_lshrrev_b32 v31, 16, v7 :: v_dual_lshrrev_b32 v35, 16, v8
	v_cmp_eq_u16_e32 vcc_lo, v25, v7
	s_wait_dscnt 0x3
	v_dual_lshrrev_b32 v23, 16, v21 :: v_dual_lshrrev_b32 v26, 16, v14
	v_lshrrev_b32_e32 v38, 16, v3
	v_cmp_eq_u16_e64 s0, v31, v8
	v_cndmask_b32_e32 v14, s42, v14, vcc_lo
	v_cndmask_b32_e64 v39, 0x10000, 0, vcc_lo
	v_cmp_eq_u16_e32 vcc_lo, v7, v31
	v_dual_lshrrev_b32 v27, 16, v15 :: v_dual_lshrrev_b32 v28, 16, v16
	v_lshrrev_b32_e32 v44, 16, v20
	s_wait_dscnt 0x0
	v_and_b32_e32 v24, 0xffff, v24
	v_and_b32_e32 v14, 0xffff, v14
	v_cndmask_b32_e32 v7, s42, v26, vcc_lo
	v_dual_cndmask_b32 v15, s42, v15, s0 :: v_dual_lshrrev_b32 v36, 16, v9
	s_delay_alu instid0(VALU_DEP_4) | instskip(NEXT) | instid1(VALU_DEP_3)
	v_dual_lshrrev_b32 v37, 16, v2 :: v_dual_bitop2_b32 v31, v6, v24 bitop3:0x54
	v_and_b32_e32 v6, 0xffff, v7
	v_cndmask_b32_e64 v7, 0x10000, 0, vcc_lo
	v_cmp_eq_u16_e32 vcc_lo, v8, v35
	v_or_b32_e32 v39, v39, v14
	v_and_b32_e32 v14, 0xffff, v15
	v_cndmask_b32_e64 v15, 0x10000, 0, s0
	v_cmp_eq_u16_e64 s0, v35, v9
	v_dual_cndmask_b32 v8, s42, v27, vcc_lo :: v_dual_bitop2_b32 v55, v7, v6 bitop3:0x54
	v_cndmask_b32_e64 v7, 0x10000, 0, vcc_lo
	v_cmp_eq_u16_e32 vcc_lo, v9, v36
	s_delay_alu instid0(VALU_DEP_4) | instskip(SKIP_3) | instid1(VALU_DEP_4)
	v_dual_cndmask_b32 v16, s42, v16, s0 :: v_dual_bitop2_b32 v47, v15, v14 bitop3:0x54
	v_cndmask_b32_e64 v14, 0x10000, 0, s0
	v_cmp_eq_u16_e64 s0, v36, v2
	v_and_b32_e32 v6, 0xffff, v8
	v_and_b32_e32 v8, 0xffff, v16
	v_dual_cndmask_b32 v9, s42, v28, vcc_lo :: v_dual_lshrrev_b32 v29, 16, v17
	s_delay_alu instid0(VALU_DEP_4) | instskip(NEXT) | instid1(VALU_DEP_4)
	v_dual_lshrrev_b32 v30, 16, v10 :: v_dual_cndmask_b32 v15, s42, v17, s0
	v_or_b32_e32 v53, v7, v6
	s_delay_alu instid0(VALU_DEP_3)
	v_and_b32_e32 v6, 0xffff, v9
	v_cndmask_b32_e64 v7, 0x10000, 0, vcc_lo
	v_cndmask_b32_e64 v9, 0x10000, 0, s0
	v_cmp_eq_u16_e32 vcc_lo, v2, v37
	v_or_b32_e32 v52, v14, v8
	v_and_b32_e32 v8, 0xffff, v15
	v_cmp_eq_u16_e64 s0, v37, v3
	v_dual_lshrrev_b32 v25, 16, v4 :: v_dual_lshrrev_b32 v41, 16, v5
	s_delay_alu instid0(VALU_DEP_3) | instskip(NEXT) | instid1(VALU_DEP_3)
	v_dual_cndmask_b32 v2, s42, v29, vcc_lo :: v_dual_bitop2_b32 v48, v9, v8 bitop3:0x54
	v_cndmask_b32_e64 v10, s42, v10, s0
	v_cndmask_b32_e64 v8, 0x10000, 0, s0
	v_cmp_eq_u16_e64 s0, v38, v4
	v_or_b32_e32 v49, v7, v6
	v_cndmask_b32_e64 v6, 0x10000, 0, vcc_lo
	v_cmp_eq_u16_e32 vcc_lo, v3, v38
	v_and_b32_e32 v2, 0xffff, v2
	v_and_b32_e32 v7, 0xffff, v10
	v_dual_lshrrev_b32 v32, 16, v11 :: v_dual_lshrrev_b32 v33, 16, v12
	v_cndmask_b32_e32 v3, s42, v30, vcc_lo
	s_delay_alu instid0(VALU_DEP_4) | instskip(NEXT) | instid1(VALU_DEP_4)
	v_dual_cndmask_b32 v9, s42, v11, s0 :: v_dual_bitop2_b32 v46, v6, v2 bitop3:0x54
	v_or_b32_e32 v45, v8, v7
	v_cndmask_b32_e64 v7, 0x10000, 0, s0
	s_delay_alu instid0(VALU_DEP_4)
	v_and_b32_e32 v2, 0xffff, v3
	v_cndmask_b32_e64 v3, 0x10000, 0, vcc_lo
	v_cmp_eq_u16_e32 vcc_lo, v4, v25
	v_cmp_eq_u16_e64 s0, v25, v5
	v_and_b32_e32 v6, 0xffff, v9
	v_dual_lshrrev_b32 v34, 16, v13 :: v_dual_lshrrev_b32 v40, 16, v19
	v_cndmask_b32_e32 v4, s42, v32, vcc_lo
	s_delay_alu instid0(VALU_DEP_4)
	v_dual_cndmask_b32 v8, s42, v12, s0 :: v_dual_bitop2_b32 v43, v3, v2 bitop3:0x54
	v_cndmask_b32_e64 v3, 0x10000, 0, vcc_lo
	v_cmp_eq_u16_e32 vcc_lo, v5, v41
	v_or_b32_e32 v42, v7, v6
	v_and_b32_e32 v2, 0xffff, v4
	v_cndmask_b32_e64 v6, 0x10000, 0, s0
	v_cmp_eq_u16_e64 s0, v41, v20
	v_cndmask_b32_e32 v5, s42, v33, vcc_lo
	v_and_b32_e32 v4, 0xffff, v8
	v_or_b32_e32 v41, v3, v2
	v_cndmask_b32_e64 v3, 0x10000, 0, vcc_lo
	v_cndmask_b32_e64 v7, s42, v13, s0
	v_and_b32_e32 v2, 0xffff, v5
	v_cndmask_b32_e64 v5, 0x10000, 0, s0
	v_cmp_eq_u16_e32 vcc_lo, v20, v44
	v_cmp_eq_u16_e64 s0, v44, v21
	v_cmp_eq_u16_e64 s1, v21, v23
	v_or_b32_e32 v38, v6, v4
	v_and_b32_e32 v4, 0xffff, v7
	v_cndmask_b32_e32 v6, s42, v34, vcc_lo
	v_cndmask_b32_e64 v7, s42, v22, s0
	v_dual_cndmask_b32 v8, s42, v19, s1 :: v_dual_bitop2_b32 v37, v3, v2 bitop3:0x54
	v_cndmask_b32_e64 v9, 0x10000, 0, vcc_lo
	s_delay_alu instid0(VALU_DEP_4) | instskip(SKIP_1) | instid1(VALU_DEP_4)
	v_and_b32_e32 v6, 0xffff, v6
	v_cndmask_b32_e64 v10, 0x10000, 0, s0
	v_and_b32_e32 v8, 0xffff, v8
	v_cndmask_b32_e64 v11, 0x10000, 0, s1
	v_or_b32_e32 v36, v5, v4
	v_and_b32_e32 v7, 0xffff, v7
	v_or_b32_e32 v35, v9, v6
	v_cmp_ne_u16_e64 s5, v23, v1
	v_dual_mov_b32 v30, v53 :: v_dual_bitop2_b32 v33, v11, v8 bitop3:0x54
	s_delay_alu instid0(VALU_DEP_4) | instskip(NEXT) | instid1(VALU_DEP_3)
	v_dual_mov_b32 v10, v55 :: v_dual_bitop2_b32 v34, v10, v7 bitop3:0x54
	v_cndmask_b32_e64 v44, v40, s42, s5
	v_dual_mov_b32 v11, v39 :: v_dual_mov_b32 v32, v47
	v_dual_mov_b32 v29, v52 :: v_dual_mov_b32 v28, v49
	;; [unrolled: 1-line block ×8, first 2 shown]
	s_mov_b32 s3, -1
.LBB641_112:
	v_mov_b32_e32 v12, 0
	s_and_saveexec_b32 s0, s3
	s_cbranch_execz .LBB641_114
; %bb.113:
	v_and_b32_e32 v2, 0xffff, v44
	v_cndmask_b32_e64 v3, 0, 0x10000, s5
	v_dual_mov_b32 v1, v33 :: v_dual_mov_b32 v16, v34
	v_dual_mov_b32 v17, v35 :: v_dual_mov_b32 v19, v36
	s_delay_alu instid0(VALU_DEP_3)
	v_dual_mov_b32 v20, v37 :: v_dual_bitop2_b32 v12, v3, v2 bitop3:0x54
	v_dual_mov_b32 v21, v38 :: v_dual_mov_b32 v22, v41
	v_dual_mov_b32 v23, v42 :: v_dual_mov_b32 v24, v43
	;; [unrolled: 1-line block ×6, first 2 shown]
	v_mov_b32_e32 v11, v39
.LBB641_114:
	s_or_b32 exec_lo, exec_lo, s0
	v_dual_lshrrev_b32 v14, 16, v31 :: v_dual_bitop2_b32 v2, v27, v26 bitop3:0x54
	v_dual_lshrrev_b32 v33, 3, v0 :: v_dual_bitop2_b32 v3, v19, v17 bitop3:0x54
	v_or_b32_e32 v13, v16, v1
	v_cmp_gt_u32_e64 s17, 0x10000, v11
	v_cmp_gt_u32_e64 s16, 0x10000, v10
	;; [unrolled: 1-line block ×8, first 2 shown]
	v_or3_b32 v15, v2, v28, v29
	v_cmp_gt_u32_e64 s10, 0x10000, v25
	v_cmp_gt_u32_e64 s8, 0x10000, v24
	;; [unrolled: 1-line block ×8, first 2 shown]
	v_or3_b32 v34, v3, v20, v21
	v_cmp_gt_u32_e64 s2, 0x10000, v16
	v_cmp_gt_u32_e64 s0, 0x10000, v1
	;; [unrolled: 1-line block ×3, first 2 shown]
	s_cmp_lg_u32 s38, 0
	v_cmp_gt_u32_e32 vcc_lo, 32, v0
	s_barrier_signal -1
	s_barrier_wait -1
	s_cbranch_scc0 .LBB641_182
; %bb.115:
	v_dual_cndmask_b32 v2, 0, v31, s17 :: v_dual_bitop2_b32 v5, 28, v33 bitop3:0x40
	v_or3_b32 v3, v34, v22, v23
	v_or3_b32 v4, v15, v30, v32
	s_delay_alu instid0(VALU_DEP_3) | instskip(NEXT) | instid1(VALU_DEP_3)
	v_add_nc_u16 v2, v2, v11
	v_or3_b32 v3, v3, v24, v25
	s_delay_alu instid0(VALU_DEP_3) | instskip(NEXT) | instid1(VALU_DEP_3)
	v_or3_b32 v4, v4, v10, v11
	v_cndmask_b32_e64 v2, 0, v2, s16
	s_delay_alu instid0(VALU_DEP_3) | instskip(NEXT) | instid1(VALU_DEP_2)
	v_or3_b32 v3, v12, v13, v3
	v_add_nc_u16 v2, v2, v10
	s_delay_alu instid0(VALU_DEP_2) | instskip(SKIP_1) | instid1(VALU_DEP_3)
	v_bitop3_b32 v3, v3, 0xff0000, v4 bitop3:0xc8
	v_lshl_add_u32 v4, v0, 2, v5
	v_cndmask_b32_e64 v2, 0, v2, s15
	s_delay_alu instid0(VALU_DEP_1) | instskip(NEXT) | instid1(VALU_DEP_1)
	v_add_nc_u16 v2, v2, v32
	v_cndmask_b32_e64 v2, 0, v2, s14
	s_delay_alu instid0(VALU_DEP_1) | instskip(NEXT) | instid1(VALU_DEP_1)
	v_add_nc_u16 v2, v2, v30
	v_cndmask_b32_e64 v2, 0, v2, s13
	s_delay_alu instid0(VALU_DEP_1) | instskip(NEXT) | instid1(VALU_DEP_1)
	v_add_nc_u16 v2, v2, v29
	v_cndmask_b32_e64 v2, 0, v2, s12
	s_delay_alu instid0(VALU_DEP_1) | instskip(NEXT) | instid1(VALU_DEP_1)
	v_add_nc_u16 v2, v2, v28
	v_cndmask_b32_e64 v2, 0, v2, s11
	s_delay_alu instid0(VALU_DEP_1) | instskip(NEXT) | instid1(VALU_DEP_1)
	v_add_nc_u16 v2, v2, v27
	v_cndmask_b32_e64 v2, 0, v2, s9
	s_delay_alu instid0(VALU_DEP_1) | instskip(NEXT) | instid1(VALU_DEP_1)
	v_add_nc_u16 v2, v2, v26
	v_cndmask_b32_e64 v2, 0, v2, s10
	s_delay_alu instid0(VALU_DEP_1) | instskip(NEXT) | instid1(VALU_DEP_1)
	v_add_nc_u16 v2, v2, v25
	v_cndmask_b32_e64 v2, 0, v2, s8
	s_delay_alu instid0(VALU_DEP_1) | instskip(NEXT) | instid1(VALU_DEP_1)
	v_add_nc_u16 v2, v2, v24
	v_cndmask_b32_e64 v2, 0, v2, s7
	s_delay_alu instid0(VALU_DEP_1) | instskip(NEXT) | instid1(VALU_DEP_1)
	v_add_nc_u16 v2, v2, v23
	v_cndmask_b32_e64 v2, 0, v2, s6
	s_delay_alu instid0(VALU_DEP_1) | instskip(NEXT) | instid1(VALU_DEP_1)
	v_add_nc_u16 v2, v2, v22
	v_cndmask_b32_e64 v2, 0, v2, s5
	s_delay_alu instid0(VALU_DEP_1) | instskip(NEXT) | instid1(VALU_DEP_1)
	v_add_nc_u16 v2, v2, v21
	v_cndmask_b32_e64 v2, 0, v2, s4
	s_delay_alu instid0(VALU_DEP_1) | instskip(NEXT) | instid1(VALU_DEP_1)
	v_add_nc_u16 v2, v2, v20
	v_cndmask_b32_e64 v2, 0, v2, s3
	s_delay_alu instid0(VALU_DEP_1) | instskip(NEXT) | instid1(VALU_DEP_1)
	v_add_nc_u16 v2, v2, v19
	v_cndmask_b32_e64 v2, 0, v2, s1
	s_delay_alu instid0(VALU_DEP_1) | instskip(NEXT) | instid1(VALU_DEP_1)
	v_add_nc_u16 v2, v2, v17
	v_cndmask_b32_e64 v2, 0, v2, s2
	s_delay_alu instid0(VALU_DEP_1) | instskip(NEXT) | instid1(VALU_DEP_1)
	v_add_nc_u16 v2, v2, v16
	v_cndmask_b32_e64 v2, 0, v2, s0
	s_delay_alu instid0(VALU_DEP_1) | instskip(NEXT) | instid1(VALU_DEP_1)
	v_add_nc_u16 v2, v2, v1
	v_cndmask_b32_e64 v2, 0, v2, s18
	v_cmp_eq_u32_e64 s18, 0, v3
	s_delay_alu instid0(VALU_DEP_2) | instskip(NEXT) | instid1(VALU_DEP_2)
	v_add_nc_u16 v35, v2, v12
	v_cndmask_b32_e64 v36, 1, v14, s18
	ds_store_b16 v4, v35
	ds_store_b8 v4, v36 offset:2
	s_wait_dscnt 0x0
	s_barrier_signal -1
	s_barrier_wait -1
	s_and_saveexec_b32 s19, vcc_lo
	s_cbranch_execz .LBB641_127
; %bb.116:
	v_and_b32_e32 v2, 0xfc, v0
	v_lshlrev_b32_e32 v3, 5, v0
	s_mov_b32 s28, exec_lo
	s_delay_alu instid0(VALU_DEP_1)
	v_add_nc_u32_e32 v2, v2, v3
	ds_load_u8 v4, v2 offset:6
	ds_load_b32 v3, v2
	ds_load_u16 v5, v2 offset:4
	ds_load_u8 v6, v2 offset:10
	ds_load_u16 v7, v2 offset:8
	ds_load_u16 v8, v2 offset:12
	ds_load_u8 v9, v2 offset:14
	ds_load_u16 v37, v2 offset:16
	s_wait_dscnt 0x7
	v_cmp_eq_u16_e64 s18, 0, v4
	s_wait_dscnt 0x4
	s_delay_alu instid0(VALU_DEP_1) | instskip(SKIP_1) | instid1(VALU_DEP_2)
	v_dual_cndmask_b32 v38, 0, v3, s18 :: v_dual_bitop2_b32 v4, v6, v4 bitop3:0x54
	v_cmp_eq_u16_e64 s18, 0, v6
	v_add_nc_u16 v5, v38, v5
	ds_load_u8 v38, v2 offset:18
	v_cndmask_b32_e64 v5, 0, v5, s18
	s_wait_dscnt 0x2
	v_cmp_eq_u16_e64 s18, 0, v9
	s_delay_alu instid0(VALU_DEP_2) | instskip(SKIP_2) | instid1(VALU_DEP_1)
	v_add_nc_u16 v5, v5, v7
	ds_load_u8 v7, v2 offset:22
	v_cndmask_b32_e64 v5, 0, v5, s18
	v_add_nc_u16 v5, v5, v8
	ds_load_u16 v8, v2 offset:20
	ds_load_u16 v39, v2 offset:24
	ds_load_u8 v40, v2 offset:26
	ds_load_u16 v41, v2 offset:28
	ds_load_u8 v42, v2 offset:30
	s_wait_dscnt 0x6
	v_cmp_eq_u16_e64 s18, 0, v38
	v_bitop3_b16 v6, v4, v38, v9 bitop3:0xfe
	v_and_b32_e32 v4, 0x10000, v3
	s_delay_alu instid0(VALU_DEP_3)
	v_cndmask_b32_e64 v5, 0, v5, s18
	s_wait_dscnt 0x5
	v_cmp_eq_u16_e64 s18, 0, v7
	s_wait_dscnt 0x2
	v_bitop3_b16 v6, v6, v40, v7 bitop3:0xfe
	s_wait_dscnt 0x0
	v_and_b32_e32 v7, 1, v42
	v_add_nc_u16 v5, v5, v37
	s_delay_alu instid0(VALU_DEP_1) | instskip(SKIP_1) | instid1(VALU_DEP_2)
	v_cndmask_b32_e64 v5, 0, v5, s18
	v_cmp_eq_u16_e64 s18, 0, v40
	v_add_nc_u16 v5, v5, v8
	s_delay_alu instid0(VALU_DEP_1) | instskip(SKIP_1) | instid1(VALU_DEP_2)
	v_cndmask_b32_e64 v5, 0, v5, s18
	v_cmp_eq_u16_e64 s18, 0, v42
	;; [unrolled: 4-line block ×3, first 2 shown]
	v_add_nc_u16 v6, v5, v41
	s_delay_alu instid0(VALU_DEP_2) | instskip(SKIP_4) | instid1(VALU_DEP_4)
	v_cndmask_b32_e64 v8, 0x10000, v4, s18
	v_cmp_eq_u32_e64 s18, 1, v7
	v_and_b32_e32 v5, 0xff000000, v3
	v_mbcnt_lo_u32_b32 v7, -1, 0
	v_and_b32_e32 v9, 0xffff, v6
	v_cndmask_b32_e64 v8, v8, 0x10000, s18
	s_delay_alu instid0(VALU_DEP_1) | instskip(NEXT) | instid1(VALU_DEP_3)
	v_or_b32_e32 v37, v8, v5
	v_or3_b32 v38, v5, v9, v8
	s_delay_alu instid0(VALU_DEP_2) | instskip(NEXT) | instid1(VALU_DEP_2)
	v_dual_lshrrev_b32 v9, 16, v37 :: v_dual_bitop2_b32 v8, 15, v7 bitop3:0x40
	v_mov_b32_dpp v39, v38 row_shr:1 row_mask:0xf bank_mask:0xf
	s_delay_alu instid0(VALU_DEP_2)
	v_cmpx_ne_u32_e32 0, v8
	s_cbranch_execz .LBB641_118
; %bb.117:
	s_delay_alu instid0(VALU_DEP_2) | instskip(SKIP_1) | instid1(VALU_DEP_2)
	v_dual_lshrrev_b32 v9, 16, v37 :: v_dual_lshrrev_b32 v38, 16, v39
	v_and_b32_e32 v37, 0x10000, v37
	v_and_b32_e32 v9, 0xff, v9
	s_delay_alu instid0(VALU_DEP_1) | instskip(NEXT) | instid1(VALU_DEP_1)
	v_cmp_eq_u16_e64 s18, 0, v9
	v_dual_cndmask_b32 v39, 0, v39, s18 :: v_dual_bitop2_b32 v38, 1, v38 bitop3:0x40
	s_delay_alu instid0(VALU_DEP_4) | instskip(NEXT) | instid1(VALU_DEP_2)
	v_cmp_ne_u32_e64 s18, 0, v37
	v_add_nc_u16 v6, v39, v6
	s_delay_alu instid0(VALU_DEP_2) | instskip(NEXT) | instid1(VALU_DEP_2)
	v_cndmask_b32_e64 v9, v38, 1, s18
	v_and_b32_e32 v38, 0xffff, v6
	s_delay_alu instid0(VALU_DEP_2) | instskip(NEXT) | instid1(VALU_DEP_1)
	v_lshlrev_b32_e32 v37, 16, v9
	v_or3_b32 v38, v37, v38, v5
.LBB641_118:
	s_or_b32 exec_lo, exec_lo, s28
	s_delay_alu instid0(VALU_DEP_1)
	v_lshrrev_b32_e32 v37, 16, v38
	v_mov_b32_dpp v39, v38 row_shr:2 row_mask:0xf bank_mask:0xf
	s_mov_b32 s28, exec_lo
	v_cmpx_lt_u32_e32 1, v8
	s_cbranch_execz .LBB641_120
; %bb.119:
	v_and_b32_e32 v37, 0xff, v37
	v_and_b32_e32 v38, 0x10000, v38
	s_delay_alu instid0(VALU_DEP_2) | instskip(NEXT) | instid1(VALU_DEP_1)
	v_cmp_eq_u16_e64 s18, 0, v37
	v_dual_lshrrev_b32 v9, 16, v39 :: v_dual_cndmask_b32 v37, 0, v39, s18
	s_delay_alu instid0(VALU_DEP_1) | instskip(NEXT) | instid1(VALU_DEP_4)
	v_and_b32_e32 v9, 1, v9
	v_cmp_ne_u32_e64 s18, 0, v38
	s_delay_alu instid0(VALU_DEP_3) | instskip(NEXT) | instid1(VALU_DEP_2)
	v_add_nc_u16 v6, v37, v6
	v_cndmask_b32_e64 v9, v9, 1, s18
	s_delay_alu instid0(VALU_DEP_2) | instskip(NEXT) | instid1(VALU_DEP_2)
	v_and_b32_e32 v38, 0xffff, v6
	v_lshlrev_b32_e32 v37, 16, v9
	s_delay_alu instid0(VALU_DEP_1)
	v_or3_b32 v38, v37, v38, v5
	v_mov_b32_e32 v37, v9
.LBB641_120:
	s_or_b32 exec_lo, exec_lo, s28
	s_delay_alu instid0(VALU_DEP_2)
	v_mov_b32_dpp v39, v38 row_shr:4 row_mask:0xf bank_mask:0xf
	s_mov_b32 s28, exec_lo
	v_cmpx_lt_u32_e32 3, v8
	s_cbranch_execz .LBB641_122
; %bb.121:
	v_and_b32_e32 v38, 0xff, v37
	v_dual_lshrrev_b32 v9, 16, v39 :: v_dual_bitop2_b32 v37, 1, v37 bitop3:0x40
	s_delay_alu instid0(VALU_DEP_2) | instskip(NEXT) | instid1(VALU_DEP_1)
	v_cmp_eq_u16_e64 s18, 0, v38
	v_dual_cndmask_b32 v38, 0, v39, s18 :: v_dual_bitop2_b32 v9, 1, v9 bitop3:0x40
	s_delay_alu instid0(VALU_DEP_3) | instskip(NEXT) | instid1(VALU_DEP_2)
	v_cmp_eq_u32_e64 s18, 1, v37
	v_add_nc_u16 v6, v38, v6
	s_delay_alu instid0(VALU_DEP_2) | instskip(NEXT) | instid1(VALU_DEP_2)
	v_cndmask_b32_e64 v9, v9, 1, s18
	v_and_b32_e32 v38, 0xffff, v6
	s_delay_alu instid0(VALU_DEP_2) | instskip(NEXT) | instid1(VALU_DEP_1)
	v_lshlrev_b32_e32 v37, 16, v9
	v_or3_b32 v38, v37, v38, v5
	v_mov_b32_e32 v37, v9
.LBB641_122:
	s_or_b32 exec_lo, exec_lo, s28
	s_delay_alu instid0(VALU_DEP_2)
	v_mov_b32_dpp v39, v38 row_shr:8 row_mask:0xf bank_mask:0xf
	s_mov_b32 s28, exec_lo
	v_cmpx_lt_u32_e32 7, v8
	s_cbranch_execz .LBB641_124
; %bb.123:
	v_and_b32_e32 v9, 0xff, v37
	v_dual_lshrrev_b32 v8, 16, v39 :: v_dual_bitop2_b32 v37, 1, v37 bitop3:0x40
	s_delay_alu instid0(VALU_DEP_2) | instskip(NEXT) | instid1(VALU_DEP_1)
	v_cmp_eq_u16_e64 s18, 0, v9
	v_dual_cndmask_b32 v38, 0, v39, s18 :: v_dual_bitop2_b32 v8, 1, v8 bitop3:0x40
	s_delay_alu instid0(VALU_DEP_3) | instskip(NEXT) | instid1(VALU_DEP_2)
	v_cmp_eq_u32_e64 s18, 1, v37
	v_add_nc_u16 v6, v38, v6
	s_delay_alu instid0(VALU_DEP_2) | instskip(NEXT) | instid1(VALU_DEP_2)
	v_cndmask_b32_e64 v9, v8, 1, s18
	v_and_b32_e32 v37, 0xffff, v6
	s_delay_alu instid0(VALU_DEP_2) | instskip(NEXT) | instid1(VALU_DEP_1)
	v_lshlrev_b32_e32 v8, 16, v9
	v_or3_b32 v38, v8, v37, v5
	v_mov_b32_e32 v37, v9
.LBB641_124:
	s_or_b32 exec_lo, exec_lo, s28
	ds_swizzle_b32 v8, v38 offset:swizzle(BROADCAST,32,15)
	v_and_b32_e32 v38, 16, v7
	s_mov_b32 s28, exec_lo
	s_delay_alu instid0(VALU_DEP_1)
	v_cmpx_ne_u32_e32 0, v38
	s_cbranch_execz .LBB641_126
; %bb.125:
	v_and_b32_e32 v9, 0xff, v37
	s_delay_alu instid0(VALU_DEP_1) | instskip(SKIP_2) | instid1(VALU_DEP_1)
	v_cmp_eq_u16_e64 s18, 0, v9
	s_wait_dscnt 0x0
	v_dual_lshrrev_b32 v38, 16, v8 :: v_dual_bitop2_b32 v9, 1, v37 bitop3:0x40
	v_dual_cndmask_b32 v8, 0, v8, s18 :: v_dual_bitop2_b32 v37, 1, v38 bitop3:0x40
	s_delay_alu instid0(VALU_DEP_2) | instskip(NEXT) | instid1(VALU_DEP_2)
	v_cmp_eq_u32_e64 s18, 1, v9
	v_add_nc_u16 v6, v8, v6
	s_delay_alu instid0(VALU_DEP_2)
	v_cndmask_b32_e64 v9, v37, 1, s18
.LBB641_126:
	s_or_b32 exec_lo, exec_lo, s28
	s_wait_dscnt 0x0
	s_delay_alu instid0(VALU_DEP_1) | instskip(SKIP_2) | instid1(VALU_DEP_3)
	v_and_b32_e32 v8, 0xff, v9
	v_add_nc_u32_e32 v9, -1, v7
	v_and_b32_e32 v6, 0xffff, v6
	; wave barrier
	v_lshlrev_b32_e32 v8, 16, v8
	s_delay_alu instid0(VALU_DEP_3) | instskip(NEXT) | instid1(VALU_DEP_2)
	v_cmp_gt_i32_e64 s18, 0, v9
	v_or3_b32 v5, v8, v6, v5
	s_delay_alu instid0(VALU_DEP_2) | instskip(NEXT) | instid1(VALU_DEP_1)
	v_cndmask_b32_e64 v7, v9, v7, s18
	v_lshlrev_b32_e32 v6, 2, v7
	ds_bpermute_b32 v5, v6, v5
	v_and_b32_e32 v6, 0xff0000, v3
	s_delay_alu instid0(VALU_DEP_1) | instskip(SKIP_1) | instid1(VALU_DEP_1)
	v_cmp_eq_u32_e64 s18, 0, v6
	s_wait_dscnt 0x0
	v_dual_lshrrev_b32 v7, 16, v5 :: v_dual_cndmask_b32 v5, 0, v5, s18
	v_cmp_eq_u32_e64 s18, 0, v4
	s_delay_alu instid0(VALU_DEP_2) | instskip(NEXT) | instid1(VALU_DEP_3)
	v_and_b32_e32 v6, 1, v7
	v_add_nc_u16 v3, v5, v3
	s_delay_alu instid0(VALU_DEP_2) | instskip(SKIP_1) | instid1(VALU_DEP_1)
	v_cndmask_b32_e64 v4, 1, v6, s18
	v_cmp_eq_u32_e64 s18, 0, v0
	v_dual_cndmask_b32 v3, v3, v35, s18 :: v_dual_cndmask_b32 v4, v4, v36, s18
	ds_store_b16 v2, v3
	ds_store_b8 v2, v4 offset:2
	; wave barrier
	ds_load_u8 v5, v2 offset:6
	ds_load_u16 v6, v2 offset:4
	ds_load_u8 v7, v2 offset:10
	ds_load_u16 v8, v2 offset:8
	ds_load_u16 v9, v2 offset:12
	ds_load_u8 v37, v2 offset:14
	ds_load_u16 v38, v2 offset:16
	ds_load_u8 v39, v2 offset:18
	s_wait_dscnt 0x7
	v_cmp_eq_u16_e64 s18, 0, v5
	s_delay_alu instid0(VALU_DEP_1) | instskip(SKIP_3) | instid1(VALU_DEP_3)
	v_dual_cndmask_b32 v3, 0, v3, s18 :: v_dual_bitop2_b32 v5, 1, v5 bitop3:0x40
	s_wait_dscnt 0x5
	v_cmp_eq_u16_e64 s18, 0, v7
	v_and_b32_e32 v7, 1, v7
	v_add_nc_u16 v3, v3, v6
	s_delay_alu instid0(VALU_DEP_1) | instskip(SKIP_2) | instid1(VALU_DEP_2)
	v_cndmask_b32_e64 v6, 0, v3, s18
	s_wait_dscnt 0x2
	v_cmp_eq_u16_e64 s18, 0, v37
	v_add_nc_u16 v6, v6, v8
	ds_load_u8 v8, v2 offset:22
	ds_load_u16 v41, v2 offset:20
	ds_load_u8 v42, v2 offset:26
	ds_load_u8 v43, v2 offset:30
	v_cndmask_b32_e64 v40, 0, v6, s18
	v_cmp_eq_u32_e64 s18, 1, v5
	v_and_b32_e32 v5, 1, v37
	s_delay_alu instid0(VALU_DEP_3) | instskip(NEXT) | instid1(VALU_DEP_3)
	v_add_nc_u16 v9, v40, v9
	v_cndmask_b32_e64 v4, v4, 1, s18
	s_wait_dscnt 0x4
	v_cmp_eq_u16_e64 s18, 0, v39
	ds_load_u16 v40, v2 offset:24
	ds_load_u16 v44, v2 offset:28
	v_cndmask_b32_e64 v37, 0, v9, s18
	v_cmp_eq_u32_e64 s18, 1, v7
	s_delay_alu instid0(VALU_DEP_2) | instskip(NEXT) | instid1(VALU_DEP_2)
	v_add_nc_u16 v37, v37, v38
	v_cndmask_b32_e64 v7, v4, 1, s18
	v_cmp_eq_u32_e64 s18, 1, v5
	v_and_b32_e32 v38, 1, v39
	s_delay_alu instid0(VALU_DEP_2) | instskip(SKIP_2) | instid1(VALU_DEP_1)
	v_cndmask_b32_e64 v5, v7, 1, s18
	s_wait_dscnt 0x5
	v_cmp_eq_u16_e64 s18, 0, v8
	v_dual_cndmask_b32 v39, 0, v37, s18 :: v_dual_bitop2_b32 v8, 1, v8 bitop3:0x40
	v_cmp_eq_u32_e64 s18, 1, v38
	s_wait_dscnt 0x4
	s_delay_alu instid0(VALU_DEP_2) | instskip(NEXT) | instid1(VALU_DEP_2)
	v_add_nc_u16 v39, v39, v41
	v_cndmask_b32_e64 v38, v5, 1, s18
	v_cmp_eq_u32_e64 s18, 1, v8
	ds_store_b16 v2, v3 offset:4
	ds_store_b8 v2, v4 offset:6
	ds_store_b16 v2, v6 offset:8
	ds_store_b8 v2, v7 offset:10
	;; [unrolled: 2-line block ×4, first 2 shown]
	v_cndmask_b32_e64 v8, v38, 1, s18
	s_wait_dscnt 0xb
	v_cmp_eq_u16_e64 s18, 0, v42
	s_delay_alu instid0(VALU_DEP_1) | instskip(NEXT) | instid1(VALU_DEP_1)
	v_dual_cndmask_b32 v42, 0, v39, s18 :: v_dual_bitop2_b32 v41, 1, v42 bitop3:0x40
	v_cmp_eq_u32_e64 s18, 1, v41
	s_wait_dscnt 0x9
	s_delay_alu instid0(VALU_DEP_2) | instskip(SKIP_1) | instid1(VALU_DEP_3)
	v_add_nc_u16 v40, v42, v40
	v_and_b32_e32 v45, 1, v43
	v_cndmask_b32_e64 v41, v8, 1, s18
	s_delay_alu instid0(VALU_DEP_2) | instskip(NEXT) | instid1(VALU_DEP_1)
	v_cmp_eq_u32_e64 s18, 1, v45
	v_cndmask_b32_e64 v42, v41, 1, s18
	v_cmp_eq_u16_e64 s18, 0, v43
	s_delay_alu instid0(VALU_DEP_1) | instskip(SKIP_1) | instid1(VALU_DEP_1)
	v_cndmask_b32_e64 v43, 0, v40, s18
	s_wait_dscnt 0x8
	v_add_nc_u16 v3, v43, v44
	ds_store_b16 v2, v39 offset:20
	ds_store_b8 v2, v8 offset:22
	ds_store_b16 v2, v40 offset:24
	ds_store_b8 v2, v41 offset:26
	;; [unrolled: 2-line block ×3, first 2 shown]
.LBB641_127:
	s_or_b32 exec_lo, exec_lo, s19
	v_cmp_eq_u32_e64 s18, 0, v0
	s_mov_b32 s28, exec_lo
	s_wait_dscnt 0x0
	s_barrier_signal -1
	s_barrier_wait -1
	v_cmpx_ne_u32_e32 0, v0
	s_cbranch_execz .LBB641_129
; %bb.128:
	v_add_nc_u32_e32 v2, -1, v0
	s_delay_alu instid0(VALU_DEP_1) | instskip(NEXT) | instid1(VALU_DEP_1)
	v_lshrrev_b32_e32 v3, 3, v2
	v_and_b32_e32 v3, 0x1ffffffc, v3
	s_delay_alu instid0(VALU_DEP_1)
	v_lshl_add_u32 v2, v2, 2, v3
	ds_load_u16 v35, v2
	ds_load_u8 v36, v2 offset:2
.LBB641_129:
	s_or_b32 exec_lo, exec_lo, s28
	s_and_saveexec_b32 s28, vcc_lo
	s_cbranch_execz .LBB641_259
; %bb.130:
	v_mov_b32_e32 v9, 0
	v_mbcnt_lo_u32_b32 v37, -1, 0
	ds_load_b32 v2, v9 offset:1048
	v_cmp_eq_u32_e64 s19, 0, v37
	s_and_saveexec_b32 s29, s19
	s_cbranch_execz .LBB641_132
; %bb.131:
	s_add_co_i32 s39, s38, 32
	s_delay_alu instid0(SALU_CYCLE_1)
	v_dual_mov_b32 v3, 1 :: v_dual_mov_b32 v4, s39
	s_wait_dscnt 0x0
	global_store_b64 v4, v[2:3], s[24:25] scale_offset scope:SCOPE_DEV
.LBB641_132:
	s_wait_xcnt 0x0
	s_or_b32 exec_lo, exec_lo, s29
	v_xad_u32 v4, v37, -1, s38
	s_mov_b32 s29, exec_lo
	s_delay_alu instid0(VALU_DEP_1) | instskip(SKIP_4) | instid1(VALU_DEP_1)
	v_add_nc_u32_e32 v8, 32, v4
	global_load_b64 v[6:7], v8, s[24:25] scale_offset scope:SCOPE_DEV
	s_wait_loadcnt 0x0
	v_and_b32_e32 v3, 0xff, v7
	s_wait_xcnt 0x0
	v_cmpx_eq_u16_e32 0, v3
	s_cbranch_execz .LBB641_136
; %bb.133:
	v_lshl_add_u64 v[8:9], v[8:9], 3, s[24:25]
	s_mov_b32 s39, 0
.LBB641_134:                            ; =>This Inner Loop Header: Depth=1
	global_load_b64 v[6:7], v[8:9], off scope:SCOPE_DEV
	s_wait_loadcnt 0x0
	v_and_b32_e32 v3, 0xff, v7
	s_delay_alu instid0(VALU_DEP_1)
	v_cmp_ne_u16_e32 vcc_lo, 0, v3
	s_or_b32 s39, vcc_lo, s39
	s_wait_xcnt 0x0
	s_and_not1_b32 exec_lo, exec_lo, s39
	s_cbranch_execnz .LBB641_134
; %bb.135:
	s_or_b32 exec_lo, exec_lo, s39
.LBB641_136:
	s_delay_alu instid0(SALU_CYCLE_1)
	s_or_b32 exec_lo, exec_lo, s29
	v_cmp_ne_u32_e32 vcc_lo, 31, v37
	v_and_b32_e32 v46, 0xffffff, v6
	v_and_b32_e32 v5, 0xff, v7
	v_lshlrev_b32_e64 v38, v37, -1
	v_bfe_u32 v9, v6, 16, 8
	v_add_co_ci_u32_e64 v3, null, 0, v37, vcc_lo
	s_delay_alu instid0(VALU_DEP_4) | instskip(SKIP_1) | instid1(VALU_DEP_2)
	v_cmp_eq_u16_e32 vcc_lo, 2, v5
	s_mov_b32 s29, exec_lo
	v_dual_lshrrev_b32 v8, 16, v6 :: v_dual_lshlrev_b32 v3, 2, v3
	v_and_or_b32 v5, vcc_lo, v38, 0x80000000
	ds_bpermute_b32 v39, v3, v46
	v_ctz_i32_b32_e32 v5, v5
	s_delay_alu instid0(VALU_DEP_1)
	v_cmpx_lt_u32_e64 v37, v5
	s_cbranch_execz .LBB641_138
; %bb.137:
	v_and_b32_e32 v8, 0xff0000, v6
	s_delay_alu instid0(VALU_DEP_1) | instskip(SKIP_3) | instid1(VALU_DEP_1)
	v_and_b32_e32 v40, 0x10000, v8
	v_cmp_eq_u32_e32 vcc_lo, 0, v8
	s_wait_dscnt 0x0
	v_dual_lshrrev_b32 v9, 16, v39 :: v_dual_cndmask_b32 v39, 0, v39, vcc_lo
	v_and_b32_e32 v9, 1, v9
	v_cmp_ne_u32_e32 vcc_lo, 0, v40
	s_delay_alu instid0(VALU_DEP_3) | instskip(NEXT) | instid1(VALU_DEP_3)
	v_add_nc_u16 v6, v39, v6
	v_cndmask_b32_e64 v8, v9, 1, vcc_lo
	s_delay_alu instid0(VALU_DEP_2) | instskip(NEXT) | instid1(VALU_DEP_2)
	v_and_b32_e32 v39, 0xffff, v6
	v_lshlrev_b32_e32 v9, 16, v8
	s_delay_alu instid0(VALU_DEP_1)
	v_dual_mov_b32 v9, v8 :: v_dual_bitop2_b32 v46, v9, v39 bitop3:0x54
.LBB641_138:
	s_or_b32 exec_lo, exec_lo, s29
	v_cmp_gt_u32_e32 vcc_lo, 30, v37
	v_add_nc_u32_e32 v40, 2, v37
	s_mov_b32 s29, exec_lo
	s_wait_dscnt 0x0
	v_cndmask_b32_e64 v39, 0, 2, vcc_lo
	s_delay_alu instid0(VALU_DEP_1)
	v_add_lshl_u32 v39, v39, v37, 2
	ds_bpermute_b32 v41, v39, v46
	v_cmpx_le_u32_e64 v40, v5
	s_cbranch_execz .LBB641_140
; %bb.139:
	v_cmp_eq_u16_e32 vcc_lo, 0, v9
	s_wait_dscnt 0x0
	v_lshrrev_b32_e32 v8, 16, v41
	v_and_b32_e32 v9, 1, v9
	s_delay_alu instid0(VALU_DEP_2) | instskip(NEXT) | instid1(VALU_DEP_2)
	v_dual_cndmask_b32 v41, 0, v41, vcc_lo :: v_dual_bitop2_b32 v8, 1, v8 bitop3:0x40
	v_cmp_eq_u32_e32 vcc_lo, 1, v9
	s_delay_alu instid0(VALU_DEP_2) | instskip(NEXT) | instid1(VALU_DEP_3)
	v_add_nc_u16 v6, v41, v6
	v_cndmask_b32_e64 v8, v8, 1, vcc_lo
	s_delay_alu instid0(VALU_DEP_2) | instskip(NEXT) | instid1(VALU_DEP_2)
	v_and_b32_e32 v9, 0xffff, v6
	v_lshlrev_b32_e32 v41, 16, v8
	s_delay_alu instid0(VALU_DEP_1)
	v_dual_mov_b32 v9, v8 :: v_dual_bitop2_b32 v46, v41, v9 bitop3:0x54
.LBB641_140:
	s_or_b32 exec_lo, exec_lo, s29
	v_cmp_gt_u32_e32 vcc_lo, 28, v37
	v_add_nc_u32_e32 v42, 4, v37
	s_mov_b32 s29, exec_lo
	s_wait_dscnt 0x0
	v_cndmask_b32_e64 v41, 0, 4, vcc_lo
	s_delay_alu instid0(VALU_DEP_1)
	v_add_lshl_u32 v41, v41, v37, 2
	ds_bpermute_b32 v43, v41, v46
	v_cmpx_le_u32_e64 v42, v5
	s_cbranch_execz .LBB641_142
; %bb.141:
	v_cmp_eq_u16_e32 vcc_lo, 0, v9
	s_wait_dscnt 0x0
	v_dual_lshrrev_b32 v8, 16, v43 :: v_dual_bitop2_b32 v9, 1, v9 bitop3:0x40
	s_delay_alu instid0(VALU_DEP_1) | instskip(NEXT) | instid1(VALU_DEP_2)
	v_dual_cndmask_b32 v43, 0, v43, vcc_lo :: v_dual_bitop2_b32 v8, 1, v8 bitop3:0x40
	v_cmp_eq_u32_e32 vcc_lo, 1, v9
	s_delay_alu instid0(VALU_DEP_2) | instskip(NEXT) | instid1(VALU_DEP_3)
	v_add_nc_u16 v6, v43, v6
	v_cndmask_b32_e64 v8, v8, 1, vcc_lo
	s_delay_alu instid0(VALU_DEP_2) | instskip(NEXT) | instid1(VALU_DEP_2)
	v_and_b32_e32 v9, 0xffff, v6
	v_lshlrev_b32_e32 v43, 16, v8
	s_delay_alu instid0(VALU_DEP_1)
	v_dual_mov_b32 v9, v8 :: v_dual_bitop2_b32 v46, v43, v9 bitop3:0x54
.LBB641_142:
	s_or_b32 exec_lo, exec_lo, s29
	v_cmp_gt_u32_e32 vcc_lo, 24, v37
	v_add_nc_u32_e32 v44, 8, v37
	s_mov_b32 s29, exec_lo
	s_wait_dscnt 0x0
	v_cndmask_b32_e64 v43, 0, 8, vcc_lo
	s_delay_alu instid0(VALU_DEP_1)
	v_add_lshl_u32 v43, v43, v37, 2
	ds_bpermute_b32 v45, v43, v46
	v_cmpx_le_u32_e64 v44, v5
	s_cbranch_execz .LBB641_144
; %bb.143:
	v_cmp_eq_u16_e32 vcc_lo, 0, v9
	s_wait_dscnt 0x0
	v_lshrrev_b32_e32 v8, 16, v45
	v_and_b32_e32 v9, 1, v9
	s_delay_alu instid0(VALU_DEP_2) | instskip(NEXT) | instid1(VALU_DEP_2)
	v_dual_cndmask_b32 v45, 0, v45, vcc_lo :: v_dual_bitop2_b32 v8, 1, v8 bitop3:0x40
	v_cmp_eq_u32_e32 vcc_lo, 1, v9
	s_delay_alu instid0(VALU_DEP_2) | instskip(NEXT) | instid1(VALU_DEP_3)
	v_add_nc_u16 v6, v45, v6
	v_cndmask_b32_e64 v8, v8, 1, vcc_lo
	s_delay_alu instid0(VALU_DEP_2) | instskip(NEXT) | instid1(VALU_DEP_2)
	v_and_b32_e32 v9, 0xffff, v6
	v_lshlrev_b32_e32 v45, 16, v8
	s_delay_alu instid0(VALU_DEP_1)
	v_dual_mov_b32 v9, v8 :: v_dual_bitop2_b32 v46, v45, v9 bitop3:0x54
.LBB641_144:
	s_or_b32 exec_lo, exec_lo, s29
	s_wait_dscnt 0x0
	v_lshl_or_b32 v45, v37, 2, 64
	v_add_nc_u32_e32 v47, 16, v37
	s_mov_b32 s29, exec_lo
	ds_bpermute_b32 v46, v45, v46
	v_cmpx_le_u32_e64 v47, v5
	s_cbranch_execz .LBB641_146
; %bb.145:
	v_cmp_eq_u16_e32 vcc_lo, 0, v9
	s_wait_dscnt 0x0
	v_dual_lshrrev_b32 v5, 16, v46 :: v_dual_bitop2_b32 v9, 1, v9 bitop3:0x40
	s_delay_alu instid0(VALU_DEP_1) | instskip(NEXT) | instid1(VALU_DEP_2)
	v_dual_cndmask_b32 v8, 0, v46, vcc_lo :: v_dual_bitop2_b32 v5, 1, v5 bitop3:0x40
	v_cmp_eq_u32_e32 vcc_lo, 1, v9
	s_delay_alu instid0(VALU_DEP_2) | instskip(NEXT) | instid1(VALU_DEP_3)
	v_add_nc_u16 v6, v8, v6
	v_cndmask_b32_e64 v8, v5, 1, vcc_lo
.LBB641_146:
	s_or_b32 exec_lo, exec_lo, s29
	v_mov_b32_e32 v5, 0
	s_branch .LBB641_149
.LBB641_147:                            ;   in Loop: Header=BB641_149 Depth=1
	s_or_b32 exec_lo, exec_lo, s29
	v_and_b32_e32 v8, 0xff, v46
	v_subrev_nc_u32_e32 v4, 32, v4
	s_mov_b32 s29, 0
	v_and_b32_e32 v9, 1, v9
	s_delay_alu instid0(VALU_DEP_3) | instskip(SKIP_2) | instid1(VALU_DEP_2)
	v_cmp_eq_u16_e32 vcc_lo, 0, v8
	v_and_b32_e32 v8, 1, v46
	v_cndmask_b32_e32 v6, 0, v6, vcc_lo
	v_cmp_eq_u32_e32 vcc_lo, 1, v8
	s_delay_alu instid0(VALU_DEP_2)
	v_add_nc_u16 v6, v6, v48
	v_cndmask_b32_e64 v8, v9, 1, vcc_lo
.LBB641_148:                            ;   in Loop: Header=BB641_149 Depth=1
	s_and_b32 vcc_lo, exec_lo, s29
	s_cbranch_vccnz .LBB641_255
.LBB641_149:                            ; =>This Loop Header: Depth=1
                                        ;     Child Loop BB641_152 Depth 2
	v_and_b32_e32 v7, 0xff, v7
	s_wait_dscnt 0x0
	v_dual_mov_b32 v46, v8 :: v_dual_mov_b32 v48, v6
	s_mov_b32 s29, -1
                                        ; implicit-def: $vgpr8
	s_delay_alu instid0(VALU_DEP_2)
	v_cmp_ne_u16_e32 vcc_lo, 2, v7
                                        ; implicit-def: $vgpr6
	s_cmp_lg_u32 vcc_lo, exec_lo
	s_cbranch_scc1 .LBB641_148
; %bb.150:                              ;   in Loop: Header=BB641_149 Depth=1
	global_load_b64 v[6:7], v4, s[24:25] scale_offset scope:SCOPE_DEV
	s_mov_b32 s29, exec_lo
	s_wait_loadcnt 0x0
	v_and_b32_e32 v8, 0xff, v7
	s_wait_xcnt 0x0
	s_delay_alu instid0(VALU_DEP_1)
	v_cmpx_eq_u16_e32 0, v8
	s_cbranch_execz .LBB641_154
; %bb.151:                              ;   in Loop: Header=BB641_149 Depth=1
	v_lshl_add_u64 v[8:9], v[4:5], 3, s[24:25]
	s_mov_b32 s39, 0
.LBB641_152:                            ;   Parent Loop BB641_149 Depth=1
                                        ; =>  This Inner Loop Header: Depth=2
	global_load_b64 v[6:7], v[8:9], off scope:SCOPE_DEV
	s_wait_loadcnt 0x0
	v_and_b32_e32 v49, 0xff, v7
	s_delay_alu instid0(VALU_DEP_1)
	v_cmp_ne_u16_e32 vcc_lo, 0, v49
	s_or_b32 s39, vcc_lo, s39
	s_wait_xcnt 0x0
	s_and_not1_b32 exec_lo, exec_lo, s39
	s_cbranch_execnz .LBB641_152
; %bb.153:                              ;   in Loop: Header=BB641_149 Depth=1
	s_or_b32 exec_lo, exec_lo, s39
.LBB641_154:                            ;   in Loop: Header=BB641_149 Depth=1
	s_delay_alu instid0(SALU_CYCLE_1)
	s_or_b32 exec_lo, exec_lo, s29
	v_and_b32_e32 v50, 0xffffff, v6
	v_and_b32_e32 v8, 0xff, v7
	v_lshrrev_b32_e32 v9, 16, v6
	v_bfe_u32 v49, v6, 16, 8
	s_mov_b32 s29, exec_lo
	ds_bpermute_b32 v51, v3, v50
	v_cmp_eq_u16_e32 vcc_lo, 2, v8
	v_and_or_b32 v8, vcc_lo, v38, 0x80000000
	s_delay_alu instid0(VALU_DEP_1) | instskip(NEXT) | instid1(VALU_DEP_1)
	v_ctz_i32_b32_e32 v8, v8
	v_cmpx_lt_u32_e64 v37, v8
	s_cbranch_execz .LBB641_156
; %bb.155:                              ;   in Loop: Header=BB641_149 Depth=1
	v_and_b32_e32 v9, 0xff0000, v6
	s_delay_alu instid0(VALU_DEP_1) | instskip(SKIP_3) | instid1(VALU_DEP_1)
	v_and_b32_e32 v50, 0x10000, v9
	v_cmp_eq_u32_e32 vcc_lo, 0, v9
	s_wait_dscnt 0x0
	v_dual_lshrrev_b32 v49, 16, v51 :: v_dual_cndmask_b32 v51, 0, v51, vcc_lo
	v_and_b32_e32 v49, 1, v49
	v_cmp_ne_u32_e32 vcc_lo, 0, v50
	s_delay_alu instid0(VALU_DEP_3) | instskip(NEXT) | instid1(VALU_DEP_3)
	v_add_nc_u16 v6, v51, v6
	v_cndmask_b32_e64 v9, v49, 1, vcc_lo
	s_delay_alu instid0(VALU_DEP_2) | instskip(NEXT) | instid1(VALU_DEP_2)
	v_and_b32_e32 v50, 0xffff, v6
	v_lshlrev_b32_e32 v49, 16, v9
	s_delay_alu instid0(VALU_DEP_1)
	v_or_b32_e32 v50, v49, v50
	v_mov_b32_e32 v49, v9
.LBB641_156:                            ;   in Loop: Header=BB641_149 Depth=1
	s_or_b32 exec_lo, exec_lo, s29
	s_wait_dscnt 0x0
	ds_bpermute_b32 v51, v39, v50
	s_mov_b32 s29, exec_lo
	v_cmpx_le_u32_e64 v40, v8
	s_cbranch_execz .LBB641_158
; %bb.157:                              ;   in Loop: Header=BB641_149 Depth=1
	v_cmp_eq_u16_e32 vcc_lo, 0, v49
	s_wait_dscnt 0x0
	v_dual_lshrrev_b32 v9, 16, v51 :: v_dual_bitop2_b32 v49, 1, v49 bitop3:0x40
	s_delay_alu instid0(VALU_DEP_1) | instskip(NEXT) | instid1(VALU_DEP_2)
	v_dual_cndmask_b32 v50, 0, v51, vcc_lo :: v_dual_bitop2_b32 v9, 1, v9 bitop3:0x40
	v_cmp_eq_u32_e32 vcc_lo, 1, v49
	s_delay_alu instid0(VALU_DEP_2) | instskip(NEXT) | instid1(VALU_DEP_3)
	v_add_nc_u16 v6, v50, v6
	v_cndmask_b32_e64 v9, v9, 1, vcc_lo
	s_delay_alu instid0(VALU_DEP_2) | instskip(NEXT) | instid1(VALU_DEP_2)
	v_and_b32_e32 v49, 0xffff, v6
	v_lshlrev_b32_e32 v50, 16, v9
	s_delay_alu instid0(VALU_DEP_1)
	v_dual_mov_b32 v49, v9 :: v_dual_bitop2_b32 v50, v50, v49 bitop3:0x54
.LBB641_158:                            ;   in Loop: Header=BB641_149 Depth=1
	s_or_b32 exec_lo, exec_lo, s29
	s_wait_dscnt 0x0
	ds_bpermute_b32 v51, v41, v50
	s_mov_b32 s29, exec_lo
	v_cmpx_le_u32_e64 v42, v8
	s_cbranch_execz .LBB641_160
; %bb.159:                              ;   in Loop: Header=BB641_149 Depth=1
	v_cmp_eq_u16_e32 vcc_lo, 0, v49
	s_wait_dscnt 0x0
	v_dual_lshrrev_b32 v9, 16, v51 :: v_dual_bitop2_b32 v49, 1, v49 bitop3:0x40
	s_delay_alu instid0(VALU_DEP_1) | instskip(NEXT) | instid1(VALU_DEP_2)
	v_dual_cndmask_b32 v50, 0, v51, vcc_lo :: v_dual_bitop2_b32 v9, 1, v9 bitop3:0x40
	v_cmp_eq_u32_e32 vcc_lo, 1, v49
	s_delay_alu instid0(VALU_DEP_2) | instskip(NEXT) | instid1(VALU_DEP_3)
	v_add_nc_u16 v6, v50, v6
	v_cndmask_b32_e64 v9, v9, 1, vcc_lo
	s_delay_alu instid0(VALU_DEP_2) | instskip(NEXT) | instid1(VALU_DEP_2)
	v_and_b32_e32 v49, 0xffff, v6
	v_lshlrev_b32_e32 v50, 16, v9
	s_delay_alu instid0(VALU_DEP_1)
	v_dual_mov_b32 v49, v9 :: v_dual_bitop2_b32 v50, v50, v49 bitop3:0x54
.LBB641_160:                            ;   in Loop: Header=BB641_149 Depth=1
	;; [unrolled: 22-line block ×3, first 2 shown]
	s_or_b32 exec_lo, exec_lo, s29
	ds_bpermute_b32 v50, v45, v50
	s_mov_b32 s29, exec_lo
	v_cmpx_le_u32_e64 v47, v8
	s_cbranch_execz .LBB641_147
; %bb.163:                              ;   in Loop: Header=BB641_149 Depth=1
	v_cmp_eq_u16_e32 vcc_lo, 0, v49
	s_wait_dscnt 0x0
	v_dual_lshrrev_b32 v49, 16, v50 :: v_dual_bitop2_b32 v9, 1, v49 bitop3:0x40
	v_cndmask_b32_e32 v8, 0, v50, vcc_lo
	s_delay_alu instid0(VALU_DEP_2) | instskip(NEXT) | instid1(VALU_DEP_2)
	v_cmp_eq_u32_e32 vcc_lo, 1, v9
	v_add_nc_u16 v6, v8, v6
	s_delay_alu instid0(VALU_DEP_4)
	v_cndmask_b32_e64 v9, v49, 1, vcc_lo
	s_branch .LBB641_147
.LBB641_164:
	s_or_b32 exec_lo, exec_lo, s19
                                        ; implicit-def: $vgpr11
	s_and_saveexec_b32 s19, s0
	s_cbranch_execz .LBB641_45
.LBB641_165:
	flat_load_u16 v11, v0, s[28:29] offset:512 scale_offset
	s_wait_xcnt 0x0
	s_or_b32 exec_lo, exec_lo, s19
                                        ; implicit-def: $vgpr12
	s_and_saveexec_b32 s0, s1
	s_cbranch_execnz .LBB641_46
.LBB641_166:
	s_or_b32 exec_lo, exec_lo, s0
                                        ; implicit-def: $vgpr13
	s_and_saveexec_b32 s0, s2
	s_cbranch_execz .LBB641_47
.LBB641_167:
	flat_load_u16 v13, v0, s[28:29] offset:1536 scale_offset
	s_wait_xcnt 0x0
	s_or_b32 exec_lo, exec_lo, s0
                                        ; implicit-def: $vgpr16
	s_and_saveexec_b32 s0, s3
	s_cbranch_execnz .LBB641_48
.LBB641_168:
	s_or_b32 exec_lo, exec_lo, s0
                                        ; implicit-def: $vgpr17
	s_and_saveexec_b32 s0, s4
	s_cbranch_execz .LBB641_49
.LBB641_169:
	flat_load_u16 v17, v0, s[28:29] offset:2560 scale_offset
	s_wait_xcnt 0x0
	s_or_b32 exec_lo, exec_lo, s0
                                        ; implicit-def: $vgpr18
	s_and_saveexec_b32 s0, s5
	s_cbranch_execnz .LBB641_50
.LBB641_170:
	s_or_b32 exec_lo, exec_lo, s0
                                        ; implicit-def: $vgpr19
	s_and_saveexec_b32 s0, s6
	s_cbranch_execz .LBB641_51
.LBB641_171:
	flat_load_u16 v19, v0, s[28:29] offset:3584 scale_offset
	s_wait_xcnt 0x0
	s_or_b32 exec_lo, exec_lo, s0
                                        ; implicit-def: $vgpr20
	s_and_saveexec_b32 s0, s7
	s_cbranch_execnz .LBB641_52
.LBB641_172:
	s_or_b32 exec_lo, exec_lo, s0
                                        ; implicit-def: $vgpr21
	s_and_saveexec_b32 s0, s8
	s_cbranch_execz .LBB641_53
.LBB641_173:
	flat_load_u16 v21, v0, s[28:29] offset:4608 scale_offset
	s_wait_xcnt 0x0
	s_or_b32 exec_lo, exec_lo, s0
                                        ; implicit-def: $vgpr22
	s_and_saveexec_b32 s0, s9
	s_cbranch_execnz .LBB641_54
.LBB641_174:
	s_or_b32 exec_lo, exec_lo, s0
                                        ; implicit-def: $vgpr23
	s_and_saveexec_b32 s0, s10
	s_cbranch_execz .LBB641_55
.LBB641_175:
	flat_load_u16 v23, v0, s[28:29] offset:5632 scale_offset
	s_wait_xcnt 0x0
	s_or_b32 exec_lo, exec_lo, s0
                                        ; implicit-def: $vgpr24
	s_and_saveexec_b32 s0, s11
	s_cbranch_execnz .LBB641_56
.LBB641_176:
	s_or_b32 exec_lo, exec_lo, s0
                                        ; implicit-def: $vgpr25
	s_and_saveexec_b32 s0, s12
	s_cbranch_execz .LBB641_57
.LBB641_177:
	flat_load_u16 v25, v0, s[28:29] offset:6656 scale_offset
	s_wait_xcnt 0x0
	s_or_b32 exec_lo, exec_lo, s0
                                        ; implicit-def: $vgpr26
	s_and_saveexec_b32 s0, s13
	s_cbranch_execnz .LBB641_58
.LBB641_178:
	s_or_b32 exec_lo, exec_lo, s0
                                        ; implicit-def: $vgpr27
	s_and_saveexec_b32 s0, s14
	s_cbranch_execz .LBB641_59
.LBB641_179:
	flat_load_u16 v27, v0, s[28:29] offset:7680 scale_offset
	s_wait_xcnt 0x0
	s_or_b32 exec_lo, exec_lo, s0
                                        ; implicit-def: $vgpr28
	s_and_saveexec_b32 s0, s15
	s_cbranch_execnz .LBB641_60
.LBB641_180:
	s_or_b32 exec_lo, exec_lo, s0
                                        ; implicit-def: $vgpr29
	s_and_saveexec_b32 s0, s16
	s_cbranch_execz .LBB641_61
.LBB641_181:
	flat_load_u16 v29, v0, s[28:29] offset:8704 scale_offset
	s_wait_xcnt 0x0
	s_or_b32 exec_lo, exec_lo, s0
                                        ; implicit-def: $vgpr30
	s_and_saveexec_b32 s0, s17
	s_cbranch_execz .LBB641_63
	s_branch .LBB641_62
.LBB641_182:
                                        ; implicit-def: $vgpr4
                                        ; implicit-def: $vgpr5
                                        ; implicit-def: $vgpr6
                                        ; implicit-def: $vgpr7
                                        ; implicit-def: $vgpr8
                                        ; implicit-def: $vgpr9
                                        ; implicit-def: $vgpr36
                                        ; implicit-def: $vgpr38
                                        ; implicit-def: $vgpr35
                                        ; implicit-def: $vgpr37
                                        ; implicit-def: $vgpr39
                                        ; implicit-def: $vgpr40
                                        ; implicit-def: $vgpr41
                                        ; implicit-def: $vgpr42
                                        ; implicit-def: $vgpr43
                                        ; implicit-def: $vgpr45
                                        ; implicit-def: $vgpr44
                                        ; implicit-def: $vgpr46
                                        ; implicit-def: $vgpr47
                                        ; implicit-def: $vgpr48
	s_cbranch_execnz .LBB641_260
.LBB641_183:
	s_add_nc_u64 s[0:1], s[22:23], s[34:35]
	s_and_b32 vcc_lo, exec_lo, s27
	s_add_nc_u64 s[0:1], s[0:1], s[20:21]
	s_cbranch_vccz .LBB641_279
.LBB641_184:
	v_mul_u32_u24_e32 v1, 20, v0
	s_add_co_i32 s33, s33, s26
	s_mov_b32 s2, exec_lo
	s_delay_alu instid0(VALU_DEP_1)
	v_cmpx_gt_u32_e64 s33, v1
	s_cbranch_execz .LBB641_216
; %bb.185:
	v_or_b32_e32 v2, 1, v1
	s_mov_b32 s3, exec_lo
	s_delay_alu instid0(VALU_DEP_1)
	v_cmpx_gt_u32_e64 s33, v2
	s_cbranch_execz .LBB641_215
; %bb.186:
	v_or_b32_e32 v2, 2, v1
	;; [unrolled: 6-line block ×3, first 2 shown]
	s_mov_b32 s5, exec_lo
	s_delay_alu instid0(VALU_DEP_1)
	v_cmpx_gt_u32_e64 s33, v2
	s_cbranch_execz .LBB641_213
; %bb.188:
	v_add_nc_u32_e32 v2, 4, v1
	s_mov_b32 s6, exec_lo
	s_delay_alu instid0(VALU_DEP_1)
	v_cmpx_gt_u32_e64 s33, v2
	s_cbranch_execz .LBB641_212
; %bb.189:
	v_add_nc_u32_e32 v2, 5, v1
	;; [unrolled: 6-line block ×12, first 2 shown]
	s_mov_b32 s17, exec_lo
	s_delay_alu instid0(VALU_DEP_1)
	v_cmpx_gt_u32_e64 s33, v2
; %bb.200:
	v_add_nc_u32_e32 v2, 16, v1
	s_mov_b32 s18, exec_lo
	s_delay_alu instid0(VALU_DEP_1)
	v_cmpx_gt_u32_e64 s33, v2
	s_or_b32 exec_lo, exec_lo, s18
; %bb.201:
	s_delay_alu instid0(SALU_CYCLE_1)
	s_or_b32 exec_lo, exec_lo, s17
.LBB641_202:
	s_delay_alu instid0(SALU_CYCLE_1)
	s_or_b32 exec_lo, exec_lo, s16
.LBB641_203:
	s_delay_alu instid0(SALU_CYCLE_1)
	s_or_b32 exec_lo, exec_lo, s15
.LBB641_204:
	s_delay_alu instid0(SALU_CYCLE_1)
	s_or_b32 exec_lo, exec_lo, s14
.LBB641_205:
	s_delay_alu instid0(SALU_CYCLE_1)
	s_or_b32 exec_lo, exec_lo, s13
.LBB641_206:
	s_delay_alu instid0(SALU_CYCLE_1)
	s_or_b32 exec_lo, exec_lo, s12
.LBB641_207:
	s_delay_alu instid0(SALU_CYCLE_1)
	s_or_b32 exec_lo, exec_lo, s11
.LBB641_208:
	s_delay_alu instid0(SALU_CYCLE_1)
	s_or_b32 exec_lo, exec_lo, s10
.LBB641_209:
	s_delay_alu instid0(SALU_CYCLE_1)
	s_or_b32 exec_lo, exec_lo, s9
.LBB641_210:
	s_delay_alu instid0(SALU_CYCLE_1)
	s_or_b32 exec_lo, exec_lo, s8
.LBB641_211:
	s_delay_alu instid0(SALU_CYCLE_1)
	s_or_b32 exec_lo, exec_lo, s7
.LBB641_212:
	s_delay_alu instid0(SALU_CYCLE_1)
	s_or_b32 exec_lo, exec_lo, s6
.LBB641_213:
	s_delay_alu instid0(SALU_CYCLE_1)
	s_or_b32 exec_lo, exec_lo, s5
.LBB641_214:
	s_delay_alu instid0(SALU_CYCLE_1)
	s_or_b32 exec_lo, exec_lo, s4
.LBB641_215:
	s_delay_alu instid0(SALU_CYCLE_1)
	s_or_b32 exec_lo, exec_lo, s3
.LBB641_216:
	s_delay_alu instid0(SALU_CYCLE_1)
	s_or_b32 exec_lo, exec_lo, s2
	v_dual_lshlrev_b32 v27, 1, v1 :: v_dual_mov_b32 v19, 0
	v_perm_b32 v3, v38, v36, 0x5040100
	v_perm_b32 v2, v9, v8, 0x5040100
	;; [unrolled: 1-line block ×4, first 2 shown]
	v_mad_i32_i24 v1, 0xffffffda, v0, v27
	v_perm_b32 v13, v45, v43, 0x5040100
	v_perm_b32 v12, v42, v41, 0x5040100
	;; [unrolled: 1-line block ×6, first 2 shown]
	s_wait_storecnt 0x0
	s_barrier_signal -1
	s_barrier_wait -1
	ds_store_2addr_b64 v27, v[10:11], v[2:3] offset1:1
	ds_store_2addr_b64 v27, v[14:15], v[12:13] offset0:2 offset1:3
	ds_store_b64 v27, v[16:17] offset:32
	s_wait_dscnt 0x0
	s_barrier_signal -1
	s_barrier_wait -1
	ds_load_u16 v30, v1 offset:512
	ds_load_u16 v29, v1 offset:1024
	;; [unrolled: 1-line block ×19, first 2 shown]
	v_add_nc_u64_e32 v[2:3], s[0:1], v[18:19]
	s_mov_b32 s2, exec_lo
	v_cmpx_gt_u32_e64 s33, v0
	s_cbranch_execz .LBB641_218
; %bb.217:
	v_mul_i32_i24_e32 v18, 0xffffffda, v0
	s_delay_alu instid0(VALU_DEP_1)
	v_add_nc_u32_e32 v18, v27, v18
	ds_load_u16 v18, v18
	s_wait_dscnt 0x0
	flat_store_b16 v[2:3], v18
.LBB641_218:
	s_wait_xcnt 0x0
	s_or_b32 exec_lo, exec_lo, s2
	v_or_b32_e32 v18, 0x100, v0
	s_mov_b32 s2, exec_lo
	s_delay_alu instid0(VALU_DEP_1)
	v_cmpx_gt_u32_e64 s33, v18
	s_cbranch_execz .LBB641_220
; %bb.219:
	s_wait_dscnt 0x12
	flat_store_b16 v[2:3], v30 offset:512
.LBB641_220:
	s_wait_xcnt 0x0
	s_or_b32 exec_lo, exec_lo, s2
	v_or_b32_e32 v18, 0x200, v0
	s_mov_b32 s2, exec_lo
	s_delay_alu instid0(VALU_DEP_1)
	v_cmpx_gt_u32_e64 s33, v18
	s_cbranch_execz .LBB641_222
; %bb.221:
	s_wait_dscnt 0x11
	flat_store_b16 v[2:3], v29 offset:1024
.LBB641_222:
	;; [unrolled: 11-line block ×11, first 2 shown]
	s_wait_xcnt 0x0
	s_or_b32 exec_lo, exec_lo, s2
	s_wait_dscnt 0x8
	v_or_b32_e32 v17, 0xc00, v0
	s_mov_b32 s2, exec_lo
	s_delay_alu instid0(VALU_DEP_1)
	v_cmpx_gt_u32_e64 s33, v17
	s_cbranch_execz .LBB641_242
; %bb.241:
	s_wait_dscnt 0x7
	flat_store_b16 v[2:3], v16 offset:6144
.LBB641_242:
	s_wait_xcnt 0x0
	s_or_b32 exec_lo, exec_lo, s2
	s_wait_dscnt 0x7
	v_or_b32_e32 v16, 0xd00, v0
	s_mov_b32 s2, exec_lo
	s_delay_alu instid0(VALU_DEP_1)
	v_cmpx_gt_u32_e64 s33, v16
	s_cbranch_execz .LBB641_244
; %bb.243:
	s_wait_dscnt 0x6
	flat_store_b16 v[2:3], v15 offset:6656
.LBB641_244:
	;; [unrolled: 12-line block ×7, first 2 shown]
	s_wait_xcnt 0x0
	s_or_b32 exec_lo, exec_lo, s2
	v_or_b32_e32 v2, 0x1300, v0
	s_delay_alu instid0(VALU_DEP_1)
	v_cmp_gt_u32_e64 s2, s33, v2
	s_branch .LBB641_281
.LBB641_255:
	s_and_saveexec_b32 s29, s19
	s_cbranch_execz .LBB641_257
; %bb.256:
	v_and_b32_e32 v3, 0xff0000, v2
	v_and_b32_e32 v5, 0x10000, v2
	s_add_co_i32 s19, s38, 32
	s_delay_alu instid0(VALU_DEP_2) | instskip(SKIP_1) | instid1(VALU_DEP_1)
	v_cmp_eq_u32_e32 vcc_lo, 0, v3
	v_dual_cndmask_b32 v3, 0, v48, vcc_lo :: v_dual_bitop2_b32 v4, 1, v46 bitop3:0x40
	v_lshlrev_b32_e32 v4, 16, v4
	v_cmp_eq_u32_e32 vcc_lo, 0, v5
	s_delay_alu instid0(VALU_DEP_3) | instskip(NEXT) | instid1(VALU_DEP_3)
	v_add_nc_u16 v2, v3, v2
	v_dual_mov_b32 v3, 2 :: v_dual_cndmask_b32 v4, 0x10000, v4
	s_delay_alu instid0(VALU_DEP_2) | instskip(NEXT) | instid1(VALU_DEP_1)
	v_and_b32_e32 v2, 0xffff, v2
	v_dual_mov_b32 v4, s19 :: v_dual_bitop2_b32 v2, v4, v2 bitop3:0x54
	global_store_b64 v4, v[2:3], s[24:25] scale_offset scope:SCOPE_DEV
.LBB641_257:
	s_wait_xcnt 0x0
	s_or_b32 exec_lo, exec_lo, s29
	s_delay_alu instid0(SALU_CYCLE_1)
	s_and_b32 exec_lo, exec_lo, s18
	s_cbranch_execz .LBB641_259
; %bb.258:
	v_mov_b32_e32 v2, 0
	ds_store_b16 v2, v48
	ds_store_b8 v2, v46 offset:2
.LBB641_259:
	s_or_b32 exec_lo, exec_lo, s28
	v_mov_b32_e32 v2, 0
	s_wait_storecnt_dscnt 0x0
	s_barrier_signal -1
	s_barrier_wait -1
	ds_load_b32 v2, v2
	v_and_b32_e32 v3, 0xff, v36
	v_and_b32_e32 v5, 0xff0000, v31
	s_delay_alu instid0(VALU_DEP_2) | instskip(SKIP_2) | instid1(VALU_DEP_3)
	v_cmp_eq_u16_e32 vcc_lo, 0, v3
	s_wait_dscnt 0x0
	v_cndmask_b32_e32 v3, 0, v2, vcc_lo
	v_cmp_eq_u32_e32 vcc_lo, 0, v5
	s_delay_alu instid0(VALU_DEP_2) | instskip(NEXT) | instid1(VALU_DEP_1)
	v_add_nc_u16 v3, v3, v35
	v_cndmask_b32_e64 v4, v3, v2, s18
	s_delay_alu instid0(VALU_DEP_1) | instskip(NEXT) | instid1(VALU_DEP_1)
	v_cndmask_b32_e32 v2, 0, v4, vcc_lo
	v_add_nc_u16 v5, v2, v31
	s_delay_alu instid0(VALU_DEP_1) | instskip(NEXT) | instid1(VALU_DEP_1)
	v_cndmask_b32_e64 v2, 0, v5, s17
	v_add_nc_u16 v6, v2, v11
	s_delay_alu instid0(VALU_DEP_1) | instskip(NEXT) | instid1(VALU_DEP_1)
	v_cndmask_b32_e64 v2, 0, v6, s16
	;; [unrolled: 3-line block ×18, first 2 shown]
	v_add_nc_u16 v48, v2, v1
	s_branch .LBB641_183
.LBB641_260:
	s_cmp_eq_u64 s[36:37], 0
	v_mov_b32_e32 v2, s42
	s_cselect_b32 s0, -1, 0
	s_cmp_eq_u64 s[30:31], 0
	s_cselect_b32 s1, -1, 0
	s_delay_alu instid0(SALU_CYCLE_1) | instskip(NEXT) | instid1(SALU_CYCLE_1)
	s_or_b32 s0, s0, s1
	s_and_b32 vcc_lo, exec_lo, s0
	s_cbranch_vccnz .LBB641_262
; %bb.261:
	v_mov_b32_e32 v2, 0
	global_load_u16 v2, v2, s[30:31]
.LBB641_262:
	v_cmp_gt_u32_e32 vcc_lo, 0x10000, v11
	v_cmp_gt_u32_e64 s0, 0x10000, v10
	v_cmp_gt_u32_e64 s1, 0x10000, v32
	;; [unrolled: 1-line block ×4, first 2 shown]
	v_dual_cndmask_b32 v3, 0, v31, vcc_lo :: v_dual_bitop2_b32 v6, 28, v33 bitop3:0x40
	v_cmp_gt_u32_e64 s4, 0x10000, v28
	v_cmp_gt_u32_e64 s5, 0x10000, v27
	;; [unrolled: 1-line block ×3, first 2 shown]
	s_delay_alu instid0(VALU_DEP_4)
	v_add_nc_u16 v3, v3, v11
	v_cmp_gt_u32_e64 s7, 0x10000, v25
	v_cmp_gt_u32_e64 s8, 0x10000, v24
	;; [unrolled: 1-line block ×4, first 2 shown]
	v_cndmask_b32_e64 v3, 0, v3, s0
	v_cmp_gt_u32_e64 s11, 0x10000, v21
	v_cmp_gt_u32_e64 s12, 0x10000, v20
	;; [unrolled: 1-line block ×4, first 2 shown]
	v_add_nc_u16 v3, v3, v10
	v_cmp_gt_u32_e64 s15, 0x10000, v16
	v_or3_b32 v4, v34, v22, v23
	v_or3_b32 v5, v15, v30, v32
	v_cmp_gt_u32_e64 s16, 0x10000, v1
	v_cndmask_b32_e64 v3, 0, v3, s1
	v_cmp_gt_u32_e64 s17, 0x10000, v12
	v_or3_b32 v4, v4, v24, v25
	v_or3_b32 v5, v5, v10, v11
	v_lshl_add_u32 v6, v0, 2, v6
	v_add_nc_u16 v3, v3, v32
	s_mov_b32 s18, exec_lo
	v_or3_b32 v4, v12, v13, v4
	s_delay_alu instid0(VALU_DEP_2) | instskip(NEXT) | instid1(VALU_DEP_2)
	v_cndmask_b32_e64 v3, 0, v3, s2
	v_bitop3_b32 v5, v4, 0xff0000, v5 bitop3:0xc8
	s_delay_alu instid0(VALU_DEP_2) | instskip(NEXT) | instid1(VALU_DEP_1)
	v_add_nc_u16 v3, v3, v30
	v_cndmask_b32_e64 v3, 0, v3, s3
	s_delay_alu instid0(VALU_DEP_1) | instskip(NEXT) | instid1(VALU_DEP_1)
	v_add_nc_u16 v3, v3, v29
	v_cndmask_b32_e64 v3, 0, v3, s4
	s_delay_alu instid0(VALU_DEP_1) | instskip(NEXT) | instid1(VALU_DEP_1)
	;; [unrolled: 3-line block ×14, first 2 shown]
	v_add_nc_u16 v3, v3, v1
	v_cndmask_b32_e64 v3, 0, v3, s17
	v_cmp_eq_u32_e64 s17, 0, v5
	s_delay_alu instid0(VALU_DEP_2) | instskip(NEXT) | instid1(VALU_DEP_2)
	v_add_nc_u16 v4, v3, v12
	v_cndmask_b32_e64 v5, 1, v14, s17
	ds_store_b16 v6, v4
	ds_store_b8 v6, v5 offset:2
	s_wait_loadcnt_dscnt 0x0
	s_barrier_signal -1
	s_barrier_wait -1
	v_cmpx_gt_u32_e32 32, v0
	s_cbranch_execz .LBB641_274
; %bb.263:
	v_and_b32_e32 v3, 0xfc, v0
	v_lshlrev_b32_e32 v6, 5, v0
	s_mov_b32 s19, exec_lo
	s_delay_alu instid0(VALU_DEP_1)
	v_add_nc_u32_e32 v3, v3, v6
	ds_load_u8 v7, v3 offset:6
	ds_load_b32 v6, v3
	ds_load_u16 v8, v3 offset:4
	ds_load_u8 v9, v3 offset:10
	ds_load_u16 v12, v3 offset:8
	ds_load_u16 v13, v3 offset:12
	ds_load_u8 v14, v3 offset:14
	ds_load_u16 v15, v3 offset:16
	s_wait_dscnt 0x7
	v_cmp_eq_u16_e64 s17, 0, v7
	s_wait_dscnt 0x4
	s_delay_alu instid0(VALU_DEP_1) | instskip(SKIP_1) | instid1(VALU_DEP_2)
	v_dual_cndmask_b32 v33, 0, v6, s17 :: v_dual_bitop2_b32 v7, v9, v7 bitop3:0x54
	v_cmp_eq_u16_e64 s17, 0, v9
	v_add_nc_u16 v8, v33, v8
	ds_load_u8 v33, v3 offset:18
	v_cndmask_b32_e64 v8, 0, v8, s17
	s_wait_dscnt 0x2
	v_cmp_eq_u16_e64 s17, 0, v14
	s_delay_alu instid0(VALU_DEP_2) | instskip(SKIP_2) | instid1(VALU_DEP_1)
	v_add_nc_u16 v8, v8, v12
	ds_load_u8 v12, v3 offset:22
	v_cndmask_b32_e64 v8, 0, v8, s17
	v_add_nc_u16 v8, v8, v13
	s_wait_dscnt 0x1
	v_cmp_eq_u16_e64 s17, 0, v33
	ds_load_u16 v13, v3 offset:20
	ds_load_u16 v34, v3 offset:24
	ds_load_u8 v35, v3 offset:26
	ds_load_u16 v36, v3 offset:28
	ds_load_u8 v37, v3 offset:30
	v_bitop3_b16 v9, v7, v33, v14 bitop3:0xfe
	v_and_b32_e32 v7, 0x10000, v6
	v_cndmask_b32_e64 v8, 0, v8, s17
	s_delay_alu instid0(VALU_DEP_1) | instskip(SKIP_2) | instid1(VALU_DEP_1)
	v_add_nc_u16 v8, v8, v15
	s_wait_dscnt 0x5
	v_cmp_eq_u16_e64 s17, 0, v12
	v_cndmask_b32_e64 v8, 0, v8, s17
	s_wait_dscnt 0x2
	v_cmp_eq_u16_e64 s17, 0, v35
	v_bitop3_b16 v9, v9, v35, v12 bitop3:0xfe
	s_delay_alu instid0(VALU_DEP_3) | instskip(SKIP_1) | instid1(VALU_DEP_1)
	v_add_nc_u16 v8, v8, v13
	s_wait_dscnt 0x0
	v_dual_cndmask_b32 v8, 0, v8, s17 :: v_dual_bitop2_b32 v12, 1, v37 bitop3:0x40
	v_cmp_eq_u16_e64 s17, 0, v37
	s_delay_alu instid0(VALU_DEP_2) | instskip(NEXT) | instid1(VALU_DEP_1)
	v_add_nc_u16 v8, v8, v34
	v_cndmask_b32_e64 v8, 0, v8, s17
	v_cmp_eq_u16_e64 s17, 0, v9
	s_delay_alu instid0(VALU_DEP_2) | instskip(NEXT) | instid1(VALU_DEP_2)
	v_add_nc_u16 v9, v8, v36
	v_cndmask_b32_e64 v13, 0x10000, v7, s17
	v_cmp_eq_u32_e64 s17, 1, v12
	v_and_b32_e32 v8, 0xff000000, v6
	v_mbcnt_lo_u32_b32 v12, -1, 0
	v_and_b32_e32 v14, 0xffff, v9
	s_delay_alu instid0(VALU_DEP_4) | instskip(NEXT) | instid1(VALU_DEP_1)
	v_cndmask_b32_e64 v13, v13, 0x10000, s17
	v_or_b32_e32 v15, v13, v8
	s_delay_alu instid0(VALU_DEP_3) | instskip(NEXT) | instid1(VALU_DEP_2)
	v_or3_b32 v33, v8, v14, v13
	v_dual_lshrrev_b32 v14, 16, v15 :: v_dual_bitop2_b32 v13, 15, v12 bitop3:0x40
	s_delay_alu instid0(VALU_DEP_2) | instskip(NEXT) | instid1(VALU_DEP_2)
	v_mov_b32_dpp v34, v33 row_shr:1 row_mask:0xf bank_mask:0xf
	v_cmpx_ne_u32_e32 0, v13
	s_cbranch_execz .LBB641_265
; %bb.264:
	s_delay_alu instid0(VALU_DEP_2) | instskip(SKIP_1) | instid1(VALU_DEP_2)
	v_dual_lshrrev_b32 v14, 16, v15 :: v_dual_lshrrev_b32 v33, 16, v34
	v_and_b32_e32 v15, 0x10000, v15
	v_and_b32_e32 v14, 0xff, v14
	s_delay_alu instid0(VALU_DEP_1) | instskip(NEXT) | instid1(VALU_DEP_1)
	v_cmp_eq_u16_e64 s17, 0, v14
	v_dual_cndmask_b32 v34, 0, v34, s17 :: v_dual_bitop2_b32 v33, 1, v33 bitop3:0x40
	s_delay_alu instid0(VALU_DEP_4) | instskip(NEXT) | instid1(VALU_DEP_2)
	v_cmp_ne_u32_e64 s17, 0, v15
	v_add_nc_u16 v9, v34, v9
	s_delay_alu instid0(VALU_DEP_2) | instskip(NEXT) | instid1(VALU_DEP_2)
	v_cndmask_b32_e64 v14, v33, 1, s17
	v_and_b32_e32 v33, 0xffff, v9
	s_delay_alu instid0(VALU_DEP_2) | instskip(NEXT) | instid1(VALU_DEP_1)
	v_lshlrev_b32_e32 v15, 16, v14
	v_or3_b32 v33, v15, v33, v8
.LBB641_265:
	s_or_b32 exec_lo, exec_lo, s19
	s_delay_alu instid0(VALU_DEP_1)
	v_lshrrev_b32_e32 v15, 16, v33
	v_mov_b32_dpp v34, v33 row_shr:2 row_mask:0xf bank_mask:0xf
	s_mov_b32 s19, exec_lo
	v_cmpx_lt_u32_e32 1, v13
	s_cbranch_execz .LBB641_267
; %bb.266:
	v_and_b32_e32 v15, 0xff, v15
	v_and_b32_e32 v33, 0x10000, v33
	s_delay_alu instid0(VALU_DEP_2) | instskip(NEXT) | instid1(VALU_DEP_1)
	v_cmp_eq_u16_e64 s17, 0, v15
	v_dual_lshrrev_b32 v14, 16, v34 :: v_dual_cndmask_b32 v15, 0, v34, s17
	s_delay_alu instid0(VALU_DEP_1) | instskip(NEXT) | instid1(VALU_DEP_4)
	v_and_b32_e32 v14, 1, v14
	v_cmp_ne_u32_e64 s17, 0, v33
	s_delay_alu instid0(VALU_DEP_3) | instskip(NEXT) | instid1(VALU_DEP_2)
	v_add_nc_u16 v9, v15, v9
	v_cndmask_b32_e64 v14, v14, 1, s17
	s_delay_alu instid0(VALU_DEP_2) | instskip(NEXT) | instid1(VALU_DEP_2)
	v_and_b32_e32 v33, 0xffff, v9
	v_lshlrev_b32_e32 v15, 16, v14
	s_delay_alu instid0(VALU_DEP_1)
	v_or3_b32 v33, v15, v33, v8
	v_mov_b32_e32 v15, v14
.LBB641_267:
	s_or_b32 exec_lo, exec_lo, s19
	s_delay_alu instid0(VALU_DEP_2)
	v_mov_b32_dpp v34, v33 row_shr:4 row_mask:0xf bank_mask:0xf
	s_mov_b32 s19, exec_lo
	v_cmpx_lt_u32_e32 3, v13
	s_cbranch_execz .LBB641_269
; %bb.268:
	v_and_b32_e32 v33, 0xff, v15
	v_dual_lshrrev_b32 v14, 16, v34 :: v_dual_bitop2_b32 v15, 1, v15 bitop3:0x40
	s_delay_alu instid0(VALU_DEP_2) | instskip(NEXT) | instid1(VALU_DEP_2)
	v_cmp_eq_u16_e64 s17, 0, v33
	v_and_b32_e32 v14, 1, v14
	s_delay_alu instid0(VALU_DEP_2) | instskip(NEXT) | instid1(VALU_DEP_4)
	v_cndmask_b32_e64 v33, 0, v34, s17
	v_cmp_eq_u32_e64 s17, 1, v15
	s_delay_alu instid0(VALU_DEP_2) | instskip(NEXT) | instid1(VALU_DEP_2)
	v_add_nc_u16 v9, v33, v9
	v_cndmask_b32_e64 v14, v14, 1, s17
	s_delay_alu instid0(VALU_DEP_2) | instskip(NEXT) | instid1(VALU_DEP_2)
	v_and_b32_e32 v33, 0xffff, v9
	v_lshlrev_b32_e32 v15, 16, v14
	s_delay_alu instid0(VALU_DEP_1)
	v_or3_b32 v33, v15, v33, v8
	v_mov_b32_e32 v15, v14
.LBB641_269:
	s_or_b32 exec_lo, exec_lo, s19
	s_delay_alu instid0(VALU_DEP_2)
	v_mov_b32_dpp v34, v33 row_shr:8 row_mask:0xf bank_mask:0xf
	s_mov_b32 s19, exec_lo
	v_cmpx_lt_u32_e32 7, v13
	s_cbranch_execz .LBB641_271
; %bb.270:
	v_and_b32_e32 v14, 0xff, v15
	v_dual_lshrrev_b32 v13, 16, v34 :: v_dual_bitop2_b32 v15, 1, v15 bitop3:0x40
	s_delay_alu instid0(VALU_DEP_2) | instskip(NEXT) | instid1(VALU_DEP_1)
	v_cmp_eq_u16_e64 s17, 0, v14
	v_dual_cndmask_b32 v33, 0, v34, s17 :: v_dual_bitop2_b32 v13, 1, v13 bitop3:0x40
	s_delay_alu instid0(VALU_DEP_3) | instskip(NEXT) | instid1(VALU_DEP_2)
	v_cmp_eq_u32_e64 s17, 1, v15
	v_add_nc_u16 v9, v33, v9
	s_delay_alu instid0(VALU_DEP_2) | instskip(NEXT) | instid1(VALU_DEP_2)
	v_cndmask_b32_e64 v14, v13, 1, s17
	v_and_b32_e32 v15, 0xffff, v9
	s_delay_alu instid0(VALU_DEP_2) | instskip(NEXT) | instid1(VALU_DEP_1)
	v_lshlrev_b32_e32 v13, 16, v14
	v_or3_b32 v33, v13, v15, v8
	v_mov_b32_e32 v15, v14
.LBB641_271:
	s_or_b32 exec_lo, exec_lo, s19
	ds_swizzle_b32 v13, v33 offset:swizzle(BROADCAST,32,15)
	v_and_b32_e32 v33, 16, v12
	s_mov_b32 s19, exec_lo
	s_delay_alu instid0(VALU_DEP_1)
	v_cmpx_ne_u32_e32 0, v33
	s_cbranch_execz .LBB641_273
; %bb.272:
	v_and_b32_e32 v14, 0xff, v15
	s_delay_alu instid0(VALU_DEP_1) | instskip(SKIP_2) | instid1(VALU_DEP_2)
	v_cmp_eq_u16_e64 s17, 0, v14
	s_wait_dscnt 0x0
	v_dual_lshrrev_b32 v33, 16, v13 :: v_dual_bitop2_b32 v14, 1, v15 bitop3:0x40
	v_cndmask_b32_e64 v13, 0, v13, s17
	s_delay_alu instid0(VALU_DEP_2) | instskip(NEXT) | instid1(VALU_DEP_3)
	v_and_b32_e32 v15, 1, v33
	v_cmp_eq_u32_e64 s17, 1, v14
	s_delay_alu instid0(VALU_DEP_3) | instskip(NEXT) | instid1(VALU_DEP_2)
	v_add_nc_u16 v9, v13, v9
	v_cndmask_b32_e64 v14, v15, 1, s17
.LBB641_273:
	s_or_b32 exec_lo, exec_lo, s19
	s_wait_dscnt 0x0
	s_delay_alu instid0(VALU_DEP_1) | instskip(SKIP_2) | instid1(VALU_DEP_3)
	v_and_b32_e32 v13, 0xff, v14
	v_add_nc_u32_e32 v14, -1, v12
	v_and_b32_e32 v9, 0xffff, v9
	; wave barrier
	v_lshlrev_b32_e32 v13, 16, v13
	s_delay_alu instid0(VALU_DEP_3) | instskip(NEXT) | instid1(VALU_DEP_2)
	v_cmp_gt_i32_e64 s17, 0, v14
	v_or3_b32 v8, v13, v9, v8
	s_delay_alu instid0(VALU_DEP_2) | instskip(NEXT) | instid1(VALU_DEP_1)
	v_cndmask_b32_e64 v12, v14, v12, s17
	v_lshlrev_b32_e32 v9, 2, v12
	ds_bpermute_b32 v8, v9, v8
	v_and_b32_e32 v9, 0xff0000, v6
	s_delay_alu instid0(VALU_DEP_1) | instskip(SKIP_1) | instid1(VALU_DEP_1)
	v_cmp_eq_u32_e64 s17, 0, v9
	s_wait_dscnt 0x0
	v_dual_lshrrev_b32 v12, 16, v8 :: v_dual_cndmask_b32 v8, 0, v8, s17
	v_cmp_eq_u32_e64 s17, 0, v7
	s_delay_alu instid0(VALU_DEP_2) | instskip(NEXT) | instid1(VALU_DEP_3)
	v_and_b32_e32 v9, 1, v12
	v_add_nc_u16 v6, v8, v6
	s_delay_alu instid0(VALU_DEP_2) | instskip(SKIP_1) | instid1(VALU_DEP_1)
	v_cndmask_b32_e64 v7, 1, v9, s17
	v_cmp_eq_u32_e64 s17, 0, v0
	v_dual_cndmask_b32 v4, v6, v4, s17 :: v_dual_cndmask_b32 v5, v7, v5, s17
	ds_store_b16 v3, v4
	ds_store_b8 v3, v5 offset:2
	; wave barrier
	ds_load_u8 v6, v3 offset:6
	ds_load_u16 v7, v3 offset:4
	ds_load_u8 v8, v3 offset:10
	ds_load_u16 v9, v3 offset:8
	ds_load_u16 v12, v3 offset:12
	ds_load_u8 v13, v3 offset:14
	ds_load_u16 v14, v3 offset:16
	ds_load_u8 v15, v3 offset:18
	s_wait_dscnt 0x7
	v_cmp_eq_u16_e64 s17, 0, v6
	s_delay_alu instid0(VALU_DEP_1) | instskip(SKIP_2) | instid1(VALU_DEP_2)
	v_dual_cndmask_b32 v4, 0, v4, s17 :: v_dual_bitop2_b32 v6, 1, v6 bitop3:0x40
	s_wait_dscnt 0x5
	v_cmp_eq_u16_e64 s17, 0, v8
	v_add_nc_u16 v4, v4, v7
	s_delay_alu instid0(VALU_DEP_1) | instskip(SKIP_2) | instid1(VALU_DEP_2)
	v_cndmask_b32_e64 v7, 0, v4, s17
	s_wait_dscnt 0x2
	v_cmp_eq_u16_e64 s17, 0, v13
	v_add_nc_u16 v7, v7, v9
	ds_load_u8 v9, v3 offset:22
	ds_load_u16 v34, v3 offset:20
	ds_load_u8 v35, v3 offset:26
	ds_load_u8 v36, v3 offset:30
	v_cndmask_b32_e64 v33, 0, v7, s17
	v_cmp_eq_u32_e64 s17, 1, v6
	v_and_b32_e32 v6, 1, v13
	s_delay_alu instid0(VALU_DEP_3) | instskip(NEXT) | instid1(VALU_DEP_3)
	v_add_nc_u16 v12, v33, v12
	v_cndmask_b32_e64 v5, v5, 1, s17
	s_wait_dscnt 0x4
	v_cmp_eq_u16_e64 s17, 0, v15
	ds_load_u16 v33, v3 offset:24
	ds_load_u16 v37, v3 offset:28
	v_cndmask_b32_e64 v13, 0, v12, s17
	s_delay_alu instid0(VALU_DEP_1) | instskip(SKIP_4) | instid1(VALU_DEP_3)
	v_add_nc_u16 v13, v13, v14
	v_and_b32_e32 v8, 1, v8
	v_and_b32_e32 v14, 1, v15
	s_wait_dscnt 0x2
	v_and_b32_e32 v38, 1, v36
	v_cmp_eq_u32_e64 s17, 1, v8
	s_delay_alu instid0(VALU_DEP_1) | instskip(SKIP_1) | instid1(VALU_DEP_1)
	v_cndmask_b32_e64 v8, v5, 1, s17
	v_cmp_eq_u32_e64 s17, 1, v6
	v_cndmask_b32_e64 v6, v8, 1, s17
	v_cmp_eq_u16_e64 s17, 0, v9
	v_and_b32_e32 v9, 1, v9
	s_delay_alu instid0(VALU_DEP_2) | instskip(SKIP_1) | instid1(VALU_DEP_2)
	v_cndmask_b32_e64 v15, 0, v13, s17
	v_cmp_eq_u32_e64 s17, 1, v14
	v_add_nc_u16 v15, v15, v34
	s_delay_alu instid0(VALU_DEP_2)
	v_cndmask_b32_e64 v14, v6, 1, s17
	v_cmp_eq_u32_e64 s17, 1, v9
	v_and_b32_e32 v34, 1, v35
	ds_store_b16 v3, v4 offset:4
	ds_store_b8 v3, v5 offset:6
	ds_store_b16 v3, v7 offset:8
	ds_store_b8 v3, v8 offset:10
	;; [unrolled: 2-line block ×4, first 2 shown]
	v_cndmask_b32_e64 v9, v14, 1, s17
	v_cmp_eq_u16_e64 s17, 0, v35
	s_delay_alu instid0(VALU_DEP_1) | instskip(SKIP_2) | instid1(VALU_DEP_2)
	v_cndmask_b32_e64 v35, 0, v15, s17
	v_cmp_eq_u32_e64 s17, 1, v34
	s_wait_dscnt 0x9
	v_add_nc_u16 v33, v35, v33
	s_delay_alu instid0(VALU_DEP_2) | instskip(SKIP_1) | instid1(VALU_DEP_1)
	v_cndmask_b32_e64 v34, v9, 1, s17
	v_cmp_eq_u32_e64 s17, 1, v38
	v_cndmask_b32_e64 v35, v34, 1, s17
	v_cmp_eq_u16_e64 s17, 0, v36
	s_delay_alu instid0(VALU_DEP_1) | instskip(SKIP_1) | instid1(VALU_DEP_1)
	v_cndmask_b32_e64 v36, 0, v33, s17
	s_wait_dscnt 0x8
	v_add_nc_u16 v4, v36, v37
	ds_store_b16 v3, v15 offset:20
	ds_store_b8 v3, v9 offset:22
	ds_store_b16 v3, v33 offset:24
	ds_store_b8 v3, v34 offset:26
	;; [unrolled: 2-line block ×3, first 2 shown]
.LBB641_274:
	s_or_b32 exec_lo, exec_lo, s18
	v_cmp_eq_u32_e64 s17, 0, v0
	v_mov_b32_e32 v4, v2
	s_mov_b32 s19, exec_lo
	s_wait_dscnt 0x0
	s_barrier_signal -1
	s_barrier_wait -1
	v_cmpx_ne_u32_e32 0, v0
	s_cbranch_execz .LBB641_276
; %bb.275:
	v_add_nc_u32_e32 v3, -1, v0
	s_delay_alu instid0(VALU_DEP_1) | instskip(NEXT) | instid1(VALU_DEP_1)
	v_lshrrev_b32_e32 v4, 3, v3
	v_and_b32_e32 v4, 0x1ffffffc, v4
	s_delay_alu instid0(VALU_DEP_1) | instskip(SKIP_4) | instid1(VALU_DEP_1)
	v_lshl_add_u32 v3, v3, 2, v4
	ds_load_u8 v4, v3 offset:2
	ds_load_u16 v3, v3
	s_wait_dscnt 0x1
	v_cmp_eq_u16_e64 s18, 0, v4
	v_cndmask_b32_e64 v4, 0, v2, s18
	s_wait_dscnt 0x0
	s_delay_alu instid0(VALU_DEP_1)
	v_add_nc_u16 v4, v4, v3
.LBB641_276:
	s_or_b32 exec_lo, exec_lo, s19
	v_and_b32_e32 v3, 0xff0000, v31
	s_delay_alu instid0(VALU_DEP_1) | instskip(NEXT) | instid1(VALU_DEP_1)
	v_cmp_eq_u32_e64 s18, 0, v3
	v_cndmask_b32_e64 v3, 0, v4, s18
	s_delay_alu instid0(VALU_DEP_1) | instskip(NEXT) | instid1(VALU_DEP_1)
	v_add_nc_u16 v5, v3, v31
	v_cndmask_b32_e32 v3, 0, v5, vcc_lo
	s_delay_alu instid0(VALU_DEP_1) | instskip(NEXT) | instid1(VALU_DEP_1)
	v_add_nc_u16 v6, v3, v11
	v_cndmask_b32_e64 v3, 0, v6, s0
	s_delay_alu instid0(VALU_DEP_1) | instskip(NEXT) | instid1(VALU_DEP_1)
	v_add_nc_u16 v7, v3, v10
	v_cndmask_b32_e64 v3, 0, v7, s1
	;; [unrolled: 3-line block ×17, first 2 shown]
	s_and_saveexec_b32 s0, s17
	s_cbranch_execz .LBB641_278
; %bb.277:
	v_mov_b32_e32 v12, 0
	ds_load_u8 v10, v12 offset:1050
	ds_load_u16 v11, v12 offset:1048
	s_wait_dscnt 0x1
	v_cmp_eq_u32_e32 vcc_lo, 0, v10
	v_lshlrev_b32_e32 v10, 16, v10
	v_cndmask_b32_e32 v2, 0, v2, vcc_lo
	s_wait_dscnt 0x0
	s_delay_alu instid0(VALU_DEP_1) | instskip(NEXT) | instid1(VALU_DEP_1)
	v_dual_mov_b32 v11, 2 :: v_dual_add_nc_u32 v2, v2, v11
	v_and_b32_e32 v2, 0xffff, v2
	s_delay_alu instid0(VALU_DEP_1)
	v_or_b32_e32 v10, v10, v2
	global_store_b64 v12, v[10:11], s[24:25] offset:256 scope:SCOPE_DEV
.LBB641_278:
	s_wait_xcnt 0x0
	s_or_b32 exec_lo, exec_lo, s0
	v_add_nc_u16 v48, v3, v1
	s_add_nc_u64 s[0:1], s[22:23], s[34:35]
	s_and_b32 vcc_lo, exec_lo, s27
	s_add_nc_u64 s[0:1], s[0:1], s[20:21]
	s_cbranch_vccnz .LBB641_184
.LBB641_279:
	s_mov_b32 s2, 0
                                        ; implicit-def: $vgpr1
	s_cbranch_execz .LBB641_281
; %bb.280:
	s_wait_dscnt 0x0
	v_mul_u32_u24_e32 v1, 40, v0
	v_perm_b32 v3, v38, v36, 0x5040100
	v_perm_b32 v2, v9, v8, 0x5040100
	;; [unrolled: 1-line block ×4, first 2 shown]
	v_mul_i32_i24_e32 v12, 0xffffffda, v0
	v_perm_b32 v5, v45, v43, 0x5040100
	v_perm_b32 v4, v42, v41, 0x5040100
	;; [unrolled: 1-line block ×6, first 2 shown]
	s_wait_storecnt 0x0
	s_barrier_signal -1
	s_barrier_wait -1
	ds_store_2addr_b64 v1, v[6:7], v[2:3] offset1:1
	ds_store_2addr_b64 v1, v[8:9], v[4:5] offset0:2 offset1:3
	ds_store_b64 v1, v[10:11] offset:32
	v_mad_u32_u24 v1, v0, 40, v12
	s_wait_dscnt 0x0
	s_barrier_signal -1
	s_barrier_wait -1
	ds_load_u16 v2, v1
	ds_load_u16 v3, v1 offset:512
	ds_load_u16 v4, v1 offset:1024
	;; [unrolled: 1-line block ×19, first 2 shown]
	s_or_b32 s2, s2, exec_lo
	s_wait_dscnt 0x13
	flat_store_b16 v0, v2, s[0:1] scale_offset
	s_wait_dscnt 0x13
	flat_store_b16 v0, v3, s[0:1] offset:512 scale_offset
	s_wait_dscnt 0x13
	flat_store_b16 v0, v4, s[0:1] offset:1024 scale_offset
	;; [unrolled: 2-line block ×18, first 2 shown]
.LBB641_281:
	s_wait_xcnt 0x0
	s_delay_alu instid0(VALU_DEP_1)
	s_and_saveexec_b32 s3, s2
	s_cbranch_execz .LBB641_283
; %bb.282:
	s_wait_dscnt 0x0
	flat_store_b16 v0, v1, s[0:1] offset:9728 scale_offset
	s_endpgm
.LBB641_283:
	s_endpgm
	.section	.rodata,"a",@progbits
	.p2align	6, 0x0
	.amdhsa_kernel _ZN7rocprim17ROCPRIM_400000_NS6detail17trampoline_kernelINS0_14default_configENS1_27scan_by_key_config_selectorIssEEZZNS1_16scan_by_key_implILNS1_25lookback_scan_determinismE0ELb1ES3_N6thrust23THRUST_200600_302600_NS6detail15normal_iteratorINS9_10device_ptrIsEEEESE_SE_sNS9_4plusIvEENS9_8equal_toIsEEsEE10hipError_tPvRmT2_T3_T4_T5_mT6_T7_P12ihipStream_tbENKUlT_T0_E_clISt17integral_constantIbLb0EESZ_EEDaSU_SV_EUlSU_E_NS1_11comp_targetILNS1_3genE0ELNS1_11target_archE4294967295ELNS1_3gpuE0ELNS1_3repE0EEENS1_30default_config_static_selectorELNS0_4arch9wavefront6targetE0EEEvT1_
		.amdhsa_group_segment_fixed_size 11264
		.amdhsa_private_segment_fixed_size 0
		.amdhsa_kernarg_size 112
		.amdhsa_user_sgpr_count 2
		.amdhsa_user_sgpr_dispatch_ptr 0
		.amdhsa_user_sgpr_queue_ptr 0
		.amdhsa_user_sgpr_kernarg_segment_ptr 1
		.amdhsa_user_sgpr_dispatch_id 0
		.amdhsa_user_sgpr_kernarg_preload_length 0
		.amdhsa_user_sgpr_kernarg_preload_offset 0
		.amdhsa_user_sgpr_private_segment_size 0
		.amdhsa_wavefront_size32 1
		.amdhsa_uses_dynamic_stack 0
		.amdhsa_enable_private_segment 0
		.amdhsa_system_sgpr_workgroup_id_x 1
		.amdhsa_system_sgpr_workgroup_id_y 0
		.amdhsa_system_sgpr_workgroup_id_z 0
		.amdhsa_system_sgpr_workgroup_info 0
		.amdhsa_system_vgpr_workitem_id 0
		.amdhsa_next_free_vgpr 56
		.amdhsa_next_free_sgpr 45
		.amdhsa_named_barrier_count 0
		.amdhsa_reserve_vcc 1
		.amdhsa_float_round_mode_32 0
		.amdhsa_float_round_mode_16_64 0
		.amdhsa_float_denorm_mode_32 3
		.amdhsa_float_denorm_mode_16_64 3
		.amdhsa_fp16_overflow 0
		.amdhsa_memory_ordered 1
		.amdhsa_forward_progress 1
		.amdhsa_inst_pref_size 152
		.amdhsa_round_robin_scheduling 0
		.amdhsa_exception_fp_ieee_invalid_op 0
		.amdhsa_exception_fp_denorm_src 0
		.amdhsa_exception_fp_ieee_div_zero 0
		.amdhsa_exception_fp_ieee_overflow 0
		.amdhsa_exception_fp_ieee_underflow 0
		.amdhsa_exception_fp_ieee_inexact 0
		.amdhsa_exception_int_div_zero 0
	.end_amdhsa_kernel
	.section	.text._ZN7rocprim17ROCPRIM_400000_NS6detail17trampoline_kernelINS0_14default_configENS1_27scan_by_key_config_selectorIssEEZZNS1_16scan_by_key_implILNS1_25lookback_scan_determinismE0ELb1ES3_N6thrust23THRUST_200600_302600_NS6detail15normal_iteratorINS9_10device_ptrIsEEEESE_SE_sNS9_4plusIvEENS9_8equal_toIsEEsEE10hipError_tPvRmT2_T3_T4_T5_mT6_T7_P12ihipStream_tbENKUlT_T0_E_clISt17integral_constantIbLb0EESZ_EEDaSU_SV_EUlSU_E_NS1_11comp_targetILNS1_3genE0ELNS1_11target_archE4294967295ELNS1_3gpuE0ELNS1_3repE0EEENS1_30default_config_static_selectorELNS0_4arch9wavefront6targetE0EEEvT1_,"axG",@progbits,_ZN7rocprim17ROCPRIM_400000_NS6detail17trampoline_kernelINS0_14default_configENS1_27scan_by_key_config_selectorIssEEZZNS1_16scan_by_key_implILNS1_25lookback_scan_determinismE0ELb1ES3_N6thrust23THRUST_200600_302600_NS6detail15normal_iteratorINS9_10device_ptrIsEEEESE_SE_sNS9_4plusIvEENS9_8equal_toIsEEsEE10hipError_tPvRmT2_T3_T4_T5_mT6_T7_P12ihipStream_tbENKUlT_T0_E_clISt17integral_constantIbLb0EESZ_EEDaSU_SV_EUlSU_E_NS1_11comp_targetILNS1_3genE0ELNS1_11target_archE4294967295ELNS1_3gpuE0ELNS1_3repE0EEENS1_30default_config_static_selectorELNS0_4arch9wavefront6targetE0EEEvT1_,comdat
.Lfunc_end641:
	.size	_ZN7rocprim17ROCPRIM_400000_NS6detail17trampoline_kernelINS0_14default_configENS1_27scan_by_key_config_selectorIssEEZZNS1_16scan_by_key_implILNS1_25lookback_scan_determinismE0ELb1ES3_N6thrust23THRUST_200600_302600_NS6detail15normal_iteratorINS9_10device_ptrIsEEEESE_SE_sNS9_4plusIvEENS9_8equal_toIsEEsEE10hipError_tPvRmT2_T3_T4_T5_mT6_T7_P12ihipStream_tbENKUlT_T0_E_clISt17integral_constantIbLb0EESZ_EEDaSU_SV_EUlSU_E_NS1_11comp_targetILNS1_3genE0ELNS1_11target_archE4294967295ELNS1_3gpuE0ELNS1_3repE0EEENS1_30default_config_static_selectorELNS0_4arch9wavefront6targetE0EEEvT1_, .Lfunc_end641-_ZN7rocprim17ROCPRIM_400000_NS6detail17trampoline_kernelINS0_14default_configENS1_27scan_by_key_config_selectorIssEEZZNS1_16scan_by_key_implILNS1_25lookback_scan_determinismE0ELb1ES3_N6thrust23THRUST_200600_302600_NS6detail15normal_iteratorINS9_10device_ptrIsEEEESE_SE_sNS9_4plusIvEENS9_8equal_toIsEEsEE10hipError_tPvRmT2_T3_T4_T5_mT6_T7_P12ihipStream_tbENKUlT_T0_E_clISt17integral_constantIbLb0EESZ_EEDaSU_SV_EUlSU_E_NS1_11comp_targetILNS1_3genE0ELNS1_11target_archE4294967295ELNS1_3gpuE0ELNS1_3repE0EEENS1_30default_config_static_selectorELNS0_4arch9wavefront6targetE0EEEvT1_
                                        ; -- End function
	.set _ZN7rocprim17ROCPRIM_400000_NS6detail17trampoline_kernelINS0_14default_configENS1_27scan_by_key_config_selectorIssEEZZNS1_16scan_by_key_implILNS1_25lookback_scan_determinismE0ELb1ES3_N6thrust23THRUST_200600_302600_NS6detail15normal_iteratorINS9_10device_ptrIsEEEESE_SE_sNS9_4plusIvEENS9_8equal_toIsEEsEE10hipError_tPvRmT2_T3_T4_T5_mT6_T7_P12ihipStream_tbENKUlT_T0_E_clISt17integral_constantIbLb0EESZ_EEDaSU_SV_EUlSU_E_NS1_11comp_targetILNS1_3genE0ELNS1_11target_archE4294967295ELNS1_3gpuE0ELNS1_3repE0EEENS1_30default_config_static_selectorELNS0_4arch9wavefront6targetE0EEEvT1_.num_vgpr, 56
	.set _ZN7rocprim17ROCPRIM_400000_NS6detail17trampoline_kernelINS0_14default_configENS1_27scan_by_key_config_selectorIssEEZZNS1_16scan_by_key_implILNS1_25lookback_scan_determinismE0ELb1ES3_N6thrust23THRUST_200600_302600_NS6detail15normal_iteratorINS9_10device_ptrIsEEEESE_SE_sNS9_4plusIvEENS9_8equal_toIsEEsEE10hipError_tPvRmT2_T3_T4_T5_mT6_T7_P12ihipStream_tbENKUlT_T0_E_clISt17integral_constantIbLb0EESZ_EEDaSU_SV_EUlSU_E_NS1_11comp_targetILNS1_3genE0ELNS1_11target_archE4294967295ELNS1_3gpuE0ELNS1_3repE0EEENS1_30default_config_static_selectorELNS0_4arch9wavefront6targetE0EEEvT1_.num_agpr, 0
	.set _ZN7rocprim17ROCPRIM_400000_NS6detail17trampoline_kernelINS0_14default_configENS1_27scan_by_key_config_selectorIssEEZZNS1_16scan_by_key_implILNS1_25lookback_scan_determinismE0ELb1ES3_N6thrust23THRUST_200600_302600_NS6detail15normal_iteratorINS9_10device_ptrIsEEEESE_SE_sNS9_4plusIvEENS9_8equal_toIsEEsEE10hipError_tPvRmT2_T3_T4_T5_mT6_T7_P12ihipStream_tbENKUlT_T0_E_clISt17integral_constantIbLb0EESZ_EEDaSU_SV_EUlSU_E_NS1_11comp_targetILNS1_3genE0ELNS1_11target_archE4294967295ELNS1_3gpuE0ELNS1_3repE0EEENS1_30default_config_static_selectorELNS0_4arch9wavefront6targetE0EEEvT1_.numbered_sgpr, 45
	.set _ZN7rocprim17ROCPRIM_400000_NS6detail17trampoline_kernelINS0_14default_configENS1_27scan_by_key_config_selectorIssEEZZNS1_16scan_by_key_implILNS1_25lookback_scan_determinismE0ELb1ES3_N6thrust23THRUST_200600_302600_NS6detail15normal_iteratorINS9_10device_ptrIsEEEESE_SE_sNS9_4plusIvEENS9_8equal_toIsEEsEE10hipError_tPvRmT2_T3_T4_T5_mT6_T7_P12ihipStream_tbENKUlT_T0_E_clISt17integral_constantIbLb0EESZ_EEDaSU_SV_EUlSU_E_NS1_11comp_targetILNS1_3genE0ELNS1_11target_archE4294967295ELNS1_3gpuE0ELNS1_3repE0EEENS1_30default_config_static_selectorELNS0_4arch9wavefront6targetE0EEEvT1_.num_named_barrier, 0
	.set _ZN7rocprim17ROCPRIM_400000_NS6detail17trampoline_kernelINS0_14default_configENS1_27scan_by_key_config_selectorIssEEZZNS1_16scan_by_key_implILNS1_25lookback_scan_determinismE0ELb1ES3_N6thrust23THRUST_200600_302600_NS6detail15normal_iteratorINS9_10device_ptrIsEEEESE_SE_sNS9_4plusIvEENS9_8equal_toIsEEsEE10hipError_tPvRmT2_T3_T4_T5_mT6_T7_P12ihipStream_tbENKUlT_T0_E_clISt17integral_constantIbLb0EESZ_EEDaSU_SV_EUlSU_E_NS1_11comp_targetILNS1_3genE0ELNS1_11target_archE4294967295ELNS1_3gpuE0ELNS1_3repE0EEENS1_30default_config_static_selectorELNS0_4arch9wavefront6targetE0EEEvT1_.private_seg_size, 0
	.set _ZN7rocprim17ROCPRIM_400000_NS6detail17trampoline_kernelINS0_14default_configENS1_27scan_by_key_config_selectorIssEEZZNS1_16scan_by_key_implILNS1_25lookback_scan_determinismE0ELb1ES3_N6thrust23THRUST_200600_302600_NS6detail15normal_iteratorINS9_10device_ptrIsEEEESE_SE_sNS9_4plusIvEENS9_8equal_toIsEEsEE10hipError_tPvRmT2_T3_T4_T5_mT6_T7_P12ihipStream_tbENKUlT_T0_E_clISt17integral_constantIbLb0EESZ_EEDaSU_SV_EUlSU_E_NS1_11comp_targetILNS1_3genE0ELNS1_11target_archE4294967295ELNS1_3gpuE0ELNS1_3repE0EEENS1_30default_config_static_selectorELNS0_4arch9wavefront6targetE0EEEvT1_.uses_vcc, 1
	.set _ZN7rocprim17ROCPRIM_400000_NS6detail17trampoline_kernelINS0_14default_configENS1_27scan_by_key_config_selectorIssEEZZNS1_16scan_by_key_implILNS1_25lookback_scan_determinismE0ELb1ES3_N6thrust23THRUST_200600_302600_NS6detail15normal_iteratorINS9_10device_ptrIsEEEESE_SE_sNS9_4plusIvEENS9_8equal_toIsEEsEE10hipError_tPvRmT2_T3_T4_T5_mT6_T7_P12ihipStream_tbENKUlT_T0_E_clISt17integral_constantIbLb0EESZ_EEDaSU_SV_EUlSU_E_NS1_11comp_targetILNS1_3genE0ELNS1_11target_archE4294967295ELNS1_3gpuE0ELNS1_3repE0EEENS1_30default_config_static_selectorELNS0_4arch9wavefront6targetE0EEEvT1_.uses_flat_scratch, 1
	.set _ZN7rocprim17ROCPRIM_400000_NS6detail17trampoline_kernelINS0_14default_configENS1_27scan_by_key_config_selectorIssEEZZNS1_16scan_by_key_implILNS1_25lookback_scan_determinismE0ELb1ES3_N6thrust23THRUST_200600_302600_NS6detail15normal_iteratorINS9_10device_ptrIsEEEESE_SE_sNS9_4plusIvEENS9_8equal_toIsEEsEE10hipError_tPvRmT2_T3_T4_T5_mT6_T7_P12ihipStream_tbENKUlT_T0_E_clISt17integral_constantIbLb0EESZ_EEDaSU_SV_EUlSU_E_NS1_11comp_targetILNS1_3genE0ELNS1_11target_archE4294967295ELNS1_3gpuE0ELNS1_3repE0EEENS1_30default_config_static_selectorELNS0_4arch9wavefront6targetE0EEEvT1_.has_dyn_sized_stack, 0
	.set _ZN7rocprim17ROCPRIM_400000_NS6detail17trampoline_kernelINS0_14default_configENS1_27scan_by_key_config_selectorIssEEZZNS1_16scan_by_key_implILNS1_25lookback_scan_determinismE0ELb1ES3_N6thrust23THRUST_200600_302600_NS6detail15normal_iteratorINS9_10device_ptrIsEEEESE_SE_sNS9_4plusIvEENS9_8equal_toIsEEsEE10hipError_tPvRmT2_T3_T4_T5_mT6_T7_P12ihipStream_tbENKUlT_T0_E_clISt17integral_constantIbLb0EESZ_EEDaSU_SV_EUlSU_E_NS1_11comp_targetILNS1_3genE0ELNS1_11target_archE4294967295ELNS1_3gpuE0ELNS1_3repE0EEENS1_30default_config_static_selectorELNS0_4arch9wavefront6targetE0EEEvT1_.has_recursion, 0
	.set _ZN7rocprim17ROCPRIM_400000_NS6detail17trampoline_kernelINS0_14default_configENS1_27scan_by_key_config_selectorIssEEZZNS1_16scan_by_key_implILNS1_25lookback_scan_determinismE0ELb1ES3_N6thrust23THRUST_200600_302600_NS6detail15normal_iteratorINS9_10device_ptrIsEEEESE_SE_sNS9_4plusIvEENS9_8equal_toIsEEsEE10hipError_tPvRmT2_T3_T4_T5_mT6_T7_P12ihipStream_tbENKUlT_T0_E_clISt17integral_constantIbLb0EESZ_EEDaSU_SV_EUlSU_E_NS1_11comp_targetILNS1_3genE0ELNS1_11target_archE4294967295ELNS1_3gpuE0ELNS1_3repE0EEENS1_30default_config_static_selectorELNS0_4arch9wavefront6targetE0EEEvT1_.has_indirect_call, 0
	.section	.AMDGPU.csdata,"",@progbits
; Kernel info:
; codeLenInByte = 19376
; TotalNumSgprs: 47
; NumVgprs: 56
; ScratchSize: 0
; MemoryBound: 0
; FloatMode: 240
; IeeeMode: 1
; LDSByteSize: 11264 bytes/workgroup (compile time only)
; SGPRBlocks: 0
; VGPRBlocks: 3
; NumSGPRsForWavesPerEU: 47
; NumVGPRsForWavesPerEU: 56
; NamedBarCnt: 0
; Occupancy: 16
; WaveLimiterHint : 1
; COMPUTE_PGM_RSRC2:SCRATCH_EN: 0
; COMPUTE_PGM_RSRC2:USER_SGPR: 2
; COMPUTE_PGM_RSRC2:TRAP_HANDLER: 0
; COMPUTE_PGM_RSRC2:TGID_X_EN: 1
; COMPUTE_PGM_RSRC2:TGID_Y_EN: 0
; COMPUTE_PGM_RSRC2:TGID_Z_EN: 0
; COMPUTE_PGM_RSRC2:TIDIG_COMP_CNT: 0
	.section	.text._ZN7rocprim17ROCPRIM_400000_NS6detail17trampoline_kernelINS0_14default_configENS1_27scan_by_key_config_selectorIssEEZZNS1_16scan_by_key_implILNS1_25lookback_scan_determinismE0ELb1ES3_N6thrust23THRUST_200600_302600_NS6detail15normal_iteratorINS9_10device_ptrIsEEEESE_SE_sNS9_4plusIvEENS9_8equal_toIsEEsEE10hipError_tPvRmT2_T3_T4_T5_mT6_T7_P12ihipStream_tbENKUlT_T0_E_clISt17integral_constantIbLb0EESZ_EEDaSU_SV_EUlSU_E_NS1_11comp_targetILNS1_3genE10ELNS1_11target_archE1201ELNS1_3gpuE5ELNS1_3repE0EEENS1_30default_config_static_selectorELNS0_4arch9wavefront6targetE0EEEvT1_,"axG",@progbits,_ZN7rocprim17ROCPRIM_400000_NS6detail17trampoline_kernelINS0_14default_configENS1_27scan_by_key_config_selectorIssEEZZNS1_16scan_by_key_implILNS1_25lookback_scan_determinismE0ELb1ES3_N6thrust23THRUST_200600_302600_NS6detail15normal_iteratorINS9_10device_ptrIsEEEESE_SE_sNS9_4plusIvEENS9_8equal_toIsEEsEE10hipError_tPvRmT2_T3_T4_T5_mT6_T7_P12ihipStream_tbENKUlT_T0_E_clISt17integral_constantIbLb0EESZ_EEDaSU_SV_EUlSU_E_NS1_11comp_targetILNS1_3genE10ELNS1_11target_archE1201ELNS1_3gpuE5ELNS1_3repE0EEENS1_30default_config_static_selectorELNS0_4arch9wavefront6targetE0EEEvT1_,comdat
	.protected	_ZN7rocprim17ROCPRIM_400000_NS6detail17trampoline_kernelINS0_14default_configENS1_27scan_by_key_config_selectorIssEEZZNS1_16scan_by_key_implILNS1_25lookback_scan_determinismE0ELb1ES3_N6thrust23THRUST_200600_302600_NS6detail15normal_iteratorINS9_10device_ptrIsEEEESE_SE_sNS9_4plusIvEENS9_8equal_toIsEEsEE10hipError_tPvRmT2_T3_T4_T5_mT6_T7_P12ihipStream_tbENKUlT_T0_E_clISt17integral_constantIbLb0EESZ_EEDaSU_SV_EUlSU_E_NS1_11comp_targetILNS1_3genE10ELNS1_11target_archE1201ELNS1_3gpuE5ELNS1_3repE0EEENS1_30default_config_static_selectorELNS0_4arch9wavefront6targetE0EEEvT1_ ; -- Begin function _ZN7rocprim17ROCPRIM_400000_NS6detail17trampoline_kernelINS0_14default_configENS1_27scan_by_key_config_selectorIssEEZZNS1_16scan_by_key_implILNS1_25lookback_scan_determinismE0ELb1ES3_N6thrust23THRUST_200600_302600_NS6detail15normal_iteratorINS9_10device_ptrIsEEEESE_SE_sNS9_4plusIvEENS9_8equal_toIsEEsEE10hipError_tPvRmT2_T3_T4_T5_mT6_T7_P12ihipStream_tbENKUlT_T0_E_clISt17integral_constantIbLb0EESZ_EEDaSU_SV_EUlSU_E_NS1_11comp_targetILNS1_3genE10ELNS1_11target_archE1201ELNS1_3gpuE5ELNS1_3repE0EEENS1_30default_config_static_selectorELNS0_4arch9wavefront6targetE0EEEvT1_
	.globl	_ZN7rocprim17ROCPRIM_400000_NS6detail17trampoline_kernelINS0_14default_configENS1_27scan_by_key_config_selectorIssEEZZNS1_16scan_by_key_implILNS1_25lookback_scan_determinismE0ELb1ES3_N6thrust23THRUST_200600_302600_NS6detail15normal_iteratorINS9_10device_ptrIsEEEESE_SE_sNS9_4plusIvEENS9_8equal_toIsEEsEE10hipError_tPvRmT2_T3_T4_T5_mT6_T7_P12ihipStream_tbENKUlT_T0_E_clISt17integral_constantIbLb0EESZ_EEDaSU_SV_EUlSU_E_NS1_11comp_targetILNS1_3genE10ELNS1_11target_archE1201ELNS1_3gpuE5ELNS1_3repE0EEENS1_30default_config_static_selectorELNS0_4arch9wavefront6targetE0EEEvT1_
	.p2align	8
	.type	_ZN7rocprim17ROCPRIM_400000_NS6detail17trampoline_kernelINS0_14default_configENS1_27scan_by_key_config_selectorIssEEZZNS1_16scan_by_key_implILNS1_25lookback_scan_determinismE0ELb1ES3_N6thrust23THRUST_200600_302600_NS6detail15normal_iteratorINS9_10device_ptrIsEEEESE_SE_sNS9_4plusIvEENS9_8equal_toIsEEsEE10hipError_tPvRmT2_T3_T4_T5_mT6_T7_P12ihipStream_tbENKUlT_T0_E_clISt17integral_constantIbLb0EESZ_EEDaSU_SV_EUlSU_E_NS1_11comp_targetILNS1_3genE10ELNS1_11target_archE1201ELNS1_3gpuE5ELNS1_3repE0EEENS1_30default_config_static_selectorELNS0_4arch9wavefront6targetE0EEEvT1_,@function
_ZN7rocprim17ROCPRIM_400000_NS6detail17trampoline_kernelINS0_14default_configENS1_27scan_by_key_config_selectorIssEEZZNS1_16scan_by_key_implILNS1_25lookback_scan_determinismE0ELb1ES3_N6thrust23THRUST_200600_302600_NS6detail15normal_iteratorINS9_10device_ptrIsEEEESE_SE_sNS9_4plusIvEENS9_8equal_toIsEEsEE10hipError_tPvRmT2_T3_T4_T5_mT6_T7_P12ihipStream_tbENKUlT_T0_E_clISt17integral_constantIbLb0EESZ_EEDaSU_SV_EUlSU_E_NS1_11comp_targetILNS1_3genE10ELNS1_11target_archE1201ELNS1_3gpuE5ELNS1_3repE0EEENS1_30default_config_static_selectorELNS0_4arch9wavefront6targetE0EEEvT1_: ; @_ZN7rocprim17ROCPRIM_400000_NS6detail17trampoline_kernelINS0_14default_configENS1_27scan_by_key_config_selectorIssEEZZNS1_16scan_by_key_implILNS1_25lookback_scan_determinismE0ELb1ES3_N6thrust23THRUST_200600_302600_NS6detail15normal_iteratorINS9_10device_ptrIsEEEESE_SE_sNS9_4plusIvEENS9_8equal_toIsEEsEE10hipError_tPvRmT2_T3_T4_T5_mT6_T7_P12ihipStream_tbENKUlT_T0_E_clISt17integral_constantIbLb0EESZ_EEDaSU_SV_EUlSU_E_NS1_11comp_targetILNS1_3genE10ELNS1_11target_archE1201ELNS1_3gpuE5ELNS1_3repE0EEENS1_30default_config_static_selectorELNS0_4arch9wavefront6targetE0EEEvT1_
; %bb.0:
	.section	.rodata,"a",@progbits
	.p2align	6, 0x0
	.amdhsa_kernel _ZN7rocprim17ROCPRIM_400000_NS6detail17trampoline_kernelINS0_14default_configENS1_27scan_by_key_config_selectorIssEEZZNS1_16scan_by_key_implILNS1_25lookback_scan_determinismE0ELb1ES3_N6thrust23THRUST_200600_302600_NS6detail15normal_iteratorINS9_10device_ptrIsEEEESE_SE_sNS9_4plusIvEENS9_8equal_toIsEEsEE10hipError_tPvRmT2_T3_T4_T5_mT6_T7_P12ihipStream_tbENKUlT_T0_E_clISt17integral_constantIbLb0EESZ_EEDaSU_SV_EUlSU_E_NS1_11comp_targetILNS1_3genE10ELNS1_11target_archE1201ELNS1_3gpuE5ELNS1_3repE0EEENS1_30default_config_static_selectorELNS0_4arch9wavefront6targetE0EEEvT1_
		.amdhsa_group_segment_fixed_size 0
		.amdhsa_private_segment_fixed_size 0
		.amdhsa_kernarg_size 112
		.amdhsa_user_sgpr_count 2
		.amdhsa_user_sgpr_dispatch_ptr 0
		.amdhsa_user_sgpr_queue_ptr 0
		.amdhsa_user_sgpr_kernarg_segment_ptr 1
		.amdhsa_user_sgpr_dispatch_id 0
		.amdhsa_user_sgpr_kernarg_preload_length 0
		.amdhsa_user_sgpr_kernarg_preload_offset 0
		.amdhsa_user_sgpr_private_segment_size 0
		.amdhsa_wavefront_size32 1
		.amdhsa_uses_dynamic_stack 0
		.amdhsa_enable_private_segment 0
		.amdhsa_system_sgpr_workgroup_id_x 1
		.amdhsa_system_sgpr_workgroup_id_y 0
		.amdhsa_system_sgpr_workgroup_id_z 0
		.amdhsa_system_sgpr_workgroup_info 0
		.amdhsa_system_vgpr_workitem_id 0
		.amdhsa_next_free_vgpr 1
		.amdhsa_next_free_sgpr 1
		.amdhsa_named_barrier_count 0
		.amdhsa_reserve_vcc 0
		.amdhsa_float_round_mode_32 0
		.amdhsa_float_round_mode_16_64 0
		.amdhsa_float_denorm_mode_32 3
		.amdhsa_float_denorm_mode_16_64 3
		.amdhsa_fp16_overflow 0
		.amdhsa_memory_ordered 1
		.amdhsa_forward_progress 1
		.amdhsa_inst_pref_size 0
		.amdhsa_round_robin_scheduling 0
		.amdhsa_exception_fp_ieee_invalid_op 0
		.amdhsa_exception_fp_denorm_src 0
		.amdhsa_exception_fp_ieee_div_zero 0
		.amdhsa_exception_fp_ieee_overflow 0
		.amdhsa_exception_fp_ieee_underflow 0
		.amdhsa_exception_fp_ieee_inexact 0
		.amdhsa_exception_int_div_zero 0
	.end_amdhsa_kernel
	.section	.text._ZN7rocprim17ROCPRIM_400000_NS6detail17trampoline_kernelINS0_14default_configENS1_27scan_by_key_config_selectorIssEEZZNS1_16scan_by_key_implILNS1_25lookback_scan_determinismE0ELb1ES3_N6thrust23THRUST_200600_302600_NS6detail15normal_iteratorINS9_10device_ptrIsEEEESE_SE_sNS9_4plusIvEENS9_8equal_toIsEEsEE10hipError_tPvRmT2_T3_T4_T5_mT6_T7_P12ihipStream_tbENKUlT_T0_E_clISt17integral_constantIbLb0EESZ_EEDaSU_SV_EUlSU_E_NS1_11comp_targetILNS1_3genE10ELNS1_11target_archE1201ELNS1_3gpuE5ELNS1_3repE0EEENS1_30default_config_static_selectorELNS0_4arch9wavefront6targetE0EEEvT1_,"axG",@progbits,_ZN7rocprim17ROCPRIM_400000_NS6detail17trampoline_kernelINS0_14default_configENS1_27scan_by_key_config_selectorIssEEZZNS1_16scan_by_key_implILNS1_25lookback_scan_determinismE0ELb1ES3_N6thrust23THRUST_200600_302600_NS6detail15normal_iteratorINS9_10device_ptrIsEEEESE_SE_sNS9_4plusIvEENS9_8equal_toIsEEsEE10hipError_tPvRmT2_T3_T4_T5_mT6_T7_P12ihipStream_tbENKUlT_T0_E_clISt17integral_constantIbLb0EESZ_EEDaSU_SV_EUlSU_E_NS1_11comp_targetILNS1_3genE10ELNS1_11target_archE1201ELNS1_3gpuE5ELNS1_3repE0EEENS1_30default_config_static_selectorELNS0_4arch9wavefront6targetE0EEEvT1_,comdat
.Lfunc_end642:
	.size	_ZN7rocprim17ROCPRIM_400000_NS6detail17trampoline_kernelINS0_14default_configENS1_27scan_by_key_config_selectorIssEEZZNS1_16scan_by_key_implILNS1_25lookback_scan_determinismE0ELb1ES3_N6thrust23THRUST_200600_302600_NS6detail15normal_iteratorINS9_10device_ptrIsEEEESE_SE_sNS9_4plusIvEENS9_8equal_toIsEEsEE10hipError_tPvRmT2_T3_T4_T5_mT6_T7_P12ihipStream_tbENKUlT_T0_E_clISt17integral_constantIbLb0EESZ_EEDaSU_SV_EUlSU_E_NS1_11comp_targetILNS1_3genE10ELNS1_11target_archE1201ELNS1_3gpuE5ELNS1_3repE0EEENS1_30default_config_static_selectorELNS0_4arch9wavefront6targetE0EEEvT1_, .Lfunc_end642-_ZN7rocprim17ROCPRIM_400000_NS6detail17trampoline_kernelINS0_14default_configENS1_27scan_by_key_config_selectorIssEEZZNS1_16scan_by_key_implILNS1_25lookback_scan_determinismE0ELb1ES3_N6thrust23THRUST_200600_302600_NS6detail15normal_iteratorINS9_10device_ptrIsEEEESE_SE_sNS9_4plusIvEENS9_8equal_toIsEEsEE10hipError_tPvRmT2_T3_T4_T5_mT6_T7_P12ihipStream_tbENKUlT_T0_E_clISt17integral_constantIbLb0EESZ_EEDaSU_SV_EUlSU_E_NS1_11comp_targetILNS1_3genE10ELNS1_11target_archE1201ELNS1_3gpuE5ELNS1_3repE0EEENS1_30default_config_static_selectorELNS0_4arch9wavefront6targetE0EEEvT1_
                                        ; -- End function
	.set _ZN7rocprim17ROCPRIM_400000_NS6detail17trampoline_kernelINS0_14default_configENS1_27scan_by_key_config_selectorIssEEZZNS1_16scan_by_key_implILNS1_25lookback_scan_determinismE0ELb1ES3_N6thrust23THRUST_200600_302600_NS6detail15normal_iteratorINS9_10device_ptrIsEEEESE_SE_sNS9_4plusIvEENS9_8equal_toIsEEsEE10hipError_tPvRmT2_T3_T4_T5_mT6_T7_P12ihipStream_tbENKUlT_T0_E_clISt17integral_constantIbLb0EESZ_EEDaSU_SV_EUlSU_E_NS1_11comp_targetILNS1_3genE10ELNS1_11target_archE1201ELNS1_3gpuE5ELNS1_3repE0EEENS1_30default_config_static_selectorELNS0_4arch9wavefront6targetE0EEEvT1_.num_vgpr, 0
	.set _ZN7rocprim17ROCPRIM_400000_NS6detail17trampoline_kernelINS0_14default_configENS1_27scan_by_key_config_selectorIssEEZZNS1_16scan_by_key_implILNS1_25lookback_scan_determinismE0ELb1ES3_N6thrust23THRUST_200600_302600_NS6detail15normal_iteratorINS9_10device_ptrIsEEEESE_SE_sNS9_4plusIvEENS9_8equal_toIsEEsEE10hipError_tPvRmT2_T3_T4_T5_mT6_T7_P12ihipStream_tbENKUlT_T0_E_clISt17integral_constantIbLb0EESZ_EEDaSU_SV_EUlSU_E_NS1_11comp_targetILNS1_3genE10ELNS1_11target_archE1201ELNS1_3gpuE5ELNS1_3repE0EEENS1_30default_config_static_selectorELNS0_4arch9wavefront6targetE0EEEvT1_.num_agpr, 0
	.set _ZN7rocprim17ROCPRIM_400000_NS6detail17trampoline_kernelINS0_14default_configENS1_27scan_by_key_config_selectorIssEEZZNS1_16scan_by_key_implILNS1_25lookback_scan_determinismE0ELb1ES3_N6thrust23THRUST_200600_302600_NS6detail15normal_iteratorINS9_10device_ptrIsEEEESE_SE_sNS9_4plusIvEENS9_8equal_toIsEEsEE10hipError_tPvRmT2_T3_T4_T5_mT6_T7_P12ihipStream_tbENKUlT_T0_E_clISt17integral_constantIbLb0EESZ_EEDaSU_SV_EUlSU_E_NS1_11comp_targetILNS1_3genE10ELNS1_11target_archE1201ELNS1_3gpuE5ELNS1_3repE0EEENS1_30default_config_static_selectorELNS0_4arch9wavefront6targetE0EEEvT1_.numbered_sgpr, 0
	.set _ZN7rocprim17ROCPRIM_400000_NS6detail17trampoline_kernelINS0_14default_configENS1_27scan_by_key_config_selectorIssEEZZNS1_16scan_by_key_implILNS1_25lookback_scan_determinismE0ELb1ES3_N6thrust23THRUST_200600_302600_NS6detail15normal_iteratorINS9_10device_ptrIsEEEESE_SE_sNS9_4plusIvEENS9_8equal_toIsEEsEE10hipError_tPvRmT2_T3_T4_T5_mT6_T7_P12ihipStream_tbENKUlT_T0_E_clISt17integral_constantIbLb0EESZ_EEDaSU_SV_EUlSU_E_NS1_11comp_targetILNS1_3genE10ELNS1_11target_archE1201ELNS1_3gpuE5ELNS1_3repE0EEENS1_30default_config_static_selectorELNS0_4arch9wavefront6targetE0EEEvT1_.num_named_barrier, 0
	.set _ZN7rocprim17ROCPRIM_400000_NS6detail17trampoline_kernelINS0_14default_configENS1_27scan_by_key_config_selectorIssEEZZNS1_16scan_by_key_implILNS1_25lookback_scan_determinismE0ELb1ES3_N6thrust23THRUST_200600_302600_NS6detail15normal_iteratorINS9_10device_ptrIsEEEESE_SE_sNS9_4plusIvEENS9_8equal_toIsEEsEE10hipError_tPvRmT2_T3_T4_T5_mT6_T7_P12ihipStream_tbENKUlT_T0_E_clISt17integral_constantIbLb0EESZ_EEDaSU_SV_EUlSU_E_NS1_11comp_targetILNS1_3genE10ELNS1_11target_archE1201ELNS1_3gpuE5ELNS1_3repE0EEENS1_30default_config_static_selectorELNS0_4arch9wavefront6targetE0EEEvT1_.private_seg_size, 0
	.set _ZN7rocprim17ROCPRIM_400000_NS6detail17trampoline_kernelINS0_14default_configENS1_27scan_by_key_config_selectorIssEEZZNS1_16scan_by_key_implILNS1_25lookback_scan_determinismE0ELb1ES3_N6thrust23THRUST_200600_302600_NS6detail15normal_iteratorINS9_10device_ptrIsEEEESE_SE_sNS9_4plusIvEENS9_8equal_toIsEEsEE10hipError_tPvRmT2_T3_T4_T5_mT6_T7_P12ihipStream_tbENKUlT_T0_E_clISt17integral_constantIbLb0EESZ_EEDaSU_SV_EUlSU_E_NS1_11comp_targetILNS1_3genE10ELNS1_11target_archE1201ELNS1_3gpuE5ELNS1_3repE0EEENS1_30default_config_static_selectorELNS0_4arch9wavefront6targetE0EEEvT1_.uses_vcc, 0
	.set _ZN7rocprim17ROCPRIM_400000_NS6detail17trampoline_kernelINS0_14default_configENS1_27scan_by_key_config_selectorIssEEZZNS1_16scan_by_key_implILNS1_25lookback_scan_determinismE0ELb1ES3_N6thrust23THRUST_200600_302600_NS6detail15normal_iteratorINS9_10device_ptrIsEEEESE_SE_sNS9_4plusIvEENS9_8equal_toIsEEsEE10hipError_tPvRmT2_T3_T4_T5_mT6_T7_P12ihipStream_tbENKUlT_T0_E_clISt17integral_constantIbLb0EESZ_EEDaSU_SV_EUlSU_E_NS1_11comp_targetILNS1_3genE10ELNS1_11target_archE1201ELNS1_3gpuE5ELNS1_3repE0EEENS1_30default_config_static_selectorELNS0_4arch9wavefront6targetE0EEEvT1_.uses_flat_scratch, 0
	.set _ZN7rocprim17ROCPRIM_400000_NS6detail17trampoline_kernelINS0_14default_configENS1_27scan_by_key_config_selectorIssEEZZNS1_16scan_by_key_implILNS1_25lookback_scan_determinismE0ELb1ES3_N6thrust23THRUST_200600_302600_NS6detail15normal_iteratorINS9_10device_ptrIsEEEESE_SE_sNS9_4plusIvEENS9_8equal_toIsEEsEE10hipError_tPvRmT2_T3_T4_T5_mT6_T7_P12ihipStream_tbENKUlT_T0_E_clISt17integral_constantIbLb0EESZ_EEDaSU_SV_EUlSU_E_NS1_11comp_targetILNS1_3genE10ELNS1_11target_archE1201ELNS1_3gpuE5ELNS1_3repE0EEENS1_30default_config_static_selectorELNS0_4arch9wavefront6targetE0EEEvT1_.has_dyn_sized_stack, 0
	.set _ZN7rocprim17ROCPRIM_400000_NS6detail17trampoline_kernelINS0_14default_configENS1_27scan_by_key_config_selectorIssEEZZNS1_16scan_by_key_implILNS1_25lookback_scan_determinismE0ELb1ES3_N6thrust23THRUST_200600_302600_NS6detail15normal_iteratorINS9_10device_ptrIsEEEESE_SE_sNS9_4plusIvEENS9_8equal_toIsEEsEE10hipError_tPvRmT2_T3_T4_T5_mT6_T7_P12ihipStream_tbENKUlT_T0_E_clISt17integral_constantIbLb0EESZ_EEDaSU_SV_EUlSU_E_NS1_11comp_targetILNS1_3genE10ELNS1_11target_archE1201ELNS1_3gpuE5ELNS1_3repE0EEENS1_30default_config_static_selectorELNS0_4arch9wavefront6targetE0EEEvT1_.has_recursion, 0
	.set _ZN7rocprim17ROCPRIM_400000_NS6detail17trampoline_kernelINS0_14default_configENS1_27scan_by_key_config_selectorIssEEZZNS1_16scan_by_key_implILNS1_25lookback_scan_determinismE0ELb1ES3_N6thrust23THRUST_200600_302600_NS6detail15normal_iteratorINS9_10device_ptrIsEEEESE_SE_sNS9_4plusIvEENS9_8equal_toIsEEsEE10hipError_tPvRmT2_T3_T4_T5_mT6_T7_P12ihipStream_tbENKUlT_T0_E_clISt17integral_constantIbLb0EESZ_EEDaSU_SV_EUlSU_E_NS1_11comp_targetILNS1_3genE10ELNS1_11target_archE1201ELNS1_3gpuE5ELNS1_3repE0EEENS1_30default_config_static_selectorELNS0_4arch9wavefront6targetE0EEEvT1_.has_indirect_call, 0
	.section	.AMDGPU.csdata,"",@progbits
; Kernel info:
; codeLenInByte = 0
; TotalNumSgprs: 0
; NumVgprs: 0
; ScratchSize: 0
; MemoryBound: 0
; FloatMode: 240
; IeeeMode: 1
; LDSByteSize: 0 bytes/workgroup (compile time only)
; SGPRBlocks: 0
; VGPRBlocks: 0
; NumSGPRsForWavesPerEU: 1
; NumVGPRsForWavesPerEU: 1
; NamedBarCnt: 0
; Occupancy: 16
; WaveLimiterHint : 0
; COMPUTE_PGM_RSRC2:SCRATCH_EN: 0
; COMPUTE_PGM_RSRC2:USER_SGPR: 2
; COMPUTE_PGM_RSRC2:TRAP_HANDLER: 0
; COMPUTE_PGM_RSRC2:TGID_X_EN: 1
; COMPUTE_PGM_RSRC2:TGID_Y_EN: 0
; COMPUTE_PGM_RSRC2:TGID_Z_EN: 0
; COMPUTE_PGM_RSRC2:TIDIG_COMP_CNT: 0
	.section	.text._ZN7rocprim17ROCPRIM_400000_NS6detail17trampoline_kernelINS0_14default_configENS1_27scan_by_key_config_selectorIssEEZZNS1_16scan_by_key_implILNS1_25lookback_scan_determinismE0ELb1ES3_N6thrust23THRUST_200600_302600_NS6detail15normal_iteratorINS9_10device_ptrIsEEEESE_SE_sNS9_4plusIvEENS9_8equal_toIsEEsEE10hipError_tPvRmT2_T3_T4_T5_mT6_T7_P12ihipStream_tbENKUlT_T0_E_clISt17integral_constantIbLb0EESZ_EEDaSU_SV_EUlSU_E_NS1_11comp_targetILNS1_3genE5ELNS1_11target_archE942ELNS1_3gpuE9ELNS1_3repE0EEENS1_30default_config_static_selectorELNS0_4arch9wavefront6targetE0EEEvT1_,"axG",@progbits,_ZN7rocprim17ROCPRIM_400000_NS6detail17trampoline_kernelINS0_14default_configENS1_27scan_by_key_config_selectorIssEEZZNS1_16scan_by_key_implILNS1_25lookback_scan_determinismE0ELb1ES3_N6thrust23THRUST_200600_302600_NS6detail15normal_iteratorINS9_10device_ptrIsEEEESE_SE_sNS9_4plusIvEENS9_8equal_toIsEEsEE10hipError_tPvRmT2_T3_T4_T5_mT6_T7_P12ihipStream_tbENKUlT_T0_E_clISt17integral_constantIbLb0EESZ_EEDaSU_SV_EUlSU_E_NS1_11comp_targetILNS1_3genE5ELNS1_11target_archE942ELNS1_3gpuE9ELNS1_3repE0EEENS1_30default_config_static_selectorELNS0_4arch9wavefront6targetE0EEEvT1_,comdat
	.protected	_ZN7rocprim17ROCPRIM_400000_NS6detail17trampoline_kernelINS0_14default_configENS1_27scan_by_key_config_selectorIssEEZZNS1_16scan_by_key_implILNS1_25lookback_scan_determinismE0ELb1ES3_N6thrust23THRUST_200600_302600_NS6detail15normal_iteratorINS9_10device_ptrIsEEEESE_SE_sNS9_4plusIvEENS9_8equal_toIsEEsEE10hipError_tPvRmT2_T3_T4_T5_mT6_T7_P12ihipStream_tbENKUlT_T0_E_clISt17integral_constantIbLb0EESZ_EEDaSU_SV_EUlSU_E_NS1_11comp_targetILNS1_3genE5ELNS1_11target_archE942ELNS1_3gpuE9ELNS1_3repE0EEENS1_30default_config_static_selectorELNS0_4arch9wavefront6targetE0EEEvT1_ ; -- Begin function _ZN7rocprim17ROCPRIM_400000_NS6detail17trampoline_kernelINS0_14default_configENS1_27scan_by_key_config_selectorIssEEZZNS1_16scan_by_key_implILNS1_25lookback_scan_determinismE0ELb1ES3_N6thrust23THRUST_200600_302600_NS6detail15normal_iteratorINS9_10device_ptrIsEEEESE_SE_sNS9_4plusIvEENS9_8equal_toIsEEsEE10hipError_tPvRmT2_T3_T4_T5_mT6_T7_P12ihipStream_tbENKUlT_T0_E_clISt17integral_constantIbLb0EESZ_EEDaSU_SV_EUlSU_E_NS1_11comp_targetILNS1_3genE5ELNS1_11target_archE942ELNS1_3gpuE9ELNS1_3repE0EEENS1_30default_config_static_selectorELNS0_4arch9wavefront6targetE0EEEvT1_
	.globl	_ZN7rocprim17ROCPRIM_400000_NS6detail17trampoline_kernelINS0_14default_configENS1_27scan_by_key_config_selectorIssEEZZNS1_16scan_by_key_implILNS1_25lookback_scan_determinismE0ELb1ES3_N6thrust23THRUST_200600_302600_NS6detail15normal_iteratorINS9_10device_ptrIsEEEESE_SE_sNS9_4plusIvEENS9_8equal_toIsEEsEE10hipError_tPvRmT2_T3_T4_T5_mT6_T7_P12ihipStream_tbENKUlT_T0_E_clISt17integral_constantIbLb0EESZ_EEDaSU_SV_EUlSU_E_NS1_11comp_targetILNS1_3genE5ELNS1_11target_archE942ELNS1_3gpuE9ELNS1_3repE0EEENS1_30default_config_static_selectorELNS0_4arch9wavefront6targetE0EEEvT1_
	.p2align	8
	.type	_ZN7rocprim17ROCPRIM_400000_NS6detail17trampoline_kernelINS0_14default_configENS1_27scan_by_key_config_selectorIssEEZZNS1_16scan_by_key_implILNS1_25lookback_scan_determinismE0ELb1ES3_N6thrust23THRUST_200600_302600_NS6detail15normal_iteratorINS9_10device_ptrIsEEEESE_SE_sNS9_4plusIvEENS9_8equal_toIsEEsEE10hipError_tPvRmT2_T3_T4_T5_mT6_T7_P12ihipStream_tbENKUlT_T0_E_clISt17integral_constantIbLb0EESZ_EEDaSU_SV_EUlSU_E_NS1_11comp_targetILNS1_3genE5ELNS1_11target_archE942ELNS1_3gpuE9ELNS1_3repE0EEENS1_30default_config_static_selectorELNS0_4arch9wavefront6targetE0EEEvT1_,@function
_ZN7rocprim17ROCPRIM_400000_NS6detail17trampoline_kernelINS0_14default_configENS1_27scan_by_key_config_selectorIssEEZZNS1_16scan_by_key_implILNS1_25lookback_scan_determinismE0ELb1ES3_N6thrust23THRUST_200600_302600_NS6detail15normal_iteratorINS9_10device_ptrIsEEEESE_SE_sNS9_4plusIvEENS9_8equal_toIsEEsEE10hipError_tPvRmT2_T3_T4_T5_mT6_T7_P12ihipStream_tbENKUlT_T0_E_clISt17integral_constantIbLb0EESZ_EEDaSU_SV_EUlSU_E_NS1_11comp_targetILNS1_3genE5ELNS1_11target_archE942ELNS1_3gpuE9ELNS1_3repE0EEENS1_30default_config_static_selectorELNS0_4arch9wavefront6targetE0EEEvT1_: ; @_ZN7rocprim17ROCPRIM_400000_NS6detail17trampoline_kernelINS0_14default_configENS1_27scan_by_key_config_selectorIssEEZZNS1_16scan_by_key_implILNS1_25lookback_scan_determinismE0ELb1ES3_N6thrust23THRUST_200600_302600_NS6detail15normal_iteratorINS9_10device_ptrIsEEEESE_SE_sNS9_4plusIvEENS9_8equal_toIsEEsEE10hipError_tPvRmT2_T3_T4_T5_mT6_T7_P12ihipStream_tbENKUlT_T0_E_clISt17integral_constantIbLb0EESZ_EEDaSU_SV_EUlSU_E_NS1_11comp_targetILNS1_3genE5ELNS1_11target_archE942ELNS1_3gpuE9ELNS1_3repE0EEENS1_30default_config_static_selectorELNS0_4arch9wavefront6targetE0EEEvT1_
; %bb.0:
	.section	.rodata,"a",@progbits
	.p2align	6, 0x0
	.amdhsa_kernel _ZN7rocprim17ROCPRIM_400000_NS6detail17trampoline_kernelINS0_14default_configENS1_27scan_by_key_config_selectorIssEEZZNS1_16scan_by_key_implILNS1_25lookback_scan_determinismE0ELb1ES3_N6thrust23THRUST_200600_302600_NS6detail15normal_iteratorINS9_10device_ptrIsEEEESE_SE_sNS9_4plusIvEENS9_8equal_toIsEEsEE10hipError_tPvRmT2_T3_T4_T5_mT6_T7_P12ihipStream_tbENKUlT_T0_E_clISt17integral_constantIbLb0EESZ_EEDaSU_SV_EUlSU_E_NS1_11comp_targetILNS1_3genE5ELNS1_11target_archE942ELNS1_3gpuE9ELNS1_3repE0EEENS1_30default_config_static_selectorELNS0_4arch9wavefront6targetE0EEEvT1_
		.amdhsa_group_segment_fixed_size 0
		.amdhsa_private_segment_fixed_size 0
		.amdhsa_kernarg_size 112
		.amdhsa_user_sgpr_count 2
		.amdhsa_user_sgpr_dispatch_ptr 0
		.amdhsa_user_sgpr_queue_ptr 0
		.amdhsa_user_sgpr_kernarg_segment_ptr 1
		.amdhsa_user_sgpr_dispatch_id 0
		.amdhsa_user_sgpr_kernarg_preload_length 0
		.amdhsa_user_sgpr_kernarg_preload_offset 0
		.amdhsa_user_sgpr_private_segment_size 0
		.amdhsa_wavefront_size32 1
		.amdhsa_uses_dynamic_stack 0
		.amdhsa_enable_private_segment 0
		.amdhsa_system_sgpr_workgroup_id_x 1
		.amdhsa_system_sgpr_workgroup_id_y 0
		.amdhsa_system_sgpr_workgroup_id_z 0
		.amdhsa_system_sgpr_workgroup_info 0
		.amdhsa_system_vgpr_workitem_id 0
		.amdhsa_next_free_vgpr 1
		.amdhsa_next_free_sgpr 1
		.amdhsa_named_barrier_count 0
		.amdhsa_reserve_vcc 0
		.amdhsa_float_round_mode_32 0
		.amdhsa_float_round_mode_16_64 0
		.amdhsa_float_denorm_mode_32 3
		.amdhsa_float_denorm_mode_16_64 3
		.amdhsa_fp16_overflow 0
		.amdhsa_memory_ordered 1
		.amdhsa_forward_progress 1
		.amdhsa_inst_pref_size 0
		.amdhsa_round_robin_scheduling 0
		.amdhsa_exception_fp_ieee_invalid_op 0
		.amdhsa_exception_fp_denorm_src 0
		.amdhsa_exception_fp_ieee_div_zero 0
		.amdhsa_exception_fp_ieee_overflow 0
		.amdhsa_exception_fp_ieee_underflow 0
		.amdhsa_exception_fp_ieee_inexact 0
		.amdhsa_exception_int_div_zero 0
	.end_amdhsa_kernel
	.section	.text._ZN7rocprim17ROCPRIM_400000_NS6detail17trampoline_kernelINS0_14default_configENS1_27scan_by_key_config_selectorIssEEZZNS1_16scan_by_key_implILNS1_25lookback_scan_determinismE0ELb1ES3_N6thrust23THRUST_200600_302600_NS6detail15normal_iteratorINS9_10device_ptrIsEEEESE_SE_sNS9_4plusIvEENS9_8equal_toIsEEsEE10hipError_tPvRmT2_T3_T4_T5_mT6_T7_P12ihipStream_tbENKUlT_T0_E_clISt17integral_constantIbLb0EESZ_EEDaSU_SV_EUlSU_E_NS1_11comp_targetILNS1_3genE5ELNS1_11target_archE942ELNS1_3gpuE9ELNS1_3repE0EEENS1_30default_config_static_selectorELNS0_4arch9wavefront6targetE0EEEvT1_,"axG",@progbits,_ZN7rocprim17ROCPRIM_400000_NS6detail17trampoline_kernelINS0_14default_configENS1_27scan_by_key_config_selectorIssEEZZNS1_16scan_by_key_implILNS1_25lookback_scan_determinismE0ELb1ES3_N6thrust23THRUST_200600_302600_NS6detail15normal_iteratorINS9_10device_ptrIsEEEESE_SE_sNS9_4plusIvEENS9_8equal_toIsEEsEE10hipError_tPvRmT2_T3_T4_T5_mT6_T7_P12ihipStream_tbENKUlT_T0_E_clISt17integral_constantIbLb0EESZ_EEDaSU_SV_EUlSU_E_NS1_11comp_targetILNS1_3genE5ELNS1_11target_archE942ELNS1_3gpuE9ELNS1_3repE0EEENS1_30default_config_static_selectorELNS0_4arch9wavefront6targetE0EEEvT1_,comdat
.Lfunc_end643:
	.size	_ZN7rocprim17ROCPRIM_400000_NS6detail17trampoline_kernelINS0_14default_configENS1_27scan_by_key_config_selectorIssEEZZNS1_16scan_by_key_implILNS1_25lookback_scan_determinismE0ELb1ES3_N6thrust23THRUST_200600_302600_NS6detail15normal_iteratorINS9_10device_ptrIsEEEESE_SE_sNS9_4plusIvEENS9_8equal_toIsEEsEE10hipError_tPvRmT2_T3_T4_T5_mT6_T7_P12ihipStream_tbENKUlT_T0_E_clISt17integral_constantIbLb0EESZ_EEDaSU_SV_EUlSU_E_NS1_11comp_targetILNS1_3genE5ELNS1_11target_archE942ELNS1_3gpuE9ELNS1_3repE0EEENS1_30default_config_static_selectorELNS0_4arch9wavefront6targetE0EEEvT1_, .Lfunc_end643-_ZN7rocprim17ROCPRIM_400000_NS6detail17trampoline_kernelINS0_14default_configENS1_27scan_by_key_config_selectorIssEEZZNS1_16scan_by_key_implILNS1_25lookback_scan_determinismE0ELb1ES3_N6thrust23THRUST_200600_302600_NS6detail15normal_iteratorINS9_10device_ptrIsEEEESE_SE_sNS9_4plusIvEENS9_8equal_toIsEEsEE10hipError_tPvRmT2_T3_T4_T5_mT6_T7_P12ihipStream_tbENKUlT_T0_E_clISt17integral_constantIbLb0EESZ_EEDaSU_SV_EUlSU_E_NS1_11comp_targetILNS1_3genE5ELNS1_11target_archE942ELNS1_3gpuE9ELNS1_3repE0EEENS1_30default_config_static_selectorELNS0_4arch9wavefront6targetE0EEEvT1_
                                        ; -- End function
	.set _ZN7rocprim17ROCPRIM_400000_NS6detail17trampoline_kernelINS0_14default_configENS1_27scan_by_key_config_selectorIssEEZZNS1_16scan_by_key_implILNS1_25lookback_scan_determinismE0ELb1ES3_N6thrust23THRUST_200600_302600_NS6detail15normal_iteratorINS9_10device_ptrIsEEEESE_SE_sNS9_4plusIvEENS9_8equal_toIsEEsEE10hipError_tPvRmT2_T3_T4_T5_mT6_T7_P12ihipStream_tbENKUlT_T0_E_clISt17integral_constantIbLb0EESZ_EEDaSU_SV_EUlSU_E_NS1_11comp_targetILNS1_3genE5ELNS1_11target_archE942ELNS1_3gpuE9ELNS1_3repE0EEENS1_30default_config_static_selectorELNS0_4arch9wavefront6targetE0EEEvT1_.num_vgpr, 0
	.set _ZN7rocprim17ROCPRIM_400000_NS6detail17trampoline_kernelINS0_14default_configENS1_27scan_by_key_config_selectorIssEEZZNS1_16scan_by_key_implILNS1_25lookback_scan_determinismE0ELb1ES3_N6thrust23THRUST_200600_302600_NS6detail15normal_iteratorINS9_10device_ptrIsEEEESE_SE_sNS9_4plusIvEENS9_8equal_toIsEEsEE10hipError_tPvRmT2_T3_T4_T5_mT6_T7_P12ihipStream_tbENKUlT_T0_E_clISt17integral_constantIbLb0EESZ_EEDaSU_SV_EUlSU_E_NS1_11comp_targetILNS1_3genE5ELNS1_11target_archE942ELNS1_3gpuE9ELNS1_3repE0EEENS1_30default_config_static_selectorELNS0_4arch9wavefront6targetE0EEEvT1_.num_agpr, 0
	.set _ZN7rocprim17ROCPRIM_400000_NS6detail17trampoline_kernelINS0_14default_configENS1_27scan_by_key_config_selectorIssEEZZNS1_16scan_by_key_implILNS1_25lookback_scan_determinismE0ELb1ES3_N6thrust23THRUST_200600_302600_NS6detail15normal_iteratorINS9_10device_ptrIsEEEESE_SE_sNS9_4plusIvEENS9_8equal_toIsEEsEE10hipError_tPvRmT2_T3_T4_T5_mT6_T7_P12ihipStream_tbENKUlT_T0_E_clISt17integral_constantIbLb0EESZ_EEDaSU_SV_EUlSU_E_NS1_11comp_targetILNS1_3genE5ELNS1_11target_archE942ELNS1_3gpuE9ELNS1_3repE0EEENS1_30default_config_static_selectorELNS0_4arch9wavefront6targetE0EEEvT1_.numbered_sgpr, 0
	.set _ZN7rocprim17ROCPRIM_400000_NS6detail17trampoline_kernelINS0_14default_configENS1_27scan_by_key_config_selectorIssEEZZNS1_16scan_by_key_implILNS1_25lookback_scan_determinismE0ELb1ES3_N6thrust23THRUST_200600_302600_NS6detail15normal_iteratorINS9_10device_ptrIsEEEESE_SE_sNS9_4plusIvEENS9_8equal_toIsEEsEE10hipError_tPvRmT2_T3_T4_T5_mT6_T7_P12ihipStream_tbENKUlT_T0_E_clISt17integral_constantIbLb0EESZ_EEDaSU_SV_EUlSU_E_NS1_11comp_targetILNS1_3genE5ELNS1_11target_archE942ELNS1_3gpuE9ELNS1_3repE0EEENS1_30default_config_static_selectorELNS0_4arch9wavefront6targetE0EEEvT1_.num_named_barrier, 0
	.set _ZN7rocprim17ROCPRIM_400000_NS6detail17trampoline_kernelINS0_14default_configENS1_27scan_by_key_config_selectorIssEEZZNS1_16scan_by_key_implILNS1_25lookback_scan_determinismE0ELb1ES3_N6thrust23THRUST_200600_302600_NS6detail15normal_iteratorINS9_10device_ptrIsEEEESE_SE_sNS9_4plusIvEENS9_8equal_toIsEEsEE10hipError_tPvRmT2_T3_T4_T5_mT6_T7_P12ihipStream_tbENKUlT_T0_E_clISt17integral_constantIbLb0EESZ_EEDaSU_SV_EUlSU_E_NS1_11comp_targetILNS1_3genE5ELNS1_11target_archE942ELNS1_3gpuE9ELNS1_3repE0EEENS1_30default_config_static_selectorELNS0_4arch9wavefront6targetE0EEEvT1_.private_seg_size, 0
	.set _ZN7rocprim17ROCPRIM_400000_NS6detail17trampoline_kernelINS0_14default_configENS1_27scan_by_key_config_selectorIssEEZZNS1_16scan_by_key_implILNS1_25lookback_scan_determinismE0ELb1ES3_N6thrust23THRUST_200600_302600_NS6detail15normal_iteratorINS9_10device_ptrIsEEEESE_SE_sNS9_4plusIvEENS9_8equal_toIsEEsEE10hipError_tPvRmT2_T3_T4_T5_mT6_T7_P12ihipStream_tbENKUlT_T0_E_clISt17integral_constantIbLb0EESZ_EEDaSU_SV_EUlSU_E_NS1_11comp_targetILNS1_3genE5ELNS1_11target_archE942ELNS1_3gpuE9ELNS1_3repE0EEENS1_30default_config_static_selectorELNS0_4arch9wavefront6targetE0EEEvT1_.uses_vcc, 0
	.set _ZN7rocprim17ROCPRIM_400000_NS6detail17trampoline_kernelINS0_14default_configENS1_27scan_by_key_config_selectorIssEEZZNS1_16scan_by_key_implILNS1_25lookback_scan_determinismE0ELb1ES3_N6thrust23THRUST_200600_302600_NS6detail15normal_iteratorINS9_10device_ptrIsEEEESE_SE_sNS9_4plusIvEENS9_8equal_toIsEEsEE10hipError_tPvRmT2_T3_T4_T5_mT6_T7_P12ihipStream_tbENKUlT_T0_E_clISt17integral_constantIbLb0EESZ_EEDaSU_SV_EUlSU_E_NS1_11comp_targetILNS1_3genE5ELNS1_11target_archE942ELNS1_3gpuE9ELNS1_3repE0EEENS1_30default_config_static_selectorELNS0_4arch9wavefront6targetE0EEEvT1_.uses_flat_scratch, 0
	.set _ZN7rocprim17ROCPRIM_400000_NS6detail17trampoline_kernelINS0_14default_configENS1_27scan_by_key_config_selectorIssEEZZNS1_16scan_by_key_implILNS1_25lookback_scan_determinismE0ELb1ES3_N6thrust23THRUST_200600_302600_NS6detail15normal_iteratorINS9_10device_ptrIsEEEESE_SE_sNS9_4plusIvEENS9_8equal_toIsEEsEE10hipError_tPvRmT2_T3_T4_T5_mT6_T7_P12ihipStream_tbENKUlT_T0_E_clISt17integral_constantIbLb0EESZ_EEDaSU_SV_EUlSU_E_NS1_11comp_targetILNS1_3genE5ELNS1_11target_archE942ELNS1_3gpuE9ELNS1_3repE0EEENS1_30default_config_static_selectorELNS0_4arch9wavefront6targetE0EEEvT1_.has_dyn_sized_stack, 0
	.set _ZN7rocprim17ROCPRIM_400000_NS6detail17trampoline_kernelINS0_14default_configENS1_27scan_by_key_config_selectorIssEEZZNS1_16scan_by_key_implILNS1_25lookback_scan_determinismE0ELb1ES3_N6thrust23THRUST_200600_302600_NS6detail15normal_iteratorINS9_10device_ptrIsEEEESE_SE_sNS9_4plusIvEENS9_8equal_toIsEEsEE10hipError_tPvRmT2_T3_T4_T5_mT6_T7_P12ihipStream_tbENKUlT_T0_E_clISt17integral_constantIbLb0EESZ_EEDaSU_SV_EUlSU_E_NS1_11comp_targetILNS1_3genE5ELNS1_11target_archE942ELNS1_3gpuE9ELNS1_3repE0EEENS1_30default_config_static_selectorELNS0_4arch9wavefront6targetE0EEEvT1_.has_recursion, 0
	.set _ZN7rocprim17ROCPRIM_400000_NS6detail17trampoline_kernelINS0_14default_configENS1_27scan_by_key_config_selectorIssEEZZNS1_16scan_by_key_implILNS1_25lookback_scan_determinismE0ELb1ES3_N6thrust23THRUST_200600_302600_NS6detail15normal_iteratorINS9_10device_ptrIsEEEESE_SE_sNS9_4plusIvEENS9_8equal_toIsEEsEE10hipError_tPvRmT2_T3_T4_T5_mT6_T7_P12ihipStream_tbENKUlT_T0_E_clISt17integral_constantIbLb0EESZ_EEDaSU_SV_EUlSU_E_NS1_11comp_targetILNS1_3genE5ELNS1_11target_archE942ELNS1_3gpuE9ELNS1_3repE0EEENS1_30default_config_static_selectorELNS0_4arch9wavefront6targetE0EEEvT1_.has_indirect_call, 0
	.section	.AMDGPU.csdata,"",@progbits
; Kernel info:
; codeLenInByte = 0
; TotalNumSgprs: 0
; NumVgprs: 0
; ScratchSize: 0
; MemoryBound: 0
; FloatMode: 240
; IeeeMode: 1
; LDSByteSize: 0 bytes/workgroup (compile time only)
; SGPRBlocks: 0
; VGPRBlocks: 0
; NumSGPRsForWavesPerEU: 1
; NumVGPRsForWavesPerEU: 1
; NamedBarCnt: 0
; Occupancy: 16
; WaveLimiterHint : 0
; COMPUTE_PGM_RSRC2:SCRATCH_EN: 0
; COMPUTE_PGM_RSRC2:USER_SGPR: 2
; COMPUTE_PGM_RSRC2:TRAP_HANDLER: 0
; COMPUTE_PGM_RSRC2:TGID_X_EN: 1
; COMPUTE_PGM_RSRC2:TGID_Y_EN: 0
; COMPUTE_PGM_RSRC2:TGID_Z_EN: 0
; COMPUTE_PGM_RSRC2:TIDIG_COMP_CNT: 0
	.section	.text._ZN7rocprim17ROCPRIM_400000_NS6detail17trampoline_kernelINS0_14default_configENS1_27scan_by_key_config_selectorIssEEZZNS1_16scan_by_key_implILNS1_25lookback_scan_determinismE0ELb1ES3_N6thrust23THRUST_200600_302600_NS6detail15normal_iteratorINS9_10device_ptrIsEEEESE_SE_sNS9_4plusIvEENS9_8equal_toIsEEsEE10hipError_tPvRmT2_T3_T4_T5_mT6_T7_P12ihipStream_tbENKUlT_T0_E_clISt17integral_constantIbLb0EESZ_EEDaSU_SV_EUlSU_E_NS1_11comp_targetILNS1_3genE4ELNS1_11target_archE910ELNS1_3gpuE8ELNS1_3repE0EEENS1_30default_config_static_selectorELNS0_4arch9wavefront6targetE0EEEvT1_,"axG",@progbits,_ZN7rocprim17ROCPRIM_400000_NS6detail17trampoline_kernelINS0_14default_configENS1_27scan_by_key_config_selectorIssEEZZNS1_16scan_by_key_implILNS1_25lookback_scan_determinismE0ELb1ES3_N6thrust23THRUST_200600_302600_NS6detail15normal_iteratorINS9_10device_ptrIsEEEESE_SE_sNS9_4plusIvEENS9_8equal_toIsEEsEE10hipError_tPvRmT2_T3_T4_T5_mT6_T7_P12ihipStream_tbENKUlT_T0_E_clISt17integral_constantIbLb0EESZ_EEDaSU_SV_EUlSU_E_NS1_11comp_targetILNS1_3genE4ELNS1_11target_archE910ELNS1_3gpuE8ELNS1_3repE0EEENS1_30default_config_static_selectorELNS0_4arch9wavefront6targetE0EEEvT1_,comdat
	.protected	_ZN7rocprim17ROCPRIM_400000_NS6detail17trampoline_kernelINS0_14default_configENS1_27scan_by_key_config_selectorIssEEZZNS1_16scan_by_key_implILNS1_25lookback_scan_determinismE0ELb1ES3_N6thrust23THRUST_200600_302600_NS6detail15normal_iteratorINS9_10device_ptrIsEEEESE_SE_sNS9_4plusIvEENS9_8equal_toIsEEsEE10hipError_tPvRmT2_T3_T4_T5_mT6_T7_P12ihipStream_tbENKUlT_T0_E_clISt17integral_constantIbLb0EESZ_EEDaSU_SV_EUlSU_E_NS1_11comp_targetILNS1_3genE4ELNS1_11target_archE910ELNS1_3gpuE8ELNS1_3repE0EEENS1_30default_config_static_selectorELNS0_4arch9wavefront6targetE0EEEvT1_ ; -- Begin function _ZN7rocprim17ROCPRIM_400000_NS6detail17trampoline_kernelINS0_14default_configENS1_27scan_by_key_config_selectorIssEEZZNS1_16scan_by_key_implILNS1_25lookback_scan_determinismE0ELb1ES3_N6thrust23THRUST_200600_302600_NS6detail15normal_iteratorINS9_10device_ptrIsEEEESE_SE_sNS9_4plusIvEENS9_8equal_toIsEEsEE10hipError_tPvRmT2_T3_T4_T5_mT6_T7_P12ihipStream_tbENKUlT_T0_E_clISt17integral_constantIbLb0EESZ_EEDaSU_SV_EUlSU_E_NS1_11comp_targetILNS1_3genE4ELNS1_11target_archE910ELNS1_3gpuE8ELNS1_3repE0EEENS1_30default_config_static_selectorELNS0_4arch9wavefront6targetE0EEEvT1_
	.globl	_ZN7rocprim17ROCPRIM_400000_NS6detail17trampoline_kernelINS0_14default_configENS1_27scan_by_key_config_selectorIssEEZZNS1_16scan_by_key_implILNS1_25lookback_scan_determinismE0ELb1ES3_N6thrust23THRUST_200600_302600_NS6detail15normal_iteratorINS9_10device_ptrIsEEEESE_SE_sNS9_4plusIvEENS9_8equal_toIsEEsEE10hipError_tPvRmT2_T3_T4_T5_mT6_T7_P12ihipStream_tbENKUlT_T0_E_clISt17integral_constantIbLb0EESZ_EEDaSU_SV_EUlSU_E_NS1_11comp_targetILNS1_3genE4ELNS1_11target_archE910ELNS1_3gpuE8ELNS1_3repE0EEENS1_30default_config_static_selectorELNS0_4arch9wavefront6targetE0EEEvT1_
	.p2align	8
	.type	_ZN7rocprim17ROCPRIM_400000_NS6detail17trampoline_kernelINS0_14default_configENS1_27scan_by_key_config_selectorIssEEZZNS1_16scan_by_key_implILNS1_25lookback_scan_determinismE0ELb1ES3_N6thrust23THRUST_200600_302600_NS6detail15normal_iteratorINS9_10device_ptrIsEEEESE_SE_sNS9_4plusIvEENS9_8equal_toIsEEsEE10hipError_tPvRmT2_T3_T4_T5_mT6_T7_P12ihipStream_tbENKUlT_T0_E_clISt17integral_constantIbLb0EESZ_EEDaSU_SV_EUlSU_E_NS1_11comp_targetILNS1_3genE4ELNS1_11target_archE910ELNS1_3gpuE8ELNS1_3repE0EEENS1_30default_config_static_selectorELNS0_4arch9wavefront6targetE0EEEvT1_,@function
_ZN7rocprim17ROCPRIM_400000_NS6detail17trampoline_kernelINS0_14default_configENS1_27scan_by_key_config_selectorIssEEZZNS1_16scan_by_key_implILNS1_25lookback_scan_determinismE0ELb1ES3_N6thrust23THRUST_200600_302600_NS6detail15normal_iteratorINS9_10device_ptrIsEEEESE_SE_sNS9_4plusIvEENS9_8equal_toIsEEsEE10hipError_tPvRmT2_T3_T4_T5_mT6_T7_P12ihipStream_tbENKUlT_T0_E_clISt17integral_constantIbLb0EESZ_EEDaSU_SV_EUlSU_E_NS1_11comp_targetILNS1_3genE4ELNS1_11target_archE910ELNS1_3gpuE8ELNS1_3repE0EEENS1_30default_config_static_selectorELNS0_4arch9wavefront6targetE0EEEvT1_: ; @_ZN7rocprim17ROCPRIM_400000_NS6detail17trampoline_kernelINS0_14default_configENS1_27scan_by_key_config_selectorIssEEZZNS1_16scan_by_key_implILNS1_25lookback_scan_determinismE0ELb1ES3_N6thrust23THRUST_200600_302600_NS6detail15normal_iteratorINS9_10device_ptrIsEEEESE_SE_sNS9_4plusIvEENS9_8equal_toIsEEsEE10hipError_tPvRmT2_T3_T4_T5_mT6_T7_P12ihipStream_tbENKUlT_T0_E_clISt17integral_constantIbLb0EESZ_EEDaSU_SV_EUlSU_E_NS1_11comp_targetILNS1_3genE4ELNS1_11target_archE910ELNS1_3gpuE8ELNS1_3repE0EEENS1_30default_config_static_selectorELNS0_4arch9wavefront6targetE0EEEvT1_
; %bb.0:
	.section	.rodata,"a",@progbits
	.p2align	6, 0x0
	.amdhsa_kernel _ZN7rocprim17ROCPRIM_400000_NS6detail17trampoline_kernelINS0_14default_configENS1_27scan_by_key_config_selectorIssEEZZNS1_16scan_by_key_implILNS1_25lookback_scan_determinismE0ELb1ES3_N6thrust23THRUST_200600_302600_NS6detail15normal_iteratorINS9_10device_ptrIsEEEESE_SE_sNS9_4plusIvEENS9_8equal_toIsEEsEE10hipError_tPvRmT2_T3_T4_T5_mT6_T7_P12ihipStream_tbENKUlT_T0_E_clISt17integral_constantIbLb0EESZ_EEDaSU_SV_EUlSU_E_NS1_11comp_targetILNS1_3genE4ELNS1_11target_archE910ELNS1_3gpuE8ELNS1_3repE0EEENS1_30default_config_static_selectorELNS0_4arch9wavefront6targetE0EEEvT1_
		.amdhsa_group_segment_fixed_size 0
		.amdhsa_private_segment_fixed_size 0
		.amdhsa_kernarg_size 112
		.amdhsa_user_sgpr_count 2
		.amdhsa_user_sgpr_dispatch_ptr 0
		.amdhsa_user_sgpr_queue_ptr 0
		.amdhsa_user_sgpr_kernarg_segment_ptr 1
		.amdhsa_user_sgpr_dispatch_id 0
		.amdhsa_user_sgpr_kernarg_preload_length 0
		.amdhsa_user_sgpr_kernarg_preload_offset 0
		.amdhsa_user_sgpr_private_segment_size 0
		.amdhsa_wavefront_size32 1
		.amdhsa_uses_dynamic_stack 0
		.amdhsa_enable_private_segment 0
		.amdhsa_system_sgpr_workgroup_id_x 1
		.amdhsa_system_sgpr_workgroup_id_y 0
		.amdhsa_system_sgpr_workgroup_id_z 0
		.amdhsa_system_sgpr_workgroup_info 0
		.amdhsa_system_vgpr_workitem_id 0
		.amdhsa_next_free_vgpr 1
		.amdhsa_next_free_sgpr 1
		.amdhsa_named_barrier_count 0
		.amdhsa_reserve_vcc 0
		.amdhsa_float_round_mode_32 0
		.amdhsa_float_round_mode_16_64 0
		.amdhsa_float_denorm_mode_32 3
		.amdhsa_float_denorm_mode_16_64 3
		.amdhsa_fp16_overflow 0
		.amdhsa_memory_ordered 1
		.amdhsa_forward_progress 1
		.amdhsa_inst_pref_size 0
		.amdhsa_round_robin_scheduling 0
		.amdhsa_exception_fp_ieee_invalid_op 0
		.amdhsa_exception_fp_denorm_src 0
		.amdhsa_exception_fp_ieee_div_zero 0
		.amdhsa_exception_fp_ieee_overflow 0
		.amdhsa_exception_fp_ieee_underflow 0
		.amdhsa_exception_fp_ieee_inexact 0
		.amdhsa_exception_int_div_zero 0
	.end_amdhsa_kernel
	.section	.text._ZN7rocprim17ROCPRIM_400000_NS6detail17trampoline_kernelINS0_14default_configENS1_27scan_by_key_config_selectorIssEEZZNS1_16scan_by_key_implILNS1_25lookback_scan_determinismE0ELb1ES3_N6thrust23THRUST_200600_302600_NS6detail15normal_iteratorINS9_10device_ptrIsEEEESE_SE_sNS9_4plusIvEENS9_8equal_toIsEEsEE10hipError_tPvRmT2_T3_T4_T5_mT6_T7_P12ihipStream_tbENKUlT_T0_E_clISt17integral_constantIbLb0EESZ_EEDaSU_SV_EUlSU_E_NS1_11comp_targetILNS1_3genE4ELNS1_11target_archE910ELNS1_3gpuE8ELNS1_3repE0EEENS1_30default_config_static_selectorELNS0_4arch9wavefront6targetE0EEEvT1_,"axG",@progbits,_ZN7rocprim17ROCPRIM_400000_NS6detail17trampoline_kernelINS0_14default_configENS1_27scan_by_key_config_selectorIssEEZZNS1_16scan_by_key_implILNS1_25lookback_scan_determinismE0ELb1ES3_N6thrust23THRUST_200600_302600_NS6detail15normal_iteratorINS9_10device_ptrIsEEEESE_SE_sNS9_4plusIvEENS9_8equal_toIsEEsEE10hipError_tPvRmT2_T3_T4_T5_mT6_T7_P12ihipStream_tbENKUlT_T0_E_clISt17integral_constantIbLb0EESZ_EEDaSU_SV_EUlSU_E_NS1_11comp_targetILNS1_3genE4ELNS1_11target_archE910ELNS1_3gpuE8ELNS1_3repE0EEENS1_30default_config_static_selectorELNS0_4arch9wavefront6targetE0EEEvT1_,comdat
.Lfunc_end644:
	.size	_ZN7rocprim17ROCPRIM_400000_NS6detail17trampoline_kernelINS0_14default_configENS1_27scan_by_key_config_selectorIssEEZZNS1_16scan_by_key_implILNS1_25lookback_scan_determinismE0ELb1ES3_N6thrust23THRUST_200600_302600_NS6detail15normal_iteratorINS9_10device_ptrIsEEEESE_SE_sNS9_4plusIvEENS9_8equal_toIsEEsEE10hipError_tPvRmT2_T3_T4_T5_mT6_T7_P12ihipStream_tbENKUlT_T0_E_clISt17integral_constantIbLb0EESZ_EEDaSU_SV_EUlSU_E_NS1_11comp_targetILNS1_3genE4ELNS1_11target_archE910ELNS1_3gpuE8ELNS1_3repE0EEENS1_30default_config_static_selectorELNS0_4arch9wavefront6targetE0EEEvT1_, .Lfunc_end644-_ZN7rocprim17ROCPRIM_400000_NS6detail17trampoline_kernelINS0_14default_configENS1_27scan_by_key_config_selectorIssEEZZNS1_16scan_by_key_implILNS1_25lookback_scan_determinismE0ELb1ES3_N6thrust23THRUST_200600_302600_NS6detail15normal_iteratorINS9_10device_ptrIsEEEESE_SE_sNS9_4plusIvEENS9_8equal_toIsEEsEE10hipError_tPvRmT2_T3_T4_T5_mT6_T7_P12ihipStream_tbENKUlT_T0_E_clISt17integral_constantIbLb0EESZ_EEDaSU_SV_EUlSU_E_NS1_11comp_targetILNS1_3genE4ELNS1_11target_archE910ELNS1_3gpuE8ELNS1_3repE0EEENS1_30default_config_static_selectorELNS0_4arch9wavefront6targetE0EEEvT1_
                                        ; -- End function
	.set _ZN7rocprim17ROCPRIM_400000_NS6detail17trampoline_kernelINS0_14default_configENS1_27scan_by_key_config_selectorIssEEZZNS1_16scan_by_key_implILNS1_25lookback_scan_determinismE0ELb1ES3_N6thrust23THRUST_200600_302600_NS6detail15normal_iteratorINS9_10device_ptrIsEEEESE_SE_sNS9_4plusIvEENS9_8equal_toIsEEsEE10hipError_tPvRmT2_T3_T4_T5_mT6_T7_P12ihipStream_tbENKUlT_T0_E_clISt17integral_constantIbLb0EESZ_EEDaSU_SV_EUlSU_E_NS1_11comp_targetILNS1_3genE4ELNS1_11target_archE910ELNS1_3gpuE8ELNS1_3repE0EEENS1_30default_config_static_selectorELNS0_4arch9wavefront6targetE0EEEvT1_.num_vgpr, 0
	.set _ZN7rocprim17ROCPRIM_400000_NS6detail17trampoline_kernelINS0_14default_configENS1_27scan_by_key_config_selectorIssEEZZNS1_16scan_by_key_implILNS1_25lookback_scan_determinismE0ELb1ES3_N6thrust23THRUST_200600_302600_NS6detail15normal_iteratorINS9_10device_ptrIsEEEESE_SE_sNS9_4plusIvEENS9_8equal_toIsEEsEE10hipError_tPvRmT2_T3_T4_T5_mT6_T7_P12ihipStream_tbENKUlT_T0_E_clISt17integral_constantIbLb0EESZ_EEDaSU_SV_EUlSU_E_NS1_11comp_targetILNS1_3genE4ELNS1_11target_archE910ELNS1_3gpuE8ELNS1_3repE0EEENS1_30default_config_static_selectorELNS0_4arch9wavefront6targetE0EEEvT1_.num_agpr, 0
	.set _ZN7rocprim17ROCPRIM_400000_NS6detail17trampoline_kernelINS0_14default_configENS1_27scan_by_key_config_selectorIssEEZZNS1_16scan_by_key_implILNS1_25lookback_scan_determinismE0ELb1ES3_N6thrust23THRUST_200600_302600_NS6detail15normal_iteratorINS9_10device_ptrIsEEEESE_SE_sNS9_4plusIvEENS9_8equal_toIsEEsEE10hipError_tPvRmT2_T3_T4_T5_mT6_T7_P12ihipStream_tbENKUlT_T0_E_clISt17integral_constantIbLb0EESZ_EEDaSU_SV_EUlSU_E_NS1_11comp_targetILNS1_3genE4ELNS1_11target_archE910ELNS1_3gpuE8ELNS1_3repE0EEENS1_30default_config_static_selectorELNS0_4arch9wavefront6targetE0EEEvT1_.numbered_sgpr, 0
	.set _ZN7rocprim17ROCPRIM_400000_NS6detail17trampoline_kernelINS0_14default_configENS1_27scan_by_key_config_selectorIssEEZZNS1_16scan_by_key_implILNS1_25lookback_scan_determinismE0ELb1ES3_N6thrust23THRUST_200600_302600_NS6detail15normal_iteratorINS9_10device_ptrIsEEEESE_SE_sNS9_4plusIvEENS9_8equal_toIsEEsEE10hipError_tPvRmT2_T3_T4_T5_mT6_T7_P12ihipStream_tbENKUlT_T0_E_clISt17integral_constantIbLb0EESZ_EEDaSU_SV_EUlSU_E_NS1_11comp_targetILNS1_3genE4ELNS1_11target_archE910ELNS1_3gpuE8ELNS1_3repE0EEENS1_30default_config_static_selectorELNS0_4arch9wavefront6targetE0EEEvT1_.num_named_barrier, 0
	.set _ZN7rocprim17ROCPRIM_400000_NS6detail17trampoline_kernelINS0_14default_configENS1_27scan_by_key_config_selectorIssEEZZNS1_16scan_by_key_implILNS1_25lookback_scan_determinismE0ELb1ES3_N6thrust23THRUST_200600_302600_NS6detail15normal_iteratorINS9_10device_ptrIsEEEESE_SE_sNS9_4plusIvEENS9_8equal_toIsEEsEE10hipError_tPvRmT2_T3_T4_T5_mT6_T7_P12ihipStream_tbENKUlT_T0_E_clISt17integral_constantIbLb0EESZ_EEDaSU_SV_EUlSU_E_NS1_11comp_targetILNS1_3genE4ELNS1_11target_archE910ELNS1_3gpuE8ELNS1_3repE0EEENS1_30default_config_static_selectorELNS0_4arch9wavefront6targetE0EEEvT1_.private_seg_size, 0
	.set _ZN7rocprim17ROCPRIM_400000_NS6detail17trampoline_kernelINS0_14default_configENS1_27scan_by_key_config_selectorIssEEZZNS1_16scan_by_key_implILNS1_25lookback_scan_determinismE0ELb1ES3_N6thrust23THRUST_200600_302600_NS6detail15normal_iteratorINS9_10device_ptrIsEEEESE_SE_sNS9_4plusIvEENS9_8equal_toIsEEsEE10hipError_tPvRmT2_T3_T4_T5_mT6_T7_P12ihipStream_tbENKUlT_T0_E_clISt17integral_constantIbLb0EESZ_EEDaSU_SV_EUlSU_E_NS1_11comp_targetILNS1_3genE4ELNS1_11target_archE910ELNS1_3gpuE8ELNS1_3repE0EEENS1_30default_config_static_selectorELNS0_4arch9wavefront6targetE0EEEvT1_.uses_vcc, 0
	.set _ZN7rocprim17ROCPRIM_400000_NS6detail17trampoline_kernelINS0_14default_configENS1_27scan_by_key_config_selectorIssEEZZNS1_16scan_by_key_implILNS1_25lookback_scan_determinismE0ELb1ES3_N6thrust23THRUST_200600_302600_NS6detail15normal_iteratorINS9_10device_ptrIsEEEESE_SE_sNS9_4plusIvEENS9_8equal_toIsEEsEE10hipError_tPvRmT2_T3_T4_T5_mT6_T7_P12ihipStream_tbENKUlT_T0_E_clISt17integral_constantIbLb0EESZ_EEDaSU_SV_EUlSU_E_NS1_11comp_targetILNS1_3genE4ELNS1_11target_archE910ELNS1_3gpuE8ELNS1_3repE0EEENS1_30default_config_static_selectorELNS0_4arch9wavefront6targetE0EEEvT1_.uses_flat_scratch, 0
	.set _ZN7rocprim17ROCPRIM_400000_NS6detail17trampoline_kernelINS0_14default_configENS1_27scan_by_key_config_selectorIssEEZZNS1_16scan_by_key_implILNS1_25lookback_scan_determinismE0ELb1ES3_N6thrust23THRUST_200600_302600_NS6detail15normal_iteratorINS9_10device_ptrIsEEEESE_SE_sNS9_4plusIvEENS9_8equal_toIsEEsEE10hipError_tPvRmT2_T3_T4_T5_mT6_T7_P12ihipStream_tbENKUlT_T0_E_clISt17integral_constantIbLb0EESZ_EEDaSU_SV_EUlSU_E_NS1_11comp_targetILNS1_3genE4ELNS1_11target_archE910ELNS1_3gpuE8ELNS1_3repE0EEENS1_30default_config_static_selectorELNS0_4arch9wavefront6targetE0EEEvT1_.has_dyn_sized_stack, 0
	.set _ZN7rocprim17ROCPRIM_400000_NS6detail17trampoline_kernelINS0_14default_configENS1_27scan_by_key_config_selectorIssEEZZNS1_16scan_by_key_implILNS1_25lookback_scan_determinismE0ELb1ES3_N6thrust23THRUST_200600_302600_NS6detail15normal_iteratorINS9_10device_ptrIsEEEESE_SE_sNS9_4plusIvEENS9_8equal_toIsEEsEE10hipError_tPvRmT2_T3_T4_T5_mT6_T7_P12ihipStream_tbENKUlT_T0_E_clISt17integral_constantIbLb0EESZ_EEDaSU_SV_EUlSU_E_NS1_11comp_targetILNS1_3genE4ELNS1_11target_archE910ELNS1_3gpuE8ELNS1_3repE0EEENS1_30default_config_static_selectorELNS0_4arch9wavefront6targetE0EEEvT1_.has_recursion, 0
	.set _ZN7rocprim17ROCPRIM_400000_NS6detail17trampoline_kernelINS0_14default_configENS1_27scan_by_key_config_selectorIssEEZZNS1_16scan_by_key_implILNS1_25lookback_scan_determinismE0ELb1ES3_N6thrust23THRUST_200600_302600_NS6detail15normal_iteratorINS9_10device_ptrIsEEEESE_SE_sNS9_4plusIvEENS9_8equal_toIsEEsEE10hipError_tPvRmT2_T3_T4_T5_mT6_T7_P12ihipStream_tbENKUlT_T0_E_clISt17integral_constantIbLb0EESZ_EEDaSU_SV_EUlSU_E_NS1_11comp_targetILNS1_3genE4ELNS1_11target_archE910ELNS1_3gpuE8ELNS1_3repE0EEENS1_30default_config_static_selectorELNS0_4arch9wavefront6targetE0EEEvT1_.has_indirect_call, 0
	.section	.AMDGPU.csdata,"",@progbits
; Kernel info:
; codeLenInByte = 0
; TotalNumSgprs: 0
; NumVgprs: 0
; ScratchSize: 0
; MemoryBound: 0
; FloatMode: 240
; IeeeMode: 1
; LDSByteSize: 0 bytes/workgroup (compile time only)
; SGPRBlocks: 0
; VGPRBlocks: 0
; NumSGPRsForWavesPerEU: 1
; NumVGPRsForWavesPerEU: 1
; NamedBarCnt: 0
; Occupancy: 16
; WaveLimiterHint : 0
; COMPUTE_PGM_RSRC2:SCRATCH_EN: 0
; COMPUTE_PGM_RSRC2:USER_SGPR: 2
; COMPUTE_PGM_RSRC2:TRAP_HANDLER: 0
; COMPUTE_PGM_RSRC2:TGID_X_EN: 1
; COMPUTE_PGM_RSRC2:TGID_Y_EN: 0
; COMPUTE_PGM_RSRC2:TGID_Z_EN: 0
; COMPUTE_PGM_RSRC2:TIDIG_COMP_CNT: 0
	.section	.text._ZN7rocprim17ROCPRIM_400000_NS6detail17trampoline_kernelINS0_14default_configENS1_27scan_by_key_config_selectorIssEEZZNS1_16scan_by_key_implILNS1_25lookback_scan_determinismE0ELb1ES3_N6thrust23THRUST_200600_302600_NS6detail15normal_iteratorINS9_10device_ptrIsEEEESE_SE_sNS9_4plusIvEENS9_8equal_toIsEEsEE10hipError_tPvRmT2_T3_T4_T5_mT6_T7_P12ihipStream_tbENKUlT_T0_E_clISt17integral_constantIbLb0EESZ_EEDaSU_SV_EUlSU_E_NS1_11comp_targetILNS1_3genE3ELNS1_11target_archE908ELNS1_3gpuE7ELNS1_3repE0EEENS1_30default_config_static_selectorELNS0_4arch9wavefront6targetE0EEEvT1_,"axG",@progbits,_ZN7rocprim17ROCPRIM_400000_NS6detail17trampoline_kernelINS0_14default_configENS1_27scan_by_key_config_selectorIssEEZZNS1_16scan_by_key_implILNS1_25lookback_scan_determinismE0ELb1ES3_N6thrust23THRUST_200600_302600_NS6detail15normal_iteratorINS9_10device_ptrIsEEEESE_SE_sNS9_4plusIvEENS9_8equal_toIsEEsEE10hipError_tPvRmT2_T3_T4_T5_mT6_T7_P12ihipStream_tbENKUlT_T0_E_clISt17integral_constantIbLb0EESZ_EEDaSU_SV_EUlSU_E_NS1_11comp_targetILNS1_3genE3ELNS1_11target_archE908ELNS1_3gpuE7ELNS1_3repE0EEENS1_30default_config_static_selectorELNS0_4arch9wavefront6targetE0EEEvT1_,comdat
	.protected	_ZN7rocprim17ROCPRIM_400000_NS6detail17trampoline_kernelINS0_14default_configENS1_27scan_by_key_config_selectorIssEEZZNS1_16scan_by_key_implILNS1_25lookback_scan_determinismE0ELb1ES3_N6thrust23THRUST_200600_302600_NS6detail15normal_iteratorINS9_10device_ptrIsEEEESE_SE_sNS9_4plusIvEENS9_8equal_toIsEEsEE10hipError_tPvRmT2_T3_T4_T5_mT6_T7_P12ihipStream_tbENKUlT_T0_E_clISt17integral_constantIbLb0EESZ_EEDaSU_SV_EUlSU_E_NS1_11comp_targetILNS1_3genE3ELNS1_11target_archE908ELNS1_3gpuE7ELNS1_3repE0EEENS1_30default_config_static_selectorELNS0_4arch9wavefront6targetE0EEEvT1_ ; -- Begin function _ZN7rocprim17ROCPRIM_400000_NS6detail17trampoline_kernelINS0_14default_configENS1_27scan_by_key_config_selectorIssEEZZNS1_16scan_by_key_implILNS1_25lookback_scan_determinismE0ELb1ES3_N6thrust23THRUST_200600_302600_NS6detail15normal_iteratorINS9_10device_ptrIsEEEESE_SE_sNS9_4plusIvEENS9_8equal_toIsEEsEE10hipError_tPvRmT2_T3_T4_T5_mT6_T7_P12ihipStream_tbENKUlT_T0_E_clISt17integral_constantIbLb0EESZ_EEDaSU_SV_EUlSU_E_NS1_11comp_targetILNS1_3genE3ELNS1_11target_archE908ELNS1_3gpuE7ELNS1_3repE0EEENS1_30default_config_static_selectorELNS0_4arch9wavefront6targetE0EEEvT1_
	.globl	_ZN7rocprim17ROCPRIM_400000_NS6detail17trampoline_kernelINS0_14default_configENS1_27scan_by_key_config_selectorIssEEZZNS1_16scan_by_key_implILNS1_25lookback_scan_determinismE0ELb1ES3_N6thrust23THRUST_200600_302600_NS6detail15normal_iteratorINS9_10device_ptrIsEEEESE_SE_sNS9_4plusIvEENS9_8equal_toIsEEsEE10hipError_tPvRmT2_T3_T4_T5_mT6_T7_P12ihipStream_tbENKUlT_T0_E_clISt17integral_constantIbLb0EESZ_EEDaSU_SV_EUlSU_E_NS1_11comp_targetILNS1_3genE3ELNS1_11target_archE908ELNS1_3gpuE7ELNS1_3repE0EEENS1_30default_config_static_selectorELNS0_4arch9wavefront6targetE0EEEvT1_
	.p2align	8
	.type	_ZN7rocprim17ROCPRIM_400000_NS6detail17trampoline_kernelINS0_14default_configENS1_27scan_by_key_config_selectorIssEEZZNS1_16scan_by_key_implILNS1_25lookback_scan_determinismE0ELb1ES3_N6thrust23THRUST_200600_302600_NS6detail15normal_iteratorINS9_10device_ptrIsEEEESE_SE_sNS9_4plusIvEENS9_8equal_toIsEEsEE10hipError_tPvRmT2_T3_T4_T5_mT6_T7_P12ihipStream_tbENKUlT_T0_E_clISt17integral_constantIbLb0EESZ_EEDaSU_SV_EUlSU_E_NS1_11comp_targetILNS1_3genE3ELNS1_11target_archE908ELNS1_3gpuE7ELNS1_3repE0EEENS1_30default_config_static_selectorELNS0_4arch9wavefront6targetE0EEEvT1_,@function
_ZN7rocprim17ROCPRIM_400000_NS6detail17trampoline_kernelINS0_14default_configENS1_27scan_by_key_config_selectorIssEEZZNS1_16scan_by_key_implILNS1_25lookback_scan_determinismE0ELb1ES3_N6thrust23THRUST_200600_302600_NS6detail15normal_iteratorINS9_10device_ptrIsEEEESE_SE_sNS9_4plusIvEENS9_8equal_toIsEEsEE10hipError_tPvRmT2_T3_T4_T5_mT6_T7_P12ihipStream_tbENKUlT_T0_E_clISt17integral_constantIbLb0EESZ_EEDaSU_SV_EUlSU_E_NS1_11comp_targetILNS1_3genE3ELNS1_11target_archE908ELNS1_3gpuE7ELNS1_3repE0EEENS1_30default_config_static_selectorELNS0_4arch9wavefront6targetE0EEEvT1_: ; @_ZN7rocprim17ROCPRIM_400000_NS6detail17trampoline_kernelINS0_14default_configENS1_27scan_by_key_config_selectorIssEEZZNS1_16scan_by_key_implILNS1_25lookback_scan_determinismE0ELb1ES3_N6thrust23THRUST_200600_302600_NS6detail15normal_iteratorINS9_10device_ptrIsEEEESE_SE_sNS9_4plusIvEENS9_8equal_toIsEEsEE10hipError_tPvRmT2_T3_T4_T5_mT6_T7_P12ihipStream_tbENKUlT_T0_E_clISt17integral_constantIbLb0EESZ_EEDaSU_SV_EUlSU_E_NS1_11comp_targetILNS1_3genE3ELNS1_11target_archE908ELNS1_3gpuE7ELNS1_3repE0EEENS1_30default_config_static_selectorELNS0_4arch9wavefront6targetE0EEEvT1_
; %bb.0:
	.section	.rodata,"a",@progbits
	.p2align	6, 0x0
	.amdhsa_kernel _ZN7rocprim17ROCPRIM_400000_NS6detail17trampoline_kernelINS0_14default_configENS1_27scan_by_key_config_selectorIssEEZZNS1_16scan_by_key_implILNS1_25lookback_scan_determinismE0ELb1ES3_N6thrust23THRUST_200600_302600_NS6detail15normal_iteratorINS9_10device_ptrIsEEEESE_SE_sNS9_4plusIvEENS9_8equal_toIsEEsEE10hipError_tPvRmT2_T3_T4_T5_mT6_T7_P12ihipStream_tbENKUlT_T0_E_clISt17integral_constantIbLb0EESZ_EEDaSU_SV_EUlSU_E_NS1_11comp_targetILNS1_3genE3ELNS1_11target_archE908ELNS1_3gpuE7ELNS1_3repE0EEENS1_30default_config_static_selectorELNS0_4arch9wavefront6targetE0EEEvT1_
		.amdhsa_group_segment_fixed_size 0
		.amdhsa_private_segment_fixed_size 0
		.amdhsa_kernarg_size 112
		.amdhsa_user_sgpr_count 2
		.amdhsa_user_sgpr_dispatch_ptr 0
		.amdhsa_user_sgpr_queue_ptr 0
		.amdhsa_user_sgpr_kernarg_segment_ptr 1
		.amdhsa_user_sgpr_dispatch_id 0
		.amdhsa_user_sgpr_kernarg_preload_length 0
		.amdhsa_user_sgpr_kernarg_preload_offset 0
		.amdhsa_user_sgpr_private_segment_size 0
		.amdhsa_wavefront_size32 1
		.amdhsa_uses_dynamic_stack 0
		.amdhsa_enable_private_segment 0
		.amdhsa_system_sgpr_workgroup_id_x 1
		.amdhsa_system_sgpr_workgroup_id_y 0
		.amdhsa_system_sgpr_workgroup_id_z 0
		.amdhsa_system_sgpr_workgroup_info 0
		.amdhsa_system_vgpr_workitem_id 0
		.amdhsa_next_free_vgpr 1
		.amdhsa_next_free_sgpr 1
		.amdhsa_named_barrier_count 0
		.amdhsa_reserve_vcc 0
		.amdhsa_float_round_mode_32 0
		.amdhsa_float_round_mode_16_64 0
		.amdhsa_float_denorm_mode_32 3
		.amdhsa_float_denorm_mode_16_64 3
		.amdhsa_fp16_overflow 0
		.amdhsa_memory_ordered 1
		.amdhsa_forward_progress 1
		.amdhsa_inst_pref_size 0
		.amdhsa_round_robin_scheduling 0
		.amdhsa_exception_fp_ieee_invalid_op 0
		.amdhsa_exception_fp_denorm_src 0
		.amdhsa_exception_fp_ieee_div_zero 0
		.amdhsa_exception_fp_ieee_overflow 0
		.amdhsa_exception_fp_ieee_underflow 0
		.amdhsa_exception_fp_ieee_inexact 0
		.amdhsa_exception_int_div_zero 0
	.end_amdhsa_kernel
	.section	.text._ZN7rocprim17ROCPRIM_400000_NS6detail17trampoline_kernelINS0_14default_configENS1_27scan_by_key_config_selectorIssEEZZNS1_16scan_by_key_implILNS1_25lookback_scan_determinismE0ELb1ES3_N6thrust23THRUST_200600_302600_NS6detail15normal_iteratorINS9_10device_ptrIsEEEESE_SE_sNS9_4plusIvEENS9_8equal_toIsEEsEE10hipError_tPvRmT2_T3_T4_T5_mT6_T7_P12ihipStream_tbENKUlT_T0_E_clISt17integral_constantIbLb0EESZ_EEDaSU_SV_EUlSU_E_NS1_11comp_targetILNS1_3genE3ELNS1_11target_archE908ELNS1_3gpuE7ELNS1_3repE0EEENS1_30default_config_static_selectorELNS0_4arch9wavefront6targetE0EEEvT1_,"axG",@progbits,_ZN7rocprim17ROCPRIM_400000_NS6detail17trampoline_kernelINS0_14default_configENS1_27scan_by_key_config_selectorIssEEZZNS1_16scan_by_key_implILNS1_25lookback_scan_determinismE0ELb1ES3_N6thrust23THRUST_200600_302600_NS6detail15normal_iteratorINS9_10device_ptrIsEEEESE_SE_sNS9_4plusIvEENS9_8equal_toIsEEsEE10hipError_tPvRmT2_T3_T4_T5_mT6_T7_P12ihipStream_tbENKUlT_T0_E_clISt17integral_constantIbLb0EESZ_EEDaSU_SV_EUlSU_E_NS1_11comp_targetILNS1_3genE3ELNS1_11target_archE908ELNS1_3gpuE7ELNS1_3repE0EEENS1_30default_config_static_selectorELNS0_4arch9wavefront6targetE0EEEvT1_,comdat
.Lfunc_end645:
	.size	_ZN7rocprim17ROCPRIM_400000_NS6detail17trampoline_kernelINS0_14default_configENS1_27scan_by_key_config_selectorIssEEZZNS1_16scan_by_key_implILNS1_25lookback_scan_determinismE0ELb1ES3_N6thrust23THRUST_200600_302600_NS6detail15normal_iteratorINS9_10device_ptrIsEEEESE_SE_sNS9_4plusIvEENS9_8equal_toIsEEsEE10hipError_tPvRmT2_T3_T4_T5_mT6_T7_P12ihipStream_tbENKUlT_T0_E_clISt17integral_constantIbLb0EESZ_EEDaSU_SV_EUlSU_E_NS1_11comp_targetILNS1_3genE3ELNS1_11target_archE908ELNS1_3gpuE7ELNS1_3repE0EEENS1_30default_config_static_selectorELNS0_4arch9wavefront6targetE0EEEvT1_, .Lfunc_end645-_ZN7rocprim17ROCPRIM_400000_NS6detail17trampoline_kernelINS0_14default_configENS1_27scan_by_key_config_selectorIssEEZZNS1_16scan_by_key_implILNS1_25lookback_scan_determinismE0ELb1ES3_N6thrust23THRUST_200600_302600_NS6detail15normal_iteratorINS9_10device_ptrIsEEEESE_SE_sNS9_4plusIvEENS9_8equal_toIsEEsEE10hipError_tPvRmT2_T3_T4_T5_mT6_T7_P12ihipStream_tbENKUlT_T0_E_clISt17integral_constantIbLb0EESZ_EEDaSU_SV_EUlSU_E_NS1_11comp_targetILNS1_3genE3ELNS1_11target_archE908ELNS1_3gpuE7ELNS1_3repE0EEENS1_30default_config_static_selectorELNS0_4arch9wavefront6targetE0EEEvT1_
                                        ; -- End function
	.set _ZN7rocprim17ROCPRIM_400000_NS6detail17trampoline_kernelINS0_14default_configENS1_27scan_by_key_config_selectorIssEEZZNS1_16scan_by_key_implILNS1_25lookback_scan_determinismE0ELb1ES3_N6thrust23THRUST_200600_302600_NS6detail15normal_iteratorINS9_10device_ptrIsEEEESE_SE_sNS9_4plusIvEENS9_8equal_toIsEEsEE10hipError_tPvRmT2_T3_T4_T5_mT6_T7_P12ihipStream_tbENKUlT_T0_E_clISt17integral_constantIbLb0EESZ_EEDaSU_SV_EUlSU_E_NS1_11comp_targetILNS1_3genE3ELNS1_11target_archE908ELNS1_3gpuE7ELNS1_3repE0EEENS1_30default_config_static_selectorELNS0_4arch9wavefront6targetE0EEEvT1_.num_vgpr, 0
	.set _ZN7rocprim17ROCPRIM_400000_NS6detail17trampoline_kernelINS0_14default_configENS1_27scan_by_key_config_selectorIssEEZZNS1_16scan_by_key_implILNS1_25lookback_scan_determinismE0ELb1ES3_N6thrust23THRUST_200600_302600_NS6detail15normal_iteratorINS9_10device_ptrIsEEEESE_SE_sNS9_4plusIvEENS9_8equal_toIsEEsEE10hipError_tPvRmT2_T3_T4_T5_mT6_T7_P12ihipStream_tbENKUlT_T0_E_clISt17integral_constantIbLb0EESZ_EEDaSU_SV_EUlSU_E_NS1_11comp_targetILNS1_3genE3ELNS1_11target_archE908ELNS1_3gpuE7ELNS1_3repE0EEENS1_30default_config_static_selectorELNS0_4arch9wavefront6targetE0EEEvT1_.num_agpr, 0
	.set _ZN7rocprim17ROCPRIM_400000_NS6detail17trampoline_kernelINS0_14default_configENS1_27scan_by_key_config_selectorIssEEZZNS1_16scan_by_key_implILNS1_25lookback_scan_determinismE0ELb1ES3_N6thrust23THRUST_200600_302600_NS6detail15normal_iteratorINS9_10device_ptrIsEEEESE_SE_sNS9_4plusIvEENS9_8equal_toIsEEsEE10hipError_tPvRmT2_T3_T4_T5_mT6_T7_P12ihipStream_tbENKUlT_T0_E_clISt17integral_constantIbLb0EESZ_EEDaSU_SV_EUlSU_E_NS1_11comp_targetILNS1_3genE3ELNS1_11target_archE908ELNS1_3gpuE7ELNS1_3repE0EEENS1_30default_config_static_selectorELNS0_4arch9wavefront6targetE0EEEvT1_.numbered_sgpr, 0
	.set _ZN7rocprim17ROCPRIM_400000_NS6detail17trampoline_kernelINS0_14default_configENS1_27scan_by_key_config_selectorIssEEZZNS1_16scan_by_key_implILNS1_25lookback_scan_determinismE0ELb1ES3_N6thrust23THRUST_200600_302600_NS6detail15normal_iteratorINS9_10device_ptrIsEEEESE_SE_sNS9_4plusIvEENS9_8equal_toIsEEsEE10hipError_tPvRmT2_T3_T4_T5_mT6_T7_P12ihipStream_tbENKUlT_T0_E_clISt17integral_constantIbLb0EESZ_EEDaSU_SV_EUlSU_E_NS1_11comp_targetILNS1_3genE3ELNS1_11target_archE908ELNS1_3gpuE7ELNS1_3repE0EEENS1_30default_config_static_selectorELNS0_4arch9wavefront6targetE0EEEvT1_.num_named_barrier, 0
	.set _ZN7rocprim17ROCPRIM_400000_NS6detail17trampoline_kernelINS0_14default_configENS1_27scan_by_key_config_selectorIssEEZZNS1_16scan_by_key_implILNS1_25lookback_scan_determinismE0ELb1ES3_N6thrust23THRUST_200600_302600_NS6detail15normal_iteratorINS9_10device_ptrIsEEEESE_SE_sNS9_4plusIvEENS9_8equal_toIsEEsEE10hipError_tPvRmT2_T3_T4_T5_mT6_T7_P12ihipStream_tbENKUlT_T0_E_clISt17integral_constantIbLb0EESZ_EEDaSU_SV_EUlSU_E_NS1_11comp_targetILNS1_3genE3ELNS1_11target_archE908ELNS1_3gpuE7ELNS1_3repE0EEENS1_30default_config_static_selectorELNS0_4arch9wavefront6targetE0EEEvT1_.private_seg_size, 0
	.set _ZN7rocprim17ROCPRIM_400000_NS6detail17trampoline_kernelINS0_14default_configENS1_27scan_by_key_config_selectorIssEEZZNS1_16scan_by_key_implILNS1_25lookback_scan_determinismE0ELb1ES3_N6thrust23THRUST_200600_302600_NS6detail15normal_iteratorINS9_10device_ptrIsEEEESE_SE_sNS9_4plusIvEENS9_8equal_toIsEEsEE10hipError_tPvRmT2_T3_T4_T5_mT6_T7_P12ihipStream_tbENKUlT_T0_E_clISt17integral_constantIbLb0EESZ_EEDaSU_SV_EUlSU_E_NS1_11comp_targetILNS1_3genE3ELNS1_11target_archE908ELNS1_3gpuE7ELNS1_3repE0EEENS1_30default_config_static_selectorELNS0_4arch9wavefront6targetE0EEEvT1_.uses_vcc, 0
	.set _ZN7rocprim17ROCPRIM_400000_NS6detail17trampoline_kernelINS0_14default_configENS1_27scan_by_key_config_selectorIssEEZZNS1_16scan_by_key_implILNS1_25lookback_scan_determinismE0ELb1ES3_N6thrust23THRUST_200600_302600_NS6detail15normal_iteratorINS9_10device_ptrIsEEEESE_SE_sNS9_4plusIvEENS9_8equal_toIsEEsEE10hipError_tPvRmT2_T3_T4_T5_mT6_T7_P12ihipStream_tbENKUlT_T0_E_clISt17integral_constantIbLb0EESZ_EEDaSU_SV_EUlSU_E_NS1_11comp_targetILNS1_3genE3ELNS1_11target_archE908ELNS1_3gpuE7ELNS1_3repE0EEENS1_30default_config_static_selectorELNS0_4arch9wavefront6targetE0EEEvT1_.uses_flat_scratch, 0
	.set _ZN7rocprim17ROCPRIM_400000_NS6detail17trampoline_kernelINS0_14default_configENS1_27scan_by_key_config_selectorIssEEZZNS1_16scan_by_key_implILNS1_25lookback_scan_determinismE0ELb1ES3_N6thrust23THRUST_200600_302600_NS6detail15normal_iteratorINS9_10device_ptrIsEEEESE_SE_sNS9_4plusIvEENS9_8equal_toIsEEsEE10hipError_tPvRmT2_T3_T4_T5_mT6_T7_P12ihipStream_tbENKUlT_T0_E_clISt17integral_constantIbLb0EESZ_EEDaSU_SV_EUlSU_E_NS1_11comp_targetILNS1_3genE3ELNS1_11target_archE908ELNS1_3gpuE7ELNS1_3repE0EEENS1_30default_config_static_selectorELNS0_4arch9wavefront6targetE0EEEvT1_.has_dyn_sized_stack, 0
	.set _ZN7rocprim17ROCPRIM_400000_NS6detail17trampoline_kernelINS0_14default_configENS1_27scan_by_key_config_selectorIssEEZZNS1_16scan_by_key_implILNS1_25lookback_scan_determinismE0ELb1ES3_N6thrust23THRUST_200600_302600_NS6detail15normal_iteratorINS9_10device_ptrIsEEEESE_SE_sNS9_4plusIvEENS9_8equal_toIsEEsEE10hipError_tPvRmT2_T3_T4_T5_mT6_T7_P12ihipStream_tbENKUlT_T0_E_clISt17integral_constantIbLb0EESZ_EEDaSU_SV_EUlSU_E_NS1_11comp_targetILNS1_3genE3ELNS1_11target_archE908ELNS1_3gpuE7ELNS1_3repE0EEENS1_30default_config_static_selectorELNS0_4arch9wavefront6targetE0EEEvT1_.has_recursion, 0
	.set _ZN7rocprim17ROCPRIM_400000_NS6detail17trampoline_kernelINS0_14default_configENS1_27scan_by_key_config_selectorIssEEZZNS1_16scan_by_key_implILNS1_25lookback_scan_determinismE0ELb1ES3_N6thrust23THRUST_200600_302600_NS6detail15normal_iteratorINS9_10device_ptrIsEEEESE_SE_sNS9_4plusIvEENS9_8equal_toIsEEsEE10hipError_tPvRmT2_T3_T4_T5_mT6_T7_P12ihipStream_tbENKUlT_T0_E_clISt17integral_constantIbLb0EESZ_EEDaSU_SV_EUlSU_E_NS1_11comp_targetILNS1_3genE3ELNS1_11target_archE908ELNS1_3gpuE7ELNS1_3repE0EEENS1_30default_config_static_selectorELNS0_4arch9wavefront6targetE0EEEvT1_.has_indirect_call, 0
	.section	.AMDGPU.csdata,"",@progbits
; Kernel info:
; codeLenInByte = 0
; TotalNumSgprs: 0
; NumVgprs: 0
; ScratchSize: 0
; MemoryBound: 0
; FloatMode: 240
; IeeeMode: 1
; LDSByteSize: 0 bytes/workgroup (compile time only)
; SGPRBlocks: 0
; VGPRBlocks: 0
; NumSGPRsForWavesPerEU: 1
; NumVGPRsForWavesPerEU: 1
; NamedBarCnt: 0
; Occupancy: 16
; WaveLimiterHint : 0
; COMPUTE_PGM_RSRC2:SCRATCH_EN: 0
; COMPUTE_PGM_RSRC2:USER_SGPR: 2
; COMPUTE_PGM_RSRC2:TRAP_HANDLER: 0
; COMPUTE_PGM_RSRC2:TGID_X_EN: 1
; COMPUTE_PGM_RSRC2:TGID_Y_EN: 0
; COMPUTE_PGM_RSRC2:TGID_Z_EN: 0
; COMPUTE_PGM_RSRC2:TIDIG_COMP_CNT: 0
	.section	.text._ZN7rocprim17ROCPRIM_400000_NS6detail17trampoline_kernelINS0_14default_configENS1_27scan_by_key_config_selectorIssEEZZNS1_16scan_by_key_implILNS1_25lookback_scan_determinismE0ELb1ES3_N6thrust23THRUST_200600_302600_NS6detail15normal_iteratorINS9_10device_ptrIsEEEESE_SE_sNS9_4plusIvEENS9_8equal_toIsEEsEE10hipError_tPvRmT2_T3_T4_T5_mT6_T7_P12ihipStream_tbENKUlT_T0_E_clISt17integral_constantIbLb0EESZ_EEDaSU_SV_EUlSU_E_NS1_11comp_targetILNS1_3genE2ELNS1_11target_archE906ELNS1_3gpuE6ELNS1_3repE0EEENS1_30default_config_static_selectorELNS0_4arch9wavefront6targetE0EEEvT1_,"axG",@progbits,_ZN7rocprim17ROCPRIM_400000_NS6detail17trampoline_kernelINS0_14default_configENS1_27scan_by_key_config_selectorIssEEZZNS1_16scan_by_key_implILNS1_25lookback_scan_determinismE0ELb1ES3_N6thrust23THRUST_200600_302600_NS6detail15normal_iteratorINS9_10device_ptrIsEEEESE_SE_sNS9_4plusIvEENS9_8equal_toIsEEsEE10hipError_tPvRmT2_T3_T4_T5_mT6_T7_P12ihipStream_tbENKUlT_T0_E_clISt17integral_constantIbLb0EESZ_EEDaSU_SV_EUlSU_E_NS1_11comp_targetILNS1_3genE2ELNS1_11target_archE906ELNS1_3gpuE6ELNS1_3repE0EEENS1_30default_config_static_selectorELNS0_4arch9wavefront6targetE0EEEvT1_,comdat
	.protected	_ZN7rocprim17ROCPRIM_400000_NS6detail17trampoline_kernelINS0_14default_configENS1_27scan_by_key_config_selectorIssEEZZNS1_16scan_by_key_implILNS1_25lookback_scan_determinismE0ELb1ES3_N6thrust23THRUST_200600_302600_NS6detail15normal_iteratorINS9_10device_ptrIsEEEESE_SE_sNS9_4plusIvEENS9_8equal_toIsEEsEE10hipError_tPvRmT2_T3_T4_T5_mT6_T7_P12ihipStream_tbENKUlT_T0_E_clISt17integral_constantIbLb0EESZ_EEDaSU_SV_EUlSU_E_NS1_11comp_targetILNS1_3genE2ELNS1_11target_archE906ELNS1_3gpuE6ELNS1_3repE0EEENS1_30default_config_static_selectorELNS0_4arch9wavefront6targetE0EEEvT1_ ; -- Begin function _ZN7rocprim17ROCPRIM_400000_NS6detail17trampoline_kernelINS0_14default_configENS1_27scan_by_key_config_selectorIssEEZZNS1_16scan_by_key_implILNS1_25lookback_scan_determinismE0ELb1ES3_N6thrust23THRUST_200600_302600_NS6detail15normal_iteratorINS9_10device_ptrIsEEEESE_SE_sNS9_4plusIvEENS9_8equal_toIsEEsEE10hipError_tPvRmT2_T3_T4_T5_mT6_T7_P12ihipStream_tbENKUlT_T0_E_clISt17integral_constantIbLb0EESZ_EEDaSU_SV_EUlSU_E_NS1_11comp_targetILNS1_3genE2ELNS1_11target_archE906ELNS1_3gpuE6ELNS1_3repE0EEENS1_30default_config_static_selectorELNS0_4arch9wavefront6targetE0EEEvT1_
	.globl	_ZN7rocprim17ROCPRIM_400000_NS6detail17trampoline_kernelINS0_14default_configENS1_27scan_by_key_config_selectorIssEEZZNS1_16scan_by_key_implILNS1_25lookback_scan_determinismE0ELb1ES3_N6thrust23THRUST_200600_302600_NS6detail15normal_iteratorINS9_10device_ptrIsEEEESE_SE_sNS9_4plusIvEENS9_8equal_toIsEEsEE10hipError_tPvRmT2_T3_T4_T5_mT6_T7_P12ihipStream_tbENKUlT_T0_E_clISt17integral_constantIbLb0EESZ_EEDaSU_SV_EUlSU_E_NS1_11comp_targetILNS1_3genE2ELNS1_11target_archE906ELNS1_3gpuE6ELNS1_3repE0EEENS1_30default_config_static_selectorELNS0_4arch9wavefront6targetE0EEEvT1_
	.p2align	8
	.type	_ZN7rocprim17ROCPRIM_400000_NS6detail17trampoline_kernelINS0_14default_configENS1_27scan_by_key_config_selectorIssEEZZNS1_16scan_by_key_implILNS1_25lookback_scan_determinismE0ELb1ES3_N6thrust23THRUST_200600_302600_NS6detail15normal_iteratorINS9_10device_ptrIsEEEESE_SE_sNS9_4plusIvEENS9_8equal_toIsEEsEE10hipError_tPvRmT2_T3_T4_T5_mT6_T7_P12ihipStream_tbENKUlT_T0_E_clISt17integral_constantIbLb0EESZ_EEDaSU_SV_EUlSU_E_NS1_11comp_targetILNS1_3genE2ELNS1_11target_archE906ELNS1_3gpuE6ELNS1_3repE0EEENS1_30default_config_static_selectorELNS0_4arch9wavefront6targetE0EEEvT1_,@function
_ZN7rocprim17ROCPRIM_400000_NS6detail17trampoline_kernelINS0_14default_configENS1_27scan_by_key_config_selectorIssEEZZNS1_16scan_by_key_implILNS1_25lookback_scan_determinismE0ELb1ES3_N6thrust23THRUST_200600_302600_NS6detail15normal_iteratorINS9_10device_ptrIsEEEESE_SE_sNS9_4plusIvEENS9_8equal_toIsEEsEE10hipError_tPvRmT2_T3_T4_T5_mT6_T7_P12ihipStream_tbENKUlT_T0_E_clISt17integral_constantIbLb0EESZ_EEDaSU_SV_EUlSU_E_NS1_11comp_targetILNS1_3genE2ELNS1_11target_archE906ELNS1_3gpuE6ELNS1_3repE0EEENS1_30default_config_static_selectorELNS0_4arch9wavefront6targetE0EEEvT1_: ; @_ZN7rocprim17ROCPRIM_400000_NS6detail17trampoline_kernelINS0_14default_configENS1_27scan_by_key_config_selectorIssEEZZNS1_16scan_by_key_implILNS1_25lookback_scan_determinismE0ELb1ES3_N6thrust23THRUST_200600_302600_NS6detail15normal_iteratorINS9_10device_ptrIsEEEESE_SE_sNS9_4plusIvEENS9_8equal_toIsEEsEE10hipError_tPvRmT2_T3_T4_T5_mT6_T7_P12ihipStream_tbENKUlT_T0_E_clISt17integral_constantIbLb0EESZ_EEDaSU_SV_EUlSU_E_NS1_11comp_targetILNS1_3genE2ELNS1_11target_archE906ELNS1_3gpuE6ELNS1_3repE0EEENS1_30default_config_static_selectorELNS0_4arch9wavefront6targetE0EEEvT1_
; %bb.0:
	.section	.rodata,"a",@progbits
	.p2align	6, 0x0
	.amdhsa_kernel _ZN7rocprim17ROCPRIM_400000_NS6detail17trampoline_kernelINS0_14default_configENS1_27scan_by_key_config_selectorIssEEZZNS1_16scan_by_key_implILNS1_25lookback_scan_determinismE0ELb1ES3_N6thrust23THRUST_200600_302600_NS6detail15normal_iteratorINS9_10device_ptrIsEEEESE_SE_sNS9_4plusIvEENS9_8equal_toIsEEsEE10hipError_tPvRmT2_T3_T4_T5_mT6_T7_P12ihipStream_tbENKUlT_T0_E_clISt17integral_constantIbLb0EESZ_EEDaSU_SV_EUlSU_E_NS1_11comp_targetILNS1_3genE2ELNS1_11target_archE906ELNS1_3gpuE6ELNS1_3repE0EEENS1_30default_config_static_selectorELNS0_4arch9wavefront6targetE0EEEvT1_
		.amdhsa_group_segment_fixed_size 0
		.amdhsa_private_segment_fixed_size 0
		.amdhsa_kernarg_size 112
		.amdhsa_user_sgpr_count 2
		.amdhsa_user_sgpr_dispatch_ptr 0
		.amdhsa_user_sgpr_queue_ptr 0
		.amdhsa_user_sgpr_kernarg_segment_ptr 1
		.amdhsa_user_sgpr_dispatch_id 0
		.amdhsa_user_sgpr_kernarg_preload_length 0
		.amdhsa_user_sgpr_kernarg_preload_offset 0
		.amdhsa_user_sgpr_private_segment_size 0
		.amdhsa_wavefront_size32 1
		.amdhsa_uses_dynamic_stack 0
		.amdhsa_enable_private_segment 0
		.amdhsa_system_sgpr_workgroup_id_x 1
		.amdhsa_system_sgpr_workgroup_id_y 0
		.amdhsa_system_sgpr_workgroup_id_z 0
		.amdhsa_system_sgpr_workgroup_info 0
		.amdhsa_system_vgpr_workitem_id 0
		.amdhsa_next_free_vgpr 1
		.amdhsa_next_free_sgpr 1
		.amdhsa_named_barrier_count 0
		.amdhsa_reserve_vcc 0
		.amdhsa_float_round_mode_32 0
		.amdhsa_float_round_mode_16_64 0
		.amdhsa_float_denorm_mode_32 3
		.amdhsa_float_denorm_mode_16_64 3
		.amdhsa_fp16_overflow 0
		.amdhsa_memory_ordered 1
		.amdhsa_forward_progress 1
		.amdhsa_inst_pref_size 0
		.amdhsa_round_robin_scheduling 0
		.amdhsa_exception_fp_ieee_invalid_op 0
		.amdhsa_exception_fp_denorm_src 0
		.amdhsa_exception_fp_ieee_div_zero 0
		.amdhsa_exception_fp_ieee_overflow 0
		.amdhsa_exception_fp_ieee_underflow 0
		.amdhsa_exception_fp_ieee_inexact 0
		.amdhsa_exception_int_div_zero 0
	.end_amdhsa_kernel
	.section	.text._ZN7rocprim17ROCPRIM_400000_NS6detail17trampoline_kernelINS0_14default_configENS1_27scan_by_key_config_selectorIssEEZZNS1_16scan_by_key_implILNS1_25lookback_scan_determinismE0ELb1ES3_N6thrust23THRUST_200600_302600_NS6detail15normal_iteratorINS9_10device_ptrIsEEEESE_SE_sNS9_4plusIvEENS9_8equal_toIsEEsEE10hipError_tPvRmT2_T3_T4_T5_mT6_T7_P12ihipStream_tbENKUlT_T0_E_clISt17integral_constantIbLb0EESZ_EEDaSU_SV_EUlSU_E_NS1_11comp_targetILNS1_3genE2ELNS1_11target_archE906ELNS1_3gpuE6ELNS1_3repE0EEENS1_30default_config_static_selectorELNS0_4arch9wavefront6targetE0EEEvT1_,"axG",@progbits,_ZN7rocprim17ROCPRIM_400000_NS6detail17trampoline_kernelINS0_14default_configENS1_27scan_by_key_config_selectorIssEEZZNS1_16scan_by_key_implILNS1_25lookback_scan_determinismE0ELb1ES3_N6thrust23THRUST_200600_302600_NS6detail15normal_iteratorINS9_10device_ptrIsEEEESE_SE_sNS9_4plusIvEENS9_8equal_toIsEEsEE10hipError_tPvRmT2_T3_T4_T5_mT6_T7_P12ihipStream_tbENKUlT_T0_E_clISt17integral_constantIbLb0EESZ_EEDaSU_SV_EUlSU_E_NS1_11comp_targetILNS1_3genE2ELNS1_11target_archE906ELNS1_3gpuE6ELNS1_3repE0EEENS1_30default_config_static_selectorELNS0_4arch9wavefront6targetE0EEEvT1_,comdat
.Lfunc_end646:
	.size	_ZN7rocprim17ROCPRIM_400000_NS6detail17trampoline_kernelINS0_14default_configENS1_27scan_by_key_config_selectorIssEEZZNS1_16scan_by_key_implILNS1_25lookback_scan_determinismE0ELb1ES3_N6thrust23THRUST_200600_302600_NS6detail15normal_iteratorINS9_10device_ptrIsEEEESE_SE_sNS9_4plusIvEENS9_8equal_toIsEEsEE10hipError_tPvRmT2_T3_T4_T5_mT6_T7_P12ihipStream_tbENKUlT_T0_E_clISt17integral_constantIbLb0EESZ_EEDaSU_SV_EUlSU_E_NS1_11comp_targetILNS1_3genE2ELNS1_11target_archE906ELNS1_3gpuE6ELNS1_3repE0EEENS1_30default_config_static_selectorELNS0_4arch9wavefront6targetE0EEEvT1_, .Lfunc_end646-_ZN7rocprim17ROCPRIM_400000_NS6detail17trampoline_kernelINS0_14default_configENS1_27scan_by_key_config_selectorIssEEZZNS1_16scan_by_key_implILNS1_25lookback_scan_determinismE0ELb1ES3_N6thrust23THRUST_200600_302600_NS6detail15normal_iteratorINS9_10device_ptrIsEEEESE_SE_sNS9_4plusIvEENS9_8equal_toIsEEsEE10hipError_tPvRmT2_T3_T4_T5_mT6_T7_P12ihipStream_tbENKUlT_T0_E_clISt17integral_constantIbLb0EESZ_EEDaSU_SV_EUlSU_E_NS1_11comp_targetILNS1_3genE2ELNS1_11target_archE906ELNS1_3gpuE6ELNS1_3repE0EEENS1_30default_config_static_selectorELNS0_4arch9wavefront6targetE0EEEvT1_
                                        ; -- End function
	.set _ZN7rocprim17ROCPRIM_400000_NS6detail17trampoline_kernelINS0_14default_configENS1_27scan_by_key_config_selectorIssEEZZNS1_16scan_by_key_implILNS1_25lookback_scan_determinismE0ELb1ES3_N6thrust23THRUST_200600_302600_NS6detail15normal_iteratorINS9_10device_ptrIsEEEESE_SE_sNS9_4plusIvEENS9_8equal_toIsEEsEE10hipError_tPvRmT2_T3_T4_T5_mT6_T7_P12ihipStream_tbENKUlT_T0_E_clISt17integral_constantIbLb0EESZ_EEDaSU_SV_EUlSU_E_NS1_11comp_targetILNS1_3genE2ELNS1_11target_archE906ELNS1_3gpuE6ELNS1_3repE0EEENS1_30default_config_static_selectorELNS0_4arch9wavefront6targetE0EEEvT1_.num_vgpr, 0
	.set _ZN7rocprim17ROCPRIM_400000_NS6detail17trampoline_kernelINS0_14default_configENS1_27scan_by_key_config_selectorIssEEZZNS1_16scan_by_key_implILNS1_25lookback_scan_determinismE0ELb1ES3_N6thrust23THRUST_200600_302600_NS6detail15normal_iteratorINS9_10device_ptrIsEEEESE_SE_sNS9_4plusIvEENS9_8equal_toIsEEsEE10hipError_tPvRmT2_T3_T4_T5_mT6_T7_P12ihipStream_tbENKUlT_T0_E_clISt17integral_constantIbLb0EESZ_EEDaSU_SV_EUlSU_E_NS1_11comp_targetILNS1_3genE2ELNS1_11target_archE906ELNS1_3gpuE6ELNS1_3repE0EEENS1_30default_config_static_selectorELNS0_4arch9wavefront6targetE0EEEvT1_.num_agpr, 0
	.set _ZN7rocprim17ROCPRIM_400000_NS6detail17trampoline_kernelINS0_14default_configENS1_27scan_by_key_config_selectorIssEEZZNS1_16scan_by_key_implILNS1_25lookback_scan_determinismE0ELb1ES3_N6thrust23THRUST_200600_302600_NS6detail15normal_iteratorINS9_10device_ptrIsEEEESE_SE_sNS9_4plusIvEENS9_8equal_toIsEEsEE10hipError_tPvRmT2_T3_T4_T5_mT6_T7_P12ihipStream_tbENKUlT_T0_E_clISt17integral_constantIbLb0EESZ_EEDaSU_SV_EUlSU_E_NS1_11comp_targetILNS1_3genE2ELNS1_11target_archE906ELNS1_3gpuE6ELNS1_3repE0EEENS1_30default_config_static_selectorELNS0_4arch9wavefront6targetE0EEEvT1_.numbered_sgpr, 0
	.set _ZN7rocprim17ROCPRIM_400000_NS6detail17trampoline_kernelINS0_14default_configENS1_27scan_by_key_config_selectorIssEEZZNS1_16scan_by_key_implILNS1_25lookback_scan_determinismE0ELb1ES3_N6thrust23THRUST_200600_302600_NS6detail15normal_iteratorINS9_10device_ptrIsEEEESE_SE_sNS9_4plusIvEENS9_8equal_toIsEEsEE10hipError_tPvRmT2_T3_T4_T5_mT6_T7_P12ihipStream_tbENKUlT_T0_E_clISt17integral_constantIbLb0EESZ_EEDaSU_SV_EUlSU_E_NS1_11comp_targetILNS1_3genE2ELNS1_11target_archE906ELNS1_3gpuE6ELNS1_3repE0EEENS1_30default_config_static_selectorELNS0_4arch9wavefront6targetE0EEEvT1_.num_named_barrier, 0
	.set _ZN7rocprim17ROCPRIM_400000_NS6detail17trampoline_kernelINS0_14default_configENS1_27scan_by_key_config_selectorIssEEZZNS1_16scan_by_key_implILNS1_25lookback_scan_determinismE0ELb1ES3_N6thrust23THRUST_200600_302600_NS6detail15normal_iteratorINS9_10device_ptrIsEEEESE_SE_sNS9_4plusIvEENS9_8equal_toIsEEsEE10hipError_tPvRmT2_T3_T4_T5_mT6_T7_P12ihipStream_tbENKUlT_T0_E_clISt17integral_constantIbLb0EESZ_EEDaSU_SV_EUlSU_E_NS1_11comp_targetILNS1_3genE2ELNS1_11target_archE906ELNS1_3gpuE6ELNS1_3repE0EEENS1_30default_config_static_selectorELNS0_4arch9wavefront6targetE0EEEvT1_.private_seg_size, 0
	.set _ZN7rocprim17ROCPRIM_400000_NS6detail17trampoline_kernelINS0_14default_configENS1_27scan_by_key_config_selectorIssEEZZNS1_16scan_by_key_implILNS1_25lookback_scan_determinismE0ELb1ES3_N6thrust23THRUST_200600_302600_NS6detail15normal_iteratorINS9_10device_ptrIsEEEESE_SE_sNS9_4plusIvEENS9_8equal_toIsEEsEE10hipError_tPvRmT2_T3_T4_T5_mT6_T7_P12ihipStream_tbENKUlT_T0_E_clISt17integral_constantIbLb0EESZ_EEDaSU_SV_EUlSU_E_NS1_11comp_targetILNS1_3genE2ELNS1_11target_archE906ELNS1_3gpuE6ELNS1_3repE0EEENS1_30default_config_static_selectorELNS0_4arch9wavefront6targetE0EEEvT1_.uses_vcc, 0
	.set _ZN7rocprim17ROCPRIM_400000_NS6detail17trampoline_kernelINS0_14default_configENS1_27scan_by_key_config_selectorIssEEZZNS1_16scan_by_key_implILNS1_25lookback_scan_determinismE0ELb1ES3_N6thrust23THRUST_200600_302600_NS6detail15normal_iteratorINS9_10device_ptrIsEEEESE_SE_sNS9_4plusIvEENS9_8equal_toIsEEsEE10hipError_tPvRmT2_T3_T4_T5_mT6_T7_P12ihipStream_tbENKUlT_T0_E_clISt17integral_constantIbLb0EESZ_EEDaSU_SV_EUlSU_E_NS1_11comp_targetILNS1_3genE2ELNS1_11target_archE906ELNS1_3gpuE6ELNS1_3repE0EEENS1_30default_config_static_selectorELNS0_4arch9wavefront6targetE0EEEvT1_.uses_flat_scratch, 0
	.set _ZN7rocprim17ROCPRIM_400000_NS6detail17trampoline_kernelINS0_14default_configENS1_27scan_by_key_config_selectorIssEEZZNS1_16scan_by_key_implILNS1_25lookback_scan_determinismE0ELb1ES3_N6thrust23THRUST_200600_302600_NS6detail15normal_iteratorINS9_10device_ptrIsEEEESE_SE_sNS9_4plusIvEENS9_8equal_toIsEEsEE10hipError_tPvRmT2_T3_T4_T5_mT6_T7_P12ihipStream_tbENKUlT_T0_E_clISt17integral_constantIbLb0EESZ_EEDaSU_SV_EUlSU_E_NS1_11comp_targetILNS1_3genE2ELNS1_11target_archE906ELNS1_3gpuE6ELNS1_3repE0EEENS1_30default_config_static_selectorELNS0_4arch9wavefront6targetE0EEEvT1_.has_dyn_sized_stack, 0
	.set _ZN7rocprim17ROCPRIM_400000_NS6detail17trampoline_kernelINS0_14default_configENS1_27scan_by_key_config_selectorIssEEZZNS1_16scan_by_key_implILNS1_25lookback_scan_determinismE0ELb1ES3_N6thrust23THRUST_200600_302600_NS6detail15normal_iteratorINS9_10device_ptrIsEEEESE_SE_sNS9_4plusIvEENS9_8equal_toIsEEsEE10hipError_tPvRmT2_T3_T4_T5_mT6_T7_P12ihipStream_tbENKUlT_T0_E_clISt17integral_constantIbLb0EESZ_EEDaSU_SV_EUlSU_E_NS1_11comp_targetILNS1_3genE2ELNS1_11target_archE906ELNS1_3gpuE6ELNS1_3repE0EEENS1_30default_config_static_selectorELNS0_4arch9wavefront6targetE0EEEvT1_.has_recursion, 0
	.set _ZN7rocprim17ROCPRIM_400000_NS6detail17trampoline_kernelINS0_14default_configENS1_27scan_by_key_config_selectorIssEEZZNS1_16scan_by_key_implILNS1_25lookback_scan_determinismE0ELb1ES3_N6thrust23THRUST_200600_302600_NS6detail15normal_iteratorINS9_10device_ptrIsEEEESE_SE_sNS9_4plusIvEENS9_8equal_toIsEEsEE10hipError_tPvRmT2_T3_T4_T5_mT6_T7_P12ihipStream_tbENKUlT_T0_E_clISt17integral_constantIbLb0EESZ_EEDaSU_SV_EUlSU_E_NS1_11comp_targetILNS1_3genE2ELNS1_11target_archE906ELNS1_3gpuE6ELNS1_3repE0EEENS1_30default_config_static_selectorELNS0_4arch9wavefront6targetE0EEEvT1_.has_indirect_call, 0
	.section	.AMDGPU.csdata,"",@progbits
; Kernel info:
; codeLenInByte = 0
; TotalNumSgprs: 0
; NumVgprs: 0
; ScratchSize: 0
; MemoryBound: 0
; FloatMode: 240
; IeeeMode: 1
; LDSByteSize: 0 bytes/workgroup (compile time only)
; SGPRBlocks: 0
; VGPRBlocks: 0
; NumSGPRsForWavesPerEU: 1
; NumVGPRsForWavesPerEU: 1
; NamedBarCnt: 0
; Occupancy: 16
; WaveLimiterHint : 0
; COMPUTE_PGM_RSRC2:SCRATCH_EN: 0
; COMPUTE_PGM_RSRC2:USER_SGPR: 2
; COMPUTE_PGM_RSRC2:TRAP_HANDLER: 0
; COMPUTE_PGM_RSRC2:TGID_X_EN: 1
; COMPUTE_PGM_RSRC2:TGID_Y_EN: 0
; COMPUTE_PGM_RSRC2:TGID_Z_EN: 0
; COMPUTE_PGM_RSRC2:TIDIG_COMP_CNT: 0
	.section	.text._ZN7rocprim17ROCPRIM_400000_NS6detail17trampoline_kernelINS0_14default_configENS1_27scan_by_key_config_selectorIssEEZZNS1_16scan_by_key_implILNS1_25lookback_scan_determinismE0ELb1ES3_N6thrust23THRUST_200600_302600_NS6detail15normal_iteratorINS9_10device_ptrIsEEEESE_SE_sNS9_4plusIvEENS9_8equal_toIsEEsEE10hipError_tPvRmT2_T3_T4_T5_mT6_T7_P12ihipStream_tbENKUlT_T0_E_clISt17integral_constantIbLb0EESZ_EEDaSU_SV_EUlSU_E_NS1_11comp_targetILNS1_3genE10ELNS1_11target_archE1200ELNS1_3gpuE4ELNS1_3repE0EEENS1_30default_config_static_selectorELNS0_4arch9wavefront6targetE0EEEvT1_,"axG",@progbits,_ZN7rocprim17ROCPRIM_400000_NS6detail17trampoline_kernelINS0_14default_configENS1_27scan_by_key_config_selectorIssEEZZNS1_16scan_by_key_implILNS1_25lookback_scan_determinismE0ELb1ES3_N6thrust23THRUST_200600_302600_NS6detail15normal_iteratorINS9_10device_ptrIsEEEESE_SE_sNS9_4plusIvEENS9_8equal_toIsEEsEE10hipError_tPvRmT2_T3_T4_T5_mT6_T7_P12ihipStream_tbENKUlT_T0_E_clISt17integral_constantIbLb0EESZ_EEDaSU_SV_EUlSU_E_NS1_11comp_targetILNS1_3genE10ELNS1_11target_archE1200ELNS1_3gpuE4ELNS1_3repE0EEENS1_30default_config_static_selectorELNS0_4arch9wavefront6targetE0EEEvT1_,comdat
	.protected	_ZN7rocprim17ROCPRIM_400000_NS6detail17trampoline_kernelINS0_14default_configENS1_27scan_by_key_config_selectorIssEEZZNS1_16scan_by_key_implILNS1_25lookback_scan_determinismE0ELb1ES3_N6thrust23THRUST_200600_302600_NS6detail15normal_iteratorINS9_10device_ptrIsEEEESE_SE_sNS9_4plusIvEENS9_8equal_toIsEEsEE10hipError_tPvRmT2_T3_T4_T5_mT6_T7_P12ihipStream_tbENKUlT_T0_E_clISt17integral_constantIbLb0EESZ_EEDaSU_SV_EUlSU_E_NS1_11comp_targetILNS1_3genE10ELNS1_11target_archE1200ELNS1_3gpuE4ELNS1_3repE0EEENS1_30default_config_static_selectorELNS0_4arch9wavefront6targetE0EEEvT1_ ; -- Begin function _ZN7rocprim17ROCPRIM_400000_NS6detail17trampoline_kernelINS0_14default_configENS1_27scan_by_key_config_selectorIssEEZZNS1_16scan_by_key_implILNS1_25lookback_scan_determinismE0ELb1ES3_N6thrust23THRUST_200600_302600_NS6detail15normal_iteratorINS9_10device_ptrIsEEEESE_SE_sNS9_4plusIvEENS9_8equal_toIsEEsEE10hipError_tPvRmT2_T3_T4_T5_mT6_T7_P12ihipStream_tbENKUlT_T0_E_clISt17integral_constantIbLb0EESZ_EEDaSU_SV_EUlSU_E_NS1_11comp_targetILNS1_3genE10ELNS1_11target_archE1200ELNS1_3gpuE4ELNS1_3repE0EEENS1_30default_config_static_selectorELNS0_4arch9wavefront6targetE0EEEvT1_
	.globl	_ZN7rocprim17ROCPRIM_400000_NS6detail17trampoline_kernelINS0_14default_configENS1_27scan_by_key_config_selectorIssEEZZNS1_16scan_by_key_implILNS1_25lookback_scan_determinismE0ELb1ES3_N6thrust23THRUST_200600_302600_NS6detail15normal_iteratorINS9_10device_ptrIsEEEESE_SE_sNS9_4plusIvEENS9_8equal_toIsEEsEE10hipError_tPvRmT2_T3_T4_T5_mT6_T7_P12ihipStream_tbENKUlT_T0_E_clISt17integral_constantIbLb0EESZ_EEDaSU_SV_EUlSU_E_NS1_11comp_targetILNS1_3genE10ELNS1_11target_archE1200ELNS1_3gpuE4ELNS1_3repE0EEENS1_30default_config_static_selectorELNS0_4arch9wavefront6targetE0EEEvT1_
	.p2align	8
	.type	_ZN7rocprim17ROCPRIM_400000_NS6detail17trampoline_kernelINS0_14default_configENS1_27scan_by_key_config_selectorIssEEZZNS1_16scan_by_key_implILNS1_25lookback_scan_determinismE0ELb1ES3_N6thrust23THRUST_200600_302600_NS6detail15normal_iteratorINS9_10device_ptrIsEEEESE_SE_sNS9_4plusIvEENS9_8equal_toIsEEsEE10hipError_tPvRmT2_T3_T4_T5_mT6_T7_P12ihipStream_tbENKUlT_T0_E_clISt17integral_constantIbLb0EESZ_EEDaSU_SV_EUlSU_E_NS1_11comp_targetILNS1_3genE10ELNS1_11target_archE1200ELNS1_3gpuE4ELNS1_3repE0EEENS1_30default_config_static_selectorELNS0_4arch9wavefront6targetE0EEEvT1_,@function
_ZN7rocprim17ROCPRIM_400000_NS6detail17trampoline_kernelINS0_14default_configENS1_27scan_by_key_config_selectorIssEEZZNS1_16scan_by_key_implILNS1_25lookback_scan_determinismE0ELb1ES3_N6thrust23THRUST_200600_302600_NS6detail15normal_iteratorINS9_10device_ptrIsEEEESE_SE_sNS9_4plusIvEENS9_8equal_toIsEEsEE10hipError_tPvRmT2_T3_T4_T5_mT6_T7_P12ihipStream_tbENKUlT_T0_E_clISt17integral_constantIbLb0EESZ_EEDaSU_SV_EUlSU_E_NS1_11comp_targetILNS1_3genE10ELNS1_11target_archE1200ELNS1_3gpuE4ELNS1_3repE0EEENS1_30default_config_static_selectorELNS0_4arch9wavefront6targetE0EEEvT1_: ; @_ZN7rocprim17ROCPRIM_400000_NS6detail17trampoline_kernelINS0_14default_configENS1_27scan_by_key_config_selectorIssEEZZNS1_16scan_by_key_implILNS1_25lookback_scan_determinismE0ELb1ES3_N6thrust23THRUST_200600_302600_NS6detail15normal_iteratorINS9_10device_ptrIsEEEESE_SE_sNS9_4plusIvEENS9_8equal_toIsEEsEE10hipError_tPvRmT2_T3_T4_T5_mT6_T7_P12ihipStream_tbENKUlT_T0_E_clISt17integral_constantIbLb0EESZ_EEDaSU_SV_EUlSU_E_NS1_11comp_targetILNS1_3genE10ELNS1_11target_archE1200ELNS1_3gpuE4ELNS1_3repE0EEENS1_30default_config_static_selectorELNS0_4arch9wavefront6targetE0EEEvT1_
; %bb.0:
	.section	.rodata,"a",@progbits
	.p2align	6, 0x0
	.amdhsa_kernel _ZN7rocprim17ROCPRIM_400000_NS6detail17trampoline_kernelINS0_14default_configENS1_27scan_by_key_config_selectorIssEEZZNS1_16scan_by_key_implILNS1_25lookback_scan_determinismE0ELb1ES3_N6thrust23THRUST_200600_302600_NS6detail15normal_iteratorINS9_10device_ptrIsEEEESE_SE_sNS9_4plusIvEENS9_8equal_toIsEEsEE10hipError_tPvRmT2_T3_T4_T5_mT6_T7_P12ihipStream_tbENKUlT_T0_E_clISt17integral_constantIbLb0EESZ_EEDaSU_SV_EUlSU_E_NS1_11comp_targetILNS1_3genE10ELNS1_11target_archE1200ELNS1_3gpuE4ELNS1_3repE0EEENS1_30default_config_static_selectorELNS0_4arch9wavefront6targetE0EEEvT1_
		.amdhsa_group_segment_fixed_size 0
		.amdhsa_private_segment_fixed_size 0
		.amdhsa_kernarg_size 112
		.amdhsa_user_sgpr_count 2
		.amdhsa_user_sgpr_dispatch_ptr 0
		.amdhsa_user_sgpr_queue_ptr 0
		.amdhsa_user_sgpr_kernarg_segment_ptr 1
		.amdhsa_user_sgpr_dispatch_id 0
		.amdhsa_user_sgpr_kernarg_preload_length 0
		.amdhsa_user_sgpr_kernarg_preload_offset 0
		.amdhsa_user_sgpr_private_segment_size 0
		.amdhsa_wavefront_size32 1
		.amdhsa_uses_dynamic_stack 0
		.amdhsa_enable_private_segment 0
		.amdhsa_system_sgpr_workgroup_id_x 1
		.amdhsa_system_sgpr_workgroup_id_y 0
		.amdhsa_system_sgpr_workgroup_id_z 0
		.amdhsa_system_sgpr_workgroup_info 0
		.amdhsa_system_vgpr_workitem_id 0
		.amdhsa_next_free_vgpr 1
		.amdhsa_next_free_sgpr 1
		.amdhsa_named_barrier_count 0
		.amdhsa_reserve_vcc 0
		.amdhsa_float_round_mode_32 0
		.amdhsa_float_round_mode_16_64 0
		.amdhsa_float_denorm_mode_32 3
		.amdhsa_float_denorm_mode_16_64 3
		.amdhsa_fp16_overflow 0
		.amdhsa_memory_ordered 1
		.amdhsa_forward_progress 1
		.amdhsa_inst_pref_size 0
		.amdhsa_round_robin_scheduling 0
		.amdhsa_exception_fp_ieee_invalid_op 0
		.amdhsa_exception_fp_denorm_src 0
		.amdhsa_exception_fp_ieee_div_zero 0
		.amdhsa_exception_fp_ieee_overflow 0
		.amdhsa_exception_fp_ieee_underflow 0
		.amdhsa_exception_fp_ieee_inexact 0
		.amdhsa_exception_int_div_zero 0
	.end_amdhsa_kernel
	.section	.text._ZN7rocprim17ROCPRIM_400000_NS6detail17trampoline_kernelINS0_14default_configENS1_27scan_by_key_config_selectorIssEEZZNS1_16scan_by_key_implILNS1_25lookback_scan_determinismE0ELb1ES3_N6thrust23THRUST_200600_302600_NS6detail15normal_iteratorINS9_10device_ptrIsEEEESE_SE_sNS9_4plusIvEENS9_8equal_toIsEEsEE10hipError_tPvRmT2_T3_T4_T5_mT6_T7_P12ihipStream_tbENKUlT_T0_E_clISt17integral_constantIbLb0EESZ_EEDaSU_SV_EUlSU_E_NS1_11comp_targetILNS1_3genE10ELNS1_11target_archE1200ELNS1_3gpuE4ELNS1_3repE0EEENS1_30default_config_static_selectorELNS0_4arch9wavefront6targetE0EEEvT1_,"axG",@progbits,_ZN7rocprim17ROCPRIM_400000_NS6detail17trampoline_kernelINS0_14default_configENS1_27scan_by_key_config_selectorIssEEZZNS1_16scan_by_key_implILNS1_25lookback_scan_determinismE0ELb1ES3_N6thrust23THRUST_200600_302600_NS6detail15normal_iteratorINS9_10device_ptrIsEEEESE_SE_sNS9_4plusIvEENS9_8equal_toIsEEsEE10hipError_tPvRmT2_T3_T4_T5_mT6_T7_P12ihipStream_tbENKUlT_T0_E_clISt17integral_constantIbLb0EESZ_EEDaSU_SV_EUlSU_E_NS1_11comp_targetILNS1_3genE10ELNS1_11target_archE1200ELNS1_3gpuE4ELNS1_3repE0EEENS1_30default_config_static_selectorELNS0_4arch9wavefront6targetE0EEEvT1_,comdat
.Lfunc_end647:
	.size	_ZN7rocprim17ROCPRIM_400000_NS6detail17trampoline_kernelINS0_14default_configENS1_27scan_by_key_config_selectorIssEEZZNS1_16scan_by_key_implILNS1_25lookback_scan_determinismE0ELb1ES3_N6thrust23THRUST_200600_302600_NS6detail15normal_iteratorINS9_10device_ptrIsEEEESE_SE_sNS9_4plusIvEENS9_8equal_toIsEEsEE10hipError_tPvRmT2_T3_T4_T5_mT6_T7_P12ihipStream_tbENKUlT_T0_E_clISt17integral_constantIbLb0EESZ_EEDaSU_SV_EUlSU_E_NS1_11comp_targetILNS1_3genE10ELNS1_11target_archE1200ELNS1_3gpuE4ELNS1_3repE0EEENS1_30default_config_static_selectorELNS0_4arch9wavefront6targetE0EEEvT1_, .Lfunc_end647-_ZN7rocprim17ROCPRIM_400000_NS6detail17trampoline_kernelINS0_14default_configENS1_27scan_by_key_config_selectorIssEEZZNS1_16scan_by_key_implILNS1_25lookback_scan_determinismE0ELb1ES3_N6thrust23THRUST_200600_302600_NS6detail15normal_iteratorINS9_10device_ptrIsEEEESE_SE_sNS9_4plusIvEENS9_8equal_toIsEEsEE10hipError_tPvRmT2_T3_T4_T5_mT6_T7_P12ihipStream_tbENKUlT_T0_E_clISt17integral_constantIbLb0EESZ_EEDaSU_SV_EUlSU_E_NS1_11comp_targetILNS1_3genE10ELNS1_11target_archE1200ELNS1_3gpuE4ELNS1_3repE0EEENS1_30default_config_static_selectorELNS0_4arch9wavefront6targetE0EEEvT1_
                                        ; -- End function
	.set _ZN7rocprim17ROCPRIM_400000_NS6detail17trampoline_kernelINS0_14default_configENS1_27scan_by_key_config_selectorIssEEZZNS1_16scan_by_key_implILNS1_25lookback_scan_determinismE0ELb1ES3_N6thrust23THRUST_200600_302600_NS6detail15normal_iteratorINS9_10device_ptrIsEEEESE_SE_sNS9_4plusIvEENS9_8equal_toIsEEsEE10hipError_tPvRmT2_T3_T4_T5_mT6_T7_P12ihipStream_tbENKUlT_T0_E_clISt17integral_constantIbLb0EESZ_EEDaSU_SV_EUlSU_E_NS1_11comp_targetILNS1_3genE10ELNS1_11target_archE1200ELNS1_3gpuE4ELNS1_3repE0EEENS1_30default_config_static_selectorELNS0_4arch9wavefront6targetE0EEEvT1_.num_vgpr, 0
	.set _ZN7rocprim17ROCPRIM_400000_NS6detail17trampoline_kernelINS0_14default_configENS1_27scan_by_key_config_selectorIssEEZZNS1_16scan_by_key_implILNS1_25lookback_scan_determinismE0ELb1ES3_N6thrust23THRUST_200600_302600_NS6detail15normal_iteratorINS9_10device_ptrIsEEEESE_SE_sNS9_4plusIvEENS9_8equal_toIsEEsEE10hipError_tPvRmT2_T3_T4_T5_mT6_T7_P12ihipStream_tbENKUlT_T0_E_clISt17integral_constantIbLb0EESZ_EEDaSU_SV_EUlSU_E_NS1_11comp_targetILNS1_3genE10ELNS1_11target_archE1200ELNS1_3gpuE4ELNS1_3repE0EEENS1_30default_config_static_selectorELNS0_4arch9wavefront6targetE0EEEvT1_.num_agpr, 0
	.set _ZN7rocprim17ROCPRIM_400000_NS6detail17trampoline_kernelINS0_14default_configENS1_27scan_by_key_config_selectorIssEEZZNS1_16scan_by_key_implILNS1_25lookback_scan_determinismE0ELb1ES3_N6thrust23THRUST_200600_302600_NS6detail15normal_iteratorINS9_10device_ptrIsEEEESE_SE_sNS9_4plusIvEENS9_8equal_toIsEEsEE10hipError_tPvRmT2_T3_T4_T5_mT6_T7_P12ihipStream_tbENKUlT_T0_E_clISt17integral_constantIbLb0EESZ_EEDaSU_SV_EUlSU_E_NS1_11comp_targetILNS1_3genE10ELNS1_11target_archE1200ELNS1_3gpuE4ELNS1_3repE0EEENS1_30default_config_static_selectorELNS0_4arch9wavefront6targetE0EEEvT1_.numbered_sgpr, 0
	.set _ZN7rocprim17ROCPRIM_400000_NS6detail17trampoline_kernelINS0_14default_configENS1_27scan_by_key_config_selectorIssEEZZNS1_16scan_by_key_implILNS1_25lookback_scan_determinismE0ELb1ES3_N6thrust23THRUST_200600_302600_NS6detail15normal_iteratorINS9_10device_ptrIsEEEESE_SE_sNS9_4plusIvEENS9_8equal_toIsEEsEE10hipError_tPvRmT2_T3_T4_T5_mT6_T7_P12ihipStream_tbENKUlT_T0_E_clISt17integral_constantIbLb0EESZ_EEDaSU_SV_EUlSU_E_NS1_11comp_targetILNS1_3genE10ELNS1_11target_archE1200ELNS1_3gpuE4ELNS1_3repE0EEENS1_30default_config_static_selectorELNS0_4arch9wavefront6targetE0EEEvT1_.num_named_barrier, 0
	.set _ZN7rocprim17ROCPRIM_400000_NS6detail17trampoline_kernelINS0_14default_configENS1_27scan_by_key_config_selectorIssEEZZNS1_16scan_by_key_implILNS1_25lookback_scan_determinismE0ELb1ES3_N6thrust23THRUST_200600_302600_NS6detail15normal_iteratorINS9_10device_ptrIsEEEESE_SE_sNS9_4plusIvEENS9_8equal_toIsEEsEE10hipError_tPvRmT2_T3_T4_T5_mT6_T7_P12ihipStream_tbENKUlT_T0_E_clISt17integral_constantIbLb0EESZ_EEDaSU_SV_EUlSU_E_NS1_11comp_targetILNS1_3genE10ELNS1_11target_archE1200ELNS1_3gpuE4ELNS1_3repE0EEENS1_30default_config_static_selectorELNS0_4arch9wavefront6targetE0EEEvT1_.private_seg_size, 0
	.set _ZN7rocprim17ROCPRIM_400000_NS6detail17trampoline_kernelINS0_14default_configENS1_27scan_by_key_config_selectorIssEEZZNS1_16scan_by_key_implILNS1_25lookback_scan_determinismE0ELb1ES3_N6thrust23THRUST_200600_302600_NS6detail15normal_iteratorINS9_10device_ptrIsEEEESE_SE_sNS9_4plusIvEENS9_8equal_toIsEEsEE10hipError_tPvRmT2_T3_T4_T5_mT6_T7_P12ihipStream_tbENKUlT_T0_E_clISt17integral_constantIbLb0EESZ_EEDaSU_SV_EUlSU_E_NS1_11comp_targetILNS1_3genE10ELNS1_11target_archE1200ELNS1_3gpuE4ELNS1_3repE0EEENS1_30default_config_static_selectorELNS0_4arch9wavefront6targetE0EEEvT1_.uses_vcc, 0
	.set _ZN7rocprim17ROCPRIM_400000_NS6detail17trampoline_kernelINS0_14default_configENS1_27scan_by_key_config_selectorIssEEZZNS1_16scan_by_key_implILNS1_25lookback_scan_determinismE0ELb1ES3_N6thrust23THRUST_200600_302600_NS6detail15normal_iteratorINS9_10device_ptrIsEEEESE_SE_sNS9_4plusIvEENS9_8equal_toIsEEsEE10hipError_tPvRmT2_T3_T4_T5_mT6_T7_P12ihipStream_tbENKUlT_T0_E_clISt17integral_constantIbLb0EESZ_EEDaSU_SV_EUlSU_E_NS1_11comp_targetILNS1_3genE10ELNS1_11target_archE1200ELNS1_3gpuE4ELNS1_3repE0EEENS1_30default_config_static_selectorELNS0_4arch9wavefront6targetE0EEEvT1_.uses_flat_scratch, 0
	.set _ZN7rocprim17ROCPRIM_400000_NS6detail17trampoline_kernelINS0_14default_configENS1_27scan_by_key_config_selectorIssEEZZNS1_16scan_by_key_implILNS1_25lookback_scan_determinismE0ELb1ES3_N6thrust23THRUST_200600_302600_NS6detail15normal_iteratorINS9_10device_ptrIsEEEESE_SE_sNS9_4plusIvEENS9_8equal_toIsEEsEE10hipError_tPvRmT2_T3_T4_T5_mT6_T7_P12ihipStream_tbENKUlT_T0_E_clISt17integral_constantIbLb0EESZ_EEDaSU_SV_EUlSU_E_NS1_11comp_targetILNS1_3genE10ELNS1_11target_archE1200ELNS1_3gpuE4ELNS1_3repE0EEENS1_30default_config_static_selectorELNS0_4arch9wavefront6targetE0EEEvT1_.has_dyn_sized_stack, 0
	.set _ZN7rocprim17ROCPRIM_400000_NS6detail17trampoline_kernelINS0_14default_configENS1_27scan_by_key_config_selectorIssEEZZNS1_16scan_by_key_implILNS1_25lookback_scan_determinismE0ELb1ES3_N6thrust23THRUST_200600_302600_NS6detail15normal_iteratorINS9_10device_ptrIsEEEESE_SE_sNS9_4plusIvEENS9_8equal_toIsEEsEE10hipError_tPvRmT2_T3_T4_T5_mT6_T7_P12ihipStream_tbENKUlT_T0_E_clISt17integral_constantIbLb0EESZ_EEDaSU_SV_EUlSU_E_NS1_11comp_targetILNS1_3genE10ELNS1_11target_archE1200ELNS1_3gpuE4ELNS1_3repE0EEENS1_30default_config_static_selectorELNS0_4arch9wavefront6targetE0EEEvT1_.has_recursion, 0
	.set _ZN7rocprim17ROCPRIM_400000_NS6detail17trampoline_kernelINS0_14default_configENS1_27scan_by_key_config_selectorIssEEZZNS1_16scan_by_key_implILNS1_25lookback_scan_determinismE0ELb1ES3_N6thrust23THRUST_200600_302600_NS6detail15normal_iteratorINS9_10device_ptrIsEEEESE_SE_sNS9_4plusIvEENS9_8equal_toIsEEsEE10hipError_tPvRmT2_T3_T4_T5_mT6_T7_P12ihipStream_tbENKUlT_T0_E_clISt17integral_constantIbLb0EESZ_EEDaSU_SV_EUlSU_E_NS1_11comp_targetILNS1_3genE10ELNS1_11target_archE1200ELNS1_3gpuE4ELNS1_3repE0EEENS1_30default_config_static_selectorELNS0_4arch9wavefront6targetE0EEEvT1_.has_indirect_call, 0
	.section	.AMDGPU.csdata,"",@progbits
; Kernel info:
; codeLenInByte = 0
; TotalNumSgprs: 0
; NumVgprs: 0
; ScratchSize: 0
; MemoryBound: 0
; FloatMode: 240
; IeeeMode: 1
; LDSByteSize: 0 bytes/workgroup (compile time only)
; SGPRBlocks: 0
; VGPRBlocks: 0
; NumSGPRsForWavesPerEU: 1
; NumVGPRsForWavesPerEU: 1
; NamedBarCnt: 0
; Occupancy: 16
; WaveLimiterHint : 0
; COMPUTE_PGM_RSRC2:SCRATCH_EN: 0
; COMPUTE_PGM_RSRC2:USER_SGPR: 2
; COMPUTE_PGM_RSRC2:TRAP_HANDLER: 0
; COMPUTE_PGM_RSRC2:TGID_X_EN: 1
; COMPUTE_PGM_RSRC2:TGID_Y_EN: 0
; COMPUTE_PGM_RSRC2:TGID_Z_EN: 0
; COMPUTE_PGM_RSRC2:TIDIG_COMP_CNT: 0
	.section	.text._ZN7rocprim17ROCPRIM_400000_NS6detail17trampoline_kernelINS0_14default_configENS1_27scan_by_key_config_selectorIssEEZZNS1_16scan_by_key_implILNS1_25lookback_scan_determinismE0ELb1ES3_N6thrust23THRUST_200600_302600_NS6detail15normal_iteratorINS9_10device_ptrIsEEEESE_SE_sNS9_4plusIvEENS9_8equal_toIsEEsEE10hipError_tPvRmT2_T3_T4_T5_mT6_T7_P12ihipStream_tbENKUlT_T0_E_clISt17integral_constantIbLb0EESZ_EEDaSU_SV_EUlSU_E_NS1_11comp_targetILNS1_3genE9ELNS1_11target_archE1100ELNS1_3gpuE3ELNS1_3repE0EEENS1_30default_config_static_selectorELNS0_4arch9wavefront6targetE0EEEvT1_,"axG",@progbits,_ZN7rocprim17ROCPRIM_400000_NS6detail17trampoline_kernelINS0_14default_configENS1_27scan_by_key_config_selectorIssEEZZNS1_16scan_by_key_implILNS1_25lookback_scan_determinismE0ELb1ES3_N6thrust23THRUST_200600_302600_NS6detail15normal_iteratorINS9_10device_ptrIsEEEESE_SE_sNS9_4plusIvEENS9_8equal_toIsEEsEE10hipError_tPvRmT2_T3_T4_T5_mT6_T7_P12ihipStream_tbENKUlT_T0_E_clISt17integral_constantIbLb0EESZ_EEDaSU_SV_EUlSU_E_NS1_11comp_targetILNS1_3genE9ELNS1_11target_archE1100ELNS1_3gpuE3ELNS1_3repE0EEENS1_30default_config_static_selectorELNS0_4arch9wavefront6targetE0EEEvT1_,comdat
	.protected	_ZN7rocprim17ROCPRIM_400000_NS6detail17trampoline_kernelINS0_14default_configENS1_27scan_by_key_config_selectorIssEEZZNS1_16scan_by_key_implILNS1_25lookback_scan_determinismE0ELb1ES3_N6thrust23THRUST_200600_302600_NS6detail15normal_iteratorINS9_10device_ptrIsEEEESE_SE_sNS9_4plusIvEENS9_8equal_toIsEEsEE10hipError_tPvRmT2_T3_T4_T5_mT6_T7_P12ihipStream_tbENKUlT_T0_E_clISt17integral_constantIbLb0EESZ_EEDaSU_SV_EUlSU_E_NS1_11comp_targetILNS1_3genE9ELNS1_11target_archE1100ELNS1_3gpuE3ELNS1_3repE0EEENS1_30default_config_static_selectorELNS0_4arch9wavefront6targetE0EEEvT1_ ; -- Begin function _ZN7rocprim17ROCPRIM_400000_NS6detail17trampoline_kernelINS0_14default_configENS1_27scan_by_key_config_selectorIssEEZZNS1_16scan_by_key_implILNS1_25lookback_scan_determinismE0ELb1ES3_N6thrust23THRUST_200600_302600_NS6detail15normal_iteratorINS9_10device_ptrIsEEEESE_SE_sNS9_4plusIvEENS9_8equal_toIsEEsEE10hipError_tPvRmT2_T3_T4_T5_mT6_T7_P12ihipStream_tbENKUlT_T0_E_clISt17integral_constantIbLb0EESZ_EEDaSU_SV_EUlSU_E_NS1_11comp_targetILNS1_3genE9ELNS1_11target_archE1100ELNS1_3gpuE3ELNS1_3repE0EEENS1_30default_config_static_selectorELNS0_4arch9wavefront6targetE0EEEvT1_
	.globl	_ZN7rocprim17ROCPRIM_400000_NS6detail17trampoline_kernelINS0_14default_configENS1_27scan_by_key_config_selectorIssEEZZNS1_16scan_by_key_implILNS1_25lookback_scan_determinismE0ELb1ES3_N6thrust23THRUST_200600_302600_NS6detail15normal_iteratorINS9_10device_ptrIsEEEESE_SE_sNS9_4plusIvEENS9_8equal_toIsEEsEE10hipError_tPvRmT2_T3_T4_T5_mT6_T7_P12ihipStream_tbENKUlT_T0_E_clISt17integral_constantIbLb0EESZ_EEDaSU_SV_EUlSU_E_NS1_11comp_targetILNS1_3genE9ELNS1_11target_archE1100ELNS1_3gpuE3ELNS1_3repE0EEENS1_30default_config_static_selectorELNS0_4arch9wavefront6targetE0EEEvT1_
	.p2align	8
	.type	_ZN7rocprim17ROCPRIM_400000_NS6detail17trampoline_kernelINS0_14default_configENS1_27scan_by_key_config_selectorIssEEZZNS1_16scan_by_key_implILNS1_25lookback_scan_determinismE0ELb1ES3_N6thrust23THRUST_200600_302600_NS6detail15normal_iteratorINS9_10device_ptrIsEEEESE_SE_sNS9_4plusIvEENS9_8equal_toIsEEsEE10hipError_tPvRmT2_T3_T4_T5_mT6_T7_P12ihipStream_tbENKUlT_T0_E_clISt17integral_constantIbLb0EESZ_EEDaSU_SV_EUlSU_E_NS1_11comp_targetILNS1_3genE9ELNS1_11target_archE1100ELNS1_3gpuE3ELNS1_3repE0EEENS1_30default_config_static_selectorELNS0_4arch9wavefront6targetE0EEEvT1_,@function
_ZN7rocprim17ROCPRIM_400000_NS6detail17trampoline_kernelINS0_14default_configENS1_27scan_by_key_config_selectorIssEEZZNS1_16scan_by_key_implILNS1_25lookback_scan_determinismE0ELb1ES3_N6thrust23THRUST_200600_302600_NS6detail15normal_iteratorINS9_10device_ptrIsEEEESE_SE_sNS9_4plusIvEENS9_8equal_toIsEEsEE10hipError_tPvRmT2_T3_T4_T5_mT6_T7_P12ihipStream_tbENKUlT_T0_E_clISt17integral_constantIbLb0EESZ_EEDaSU_SV_EUlSU_E_NS1_11comp_targetILNS1_3genE9ELNS1_11target_archE1100ELNS1_3gpuE3ELNS1_3repE0EEENS1_30default_config_static_selectorELNS0_4arch9wavefront6targetE0EEEvT1_: ; @_ZN7rocprim17ROCPRIM_400000_NS6detail17trampoline_kernelINS0_14default_configENS1_27scan_by_key_config_selectorIssEEZZNS1_16scan_by_key_implILNS1_25lookback_scan_determinismE0ELb1ES3_N6thrust23THRUST_200600_302600_NS6detail15normal_iteratorINS9_10device_ptrIsEEEESE_SE_sNS9_4plusIvEENS9_8equal_toIsEEsEE10hipError_tPvRmT2_T3_T4_T5_mT6_T7_P12ihipStream_tbENKUlT_T0_E_clISt17integral_constantIbLb0EESZ_EEDaSU_SV_EUlSU_E_NS1_11comp_targetILNS1_3genE9ELNS1_11target_archE1100ELNS1_3gpuE3ELNS1_3repE0EEENS1_30default_config_static_selectorELNS0_4arch9wavefront6targetE0EEEvT1_
; %bb.0:
	.section	.rodata,"a",@progbits
	.p2align	6, 0x0
	.amdhsa_kernel _ZN7rocprim17ROCPRIM_400000_NS6detail17trampoline_kernelINS0_14default_configENS1_27scan_by_key_config_selectorIssEEZZNS1_16scan_by_key_implILNS1_25lookback_scan_determinismE0ELb1ES3_N6thrust23THRUST_200600_302600_NS6detail15normal_iteratorINS9_10device_ptrIsEEEESE_SE_sNS9_4plusIvEENS9_8equal_toIsEEsEE10hipError_tPvRmT2_T3_T4_T5_mT6_T7_P12ihipStream_tbENKUlT_T0_E_clISt17integral_constantIbLb0EESZ_EEDaSU_SV_EUlSU_E_NS1_11comp_targetILNS1_3genE9ELNS1_11target_archE1100ELNS1_3gpuE3ELNS1_3repE0EEENS1_30default_config_static_selectorELNS0_4arch9wavefront6targetE0EEEvT1_
		.amdhsa_group_segment_fixed_size 0
		.amdhsa_private_segment_fixed_size 0
		.amdhsa_kernarg_size 112
		.amdhsa_user_sgpr_count 2
		.amdhsa_user_sgpr_dispatch_ptr 0
		.amdhsa_user_sgpr_queue_ptr 0
		.amdhsa_user_sgpr_kernarg_segment_ptr 1
		.amdhsa_user_sgpr_dispatch_id 0
		.amdhsa_user_sgpr_kernarg_preload_length 0
		.amdhsa_user_sgpr_kernarg_preload_offset 0
		.amdhsa_user_sgpr_private_segment_size 0
		.amdhsa_wavefront_size32 1
		.amdhsa_uses_dynamic_stack 0
		.amdhsa_enable_private_segment 0
		.amdhsa_system_sgpr_workgroup_id_x 1
		.amdhsa_system_sgpr_workgroup_id_y 0
		.amdhsa_system_sgpr_workgroup_id_z 0
		.amdhsa_system_sgpr_workgroup_info 0
		.amdhsa_system_vgpr_workitem_id 0
		.amdhsa_next_free_vgpr 1
		.amdhsa_next_free_sgpr 1
		.amdhsa_named_barrier_count 0
		.amdhsa_reserve_vcc 0
		.amdhsa_float_round_mode_32 0
		.amdhsa_float_round_mode_16_64 0
		.amdhsa_float_denorm_mode_32 3
		.amdhsa_float_denorm_mode_16_64 3
		.amdhsa_fp16_overflow 0
		.amdhsa_memory_ordered 1
		.amdhsa_forward_progress 1
		.amdhsa_inst_pref_size 0
		.amdhsa_round_robin_scheduling 0
		.amdhsa_exception_fp_ieee_invalid_op 0
		.amdhsa_exception_fp_denorm_src 0
		.amdhsa_exception_fp_ieee_div_zero 0
		.amdhsa_exception_fp_ieee_overflow 0
		.amdhsa_exception_fp_ieee_underflow 0
		.amdhsa_exception_fp_ieee_inexact 0
		.amdhsa_exception_int_div_zero 0
	.end_amdhsa_kernel
	.section	.text._ZN7rocprim17ROCPRIM_400000_NS6detail17trampoline_kernelINS0_14default_configENS1_27scan_by_key_config_selectorIssEEZZNS1_16scan_by_key_implILNS1_25lookback_scan_determinismE0ELb1ES3_N6thrust23THRUST_200600_302600_NS6detail15normal_iteratorINS9_10device_ptrIsEEEESE_SE_sNS9_4plusIvEENS9_8equal_toIsEEsEE10hipError_tPvRmT2_T3_T4_T5_mT6_T7_P12ihipStream_tbENKUlT_T0_E_clISt17integral_constantIbLb0EESZ_EEDaSU_SV_EUlSU_E_NS1_11comp_targetILNS1_3genE9ELNS1_11target_archE1100ELNS1_3gpuE3ELNS1_3repE0EEENS1_30default_config_static_selectorELNS0_4arch9wavefront6targetE0EEEvT1_,"axG",@progbits,_ZN7rocprim17ROCPRIM_400000_NS6detail17trampoline_kernelINS0_14default_configENS1_27scan_by_key_config_selectorIssEEZZNS1_16scan_by_key_implILNS1_25lookback_scan_determinismE0ELb1ES3_N6thrust23THRUST_200600_302600_NS6detail15normal_iteratorINS9_10device_ptrIsEEEESE_SE_sNS9_4plusIvEENS9_8equal_toIsEEsEE10hipError_tPvRmT2_T3_T4_T5_mT6_T7_P12ihipStream_tbENKUlT_T0_E_clISt17integral_constantIbLb0EESZ_EEDaSU_SV_EUlSU_E_NS1_11comp_targetILNS1_3genE9ELNS1_11target_archE1100ELNS1_3gpuE3ELNS1_3repE0EEENS1_30default_config_static_selectorELNS0_4arch9wavefront6targetE0EEEvT1_,comdat
.Lfunc_end648:
	.size	_ZN7rocprim17ROCPRIM_400000_NS6detail17trampoline_kernelINS0_14default_configENS1_27scan_by_key_config_selectorIssEEZZNS1_16scan_by_key_implILNS1_25lookback_scan_determinismE0ELb1ES3_N6thrust23THRUST_200600_302600_NS6detail15normal_iteratorINS9_10device_ptrIsEEEESE_SE_sNS9_4plusIvEENS9_8equal_toIsEEsEE10hipError_tPvRmT2_T3_T4_T5_mT6_T7_P12ihipStream_tbENKUlT_T0_E_clISt17integral_constantIbLb0EESZ_EEDaSU_SV_EUlSU_E_NS1_11comp_targetILNS1_3genE9ELNS1_11target_archE1100ELNS1_3gpuE3ELNS1_3repE0EEENS1_30default_config_static_selectorELNS0_4arch9wavefront6targetE0EEEvT1_, .Lfunc_end648-_ZN7rocprim17ROCPRIM_400000_NS6detail17trampoline_kernelINS0_14default_configENS1_27scan_by_key_config_selectorIssEEZZNS1_16scan_by_key_implILNS1_25lookback_scan_determinismE0ELb1ES3_N6thrust23THRUST_200600_302600_NS6detail15normal_iteratorINS9_10device_ptrIsEEEESE_SE_sNS9_4plusIvEENS9_8equal_toIsEEsEE10hipError_tPvRmT2_T3_T4_T5_mT6_T7_P12ihipStream_tbENKUlT_T0_E_clISt17integral_constantIbLb0EESZ_EEDaSU_SV_EUlSU_E_NS1_11comp_targetILNS1_3genE9ELNS1_11target_archE1100ELNS1_3gpuE3ELNS1_3repE0EEENS1_30default_config_static_selectorELNS0_4arch9wavefront6targetE0EEEvT1_
                                        ; -- End function
	.set _ZN7rocprim17ROCPRIM_400000_NS6detail17trampoline_kernelINS0_14default_configENS1_27scan_by_key_config_selectorIssEEZZNS1_16scan_by_key_implILNS1_25lookback_scan_determinismE0ELb1ES3_N6thrust23THRUST_200600_302600_NS6detail15normal_iteratorINS9_10device_ptrIsEEEESE_SE_sNS9_4plusIvEENS9_8equal_toIsEEsEE10hipError_tPvRmT2_T3_T4_T5_mT6_T7_P12ihipStream_tbENKUlT_T0_E_clISt17integral_constantIbLb0EESZ_EEDaSU_SV_EUlSU_E_NS1_11comp_targetILNS1_3genE9ELNS1_11target_archE1100ELNS1_3gpuE3ELNS1_3repE0EEENS1_30default_config_static_selectorELNS0_4arch9wavefront6targetE0EEEvT1_.num_vgpr, 0
	.set _ZN7rocprim17ROCPRIM_400000_NS6detail17trampoline_kernelINS0_14default_configENS1_27scan_by_key_config_selectorIssEEZZNS1_16scan_by_key_implILNS1_25lookback_scan_determinismE0ELb1ES3_N6thrust23THRUST_200600_302600_NS6detail15normal_iteratorINS9_10device_ptrIsEEEESE_SE_sNS9_4plusIvEENS9_8equal_toIsEEsEE10hipError_tPvRmT2_T3_T4_T5_mT6_T7_P12ihipStream_tbENKUlT_T0_E_clISt17integral_constantIbLb0EESZ_EEDaSU_SV_EUlSU_E_NS1_11comp_targetILNS1_3genE9ELNS1_11target_archE1100ELNS1_3gpuE3ELNS1_3repE0EEENS1_30default_config_static_selectorELNS0_4arch9wavefront6targetE0EEEvT1_.num_agpr, 0
	.set _ZN7rocprim17ROCPRIM_400000_NS6detail17trampoline_kernelINS0_14default_configENS1_27scan_by_key_config_selectorIssEEZZNS1_16scan_by_key_implILNS1_25lookback_scan_determinismE0ELb1ES3_N6thrust23THRUST_200600_302600_NS6detail15normal_iteratorINS9_10device_ptrIsEEEESE_SE_sNS9_4plusIvEENS9_8equal_toIsEEsEE10hipError_tPvRmT2_T3_T4_T5_mT6_T7_P12ihipStream_tbENKUlT_T0_E_clISt17integral_constantIbLb0EESZ_EEDaSU_SV_EUlSU_E_NS1_11comp_targetILNS1_3genE9ELNS1_11target_archE1100ELNS1_3gpuE3ELNS1_3repE0EEENS1_30default_config_static_selectorELNS0_4arch9wavefront6targetE0EEEvT1_.numbered_sgpr, 0
	.set _ZN7rocprim17ROCPRIM_400000_NS6detail17trampoline_kernelINS0_14default_configENS1_27scan_by_key_config_selectorIssEEZZNS1_16scan_by_key_implILNS1_25lookback_scan_determinismE0ELb1ES3_N6thrust23THRUST_200600_302600_NS6detail15normal_iteratorINS9_10device_ptrIsEEEESE_SE_sNS9_4plusIvEENS9_8equal_toIsEEsEE10hipError_tPvRmT2_T3_T4_T5_mT6_T7_P12ihipStream_tbENKUlT_T0_E_clISt17integral_constantIbLb0EESZ_EEDaSU_SV_EUlSU_E_NS1_11comp_targetILNS1_3genE9ELNS1_11target_archE1100ELNS1_3gpuE3ELNS1_3repE0EEENS1_30default_config_static_selectorELNS0_4arch9wavefront6targetE0EEEvT1_.num_named_barrier, 0
	.set _ZN7rocprim17ROCPRIM_400000_NS6detail17trampoline_kernelINS0_14default_configENS1_27scan_by_key_config_selectorIssEEZZNS1_16scan_by_key_implILNS1_25lookback_scan_determinismE0ELb1ES3_N6thrust23THRUST_200600_302600_NS6detail15normal_iteratorINS9_10device_ptrIsEEEESE_SE_sNS9_4plusIvEENS9_8equal_toIsEEsEE10hipError_tPvRmT2_T3_T4_T5_mT6_T7_P12ihipStream_tbENKUlT_T0_E_clISt17integral_constantIbLb0EESZ_EEDaSU_SV_EUlSU_E_NS1_11comp_targetILNS1_3genE9ELNS1_11target_archE1100ELNS1_3gpuE3ELNS1_3repE0EEENS1_30default_config_static_selectorELNS0_4arch9wavefront6targetE0EEEvT1_.private_seg_size, 0
	.set _ZN7rocprim17ROCPRIM_400000_NS6detail17trampoline_kernelINS0_14default_configENS1_27scan_by_key_config_selectorIssEEZZNS1_16scan_by_key_implILNS1_25lookback_scan_determinismE0ELb1ES3_N6thrust23THRUST_200600_302600_NS6detail15normal_iteratorINS9_10device_ptrIsEEEESE_SE_sNS9_4plusIvEENS9_8equal_toIsEEsEE10hipError_tPvRmT2_T3_T4_T5_mT6_T7_P12ihipStream_tbENKUlT_T0_E_clISt17integral_constantIbLb0EESZ_EEDaSU_SV_EUlSU_E_NS1_11comp_targetILNS1_3genE9ELNS1_11target_archE1100ELNS1_3gpuE3ELNS1_3repE0EEENS1_30default_config_static_selectorELNS0_4arch9wavefront6targetE0EEEvT1_.uses_vcc, 0
	.set _ZN7rocprim17ROCPRIM_400000_NS6detail17trampoline_kernelINS0_14default_configENS1_27scan_by_key_config_selectorIssEEZZNS1_16scan_by_key_implILNS1_25lookback_scan_determinismE0ELb1ES3_N6thrust23THRUST_200600_302600_NS6detail15normal_iteratorINS9_10device_ptrIsEEEESE_SE_sNS9_4plusIvEENS9_8equal_toIsEEsEE10hipError_tPvRmT2_T3_T4_T5_mT6_T7_P12ihipStream_tbENKUlT_T0_E_clISt17integral_constantIbLb0EESZ_EEDaSU_SV_EUlSU_E_NS1_11comp_targetILNS1_3genE9ELNS1_11target_archE1100ELNS1_3gpuE3ELNS1_3repE0EEENS1_30default_config_static_selectorELNS0_4arch9wavefront6targetE0EEEvT1_.uses_flat_scratch, 0
	.set _ZN7rocprim17ROCPRIM_400000_NS6detail17trampoline_kernelINS0_14default_configENS1_27scan_by_key_config_selectorIssEEZZNS1_16scan_by_key_implILNS1_25lookback_scan_determinismE0ELb1ES3_N6thrust23THRUST_200600_302600_NS6detail15normal_iteratorINS9_10device_ptrIsEEEESE_SE_sNS9_4plusIvEENS9_8equal_toIsEEsEE10hipError_tPvRmT2_T3_T4_T5_mT6_T7_P12ihipStream_tbENKUlT_T0_E_clISt17integral_constantIbLb0EESZ_EEDaSU_SV_EUlSU_E_NS1_11comp_targetILNS1_3genE9ELNS1_11target_archE1100ELNS1_3gpuE3ELNS1_3repE0EEENS1_30default_config_static_selectorELNS0_4arch9wavefront6targetE0EEEvT1_.has_dyn_sized_stack, 0
	.set _ZN7rocprim17ROCPRIM_400000_NS6detail17trampoline_kernelINS0_14default_configENS1_27scan_by_key_config_selectorIssEEZZNS1_16scan_by_key_implILNS1_25lookback_scan_determinismE0ELb1ES3_N6thrust23THRUST_200600_302600_NS6detail15normal_iteratorINS9_10device_ptrIsEEEESE_SE_sNS9_4plusIvEENS9_8equal_toIsEEsEE10hipError_tPvRmT2_T3_T4_T5_mT6_T7_P12ihipStream_tbENKUlT_T0_E_clISt17integral_constantIbLb0EESZ_EEDaSU_SV_EUlSU_E_NS1_11comp_targetILNS1_3genE9ELNS1_11target_archE1100ELNS1_3gpuE3ELNS1_3repE0EEENS1_30default_config_static_selectorELNS0_4arch9wavefront6targetE0EEEvT1_.has_recursion, 0
	.set _ZN7rocprim17ROCPRIM_400000_NS6detail17trampoline_kernelINS0_14default_configENS1_27scan_by_key_config_selectorIssEEZZNS1_16scan_by_key_implILNS1_25lookback_scan_determinismE0ELb1ES3_N6thrust23THRUST_200600_302600_NS6detail15normal_iteratorINS9_10device_ptrIsEEEESE_SE_sNS9_4plusIvEENS9_8equal_toIsEEsEE10hipError_tPvRmT2_T3_T4_T5_mT6_T7_P12ihipStream_tbENKUlT_T0_E_clISt17integral_constantIbLb0EESZ_EEDaSU_SV_EUlSU_E_NS1_11comp_targetILNS1_3genE9ELNS1_11target_archE1100ELNS1_3gpuE3ELNS1_3repE0EEENS1_30default_config_static_selectorELNS0_4arch9wavefront6targetE0EEEvT1_.has_indirect_call, 0
	.section	.AMDGPU.csdata,"",@progbits
; Kernel info:
; codeLenInByte = 0
; TotalNumSgprs: 0
; NumVgprs: 0
; ScratchSize: 0
; MemoryBound: 0
; FloatMode: 240
; IeeeMode: 1
; LDSByteSize: 0 bytes/workgroup (compile time only)
; SGPRBlocks: 0
; VGPRBlocks: 0
; NumSGPRsForWavesPerEU: 1
; NumVGPRsForWavesPerEU: 1
; NamedBarCnt: 0
; Occupancy: 16
; WaveLimiterHint : 0
; COMPUTE_PGM_RSRC2:SCRATCH_EN: 0
; COMPUTE_PGM_RSRC2:USER_SGPR: 2
; COMPUTE_PGM_RSRC2:TRAP_HANDLER: 0
; COMPUTE_PGM_RSRC2:TGID_X_EN: 1
; COMPUTE_PGM_RSRC2:TGID_Y_EN: 0
; COMPUTE_PGM_RSRC2:TGID_Z_EN: 0
; COMPUTE_PGM_RSRC2:TIDIG_COMP_CNT: 0
	.section	.text._ZN7rocprim17ROCPRIM_400000_NS6detail17trampoline_kernelINS0_14default_configENS1_27scan_by_key_config_selectorIssEEZZNS1_16scan_by_key_implILNS1_25lookback_scan_determinismE0ELb1ES3_N6thrust23THRUST_200600_302600_NS6detail15normal_iteratorINS9_10device_ptrIsEEEESE_SE_sNS9_4plusIvEENS9_8equal_toIsEEsEE10hipError_tPvRmT2_T3_T4_T5_mT6_T7_P12ihipStream_tbENKUlT_T0_E_clISt17integral_constantIbLb0EESZ_EEDaSU_SV_EUlSU_E_NS1_11comp_targetILNS1_3genE8ELNS1_11target_archE1030ELNS1_3gpuE2ELNS1_3repE0EEENS1_30default_config_static_selectorELNS0_4arch9wavefront6targetE0EEEvT1_,"axG",@progbits,_ZN7rocprim17ROCPRIM_400000_NS6detail17trampoline_kernelINS0_14default_configENS1_27scan_by_key_config_selectorIssEEZZNS1_16scan_by_key_implILNS1_25lookback_scan_determinismE0ELb1ES3_N6thrust23THRUST_200600_302600_NS6detail15normal_iteratorINS9_10device_ptrIsEEEESE_SE_sNS9_4plusIvEENS9_8equal_toIsEEsEE10hipError_tPvRmT2_T3_T4_T5_mT6_T7_P12ihipStream_tbENKUlT_T0_E_clISt17integral_constantIbLb0EESZ_EEDaSU_SV_EUlSU_E_NS1_11comp_targetILNS1_3genE8ELNS1_11target_archE1030ELNS1_3gpuE2ELNS1_3repE0EEENS1_30default_config_static_selectorELNS0_4arch9wavefront6targetE0EEEvT1_,comdat
	.protected	_ZN7rocprim17ROCPRIM_400000_NS6detail17trampoline_kernelINS0_14default_configENS1_27scan_by_key_config_selectorIssEEZZNS1_16scan_by_key_implILNS1_25lookback_scan_determinismE0ELb1ES3_N6thrust23THRUST_200600_302600_NS6detail15normal_iteratorINS9_10device_ptrIsEEEESE_SE_sNS9_4plusIvEENS9_8equal_toIsEEsEE10hipError_tPvRmT2_T3_T4_T5_mT6_T7_P12ihipStream_tbENKUlT_T0_E_clISt17integral_constantIbLb0EESZ_EEDaSU_SV_EUlSU_E_NS1_11comp_targetILNS1_3genE8ELNS1_11target_archE1030ELNS1_3gpuE2ELNS1_3repE0EEENS1_30default_config_static_selectorELNS0_4arch9wavefront6targetE0EEEvT1_ ; -- Begin function _ZN7rocprim17ROCPRIM_400000_NS6detail17trampoline_kernelINS0_14default_configENS1_27scan_by_key_config_selectorIssEEZZNS1_16scan_by_key_implILNS1_25lookback_scan_determinismE0ELb1ES3_N6thrust23THRUST_200600_302600_NS6detail15normal_iteratorINS9_10device_ptrIsEEEESE_SE_sNS9_4plusIvEENS9_8equal_toIsEEsEE10hipError_tPvRmT2_T3_T4_T5_mT6_T7_P12ihipStream_tbENKUlT_T0_E_clISt17integral_constantIbLb0EESZ_EEDaSU_SV_EUlSU_E_NS1_11comp_targetILNS1_3genE8ELNS1_11target_archE1030ELNS1_3gpuE2ELNS1_3repE0EEENS1_30default_config_static_selectorELNS0_4arch9wavefront6targetE0EEEvT1_
	.globl	_ZN7rocprim17ROCPRIM_400000_NS6detail17trampoline_kernelINS0_14default_configENS1_27scan_by_key_config_selectorIssEEZZNS1_16scan_by_key_implILNS1_25lookback_scan_determinismE0ELb1ES3_N6thrust23THRUST_200600_302600_NS6detail15normal_iteratorINS9_10device_ptrIsEEEESE_SE_sNS9_4plusIvEENS9_8equal_toIsEEsEE10hipError_tPvRmT2_T3_T4_T5_mT6_T7_P12ihipStream_tbENKUlT_T0_E_clISt17integral_constantIbLb0EESZ_EEDaSU_SV_EUlSU_E_NS1_11comp_targetILNS1_3genE8ELNS1_11target_archE1030ELNS1_3gpuE2ELNS1_3repE0EEENS1_30default_config_static_selectorELNS0_4arch9wavefront6targetE0EEEvT1_
	.p2align	8
	.type	_ZN7rocprim17ROCPRIM_400000_NS6detail17trampoline_kernelINS0_14default_configENS1_27scan_by_key_config_selectorIssEEZZNS1_16scan_by_key_implILNS1_25lookback_scan_determinismE0ELb1ES3_N6thrust23THRUST_200600_302600_NS6detail15normal_iteratorINS9_10device_ptrIsEEEESE_SE_sNS9_4plusIvEENS9_8equal_toIsEEsEE10hipError_tPvRmT2_T3_T4_T5_mT6_T7_P12ihipStream_tbENKUlT_T0_E_clISt17integral_constantIbLb0EESZ_EEDaSU_SV_EUlSU_E_NS1_11comp_targetILNS1_3genE8ELNS1_11target_archE1030ELNS1_3gpuE2ELNS1_3repE0EEENS1_30default_config_static_selectorELNS0_4arch9wavefront6targetE0EEEvT1_,@function
_ZN7rocprim17ROCPRIM_400000_NS6detail17trampoline_kernelINS0_14default_configENS1_27scan_by_key_config_selectorIssEEZZNS1_16scan_by_key_implILNS1_25lookback_scan_determinismE0ELb1ES3_N6thrust23THRUST_200600_302600_NS6detail15normal_iteratorINS9_10device_ptrIsEEEESE_SE_sNS9_4plusIvEENS9_8equal_toIsEEsEE10hipError_tPvRmT2_T3_T4_T5_mT6_T7_P12ihipStream_tbENKUlT_T0_E_clISt17integral_constantIbLb0EESZ_EEDaSU_SV_EUlSU_E_NS1_11comp_targetILNS1_3genE8ELNS1_11target_archE1030ELNS1_3gpuE2ELNS1_3repE0EEENS1_30default_config_static_selectorELNS0_4arch9wavefront6targetE0EEEvT1_: ; @_ZN7rocprim17ROCPRIM_400000_NS6detail17trampoline_kernelINS0_14default_configENS1_27scan_by_key_config_selectorIssEEZZNS1_16scan_by_key_implILNS1_25lookback_scan_determinismE0ELb1ES3_N6thrust23THRUST_200600_302600_NS6detail15normal_iteratorINS9_10device_ptrIsEEEESE_SE_sNS9_4plusIvEENS9_8equal_toIsEEsEE10hipError_tPvRmT2_T3_T4_T5_mT6_T7_P12ihipStream_tbENKUlT_T0_E_clISt17integral_constantIbLb0EESZ_EEDaSU_SV_EUlSU_E_NS1_11comp_targetILNS1_3genE8ELNS1_11target_archE1030ELNS1_3gpuE2ELNS1_3repE0EEENS1_30default_config_static_selectorELNS0_4arch9wavefront6targetE0EEEvT1_
; %bb.0:
	.section	.rodata,"a",@progbits
	.p2align	6, 0x0
	.amdhsa_kernel _ZN7rocprim17ROCPRIM_400000_NS6detail17trampoline_kernelINS0_14default_configENS1_27scan_by_key_config_selectorIssEEZZNS1_16scan_by_key_implILNS1_25lookback_scan_determinismE0ELb1ES3_N6thrust23THRUST_200600_302600_NS6detail15normal_iteratorINS9_10device_ptrIsEEEESE_SE_sNS9_4plusIvEENS9_8equal_toIsEEsEE10hipError_tPvRmT2_T3_T4_T5_mT6_T7_P12ihipStream_tbENKUlT_T0_E_clISt17integral_constantIbLb0EESZ_EEDaSU_SV_EUlSU_E_NS1_11comp_targetILNS1_3genE8ELNS1_11target_archE1030ELNS1_3gpuE2ELNS1_3repE0EEENS1_30default_config_static_selectorELNS0_4arch9wavefront6targetE0EEEvT1_
		.amdhsa_group_segment_fixed_size 0
		.amdhsa_private_segment_fixed_size 0
		.amdhsa_kernarg_size 112
		.amdhsa_user_sgpr_count 2
		.amdhsa_user_sgpr_dispatch_ptr 0
		.amdhsa_user_sgpr_queue_ptr 0
		.amdhsa_user_sgpr_kernarg_segment_ptr 1
		.amdhsa_user_sgpr_dispatch_id 0
		.amdhsa_user_sgpr_kernarg_preload_length 0
		.amdhsa_user_sgpr_kernarg_preload_offset 0
		.amdhsa_user_sgpr_private_segment_size 0
		.amdhsa_wavefront_size32 1
		.amdhsa_uses_dynamic_stack 0
		.amdhsa_enable_private_segment 0
		.amdhsa_system_sgpr_workgroup_id_x 1
		.amdhsa_system_sgpr_workgroup_id_y 0
		.amdhsa_system_sgpr_workgroup_id_z 0
		.amdhsa_system_sgpr_workgroup_info 0
		.amdhsa_system_vgpr_workitem_id 0
		.amdhsa_next_free_vgpr 1
		.amdhsa_next_free_sgpr 1
		.amdhsa_named_barrier_count 0
		.amdhsa_reserve_vcc 0
		.amdhsa_float_round_mode_32 0
		.amdhsa_float_round_mode_16_64 0
		.amdhsa_float_denorm_mode_32 3
		.amdhsa_float_denorm_mode_16_64 3
		.amdhsa_fp16_overflow 0
		.amdhsa_memory_ordered 1
		.amdhsa_forward_progress 1
		.amdhsa_inst_pref_size 0
		.amdhsa_round_robin_scheduling 0
		.amdhsa_exception_fp_ieee_invalid_op 0
		.amdhsa_exception_fp_denorm_src 0
		.amdhsa_exception_fp_ieee_div_zero 0
		.amdhsa_exception_fp_ieee_overflow 0
		.amdhsa_exception_fp_ieee_underflow 0
		.amdhsa_exception_fp_ieee_inexact 0
		.amdhsa_exception_int_div_zero 0
	.end_amdhsa_kernel
	.section	.text._ZN7rocprim17ROCPRIM_400000_NS6detail17trampoline_kernelINS0_14default_configENS1_27scan_by_key_config_selectorIssEEZZNS1_16scan_by_key_implILNS1_25lookback_scan_determinismE0ELb1ES3_N6thrust23THRUST_200600_302600_NS6detail15normal_iteratorINS9_10device_ptrIsEEEESE_SE_sNS9_4plusIvEENS9_8equal_toIsEEsEE10hipError_tPvRmT2_T3_T4_T5_mT6_T7_P12ihipStream_tbENKUlT_T0_E_clISt17integral_constantIbLb0EESZ_EEDaSU_SV_EUlSU_E_NS1_11comp_targetILNS1_3genE8ELNS1_11target_archE1030ELNS1_3gpuE2ELNS1_3repE0EEENS1_30default_config_static_selectorELNS0_4arch9wavefront6targetE0EEEvT1_,"axG",@progbits,_ZN7rocprim17ROCPRIM_400000_NS6detail17trampoline_kernelINS0_14default_configENS1_27scan_by_key_config_selectorIssEEZZNS1_16scan_by_key_implILNS1_25lookback_scan_determinismE0ELb1ES3_N6thrust23THRUST_200600_302600_NS6detail15normal_iteratorINS9_10device_ptrIsEEEESE_SE_sNS9_4plusIvEENS9_8equal_toIsEEsEE10hipError_tPvRmT2_T3_T4_T5_mT6_T7_P12ihipStream_tbENKUlT_T0_E_clISt17integral_constantIbLb0EESZ_EEDaSU_SV_EUlSU_E_NS1_11comp_targetILNS1_3genE8ELNS1_11target_archE1030ELNS1_3gpuE2ELNS1_3repE0EEENS1_30default_config_static_selectorELNS0_4arch9wavefront6targetE0EEEvT1_,comdat
.Lfunc_end649:
	.size	_ZN7rocprim17ROCPRIM_400000_NS6detail17trampoline_kernelINS0_14default_configENS1_27scan_by_key_config_selectorIssEEZZNS1_16scan_by_key_implILNS1_25lookback_scan_determinismE0ELb1ES3_N6thrust23THRUST_200600_302600_NS6detail15normal_iteratorINS9_10device_ptrIsEEEESE_SE_sNS9_4plusIvEENS9_8equal_toIsEEsEE10hipError_tPvRmT2_T3_T4_T5_mT6_T7_P12ihipStream_tbENKUlT_T0_E_clISt17integral_constantIbLb0EESZ_EEDaSU_SV_EUlSU_E_NS1_11comp_targetILNS1_3genE8ELNS1_11target_archE1030ELNS1_3gpuE2ELNS1_3repE0EEENS1_30default_config_static_selectorELNS0_4arch9wavefront6targetE0EEEvT1_, .Lfunc_end649-_ZN7rocprim17ROCPRIM_400000_NS6detail17trampoline_kernelINS0_14default_configENS1_27scan_by_key_config_selectorIssEEZZNS1_16scan_by_key_implILNS1_25lookback_scan_determinismE0ELb1ES3_N6thrust23THRUST_200600_302600_NS6detail15normal_iteratorINS9_10device_ptrIsEEEESE_SE_sNS9_4plusIvEENS9_8equal_toIsEEsEE10hipError_tPvRmT2_T3_T4_T5_mT6_T7_P12ihipStream_tbENKUlT_T0_E_clISt17integral_constantIbLb0EESZ_EEDaSU_SV_EUlSU_E_NS1_11comp_targetILNS1_3genE8ELNS1_11target_archE1030ELNS1_3gpuE2ELNS1_3repE0EEENS1_30default_config_static_selectorELNS0_4arch9wavefront6targetE0EEEvT1_
                                        ; -- End function
	.set _ZN7rocprim17ROCPRIM_400000_NS6detail17trampoline_kernelINS0_14default_configENS1_27scan_by_key_config_selectorIssEEZZNS1_16scan_by_key_implILNS1_25lookback_scan_determinismE0ELb1ES3_N6thrust23THRUST_200600_302600_NS6detail15normal_iteratorINS9_10device_ptrIsEEEESE_SE_sNS9_4plusIvEENS9_8equal_toIsEEsEE10hipError_tPvRmT2_T3_T4_T5_mT6_T7_P12ihipStream_tbENKUlT_T0_E_clISt17integral_constantIbLb0EESZ_EEDaSU_SV_EUlSU_E_NS1_11comp_targetILNS1_3genE8ELNS1_11target_archE1030ELNS1_3gpuE2ELNS1_3repE0EEENS1_30default_config_static_selectorELNS0_4arch9wavefront6targetE0EEEvT1_.num_vgpr, 0
	.set _ZN7rocprim17ROCPRIM_400000_NS6detail17trampoline_kernelINS0_14default_configENS1_27scan_by_key_config_selectorIssEEZZNS1_16scan_by_key_implILNS1_25lookback_scan_determinismE0ELb1ES3_N6thrust23THRUST_200600_302600_NS6detail15normal_iteratorINS9_10device_ptrIsEEEESE_SE_sNS9_4plusIvEENS9_8equal_toIsEEsEE10hipError_tPvRmT2_T3_T4_T5_mT6_T7_P12ihipStream_tbENKUlT_T0_E_clISt17integral_constantIbLb0EESZ_EEDaSU_SV_EUlSU_E_NS1_11comp_targetILNS1_3genE8ELNS1_11target_archE1030ELNS1_3gpuE2ELNS1_3repE0EEENS1_30default_config_static_selectorELNS0_4arch9wavefront6targetE0EEEvT1_.num_agpr, 0
	.set _ZN7rocprim17ROCPRIM_400000_NS6detail17trampoline_kernelINS0_14default_configENS1_27scan_by_key_config_selectorIssEEZZNS1_16scan_by_key_implILNS1_25lookback_scan_determinismE0ELb1ES3_N6thrust23THRUST_200600_302600_NS6detail15normal_iteratorINS9_10device_ptrIsEEEESE_SE_sNS9_4plusIvEENS9_8equal_toIsEEsEE10hipError_tPvRmT2_T3_T4_T5_mT6_T7_P12ihipStream_tbENKUlT_T0_E_clISt17integral_constantIbLb0EESZ_EEDaSU_SV_EUlSU_E_NS1_11comp_targetILNS1_3genE8ELNS1_11target_archE1030ELNS1_3gpuE2ELNS1_3repE0EEENS1_30default_config_static_selectorELNS0_4arch9wavefront6targetE0EEEvT1_.numbered_sgpr, 0
	.set _ZN7rocprim17ROCPRIM_400000_NS6detail17trampoline_kernelINS0_14default_configENS1_27scan_by_key_config_selectorIssEEZZNS1_16scan_by_key_implILNS1_25lookback_scan_determinismE0ELb1ES3_N6thrust23THRUST_200600_302600_NS6detail15normal_iteratorINS9_10device_ptrIsEEEESE_SE_sNS9_4plusIvEENS9_8equal_toIsEEsEE10hipError_tPvRmT2_T3_T4_T5_mT6_T7_P12ihipStream_tbENKUlT_T0_E_clISt17integral_constantIbLb0EESZ_EEDaSU_SV_EUlSU_E_NS1_11comp_targetILNS1_3genE8ELNS1_11target_archE1030ELNS1_3gpuE2ELNS1_3repE0EEENS1_30default_config_static_selectorELNS0_4arch9wavefront6targetE0EEEvT1_.num_named_barrier, 0
	.set _ZN7rocprim17ROCPRIM_400000_NS6detail17trampoline_kernelINS0_14default_configENS1_27scan_by_key_config_selectorIssEEZZNS1_16scan_by_key_implILNS1_25lookback_scan_determinismE0ELb1ES3_N6thrust23THRUST_200600_302600_NS6detail15normal_iteratorINS9_10device_ptrIsEEEESE_SE_sNS9_4plusIvEENS9_8equal_toIsEEsEE10hipError_tPvRmT2_T3_T4_T5_mT6_T7_P12ihipStream_tbENKUlT_T0_E_clISt17integral_constantIbLb0EESZ_EEDaSU_SV_EUlSU_E_NS1_11comp_targetILNS1_3genE8ELNS1_11target_archE1030ELNS1_3gpuE2ELNS1_3repE0EEENS1_30default_config_static_selectorELNS0_4arch9wavefront6targetE0EEEvT1_.private_seg_size, 0
	.set _ZN7rocprim17ROCPRIM_400000_NS6detail17trampoline_kernelINS0_14default_configENS1_27scan_by_key_config_selectorIssEEZZNS1_16scan_by_key_implILNS1_25lookback_scan_determinismE0ELb1ES3_N6thrust23THRUST_200600_302600_NS6detail15normal_iteratorINS9_10device_ptrIsEEEESE_SE_sNS9_4plusIvEENS9_8equal_toIsEEsEE10hipError_tPvRmT2_T3_T4_T5_mT6_T7_P12ihipStream_tbENKUlT_T0_E_clISt17integral_constantIbLb0EESZ_EEDaSU_SV_EUlSU_E_NS1_11comp_targetILNS1_3genE8ELNS1_11target_archE1030ELNS1_3gpuE2ELNS1_3repE0EEENS1_30default_config_static_selectorELNS0_4arch9wavefront6targetE0EEEvT1_.uses_vcc, 0
	.set _ZN7rocprim17ROCPRIM_400000_NS6detail17trampoline_kernelINS0_14default_configENS1_27scan_by_key_config_selectorIssEEZZNS1_16scan_by_key_implILNS1_25lookback_scan_determinismE0ELb1ES3_N6thrust23THRUST_200600_302600_NS6detail15normal_iteratorINS9_10device_ptrIsEEEESE_SE_sNS9_4plusIvEENS9_8equal_toIsEEsEE10hipError_tPvRmT2_T3_T4_T5_mT6_T7_P12ihipStream_tbENKUlT_T0_E_clISt17integral_constantIbLb0EESZ_EEDaSU_SV_EUlSU_E_NS1_11comp_targetILNS1_3genE8ELNS1_11target_archE1030ELNS1_3gpuE2ELNS1_3repE0EEENS1_30default_config_static_selectorELNS0_4arch9wavefront6targetE0EEEvT1_.uses_flat_scratch, 0
	.set _ZN7rocprim17ROCPRIM_400000_NS6detail17trampoline_kernelINS0_14default_configENS1_27scan_by_key_config_selectorIssEEZZNS1_16scan_by_key_implILNS1_25lookback_scan_determinismE0ELb1ES3_N6thrust23THRUST_200600_302600_NS6detail15normal_iteratorINS9_10device_ptrIsEEEESE_SE_sNS9_4plusIvEENS9_8equal_toIsEEsEE10hipError_tPvRmT2_T3_T4_T5_mT6_T7_P12ihipStream_tbENKUlT_T0_E_clISt17integral_constantIbLb0EESZ_EEDaSU_SV_EUlSU_E_NS1_11comp_targetILNS1_3genE8ELNS1_11target_archE1030ELNS1_3gpuE2ELNS1_3repE0EEENS1_30default_config_static_selectorELNS0_4arch9wavefront6targetE0EEEvT1_.has_dyn_sized_stack, 0
	.set _ZN7rocprim17ROCPRIM_400000_NS6detail17trampoline_kernelINS0_14default_configENS1_27scan_by_key_config_selectorIssEEZZNS1_16scan_by_key_implILNS1_25lookback_scan_determinismE0ELb1ES3_N6thrust23THRUST_200600_302600_NS6detail15normal_iteratorINS9_10device_ptrIsEEEESE_SE_sNS9_4plusIvEENS9_8equal_toIsEEsEE10hipError_tPvRmT2_T3_T4_T5_mT6_T7_P12ihipStream_tbENKUlT_T0_E_clISt17integral_constantIbLb0EESZ_EEDaSU_SV_EUlSU_E_NS1_11comp_targetILNS1_3genE8ELNS1_11target_archE1030ELNS1_3gpuE2ELNS1_3repE0EEENS1_30default_config_static_selectorELNS0_4arch9wavefront6targetE0EEEvT1_.has_recursion, 0
	.set _ZN7rocprim17ROCPRIM_400000_NS6detail17trampoline_kernelINS0_14default_configENS1_27scan_by_key_config_selectorIssEEZZNS1_16scan_by_key_implILNS1_25lookback_scan_determinismE0ELb1ES3_N6thrust23THRUST_200600_302600_NS6detail15normal_iteratorINS9_10device_ptrIsEEEESE_SE_sNS9_4plusIvEENS9_8equal_toIsEEsEE10hipError_tPvRmT2_T3_T4_T5_mT6_T7_P12ihipStream_tbENKUlT_T0_E_clISt17integral_constantIbLb0EESZ_EEDaSU_SV_EUlSU_E_NS1_11comp_targetILNS1_3genE8ELNS1_11target_archE1030ELNS1_3gpuE2ELNS1_3repE0EEENS1_30default_config_static_selectorELNS0_4arch9wavefront6targetE0EEEvT1_.has_indirect_call, 0
	.section	.AMDGPU.csdata,"",@progbits
; Kernel info:
; codeLenInByte = 0
; TotalNumSgprs: 0
; NumVgprs: 0
; ScratchSize: 0
; MemoryBound: 0
; FloatMode: 240
; IeeeMode: 1
; LDSByteSize: 0 bytes/workgroup (compile time only)
; SGPRBlocks: 0
; VGPRBlocks: 0
; NumSGPRsForWavesPerEU: 1
; NumVGPRsForWavesPerEU: 1
; NamedBarCnt: 0
; Occupancy: 16
; WaveLimiterHint : 0
; COMPUTE_PGM_RSRC2:SCRATCH_EN: 0
; COMPUTE_PGM_RSRC2:USER_SGPR: 2
; COMPUTE_PGM_RSRC2:TRAP_HANDLER: 0
; COMPUTE_PGM_RSRC2:TGID_X_EN: 1
; COMPUTE_PGM_RSRC2:TGID_Y_EN: 0
; COMPUTE_PGM_RSRC2:TGID_Z_EN: 0
; COMPUTE_PGM_RSRC2:TIDIG_COMP_CNT: 0
	.section	.text._ZN7rocprim17ROCPRIM_400000_NS6detail17trampoline_kernelINS0_14default_configENS1_27scan_by_key_config_selectorIssEEZZNS1_16scan_by_key_implILNS1_25lookback_scan_determinismE0ELb1ES3_N6thrust23THRUST_200600_302600_NS6detail15normal_iteratorINS9_10device_ptrIsEEEESE_SE_sNS9_4plusIvEENS9_8equal_toIsEEsEE10hipError_tPvRmT2_T3_T4_T5_mT6_T7_P12ihipStream_tbENKUlT_T0_E_clISt17integral_constantIbLb1EESZ_EEDaSU_SV_EUlSU_E_NS1_11comp_targetILNS1_3genE0ELNS1_11target_archE4294967295ELNS1_3gpuE0ELNS1_3repE0EEENS1_30default_config_static_selectorELNS0_4arch9wavefront6targetE0EEEvT1_,"axG",@progbits,_ZN7rocprim17ROCPRIM_400000_NS6detail17trampoline_kernelINS0_14default_configENS1_27scan_by_key_config_selectorIssEEZZNS1_16scan_by_key_implILNS1_25lookback_scan_determinismE0ELb1ES3_N6thrust23THRUST_200600_302600_NS6detail15normal_iteratorINS9_10device_ptrIsEEEESE_SE_sNS9_4plusIvEENS9_8equal_toIsEEsEE10hipError_tPvRmT2_T3_T4_T5_mT6_T7_P12ihipStream_tbENKUlT_T0_E_clISt17integral_constantIbLb1EESZ_EEDaSU_SV_EUlSU_E_NS1_11comp_targetILNS1_3genE0ELNS1_11target_archE4294967295ELNS1_3gpuE0ELNS1_3repE0EEENS1_30default_config_static_selectorELNS0_4arch9wavefront6targetE0EEEvT1_,comdat
	.protected	_ZN7rocprim17ROCPRIM_400000_NS6detail17trampoline_kernelINS0_14default_configENS1_27scan_by_key_config_selectorIssEEZZNS1_16scan_by_key_implILNS1_25lookback_scan_determinismE0ELb1ES3_N6thrust23THRUST_200600_302600_NS6detail15normal_iteratorINS9_10device_ptrIsEEEESE_SE_sNS9_4plusIvEENS9_8equal_toIsEEsEE10hipError_tPvRmT2_T3_T4_T5_mT6_T7_P12ihipStream_tbENKUlT_T0_E_clISt17integral_constantIbLb1EESZ_EEDaSU_SV_EUlSU_E_NS1_11comp_targetILNS1_3genE0ELNS1_11target_archE4294967295ELNS1_3gpuE0ELNS1_3repE0EEENS1_30default_config_static_selectorELNS0_4arch9wavefront6targetE0EEEvT1_ ; -- Begin function _ZN7rocprim17ROCPRIM_400000_NS6detail17trampoline_kernelINS0_14default_configENS1_27scan_by_key_config_selectorIssEEZZNS1_16scan_by_key_implILNS1_25lookback_scan_determinismE0ELb1ES3_N6thrust23THRUST_200600_302600_NS6detail15normal_iteratorINS9_10device_ptrIsEEEESE_SE_sNS9_4plusIvEENS9_8equal_toIsEEsEE10hipError_tPvRmT2_T3_T4_T5_mT6_T7_P12ihipStream_tbENKUlT_T0_E_clISt17integral_constantIbLb1EESZ_EEDaSU_SV_EUlSU_E_NS1_11comp_targetILNS1_3genE0ELNS1_11target_archE4294967295ELNS1_3gpuE0ELNS1_3repE0EEENS1_30default_config_static_selectorELNS0_4arch9wavefront6targetE0EEEvT1_
	.globl	_ZN7rocprim17ROCPRIM_400000_NS6detail17trampoline_kernelINS0_14default_configENS1_27scan_by_key_config_selectorIssEEZZNS1_16scan_by_key_implILNS1_25lookback_scan_determinismE0ELb1ES3_N6thrust23THRUST_200600_302600_NS6detail15normal_iteratorINS9_10device_ptrIsEEEESE_SE_sNS9_4plusIvEENS9_8equal_toIsEEsEE10hipError_tPvRmT2_T3_T4_T5_mT6_T7_P12ihipStream_tbENKUlT_T0_E_clISt17integral_constantIbLb1EESZ_EEDaSU_SV_EUlSU_E_NS1_11comp_targetILNS1_3genE0ELNS1_11target_archE4294967295ELNS1_3gpuE0ELNS1_3repE0EEENS1_30default_config_static_selectorELNS0_4arch9wavefront6targetE0EEEvT1_
	.p2align	8
	.type	_ZN7rocprim17ROCPRIM_400000_NS6detail17trampoline_kernelINS0_14default_configENS1_27scan_by_key_config_selectorIssEEZZNS1_16scan_by_key_implILNS1_25lookback_scan_determinismE0ELb1ES3_N6thrust23THRUST_200600_302600_NS6detail15normal_iteratorINS9_10device_ptrIsEEEESE_SE_sNS9_4plusIvEENS9_8equal_toIsEEsEE10hipError_tPvRmT2_T3_T4_T5_mT6_T7_P12ihipStream_tbENKUlT_T0_E_clISt17integral_constantIbLb1EESZ_EEDaSU_SV_EUlSU_E_NS1_11comp_targetILNS1_3genE0ELNS1_11target_archE4294967295ELNS1_3gpuE0ELNS1_3repE0EEENS1_30default_config_static_selectorELNS0_4arch9wavefront6targetE0EEEvT1_,@function
_ZN7rocprim17ROCPRIM_400000_NS6detail17trampoline_kernelINS0_14default_configENS1_27scan_by_key_config_selectorIssEEZZNS1_16scan_by_key_implILNS1_25lookback_scan_determinismE0ELb1ES3_N6thrust23THRUST_200600_302600_NS6detail15normal_iteratorINS9_10device_ptrIsEEEESE_SE_sNS9_4plusIvEENS9_8equal_toIsEEsEE10hipError_tPvRmT2_T3_T4_T5_mT6_T7_P12ihipStream_tbENKUlT_T0_E_clISt17integral_constantIbLb1EESZ_EEDaSU_SV_EUlSU_E_NS1_11comp_targetILNS1_3genE0ELNS1_11target_archE4294967295ELNS1_3gpuE0ELNS1_3repE0EEENS1_30default_config_static_selectorELNS0_4arch9wavefront6targetE0EEEvT1_: ; @_ZN7rocprim17ROCPRIM_400000_NS6detail17trampoline_kernelINS0_14default_configENS1_27scan_by_key_config_selectorIssEEZZNS1_16scan_by_key_implILNS1_25lookback_scan_determinismE0ELb1ES3_N6thrust23THRUST_200600_302600_NS6detail15normal_iteratorINS9_10device_ptrIsEEEESE_SE_sNS9_4plusIvEENS9_8equal_toIsEEsEE10hipError_tPvRmT2_T3_T4_T5_mT6_T7_P12ihipStream_tbENKUlT_T0_E_clISt17integral_constantIbLb1EESZ_EEDaSU_SV_EUlSU_E_NS1_11comp_targetILNS1_3genE0ELNS1_11target_archE4294967295ELNS1_3gpuE0ELNS1_3repE0EEENS1_30default_config_static_selectorELNS0_4arch9wavefront6targetE0EEEvT1_
; %bb.0:
	s_endpgm
	.section	.rodata,"a",@progbits
	.p2align	6, 0x0
	.amdhsa_kernel _ZN7rocprim17ROCPRIM_400000_NS6detail17trampoline_kernelINS0_14default_configENS1_27scan_by_key_config_selectorIssEEZZNS1_16scan_by_key_implILNS1_25lookback_scan_determinismE0ELb1ES3_N6thrust23THRUST_200600_302600_NS6detail15normal_iteratorINS9_10device_ptrIsEEEESE_SE_sNS9_4plusIvEENS9_8equal_toIsEEsEE10hipError_tPvRmT2_T3_T4_T5_mT6_T7_P12ihipStream_tbENKUlT_T0_E_clISt17integral_constantIbLb1EESZ_EEDaSU_SV_EUlSU_E_NS1_11comp_targetILNS1_3genE0ELNS1_11target_archE4294967295ELNS1_3gpuE0ELNS1_3repE0EEENS1_30default_config_static_selectorELNS0_4arch9wavefront6targetE0EEEvT1_
		.amdhsa_group_segment_fixed_size 0
		.amdhsa_private_segment_fixed_size 0
		.amdhsa_kernarg_size 112
		.amdhsa_user_sgpr_count 2
		.amdhsa_user_sgpr_dispatch_ptr 0
		.amdhsa_user_sgpr_queue_ptr 0
		.amdhsa_user_sgpr_kernarg_segment_ptr 1
		.amdhsa_user_sgpr_dispatch_id 0
		.amdhsa_user_sgpr_kernarg_preload_length 0
		.amdhsa_user_sgpr_kernarg_preload_offset 0
		.amdhsa_user_sgpr_private_segment_size 0
		.amdhsa_wavefront_size32 1
		.amdhsa_uses_dynamic_stack 0
		.amdhsa_enable_private_segment 0
		.amdhsa_system_sgpr_workgroup_id_x 1
		.amdhsa_system_sgpr_workgroup_id_y 0
		.amdhsa_system_sgpr_workgroup_id_z 0
		.amdhsa_system_sgpr_workgroup_info 0
		.amdhsa_system_vgpr_workitem_id 0
		.amdhsa_next_free_vgpr 1
		.amdhsa_next_free_sgpr 1
		.amdhsa_named_barrier_count 0
		.amdhsa_reserve_vcc 0
		.amdhsa_float_round_mode_32 0
		.amdhsa_float_round_mode_16_64 0
		.amdhsa_float_denorm_mode_32 3
		.amdhsa_float_denorm_mode_16_64 3
		.amdhsa_fp16_overflow 0
		.amdhsa_memory_ordered 1
		.amdhsa_forward_progress 1
		.amdhsa_inst_pref_size 1
		.amdhsa_round_robin_scheduling 0
		.amdhsa_exception_fp_ieee_invalid_op 0
		.amdhsa_exception_fp_denorm_src 0
		.amdhsa_exception_fp_ieee_div_zero 0
		.amdhsa_exception_fp_ieee_overflow 0
		.amdhsa_exception_fp_ieee_underflow 0
		.amdhsa_exception_fp_ieee_inexact 0
		.amdhsa_exception_int_div_zero 0
	.end_amdhsa_kernel
	.section	.text._ZN7rocprim17ROCPRIM_400000_NS6detail17trampoline_kernelINS0_14default_configENS1_27scan_by_key_config_selectorIssEEZZNS1_16scan_by_key_implILNS1_25lookback_scan_determinismE0ELb1ES3_N6thrust23THRUST_200600_302600_NS6detail15normal_iteratorINS9_10device_ptrIsEEEESE_SE_sNS9_4plusIvEENS9_8equal_toIsEEsEE10hipError_tPvRmT2_T3_T4_T5_mT6_T7_P12ihipStream_tbENKUlT_T0_E_clISt17integral_constantIbLb1EESZ_EEDaSU_SV_EUlSU_E_NS1_11comp_targetILNS1_3genE0ELNS1_11target_archE4294967295ELNS1_3gpuE0ELNS1_3repE0EEENS1_30default_config_static_selectorELNS0_4arch9wavefront6targetE0EEEvT1_,"axG",@progbits,_ZN7rocprim17ROCPRIM_400000_NS6detail17trampoline_kernelINS0_14default_configENS1_27scan_by_key_config_selectorIssEEZZNS1_16scan_by_key_implILNS1_25lookback_scan_determinismE0ELb1ES3_N6thrust23THRUST_200600_302600_NS6detail15normal_iteratorINS9_10device_ptrIsEEEESE_SE_sNS9_4plusIvEENS9_8equal_toIsEEsEE10hipError_tPvRmT2_T3_T4_T5_mT6_T7_P12ihipStream_tbENKUlT_T0_E_clISt17integral_constantIbLb1EESZ_EEDaSU_SV_EUlSU_E_NS1_11comp_targetILNS1_3genE0ELNS1_11target_archE4294967295ELNS1_3gpuE0ELNS1_3repE0EEENS1_30default_config_static_selectorELNS0_4arch9wavefront6targetE0EEEvT1_,comdat
.Lfunc_end650:
	.size	_ZN7rocprim17ROCPRIM_400000_NS6detail17trampoline_kernelINS0_14default_configENS1_27scan_by_key_config_selectorIssEEZZNS1_16scan_by_key_implILNS1_25lookback_scan_determinismE0ELb1ES3_N6thrust23THRUST_200600_302600_NS6detail15normal_iteratorINS9_10device_ptrIsEEEESE_SE_sNS9_4plusIvEENS9_8equal_toIsEEsEE10hipError_tPvRmT2_T3_T4_T5_mT6_T7_P12ihipStream_tbENKUlT_T0_E_clISt17integral_constantIbLb1EESZ_EEDaSU_SV_EUlSU_E_NS1_11comp_targetILNS1_3genE0ELNS1_11target_archE4294967295ELNS1_3gpuE0ELNS1_3repE0EEENS1_30default_config_static_selectorELNS0_4arch9wavefront6targetE0EEEvT1_, .Lfunc_end650-_ZN7rocprim17ROCPRIM_400000_NS6detail17trampoline_kernelINS0_14default_configENS1_27scan_by_key_config_selectorIssEEZZNS1_16scan_by_key_implILNS1_25lookback_scan_determinismE0ELb1ES3_N6thrust23THRUST_200600_302600_NS6detail15normal_iteratorINS9_10device_ptrIsEEEESE_SE_sNS9_4plusIvEENS9_8equal_toIsEEsEE10hipError_tPvRmT2_T3_T4_T5_mT6_T7_P12ihipStream_tbENKUlT_T0_E_clISt17integral_constantIbLb1EESZ_EEDaSU_SV_EUlSU_E_NS1_11comp_targetILNS1_3genE0ELNS1_11target_archE4294967295ELNS1_3gpuE0ELNS1_3repE0EEENS1_30default_config_static_selectorELNS0_4arch9wavefront6targetE0EEEvT1_
                                        ; -- End function
	.set _ZN7rocprim17ROCPRIM_400000_NS6detail17trampoline_kernelINS0_14default_configENS1_27scan_by_key_config_selectorIssEEZZNS1_16scan_by_key_implILNS1_25lookback_scan_determinismE0ELb1ES3_N6thrust23THRUST_200600_302600_NS6detail15normal_iteratorINS9_10device_ptrIsEEEESE_SE_sNS9_4plusIvEENS9_8equal_toIsEEsEE10hipError_tPvRmT2_T3_T4_T5_mT6_T7_P12ihipStream_tbENKUlT_T0_E_clISt17integral_constantIbLb1EESZ_EEDaSU_SV_EUlSU_E_NS1_11comp_targetILNS1_3genE0ELNS1_11target_archE4294967295ELNS1_3gpuE0ELNS1_3repE0EEENS1_30default_config_static_selectorELNS0_4arch9wavefront6targetE0EEEvT1_.num_vgpr, 0
	.set _ZN7rocprim17ROCPRIM_400000_NS6detail17trampoline_kernelINS0_14default_configENS1_27scan_by_key_config_selectorIssEEZZNS1_16scan_by_key_implILNS1_25lookback_scan_determinismE0ELb1ES3_N6thrust23THRUST_200600_302600_NS6detail15normal_iteratorINS9_10device_ptrIsEEEESE_SE_sNS9_4plusIvEENS9_8equal_toIsEEsEE10hipError_tPvRmT2_T3_T4_T5_mT6_T7_P12ihipStream_tbENKUlT_T0_E_clISt17integral_constantIbLb1EESZ_EEDaSU_SV_EUlSU_E_NS1_11comp_targetILNS1_3genE0ELNS1_11target_archE4294967295ELNS1_3gpuE0ELNS1_3repE0EEENS1_30default_config_static_selectorELNS0_4arch9wavefront6targetE0EEEvT1_.num_agpr, 0
	.set _ZN7rocprim17ROCPRIM_400000_NS6detail17trampoline_kernelINS0_14default_configENS1_27scan_by_key_config_selectorIssEEZZNS1_16scan_by_key_implILNS1_25lookback_scan_determinismE0ELb1ES3_N6thrust23THRUST_200600_302600_NS6detail15normal_iteratorINS9_10device_ptrIsEEEESE_SE_sNS9_4plusIvEENS9_8equal_toIsEEsEE10hipError_tPvRmT2_T3_T4_T5_mT6_T7_P12ihipStream_tbENKUlT_T0_E_clISt17integral_constantIbLb1EESZ_EEDaSU_SV_EUlSU_E_NS1_11comp_targetILNS1_3genE0ELNS1_11target_archE4294967295ELNS1_3gpuE0ELNS1_3repE0EEENS1_30default_config_static_selectorELNS0_4arch9wavefront6targetE0EEEvT1_.numbered_sgpr, 0
	.set _ZN7rocprim17ROCPRIM_400000_NS6detail17trampoline_kernelINS0_14default_configENS1_27scan_by_key_config_selectorIssEEZZNS1_16scan_by_key_implILNS1_25lookback_scan_determinismE0ELb1ES3_N6thrust23THRUST_200600_302600_NS6detail15normal_iteratorINS9_10device_ptrIsEEEESE_SE_sNS9_4plusIvEENS9_8equal_toIsEEsEE10hipError_tPvRmT2_T3_T4_T5_mT6_T7_P12ihipStream_tbENKUlT_T0_E_clISt17integral_constantIbLb1EESZ_EEDaSU_SV_EUlSU_E_NS1_11comp_targetILNS1_3genE0ELNS1_11target_archE4294967295ELNS1_3gpuE0ELNS1_3repE0EEENS1_30default_config_static_selectorELNS0_4arch9wavefront6targetE0EEEvT1_.num_named_barrier, 0
	.set _ZN7rocprim17ROCPRIM_400000_NS6detail17trampoline_kernelINS0_14default_configENS1_27scan_by_key_config_selectorIssEEZZNS1_16scan_by_key_implILNS1_25lookback_scan_determinismE0ELb1ES3_N6thrust23THRUST_200600_302600_NS6detail15normal_iteratorINS9_10device_ptrIsEEEESE_SE_sNS9_4plusIvEENS9_8equal_toIsEEsEE10hipError_tPvRmT2_T3_T4_T5_mT6_T7_P12ihipStream_tbENKUlT_T0_E_clISt17integral_constantIbLb1EESZ_EEDaSU_SV_EUlSU_E_NS1_11comp_targetILNS1_3genE0ELNS1_11target_archE4294967295ELNS1_3gpuE0ELNS1_3repE0EEENS1_30default_config_static_selectorELNS0_4arch9wavefront6targetE0EEEvT1_.private_seg_size, 0
	.set _ZN7rocprim17ROCPRIM_400000_NS6detail17trampoline_kernelINS0_14default_configENS1_27scan_by_key_config_selectorIssEEZZNS1_16scan_by_key_implILNS1_25lookback_scan_determinismE0ELb1ES3_N6thrust23THRUST_200600_302600_NS6detail15normal_iteratorINS9_10device_ptrIsEEEESE_SE_sNS9_4plusIvEENS9_8equal_toIsEEsEE10hipError_tPvRmT2_T3_T4_T5_mT6_T7_P12ihipStream_tbENKUlT_T0_E_clISt17integral_constantIbLb1EESZ_EEDaSU_SV_EUlSU_E_NS1_11comp_targetILNS1_3genE0ELNS1_11target_archE4294967295ELNS1_3gpuE0ELNS1_3repE0EEENS1_30default_config_static_selectorELNS0_4arch9wavefront6targetE0EEEvT1_.uses_vcc, 0
	.set _ZN7rocprim17ROCPRIM_400000_NS6detail17trampoline_kernelINS0_14default_configENS1_27scan_by_key_config_selectorIssEEZZNS1_16scan_by_key_implILNS1_25lookback_scan_determinismE0ELb1ES3_N6thrust23THRUST_200600_302600_NS6detail15normal_iteratorINS9_10device_ptrIsEEEESE_SE_sNS9_4plusIvEENS9_8equal_toIsEEsEE10hipError_tPvRmT2_T3_T4_T5_mT6_T7_P12ihipStream_tbENKUlT_T0_E_clISt17integral_constantIbLb1EESZ_EEDaSU_SV_EUlSU_E_NS1_11comp_targetILNS1_3genE0ELNS1_11target_archE4294967295ELNS1_3gpuE0ELNS1_3repE0EEENS1_30default_config_static_selectorELNS0_4arch9wavefront6targetE0EEEvT1_.uses_flat_scratch, 0
	.set _ZN7rocprim17ROCPRIM_400000_NS6detail17trampoline_kernelINS0_14default_configENS1_27scan_by_key_config_selectorIssEEZZNS1_16scan_by_key_implILNS1_25lookback_scan_determinismE0ELb1ES3_N6thrust23THRUST_200600_302600_NS6detail15normal_iteratorINS9_10device_ptrIsEEEESE_SE_sNS9_4plusIvEENS9_8equal_toIsEEsEE10hipError_tPvRmT2_T3_T4_T5_mT6_T7_P12ihipStream_tbENKUlT_T0_E_clISt17integral_constantIbLb1EESZ_EEDaSU_SV_EUlSU_E_NS1_11comp_targetILNS1_3genE0ELNS1_11target_archE4294967295ELNS1_3gpuE0ELNS1_3repE0EEENS1_30default_config_static_selectorELNS0_4arch9wavefront6targetE0EEEvT1_.has_dyn_sized_stack, 0
	.set _ZN7rocprim17ROCPRIM_400000_NS6detail17trampoline_kernelINS0_14default_configENS1_27scan_by_key_config_selectorIssEEZZNS1_16scan_by_key_implILNS1_25lookback_scan_determinismE0ELb1ES3_N6thrust23THRUST_200600_302600_NS6detail15normal_iteratorINS9_10device_ptrIsEEEESE_SE_sNS9_4plusIvEENS9_8equal_toIsEEsEE10hipError_tPvRmT2_T3_T4_T5_mT6_T7_P12ihipStream_tbENKUlT_T0_E_clISt17integral_constantIbLb1EESZ_EEDaSU_SV_EUlSU_E_NS1_11comp_targetILNS1_3genE0ELNS1_11target_archE4294967295ELNS1_3gpuE0ELNS1_3repE0EEENS1_30default_config_static_selectorELNS0_4arch9wavefront6targetE0EEEvT1_.has_recursion, 0
	.set _ZN7rocprim17ROCPRIM_400000_NS6detail17trampoline_kernelINS0_14default_configENS1_27scan_by_key_config_selectorIssEEZZNS1_16scan_by_key_implILNS1_25lookback_scan_determinismE0ELb1ES3_N6thrust23THRUST_200600_302600_NS6detail15normal_iteratorINS9_10device_ptrIsEEEESE_SE_sNS9_4plusIvEENS9_8equal_toIsEEsEE10hipError_tPvRmT2_T3_T4_T5_mT6_T7_P12ihipStream_tbENKUlT_T0_E_clISt17integral_constantIbLb1EESZ_EEDaSU_SV_EUlSU_E_NS1_11comp_targetILNS1_3genE0ELNS1_11target_archE4294967295ELNS1_3gpuE0ELNS1_3repE0EEENS1_30default_config_static_selectorELNS0_4arch9wavefront6targetE0EEEvT1_.has_indirect_call, 0
	.section	.AMDGPU.csdata,"",@progbits
; Kernel info:
; codeLenInByte = 4
; TotalNumSgprs: 0
; NumVgprs: 0
; ScratchSize: 0
; MemoryBound: 0
; FloatMode: 240
; IeeeMode: 1
; LDSByteSize: 0 bytes/workgroup (compile time only)
; SGPRBlocks: 0
; VGPRBlocks: 0
; NumSGPRsForWavesPerEU: 1
; NumVGPRsForWavesPerEU: 1
; NamedBarCnt: 0
; Occupancy: 16
; WaveLimiterHint : 0
; COMPUTE_PGM_RSRC2:SCRATCH_EN: 0
; COMPUTE_PGM_RSRC2:USER_SGPR: 2
; COMPUTE_PGM_RSRC2:TRAP_HANDLER: 0
; COMPUTE_PGM_RSRC2:TGID_X_EN: 1
; COMPUTE_PGM_RSRC2:TGID_Y_EN: 0
; COMPUTE_PGM_RSRC2:TGID_Z_EN: 0
; COMPUTE_PGM_RSRC2:TIDIG_COMP_CNT: 0
	.section	.text._ZN7rocprim17ROCPRIM_400000_NS6detail17trampoline_kernelINS0_14default_configENS1_27scan_by_key_config_selectorIssEEZZNS1_16scan_by_key_implILNS1_25lookback_scan_determinismE0ELb1ES3_N6thrust23THRUST_200600_302600_NS6detail15normal_iteratorINS9_10device_ptrIsEEEESE_SE_sNS9_4plusIvEENS9_8equal_toIsEEsEE10hipError_tPvRmT2_T3_T4_T5_mT6_T7_P12ihipStream_tbENKUlT_T0_E_clISt17integral_constantIbLb1EESZ_EEDaSU_SV_EUlSU_E_NS1_11comp_targetILNS1_3genE10ELNS1_11target_archE1201ELNS1_3gpuE5ELNS1_3repE0EEENS1_30default_config_static_selectorELNS0_4arch9wavefront6targetE0EEEvT1_,"axG",@progbits,_ZN7rocprim17ROCPRIM_400000_NS6detail17trampoline_kernelINS0_14default_configENS1_27scan_by_key_config_selectorIssEEZZNS1_16scan_by_key_implILNS1_25lookback_scan_determinismE0ELb1ES3_N6thrust23THRUST_200600_302600_NS6detail15normal_iteratorINS9_10device_ptrIsEEEESE_SE_sNS9_4plusIvEENS9_8equal_toIsEEsEE10hipError_tPvRmT2_T3_T4_T5_mT6_T7_P12ihipStream_tbENKUlT_T0_E_clISt17integral_constantIbLb1EESZ_EEDaSU_SV_EUlSU_E_NS1_11comp_targetILNS1_3genE10ELNS1_11target_archE1201ELNS1_3gpuE5ELNS1_3repE0EEENS1_30default_config_static_selectorELNS0_4arch9wavefront6targetE0EEEvT1_,comdat
	.protected	_ZN7rocprim17ROCPRIM_400000_NS6detail17trampoline_kernelINS0_14default_configENS1_27scan_by_key_config_selectorIssEEZZNS1_16scan_by_key_implILNS1_25lookback_scan_determinismE0ELb1ES3_N6thrust23THRUST_200600_302600_NS6detail15normal_iteratorINS9_10device_ptrIsEEEESE_SE_sNS9_4plusIvEENS9_8equal_toIsEEsEE10hipError_tPvRmT2_T3_T4_T5_mT6_T7_P12ihipStream_tbENKUlT_T0_E_clISt17integral_constantIbLb1EESZ_EEDaSU_SV_EUlSU_E_NS1_11comp_targetILNS1_3genE10ELNS1_11target_archE1201ELNS1_3gpuE5ELNS1_3repE0EEENS1_30default_config_static_selectorELNS0_4arch9wavefront6targetE0EEEvT1_ ; -- Begin function _ZN7rocprim17ROCPRIM_400000_NS6detail17trampoline_kernelINS0_14default_configENS1_27scan_by_key_config_selectorIssEEZZNS1_16scan_by_key_implILNS1_25lookback_scan_determinismE0ELb1ES3_N6thrust23THRUST_200600_302600_NS6detail15normal_iteratorINS9_10device_ptrIsEEEESE_SE_sNS9_4plusIvEENS9_8equal_toIsEEsEE10hipError_tPvRmT2_T3_T4_T5_mT6_T7_P12ihipStream_tbENKUlT_T0_E_clISt17integral_constantIbLb1EESZ_EEDaSU_SV_EUlSU_E_NS1_11comp_targetILNS1_3genE10ELNS1_11target_archE1201ELNS1_3gpuE5ELNS1_3repE0EEENS1_30default_config_static_selectorELNS0_4arch9wavefront6targetE0EEEvT1_
	.globl	_ZN7rocprim17ROCPRIM_400000_NS6detail17trampoline_kernelINS0_14default_configENS1_27scan_by_key_config_selectorIssEEZZNS1_16scan_by_key_implILNS1_25lookback_scan_determinismE0ELb1ES3_N6thrust23THRUST_200600_302600_NS6detail15normal_iteratorINS9_10device_ptrIsEEEESE_SE_sNS9_4plusIvEENS9_8equal_toIsEEsEE10hipError_tPvRmT2_T3_T4_T5_mT6_T7_P12ihipStream_tbENKUlT_T0_E_clISt17integral_constantIbLb1EESZ_EEDaSU_SV_EUlSU_E_NS1_11comp_targetILNS1_3genE10ELNS1_11target_archE1201ELNS1_3gpuE5ELNS1_3repE0EEENS1_30default_config_static_selectorELNS0_4arch9wavefront6targetE0EEEvT1_
	.p2align	8
	.type	_ZN7rocprim17ROCPRIM_400000_NS6detail17trampoline_kernelINS0_14default_configENS1_27scan_by_key_config_selectorIssEEZZNS1_16scan_by_key_implILNS1_25lookback_scan_determinismE0ELb1ES3_N6thrust23THRUST_200600_302600_NS6detail15normal_iteratorINS9_10device_ptrIsEEEESE_SE_sNS9_4plusIvEENS9_8equal_toIsEEsEE10hipError_tPvRmT2_T3_T4_T5_mT6_T7_P12ihipStream_tbENKUlT_T0_E_clISt17integral_constantIbLb1EESZ_EEDaSU_SV_EUlSU_E_NS1_11comp_targetILNS1_3genE10ELNS1_11target_archE1201ELNS1_3gpuE5ELNS1_3repE0EEENS1_30default_config_static_selectorELNS0_4arch9wavefront6targetE0EEEvT1_,@function
_ZN7rocprim17ROCPRIM_400000_NS6detail17trampoline_kernelINS0_14default_configENS1_27scan_by_key_config_selectorIssEEZZNS1_16scan_by_key_implILNS1_25lookback_scan_determinismE0ELb1ES3_N6thrust23THRUST_200600_302600_NS6detail15normal_iteratorINS9_10device_ptrIsEEEESE_SE_sNS9_4plusIvEENS9_8equal_toIsEEsEE10hipError_tPvRmT2_T3_T4_T5_mT6_T7_P12ihipStream_tbENKUlT_T0_E_clISt17integral_constantIbLb1EESZ_EEDaSU_SV_EUlSU_E_NS1_11comp_targetILNS1_3genE10ELNS1_11target_archE1201ELNS1_3gpuE5ELNS1_3repE0EEENS1_30default_config_static_selectorELNS0_4arch9wavefront6targetE0EEEvT1_: ; @_ZN7rocprim17ROCPRIM_400000_NS6detail17trampoline_kernelINS0_14default_configENS1_27scan_by_key_config_selectorIssEEZZNS1_16scan_by_key_implILNS1_25lookback_scan_determinismE0ELb1ES3_N6thrust23THRUST_200600_302600_NS6detail15normal_iteratorINS9_10device_ptrIsEEEESE_SE_sNS9_4plusIvEENS9_8equal_toIsEEsEE10hipError_tPvRmT2_T3_T4_T5_mT6_T7_P12ihipStream_tbENKUlT_T0_E_clISt17integral_constantIbLb1EESZ_EEDaSU_SV_EUlSU_E_NS1_11comp_targetILNS1_3genE10ELNS1_11target_archE1201ELNS1_3gpuE5ELNS1_3repE0EEENS1_30default_config_static_selectorELNS0_4arch9wavefront6targetE0EEEvT1_
; %bb.0:
	.section	.rodata,"a",@progbits
	.p2align	6, 0x0
	.amdhsa_kernel _ZN7rocprim17ROCPRIM_400000_NS6detail17trampoline_kernelINS0_14default_configENS1_27scan_by_key_config_selectorIssEEZZNS1_16scan_by_key_implILNS1_25lookback_scan_determinismE0ELb1ES3_N6thrust23THRUST_200600_302600_NS6detail15normal_iteratorINS9_10device_ptrIsEEEESE_SE_sNS9_4plusIvEENS9_8equal_toIsEEsEE10hipError_tPvRmT2_T3_T4_T5_mT6_T7_P12ihipStream_tbENKUlT_T0_E_clISt17integral_constantIbLb1EESZ_EEDaSU_SV_EUlSU_E_NS1_11comp_targetILNS1_3genE10ELNS1_11target_archE1201ELNS1_3gpuE5ELNS1_3repE0EEENS1_30default_config_static_selectorELNS0_4arch9wavefront6targetE0EEEvT1_
		.amdhsa_group_segment_fixed_size 0
		.amdhsa_private_segment_fixed_size 0
		.amdhsa_kernarg_size 112
		.amdhsa_user_sgpr_count 2
		.amdhsa_user_sgpr_dispatch_ptr 0
		.amdhsa_user_sgpr_queue_ptr 0
		.amdhsa_user_sgpr_kernarg_segment_ptr 1
		.amdhsa_user_sgpr_dispatch_id 0
		.amdhsa_user_sgpr_kernarg_preload_length 0
		.amdhsa_user_sgpr_kernarg_preload_offset 0
		.amdhsa_user_sgpr_private_segment_size 0
		.amdhsa_wavefront_size32 1
		.amdhsa_uses_dynamic_stack 0
		.amdhsa_enable_private_segment 0
		.amdhsa_system_sgpr_workgroup_id_x 1
		.amdhsa_system_sgpr_workgroup_id_y 0
		.amdhsa_system_sgpr_workgroup_id_z 0
		.amdhsa_system_sgpr_workgroup_info 0
		.amdhsa_system_vgpr_workitem_id 0
		.amdhsa_next_free_vgpr 1
		.amdhsa_next_free_sgpr 1
		.amdhsa_named_barrier_count 0
		.amdhsa_reserve_vcc 0
		.amdhsa_float_round_mode_32 0
		.amdhsa_float_round_mode_16_64 0
		.amdhsa_float_denorm_mode_32 3
		.amdhsa_float_denorm_mode_16_64 3
		.amdhsa_fp16_overflow 0
		.amdhsa_memory_ordered 1
		.amdhsa_forward_progress 1
		.amdhsa_inst_pref_size 0
		.amdhsa_round_robin_scheduling 0
		.amdhsa_exception_fp_ieee_invalid_op 0
		.amdhsa_exception_fp_denorm_src 0
		.amdhsa_exception_fp_ieee_div_zero 0
		.amdhsa_exception_fp_ieee_overflow 0
		.amdhsa_exception_fp_ieee_underflow 0
		.amdhsa_exception_fp_ieee_inexact 0
		.amdhsa_exception_int_div_zero 0
	.end_amdhsa_kernel
	.section	.text._ZN7rocprim17ROCPRIM_400000_NS6detail17trampoline_kernelINS0_14default_configENS1_27scan_by_key_config_selectorIssEEZZNS1_16scan_by_key_implILNS1_25lookback_scan_determinismE0ELb1ES3_N6thrust23THRUST_200600_302600_NS6detail15normal_iteratorINS9_10device_ptrIsEEEESE_SE_sNS9_4plusIvEENS9_8equal_toIsEEsEE10hipError_tPvRmT2_T3_T4_T5_mT6_T7_P12ihipStream_tbENKUlT_T0_E_clISt17integral_constantIbLb1EESZ_EEDaSU_SV_EUlSU_E_NS1_11comp_targetILNS1_3genE10ELNS1_11target_archE1201ELNS1_3gpuE5ELNS1_3repE0EEENS1_30default_config_static_selectorELNS0_4arch9wavefront6targetE0EEEvT1_,"axG",@progbits,_ZN7rocprim17ROCPRIM_400000_NS6detail17trampoline_kernelINS0_14default_configENS1_27scan_by_key_config_selectorIssEEZZNS1_16scan_by_key_implILNS1_25lookback_scan_determinismE0ELb1ES3_N6thrust23THRUST_200600_302600_NS6detail15normal_iteratorINS9_10device_ptrIsEEEESE_SE_sNS9_4plusIvEENS9_8equal_toIsEEsEE10hipError_tPvRmT2_T3_T4_T5_mT6_T7_P12ihipStream_tbENKUlT_T0_E_clISt17integral_constantIbLb1EESZ_EEDaSU_SV_EUlSU_E_NS1_11comp_targetILNS1_3genE10ELNS1_11target_archE1201ELNS1_3gpuE5ELNS1_3repE0EEENS1_30default_config_static_selectorELNS0_4arch9wavefront6targetE0EEEvT1_,comdat
.Lfunc_end651:
	.size	_ZN7rocprim17ROCPRIM_400000_NS6detail17trampoline_kernelINS0_14default_configENS1_27scan_by_key_config_selectorIssEEZZNS1_16scan_by_key_implILNS1_25lookback_scan_determinismE0ELb1ES3_N6thrust23THRUST_200600_302600_NS6detail15normal_iteratorINS9_10device_ptrIsEEEESE_SE_sNS9_4plusIvEENS9_8equal_toIsEEsEE10hipError_tPvRmT2_T3_T4_T5_mT6_T7_P12ihipStream_tbENKUlT_T0_E_clISt17integral_constantIbLb1EESZ_EEDaSU_SV_EUlSU_E_NS1_11comp_targetILNS1_3genE10ELNS1_11target_archE1201ELNS1_3gpuE5ELNS1_3repE0EEENS1_30default_config_static_selectorELNS0_4arch9wavefront6targetE0EEEvT1_, .Lfunc_end651-_ZN7rocprim17ROCPRIM_400000_NS6detail17trampoline_kernelINS0_14default_configENS1_27scan_by_key_config_selectorIssEEZZNS1_16scan_by_key_implILNS1_25lookback_scan_determinismE0ELb1ES3_N6thrust23THRUST_200600_302600_NS6detail15normal_iteratorINS9_10device_ptrIsEEEESE_SE_sNS9_4plusIvEENS9_8equal_toIsEEsEE10hipError_tPvRmT2_T3_T4_T5_mT6_T7_P12ihipStream_tbENKUlT_T0_E_clISt17integral_constantIbLb1EESZ_EEDaSU_SV_EUlSU_E_NS1_11comp_targetILNS1_3genE10ELNS1_11target_archE1201ELNS1_3gpuE5ELNS1_3repE0EEENS1_30default_config_static_selectorELNS0_4arch9wavefront6targetE0EEEvT1_
                                        ; -- End function
	.set _ZN7rocprim17ROCPRIM_400000_NS6detail17trampoline_kernelINS0_14default_configENS1_27scan_by_key_config_selectorIssEEZZNS1_16scan_by_key_implILNS1_25lookback_scan_determinismE0ELb1ES3_N6thrust23THRUST_200600_302600_NS6detail15normal_iteratorINS9_10device_ptrIsEEEESE_SE_sNS9_4plusIvEENS9_8equal_toIsEEsEE10hipError_tPvRmT2_T3_T4_T5_mT6_T7_P12ihipStream_tbENKUlT_T0_E_clISt17integral_constantIbLb1EESZ_EEDaSU_SV_EUlSU_E_NS1_11comp_targetILNS1_3genE10ELNS1_11target_archE1201ELNS1_3gpuE5ELNS1_3repE0EEENS1_30default_config_static_selectorELNS0_4arch9wavefront6targetE0EEEvT1_.num_vgpr, 0
	.set _ZN7rocprim17ROCPRIM_400000_NS6detail17trampoline_kernelINS0_14default_configENS1_27scan_by_key_config_selectorIssEEZZNS1_16scan_by_key_implILNS1_25lookback_scan_determinismE0ELb1ES3_N6thrust23THRUST_200600_302600_NS6detail15normal_iteratorINS9_10device_ptrIsEEEESE_SE_sNS9_4plusIvEENS9_8equal_toIsEEsEE10hipError_tPvRmT2_T3_T4_T5_mT6_T7_P12ihipStream_tbENKUlT_T0_E_clISt17integral_constantIbLb1EESZ_EEDaSU_SV_EUlSU_E_NS1_11comp_targetILNS1_3genE10ELNS1_11target_archE1201ELNS1_3gpuE5ELNS1_3repE0EEENS1_30default_config_static_selectorELNS0_4arch9wavefront6targetE0EEEvT1_.num_agpr, 0
	.set _ZN7rocprim17ROCPRIM_400000_NS6detail17trampoline_kernelINS0_14default_configENS1_27scan_by_key_config_selectorIssEEZZNS1_16scan_by_key_implILNS1_25lookback_scan_determinismE0ELb1ES3_N6thrust23THRUST_200600_302600_NS6detail15normal_iteratorINS9_10device_ptrIsEEEESE_SE_sNS9_4plusIvEENS9_8equal_toIsEEsEE10hipError_tPvRmT2_T3_T4_T5_mT6_T7_P12ihipStream_tbENKUlT_T0_E_clISt17integral_constantIbLb1EESZ_EEDaSU_SV_EUlSU_E_NS1_11comp_targetILNS1_3genE10ELNS1_11target_archE1201ELNS1_3gpuE5ELNS1_3repE0EEENS1_30default_config_static_selectorELNS0_4arch9wavefront6targetE0EEEvT1_.numbered_sgpr, 0
	.set _ZN7rocprim17ROCPRIM_400000_NS6detail17trampoline_kernelINS0_14default_configENS1_27scan_by_key_config_selectorIssEEZZNS1_16scan_by_key_implILNS1_25lookback_scan_determinismE0ELb1ES3_N6thrust23THRUST_200600_302600_NS6detail15normal_iteratorINS9_10device_ptrIsEEEESE_SE_sNS9_4plusIvEENS9_8equal_toIsEEsEE10hipError_tPvRmT2_T3_T4_T5_mT6_T7_P12ihipStream_tbENKUlT_T0_E_clISt17integral_constantIbLb1EESZ_EEDaSU_SV_EUlSU_E_NS1_11comp_targetILNS1_3genE10ELNS1_11target_archE1201ELNS1_3gpuE5ELNS1_3repE0EEENS1_30default_config_static_selectorELNS0_4arch9wavefront6targetE0EEEvT1_.num_named_barrier, 0
	.set _ZN7rocprim17ROCPRIM_400000_NS6detail17trampoline_kernelINS0_14default_configENS1_27scan_by_key_config_selectorIssEEZZNS1_16scan_by_key_implILNS1_25lookback_scan_determinismE0ELb1ES3_N6thrust23THRUST_200600_302600_NS6detail15normal_iteratorINS9_10device_ptrIsEEEESE_SE_sNS9_4plusIvEENS9_8equal_toIsEEsEE10hipError_tPvRmT2_T3_T4_T5_mT6_T7_P12ihipStream_tbENKUlT_T0_E_clISt17integral_constantIbLb1EESZ_EEDaSU_SV_EUlSU_E_NS1_11comp_targetILNS1_3genE10ELNS1_11target_archE1201ELNS1_3gpuE5ELNS1_3repE0EEENS1_30default_config_static_selectorELNS0_4arch9wavefront6targetE0EEEvT1_.private_seg_size, 0
	.set _ZN7rocprim17ROCPRIM_400000_NS6detail17trampoline_kernelINS0_14default_configENS1_27scan_by_key_config_selectorIssEEZZNS1_16scan_by_key_implILNS1_25lookback_scan_determinismE0ELb1ES3_N6thrust23THRUST_200600_302600_NS6detail15normal_iteratorINS9_10device_ptrIsEEEESE_SE_sNS9_4plusIvEENS9_8equal_toIsEEsEE10hipError_tPvRmT2_T3_T4_T5_mT6_T7_P12ihipStream_tbENKUlT_T0_E_clISt17integral_constantIbLb1EESZ_EEDaSU_SV_EUlSU_E_NS1_11comp_targetILNS1_3genE10ELNS1_11target_archE1201ELNS1_3gpuE5ELNS1_3repE0EEENS1_30default_config_static_selectorELNS0_4arch9wavefront6targetE0EEEvT1_.uses_vcc, 0
	.set _ZN7rocprim17ROCPRIM_400000_NS6detail17trampoline_kernelINS0_14default_configENS1_27scan_by_key_config_selectorIssEEZZNS1_16scan_by_key_implILNS1_25lookback_scan_determinismE0ELb1ES3_N6thrust23THRUST_200600_302600_NS6detail15normal_iteratorINS9_10device_ptrIsEEEESE_SE_sNS9_4plusIvEENS9_8equal_toIsEEsEE10hipError_tPvRmT2_T3_T4_T5_mT6_T7_P12ihipStream_tbENKUlT_T0_E_clISt17integral_constantIbLb1EESZ_EEDaSU_SV_EUlSU_E_NS1_11comp_targetILNS1_3genE10ELNS1_11target_archE1201ELNS1_3gpuE5ELNS1_3repE0EEENS1_30default_config_static_selectorELNS0_4arch9wavefront6targetE0EEEvT1_.uses_flat_scratch, 0
	.set _ZN7rocprim17ROCPRIM_400000_NS6detail17trampoline_kernelINS0_14default_configENS1_27scan_by_key_config_selectorIssEEZZNS1_16scan_by_key_implILNS1_25lookback_scan_determinismE0ELb1ES3_N6thrust23THRUST_200600_302600_NS6detail15normal_iteratorINS9_10device_ptrIsEEEESE_SE_sNS9_4plusIvEENS9_8equal_toIsEEsEE10hipError_tPvRmT2_T3_T4_T5_mT6_T7_P12ihipStream_tbENKUlT_T0_E_clISt17integral_constantIbLb1EESZ_EEDaSU_SV_EUlSU_E_NS1_11comp_targetILNS1_3genE10ELNS1_11target_archE1201ELNS1_3gpuE5ELNS1_3repE0EEENS1_30default_config_static_selectorELNS0_4arch9wavefront6targetE0EEEvT1_.has_dyn_sized_stack, 0
	.set _ZN7rocprim17ROCPRIM_400000_NS6detail17trampoline_kernelINS0_14default_configENS1_27scan_by_key_config_selectorIssEEZZNS1_16scan_by_key_implILNS1_25lookback_scan_determinismE0ELb1ES3_N6thrust23THRUST_200600_302600_NS6detail15normal_iteratorINS9_10device_ptrIsEEEESE_SE_sNS9_4plusIvEENS9_8equal_toIsEEsEE10hipError_tPvRmT2_T3_T4_T5_mT6_T7_P12ihipStream_tbENKUlT_T0_E_clISt17integral_constantIbLb1EESZ_EEDaSU_SV_EUlSU_E_NS1_11comp_targetILNS1_3genE10ELNS1_11target_archE1201ELNS1_3gpuE5ELNS1_3repE0EEENS1_30default_config_static_selectorELNS0_4arch9wavefront6targetE0EEEvT1_.has_recursion, 0
	.set _ZN7rocprim17ROCPRIM_400000_NS6detail17trampoline_kernelINS0_14default_configENS1_27scan_by_key_config_selectorIssEEZZNS1_16scan_by_key_implILNS1_25lookback_scan_determinismE0ELb1ES3_N6thrust23THRUST_200600_302600_NS6detail15normal_iteratorINS9_10device_ptrIsEEEESE_SE_sNS9_4plusIvEENS9_8equal_toIsEEsEE10hipError_tPvRmT2_T3_T4_T5_mT6_T7_P12ihipStream_tbENKUlT_T0_E_clISt17integral_constantIbLb1EESZ_EEDaSU_SV_EUlSU_E_NS1_11comp_targetILNS1_3genE10ELNS1_11target_archE1201ELNS1_3gpuE5ELNS1_3repE0EEENS1_30default_config_static_selectorELNS0_4arch9wavefront6targetE0EEEvT1_.has_indirect_call, 0
	.section	.AMDGPU.csdata,"",@progbits
; Kernel info:
; codeLenInByte = 0
; TotalNumSgprs: 0
; NumVgprs: 0
; ScratchSize: 0
; MemoryBound: 0
; FloatMode: 240
; IeeeMode: 1
; LDSByteSize: 0 bytes/workgroup (compile time only)
; SGPRBlocks: 0
; VGPRBlocks: 0
; NumSGPRsForWavesPerEU: 1
; NumVGPRsForWavesPerEU: 1
; NamedBarCnt: 0
; Occupancy: 16
; WaveLimiterHint : 0
; COMPUTE_PGM_RSRC2:SCRATCH_EN: 0
; COMPUTE_PGM_RSRC2:USER_SGPR: 2
; COMPUTE_PGM_RSRC2:TRAP_HANDLER: 0
; COMPUTE_PGM_RSRC2:TGID_X_EN: 1
; COMPUTE_PGM_RSRC2:TGID_Y_EN: 0
; COMPUTE_PGM_RSRC2:TGID_Z_EN: 0
; COMPUTE_PGM_RSRC2:TIDIG_COMP_CNT: 0
	.section	.text._ZN7rocprim17ROCPRIM_400000_NS6detail17trampoline_kernelINS0_14default_configENS1_27scan_by_key_config_selectorIssEEZZNS1_16scan_by_key_implILNS1_25lookback_scan_determinismE0ELb1ES3_N6thrust23THRUST_200600_302600_NS6detail15normal_iteratorINS9_10device_ptrIsEEEESE_SE_sNS9_4plusIvEENS9_8equal_toIsEEsEE10hipError_tPvRmT2_T3_T4_T5_mT6_T7_P12ihipStream_tbENKUlT_T0_E_clISt17integral_constantIbLb1EESZ_EEDaSU_SV_EUlSU_E_NS1_11comp_targetILNS1_3genE5ELNS1_11target_archE942ELNS1_3gpuE9ELNS1_3repE0EEENS1_30default_config_static_selectorELNS0_4arch9wavefront6targetE0EEEvT1_,"axG",@progbits,_ZN7rocprim17ROCPRIM_400000_NS6detail17trampoline_kernelINS0_14default_configENS1_27scan_by_key_config_selectorIssEEZZNS1_16scan_by_key_implILNS1_25lookback_scan_determinismE0ELb1ES3_N6thrust23THRUST_200600_302600_NS6detail15normal_iteratorINS9_10device_ptrIsEEEESE_SE_sNS9_4plusIvEENS9_8equal_toIsEEsEE10hipError_tPvRmT2_T3_T4_T5_mT6_T7_P12ihipStream_tbENKUlT_T0_E_clISt17integral_constantIbLb1EESZ_EEDaSU_SV_EUlSU_E_NS1_11comp_targetILNS1_3genE5ELNS1_11target_archE942ELNS1_3gpuE9ELNS1_3repE0EEENS1_30default_config_static_selectorELNS0_4arch9wavefront6targetE0EEEvT1_,comdat
	.protected	_ZN7rocprim17ROCPRIM_400000_NS6detail17trampoline_kernelINS0_14default_configENS1_27scan_by_key_config_selectorIssEEZZNS1_16scan_by_key_implILNS1_25lookback_scan_determinismE0ELb1ES3_N6thrust23THRUST_200600_302600_NS6detail15normal_iteratorINS9_10device_ptrIsEEEESE_SE_sNS9_4plusIvEENS9_8equal_toIsEEsEE10hipError_tPvRmT2_T3_T4_T5_mT6_T7_P12ihipStream_tbENKUlT_T0_E_clISt17integral_constantIbLb1EESZ_EEDaSU_SV_EUlSU_E_NS1_11comp_targetILNS1_3genE5ELNS1_11target_archE942ELNS1_3gpuE9ELNS1_3repE0EEENS1_30default_config_static_selectorELNS0_4arch9wavefront6targetE0EEEvT1_ ; -- Begin function _ZN7rocprim17ROCPRIM_400000_NS6detail17trampoline_kernelINS0_14default_configENS1_27scan_by_key_config_selectorIssEEZZNS1_16scan_by_key_implILNS1_25lookback_scan_determinismE0ELb1ES3_N6thrust23THRUST_200600_302600_NS6detail15normal_iteratorINS9_10device_ptrIsEEEESE_SE_sNS9_4plusIvEENS9_8equal_toIsEEsEE10hipError_tPvRmT2_T3_T4_T5_mT6_T7_P12ihipStream_tbENKUlT_T0_E_clISt17integral_constantIbLb1EESZ_EEDaSU_SV_EUlSU_E_NS1_11comp_targetILNS1_3genE5ELNS1_11target_archE942ELNS1_3gpuE9ELNS1_3repE0EEENS1_30default_config_static_selectorELNS0_4arch9wavefront6targetE0EEEvT1_
	.globl	_ZN7rocprim17ROCPRIM_400000_NS6detail17trampoline_kernelINS0_14default_configENS1_27scan_by_key_config_selectorIssEEZZNS1_16scan_by_key_implILNS1_25lookback_scan_determinismE0ELb1ES3_N6thrust23THRUST_200600_302600_NS6detail15normal_iteratorINS9_10device_ptrIsEEEESE_SE_sNS9_4plusIvEENS9_8equal_toIsEEsEE10hipError_tPvRmT2_T3_T4_T5_mT6_T7_P12ihipStream_tbENKUlT_T0_E_clISt17integral_constantIbLb1EESZ_EEDaSU_SV_EUlSU_E_NS1_11comp_targetILNS1_3genE5ELNS1_11target_archE942ELNS1_3gpuE9ELNS1_3repE0EEENS1_30default_config_static_selectorELNS0_4arch9wavefront6targetE0EEEvT1_
	.p2align	8
	.type	_ZN7rocprim17ROCPRIM_400000_NS6detail17trampoline_kernelINS0_14default_configENS1_27scan_by_key_config_selectorIssEEZZNS1_16scan_by_key_implILNS1_25lookback_scan_determinismE0ELb1ES3_N6thrust23THRUST_200600_302600_NS6detail15normal_iteratorINS9_10device_ptrIsEEEESE_SE_sNS9_4plusIvEENS9_8equal_toIsEEsEE10hipError_tPvRmT2_T3_T4_T5_mT6_T7_P12ihipStream_tbENKUlT_T0_E_clISt17integral_constantIbLb1EESZ_EEDaSU_SV_EUlSU_E_NS1_11comp_targetILNS1_3genE5ELNS1_11target_archE942ELNS1_3gpuE9ELNS1_3repE0EEENS1_30default_config_static_selectorELNS0_4arch9wavefront6targetE0EEEvT1_,@function
_ZN7rocprim17ROCPRIM_400000_NS6detail17trampoline_kernelINS0_14default_configENS1_27scan_by_key_config_selectorIssEEZZNS1_16scan_by_key_implILNS1_25lookback_scan_determinismE0ELb1ES3_N6thrust23THRUST_200600_302600_NS6detail15normal_iteratorINS9_10device_ptrIsEEEESE_SE_sNS9_4plusIvEENS9_8equal_toIsEEsEE10hipError_tPvRmT2_T3_T4_T5_mT6_T7_P12ihipStream_tbENKUlT_T0_E_clISt17integral_constantIbLb1EESZ_EEDaSU_SV_EUlSU_E_NS1_11comp_targetILNS1_3genE5ELNS1_11target_archE942ELNS1_3gpuE9ELNS1_3repE0EEENS1_30default_config_static_selectorELNS0_4arch9wavefront6targetE0EEEvT1_: ; @_ZN7rocprim17ROCPRIM_400000_NS6detail17trampoline_kernelINS0_14default_configENS1_27scan_by_key_config_selectorIssEEZZNS1_16scan_by_key_implILNS1_25lookback_scan_determinismE0ELb1ES3_N6thrust23THRUST_200600_302600_NS6detail15normal_iteratorINS9_10device_ptrIsEEEESE_SE_sNS9_4plusIvEENS9_8equal_toIsEEsEE10hipError_tPvRmT2_T3_T4_T5_mT6_T7_P12ihipStream_tbENKUlT_T0_E_clISt17integral_constantIbLb1EESZ_EEDaSU_SV_EUlSU_E_NS1_11comp_targetILNS1_3genE5ELNS1_11target_archE942ELNS1_3gpuE9ELNS1_3repE0EEENS1_30default_config_static_selectorELNS0_4arch9wavefront6targetE0EEEvT1_
; %bb.0:
	.section	.rodata,"a",@progbits
	.p2align	6, 0x0
	.amdhsa_kernel _ZN7rocprim17ROCPRIM_400000_NS6detail17trampoline_kernelINS0_14default_configENS1_27scan_by_key_config_selectorIssEEZZNS1_16scan_by_key_implILNS1_25lookback_scan_determinismE0ELb1ES3_N6thrust23THRUST_200600_302600_NS6detail15normal_iteratorINS9_10device_ptrIsEEEESE_SE_sNS9_4plusIvEENS9_8equal_toIsEEsEE10hipError_tPvRmT2_T3_T4_T5_mT6_T7_P12ihipStream_tbENKUlT_T0_E_clISt17integral_constantIbLb1EESZ_EEDaSU_SV_EUlSU_E_NS1_11comp_targetILNS1_3genE5ELNS1_11target_archE942ELNS1_3gpuE9ELNS1_3repE0EEENS1_30default_config_static_selectorELNS0_4arch9wavefront6targetE0EEEvT1_
		.amdhsa_group_segment_fixed_size 0
		.amdhsa_private_segment_fixed_size 0
		.amdhsa_kernarg_size 112
		.amdhsa_user_sgpr_count 2
		.amdhsa_user_sgpr_dispatch_ptr 0
		.amdhsa_user_sgpr_queue_ptr 0
		.amdhsa_user_sgpr_kernarg_segment_ptr 1
		.amdhsa_user_sgpr_dispatch_id 0
		.amdhsa_user_sgpr_kernarg_preload_length 0
		.amdhsa_user_sgpr_kernarg_preload_offset 0
		.amdhsa_user_sgpr_private_segment_size 0
		.amdhsa_wavefront_size32 1
		.amdhsa_uses_dynamic_stack 0
		.amdhsa_enable_private_segment 0
		.amdhsa_system_sgpr_workgroup_id_x 1
		.amdhsa_system_sgpr_workgroup_id_y 0
		.amdhsa_system_sgpr_workgroup_id_z 0
		.amdhsa_system_sgpr_workgroup_info 0
		.amdhsa_system_vgpr_workitem_id 0
		.amdhsa_next_free_vgpr 1
		.amdhsa_next_free_sgpr 1
		.amdhsa_named_barrier_count 0
		.amdhsa_reserve_vcc 0
		.amdhsa_float_round_mode_32 0
		.amdhsa_float_round_mode_16_64 0
		.amdhsa_float_denorm_mode_32 3
		.amdhsa_float_denorm_mode_16_64 3
		.amdhsa_fp16_overflow 0
		.amdhsa_memory_ordered 1
		.amdhsa_forward_progress 1
		.amdhsa_inst_pref_size 0
		.amdhsa_round_robin_scheduling 0
		.amdhsa_exception_fp_ieee_invalid_op 0
		.amdhsa_exception_fp_denorm_src 0
		.amdhsa_exception_fp_ieee_div_zero 0
		.amdhsa_exception_fp_ieee_overflow 0
		.amdhsa_exception_fp_ieee_underflow 0
		.amdhsa_exception_fp_ieee_inexact 0
		.amdhsa_exception_int_div_zero 0
	.end_amdhsa_kernel
	.section	.text._ZN7rocprim17ROCPRIM_400000_NS6detail17trampoline_kernelINS0_14default_configENS1_27scan_by_key_config_selectorIssEEZZNS1_16scan_by_key_implILNS1_25lookback_scan_determinismE0ELb1ES3_N6thrust23THRUST_200600_302600_NS6detail15normal_iteratorINS9_10device_ptrIsEEEESE_SE_sNS9_4plusIvEENS9_8equal_toIsEEsEE10hipError_tPvRmT2_T3_T4_T5_mT6_T7_P12ihipStream_tbENKUlT_T0_E_clISt17integral_constantIbLb1EESZ_EEDaSU_SV_EUlSU_E_NS1_11comp_targetILNS1_3genE5ELNS1_11target_archE942ELNS1_3gpuE9ELNS1_3repE0EEENS1_30default_config_static_selectorELNS0_4arch9wavefront6targetE0EEEvT1_,"axG",@progbits,_ZN7rocprim17ROCPRIM_400000_NS6detail17trampoline_kernelINS0_14default_configENS1_27scan_by_key_config_selectorIssEEZZNS1_16scan_by_key_implILNS1_25lookback_scan_determinismE0ELb1ES3_N6thrust23THRUST_200600_302600_NS6detail15normal_iteratorINS9_10device_ptrIsEEEESE_SE_sNS9_4plusIvEENS9_8equal_toIsEEsEE10hipError_tPvRmT2_T3_T4_T5_mT6_T7_P12ihipStream_tbENKUlT_T0_E_clISt17integral_constantIbLb1EESZ_EEDaSU_SV_EUlSU_E_NS1_11comp_targetILNS1_3genE5ELNS1_11target_archE942ELNS1_3gpuE9ELNS1_3repE0EEENS1_30default_config_static_selectorELNS0_4arch9wavefront6targetE0EEEvT1_,comdat
.Lfunc_end652:
	.size	_ZN7rocprim17ROCPRIM_400000_NS6detail17trampoline_kernelINS0_14default_configENS1_27scan_by_key_config_selectorIssEEZZNS1_16scan_by_key_implILNS1_25lookback_scan_determinismE0ELb1ES3_N6thrust23THRUST_200600_302600_NS6detail15normal_iteratorINS9_10device_ptrIsEEEESE_SE_sNS9_4plusIvEENS9_8equal_toIsEEsEE10hipError_tPvRmT2_T3_T4_T5_mT6_T7_P12ihipStream_tbENKUlT_T0_E_clISt17integral_constantIbLb1EESZ_EEDaSU_SV_EUlSU_E_NS1_11comp_targetILNS1_3genE5ELNS1_11target_archE942ELNS1_3gpuE9ELNS1_3repE0EEENS1_30default_config_static_selectorELNS0_4arch9wavefront6targetE0EEEvT1_, .Lfunc_end652-_ZN7rocprim17ROCPRIM_400000_NS6detail17trampoline_kernelINS0_14default_configENS1_27scan_by_key_config_selectorIssEEZZNS1_16scan_by_key_implILNS1_25lookback_scan_determinismE0ELb1ES3_N6thrust23THRUST_200600_302600_NS6detail15normal_iteratorINS9_10device_ptrIsEEEESE_SE_sNS9_4plusIvEENS9_8equal_toIsEEsEE10hipError_tPvRmT2_T3_T4_T5_mT6_T7_P12ihipStream_tbENKUlT_T0_E_clISt17integral_constantIbLb1EESZ_EEDaSU_SV_EUlSU_E_NS1_11comp_targetILNS1_3genE5ELNS1_11target_archE942ELNS1_3gpuE9ELNS1_3repE0EEENS1_30default_config_static_selectorELNS0_4arch9wavefront6targetE0EEEvT1_
                                        ; -- End function
	.set _ZN7rocprim17ROCPRIM_400000_NS6detail17trampoline_kernelINS0_14default_configENS1_27scan_by_key_config_selectorIssEEZZNS1_16scan_by_key_implILNS1_25lookback_scan_determinismE0ELb1ES3_N6thrust23THRUST_200600_302600_NS6detail15normal_iteratorINS9_10device_ptrIsEEEESE_SE_sNS9_4plusIvEENS9_8equal_toIsEEsEE10hipError_tPvRmT2_T3_T4_T5_mT6_T7_P12ihipStream_tbENKUlT_T0_E_clISt17integral_constantIbLb1EESZ_EEDaSU_SV_EUlSU_E_NS1_11comp_targetILNS1_3genE5ELNS1_11target_archE942ELNS1_3gpuE9ELNS1_3repE0EEENS1_30default_config_static_selectorELNS0_4arch9wavefront6targetE0EEEvT1_.num_vgpr, 0
	.set _ZN7rocprim17ROCPRIM_400000_NS6detail17trampoline_kernelINS0_14default_configENS1_27scan_by_key_config_selectorIssEEZZNS1_16scan_by_key_implILNS1_25lookback_scan_determinismE0ELb1ES3_N6thrust23THRUST_200600_302600_NS6detail15normal_iteratorINS9_10device_ptrIsEEEESE_SE_sNS9_4plusIvEENS9_8equal_toIsEEsEE10hipError_tPvRmT2_T3_T4_T5_mT6_T7_P12ihipStream_tbENKUlT_T0_E_clISt17integral_constantIbLb1EESZ_EEDaSU_SV_EUlSU_E_NS1_11comp_targetILNS1_3genE5ELNS1_11target_archE942ELNS1_3gpuE9ELNS1_3repE0EEENS1_30default_config_static_selectorELNS0_4arch9wavefront6targetE0EEEvT1_.num_agpr, 0
	.set _ZN7rocprim17ROCPRIM_400000_NS6detail17trampoline_kernelINS0_14default_configENS1_27scan_by_key_config_selectorIssEEZZNS1_16scan_by_key_implILNS1_25lookback_scan_determinismE0ELb1ES3_N6thrust23THRUST_200600_302600_NS6detail15normal_iteratorINS9_10device_ptrIsEEEESE_SE_sNS9_4plusIvEENS9_8equal_toIsEEsEE10hipError_tPvRmT2_T3_T4_T5_mT6_T7_P12ihipStream_tbENKUlT_T0_E_clISt17integral_constantIbLb1EESZ_EEDaSU_SV_EUlSU_E_NS1_11comp_targetILNS1_3genE5ELNS1_11target_archE942ELNS1_3gpuE9ELNS1_3repE0EEENS1_30default_config_static_selectorELNS0_4arch9wavefront6targetE0EEEvT1_.numbered_sgpr, 0
	.set _ZN7rocprim17ROCPRIM_400000_NS6detail17trampoline_kernelINS0_14default_configENS1_27scan_by_key_config_selectorIssEEZZNS1_16scan_by_key_implILNS1_25lookback_scan_determinismE0ELb1ES3_N6thrust23THRUST_200600_302600_NS6detail15normal_iteratorINS9_10device_ptrIsEEEESE_SE_sNS9_4plusIvEENS9_8equal_toIsEEsEE10hipError_tPvRmT2_T3_T4_T5_mT6_T7_P12ihipStream_tbENKUlT_T0_E_clISt17integral_constantIbLb1EESZ_EEDaSU_SV_EUlSU_E_NS1_11comp_targetILNS1_3genE5ELNS1_11target_archE942ELNS1_3gpuE9ELNS1_3repE0EEENS1_30default_config_static_selectorELNS0_4arch9wavefront6targetE0EEEvT1_.num_named_barrier, 0
	.set _ZN7rocprim17ROCPRIM_400000_NS6detail17trampoline_kernelINS0_14default_configENS1_27scan_by_key_config_selectorIssEEZZNS1_16scan_by_key_implILNS1_25lookback_scan_determinismE0ELb1ES3_N6thrust23THRUST_200600_302600_NS6detail15normal_iteratorINS9_10device_ptrIsEEEESE_SE_sNS9_4plusIvEENS9_8equal_toIsEEsEE10hipError_tPvRmT2_T3_T4_T5_mT6_T7_P12ihipStream_tbENKUlT_T0_E_clISt17integral_constantIbLb1EESZ_EEDaSU_SV_EUlSU_E_NS1_11comp_targetILNS1_3genE5ELNS1_11target_archE942ELNS1_3gpuE9ELNS1_3repE0EEENS1_30default_config_static_selectorELNS0_4arch9wavefront6targetE0EEEvT1_.private_seg_size, 0
	.set _ZN7rocprim17ROCPRIM_400000_NS6detail17trampoline_kernelINS0_14default_configENS1_27scan_by_key_config_selectorIssEEZZNS1_16scan_by_key_implILNS1_25lookback_scan_determinismE0ELb1ES3_N6thrust23THRUST_200600_302600_NS6detail15normal_iteratorINS9_10device_ptrIsEEEESE_SE_sNS9_4plusIvEENS9_8equal_toIsEEsEE10hipError_tPvRmT2_T3_T4_T5_mT6_T7_P12ihipStream_tbENKUlT_T0_E_clISt17integral_constantIbLb1EESZ_EEDaSU_SV_EUlSU_E_NS1_11comp_targetILNS1_3genE5ELNS1_11target_archE942ELNS1_3gpuE9ELNS1_3repE0EEENS1_30default_config_static_selectorELNS0_4arch9wavefront6targetE0EEEvT1_.uses_vcc, 0
	.set _ZN7rocprim17ROCPRIM_400000_NS6detail17trampoline_kernelINS0_14default_configENS1_27scan_by_key_config_selectorIssEEZZNS1_16scan_by_key_implILNS1_25lookback_scan_determinismE0ELb1ES3_N6thrust23THRUST_200600_302600_NS6detail15normal_iteratorINS9_10device_ptrIsEEEESE_SE_sNS9_4plusIvEENS9_8equal_toIsEEsEE10hipError_tPvRmT2_T3_T4_T5_mT6_T7_P12ihipStream_tbENKUlT_T0_E_clISt17integral_constantIbLb1EESZ_EEDaSU_SV_EUlSU_E_NS1_11comp_targetILNS1_3genE5ELNS1_11target_archE942ELNS1_3gpuE9ELNS1_3repE0EEENS1_30default_config_static_selectorELNS0_4arch9wavefront6targetE0EEEvT1_.uses_flat_scratch, 0
	.set _ZN7rocprim17ROCPRIM_400000_NS6detail17trampoline_kernelINS0_14default_configENS1_27scan_by_key_config_selectorIssEEZZNS1_16scan_by_key_implILNS1_25lookback_scan_determinismE0ELb1ES3_N6thrust23THRUST_200600_302600_NS6detail15normal_iteratorINS9_10device_ptrIsEEEESE_SE_sNS9_4plusIvEENS9_8equal_toIsEEsEE10hipError_tPvRmT2_T3_T4_T5_mT6_T7_P12ihipStream_tbENKUlT_T0_E_clISt17integral_constantIbLb1EESZ_EEDaSU_SV_EUlSU_E_NS1_11comp_targetILNS1_3genE5ELNS1_11target_archE942ELNS1_3gpuE9ELNS1_3repE0EEENS1_30default_config_static_selectorELNS0_4arch9wavefront6targetE0EEEvT1_.has_dyn_sized_stack, 0
	.set _ZN7rocprim17ROCPRIM_400000_NS6detail17trampoline_kernelINS0_14default_configENS1_27scan_by_key_config_selectorIssEEZZNS1_16scan_by_key_implILNS1_25lookback_scan_determinismE0ELb1ES3_N6thrust23THRUST_200600_302600_NS6detail15normal_iteratorINS9_10device_ptrIsEEEESE_SE_sNS9_4plusIvEENS9_8equal_toIsEEsEE10hipError_tPvRmT2_T3_T4_T5_mT6_T7_P12ihipStream_tbENKUlT_T0_E_clISt17integral_constantIbLb1EESZ_EEDaSU_SV_EUlSU_E_NS1_11comp_targetILNS1_3genE5ELNS1_11target_archE942ELNS1_3gpuE9ELNS1_3repE0EEENS1_30default_config_static_selectorELNS0_4arch9wavefront6targetE0EEEvT1_.has_recursion, 0
	.set _ZN7rocprim17ROCPRIM_400000_NS6detail17trampoline_kernelINS0_14default_configENS1_27scan_by_key_config_selectorIssEEZZNS1_16scan_by_key_implILNS1_25lookback_scan_determinismE0ELb1ES3_N6thrust23THRUST_200600_302600_NS6detail15normal_iteratorINS9_10device_ptrIsEEEESE_SE_sNS9_4plusIvEENS9_8equal_toIsEEsEE10hipError_tPvRmT2_T3_T4_T5_mT6_T7_P12ihipStream_tbENKUlT_T0_E_clISt17integral_constantIbLb1EESZ_EEDaSU_SV_EUlSU_E_NS1_11comp_targetILNS1_3genE5ELNS1_11target_archE942ELNS1_3gpuE9ELNS1_3repE0EEENS1_30default_config_static_selectorELNS0_4arch9wavefront6targetE0EEEvT1_.has_indirect_call, 0
	.section	.AMDGPU.csdata,"",@progbits
; Kernel info:
; codeLenInByte = 0
; TotalNumSgprs: 0
; NumVgprs: 0
; ScratchSize: 0
; MemoryBound: 0
; FloatMode: 240
; IeeeMode: 1
; LDSByteSize: 0 bytes/workgroup (compile time only)
; SGPRBlocks: 0
; VGPRBlocks: 0
; NumSGPRsForWavesPerEU: 1
; NumVGPRsForWavesPerEU: 1
; NamedBarCnt: 0
; Occupancy: 16
; WaveLimiterHint : 0
; COMPUTE_PGM_RSRC2:SCRATCH_EN: 0
; COMPUTE_PGM_RSRC2:USER_SGPR: 2
; COMPUTE_PGM_RSRC2:TRAP_HANDLER: 0
; COMPUTE_PGM_RSRC2:TGID_X_EN: 1
; COMPUTE_PGM_RSRC2:TGID_Y_EN: 0
; COMPUTE_PGM_RSRC2:TGID_Z_EN: 0
; COMPUTE_PGM_RSRC2:TIDIG_COMP_CNT: 0
	.section	.text._ZN7rocprim17ROCPRIM_400000_NS6detail17trampoline_kernelINS0_14default_configENS1_27scan_by_key_config_selectorIssEEZZNS1_16scan_by_key_implILNS1_25lookback_scan_determinismE0ELb1ES3_N6thrust23THRUST_200600_302600_NS6detail15normal_iteratorINS9_10device_ptrIsEEEESE_SE_sNS9_4plusIvEENS9_8equal_toIsEEsEE10hipError_tPvRmT2_T3_T4_T5_mT6_T7_P12ihipStream_tbENKUlT_T0_E_clISt17integral_constantIbLb1EESZ_EEDaSU_SV_EUlSU_E_NS1_11comp_targetILNS1_3genE4ELNS1_11target_archE910ELNS1_3gpuE8ELNS1_3repE0EEENS1_30default_config_static_selectorELNS0_4arch9wavefront6targetE0EEEvT1_,"axG",@progbits,_ZN7rocprim17ROCPRIM_400000_NS6detail17trampoline_kernelINS0_14default_configENS1_27scan_by_key_config_selectorIssEEZZNS1_16scan_by_key_implILNS1_25lookback_scan_determinismE0ELb1ES3_N6thrust23THRUST_200600_302600_NS6detail15normal_iteratorINS9_10device_ptrIsEEEESE_SE_sNS9_4plusIvEENS9_8equal_toIsEEsEE10hipError_tPvRmT2_T3_T4_T5_mT6_T7_P12ihipStream_tbENKUlT_T0_E_clISt17integral_constantIbLb1EESZ_EEDaSU_SV_EUlSU_E_NS1_11comp_targetILNS1_3genE4ELNS1_11target_archE910ELNS1_3gpuE8ELNS1_3repE0EEENS1_30default_config_static_selectorELNS0_4arch9wavefront6targetE0EEEvT1_,comdat
	.protected	_ZN7rocprim17ROCPRIM_400000_NS6detail17trampoline_kernelINS0_14default_configENS1_27scan_by_key_config_selectorIssEEZZNS1_16scan_by_key_implILNS1_25lookback_scan_determinismE0ELb1ES3_N6thrust23THRUST_200600_302600_NS6detail15normal_iteratorINS9_10device_ptrIsEEEESE_SE_sNS9_4plusIvEENS9_8equal_toIsEEsEE10hipError_tPvRmT2_T3_T4_T5_mT6_T7_P12ihipStream_tbENKUlT_T0_E_clISt17integral_constantIbLb1EESZ_EEDaSU_SV_EUlSU_E_NS1_11comp_targetILNS1_3genE4ELNS1_11target_archE910ELNS1_3gpuE8ELNS1_3repE0EEENS1_30default_config_static_selectorELNS0_4arch9wavefront6targetE0EEEvT1_ ; -- Begin function _ZN7rocprim17ROCPRIM_400000_NS6detail17trampoline_kernelINS0_14default_configENS1_27scan_by_key_config_selectorIssEEZZNS1_16scan_by_key_implILNS1_25lookback_scan_determinismE0ELb1ES3_N6thrust23THRUST_200600_302600_NS6detail15normal_iteratorINS9_10device_ptrIsEEEESE_SE_sNS9_4plusIvEENS9_8equal_toIsEEsEE10hipError_tPvRmT2_T3_T4_T5_mT6_T7_P12ihipStream_tbENKUlT_T0_E_clISt17integral_constantIbLb1EESZ_EEDaSU_SV_EUlSU_E_NS1_11comp_targetILNS1_3genE4ELNS1_11target_archE910ELNS1_3gpuE8ELNS1_3repE0EEENS1_30default_config_static_selectorELNS0_4arch9wavefront6targetE0EEEvT1_
	.globl	_ZN7rocprim17ROCPRIM_400000_NS6detail17trampoline_kernelINS0_14default_configENS1_27scan_by_key_config_selectorIssEEZZNS1_16scan_by_key_implILNS1_25lookback_scan_determinismE0ELb1ES3_N6thrust23THRUST_200600_302600_NS6detail15normal_iteratorINS9_10device_ptrIsEEEESE_SE_sNS9_4plusIvEENS9_8equal_toIsEEsEE10hipError_tPvRmT2_T3_T4_T5_mT6_T7_P12ihipStream_tbENKUlT_T0_E_clISt17integral_constantIbLb1EESZ_EEDaSU_SV_EUlSU_E_NS1_11comp_targetILNS1_3genE4ELNS1_11target_archE910ELNS1_3gpuE8ELNS1_3repE0EEENS1_30default_config_static_selectorELNS0_4arch9wavefront6targetE0EEEvT1_
	.p2align	8
	.type	_ZN7rocprim17ROCPRIM_400000_NS6detail17trampoline_kernelINS0_14default_configENS1_27scan_by_key_config_selectorIssEEZZNS1_16scan_by_key_implILNS1_25lookback_scan_determinismE0ELb1ES3_N6thrust23THRUST_200600_302600_NS6detail15normal_iteratorINS9_10device_ptrIsEEEESE_SE_sNS9_4plusIvEENS9_8equal_toIsEEsEE10hipError_tPvRmT2_T3_T4_T5_mT6_T7_P12ihipStream_tbENKUlT_T0_E_clISt17integral_constantIbLb1EESZ_EEDaSU_SV_EUlSU_E_NS1_11comp_targetILNS1_3genE4ELNS1_11target_archE910ELNS1_3gpuE8ELNS1_3repE0EEENS1_30default_config_static_selectorELNS0_4arch9wavefront6targetE0EEEvT1_,@function
_ZN7rocprim17ROCPRIM_400000_NS6detail17trampoline_kernelINS0_14default_configENS1_27scan_by_key_config_selectorIssEEZZNS1_16scan_by_key_implILNS1_25lookback_scan_determinismE0ELb1ES3_N6thrust23THRUST_200600_302600_NS6detail15normal_iteratorINS9_10device_ptrIsEEEESE_SE_sNS9_4plusIvEENS9_8equal_toIsEEsEE10hipError_tPvRmT2_T3_T4_T5_mT6_T7_P12ihipStream_tbENKUlT_T0_E_clISt17integral_constantIbLb1EESZ_EEDaSU_SV_EUlSU_E_NS1_11comp_targetILNS1_3genE4ELNS1_11target_archE910ELNS1_3gpuE8ELNS1_3repE0EEENS1_30default_config_static_selectorELNS0_4arch9wavefront6targetE0EEEvT1_: ; @_ZN7rocprim17ROCPRIM_400000_NS6detail17trampoline_kernelINS0_14default_configENS1_27scan_by_key_config_selectorIssEEZZNS1_16scan_by_key_implILNS1_25lookback_scan_determinismE0ELb1ES3_N6thrust23THRUST_200600_302600_NS6detail15normal_iteratorINS9_10device_ptrIsEEEESE_SE_sNS9_4plusIvEENS9_8equal_toIsEEsEE10hipError_tPvRmT2_T3_T4_T5_mT6_T7_P12ihipStream_tbENKUlT_T0_E_clISt17integral_constantIbLb1EESZ_EEDaSU_SV_EUlSU_E_NS1_11comp_targetILNS1_3genE4ELNS1_11target_archE910ELNS1_3gpuE8ELNS1_3repE0EEENS1_30default_config_static_selectorELNS0_4arch9wavefront6targetE0EEEvT1_
; %bb.0:
	.section	.rodata,"a",@progbits
	.p2align	6, 0x0
	.amdhsa_kernel _ZN7rocprim17ROCPRIM_400000_NS6detail17trampoline_kernelINS0_14default_configENS1_27scan_by_key_config_selectorIssEEZZNS1_16scan_by_key_implILNS1_25lookback_scan_determinismE0ELb1ES3_N6thrust23THRUST_200600_302600_NS6detail15normal_iteratorINS9_10device_ptrIsEEEESE_SE_sNS9_4plusIvEENS9_8equal_toIsEEsEE10hipError_tPvRmT2_T3_T4_T5_mT6_T7_P12ihipStream_tbENKUlT_T0_E_clISt17integral_constantIbLb1EESZ_EEDaSU_SV_EUlSU_E_NS1_11comp_targetILNS1_3genE4ELNS1_11target_archE910ELNS1_3gpuE8ELNS1_3repE0EEENS1_30default_config_static_selectorELNS0_4arch9wavefront6targetE0EEEvT1_
		.amdhsa_group_segment_fixed_size 0
		.amdhsa_private_segment_fixed_size 0
		.amdhsa_kernarg_size 112
		.amdhsa_user_sgpr_count 2
		.amdhsa_user_sgpr_dispatch_ptr 0
		.amdhsa_user_sgpr_queue_ptr 0
		.amdhsa_user_sgpr_kernarg_segment_ptr 1
		.amdhsa_user_sgpr_dispatch_id 0
		.amdhsa_user_sgpr_kernarg_preload_length 0
		.amdhsa_user_sgpr_kernarg_preload_offset 0
		.amdhsa_user_sgpr_private_segment_size 0
		.amdhsa_wavefront_size32 1
		.amdhsa_uses_dynamic_stack 0
		.amdhsa_enable_private_segment 0
		.amdhsa_system_sgpr_workgroup_id_x 1
		.amdhsa_system_sgpr_workgroup_id_y 0
		.amdhsa_system_sgpr_workgroup_id_z 0
		.amdhsa_system_sgpr_workgroup_info 0
		.amdhsa_system_vgpr_workitem_id 0
		.amdhsa_next_free_vgpr 1
		.amdhsa_next_free_sgpr 1
		.amdhsa_named_barrier_count 0
		.amdhsa_reserve_vcc 0
		.amdhsa_float_round_mode_32 0
		.amdhsa_float_round_mode_16_64 0
		.amdhsa_float_denorm_mode_32 3
		.amdhsa_float_denorm_mode_16_64 3
		.amdhsa_fp16_overflow 0
		.amdhsa_memory_ordered 1
		.amdhsa_forward_progress 1
		.amdhsa_inst_pref_size 0
		.amdhsa_round_robin_scheduling 0
		.amdhsa_exception_fp_ieee_invalid_op 0
		.amdhsa_exception_fp_denorm_src 0
		.amdhsa_exception_fp_ieee_div_zero 0
		.amdhsa_exception_fp_ieee_overflow 0
		.amdhsa_exception_fp_ieee_underflow 0
		.amdhsa_exception_fp_ieee_inexact 0
		.amdhsa_exception_int_div_zero 0
	.end_amdhsa_kernel
	.section	.text._ZN7rocprim17ROCPRIM_400000_NS6detail17trampoline_kernelINS0_14default_configENS1_27scan_by_key_config_selectorIssEEZZNS1_16scan_by_key_implILNS1_25lookback_scan_determinismE0ELb1ES3_N6thrust23THRUST_200600_302600_NS6detail15normal_iteratorINS9_10device_ptrIsEEEESE_SE_sNS9_4plusIvEENS9_8equal_toIsEEsEE10hipError_tPvRmT2_T3_T4_T5_mT6_T7_P12ihipStream_tbENKUlT_T0_E_clISt17integral_constantIbLb1EESZ_EEDaSU_SV_EUlSU_E_NS1_11comp_targetILNS1_3genE4ELNS1_11target_archE910ELNS1_3gpuE8ELNS1_3repE0EEENS1_30default_config_static_selectorELNS0_4arch9wavefront6targetE0EEEvT1_,"axG",@progbits,_ZN7rocprim17ROCPRIM_400000_NS6detail17trampoline_kernelINS0_14default_configENS1_27scan_by_key_config_selectorIssEEZZNS1_16scan_by_key_implILNS1_25lookback_scan_determinismE0ELb1ES3_N6thrust23THRUST_200600_302600_NS6detail15normal_iteratorINS9_10device_ptrIsEEEESE_SE_sNS9_4plusIvEENS9_8equal_toIsEEsEE10hipError_tPvRmT2_T3_T4_T5_mT6_T7_P12ihipStream_tbENKUlT_T0_E_clISt17integral_constantIbLb1EESZ_EEDaSU_SV_EUlSU_E_NS1_11comp_targetILNS1_3genE4ELNS1_11target_archE910ELNS1_3gpuE8ELNS1_3repE0EEENS1_30default_config_static_selectorELNS0_4arch9wavefront6targetE0EEEvT1_,comdat
.Lfunc_end653:
	.size	_ZN7rocprim17ROCPRIM_400000_NS6detail17trampoline_kernelINS0_14default_configENS1_27scan_by_key_config_selectorIssEEZZNS1_16scan_by_key_implILNS1_25lookback_scan_determinismE0ELb1ES3_N6thrust23THRUST_200600_302600_NS6detail15normal_iteratorINS9_10device_ptrIsEEEESE_SE_sNS9_4plusIvEENS9_8equal_toIsEEsEE10hipError_tPvRmT2_T3_T4_T5_mT6_T7_P12ihipStream_tbENKUlT_T0_E_clISt17integral_constantIbLb1EESZ_EEDaSU_SV_EUlSU_E_NS1_11comp_targetILNS1_3genE4ELNS1_11target_archE910ELNS1_3gpuE8ELNS1_3repE0EEENS1_30default_config_static_selectorELNS0_4arch9wavefront6targetE0EEEvT1_, .Lfunc_end653-_ZN7rocprim17ROCPRIM_400000_NS6detail17trampoline_kernelINS0_14default_configENS1_27scan_by_key_config_selectorIssEEZZNS1_16scan_by_key_implILNS1_25lookback_scan_determinismE0ELb1ES3_N6thrust23THRUST_200600_302600_NS6detail15normal_iteratorINS9_10device_ptrIsEEEESE_SE_sNS9_4plusIvEENS9_8equal_toIsEEsEE10hipError_tPvRmT2_T3_T4_T5_mT6_T7_P12ihipStream_tbENKUlT_T0_E_clISt17integral_constantIbLb1EESZ_EEDaSU_SV_EUlSU_E_NS1_11comp_targetILNS1_3genE4ELNS1_11target_archE910ELNS1_3gpuE8ELNS1_3repE0EEENS1_30default_config_static_selectorELNS0_4arch9wavefront6targetE0EEEvT1_
                                        ; -- End function
	.set _ZN7rocprim17ROCPRIM_400000_NS6detail17trampoline_kernelINS0_14default_configENS1_27scan_by_key_config_selectorIssEEZZNS1_16scan_by_key_implILNS1_25lookback_scan_determinismE0ELb1ES3_N6thrust23THRUST_200600_302600_NS6detail15normal_iteratorINS9_10device_ptrIsEEEESE_SE_sNS9_4plusIvEENS9_8equal_toIsEEsEE10hipError_tPvRmT2_T3_T4_T5_mT6_T7_P12ihipStream_tbENKUlT_T0_E_clISt17integral_constantIbLb1EESZ_EEDaSU_SV_EUlSU_E_NS1_11comp_targetILNS1_3genE4ELNS1_11target_archE910ELNS1_3gpuE8ELNS1_3repE0EEENS1_30default_config_static_selectorELNS0_4arch9wavefront6targetE0EEEvT1_.num_vgpr, 0
	.set _ZN7rocprim17ROCPRIM_400000_NS6detail17trampoline_kernelINS0_14default_configENS1_27scan_by_key_config_selectorIssEEZZNS1_16scan_by_key_implILNS1_25lookback_scan_determinismE0ELb1ES3_N6thrust23THRUST_200600_302600_NS6detail15normal_iteratorINS9_10device_ptrIsEEEESE_SE_sNS9_4plusIvEENS9_8equal_toIsEEsEE10hipError_tPvRmT2_T3_T4_T5_mT6_T7_P12ihipStream_tbENKUlT_T0_E_clISt17integral_constantIbLb1EESZ_EEDaSU_SV_EUlSU_E_NS1_11comp_targetILNS1_3genE4ELNS1_11target_archE910ELNS1_3gpuE8ELNS1_3repE0EEENS1_30default_config_static_selectorELNS0_4arch9wavefront6targetE0EEEvT1_.num_agpr, 0
	.set _ZN7rocprim17ROCPRIM_400000_NS6detail17trampoline_kernelINS0_14default_configENS1_27scan_by_key_config_selectorIssEEZZNS1_16scan_by_key_implILNS1_25lookback_scan_determinismE0ELb1ES3_N6thrust23THRUST_200600_302600_NS6detail15normal_iteratorINS9_10device_ptrIsEEEESE_SE_sNS9_4plusIvEENS9_8equal_toIsEEsEE10hipError_tPvRmT2_T3_T4_T5_mT6_T7_P12ihipStream_tbENKUlT_T0_E_clISt17integral_constantIbLb1EESZ_EEDaSU_SV_EUlSU_E_NS1_11comp_targetILNS1_3genE4ELNS1_11target_archE910ELNS1_3gpuE8ELNS1_3repE0EEENS1_30default_config_static_selectorELNS0_4arch9wavefront6targetE0EEEvT1_.numbered_sgpr, 0
	.set _ZN7rocprim17ROCPRIM_400000_NS6detail17trampoline_kernelINS0_14default_configENS1_27scan_by_key_config_selectorIssEEZZNS1_16scan_by_key_implILNS1_25lookback_scan_determinismE0ELb1ES3_N6thrust23THRUST_200600_302600_NS6detail15normal_iteratorINS9_10device_ptrIsEEEESE_SE_sNS9_4plusIvEENS9_8equal_toIsEEsEE10hipError_tPvRmT2_T3_T4_T5_mT6_T7_P12ihipStream_tbENKUlT_T0_E_clISt17integral_constantIbLb1EESZ_EEDaSU_SV_EUlSU_E_NS1_11comp_targetILNS1_3genE4ELNS1_11target_archE910ELNS1_3gpuE8ELNS1_3repE0EEENS1_30default_config_static_selectorELNS0_4arch9wavefront6targetE0EEEvT1_.num_named_barrier, 0
	.set _ZN7rocprim17ROCPRIM_400000_NS6detail17trampoline_kernelINS0_14default_configENS1_27scan_by_key_config_selectorIssEEZZNS1_16scan_by_key_implILNS1_25lookback_scan_determinismE0ELb1ES3_N6thrust23THRUST_200600_302600_NS6detail15normal_iteratorINS9_10device_ptrIsEEEESE_SE_sNS9_4plusIvEENS9_8equal_toIsEEsEE10hipError_tPvRmT2_T3_T4_T5_mT6_T7_P12ihipStream_tbENKUlT_T0_E_clISt17integral_constantIbLb1EESZ_EEDaSU_SV_EUlSU_E_NS1_11comp_targetILNS1_3genE4ELNS1_11target_archE910ELNS1_3gpuE8ELNS1_3repE0EEENS1_30default_config_static_selectorELNS0_4arch9wavefront6targetE0EEEvT1_.private_seg_size, 0
	.set _ZN7rocprim17ROCPRIM_400000_NS6detail17trampoline_kernelINS0_14default_configENS1_27scan_by_key_config_selectorIssEEZZNS1_16scan_by_key_implILNS1_25lookback_scan_determinismE0ELb1ES3_N6thrust23THRUST_200600_302600_NS6detail15normal_iteratorINS9_10device_ptrIsEEEESE_SE_sNS9_4plusIvEENS9_8equal_toIsEEsEE10hipError_tPvRmT2_T3_T4_T5_mT6_T7_P12ihipStream_tbENKUlT_T0_E_clISt17integral_constantIbLb1EESZ_EEDaSU_SV_EUlSU_E_NS1_11comp_targetILNS1_3genE4ELNS1_11target_archE910ELNS1_3gpuE8ELNS1_3repE0EEENS1_30default_config_static_selectorELNS0_4arch9wavefront6targetE0EEEvT1_.uses_vcc, 0
	.set _ZN7rocprim17ROCPRIM_400000_NS6detail17trampoline_kernelINS0_14default_configENS1_27scan_by_key_config_selectorIssEEZZNS1_16scan_by_key_implILNS1_25lookback_scan_determinismE0ELb1ES3_N6thrust23THRUST_200600_302600_NS6detail15normal_iteratorINS9_10device_ptrIsEEEESE_SE_sNS9_4plusIvEENS9_8equal_toIsEEsEE10hipError_tPvRmT2_T3_T4_T5_mT6_T7_P12ihipStream_tbENKUlT_T0_E_clISt17integral_constantIbLb1EESZ_EEDaSU_SV_EUlSU_E_NS1_11comp_targetILNS1_3genE4ELNS1_11target_archE910ELNS1_3gpuE8ELNS1_3repE0EEENS1_30default_config_static_selectorELNS0_4arch9wavefront6targetE0EEEvT1_.uses_flat_scratch, 0
	.set _ZN7rocprim17ROCPRIM_400000_NS6detail17trampoline_kernelINS0_14default_configENS1_27scan_by_key_config_selectorIssEEZZNS1_16scan_by_key_implILNS1_25lookback_scan_determinismE0ELb1ES3_N6thrust23THRUST_200600_302600_NS6detail15normal_iteratorINS9_10device_ptrIsEEEESE_SE_sNS9_4plusIvEENS9_8equal_toIsEEsEE10hipError_tPvRmT2_T3_T4_T5_mT6_T7_P12ihipStream_tbENKUlT_T0_E_clISt17integral_constantIbLb1EESZ_EEDaSU_SV_EUlSU_E_NS1_11comp_targetILNS1_3genE4ELNS1_11target_archE910ELNS1_3gpuE8ELNS1_3repE0EEENS1_30default_config_static_selectorELNS0_4arch9wavefront6targetE0EEEvT1_.has_dyn_sized_stack, 0
	.set _ZN7rocprim17ROCPRIM_400000_NS6detail17trampoline_kernelINS0_14default_configENS1_27scan_by_key_config_selectorIssEEZZNS1_16scan_by_key_implILNS1_25lookback_scan_determinismE0ELb1ES3_N6thrust23THRUST_200600_302600_NS6detail15normal_iteratorINS9_10device_ptrIsEEEESE_SE_sNS9_4plusIvEENS9_8equal_toIsEEsEE10hipError_tPvRmT2_T3_T4_T5_mT6_T7_P12ihipStream_tbENKUlT_T0_E_clISt17integral_constantIbLb1EESZ_EEDaSU_SV_EUlSU_E_NS1_11comp_targetILNS1_3genE4ELNS1_11target_archE910ELNS1_3gpuE8ELNS1_3repE0EEENS1_30default_config_static_selectorELNS0_4arch9wavefront6targetE0EEEvT1_.has_recursion, 0
	.set _ZN7rocprim17ROCPRIM_400000_NS6detail17trampoline_kernelINS0_14default_configENS1_27scan_by_key_config_selectorIssEEZZNS1_16scan_by_key_implILNS1_25lookback_scan_determinismE0ELb1ES3_N6thrust23THRUST_200600_302600_NS6detail15normal_iteratorINS9_10device_ptrIsEEEESE_SE_sNS9_4plusIvEENS9_8equal_toIsEEsEE10hipError_tPvRmT2_T3_T4_T5_mT6_T7_P12ihipStream_tbENKUlT_T0_E_clISt17integral_constantIbLb1EESZ_EEDaSU_SV_EUlSU_E_NS1_11comp_targetILNS1_3genE4ELNS1_11target_archE910ELNS1_3gpuE8ELNS1_3repE0EEENS1_30default_config_static_selectorELNS0_4arch9wavefront6targetE0EEEvT1_.has_indirect_call, 0
	.section	.AMDGPU.csdata,"",@progbits
; Kernel info:
; codeLenInByte = 0
; TotalNumSgprs: 0
; NumVgprs: 0
; ScratchSize: 0
; MemoryBound: 0
; FloatMode: 240
; IeeeMode: 1
; LDSByteSize: 0 bytes/workgroup (compile time only)
; SGPRBlocks: 0
; VGPRBlocks: 0
; NumSGPRsForWavesPerEU: 1
; NumVGPRsForWavesPerEU: 1
; NamedBarCnt: 0
; Occupancy: 16
; WaveLimiterHint : 0
; COMPUTE_PGM_RSRC2:SCRATCH_EN: 0
; COMPUTE_PGM_RSRC2:USER_SGPR: 2
; COMPUTE_PGM_RSRC2:TRAP_HANDLER: 0
; COMPUTE_PGM_RSRC2:TGID_X_EN: 1
; COMPUTE_PGM_RSRC2:TGID_Y_EN: 0
; COMPUTE_PGM_RSRC2:TGID_Z_EN: 0
; COMPUTE_PGM_RSRC2:TIDIG_COMP_CNT: 0
	.section	.text._ZN7rocprim17ROCPRIM_400000_NS6detail17trampoline_kernelINS0_14default_configENS1_27scan_by_key_config_selectorIssEEZZNS1_16scan_by_key_implILNS1_25lookback_scan_determinismE0ELb1ES3_N6thrust23THRUST_200600_302600_NS6detail15normal_iteratorINS9_10device_ptrIsEEEESE_SE_sNS9_4plusIvEENS9_8equal_toIsEEsEE10hipError_tPvRmT2_T3_T4_T5_mT6_T7_P12ihipStream_tbENKUlT_T0_E_clISt17integral_constantIbLb1EESZ_EEDaSU_SV_EUlSU_E_NS1_11comp_targetILNS1_3genE3ELNS1_11target_archE908ELNS1_3gpuE7ELNS1_3repE0EEENS1_30default_config_static_selectorELNS0_4arch9wavefront6targetE0EEEvT1_,"axG",@progbits,_ZN7rocprim17ROCPRIM_400000_NS6detail17trampoline_kernelINS0_14default_configENS1_27scan_by_key_config_selectorIssEEZZNS1_16scan_by_key_implILNS1_25lookback_scan_determinismE0ELb1ES3_N6thrust23THRUST_200600_302600_NS6detail15normal_iteratorINS9_10device_ptrIsEEEESE_SE_sNS9_4plusIvEENS9_8equal_toIsEEsEE10hipError_tPvRmT2_T3_T4_T5_mT6_T7_P12ihipStream_tbENKUlT_T0_E_clISt17integral_constantIbLb1EESZ_EEDaSU_SV_EUlSU_E_NS1_11comp_targetILNS1_3genE3ELNS1_11target_archE908ELNS1_3gpuE7ELNS1_3repE0EEENS1_30default_config_static_selectorELNS0_4arch9wavefront6targetE0EEEvT1_,comdat
	.protected	_ZN7rocprim17ROCPRIM_400000_NS6detail17trampoline_kernelINS0_14default_configENS1_27scan_by_key_config_selectorIssEEZZNS1_16scan_by_key_implILNS1_25lookback_scan_determinismE0ELb1ES3_N6thrust23THRUST_200600_302600_NS6detail15normal_iteratorINS9_10device_ptrIsEEEESE_SE_sNS9_4plusIvEENS9_8equal_toIsEEsEE10hipError_tPvRmT2_T3_T4_T5_mT6_T7_P12ihipStream_tbENKUlT_T0_E_clISt17integral_constantIbLb1EESZ_EEDaSU_SV_EUlSU_E_NS1_11comp_targetILNS1_3genE3ELNS1_11target_archE908ELNS1_3gpuE7ELNS1_3repE0EEENS1_30default_config_static_selectorELNS0_4arch9wavefront6targetE0EEEvT1_ ; -- Begin function _ZN7rocprim17ROCPRIM_400000_NS6detail17trampoline_kernelINS0_14default_configENS1_27scan_by_key_config_selectorIssEEZZNS1_16scan_by_key_implILNS1_25lookback_scan_determinismE0ELb1ES3_N6thrust23THRUST_200600_302600_NS6detail15normal_iteratorINS9_10device_ptrIsEEEESE_SE_sNS9_4plusIvEENS9_8equal_toIsEEsEE10hipError_tPvRmT2_T3_T4_T5_mT6_T7_P12ihipStream_tbENKUlT_T0_E_clISt17integral_constantIbLb1EESZ_EEDaSU_SV_EUlSU_E_NS1_11comp_targetILNS1_3genE3ELNS1_11target_archE908ELNS1_3gpuE7ELNS1_3repE0EEENS1_30default_config_static_selectorELNS0_4arch9wavefront6targetE0EEEvT1_
	.globl	_ZN7rocprim17ROCPRIM_400000_NS6detail17trampoline_kernelINS0_14default_configENS1_27scan_by_key_config_selectorIssEEZZNS1_16scan_by_key_implILNS1_25lookback_scan_determinismE0ELb1ES3_N6thrust23THRUST_200600_302600_NS6detail15normal_iteratorINS9_10device_ptrIsEEEESE_SE_sNS9_4plusIvEENS9_8equal_toIsEEsEE10hipError_tPvRmT2_T3_T4_T5_mT6_T7_P12ihipStream_tbENKUlT_T0_E_clISt17integral_constantIbLb1EESZ_EEDaSU_SV_EUlSU_E_NS1_11comp_targetILNS1_3genE3ELNS1_11target_archE908ELNS1_3gpuE7ELNS1_3repE0EEENS1_30default_config_static_selectorELNS0_4arch9wavefront6targetE0EEEvT1_
	.p2align	8
	.type	_ZN7rocprim17ROCPRIM_400000_NS6detail17trampoline_kernelINS0_14default_configENS1_27scan_by_key_config_selectorIssEEZZNS1_16scan_by_key_implILNS1_25lookback_scan_determinismE0ELb1ES3_N6thrust23THRUST_200600_302600_NS6detail15normal_iteratorINS9_10device_ptrIsEEEESE_SE_sNS9_4plusIvEENS9_8equal_toIsEEsEE10hipError_tPvRmT2_T3_T4_T5_mT6_T7_P12ihipStream_tbENKUlT_T0_E_clISt17integral_constantIbLb1EESZ_EEDaSU_SV_EUlSU_E_NS1_11comp_targetILNS1_3genE3ELNS1_11target_archE908ELNS1_3gpuE7ELNS1_3repE0EEENS1_30default_config_static_selectorELNS0_4arch9wavefront6targetE0EEEvT1_,@function
_ZN7rocprim17ROCPRIM_400000_NS6detail17trampoline_kernelINS0_14default_configENS1_27scan_by_key_config_selectorIssEEZZNS1_16scan_by_key_implILNS1_25lookback_scan_determinismE0ELb1ES3_N6thrust23THRUST_200600_302600_NS6detail15normal_iteratorINS9_10device_ptrIsEEEESE_SE_sNS9_4plusIvEENS9_8equal_toIsEEsEE10hipError_tPvRmT2_T3_T4_T5_mT6_T7_P12ihipStream_tbENKUlT_T0_E_clISt17integral_constantIbLb1EESZ_EEDaSU_SV_EUlSU_E_NS1_11comp_targetILNS1_3genE3ELNS1_11target_archE908ELNS1_3gpuE7ELNS1_3repE0EEENS1_30default_config_static_selectorELNS0_4arch9wavefront6targetE0EEEvT1_: ; @_ZN7rocprim17ROCPRIM_400000_NS6detail17trampoline_kernelINS0_14default_configENS1_27scan_by_key_config_selectorIssEEZZNS1_16scan_by_key_implILNS1_25lookback_scan_determinismE0ELb1ES3_N6thrust23THRUST_200600_302600_NS6detail15normal_iteratorINS9_10device_ptrIsEEEESE_SE_sNS9_4plusIvEENS9_8equal_toIsEEsEE10hipError_tPvRmT2_T3_T4_T5_mT6_T7_P12ihipStream_tbENKUlT_T0_E_clISt17integral_constantIbLb1EESZ_EEDaSU_SV_EUlSU_E_NS1_11comp_targetILNS1_3genE3ELNS1_11target_archE908ELNS1_3gpuE7ELNS1_3repE0EEENS1_30default_config_static_selectorELNS0_4arch9wavefront6targetE0EEEvT1_
; %bb.0:
	.section	.rodata,"a",@progbits
	.p2align	6, 0x0
	.amdhsa_kernel _ZN7rocprim17ROCPRIM_400000_NS6detail17trampoline_kernelINS0_14default_configENS1_27scan_by_key_config_selectorIssEEZZNS1_16scan_by_key_implILNS1_25lookback_scan_determinismE0ELb1ES3_N6thrust23THRUST_200600_302600_NS6detail15normal_iteratorINS9_10device_ptrIsEEEESE_SE_sNS9_4plusIvEENS9_8equal_toIsEEsEE10hipError_tPvRmT2_T3_T4_T5_mT6_T7_P12ihipStream_tbENKUlT_T0_E_clISt17integral_constantIbLb1EESZ_EEDaSU_SV_EUlSU_E_NS1_11comp_targetILNS1_3genE3ELNS1_11target_archE908ELNS1_3gpuE7ELNS1_3repE0EEENS1_30default_config_static_selectorELNS0_4arch9wavefront6targetE0EEEvT1_
		.amdhsa_group_segment_fixed_size 0
		.amdhsa_private_segment_fixed_size 0
		.amdhsa_kernarg_size 112
		.amdhsa_user_sgpr_count 2
		.amdhsa_user_sgpr_dispatch_ptr 0
		.amdhsa_user_sgpr_queue_ptr 0
		.amdhsa_user_sgpr_kernarg_segment_ptr 1
		.amdhsa_user_sgpr_dispatch_id 0
		.amdhsa_user_sgpr_kernarg_preload_length 0
		.amdhsa_user_sgpr_kernarg_preload_offset 0
		.amdhsa_user_sgpr_private_segment_size 0
		.amdhsa_wavefront_size32 1
		.amdhsa_uses_dynamic_stack 0
		.amdhsa_enable_private_segment 0
		.amdhsa_system_sgpr_workgroup_id_x 1
		.amdhsa_system_sgpr_workgroup_id_y 0
		.amdhsa_system_sgpr_workgroup_id_z 0
		.amdhsa_system_sgpr_workgroup_info 0
		.amdhsa_system_vgpr_workitem_id 0
		.amdhsa_next_free_vgpr 1
		.amdhsa_next_free_sgpr 1
		.amdhsa_named_barrier_count 0
		.amdhsa_reserve_vcc 0
		.amdhsa_float_round_mode_32 0
		.amdhsa_float_round_mode_16_64 0
		.amdhsa_float_denorm_mode_32 3
		.amdhsa_float_denorm_mode_16_64 3
		.amdhsa_fp16_overflow 0
		.amdhsa_memory_ordered 1
		.amdhsa_forward_progress 1
		.amdhsa_inst_pref_size 0
		.amdhsa_round_robin_scheduling 0
		.amdhsa_exception_fp_ieee_invalid_op 0
		.amdhsa_exception_fp_denorm_src 0
		.amdhsa_exception_fp_ieee_div_zero 0
		.amdhsa_exception_fp_ieee_overflow 0
		.amdhsa_exception_fp_ieee_underflow 0
		.amdhsa_exception_fp_ieee_inexact 0
		.amdhsa_exception_int_div_zero 0
	.end_amdhsa_kernel
	.section	.text._ZN7rocprim17ROCPRIM_400000_NS6detail17trampoline_kernelINS0_14default_configENS1_27scan_by_key_config_selectorIssEEZZNS1_16scan_by_key_implILNS1_25lookback_scan_determinismE0ELb1ES3_N6thrust23THRUST_200600_302600_NS6detail15normal_iteratorINS9_10device_ptrIsEEEESE_SE_sNS9_4plusIvEENS9_8equal_toIsEEsEE10hipError_tPvRmT2_T3_T4_T5_mT6_T7_P12ihipStream_tbENKUlT_T0_E_clISt17integral_constantIbLb1EESZ_EEDaSU_SV_EUlSU_E_NS1_11comp_targetILNS1_3genE3ELNS1_11target_archE908ELNS1_3gpuE7ELNS1_3repE0EEENS1_30default_config_static_selectorELNS0_4arch9wavefront6targetE0EEEvT1_,"axG",@progbits,_ZN7rocprim17ROCPRIM_400000_NS6detail17trampoline_kernelINS0_14default_configENS1_27scan_by_key_config_selectorIssEEZZNS1_16scan_by_key_implILNS1_25lookback_scan_determinismE0ELb1ES3_N6thrust23THRUST_200600_302600_NS6detail15normal_iteratorINS9_10device_ptrIsEEEESE_SE_sNS9_4plusIvEENS9_8equal_toIsEEsEE10hipError_tPvRmT2_T3_T4_T5_mT6_T7_P12ihipStream_tbENKUlT_T0_E_clISt17integral_constantIbLb1EESZ_EEDaSU_SV_EUlSU_E_NS1_11comp_targetILNS1_3genE3ELNS1_11target_archE908ELNS1_3gpuE7ELNS1_3repE0EEENS1_30default_config_static_selectorELNS0_4arch9wavefront6targetE0EEEvT1_,comdat
.Lfunc_end654:
	.size	_ZN7rocprim17ROCPRIM_400000_NS6detail17trampoline_kernelINS0_14default_configENS1_27scan_by_key_config_selectorIssEEZZNS1_16scan_by_key_implILNS1_25lookback_scan_determinismE0ELb1ES3_N6thrust23THRUST_200600_302600_NS6detail15normal_iteratorINS9_10device_ptrIsEEEESE_SE_sNS9_4plusIvEENS9_8equal_toIsEEsEE10hipError_tPvRmT2_T3_T4_T5_mT6_T7_P12ihipStream_tbENKUlT_T0_E_clISt17integral_constantIbLb1EESZ_EEDaSU_SV_EUlSU_E_NS1_11comp_targetILNS1_3genE3ELNS1_11target_archE908ELNS1_3gpuE7ELNS1_3repE0EEENS1_30default_config_static_selectorELNS0_4arch9wavefront6targetE0EEEvT1_, .Lfunc_end654-_ZN7rocprim17ROCPRIM_400000_NS6detail17trampoline_kernelINS0_14default_configENS1_27scan_by_key_config_selectorIssEEZZNS1_16scan_by_key_implILNS1_25lookback_scan_determinismE0ELb1ES3_N6thrust23THRUST_200600_302600_NS6detail15normal_iteratorINS9_10device_ptrIsEEEESE_SE_sNS9_4plusIvEENS9_8equal_toIsEEsEE10hipError_tPvRmT2_T3_T4_T5_mT6_T7_P12ihipStream_tbENKUlT_T0_E_clISt17integral_constantIbLb1EESZ_EEDaSU_SV_EUlSU_E_NS1_11comp_targetILNS1_3genE3ELNS1_11target_archE908ELNS1_3gpuE7ELNS1_3repE0EEENS1_30default_config_static_selectorELNS0_4arch9wavefront6targetE0EEEvT1_
                                        ; -- End function
	.set _ZN7rocprim17ROCPRIM_400000_NS6detail17trampoline_kernelINS0_14default_configENS1_27scan_by_key_config_selectorIssEEZZNS1_16scan_by_key_implILNS1_25lookback_scan_determinismE0ELb1ES3_N6thrust23THRUST_200600_302600_NS6detail15normal_iteratorINS9_10device_ptrIsEEEESE_SE_sNS9_4plusIvEENS9_8equal_toIsEEsEE10hipError_tPvRmT2_T3_T4_T5_mT6_T7_P12ihipStream_tbENKUlT_T0_E_clISt17integral_constantIbLb1EESZ_EEDaSU_SV_EUlSU_E_NS1_11comp_targetILNS1_3genE3ELNS1_11target_archE908ELNS1_3gpuE7ELNS1_3repE0EEENS1_30default_config_static_selectorELNS0_4arch9wavefront6targetE0EEEvT1_.num_vgpr, 0
	.set _ZN7rocprim17ROCPRIM_400000_NS6detail17trampoline_kernelINS0_14default_configENS1_27scan_by_key_config_selectorIssEEZZNS1_16scan_by_key_implILNS1_25lookback_scan_determinismE0ELb1ES3_N6thrust23THRUST_200600_302600_NS6detail15normal_iteratorINS9_10device_ptrIsEEEESE_SE_sNS9_4plusIvEENS9_8equal_toIsEEsEE10hipError_tPvRmT2_T3_T4_T5_mT6_T7_P12ihipStream_tbENKUlT_T0_E_clISt17integral_constantIbLb1EESZ_EEDaSU_SV_EUlSU_E_NS1_11comp_targetILNS1_3genE3ELNS1_11target_archE908ELNS1_3gpuE7ELNS1_3repE0EEENS1_30default_config_static_selectorELNS0_4arch9wavefront6targetE0EEEvT1_.num_agpr, 0
	.set _ZN7rocprim17ROCPRIM_400000_NS6detail17trampoline_kernelINS0_14default_configENS1_27scan_by_key_config_selectorIssEEZZNS1_16scan_by_key_implILNS1_25lookback_scan_determinismE0ELb1ES3_N6thrust23THRUST_200600_302600_NS6detail15normal_iteratorINS9_10device_ptrIsEEEESE_SE_sNS9_4plusIvEENS9_8equal_toIsEEsEE10hipError_tPvRmT2_T3_T4_T5_mT6_T7_P12ihipStream_tbENKUlT_T0_E_clISt17integral_constantIbLb1EESZ_EEDaSU_SV_EUlSU_E_NS1_11comp_targetILNS1_3genE3ELNS1_11target_archE908ELNS1_3gpuE7ELNS1_3repE0EEENS1_30default_config_static_selectorELNS0_4arch9wavefront6targetE0EEEvT1_.numbered_sgpr, 0
	.set _ZN7rocprim17ROCPRIM_400000_NS6detail17trampoline_kernelINS0_14default_configENS1_27scan_by_key_config_selectorIssEEZZNS1_16scan_by_key_implILNS1_25lookback_scan_determinismE0ELb1ES3_N6thrust23THRUST_200600_302600_NS6detail15normal_iteratorINS9_10device_ptrIsEEEESE_SE_sNS9_4plusIvEENS9_8equal_toIsEEsEE10hipError_tPvRmT2_T3_T4_T5_mT6_T7_P12ihipStream_tbENKUlT_T0_E_clISt17integral_constantIbLb1EESZ_EEDaSU_SV_EUlSU_E_NS1_11comp_targetILNS1_3genE3ELNS1_11target_archE908ELNS1_3gpuE7ELNS1_3repE0EEENS1_30default_config_static_selectorELNS0_4arch9wavefront6targetE0EEEvT1_.num_named_barrier, 0
	.set _ZN7rocprim17ROCPRIM_400000_NS6detail17trampoline_kernelINS0_14default_configENS1_27scan_by_key_config_selectorIssEEZZNS1_16scan_by_key_implILNS1_25lookback_scan_determinismE0ELb1ES3_N6thrust23THRUST_200600_302600_NS6detail15normal_iteratorINS9_10device_ptrIsEEEESE_SE_sNS9_4plusIvEENS9_8equal_toIsEEsEE10hipError_tPvRmT2_T3_T4_T5_mT6_T7_P12ihipStream_tbENKUlT_T0_E_clISt17integral_constantIbLb1EESZ_EEDaSU_SV_EUlSU_E_NS1_11comp_targetILNS1_3genE3ELNS1_11target_archE908ELNS1_3gpuE7ELNS1_3repE0EEENS1_30default_config_static_selectorELNS0_4arch9wavefront6targetE0EEEvT1_.private_seg_size, 0
	.set _ZN7rocprim17ROCPRIM_400000_NS6detail17trampoline_kernelINS0_14default_configENS1_27scan_by_key_config_selectorIssEEZZNS1_16scan_by_key_implILNS1_25lookback_scan_determinismE0ELb1ES3_N6thrust23THRUST_200600_302600_NS6detail15normal_iteratorINS9_10device_ptrIsEEEESE_SE_sNS9_4plusIvEENS9_8equal_toIsEEsEE10hipError_tPvRmT2_T3_T4_T5_mT6_T7_P12ihipStream_tbENKUlT_T0_E_clISt17integral_constantIbLb1EESZ_EEDaSU_SV_EUlSU_E_NS1_11comp_targetILNS1_3genE3ELNS1_11target_archE908ELNS1_3gpuE7ELNS1_3repE0EEENS1_30default_config_static_selectorELNS0_4arch9wavefront6targetE0EEEvT1_.uses_vcc, 0
	.set _ZN7rocprim17ROCPRIM_400000_NS6detail17trampoline_kernelINS0_14default_configENS1_27scan_by_key_config_selectorIssEEZZNS1_16scan_by_key_implILNS1_25lookback_scan_determinismE0ELb1ES3_N6thrust23THRUST_200600_302600_NS6detail15normal_iteratorINS9_10device_ptrIsEEEESE_SE_sNS9_4plusIvEENS9_8equal_toIsEEsEE10hipError_tPvRmT2_T3_T4_T5_mT6_T7_P12ihipStream_tbENKUlT_T0_E_clISt17integral_constantIbLb1EESZ_EEDaSU_SV_EUlSU_E_NS1_11comp_targetILNS1_3genE3ELNS1_11target_archE908ELNS1_3gpuE7ELNS1_3repE0EEENS1_30default_config_static_selectorELNS0_4arch9wavefront6targetE0EEEvT1_.uses_flat_scratch, 0
	.set _ZN7rocprim17ROCPRIM_400000_NS6detail17trampoline_kernelINS0_14default_configENS1_27scan_by_key_config_selectorIssEEZZNS1_16scan_by_key_implILNS1_25lookback_scan_determinismE0ELb1ES3_N6thrust23THRUST_200600_302600_NS6detail15normal_iteratorINS9_10device_ptrIsEEEESE_SE_sNS9_4plusIvEENS9_8equal_toIsEEsEE10hipError_tPvRmT2_T3_T4_T5_mT6_T7_P12ihipStream_tbENKUlT_T0_E_clISt17integral_constantIbLb1EESZ_EEDaSU_SV_EUlSU_E_NS1_11comp_targetILNS1_3genE3ELNS1_11target_archE908ELNS1_3gpuE7ELNS1_3repE0EEENS1_30default_config_static_selectorELNS0_4arch9wavefront6targetE0EEEvT1_.has_dyn_sized_stack, 0
	.set _ZN7rocprim17ROCPRIM_400000_NS6detail17trampoline_kernelINS0_14default_configENS1_27scan_by_key_config_selectorIssEEZZNS1_16scan_by_key_implILNS1_25lookback_scan_determinismE0ELb1ES3_N6thrust23THRUST_200600_302600_NS6detail15normal_iteratorINS9_10device_ptrIsEEEESE_SE_sNS9_4plusIvEENS9_8equal_toIsEEsEE10hipError_tPvRmT2_T3_T4_T5_mT6_T7_P12ihipStream_tbENKUlT_T0_E_clISt17integral_constantIbLb1EESZ_EEDaSU_SV_EUlSU_E_NS1_11comp_targetILNS1_3genE3ELNS1_11target_archE908ELNS1_3gpuE7ELNS1_3repE0EEENS1_30default_config_static_selectorELNS0_4arch9wavefront6targetE0EEEvT1_.has_recursion, 0
	.set _ZN7rocprim17ROCPRIM_400000_NS6detail17trampoline_kernelINS0_14default_configENS1_27scan_by_key_config_selectorIssEEZZNS1_16scan_by_key_implILNS1_25lookback_scan_determinismE0ELb1ES3_N6thrust23THRUST_200600_302600_NS6detail15normal_iteratorINS9_10device_ptrIsEEEESE_SE_sNS9_4plusIvEENS9_8equal_toIsEEsEE10hipError_tPvRmT2_T3_T4_T5_mT6_T7_P12ihipStream_tbENKUlT_T0_E_clISt17integral_constantIbLb1EESZ_EEDaSU_SV_EUlSU_E_NS1_11comp_targetILNS1_3genE3ELNS1_11target_archE908ELNS1_3gpuE7ELNS1_3repE0EEENS1_30default_config_static_selectorELNS0_4arch9wavefront6targetE0EEEvT1_.has_indirect_call, 0
	.section	.AMDGPU.csdata,"",@progbits
; Kernel info:
; codeLenInByte = 0
; TotalNumSgprs: 0
; NumVgprs: 0
; ScratchSize: 0
; MemoryBound: 0
; FloatMode: 240
; IeeeMode: 1
; LDSByteSize: 0 bytes/workgroup (compile time only)
; SGPRBlocks: 0
; VGPRBlocks: 0
; NumSGPRsForWavesPerEU: 1
; NumVGPRsForWavesPerEU: 1
; NamedBarCnt: 0
; Occupancy: 16
; WaveLimiterHint : 0
; COMPUTE_PGM_RSRC2:SCRATCH_EN: 0
; COMPUTE_PGM_RSRC2:USER_SGPR: 2
; COMPUTE_PGM_RSRC2:TRAP_HANDLER: 0
; COMPUTE_PGM_RSRC2:TGID_X_EN: 1
; COMPUTE_PGM_RSRC2:TGID_Y_EN: 0
; COMPUTE_PGM_RSRC2:TGID_Z_EN: 0
; COMPUTE_PGM_RSRC2:TIDIG_COMP_CNT: 0
	.section	.text._ZN7rocprim17ROCPRIM_400000_NS6detail17trampoline_kernelINS0_14default_configENS1_27scan_by_key_config_selectorIssEEZZNS1_16scan_by_key_implILNS1_25lookback_scan_determinismE0ELb1ES3_N6thrust23THRUST_200600_302600_NS6detail15normal_iteratorINS9_10device_ptrIsEEEESE_SE_sNS9_4plusIvEENS9_8equal_toIsEEsEE10hipError_tPvRmT2_T3_T4_T5_mT6_T7_P12ihipStream_tbENKUlT_T0_E_clISt17integral_constantIbLb1EESZ_EEDaSU_SV_EUlSU_E_NS1_11comp_targetILNS1_3genE2ELNS1_11target_archE906ELNS1_3gpuE6ELNS1_3repE0EEENS1_30default_config_static_selectorELNS0_4arch9wavefront6targetE0EEEvT1_,"axG",@progbits,_ZN7rocprim17ROCPRIM_400000_NS6detail17trampoline_kernelINS0_14default_configENS1_27scan_by_key_config_selectorIssEEZZNS1_16scan_by_key_implILNS1_25lookback_scan_determinismE0ELb1ES3_N6thrust23THRUST_200600_302600_NS6detail15normal_iteratorINS9_10device_ptrIsEEEESE_SE_sNS9_4plusIvEENS9_8equal_toIsEEsEE10hipError_tPvRmT2_T3_T4_T5_mT6_T7_P12ihipStream_tbENKUlT_T0_E_clISt17integral_constantIbLb1EESZ_EEDaSU_SV_EUlSU_E_NS1_11comp_targetILNS1_3genE2ELNS1_11target_archE906ELNS1_3gpuE6ELNS1_3repE0EEENS1_30default_config_static_selectorELNS0_4arch9wavefront6targetE0EEEvT1_,comdat
	.protected	_ZN7rocprim17ROCPRIM_400000_NS6detail17trampoline_kernelINS0_14default_configENS1_27scan_by_key_config_selectorIssEEZZNS1_16scan_by_key_implILNS1_25lookback_scan_determinismE0ELb1ES3_N6thrust23THRUST_200600_302600_NS6detail15normal_iteratorINS9_10device_ptrIsEEEESE_SE_sNS9_4plusIvEENS9_8equal_toIsEEsEE10hipError_tPvRmT2_T3_T4_T5_mT6_T7_P12ihipStream_tbENKUlT_T0_E_clISt17integral_constantIbLb1EESZ_EEDaSU_SV_EUlSU_E_NS1_11comp_targetILNS1_3genE2ELNS1_11target_archE906ELNS1_3gpuE6ELNS1_3repE0EEENS1_30default_config_static_selectorELNS0_4arch9wavefront6targetE0EEEvT1_ ; -- Begin function _ZN7rocprim17ROCPRIM_400000_NS6detail17trampoline_kernelINS0_14default_configENS1_27scan_by_key_config_selectorIssEEZZNS1_16scan_by_key_implILNS1_25lookback_scan_determinismE0ELb1ES3_N6thrust23THRUST_200600_302600_NS6detail15normal_iteratorINS9_10device_ptrIsEEEESE_SE_sNS9_4plusIvEENS9_8equal_toIsEEsEE10hipError_tPvRmT2_T3_T4_T5_mT6_T7_P12ihipStream_tbENKUlT_T0_E_clISt17integral_constantIbLb1EESZ_EEDaSU_SV_EUlSU_E_NS1_11comp_targetILNS1_3genE2ELNS1_11target_archE906ELNS1_3gpuE6ELNS1_3repE0EEENS1_30default_config_static_selectorELNS0_4arch9wavefront6targetE0EEEvT1_
	.globl	_ZN7rocprim17ROCPRIM_400000_NS6detail17trampoline_kernelINS0_14default_configENS1_27scan_by_key_config_selectorIssEEZZNS1_16scan_by_key_implILNS1_25lookback_scan_determinismE0ELb1ES3_N6thrust23THRUST_200600_302600_NS6detail15normal_iteratorINS9_10device_ptrIsEEEESE_SE_sNS9_4plusIvEENS9_8equal_toIsEEsEE10hipError_tPvRmT2_T3_T4_T5_mT6_T7_P12ihipStream_tbENKUlT_T0_E_clISt17integral_constantIbLb1EESZ_EEDaSU_SV_EUlSU_E_NS1_11comp_targetILNS1_3genE2ELNS1_11target_archE906ELNS1_3gpuE6ELNS1_3repE0EEENS1_30default_config_static_selectorELNS0_4arch9wavefront6targetE0EEEvT1_
	.p2align	8
	.type	_ZN7rocprim17ROCPRIM_400000_NS6detail17trampoline_kernelINS0_14default_configENS1_27scan_by_key_config_selectorIssEEZZNS1_16scan_by_key_implILNS1_25lookback_scan_determinismE0ELb1ES3_N6thrust23THRUST_200600_302600_NS6detail15normal_iteratorINS9_10device_ptrIsEEEESE_SE_sNS9_4plusIvEENS9_8equal_toIsEEsEE10hipError_tPvRmT2_T3_T4_T5_mT6_T7_P12ihipStream_tbENKUlT_T0_E_clISt17integral_constantIbLb1EESZ_EEDaSU_SV_EUlSU_E_NS1_11comp_targetILNS1_3genE2ELNS1_11target_archE906ELNS1_3gpuE6ELNS1_3repE0EEENS1_30default_config_static_selectorELNS0_4arch9wavefront6targetE0EEEvT1_,@function
_ZN7rocprim17ROCPRIM_400000_NS6detail17trampoline_kernelINS0_14default_configENS1_27scan_by_key_config_selectorIssEEZZNS1_16scan_by_key_implILNS1_25lookback_scan_determinismE0ELb1ES3_N6thrust23THRUST_200600_302600_NS6detail15normal_iteratorINS9_10device_ptrIsEEEESE_SE_sNS9_4plusIvEENS9_8equal_toIsEEsEE10hipError_tPvRmT2_T3_T4_T5_mT6_T7_P12ihipStream_tbENKUlT_T0_E_clISt17integral_constantIbLb1EESZ_EEDaSU_SV_EUlSU_E_NS1_11comp_targetILNS1_3genE2ELNS1_11target_archE906ELNS1_3gpuE6ELNS1_3repE0EEENS1_30default_config_static_selectorELNS0_4arch9wavefront6targetE0EEEvT1_: ; @_ZN7rocprim17ROCPRIM_400000_NS6detail17trampoline_kernelINS0_14default_configENS1_27scan_by_key_config_selectorIssEEZZNS1_16scan_by_key_implILNS1_25lookback_scan_determinismE0ELb1ES3_N6thrust23THRUST_200600_302600_NS6detail15normal_iteratorINS9_10device_ptrIsEEEESE_SE_sNS9_4plusIvEENS9_8equal_toIsEEsEE10hipError_tPvRmT2_T3_T4_T5_mT6_T7_P12ihipStream_tbENKUlT_T0_E_clISt17integral_constantIbLb1EESZ_EEDaSU_SV_EUlSU_E_NS1_11comp_targetILNS1_3genE2ELNS1_11target_archE906ELNS1_3gpuE6ELNS1_3repE0EEENS1_30default_config_static_selectorELNS0_4arch9wavefront6targetE0EEEvT1_
; %bb.0:
	.section	.rodata,"a",@progbits
	.p2align	6, 0x0
	.amdhsa_kernel _ZN7rocprim17ROCPRIM_400000_NS6detail17trampoline_kernelINS0_14default_configENS1_27scan_by_key_config_selectorIssEEZZNS1_16scan_by_key_implILNS1_25lookback_scan_determinismE0ELb1ES3_N6thrust23THRUST_200600_302600_NS6detail15normal_iteratorINS9_10device_ptrIsEEEESE_SE_sNS9_4plusIvEENS9_8equal_toIsEEsEE10hipError_tPvRmT2_T3_T4_T5_mT6_T7_P12ihipStream_tbENKUlT_T0_E_clISt17integral_constantIbLb1EESZ_EEDaSU_SV_EUlSU_E_NS1_11comp_targetILNS1_3genE2ELNS1_11target_archE906ELNS1_3gpuE6ELNS1_3repE0EEENS1_30default_config_static_selectorELNS0_4arch9wavefront6targetE0EEEvT1_
		.amdhsa_group_segment_fixed_size 0
		.amdhsa_private_segment_fixed_size 0
		.amdhsa_kernarg_size 112
		.amdhsa_user_sgpr_count 2
		.amdhsa_user_sgpr_dispatch_ptr 0
		.amdhsa_user_sgpr_queue_ptr 0
		.amdhsa_user_sgpr_kernarg_segment_ptr 1
		.amdhsa_user_sgpr_dispatch_id 0
		.amdhsa_user_sgpr_kernarg_preload_length 0
		.amdhsa_user_sgpr_kernarg_preload_offset 0
		.amdhsa_user_sgpr_private_segment_size 0
		.amdhsa_wavefront_size32 1
		.amdhsa_uses_dynamic_stack 0
		.amdhsa_enable_private_segment 0
		.amdhsa_system_sgpr_workgroup_id_x 1
		.amdhsa_system_sgpr_workgroup_id_y 0
		.amdhsa_system_sgpr_workgroup_id_z 0
		.amdhsa_system_sgpr_workgroup_info 0
		.amdhsa_system_vgpr_workitem_id 0
		.amdhsa_next_free_vgpr 1
		.amdhsa_next_free_sgpr 1
		.amdhsa_named_barrier_count 0
		.amdhsa_reserve_vcc 0
		.amdhsa_float_round_mode_32 0
		.amdhsa_float_round_mode_16_64 0
		.amdhsa_float_denorm_mode_32 3
		.amdhsa_float_denorm_mode_16_64 3
		.amdhsa_fp16_overflow 0
		.amdhsa_memory_ordered 1
		.amdhsa_forward_progress 1
		.amdhsa_inst_pref_size 0
		.amdhsa_round_robin_scheduling 0
		.amdhsa_exception_fp_ieee_invalid_op 0
		.amdhsa_exception_fp_denorm_src 0
		.amdhsa_exception_fp_ieee_div_zero 0
		.amdhsa_exception_fp_ieee_overflow 0
		.amdhsa_exception_fp_ieee_underflow 0
		.amdhsa_exception_fp_ieee_inexact 0
		.amdhsa_exception_int_div_zero 0
	.end_amdhsa_kernel
	.section	.text._ZN7rocprim17ROCPRIM_400000_NS6detail17trampoline_kernelINS0_14default_configENS1_27scan_by_key_config_selectorIssEEZZNS1_16scan_by_key_implILNS1_25lookback_scan_determinismE0ELb1ES3_N6thrust23THRUST_200600_302600_NS6detail15normal_iteratorINS9_10device_ptrIsEEEESE_SE_sNS9_4plusIvEENS9_8equal_toIsEEsEE10hipError_tPvRmT2_T3_T4_T5_mT6_T7_P12ihipStream_tbENKUlT_T0_E_clISt17integral_constantIbLb1EESZ_EEDaSU_SV_EUlSU_E_NS1_11comp_targetILNS1_3genE2ELNS1_11target_archE906ELNS1_3gpuE6ELNS1_3repE0EEENS1_30default_config_static_selectorELNS0_4arch9wavefront6targetE0EEEvT1_,"axG",@progbits,_ZN7rocprim17ROCPRIM_400000_NS6detail17trampoline_kernelINS0_14default_configENS1_27scan_by_key_config_selectorIssEEZZNS1_16scan_by_key_implILNS1_25lookback_scan_determinismE0ELb1ES3_N6thrust23THRUST_200600_302600_NS6detail15normal_iteratorINS9_10device_ptrIsEEEESE_SE_sNS9_4plusIvEENS9_8equal_toIsEEsEE10hipError_tPvRmT2_T3_T4_T5_mT6_T7_P12ihipStream_tbENKUlT_T0_E_clISt17integral_constantIbLb1EESZ_EEDaSU_SV_EUlSU_E_NS1_11comp_targetILNS1_3genE2ELNS1_11target_archE906ELNS1_3gpuE6ELNS1_3repE0EEENS1_30default_config_static_selectorELNS0_4arch9wavefront6targetE0EEEvT1_,comdat
.Lfunc_end655:
	.size	_ZN7rocprim17ROCPRIM_400000_NS6detail17trampoline_kernelINS0_14default_configENS1_27scan_by_key_config_selectorIssEEZZNS1_16scan_by_key_implILNS1_25lookback_scan_determinismE0ELb1ES3_N6thrust23THRUST_200600_302600_NS6detail15normal_iteratorINS9_10device_ptrIsEEEESE_SE_sNS9_4plusIvEENS9_8equal_toIsEEsEE10hipError_tPvRmT2_T3_T4_T5_mT6_T7_P12ihipStream_tbENKUlT_T0_E_clISt17integral_constantIbLb1EESZ_EEDaSU_SV_EUlSU_E_NS1_11comp_targetILNS1_3genE2ELNS1_11target_archE906ELNS1_3gpuE6ELNS1_3repE0EEENS1_30default_config_static_selectorELNS0_4arch9wavefront6targetE0EEEvT1_, .Lfunc_end655-_ZN7rocprim17ROCPRIM_400000_NS6detail17trampoline_kernelINS0_14default_configENS1_27scan_by_key_config_selectorIssEEZZNS1_16scan_by_key_implILNS1_25lookback_scan_determinismE0ELb1ES3_N6thrust23THRUST_200600_302600_NS6detail15normal_iteratorINS9_10device_ptrIsEEEESE_SE_sNS9_4plusIvEENS9_8equal_toIsEEsEE10hipError_tPvRmT2_T3_T4_T5_mT6_T7_P12ihipStream_tbENKUlT_T0_E_clISt17integral_constantIbLb1EESZ_EEDaSU_SV_EUlSU_E_NS1_11comp_targetILNS1_3genE2ELNS1_11target_archE906ELNS1_3gpuE6ELNS1_3repE0EEENS1_30default_config_static_selectorELNS0_4arch9wavefront6targetE0EEEvT1_
                                        ; -- End function
	.set _ZN7rocprim17ROCPRIM_400000_NS6detail17trampoline_kernelINS0_14default_configENS1_27scan_by_key_config_selectorIssEEZZNS1_16scan_by_key_implILNS1_25lookback_scan_determinismE0ELb1ES3_N6thrust23THRUST_200600_302600_NS6detail15normal_iteratorINS9_10device_ptrIsEEEESE_SE_sNS9_4plusIvEENS9_8equal_toIsEEsEE10hipError_tPvRmT2_T3_T4_T5_mT6_T7_P12ihipStream_tbENKUlT_T0_E_clISt17integral_constantIbLb1EESZ_EEDaSU_SV_EUlSU_E_NS1_11comp_targetILNS1_3genE2ELNS1_11target_archE906ELNS1_3gpuE6ELNS1_3repE0EEENS1_30default_config_static_selectorELNS0_4arch9wavefront6targetE0EEEvT1_.num_vgpr, 0
	.set _ZN7rocprim17ROCPRIM_400000_NS6detail17trampoline_kernelINS0_14default_configENS1_27scan_by_key_config_selectorIssEEZZNS1_16scan_by_key_implILNS1_25lookback_scan_determinismE0ELb1ES3_N6thrust23THRUST_200600_302600_NS6detail15normal_iteratorINS9_10device_ptrIsEEEESE_SE_sNS9_4plusIvEENS9_8equal_toIsEEsEE10hipError_tPvRmT2_T3_T4_T5_mT6_T7_P12ihipStream_tbENKUlT_T0_E_clISt17integral_constantIbLb1EESZ_EEDaSU_SV_EUlSU_E_NS1_11comp_targetILNS1_3genE2ELNS1_11target_archE906ELNS1_3gpuE6ELNS1_3repE0EEENS1_30default_config_static_selectorELNS0_4arch9wavefront6targetE0EEEvT1_.num_agpr, 0
	.set _ZN7rocprim17ROCPRIM_400000_NS6detail17trampoline_kernelINS0_14default_configENS1_27scan_by_key_config_selectorIssEEZZNS1_16scan_by_key_implILNS1_25lookback_scan_determinismE0ELb1ES3_N6thrust23THRUST_200600_302600_NS6detail15normal_iteratorINS9_10device_ptrIsEEEESE_SE_sNS9_4plusIvEENS9_8equal_toIsEEsEE10hipError_tPvRmT2_T3_T4_T5_mT6_T7_P12ihipStream_tbENKUlT_T0_E_clISt17integral_constantIbLb1EESZ_EEDaSU_SV_EUlSU_E_NS1_11comp_targetILNS1_3genE2ELNS1_11target_archE906ELNS1_3gpuE6ELNS1_3repE0EEENS1_30default_config_static_selectorELNS0_4arch9wavefront6targetE0EEEvT1_.numbered_sgpr, 0
	.set _ZN7rocprim17ROCPRIM_400000_NS6detail17trampoline_kernelINS0_14default_configENS1_27scan_by_key_config_selectorIssEEZZNS1_16scan_by_key_implILNS1_25lookback_scan_determinismE0ELb1ES3_N6thrust23THRUST_200600_302600_NS6detail15normal_iteratorINS9_10device_ptrIsEEEESE_SE_sNS9_4plusIvEENS9_8equal_toIsEEsEE10hipError_tPvRmT2_T3_T4_T5_mT6_T7_P12ihipStream_tbENKUlT_T0_E_clISt17integral_constantIbLb1EESZ_EEDaSU_SV_EUlSU_E_NS1_11comp_targetILNS1_3genE2ELNS1_11target_archE906ELNS1_3gpuE6ELNS1_3repE0EEENS1_30default_config_static_selectorELNS0_4arch9wavefront6targetE0EEEvT1_.num_named_barrier, 0
	.set _ZN7rocprim17ROCPRIM_400000_NS6detail17trampoline_kernelINS0_14default_configENS1_27scan_by_key_config_selectorIssEEZZNS1_16scan_by_key_implILNS1_25lookback_scan_determinismE0ELb1ES3_N6thrust23THRUST_200600_302600_NS6detail15normal_iteratorINS9_10device_ptrIsEEEESE_SE_sNS9_4plusIvEENS9_8equal_toIsEEsEE10hipError_tPvRmT2_T3_T4_T5_mT6_T7_P12ihipStream_tbENKUlT_T0_E_clISt17integral_constantIbLb1EESZ_EEDaSU_SV_EUlSU_E_NS1_11comp_targetILNS1_3genE2ELNS1_11target_archE906ELNS1_3gpuE6ELNS1_3repE0EEENS1_30default_config_static_selectorELNS0_4arch9wavefront6targetE0EEEvT1_.private_seg_size, 0
	.set _ZN7rocprim17ROCPRIM_400000_NS6detail17trampoline_kernelINS0_14default_configENS1_27scan_by_key_config_selectorIssEEZZNS1_16scan_by_key_implILNS1_25lookback_scan_determinismE0ELb1ES3_N6thrust23THRUST_200600_302600_NS6detail15normal_iteratorINS9_10device_ptrIsEEEESE_SE_sNS9_4plusIvEENS9_8equal_toIsEEsEE10hipError_tPvRmT2_T3_T4_T5_mT6_T7_P12ihipStream_tbENKUlT_T0_E_clISt17integral_constantIbLb1EESZ_EEDaSU_SV_EUlSU_E_NS1_11comp_targetILNS1_3genE2ELNS1_11target_archE906ELNS1_3gpuE6ELNS1_3repE0EEENS1_30default_config_static_selectorELNS0_4arch9wavefront6targetE0EEEvT1_.uses_vcc, 0
	.set _ZN7rocprim17ROCPRIM_400000_NS6detail17trampoline_kernelINS0_14default_configENS1_27scan_by_key_config_selectorIssEEZZNS1_16scan_by_key_implILNS1_25lookback_scan_determinismE0ELb1ES3_N6thrust23THRUST_200600_302600_NS6detail15normal_iteratorINS9_10device_ptrIsEEEESE_SE_sNS9_4plusIvEENS9_8equal_toIsEEsEE10hipError_tPvRmT2_T3_T4_T5_mT6_T7_P12ihipStream_tbENKUlT_T0_E_clISt17integral_constantIbLb1EESZ_EEDaSU_SV_EUlSU_E_NS1_11comp_targetILNS1_3genE2ELNS1_11target_archE906ELNS1_3gpuE6ELNS1_3repE0EEENS1_30default_config_static_selectorELNS0_4arch9wavefront6targetE0EEEvT1_.uses_flat_scratch, 0
	.set _ZN7rocprim17ROCPRIM_400000_NS6detail17trampoline_kernelINS0_14default_configENS1_27scan_by_key_config_selectorIssEEZZNS1_16scan_by_key_implILNS1_25lookback_scan_determinismE0ELb1ES3_N6thrust23THRUST_200600_302600_NS6detail15normal_iteratorINS9_10device_ptrIsEEEESE_SE_sNS9_4plusIvEENS9_8equal_toIsEEsEE10hipError_tPvRmT2_T3_T4_T5_mT6_T7_P12ihipStream_tbENKUlT_T0_E_clISt17integral_constantIbLb1EESZ_EEDaSU_SV_EUlSU_E_NS1_11comp_targetILNS1_3genE2ELNS1_11target_archE906ELNS1_3gpuE6ELNS1_3repE0EEENS1_30default_config_static_selectorELNS0_4arch9wavefront6targetE0EEEvT1_.has_dyn_sized_stack, 0
	.set _ZN7rocprim17ROCPRIM_400000_NS6detail17trampoline_kernelINS0_14default_configENS1_27scan_by_key_config_selectorIssEEZZNS1_16scan_by_key_implILNS1_25lookback_scan_determinismE0ELb1ES3_N6thrust23THRUST_200600_302600_NS6detail15normal_iteratorINS9_10device_ptrIsEEEESE_SE_sNS9_4plusIvEENS9_8equal_toIsEEsEE10hipError_tPvRmT2_T3_T4_T5_mT6_T7_P12ihipStream_tbENKUlT_T0_E_clISt17integral_constantIbLb1EESZ_EEDaSU_SV_EUlSU_E_NS1_11comp_targetILNS1_3genE2ELNS1_11target_archE906ELNS1_3gpuE6ELNS1_3repE0EEENS1_30default_config_static_selectorELNS0_4arch9wavefront6targetE0EEEvT1_.has_recursion, 0
	.set _ZN7rocprim17ROCPRIM_400000_NS6detail17trampoline_kernelINS0_14default_configENS1_27scan_by_key_config_selectorIssEEZZNS1_16scan_by_key_implILNS1_25lookback_scan_determinismE0ELb1ES3_N6thrust23THRUST_200600_302600_NS6detail15normal_iteratorINS9_10device_ptrIsEEEESE_SE_sNS9_4plusIvEENS9_8equal_toIsEEsEE10hipError_tPvRmT2_T3_T4_T5_mT6_T7_P12ihipStream_tbENKUlT_T0_E_clISt17integral_constantIbLb1EESZ_EEDaSU_SV_EUlSU_E_NS1_11comp_targetILNS1_3genE2ELNS1_11target_archE906ELNS1_3gpuE6ELNS1_3repE0EEENS1_30default_config_static_selectorELNS0_4arch9wavefront6targetE0EEEvT1_.has_indirect_call, 0
	.section	.AMDGPU.csdata,"",@progbits
; Kernel info:
; codeLenInByte = 0
; TotalNumSgprs: 0
; NumVgprs: 0
; ScratchSize: 0
; MemoryBound: 0
; FloatMode: 240
; IeeeMode: 1
; LDSByteSize: 0 bytes/workgroup (compile time only)
; SGPRBlocks: 0
; VGPRBlocks: 0
; NumSGPRsForWavesPerEU: 1
; NumVGPRsForWavesPerEU: 1
; NamedBarCnt: 0
; Occupancy: 16
; WaveLimiterHint : 0
; COMPUTE_PGM_RSRC2:SCRATCH_EN: 0
; COMPUTE_PGM_RSRC2:USER_SGPR: 2
; COMPUTE_PGM_RSRC2:TRAP_HANDLER: 0
; COMPUTE_PGM_RSRC2:TGID_X_EN: 1
; COMPUTE_PGM_RSRC2:TGID_Y_EN: 0
; COMPUTE_PGM_RSRC2:TGID_Z_EN: 0
; COMPUTE_PGM_RSRC2:TIDIG_COMP_CNT: 0
	.section	.text._ZN7rocprim17ROCPRIM_400000_NS6detail17trampoline_kernelINS0_14default_configENS1_27scan_by_key_config_selectorIssEEZZNS1_16scan_by_key_implILNS1_25lookback_scan_determinismE0ELb1ES3_N6thrust23THRUST_200600_302600_NS6detail15normal_iteratorINS9_10device_ptrIsEEEESE_SE_sNS9_4plusIvEENS9_8equal_toIsEEsEE10hipError_tPvRmT2_T3_T4_T5_mT6_T7_P12ihipStream_tbENKUlT_T0_E_clISt17integral_constantIbLb1EESZ_EEDaSU_SV_EUlSU_E_NS1_11comp_targetILNS1_3genE10ELNS1_11target_archE1200ELNS1_3gpuE4ELNS1_3repE0EEENS1_30default_config_static_selectorELNS0_4arch9wavefront6targetE0EEEvT1_,"axG",@progbits,_ZN7rocprim17ROCPRIM_400000_NS6detail17trampoline_kernelINS0_14default_configENS1_27scan_by_key_config_selectorIssEEZZNS1_16scan_by_key_implILNS1_25lookback_scan_determinismE0ELb1ES3_N6thrust23THRUST_200600_302600_NS6detail15normal_iteratorINS9_10device_ptrIsEEEESE_SE_sNS9_4plusIvEENS9_8equal_toIsEEsEE10hipError_tPvRmT2_T3_T4_T5_mT6_T7_P12ihipStream_tbENKUlT_T0_E_clISt17integral_constantIbLb1EESZ_EEDaSU_SV_EUlSU_E_NS1_11comp_targetILNS1_3genE10ELNS1_11target_archE1200ELNS1_3gpuE4ELNS1_3repE0EEENS1_30default_config_static_selectorELNS0_4arch9wavefront6targetE0EEEvT1_,comdat
	.protected	_ZN7rocprim17ROCPRIM_400000_NS6detail17trampoline_kernelINS0_14default_configENS1_27scan_by_key_config_selectorIssEEZZNS1_16scan_by_key_implILNS1_25lookback_scan_determinismE0ELb1ES3_N6thrust23THRUST_200600_302600_NS6detail15normal_iteratorINS9_10device_ptrIsEEEESE_SE_sNS9_4plusIvEENS9_8equal_toIsEEsEE10hipError_tPvRmT2_T3_T4_T5_mT6_T7_P12ihipStream_tbENKUlT_T0_E_clISt17integral_constantIbLb1EESZ_EEDaSU_SV_EUlSU_E_NS1_11comp_targetILNS1_3genE10ELNS1_11target_archE1200ELNS1_3gpuE4ELNS1_3repE0EEENS1_30default_config_static_selectorELNS0_4arch9wavefront6targetE0EEEvT1_ ; -- Begin function _ZN7rocprim17ROCPRIM_400000_NS6detail17trampoline_kernelINS0_14default_configENS1_27scan_by_key_config_selectorIssEEZZNS1_16scan_by_key_implILNS1_25lookback_scan_determinismE0ELb1ES3_N6thrust23THRUST_200600_302600_NS6detail15normal_iteratorINS9_10device_ptrIsEEEESE_SE_sNS9_4plusIvEENS9_8equal_toIsEEsEE10hipError_tPvRmT2_T3_T4_T5_mT6_T7_P12ihipStream_tbENKUlT_T0_E_clISt17integral_constantIbLb1EESZ_EEDaSU_SV_EUlSU_E_NS1_11comp_targetILNS1_3genE10ELNS1_11target_archE1200ELNS1_3gpuE4ELNS1_3repE0EEENS1_30default_config_static_selectorELNS0_4arch9wavefront6targetE0EEEvT1_
	.globl	_ZN7rocprim17ROCPRIM_400000_NS6detail17trampoline_kernelINS0_14default_configENS1_27scan_by_key_config_selectorIssEEZZNS1_16scan_by_key_implILNS1_25lookback_scan_determinismE0ELb1ES3_N6thrust23THRUST_200600_302600_NS6detail15normal_iteratorINS9_10device_ptrIsEEEESE_SE_sNS9_4plusIvEENS9_8equal_toIsEEsEE10hipError_tPvRmT2_T3_T4_T5_mT6_T7_P12ihipStream_tbENKUlT_T0_E_clISt17integral_constantIbLb1EESZ_EEDaSU_SV_EUlSU_E_NS1_11comp_targetILNS1_3genE10ELNS1_11target_archE1200ELNS1_3gpuE4ELNS1_3repE0EEENS1_30default_config_static_selectorELNS0_4arch9wavefront6targetE0EEEvT1_
	.p2align	8
	.type	_ZN7rocprim17ROCPRIM_400000_NS6detail17trampoline_kernelINS0_14default_configENS1_27scan_by_key_config_selectorIssEEZZNS1_16scan_by_key_implILNS1_25lookback_scan_determinismE0ELb1ES3_N6thrust23THRUST_200600_302600_NS6detail15normal_iteratorINS9_10device_ptrIsEEEESE_SE_sNS9_4plusIvEENS9_8equal_toIsEEsEE10hipError_tPvRmT2_T3_T4_T5_mT6_T7_P12ihipStream_tbENKUlT_T0_E_clISt17integral_constantIbLb1EESZ_EEDaSU_SV_EUlSU_E_NS1_11comp_targetILNS1_3genE10ELNS1_11target_archE1200ELNS1_3gpuE4ELNS1_3repE0EEENS1_30default_config_static_selectorELNS0_4arch9wavefront6targetE0EEEvT1_,@function
_ZN7rocprim17ROCPRIM_400000_NS6detail17trampoline_kernelINS0_14default_configENS1_27scan_by_key_config_selectorIssEEZZNS1_16scan_by_key_implILNS1_25lookback_scan_determinismE0ELb1ES3_N6thrust23THRUST_200600_302600_NS6detail15normal_iteratorINS9_10device_ptrIsEEEESE_SE_sNS9_4plusIvEENS9_8equal_toIsEEsEE10hipError_tPvRmT2_T3_T4_T5_mT6_T7_P12ihipStream_tbENKUlT_T0_E_clISt17integral_constantIbLb1EESZ_EEDaSU_SV_EUlSU_E_NS1_11comp_targetILNS1_3genE10ELNS1_11target_archE1200ELNS1_3gpuE4ELNS1_3repE0EEENS1_30default_config_static_selectorELNS0_4arch9wavefront6targetE0EEEvT1_: ; @_ZN7rocprim17ROCPRIM_400000_NS6detail17trampoline_kernelINS0_14default_configENS1_27scan_by_key_config_selectorIssEEZZNS1_16scan_by_key_implILNS1_25lookback_scan_determinismE0ELb1ES3_N6thrust23THRUST_200600_302600_NS6detail15normal_iteratorINS9_10device_ptrIsEEEESE_SE_sNS9_4plusIvEENS9_8equal_toIsEEsEE10hipError_tPvRmT2_T3_T4_T5_mT6_T7_P12ihipStream_tbENKUlT_T0_E_clISt17integral_constantIbLb1EESZ_EEDaSU_SV_EUlSU_E_NS1_11comp_targetILNS1_3genE10ELNS1_11target_archE1200ELNS1_3gpuE4ELNS1_3repE0EEENS1_30default_config_static_selectorELNS0_4arch9wavefront6targetE0EEEvT1_
; %bb.0:
	.section	.rodata,"a",@progbits
	.p2align	6, 0x0
	.amdhsa_kernel _ZN7rocprim17ROCPRIM_400000_NS6detail17trampoline_kernelINS0_14default_configENS1_27scan_by_key_config_selectorIssEEZZNS1_16scan_by_key_implILNS1_25lookback_scan_determinismE0ELb1ES3_N6thrust23THRUST_200600_302600_NS6detail15normal_iteratorINS9_10device_ptrIsEEEESE_SE_sNS9_4plusIvEENS9_8equal_toIsEEsEE10hipError_tPvRmT2_T3_T4_T5_mT6_T7_P12ihipStream_tbENKUlT_T0_E_clISt17integral_constantIbLb1EESZ_EEDaSU_SV_EUlSU_E_NS1_11comp_targetILNS1_3genE10ELNS1_11target_archE1200ELNS1_3gpuE4ELNS1_3repE0EEENS1_30default_config_static_selectorELNS0_4arch9wavefront6targetE0EEEvT1_
		.amdhsa_group_segment_fixed_size 0
		.amdhsa_private_segment_fixed_size 0
		.amdhsa_kernarg_size 112
		.amdhsa_user_sgpr_count 2
		.amdhsa_user_sgpr_dispatch_ptr 0
		.amdhsa_user_sgpr_queue_ptr 0
		.amdhsa_user_sgpr_kernarg_segment_ptr 1
		.amdhsa_user_sgpr_dispatch_id 0
		.amdhsa_user_sgpr_kernarg_preload_length 0
		.amdhsa_user_sgpr_kernarg_preload_offset 0
		.amdhsa_user_sgpr_private_segment_size 0
		.amdhsa_wavefront_size32 1
		.amdhsa_uses_dynamic_stack 0
		.amdhsa_enable_private_segment 0
		.amdhsa_system_sgpr_workgroup_id_x 1
		.amdhsa_system_sgpr_workgroup_id_y 0
		.amdhsa_system_sgpr_workgroup_id_z 0
		.amdhsa_system_sgpr_workgroup_info 0
		.amdhsa_system_vgpr_workitem_id 0
		.amdhsa_next_free_vgpr 1
		.amdhsa_next_free_sgpr 1
		.amdhsa_named_barrier_count 0
		.amdhsa_reserve_vcc 0
		.amdhsa_float_round_mode_32 0
		.amdhsa_float_round_mode_16_64 0
		.amdhsa_float_denorm_mode_32 3
		.amdhsa_float_denorm_mode_16_64 3
		.amdhsa_fp16_overflow 0
		.amdhsa_memory_ordered 1
		.amdhsa_forward_progress 1
		.amdhsa_inst_pref_size 0
		.amdhsa_round_robin_scheduling 0
		.amdhsa_exception_fp_ieee_invalid_op 0
		.amdhsa_exception_fp_denorm_src 0
		.amdhsa_exception_fp_ieee_div_zero 0
		.amdhsa_exception_fp_ieee_overflow 0
		.amdhsa_exception_fp_ieee_underflow 0
		.amdhsa_exception_fp_ieee_inexact 0
		.amdhsa_exception_int_div_zero 0
	.end_amdhsa_kernel
	.section	.text._ZN7rocprim17ROCPRIM_400000_NS6detail17trampoline_kernelINS0_14default_configENS1_27scan_by_key_config_selectorIssEEZZNS1_16scan_by_key_implILNS1_25lookback_scan_determinismE0ELb1ES3_N6thrust23THRUST_200600_302600_NS6detail15normal_iteratorINS9_10device_ptrIsEEEESE_SE_sNS9_4plusIvEENS9_8equal_toIsEEsEE10hipError_tPvRmT2_T3_T4_T5_mT6_T7_P12ihipStream_tbENKUlT_T0_E_clISt17integral_constantIbLb1EESZ_EEDaSU_SV_EUlSU_E_NS1_11comp_targetILNS1_3genE10ELNS1_11target_archE1200ELNS1_3gpuE4ELNS1_3repE0EEENS1_30default_config_static_selectorELNS0_4arch9wavefront6targetE0EEEvT1_,"axG",@progbits,_ZN7rocprim17ROCPRIM_400000_NS6detail17trampoline_kernelINS0_14default_configENS1_27scan_by_key_config_selectorIssEEZZNS1_16scan_by_key_implILNS1_25lookback_scan_determinismE0ELb1ES3_N6thrust23THRUST_200600_302600_NS6detail15normal_iteratorINS9_10device_ptrIsEEEESE_SE_sNS9_4plusIvEENS9_8equal_toIsEEsEE10hipError_tPvRmT2_T3_T4_T5_mT6_T7_P12ihipStream_tbENKUlT_T0_E_clISt17integral_constantIbLb1EESZ_EEDaSU_SV_EUlSU_E_NS1_11comp_targetILNS1_3genE10ELNS1_11target_archE1200ELNS1_3gpuE4ELNS1_3repE0EEENS1_30default_config_static_selectorELNS0_4arch9wavefront6targetE0EEEvT1_,comdat
.Lfunc_end656:
	.size	_ZN7rocprim17ROCPRIM_400000_NS6detail17trampoline_kernelINS0_14default_configENS1_27scan_by_key_config_selectorIssEEZZNS1_16scan_by_key_implILNS1_25lookback_scan_determinismE0ELb1ES3_N6thrust23THRUST_200600_302600_NS6detail15normal_iteratorINS9_10device_ptrIsEEEESE_SE_sNS9_4plusIvEENS9_8equal_toIsEEsEE10hipError_tPvRmT2_T3_T4_T5_mT6_T7_P12ihipStream_tbENKUlT_T0_E_clISt17integral_constantIbLb1EESZ_EEDaSU_SV_EUlSU_E_NS1_11comp_targetILNS1_3genE10ELNS1_11target_archE1200ELNS1_3gpuE4ELNS1_3repE0EEENS1_30default_config_static_selectorELNS0_4arch9wavefront6targetE0EEEvT1_, .Lfunc_end656-_ZN7rocprim17ROCPRIM_400000_NS6detail17trampoline_kernelINS0_14default_configENS1_27scan_by_key_config_selectorIssEEZZNS1_16scan_by_key_implILNS1_25lookback_scan_determinismE0ELb1ES3_N6thrust23THRUST_200600_302600_NS6detail15normal_iteratorINS9_10device_ptrIsEEEESE_SE_sNS9_4plusIvEENS9_8equal_toIsEEsEE10hipError_tPvRmT2_T3_T4_T5_mT6_T7_P12ihipStream_tbENKUlT_T0_E_clISt17integral_constantIbLb1EESZ_EEDaSU_SV_EUlSU_E_NS1_11comp_targetILNS1_3genE10ELNS1_11target_archE1200ELNS1_3gpuE4ELNS1_3repE0EEENS1_30default_config_static_selectorELNS0_4arch9wavefront6targetE0EEEvT1_
                                        ; -- End function
	.set _ZN7rocprim17ROCPRIM_400000_NS6detail17trampoline_kernelINS0_14default_configENS1_27scan_by_key_config_selectorIssEEZZNS1_16scan_by_key_implILNS1_25lookback_scan_determinismE0ELb1ES3_N6thrust23THRUST_200600_302600_NS6detail15normal_iteratorINS9_10device_ptrIsEEEESE_SE_sNS9_4plusIvEENS9_8equal_toIsEEsEE10hipError_tPvRmT2_T3_T4_T5_mT6_T7_P12ihipStream_tbENKUlT_T0_E_clISt17integral_constantIbLb1EESZ_EEDaSU_SV_EUlSU_E_NS1_11comp_targetILNS1_3genE10ELNS1_11target_archE1200ELNS1_3gpuE4ELNS1_3repE0EEENS1_30default_config_static_selectorELNS0_4arch9wavefront6targetE0EEEvT1_.num_vgpr, 0
	.set _ZN7rocprim17ROCPRIM_400000_NS6detail17trampoline_kernelINS0_14default_configENS1_27scan_by_key_config_selectorIssEEZZNS1_16scan_by_key_implILNS1_25lookback_scan_determinismE0ELb1ES3_N6thrust23THRUST_200600_302600_NS6detail15normal_iteratorINS9_10device_ptrIsEEEESE_SE_sNS9_4plusIvEENS9_8equal_toIsEEsEE10hipError_tPvRmT2_T3_T4_T5_mT6_T7_P12ihipStream_tbENKUlT_T0_E_clISt17integral_constantIbLb1EESZ_EEDaSU_SV_EUlSU_E_NS1_11comp_targetILNS1_3genE10ELNS1_11target_archE1200ELNS1_3gpuE4ELNS1_3repE0EEENS1_30default_config_static_selectorELNS0_4arch9wavefront6targetE0EEEvT1_.num_agpr, 0
	.set _ZN7rocprim17ROCPRIM_400000_NS6detail17trampoline_kernelINS0_14default_configENS1_27scan_by_key_config_selectorIssEEZZNS1_16scan_by_key_implILNS1_25lookback_scan_determinismE0ELb1ES3_N6thrust23THRUST_200600_302600_NS6detail15normal_iteratorINS9_10device_ptrIsEEEESE_SE_sNS9_4plusIvEENS9_8equal_toIsEEsEE10hipError_tPvRmT2_T3_T4_T5_mT6_T7_P12ihipStream_tbENKUlT_T0_E_clISt17integral_constantIbLb1EESZ_EEDaSU_SV_EUlSU_E_NS1_11comp_targetILNS1_3genE10ELNS1_11target_archE1200ELNS1_3gpuE4ELNS1_3repE0EEENS1_30default_config_static_selectorELNS0_4arch9wavefront6targetE0EEEvT1_.numbered_sgpr, 0
	.set _ZN7rocprim17ROCPRIM_400000_NS6detail17trampoline_kernelINS0_14default_configENS1_27scan_by_key_config_selectorIssEEZZNS1_16scan_by_key_implILNS1_25lookback_scan_determinismE0ELb1ES3_N6thrust23THRUST_200600_302600_NS6detail15normal_iteratorINS9_10device_ptrIsEEEESE_SE_sNS9_4plusIvEENS9_8equal_toIsEEsEE10hipError_tPvRmT2_T3_T4_T5_mT6_T7_P12ihipStream_tbENKUlT_T0_E_clISt17integral_constantIbLb1EESZ_EEDaSU_SV_EUlSU_E_NS1_11comp_targetILNS1_3genE10ELNS1_11target_archE1200ELNS1_3gpuE4ELNS1_3repE0EEENS1_30default_config_static_selectorELNS0_4arch9wavefront6targetE0EEEvT1_.num_named_barrier, 0
	.set _ZN7rocprim17ROCPRIM_400000_NS6detail17trampoline_kernelINS0_14default_configENS1_27scan_by_key_config_selectorIssEEZZNS1_16scan_by_key_implILNS1_25lookback_scan_determinismE0ELb1ES3_N6thrust23THRUST_200600_302600_NS6detail15normal_iteratorINS9_10device_ptrIsEEEESE_SE_sNS9_4plusIvEENS9_8equal_toIsEEsEE10hipError_tPvRmT2_T3_T4_T5_mT6_T7_P12ihipStream_tbENKUlT_T0_E_clISt17integral_constantIbLb1EESZ_EEDaSU_SV_EUlSU_E_NS1_11comp_targetILNS1_3genE10ELNS1_11target_archE1200ELNS1_3gpuE4ELNS1_3repE0EEENS1_30default_config_static_selectorELNS0_4arch9wavefront6targetE0EEEvT1_.private_seg_size, 0
	.set _ZN7rocprim17ROCPRIM_400000_NS6detail17trampoline_kernelINS0_14default_configENS1_27scan_by_key_config_selectorIssEEZZNS1_16scan_by_key_implILNS1_25lookback_scan_determinismE0ELb1ES3_N6thrust23THRUST_200600_302600_NS6detail15normal_iteratorINS9_10device_ptrIsEEEESE_SE_sNS9_4plusIvEENS9_8equal_toIsEEsEE10hipError_tPvRmT2_T3_T4_T5_mT6_T7_P12ihipStream_tbENKUlT_T0_E_clISt17integral_constantIbLb1EESZ_EEDaSU_SV_EUlSU_E_NS1_11comp_targetILNS1_3genE10ELNS1_11target_archE1200ELNS1_3gpuE4ELNS1_3repE0EEENS1_30default_config_static_selectorELNS0_4arch9wavefront6targetE0EEEvT1_.uses_vcc, 0
	.set _ZN7rocprim17ROCPRIM_400000_NS6detail17trampoline_kernelINS0_14default_configENS1_27scan_by_key_config_selectorIssEEZZNS1_16scan_by_key_implILNS1_25lookback_scan_determinismE0ELb1ES3_N6thrust23THRUST_200600_302600_NS6detail15normal_iteratorINS9_10device_ptrIsEEEESE_SE_sNS9_4plusIvEENS9_8equal_toIsEEsEE10hipError_tPvRmT2_T3_T4_T5_mT6_T7_P12ihipStream_tbENKUlT_T0_E_clISt17integral_constantIbLb1EESZ_EEDaSU_SV_EUlSU_E_NS1_11comp_targetILNS1_3genE10ELNS1_11target_archE1200ELNS1_3gpuE4ELNS1_3repE0EEENS1_30default_config_static_selectorELNS0_4arch9wavefront6targetE0EEEvT1_.uses_flat_scratch, 0
	.set _ZN7rocprim17ROCPRIM_400000_NS6detail17trampoline_kernelINS0_14default_configENS1_27scan_by_key_config_selectorIssEEZZNS1_16scan_by_key_implILNS1_25lookback_scan_determinismE0ELb1ES3_N6thrust23THRUST_200600_302600_NS6detail15normal_iteratorINS9_10device_ptrIsEEEESE_SE_sNS9_4plusIvEENS9_8equal_toIsEEsEE10hipError_tPvRmT2_T3_T4_T5_mT6_T7_P12ihipStream_tbENKUlT_T0_E_clISt17integral_constantIbLb1EESZ_EEDaSU_SV_EUlSU_E_NS1_11comp_targetILNS1_3genE10ELNS1_11target_archE1200ELNS1_3gpuE4ELNS1_3repE0EEENS1_30default_config_static_selectorELNS0_4arch9wavefront6targetE0EEEvT1_.has_dyn_sized_stack, 0
	.set _ZN7rocprim17ROCPRIM_400000_NS6detail17trampoline_kernelINS0_14default_configENS1_27scan_by_key_config_selectorIssEEZZNS1_16scan_by_key_implILNS1_25lookback_scan_determinismE0ELb1ES3_N6thrust23THRUST_200600_302600_NS6detail15normal_iteratorINS9_10device_ptrIsEEEESE_SE_sNS9_4plusIvEENS9_8equal_toIsEEsEE10hipError_tPvRmT2_T3_T4_T5_mT6_T7_P12ihipStream_tbENKUlT_T0_E_clISt17integral_constantIbLb1EESZ_EEDaSU_SV_EUlSU_E_NS1_11comp_targetILNS1_3genE10ELNS1_11target_archE1200ELNS1_3gpuE4ELNS1_3repE0EEENS1_30default_config_static_selectorELNS0_4arch9wavefront6targetE0EEEvT1_.has_recursion, 0
	.set _ZN7rocprim17ROCPRIM_400000_NS6detail17trampoline_kernelINS0_14default_configENS1_27scan_by_key_config_selectorIssEEZZNS1_16scan_by_key_implILNS1_25lookback_scan_determinismE0ELb1ES3_N6thrust23THRUST_200600_302600_NS6detail15normal_iteratorINS9_10device_ptrIsEEEESE_SE_sNS9_4plusIvEENS9_8equal_toIsEEsEE10hipError_tPvRmT2_T3_T4_T5_mT6_T7_P12ihipStream_tbENKUlT_T0_E_clISt17integral_constantIbLb1EESZ_EEDaSU_SV_EUlSU_E_NS1_11comp_targetILNS1_3genE10ELNS1_11target_archE1200ELNS1_3gpuE4ELNS1_3repE0EEENS1_30default_config_static_selectorELNS0_4arch9wavefront6targetE0EEEvT1_.has_indirect_call, 0
	.section	.AMDGPU.csdata,"",@progbits
; Kernel info:
; codeLenInByte = 0
; TotalNumSgprs: 0
; NumVgprs: 0
; ScratchSize: 0
; MemoryBound: 0
; FloatMode: 240
; IeeeMode: 1
; LDSByteSize: 0 bytes/workgroup (compile time only)
; SGPRBlocks: 0
; VGPRBlocks: 0
; NumSGPRsForWavesPerEU: 1
; NumVGPRsForWavesPerEU: 1
; NamedBarCnt: 0
; Occupancy: 16
; WaveLimiterHint : 0
; COMPUTE_PGM_RSRC2:SCRATCH_EN: 0
; COMPUTE_PGM_RSRC2:USER_SGPR: 2
; COMPUTE_PGM_RSRC2:TRAP_HANDLER: 0
; COMPUTE_PGM_RSRC2:TGID_X_EN: 1
; COMPUTE_PGM_RSRC2:TGID_Y_EN: 0
; COMPUTE_PGM_RSRC2:TGID_Z_EN: 0
; COMPUTE_PGM_RSRC2:TIDIG_COMP_CNT: 0
	.section	.text._ZN7rocprim17ROCPRIM_400000_NS6detail17trampoline_kernelINS0_14default_configENS1_27scan_by_key_config_selectorIssEEZZNS1_16scan_by_key_implILNS1_25lookback_scan_determinismE0ELb1ES3_N6thrust23THRUST_200600_302600_NS6detail15normal_iteratorINS9_10device_ptrIsEEEESE_SE_sNS9_4plusIvEENS9_8equal_toIsEEsEE10hipError_tPvRmT2_T3_T4_T5_mT6_T7_P12ihipStream_tbENKUlT_T0_E_clISt17integral_constantIbLb1EESZ_EEDaSU_SV_EUlSU_E_NS1_11comp_targetILNS1_3genE9ELNS1_11target_archE1100ELNS1_3gpuE3ELNS1_3repE0EEENS1_30default_config_static_selectorELNS0_4arch9wavefront6targetE0EEEvT1_,"axG",@progbits,_ZN7rocprim17ROCPRIM_400000_NS6detail17trampoline_kernelINS0_14default_configENS1_27scan_by_key_config_selectorIssEEZZNS1_16scan_by_key_implILNS1_25lookback_scan_determinismE0ELb1ES3_N6thrust23THRUST_200600_302600_NS6detail15normal_iteratorINS9_10device_ptrIsEEEESE_SE_sNS9_4plusIvEENS9_8equal_toIsEEsEE10hipError_tPvRmT2_T3_T4_T5_mT6_T7_P12ihipStream_tbENKUlT_T0_E_clISt17integral_constantIbLb1EESZ_EEDaSU_SV_EUlSU_E_NS1_11comp_targetILNS1_3genE9ELNS1_11target_archE1100ELNS1_3gpuE3ELNS1_3repE0EEENS1_30default_config_static_selectorELNS0_4arch9wavefront6targetE0EEEvT1_,comdat
	.protected	_ZN7rocprim17ROCPRIM_400000_NS6detail17trampoline_kernelINS0_14default_configENS1_27scan_by_key_config_selectorIssEEZZNS1_16scan_by_key_implILNS1_25lookback_scan_determinismE0ELb1ES3_N6thrust23THRUST_200600_302600_NS6detail15normal_iteratorINS9_10device_ptrIsEEEESE_SE_sNS9_4plusIvEENS9_8equal_toIsEEsEE10hipError_tPvRmT2_T3_T4_T5_mT6_T7_P12ihipStream_tbENKUlT_T0_E_clISt17integral_constantIbLb1EESZ_EEDaSU_SV_EUlSU_E_NS1_11comp_targetILNS1_3genE9ELNS1_11target_archE1100ELNS1_3gpuE3ELNS1_3repE0EEENS1_30default_config_static_selectorELNS0_4arch9wavefront6targetE0EEEvT1_ ; -- Begin function _ZN7rocprim17ROCPRIM_400000_NS6detail17trampoline_kernelINS0_14default_configENS1_27scan_by_key_config_selectorIssEEZZNS1_16scan_by_key_implILNS1_25lookback_scan_determinismE0ELb1ES3_N6thrust23THRUST_200600_302600_NS6detail15normal_iteratorINS9_10device_ptrIsEEEESE_SE_sNS9_4plusIvEENS9_8equal_toIsEEsEE10hipError_tPvRmT2_T3_T4_T5_mT6_T7_P12ihipStream_tbENKUlT_T0_E_clISt17integral_constantIbLb1EESZ_EEDaSU_SV_EUlSU_E_NS1_11comp_targetILNS1_3genE9ELNS1_11target_archE1100ELNS1_3gpuE3ELNS1_3repE0EEENS1_30default_config_static_selectorELNS0_4arch9wavefront6targetE0EEEvT1_
	.globl	_ZN7rocprim17ROCPRIM_400000_NS6detail17trampoline_kernelINS0_14default_configENS1_27scan_by_key_config_selectorIssEEZZNS1_16scan_by_key_implILNS1_25lookback_scan_determinismE0ELb1ES3_N6thrust23THRUST_200600_302600_NS6detail15normal_iteratorINS9_10device_ptrIsEEEESE_SE_sNS9_4plusIvEENS9_8equal_toIsEEsEE10hipError_tPvRmT2_T3_T4_T5_mT6_T7_P12ihipStream_tbENKUlT_T0_E_clISt17integral_constantIbLb1EESZ_EEDaSU_SV_EUlSU_E_NS1_11comp_targetILNS1_3genE9ELNS1_11target_archE1100ELNS1_3gpuE3ELNS1_3repE0EEENS1_30default_config_static_selectorELNS0_4arch9wavefront6targetE0EEEvT1_
	.p2align	8
	.type	_ZN7rocprim17ROCPRIM_400000_NS6detail17trampoline_kernelINS0_14default_configENS1_27scan_by_key_config_selectorIssEEZZNS1_16scan_by_key_implILNS1_25lookback_scan_determinismE0ELb1ES3_N6thrust23THRUST_200600_302600_NS6detail15normal_iteratorINS9_10device_ptrIsEEEESE_SE_sNS9_4plusIvEENS9_8equal_toIsEEsEE10hipError_tPvRmT2_T3_T4_T5_mT6_T7_P12ihipStream_tbENKUlT_T0_E_clISt17integral_constantIbLb1EESZ_EEDaSU_SV_EUlSU_E_NS1_11comp_targetILNS1_3genE9ELNS1_11target_archE1100ELNS1_3gpuE3ELNS1_3repE0EEENS1_30default_config_static_selectorELNS0_4arch9wavefront6targetE0EEEvT1_,@function
_ZN7rocprim17ROCPRIM_400000_NS6detail17trampoline_kernelINS0_14default_configENS1_27scan_by_key_config_selectorIssEEZZNS1_16scan_by_key_implILNS1_25lookback_scan_determinismE0ELb1ES3_N6thrust23THRUST_200600_302600_NS6detail15normal_iteratorINS9_10device_ptrIsEEEESE_SE_sNS9_4plusIvEENS9_8equal_toIsEEsEE10hipError_tPvRmT2_T3_T4_T5_mT6_T7_P12ihipStream_tbENKUlT_T0_E_clISt17integral_constantIbLb1EESZ_EEDaSU_SV_EUlSU_E_NS1_11comp_targetILNS1_3genE9ELNS1_11target_archE1100ELNS1_3gpuE3ELNS1_3repE0EEENS1_30default_config_static_selectorELNS0_4arch9wavefront6targetE0EEEvT1_: ; @_ZN7rocprim17ROCPRIM_400000_NS6detail17trampoline_kernelINS0_14default_configENS1_27scan_by_key_config_selectorIssEEZZNS1_16scan_by_key_implILNS1_25lookback_scan_determinismE0ELb1ES3_N6thrust23THRUST_200600_302600_NS6detail15normal_iteratorINS9_10device_ptrIsEEEESE_SE_sNS9_4plusIvEENS9_8equal_toIsEEsEE10hipError_tPvRmT2_T3_T4_T5_mT6_T7_P12ihipStream_tbENKUlT_T0_E_clISt17integral_constantIbLb1EESZ_EEDaSU_SV_EUlSU_E_NS1_11comp_targetILNS1_3genE9ELNS1_11target_archE1100ELNS1_3gpuE3ELNS1_3repE0EEENS1_30default_config_static_selectorELNS0_4arch9wavefront6targetE0EEEvT1_
; %bb.0:
	.section	.rodata,"a",@progbits
	.p2align	6, 0x0
	.amdhsa_kernel _ZN7rocprim17ROCPRIM_400000_NS6detail17trampoline_kernelINS0_14default_configENS1_27scan_by_key_config_selectorIssEEZZNS1_16scan_by_key_implILNS1_25lookback_scan_determinismE0ELb1ES3_N6thrust23THRUST_200600_302600_NS6detail15normal_iteratorINS9_10device_ptrIsEEEESE_SE_sNS9_4plusIvEENS9_8equal_toIsEEsEE10hipError_tPvRmT2_T3_T4_T5_mT6_T7_P12ihipStream_tbENKUlT_T0_E_clISt17integral_constantIbLb1EESZ_EEDaSU_SV_EUlSU_E_NS1_11comp_targetILNS1_3genE9ELNS1_11target_archE1100ELNS1_3gpuE3ELNS1_3repE0EEENS1_30default_config_static_selectorELNS0_4arch9wavefront6targetE0EEEvT1_
		.amdhsa_group_segment_fixed_size 0
		.amdhsa_private_segment_fixed_size 0
		.amdhsa_kernarg_size 112
		.amdhsa_user_sgpr_count 2
		.amdhsa_user_sgpr_dispatch_ptr 0
		.amdhsa_user_sgpr_queue_ptr 0
		.amdhsa_user_sgpr_kernarg_segment_ptr 1
		.amdhsa_user_sgpr_dispatch_id 0
		.amdhsa_user_sgpr_kernarg_preload_length 0
		.amdhsa_user_sgpr_kernarg_preload_offset 0
		.amdhsa_user_sgpr_private_segment_size 0
		.amdhsa_wavefront_size32 1
		.amdhsa_uses_dynamic_stack 0
		.amdhsa_enable_private_segment 0
		.amdhsa_system_sgpr_workgroup_id_x 1
		.amdhsa_system_sgpr_workgroup_id_y 0
		.amdhsa_system_sgpr_workgroup_id_z 0
		.amdhsa_system_sgpr_workgroup_info 0
		.amdhsa_system_vgpr_workitem_id 0
		.amdhsa_next_free_vgpr 1
		.amdhsa_next_free_sgpr 1
		.amdhsa_named_barrier_count 0
		.amdhsa_reserve_vcc 0
		.amdhsa_float_round_mode_32 0
		.amdhsa_float_round_mode_16_64 0
		.amdhsa_float_denorm_mode_32 3
		.amdhsa_float_denorm_mode_16_64 3
		.amdhsa_fp16_overflow 0
		.amdhsa_memory_ordered 1
		.amdhsa_forward_progress 1
		.amdhsa_inst_pref_size 0
		.amdhsa_round_robin_scheduling 0
		.amdhsa_exception_fp_ieee_invalid_op 0
		.amdhsa_exception_fp_denorm_src 0
		.amdhsa_exception_fp_ieee_div_zero 0
		.amdhsa_exception_fp_ieee_overflow 0
		.amdhsa_exception_fp_ieee_underflow 0
		.amdhsa_exception_fp_ieee_inexact 0
		.amdhsa_exception_int_div_zero 0
	.end_amdhsa_kernel
	.section	.text._ZN7rocprim17ROCPRIM_400000_NS6detail17trampoline_kernelINS0_14default_configENS1_27scan_by_key_config_selectorIssEEZZNS1_16scan_by_key_implILNS1_25lookback_scan_determinismE0ELb1ES3_N6thrust23THRUST_200600_302600_NS6detail15normal_iteratorINS9_10device_ptrIsEEEESE_SE_sNS9_4plusIvEENS9_8equal_toIsEEsEE10hipError_tPvRmT2_T3_T4_T5_mT6_T7_P12ihipStream_tbENKUlT_T0_E_clISt17integral_constantIbLb1EESZ_EEDaSU_SV_EUlSU_E_NS1_11comp_targetILNS1_3genE9ELNS1_11target_archE1100ELNS1_3gpuE3ELNS1_3repE0EEENS1_30default_config_static_selectorELNS0_4arch9wavefront6targetE0EEEvT1_,"axG",@progbits,_ZN7rocprim17ROCPRIM_400000_NS6detail17trampoline_kernelINS0_14default_configENS1_27scan_by_key_config_selectorIssEEZZNS1_16scan_by_key_implILNS1_25lookback_scan_determinismE0ELb1ES3_N6thrust23THRUST_200600_302600_NS6detail15normal_iteratorINS9_10device_ptrIsEEEESE_SE_sNS9_4plusIvEENS9_8equal_toIsEEsEE10hipError_tPvRmT2_T3_T4_T5_mT6_T7_P12ihipStream_tbENKUlT_T0_E_clISt17integral_constantIbLb1EESZ_EEDaSU_SV_EUlSU_E_NS1_11comp_targetILNS1_3genE9ELNS1_11target_archE1100ELNS1_3gpuE3ELNS1_3repE0EEENS1_30default_config_static_selectorELNS0_4arch9wavefront6targetE0EEEvT1_,comdat
.Lfunc_end657:
	.size	_ZN7rocprim17ROCPRIM_400000_NS6detail17trampoline_kernelINS0_14default_configENS1_27scan_by_key_config_selectorIssEEZZNS1_16scan_by_key_implILNS1_25lookback_scan_determinismE0ELb1ES3_N6thrust23THRUST_200600_302600_NS6detail15normal_iteratorINS9_10device_ptrIsEEEESE_SE_sNS9_4plusIvEENS9_8equal_toIsEEsEE10hipError_tPvRmT2_T3_T4_T5_mT6_T7_P12ihipStream_tbENKUlT_T0_E_clISt17integral_constantIbLb1EESZ_EEDaSU_SV_EUlSU_E_NS1_11comp_targetILNS1_3genE9ELNS1_11target_archE1100ELNS1_3gpuE3ELNS1_3repE0EEENS1_30default_config_static_selectorELNS0_4arch9wavefront6targetE0EEEvT1_, .Lfunc_end657-_ZN7rocprim17ROCPRIM_400000_NS6detail17trampoline_kernelINS0_14default_configENS1_27scan_by_key_config_selectorIssEEZZNS1_16scan_by_key_implILNS1_25lookback_scan_determinismE0ELb1ES3_N6thrust23THRUST_200600_302600_NS6detail15normal_iteratorINS9_10device_ptrIsEEEESE_SE_sNS9_4plusIvEENS9_8equal_toIsEEsEE10hipError_tPvRmT2_T3_T4_T5_mT6_T7_P12ihipStream_tbENKUlT_T0_E_clISt17integral_constantIbLb1EESZ_EEDaSU_SV_EUlSU_E_NS1_11comp_targetILNS1_3genE9ELNS1_11target_archE1100ELNS1_3gpuE3ELNS1_3repE0EEENS1_30default_config_static_selectorELNS0_4arch9wavefront6targetE0EEEvT1_
                                        ; -- End function
	.set _ZN7rocprim17ROCPRIM_400000_NS6detail17trampoline_kernelINS0_14default_configENS1_27scan_by_key_config_selectorIssEEZZNS1_16scan_by_key_implILNS1_25lookback_scan_determinismE0ELb1ES3_N6thrust23THRUST_200600_302600_NS6detail15normal_iteratorINS9_10device_ptrIsEEEESE_SE_sNS9_4plusIvEENS9_8equal_toIsEEsEE10hipError_tPvRmT2_T3_T4_T5_mT6_T7_P12ihipStream_tbENKUlT_T0_E_clISt17integral_constantIbLb1EESZ_EEDaSU_SV_EUlSU_E_NS1_11comp_targetILNS1_3genE9ELNS1_11target_archE1100ELNS1_3gpuE3ELNS1_3repE0EEENS1_30default_config_static_selectorELNS0_4arch9wavefront6targetE0EEEvT1_.num_vgpr, 0
	.set _ZN7rocprim17ROCPRIM_400000_NS6detail17trampoline_kernelINS0_14default_configENS1_27scan_by_key_config_selectorIssEEZZNS1_16scan_by_key_implILNS1_25lookback_scan_determinismE0ELb1ES3_N6thrust23THRUST_200600_302600_NS6detail15normal_iteratorINS9_10device_ptrIsEEEESE_SE_sNS9_4plusIvEENS9_8equal_toIsEEsEE10hipError_tPvRmT2_T3_T4_T5_mT6_T7_P12ihipStream_tbENKUlT_T0_E_clISt17integral_constantIbLb1EESZ_EEDaSU_SV_EUlSU_E_NS1_11comp_targetILNS1_3genE9ELNS1_11target_archE1100ELNS1_3gpuE3ELNS1_3repE0EEENS1_30default_config_static_selectorELNS0_4arch9wavefront6targetE0EEEvT1_.num_agpr, 0
	.set _ZN7rocprim17ROCPRIM_400000_NS6detail17trampoline_kernelINS0_14default_configENS1_27scan_by_key_config_selectorIssEEZZNS1_16scan_by_key_implILNS1_25lookback_scan_determinismE0ELb1ES3_N6thrust23THRUST_200600_302600_NS6detail15normal_iteratorINS9_10device_ptrIsEEEESE_SE_sNS9_4plusIvEENS9_8equal_toIsEEsEE10hipError_tPvRmT2_T3_T4_T5_mT6_T7_P12ihipStream_tbENKUlT_T0_E_clISt17integral_constantIbLb1EESZ_EEDaSU_SV_EUlSU_E_NS1_11comp_targetILNS1_3genE9ELNS1_11target_archE1100ELNS1_3gpuE3ELNS1_3repE0EEENS1_30default_config_static_selectorELNS0_4arch9wavefront6targetE0EEEvT1_.numbered_sgpr, 0
	.set _ZN7rocprim17ROCPRIM_400000_NS6detail17trampoline_kernelINS0_14default_configENS1_27scan_by_key_config_selectorIssEEZZNS1_16scan_by_key_implILNS1_25lookback_scan_determinismE0ELb1ES3_N6thrust23THRUST_200600_302600_NS6detail15normal_iteratorINS9_10device_ptrIsEEEESE_SE_sNS9_4plusIvEENS9_8equal_toIsEEsEE10hipError_tPvRmT2_T3_T4_T5_mT6_T7_P12ihipStream_tbENKUlT_T0_E_clISt17integral_constantIbLb1EESZ_EEDaSU_SV_EUlSU_E_NS1_11comp_targetILNS1_3genE9ELNS1_11target_archE1100ELNS1_3gpuE3ELNS1_3repE0EEENS1_30default_config_static_selectorELNS0_4arch9wavefront6targetE0EEEvT1_.num_named_barrier, 0
	.set _ZN7rocprim17ROCPRIM_400000_NS6detail17trampoline_kernelINS0_14default_configENS1_27scan_by_key_config_selectorIssEEZZNS1_16scan_by_key_implILNS1_25lookback_scan_determinismE0ELb1ES3_N6thrust23THRUST_200600_302600_NS6detail15normal_iteratorINS9_10device_ptrIsEEEESE_SE_sNS9_4plusIvEENS9_8equal_toIsEEsEE10hipError_tPvRmT2_T3_T4_T5_mT6_T7_P12ihipStream_tbENKUlT_T0_E_clISt17integral_constantIbLb1EESZ_EEDaSU_SV_EUlSU_E_NS1_11comp_targetILNS1_3genE9ELNS1_11target_archE1100ELNS1_3gpuE3ELNS1_3repE0EEENS1_30default_config_static_selectorELNS0_4arch9wavefront6targetE0EEEvT1_.private_seg_size, 0
	.set _ZN7rocprim17ROCPRIM_400000_NS6detail17trampoline_kernelINS0_14default_configENS1_27scan_by_key_config_selectorIssEEZZNS1_16scan_by_key_implILNS1_25lookback_scan_determinismE0ELb1ES3_N6thrust23THRUST_200600_302600_NS6detail15normal_iteratorINS9_10device_ptrIsEEEESE_SE_sNS9_4plusIvEENS9_8equal_toIsEEsEE10hipError_tPvRmT2_T3_T4_T5_mT6_T7_P12ihipStream_tbENKUlT_T0_E_clISt17integral_constantIbLb1EESZ_EEDaSU_SV_EUlSU_E_NS1_11comp_targetILNS1_3genE9ELNS1_11target_archE1100ELNS1_3gpuE3ELNS1_3repE0EEENS1_30default_config_static_selectorELNS0_4arch9wavefront6targetE0EEEvT1_.uses_vcc, 0
	.set _ZN7rocprim17ROCPRIM_400000_NS6detail17trampoline_kernelINS0_14default_configENS1_27scan_by_key_config_selectorIssEEZZNS1_16scan_by_key_implILNS1_25lookback_scan_determinismE0ELb1ES3_N6thrust23THRUST_200600_302600_NS6detail15normal_iteratorINS9_10device_ptrIsEEEESE_SE_sNS9_4plusIvEENS9_8equal_toIsEEsEE10hipError_tPvRmT2_T3_T4_T5_mT6_T7_P12ihipStream_tbENKUlT_T0_E_clISt17integral_constantIbLb1EESZ_EEDaSU_SV_EUlSU_E_NS1_11comp_targetILNS1_3genE9ELNS1_11target_archE1100ELNS1_3gpuE3ELNS1_3repE0EEENS1_30default_config_static_selectorELNS0_4arch9wavefront6targetE0EEEvT1_.uses_flat_scratch, 0
	.set _ZN7rocprim17ROCPRIM_400000_NS6detail17trampoline_kernelINS0_14default_configENS1_27scan_by_key_config_selectorIssEEZZNS1_16scan_by_key_implILNS1_25lookback_scan_determinismE0ELb1ES3_N6thrust23THRUST_200600_302600_NS6detail15normal_iteratorINS9_10device_ptrIsEEEESE_SE_sNS9_4plusIvEENS9_8equal_toIsEEsEE10hipError_tPvRmT2_T3_T4_T5_mT6_T7_P12ihipStream_tbENKUlT_T0_E_clISt17integral_constantIbLb1EESZ_EEDaSU_SV_EUlSU_E_NS1_11comp_targetILNS1_3genE9ELNS1_11target_archE1100ELNS1_3gpuE3ELNS1_3repE0EEENS1_30default_config_static_selectorELNS0_4arch9wavefront6targetE0EEEvT1_.has_dyn_sized_stack, 0
	.set _ZN7rocprim17ROCPRIM_400000_NS6detail17trampoline_kernelINS0_14default_configENS1_27scan_by_key_config_selectorIssEEZZNS1_16scan_by_key_implILNS1_25lookback_scan_determinismE0ELb1ES3_N6thrust23THRUST_200600_302600_NS6detail15normal_iteratorINS9_10device_ptrIsEEEESE_SE_sNS9_4plusIvEENS9_8equal_toIsEEsEE10hipError_tPvRmT2_T3_T4_T5_mT6_T7_P12ihipStream_tbENKUlT_T0_E_clISt17integral_constantIbLb1EESZ_EEDaSU_SV_EUlSU_E_NS1_11comp_targetILNS1_3genE9ELNS1_11target_archE1100ELNS1_3gpuE3ELNS1_3repE0EEENS1_30default_config_static_selectorELNS0_4arch9wavefront6targetE0EEEvT1_.has_recursion, 0
	.set _ZN7rocprim17ROCPRIM_400000_NS6detail17trampoline_kernelINS0_14default_configENS1_27scan_by_key_config_selectorIssEEZZNS1_16scan_by_key_implILNS1_25lookback_scan_determinismE0ELb1ES3_N6thrust23THRUST_200600_302600_NS6detail15normal_iteratorINS9_10device_ptrIsEEEESE_SE_sNS9_4plusIvEENS9_8equal_toIsEEsEE10hipError_tPvRmT2_T3_T4_T5_mT6_T7_P12ihipStream_tbENKUlT_T0_E_clISt17integral_constantIbLb1EESZ_EEDaSU_SV_EUlSU_E_NS1_11comp_targetILNS1_3genE9ELNS1_11target_archE1100ELNS1_3gpuE3ELNS1_3repE0EEENS1_30default_config_static_selectorELNS0_4arch9wavefront6targetE0EEEvT1_.has_indirect_call, 0
	.section	.AMDGPU.csdata,"",@progbits
; Kernel info:
; codeLenInByte = 0
; TotalNumSgprs: 0
; NumVgprs: 0
; ScratchSize: 0
; MemoryBound: 0
; FloatMode: 240
; IeeeMode: 1
; LDSByteSize: 0 bytes/workgroup (compile time only)
; SGPRBlocks: 0
; VGPRBlocks: 0
; NumSGPRsForWavesPerEU: 1
; NumVGPRsForWavesPerEU: 1
; NamedBarCnt: 0
; Occupancy: 16
; WaveLimiterHint : 0
; COMPUTE_PGM_RSRC2:SCRATCH_EN: 0
; COMPUTE_PGM_RSRC2:USER_SGPR: 2
; COMPUTE_PGM_RSRC2:TRAP_HANDLER: 0
; COMPUTE_PGM_RSRC2:TGID_X_EN: 1
; COMPUTE_PGM_RSRC2:TGID_Y_EN: 0
; COMPUTE_PGM_RSRC2:TGID_Z_EN: 0
; COMPUTE_PGM_RSRC2:TIDIG_COMP_CNT: 0
	.section	.text._ZN7rocprim17ROCPRIM_400000_NS6detail17trampoline_kernelINS0_14default_configENS1_27scan_by_key_config_selectorIssEEZZNS1_16scan_by_key_implILNS1_25lookback_scan_determinismE0ELb1ES3_N6thrust23THRUST_200600_302600_NS6detail15normal_iteratorINS9_10device_ptrIsEEEESE_SE_sNS9_4plusIvEENS9_8equal_toIsEEsEE10hipError_tPvRmT2_T3_T4_T5_mT6_T7_P12ihipStream_tbENKUlT_T0_E_clISt17integral_constantIbLb1EESZ_EEDaSU_SV_EUlSU_E_NS1_11comp_targetILNS1_3genE8ELNS1_11target_archE1030ELNS1_3gpuE2ELNS1_3repE0EEENS1_30default_config_static_selectorELNS0_4arch9wavefront6targetE0EEEvT1_,"axG",@progbits,_ZN7rocprim17ROCPRIM_400000_NS6detail17trampoline_kernelINS0_14default_configENS1_27scan_by_key_config_selectorIssEEZZNS1_16scan_by_key_implILNS1_25lookback_scan_determinismE0ELb1ES3_N6thrust23THRUST_200600_302600_NS6detail15normal_iteratorINS9_10device_ptrIsEEEESE_SE_sNS9_4plusIvEENS9_8equal_toIsEEsEE10hipError_tPvRmT2_T3_T4_T5_mT6_T7_P12ihipStream_tbENKUlT_T0_E_clISt17integral_constantIbLb1EESZ_EEDaSU_SV_EUlSU_E_NS1_11comp_targetILNS1_3genE8ELNS1_11target_archE1030ELNS1_3gpuE2ELNS1_3repE0EEENS1_30default_config_static_selectorELNS0_4arch9wavefront6targetE0EEEvT1_,comdat
	.protected	_ZN7rocprim17ROCPRIM_400000_NS6detail17trampoline_kernelINS0_14default_configENS1_27scan_by_key_config_selectorIssEEZZNS1_16scan_by_key_implILNS1_25lookback_scan_determinismE0ELb1ES3_N6thrust23THRUST_200600_302600_NS6detail15normal_iteratorINS9_10device_ptrIsEEEESE_SE_sNS9_4plusIvEENS9_8equal_toIsEEsEE10hipError_tPvRmT2_T3_T4_T5_mT6_T7_P12ihipStream_tbENKUlT_T0_E_clISt17integral_constantIbLb1EESZ_EEDaSU_SV_EUlSU_E_NS1_11comp_targetILNS1_3genE8ELNS1_11target_archE1030ELNS1_3gpuE2ELNS1_3repE0EEENS1_30default_config_static_selectorELNS0_4arch9wavefront6targetE0EEEvT1_ ; -- Begin function _ZN7rocprim17ROCPRIM_400000_NS6detail17trampoline_kernelINS0_14default_configENS1_27scan_by_key_config_selectorIssEEZZNS1_16scan_by_key_implILNS1_25lookback_scan_determinismE0ELb1ES3_N6thrust23THRUST_200600_302600_NS6detail15normal_iteratorINS9_10device_ptrIsEEEESE_SE_sNS9_4plusIvEENS9_8equal_toIsEEsEE10hipError_tPvRmT2_T3_T4_T5_mT6_T7_P12ihipStream_tbENKUlT_T0_E_clISt17integral_constantIbLb1EESZ_EEDaSU_SV_EUlSU_E_NS1_11comp_targetILNS1_3genE8ELNS1_11target_archE1030ELNS1_3gpuE2ELNS1_3repE0EEENS1_30default_config_static_selectorELNS0_4arch9wavefront6targetE0EEEvT1_
	.globl	_ZN7rocprim17ROCPRIM_400000_NS6detail17trampoline_kernelINS0_14default_configENS1_27scan_by_key_config_selectorIssEEZZNS1_16scan_by_key_implILNS1_25lookback_scan_determinismE0ELb1ES3_N6thrust23THRUST_200600_302600_NS6detail15normal_iteratorINS9_10device_ptrIsEEEESE_SE_sNS9_4plusIvEENS9_8equal_toIsEEsEE10hipError_tPvRmT2_T3_T4_T5_mT6_T7_P12ihipStream_tbENKUlT_T0_E_clISt17integral_constantIbLb1EESZ_EEDaSU_SV_EUlSU_E_NS1_11comp_targetILNS1_3genE8ELNS1_11target_archE1030ELNS1_3gpuE2ELNS1_3repE0EEENS1_30default_config_static_selectorELNS0_4arch9wavefront6targetE0EEEvT1_
	.p2align	8
	.type	_ZN7rocprim17ROCPRIM_400000_NS6detail17trampoline_kernelINS0_14default_configENS1_27scan_by_key_config_selectorIssEEZZNS1_16scan_by_key_implILNS1_25lookback_scan_determinismE0ELb1ES3_N6thrust23THRUST_200600_302600_NS6detail15normal_iteratorINS9_10device_ptrIsEEEESE_SE_sNS9_4plusIvEENS9_8equal_toIsEEsEE10hipError_tPvRmT2_T3_T4_T5_mT6_T7_P12ihipStream_tbENKUlT_T0_E_clISt17integral_constantIbLb1EESZ_EEDaSU_SV_EUlSU_E_NS1_11comp_targetILNS1_3genE8ELNS1_11target_archE1030ELNS1_3gpuE2ELNS1_3repE0EEENS1_30default_config_static_selectorELNS0_4arch9wavefront6targetE0EEEvT1_,@function
_ZN7rocprim17ROCPRIM_400000_NS6detail17trampoline_kernelINS0_14default_configENS1_27scan_by_key_config_selectorIssEEZZNS1_16scan_by_key_implILNS1_25lookback_scan_determinismE0ELb1ES3_N6thrust23THRUST_200600_302600_NS6detail15normal_iteratorINS9_10device_ptrIsEEEESE_SE_sNS9_4plusIvEENS9_8equal_toIsEEsEE10hipError_tPvRmT2_T3_T4_T5_mT6_T7_P12ihipStream_tbENKUlT_T0_E_clISt17integral_constantIbLb1EESZ_EEDaSU_SV_EUlSU_E_NS1_11comp_targetILNS1_3genE8ELNS1_11target_archE1030ELNS1_3gpuE2ELNS1_3repE0EEENS1_30default_config_static_selectorELNS0_4arch9wavefront6targetE0EEEvT1_: ; @_ZN7rocprim17ROCPRIM_400000_NS6detail17trampoline_kernelINS0_14default_configENS1_27scan_by_key_config_selectorIssEEZZNS1_16scan_by_key_implILNS1_25lookback_scan_determinismE0ELb1ES3_N6thrust23THRUST_200600_302600_NS6detail15normal_iteratorINS9_10device_ptrIsEEEESE_SE_sNS9_4plusIvEENS9_8equal_toIsEEsEE10hipError_tPvRmT2_T3_T4_T5_mT6_T7_P12ihipStream_tbENKUlT_T0_E_clISt17integral_constantIbLb1EESZ_EEDaSU_SV_EUlSU_E_NS1_11comp_targetILNS1_3genE8ELNS1_11target_archE1030ELNS1_3gpuE2ELNS1_3repE0EEENS1_30default_config_static_selectorELNS0_4arch9wavefront6targetE0EEEvT1_
; %bb.0:
	.section	.rodata,"a",@progbits
	.p2align	6, 0x0
	.amdhsa_kernel _ZN7rocprim17ROCPRIM_400000_NS6detail17trampoline_kernelINS0_14default_configENS1_27scan_by_key_config_selectorIssEEZZNS1_16scan_by_key_implILNS1_25lookback_scan_determinismE0ELb1ES3_N6thrust23THRUST_200600_302600_NS6detail15normal_iteratorINS9_10device_ptrIsEEEESE_SE_sNS9_4plusIvEENS9_8equal_toIsEEsEE10hipError_tPvRmT2_T3_T4_T5_mT6_T7_P12ihipStream_tbENKUlT_T0_E_clISt17integral_constantIbLb1EESZ_EEDaSU_SV_EUlSU_E_NS1_11comp_targetILNS1_3genE8ELNS1_11target_archE1030ELNS1_3gpuE2ELNS1_3repE0EEENS1_30default_config_static_selectorELNS0_4arch9wavefront6targetE0EEEvT1_
		.amdhsa_group_segment_fixed_size 0
		.amdhsa_private_segment_fixed_size 0
		.amdhsa_kernarg_size 112
		.amdhsa_user_sgpr_count 2
		.amdhsa_user_sgpr_dispatch_ptr 0
		.amdhsa_user_sgpr_queue_ptr 0
		.amdhsa_user_sgpr_kernarg_segment_ptr 1
		.amdhsa_user_sgpr_dispatch_id 0
		.amdhsa_user_sgpr_kernarg_preload_length 0
		.amdhsa_user_sgpr_kernarg_preload_offset 0
		.amdhsa_user_sgpr_private_segment_size 0
		.amdhsa_wavefront_size32 1
		.amdhsa_uses_dynamic_stack 0
		.amdhsa_enable_private_segment 0
		.amdhsa_system_sgpr_workgroup_id_x 1
		.amdhsa_system_sgpr_workgroup_id_y 0
		.amdhsa_system_sgpr_workgroup_id_z 0
		.amdhsa_system_sgpr_workgroup_info 0
		.amdhsa_system_vgpr_workitem_id 0
		.amdhsa_next_free_vgpr 1
		.amdhsa_next_free_sgpr 1
		.amdhsa_named_barrier_count 0
		.amdhsa_reserve_vcc 0
		.amdhsa_float_round_mode_32 0
		.amdhsa_float_round_mode_16_64 0
		.amdhsa_float_denorm_mode_32 3
		.amdhsa_float_denorm_mode_16_64 3
		.amdhsa_fp16_overflow 0
		.amdhsa_memory_ordered 1
		.amdhsa_forward_progress 1
		.amdhsa_inst_pref_size 0
		.amdhsa_round_robin_scheduling 0
		.amdhsa_exception_fp_ieee_invalid_op 0
		.amdhsa_exception_fp_denorm_src 0
		.amdhsa_exception_fp_ieee_div_zero 0
		.amdhsa_exception_fp_ieee_overflow 0
		.amdhsa_exception_fp_ieee_underflow 0
		.amdhsa_exception_fp_ieee_inexact 0
		.amdhsa_exception_int_div_zero 0
	.end_amdhsa_kernel
	.section	.text._ZN7rocprim17ROCPRIM_400000_NS6detail17trampoline_kernelINS0_14default_configENS1_27scan_by_key_config_selectorIssEEZZNS1_16scan_by_key_implILNS1_25lookback_scan_determinismE0ELb1ES3_N6thrust23THRUST_200600_302600_NS6detail15normal_iteratorINS9_10device_ptrIsEEEESE_SE_sNS9_4plusIvEENS9_8equal_toIsEEsEE10hipError_tPvRmT2_T3_T4_T5_mT6_T7_P12ihipStream_tbENKUlT_T0_E_clISt17integral_constantIbLb1EESZ_EEDaSU_SV_EUlSU_E_NS1_11comp_targetILNS1_3genE8ELNS1_11target_archE1030ELNS1_3gpuE2ELNS1_3repE0EEENS1_30default_config_static_selectorELNS0_4arch9wavefront6targetE0EEEvT1_,"axG",@progbits,_ZN7rocprim17ROCPRIM_400000_NS6detail17trampoline_kernelINS0_14default_configENS1_27scan_by_key_config_selectorIssEEZZNS1_16scan_by_key_implILNS1_25lookback_scan_determinismE0ELb1ES3_N6thrust23THRUST_200600_302600_NS6detail15normal_iteratorINS9_10device_ptrIsEEEESE_SE_sNS9_4plusIvEENS9_8equal_toIsEEsEE10hipError_tPvRmT2_T3_T4_T5_mT6_T7_P12ihipStream_tbENKUlT_T0_E_clISt17integral_constantIbLb1EESZ_EEDaSU_SV_EUlSU_E_NS1_11comp_targetILNS1_3genE8ELNS1_11target_archE1030ELNS1_3gpuE2ELNS1_3repE0EEENS1_30default_config_static_selectorELNS0_4arch9wavefront6targetE0EEEvT1_,comdat
.Lfunc_end658:
	.size	_ZN7rocprim17ROCPRIM_400000_NS6detail17trampoline_kernelINS0_14default_configENS1_27scan_by_key_config_selectorIssEEZZNS1_16scan_by_key_implILNS1_25lookback_scan_determinismE0ELb1ES3_N6thrust23THRUST_200600_302600_NS6detail15normal_iteratorINS9_10device_ptrIsEEEESE_SE_sNS9_4plusIvEENS9_8equal_toIsEEsEE10hipError_tPvRmT2_T3_T4_T5_mT6_T7_P12ihipStream_tbENKUlT_T0_E_clISt17integral_constantIbLb1EESZ_EEDaSU_SV_EUlSU_E_NS1_11comp_targetILNS1_3genE8ELNS1_11target_archE1030ELNS1_3gpuE2ELNS1_3repE0EEENS1_30default_config_static_selectorELNS0_4arch9wavefront6targetE0EEEvT1_, .Lfunc_end658-_ZN7rocprim17ROCPRIM_400000_NS6detail17trampoline_kernelINS0_14default_configENS1_27scan_by_key_config_selectorIssEEZZNS1_16scan_by_key_implILNS1_25lookback_scan_determinismE0ELb1ES3_N6thrust23THRUST_200600_302600_NS6detail15normal_iteratorINS9_10device_ptrIsEEEESE_SE_sNS9_4plusIvEENS9_8equal_toIsEEsEE10hipError_tPvRmT2_T3_T4_T5_mT6_T7_P12ihipStream_tbENKUlT_T0_E_clISt17integral_constantIbLb1EESZ_EEDaSU_SV_EUlSU_E_NS1_11comp_targetILNS1_3genE8ELNS1_11target_archE1030ELNS1_3gpuE2ELNS1_3repE0EEENS1_30default_config_static_selectorELNS0_4arch9wavefront6targetE0EEEvT1_
                                        ; -- End function
	.set _ZN7rocprim17ROCPRIM_400000_NS6detail17trampoline_kernelINS0_14default_configENS1_27scan_by_key_config_selectorIssEEZZNS1_16scan_by_key_implILNS1_25lookback_scan_determinismE0ELb1ES3_N6thrust23THRUST_200600_302600_NS6detail15normal_iteratorINS9_10device_ptrIsEEEESE_SE_sNS9_4plusIvEENS9_8equal_toIsEEsEE10hipError_tPvRmT2_T3_T4_T5_mT6_T7_P12ihipStream_tbENKUlT_T0_E_clISt17integral_constantIbLb1EESZ_EEDaSU_SV_EUlSU_E_NS1_11comp_targetILNS1_3genE8ELNS1_11target_archE1030ELNS1_3gpuE2ELNS1_3repE0EEENS1_30default_config_static_selectorELNS0_4arch9wavefront6targetE0EEEvT1_.num_vgpr, 0
	.set _ZN7rocprim17ROCPRIM_400000_NS6detail17trampoline_kernelINS0_14default_configENS1_27scan_by_key_config_selectorIssEEZZNS1_16scan_by_key_implILNS1_25lookback_scan_determinismE0ELb1ES3_N6thrust23THRUST_200600_302600_NS6detail15normal_iteratorINS9_10device_ptrIsEEEESE_SE_sNS9_4plusIvEENS9_8equal_toIsEEsEE10hipError_tPvRmT2_T3_T4_T5_mT6_T7_P12ihipStream_tbENKUlT_T0_E_clISt17integral_constantIbLb1EESZ_EEDaSU_SV_EUlSU_E_NS1_11comp_targetILNS1_3genE8ELNS1_11target_archE1030ELNS1_3gpuE2ELNS1_3repE0EEENS1_30default_config_static_selectorELNS0_4arch9wavefront6targetE0EEEvT1_.num_agpr, 0
	.set _ZN7rocprim17ROCPRIM_400000_NS6detail17trampoline_kernelINS0_14default_configENS1_27scan_by_key_config_selectorIssEEZZNS1_16scan_by_key_implILNS1_25lookback_scan_determinismE0ELb1ES3_N6thrust23THRUST_200600_302600_NS6detail15normal_iteratorINS9_10device_ptrIsEEEESE_SE_sNS9_4plusIvEENS9_8equal_toIsEEsEE10hipError_tPvRmT2_T3_T4_T5_mT6_T7_P12ihipStream_tbENKUlT_T0_E_clISt17integral_constantIbLb1EESZ_EEDaSU_SV_EUlSU_E_NS1_11comp_targetILNS1_3genE8ELNS1_11target_archE1030ELNS1_3gpuE2ELNS1_3repE0EEENS1_30default_config_static_selectorELNS0_4arch9wavefront6targetE0EEEvT1_.numbered_sgpr, 0
	.set _ZN7rocprim17ROCPRIM_400000_NS6detail17trampoline_kernelINS0_14default_configENS1_27scan_by_key_config_selectorIssEEZZNS1_16scan_by_key_implILNS1_25lookback_scan_determinismE0ELb1ES3_N6thrust23THRUST_200600_302600_NS6detail15normal_iteratorINS9_10device_ptrIsEEEESE_SE_sNS9_4plusIvEENS9_8equal_toIsEEsEE10hipError_tPvRmT2_T3_T4_T5_mT6_T7_P12ihipStream_tbENKUlT_T0_E_clISt17integral_constantIbLb1EESZ_EEDaSU_SV_EUlSU_E_NS1_11comp_targetILNS1_3genE8ELNS1_11target_archE1030ELNS1_3gpuE2ELNS1_3repE0EEENS1_30default_config_static_selectorELNS0_4arch9wavefront6targetE0EEEvT1_.num_named_barrier, 0
	.set _ZN7rocprim17ROCPRIM_400000_NS6detail17trampoline_kernelINS0_14default_configENS1_27scan_by_key_config_selectorIssEEZZNS1_16scan_by_key_implILNS1_25lookback_scan_determinismE0ELb1ES3_N6thrust23THRUST_200600_302600_NS6detail15normal_iteratorINS9_10device_ptrIsEEEESE_SE_sNS9_4plusIvEENS9_8equal_toIsEEsEE10hipError_tPvRmT2_T3_T4_T5_mT6_T7_P12ihipStream_tbENKUlT_T0_E_clISt17integral_constantIbLb1EESZ_EEDaSU_SV_EUlSU_E_NS1_11comp_targetILNS1_3genE8ELNS1_11target_archE1030ELNS1_3gpuE2ELNS1_3repE0EEENS1_30default_config_static_selectorELNS0_4arch9wavefront6targetE0EEEvT1_.private_seg_size, 0
	.set _ZN7rocprim17ROCPRIM_400000_NS6detail17trampoline_kernelINS0_14default_configENS1_27scan_by_key_config_selectorIssEEZZNS1_16scan_by_key_implILNS1_25lookback_scan_determinismE0ELb1ES3_N6thrust23THRUST_200600_302600_NS6detail15normal_iteratorINS9_10device_ptrIsEEEESE_SE_sNS9_4plusIvEENS9_8equal_toIsEEsEE10hipError_tPvRmT2_T3_T4_T5_mT6_T7_P12ihipStream_tbENKUlT_T0_E_clISt17integral_constantIbLb1EESZ_EEDaSU_SV_EUlSU_E_NS1_11comp_targetILNS1_3genE8ELNS1_11target_archE1030ELNS1_3gpuE2ELNS1_3repE0EEENS1_30default_config_static_selectorELNS0_4arch9wavefront6targetE0EEEvT1_.uses_vcc, 0
	.set _ZN7rocprim17ROCPRIM_400000_NS6detail17trampoline_kernelINS0_14default_configENS1_27scan_by_key_config_selectorIssEEZZNS1_16scan_by_key_implILNS1_25lookback_scan_determinismE0ELb1ES3_N6thrust23THRUST_200600_302600_NS6detail15normal_iteratorINS9_10device_ptrIsEEEESE_SE_sNS9_4plusIvEENS9_8equal_toIsEEsEE10hipError_tPvRmT2_T3_T4_T5_mT6_T7_P12ihipStream_tbENKUlT_T0_E_clISt17integral_constantIbLb1EESZ_EEDaSU_SV_EUlSU_E_NS1_11comp_targetILNS1_3genE8ELNS1_11target_archE1030ELNS1_3gpuE2ELNS1_3repE0EEENS1_30default_config_static_selectorELNS0_4arch9wavefront6targetE0EEEvT1_.uses_flat_scratch, 0
	.set _ZN7rocprim17ROCPRIM_400000_NS6detail17trampoline_kernelINS0_14default_configENS1_27scan_by_key_config_selectorIssEEZZNS1_16scan_by_key_implILNS1_25lookback_scan_determinismE0ELb1ES3_N6thrust23THRUST_200600_302600_NS6detail15normal_iteratorINS9_10device_ptrIsEEEESE_SE_sNS9_4plusIvEENS9_8equal_toIsEEsEE10hipError_tPvRmT2_T3_T4_T5_mT6_T7_P12ihipStream_tbENKUlT_T0_E_clISt17integral_constantIbLb1EESZ_EEDaSU_SV_EUlSU_E_NS1_11comp_targetILNS1_3genE8ELNS1_11target_archE1030ELNS1_3gpuE2ELNS1_3repE0EEENS1_30default_config_static_selectorELNS0_4arch9wavefront6targetE0EEEvT1_.has_dyn_sized_stack, 0
	.set _ZN7rocprim17ROCPRIM_400000_NS6detail17trampoline_kernelINS0_14default_configENS1_27scan_by_key_config_selectorIssEEZZNS1_16scan_by_key_implILNS1_25lookback_scan_determinismE0ELb1ES3_N6thrust23THRUST_200600_302600_NS6detail15normal_iteratorINS9_10device_ptrIsEEEESE_SE_sNS9_4plusIvEENS9_8equal_toIsEEsEE10hipError_tPvRmT2_T3_T4_T5_mT6_T7_P12ihipStream_tbENKUlT_T0_E_clISt17integral_constantIbLb1EESZ_EEDaSU_SV_EUlSU_E_NS1_11comp_targetILNS1_3genE8ELNS1_11target_archE1030ELNS1_3gpuE2ELNS1_3repE0EEENS1_30default_config_static_selectorELNS0_4arch9wavefront6targetE0EEEvT1_.has_recursion, 0
	.set _ZN7rocprim17ROCPRIM_400000_NS6detail17trampoline_kernelINS0_14default_configENS1_27scan_by_key_config_selectorIssEEZZNS1_16scan_by_key_implILNS1_25lookback_scan_determinismE0ELb1ES3_N6thrust23THRUST_200600_302600_NS6detail15normal_iteratorINS9_10device_ptrIsEEEESE_SE_sNS9_4plusIvEENS9_8equal_toIsEEsEE10hipError_tPvRmT2_T3_T4_T5_mT6_T7_P12ihipStream_tbENKUlT_T0_E_clISt17integral_constantIbLb1EESZ_EEDaSU_SV_EUlSU_E_NS1_11comp_targetILNS1_3genE8ELNS1_11target_archE1030ELNS1_3gpuE2ELNS1_3repE0EEENS1_30default_config_static_selectorELNS0_4arch9wavefront6targetE0EEEvT1_.has_indirect_call, 0
	.section	.AMDGPU.csdata,"",@progbits
; Kernel info:
; codeLenInByte = 0
; TotalNumSgprs: 0
; NumVgprs: 0
; ScratchSize: 0
; MemoryBound: 0
; FloatMode: 240
; IeeeMode: 1
; LDSByteSize: 0 bytes/workgroup (compile time only)
; SGPRBlocks: 0
; VGPRBlocks: 0
; NumSGPRsForWavesPerEU: 1
; NumVGPRsForWavesPerEU: 1
; NamedBarCnt: 0
; Occupancy: 16
; WaveLimiterHint : 0
; COMPUTE_PGM_RSRC2:SCRATCH_EN: 0
; COMPUTE_PGM_RSRC2:USER_SGPR: 2
; COMPUTE_PGM_RSRC2:TRAP_HANDLER: 0
; COMPUTE_PGM_RSRC2:TGID_X_EN: 1
; COMPUTE_PGM_RSRC2:TGID_Y_EN: 0
; COMPUTE_PGM_RSRC2:TGID_Z_EN: 0
; COMPUTE_PGM_RSRC2:TIDIG_COMP_CNT: 0
	.section	.text._ZN7rocprim17ROCPRIM_400000_NS6detail17trampoline_kernelINS0_14default_configENS1_27scan_by_key_config_selectorIssEEZZNS1_16scan_by_key_implILNS1_25lookback_scan_determinismE0ELb1ES3_N6thrust23THRUST_200600_302600_NS6detail15normal_iteratorINS9_10device_ptrIsEEEESE_SE_sNS9_4plusIvEENS9_8equal_toIsEEsEE10hipError_tPvRmT2_T3_T4_T5_mT6_T7_P12ihipStream_tbENKUlT_T0_E_clISt17integral_constantIbLb1EESY_IbLb0EEEEDaSU_SV_EUlSU_E_NS1_11comp_targetILNS1_3genE0ELNS1_11target_archE4294967295ELNS1_3gpuE0ELNS1_3repE0EEENS1_30default_config_static_selectorELNS0_4arch9wavefront6targetE0EEEvT1_,"axG",@progbits,_ZN7rocprim17ROCPRIM_400000_NS6detail17trampoline_kernelINS0_14default_configENS1_27scan_by_key_config_selectorIssEEZZNS1_16scan_by_key_implILNS1_25lookback_scan_determinismE0ELb1ES3_N6thrust23THRUST_200600_302600_NS6detail15normal_iteratorINS9_10device_ptrIsEEEESE_SE_sNS9_4plusIvEENS9_8equal_toIsEEsEE10hipError_tPvRmT2_T3_T4_T5_mT6_T7_P12ihipStream_tbENKUlT_T0_E_clISt17integral_constantIbLb1EESY_IbLb0EEEEDaSU_SV_EUlSU_E_NS1_11comp_targetILNS1_3genE0ELNS1_11target_archE4294967295ELNS1_3gpuE0ELNS1_3repE0EEENS1_30default_config_static_selectorELNS0_4arch9wavefront6targetE0EEEvT1_,comdat
	.protected	_ZN7rocprim17ROCPRIM_400000_NS6detail17trampoline_kernelINS0_14default_configENS1_27scan_by_key_config_selectorIssEEZZNS1_16scan_by_key_implILNS1_25lookback_scan_determinismE0ELb1ES3_N6thrust23THRUST_200600_302600_NS6detail15normal_iteratorINS9_10device_ptrIsEEEESE_SE_sNS9_4plusIvEENS9_8equal_toIsEEsEE10hipError_tPvRmT2_T3_T4_T5_mT6_T7_P12ihipStream_tbENKUlT_T0_E_clISt17integral_constantIbLb1EESY_IbLb0EEEEDaSU_SV_EUlSU_E_NS1_11comp_targetILNS1_3genE0ELNS1_11target_archE4294967295ELNS1_3gpuE0ELNS1_3repE0EEENS1_30default_config_static_selectorELNS0_4arch9wavefront6targetE0EEEvT1_ ; -- Begin function _ZN7rocprim17ROCPRIM_400000_NS6detail17trampoline_kernelINS0_14default_configENS1_27scan_by_key_config_selectorIssEEZZNS1_16scan_by_key_implILNS1_25lookback_scan_determinismE0ELb1ES3_N6thrust23THRUST_200600_302600_NS6detail15normal_iteratorINS9_10device_ptrIsEEEESE_SE_sNS9_4plusIvEENS9_8equal_toIsEEsEE10hipError_tPvRmT2_T3_T4_T5_mT6_T7_P12ihipStream_tbENKUlT_T0_E_clISt17integral_constantIbLb1EESY_IbLb0EEEEDaSU_SV_EUlSU_E_NS1_11comp_targetILNS1_3genE0ELNS1_11target_archE4294967295ELNS1_3gpuE0ELNS1_3repE0EEENS1_30default_config_static_selectorELNS0_4arch9wavefront6targetE0EEEvT1_
	.globl	_ZN7rocprim17ROCPRIM_400000_NS6detail17trampoline_kernelINS0_14default_configENS1_27scan_by_key_config_selectorIssEEZZNS1_16scan_by_key_implILNS1_25lookback_scan_determinismE0ELb1ES3_N6thrust23THRUST_200600_302600_NS6detail15normal_iteratorINS9_10device_ptrIsEEEESE_SE_sNS9_4plusIvEENS9_8equal_toIsEEsEE10hipError_tPvRmT2_T3_T4_T5_mT6_T7_P12ihipStream_tbENKUlT_T0_E_clISt17integral_constantIbLb1EESY_IbLb0EEEEDaSU_SV_EUlSU_E_NS1_11comp_targetILNS1_3genE0ELNS1_11target_archE4294967295ELNS1_3gpuE0ELNS1_3repE0EEENS1_30default_config_static_selectorELNS0_4arch9wavefront6targetE0EEEvT1_
	.p2align	8
	.type	_ZN7rocprim17ROCPRIM_400000_NS6detail17trampoline_kernelINS0_14default_configENS1_27scan_by_key_config_selectorIssEEZZNS1_16scan_by_key_implILNS1_25lookback_scan_determinismE0ELb1ES3_N6thrust23THRUST_200600_302600_NS6detail15normal_iteratorINS9_10device_ptrIsEEEESE_SE_sNS9_4plusIvEENS9_8equal_toIsEEsEE10hipError_tPvRmT2_T3_T4_T5_mT6_T7_P12ihipStream_tbENKUlT_T0_E_clISt17integral_constantIbLb1EESY_IbLb0EEEEDaSU_SV_EUlSU_E_NS1_11comp_targetILNS1_3genE0ELNS1_11target_archE4294967295ELNS1_3gpuE0ELNS1_3repE0EEENS1_30default_config_static_selectorELNS0_4arch9wavefront6targetE0EEEvT1_,@function
_ZN7rocprim17ROCPRIM_400000_NS6detail17trampoline_kernelINS0_14default_configENS1_27scan_by_key_config_selectorIssEEZZNS1_16scan_by_key_implILNS1_25lookback_scan_determinismE0ELb1ES3_N6thrust23THRUST_200600_302600_NS6detail15normal_iteratorINS9_10device_ptrIsEEEESE_SE_sNS9_4plusIvEENS9_8equal_toIsEEsEE10hipError_tPvRmT2_T3_T4_T5_mT6_T7_P12ihipStream_tbENKUlT_T0_E_clISt17integral_constantIbLb1EESY_IbLb0EEEEDaSU_SV_EUlSU_E_NS1_11comp_targetILNS1_3genE0ELNS1_11target_archE4294967295ELNS1_3gpuE0ELNS1_3repE0EEENS1_30default_config_static_selectorELNS0_4arch9wavefront6targetE0EEEvT1_: ; @_ZN7rocprim17ROCPRIM_400000_NS6detail17trampoline_kernelINS0_14default_configENS1_27scan_by_key_config_selectorIssEEZZNS1_16scan_by_key_implILNS1_25lookback_scan_determinismE0ELb1ES3_N6thrust23THRUST_200600_302600_NS6detail15normal_iteratorINS9_10device_ptrIsEEEESE_SE_sNS9_4plusIvEENS9_8equal_toIsEEsEE10hipError_tPvRmT2_T3_T4_T5_mT6_T7_P12ihipStream_tbENKUlT_T0_E_clISt17integral_constantIbLb1EESY_IbLb0EEEEDaSU_SV_EUlSU_E_NS1_11comp_targetILNS1_3genE0ELNS1_11target_archE4294967295ELNS1_3gpuE0ELNS1_3repE0EEENS1_30default_config_static_selectorELNS0_4arch9wavefront6targetE0EEEvT1_
; %bb.0:
	s_endpgm
	.section	.rodata,"a",@progbits
	.p2align	6, 0x0
	.amdhsa_kernel _ZN7rocprim17ROCPRIM_400000_NS6detail17trampoline_kernelINS0_14default_configENS1_27scan_by_key_config_selectorIssEEZZNS1_16scan_by_key_implILNS1_25lookback_scan_determinismE0ELb1ES3_N6thrust23THRUST_200600_302600_NS6detail15normal_iteratorINS9_10device_ptrIsEEEESE_SE_sNS9_4plusIvEENS9_8equal_toIsEEsEE10hipError_tPvRmT2_T3_T4_T5_mT6_T7_P12ihipStream_tbENKUlT_T0_E_clISt17integral_constantIbLb1EESY_IbLb0EEEEDaSU_SV_EUlSU_E_NS1_11comp_targetILNS1_3genE0ELNS1_11target_archE4294967295ELNS1_3gpuE0ELNS1_3repE0EEENS1_30default_config_static_selectorELNS0_4arch9wavefront6targetE0EEEvT1_
		.amdhsa_group_segment_fixed_size 0
		.amdhsa_private_segment_fixed_size 0
		.amdhsa_kernarg_size 112
		.amdhsa_user_sgpr_count 2
		.amdhsa_user_sgpr_dispatch_ptr 0
		.amdhsa_user_sgpr_queue_ptr 0
		.amdhsa_user_sgpr_kernarg_segment_ptr 1
		.amdhsa_user_sgpr_dispatch_id 0
		.amdhsa_user_sgpr_kernarg_preload_length 0
		.amdhsa_user_sgpr_kernarg_preload_offset 0
		.amdhsa_user_sgpr_private_segment_size 0
		.amdhsa_wavefront_size32 1
		.amdhsa_uses_dynamic_stack 0
		.amdhsa_enable_private_segment 0
		.amdhsa_system_sgpr_workgroup_id_x 1
		.amdhsa_system_sgpr_workgroup_id_y 0
		.amdhsa_system_sgpr_workgroup_id_z 0
		.amdhsa_system_sgpr_workgroup_info 0
		.amdhsa_system_vgpr_workitem_id 0
		.amdhsa_next_free_vgpr 1
		.amdhsa_next_free_sgpr 1
		.amdhsa_named_barrier_count 0
		.amdhsa_reserve_vcc 0
		.amdhsa_float_round_mode_32 0
		.amdhsa_float_round_mode_16_64 0
		.amdhsa_float_denorm_mode_32 3
		.amdhsa_float_denorm_mode_16_64 3
		.amdhsa_fp16_overflow 0
		.amdhsa_memory_ordered 1
		.amdhsa_forward_progress 1
		.amdhsa_inst_pref_size 1
		.amdhsa_round_robin_scheduling 0
		.amdhsa_exception_fp_ieee_invalid_op 0
		.amdhsa_exception_fp_denorm_src 0
		.amdhsa_exception_fp_ieee_div_zero 0
		.amdhsa_exception_fp_ieee_overflow 0
		.amdhsa_exception_fp_ieee_underflow 0
		.amdhsa_exception_fp_ieee_inexact 0
		.amdhsa_exception_int_div_zero 0
	.end_amdhsa_kernel
	.section	.text._ZN7rocprim17ROCPRIM_400000_NS6detail17trampoline_kernelINS0_14default_configENS1_27scan_by_key_config_selectorIssEEZZNS1_16scan_by_key_implILNS1_25lookback_scan_determinismE0ELb1ES3_N6thrust23THRUST_200600_302600_NS6detail15normal_iteratorINS9_10device_ptrIsEEEESE_SE_sNS9_4plusIvEENS9_8equal_toIsEEsEE10hipError_tPvRmT2_T3_T4_T5_mT6_T7_P12ihipStream_tbENKUlT_T0_E_clISt17integral_constantIbLb1EESY_IbLb0EEEEDaSU_SV_EUlSU_E_NS1_11comp_targetILNS1_3genE0ELNS1_11target_archE4294967295ELNS1_3gpuE0ELNS1_3repE0EEENS1_30default_config_static_selectorELNS0_4arch9wavefront6targetE0EEEvT1_,"axG",@progbits,_ZN7rocprim17ROCPRIM_400000_NS6detail17trampoline_kernelINS0_14default_configENS1_27scan_by_key_config_selectorIssEEZZNS1_16scan_by_key_implILNS1_25lookback_scan_determinismE0ELb1ES3_N6thrust23THRUST_200600_302600_NS6detail15normal_iteratorINS9_10device_ptrIsEEEESE_SE_sNS9_4plusIvEENS9_8equal_toIsEEsEE10hipError_tPvRmT2_T3_T4_T5_mT6_T7_P12ihipStream_tbENKUlT_T0_E_clISt17integral_constantIbLb1EESY_IbLb0EEEEDaSU_SV_EUlSU_E_NS1_11comp_targetILNS1_3genE0ELNS1_11target_archE4294967295ELNS1_3gpuE0ELNS1_3repE0EEENS1_30default_config_static_selectorELNS0_4arch9wavefront6targetE0EEEvT1_,comdat
.Lfunc_end659:
	.size	_ZN7rocprim17ROCPRIM_400000_NS6detail17trampoline_kernelINS0_14default_configENS1_27scan_by_key_config_selectorIssEEZZNS1_16scan_by_key_implILNS1_25lookback_scan_determinismE0ELb1ES3_N6thrust23THRUST_200600_302600_NS6detail15normal_iteratorINS9_10device_ptrIsEEEESE_SE_sNS9_4plusIvEENS9_8equal_toIsEEsEE10hipError_tPvRmT2_T3_T4_T5_mT6_T7_P12ihipStream_tbENKUlT_T0_E_clISt17integral_constantIbLb1EESY_IbLb0EEEEDaSU_SV_EUlSU_E_NS1_11comp_targetILNS1_3genE0ELNS1_11target_archE4294967295ELNS1_3gpuE0ELNS1_3repE0EEENS1_30default_config_static_selectorELNS0_4arch9wavefront6targetE0EEEvT1_, .Lfunc_end659-_ZN7rocprim17ROCPRIM_400000_NS6detail17trampoline_kernelINS0_14default_configENS1_27scan_by_key_config_selectorIssEEZZNS1_16scan_by_key_implILNS1_25lookback_scan_determinismE0ELb1ES3_N6thrust23THRUST_200600_302600_NS6detail15normal_iteratorINS9_10device_ptrIsEEEESE_SE_sNS9_4plusIvEENS9_8equal_toIsEEsEE10hipError_tPvRmT2_T3_T4_T5_mT6_T7_P12ihipStream_tbENKUlT_T0_E_clISt17integral_constantIbLb1EESY_IbLb0EEEEDaSU_SV_EUlSU_E_NS1_11comp_targetILNS1_3genE0ELNS1_11target_archE4294967295ELNS1_3gpuE0ELNS1_3repE0EEENS1_30default_config_static_selectorELNS0_4arch9wavefront6targetE0EEEvT1_
                                        ; -- End function
	.set _ZN7rocprim17ROCPRIM_400000_NS6detail17trampoline_kernelINS0_14default_configENS1_27scan_by_key_config_selectorIssEEZZNS1_16scan_by_key_implILNS1_25lookback_scan_determinismE0ELb1ES3_N6thrust23THRUST_200600_302600_NS6detail15normal_iteratorINS9_10device_ptrIsEEEESE_SE_sNS9_4plusIvEENS9_8equal_toIsEEsEE10hipError_tPvRmT2_T3_T4_T5_mT6_T7_P12ihipStream_tbENKUlT_T0_E_clISt17integral_constantIbLb1EESY_IbLb0EEEEDaSU_SV_EUlSU_E_NS1_11comp_targetILNS1_3genE0ELNS1_11target_archE4294967295ELNS1_3gpuE0ELNS1_3repE0EEENS1_30default_config_static_selectorELNS0_4arch9wavefront6targetE0EEEvT1_.num_vgpr, 0
	.set _ZN7rocprim17ROCPRIM_400000_NS6detail17trampoline_kernelINS0_14default_configENS1_27scan_by_key_config_selectorIssEEZZNS1_16scan_by_key_implILNS1_25lookback_scan_determinismE0ELb1ES3_N6thrust23THRUST_200600_302600_NS6detail15normal_iteratorINS9_10device_ptrIsEEEESE_SE_sNS9_4plusIvEENS9_8equal_toIsEEsEE10hipError_tPvRmT2_T3_T4_T5_mT6_T7_P12ihipStream_tbENKUlT_T0_E_clISt17integral_constantIbLb1EESY_IbLb0EEEEDaSU_SV_EUlSU_E_NS1_11comp_targetILNS1_3genE0ELNS1_11target_archE4294967295ELNS1_3gpuE0ELNS1_3repE0EEENS1_30default_config_static_selectorELNS0_4arch9wavefront6targetE0EEEvT1_.num_agpr, 0
	.set _ZN7rocprim17ROCPRIM_400000_NS6detail17trampoline_kernelINS0_14default_configENS1_27scan_by_key_config_selectorIssEEZZNS1_16scan_by_key_implILNS1_25lookback_scan_determinismE0ELb1ES3_N6thrust23THRUST_200600_302600_NS6detail15normal_iteratorINS9_10device_ptrIsEEEESE_SE_sNS9_4plusIvEENS9_8equal_toIsEEsEE10hipError_tPvRmT2_T3_T4_T5_mT6_T7_P12ihipStream_tbENKUlT_T0_E_clISt17integral_constantIbLb1EESY_IbLb0EEEEDaSU_SV_EUlSU_E_NS1_11comp_targetILNS1_3genE0ELNS1_11target_archE4294967295ELNS1_3gpuE0ELNS1_3repE0EEENS1_30default_config_static_selectorELNS0_4arch9wavefront6targetE0EEEvT1_.numbered_sgpr, 0
	.set _ZN7rocprim17ROCPRIM_400000_NS6detail17trampoline_kernelINS0_14default_configENS1_27scan_by_key_config_selectorIssEEZZNS1_16scan_by_key_implILNS1_25lookback_scan_determinismE0ELb1ES3_N6thrust23THRUST_200600_302600_NS6detail15normal_iteratorINS9_10device_ptrIsEEEESE_SE_sNS9_4plusIvEENS9_8equal_toIsEEsEE10hipError_tPvRmT2_T3_T4_T5_mT6_T7_P12ihipStream_tbENKUlT_T0_E_clISt17integral_constantIbLb1EESY_IbLb0EEEEDaSU_SV_EUlSU_E_NS1_11comp_targetILNS1_3genE0ELNS1_11target_archE4294967295ELNS1_3gpuE0ELNS1_3repE0EEENS1_30default_config_static_selectorELNS0_4arch9wavefront6targetE0EEEvT1_.num_named_barrier, 0
	.set _ZN7rocprim17ROCPRIM_400000_NS6detail17trampoline_kernelINS0_14default_configENS1_27scan_by_key_config_selectorIssEEZZNS1_16scan_by_key_implILNS1_25lookback_scan_determinismE0ELb1ES3_N6thrust23THRUST_200600_302600_NS6detail15normal_iteratorINS9_10device_ptrIsEEEESE_SE_sNS9_4plusIvEENS9_8equal_toIsEEsEE10hipError_tPvRmT2_T3_T4_T5_mT6_T7_P12ihipStream_tbENKUlT_T0_E_clISt17integral_constantIbLb1EESY_IbLb0EEEEDaSU_SV_EUlSU_E_NS1_11comp_targetILNS1_3genE0ELNS1_11target_archE4294967295ELNS1_3gpuE0ELNS1_3repE0EEENS1_30default_config_static_selectorELNS0_4arch9wavefront6targetE0EEEvT1_.private_seg_size, 0
	.set _ZN7rocprim17ROCPRIM_400000_NS6detail17trampoline_kernelINS0_14default_configENS1_27scan_by_key_config_selectorIssEEZZNS1_16scan_by_key_implILNS1_25lookback_scan_determinismE0ELb1ES3_N6thrust23THRUST_200600_302600_NS6detail15normal_iteratorINS9_10device_ptrIsEEEESE_SE_sNS9_4plusIvEENS9_8equal_toIsEEsEE10hipError_tPvRmT2_T3_T4_T5_mT6_T7_P12ihipStream_tbENKUlT_T0_E_clISt17integral_constantIbLb1EESY_IbLb0EEEEDaSU_SV_EUlSU_E_NS1_11comp_targetILNS1_3genE0ELNS1_11target_archE4294967295ELNS1_3gpuE0ELNS1_3repE0EEENS1_30default_config_static_selectorELNS0_4arch9wavefront6targetE0EEEvT1_.uses_vcc, 0
	.set _ZN7rocprim17ROCPRIM_400000_NS6detail17trampoline_kernelINS0_14default_configENS1_27scan_by_key_config_selectorIssEEZZNS1_16scan_by_key_implILNS1_25lookback_scan_determinismE0ELb1ES3_N6thrust23THRUST_200600_302600_NS6detail15normal_iteratorINS9_10device_ptrIsEEEESE_SE_sNS9_4plusIvEENS9_8equal_toIsEEsEE10hipError_tPvRmT2_T3_T4_T5_mT6_T7_P12ihipStream_tbENKUlT_T0_E_clISt17integral_constantIbLb1EESY_IbLb0EEEEDaSU_SV_EUlSU_E_NS1_11comp_targetILNS1_3genE0ELNS1_11target_archE4294967295ELNS1_3gpuE0ELNS1_3repE0EEENS1_30default_config_static_selectorELNS0_4arch9wavefront6targetE0EEEvT1_.uses_flat_scratch, 0
	.set _ZN7rocprim17ROCPRIM_400000_NS6detail17trampoline_kernelINS0_14default_configENS1_27scan_by_key_config_selectorIssEEZZNS1_16scan_by_key_implILNS1_25lookback_scan_determinismE0ELb1ES3_N6thrust23THRUST_200600_302600_NS6detail15normal_iteratorINS9_10device_ptrIsEEEESE_SE_sNS9_4plusIvEENS9_8equal_toIsEEsEE10hipError_tPvRmT2_T3_T4_T5_mT6_T7_P12ihipStream_tbENKUlT_T0_E_clISt17integral_constantIbLb1EESY_IbLb0EEEEDaSU_SV_EUlSU_E_NS1_11comp_targetILNS1_3genE0ELNS1_11target_archE4294967295ELNS1_3gpuE0ELNS1_3repE0EEENS1_30default_config_static_selectorELNS0_4arch9wavefront6targetE0EEEvT1_.has_dyn_sized_stack, 0
	.set _ZN7rocprim17ROCPRIM_400000_NS6detail17trampoline_kernelINS0_14default_configENS1_27scan_by_key_config_selectorIssEEZZNS1_16scan_by_key_implILNS1_25lookback_scan_determinismE0ELb1ES3_N6thrust23THRUST_200600_302600_NS6detail15normal_iteratorINS9_10device_ptrIsEEEESE_SE_sNS9_4plusIvEENS9_8equal_toIsEEsEE10hipError_tPvRmT2_T3_T4_T5_mT6_T7_P12ihipStream_tbENKUlT_T0_E_clISt17integral_constantIbLb1EESY_IbLb0EEEEDaSU_SV_EUlSU_E_NS1_11comp_targetILNS1_3genE0ELNS1_11target_archE4294967295ELNS1_3gpuE0ELNS1_3repE0EEENS1_30default_config_static_selectorELNS0_4arch9wavefront6targetE0EEEvT1_.has_recursion, 0
	.set _ZN7rocprim17ROCPRIM_400000_NS6detail17trampoline_kernelINS0_14default_configENS1_27scan_by_key_config_selectorIssEEZZNS1_16scan_by_key_implILNS1_25lookback_scan_determinismE0ELb1ES3_N6thrust23THRUST_200600_302600_NS6detail15normal_iteratorINS9_10device_ptrIsEEEESE_SE_sNS9_4plusIvEENS9_8equal_toIsEEsEE10hipError_tPvRmT2_T3_T4_T5_mT6_T7_P12ihipStream_tbENKUlT_T0_E_clISt17integral_constantIbLb1EESY_IbLb0EEEEDaSU_SV_EUlSU_E_NS1_11comp_targetILNS1_3genE0ELNS1_11target_archE4294967295ELNS1_3gpuE0ELNS1_3repE0EEENS1_30default_config_static_selectorELNS0_4arch9wavefront6targetE0EEEvT1_.has_indirect_call, 0
	.section	.AMDGPU.csdata,"",@progbits
; Kernel info:
; codeLenInByte = 4
; TotalNumSgprs: 0
; NumVgprs: 0
; ScratchSize: 0
; MemoryBound: 0
; FloatMode: 240
; IeeeMode: 1
; LDSByteSize: 0 bytes/workgroup (compile time only)
; SGPRBlocks: 0
; VGPRBlocks: 0
; NumSGPRsForWavesPerEU: 1
; NumVGPRsForWavesPerEU: 1
; NamedBarCnt: 0
; Occupancy: 16
; WaveLimiterHint : 0
; COMPUTE_PGM_RSRC2:SCRATCH_EN: 0
; COMPUTE_PGM_RSRC2:USER_SGPR: 2
; COMPUTE_PGM_RSRC2:TRAP_HANDLER: 0
; COMPUTE_PGM_RSRC2:TGID_X_EN: 1
; COMPUTE_PGM_RSRC2:TGID_Y_EN: 0
; COMPUTE_PGM_RSRC2:TGID_Z_EN: 0
; COMPUTE_PGM_RSRC2:TIDIG_COMP_CNT: 0
	.section	.text._ZN7rocprim17ROCPRIM_400000_NS6detail17trampoline_kernelINS0_14default_configENS1_27scan_by_key_config_selectorIssEEZZNS1_16scan_by_key_implILNS1_25lookback_scan_determinismE0ELb1ES3_N6thrust23THRUST_200600_302600_NS6detail15normal_iteratorINS9_10device_ptrIsEEEESE_SE_sNS9_4plusIvEENS9_8equal_toIsEEsEE10hipError_tPvRmT2_T3_T4_T5_mT6_T7_P12ihipStream_tbENKUlT_T0_E_clISt17integral_constantIbLb1EESY_IbLb0EEEEDaSU_SV_EUlSU_E_NS1_11comp_targetILNS1_3genE10ELNS1_11target_archE1201ELNS1_3gpuE5ELNS1_3repE0EEENS1_30default_config_static_selectorELNS0_4arch9wavefront6targetE0EEEvT1_,"axG",@progbits,_ZN7rocprim17ROCPRIM_400000_NS6detail17trampoline_kernelINS0_14default_configENS1_27scan_by_key_config_selectorIssEEZZNS1_16scan_by_key_implILNS1_25lookback_scan_determinismE0ELb1ES3_N6thrust23THRUST_200600_302600_NS6detail15normal_iteratorINS9_10device_ptrIsEEEESE_SE_sNS9_4plusIvEENS9_8equal_toIsEEsEE10hipError_tPvRmT2_T3_T4_T5_mT6_T7_P12ihipStream_tbENKUlT_T0_E_clISt17integral_constantIbLb1EESY_IbLb0EEEEDaSU_SV_EUlSU_E_NS1_11comp_targetILNS1_3genE10ELNS1_11target_archE1201ELNS1_3gpuE5ELNS1_3repE0EEENS1_30default_config_static_selectorELNS0_4arch9wavefront6targetE0EEEvT1_,comdat
	.protected	_ZN7rocprim17ROCPRIM_400000_NS6detail17trampoline_kernelINS0_14default_configENS1_27scan_by_key_config_selectorIssEEZZNS1_16scan_by_key_implILNS1_25lookback_scan_determinismE0ELb1ES3_N6thrust23THRUST_200600_302600_NS6detail15normal_iteratorINS9_10device_ptrIsEEEESE_SE_sNS9_4plusIvEENS9_8equal_toIsEEsEE10hipError_tPvRmT2_T3_T4_T5_mT6_T7_P12ihipStream_tbENKUlT_T0_E_clISt17integral_constantIbLb1EESY_IbLb0EEEEDaSU_SV_EUlSU_E_NS1_11comp_targetILNS1_3genE10ELNS1_11target_archE1201ELNS1_3gpuE5ELNS1_3repE0EEENS1_30default_config_static_selectorELNS0_4arch9wavefront6targetE0EEEvT1_ ; -- Begin function _ZN7rocprim17ROCPRIM_400000_NS6detail17trampoline_kernelINS0_14default_configENS1_27scan_by_key_config_selectorIssEEZZNS1_16scan_by_key_implILNS1_25lookback_scan_determinismE0ELb1ES3_N6thrust23THRUST_200600_302600_NS6detail15normal_iteratorINS9_10device_ptrIsEEEESE_SE_sNS9_4plusIvEENS9_8equal_toIsEEsEE10hipError_tPvRmT2_T3_T4_T5_mT6_T7_P12ihipStream_tbENKUlT_T0_E_clISt17integral_constantIbLb1EESY_IbLb0EEEEDaSU_SV_EUlSU_E_NS1_11comp_targetILNS1_3genE10ELNS1_11target_archE1201ELNS1_3gpuE5ELNS1_3repE0EEENS1_30default_config_static_selectorELNS0_4arch9wavefront6targetE0EEEvT1_
	.globl	_ZN7rocprim17ROCPRIM_400000_NS6detail17trampoline_kernelINS0_14default_configENS1_27scan_by_key_config_selectorIssEEZZNS1_16scan_by_key_implILNS1_25lookback_scan_determinismE0ELb1ES3_N6thrust23THRUST_200600_302600_NS6detail15normal_iteratorINS9_10device_ptrIsEEEESE_SE_sNS9_4plusIvEENS9_8equal_toIsEEsEE10hipError_tPvRmT2_T3_T4_T5_mT6_T7_P12ihipStream_tbENKUlT_T0_E_clISt17integral_constantIbLb1EESY_IbLb0EEEEDaSU_SV_EUlSU_E_NS1_11comp_targetILNS1_3genE10ELNS1_11target_archE1201ELNS1_3gpuE5ELNS1_3repE0EEENS1_30default_config_static_selectorELNS0_4arch9wavefront6targetE0EEEvT1_
	.p2align	8
	.type	_ZN7rocprim17ROCPRIM_400000_NS6detail17trampoline_kernelINS0_14default_configENS1_27scan_by_key_config_selectorIssEEZZNS1_16scan_by_key_implILNS1_25lookback_scan_determinismE0ELb1ES3_N6thrust23THRUST_200600_302600_NS6detail15normal_iteratorINS9_10device_ptrIsEEEESE_SE_sNS9_4plusIvEENS9_8equal_toIsEEsEE10hipError_tPvRmT2_T3_T4_T5_mT6_T7_P12ihipStream_tbENKUlT_T0_E_clISt17integral_constantIbLb1EESY_IbLb0EEEEDaSU_SV_EUlSU_E_NS1_11comp_targetILNS1_3genE10ELNS1_11target_archE1201ELNS1_3gpuE5ELNS1_3repE0EEENS1_30default_config_static_selectorELNS0_4arch9wavefront6targetE0EEEvT1_,@function
_ZN7rocprim17ROCPRIM_400000_NS6detail17trampoline_kernelINS0_14default_configENS1_27scan_by_key_config_selectorIssEEZZNS1_16scan_by_key_implILNS1_25lookback_scan_determinismE0ELb1ES3_N6thrust23THRUST_200600_302600_NS6detail15normal_iteratorINS9_10device_ptrIsEEEESE_SE_sNS9_4plusIvEENS9_8equal_toIsEEsEE10hipError_tPvRmT2_T3_T4_T5_mT6_T7_P12ihipStream_tbENKUlT_T0_E_clISt17integral_constantIbLb1EESY_IbLb0EEEEDaSU_SV_EUlSU_E_NS1_11comp_targetILNS1_3genE10ELNS1_11target_archE1201ELNS1_3gpuE5ELNS1_3repE0EEENS1_30default_config_static_selectorELNS0_4arch9wavefront6targetE0EEEvT1_: ; @_ZN7rocprim17ROCPRIM_400000_NS6detail17trampoline_kernelINS0_14default_configENS1_27scan_by_key_config_selectorIssEEZZNS1_16scan_by_key_implILNS1_25lookback_scan_determinismE0ELb1ES3_N6thrust23THRUST_200600_302600_NS6detail15normal_iteratorINS9_10device_ptrIsEEEESE_SE_sNS9_4plusIvEENS9_8equal_toIsEEsEE10hipError_tPvRmT2_T3_T4_T5_mT6_T7_P12ihipStream_tbENKUlT_T0_E_clISt17integral_constantIbLb1EESY_IbLb0EEEEDaSU_SV_EUlSU_E_NS1_11comp_targetILNS1_3genE10ELNS1_11target_archE1201ELNS1_3gpuE5ELNS1_3repE0EEENS1_30default_config_static_selectorELNS0_4arch9wavefront6targetE0EEEvT1_
; %bb.0:
	.section	.rodata,"a",@progbits
	.p2align	6, 0x0
	.amdhsa_kernel _ZN7rocprim17ROCPRIM_400000_NS6detail17trampoline_kernelINS0_14default_configENS1_27scan_by_key_config_selectorIssEEZZNS1_16scan_by_key_implILNS1_25lookback_scan_determinismE0ELb1ES3_N6thrust23THRUST_200600_302600_NS6detail15normal_iteratorINS9_10device_ptrIsEEEESE_SE_sNS9_4plusIvEENS9_8equal_toIsEEsEE10hipError_tPvRmT2_T3_T4_T5_mT6_T7_P12ihipStream_tbENKUlT_T0_E_clISt17integral_constantIbLb1EESY_IbLb0EEEEDaSU_SV_EUlSU_E_NS1_11comp_targetILNS1_3genE10ELNS1_11target_archE1201ELNS1_3gpuE5ELNS1_3repE0EEENS1_30default_config_static_selectorELNS0_4arch9wavefront6targetE0EEEvT1_
		.amdhsa_group_segment_fixed_size 0
		.amdhsa_private_segment_fixed_size 0
		.amdhsa_kernarg_size 112
		.amdhsa_user_sgpr_count 2
		.amdhsa_user_sgpr_dispatch_ptr 0
		.amdhsa_user_sgpr_queue_ptr 0
		.amdhsa_user_sgpr_kernarg_segment_ptr 1
		.amdhsa_user_sgpr_dispatch_id 0
		.amdhsa_user_sgpr_kernarg_preload_length 0
		.amdhsa_user_sgpr_kernarg_preload_offset 0
		.amdhsa_user_sgpr_private_segment_size 0
		.amdhsa_wavefront_size32 1
		.amdhsa_uses_dynamic_stack 0
		.amdhsa_enable_private_segment 0
		.amdhsa_system_sgpr_workgroup_id_x 1
		.amdhsa_system_sgpr_workgroup_id_y 0
		.amdhsa_system_sgpr_workgroup_id_z 0
		.amdhsa_system_sgpr_workgroup_info 0
		.amdhsa_system_vgpr_workitem_id 0
		.amdhsa_next_free_vgpr 1
		.amdhsa_next_free_sgpr 1
		.amdhsa_named_barrier_count 0
		.amdhsa_reserve_vcc 0
		.amdhsa_float_round_mode_32 0
		.amdhsa_float_round_mode_16_64 0
		.amdhsa_float_denorm_mode_32 3
		.amdhsa_float_denorm_mode_16_64 3
		.amdhsa_fp16_overflow 0
		.amdhsa_memory_ordered 1
		.amdhsa_forward_progress 1
		.amdhsa_inst_pref_size 0
		.amdhsa_round_robin_scheduling 0
		.amdhsa_exception_fp_ieee_invalid_op 0
		.amdhsa_exception_fp_denorm_src 0
		.amdhsa_exception_fp_ieee_div_zero 0
		.amdhsa_exception_fp_ieee_overflow 0
		.amdhsa_exception_fp_ieee_underflow 0
		.amdhsa_exception_fp_ieee_inexact 0
		.amdhsa_exception_int_div_zero 0
	.end_amdhsa_kernel
	.section	.text._ZN7rocprim17ROCPRIM_400000_NS6detail17trampoline_kernelINS0_14default_configENS1_27scan_by_key_config_selectorIssEEZZNS1_16scan_by_key_implILNS1_25lookback_scan_determinismE0ELb1ES3_N6thrust23THRUST_200600_302600_NS6detail15normal_iteratorINS9_10device_ptrIsEEEESE_SE_sNS9_4plusIvEENS9_8equal_toIsEEsEE10hipError_tPvRmT2_T3_T4_T5_mT6_T7_P12ihipStream_tbENKUlT_T0_E_clISt17integral_constantIbLb1EESY_IbLb0EEEEDaSU_SV_EUlSU_E_NS1_11comp_targetILNS1_3genE10ELNS1_11target_archE1201ELNS1_3gpuE5ELNS1_3repE0EEENS1_30default_config_static_selectorELNS0_4arch9wavefront6targetE0EEEvT1_,"axG",@progbits,_ZN7rocprim17ROCPRIM_400000_NS6detail17trampoline_kernelINS0_14default_configENS1_27scan_by_key_config_selectorIssEEZZNS1_16scan_by_key_implILNS1_25lookback_scan_determinismE0ELb1ES3_N6thrust23THRUST_200600_302600_NS6detail15normal_iteratorINS9_10device_ptrIsEEEESE_SE_sNS9_4plusIvEENS9_8equal_toIsEEsEE10hipError_tPvRmT2_T3_T4_T5_mT6_T7_P12ihipStream_tbENKUlT_T0_E_clISt17integral_constantIbLb1EESY_IbLb0EEEEDaSU_SV_EUlSU_E_NS1_11comp_targetILNS1_3genE10ELNS1_11target_archE1201ELNS1_3gpuE5ELNS1_3repE0EEENS1_30default_config_static_selectorELNS0_4arch9wavefront6targetE0EEEvT1_,comdat
.Lfunc_end660:
	.size	_ZN7rocprim17ROCPRIM_400000_NS6detail17trampoline_kernelINS0_14default_configENS1_27scan_by_key_config_selectorIssEEZZNS1_16scan_by_key_implILNS1_25lookback_scan_determinismE0ELb1ES3_N6thrust23THRUST_200600_302600_NS6detail15normal_iteratorINS9_10device_ptrIsEEEESE_SE_sNS9_4plusIvEENS9_8equal_toIsEEsEE10hipError_tPvRmT2_T3_T4_T5_mT6_T7_P12ihipStream_tbENKUlT_T0_E_clISt17integral_constantIbLb1EESY_IbLb0EEEEDaSU_SV_EUlSU_E_NS1_11comp_targetILNS1_3genE10ELNS1_11target_archE1201ELNS1_3gpuE5ELNS1_3repE0EEENS1_30default_config_static_selectorELNS0_4arch9wavefront6targetE0EEEvT1_, .Lfunc_end660-_ZN7rocprim17ROCPRIM_400000_NS6detail17trampoline_kernelINS0_14default_configENS1_27scan_by_key_config_selectorIssEEZZNS1_16scan_by_key_implILNS1_25lookback_scan_determinismE0ELb1ES3_N6thrust23THRUST_200600_302600_NS6detail15normal_iteratorINS9_10device_ptrIsEEEESE_SE_sNS9_4plusIvEENS9_8equal_toIsEEsEE10hipError_tPvRmT2_T3_T4_T5_mT6_T7_P12ihipStream_tbENKUlT_T0_E_clISt17integral_constantIbLb1EESY_IbLb0EEEEDaSU_SV_EUlSU_E_NS1_11comp_targetILNS1_3genE10ELNS1_11target_archE1201ELNS1_3gpuE5ELNS1_3repE0EEENS1_30default_config_static_selectorELNS0_4arch9wavefront6targetE0EEEvT1_
                                        ; -- End function
	.set _ZN7rocprim17ROCPRIM_400000_NS6detail17trampoline_kernelINS0_14default_configENS1_27scan_by_key_config_selectorIssEEZZNS1_16scan_by_key_implILNS1_25lookback_scan_determinismE0ELb1ES3_N6thrust23THRUST_200600_302600_NS6detail15normal_iteratorINS9_10device_ptrIsEEEESE_SE_sNS9_4plusIvEENS9_8equal_toIsEEsEE10hipError_tPvRmT2_T3_T4_T5_mT6_T7_P12ihipStream_tbENKUlT_T0_E_clISt17integral_constantIbLb1EESY_IbLb0EEEEDaSU_SV_EUlSU_E_NS1_11comp_targetILNS1_3genE10ELNS1_11target_archE1201ELNS1_3gpuE5ELNS1_3repE0EEENS1_30default_config_static_selectorELNS0_4arch9wavefront6targetE0EEEvT1_.num_vgpr, 0
	.set _ZN7rocprim17ROCPRIM_400000_NS6detail17trampoline_kernelINS0_14default_configENS1_27scan_by_key_config_selectorIssEEZZNS1_16scan_by_key_implILNS1_25lookback_scan_determinismE0ELb1ES3_N6thrust23THRUST_200600_302600_NS6detail15normal_iteratorINS9_10device_ptrIsEEEESE_SE_sNS9_4plusIvEENS9_8equal_toIsEEsEE10hipError_tPvRmT2_T3_T4_T5_mT6_T7_P12ihipStream_tbENKUlT_T0_E_clISt17integral_constantIbLb1EESY_IbLb0EEEEDaSU_SV_EUlSU_E_NS1_11comp_targetILNS1_3genE10ELNS1_11target_archE1201ELNS1_3gpuE5ELNS1_3repE0EEENS1_30default_config_static_selectorELNS0_4arch9wavefront6targetE0EEEvT1_.num_agpr, 0
	.set _ZN7rocprim17ROCPRIM_400000_NS6detail17trampoline_kernelINS0_14default_configENS1_27scan_by_key_config_selectorIssEEZZNS1_16scan_by_key_implILNS1_25lookback_scan_determinismE0ELb1ES3_N6thrust23THRUST_200600_302600_NS6detail15normal_iteratorINS9_10device_ptrIsEEEESE_SE_sNS9_4plusIvEENS9_8equal_toIsEEsEE10hipError_tPvRmT2_T3_T4_T5_mT6_T7_P12ihipStream_tbENKUlT_T0_E_clISt17integral_constantIbLb1EESY_IbLb0EEEEDaSU_SV_EUlSU_E_NS1_11comp_targetILNS1_3genE10ELNS1_11target_archE1201ELNS1_3gpuE5ELNS1_3repE0EEENS1_30default_config_static_selectorELNS0_4arch9wavefront6targetE0EEEvT1_.numbered_sgpr, 0
	.set _ZN7rocprim17ROCPRIM_400000_NS6detail17trampoline_kernelINS0_14default_configENS1_27scan_by_key_config_selectorIssEEZZNS1_16scan_by_key_implILNS1_25lookback_scan_determinismE0ELb1ES3_N6thrust23THRUST_200600_302600_NS6detail15normal_iteratorINS9_10device_ptrIsEEEESE_SE_sNS9_4plusIvEENS9_8equal_toIsEEsEE10hipError_tPvRmT2_T3_T4_T5_mT6_T7_P12ihipStream_tbENKUlT_T0_E_clISt17integral_constantIbLb1EESY_IbLb0EEEEDaSU_SV_EUlSU_E_NS1_11comp_targetILNS1_3genE10ELNS1_11target_archE1201ELNS1_3gpuE5ELNS1_3repE0EEENS1_30default_config_static_selectorELNS0_4arch9wavefront6targetE0EEEvT1_.num_named_barrier, 0
	.set _ZN7rocprim17ROCPRIM_400000_NS6detail17trampoline_kernelINS0_14default_configENS1_27scan_by_key_config_selectorIssEEZZNS1_16scan_by_key_implILNS1_25lookback_scan_determinismE0ELb1ES3_N6thrust23THRUST_200600_302600_NS6detail15normal_iteratorINS9_10device_ptrIsEEEESE_SE_sNS9_4plusIvEENS9_8equal_toIsEEsEE10hipError_tPvRmT2_T3_T4_T5_mT6_T7_P12ihipStream_tbENKUlT_T0_E_clISt17integral_constantIbLb1EESY_IbLb0EEEEDaSU_SV_EUlSU_E_NS1_11comp_targetILNS1_3genE10ELNS1_11target_archE1201ELNS1_3gpuE5ELNS1_3repE0EEENS1_30default_config_static_selectorELNS0_4arch9wavefront6targetE0EEEvT1_.private_seg_size, 0
	.set _ZN7rocprim17ROCPRIM_400000_NS6detail17trampoline_kernelINS0_14default_configENS1_27scan_by_key_config_selectorIssEEZZNS1_16scan_by_key_implILNS1_25lookback_scan_determinismE0ELb1ES3_N6thrust23THRUST_200600_302600_NS6detail15normal_iteratorINS9_10device_ptrIsEEEESE_SE_sNS9_4plusIvEENS9_8equal_toIsEEsEE10hipError_tPvRmT2_T3_T4_T5_mT6_T7_P12ihipStream_tbENKUlT_T0_E_clISt17integral_constantIbLb1EESY_IbLb0EEEEDaSU_SV_EUlSU_E_NS1_11comp_targetILNS1_3genE10ELNS1_11target_archE1201ELNS1_3gpuE5ELNS1_3repE0EEENS1_30default_config_static_selectorELNS0_4arch9wavefront6targetE0EEEvT1_.uses_vcc, 0
	.set _ZN7rocprim17ROCPRIM_400000_NS6detail17trampoline_kernelINS0_14default_configENS1_27scan_by_key_config_selectorIssEEZZNS1_16scan_by_key_implILNS1_25lookback_scan_determinismE0ELb1ES3_N6thrust23THRUST_200600_302600_NS6detail15normal_iteratorINS9_10device_ptrIsEEEESE_SE_sNS9_4plusIvEENS9_8equal_toIsEEsEE10hipError_tPvRmT2_T3_T4_T5_mT6_T7_P12ihipStream_tbENKUlT_T0_E_clISt17integral_constantIbLb1EESY_IbLb0EEEEDaSU_SV_EUlSU_E_NS1_11comp_targetILNS1_3genE10ELNS1_11target_archE1201ELNS1_3gpuE5ELNS1_3repE0EEENS1_30default_config_static_selectorELNS0_4arch9wavefront6targetE0EEEvT1_.uses_flat_scratch, 0
	.set _ZN7rocprim17ROCPRIM_400000_NS6detail17trampoline_kernelINS0_14default_configENS1_27scan_by_key_config_selectorIssEEZZNS1_16scan_by_key_implILNS1_25lookback_scan_determinismE0ELb1ES3_N6thrust23THRUST_200600_302600_NS6detail15normal_iteratorINS9_10device_ptrIsEEEESE_SE_sNS9_4plusIvEENS9_8equal_toIsEEsEE10hipError_tPvRmT2_T3_T4_T5_mT6_T7_P12ihipStream_tbENKUlT_T0_E_clISt17integral_constantIbLb1EESY_IbLb0EEEEDaSU_SV_EUlSU_E_NS1_11comp_targetILNS1_3genE10ELNS1_11target_archE1201ELNS1_3gpuE5ELNS1_3repE0EEENS1_30default_config_static_selectorELNS0_4arch9wavefront6targetE0EEEvT1_.has_dyn_sized_stack, 0
	.set _ZN7rocprim17ROCPRIM_400000_NS6detail17trampoline_kernelINS0_14default_configENS1_27scan_by_key_config_selectorIssEEZZNS1_16scan_by_key_implILNS1_25lookback_scan_determinismE0ELb1ES3_N6thrust23THRUST_200600_302600_NS6detail15normal_iteratorINS9_10device_ptrIsEEEESE_SE_sNS9_4plusIvEENS9_8equal_toIsEEsEE10hipError_tPvRmT2_T3_T4_T5_mT6_T7_P12ihipStream_tbENKUlT_T0_E_clISt17integral_constantIbLb1EESY_IbLb0EEEEDaSU_SV_EUlSU_E_NS1_11comp_targetILNS1_3genE10ELNS1_11target_archE1201ELNS1_3gpuE5ELNS1_3repE0EEENS1_30default_config_static_selectorELNS0_4arch9wavefront6targetE0EEEvT1_.has_recursion, 0
	.set _ZN7rocprim17ROCPRIM_400000_NS6detail17trampoline_kernelINS0_14default_configENS1_27scan_by_key_config_selectorIssEEZZNS1_16scan_by_key_implILNS1_25lookback_scan_determinismE0ELb1ES3_N6thrust23THRUST_200600_302600_NS6detail15normal_iteratorINS9_10device_ptrIsEEEESE_SE_sNS9_4plusIvEENS9_8equal_toIsEEsEE10hipError_tPvRmT2_T3_T4_T5_mT6_T7_P12ihipStream_tbENKUlT_T0_E_clISt17integral_constantIbLb1EESY_IbLb0EEEEDaSU_SV_EUlSU_E_NS1_11comp_targetILNS1_3genE10ELNS1_11target_archE1201ELNS1_3gpuE5ELNS1_3repE0EEENS1_30default_config_static_selectorELNS0_4arch9wavefront6targetE0EEEvT1_.has_indirect_call, 0
	.section	.AMDGPU.csdata,"",@progbits
; Kernel info:
; codeLenInByte = 0
; TotalNumSgprs: 0
; NumVgprs: 0
; ScratchSize: 0
; MemoryBound: 0
; FloatMode: 240
; IeeeMode: 1
; LDSByteSize: 0 bytes/workgroup (compile time only)
; SGPRBlocks: 0
; VGPRBlocks: 0
; NumSGPRsForWavesPerEU: 1
; NumVGPRsForWavesPerEU: 1
; NamedBarCnt: 0
; Occupancy: 16
; WaveLimiterHint : 0
; COMPUTE_PGM_RSRC2:SCRATCH_EN: 0
; COMPUTE_PGM_RSRC2:USER_SGPR: 2
; COMPUTE_PGM_RSRC2:TRAP_HANDLER: 0
; COMPUTE_PGM_RSRC2:TGID_X_EN: 1
; COMPUTE_PGM_RSRC2:TGID_Y_EN: 0
; COMPUTE_PGM_RSRC2:TGID_Z_EN: 0
; COMPUTE_PGM_RSRC2:TIDIG_COMP_CNT: 0
	.section	.text._ZN7rocprim17ROCPRIM_400000_NS6detail17trampoline_kernelINS0_14default_configENS1_27scan_by_key_config_selectorIssEEZZNS1_16scan_by_key_implILNS1_25lookback_scan_determinismE0ELb1ES3_N6thrust23THRUST_200600_302600_NS6detail15normal_iteratorINS9_10device_ptrIsEEEESE_SE_sNS9_4plusIvEENS9_8equal_toIsEEsEE10hipError_tPvRmT2_T3_T4_T5_mT6_T7_P12ihipStream_tbENKUlT_T0_E_clISt17integral_constantIbLb1EESY_IbLb0EEEEDaSU_SV_EUlSU_E_NS1_11comp_targetILNS1_3genE5ELNS1_11target_archE942ELNS1_3gpuE9ELNS1_3repE0EEENS1_30default_config_static_selectorELNS0_4arch9wavefront6targetE0EEEvT1_,"axG",@progbits,_ZN7rocprim17ROCPRIM_400000_NS6detail17trampoline_kernelINS0_14default_configENS1_27scan_by_key_config_selectorIssEEZZNS1_16scan_by_key_implILNS1_25lookback_scan_determinismE0ELb1ES3_N6thrust23THRUST_200600_302600_NS6detail15normal_iteratorINS9_10device_ptrIsEEEESE_SE_sNS9_4plusIvEENS9_8equal_toIsEEsEE10hipError_tPvRmT2_T3_T4_T5_mT6_T7_P12ihipStream_tbENKUlT_T0_E_clISt17integral_constantIbLb1EESY_IbLb0EEEEDaSU_SV_EUlSU_E_NS1_11comp_targetILNS1_3genE5ELNS1_11target_archE942ELNS1_3gpuE9ELNS1_3repE0EEENS1_30default_config_static_selectorELNS0_4arch9wavefront6targetE0EEEvT1_,comdat
	.protected	_ZN7rocprim17ROCPRIM_400000_NS6detail17trampoline_kernelINS0_14default_configENS1_27scan_by_key_config_selectorIssEEZZNS1_16scan_by_key_implILNS1_25lookback_scan_determinismE0ELb1ES3_N6thrust23THRUST_200600_302600_NS6detail15normal_iteratorINS9_10device_ptrIsEEEESE_SE_sNS9_4plusIvEENS9_8equal_toIsEEsEE10hipError_tPvRmT2_T3_T4_T5_mT6_T7_P12ihipStream_tbENKUlT_T0_E_clISt17integral_constantIbLb1EESY_IbLb0EEEEDaSU_SV_EUlSU_E_NS1_11comp_targetILNS1_3genE5ELNS1_11target_archE942ELNS1_3gpuE9ELNS1_3repE0EEENS1_30default_config_static_selectorELNS0_4arch9wavefront6targetE0EEEvT1_ ; -- Begin function _ZN7rocprim17ROCPRIM_400000_NS6detail17trampoline_kernelINS0_14default_configENS1_27scan_by_key_config_selectorIssEEZZNS1_16scan_by_key_implILNS1_25lookback_scan_determinismE0ELb1ES3_N6thrust23THRUST_200600_302600_NS6detail15normal_iteratorINS9_10device_ptrIsEEEESE_SE_sNS9_4plusIvEENS9_8equal_toIsEEsEE10hipError_tPvRmT2_T3_T4_T5_mT6_T7_P12ihipStream_tbENKUlT_T0_E_clISt17integral_constantIbLb1EESY_IbLb0EEEEDaSU_SV_EUlSU_E_NS1_11comp_targetILNS1_3genE5ELNS1_11target_archE942ELNS1_3gpuE9ELNS1_3repE0EEENS1_30default_config_static_selectorELNS0_4arch9wavefront6targetE0EEEvT1_
	.globl	_ZN7rocprim17ROCPRIM_400000_NS6detail17trampoline_kernelINS0_14default_configENS1_27scan_by_key_config_selectorIssEEZZNS1_16scan_by_key_implILNS1_25lookback_scan_determinismE0ELb1ES3_N6thrust23THRUST_200600_302600_NS6detail15normal_iteratorINS9_10device_ptrIsEEEESE_SE_sNS9_4plusIvEENS9_8equal_toIsEEsEE10hipError_tPvRmT2_T3_T4_T5_mT6_T7_P12ihipStream_tbENKUlT_T0_E_clISt17integral_constantIbLb1EESY_IbLb0EEEEDaSU_SV_EUlSU_E_NS1_11comp_targetILNS1_3genE5ELNS1_11target_archE942ELNS1_3gpuE9ELNS1_3repE0EEENS1_30default_config_static_selectorELNS0_4arch9wavefront6targetE0EEEvT1_
	.p2align	8
	.type	_ZN7rocprim17ROCPRIM_400000_NS6detail17trampoline_kernelINS0_14default_configENS1_27scan_by_key_config_selectorIssEEZZNS1_16scan_by_key_implILNS1_25lookback_scan_determinismE0ELb1ES3_N6thrust23THRUST_200600_302600_NS6detail15normal_iteratorINS9_10device_ptrIsEEEESE_SE_sNS9_4plusIvEENS9_8equal_toIsEEsEE10hipError_tPvRmT2_T3_T4_T5_mT6_T7_P12ihipStream_tbENKUlT_T0_E_clISt17integral_constantIbLb1EESY_IbLb0EEEEDaSU_SV_EUlSU_E_NS1_11comp_targetILNS1_3genE5ELNS1_11target_archE942ELNS1_3gpuE9ELNS1_3repE0EEENS1_30default_config_static_selectorELNS0_4arch9wavefront6targetE0EEEvT1_,@function
_ZN7rocprim17ROCPRIM_400000_NS6detail17trampoline_kernelINS0_14default_configENS1_27scan_by_key_config_selectorIssEEZZNS1_16scan_by_key_implILNS1_25lookback_scan_determinismE0ELb1ES3_N6thrust23THRUST_200600_302600_NS6detail15normal_iteratorINS9_10device_ptrIsEEEESE_SE_sNS9_4plusIvEENS9_8equal_toIsEEsEE10hipError_tPvRmT2_T3_T4_T5_mT6_T7_P12ihipStream_tbENKUlT_T0_E_clISt17integral_constantIbLb1EESY_IbLb0EEEEDaSU_SV_EUlSU_E_NS1_11comp_targetILNS1_3genE5ELNS1_11target_archE942ELNS1_3gpuE9ELNS1_3repE0EEENS1_30default_config_static_selectorELNS0_4arch9wavefront6targetE0EEEvT1_: ; @_ZN7rocprim17ROCPRIM_400000_NS6detail17trampoline_kernelINS0_14default_configENS1_27scan_by_key_config_selectorIssEEZZNS1_16scan_by_key_implILNS1_25lookback_scan_determinismE0ELb1ES3_N6thrust23THRUST_200600_302600_NS6detail15normal_iteratorINS9_10device_ptrIsEEEESE_SE_sNS9_4plusIvEENS9_8equal_toIsEEsEE10hipError_tPvRmT2_T3_T4_T5_mT6_T7_P12ihipStream_tbENKUlT_T0_E_clISt17integral_constantIbLb1EESY_IbLb0EEEEDaSU_SV_EUlSU_E_NS1_11comp_targetILNS1_3genE5ELNS1_11target_archE942ELNS1_3gpuE9ELNS1_3repE0EEENS1_30default_config_static_selectorELNS0_4arch9wavefront6targetE0EEEvT1_
; %bb.0:
	.section	.rodata,"a",@progbits
	.p2align	6, 0x0
	.amdhsa_kernel _ZN7rocprim17ROCPRIM_400000_NS6detail17trampoline_kernelINS0_14default_configENS1_27scan_by_key_config_selectorIssEEZZNS1_16scan_by_key_implILNS1_25lookback_scan_determinismE0ELb1ES3_N6thrust23THRUST_200600_302600_NS6detail15normal_iteratorINS9_10device_ptrIsEEEESE_SE_sNS9_4plusIvEENS9_8equal_toIsEEsEE10hipError_tPvRmT2_T3_T4_T5_mT6_T7_P12ihipStream_tbENKUlT_T0_E_clISt17integral_constantIbLb1EESY_IbLb0EEEEDaSU_SV_EUlSU_E_NS1_11comp_targetILNS1_3genE5ELNS1_11target_archE942ELNS1_3gpuE9ELNS1_3repE0EEENS1_30default_config_static_selectorELNS0_4arch9wavefront6targetE0EEEvT1_
		.amdhsa_group_segment_fixed_size 0
		.amdhsa_private_segment_fixed_size 0
		.amdhsa_kernarg_size 112
		.amdhsa_user_sgpr_count 2
		.amdhsa_user_sgpr_dispatch_ptr 0
		.amdhsa_user_sgpr_queue_ptr 0
		.amdhsa_user_sgpr_kernarg_segment_ptr 1
		.amdhsa_user_sgpr_dispatch_id 0
		.amdhsa_user_sgpr_kernarg_preload_length 0
		.amdhsa_user_sgpr_kernarg_preload_offset 0
		.amdhsa_user_sgpr_private_segment_size 0
		.amdhsa_wavefront_size32 1
		.amdhsa_uses_dynamic_stack 0
		.amdhsa_enable_private_segment 0
		.amdhsa_system_sgpr_workgroup_id_x 1
		.amdhsa_system_sgpr_workgroup_id_y 0
		.amdhsa_system_sgpr_workgroup_id_z 0
		.amdhsa_system_sgpr_workgroup_info 0
		.amdhsa_system_vgpr_workitem_id 0
		.amdhsa_next_free_vgpr 1
		.amdhsa_next_free_sgpr 1
		.amdhsa_named_barrier_count 0
		.amdhsa_reserve_vcc 0
		.amdhsa_float_round_mode_32 0
		.amdhsa_float_round_mode_16_64 0
		.amdhsa_float_denorm_mode_32 3
		.amdhsa_float_denorm_mode_16_64 3
		.amdhsa_fp16_overflow 0
		.amdhsa_memory_ordered 1
		.amdhsa_forward_progress 1
		.amdhsa_inst_pref_size 0
		.amdhsa_round_robin_scheduling 0
		.amdhsa_exception_fp_ieee_invalid_op 0
		.amdhsa_exception_fp_denorm_src 0
		.amdhsa_exception_fp_ieee_div_zero 0
		.amdhsa_exception_fp_ieee_overflow 0
		.amdhsa_exception_fp_ieee_underflow 0
		.amdhsa_exception_fp_ieee_inexact 0
		.amdhsa_exception_int_div_zero 0
	.end_amdhsa_kernel
	.section	.text._ZN7rocprim17ROCPRIM_400000_NS6detail17trampoline_kernelINS0_14default_configENS1_27scan_by_key_config_selectorIssEEZZNS1_16scan_by_key_implILNS1_25lookback_scan_determinismE0ELb1ES3_N6thrust23THRUST_200600_302600_NS6detail15normal_iteratorINS9_10device_ptrIsEEEESE_SE_sNS9_4plusIvEENS9_8equal_toIsEEsEE10hipError_tPvRmT2_T3_T4_T5_mT6_T7_P12ihipStream_tbENKUlT_T0_E_clISt17integral_constantIbLb1EESY_IbLb0EEEEDaSU_SV_EUlSU_E_NS1_11comp_targetILNS1_3genE5ELNS1_11target_archE942ELNS1_3gpuE9ELNS1_3repE0EEENS1_30default_config_static_selectorELNS0_4arch9wavefront6targetE0EEEvT1_,"axG",@progbits,_ZN7rocprim17ROCPRIM_400000_NS6detail17trampoline_kernelINS0_14default_configENS1_27scan_by_key_config_selectorIssEEZZNS1_16scan_by_key_implILNS1_25lookback_scan_determinismE0ELb1ES3_N6thrust23THRUST_200600_302600_NS6detail15normal_iteratorINS9_10device_ptrIsEEEESE_SE_sNS9_4plusIvEENS9_8equal_toIsEEsEE10hipError_tPvRmT2_T3_T4_T5_mT6_T7_P12ihipStream_tbENKUlT_T0_E_clISt17integral_constantIbLb1EESY_IbLb0EEEEDaSU_SV_EUlSU_E_NS1_11comp_targetILNS1_3genE5ELNS1_11target_archE942ELNS1_3gpuE9ELNS1_3repE0EEENS1_30default_config_static_selectorELNS0_4arch9wavefront6targetE0EEEvT1_,comdat
.Lfunc_end661:
	.size	_ZN7rocprim17ROCPRIM_400000_NS6detail17trampoline_kernelINS0_14default_configENS1_27scan_by_key_config_selectorIssEEZZNS1_16scan_by_key_implILNS1_25lookback_scan_determinismE0ELb1ES3_N6thrust23THRUST_200600_302600_NS6detail15normal_iteratorINS9_10device_ptrIsEEEESE_SE_sNS9_4plusIvEENS9_8equal_toIsEEsEE10hipError_tPvRmT2_T3_T4_T5_mT6_T7_P12ihipStream_tbENKUlT_T0_E_clISt17integral_constantIbLb1EESY_IbLb0EEEEDaSU_SV_EUlSU_E_NS1_11comp_targetILNS1_3genE5ELNS1_11target_archE942ELNS1_3gpuE9ELNS1_3repE0EEENS1_30default_config_static_selectorELNS0_4arch9wavefront6targetE0EEEvT1_, .Lfunc_end661-_ZN7rocprim17ROCPRIM_400000_NS6detail17trampoline_kernelINS0_14default_configENS1_27scan_by_key_config_selectorIssEEZZNS1_16scan_by_key_implILNS1_25lookback_scan_determinismE0ELb1ES3_N6thrust23THRUST_200600_302600_NS6detail15normal_iteratorINS9_10device_ptrIsEEEESE_SE_sNS9_4plusIvEENS9_8equal_toIsEEsEE10hipError_tPvRmT2_T3_T4_T5_mT6_T7_P12ihipStream_tbENKUlT_T0_E_clISt17integral_constantIbLb1EESY_IbLb0EEEEDaSU_SV_EUlSU_E_NS1_11comp_targetILNS1_3genE5ELNS1_11target_archE942ELNS1_3gpuE9ELNS1_3repE0EEENS1_30default_config_static_selectorELNS0_4arch9wavefront6targetE0EEEvT1_
                                        ; -- End function
	.set _ZN7rocprim17ROCPRIM_400000_NS6detail17trampoline_kernelINS0_14default_configENS1_27scan_by_key_config_selectorIssEEZZNS1_16scan_by_key_implILNS1_25lookback_scan_determinismE0ELb1ES3_N6thrust23THRUST_200600_302600_NS6detail15normal_iteratorINS9_10device_ptrIsEEEESE_SE_sNS9_4plusIvEENS9_8equal_toIsEEsEE10hipError_tPvRmT2_T3_T4_T5_mT6_T7_P12ihipStream_tbENKUlT_T0_E_clISt17integral_constantIbLb1EESY_IbLb0EEEEDaSU_SV_EUlSU_E_NS1_11comp_targetILNS1_3genE5ELNS1_11target_archE942ELNS1_3gpuE9ELNS1_3repE0EEENS1_30default_config_static_selectorELNS0_4arch9wavefront6targetE0EEEvT1_.num_vgpr, 0
	.set _ZN7rocprim17ROCPRIM_400000_NS6detail17trampoline_kernelINS0_14default_configENS1_27scan_by_key_config_selectorIssEEZZNS1_16scan_by_key_implILNS1_25lookback_scan_determinismE0ELb1ES3_N6thrust23THRUST_200600_302600_NS6detail15normal_iteratorINS9_10device_ptrIsEEEESE_SE_sNS9_4plusIvEENS9_8equal_toIsEEsEE10hipError_tPvRmT2_T3_T4_T5_mT6_T7_P12ihipStream_tbENKUlT_T0_E_clISt17integral_constantIbLb1EESY_IbLb0EEEEDaSU_SV_EUlSU_E_NS1_11comp_targetILNS1_3genE5ELNS1_11target_archE942ELNS1_3gpuE9ELNS1_3repE0EEENS1_30default_config_static_selectorELNS0_4arch9wavefront6targetE0EEEvT1_.num_agpr, 0
	.set _ZN7rocprim17ROCPRIM_400000_NS6detail17trampoline_kernelINS0_14default_configENS1_27scan_by_key_config_selectorIssEEZZNS1_16scan_by_key_implILNS1_25lookback_scan_determinismE0ELb1ES3_N6thrust23THRUST_200600_302600_NS6detail15normal_iteratorINS9_10device_ptrIsEEEESE_SE_sNS9_4plusIvEENS9_8equal_toIsEEsEE10hipError_tPvRmT2_T3_T4_T5_mT6_T7_P12ihipStream_tbENKUlT_T0_E_clISt17integral_constantIbLb1EESY_IbLb0EEEEDaSU_SV_EUlSU_E_NS1_11comp_targetILNS1_3genE5ELNS1_11target_archE942ELNS1_3gpuE9ELNS1_3repE0EEENS1_30default_config_static_selectorELNS0_4arch9wavefront6targetE0EEEvT1_.numbered_sgpr, 0
	.set _ZN7rocprim17ROCPRIM_400000_NS6detail17trampoline_kernelINS0_14default_configENS1_27scan_by_key_config_selectorIssEEZZNS1_16scan_by_key_implILNS1_25lookback_scan_determinismE0ELb1ES3_N6thrust23THRUST_200600_302600_NS6detail15normal_iteratorINS9_10device_ptrIsEEEESE_SE_sNS9_4plusIvEENS9_8equal_toIsEEsEE10hipError_tPvRmT2_T3_T4_T5_mT6_T7_P12ihipStream_tbENKUlT_T0_E_clISt17integral_constantIbLb1EESY_IbLb0EEEEDaSU_SV_EUlSU_E_NS1_11comp_targetILNS1_3genE5ELNS1_11target_archE942ELNS1_3gpuE9ELNS1_3repE0EEENS1_30default_config_static_selectorELNS0_4arch9wavefront6targetE0EEEvT1_.num_named_barrier, 0
	.set _ZN7rocprim17ROCPRIM_400000_NS6detail17trampoline_kernelINS0_14default_configENS1_27scan_by_key_config_selectorIssEEZZNS1_16scan_by_key_implILNS1_25lookback_scan_determinismE0ELb1ES3_N6thrust23THRUST_200600_302600_NS6detail15normal_iteratorINS9_10device_ptrIsEEEESE_SE_sNS9_4plusIvEENS9_8equal_toIsEEsEE10hipError_tPvRmT2_T3_T4_T5_mT6_T7_P12ihipStream_tbENKUlT_T0_E_clISt17integral_constantIbLb1EESY_IbLb0EEEEDaSU_SV_EUlSU_E_NS1_11comp_targetILNS1_3genE5ELNS1_11target_archE942ELNS1_3gpuE9ELNS1_3repE0EEENS1_30default_config_static_selectorELNS0_4arch9wavefront6targetE0EEEvT1_.private_seg_size, 0
	.set _ZN7rocprim17ROCPRIM_400000_NS6detail17trampoline_kernelINS0_14default_configENS1_27scan_by_key_config_selectorIssEEZZNS1_16scan_by_key_implILNS1_25lookback_scan_determinismE0ELb1ES3_N6thrust23THRUST_200600_302600_NS6detail15normal_iteratorINS9_10device_ptrIsEEEESE_SE_sNS9_4plusIvEENS9_8equal_toIsEEsEE10hipError_tPvRmT2_T3_T4_T5_mT6_T7_P12ihipStream_tbENKUlT_T0_E_clISt17integral_constantIbLb1EESY_IbLb0EEEEDaSU_SV_EUlSU_E_NS1_11comp_targetILNS1_3genE5ELNS1_11target_archE942ELNS1_3gpuE9ELNS1_3repE0EEENS1_30default_config_static_selectorELNS0_4arch9wavefront6targetE0EEEvT1_.uses_vcc, 0
	.set _ZN7rocprim17ROCPRIM_400000_NS6detail17trampoline_kernelINS0_14default_configENS1_27scan_by_key_config_selectorIssEEZZNS1_16scan_by_key_implILNS1_25lookback_scan_determinismE0ELb1ES3_N6thrust23THRUST_200600_302600_NS6detail15normal_iteratorINS9_10device_ptrIsEEEESE_SE_sNS9_4plusIvEENS9_8equal_toIsEEsEE10hipError_tPvRmT2_T3_T4_T5_mT6_T7_P12ihipStream_tbENKUlT_T0_E_clISt17integral_constantIbLb1EESY_IbLb0EEEEDaSU_SV_EUlSU_E_NS1_11comp_targetILNS1_3genE5ELNS1_11target_archE942ELNS1_3gpuE9ELNS1_3repE0EEENS1_30default_config_static_selectorELNS0_4arch9wavefront6targetE0EEEvT1_.uses_flat_scratch, 0
	.set _ZN7rocprim17ROCPRIM_400000_NS6detail17trampoline_kernelINS0_14default_configENS1_27scan_by_key_config_selectorIssEEZZNS1_16scan_by_key_implILNS1_25lookback_scan_determinismE0ELb1ES3_N6thrust23THRUST_200600_302600_NS6detail15normal_iteratorINS9_10device_ptrIsEEEESE_SE_sNS9_4plusIvEENS9_8equal_toIsEEsEE10hipError_tPvRmT2_T3_T4_T5_mT6_T7_P12ihipStream_tbENKUlT_T0_E_clISt17integral_constantIbLb1EESY_IbLb0EEEEDaSU_SV_EUlSU_E_NS1_11comp_targetILNS1_3genE5ELNS1_11target_archE942ELNS1_3gpuE9ELNS1_3repE0EEENS1_30default_config_static_selectorELNS0_4arch9wavefront6targetE0EEEvT1_.has_dyn_sized_stack, 0
	.set _ZN7rocprim17ROCPRIM_400000_NS6detail17trampoline_kernelINS0_14default_configENS1_27scan_by_key_config_selectorIssEEZZNS1_16scan_by_key_implILNS1_25lookback_scan_determinismE0ELb1ES3_N6thrust23THRUST_200600_302600_NS6detail15normal_iteratorINS9_10device_ptrIsEEEESE_SE_sNS9_4plusIvEENS9_8equal_toIsEEsEE10hipError_tPvRmT2_T3_T4_T5_mT6_T7_P12ihipStream_tbENKUlT_T0_E_clISt17integral_constantIbLb1EESY_IbLb0EEEEDaSU_SV_EUlSU_E_NS1_11comp_targetILNS1_3genE5ELNS1_11target_archE942ELNS1_3gpuE9ELNS1_3repE0EEENS1_30default_config_static_selectorELNS0_4arch9wavefront6targetE0EEEvT1_.has_recursion, 0
	.set _ZN7rocprim17ROCPRIM_400000_NS6detail17trampoline_kernelINS0_14default_configENS1_27scan_by_key_config_selectorIssEEZZNS1_16scan_by_key_implILNS1_25lookback_scan_determinismE0ELb1ES3_N6thrust23THRUST_200600_302600_NS6detail15normal_iteratorINS9_10device_ptrIsEEEESE_SE_sNS9_4plusIvEENS9_8equal_toIsEEsEE10hipError_tPvRmT2_T3_T4_T5_mT6_T7_P12ihipStream_tbENKUlT_T0_E_clISt17integral_constantIbLb1EESY_IbLb0EEEEDaSU_SV_EUlSU_E_NS1_11comp_targetILNS1_3genE5ELNS1_11target_archE942ELNS1_3gpuE9ELNS1_3repE0EEENS1_30default_config_static_selectorELNS0_4arch9wavefront6targetE0EEEvT1_.has_indirect_call, 0
	.section	.AMDGPU.csdata,"",@progbits
; Kernel info:
; codeLenInByte = 0
; TotalNumSgprs: 0
; NumVgprs: 0
; ScratchSize: 0
; MemoryBound: 0
; FloatMode: 240
; IeeeMode: 1
; LDSByteSize: 0 bytes/workgroup (compile time only)
; SGPRBlocks: 0
; VGPRBlocks: 0
; NumSGPRsForWavesPerEU: 1
; NumVGPRsForWavesPerEU: 1
; NamedBarCnt: 0
; Occupancy: 16
; WaveLimiterHint : 0
; COMPUTE_PGM_RSRC2:SCRATCH_EN: 0
; COMPUTE_PGM_RSRC2:USER_SGPR: 2
; COMPUTE_PGM_RSRC2:TRAP_HANDLER: 0
; COMPUTE_PGM_RSRC2:TGID_X_EN: 1
; COMPUTE_PGM_RSRC2:TGID_Y_EN: 0
; COMPUTE_PGM_RSRC2:TGID_Z_EN: 0
; COMPUTE_PGM_RSRC2:TIDIG_COMP_CNT: 0
	.section	.text._ZN7rocprim17ROCPRIM_400000_NS6detail17trampoline_kernelINS0_14default_configENS1_27scan_by_key_config_selectorIssEEZZNS1_16scan_by_key_implILNS1_25lookback_scan_determinismE0ELb1ES3_N6thrust23THRUST_200600_302600_NS6detail15normal_iteratorINS9_10device_ptrIsEEEESE_SE_sNS9_4plusIvEENS9_8equal_toIsEEsEE10hipError_tPvRmT2_T3_T4_T5_mT6_T7_P12ihipStream_tbENKUlT_T0_E_clISt17integral_constantIbLb1EESY_IbLb0EEEEDaSU_SV_EUlSU_E_NS1_11comp_targetILNS1_3genE4ELNS1_11target_archE910ELNS1_3gpuE8ELNS1_3repE0EEENS1_30default_config_static_selectorELNS0_4arch9wavefront6targetE0EEEvT1_,"axG",@progbits,_ZN7rocprim17ROCPRIM_400000_NS6detail17trampoline_kernelINS0_14default_configENS1_27scan_by_key_config_selectorIssEEZZNS1_16scan_by_key_implILNS1_25lookback_scan_determinismE0ELb1ES3_N6thrust23THRUST_200600_302600_NS6detail15normal_iteratorINS9_10device_ptrIsEEEESE_SE_sNS9_4plusIvEENS9_8equal_toIsEEsEE10hipError_tPvRmT2_T3_T4_T5_mT6_T7_P12ihipStream_tbENKUlT_T0_E_clISt17integral_constantIbLb1EESY_IbLb0EEEEDaSU_SV_EUlSU_E_NS1_11comp_targetILNS1_3genE4ELNS1_11target_archE910ELNS1_3gpuE8ELNS1_3repE0EEENS1_30default_config_static_selectorELNS0_4arch9wavefront6targetE0EEEvT1_,comdat
	.protected	_ZN7rocprim17ROCPRIM_400000_NS6detail17trampoline_kernelINS0_14default_configENS1_27scan_by_key_config_selectorIssEEZZNS1_16scan_by_key_implILNS1_25lookback_scan_determinismE0ELb1ES3_N6thrust23THRUST_200600_302600_NS6detail15normal_iteratorINS9_10device_ptrIsEEEESE_SE_sNS9_4plusIvEENS9_8equal_toIsEEsEE10hipError_tPvRmT2_T3_T4_T5_mT6_T7_P12ihipStream_tbENKUlT_T0_E_clISt17integral_constantIbLb1EESY_IbLb0EEEEDaSU_SV_EUlSU_E_NS1_11comp_targetILNS1_3genE4ELNS1_11target_archE910ELNS1_3gpuE8ELNS1_3repE0EEENS1_30default_config_static_selectorELNS0_4arch9wavefront6targetE0EEEvT1_ ; -- Begin function _ZN7rocprim17ROCPRIM_400000_NS6detail17trampoline_kernelINS0_14default_configENS1_27scan_by_key_config_selectorIssEEZZNS1_16scan_by_key_implILNS1_25lookback_scan_determinismE0ELb1ES3_N6thrust23THRUST_200600_302600_NS6detail15normal_iteratorINS9_10device_ptrIsEEEESE_SE_sNS9_4plusIvEENS9_8equal_toIsEEsEE10hipError_tPvRmT2_T3_T4_T5_mT6_T7_P12ihipStream_tbENKUlT_T0_E_clISt17integral_constantIbLb1EESY_IbLb0EEEEDaSU_SV_EUlSU_E_NS1_11comp_targetILNS1_3genE4ELNS1_11target_archE910ELNS1_3gpuE8ELNS1_3repE0EEENS1_30default_config_static_selectorELNS0_4arch9wavefront6targetE0EEEvT1_
	.globl	_ZN7rocprim17ROCPRIM_400000_NS6detail17trampoline_kernelINS0_14default_configENS1_27scan_by_key_config_selectorIssEEZZNS1_16scan_by_key_implILNS1_25lookback_scan_determinismE0ELb1ES3_N6thrust23THRUST_200600_302600_NS6detail15normal_iteratorINS9_10device_ptrIsEEEESE_SE_sNS9_4plusIvEENS9_8equal_toIsEEsEE10hipError_tPvRmT2_T3_T4_T5_mT6_T7_P12ihipStream_tbENKUlT_T0_E_clISt17integral_constantIbLb1EESY_IbLb0EEEEDaSU_SV_EUlSU_E_NS1_11comp_targetILNS1_3genE4ELNS1_11target_archE910ELNS1_3gpuE8ELNS1_3repE0EEENS1_30default_config_static_selectorELNS0_4arch9wavefront6targetE0EEEvT1_
	.p2align	8
	.type	_ZN7rocprim17ROCPRIM_400000_NS6detail17trampoline_kernelINS0_14default_configENS1_27scan_by_key_config_selectorIssEEZZNS1_16scan_by_key_implILNS1_25lookback_scan_determinismE0ELb1ES3_N6thrust23THRUST_200600_302600_NS6detail15normal_iteratorINS9_10device_ptrIsEEEESE_SE_sNS9_4plusIvEENS9_8equal_toIsEEsEE10hipError_tPvRmT2_T3_T4_T5_mT6_T7_P12ihipStream_tbENKUlT_T0_E_clISt17integral_constantIbLb1EESY_IbLb0EEEEDaSU_SV_EUlSU_E_NS1_11comp_targetILNS1_3genE4ELNS1_11target_archE910ELNS1_3gpuE8ELNS1_3repE0EEENS1_30default_config_static_selectorELNS0_4arch9wavefront6targetE0EEEvT1_,@function
_ZN7rocprim17ROCPRIM_400000_NS6detail17trampoline_kernelINS0_14default_configENS1_27scan_by_key_config_selectorIssEEZZNS1_16scan_by_key_implILNS1_25lookback_scan_determinismE0ELb1ES3_N6thrust23THRUST_200600_302600_NS6detail15normal_iteratorINS9_10device_ptrIsEEEESE_SE_sNS9_4plusIvEENS9_8equal_toIsEEsEE10hipError_tPvRmT2_T3_T4_T5_mT6_T7_P12ihipStream_tbENKUlT_T0_E_clISt17integral_constantIbLb1EESY_IbLb0EEEEDaSU_SV_EUlSU_E_NS1_11comp_targetILNS1_3genE4ELNS1_11target_archE910ELNS1_3gpuE8ELNS1_3repE0EEENS1_30default_config_static_selectorELNS0_4arch9wavefront6targetE0EEEvT1_: ; @_ZN7rocprim17ROCPRIM_400000_NS6detail17trampoline_kernelINS0_14default_configENS1_27scan_by_key_config_selectorIssEEZZNS1_16scan_by_key_implILNS1_25lookback_scan_determinismE0ELb1ES3_N6thrust23THRUST_200600_302600_NS6detail15normal_iteratorINS9_10device_ptrIsEEEESE_SE_sNS9_4plusIvEENS9_8equal_toIsEEsEE10hipError_tPvRmT2_T3_T4_T5_mT6_T7_P12ihipStream_tbENKUlT_T0_E_clISt17integral_constantIbLb1EESY_IbLb0EEEEDaSU_SV_EUlSU_E_NS1_11comp_targetILNS1_3genE4ELNS1_11target_archE910ELNS1_3gpuE8ELNS1_3repE0EEENS1_30default_config_static_selectorELNS0_4arch9wavefront6targetE0EEEvT1_
; %bb.0:
	.section	.rodata,"a",@progbits
	.p2align	6, 0x0
	.amdhsa_kernel _ZN7rocprim17ROCPRIM_400000_NS6detail17trampoline_kernelINS0_14default_configENS1_27scan_by_key_config_selectorIssEEZZNS1_16scan_by_key_implILNS1_25lookback_scan_determinismE0ELb1ES3_N6thrust23THRUST_200600_302600_NS6detail15normal_iteratorINS9_10device_ptrIsEEEESE_SE_sNS9_4plusIvEENS9_8equal_toIsEEsEE10hipError_tPvRmT2_T3_T4_T5_mT6_T7_P12ihipStream_tbENKUlT_T0_E_clISt17integral_constantIbLb1EESY_IbLb0EEEEDaSU_SV_EUlSU_E_NS1_11comp_targetILNS1_3genE4ELNS1_11target_archE910ELNS1_3gpuE8ELNS1_3repE0EEENS1_30default_config_static_selectorELNS0_4arch9wavefront6targetE0EEEvT1_
		.amdhsa_group_segment_fixed_size 0
		.amdhsa_private_segment_fixed_size 0
		.amdhsa_kernarg_size 112
		.amdhsa_user_sgpr_count 2
		.amdhsa_user_sgpr_dispatch_ptr 0
		.amdhsa_user_sgpr_queue_ptr 0
		.amdhsa_user_sgpr_kernarg_segment_ptr 1
		.amdhsa_user_sgpr_dispatch_id 0
		.amdhsa_user_sgpr_kernarg_preload_length 0
		.amdhsa_user_sgpr_kernarg_preload_offset 0
		.amdhsa_user_sgpr_private_segment_size 0
		.amdhsa_wavefront_size32 1
		.amdhsa_uses_dynamic_stack 0
		.amdhsa_enable_private_segment 0
		.amdhsa_system_sgpr_workgroup_id_x 1
		.amdhsa_system_sgpr_workgroup_id_y 0
		.amdhsa_system_sgpr_workgroup_id_z 0
		.amdhsa_system_sgpr_workgroup_info 0
		.amdhsa_system_vgpr_workitem_id 0
		.amdhsa_next_free_vgpr 1
		.amdhsa_next_free_sgpr 1
		.amdhsa_named_barrier_count 0
		.amdhsa_reserve_vcc 0
		.amdhsa_float_round_mode_32 0
		.amdhsa_float_round_mode_16_64 0
		.amdhsa_float_denorm_mode_32 3
		.amdhsa_float_denorm_mode_16_64 3
		.amdhsa_fp16_overflow 0
		.amdhsa_memory_ordered 1
		.amdhsa_forward_progress 1
		.amdhsa_inst_pref_size 0
		.amdhsa_round_robin_scheduling 0
		.amdhsa_exception_fp_ieee_invalid_op 0
		.amdhsa_exception_fp_denorm_src 0
		.amdhsa_exception_fp_ieee_div_zero 0
		.amdhsa_exception_fp_ieee_overflow 0
		.amdhsa_exception_fp_ieee_underflow 0
		.amdhsa_exception_fp_ieee_inexact 0
		.amdhsa_exception_int_div_zero 0
	.end_amdhsa_kernel
	.section	.text._ZN7rocprim17ROCPRIM_400000_NS6detail17trampoline_kernelINS0_14default_configENS1_27scan_by_key_config_selectorIssEEZZNS1_16scan_by_key_implILNS1_25lookback_scan_determinismE0ELb1ES3_N6thrust23THRUST_200600_302600_NS6detail15normal_iteratorINS9_10device_ptrIsEEEESE_SE_sNS9_4plusIvEENS9_8equal_toIsEEsEE10hipError_tPvRmT2_T3_T4_T5_mT6_T7_P12ihipStream_tbENKUlT_T0_E_clISt17integral_constantIbLb1EESY_IbLb0EEEEDaSU_SV_EUlSU_E_NS1_11comp_targetILNS1_3genE4ELNS1_11target_archE910ELNS1_3gpuE8ELNS1_3repE0EEENS1_30default_config_static_selectorELNS0_4arch9wavefront6targetE0EEEvT1_,"axG",@progbits,_ZN7rocprim17ROCPRIM_400000_NS6detail17trampoline_kernelINS0_14default_configENS1_27scan_by_key_config_selectorIssEEZZNS1_16scan_by_key_implILNS1_25lookback_scan_determinismE0ELb1ES3_N6thrust23THRUST_200600_302600_NS6detail15normal_iteratorINS9_10device_ptrIsEEEESE_SE_sNS9_4plusIvEENS9_8equal_toIsEEsEE10hipError_tPvRmT2_T3_T4_T5_mT6_T7_P12ihipStream_tbENKUlT_T0_E_clISt17integral_constantIbLb1EESY_IbLb0EEEEDaSU_SV_EUlSU_E_NS1_11comp_targetILNS1_3genE4ELNS1_11target_archE910ELNS1_3gpuE8ELNS1_3repE0EEENS1_30default_config_static_selectorELNS0_4arch9wavefront6targetE0EEEvT1_,comdat
.Lfunc_end662:
	.size	_ZN7rocprim17ROCPRIM_400000_NS6detail17trampoline_kernelINS0_14default_configENS1_27scan_by_key_config_selectorIssEEZZNS1_16scan_by_key_implILNS1_25lookback_scan_determinismE0ELb1ES3_N6thrust23THRUST_200600_302600_NS6detail15normal_iteratorINS9_10device_ptrIsEEEESE_SE_sNS9_4plusIvEENS9_8equal_toIsEEsEE10hipError_tPvRmT2_T3_T4_T5_mT6_T7_P12ihipStream_tbENKUlT_T0_E_clISt17integral_constantIbLb1EESY_IbLb0EEEEDaSU_SV_EUlSU_E_NS1_11comp_targetILNS1_3genE4ELNS1_11target_archE910ELNS1_3gpuE8ELNS1_3repE0EEENS1_30default_config_static_selectorELNS0_4arch9wavefront6targetE0EEEvT1_, .Lfunc_end662-_ZN7rocprim17ROCPRIM_400000_NS6detail17trampoline_kernelINS0_14default_configENS1_27scan_by_key_config_selectorIssEEZZNS1_16scan_by_key_implILNS1_25lookback_scan_determinismE0ELb1ES3_N6thrust23THRUST_200600_302600_NS6detail15normal_iteratorINS9_10device_ptrIsEEEESE_SE_sNS9_4plusIvEENS9_8equal_toIsEEsEE10hipError_tPvRmT2_T3_T4_T5_mT6_T7_P12ihipStream_tbENKUlT_T0_E_clISt17integral_constantIbLb1EESY_IbLb0EEEEDaSU_SV_EUlSU_E_NS1_11comp_targetILNS1_3genE4ELNS1_11target_archE910ELNS1_3gpuE8ELNS1_3repE0EEENS1_30default_config_static_selectorELNS0_4arch9wavefront6targetE0EEEvT1_
                                        ; -- End function
	.set _ZN7rocprim17ROCPRIM_400000_NS6detail17trampoline_kernelINS0_14default_configENS1_27scan_by_key_config_selectorIssEEZZNS1_16scan_by_key_implILNS1_25lookback_scan_determinismE0ELb1ES3_N6thrust23THRUST_200600_302600_NS6detail15normal_iteratorINS9_10device_ptrIsEEEESE_SE_sNS9_4plusIvEENS9_8equal_toIsEEsEE10hipError_tPvRmT2_T3_T4_T5_mT6_T7_P12ihipStream_tbENKUlT_T0_E_clISt17integral_constantIbLb1EESY_IbLb0EEEEDaSU_SV_EUlSU_E_NS1_11comp_targetILNS1_3genE4ELNS1_11target_archE910ELNS1_3gpuE8ELNS1_3repE0EEENS1_30default_config_static_selectorELNS0_4arch9wavefront6targetE0EEEvT1_.num_vgpr, 0
	.set _ZN7rocprim17ROCPRIM_400000_NS6detail17trampoline_kernelINS0_14default_configENS1_27scan_by_key_config_selectorIssEEZZNS1_16scan_by_key_implILNS1_25lookback_scan_determinismE0ELb1ES3_N6thrust23THRUST_200600_302600_NS6detail15normal_iteratorINS9_10device_ptrIsEEEESE_SE_sNS9_4plusIvEENS9_8equal_toIsEEsEE10hipError_tPvRmT2_T3_T4_T5_mT6_T7_P12ihipStream_tbENKUlT_T0_E_clISt17integral_constantIbLb1EESY_IbLb0EEEEDaSU_SV_EUlSU_E_NS1_11comp_targetILNS1_3genE4ELNS1_11target_archE910ELNS1_3gpuE8ELNS1_3repE0EEENS1_30default_config_static_selectorELNS0_4arch9wavefront6targetE0EEEvT1_.num_agpr, 0
	.set _ZN7rocprim17ROCPRIM_400000_NS6detail17trampoline_kernelINS0_14default_configENS1_27scan_by_key_config_selectorIssEEZZNS1_16scan_by_key_implILNS1_25lookback_scan_determinismE0ELb1ES3_N6thrust23THRUST_200600_302600_NS6detail15normal_iteratorINS9_10device_ptrIsEEEESE_SE_sNS9_4plusIvEENS9_8equal_toIsEEsEE10hipError_tPvRmT2_T3_T4_T5_mT6_T7_P12ihipStream_tbENKUlT_T0_E_clISt17integral_constantIbLb1EESY_IbLb0EEEEDaSU_SV_EUlSU_E_NS1_11comp_targetILNS1_3genE4ELNS1_11target_archE910ELNS1_3gpuE8ELNS1_3repE0EEENS1_30default_config_static_selectorELNS0_4arch9wavefront6targetE0EEEvT1_.numbered_sgpr, 0
	.set _ZN7rocprim17ROCPRIM_400000_NS6detail17trampoline_kernelINS0_14default_configENS1_27scan_by_key_config_selectorIssEEZZNS1_16scan_by_key_implILNS1_25lookback_scan_determinismE0ELb1ES3_N6thrust23THRUST_200600_302600_NS6detail15normal_iteratorINS9_10device_ptrIsEEEESE_SE_sNS9_4plusIvEENS9_8equal_toIsEEsEE10hipError_tPvRmT2_T3_T4_T5_mT6_T7_P12ihipStream_tbENKUlT_T0_E_clISt17integral_constantIbLb1EESY_IbLb0EEEEDaSU_SV_EUlSU_E_NS1_11comp_targetILNS1_3genE4ELNS1_11target_archE910ELNS1_3gpuE8ELNS1_3repE0EEENS1_30default_config_static_selectorELNS0_4arch9wavefront6targetE0EEEvT1_.num_named_barrier, 0
	.set _ZN7rocprim17ROCPRIM_400000_NS6detail17trampoline_kernelINS0_14default_configENS1_27scan_by_key_config_selectorIssEEZZNS1_16scan_by_key_implILNS1_25lookback_scan_determinismE0ELb1ES3_N6thrust23THRUST_200600_302600_NS6detail15normal_iteratorINS9_10device_ptrIsEEEESE_SE_sNS9_4plusIvEENS9_8equal_toIsEEsEE10hipError_tPvRmT2_T3_T4_T5_mT6_T7_P12ihipStream_tbENKUlT_T0_E_clISt17integral_constantIbLb1EESY_IbLb0EEEEDaSU_SV_EUlSU_E_NS1_11comp_targetILNS1_3genE4ELNS1_11target_archE910ELNS1_3gpuE8ELNS1_3repE0EEENS1_30default_config_static_selectorELNS0_4arch9wavefront6targetE0EEEvT1_.private_seg_size, 0
	.set _ZN7rocprim17ROCPRIM_400000_NS6detail17trampoline_kernelINS0_14default_configENS1_27scan_by_key_config_selectorIssEEZZNS1_16scan_by_key_implILNS1_25lookback_scan_determinismE0ELb1ES3_N6thrust23THRUST_200600_302600_NS6detail15normal_iteratorINS9_10device_ptrIsEEEESE_SE_sNS9_4plusIvEENS9_8equal_toIsEEsEE10hipError_tPvRmT2_T3_T4_T5_mT6_T7_P12ihipStream_tbENKUlT_T0_E_clISt17integral_constantIbLb1EESY_IbLb0EEEEDaSU_SV_EUlSU_E_NS1_11comp_targetILNS1_3genE4ELNS1_11target_archE910ELNS1_3gpuE8ELNS1_3repE0EEENS1_30default_config_static_selectorELNS0_4arch9wavefront6targetE0EEEvT1_.uses_vcc, 0
	.set _ZN7rocprim17ROCPRIM_400000_NS6detail17trampoline_kernelINS0_14default_configENS1_27scan_by_key_config_selectorIssEEZZNS1_16scan_by_key_implILNS1_25lookback_scan_determinismE0ELb1ES3_N6thrust23THRUST_200600_302600_NS6detail15normal_iteratorINS9_10device_ptrIsEEEESE_SE_sNS9_4plusIvEENS9_8equal_toIsEEsEE10hipError_tPvRmT2_T3_T4_T5_mT6_T7_P12ihipStream_tbENKUlT_T0_E_clISt17integral_constantIbLb1EESY_IbLb0EEEEDaSU_SV_EUlSU_E_NS1_11comp_targetILNS1_3genE4ELNS1_11target_archE910ELNS1_3gpuE8ELNS1_3repE0EEENS1_30default_config_static_selectorELNS0_4arch9wavefront6targetE0EEEvT1_.uses_flat_scratch, 0
	.set _ZN7rocprim17ROCPRIM_400000_NS6detail17trampoline_kernelINS0_14default_configENS1_27scan_by_key_config_selectorIssEEZZNS1_16scan_by_key_implILNS1_25lookback_scan_determinismE0ELb1ES3_N6thrust23THRUST_200600_302600_NS6detail15normal_iteratorINS9_10device_ptrIsEEEESE_SE_sNS9_4plusIvEENS9_8equal_toIsEEsEE10hipError_tPvRmT2_T3_T4_T5_mT6_T7_P12ihipStream_tbENKUlT_T0_E_clISt17integral_constantIbLb1EESY_IbLb0EEEEDaSU_SV_EUlSU_E_NS1_11comp_targetILNS1_3genE4ELNS1_11target_archE910ELNS1_3gpuE8ELNS1_3repE0EEENS1_30default_config_static_selectorELNS0_4arch9wavefront6targetE0EEEvT1_.has_dyn_sized_stack, 0
	.set _ZN7rocprim17ROCPRIM_400000_NS6detail17trampoline_kernelINS0_14default_configENS1_27scan_by_key_config_selectorIssEEZZNS1_16scan_by_key_implILNS1_25lookback_scan_determinismE0ELb1ES3_N6thrust23THRUST_200600_302600_NS6detail15normal_iteratorINS9_10device_ptrIsEEEESE_SE_sNS9_4plusIvEENS9_8equal_toIsEEsEE10hipError_tPvRmT2_T3_T4_T5_mT6_T7_P12ihipStream_tbENKUlT_T0_E_clISt17integral_constantIbLb1EESY_IbLb0EEEEDaSU_SV_EUlSU_E_NS1_11comp_targetILNS1_3genE4ELNS1_11target_archE910ELNS1_3gpuE8ELNS1_3repE0EEENS1_30default_config_static_selectorELNS0_4arch9wavefront6targetE0EEEvT1_.has_recursion, 0
	.set _ZN7rocprim17ROCPRIM_400000_NS6detail17trampoline_kernelINS0_14default_configENS1_27scan_by_key_config_selectorIssEEZZNS1_16scan_by_key_implILNS1_25lookback_scan_determinismE0ELb1ES3_N6thrust23THRUST_200600_302600_NS6detail15normal_iteratorINS9_10device_ptrIsEEEESE_SE_sNS9_4plusIvEENS9_8equal_toIsEEsEE10hipError_tPvRmT2_T3_T4_T5_mT6_T7_P12ihipStream_tbENKUlT_T0_E_clISt17integral_constantIbLb1EESY_IbLb0EEEEDaSU_SV_EUlSU_E_NS1_11comp_targetILNS1_3genE4ELNS1_11target_archE910ELNS1_3gpuE8ELNS1_3repE0EEENS1_30default_config_static_selectorELNS0_4arch9wavefront6targetE0EEEvT1_.has_indirect_call, 0
	.section	.AMDGPU.csdata,"",@progbits
; Kernel info:
; codeLenInByte = 0
; TotalNumSgprs: 0
; NumVgprs: 0
; ScratchSize: 0
; MemoryBound: 0
; FloatMode: 240
; IeeeMode: 1
; LDSByteSize: 0 bytes/workgroup (compile time only)
; SGPRBlocks: 0
; VGPRBlocks: 0
; NumSGPRsForWavesPerEU: 1
; NumVGPRsForWavesPerEU: 1
; NamedBarCnt: 0
; Occupancy: 16
; WaveLimiterHint : 0
; COMPUTE_PGM_RSRC2:SCRATCH_EN: 0
; COMPUTE_PGM_RSRC2:USER_SGPR: 2
; COMPUTE_PGM_RSRC2:TRAP_HANDLER: 0
; COMPUTE_PGM_RSRC2:TGID_X_EN: 1
; COMPUTE_PGM_RSRC2:TGID_Y_EN: 0
; COMPUTE_PGM_RSRC2:TGID_Z_EN: 0
; COMPUTE_PGM_RSRC2:TIDIG_COMP_CNT: 0
	.section	.text._ZN7rocprim17ROCPRIM_400000_NS6detail17trampoline_kernelINS0_14default_configENS1_27scan_by_key_config_selectorIssEEZZNS1_16scan_by_key_implILNS1_25lookback_scan_determinismE0ELb1ES3_N6thrust23THRUST_200600_302600_NS6detail15normal_iteratorINS9_10device_ptrIsEEEESE_SE_sNS9_4plusIvEENS9_8equal_toIsEEsEE10hipError_tPvRmT2_T3_T4_T5_mT6_T7_P12ihipStream_tbENKUlT_T0_E_clISt17integral_constantIbLb1EESY_IbLb0EEEEDaSU_SV_EUlSU_E_NS1_11comp_targetILNS1_3genE3ELNS1_11target_archE908ELNS1_3gpuE7ELNS1_3repE0EEENS1_30default_config_static_selectorELNS0_4arch9wavefront6targetE0EEEvT1_,"axG",@progbits,_ZN7rocprim17ROCPRIM_400000_NS6detail17trampoline_kernelINS0_14default_configENS1_27scan_by_key_config_selectorIssEEZZNS1_16scan_by_key_implILNS1_25lookback_scan_determinismE0ELb1ES3_N6thrust23THRUST_200600_302600_NS6detail15normal_iteratorINS9_10device_ptrIsEEEESE_SE_sNS9_4plusIvEENS9_8equal_toIsEEsEE10hipError_tPvRmT2_T3_T4_T5_mT6_T7_P12ihipStream_tbENKUlT_T0_E_clISt17integral_constantIbLb1EESY_IbLb0EEEEDaSU_SV_EUlSU_E_NS1_11comp_targetILNS1_3genE3ELNS1_11target_archE908ELNS1_3gpuE7ELNS1_3repE0EEENS1_30default_config_static_selectorELNS0_4arch9wavefront6targetE0EEEvT1_,comdat
	.protected	_ZN7rocprim17ROCPRIM_400000_NS6detail17trampoline_kernelINS0_14default_configENS1_27scan_by_key_config_selectorIssEEZZNS1_16scan_by_key_implILNS1_25lookback_scan_determinismE0ELb1ES3_N6thrust23THRUST_200600_302600_NS6detail15normal_iteratorINS9_10device_ptrIsEEEESE_SE_sNS9_4plusIvEENS9_8equal_toIsEEsEE10hipError_tPvRmT2_T3_T4_T5_mT6_T7_P12ihipStream_tbENKUlT_T0_E_clISt17integral_constantIbLb1EESY_IbLb0EEEEDaSU_SV_EUlSU_E_NS1_11comp_targetILNS1_3genE3ELNS1_11target_archE908ELNS1_3gpuE7ELNS1_3repE0EEENS1_30default_config_static_selectorELNS0_4arch9wavefront6targetE0EEEvT1_ ; -- Begin function _ZN7rocprim17ROCPRIM_400000_NS6detail17trampoline_kernelINS0_14default_configENS1_27scan_by_key_config_selectorIssEEZZNS1_16scan_by_key_implILNS1_25lookback_scan_determinismE0ELb1ES3_N6thrust23THRUST_200600_302600_NS6detail15normal_iteratorINS9_10device_ptrIsEEEESE_SE_sNS9_4plusIvEENS9_8equal_toIsEEsEE10hipError_tPvRmT2_T3_T4_T5_mT6_T7_P12ihipStream_tbENKUlT_T0_E_clISt17integral_constantIbLb1EESY_IbLb0EEEEDaSU_SV_EUlSU_E_NS1_11comp_targetILNS1_3genE3ELNS1_11target_archE908ELNS1_3gpuE7ELNS1_3repE0EEENS1_30default_config_static_selectorELNS0_4arch9wavefront6targetE0EEEvT1_
	.globl	_ZN7rocprim17ROCPRIM_400000_NS6detail17trampoline_kernelINS0_14default_configENS1_27scan_by_key_config_selectorIssEEZZNS1_16scan_by_key_implILNS1_25lookback_scan_determinismE0ELb1ES3_N6thrust23THRUST_200600_302600_NS6detail15normal_iteratorINS9_10device_ptrIsEEEESE_SE_sNS9_4plusIvEENS9_8equal_toIsEEsEE10hipError_tPvRmT2_T3_T4_T5_mT6_T7_P12ihipStream_tbENKUlT_T0_E_clISt17integral_constantIbLb1EESY_IbLb0EEEEDaSU_SV_EUlSU_E_NS1_11comp_targetILNS1_3genE3ELNS1_11target_archE908ELNS1_3gpuE7ELNS1_3repE0EEENS1_30default_config_static_selectorELNS0_4arch9wavefront6targetE0EEEvT1_
	.p2align	8
	.type	_ZN7rocprim17ROCPRIM_400000_NS6detail17trampoline_kernelINS0_14default_configENS1_27scan_by_key_config_selectorIssEEZZNS1_16scan_by_key_implILNS1_25lookback_scan_determinismE0ELb1ES3_N6thrust23THRUST_200600_302600_NS6detail15normal_iteratorINS9_10device_ptrIsEEEESE_SE_sNS9_4plusIvEENS9_8equal_toIsEEsEE10hipError_tPvRmT2_T3_T4_T5_mT6_T7_P12ihipStream_tbENKUlT_T0_E_clISt17integral_constantIbLb1EESY_IbLb0EEEEDaSU_SV_EUlSU_E_NS1_11comp_targetILNS1_3genE3ELNS1_11target_archE908ELNS1_3gpuE7ELNS1_3repE0EEENS1_30default_config_static_selectorELNS0_4arch9wavefront6targetE0EEEvT1_,@function
_ZN7rocprim17ROCPRIM_400000_NS6detail17trampoline_kernelINS0_14default_configENS1_27scan_by_key_config_selectorIssEEZZNS1_16scan_by_key_implILNS1_25lookback_scan_determinismE0ELb1ES3_N6thrust23THRUST_200600_302600_NS6detail15normal_iteratorINS9_10device_ptrIsEEEESE_SE_sNS9_4plusIvEENS9_8equal_toIsEEsEE10hipError_tPvRmT2_T3_T4_T5_mT6_T7_P12ihipStream_tbENKUlT_T0_E_clISt17integral_constantIbLb1EESY_IbLb0EEEEDaSU_SV_EUlSU_E_NS1_11comp_targetILNS1_3genE3ELNS1_11target_archE908ELNS1_3gpuE7ELNS1_3repE0EEENS1_30default_config_static_selectorELNS0_4arch9wavefront6targetE0EEEvT1_: ; @_ZN7rocprim17ROCPRIM_400000_NS6detail17trampoline_kernelINS0_14default_configENS1_27scan_by_key_config_selectorIssEEZZNS1_16scan_by_key_implILNS1_25lookback_scan_determinismE0ELb1ES3_N6thrust23THRUST_200600_302600_NS6detail15normal_iteratorINS9_10device_ptrIsEEEESE_SE_sNS9_4plusIvEENS9_8equal_toIsEEsEE10hipError_tPvRmT2_T3_T4_T5_mT6_T7_P12ihipStream_tbENKUlT_T0_E_clISt17integral_constantIbLb1EESY_IbLb0EEEEDaSU_SV_EUlSU_E_NS1_11comp_targetILNS1_3genE3ELNS1_11target_archE908ELNS1_3gpuE7ELNS1_3repE0EEENS1_30default_config_static_selectorELNS0_4arch9wavefront6targetE0EEEvT1_
; %bb.0:
	.section	.rodata,"a",@progbits
	.p2align	6, 0x0
	.amdhsa_kernel _ZN7rocprim17ROCPRIM_400000_NS6detail17trampoline_kernelINS0_14default_configENS1_27scan_by_key_config_selectorIssEEZZNS1_16scan_by_key_implILNS1_25lookback_scan_determinismE0ELb1ES3_N6thrust23THRUST_200600_302600_NS6detail15normal_iteratorINS9_10device_ptrIsEEEESE_SE_sNS9_4plusIvEENS9_8equal_toIsEEsEE10hipError_tPvRmT2_T3_T4_T5_mT6_T7_P12ihipStream_tbENKUlT_T0_E_clISt17integral_constantIbLb1EESY_IbLb0EEEEDaSU_SV_EUlSU_E_NS1_11comp_targetILNS1_3genE3ELNS1_11target_archE908ELNS1_3gpuE7ELNS1_3repE0EEENS1_30default_config_static_selectorELNS0_4arch9wavefront6targetE0EEEvT1_
		.amdhsa_group_segment_fixed_size 0
		.amdhsa_private_segment_fixed_size 0
		.amdhsa_kernarg_size 112
		.amdhsa_user_sgpr_count 2
		.amdhsa_user_sgpr_dispatch_ptr 0
		.amdhsa_user_sgpr_queue_ptr 0
		.amdhsa_user_sgpr_kernarg_segment_ptr 1
		.amdhsa_user_sgpr_dispatch_id 0
		.amdhsa_user_sgpr_kernarg_preload_length 0
		.amdhsa_user_sgpr_kernarg_preload_offset 0
		.amdhsa_user_sgpr_private_segment_size 0
		.amdhsa_wavefront_size32 1
		.amdhsa_uses_dynamic_stack 0
		.amdhsa_enable_private_segment 0
		.amdhsa_system_sgpr_workgroup_id_x 1
		.amdhsa_system_sgpr_workgroup_id_y 0
		.amdhsa_system_sgpr_workgroup_id_z 0
		.amdhsa_system_sgpr_workgroup_info 0
		.amdhsa_system_vgpr_workitem_id 0
		.amdhsa_next_free_vgpr 1
		.amdhsa_next_free_sgpr 1
		.amdhsa_named_barrier_count 0
		.amdhsa_reserve_vcc 0
		.amdhsa_float_round_mode_32 0
		.amdhsa_float_round_mode_16_64 0
		.amdhsa_float_denorm_mode_32 3
		.amdhsa_float_denorm_mode_16_64 3
		.amdhsa_fp16_overflow 0
		.amdhsa_memory_ordered 1
		.amdhsa_forward_progress 1
		.amdhsa_inst_pref_size 0
		.amdhsa_round_robin_scheduling 0
		.amdhsa_exception_fp_ieee_invalid_op 0
		.amdhsa_exception_fp_denorm_src 0
		.amdhsa_exception_fp_ieee_div_zero 0
		.amdhsa_exception_fp_ieee_overflow 0
		.amdhsa_exception_fp_ieee_underflow 0
		.amdhsa_exception_fp_ieee_inexact 0
		.amdhsa_exception_int_div_zero 0
	.end_amdhsa_kernel
	.section	.text._ZN7rocprim17ROCPRIM_400000_NS6detail17trampoline_kernelINS0_14default_configENS1_27scan_by_key_config_selectorIssEEZZNS1_16scan_by_key_implILNS1_25lookback_scan_determinismE0ELb1ES3_N6thrust23THRUST_200600_302600_NS6detail15normal_iteratorINS9_10device_ptrIsEEEESE_SE_sNS9_4plusIvEENS9_8equal_toIsEEsEE10hipError_tPvRmT2_T3_T4_T5_mT6_T7_P12ihipStream_tbENKUlT_T0_E_clISt17integral_constantIbLb1EESY_IbLb0EEEEDaSU_SV_EUlSU_E_NS1_11comp_targetILNS1_3genE3ELNS1_11target_archE908ELNS1_3gpuE7ELNS1_3repE0EEENS1_30default_config_static_selectorELNS0_4arch9wavefront6targetE0EEEvT1_,"axG",@progbits,_ZN7rocprim17ROCPRIM_400000_NS6detail17trampoline_kernelINS0_14default_configENS1_27scan_by_key_config_selectorIssEEZZNS1_16scan_by_key_implILNS1_25lookback_scan_determinismE0ELb1ES3_N6thrust23THRUST_200600_302600_NS6detail15normal_iteratorINS9_10device_ptrIsEEEESE_SE_sNS9_4plusIvEENS9_8equal_toIsEEsEE10hipError_tPvRmT2_T3_T4_T5_mT6_T7_P12ihipStream_tbENKUlT_T0_E_clISt17integral_constantIbLb1EESY_IbLb0EEEEDaSU_SV_EUlSU_E_NS1_11comp_targetILNS1_3genE3ELNS1_11target_archE908ELNS1_3gpuE7ELNS1_3repE0EEENS1_30default_config_static_selectorELNS0_4arch9wavefront6targetE0EEEvT1_,comdat
.Lfunc_end663:
	.size	_ZN7rocprim17ROCPRIM_400000_NS6detail17trampoline_kernelINS0_14default_configENS1_27scan_by_key_config_selectorIssEEZZNS1_16scan_by_key_implILNS1_25lookback_scan_determinismE0ELb1ES3_N6thrust23THRUST_200600_302600_NS6detail15normal_iteratorINS9_10device_ptrIsEEEESE_SE_sNS9_4plusIvEENS9_8equal_toIsEEsEE10hipError_tPvRmT2_T3_T4_T5_mT6_T7_P12ihipStream_tbENKUlT_T0_E_clISt17integral_constantIbLb1EESY_IbLb0EEEEDaSU_SV_EUlSU_E_NS1_11comp_targetILNS1_3genE3ELNS1_11target_archE908ELNS1_3gpuE7ELNS1_3repE0EEENS1_30default_config_static_selectorELNS0_4arch9wavefront6targetE0EEEvT1_, .Lfunc_end663-_ZN7rocprim17ROCPRIM_400000_NS6detail17trampoline_kernelINS0_14default_configENS1_27scan_by_key_config_selectorIssEEZZNS1_16scan_by_key_implILNS1_25lookback_scan_determinismE0ELb1ES3_N6thrust23THRUST_200600_302600_NS6detail15normal_iteratorINS9_10device_ptrIsEEEESE_SE_sNS9_4plusIvEENS9_8equal_toIsEEsEE10hipError_tPvRmT2_T3_T4_T5_mT6_T7_P12ihipStream_tbENKUlT_T0_E_clISt17integral_constantIbLb1EESY_IbLb0EEEEDaSU_SV_EUlSU_E_NS1_11comp_targetILNS1_3genE3ELNS1_11target_archE908ELNS1_3gpuE7ELNS1_3repE0EEENS1_30default_config_static_selectorELNS0_4arch9wavefront6targetE0EEEvT1_
                                        ; -- End function
	.set _ZN7rocprim17ROCPRIM_400000_NS6detail17trampoline_kernelINS0_14default_configENS1_27scan_by_key_config_selectorIssEEZZNS1_16scan_by_key_implILNS1_25lookback_scan_determinismE0ELb1ES3_N6thrust23THRUST_200600_302600_NS6detail15normal_iteratorINS9_10device_ptrIsEEEESE_SE_sNS9_4plusIvEENS9_8equal_toIsEEsEE10hipError_tPvRmT2_T3_T4_T5_mT6_T7_P12ihipStream_tbENKUlT_T0_E_clISt17integral_constantIbLb1EESY_IbLb0EEEEDaSU_SV_EUlSU_E_NS1_11comp_targetILNS1_3genE3ELNS1_11target_archE908ELNS1_3gpuE7ELNS1_3repE0EEENS1_30default_config_static_selectorELNS0_4arch9wavefront6targetE0EEEvT1_.num_vgpr, 0
	.set _ZN7rocprim17ROCPRIM_400000_NS6detail17trampoline_kernelINS0_14default_configENS1_27scan_by_key_config_selectorIssEEZZNS1_16scan_by_key_implILNS1_25lookback_scan_determinismE0ELb1ES3_N6thrust23THRUST_200600_302600_NS6detail15normal_iteratorINS9_10device_ptrIsEEEESE_SE_sNS9_4plusIvEENS9_8equal_toIsEEsEE10hipError_tPvRmT2_T3_T4_T5_mT6_T7_P12ihipStream_tbENKUlT_T0_E_clISt17integral_constantIbLb1EESY_IbLb0EEEEDaSU_SV_EUlSU_E_NS1_11comp_targetILNS1_3genE3ELNS1_11target_archE908ELNS1_3gpuE7ELNS1_3repE0EEENS1_30default_config_static_selectorELNS0_4arch9wavefront6targetE0EEEvT1_.num_agpr, 0
	.set _ZN7rocprim17ROCPRIM_400000_NS6detail17trampoline_kernelINS0_14default_configENS1_27scan_by_key_config_selectorIssEEZZNS1_16scan_by_key_implILNS1_25lookback_scan_determinismE0ELb1ES3_N6thrust23THRUST_200600_302600_NS6detail15normal_iteratorINS9_10device_ptrIsEEEESE_SE_sNS9_4plusIvEENS9_8equal_toIsEEsEE10hipError_tPvRmT2_T3_T4_T5_mT6_T7_P12ihipStream_tbENKUlT_T0_E_clISt17integral_constantIbLb1EESY_IbLb0EEEEDaSU_SV_EUlSU_E_NS1_11comp_targetILNS1_3genE3ELNS1_11target_archE908ELNS1_3gpuE7ELNS1_3repE0EEENS1_30default_config_static_selectorELNS0_4arch9wavefront6targetE0EEEvT1_.numbered_sgpr, 0
	.set _ZN7rocprim17ROCPRIM_400000_NS6detail17trampoline_kernelINS0_14default_configENS1_27scan_by_key_config_selectorIssEEZZNS1_16scan_by_key_implILNS1_25lookback_scan_determinismE0ELb1ES3_N6thrust23THRUST_200600_302600_NS6detail15normal_iteratorINS9_10device_ptrIsEEEESE_SE_sNS9_4plusIvEENS9_8equal_toIsEEsEE10hipError_tPvRmT2_T3_T4_T5_mT6_T7_P12ihipStream_tbENKUlT_T0_E_clISt17integral_constantIbLb1EESY_IbLb0EEEEDaSU_SV_EUlSU_E_NS1_11comp_targetILNS1_3genE3ELNS1_11target_archE908ELNS1_3gpuE7ELNS1_3repE0EEENS1_30default_config_static_selectorELNS0_4arch9wavefront6targetE0EEEvT1_.num_named_barrier, 0
	.set _ZN7rocprim17ROCPRIM_400000_NS6detail17trampoline_kernelINS0_14default_configENS1_27scan_by_key_config_selectorIssEEZZNS1_16scan_by_key_implILNS1_25lookback_scan_determinismE0ELb1ES3_N6thrust23THRUST_200600_302600_NS6detail15normal_iteratorINS9_10device_ptrIsEEEESE_SE_sNS9_4plusIvEENS9_8equal_toIsEEsEE10hipError_tPvRmT2_T3_T4_T5_mT6_T7_P12ihipStream_tbENKUlT_T0_E_clISt17integral_constantIbLb1EESY_IbLb0EEEEDaSU_SV_EUlSU_E_NS1_11comp_targetILNS1_3genE3ELNS1_11target_archE908ELNS1_3gpuE7ELNS1_3repE0EEENS1_30default_config_static_selectorELNS0_4arch9wavefront6targetE0EEEvT1_.private_seg_size, 0
	.set _ZN7rocprim17ROCPRIM_400000_NS6detail17trampoline_kernelINS0_14default_configENS1_27scan_by_key_config_selectorIssEEZZNS1_16scan_by_key_implILNS1_25lookback_scan_determinismE0ELb1ES3_N6thrust23THRUST_200600_302600_NS6detail15normal_iteratorINS9_10device_ptrIsEEEESE_SE_sNS9_4plusIvEENS9_8equal_toIsEEsEE10hipError_tPvRmT2_T3_T4_T5_mT6_T7_P12ihipStream_tbENKUlT_T0_E_clISt17integral_constantIbLb1EESY_IbLb0EEEEDaSU_SV_EUlSU_E_NS1_11comp_targetILNS1_3genE3ELNS1_11target_archE908ELNS1_3gpuE7ELNS1_3repE0EEENS1_30default_config_static_selectorELNS0_4arch9wavefront6targetE0EEEvT1_.uses_vcc, 0
	.set _ZN7rocprim17ROCPRIM_400000_NS6detail17trampoline_kernelINS0_14default_configENS1_27scan_by_key_config_selectorIssEEZZNS1_16scan_by_key_implILNS1_25lookback_scan_determinismE0ELb1ES3_N6thrust23THRUST_200600_302600_NS6detail15normal_iteratorINS9_10device_ptrIsEEEESE_SE_sNS9_4plusIvEENS9_8equal_toIsEEsEE10hipError_tPvRmT2_T3_T4_T5_mT6_T7_P12ihipStream_tbENKUlT_T0_E_clISt17integral_constantIbLb1EESY_IbLb0EEEEDaSU_SV_EUlSU_E_NS1_11comp_targetILNS1_3genE3ELNS1_11target_archE908ELNS1_3gpuE7ELNS1_3repE0EEENS1_30default_config_static_selectorELNS0_4arch9wavefront6targetE0EEEvT1_.uses_flat_scratch, 0
	.set _ZN7rocprim17ROCPRIM_400000_NS6detail17trampoline_kernelINS0_14default_configENS1_27scan_by_key_config_selectorIssEEZZNS1_16scan_by_key_implILNS1_25lookback_scan_determinismE0ELb1ES3_N6thrust23THRUST_200600_302600_NS6detail15normal_iteratorINS9_10device_ptrIsEEEESE_SE_sNS9_4plusIvEENS9_8equal_toIsEEsEE10hipError_tPvRmT2_T3_T4_T5_mT6_T7_P12ihipStream_tbENKUlT_T0_E_clISt17integral_constantIbLb1EESY_IbLb0EEEEDaSU_SV_EUlSU_E_NS1_11comp_targetILNS1_3genE3ELNS1_11target_archE908ELNS1_3gpuE7ELNS1_3repE0EEENS1_30default_config_static_selectorELNS0_4arch9wavefront6targetE0EEEvT1_.has_dyn_sized_stack, 0
	.set _ZN7rocprim17ROCPRIM_400000_NS6detail17trampoline_kernelINS0_14default_configENS1_27scan_by_key_config_selectorIssEEZZNS1_16scan_by_key_implILNS1_25lookback_scan_determinismE0ELb1ES3_N6thrust23THRUST_200600_302600_NS6detail15normal_iteratorINS9_10device_ptrIsEEEESE_SE_sNS9_4plusIvEENS9_8equal_toIsEEsEE10hipError_tPvRmT2_T3_T4_T5_mT6_T7_P12ihipStream_tbENKUlT_T0_E_clISt17integral_constantIbLb1EESY_IbLb0EEEEDaSU_SV_EUlSU_E_NS1_11comp_targetILNS1_3genE3ELNS1_11target_archE908ELNS1_3gpuE7ELNS1_3repE0EEENS1_30default_config_static_selectorELNS0_4arch9wavefront6targetE0EEEvT1_.has_recursion, 0
	.set _ZN7rocprim17ROCPRIM_400000_NS6detail17trampoline_kernelINS0_14default_configENS1_27scan_by_key_config_selectorIssEEZZNS1_16scan_by_key_implILNS1_25lookback_scan_determinismE0ELb1ES3_N6thrust23THRUST_200600_302600_NS6detail15normal_iteratorINS9_10device_ptrIsEEEESE_SE_sNS9_4plusIvEENS9_8equal_toIsEEsEE10hipError_tPvRmT2_T3_T4_T5_mT6_T7_P12ihipStream_tbENKUlT_T0_E_clISt17integral_constantIbLb1EESY_IbLb0EEEEDaSU_SV_EUlSU_E_NS1_11comp_targetILNS1_3genE3ELNS1_11target_archE908ELNS1_3gpuE7ELNS1_3repE0EEENS1_30default_config_static_selectorELNS0_4arch9wavefront6targetE0EEEvT1_.has_indirect_call, 0
	.section	.AMDGPU.csdata,"",@progbits
; Kernel info:
; codeLenInByte = 0
; TotalNumSgprs: 0
; NumVgprs: 0
; ScratchSize: 0
; MemoryBound: 0
; FloatMode: 240
; IeeeMode: 1
; LDSByteSize: 0 bytes/workgroup (compile time only)
; SGPRBlocks: 0
; VGPRBlocks: 0
; NumSGPRsForWavesPerEU: 1
; NumVGPRsForWavesPerEU: 1
; NamedBarCnt: 0
; Occupancy: 16
; WaveLimiterHint : 0
; COMPUTE_PGM_RSRC2:SCRATCH_EN: 0
; COMPUTE_PGM_RSRC2:USER_SGPR: 2
; COMPUTE_PGM_RSRC2:TRAP_HANDLER: 0
; COMPUTE_PGM_RSRC2:TGID_X_EN: 1
; COMPUTE_PGM_RSRC2:TGID_Y_EN: 0
; COMPUTE_PGM_RSRC2:TGID_Z_EN: 0
; COMPUTE_PGM_RSRC2:TIDIG_COMP_CNT: 0
	.section	.text._ZN7rocprim17ROCPRIM_400000_NS6detail17trampoline_kernelINS0_14default_configENS1_27scan_by_key_config_selectorIssEEZZNS1_16scan_by_key_implILNS1_25lookback_scan_determinismE0ELb1ES3_N6thrust23THRUST_200600_302600_NS6detail15normal_iteratorINS9_10device_ptrIsEEEESE_SE_sNS9_4plusIvEENS9_8equal_toIsEEsEE10hipError_tPvRmT2_T3_T4_T5_mT6_T7_P12ihipStream_tbENKUlT_T0_E_clISt17integral_constantIbLb1EESY_IbLb0EEEEDaSU_SV_EUlSU_E_NS1_11comp_targetILNS1_3genE2ELNS1_11target_archE906ELNS1_3gpuE6ELNS1_3repE0EEENS1_30default_config_static_selectorELNS0_4arch9wavefront6targetE0EEEvT1_,"axG",@progbits,_ZN7rocprim17ROCPRIM_400000_NS6detail17trampoline_kernelINS0_14default_configENS1_27scan_by_key_config_selectorIssEEZZNS1_16scan_by_key_implILNS1_25lookback_scan_determinismE0ELb1ES3_N6thrust23THRUST_200600_302600_NS6detail15normal_iteratorINS9_10device_ptrIsEEEESE_SE_sNS9_4plusIvEENS9_8equal_toIsEEsEE10hipError_tPvRmT2_T3_T4_T5_mT6_T7_P12ihipStream_tbENKUlT_T0_E_clISt17integral_constantIbLb1EESY_IbLb0EEEEDaSU_SV_EUlSU_E_NS1_11comp_targetILNS1_3genE2ELNS1_11target_archE906ELNS1_3gpuE6ELNS1_3repE0EEENS1_30default_config_static_selectorELNS0_4arch9wavefront6targetE0EEEvT1_,comdat
	.protected	_ZN7rocprim17ROCPRIM_400000_NS6detail17trampoline_kernelINS0_14default_configENS1_27scan_by_key_config_selectorIssEEZZNS1_16scan_by_key_implILNS1_25lookback_scan_determinismE0ELb1ES3_N6thrust23THRUST_200600_302600_NS6detail15normal_iteratorINS9_10device_ptrIsEEEESE_SE_sNS9_4plusIvEENS9_8equal_toIsEEsEE10hipError_tPvRmT2_T3_T4_T5_mT6_T7_P12ihipStream_tbENKUlT_T0_E_clISt17integral_constantIbLb1EESY_IbLb0EEEEDaSU_SV_EUlSU_E_NS1_11comp_targetILNS1_3genE2ELNS1_11target_archE906ELNS1_3gpuE6ELNS1_3repE0EEENS1_30default_config_static_selectorELNS0_4arch9wavefront6targetE0EEEvT1_ ; -- Begin function _ZN7rocprim17ROCPRIM_400000_NS6detail17trampoline_kernelINS0_14default_configENS1_27scan_by_key_config_selectorIssEEZZNS1_16scan_by_key_implILNS1_25lookback_scan_determinismE0ELb1ES3_N6thrust23THRUST_200600_302600_NS6detail15normal_iteratorINS9_10device_ptrIsEEEESE_SE_sNS9_4plusIvEENS9_8equal_toIsEEsEE10hipError_tPvRmT2_T3_T4_T5_mT6_T7_P12ihipStream_tbENKUlT_T0_E_clISt17integral_constantIbLb1EESY_IbLb0EEEEDaSU_SV_EUlSU_E_NS1_11comp_targetILNS1_3genE2ELNS1_11target_archE906ELNS1_3gpuE6ELNS1_3repE0EEENS1_30default_config_static_selectorELNS0_4arch9wavefront6targetE0EEEvT1_
	.globl	_ZN7rocprim17ROCPRIM_400000_NS6detail17trampoline_kernelINS0_14default_configENS1_27scan_by_key_config_selectorIssEEZZNS1_16scan_by_key_implILNS1_25lookback_scan_determinismE0ELb1ES3_N6thrust23THRUST_200600_302600_NS6detail15normal_iteratorINS9_10device_ptrIsEEEESE_SE_sNS9_4plusIvEENS9_8equal_toIsEEsEE10hipError_tPvRmT2_T3_T4_T5_mT6_T7_P12ihipStream_tbENKUlT_T0_E_clISt17integral_constantIbLb1EESY_IbLb0EEEEDaSU_SV_EUlSU_E_NS1_11comp_targetILNS1_3genE2ELNS1_11target_archE906ELNS1_3gpuE6ELNS1_3repE0EEENS1_30default_config_static_selectorELNS0_4arch9wavefront6targetE0EEEvT1_
	.p2align	8
	.type	_ZN7rocprim17ROCPRIM_400000_NS6detail17trampoline_kernelINS0_14default_configENS1_27scan_by_key_config_selectorIssEEZZNS1_16scan_by_key_implILNS1_25lookback_scan_determinismE0ELb1ES3_N6thrust23THRUST_200600_302600_NS6detail15normal_iteratorINS9_10device_ptrIsEEEESE_SE_sNS9_4plusIvEENS9_8equal_toIsEEsEE10hipError_tPvRmT2_T3_T4_T5_mT6_T7_P12ihipStream_tbENKUlT_T0_E_clISt17integral_constantIbLb1EESY_IbLb0EEEEDaSU_SV_EUlSU_E_NS1_11comp_targetILNS1_3genE2ELNS1_11target_archE906ELNS1_3gpuE6ELNS1_3repE0EEENS1_30default_config_static_selectorELNS0_4arch9wavefront6targetE0EEEvT1_,@function
_ZN7rocprim17ROCPRIM_400000_NS6detail17trampoline_kernelINS0_14default_configENS1_27scan_by_key_config_selectorIssEEZZNS1_16scan_by_key_implILNS1_25lookback_scan_determinismE0ELb1ES3_N6thrust23THRUST_200600_302600_NS6detail15normal_iteratorINS9_10device_ptrIsEEEESE_SE_sNS9_4plusIvEENS9_8equal_toIsEEsEE10hipError_tPvRmT2_T3_T4_T5_mT6_T7_P12ihipStream_tbENKUlT_T0_E_clISt17integral_constantIbLb1EESY_IbLb0EEEEDaSU_SV_EUlSU_E_NS1_11comp_targetILNS1_3genE2ELNS1_11target_archE906ELNS1_3gpuE6ELNS1_3repE0EEENS1_30default_config_static_selectorELNS0_4arch9wavefront6targetE0EEEvT1_: ; @_ZN7rocprim17ROCPRIM_400000_NS6detail17trampoline_kernelINS0_14default_configENS1_27scan_by_key_config_selectorIssEEZZNS1_16scan_by_key_implILNS1_25lookback_scan_determinismE0ELb1ES3_N6thrust23THRUST_200600_302600_NS6detail15normal_iteratorINS9_10device_ptrIsEEEESE_SE_sNS9_4plusIvEENS9_8equal_toIsEEsEE10hipError_tPvRmT2_T3_T4_T5_mT6_T7_P12ihipStream_tbENKUlT_T0_E_clISt17integral_constantIbLb1EESY_IbLb0EEEEDaSU_SV_EUlSU_E_NS1_11comp_targetILNS1_3genE2ELNS1_11target_archE906ELNS1_3gpuE6ELNS1_3repE0EEENS1_30default_config_static_selectorELNS0_4arch9wavefront6targetE0EEEvT1_
; %bb.0:
	.section	.rodata,"a",@progbits
	.p2align	6, 0x0
	.amdhsa_kernel _ZN7rocprim17ROCPRIM_400000_NS6detail17trampoline_kernelINS0_14default_configENS1_27scan_by_key_config_selectorIssEEZZNS1_16scan_by_key_implILNS1_25lookback_scan_determinismE0ELb1ES3_N6thrust23THRUST_200600_302600_NS6detail15normal_iteratorINS9_10device_ptrIsEEEESE_SE_sNS9_4plusIvEENS9_8equal_toIsEEsEE10hipError_tPvRmT2_T3_T4_T5_mT6_T7_P12ihipStream_tbENKUlT_T0_E_clISt17integral_constantIbLb1EESY_IbLb0EEEEDaSU_SV_EUlSU_E_NS1_11comp_targetILNS1_3genE2ELNS1_11target_archE906ELNS1_3gpuE6ELNS1_3repE0EEENS1_30default_config_static_selectorELNS0_4arch9wavefront6targetE0EEEvT1_
		.amdhsa_group_segment_fixed_size 0
		.amdhsa_private_segment_fixed_size 0
		.amdhsa_kernarg_size 112
		.amdhsa_user_sgpr_count 2
		.amdhsa_user_sgpr_dispatch_ptr 0
		.amdhsa_user_sgpr_queue_ptr 0
		.amdhsa_user_sgpr_kernarg_segment_ptr 1
		.amdhsa_user_sgpr_dispatch_id 0
		.amdhsa_user_sgpr_kernarg_preload_length 0
		.amdhsa_user_sgpr_kernarg_preload_offset 0
		.amdhsa_user_sgpr_private_segment_size 0
		.amdhsa_wavefront_size32 1
		.amdhsa_uses_dynamic_stack 0
		.amdhsa_enable_private_segment 0
		.amdhsa_system_sgpr_workgroup_id_x 1
		.amdhsa_system_sgpr_workgroup_id_y 0
		.amdhsa_system_sgpr_workgroup_id_z 0
		.amdhsa_system_sgpr_workgroup_info 0
		.amdhsa_system_vgpr_workitem_id 0
		.amdhsa_next_free_vgpr 1
		.amdhsa_next_free_sgpr 1
		.amdhsa_named_barrier_count 0
		.amdhsa_reserve_vcc 0
		.amdhsa_float_round_mode_32 0
		.amdhsa_float_round_mode_16_64 0
		.amdhsa_float_denorm_mode_32 3
		.amdhsa_float_denorm_mode_16_64 3
		.amdhsa_fp16_overflow 0
		.amdhsa_memory_ordered 1
		.amdhsa_forward_progress 1
		.amdhsa_inst_pref_size 0
		.amdhsa_round_robin_scheduling 0
		.amdhsa_exception_fp_ieee_invalid_op 0
		.amdhsa_exception_fp_denorm_src 0
		.amdhsa_exception_fp_ieee_div_zero 0
		.amdhsa_exception_fp_ieee_overflow 0
		.amdhsa_exception_fp_ieee_underflow 0
		.amdhsa_exception_fp_ieee_inexact 0
		.amdhsa_exception_int_div_zero 0
	.end_amdhsa_kernel
	.section	.text._ZN7rocprim17ROCPRIM_400000_NS6detail17trampoline_kernelINS0_14default_configENS1_27scan_by_key_config_selectorIssEEZZNS1_16scan_by_key_implILNS1_25lookback_scan_determinismE0ELb1ES3_N6thrust23THRUST_200600_302600_NS6detail15normal_iteratorINS9_10device_ptrIsEEEESE_SE_sNS9_4plusIvEENS9_8equal_toIsEEsEE10hipError_tPvRmT2_T3_T4_T5_mT6_T7_P12ihipStream_tbENKUlT_T0_E_clISt17integral_constantIbLb1EESY_IbLb0EEEEDaSU_SV_EUlSU_E_NS1_11comp_targetILNS1_3genE2ELNS1_11target_archE906ELNS1_3gpuE6ELNS1_3repE0EEENS1_30default_config_static_selectorELNS0_4arch9wavefront6targetE0EEEvT1_,"axG",@progbits,_ZN7rocprim17ROCPRIM_400000_NS6detail17trampoline_kernelINS0_14default_configENS1_27scan_by_key_config_selectorIssEEZZNS1_16scan_by_key_implILNS1_25lookback_scan_determinismE0ELb1ES3_N6thrust23THRUST_200600_302600_NS6detail15normal_iteratorINS9_10device_ptrIsEEEESE_SE_sNS9_4plusIvEENS9_8equal_toIsEEsEE10hipError_tPvRmT2_T3_T4_T5_mT6_T7_P12ihipStream_tbENKUlT_T0_E_clISt17integral_constantIbLb1EESY_IbLb0EEEEDaSU_SV_EUlSU_E_NS1_11comp_targetILNS1_3genE2ELNS1_11target_archE906ELNS1_3gpuE6ELNS1_3repE0EEENS1_30default_config_static_selectorELNS0_4arch9wavefront6targetE0EEEvT1_,comdat
.Lfunc_end664:
	.size	_ZN7rocprim17ROCPRIM_400000_NS6detail17trampoline_kernelINS0_14default_configENS1_27scan_by_key_config_selectorIssEEZZNS1_16scan_by_key_implILNS1_25lookback_scan_determinismE0ELb1ES3_N6thrust23THRUST_200600_302600_NS6detail15normal_iteratorINS9_10device_ptrIsEEEESE_SE_sNS9_4plusIvEENS9_8equal_toIsEEsEE10hipError_tPvRmT2_T3_T4_T5_mT6_T7_P12ihipStream_tbENKUlT_T0_E_clISt17integral_constantIbLb1EESY_IbLb0EEEEDaSU_SV_EUlSU_E_NS1_11comp_targetILNS1_3genE2ELNS1_11target_archE906ELNS1_3gpuE6ELNS1_3repE0EEENS1_30default_config_static_selectorELNS0_4arch9wavefront6targetE0EEEvT1_, .Lfunc_end664-_ZN7rocprim17ROCPRIM_400000_NS6detail17trampoline_kernelINS0_14default_configENS1_27scan_by_key_config_selectorIssEEZZNS1_16scan_by_key_implILNS1_25lookback_scan_determinismE0ELb1ES3_N6thrust23THRUST_200600_302600_NS6detail15normal_iteratorINS9_10device_ptrIsEEEESE_SE_sNS9_4plusIvEENS9_8equal_toIsEEsEE10hipError_tPvRmT2_T3_T4_T5_mT6_T7_P12ihipStream_tbENKUlT_T0_E_clISt17integral_constantIbLb1EESY_IbLb0EEEEDaSU_SV_EUlSU_E_NS1_11comp_targetILNS1_3genE2ELNS1_11target_archE906ELNS1_3gpuE6ELNS1_3repE0EEENS1_30default_config_static_selectorELNS0_4arch9wavefront6targetE0EEEvT1_
                                        ; -- End function
	.set _ZN7rocprim17ROCPRIM_400000_NS6detail17trampoline_kernelINS0_14default_configENS1_27scan_by_key_config_selectorIssEEZZNS1_16scan_by_key_implILNS1_25lookback_scan_determinismE0ELb1ES3_N6thrust23THRUST_200600_302600_NS6detail15normal_iteratorINS9_10device_ptrIsEEEESE_SE_sNS9_4plusIvEENS9_8equal_toIsEEsEE10hipError_tPvRmT2_T3_T4_T5_mT6_T7_P12ihipStream_tbENKUlT_T0_E_clISt17integral_constantIbLb1EESY_IbLb0EEEEDaSU_SV_EUlSU_E_NS1_11comp_targetILNS1_3genE2ELNS1_11target_archE906ELNS1_3gpuE6ELNS1_3repE0EEENS1_30default_config_static_selectorELNS0_4arch9wavefront6targetE0EEEvT1_.num_vgpr, 0
	.set _ZN7rocprim17ROCPRIM_400000_NS6detail17trampoline_kernelINS0_14default_configENS1_27scan_by_key_config_selectorIssEEZZNS1_16scan_by_key_implILNS1_25lookback_scan_determinismE0ELb1ES3_N6thrust23THRUST_200600_302600_NS6detail15normal_iteratorINS9_10device_ptrIsEEEESE_SE_sNS9_4plusIvEENS9_8equal_toIsEEsEE10hipError_tPvRmT2_T3_T4_T5_mT6_T7_P12ihipStream_tbENKUlT_T0_E_clISt17integral_constantIbLb1EESY_IbLb0EEEEDaSU_SV_EUlSU_E_NS1_11comp_targetILNS1_3genE2ELNS1_11target_archE906ELNS1_3gpuE6ELNS1_3repE0EEENS1_30default_config_static_selectorELNS0_4arch9wavefront6targetE0EEEvT1_.num_agpr, 0
	.set _ZN7rocprim17ROCPRIM_400000_NS6detail17trampoline_kernelINS0_14default_configENS1_27scan_by_key_config_selectorIssEEZZNS1_16scan_by_key_implILNS1_25lookback_scan_determinismE0ELb1ES3_N6thrust23THRUST_200600_302600_NS6detail15normal_iteratorINS9_10device_ptrIsEEEESE_SE_sNS9_4plusIvEENS9_8equal_toIsEEsEE10hipError_tPvRmT2_T3_T4_T5_mT6_T7_P12ihipStream_tbENKUlT_T0_E_clISt17integral_constantIbLb1EESY_IbLb0EEEEDaSU_SV_EUlSU_E_NS1_11comp_targetILNS1_3genE2ELNS1_11target_archE906ELNS1_3gpuE6ELNS1_3repE0EEENS1_30default_config_static_selectorELNS0_4arch9wavefront6targetE0EEEvT1_.numbered_sgpr, 0
	.set _ZN7rocprim17ROCPRIM_400000_NS6detail17trampoline_kernelINS0_14default_configENS1_27scan_by_key_config_selectorIssEEZZNS1_16scan_by_key_implILNS1_25lookback_scan_determinismE0ELb1ES3_N6thrust23THRUST_200600_302600_NS6detail15normal_iteratorINS9_10device_ptrIsEEEESE_SE_sNS9_4plusIvEENS9_8equal_toIsEEsEE10hipError_tPvRmT2_T3_T4_T5_mT6_T7_P12ihipStream_tbENKUlT_T0_E_clISt17integral_constantIbLb1EESY_IbLb0EEEEDaSU_SV_EUlSU_E_NS1_11comp_targetILNS1_3genE2ELNS1_11target_archE906ELNS1_3gpuE6ELNS1_3repE0EEENS1_30default_config_static_selectorELNS0_4arch9wavefront6targetE0EEEvT1_.num_named_barrier, 0
	.set _ZN7rocprim17ROCPRIM_400000_NS6detail17trampoline_kernelINS0_14default_configENS1_27scan_by_key_config_selectorIssEEZZNS1_16scan_by_key_implILNS1_25lookback_scan_determinismE0ELb1ES3_N6thrust23THRUST_200600_302600_NS6detail15normal_iteratorINS9_10device_ptrIsEEEESE_SE_sNS9_4plusIvEENS9_8equal_toIsEEsEE10hipError_tPvRmT2_T3_T4_T5_mT6_T7_P12ihipStream_tbENKUlT_T0_E_clISt17integral_constantIbLb1EESY_IbLb0EEEEDaSU_SV_EUlSU_E_NS1_11comp_targetILNS1_3genE2ELNS1_11target_archE906ELNS1_3gpuE6ELNS1_3repE0EEENS1_30default_config_static_selectorELNS0_4arch9wavefront6targetE0EEEvT1_.private_seg_size, 0
	.set _ZN7rocprim17ROCPRIM_400000_NS6detail17trampoline_kernelINS0_14default_configENS1_27scan_by_key_config_selectorIssEEZZNS1_16scan_by_key_implILNS1_25lookback_scan_determinismE0ELb1ES3_N6thrust23THRUST_200600_302600_NS6detail15normal_iteratorINS9_10device_ptrIsEEEESE_SE_sNS9_4plusIvEENS9_8equal_toIsEEsEE10hipError_tPvRmT2_T3_T4_T5_mT6_T7_P12ihipStream_tbENKUlT_T0_E_clISt17integral_constantIbLb1EESY_IbLb0EEEEDaSU_SV_EUlSU_E_NS1_11comp_targetILNS1_3genE2ELNS1_11target_archE906ELNS1_3gpuE6ELNS1_3repE0EEENS1_30default_config_static_selectorELNS0_4arch9wavefront6targetE0EEEvT1_.uses_vcc, 0
	.set _ZN7rocprim17ROCPRIM_400000_NS6detail17trampoline_kernelINS0_14default_configENS1_27scan_by_key_config_selectorIssEEZZNS1_16scan_by_key_implILNS1_25lookback_scan_determinismE0ELb1ES3_N6thrust23THRUST_200600_302600_NS6detail15normal_iteratorINS9_10device_ptrIsEEEESE_SE_sNS9_4plusIvEENS9_8equal_toIsEEsEE10hipError_tPvRmT2_T3_T4_T5_mT6_T7_P12ihipStream_tbENKUlT_T0_E_clISt17integral_constantIbLb1EESY_IbLb0EEEEDaSU_SV_EUlSU_E_NS1_11comp_targetILNS1_3genE2ELNS1_11target_archE906ELNS1_3gpuE6ELNS1_3repE0EEENS1_30default_config_static_selectorELNS0_4arch9wavefront6targetE0EEEvT1_.uses_flat_scratch, 0
	.set _ZN7rocprim17ROCPRIM_400000_NS6detail17trampoline_kernelINS0_14default_configENS1_27scan_by_key_config_selectorIssEEZZNS1_16scan_by_key_implILNS1_25lookback_scan_determinismE0ELb1ES3_N6thrust23THRUST_200600_302600_NS6detail15normal_iteratorINS9_10device_ptrIsEEEESE_SE_sNS9_4plusIvEENS9_8equal_toIsEEsEE10hipError_tPvRmT2_T3_T4_T5_mT6_T7_P12ihipStream_tbENKUlT_T0_E_clISt17integral_constantIbLb1EESY_IbLb0EEEEDaSU_SV_EUlSU_E_NS1_11comp_targetILNS1_3genE2ELNS1_11target_archE906ELNS1_3gpuE6ELNS1_3repE0EEENS1_30default_config_static_selectorELNS0_4arch9wavefront6targetE0EEEvT1_.has_dyn_sized_stack, 0
	.set _ZN7rocprim17ROCPRIM_400000_NS6detail17trampoline_kernelINS0_14default_configENS1_27scan_by_key_config_selectorIssEEZZNS1_16scan_by_key_implILNS1_25lookback_scan_determinismE0ELb1ES3_N6thrust23THRUST_200600_302600_NS6detail15normal_iteratorINS9_10device_ptrIsEEEESE_SE_sNS9_4plusIvEENS9_8equal_toIsEEsEE10hipError_tPvRmT2_T3_T4_T5_mT6_T7_P12ihipStream_tbENKUlT_T0_E_clISt17integral_constantIbLb1EESY_IbLb0EEEEDaSU_SV_EUlSU_E_NS1_11comp_targetILNS1_3genE2ELNS1_11target_archE906ELNS1_3gpuE6ELNS1_3repE0EEENS1_30default_config_static_selectorELNS0_4arch9wavefront6targetE0EEEvT1_.has_recursion, 0
	.set _ZN7rocprim17ROCPRIM_400000_NS6detail17trampoline_kernelINS0_14default_configENS1_27scan_by_key_config_selectorIssEEZZNS1_16scan_by_key_implILNS1_25lookback_scan_determinismE0ELb1ES3_N6thrust23THRUST_200600_302600_NS6detail15normal_iteratorINS9_10device_ptrIsEEEESE_SE_sNS9_4plusIvEENS9_8equal_toIsEEsEE10hipError_tPvRmT2_T3_T4_T5_mT6_T7_P12ihipStream_tbENKUlT_T0_E_clISt17integral_constantIbLb1EESY_IbLb0EEEEDaSU_SV_EUlSU_E_NS1_11comp_targetILNS1_3genE2ELNS1_11target_archE906ELNS1_3gpuE6ELNS1_3repE0EEENS1_30default_config_static_selectorELNS0_4arch9wavefront6targetE0EEEvT1_.has_indirect_call, 0
	.section	.AMDGPU.csdata,"",@progbits
; Kernel info:
; codeLenInByte = 0
; TotalNumSgprs: 0
; NumVgprs: 0
; ScratchSize: 0
; MemoryBound: 0
; FloatMode: 240
; IeeeMode: 1
; LDSByteSize: 0 bytes/workgroup (compile time only)
; SGPRBlocks: 0
; VGPRBlocks: 0
; NumSGPRsForWavesPerEU: 1
; NumVGPRsForWavesPerEU: 1
; NamedBarCnt: 0
; Occupancy: 16
; WaveLimiterHint : 0
; COMPUTE_PGM_RSRC2:SCRATCH_EN: 0
; COMPUTE_PGM_RSRC2:USER_SGPR: 2
; COMPUTE_PGM_RSRC2:TRAP_HANDLER: 0
; COMPUTE_PGM_RSRC2:TGID_X_EN: 1
; COMPUTE_PGM_RSRC2:TGID_Y_EN: 0
; COMPUTE_PGM_RSRC2:TGID_Z_EN: 0
; COMPUTE_PGM_RSRC2:TIDIG_COMP_CNT: 0
	.section	.text._ZN7rocprim17ROCPRIM_400000_NS6detail17trampoline_kernelINS0_14default_configENS1_27scan_by_key_config_selectorIssEEZZNS1_16scan_by_key_implILNS1_25lookback_scan_determinismE0ELb1ES3_N6thrust23THRUST_200600_302600_NS6detail15normal_iteratorINS9_10device_ptrIsEEEESE_SE_sNS9_4plusIvEENS9_8equal_toIsEEsEE10hipError_tPvRmT2_T3_T4_T5_mT6_T7_P12ihipStream_tbENKUlT_T0_E_clISt17integral_constantIbLb1EESY_IbLb0EEEEDaSU_SV_EUlSU_E_NS1_11comp_targetILNS1_3genE10ELNS1_11target_archE1200ELNS1_3gpuE4ELNS1_3repE0EEENS1_30default_config_static_selectorELNS0_4arch9wavefront6targetE0EEEvT1_,"axG",@progbits,_ZN7rocprim17ROCPRIM_400000_NS6detail17trampoline_kernelINS0_14default_configENS1_27scan_by_key_config_selectorIssEEZZNS1_16scan_by_key_implILNS1_25lookback_scan_determinismE0ELb1ES3_N6thrust23THRUST_200600_302600_NS6detail15normal_iteratorINS9_10device_ptrIsEEEESE_SE_sNS9_4plusIvEENS9_8equal_toIsEEsEE10hipError_tPvRmT2_T3_T4_T5_mT6_T7_P12ihipStream_tbENKUlT_T0_E_clISt17integral_constantIbLb1EESY_IbLb0EEEEDaSU_SV_EUlSU_E_NS1_11comp_targetILNS1_3genE10ELNS1_11target_archE1200ELNS1_3gpuE4ELNS1_3repE0EEENS1_30default_config_static_selectorELNS0_4arch9wavefront6targetE0EEEvT1_,comdat
	.protected	_ZN7rocprim17ROCPRIM_400000_NS6detail17trampoline_kernelINS0_14default_configENS1_27scan_by_key_config_selectorIssEEZZNS1_16scan_by_key_implILNS1_25lookback_scan_determinismE0ELb1ES3_N6thrust23THRUST_200600_302600_NS6detail15normal_iteratorINS9_10device_ptrIsEEEESE_SE_sNS9_4plusIvEENS9_8equal_toIsEEsEE10hipError_tPvRmT2_T3_T4_T5_mT6_T7_P12ihipStream_tbENKUlT_T0_E_clISt17integral_constantIbLb1EESY_IbLb0EEEEDaSU_SV_EUlSU_E_NS1_11comp_targetILNS1_3genE10ELNS1_11target_archE1200ELNS1_3gpuE4ELNS1_3repE0EEENS1_30default_config_static_selectorELNS0_4arch9wavefront6targetE0EEEvT1_ ; -- Begin function _ZN7rocprim17ROCPRIM_400000_NS6detail17trampoline_kernelINS0_14default_configENS1_27scan_by_key_config_selectorIssEEZZNS1_16scan_by_key_implILNS1_25lookback_scan_determinismE0ELb1ES3_N6thrust23THRUST_200600_302600_NS6detail15normal_iteratorINS9_10device_ptrIsEEEESE_SE_sNS9_4plusIvEENS9_8equal_toIsEEsEE10hipError_tPvRmT2_T3_T4_T5_mT6_T7_P12ihipStream_tbENKUlT_T0_E_clISt17integral_constantIbLb1EESY_IbLb0EEEEDaSU_SV_EUlSU_E_NS1_11comp_targetILNS1_3genE10ELNS1_11target_archE1200ELNS1_3gpuE4ELNS1_3repE0EEENS1_30default_config_static_selectorELNS0_4arch9wavefront6targetE0EEEvT1_
	.globl	_ZN7rocprim17ROCPRIM_400000_NS6detail17trampoline_kernelINS0_14default_configENS1_27scan_by_key_config_selectorIssEEZZNS1_16scan_by_key_implILNS1_25lookback_scan_determinismE0ELb1ES3_N6thrust23THRUST_200600_302600_NS6detail15normal_iteratorINS9_10device_ptrIsEEEESE_SE_sNS9_4plusIvEENS9_8equal_toIsEEsEE10hipError_tPvRmT2_T3_T4_T5_mT6_T7_P12ihipStream_tbENKUlT_T0_E_clISt17integral_constantIbLb1EESY_IbLb0EEEEDaSU_SV_EUlSU_E_NS1_11comp_targetILNS1_3genE10ELNS1_11target_archE1200ELNS1_3gpuE4ELNS1_3repE0EEENS1_30default_config_static_selectorELNS0_4arch9wavefront6targetE0EEEvT1_
	.p2align	8
	.type	_ZN7rocprim17ROCPRIM_400000_NS6detail17trampoline_kernelINS0_14default_configENS1_27scan_by_key_config_selectorIssEEZZNS1_16scan_by_key_implILNS1_25lookback_scan_determinismE0ELb1ES3_N6thrust23THRUST_200600_302600_NS6detail15normal_iteratorINS9_10device_ptrIsEEEESE_SE_sNS9_4plusIvEENS9_8equal_toIsEEsEE10hipError_tPvRmT2_T3_T4_T5_mT6_T7_P12ihipStream_tbENKUlT_T0_E_clISt17integral_constantIbLb1EESY_IbLb0EEEEDaSU_SV_EUlSU_E_NS1_11comp_targetILNS1_3genE10ELNS1_11target_archE1200ELNS1_3gpuE4ELNS1_3repE0EEENS1_30default_config_static_selectorELNS0_4arch9wavefront6targetE0EEEvT1_,@function
_ZN7rocprim17ROCPRIM_400000_NS6detail17trampoline_kernelINS0_14default_configENS1_27scan_by_key_config_selectorIssEEZZNS1_16scan_by_key_implILNS1_25lookback_scan_determinismE0ELb1ES3_N6thrust23THRUST_200600_302600_NS6detail15normal_iteratorINS9_10device_ptrIsEEEESE_SE_sNS9_4plusIvEENS9_8equal_toIsEEsEE10hipError_tPvRmT2_T3_T4_T5_mT6_T7_P12ihipStream_tbENKUlT_T0_E_clISt17integral_constantIbLb1EESY_IbLb0EEEEDaSU_SV_EUlSU_E_NS1_11comp_targetILNS1_3genE10ELNS1_11target_archE1200ELNS1_3gpuE4ELNS1_3repE0EEENS1_30default_config_static_selectorELNS0_4arch9wavefront6targetE0EEEvT1_: ; @_ZN7rocprim17ROCPRIM_400000_NS6detail17trampoline_kernelINS0_14default_configENS1_27scan_by_key_config_selectorIssEEZZNS1_16scan_by_key_implILNS1_25lookback_scan_determinismE0ELb1ES3_N6thrust23THRUST_200600_302600_NS6detail15normal_iteratorINS9_10device_ptrIsEEEESE_SE_sNS9_4plusIvEENS9_8equal_toIsEEsEE10hipError_tPvRmT2_T3_T4_T5_mT6_T7_P12ihipStream_tbENKUlT_T0_E_clISt17integral_constantIbLb1EESY_IbLb0EEEEDaSU_SV_EUlSU_E_NS1_11comp_targetILNS1_3genE10ELNS1_11target_archE1200ELNS1_3gpuE4ELNS1_3repE0EEENS1_30default_config_static_selectorELNS0_4arch9wavefront6targetE0EEEvT1_
; %bb.0:
	.section	.rodata,"a",@progbits
	.p2align	6, 0x0
	.amdhsa_kernel _ZN7rocprim17ROCPRIM_400000_NS6detail17trampoline_kernelINS0_14default_configENS1_27scan_by_key_config_selectorIssEEZZNS1_16scan_by_key_implILNS1_25lookback_scan_determinismE0ELb1ES3_N6thrust23THRUST_200600_302600_NS6detail15normal_iteratorINS9_10device_ptrIsEEEESE_SE_sNS9_4plusIvEENS9_8equal_toIsEEsEE10hipError_tPvRmT2_T3_T4_T5_mT6_T7_P12ihipStream_tbENKUlT_T0_E_clISt17integral_constantIbLb1EESY_IbLb0EEEEDaSU_SV_EUlSU_E_NS1_11comp_targetILNS1_3genE10ELNS1_11target_archE1200ELNS1_3gpuE4ELNS1_3repE0EEENS1_30default_config_static_selectorELNS0_4arch9wavefront6targetE0EEEvT1_
		.amdhsa_group_segment_fixed_size 0
		.amdhsa_private_segment_fixed_size 0
		.amdhsa_kernarg_size 112
		.amdhsa_user_sgpr_count 2
		.amdhsa_user_sgpr_dispatch_ptr 0
		.amdhsa_user_sgpr_queue_ptr 0
		.amdhsa_user_sgpr_kernarg_segment_ptr 1
		.amdhsa_user_sgpr_dispatch_id 0
		.amdhsa_user_sgpr_kernarg_preload_length 0
		.amdhsa_user_sgpr_kernarg_preload_offset 0
		.amdhsa_user_sgpr_private_segment_size 0
		.amdhsa_wavefront_size32 1
		.amdhsa_uses_dynamic_stack 0
		.amdhsa_enable_private_segment 0
		.amdhsa_system_sgpr_workgroup_id_x 1
		.amdhsa_system_sgpr_workgroup_id_y 0
		.amdhsa_system_sgpr_workgroup_id_z 0
		.amdhsa_system_sgpr_workgroup_info 0
		.amdhsa_system_vgpr_workitem_id 0
		.amdhsa_next_free_vgpr 1
		.amdhsa_next_free_sgpr 1
		.amdhsa_named_barrier_count 0
		.amdhsa_reserve_vcc 0
		.amdhsa_float_round_mode_32 0
		.amdhsa_float_round_mode_16_64 0
		.amdhsa_float_denorm_mode_32 3
		.amdhsa_float_denorm_mode_16_64 3
		.amdhsa_fp16_overflow 0
		.amdhsa_memory_ordered 1
		.amdhsa_forward_progress 1
		.amdhsa_inst_pref_size 0
		.amdhsa_round_robin_scheduling 0
		.amdhsa_exception_fp_ieee_invalid_op 0
		.amdhsa_exception_fp_denorm_src 0
		.amdhsa_exception_fp_ieee_div_zero 0
		.amdhsa_exception_fp_ieee_overflow 0
		.amdhsa_exception_fp_ieee_underflow 0
		.amdhsa_exception_fp_ieee_inexact 0
		.amdhsa_exception_int_div_zero 0
	.end_amdhsa_kernel
	.section	.text._ZN7rocprim17ROCPRIM_400000_NS6detail17trampoline_kernelINS0_14default_configENS1_27scan_by_key_config_selectorIssEEZZNS1_16scan_by_key_implILNS1_25lookback_scan_determinismE0ELb1ES3_N6thrust23THRUST_200600_302600_NS6detail15normal_iteratorINS9_10device_ptrIsEEEESE_SE_sNS9_4plusIvEENS9_8equal_toIsEEsEE10hipError_tPvRmT2_T3_T4_T5_mT6_T7_P12ihipStream_tbENKUlT_T0_E_clISt17integral_constantIbLb1EESY_IbLb0EEEEDaSU_SV_EUlSU_E_NS1_11comp_targetILNS1_3genE10ELNS1_11target_archE1200ELNS1_3gpuE4ELNS1_3repE0EEENS1_30default_config_static_selectorELNS0_4arch9wavefront6targetE0EEEvT1_,"axG",@progbits,_ZN7rocprim17ROCPRIM_400000_NS6detail17trampoline_kernelINS0_14default_configENS1_27scan_by_key_config_selectorIssEEZZNS1_16scan_by_key_implILNS1_25lookback_scan_determinismE0ELb1ES3_N6thrust23THRUST_200600_302600_NS6detail15normal_iteratorINS9_10device_ptrIsEEEESE_SE_sNS9_4plusIvEENS9_8equal_toIsEEsEE10hipError_tPvRmT2_T3_T4_T5_mT6_T7_P12ihipStream_tbENKUlT_T0_E_clISt17integral_constantIbLb1EESY_IbLb0EEEEDaSU_SV_EUlSU_E_NS1_11comp_targetILNS1_3genE10ELNS1_11target_archE1200ELNS1_3gpuE4ELNS1_3repE0EEENS1_30default_config_static_selectorELNS0_4arch9wavefront6targetE0EEEvT1_,comdat
.Lfunc_end665:
	.size	_ZN7rocprim17ROCPRIM_400000_NS6detail17trampoline_kernelINS0_14default_configENS1_27scan_by_key_config_selectorIssEEZZNS1_16scan_by_key_implILNS1_25lookback_scan_determinismE0ELb1ES3_N6thrust23THRUST_200600_302600_NS6detail15normal_iteratorINS9_10device_ptrIsEEEESE_SE_sNS9_4plusIvEENS9_8equal_toIsEEsEE10hipError_tPvRmT2_T3_T4_T5_mT6_T7_P12ihipStream_tbENKUlT_T0_E_clISt17integral_constantIbLb1EESY_IbLb0EEEEDaSU_SV_EUlSU_E_NS1_11comp_targetILNS1_3genE10ELNS1_11target_archE1200ELNS1_3gpuE4ELNS1_3repE0EEENS1_30default_config_static_selectorELNS0_4arch9wavefront6targetE0EEEvT1_, .Lfunc_end665-_ZN7rocprim17ROCPRIM_400000_NS6detail17trampoline_kernelINS0_14default_configENS1_27scan_by_key_config_selectorIssEEZZNS1_16scan_by_key_implILNS1_25lookback_scan_determinismE0ELb1ES3_N6thrust23THRUST_200600_302600_NS6detail15normal_iteratorINS9_10device_ptrIsEEEESE_SE_sNS9_4plusIvEENS9_8equal_toIsEEsEE10hipError_tPvRmT2_T3_T4_T5_mT6_T7_P12ihipStream_tbENKUlT_T0_E_clISt17integral_constantIbLb1EESY_IbLb0EEEEDaSU_SV_EUlSU_E_NS1_11comp_targetILNS1_3genE10ELNS1_11target_archE1200ELNS1_3gpuE4ELNS1_3repE0EEENS1_30default_config_static_selectorELNS0_4arch9wavefront6targetE0EEEvT1_
                                        ; -- End function
	.set _ZN7rocprim17ROCPRIM_400000_NS6detail17trampoline_kernelINS0_14default_configENS1_27scan_by_key_config_selectorIssEEZZNS1_16scan_by_key_implILNS1_25lookback_scan_determinismE0ELb1ES3_N6thrust23THRUST_200600_302600_NS6detail15normal_iteratorINS9_10device_ptrIsEEEESE_SE_sNS9_4plusIvEENS9_8equal_toIsEEsEE10hipError_tPvRmT2_T3_T4_T5_mT6_T7_P12ihipStream_tbENKUlT_T0_E_clISt17integral_constantIbLb1EESY_IbLb0EEEEDaSU_SV_EUlSU_E_NS1_11comp_targetILNS1_3genE10ELNS1_11target_archE1200ELNS1_3gpuE4ELNS1_3repE0EEENS1_30default_config_static_selectorELNS0_4arch9wavefront6targetE0EEEvT1_.num_vgpr, 0
	.set _ZN7rocprim17ROCPRIM_400000_NS6detail17trampoline_kernelINS0_14default_configENS1_27scan_by_key_config_selectorIssEEZZNS1_16scan_by_key_implILNS1_25lookback_scan_determinismE0ELb1ES3_N6thrust23THRUST_200600_302600_NS6detail15normal_iteratorINS9_10device_ptrIsEEEESE_SE_sNS9_4plusIvEENS9_8equal_toIsEEsEE10hipError_tPvRmT2_T3_T4_T5_mT6_T7_P12ihipStream_tbENKUlT_T0_E_clISt17integral_constantIbLb1EESY_IbLb0EEEEDaSU_SV_EUlSU_E_NS1_11comp_targetILNS1_3genE10ELNS1_11target_archE1200ELNS1_3gpuE4ELNS1_3repE0EEENS1_30default_config_static_selectorELNS0_4arch9wavefront6targetE0EEEvT1_.num_agpr, 0
	.set _ZN7rocprim17ROCPRIM_400000_NS6detail17trampoline_kernelINS0_14default_configENS1_27scan_by_key_config_selectorIssEEZZNS1_16scan_by_key_implILNS1_25lookback_scan_determinismE0ELb1ES3_N6thrust23THRUST_200600_302600_NS6detail15normal_iteratorINS9_10device_ptrIsEEEESE_SE_sNS9_4plusIvEENS9_8equal_toIsEEsEE10hipError_tPvRmT2_T3_T4_T5_mT6_T7_P12ihipStream_tbENKUlT_T0_E_clISt17integral_constantIbLb1EESY_IbLb0EEEEDaSU_SV_EUlSU_E_NS1_11comp_targetILNS1_3genE10ELNS1_11target_archE1200ELNS1_3gpuE4ELNS1_3repE0EEENS1_30default_config_static_selectorELNS0_4arch9wavefront6targetE0EEEvT1_.numbered_sgpr, 0
	.set _ZN7rocprim17ROCPRIM_400000_NS6detail17trampoline_kernelINS0_14default_configENS1_27scan_by_key_config_selectorIssEEZZNS1_16scan_by_key_implILNS1_25lookback_scan_determinismE0ELb1ES3_N6thrust23THRUST_200600_302600_NS6detail15normal_iteratorINS9_10device_ptrIsEEEESE_SE_sNS9_4plusIvEENS9_8equal_toIsEEsEE10hipError_tPvRmT2_T3_T4_T5_mT6_T7_P12ihipStream_tbENKUlT_T0_E_clISt17integral_constantIbLb1EESY_IbLb0EEEEDaSU_SV_EUlSU_E_NS1_11comp_targetILNS1_3genE10ELNS1_11target_archE1200ELNS1_3gpuE4ELNS1_3repE0EEENS1_30default_config_static_selectorELNS0_4arch9wavefront6targetE0EEEvT1_.num_named_barrier, 0
	.set _ZN7rocprim17ROCPRIM_400000_NS6detail17trampoline_kernelINS0_14default_configENS1_27scan_by_key_config_selectorIssEEZZNS1_16scan_by_key_implILNS1_25lookback_scan_determinismE0ELb1ES3_N6thrust23THRUST_200600_302600_NS6detail15normal_iteratorINS9_10device_ptrIsEEEESE_SE_sNS9_4plusIvEENS9_8equal_toIsEEsEE10hipError_tPvRmT2_T3_T4_T5_mT6_T7_P12ihipStream_tbENKUlT_T0_E_clISt17integral_constantIbLb1EESY_IbLb0EEEEDaSU_SV_EUlSU_E_NS1_11comp_targetILNS1_3genE10ELNS1_11target_archE1200ELNS1_3gpuE4ELNS1_3repE0EEENS1_30default_config_static_selectorELNS0_4arch9wavefront6targetE0EEEvT1_.private_seg_size, 0
	.set _ZN7rocprim17ROCPRIM_400000_NS6detail17trampoline_kernelINS0_14default_configENS1_27scan_by_key_config_selectorIssEEZZNS1_16scan_by_key_implILNS1_25lookback_scan_determinismE0ELb1ES3_N6thrust23THRUST_200600_302600_NS6detail15normal_iteratorINS9_10device_ptrIsEEEESE_SE_sNS9_4plusIvEENS9_8equal_toIsEEsEE10hipError_tPvRmT2_T3_T4_T5_mT6_T7_P12ihipStream_tbENKUlT_T0_E_clISt17integral_constantIbLb1EESY_IbLb0EEEEDaSU_SV_EUlSU_E_NS1_11comp_targetILNS1_3genE10ELNS1_11target_archE1200ELNS1_3gpuE4ELNS1_3repE0EEENS1_30default_config_static_selectorELNS0_4arch9wavefront6targetE0EEEvT1_.uses_vcc, 0
	.set _ZN7rocprim17ROCPRIM_400000_NS6detail17trampoline_kernelINS0_14default_configENS1_27scan_by_key_config_selectorIssEEZZNS1_16scan_by_key_implILNS1_25lookback_scan_determinismE0ELb1ES3_N6thrust23THRUST_200600_302600_NS6detail15normal_iteratorINS9_10device_ptrIsEEEESE_SE_sNS9_4plusIvEENS9_8equal_toIsEEsEE10hipError_tPvRmT2_T3_T4_T5_mT6_T7_P12ihipStream_tbENKUlT_T0_E_clISt17integral_constantIbLb1EESY_IbLb0EEEEDaSU_SV_EUlSU_E_NS1_11comp_targetILNS1_3genE10ELNS1_11target_archE1200ELNS1_3gpuE4ELNS1_3repE0EEENS1_30default_config_static_selectorELNS0_4arch9wavefront6targetE0EEEvT1_.uses_flat_scratch, 0
	.set _ZN7rocprim17ROCPRIM_400000_NS6detail17trampoline_kernelINS0_14default_configENS1_27scan_by_key_config_selectorIssEEZZNS1_16scan_by_key_implILNS1_25lookback_scan_determinismE0ELb1ES3_N6thrust23THRUST_200600_302600_NS6detail15normal_iteratorINS9_10device_ptrIsEEEESE_SE_sNS9_4plusIvEENS9_8equal_toIsEEsEE10hipError_tPvRmT2_T3_T4_T5_mT6_T7_P12ihipStream_tbENKUlT_T0_E_clISt17integral_constantIbLb1EESY_IbLb0EEEEDaSU_SV_EUlSU_E_NS1_11comp_targetILNS1_3genE10ELNS1_11target_archE1200ELNS1_3gpuE4ELNS1_3repE0EEENS1_30default_config_static_selectorELNS0_4arch9wavefront6targetE0EEEvT1_.has_dyn_sized_stack, 0
	.set _ZN7rocprim17ROCPRIM_400000_NS6detail17trampoline_kernelINS0_14default_configENS1_27scan_by_key_config_selectorIssEEZZNS1_16scan_by_key_implILNS1_25lookback_scan_determinismE0ELb1ES3_N6thrust23THRUST_200600_302600_NS6detail15normal_iteratorINS9_10device_ptrIsEEEESE_SE_sNS9_4plusIvEENS9_8equal_toIsEEsEE10hipError_tPvRmT2_T3_T4_T5_mT6_T7_P12ihipStream_tbENKUlT_T0_E_clISt17integral_constantIbLb1EESY_IbLb0EEEEDaSU_SV_EUlSU_E_NS1_11comp_targetILNS1_3genE10ELNS1_11target_archE1200ELNS1_3gpuE4ELNS1_3repE0EEENS1_30default_config_static_selectorELNS0_4arch9wavefront6targetE0EEEvT1_.has_recursion, 0
	.set _ZN7rocprim17ROCPRIM_400000_NS6detail17trampoline_kernelINS0_14default_configENS1_27scan_by_key_config_selectorIssEEZZNS1_16scan_by_key_implILNS1_25lookback_scan_determinismE0ELb1ES3_N6thrust23THRUST_200600_302600_NS6detail15normal_iteratorINS9_10device_ptrIsEEEESE_SE_sNS9_4plusIvEENS9_8equal_toIsEEsEE10hipError_tPvRmT2_T3_T4_T5_mT6_T7_P12ihipStream_tbENKUlT_T0_E_clISt17integral_constantIbLb1EESY_IbLb0EEEEDaSU_SV_EUlSU_E_NS1_11comp_targetILNS1_3genE10ELNS1_11target_archE1200ELNS1_3gpuE4ELNS1_3repE0EEENS1_30default_config_static_selectorELNS0_4arch9wavefront6targetE0EEEvT1_.has_indirect_call, 0
	.section	.AMDGPU.csdata,"",@progbits
; Kernel info:
; codeLenInByte = 0
; TotalNumSgprs: 0
; NumVgprs: 0
; ScratchSize: 0
; MemoryBound: 0
; FloatMode: 240
; IeeeMode: 1
; LDSByteSize: 0 bytes/workgroup (compile time only)
; SGPRBlocks: 0
; VGPRBlocks: 0
; NumSGPRsForWavesPerEU: 1
; NumVGPRsForWavesPerEU: 1
; NamedBarCnt: 0
; Occupancy: 16
; WaveLimiterHint : 0
; COMPUTE_PGM_RSRC2:SCRATCH_EN: 0
; COMPUTE_PGM_RSRC2:USER_SGPR: 2
; COMPUTE_PGM_RSRC2:TRAP_HANDLER: 0
; COMPUTE_PGM_RSRC2:TGID_X_EN: 1
; COMPUTE_PGM_RSRC2:TGID_Y_EN: 0
; COMPUTE_PGM_RSRC2:TGID_Z_EN: 0
; COMPUTE_PGM_RSRC2:TIDIG_COMP_CNT: 0
	.section	.text._ZN7rocprim17ROCPRIM_400000_NS6detail17trampoline_kernelINS0_14default_configENS1_27scan_by_key_config_selectorIssEEZZNS1_16scan_by_key_implILNS1_25lookback_scan_determinismE0ELb1ES3_N6thrust23THRUST_200600_302600_NS6detail15normal_iteratorINS9_10device_ptrIsEEEESE_SE_sNS9_4plusIvEENS9_8equal_toIsEEsEE10hipError_tPvRmT2_T3_T4_T5_mT6_T7_P12ihipStream_tbENKUlT_T0_E_clISt17integral_constantIbLb1EESY_IbLb0EEEEDaSU_SV_EUlSU_E_NS1_11comp_targetILNS1_3genE9ELNS1_11target_archE1100ELNS1_3gpuE3ELNS1_3repE0EEENS1_30default_config_static_selectorELNS0_4arch9wavefront6targetE0EEEvT1_,"axG",@progbits,_ZN7rocprim17ROCPRIM_400000_NS6detail17trampoline_kernelINS0_14default_configENS1_27scan_by_key_config_selectorIssEEZZNS1_16scan_by_key_implILNS1_25lookback_scan_determinismE0ELb1ES3_N6thrust23THRUST_200600_302600_NS6detail15normal_iteratorINS9_10device_ptrIsEEEESE_SE_sNS9_4plusIvEENS9_8equal_toIsEEsEE10hipError_tPvRmT2_T3_T4_T5_mT6_T7_P12ihipStream_tbENKUlT_T0_E_clISt17integral_constantIbLb1EESY_IbLb0EEEEDaSU_SV_EUlSU_E_NS1_11comp_targetILNS1_3genE9ELNS1_11target_archE1100ELNS1_3gpuE3ELNS1_3repE0EEENS1_30default_config_static_selectorELNS0_4arch9wavefront6targetE0EEEvT1_,comdat
	.protected	_ZN7rocprim17ROCPRIM_400000_NS6detail17trampoline_kernelINS0_14default_configENS1_27scan_by_key_config_selectorIssEEZZNS1_16scan_by_key_implILNS1_25lookback_scan_determinismE0ELb1ES3_N6thrust23THRUST_200600_302600_NS6detail15normal_iteratorINS9_10device_ptrIsEEEESE_SE_sNS9_4plusIvEENS9_8equal_toIsEEsEE10hipError_tPvRmT2_T3_T4_T5_mT6_T7_P12ihipStream_tbENKUlT_T0_E_clISt17integral_constantIbLb1EESY_IbLb0EEEEDaSU_SV_EUlSU_E_NS1_11comp_targetILNS1_3genE9ELNS1_11target_archE1100ELNS1_3gpuE3ELNS1_3repE0EEENS1_30default_config_static_selectorELNS0_4arch9wavefront6targetE0EEEvT1_ ; -- Begin function _ZN7rocprim17ROCPRIM_400000_NS6detail17trampoline_kernelINS0_14default_configENS1_27scan_by_key_config_selectorIssEEZZNS1_16scan_by_key_implILNS1_25lookback_scan_determinismE0ELb1ES3_N6thrust23THRUST_200600_302600_NS6detail15normal_iteratorINS9_10device_ptrIsEEEESE_SE_sNS9_4plusIvEENS9_8equal_toIsEEsEE10hipError_tPvRmT2_T3_T4_T5_mT6_T7_P12ihipStream_tbENKUlT_T0_E_clISt17integral_constantIbLb1EESY_IbLb0EEEEDaSU_SV_EUlSU_E_NS1_11comp_targetILNS1_3genE9ELNS1_11target_archE1100ELNS1_3gpuE3ELNS1_3repE0EEENS1_30default_config_static_selectorELNS0_4arch9wavefront6targetE0EEEvT1_
	.globl	_ZN7rocprim17ROCPRIM_400000_NS6detail17trampoline_kernelINS0_14default_configENS1_27scan_by_key_config_selectorIssEEZZNS1_16scan_by_key_implILNS1_25lookback_scan_determinismE0ELb1ES3_N6thrust23THRUST_200600_302600_NS6detail15normal_iteratorINS9_10device_ptrIsEEEESE_SE_sNS9_4plusIvEENS9_8equal_toIsEEsEE10hipError_tPvRmT2_T3_T4_T5_mT6_T7_P12ihipStream_tbENKUlT_T0_E_clISt17integral_constantIbLb1EESY_IbLb0EEEEDaSU_SV_EUlSU_E_NS1_11comp_targetILNS1_3genE9ELNS1_11target_archE1100ELNS1_3gpuE3ELNS1_3repE0EEENS1_30default_config_static_selectorELNS0_4arch9wavefront6targetE0EEEvT1_
	.p2align	8
	.type	_ZN7rocprim17ROCPRIM_400000_NS6detail17trampoline_kernelINS0_14default_configENS1_27scan_by_key_config_selectorIssEEZZNS1_16scan_by_key_implILNS1_25lookback_scan_determinismE0ELb1ES3_N6thrust23THRUST_200600_302600_NS6detail15normal_iteratorINS9_10device_ptrIsEEEESE_SE_sNS9_4plusIvEENS9_8equal_toIsEEsEE10hipError_tPvRmT2_T3_T4_T5_mT6_T7_P12ihipStream_tbENKUlT_T0_E_clISt17integral_constantIbLb1EESY_IbLb0EEEEDaSU_SV_EUlSU_E_NS1_11comp_targetILNS1_3genE9ELNS1_11target_archE1100ELNS1_3gpuE3ELNS1_3repE0EEENS1_30default_config_static_selectorELNS0_4arch9wavefront6targetE0EEEvT1_,@function
_ZN7rocprim17ROCPRIM_400000_NS6detail17trampoline_kernelINS0_14default_configENS1_27scan_by_key_config_selectorIssEEZZNS1_16scan_by_key_implILNS1_25lookback_scan_determinismE0ELb1ES3_N6thrust23THRUST_200600_302600_NS6detail15normal_iteratorINS9_10device_ptrIsEEEESE_SE_sNS9_4plusIvEENS9_8equal_toIsEEsEE10hipError_tPvRmT2_T3_T4_T5_mT6_T7_P12ihipStream_tbENKUlT_T0_E_clISt17integral_constantIbLb1EESY_IbLb0EEEEDaSU_SV_EUlSU_E_NS1_11comp_targetILNS1_3genE9ELNS1_11target_archE1100ELNS1_3gpuE3ELNS1_3repE0EEENS1_30default_config_static_selectorELNS0_4arch9wavefront6targetE0EEEvT1_: ; @_ZN7rocprim17ROCPRIM_400000_NS6detail17trampoline_kernelINS0_14default_configENS1_27scan_by_key_config_selectorIssEEZZNS1_16scan_by_key_implILNS1_25lookback_scan_determinismE0ELb1ES3_N6thrust23THRUST_200600_302600_NS6detail15normal_iteratorINS9_10device_ptrIsEEEESE_SE_sNS9_4plusIvEENS9_8equal_toIsEEsEE10hipError_tPvRmT2_T3_T4_T5_mT6_T7_P12ihipStream_tbENKUlT_T0_E_clISt17integral_constantIbLb1EESY_IbLb0EEEEDaSU_SV_EUlSU_E_NS1_11comp_targetILNS1_3genE9ELNS1_11target_archE1100ELNS1_3gpuE3ELNS1_3repE0EEENS1_30default_config_static_selectorELNS0_4arch9wavefront6targetE0EEEvT1_
; %bb.0:
	.section	.rodata,"a",@progbits
	.p2align	6, 0x0
	.amdhsa_kernel _ZN7rocprim17ROCPRIM_400000_NS6detail17trampoline_kernelINS0_14default_configENS1_27scan_by_key_config_selectorIssEEZZNS1_16scan_by_key_implILNS1_25lookback_scan_determinismE0ELb1ES3_N6thrust23THRUST_200600_302600_NS6detail15normal_iteratorINS9_10device_ptrIsEEEESE_SE_sNS9_4plusIvEENS9_8equal_toIsEEsEE10hipError_tPvRmT2_T3_T4_T5_mT6_T7_P12ihipStream_tbENKUlT_T0_E_clISt17integral_constantIbLb1EESY_IbLb0EEEEDaSU_SV_EUlSU_E_NS1_11comp_targetILNS1_3genE9ELNS1_11target_archE1100ELNS1_3gpuE3ELNS1_3repE0EEENS1_30default_config_static_selectorELNS0_4arch9wavefront6targetE0EEEvT1_
		.amdhsa_group_segment_fixed_size 0
		.amdhsa_private_segment_fixed_size 0
		.amdhsa_kernarg_size 112
		.amdhsa_user_sgpr_count 2
		.amdhsa_user_sgpr_dispatch_ptr 0
		.amdhsa_user_sgpr_queue_ptr 0
		.amdhsa_user_sgpr_kernarg_segment_ptr 1
		.amdhsa_user_sgpr_dispatch_id 0
		.amdhsa_user_sgpr_kernarg_preload_length 0
		.amdhsa_user_sgpr_kernarg_preload_offset 0
		.amdhsa_user_sgpr_private_segment_size 0
		.amdhsa_wavefront_size32 1
		.amdhsa_uses_dynamic_stack 0
		.amdhsa_enable_private_segment 0
		.amdhsa_system_sgpr_workgroup_id_x 1
		.amdhsa_system_sgpr_workgroup_id_y 0
		.amdhsa_system_sgpr_workgroup_id_z 0
		.amdhsa_system_sgpr_workgroup_info 0
		.amdhsa_system_vgpr_workitem_id 0
		.amdhsa_next_free_vgpr 1
		.amdhsa_next_free_sgpr 1
		.amdhsa_named_barrier_count 0
		.amdhsa_reserve_vcc 0
		.amdhsa_float_round_mode_32 0
		.amdhsa_float_round_mode_16_64 0
		.amdhsa_float_denorm_mode_32 3
		.amdhsa_float_denorm_mode_16_64 3
		.amdhsa_fp16_overflow 0
		.amdhsa_memory_ordered 1
		.amdhsa_forward_progress 1
		.amdhsa_inst_pref_size 0
		.amdhsa_round_robin_scheduling 0
		.amdhsa_exception_fp_ieee_invalid_op 0
		.amdhsa_exception_fp_denorm_src 0
		.amdhsa_exception_fp_ieee_div_zero 0
		.amdhsa_exception_fp_ieee_overflow 0
		.amdhsa_exception_fp_ieee_underflow 0
		.amdhsa_exception_fp_ieee_inexact 0
		.amdhsa_exception_int_div_zero 0
	.end_amdhsa_kernel
	.section	.text._ZN7rocprim17ROCPRIM_400000_NS6detail17trampoline_kernelINS0_14default_configENS1_27scan_by_key_config_selectorIssEEZZNS1_16scan_by_key_implILNS1_25lookback_scan_determinismE0ELb1ES3_N6thrust23THRUST_200600_302600_NS6detail15normal_iteratorINS9_10device_ptrIsEEEESE_SE_sNS9_4plusIvEENS9_8equal_toIsEEsEE10hipError_tPvRmT2_T3_T4_T5_mT6_T7_P12ihipStream_tbENKUlT_T0_E_clISt17integral_constantIbLb1EESY_IbLb0EEEEDaSU_SV_EUlSU_E_NS1_11comp_targetILNS1_3genE9ELNS1_11target_archE1100ELNS1_3gpuE3ELNS1_3repE0EEENS1_30default_config_static_selectorELNS0_4arch9wavefront6targetE0EEEvT1_,"axG",@progbits,_ZN7rocprim17ROCPRIM_400000_NS6detail17trampoline_kernelINS0_14default_configENS1_27scan_by_key_config_selectorIssEEZZNS1_16scan_by_key_implILNS1_25lookback_scan_determinismE0ELb1ES3_N6thrust23THRUST_200600_302600_NS6detail15normal_iteratorINS9_10device_ptrIsEEEESE_SE_sNS9_4plusIvEENS9_8equal_toIsEEsEE10hipError_tPvRmT2_T3_T4_T5_mT6_T7_P12ihipStream_tbENKUlT_T0_E_clISt17integral_constantIbLb1EESY_IbLb0EEEEDaSU_SV_EUlSU_E_NS1_11comp_targetILNS1_3genE9ELNS1_11target_archE1100ELNS1_3gpuE3ELNS1_3repE0EEENS1_30default_config_static_selectorELNS0_4arch9wavefront6targetE0EEEvT1_,comdat
.Lfunc_end666:
	.size	_ZN7rocprim17ROCPRIM_400000_NS6detail17trampoline_kernelINS0_14default_configENS1_27scan_by_key_config_selectorIssEEZZNS1_16scan_by_key_implILNS1_25lookback_scan_determinismE0ELb1ES3_N6thrust23THRUST_200600_302600_NS6detail15normal_iteratorINS9_10device_ptrIsEEEESE_SE_sNS9_4plusIvEENS9_8equal_toIsEEsEE10hipError_tPvRmT2_T3_T4_T5_mT6_T7_P12ihipStream_tbENKUlT_T0_E_clISt17integral_constantIbLb1EESY_IbLb0EEEEDaSU_SV_EUlSU_E_NS1_11comp_targetILNS1_3genE9ELNS1_11target_archE1100ELNS1_3gpuE3ELNS1_3repE0EEENS1_30default_config_static_selectorELNS0_4arch9wavefront6targetE0EEEvT1_, .Lfunc_end666-_ZN7rocprim17ROCPRIM_400000_NS6detail17trampoline_kernelINS0_14default_configENS1_27scan_by_key_config_selectorIssEEZZNS1_16scan_by_key_implILNS1_25lookback_scan_determinismE0ELb1ES3_N6thrust23THRUST_200600_302600_NS6detail15normal_iteratorINS9_10device_ptrIsEEEESE_SE_sNS9_4plusIvEENS9_8equal_toIsEEsEE10hipError_tPvRmT2_T3_T4_T5_mT6_T7_P12ihipStream_tbENKUlT_T0_E_clISt17integral_constantIbLb1EESY_IbLb0EEEEDaSU_SV_EUlSU_E_NS1_11comp_targetILNS1_3genE9ELNS1_11target_archE1100ELNS1_3gpuE3ELNS1_3repE0EEENS1_30default_config_static_selectorELNS0_4arch9wavefront6targetE0EEEvT1_
                                        ; -- End function
	.set _ZN7rocprim17ROCPRIM_400000_NS6detail17trampoline_kernelINS0_14default_configENS1_27scan_by_key_config_selectorIssEEZZNS1_16scan_by_key_implILNS1_25lookback_scan_determinismE0ELb1ES3_N6thrust23THRUST_200600_302600_NS6detail15normal_iteratorINS9_10device_ptrIsEEEESE_SE_sNS9_4plusIvEENS9_8equal_toIsEEsEE10hipError_tPvRmT2_T3_T4_T5_mT6_T7_P12ihipStream_tbENKUlT_T0_E_clISt17integral_constantIbLb1EESY_IbLb0EEEEDaSU_SV_EUlSU_E_NS1_11comp_targetILNS1_3genE9ELNS1_11target_archE1100ELNS1_3gpuE3ELNS1_3repE0EEENS1_30default_config_static_selectorELNS0_4arch9wavefront6targetE0EEEvT1_.num_vgpr, 0
	.set _ZN7rocprim17ROCPRIM_400000_NS6detail17trampoline_kernelINS0_14default_configENS1_27scan_by_key_config_selectorIssEEZZNS1_16scan_by_key_implILNS1_25lookback_scan_determinismE0ELb1ES3_N6thrust23THRUST_200600_302600_NS6detail15normal_iteratorINS9_10device_ptrIsEEEESE_SE_sNS9_4plusIvEENS9_8equal_toIsEEsEE10hipError_tPvRmT2_T3_T4_T5_mT6_T7_P12ihipStream_tbENKUlT_T0_E_clISt17integral_constantIbLb1EESY_IbLb0EEEEDaSU_SV_EUlSU_E_NS1_11comp_targetILNS1_3genE9ELNS1_11target_archE1100ELNS1_3gpuE3ELNS1_3repE0EEENS1_30default_config_static_selectorELNS0_4arch9wavefront6targetE0EEEvT1_.num_agpr, 0
	.set _ZN7rocprim17ROCPRIM_400000_NS6detail17trampoline_kernelINS0_14default_configENS1_27scan_by_key_config_selectorIssEEZZNS1_16scan_by_key_implILNS1_25lookback_scan_determinismE0ELb1ES3_N6thrust23THRUST_200600_302600_NS6detail15normal_iteratorINS9_10device_ptrIsEEEESE_SE_sNS9_4plusIvEENS9_8equal_toIsEEsEE10hipError_tPvRmT2_T3_T4_T5_mT6_T7_P12ihipStream_tbENKUlT_T0_E_clISt17integral_constantIbLb1EESY_IbLb0EEEEDaSU_SV_EUlSU_E_NS1_11comp_targetILNS1_3genE9ELNS1_11target_archE1100ELNS1_3gpuE3ELNS1_3repE0EEENS1_30default_config_static_selectorELNS0_4arch9wavefront6targetE0EEEvT1_.numbered_sgpr, 0
	.set _ZN7rocprim17ROCPRIM_400000_NS6detail17trampoline_kernelINS0_14default_configENS1_27scan_by_key_config_selectorIssEEZZNS1_16scan_by_key_implILNS1_25lookback_scan_determinismE0ELb1ES3_N6thrust23THRUST_200600_302600_NS6detail15normal_iteratorINS9_10device_ptrIsEEEESE_SE_sNS9_4plusIvEENS9_8equal_toIsEEsEE10hipError_tPvRmT2_T3_T4_T5_mT6_T7_P12ihipStream_tbENKUlT_T0_E_clISt17integral_constantIbLb1EESY_IbLb0EEEEDaSU_SV_EUlSU_E_NS1_11comp_targetILNS1_3genE9ELNS1_11target_archE1100ELNS1_3gpuE3ELNS1_3repE0EEENS1_30default_config_static_selectorELNS0_4arch9wavefront6targetE0EEEvT1_.num_named_barrier, 0
	.set _ZN7rocprim17ROCPRIM_400000_NS6detail17trampoline_kernelINS0_14default_configENS1_27scan_by_key_config_selectorIssEEZZNS1_16scan_by_key_implILNS1_25lookback_scan_determinismE0ELb1ES3_N6thrust23THRUST_200600_302600_NS6detail15normal_iteratorINS9_10device_ptrIsEEEESE_SE_sNS9_4plusIvEENS9_8equal_toIsEEsEE10hipError_tPvRmT2_T3_T4_T5_mT6_T7_P12ihipStream_tbENKUlT_T0_E_clISt17integral_constantIbLb1EESY_IbLb0EEEEDaSU_SV_EUlSU_E_NS1_11comp_targetILNS1_3genE9ELNS1_11target_archE1100ELNS1_3gpuE3ELNS1_3repE0EEENS1_30default_config_static_selectorELNS0_4arch9wavefront6targetE0EEEvT1_.private_seg_size, 0
	.set _ZN7rocprim17ROCPRIM_400000_NS6detail17trampoline_kernelINS0_14default_configENS1_27scan_by_key_config_selectorIssEEZZNS1_16scan_by_key_implILNS1_25lookback_scan_determinismE0ELb1ES3_N6thrust23THRUST_200600_302600_NS6detail15normal_iteratorINS9_10device_ptrIsEEEESE_SE_sNS9_4plusIvEENS9_8equal_toIsEEsEE10hipError_tPvRmT2_T3_T4_T5_mT6_T7_P12ihipStream_tbENKUlT_T0_E_clISt17integral_constantIbLb1EESY_IbLb0EEEEDaSU_SV_EUlSU_E_NS1_11comp_targetILNS1_3genE9ELNS1_11target_archE1100ELNS1_3gpuE3ELNS1_3repE0EEENS1_30default_config_static_selectorELNS0_4arch9wavefront6targetE0EEEvT1_.uses_vcc, 0
	.set _ZN7rocprim17ROCPRIM_400000_NS6detail17trampoline_kernelINS0_14default_configENS1_27scan_by_key_config_selectorIssEEZZNS1_16scan_by_key_implILNS1_25lookback_scan_determinismE0ELb1ES3_N6thrust23THRUST_200600_302600_NS6detail15normal_iteratorINS9_10device_ptrIsEEEESE_SE_sNS9_4plusIvEENS9_8equal_toIsEEsEE10hipError_tPvRmT2_T3_T4_T5_mT6_T7_P12ihipStream_tbENKUlT_T0_E_clISt17integral_constantIbLb1EESY_IbLb0EEEEDaSU_SV_EUlSU_E_NS1_11comp_targetILNS1_3genE9ELNS1_11target_archE1100ELNS1_3gpuE3ELNS1_3repE0EEENS1_30default_config_static_selectorELNS0_4arch9wavefront6targetE0EEEvT1_.uses_flat_scratch, 0
	.set _ZN7rocprim17ROCPRIM_400000_NS6detail17trampoline_kernelINS0_14default_configENS1_27scan_by_key_config_selectorIssEEZZNS1_16scan_by_key_implILNS1_25lookback_scan_determinismE0ELb1ES3_N6thrust23THRUST_200600_302600_NS6detail15normal_iteratorINS9_10device_ptrIsEEEESE_SE_sNS9_4plusIvEENS9_8equal_toIsEEsEE10hipError_tPvRmT2_T3_T4_T5_mT6_T7_P12ihipStream_tbENKUlT_T0_E_clISt17integral_constantIbLb1EESY_IbLb0EEEEDaSU_SV_EUlSU_E_NS1_11comp_targetILNS1_3genE9ELNS1_11target_archE1100ELNS1_3gpuE3ELNS1_3repE0EEENS1_30default_config_static_selectorELNS0_4arch9wavefront6targetE0EEEvT1_.has_dyn_sized_stack, 0
	.set _ZN7rocprim17ROCPRIM_400000_NS6detail17trampoline_kernelINS0_14default_configENS1_27scan_by_key_config_selectorIssEEZZNS1_16scan_by_key_implILNS1_25lookback_scan_determinismE0ELb1ES3_N6thrust23THRUST_200600_302600_NS6detail15normal_iteratorINS9_10device_ptrIsEEEESE_SE_sNS9_4plusIvEENS9_8equal_toIsEEsEE10hipError_tPvRmT2_T3_T4_T5_mT6_T7_P12ihipStream_tbENKUlT_T0_E_clISt17integral_constantIbLb1EESY_IbLb0EEEEDaSU_SV_EUlSU_E_NS1_11comp_targetILNS1_3genE9ELNS1_11target_archE1100ELNS1_3gpuE3ELNS1_3repE0EEENS1_30default_config_static_selectorELNS0_4arch9wavefront6targetE0EEEvT1_.has_recursion, 0
	.set _ZN7rocprim17ROCPRIM_400000_NS6detail17trampoline_kernelINS0_14default_configENS1_27scan_by_key_config_selectorIssEEZZNS1_16scan_by_key_implILNS1_25lookback_scan_determinismE0ELb1ES3_N6thrust23THRUST_200600_302600_NS6detail15normal_iteratorINS9_10device_ptrIsEEEESE_SE_sNS9_4plusIvEENS9_8equal_toIsEEsEE10hipError_tPvRmT2_T3_T4_T5_mT6_T7_P12ihipStream_tbENKUlT_T0_E_clISt17integral_constantIbLb1EESY_IbLb0EEEEDaSU_SV_EUlSU_E_NS1_11comp_targetILNS1_3genE9ELNS1_11target_archE1100ELNS1_3gpuE3ELNS1_3repE0EEENS1_30default_config_static_selectorELNS0_4arch9wavefront6targetE0EEEvT1_.has_indirect_call, 0
	.section	.AMDGPU.csdata,"",@progbits
; Kernel info:
; codeLenInByte = 0
; TotalNumSgprs: 0
; NumVgprs: 0
; ScratchSize: 0
; MemoryBound: 0
; FloatMode: 240
; IeeeMode: 1
; LDSByteSize: 0 bytes/workgroup (compile time only)
; SGPRBlocks: 0
; VGPRBlocks: 0
; NumSGPRsForWavesPerEU: 1
; NumVGPRsForWavesPerEU: 1
; NamedBarCnt: 0
; Occupancy: 16
; WaveLimiterHint : 0
; COMPUTE_PGM_RSRC2:SCRATCH_EN: 0
; COMPUTE_PGM_RSRC2:USER_SGPR: 2
; COMPUTE_PGM_RSRC2:TRAP_HANDLER: 0
; COMPUTE_PGM_RSRC2:TGID_X_EN: 1
; COMPUTE_PGM_RSRC2:TGID_Y_EN: 0
; COMPUTE_PGM_RSRC2:TGID_Z_EN: 0
; COMPUTE_PGM_RSRC2:TIDIG_COMP_CNT: 0
	.section	.text._ZN7rocprim17ROCPRIM_400000_NS6detail17trampoline_kernelINS0_14default_configENS1_27scan_by_key_config_selectorIssEEZZNS1_16scan_by_key_implILNS1_25lookback_scan_determinismE0ELb1ES3_N6thrust23THRUST_200600_302600_NS6detail15normal_iteratorINS9_10device_ptrIsEEEESE_SE_sNS9_4plusIvEENS9_8equal_toIsEEsEE10hipError_tPvRmT2_T3_T4_T5_mT6_T7_P12ihipStream_tbENKUlT_T0_E_clISt17integral_constantIbLb1EESY_IbLb0EEEEDaSU_SV_EUlSU_E_NS1_11comp_targetILNS1_3genE8ELNS1_11target_archE1030ELNS1_3gpuE2ELNS1_3repE0EEENS1_30default_config_static_selectorELNS0_4arch9wavefront6targetE0EEEvT1_,"axG",@progbits,_ZN7rocprim17ROCPRIM_400000_NS6detail17trampoline_kernelINS0_14default_configENS1_27scan_by_key_config_selectorIssEEZZNS1_16scan_by_key_implILNS1_25lookback_scan_determinismE0ELb1ES3_N6thrust23THRUST_200600_302600_NS6detail15normal_iteratorINS9_10device_ptrIsEEEESE_SE_sNS9_4plusIvEENS9_8equal_toIsEEsEE10hipError_tPvRmT2_T3_T4_T5_mT6_T7_P12ihipStream_tbENKUlT_T0_E_clISt17integral_constantIbLb1EESY_IbLb0EEEEDaSU_SV_EUlSU_E_NS1_11comp_targetILNS1_3genE8ELNS1_11target_archE1030ELNS1_3gpuE2ELNS1_3repE0EEENS1_30default_config_static_selectorELNS0_4arch9wavefront6targetE0EEEvT1_,comdat
	.protected	_ZN7rocprim17ROCPRIM_400000_NS6detail17trampoline_kernelINS0_14default_configENS1_27scan_by_key_config_selectorIssEEZZNS1_16scan_by_key_implILNS1_25lookback_scan_determinismE0ELb1ES3_N6thrust23THRUST_200600_302600_NS6detail15normal_iteratorINS9_10device_ptrIsEEEESE_SE_sNS9_4plusIvEENS9_8equal_toIsEEsEE10hipError_tPvRmT2_T3_T4_T5_mT6_T7_P12ihipStream_tbENKUlT_T0_E_clISt17integral_constantIbLb1EESY_IbLb0EEEEDaSU_SV_EUlSU_E_NS1_11comp_targetILNS1_3genE8ELNS1_11target_archE1030ELNS1_3gpuE2ELNS1_3repE0EEENS1_30default_config_static_selectorELNS0_4arch9wavefront6targetE0EEEvT1_ ; -- Begin function _ZN7rocprim17ROCPRIM_400000_NS6detail17trampoline_kernelINS0_14default_configENS1_27scan_by_key_config_selectorIssEEZZNS1_16scan_by_key_implILNS1_25lookback_scan_determinismE0ELb1ES3_N6thrust23THRUST_200600_302600_NS6detail15normal_iteratorINS9_10device_ptrIsEEEESE_SE_sNS9_4plusIvEENS9_8equal_toIsEEsEE10hipError_tPvRmT2_T3_T4_T5_mT6_T7_P12ihipStream_tbENKUlT_T0_E_clISt17integral_constantIbLb1EESY_IbLb0EEEEDaSU_SV_EUlSU_E_NS1_11comp_targetILNS1_3genE8ELNS1_11target_archE1030ELNS1_3gpuE2ELNS1_3repE0EEENS1_30default_config_static_selectorELNS0_4arch9wavefront6targetE0EEEvT1_
	.globl	_ZN7rocprim17ROCPRIM_400000_NS6detail17trampoline_kernelINS0_14default_configENS1_27scan_by_key_config_selectorIssEEZZNS1_16scan_by_key_implILNS1_25lookback_scan_determinismE0ELb1ES3_N6thrust23THRUST_200600_302600_NS6detail15normal_iteratorINS9_10device_ptrIsEEEESE_SE_sNS9_4plusIvEENS9_8equal_toIsEEsEE10hipError_tPvRmT2_T3_T4_T5_mT6_T7_P12ihipStream_tbENKUlT_T0_E_clISt17integral_constantIbLb1EESY_IbLb0EEEEDaSU_SV_EUlSU_E_NS1_11comp_targetILNS1_3genE8ELNS1_11target_archE1030ELNS1_3gpuE2ELNS1_3repE0EEENS1_30default_config_static_selectorELNS0_4arch9wavefront6targetE0EEEvT1_
	.p2align	8
	.type	_ZN7rocprim17ROCPRIM_400000_NS6detail17trampoline_kernelINS0_14default_configENS1_27scan_by_key_config_selectorIssEEZZNS1_16scan_by_key_implILNS1_25lookback_scan_determinismE0ELb1ES3_N6thrust23THRUST_200600_302600_NS6detail15normal_iteratorINS9_10device_ptrIsEEEESE_SE_sNS9_4plusIvEENS9_8equal_toIsEEsEE10hipError_tPvRmT2_T3_T4_T5_mT6_T7_P12ihipStream_tbENKUlT_T0_E_clISt17integral_constantIbLb1EESY_IbLb0EEEEDaSU_SV_EUlSU_E_NS1_11comp_targetILNS1_3genE8ELNS1_11target_archE1030ELNS1_3gpuE2ELNS1_3repE0EEENS1_30default_config_static_selectorELNS0_4arch9wavefront6targetE0EEEvT1_,@function
_ZN7rocprim17ROCPRIM_400000_NS6detail17trampoline_kernelINS0_14default_configENS1_27scan_by_key_config_selectorIssEEZZNS1_16scan_by_key_implILNS1_25lookback_scan_determinismE0ELb1ES3_N6thrust23THRUST_200600_302600_NS6detail15normal_iteratorINS9_10device_ptrIsEEEESE_SE_sNS9_4plusIvEENS9_8equal_toIsEEsEE10hipError_tPvRmT2_T3_T4_T5_mT6_T7_P12ihipStream_tbENKUlT_T0_E_clISt17integral_constantIbLb1EESY_IbLb0EEEEDaSU_SV_EUlSU_E_NS1_11comp_targetILNS1_3genE8ELNS1_11target_archE1030ELNS1_3gpuE2ELNS1_3repE0EEENS1_30default_config_static_selectorELNS0_4arch9wavefront6targetE0EEEvT1_: ; @_ZN7rocprim17ROCPRIM_400000_NS6detail17trampoline_kernelINS0_14default_configENS1_27scan_by_key_config_selectorIssEEZZNS1_16scan_by_key_implILNS1_25lookback_scan_determinismE0ELb1ES3_N6thrust23THRUST_200600_302600_NS6detail15normal_iteratorINS9_10device_ptrIsEEEESE_SE_sNS9_4plusIvEENS9_8equal_toIsEEsEE10hipError_tPvRmT2_T3_T4_T5_mT6_T7_P12ihipStream_tbENKUlT_T0_E_clISt17integral_constantIbLb1EESY_IbLb0EEEEDaSU_SV_EUlSU_E_NS1_11comp_targetILNS1_3genE8ELNS1_11target_archE1030ELNS1_3gpuE2ELNS1_3repE0EEENS1_30default_config_static_selectorELNS0_4arch9wavefront6targetE0EEEvT1_
; %bb.0:
	.section	.rodata,"a",@progbits
	.p2align	6, 0x0
	.amdhsa_kernel _ZN7rocprim17ROCPRIM_400000_NS6detail17trampoline_kernelINS0_14default_configENS1_27scan_by_key_config_selectorIssEEZZNS1_16scan_by_key_implILNS1_25lookback_scan_determinismE0ELb1ES3_N6thrust23THRUST_200600_302600_NS6detail15normal_iteratorINS9_10device_ptrIsEEEESE_SE_sNS9_4plusIvEENS9_8equal_toIsEEsEE10hipError_tPvRmT2_T3_T4_T5_mT6_T7_P12ihipStream_tbENKUlT_T0_E_clISt17integral_constantIbLb1EESY_IbLb0EEEEDaSU_SV_EUlSU_E_NS1_11comp_targetILNS1_3genE8ELNS1_11target_archE1030ELNS1_3gpuE2ELNS1_3repE0EEENS1_30default_config_static_selectorELNS0_4arch9wavefront6targetE0EEEvT1_
		.amdhsa_group_segment_fixed_size 0
		.amdhsa_private_segment_fixed_size 0
		.amdhsa_kernarg_size 112
		.amdhsa_user_sgpr_count 2
		.amdhsa_user_sgpr_dispatch_ptr 0
		.amdhsa_user_sgpr_queue_ptr 0
		.amdhsa_user_sgpr_kernarg_segment_ptr 1
		.amdhsa_user_sgpr_dispatch_id 0
		.amdhsa_user_sgpr_kernarg_preload_length 0
		.amdhsa_user_sgpr_kernarg_preload_offset 0
		.amdhsa_user_sgpr_private_segment_size 0
		.amdhsa_wavefront_size32 1
		.amdhsa_uses_dynamic_stack 0
		.amdhsa_enable_private_segment 0
		.amdhsa_system_sgpr_workgroup_id_x 1
		.amdhsa_system_sgpr_workgroup_id_y 0
		.amdhsa_system_sgpr_workgroup_id_z 0
		.amdhsa_system_sgpr_workgroup_info 0
		.amdhsa_system_vgpr_workitem_id 0
		.amdhsa_next_free_vgpr 1
		.amdhsa_next_free_sgpr 1
		.amdhsa_named_barrier_count 0
		.amdhsa_reserve_vcc 0
		.amdhsa_float_round_mode_32 0
		.amdhsa_float_round_mode_16_64 0
		.amdhsa_float_denorm_mode_32 3
		.amdhsa_float_denorm_mode_16_64 3
		.amdhsa_fp16_overflow 0
		.amdhsa_memory_ordered 1
		.amdhsa_forward_progress 1
		.amdhsa_inst_pref_size 0
		.amdhsa_round_robin_scheduling 0
		.amdhsa_exception_fp_ieee_invalid_op 0
		.amdhsa_exception_fp_denorm_src 0
		.amdhsa_exception_fp_ieee_div_zero 0
		.amdhsa_exception_fp_ieee_overflow 0
		.amdhsa_exception_fp_ieee_underflow 0
		.amdhsa_exception_fp_ieee_inexact 0
		.amdhsa_exception_int_div_zero 0
	.end_amdhsa_kernel
	.section	.text._ZN7rocprim17ROCPRIM_400000_NS6detail17trampoline_kernelINS0_14default_configENS1_27scan_by_key_config_selectorIssEEZZNS1_16scan_by_key_implILNS1_25lookback_scan_determinismE0ELb1ES3_N6thrust23THRUST_200600_302600_NS6detail15normal_iteratorINS9_10device_ptrIsEEEESE_SE_sNS9_4plusIvEENS9_8equal_toIsEEsEE10hipError_tPvRmT2_T3_T4_T5_mT6_T7_P12ihipStream_tbENKUlT_T0_E_clISt17integral_constantIbLb1EESY_IbLb0EEEEDaSU_SV_EUlSU_E_NS1_11comp_targetILNS1_3genE8ELNS1_11target_archE1030ELNS1_3gpuE2ELNS1_3repE0EEENS1_30default_config_static_selectorELNS0_4arch9wavefront6targetE0EEEvT1_,"axG",@progbits,_ZN7rocprim17ROCPRIM_400000_NS6detail17trampoline_kernelINS0_14default_configENS1_27scan_by_key_config_selectorIssEEZZNS1_16scan_by_key_implILNS1_25lookback_scan_determinismE0ELb1ES3_N6thrust23THRUST_200600_302600_NS6detail15normal_iteratorINS9_10device_ptrIsEEEESE_SE_sNS9_4plusIvEENS9_8equal_toIsEEsEE10hipError_tPvRmT2_T3_T4_T5_mT6_T7_P12ihipStream_tbENKUlT_T0_E_clISt17integral_constantIbLb1EESY_IbLb0EEEEDaSU_SV_EUlSU_E_NS1_11comp_targetILNS1_3genE8ELNS1_11target_archE1030ELNS1_3gpuE2ELNS1_3repE0EEENS1_30default_config_static_selectorELNS0_4arch9wavefront6targetE0EEEvT1_,comdat
.Lfunc_end667:
	.size	_ZN7rocprim17ROCPRIM_400000_NS6detail17trampoline_kernelINS0_14default_configENS1_27scan_by_key_config_selectorIssEEZZNS1_16scan_by_key_implILNS1_25lookback_scan_determinismE0ELb1ES3_N6thrust23THRUST_200600_302600_NS6detail15normal_iteratorINS9_10device_ptrIsEEEESE_SE_sNS9_4plusIvEENS9_8equal_toIsEEsEE10hipError_tPvRmT2_T3_T4_T5_mT6_T7_P12ihipStream_tbENKUlT_T0_E_clISt17integral_constantIbLb1EESY_IbLb0EEEEDaSU_SV_EUlSU_E_NS1_11comp_targetILNS1_3genE8ELNS1_11target_archE1030ELNS1_3gpuE2ELNS1_3repE0EEENS1_30default_config_static_selectorELNS0_4arch9wavefront6targetE0EEEvT1_, .Lfunc_end667-_ZN7rocprim17ROCPRIM_400000_NS6detail17trampoline_kernelINS0_14default_configENS1_27scan_by_key_config_selectorIssEEZZNS1_16scan_by_key_implILNS1_25lookback_scan_determinismE0ELb1ES3_N6thrust23THRUST_200600_302600_NS6detail15normal_iteratorINS9_10device_ptrIsEEEESE_SE_sNS9_4plusIvEENS9_8equal_toIsEEsEE10hipError_tPvRmT2_T3_T4_T5_mT6_T7_P12ihipStream_tbENKUlT_T0_E_clISt17integral_constantIbLb1EESY_IbLb0EEEEDaSU_SV_EUlSU_E_NS1_11comp_targetILNS1_3genE8ELNS1_11target_archE1030ELNS1_3gpuE2ELNS1_3repE0EEENS1_30default_config_static_selectorELNS0_4arch9wavefront6targetE0EEEvT1_
                                        ; -- End function
	.set _ZN7rocprim17ROCPRIM_400000_NS6detail17trampoline_kernelINS0_14default_configENS1_27scan_by_key_config_selectorIssEEZZNS1_16scan_by_key_implILNS1_25lookback_scan_determinismE0ELb1ES3_N6thrust23THRUST_200600_302600_NS6detail15normal_iteratorINS9_10device_ptrIsEEEESE_SE_sNS9_4plusIvEENS9_8equal_toIsEEsEE10hipError_tPvRmT2_T3_T4_T5_mT6_T7_P12ihipStream_tbENKUlT_T0_E_clISt17integral_constantIbLb1EESY_IbLb0EEEEDaSU_SV_EUlSU_E_NS1_11comp_targetILNS1_3genE8ELNS1_11target_archE1030ELNS1_3gpuE2ELNS1_3repE0EEENS1_30default_config_static_selectorELNS0_4arch9wavefront6targetE0EEEvT1_.num_vgpr, 0
	.set _ZN7rocprim17ROCPRIM_400000_NS6detail17trampoline_kernelINS0_14default_configENS1_27scan_by_key_config_selectorIssEEZZNS1_16scan_by_key_implILNS1_25lookback_scan_determinismE0ELb1ES3_N6thrust23THRUST_200600_302600_NS6detail15normal_iteratorINS9_10device_ptrIsEEEESE_SE_sNS9_4plusIvEENS9_8equal_toIsEEsEE10hipError_tPvRmT2_T3_T4_T5_mT6_T7_P12ihipStream_tbENKUlT_T0_E_clISt17integral_constantIbLb1EESY_IbLb0EEEEDaSU_SV_EUlSU_E_NS1_11comp_targetILNS1_3genE8ELNS1_11target_archE1030ELNS1_3gpuE2ELNS1_3repE0EEENS1_30default_config_static_selectorELNS0_4arch9wavefront6targetE0EEEvT1_.num_agpr, 0
	.set _ZN7rocprim17ROCPRIM_400000_NS6detail17trampoline_kernelINS0_14default_configENS1_27scan_by_key_config_selectorIssEEZZNS1_16scan_by_key_implILNS1_25lookback_scan_determinismE0ELb1ES3_N6thrust23THRUST_200600_302600_NS6detail15normal_iteratorINS9_10device_ptrIsEEEESE_SE_sNS9_4plusIvEENS9_8equal_toIsEEsEE10hipError_tPvRmT2_T3_T4_T5_mT6_T7_P12ihipStream_tbENKUlT_T0_E_clISt17integral_constantIbLb1EESY_IbLb0EEEEDaSU_SV_EUlSU_E_NS1_11comp_targetILNS1_3genE8ELNS1_11target_archE1030ELNS1_3gpuE2ELNS1_3repE0EEENS1_30default_config_static_selectorELNS0_4arch9wavefront6targetE0EEEvT1_.numbered_sgpr, 0
	.set _ZN7rocprim17ROCPRIM_400000_NS6detail17trampoline_kernelINS0_14default_configENS1_27scan_by_key_config_selectorIssEEZZNS1_16scan_by_key_implILNS1_25lookback_scan_determinismE0ELb1ES3_N6thrust23THRUST_200600_302600_NS6detail15normal_iteratorINS9_10device_ptrIsEEEESE_SE_sNS9_4plusIvEENS9_8equal_toIsEEsEE10hipError_tPvRmT2_T3_T4_T5_mT6_T7_P12ihipStream_tbENKUlT_T0_E_clISt17integral_constantIbLb1EESY_IbLb0EEEEDaSU_SV_EUlSU_E_NS1_11comp_targetILNS1_3genE8ELNS1_11target_archE1030ELNS1_3gpuE2ELNS1_3repE0EEENS1_30default_config_static_selectorELNS0_4arch9wavefront6targetE0EEEvT1_.num_named_barrier, 0
	.set _ZN7rocprim17ROCPRIM_400000_NS6detail17trampoline_kernelINS0_14default_configENS1_27scan_by_key_config_selectorIssEEZZNS1_16scan_by_key_implILNS1_25lookback_scan_determinismE0ELb1ES3_N6thrust23THRUST_200600_302600_NS6detail15normal_iteratorINS9_10device_ptrIsEEEESE_SE_sNS9_4plusIvEENS9_8equal_toIsEEsEE10hipError_tPvRmT2_T3_T4_T5_mT6_T7_P12ihipStream_tbENKUlT_T0_E_clISt17integral_constantIbLb1EESY_IbLb0EEEEDaSU_SV_EUlSU_E_NS1_11comp_targetILNS1_3genE8ELNS1_11target_archE1030ELNS1_3gpuE2ELNS1_3repE0EEENS1_30default_config_static_selectorELNS0_4arch9wavefront6targetE0EEEvT1_.private_seg_size, 0
	.set _ZN7rocprim17ROCPRIM_400000_NS6detail17trampoline_kernelINS0_14default_configENS1_27scan_by_key_config_selectorIssEEZZNS1_16scan_by_key_implILNS1_25lookback_scan_determinismE0ELb1ES3_N6thrust23THRUST_200600_302600_NS6detail15normal_iteratorINS9_10device_ptrIsEEEESE_SE_sNS9_4plusIvEENS9_8equal_toIsEEsEE10hipError_tPvRmT2_T3_T4_T5_mT6_T7_P12ihipStream_tbENKUlT_T0_E_clISt17integral_constantIbLb1EESY_IbLb0EEEEDaSU_SV_EUlSU_E_NS1_11comp_targetILNS1_3genE8ELNS1_11target_archE1030ELNS1_3gpuE2ELNS1_3repE0EEENS1_30default_config_static_selectorELNS0_4arch9wavefront6targetE0EEEvT1_.uses_vcc, 0
	.set _ZN7rocprim17ROCPRIM_400000_NS6detail17trampoline_kernelINS0_14default_configENS1_27scan_by_key_config_selectorIssEEZZNS1_16scan_by_key_implILNS1_25lookback_scan_determinismE0ELb1ES3_N6thrust23THRUST_200600_302600_NS6detail15normal_iteratorINS9_10device_ptrIsEEEESE_SE_sNS9_4plusIvEENS9_8equal_toIsEEsEE10hipError_tPvRmT2_T3_T4_T5_mT6_T7_P12ihipStream_tbENKUlT_T0_E_clISt17integral_constantIbLb1EESY_IbLb0EEEEDaSU_SV_EUlSU_E_NS1_11comp_targetILNS1_3genE8ELNS1_11target_archE1030ELNS1_3gpuE2ELNS1_3repE0EEENS1_30default_config_static_selectorELNS0_4arch9wavefront6targetE0EEEvT1_.uses_flat_scratch, 0
	.set _ZN7rocprim17ROCPRIM_400000_NS6detail17trampoline_kernelINS0_14default_configENS1_27scan_by_key_config_selectorIssEEZZNS1_16scan_by_key_implILNS1_25lookback_scan_determinismE0ELb1ES3_N6thrust23THRUST_200600_302600_NS6detail15normal_iteratorINS9_10device_ptrIsEEEESE_SE_sNS9_4plusIvEENS9_8equal_toIsEEsEE10hipError_tPvRmT2_T3_T4_T5_mT6_T7_P12ihipStream_tbENKUlT_T0_E_clISt17integral_constantIbLb1EESY_IbLb0EEEEDaSU_SV_EUlSU_E_NS1_11comp_targetILNS1_3genE8ELNS1_11target_archE1030ELNS1_3gpuE2ELNS1_3repE0EEENS1_30default_config_static_selectorELNS0_4arch9wavefront6targetE0EEEvT1_.has_dyn_sized_stack, 0
	.set _ZN7rocprim17ROCPRIM_400000_NS6detail17trampoline_kernelINS0_14default_configENS1_27scan_by_key_config_selectorIssEEZZNS1_16scan_by_key_implILNS1_25lookback_scan_determinismE0ELb1ES3_N6thrust23THRUST_200600_302600_NS6detail15normal_iteratorINS9_10device_ptrIsEEEESE_SE_sNS9_4plusIvEENS9_8equal_toIsEEsEE10hipError_tPvRmT2_T3_T4_T5_mT6_T7_P12ihipStream_tbENKUlT_T0_E_clISt17integral_constantIbLb1EESY_IbLb0EEEEDaSU_SV_EUlSU_E_NS1_11comp_targetILNS1_3genE8ELNS1_11target_archE1030ELNS1_3gpuE2ELNS1_3repE0EEENS1_30default_config_static_selectorELNS0_4arch9wavefront6targetE0EEEvT1_.has_recursion, 0
	.set _ZN7rocprim17ROCPRIM_400000_NS6detail17trampoline_kernelINS0_14default_configENS1_27scan_by_key_config_selectorIssEEZZNS1_16scan_by_key_implILNS1_25lookback_scan_determinismE0ELb1ES3_N6thrust23THRUST_200600_302600_NS6detail15normal_iteratorINS9_10device_ptrIsEEEESE_SE_sNS9_4plusIvEENS9_8equal_toIsEEsEE10hipError_tPvRmT2_T3_T4_T5_mT6_T7_P12ihipStream_tbENKUlT_T0_E_clISt17integral_constantIbLb1EESY_IbLb0EEEEDaSU_SV_EUlSU_E_NS1_11comp_targetILNS1_3genE8ELNS1_11target_archE1030ELNS1_3gpuE2ELNS1_3repE0EEENS1_30default_config_static_selectorELNS0_4arch9wavefront6targetE0EEEvT1_.has_indirect_call, 0
	.section	.AMDGPU.csdata,"",@progbits
; Kernel info:
; codeLenInByte = 0
; TotalNumSgprs: 0
; NumVgprs: 0
; ScratchSize: 0
; MemoryBound: 0
; FloatMode: 240
; IeeeMode: 1
; LDSByteSize: 0 bytes/workgroup (compile time only)
; SGPRBlocks: 0
; VGPRBlocks: 0
; NumSGPRsForWavesPerEU: 1
; NumVGPRsForWavesPerEU: 1
; NamedBarCnt: 0
; Occupancy: 16
; WaveLimiterHint : 0
; COMPUTE_PGM_RSRC2:SCRATCH_EN: 0
; COMPUTE_PGM_RSRC2:USER_SGPR: 2
; COMPUTE_PGM_RSRC2:TRAP_HANDLER: 0
; COMPUTE_PGM_RSRC2:TGID_X_EN: 1
; COMPUTE_PGM_RSRC2:TGID_Y_EN: 0
; COMPUTE_PGM_RSRC2:TGID_Z_EN: 0
; COMPUTE_PGM_RSRC2:TIDIG_COMP_CNT: 0
	.section	.text._ZN7rocprim17ROCPRIM_400000_NS6detail17trampoline_kernelINS0_14default_configENS1_27scan_by_key_config_selectorIssEEZZNS1_16scan_by_key_implILNS1_25lookback_scan_determinismE0ELb1ES3_N6thrust23THRUST_200600_302600_NS6detail15normal_iteratorINS9_10device_ptrIsEEEESE_SE_sNS9_4plusIvEENS9_8equal_toIsEEsEE10hipError_tPvRmT2_T3_T4_T5_mT6_T7_P12ihipStream_tbENKUlT_T0_E_clISt17integral_constantIbLb0EESY_IbLb1EEEEDaSU_SV_EUlSU_E_NS1_11comp_targetILNS1_3genE0ELNS1_11target_archE4294967295ELNS1_3gpuE0ELNS1_3repE0EEENS1_30default_config_static_selectorELNS0_4arch9wavefront6targetE0EEEvT1_,"axG",@progbits,_ZN7rocprim17ROCPRIM_400000_NS6detail17trampoline_kernelINS0_14default_configENS1_27scan_by_key_config_selectorIssEEZZNS1_16scan_by_key_implILNS1_25lookback_scan_determinismE0ELb1ES3_N6thrust23THRUST_200600_302600_NS6detail15normal_iteratorINS9_10device_ptrIsEEEESE_SE_sNS9_4plusIvEENS9_8equal_toIsEEsEE10hipError_tPvRmT2_T3_T4_T5_mT6_T7_P12ihipStream_tbENKUlT_T0_E_clISt17integral_constantIbLb0EESY_IbLb1EEEEDaSU_SV_EUlSU_E_NS1_11comp_targetILNS1_3genE0ELNS1_11target_archE4294967295ELNS1_3gpuE0ELNS1_3repE0EEENS1_30default_config_static_selectorELNS0_4arch9wavefront6targetE0EEEvT1_,comdat
	.protected	_ZN7rocprim17ROCPRIM_400000_NS6detail17trampoline_kernelINS0_14default_configENS1_27scan_by_key_config_selectorIssEEZZNS1_16scan_by_key_implILNS1_25lookback_scan_determinismE0ELb1ES3_N6thrust23THRUST_200600_302600_NS6detail15normal_iteratorINS9_10device_ptrIsEEEESE_SE_sNS9_4plusIvEENS9_8equal_toIsEEsEE10hipError_tPvRmT2_T3_T4_T5_mT6_T7_P12ihipStream_tbENKUlT_T0_E_clISt17integral_constantIbLb0EESY_IbLb1EEEEDaSU_SV_EUlSU_E_NS1_11comp_targetILNS1_3genE0ELNS1_11target_archE4294967295ELNS1_3gpuE0ELNS1_3repE0EEENS1_30default_config_static_selectorELNS0_4arch9wavefront6targetE0EEEvT1_ ; -- Begin function _ZN7rocprim17ROCPRIM_400000_NS6detail17trampoline_kernelINS0_14default_configENS1_27scan_by_key_config_selectorIssEEZZNS1_16scan_by_key_implILNS1_25lookback_scan_determinismE0ELb1ES3_N6thrust23THRUST_200600_302600_NS6detail15normal_iteratorINS9_10device_ptrIsEEEESE_SE_sNS9_4plusIvEENS9_8equal_toIsEEsEE10hipError_tPvRmT2_T3_T4_T5_mT6_T7_P12ihipStream_tbENKUlT_T0_E_clISt17integral_constantIbLb0EESY_IbLb1EEEEDaSU_SV_EUlSU_E_NS1_11comp_targetILNS1_3genE0ELNS1_11target_archE4294967295ELNS1_3gpuE0ELNS1_3repE0EEENS1_30default_config_static_selectorELNS0_4arch9wavefront6targetE0EEEvT1_
	.globl	_ZN7rocprim17ROCPRIM_400000_NS6detail17trampoline_kernelINS0_14default_configENS1_27scan_by_key_config_selectorIssEEZZNS1_16scan_by_key_implILNS1_25lookback_scan_determinismE0ELb1ES3_N6thrust23THRUST_200600_302600_NS6detail15normal_iteratorINS9_10device_ptrIsEEEESE_SE_sNS9_4plusIvEENS9_8equal_toIsEEsEE10hipError_tPvRmT2_T3_T4_T5_mT6_T7_P12ihipStream_tbENKUlT_T0_E_clISt17integral_constantIbLb0EESY_IbLb1EEEEDaSU_SV_EUlSU_E_NS1_11comp_targetILNS1_3genE0ELNS1_11target_archE4294967295ELNS1_3gpuE0ELNS1_3repE0EEENS1_30default_config_static_selectorELNS0_4arch9wavefront6targetE0EEEvT1_
	.p2align	8
	.type	_ZN7rocprim17ROCPRIM_400000_NS6detail17trampoline_kernelINS0_14default_configENS1_27scan_by_key_config_selectorIssEEZZNS1_16scan_by_key_implILNS1_25lookback_scan_determinismE0ELb1ES3_N6thrust23THRUST_200600_302600_NS6detail15normal_iteratorINS9_10device_ptrIsEEEESE_SE_sNS9_4plusIvEENS9_8equal_toIsEEsEE10hipError_tPvRmT2_T3_T4_T5_mT6_T7_P12ihipStream_tbENKUlT_T0_E_clISt17integral_constantIbLb0EESY_IbLb1EEEEDaSU_SV_EUlSU_E_NS1_11comp_targetILNS1_3genE0ELNS1_11target_archE4294967295ELNS1_3gpuE0ELNS1_3repE0EEENS1_30default_config_static_selectorELNS0_4arch9wavefront6targetE0EEEvT1_,@function
_ZN7rocprim17ROCPRIM_400000_NS6detail17trampoline_kernelINS0_14default_configENS1_27scan_by_key_config_selectorIssEEZZNS1_16scan_by_key_implILNS1_25lookback_scan_determinismE0ELb1ES3_N6thrust23THRUST_200600_302600_NS6detail15normal_iteratorINS9_10device_ptrIsEEEESE_SE_sNS9_4plusIvEENS9_8equal_toIsEEsEE10hipError_tPvRmT2_T3_T4_T5_mT6_T7_P12ihipStream_tbENKUlT_T0_E_clISt17integral_constantIbLb0EESY_IbLb1EEEEDaSU_SV_EUlSU_E_NS1_11comp_targetILNS1_3genE0ELNS1_11target_archE4294967295ELNS1_3gpuE0ELNS1_3repE0EEENS1_30default_config_static_selectorELNS0_4arch9wavefront6targetE0EEEvT1_: ; @_ZN7rocprim17ROCPRIM_400000_NS6detail17trampoline_kernelINS0_14default_configENS1_27scan_by_key_config_selectorIssEEZZNS1_16scan_by_key_implILNS1_25lookback_scan_determinismE0ELb1ES3_N6thrust23THRUST_200600_302600_NS6detail15normal_iteratorINS9_10device_ptrIsEEEESE_SE_sNS9_4plusIvEENS9_8equal_toIsEEsEE10hipError_tPvRmT2_T3_T4_T5_mT6_T7_P12ihipStream_tbENKUlT_T0_E_clISt17integral_constantIbLb0EESY_IbLb1EEEEDaSU_SV_EUlSU_E_NS1_11comp_targetILNS1_3genE0ELNS1_11target_archE4294967295ELNS1_3gpuE0ELNS1_3repE0EEENS1_30default_config_static_selectorELNS0_4arch9wavefront6targetE0EEEvT1_
; %bb.0:
	s_clause 0x2
	s_load_b32 s33, s[0:1], 0x20
	s_load_b128 s[28:31], s[0:1], 0x28
	s_load_b64 s[40:41], s[0:1], 0x38
	v_cmp_ne_u32_e64 s3, 0, v0
	v_cmp_eq_u32_e64 s2, 0, v0
	s_and_saveexec_b32 s4, s2
	s_cbranch_execz .LBB668_4
; %bb.1:
	s_mov_b32 s6, exec_lo
	s_mov_b32 s5, exec_lo
	v_mbcnt_lo_u32_b32 v1, s6, 0
                                        ; implicit-def: $vgpr2
	s_delay_alu instid0(VALU_DEP_1)
	v_cmpx_eq_u32_e32 0, v1
	s_cbranch_execz .LBB668_3
; %bb.2:
	s_load_b64 s[8:9], s[0:1], 0x68
	s_bcnt1_i32_b32 s6, s6
	s_delay_alu instid0(SALU_CYCLE_1)
	v_dual_mov_b32 v2, 0 :: v_dual_mov_b32 v3, s6
	s_wait_xcnt 0x0
	s_wait_kmcnt 0x0
	global_atomic_add_u32 v2, v2, v3, s[8:9] th:TH_ATOMIC_RETURN scope:SCOPE_DEV
.LBB668_3:
	s_wait_xcnt 0x0
	s_or_b32 exec_lo, exec_lo, s5
	s_wait_loadcnt 0x0
	v_readfirstlane_b32 s5, v2
	s_delay_alu instid0(VALU_DEP_1)
	v_dual_mov_b32 v2, 0 :: v_dual_add_nc_u32 v1, s5, v1
	ds_store_b32 v2, v1
.LBB668_4:
	s_or_b32 exec_lo, exec_lo, s4
	v_mov_b32_e32 v19, 0
	s_clause 0x2
	s_load_b256 s[20:27], s[0:1], 0x0
	s_load_b32 s4, s[0:1], 0x40
	s_load_b128 s[36:39], s[0:1], 0x48
	s_wait_dscnt 0x0
	s_barrier_signal -1
	s_barrier_wait -1
	ds_load_b32 v18, v19
	s_mov_b32 s5, 0
	s_wait_dscnt 0x0
	s_barrier_signal -1
	s_barrier_wait -1
	s_barrier_signal -1
	s_barrier_wait -1
	s_wait_kmcnt 0x0
	s_lshl_b64 s[34:35], s[22:23], 1
	s_mul_u64 s[0:1], s[40:41], s[4:5]
	s_add_nc_u64 s[10:11], s[36:37], -1
	s_add_nc_u64 s[6:7], s[20:21], s[34:35]
	s_add_nc_u64 s[8:9], s[24:25], s[34:35]
	s_mul_i32 s23, s10, 0xffffec00
	v_add_nc_u64_e32 v[2:3], s[0:1], v[18:19]
	v_readfirstlane_b32 s1, v18
	s_mul_i32 s4, s1, 0x1400
	v_cmp_le_u64_e64 s0, s[10:11], v[2:3]
	s_lshl_b64 s[24:25], s[4:5], 1
	s_delay_alu instid0(SALU_CYCLE_1)
	s_add_nc_u64 s[42:43], s[6:7], s[24:25]
	s_add_nc_u64 s[36:37], s[8:9], s[24:25]
	s_and_b32 vcc_lo, exec_lo, s0
	s_cbranch_vccz .LBB668_110
; %bb.5:
	flat_load_u16 v2, v19, s[42:43]
	s_add_co_i32 s31, s23, s30
	s_delay_alu instid0(SALU_CYCLE_1)
	v_cmp_gt_u32_e32 vcc_lo, s31, v0
	s_wait_loadcnt_dscnt 0x0
	v_mov_b32_e32 v3, v2
	s_and_saveexec_b32 s1, vcc_lo
	s_cbranch_execz .LBB668_7
; %bb.6:
	flat_load_u16 v3, v0, s[42:43] scale_offset
.LBB668_7:
	s_wait_xcnt 0x0
	s_or_b32 exec_lo, exec_lo, s1
	v_or_b32_e32 v1, 0x100, v0
	v_mov_b32_e32 v4, v2
	s_delay_alu instid0(VALU_DEP_2)
	v_cmp_gt_u32_e64 s1, s31, v1
	s_and_saveexec_b32 s4, s1
	s_cbranch_execz .LBB668_9
; %bb.8:
	flat_load_u16 v4, v0, s[42:43] offset:512 scale_offset
.LBB668_9:
	s_wait_xcnt 0x0
	s_or_b32 exec_lo, exec_lo, s4
	v_or_b32_e32 v1, 0x200, v0
	v_mov_b32_e32 v5, v2
	s_delay_alu instid0(VALU_DEP_2)
	v_cmp_gt_u32_e64 s4, s31, v1
	s_and_saveexec_b32 s5, s4
	s_cbranch_execz .LBB668_11
; %bb.10:
	flat_load_u16 v5, v0, s[42:43] offset:1024 scale_offset
.LBB668_11:
	;; [unrolled: 11-line block ×18, first 2 shown]
	s_wait_xcnt 0x0
	s_or_b32 exec_lo, exec_lo, s21
	v_or_b32_e32 v1, 0x1300, v0
	s_delay_alu instid0(VALU_DEP_1) | instskip(SKIP_2) | instid1(SALU_CYCLE_1)
	v_cmp_gt_u32_e64 s21, s31, v1
	v_cmp_le_u32_e64 s22, s31, v1
	s_and_saveexec_b32 s44, s22
	s_xor_b32 s22, exec_lo, s44
	s_delay_alu instid0(SALU_CYCLE_1)
	s_and_not1_saveexec_b32 s22, s22
	s_cbranch_execz .LBB668_45
; %bb.44:
	flat_load_u16 v2, v0, s[42:43] offset:9728 scale_offset
.LBB668_45:
	s_wait_xcnt 0x0
	s_or_b32 exec_lo, exec_lo, s22
	v_lshlrev_b32_e32 v1, 1, v0
	s_mov_b32 s44, exec_lo
	s_wait_loadcnt_dscnt 0x0
	ds_store_b16 v1, v3
	ds_store_b16 v1, v4 offset:512
	ds_store_b16 v1, v5 offset:1024
	;; [unrolled: 1-line block ×19, first 2 shown]
	v_mov_b32_e32 v2, 0
	s_wait_dscnt 0x0
	s_barrier_signal -1
	s_barrier_wait -1
	flat_load_u16 v51, v2, s[42:43]
	v_mad_u32_u24 v52, v0, 38, v1
	ds_load_2addr_b64 v[6:9], v52 offset1:1
	s_wait_xcnt 0x0
	ds_load_2addr_b64 v[2:5], v52 offset0:2 offset1:3
	ds_load_b64 v[14:15], v52 offset:32
	v_mad_i32_i24 v10, 0xffffffda, v0, v52
	s_wait_dscnt 0x2
	ds_store_b16 v10, v6 offset:10752
	s_wait_loadcnt_dscnt 0x0
	s_barrier_signal -1
	s_barrier_wait -1
	v_cmpx_ne_u32_e32 0xff, v0
; %bb.46:
	v_mul_i32_i24_e32 v10, 0xffffffda, v0
	s_delay_alu instid0(VALU_DEP_1)
	v_add_nc_u32_e32 v10, v52, v10
	ds_load_u16 v51, v10 offset:10754
; %bb.47:
	s_or_b32 exec_lo, exec_lo, s44
	s_wait_dscnt 0x0
	s_barrier_signal -1
	s_barrier_wait -1
                                        ; implicit-def: $vgpr10
	s_and_saveexec_b32 s22, vcc_lo
	s_cbranch_execz .LBB668_168
; %bb.48:
	flat_load_u16 v10, v0, s[36:37] scale_offset
	s_wait_xcnt 0x0
	s_or_b32 exec_lo, exec_lo, s22
                                        ; implicit-def: $vgpr11
	s_and_saveexec_b32 s22, s1
	s_cbranch_execnz .LBB668_169
.LBB668_49:
	s_or_b32 exec_lo, exec_lo, s22
                                        ; implicit-def: $vgpr12
	s_and_saveexec_b32 s1, s4
	s_cbranch_execz .LBB668_170
.LBB668_50:
	flat_load_u16 v12, v0, s[36:37] offset:1024 scale_offset
	s_wait_xcnt 0x0
	s_or_b32 exec_lo, exec_lo, s1
                                        ; implicit-def: $vgpr13
	s_and_saveexec_b32 s1, s5
	s_cbranch_execnz .LBB668_171
.LBB668_51:
	s_or_b32 exec_lo, exec_lo, s1
                                        ; implicit-def: $vgpr16
	s_and_saveexec_b32 s1, s6
	s_cbranch_execz .LBB668_172
.LBB668_52:
	flat_load_u16 v16, v0, s[36:37] offset:2048 scale_offset
	s_wait_xcnt 0x0
	s_or_b32 exec_lo, exec_lo, s1
                                        ; implicit-def: $vgpr17
	s_and_saveexec_b32 s1, s7
	s_cbranch_execnz .LBB668_173
.LBB668_53:
	s_or_b32 exec_lo, exec_lo, s1
                                        ; implicit-def: $vgpr19
	s_and_saveexec_b32 s1, s8
	s_cbranch_execz .LBB668_174
.LBB668_54:
	flat_load_u16 v19, v0, s[36:37] offset:3072 scale_offset
	s_wait_xcnt 0x0
	s_or_b32 exec_lo, exec_lo, s1
                                        ; implicit-def: $vgpr20
	s_and_saveexec_b32 s1, s9
	s_cbranch_execnz .LBB668_175
.LBB668_55:
	s_or_b32 exec_lo, exec_lo, s1
                                        ; implicit-def: $vgpr21
	s_and_saveexec_b32 s1, s10
	s_cbranch_execz .LBB668_176
.LBB668_56:
	flat_load_u16 v21, v0, s[36:37] offset:4096 scale_offset
	s_wait_xcnt 0x0
	s_or_b32 exec_lo, exec_lo, s1
                                        ; implicit-def: $vgpr22
	s_and_saveexec_b32 s1, s11
	s_cbranch_execnz .LBB668_177
.LBB668_57:
	s_or_b32 exec_lo, exec_lo, s1
                                        ; implicit-def: $vgpr23
	s_and_saveexec_b32 s1, s12
	s_cbranch_execz .LBB668_178
.LBB668_58:
	flat_load_u16 v23, v0, s[36:37] offset:5120 scale_offset
	s_wait_xcnt 0x0
	s_or_b32 exec_lo, exec_lo, s1
                                        ; implicit-def: $vgpr24
	s_and_saveexec_b32 s1, s13
	s_cbranch_execnz .LBB668_179
.LBB668_59:
	s_or_b32 exec_lo, exec_lo, s1
                                        ; implicit-def: $vgpr25
	s_and_saveexec_b32 s1, s14
	s_cbranch_execz .LBB668_180
.LBB668_60:
	flat_load_u16 v25, v0, s[36:37] offset:6144 scale_offset
	s_wait_xcnt 0x0
	s_or_b32 exec_lo, exec_lo, s1
                                        ; implicit-def: $vgpr26
	s_and_saveexec_b32 s1, s15
	s_cbranch_execnz .LBB668_181
.LBB668_61:
	s_or_b32 exec_lo, exec_lo, s1
                                        ; implicit-def: $vgpr27
	s_and_saveexec_b32 s1, s16
	s_cbranch_execz .LBB668_182
.LBB668_62:
	flat_load_u16 v27, v0, s[36:37] offset:7168 scale_offset
	s_wait_xcnt 0x0
	s_or_b32 exec_lo, exec_lo, s1
                                        ; implicit-def: $vgpr28
	s_and_saveexec_b32 s1, s17
	s_cbranch_execnz .LBB668_183
.LBB668_63:
	s_or_b32 exec_lo, exec_lo, s1
                                        ; implicit-def: $vgpr29
	s_and_saveexec_b32 s1, s18
	s_cbranch_execz .LBB668_184
.LBB668_64:
	flat_load_u16 v29, v0, s[36:37] offset:8192 scale_offset
	s_wait_xcnt 0x0
	s_or_b32 exec_lo, exec_lo, s1
                                        ; implicit-def: $vgpr30
	s_and_saveexec_b32 s1, s19
	s_cbranch_execnz .LBB668_185
.LBB668_65:
	s_or_b32 exec_lo, exec_lo, s1
                                        ; implicit-def: $vgpr31
	s_and_saveexec_b32 s1, s20
	s_cbranch_execz .LBB668_67
.LBB668_66:
	flat_load_u16 v31, v0, s[36:37] offset:9216 scale_offset
.LBB668_67:
	s_wait_xcnt 0x0
	s_or_b32 exec_lo, exec_lo, s1
	v_mul_u32_u24_e32 v55, 20, v0
                                        ; implicit-def: $vgpr32
	s_and_saveexec_b32 s1, s21
	s_cbranch_execz .LBB668_69
; %bb.68:
	flat_load_u16 v32, v0, s[36:37] offset:9728 scale_offset
.LBB668_69:
	s_wait_xcnt 0x0
	s_or_b32 exec_lo, exec_lo, s1
	s_wait_loadcnt_dscnt 0x0
	ds_store_b16 v1, v10
	ds_store_b16 v1, v11 offset:512
	ds_store_b16 v1, v12 offset:1024
	;; [unrolled: 1-line block ×19, first 2 shown]
	v_cmp_gt_u32_e32 vcc_lo, s31, v55
	v_dual_mov_b32 v32, 0 :: v_dual_mov_b32 v40, 0
	v_dual_mov_b32 v56, 0 :: v_dual_mov_b32 v48, 0
	;; [unrolled: 1-line block ×18, first 2 shown]
	v_mov_b32_e32 v1, 0
	s_mov_b32 s4, 0
	s_mov_b32 s5, 0
	s_wait_dscnt 0x0
	s_barrier_signal -1
	s_barrier_wait -1
                                        ; implicit-def: $sgpr8
                                        ; implicit-def: $vgpr45
	s_and_saveexec_b32 s6, vcc_lo
	s_cbranch_execz .LBB668_109
; %bb.70:
	ds_load_u16 v1, v52
	v_dual_mov_b32 v40, 0 :: v_dual_lshrrev_b32 v41, 16, v6
	v_dual_mov_b32 v56, 0 :: v_dual_bitop2_b32 v10, 1, v55 bitop3:0x54
	v_dual_mov_b32 v48, 0 :: v_dual_mov_b32 v54, 0
	s_delay_alu instid0(VALU_DEP_3)
	v_cmp_eq_u16_e32 vcc_lo, v6, v41
	v_dual_mov_b32 v53, 0 :: v_dual_mov_b32 v50, 0
	v_dual_mov_b32 v49, 0 :: v_dual_mov_b32 v47, 0
	;; [unrolled: 1-line block ×6, first 2 shown]
	s_wait_dscnt 0x0
	v_dual_cndmask_b32 v1, s33, v1, vcc_lo :: v_dual_mov_b32 v35, 0
	v_mov_b32_e32 v34, 0
	v_cmp_gt_u32_e64 s1, s31, v10
	v_cndmask_b32_e64 v20, 0x10000, 0, vcc_lo
	s_delay_alu instid0(VALU_DEP_4)
	v_and_b32_e32 v32, 0xffff, v1
	v_dual_mov_b32 v10, 0 :: v_dual_mov_b32 v33, 0
	v_dual_mov_b32 v31, 0 :: v_dual_mov_b32 v30, 0
	;; [unrolled: 1-line block ×8, first 2 shown]
	v_mov_b32_e32 v1, 0
	s_mov_b32 s7, 0
                                        ; implicit-def: $sgpr8
                                        ; implicit-def: $vgpr45
	s_and_saveexec_b32 s5, s1
	s_cbranch_execz .LBB668_108
; %bb.71:
	ds_load_b128 v[10:13], v52 offset:2
	v_cmp_eq_u16_e32 vcc_lo, v41, v7
	v_dual_mov_b32 v56, 0 :: v_dual_bitop2_b32 v1, 2, v55 bitop3:0x54
	v_dual_mov_b32 v48, 0 :: v_dual_mov_b32 v54, 0
	v_dual_mov_b32 v53, 0 :: v_dual_mov_b32 v50, 0
	;; [unrolled: 1-line block ×8, first 2 shown]
	s_wait_dscnt 0x0
	v_dual_cndmask_b32 v6, s33, v10 :: v_dual_mov_b32 v33, 0
	v_dual_mov_b32 v31, 0 :: v_dual_mov_b32 v30, 0
	v_cmp_gt_u32_e64 s1, s31, v1
	v_cndmask_b32_e64 v40, 0x10000, 0, vcc_lo
	s_delay_alu instid0(VALU_DEP_4)
	v_and_b32_e32 v41, 0xffff, v6
	v_dual_mov_b32 v29, 0 :: v_dual_mov_b32 v28, 0
	v_dual_mov_b32 v27, 0 :: v_dual_mov_b32 v26, 0
	v_dual_mov_b32 v25, 0 :: v_dual_mov_b32 v24, 0
	v_dual_mov_b32 v23, 0 :: v_dual_mov_b32 v22, 0
	v_dual_mov_b32 v21, 0 :: v_dual_mov_b32 v19, 0
	v_dual_mov_b32 v17, 0 :: v_dual_mov_b32 v16, 0
	v_mov_b32_e32 v1, 0
	s_mov_b32 s9, 0
                                        ; implicit-def: $sgpr8
                                        ; implicit-def: $vgpr45
	s_and_saveexec_b32 s7, s1
	s_cbranch_execz .LBB668_107
; %bb.72:
	v_dual_lshrrev_b32 v6, 16, v7 :: v_dual_lshrrev_b32 v1, 16, v10
	v_dual_mov_b32 v48, 0 :: v_dual_mov_b32 v54, 0
	v_dual_mov_b32 v53, 0 :: v_dual_mov_b32 v50, 0
	s_delay_alu instid0(VALU_DEP_3) | instskip(SKIP_3) | instid1(VALU_DEP_3)
	v_cmp_eq_u16_e32 vcc_lo, v7, v6
	v_dual_mov_b32 v49, 0 :: v_dual_bitop2_b32 v10, 3, v55 bitop3:0x54
	v_dual_mov_b32 v47, 0 :: v_dual_mov_b32 v46, 0
	v_dual_mov_b32 v44, 0 :: v_dual_cndmask_b32 v1, s33, v1
	v_cmp_gt_u32_e64 s1, s31, v10
	v_cndmask_b32_e64 v33, 0x10000, 0, vcc_lo
	v_dual_mov_b32 v43, 0 :: v_dual_mov_b32 v42, 0
	s_delay_alu instid0(VALU_DEP_4)
	v_and_b32_e32 v10, 0xffff, v1
	v_dual_mov_b32 v39, 0 :: v_dual_mov_b32 v38, 0
	v_dual_mov_b32 v37, 0 :: v_dual_mov_b32 v36, 0
	;; [unrolled: 1-line block ×10, first 2 shown]
	v_mov_b32_e32 v1, 0
	s_mov_b32 s10, 0
                                        ; implicit-def: $sgpr8
                                        ; implicit-def: $vgpr45
	s_and_saveexec_b32 s9, s1
	s_cbranch_execz .LBB668_106
; %bb.73:
	v_cmp_eq_u16_e32 vcc_lo, v6, v8
	v_dual_mov_b32 v53, 0 :: v_dual_add_nc_u32 v6, 4, v55
	v_dual_mov_b32 v50, 0 :: v_dual_mov_b32 v49, 0
	v_dual_cndmask_b32 v1, s33, v11 :: v_dual_mov_b32 v54, 0
	v_cndmask_b32_e64 v48, 0x10000, 0, vcc_lo
	s_delay_alu instid0(VALU_DEP_4) | instskip(SKIP_1) | instid1(VALU_DEP_4)
	v_cmp_gt_u32_e32 vcc_lo, s31, v6
	v_dual_mov_b32 v47, 0 :: v_dual_mov_b32 v46, 0
	v_and_b32_e32 v31, 0xffff, v1
	v_dual_mov_b32 v44, 0 :: v_dual_mov_b32 v43, 0
	v_dual_mov_b32 v42, 0 :: v_dual_mov_b32 v39, 0
	;; [unrolled: 1-line block ×11, first 2 shown]
	v_mov_b32_e32 v1, 0
	s_mov_b32 s1, 0
                                        ; implicit-def: $sgpr8
                                        ; implicit-def: $vgpr45
	s_and_saveexec_b32 s10, vcc_lo
	s_cbranch_execz .LBB668_105
; %bb.74:
	v_dual_lshrrev_b32 v6, 16, v8 :: v_dual_lshrrev_b32 v1, 16, v11
	v_dual_mov_b32 v53, 0 :: v_dual_mov_b32 v50, 0
	v_dual_mov_b32 v49, 0 :: v_dual_mov_b32 v47, 0
	s_delay_alu instid0(VALU_DEP_3) | instskip(SKIP_3) | instid1(VALU_DEP_3)
	v_cmp_eq_u16_e32 vcc_lo, v8, v6
	v_dual_mov_b32 v46, 0 :: v_dual_add_nc_u32 v7, 5, v55
	v_dual_mov_b32 v44, 0 :: v_dual_mov_b32 v43, 0
	v_dual_mov_b32 v42, 0 :: v_dual_cndmask_b32 v1, s33, v1
	v_cmp_gt_u32_e64 s1, s31, v7
	v_cndmask_b32_e64 v30, 0x10000, 0, vcc_lo
	v_dual_mov_b32 v39, 0 :: v_dual_mov_b32 v38, 0
	s_delay_alu instid0(VALU_DEP_4)
	v_and_b32_e32 v11, 0xffff, v1
	v_dual_mov_b32 v37, 0 :: v_dual_mov_b32 v36, 0
	v_dual_mov_b32 v35, 0 :: v_dual_mov_b32 v34, 0
	;; [unrolled: 1-line block ×8, first 2 shown]
	v_mov_b32_e32 v1, 0
	s_mov_b32 s12, 0
                                        ; implicit-def: $sgpr8
                                        ; implicit-def: $vgpr45
	s_and_saveexec_b32 s11, s1
	s_cbranch_execz .LBB668_104
; %bb.75:
	v_cmp_eq_u16_e32 vcc_lo, v6, v9
	v_dual_mov_b32 v50, 0 :: v_dual_mov_b32 v49, 0
	v_dual_mov_b32 v47, 0 :: v_dual_mov_b32 v46, 0
	v_dual_cndmask_b32 v1, s33, v12 :: v_dual_add_nc_u32 v6, 6, v55
	v_cndmask_b32_e64 v53, 0x10000, 0, vcc_lo
	v_dual_mov_b32 v44, 0 :: v_dual_mov_b32 v43, 0
	s_delay_alu instid0(VALU_DEP_3) | instskip(NEXT) | instid1(VALU_DEP_4)
	v_and_b32_e32 v29, 0xffff, v1
	v_cmp_gt_u32_e32 vcc_lo, s31, v6
	v_dual_mov_b32 v42, 0 :: v_dual_mov_b32 v39, 0
	v_dual_mov_b32 v38, 0 :: v_dual_mov_b32 v37, 0
	;; [unrolled: 1-line block ×9, first 2 shown]
	v_mov_b32_e32 v1, 0
	s_mov_b32 s1, 0
                                        ; implicit-def: $sgpr8
                                        ; implicit-def: $vgpr45
	s_and_saveexec_b32 s12, vcc_lo
	s_cbranch_execz .LBB668_103
; %bb.76:
	v_dual_lshrrev_b32 v6, 16, v9 :: v_dual_lshrrev_b32 v1, 16, v12
	v_dual_mov_b32 v49, 0 :: v_dual_mov_b32 v47, 0
	v_dual_mov_b32 v46, 0 :: v_dual_mov_b32 v44, 0
	s_delay_alu instid0(VALU_DEP_3) | instskip(SKIP_3) | instid1(VALU_DEP_3)
	v_cmp_eq_u16_e32 vcc_lo, v9, v6
	v_dual_add_nc_u32 v7, 7, v55 :: v_dual_mov_b32 v43, 0
	v_dual_mov_b32 v42, 0 :: v_dual_mov_b32 v39, 0
	v_dual_mov_b32 v38, 0 :: v_dual_cndmask_b32 v1, s33, v1
	v_cmp_gt_u32_e64 s1, s31, v7
	v_cndmask_b32_e64 v28, 0x10000, 0, vcc_lo
	v_dual_mov_b32 v37, 0 :: v_dual_mov_b32 v36, 0
	s_delay_alu instid0(VALU_DEP_4)
	v_and_b32_e32 v12, 0xffff, v1
	v_dual_mov_b32 v35, 0 :: v_dual_mov_b32 v34, 0
	v_dual_mov_b32 v27, 0 :: v_dual_mov_b32 v26, 0
	;; [unrolled: 1-line block ×6, first 2 shown]
	v_mov_b32_e32 v1, 0
	s_mov_b32 s14, 0
                                        ; implicit-def: $sgpr8
                                        ; implicit-def: $vgpr45
	s_and_saveexec_b32 s13, s1
	s_cbranch_execz .LBB668_102
; %bb.77:
	v_cmp_eq_u16_e32 vcc_lo, v6, v2
	v_dual_mov_b32 v47, 0 :: v_dual_mov_b32 v46, 0
	v_dual_mov_b32 v44, 0 :: v_dual_mov_b32 v43, 0
	v_dual_cndmask_b32 v1, s33, v13 :: v_dual_add_nc_u32 v6, 8, v55
	v_cndmask_b32_e64 v49, 0x10000, 0, vcc_lo
	v_dual_mov_b32 v42, 0 :: v_dual_mov_b32 v39, 0
	s_delay_alu instid0(VALU_DEP_3) | instskip(NEXT) | instid1(VALU_DEP_4)
	v_and_b32_e32 v27, 0xffff, v1
	v_cmp_gt_u32_e32 vcc_lo, s31, v6
	v_dual_mov_b32 v38, 0 :: v_dual_mov_b32 v37, 0
	v_dual_mov_b32 v36, 0 :: v_dual_mov_b32 v35, 0
	;; [unrolled: 1-line block ×7, first 2 shown]
	v_mov_b32_e32 v1, 0
	s_mov_b32 s1, 0
                                        ; implicit-def: $sgpr8
                                        ; implicit-def: $vgpr45
	s_and_saveexec_b32 s14, vcc_lo
	s_cbranch_execz .LBB668_101
; %bb.78:
	v_dual_lshrrev_b32 v26, 16, v2 :: v_dual_lshrrev_b32 v1, 16, v13
	v_dual_mov_b32 v46, 0 :: v_dual_mov_b32 v44, 0
	v_dual_mov_b32 v43, 0 :: v_dual_mov_b32 v42, 0
	s_delay_alu instid0(VALU_DEP_3) | instskip(SKIP_3) | instid1(VALU_DEP_3)
	v_cmp_eq_u16_e32 vcc_lo, v2, v26
	v_dual_mov_b32 v39, 0 :: v_dual_add_nc_u32 v6, 9, v55
	v_dual_mov_b32 v38, 0 :: v_dual_mov_b32 v37, 0
	v_dual_mov_b32 v36, 0 :: v_dual_cndmask_b32 v1, s33, v1
	v_cmp_gt_u32_e64 s1, s31, v6
	v_cndmask_b32_e64 v13, 0x10000, 0, vcc_lo
	v_dual_mov_b32 v35, 0 :: v_dual_mov_b32 v34, 0
	s_delay_alu instid0(VALU_DEP_4)
	v_and_b32_e32 v2, 0xffff, v1
	v_dual_mov_b32 v25, 0 :: v_dual_mov_b32 v24, 0
	v_dual_mov_b32 v23, 0 :: v_dual_mov_b32 v22, 0
	v_dual_mov_b32 v21, 0 :: v_dual_mov_b32 v19, 0
	v_dual_mov_b32 v17, 0 :: v_dual_mov_b32 v16, 0
	v_mov_b32_e32 v1, 0
	s_mov_b32 s16, 0
                                        ; implicit-def: $sgpr8
                                        ; implicit-def: $vgpr45
	s_and_saveexec_b32 s15, s1
	s_cbranch_execz .LBB668_100
; %bb.79:
	ds_load_b128 v[6:9], v52 offset:18
	v_cmp_eq_u16_e32 vcc_lo, v26, v3
	v_dual_mov_b32 v44, 0 :: v_dual_add_nc_u32 v1, 10, v55
	v_dual_mov_b32 v19, 0 :: v_dual_mov_b32 v43, 0
	v_dual_mov_b32 v42, 0 :: v_dual_mov_b32 v39, 0
	;; [unrolled: 1-line block ×7, first 2 shown]
	v_mov_b32_e32 v16, 0
	v_cmp_gt_u32_e64 s1, s31, v1
	s_wait_dscnt 0x0
	v_cndmask_b32_e32 v26, s33, v6, vcc_lo
	v_cndmask_b32_e64 v25, 0x10000, 0, vcc_lo
	v_mov_b32_e32 v1, 0
	s_mov_b32 s17, 0
                                        ; implicit-def: $sgpr8
                                        ; implicit-def: $vgpr45
	s_delay_alu instid0(VALU_DEP_3)
	v_and_b32_e32 v26, 0xffff, v26
	s_and_saveexec_b32 s16, s1
	s_cbranch_execz .LBB668_99
; %bb.80:
	v_dual_lshrrev_b32 v24, 16, v3 :: v_dual_lshrrev_b32 v1, 16, v6
	v_dual_mov_b32 v43, 0 :: v_dual_mov_b32 v42, 0
	v_dual_mov_b32 v39, 0 :: v_dual_mov_b32 v38, 0
	s_delay_alu instid0(VALU_DEP_3) | instskip(SKIP_3) | instid1(VALU_DEP_3)
	v_cmp_eq_u16_e32 vcc_lo, v3, v24
	v_dual_mov_b32 v37, 0 :: v_dual_add_nc_u32 v6, 11, v55
	v_dual_mov_b32 v36, 0 :: v_dual_mov_b32 v35, 0
	v_dual_mov_b32 v34, 0 :: v_dual_cndmask_b32 v1, s33, v1
	v_cmp_gt_u32_e64 s1, s31, v6
	v_cndmask_b32_e64 v6, 0x10000, 0, vcc_lo
	v_dual_mov_b32 v23, 0 :: v_dual_mov_b32 v22, 0
	s_delay_alu instid0(VALU_DEP_4)
	v_and_b32_e32 v3, 0xffff, v1
	v_dual_mov_b32 v21, 0 :: v_dual_mov_b32 v19, 0
	v_dual_mov_b32 v17, 0 :: v_dual_mov_b32 v16, 0
	v_mov_b32_e32 v1, 0
	s_mov_b32 s18, 0
                                        ; implicit-def: $sgpr8
                                        ; implicit-def: $vgpr45
	s_and_saveexec_b32 s17, s1
	s_cbranch_execz .LBB668_98
; %bb.81:
	v_cmp_eq_u16_e32 vcc_lo, v24, v4
	v_dual_mov_b32 v39, 0 :: v_dual_add_nc_u32 v16, 12, v55
	v_dual_mov_b32 v38, 0 :: v_dual_mov_b32 v37, 0
	v_dual_cndmask_b32 v1, s33, v7 :: v_dual_mov_b32 v42, 0
	v_cndmask_b32_e64 v24, 0x10000, 0, vcc_lo
	s_delay_alu instid0(VALU_DEP_4) | instskip(SKIP_1) | instid1(VALU_DEP_4)
	v_cmp_gt_u32_e32 vcc_lo, s31, v16
	v_dual_mov_b32 v36, 0 :: v_dual_mov_b32 v35, 0
	v_and_b32_e32 v23, 0xffff, v1
	v_dual_mov_b32 v34, 0 :: v_dual_mov_b32 v22, 0
	v_dual_mov_b32 v21, 0 :: v_dual_mov_b32 v19, 0
	;; [unrolled: 1-line block ×3, first 2 shown]
	v_mov_b32_e32 v1, 0
	s_mov_b32 s1, 0
                                        ; implicit-def: $sgpr8
                                        ; implicit-def: $vgpr45
	s_and_saveexec_b32 s18, vcc_lo
	s_cbranch_execz .LBB668_97
; %bb.82:
	v_dual_lshrrev_b32 v22, 16, v4 :: v_dual_lshrrev_b32 v1, 16, v7
	v_dual_mov_b32 v39, 0 :: v_dual_mov_b32 v38, 0
	v_dual_mov_b32 v37, 0 :: v_dual_mov_b32 v36, 0
	s_delay_alu instid0(VALU_DEP_3) | instskip(SKIP_3) | instid1(VALU_DEP_3)
	v_cmp_eq_u16_e32 vcc_lo, v4, v22
	v_dual_add_nc_u32 v7, 13, v55 :: v_dual_mov_b32 v35, 0
	v_dual_mov_b32 v34, 0 :: v_dual_mov_b32 v21, 0
	v_dual_mov_b32 v19, 0 :: v_dual_cndmask_b32 v1, s33, v1, vcc_lo
	v_cmp_gt_u32_e64 s1, s31, v7
	v_cndmask_b32_e64 v7, 0x10000, 0, vcc_lo
	v_dual_mov_b32 v17, 0 :: v_dual_mov_b32 v16, 0
	s_delay_alu instid0(VALU_DEP_4)
	v_and_b32_e32 v4, 0xffff, v1
	v_mov_b32_e32 v1, 0
	s_mov_b32 s20, 0
                                        ; implicit-def: $sgpr8
                                        ; implicit-def: $vgpr45
	s_and_saveexec_b32 s19, s1
	s_cbranch_execz .LBB668_96
; %bb.83:
	v_cmp_eq_u16_e32 vcc_lo, v22, v5
	v_dual_mov_b32 v38, 0 :: v_dual_mov_b32 v37, 0
	v_dual_mov_b32 v36, 0 :: v_dual_mov_b32 v35, 0
	v_dual_cndmask_b32 v1, s33, v8 :: v_dual_add_nc_u32 v16, 14, v55
	v_cndmask_b32_e64 v22, 0x10000, 0, vcc_lo
	v_dual_mov_b32 v34, 0 :: v_dual_mov_b32 v19, 0
	s_delay_alu instid0(VALU_DEP_3) | instskip(NEXT) | instid1(VALU_DEP_4)
	v_and_b32_e32 v21, 0xffff, v1
	v_cmp_gt_u32_e32 vcc_lo, s31, v16
	v_dual_mov_b32 v17, 0 :: v_dual_mov_b32 v16, 0
	v_mov_b32_e32 v1, 0
	s_mov_b32 s1, 0
                                        ; implicit-def: $sgpr8
                                        ; implicit-def: $vgpr45
	s_and_saveexec_b32 s20, vcc_lo
	s_cbranch_execz .LBB668_95
; %bb.84:
	v_dual_lshrrev_b32 v19, 16, v5 :: v_dual_lshrrev_b32 v1, 16, v8
	v_dual_mov_b32 v37, 0 :: v_dual_mov_b32 v36, 0
	v_dual_mov_b32 v35, 0 :: v_dual_mov_b32 v34, 0
	s_delay_alu instid0(VALU_DEP_3) | instskip(SKIP_4) | instid1(VALU_DEP_3)
	v_cmp_eq_u16_e32 vcc_lo, v5, v19
	v_dual_mov_b32 v17, 0 :: v_dual_add_nc_u32 v8, 15, v55
	v_mov_b32_e32 v16, 0
	s_mov_b32 s22, 0
	v_cndmask_b32_e32 v1, s33, v1, vcc_lo
	v_cmp_gt_u32_e64 s1, s31, v8
	v_cndmask_b32_e64 v8, 0x10000, 0, vcc_lo
                                        ; implicit-def: $sgpr8
                                        ; implicit-def: $vgpr45
	s_delay_alu instid0(VALU_DEP_3)
	v_and_b32_e32 v5, 0xffff, v1
	v_mov_b32_e32 v1, 0
	s_and_saveexec_b32 s21, s1
	s_cbranch_execz .LBB668_94
; %bb.85:
	v_cmp_eq_u16_e32 vcc_lo, v19, v14
	v_dual_mov_b32 v36, 0 :: v_dual_mov_b32 v35, 0
	v_mov_b32_e32 v34, 0
	s_mov_b32 s1, 0
	v_dual_cndmask_b32 v1, s33, v9 :: v_dual_add_nc_u32 v16, 16, v55
	v_cndmask_b32_e64 v19, 0x10000, 0, vcc_lo
                                        ; implicit-def: $sgpr8
                                        ; implicit-def: $vgpr45
	s_delay_alu instid0(VALU_DEP_2) | instskip(NEXT) | instid1(VALU_DEP_3)
	v_and_b32_e32 v17, 0xffff, v1
	v_cmp_gt_u32_e32 vcc_lo, s31, v16
	v_dual_mov_b32 v16, 0 :: v_dual_mov_b32 v1, 0
	s_and_saveexec_b32 s22, vcc_lo
	s_cbranch_execz .LBB668_93
; %bb.86:
	v_dual_lshrrev_b32 v16, 16, v14 :: v_dual_lshrrev_b32 v1, 16, v9
	v_dual_mov_b32 v35, 0 :: v_dual_mov_b32 v34, 0
	s_mov_b32 s45, 0
	s_delay_alu instid0(VALU_DEP_2) | instskip(SKIP_2) | instid1(VALU_DEP_2)
	v_cmp_eq_u16_e32 vcc_lo, v14, v16
	v_add_nc_u32_e32 v9, 17, v55
                                        ; implicit-def: $sgpr8
                                        ; implicit-def: $vgpr45
	v_cndmask_b32_e32 v1, s33, v1, vcc_lo
	v_cmp_gt_u32_e64 s1, s31, v9
	v_cndmask_b32_e64 v14, 0x10000, 0, vcc_lo
	s_delay_alu instid0(VALU_DEP_3)
	v_and_b32_e32 v9, 0xffff, v1
	v_mov_b32_e32 v1, 0
	s_and_saveexec_b32 s44, s1
	s_cbranch_execz .LBB668_92
; %bb.87:
	ds_load_u16 v1, v52 offset:34
	v_cmp_eq_u16_e32 vcc_lo, v16, v15
	v_mov_b32_e32 v34, 0
	s_mov_b32 s1, exec_lo
                                        ; implicit-def: $sgpr8
                                        ; implicit-def: $vgpr45
	s_wait_dscnt 0x0
	v_dual_cndmask_b32 v16, s33, v1 :: v_dual_add_nc_u32 v35, 18, v55
	v_cndmask_b32_e64 v1, 0x10000, 0, vcc_lo
	s_delay_alu instid0(VALU_DEP_2) | instskip(NEXT) | instid1(VALU_DEP_3)
	v_and_b32_e32 v16, 0xffff, v16
	v_cmpx_gt_u32_e64 s31, v35
	s_cbranch_execz .LBB668_91
; %bb.88:
	ds_load_b32 v35, v52 offset:36
	v_lshrrev_b32_e32 v36, 16, v15
	v_add_nc_u32_e32 v37, 19, v55
                                        ; implicit-def: $sgpr8
                                        ; implicit-def: $vgpr45
	s_delay_alu instid0(VALU_DEP_2)
	v_cmp_eq_u16_e32 vcc_lo, v15, v36
	v_cndmask_b32_e64 v15, 0x10000, 0, vcc_lo
	s_wait_dscnt 0x0
	v_cndmask_b32_e32 v34, s33, v35, vcc_lo
	v_cmp_gt_u32_e32 vcc_lo, s31, v37
	s_mov_b32 s31, 0
	s_delay_alu instid0(VALU_DEP_2) | instskip(SKIP_1) | instid1(SALU_CYCLE_1)
	v_and_b32_e32 v34, 0xffff, v34
	s_and_saveexec_b32 s45, vcc_lo
	s_xor_b32 s45, exec_lo, s45
; %bb.89:
	v_lshrrev_b32_e32 v35, 16, v35
	v_cmp_ne_u16_e64 s8, v36, v51
	s_mov_b32 s31, exec_lo
	v_cndmask_b32_e64 v45, v35, s33, s8
; %bb.90:
	s_or_b32 exec_lo, exec_lo, s45
	v_or_b32_e32 v34, v15, v34
	s_and_b32 s45, s31, exec_lo
.LBB668_91:
	s_or_b32 exec_lo, exec_lo, s1
	s_delay_alu instid0(VALU_DEP_1)
	v_dual_mov_b32 v1, v34 :: v_dual_bitop2_b32 v35, v1, v16 bitop3:0x54
	s_and_b32 s45, s45, exec_lo
.LBB668_92:
	s_or_b32 exec_lo, exec_lo, s44
	s_delay_alu instid0(VALU_DEP_1)
	v_dual_mov_b32 v16, v35 :: v_dual_bitop2_b32 v36, v14, v9 bitop3:0x54
	s_and_b32 s1, s45, exec_lo
.LBB668_93:
	s_or_b32 exec_lo, exec_lo, s22
	s_delay_alu instid0(VALU_DEP_1)
	v_dual_mov_b32 v17, v36 :: v_dual_bitop2_b32 v37, v19, v17 bitop3:0x54
	s_and_b32 s22, s1, exec_lo
.LBB668_94:
	s_or_b32 exec_lo, exec_lo, s21
	s_delay_alu instid0(VALU_DEP_1)
	v_dual_mov_b32 v19, v37 :: v_dual_bitop2_b32 v38, v8, v5 bitop3:0x54
	s_and_b32 s1, s22, exec_lo
.LBB668_95:
	s_or_b32 exec_lo, exec_lo, s20
	v_or_b32_e32 v39, v22, v21
	s_delay_alu instid0(VALU_DEP_2)
	v_mov_b32_e32 v21, v38
	s_and_b32 s20, s1, exec_lo
.LBB668_96:
	s_or_b32 exec_lo, exec_lo, s19
	v_or_b32_e32 v42, v7, v4
	v_mov_b32_e32 v22, v39
	s_and_b32 s1, s20, exec_lo
.LBB668_97:
	s_or_b32 exec_lo, exec_lo, s18
	s_delay_alu instid0(VALU_DEP_2)
	v_dual_mov_b32 v23, v42 :: v_dual_bitop2_b32 v43, v24, v23 bitop3:0x54
	s_and_b32 s18, s1, exec_lo
.LBB668_98:
	s_or_b32 exec_lo, exec_lo, s17
	s_delay_alu instid0(VALU_DEP_1)
	v_dual_mov_b32 v24, v43 :: v_dual_bitop2_b32 v44, v6, v3 bitop3:0x54
	s_and_b32 s17, s18, exec_lo
.LBB668_99:
	s_or_b32 exec_lo, exec_lo, s16
	s_delay_alu instid0(VALU_DEP_1)
	v_dual_mov_b32 v25, v44 :: v_dual_bitop2_b32 v46, v25, v26 bitop3:0x54
	s_and_b32 s16, s17, exec_lo
.LBB668_100:
	s_or_b32 exec_lo, exec_lo, s15
	s_delay_alu instid0(VALU_DEP_1)
	v_dual_mov_b32 v26, v46 :: v_dual_bitop2_b32 v47, v13, v2 bitop3:0x54
	s_and_b32 s1, s16, exec_lo
.LBB668_101:
	s_or_b32 exec_lo, exec_lo, s14
	s_delay_alu instid0(VALU_DEP_1)
	v_dual_mov_b32 v27, v47 :: v_dual_bitop2_b32 v49, v49, v27 bitop3:0x54
	s_and_b32 s14, s1, exec_lo
.LBB668_102:
	s_or_b32 exec_lo, exec_lo, s13
	s_delay_alu instid0(VALU_DEP_1)
	v_dual_mov_b32 v28, v49 :: v_dual_bitop2_b32 v50, v28, v12 bitop3:0x54
	s_and_b32 s1, s14, exec_lo
.LBB668_103:
	s_or_b32 exec_lo, exec_lo, s12
	s_delay_alu instid0(VALU_DEP_1)
	v_dual_mov_b32 v29, v50 :: v_dual_bitop2_b32 v53, v53, v29 bitop3:0x54
	s_and_b32 s12, s1, exec_lo
.LBB668_104:
	s_or_b32 exec_lo, exec_lo, s11
	s_delay_alu instid0(VALU_DEP_1)
	v_dual_mov_b32 v30, v53 :: v_dual_bitop2_b32 v54, v30, v11 bitop3:0x54
	s_and_b32 s1, s12, exec_lo
.LBB668_105:
	s_or_b32 exec_lo, exec_lo, s10
	s_delay_alu instid0(VALU_DEP_1)
	v_dual_mov_b32 v31, v54 :: v_dual_bitop2_b32 v48, v48, v31 bitop3:0x54
	s_and_b32 s10, s1, exec_lo
.LBB668_106:
	s_or_b32 exec_lo, exec_lo, s9
	s_delay_alu instid0(VALU_DEP_1)
	v_dual_mov_b32 v33, v48 :: v_dual_bitop2_b32 v56, v33, v10 bitop3:0x54
	s_and_b32 s9, s10, exec_lo
.LBB668_107:
	s_or_b32 exec_lo, exec_lo, s7
	v_or_b32_e32 v40, v40, v41
	s_delay_alu instid0(VALU_DEP_2)
	v_mov_b32_e32 v10, v56
	s_and_b32 s7, s9, exec_lo
.LBB668_108:
	s_or_b32 exec_lo, exec_lo, s5
	v_or_b32_e32 v32, v20, v32
	v_mov_b32_e32 v11, v40
	s_and_b32 s5, s7, exec_lo
.LBB668_109:
	s_or_b32 exec_lo, exec_lo, s6
	v_lshlrev_b32_e32 v20, 1, v0
	s_and_b32 vcc_lo, exec_lo, s4
	s_cbranch_vccnz .LBB668_111
	s_branch .LBB668_116
.LBB668_110:
                                        ; implicit-def: $sgpr8
                                        ; implicit-def: $vgpr45
                                        ; implicit-def: $vgpr32
                                        ; implicit-def: $vgpr40
                                        ; implicit-def: $vgpr56
                                        ; implicit-def: $vgpr48
                                        ; implicit-def: $vgpr54
                                        ; implicit-def: $vgpr53
                                        ; implicit-def: $vgpr50
                                        ; implicit-def: $vgpr49
                                        ; implicit-def: $vgpr47
                                        ; implicit-def: $vgpr46
                                        ; implicit-def: $vgpr44
                                        ; implicit-def: $vgpr43
                                        ; implicit-def: $vgpr42
                                        ; implicit-def: $vgpr39
                                        ; implicit-def: $vgpr38
                                        ; implicit-def: $vgpr37
                                        ; implicit-def: $vgpr36
                                        ; implicit-def: $vgpr35
                                        ; implicit-def: $vgpr34
                                        ; implicit-def: $vgpr11
                                        ; implicit-def: $vgpr10
                                        ; implicit-def: $vgpr33
                                        ; implicit-def: $vgpr31
                                        ; implicit-def: $vgpr30
                                        ; implicit-def: $vgpr29
                                        ; implicit-def: $vgpr28
                                        ; implicit-def: $vgpr27
                                        ; implicit-def: $vgpr26
                                        ; implicit-def: $vgpr25
                                        ; implicit-def: $vgpr24
                                        ; implicit-def: $vgpr23
                                        ; implicit-def: $vgpr22
                                        ; implicit-def: $vgpr21
                                        ; implicit-def: $vgpr19
                                        ; implicit-def: $vgpr17
                                        ; implicit-def: $vgpr16
                                        ; implicit-def: $vgpr1
	v_lshlrev_b32_e32 v20, 1, v0
	s_cbranch_execz .LBB668_116
.LBB668_111:
	s_clause 0x13
	flat_load_u16 v1, v0, s[42:43] scale_offset
	flat_load_u16 v2, v0, s[42:43] offset:512 scale_offset
	flat_load_u16 v3, v0, s[42:43] offset:1024 scale_offset
	;; [unrolled: 1-line block ×19, first 2 shown]
	v_mov_b32_e32 v23, 0
	v_mad_u32_u24 v24, v0, 38, v20
	s_mov_b32 s1, exec_lo
	s_wait_loadcnt_dscnt 0x1313
	ds_store_b16 v20, v1
	s_wait_loadcnt_dscnt 0x1213
	ds_store_b16 v20, v2 offset:512
	s_wait_loadcnt_dscnt 0x1113
	ds_store_b16 v20, v3 offset:1024
	;; [unrolled: 2-line block ×19, first 2 shown]
	s_wait_dscnt 0x0
	s_barrier_signal -1
	s_barrier_wait -1
	flat_load_u16 v1, v23, s[42:43] offset:10240
	ds_load_2addr_b64 v[6:9], v24 offset1:1
	ds_load_2addr_b64 v[2:5], v24 offset0:2 offset1:3
	s_wait_xcnt 0x0
	ds_load_b64 v[22:23], v24 offset:32
	v_mad_i32_i24 v10, 0xffffffda, v0, v24
	s_wait_dscnt 0x2
	ds_store_b16 v10, v6 offset:10752
	s_wait_loadcnt_dscnt 0x0
	s_barrier_signal -1
	s_barrier_wait -1
	v_cmpx_ne_u32_e32 0xff, v0
; %bb.112:
	v_mul_i32_i24_e32 v1, 0xffffffda, v0
	s_delay_alu instid0(VALU_DEP_1)
	v_add_nc_u32_e32 v1, v24, v1
	ds_load_u16 v1, v1 offset:10754
; %bb.113:
	s_or_b32 exec_lo, exec_lo, s1
	s_wait_dscnt 0x0
	s_barrier_signal -1
	s_barrier_wait -1
	s_clause 0x13
	flat_load_u16 v10, v0, s[36:37] scale_offset
	flat_load_u16 v11, v0, s[36:37] offset:512 scale_offset
	flat_load_u16 v12, v0, s[36:37] offset:1024 scale_offset
	flat_load_u16 v13, v0, s[36:37] offset:1536 scale_offset
	flat_load_u16 v14, v0, s[36:37] offset:2048 scale_offset
	flat_load_u16 v15, v0, s[36:37] offset:2560 scale_offset
	flat_load_u16 v16, v0, s[36:37] offset:3072 scale_offset
	flat_load_u16 v17, v0, s[36:37] offset:3584 scale_offset
	flat_load_u16 v19, v0, s[36:37] offset:4096 scale_offset
	flat_load_u16 v21, v0, s[36:37] offset:4608 scale_offset
	flat_load_u16 v25, v0, s[36:37] offset:5120 scale_offset
	flat_load_u16 v26, v0, s[36:37] offset:5632 scale_offset
	flat_load_u16 v27, v0, s[36:37] offset:6144 scale_offset
	flat_load_u16 v28, v0, s[36:37] offset:6656 scale_offset
	flat_load_u16 v29, v0, s[36:37] offset:7168 scale_offset
	flat_load_u16 v30, v0, s[36:37] offset:7680 scale_offset
	flat_load_u16 v31, v0, s[36:37] offset:8192 scale_offset
	flat_load_u16 v32, v0, s[36:37] offset:8704 scale_offset
	flat_load_u16 v33, v0, s[36:37] offset:9216 scale_offset
	flat_load_u16 v34, v0, s[36:37] offset:9728 scale_offset
	s_wait_loadcnt_dscnt 0x1313
	ds_store_b16 v20, v10
	s_wait_loadcnt_dscnt 0x1213
	ds_store_b16 v20, v11 offset:512
	s_wait_loadcnt_dscnt 0x1113
	ds_store_b16 v20, v12 offset:1024
	;; [unrolled: 2-line block ×19, first 2 shown]
	s_wait_dscnt 0x0
	s_barrier_signal -1
	s_barrier_wait -1
	ds_load_b128 v[14:17], v24 offset:2
	ds_load_b128 v[10:13], v24 offset:18
	ds_load_u16 v21, v24 offset:34
	ds_load_b32 v19, v24 offset:36
	v_dual_mov_b32 v25, s33 :: v_dual_lshrrev_b32 v26, 16, v6
	s_delay_alu instid0(VALU_DEP_1)
	v_cmp_eq_u16_e32 vcc_lo, v6, v26
	v_mov_b32_e32 v6, 0x10000
	s_and_saveexec_b32 s1, vcc_lo
; %bb.114:
	ds_load_u16 v25, v24
	v_mov_b32_e32 v6, 0
; %bb.115:
	s_or_b32 exec_lo, exec_lo, s1
	v_dual_lshrrev_b32 v32, 16, v7 :: v_dual_lshrrev_b32 v36, 16, v8
	v_cmp_eq_u16_e32 vcc_lo, v26, v7
	s_wait_dscnt 0x3
	v_dual_lshrrev_b32 v24, 16, v23 :: v_dual_lshrrev_b32 v27, 16, v14
	v_lshrrev_b32_e32 v39, 16, v3
	v_cmp_eq_u16_e64 s1, v32, v8
	v_cndmask_b32_e32 v14, s33, v14, vcc_lo
	v_cndmask_b32_e64 v40, 0x10000, 0, vcc_lo
	v_cmp_eq_u16_e32 vcc_lo, v7, v32
	v_dual_lshrrev_b32 v28, 16, v15 :: v_dual_lshrrev_b32 v29, 16, v16
	v_lshrrev_b32_e32 v45, 16, v22
	s_wait_dscnt 0x0
	v_and_b32_e32 v25, 0xffff, v25
	v_and_b32_e32 v14, 0xffff, v14
	v_cndmask_b32_e32 v7, s33, v27, vcc_lo
	v_dual_cndmask_b32 v15, s33, v15, s1 :: v_dual_lshrrev_b32 v37, 16, v9
	s_delay_alu instid0(VALU_DEP_4) | instskip(NEXT) | instid1(VALU_DEP_3)
	v_dual_lshrrev_b32 v38, 16, v2 :: v_dual_bitop2_b32 v32, v6, v25 bitop3:0x54
	v_and_b32_e32 v6, 0xffff, v7
	v_cndmask_b32_e64 v7, 0x10000, 0, vcc_lo
	v_cmp_eq_u16_e32 vcc_lo, v8, v36
	v_or_b32_e32 v40, v40, v14
	v_and_b32_e32 v14, 0xffff, v15
	v_cndmask_b32_e64 v15, 0x10000, 0, s1
	v_cmp_eq_u16_e64 s1, v36, v9
	v_dual_cndmask_b32 v8, s33, v28, vcc_lo :: v_dual_bitop2_b32 v56, v7, v6 bitop3:0x54
	v_cndmask_b32_e64 v7, 0x10000, 0, vcc_lo
	v_cmp_eq_u16_e32 vcc_lo, v9, v37
	s_delay_alu instid0(VALU_DEP_4) | instskip(NEXT) | instid1(VALU_DEP_4)
	v_dual_cndmask_b32 v16, s33, v16, s1 :: v_dual_bitop2_b32 v48, v15, v14 bitop3:0x54
	v_and_b32_e32 v6, 0xffff, v8
	v_cndmask_b32_e64 v14, 0x10000, 0, s1
	v_cndmask_b32_e32 v9, s33, v29, vcc_lo
	v_cmp_eq_u16_e64 s1, v37, v2
	v_dual_lshrrev_b32 v30, 16, v17 :: v_dual_lshrrev_b32 v31, 16, v10
	v_and_b32_e32 v8, 0xffff, v16
	s_delay_alu instid0(VALU_DEP_3)
	v_dual_cndmask_b32 v15, s33, v17, s1 :: v_dual_bitop2_b32 v54, v7, v6 bitop3:0x54
	v_and_b32_e32 v6, 0xffff, v9
	v_cndmask_b32_e64 v7, 0x10000, 0, vcc_lo
	v_cndmask_b32_e64 v9, 0x10000, 0, s1
	v_cmp_eq_u16_e32 vcc_lo, v2, v38
	v_cmp_eq_u16_e64 s1, v38, v3
	v_or_b32_e32 v53, v14, v8
	v_and_b32_e32 v8, 0xffff, v15
	v_or_b32_e32 v50, v7, v6
	v_cndmask_b32_e32 v2, s33, v30, vcc_lo
	v_cndmask_b32_e64 v10, s33, v10, s1
	v_cndmask_b32_e64 v6, 0x10000, 0, vcc_lo
	v_cmp_eq_u16_e32 vcc_lo, v3, v39
	v_dual_lshrrev_b32 v26, 16, v4 :: v_dual_lshrrev_b32 v42, 16, v5
	v_or_b32_e32 v49, v9, v8
	v_and_b32_e32 v2, 0xffff, v2
	v_and_b32_e32 v7, 0xffff, v10
	v_cndmask_b32_e64 v8, 0x10000, 0, s1
	v_cndmask_b32_e32 v3, s33, v31, vcc_lo
	v_cmp_eq_u16_e64 s1, v39, v4
	v_dual_lshrrev_b32 v33, 16, v11 :: v_dual_lshrrev_b32 v34, 16, v12
	v_or_b32_e32 v47, v6, v2
	s_delay_alu instid0(VALU_DEP_4) | instskip(NEXT) | instid1(VALU_DEP_4)
	v_and_b32_e32 v2, 0xffff, v3
	v_cndmask_b32_e64 v9, s33, v11, s1
	v_cndmask_b32_e64 v3, 0x10000, 0, vcc_lo
	v_cmp_eq_u16_e32 vcc_lo, v4, v26
	v_or_b32_e32 v46, v8, v7
	v_cndmask_b32_e64 v7, 0x10000, 0, s1
	v_cmp_eq_u16_e64 s1, v26, v5
	v_and_b32_e32 v6, 0xffff, v9
	v_dual_cndmask_b32 v4, s33, v33, vcc_lo :: v_dual_bitop2_b32 v44, v3, v2 bitop3:0x54
	v_cndmask_b32_e64 v3, 0x10000, 0, vcc_lo
	s_delay_alu instid0(VALU_DEP_4)
	v_cndmask_b32_e64 v8, s33, v12, s1
	v_cmp_eq_u16_e32 vcc_lo, v5, v42
	v_or_b32_e32 v43, v7, v6
	v_and_b32_e32 v2, 0xffff, v4
	v_cndmask_b32_e64 v6, 0x10000, 0, s1
	v_and_b32_e32 v4, 0xffff, v8
	v_cndmask_b32_e32 v5, s33, v34, vcc_lo
	v_cmp_eq_u16_e64 s1, v42, v22
	v_dual_lshrrev_b32 v35, 16, v13 :: v_dual_lshrrev_b32 v41, 16, v19
	v_or_b32_e32 v42, v3, v2
	s_delay_alu instid0(VALU_DEP_3)
	v_dual_cndmask_b32 v7, s33, v13, s1 :: v_dual_bitop2_b32 v39, v6, v4 bitop3:0x54
	v_and_b32_e32 v2, 0xffff, v5
	v_cndmask_b32_e64 v3, 0x10000, 0, vcc_lo
	v_cndmask_b32_e64 v5, 0x10000, 0, s1
	v_cmp_eq_u16_e32 vcc_lo, v22, v45
	v_cmp_eq_u16_e64 s1, v45, v23
	v_cmp_eq_u16_e64 s4, v23, v24
	v_and_b32_e32 v4, 0xffff, v7
	v_dual_cndmask_b32 v6, s33, v35, vcc_lo :: v_dual_bitop2_b32 v38, v3, v2 bitop3:0x54
	s_delay_alu instid0(VALU_DEP_4) | instskip(NEXT) | instid1(VALU_DEP_3)
	v_cndmask_b32_e64 v7, s33, v21, s1
	v_dual_cndmask_b32 v8, s33, v19, s4 :: v_dual_bitop2_b32 v37, v5, v4 bitop3:0x54
	v_cndmask_b32_e64 v9, 0x10000, 0, vcc_lo
	s_delay_alu instid0(VALU_DEP_4) | instskip(NEXT) | instid1(VALU_DEP_4)
	v_and_b32_e32 v6, 0xffff, v6
	v_and_b32_e32 v7, 0xffff, v7
	v_cndmask_b32_e64 v10, 0x10000, 0, s1
	v_and_b32_e32 v8, 0xffff, v8
	v_cndmask_b32_e64 v11, 0x10000, 0, s4
	v_or_b32_e32 v36, v9, v6
	v_cmp_ne_u16_e64 s8, v24, v1
	v_dual_mov_b32 v10, v56 :: v_dual_bitop2_b32 v35, v10, v7 bitop3:0x54
	s_delay_alu instid0(VALU_DEP_4) | instskip(NEXT) | instid1(VALU_DEP_3)
	v_dual_mov_b32 v33, v48 :: v_dual_bitop2_b32 v34, v11, v8 bitop3:0x54
	v_cndmask_b32_e64 v45, v41, s33, s8
	v_dual_mov_b32 v11, v40 :: v_dual_mov_b32 v31, v54
	v_dual_mov_b32 v30, v53 :: v_dual_mov_b32 v29, v50
	;; [unrolled: 1-line block ×8, first 2 shown]
	s_mov_b32 s5, -1
.LBB668_116:
	v_mov_b32_e32 v12, 0
	s_and_saveexec_b32 s1, s5
	s_cbranch_execz .LBB668_118
; %bb.117:
	v_and_b32_e32 v2, 0xffff, v45
	v_cndmask_b32_e64 v3, 0, 0x10000, s8
	v_dual_mov_b32 v1, v34 :: v_dual_mov_b32 v16, v35
	v_dual_mov_b32 v17, v36 :: v_dual_mov_b32 v19, v37
	s_delay_alu instid0(VALU_DEP_3)
	v_dual_mov_b32 v21, v38 :: v_dual_bitop2_b32 v12, v3, v2 bitop3:0x54
	v_dual_mov_b32 v22, v39 :: v_dual_mov_b32 v23, v42
	v_dual_mov_b32 v24, v43 :: v_dual_mov_b32 v25, v44
	;; [unrolled: 1-line block ×6, first 2 shown]
	v_mov_b32_e32 v11, v40
.LBB668_118:
	s_or_b32 exec_lo, exec_lo, s1
	v_dual_lshrrev_b32 v14, 16, v32 :: v_dual_bitop2_b32 v2, v28, v27 bitop3:0x54
	v_dual_lshrrev_b32 v34, 3, v0 :: v_dual_bitop2_b32 v3, v19, v17 bitop3:0x54
	v_cmp_ne_u32_e32 vcc_lo, 0, v18
	v_or_b32_e32 v13, v16, v1
	v_cmp_gt_u32_e64 s20, 0x10000, v11
	v_cmp_gt_u32_e64 s19, 0x10000, v10
	;; [unrolled: 1-line block ×8, first 2 shown]
	v_or3_b32 v15, v2, v29, v30
	v_cmp_gt_u32_e64 s13, 0x10000, v26
	v_cmp_gt_u32_e64 s11, 0x10000, v25
	;; [unrolled: 1-line block ×8, first 2 shown]
	v_or3_b32 v35, v3, v21, v22
	v_cmp_gt_u32_e64 s5, 0x10000, v16
	v_cmp_gt_u32_e64 s1, 0x10000, v1
	;; [unrolled: 1-line block ×4, first 2 shown]
	s_barrier_signal -1
	s_barrier_wait -1
	s_cbranch_vccz .LBB668_186
; %bb.119:
	v_dual_cndmask_b32 v2, 0, v32, s20 :: v_dual_bitop2_b32 v5, 28, v34 bitop3:0x40
	v_or3_b32 v3, v35, v23, v24
	v_or3_b32 v4, v15, v31, v33
	s_delay_alu instid0(VALU_DEP_3) | instskip(NEXT) | instid1(VALU_DEP_3)
	v_add_nc_u16 v2, v2, v11
	v_or3_b32 v3, v3, v25, v26
	s_delay_alu instid0(VALU_DEP_3) | instskip(NEXT) | instid1(VALU_DEP_3)
	v_or3_b32 v4, v4, v10, v11
	v_cndmask_b32_e64 v2, 0, v2, s19
	s_delay_alu instid0(VALU_DEP_3) | instskip(NEXT) | instid1(VALU_DEP_2)
	v_or3_b32 v3, v12, v13, v3
	v_add_nc_u16 v2, v2, v10
	s_delay_alu instid0(VALU_DEP_2) | instskip(SKIP_1) | instid1(VALU_DEP_3)
	v_bitop3_b32 v3, v3, 0xff0000, v4 bitop3:0xc8
	v_lshl_add_u32 v4, v0, 2, v5
	v_cndmask_b32_e64 v2, 0, v2, s18
	s_delay_alu instid0(VALU_DEP_3) | instskip(NEXT) | instid1(VALU_DEP_2)
	v_cmp_eq_u32_e32 vcc_lo, 0, v3
	v_add_nc_u16 v2, v2, v33
	v_cndmask_b32_e32 v37, 1, v14, vcc_lo
	s_delay_alu instid0(VALU_DEP_2) | instskip(NEXT) | instid1(VALU_DEP_1)
	v_cndmask_b32_e64 v2, 0, v2, s17
	v_add_nc_u16 v2, v2, v31
	s_delay_alu instid0(VALU_DEP_1) | instskip(NEXT) | instid1(VALU_DEP_1)
	v_cndmask_b32_e64 v2, 0, v2, s16
	v_add_nc_u16 v2, v2, v30
	s_delay_alu instid0(VALU_DEP_1) | instskip(NEXT) | instid1(VALU_DEP_1)
	;; [unrolled: 3-line block ×15, first 2 shown]
	v_cndmask_b32_e64 v2, 0, v2, s22
	v_add_nc_u16 v36, v2, v12
	ds_store_b16 v4, v36
	ds_store_b8 v4, v37 offset:2
	s_wait_dscnt 0x0
	s_barrier_signal -1
	s_barrier_wait -1
	s_and_saveexec_b32 s22, s21
	s_cbranch_execz .LBB668_131
; %bb.120:
	v_and_b32_e32 v2, 0xfc, v0
	v_lshlrev_b32_e32 v3, 5, v0
	s_mov_b32 s31, exec_lo
	s_delay_alu instid0(VALU_DEP_1)
	v_add_nc_u32_e32 v2, v2, v3
	ds_load_u8 v4, v2 offset:6
	ds_load_b32 v3, v2
	ds_load_u16 v5, v2 offset:4
	ds_load_u8 v6, v2 offset:10
	ds_load_u16 v7, v2 offset:8
	ds_load_u16 v8, v2 offset:12
	ds_load_u8 v9, v2 offset:14
	ds_load_u16 v38, v2 offset:16
	s_wait_dscnt 0x7
	v_cmp_eq_u16_e32 vcc_lo, 0, v4
	s_wait_dscnt 0x4
	v_dual_cndmask_b32 v39, 0, v3, vcc_lo :: v_dual_bitop2_b32 v4, v6, v4 bitop3:0x54
	v_cmp_eq_u16_e32 vcc_lo, 0, v6
	s_delay_alu instid0(VALU_DEP_2) | instskip(SKIP_4) | instid1(VALU_DEP_2)
	v_add_nc_u16 v5, v39, v5
	ds_load_u8 v39, v2 offset:18
	v_cndmask_b32_e32 v5, 0, v5, vcc_lo
	s_wait_dscnt 0x2
	v_cmp_eq_u16_e32 vcc_lo, 0, v9
	v_add_nc_u16 v5, v5, v7
	ds_load_u8 v7, v2 offset:22
	v_cndmask_b32_e32 v5, 0, v5, vcc_lo
	s_delay_alu instid0(VALU_DEP_1)
	v_add_nc_u16 v5, v5, v8
	ds_load_u16 v8, v2 offset:20
	ds_load_u16 v40, v2 offset:24
	ds_load_u8 v41, v2 offset:26
	ds_load_u16 v42, v2 offset:28
	ds_load_u8 v43, v2 offset:30
	s_wait_dscnt 0x6
	v_cmp_eq_u16_e32 vcc_lo, 0, v39
	v_bitop3_b16 v6, v4, v39, v9 bitop3:0xfe
	v_and_b32_e32 v4, 0x10000, v3
	v_cndmask_b32_e32 v5, 0, v5, vcc_lo
	s_wait_dscnt 0x5
	v_cmp_eq_u16_e32 vcc_lo, 0, v7
	s_wait_dscnt 0x2
	v_bitop3_b16 v6, v6, v41, v7 bitop3:0xfe
	s_wait_dscnt 0x0
	v_and_b32_e32 v7, 1, v43
	v_add_nc_u16 v5, v5, v38
	s_delay_alu instid0(VALU_DEP_1) | instskip(SKIP_1) | instid1(VALU_DEP_2)
	v_cndmask_b32_e32 v5, 0, v5, vcc_lo
	v_cmp_eq_u16_e32 vcc_lo, 0, v41
	v_add_nc_u16 v5, v5, v8
	s_delay_alu instid0(VALU_DEP_1) | instskip(SKIP_1) | instid1(VALU_DEP_2)
	v_cndmask_b32_e32 v5, 0, v5, vcc_lo
	v_cmp_eq_u16_e32 vcc_lo, 0, v43
	;; [unrolled: 4-line block ×3, first 2 shown]
	v_add_nc_u16 v6, v5, v42
	v_cndmask_b32_e32 v8, 0x10000, v4, vcc_lo
	v_cmp_eq_u32_e32 vcc_lo, 1, v7
	v_and_b32_e32 v5, 0xff000000, v3
	v_mbcnt_lo_u32_b32 v7, -1, 0
	v_and_b32_e32 v9, 0xffff, v6
	v_cndmask_b32_e64 v8, v8, 0x10000, vcc_lo
	s_delay_alu instid0(VALU_DEP_1) | instskip(NEXT) | instid1(VALU_DEP_3)
	v_or_b32_e32 v38, v8, v5
	v_or3_b32 v39, v5, v9, v8
	s_delay_alu instid0(VALU_DEP_2) | instskip(NEXT) | instid1(VALU_DEP_2)
	v_dual_lshrrev_b32 v9, 16, v38 :: v_dual_bitop2_b32 v8, 15, v7 bitop3:0x40
	v_mov_b32_dpp v40, v39 row_shr:1 row_mask:0xf bank_mask:0xf
	s_delay_alu instid0(VALU_DEP_2)
	v_cmpx_ne_u32_e32 0, v8
	s_cbranch_execz .LBB668_122
; %bb.121:
	s_delay_alu instid0(VALU_DEP_2) | instskip(SKIP_1) | instid1(VALU_DEP_2)
	v_dual_lshrrev_b32 v9, 16, v38 :: v_dual_lshrrev_b32 v39, 16, v40
	v_and_b32_e32 v38, 0x10000, v38
	v_and_b32_e32 v9, 0xff, v9
	s_delay_alu instid0(VALU_DEP_1) | instskip(NEXT) | instid1(VALU_DEP_4)
	v_cmp_eq_u16_e32 vcc_lo, 0, v9
	v_dual_cndmask_b32 v40, 0, v40, vcc_lo :: v_dual_bitop2_b32 v39, 1, v39 bitop3:0x40
	s_delay_alu instid0(VALU_DEP_4) | instskip(NEXT) | instid1(VALU_DEP_2)
	v_cmp_ne_u32_e32 vcc_lo, 0, v38
	v_add_nc_u16 v6, v40, v6
	s_delay_alu instid0(VALU_DEP_3) | instskip(NEXT) | instid1(VALU_DEP_2)
	v_cndmask_b32_e64 v9, v39, 1, vcc_lo
	v_and_b32_e32 v39, 0xffff, v6
	s_delay_alu instid0(VALU_DEP_2) | instskip(NEXT) | instid1(VALU_DEP_1)
	v_lshlrev_b32_e32 v38, 16, v9
	v_or3_b32 v39, v38, v39, v5
.LBB668_122:
	s_or_b32 exec_lo, exec_lo, s31
	s_delay_alu instid0(VALU_DEP_1)
	v_lshrrev_b32_e32 v38, 16, v39
	v_mov_b32_dpp v40, v39 row_shr:2 row_mask:0xf bank_mask:0xf
	s_mov_b32 s31, exec_lo
	v_cmpx_lt_u32_e32 1, v8
	s_cbranch_execz .LBB668_124
; %bb.123:
	v_and_b32_e32 v38, 0xff, v38
	v_and_b32_e32 v39, 0x10000, v39
	s_delay_alu instid0(VALU_DEP_2) | instskip(SKIP_1) | instid1(VALU_DEP_1)
	v_cmp_eq_u16_e32 vcc_lo, 0, v38
	v_dual_cndmask_b32 v38, 0, v40 :: v_dual_lshrrev_b32 v9, 16, v40
	v_and_b32_e32 v9, 1, v9
	s_delay_alu instid0(VALU_DEP_4) | instskip(NEXT) | instid1(VALU_DEP_3)
	v_cmp_ne_u32_e32 vcc_lo, 0, v39
	v_add_nc_u16 v6, v38, v6
	s_delay_alu instid0(VALU_DEP_3) | instskip(NEXT) | instid1(VALU_DEP_2)
	v_cndmask_b32_e64 v9, v9, 1, vcc_lo
	v_and_b32_e32 v39, 0xffff, v6
	s_delay_alu instid0(VALU_DEP_2) | instskip(NEXT) | instid1(VALU_DEP_1)
	v_lshlrev_b32_e32 v38, 16, v9
	v_or3_b32 v39, v38, v39, v5
	v_mov_b32_e32 v38, v9
.LBB668_124:
	s_or_b32 exec_lo, exec_lo, s31
	s_delay_alu instid0(VALU_DEP_2)
	v_mov_b32_dpp v40, v39 row_shr:4 row_mask:0xf bank_mask:0xf
	s_mov_b32 s31, exec_lo
	v_cmpx_lt_u32_e32 3, v8
	s_cbranch_execz .LBB668_126
; %bb.125:
	v_and_b32_e32 v39, 0xff, v38
	v_dual_lshrrev_b32 v9, 16, v40 :: v_dual_bitop2_b32 v38, 1, v38 bitop3:0x40
	s_delay_alu instid0(VALU_DEP_2) | instskip(NEXT) | instid1(VALU_DEP_2)
	v_cmp_eq_u16_e32 vcc_lo, 0, v39
	v_dual_cndmask_b32 v39, 0, v40, vcc_lo :: v_dual_bitop2_b32 v9, 1, v9 bitop3:0x40
	s_delay_alu instid0(VALU_DEP_3) | instskip(NEXT) | instid1(VALU_DEP_2)
	v_cmp_eq_u32_e32 vcc_lo, 1, v38
	v_add_nc_u16 v6, v39, v6
	s_delay_alu instid0(VALU_DEP_3) | instskip(NEXT) | instid1(VALU_DEP_2)
	v_cndmask_b32_e64 v9, v9, 1, vcc_lo
	v_and_b32_e32 v39, 0xffff, v6
	s_delay_alu instid0(VALU_DEP_2) | instskip(NEXT) | instid1(VALU_DEP_1)
	v_lshlrev_b32_e32 v38, 16, v9
	v_or3_b32 v39, v38, v39, v5
	v_mov_b32_e32 v38, v9
.LBB668_126:
	s_or_b32 exec_lo, exec_lo, s31
	s_delay_alu instid0(VALU_DEP_2)
	v_mov_b32_dpp v40, v39 row_shr:8 row_mask:0xf bank_mask:0xf
	s_mov_b32 s31, exec_lo
	v_cmpx_lt_u32_e32 7, v8
	s_cbranch_execz .LBB668_128
; %bb.127:
	v_and_b32_e32 v9, 0xff, v38
	v_dual_lshrrev_b32 v8, 16, v40 :: v_dual_bitop2_b32 v38, 1, v38 bitop3:0x40
	s_delay_alu instid0(VALU_DEP_2) | instskip(NEXT) | instid1(VALU_DEP_2)
	v_cmp_eq_u16_e32 vcc_lo, 0, v9
	v_and_b32_e32 v8, 1, v8
	v_cndmask_b32_e32 v39, 0, v40, vcc_lo
	s_delay_alu instid0(VALU_DEP_4) | instskip(NEXT) | instid1(VALU_DEP_3)
	v_cmp_eq_u32_e32 vcc_lo, 1, v38
	v_cndmask_b32_e64 v9, v8, 1, vcc_lo
	s_delay_alu instid0(VALU_DEP_1) | instskip(NEXT) | instid1(VALU_DEP_4)
	v_lshlrev_b32_e32 v8, 16, v9
	v_add_nc_u16 v6, v39, v6
	s_delay_alu instid0(VALU_DEP_1) | instskip(NEXT) | instid1(VALU_DEP_1)
	v_and_b32_e32 v38, 0xffff, v6
	v_or3_b32 v39, v8, v38, v5
	v_mov_b32_e32 v38, v9
.LBB668_128:
	s_or_b32 exec_lo, exec_lo, s31
	ds_swizzle_b32 v8, v39 offset:swizzle(BROADCAST,32,15)
	v_and_b32_e32 v39, 16, v7
	s_mov_b32 s31, exec_lo
	s_delay_alu instid0(VALU_DEP_1)
	v_cmpx_ne_u32_e32 0, v39
	s_cbranch_execz .LBB668_130
; %bb.129:
	v_and_b32_e32 v9, 0xff, v38
	s_delay_alu instid0(VALU_DEP_1) | instskip(SKIP_2) | instid1(VALU_DEP_1)
	v_cmp_eq_u16_e32 vcc_lo, 0, v9
	s_wait_dscnt 0x0
	v_dual_lshrrev_b32 v39, 16, v8 :: v_dual_bitop2_b32 v9, 1, v38 bitop3:0x40
	v_dual_cndmask_b32 v8, 0, v8, vcc_lo :: v_dual_bitop2_b32 v38, 1, v39 bitop3:0x40
	s_delay_alu instid0(VALU_DEP_2) | instskip(NEXT) | instid1(VALU_DEP_2)
	v_cmp_eq_u32_e32 vcc_lo, 1, v9
	v_add_nc_u16 v6, v8, v6
	s_delay_alu instid0(VALU_DEP_3)
	v_cndmask_b32_e64 v9, v38, 1, vcc_lo
.LBB668_130:
	s_or_b32 exec_lo, exec_lo, s31
	s_wait_dscnt 0x0
	s_delay_alu instid0(VALU_DEP_1) | instskip(SKIP_2) | instid1(VALU_DEP_3)
	v_and_b32_e32 v8, 0xff, v9
	v_add_nc_u32_e32 v9, -1, v7
	v_and_b32_e32 v6, 0xffff, v6
	; wave barrier
	v_lshlrev_b32_e32 v8, 16, v8
	s_delay_alu instid0(VALU_DEP_3) | instskip(NEXT) | instid1(VALU_DEP_2)
	v_cmp_gt_i32_e32 vcc_lo, 0, v9
	v_or3_b32 v5, v8, v6, v5
	v_cndmask_b32_e32 v7, v9, v7, vcc_lo
	s_delay_alu instid0(VALU_DEP_1) | instskip(SKIP_2) | instid1(VALU_DEP_1)
	v_lshlrev_b32_e32 v6, 2, v7
	ds_bpermute_b32 v5, v6, v5
	v_and_b32_e32 v6, 0xff0000, v3
	v_cmp_eq_u32_e32 vcc_lo, 0, v6
	s_wait_dscnt 0x0
	v_dual_lshrrev_b32 v7, 16, v5 :: v_dual_cndmask_b32 v5, 0, v5, vcc_lo
	v_cmp_eq_u32_e32 vcc_lo, 0, v4
	s_delay_alu instid0(VALU_DEP_2) | instskip(NEXT) | instid1(VALU_DEP_1)
	v_add_nc_u16 v3, v5, v3
	v_dual_cndmask_b32 v3, v3, v36, s2 :: v_dual_bitop2_b32 v6, 1, v7 bitop3:0x40
	s_delay_alu instid0(VALU_DEP_1) | instskip(NEXT) | instid1(VALU_DEP_1)
	v_cndmask_b32_e32 v4, 1, v6, vcc_lo
	v_cndmask_b32_e64 v4, v4, v37, s2
	ds_store_b16 v2, v3
	ds_store_b8 v2, v4 offset:2
	; wave barrier
	ds_load_u8 v5, v2 offset:6
	ds_load_u16 v6, v2 offset:4
	ds_load_u8 v7, v2 offset:10
	ds_load_u16 v8, v2 offset:8
	ds_load_u16 v9, v2 offset:12
	ds_load_u8 v38, v2 offset:14
	ds_load_u16 v39, v2 offset:16
	ds_load_u8 v40, v2 offset:18
	s_wait_dscnt 0x7
	v_cmp_eq_u16_e32 vcc_lo, 0, v5
	v_cndmask_b32_e32 v3, 0, v3, vcc_lo
	s_wait_dscnt 0x5
	v_cmp_eq_u16_e32 vcc_lo, 0, v7
	s_delay_alu instid0(VALU_DEP_2) | instskip(NEXT) | instid1(VALU_DEP_1)
	v_add_nc_u16 v3, v3, v6
	v_cndmask_b32_e32 v6, 0, v3, vcc_lo
	s_wait_dscnt 0x2
	v_cmp_eq_u16_e32 vcc_lo, 0, v38
	s_delay_alu instid0(VALU_DEP_2)
	v_add_nc_u16 v6, v6, v8
	v_and_b32_e32 v5, 1, v5
	ds_load_u8 v8, v2 offset:22
	ds_load_u16 v42, v2 offset:20
	ds_load_u8 v43, v2 offset:26
	ds_load_u8 v44, v2 offset:30
	v_cndmask_b32_e32 v41, 0, v6, vcc_lo
	v_cmp_eq_u32_e32 vcc_lo, 1, v5
	v_and_b32_e32 v5, 1, v38
	s_delay_alu instid0(VALU_DEP_3)
	v_add_nc_u16 v9, v41, v9
	v_cndmask_b32_e64 v4, v4, 1, vcc_lo
	s_wait_dscnt 0x4
	v_cmp_eq_u16_e32 vcc_lo, 0, v40
	v_and_b32_e32 v7, 1, v7
	ds_load_u16 v41, v2 offset:24
	ds_load_u16 v45, v2 offset:28
	v_cndmask_b32_e32 v38, 0, v9, vcc_lo
	v_cmp_eq_u32_e32 vcc_lo, 1, v7
	s_delay_alu instid0(VALU_DEP_2)
	v_add_nc_u16 v38, v38, v39
	v_cndmask_b32_e64 v7, v4, 1, vcc_lo
	v_cmp_eq_u32_e32 vcc_lo, 1, v5
	v_and_b32_e32 v39, 1, v40
	s_wait_dscnt 0x2
	v_and_b32_e32 v46, 1, v44
	v_cndmask_b32_e64 v5, v7, 1, vcc_lo
	v_cmp_eq_u16_e32 vcc_lo, 0, v8
	v_dual_cndmask_b32 v40, 0, v38, vcc_lo :: v_dual_bitop2_b32 v8, 1, v8 bitop3:0x40
	v_cmp_eq_u32_e32 vcc_lo, 1, v39
	s_delay_alu instid0(VALU_DEP_2) | instskip(SKIP_1) | instid1(VALU_DEP_4)
	v_add_nc_u16 v40, v40, v42
	v_cndmask_b32_e64 v39, v5, 1, vcc_lo
	v_cmp_eq_u32_e32 vcc_lo, 1, v8
	v_and_b32_e32 v42, 1, v43
	ds_store_b16 v2, v3 offset:4
	ds_store_b8 v2, v4 offset:6
	ds_store_b16 v2, v6 offset:8
	ds_store_b8 v2, v7 offset:10
	;; [unrolled: 2-line block ×4, first 2 shown]
	v_cndmask_b32_e64 v8, v39, 1, vcc_lo
	v_cmp_eq_u16_e32 vcc_lo, 0, v43
	v_cndmask_b32_e32 v43, 0, v40, vcc_lo
	v_cmp_eq_u32_e32 vcc_lo, 1, v42
	s_wait_dscnt 0x9
	s_delay_alu instid0(VALU_DEP_2) | instskip(SKIP_2) | instid1(VALU_DEP_2)
	v_add_nc_u16 v41, v43, v41
	v_cndmask_b32_e64 v42, v8, 1, vcc_lo
	v_cmp_eq_u32_e32 vcc_lo, 1, v46
	v_cndmask_b32_e64 v43, v42, 1, vcc_lo
	v_cmp_eq_u16_e32 vcc_lo, 0, v44
	v_cndmask_b32_e32 v44, 0, v41, vcc_lo
	s_wait_dscnt 0x8
	s_delay_alu instid0(VALU_DEP_1)
	v_add_nc_u16 v3, v44, v45
	ds_store_b16 v2, v40 offset:20
	ds_store_b8 v2, v8 offset:22
	ds_store_b16 v2, v41 offset:24
	ds_store_b8 v2, v42 offset:26
	;; [unrolled: 2-line block ×3, first 2 shown]
.LBB668_131:
	s_or_b32 exec_lo, exec_lo, s22
	s_wait_dscnt 0x0
	s_barrier_signal -1
	s_barrier_wait -1
	s_and_saveexec_b32 s22, s3
	s_cbranch_execz .LBB668_133
; %bb.132:
	v_add_nc_u32_e32 v2, -1, v0
	s_delay_alu instid0(VALU_DEP_1) | instskip(NEXT) | instid1(VALU_DEP_1)
	v_lshrrev_b32_e32 v3, 3, v2
	v_and_b32_e32 v3, 0x1ffffffc, v3
	s_delay_alu instid0(VALU_DEP_1)
	v_lshl_add_u32 v2, v2, 2, v3
	ds_load_u16 v36, v2
	ds_load_u8 v37, v2 offset:2
.LBB668_133:
	s_or_b32 exec_lo, exec_lo, s22
	s_and_saveexec_b32 s22, s21
	s_cbranch_execz .LBB668_263
; %bb.134:
	v_dual_mov_b32 v9, 0 :: v_dual_add_nc_u32 v38, 32, v18
	v_mbcnt_lo_u32_b32 v39, -1, 0
	ds_load_b32 v2, v9 offset:1048
	v_cmp_eq_u32_e64 s21, 0, v39
	s_and_saveexec_b32 s31, s21
	s_cbranch_execz .LBB668_136
; %bb.135:
	v_mov_b32_e32 v3, 1
	s_wait_dscnt 0x0
	global_store_b64 v38, v[2:3], s[28:29] scale_offset scope:SCOPE_DEV
.LBB668_136:
	s_wait_xcnt 0x0
	s_or_b32 exec_lo, exec_lo, s31
	v_xad_u32 v4, v39, -1, v18
	s_mov_b32 s31, exec_lo
	s_delay_alu instid0(VALU_DEP_1) | instskip(SKIP_4) | instid1(VALU_DEP_1)
	v_add_nc_u32_e32 v8, 32, v4
	global_load_b64 v[6:7], v8, s[28:29] scale_offset scope:SCOPE_DEV
	s_wait_loadcnt 0x0
	v_and_b32_e32 v3, 0xff, v7
	s_wait_xcnt 0x0
	v_cmpx_eq_u16_e32 0, v3
	s_cbranch_execz .LBB668_140
; %bb.137:
	v_lshl_add_u64 v[8:9], v[8:9], 3, s[28:29]
	s_mov_b32 s36, 0
.LBB668_138:                            ; =>This Inner Loop Header: Depth=1
	global_load_b64 v[6:7], v[8:9], off scope:SCOPE_DEV
	s_wait_loadcnt 0x0
	v_and_b32_e32 v3, 0xff, v7
	s_delay_alu instid0(VALU_DEP_1)
	v_cmp_ne_u16_e32 vcc_lo, 0, v3
	s_or_b32 s36, vcc_lo, s36
	s_wait_xcnt 0x0
	s_and_not1_b32 exec_lo, exec_lo, s36
	s_cbranch_execnz .LBB668_138
; %bb.139:
	s_or_b32 exec_lo, exec_lo, s36
.LBB668_140:
	s_delay_alu instid0(SALU_CYCLE_1)
	s_or_b32 exec_lo, exec_lo, s31
	v_cmp_ne_u32_e32 vcc_lo, 31, v39
	v_and_b32_e32 v47, 0xffffff, v6
	v_and_b32_e32 v5, 0xff, v7
	v_lshlrev_b32_e64 v18, v39, -1
	v_bfe_u32 v9, v6, 16, 8
	v_add_co_ci_u32_e64 v3, null, 0, v39, vcc_lo
	s_delay_alu instid0(VALU_DEP_4) | instskip(SKIP_1) | instid1(VALU_DEP_2)
	v_cmp_eq_u16_e32 vcc_lo, 2, v5
	s_mov_b32 s31, exec_lo
	v_dual_lshrrev_b32 v8, 16, v6 :: v_dual_lshlrev_b32 v3, 2, v3
	v_and_or_b32 v5, vcc_lo, v18, 0x80000000
	ds_bpermute_b32 v40, v3, v47
	v_ctz_i32_b32_e32 v5, v5
	s_delay_alu instid0(VALU_DEP_1)
	v_cmpx_lt_u32_e64 v39, v5
	s_cbranch_execz .LBB668_142
; %bb.141:
	v_and_b32_e32 v8, 0xff0000, v6
	s_delay_alu instid0(VALU_DEP_1) | instskip(SKIP_3) | instid1(VALU_DEP_1)
	v_and_b32_e32 v41, 0x10000, v8
	v_cmp_eq_u32_e32 vcc_lo, 0, v8
	s_wait_dscnt 0x0
	v_dual_cndmask_b32 v40, 0, v40 :: v_dual_lshrrev_b32 v9, 16, v40
	v_and_b32_e32 v9, 1, v9
	v_cmp_ne_u32_e32 vcc_lo, 0, v41
	s_delay_alu instid0(VALU_DEP_3) | instskip(NEXT) | instid1(VALU_DEP_3)
	v_add_nc_u16 v6, v40, v6
	v_cndmask_b32_e64 v8, v9, 1, vcc_lo
	s_delay_alu instid0(VALU_DEP_2) | instskip(NEXT) | instid1(VALU_DEP_2)
	v_and_b32_e32 v40, 0xffff, v6
	v_lshlrev_b32_e32 v9, 16, v8
	s_delay_alu instid0(VALU_DEP_1)
	v_dual_mov_b32 v9, v8 :: v_dual_bitop2_b32 v47, v9, v40 bitop3:0x54
.LBB668_142:
	s_or_b32 exec_lo, exec_lo, s31
	v_cmp_gt_u32_e32 vcc_lo, 30, v39
	v_add_nc_u32_e32 v41, 2, v39
	s_mov_b32 s31, exec_lo
	s_wait_dscnt 0x0
	v_cndmask_b32_e64 v40, 0, 2, vcc_lo
	s_delay_alu instid0(VALU_DEP_1)
	v_add_lshl_u32 v40, v40, v39, 2
	ds_bpermute_b32 v42, v40, v47
	v_cmpx_le_u32_e64 v41, v5
	s_cbranch_execz .LBB668_144
; %bb.143:
	v_cmp_eq_u16_e32 vcc_lo, 0, v9
	s_wait_dscnt 0x0
	v_dual_lshrrev_b32 v8, 16, v42 :: v_dual_bitop2_b32 v9, 1, v9 bitop3:0x40
	s_delay_alu instid0(VALU_DEP_1) | instskip(NEXT) | instid1(VALU_DEP_2)
	v_dual_cndmask_b32 v42, 0, v42, vcc_lo :: v_dual_bitop2_b32 v8, 1, v8 bitop3:0x40
	v_cmp_eq_u32_e32 vcc_lo, 1, v9
	s_delay_alu instid0(VALU_DEP_2) | instskip(NEXT) | instid1(VALU_DEP_3)
	v_add_nc_u16 v6, v42, v6
	v_cndmask_b32_e64 v8, v8, 1, vcc_lo
	s_delay_alu instid0(VALU_DEP_2) | instskip(NEXT) | instid1(VALU_DEP_2)
	v_and_b32_e32 v9, 0xffff, v6
	v_lshlrev_b32_e32 v42, 16, v8
	s_delay_alu instid0(VALU_DEP_1)
	v_dual_mov_b32 v9, v8 :: v_dual_bitop2_b32 v47, v42, v9 bitop3:0x54
.LBB668_144:
	s_or_b32 exec_lo, exec_lo, s31
	v_cmp_gt_u32_e32 vcc_lo, 28, v39
	v_add_nc_u32_e32 v43, 4, v39
	s_mov_b32 s31, exec_lo
	s_wait_dscnt 0x0
	v_cndmask_b32_e64 v42, 0, 4, vcc_lo
	s_delay_alu instid0(VALU_DEP_1)
	v_add_lshl_u32 v42, v42, v39, 2
	ds_bpermute_b32 v44, v42, v47
	v_cmpx_le_u32_e64 v43, v5
	s_cbranch_execz .LBB668_146
; %bb.145:
	v_cmp_eq_u16_e32 vcc_lo, 0, v9
	s_wait_dscnt 0x0
	v_dual_lshrrev_b32 v8, 16, v44 :: v_dual_bitop2_b32 v9, 1, v9 bitop3:0x40
	v_cndmask_b32_e32 v44, 0, v44, vcc_lo
	s_delay_alu instid0(VALU_DEP_2) | instskip(NEXT) | instid1(VALU_DEP_3)
	v_and_b32_e32 v8, 1, v8
	v_cmp_eq_u32_e32 vcc_lo, 1, v9
	s_delay_alu instid0(VALU_DEP_3) | instskip(NEXT) | instid1(VALU_DEP_3)
	v_add_nc_u16 v6, v44, v6
	v_cndmask_b32_e64 v8, v8, 1, vcc_lo
	s_delay_alu instid0(VALU_DEP_2) | instskip(NEXT) | instid1(VALU_DEP_2)
	v_and_b32_e32 v9, 0xffff, v6
	v_lshlrev_b32_e32 v44, 16, v8
	s_delay_alu instid0(VALU_DEP_1)
	v_or_b32_e32 v47, v44, v9
	v_mov_b32_e32 v9, v8
.LBB668_146:
	s_or_b32 exec_lo, exec_lo, s31
	v_cmp_gt_u32_e32 vcc_lo, 24, v39
	v_add_nc_u32_e32 v45, 8, v39
	s_mov_b32 s31, exec_lo
	s_wait_dscnt 0x0
	v_cndmask_b32_e64 v44, 0, 8, vcc_lo
	s_delay_alu instid0(VALU_DEP_1)
	v_add_lshl_u32 v44, v44, v39, 2
	ds_bpermute_b32 v46, v44, v47
	v_cmpx_le_u32_e64 v45, v5
	s_cbranch_execz .LBB668_148
; %bb.147:
	v_cmp_eq_u16_e32 vcc_lo, 0, v9
	s_wait_dscnt 0x0
	v_dual_lshrrev_b32 v8, 16, v46 :: v_dual_bitop2_b32 v9, 1, v9 bitop3:0x40
	s_delay_alu instid0(VALU_DEP_1) | instskip(NEXT) | instid1(VALU_DEP_2)
	v_dual_cndmask_b32 v46, 0, v46, vcc_lo :: v_dual_bitop2_b32 v8, 1, v8 bitop3:0x40
	v_cmp_eq_u32_e32 vcc_lo, 1, v9
	s_delay_alu instid0(VALU_DEP_2) | instskip(NEXT) | instid1(VALU_DEP_3)
	v_add_nc_u16 v6, v46, v6
	v_cndmask_b32_e64 v8, v8, 1, vcc_lo
	s_delay_alu instid0(VALU_DEP_2) | instskip(NEXT) | instid1(VALU_DEP_2)
	v_and_b32_e32 v9, 0xffff, v6
	v_lshlrev_b32_e32 v46, 16, v8
	s_delay_alu instid0(VALU_DEP_1)
	v_dual_mov_b32 v9, v8 :: v_dual_bitop2_b32 v47, v46, v9 bitop3:0x54
.LBB668_148:
	s_or_b32 exec_lo, exec_lo, s31
	s_wait_dscnt 0x0
	v_lshl_or_b32 v46, v39, 2, 64
	s_mov_b32 s31, exec_lo
	ds_bpermute_b32 v48, v46, v47
	v_add_nc_u32_e32 v47, 16, v39
	s_delay_alu instid0(VALU_DEP_1)
	v_cmpx_le_u32_e64 v47, v5
	s_cbranch_execz .LBB668_150
; %bb.149:
	v_cmp_eq_u16_e32 vcc_lo, 0, v9
	s_wait_dscnt 0x0
	v_dual_lshrrev_b32 v5, 16, v48 :: v_dual_bitop2_b32 v9, 1, v9 bitop3:0x40
	s_delay_alu instid0(VALU_DEP_1) | instskip(NEXT) | instid1(VALU_DEP_2)
	v_dual_cndmask_b32 v8, 0, v48, vcc_lo :: v_dual_bitop2_b32 v5, 1, v5 bitop3:0x40
	v_cmp_eq_u32_e32 vcc_lo, 1, v9
	s_delay_alu instid0(VALU_DEP_2) | instskip(NEXT) | instid1(VALU_DEP_3)
	v_add_nc_u16 v6, v8, v6
	v_cndmask_b32_e64 v8, v5, 1, vcc_lo
.LBB668_150:
	s_or_b32 exec_lo, exec_lo, s31
	v_mov_b32_e32 v5, 0
	s_branch .LBB668_153
.LBB668_151:                            ;   in Loop: Header=BB668_153 Depth=1
	s_or_b32 exec_lo, exec_lo, s31
	v_and_b32_e32 v8, 0xff, v48
	s_delay_alu instid0(VALU_DEP_2) | instskip(SKIP_2) | instid1(VALU_DEP_3)
	v_and_b32_e32 v9, 1, v9
	v_subrev_nc_u32_e32 v4, 32, v4
	s_mov_b32 s31, 0
	v_cmp_eq_u16_e32 vcc_lo, 0, v8
	v_dual_cndmask_b32 v6, 0, v6, vcc_lo :: v_dual_bitop2_b32 v8, 1, v48 bitop3:0x40
	s_delay_alu instid0(VALU_DEP_1) | instskip(NEXT) | instid1(VALU_DEP_2)
	v_cmp_eq_u32_e32 vcc_lo, 1, v8
	v_add_nc_u16 v6, v6, v49
	v_cndmask_b32_e64 v8, v9, 1, vcc_lo
.LBB668_152:                            ;   in Loop: Header=BB668_153 Depth=1
	s_and_b32 vcc_lo, exec_lo, s31
	s_cbranch_vccnz .LBB668_259
.LBB668_153:                            ; =>This Loop Header: Depth=1
                                        ;     Child Loop BB668_156 Depth 2
	v_and_b32_e32 v7, 0xff, v7
	s_wait_dscnt 0x0
	v_dual_mov_b32 v48, v8 :: v_dual_mov_b32 v49, v6
	s_mov_b32 s31, -1
                                        ; implicit-def: $vgpr8
	s_delay_alu instid0(VALU_DEP_2)
	v_cmp_ne_u16_e32 vcc_lo, 2, v7
                                        ; implicit-def: $vgpr6
	s_cmp_lg_u32 vcc_lo, exec_lo
	s_cbranch_scc1 .LBB668_152
; %bb.154:                              ;   in Loop: Header=BB668_153 Depth=1
	global_load_b64 v[6:7], v4, s[28:29] scale_offset scope:SCOPE_DEV
	s_mov_b32 s31, exec_lo
	s_wait_loadcnt 0x0
	v_and_b32_e32 v8, 0xff, v7
	s_wait_xcnt 0x0
	s_delay_alu instid0(VALU_DEP_1)
	v_cmpx_eq_u16_e32 0, v8
	s_cbranch_execz .LBB668_158
; %bb.155:                              ;   in Loop: Header=BB668_153 Depth=1
	v_lshl_add_u64 v[8:9], v[4:5], 3, s[28:29]
	s_mov_b32 s36, 0
.LBB668_156:                            ;   Parent Loop BB668_153 Depth=1
                                        ; =>  This Inner Loop Header: Depth=2
	global_load_b64 v[6:7], v[8:9], off scope:SCOPE_DEV
	s_wait_loadcnt 0x0
	v_and_b32_e32 v50, 0xff, v7
	s_delay_alu instid0(VALU_DEP_1)
	v_cmp_ne_u16_e32 vcc_lo, 0, v50
	s_or_b32 s36, vcc_lo, s36
	s_wait_xcnt 0x0
	s_and_not1_b32 exec_lo, exec_lo, s36
	s_cbranch_execnz .LBB668_156
; %bb.157:                              ;   in Loop: Header=BB668_153 Depth=1
	s_or_b32 exec_lo, exec_lo, s36
.LBB668_158:                            ;   in Loop: Header=BB668_153 Depth=1
	s_delay_alu instid0(SALU_CYCLE_1)
	s_or_b32 exec_lo, exec_lo, s31
	v_and_b32_e32 v51, 0xffffff, v6
	v_and_b32_e32 v8, 0xff, v7
	v_lshrrev_b32_e32 v9, 16, v6
	v_bfe_u32 v50, v6, 16, 8
	s_mov_b32 s31, exec_lo
	ds_bpermute_b32 v52, v3, v51
	v_cmp_eq_u16_e32 vcc_lo, 2, v8
	v_and_or_b32 v8, vcc_lo, v18, 0x80000000
	s_delay_alu instid0(VALU_DEP_1) | instskip(NEXT) | instid1(VALU_DEP_1)
	v_ctz_i32_b32_e32 v8, v8
	v_cmpx_lt_u32_e64 v39, v8
	s_cbranch_execz .LBB668_160
; %bb.159:                              ;   in Loop: Header=BB668_153 Depth=1
	v_and_b32_e32 v9, 0xff0000, v6
	s_delay_alu instid0(VALU_DEP_1) | instskip(SKIP_3) | instid1(VALU_DEP_1)
	v_and_b32_e32 v51, 0x10000, v9
	v_cmp_eq_u32_e32 vcc_lo, 0, v9
	s_wait_dscnt 0x0
	v_dual_lshrrev_b32 v50, 16, v52 :: v_dual_cndmask_b32 v52, 0, v52, vcc_lo
	v_and_b32_e32 v50, 1, v50
	v_cmp_ne_u32_e32 vcc_lo, 0, v51
	s_delay_alu instid0(VALU_DEP_3) | instskip(NEXT) | instid1(VALU_DEP_3)
	v_add_nc_u16 v6, v52, v6
	v_cndmask_b32_e64 v9, v50, 1, vcc_lo
	s_delay_alu instid0(VALU_DEP_2) | instskip(NEXT) | instid1(VALU_DEP_2)
	v_and_b32_e32 v51, 0xffff, v6
	v_lshlrev_b32_e32 v50, 16, v9
	s_delay_alu instid0(VALU_DEP_1)
	v_dual_mov_b32 v50, v9 :: v_dual_bitop2_b32 v51, v50, v51 bitop3:0x54
.LBB668_160:                            ;   in Loop: Header=BB668_153 Depth=1
	s_or_b32 exec_lo, exec_lo, s31
	s_wait_dscnt 0x0
	ds_bpermute_b32 v52, v40, v51
	s_mov_b32 s31, exec_lo
	v_cmpx_le_u32_e64 v41, v8
	s_cbranch_execz .LBB668_162
; %bb.161:                              ;   in Loop: Header=BB668_153 Depth=1
	v_cmp_eq_u16_e32 vcc_lo, 0, v50
	s_wait_dscnt 0x0
	v_dual_lshrrev_b32 v9, 16, v52 :: v_dual_bitop2_b32 v50, 1, v50 bitop3:0x40
	s_delay_alu instid0(VALU_DEP_1) | instskip(NEXT) | instid1(VALU_DEP_2)
	v_dual_cndmask_b32 v51, 0, v52, vcc_lo :: v_dual_bitop2_b32 v9, 1, v9 bitop3:0x40
	v_cmp_eq_u32_e32 vcc_lo, 1, v50
	s_delay_alu instid0(VALU_DEP_2) | instskip(NEXT) | instid1(VALU_DEP_3)
	v_add_nc_u16 v6, v51, v6
	v_cndmask_b32_e64 v9, v9, 1, vcc_lo
	s_delay_alu instid0(VALU_DEP_2) | instskip(NEXT) | instid1(VALU_DEP_2)
	v_and_b32_e32 v50, 0xffff, v6
	v_lshlrev_b32_e32 v51, 16, v9
	s_delay_alu instid0(VALU_DEP_1)
	v_dual_mov_b32 v50, v9 :: v_dual_bitop2_b32 v51, v51, v50 bitop3:0x54
.LBB668_162:                            ;   in Loop: Header=BB668_153 Depth=1
	s_or_b32 exec_lo, exec_lo, s31
	s_wait_dscnt 0x0
	ds_bpermute_b32 v52, v42, v51
	s_mov_b32 s31, exec_lo
	v_cmpx_le_u32_e64 v43, v8
	s_cbranch_execz .LBB668_164
; %bb.163:                              ;   in Loop: Header=BB668_153 Depth=1
	v_cmp_eq_u16_e32 vcc_lo, 0, v50
	s_wait_dscnt 0x0
	v_dual_lshrrev_b32 v9, 16, v52 :: v_dual_bitop2_b32 v50, 1, v50 bitop3:0x40
	s_delay_alu instid0(VALU_DEP_1) | instskip(NEXT) | instid1(VALU_DEP_2)
	v_dual_cndmask_b32 v51, 0, v52, vcc_lo :: v_dual_bitop2_b32 v9, 1, v9 bitop3:0x40
	v_cmp_eq_u32_e32 vcc_lo, 1, v50
	s_delay_alu instid0(VALU_DEP_2) | instskip(NEXT) | instid1(VALU_DEP_3)
	v_add_nc_u16 v6, v51, v6
	v_cndmask_b32_e64 v9, v9, 1, vcc_lo
	s_delay_alu instid0(VALU_DEP_2) | instskip(NEXT) | instid1(VALU_DEP_2)
	v_and_b32_e32 v50, 0xffff, v6
	v_lshlrev_b32_e32 v51, 16, v9
	s_delay_alu instid0(VALU_DEP_1)
	v_dual_mov_b32 v50, v9 :: v_dual_bitop2_b32 v51, v51, v50 bitop3:0x54
.LBB668_164:                            ;   in Loop: Header=BB668_153 Depth=1
	;; [unrolled: 22-line block ×3, first 2 shown]
	s_or_b32 exec_lo, exec_lo, s31
	ds_bpermute_b32 v51, v46, v51
	s_mov_b32 s31, exec_lo
	v_cmpx_le_u32_e64 v47, v8
	s_cbranch_execz .LBB668_151
; %bb.167:                              ;   in Loop: Header=BB668_153 Depth=1
	v_cmp_eq_u16_e32 vcc_lo, 0, v50
	s_wait_dscnt 0x0
	v_dual_lshrrev_b32 v50, 16, v51 :: v_dual_bitop2_b32 v9, 1, v50 bitop3:0x40
	v_cndmask_b32_e32 v8, 0, v51, vcc_lo
	s_delay_alu instid0(VALU_DEP_2) | instskip(NEXT) | instid1(VALU_DEP_2)
	v_cmp_eq_u32_e32 vcc_lo, 1, v9
	v_add_nc_u16 v6, v8, v6
	s_delay_alu instid0(VALU_DEP_4)
	v_cndmask_b32_e64 v9, v50, 1, vcc_lo
	s_branch .LBB668_151
.LBB668_168:
	s_or_b32 exec_lo, exec_lo, s22
                                        ; implicit-def: $vgpr11
	s_and_saveexec_b32 s22, s1
	s_cbranch_execz .LBB668_49
.LBB668_169:
	flat_load_u16 v11, v0, s[36:37] offset:512 scale_offset
	s_wait_xcnt 0x0
	s_or_b32 exec_lo, exec_lo, s22
                                        ; implicit-def: $vgpr12
	s_and_saveexec_b32 s1, s4
	s_cbranch_execnz .LBB668_50
.LBB668_170:
	s_or_b32 exec_lo, exec_lo, s1
                                        ; implicit-def: $vgpr13
	s_and_saveexec_b32 s1, s5
	s_cbranch_execz .LBB668_51
.LBB668_171:
	flat_load_u16 v13, v0, s[36:37] offset:1536 scale_offset
	s_wait_xcnt 0x0
	s_or_b32 exec_lo, exec_lo, s1
                                        ; implicit-def: $vgpr16
	s_and_saveexec_b32 s1, s6
	s_cbranch_execnz .LBB668_52
.LBB668_172:
	s_or_b32 exec_lo, exec_lo, s1
                                        ; implicit-def: $vgpr17
	s_and_saveexec_b32 s1, s7
	s_cbranch_execz .LBB668_53
.LBB668_173:
	flat_load_u16 v17, v0, s[36:37] offset:2560 scale_offset
	s_wait_xcnt 0x0
	s_or_b32 exec_lo, exec_lo, s1
                                        ; implicit-def: $vgpr19
	s_and_saveexec_b32 s1, s8
	s_cbranch_execnz .LBB668_54
.LBB668_174:
	s_or_b32 exec_lo, exec_lo, s1
                                        ; implicit-def: $vgpr20
	s_and_saveexec_b32 s1, s9
	s_cbranch_execz .LBB668_55
.LBB668_175:
	flat_load_u16 v20, v0, s[36:37] offset:3584 scale_offset
	s_wait_xcnt 0x0
	s_or_b32 exec_lo, exec_lo, s1
                                        ; implicit-def: $vgpr21
	s_and_saveexec_b32 s1, s10
	s_cbranch_execnz .LBB668_56
.LBB668_176:
	s_or_b32 exec_lo, exec_lo, s1
                                        ; implicit-def: $vgpr22
	s_and_saveexec_b32 s1, s11
	s_cbranch_execz .LBB668_57
.LBB668_177:
	flat_load_u16 v22, v0, s[36:37] offset:4608 scale_offset
	s_wait_xcnt 0x0
	s_or_b32 exec_lo, exec_lo, s1
                                        ; implicit-def: $vgpr23
	s_and_saveexec_b32 s1, s12
	s_cbranch_execnz .LBB668_58
.LBB668_178:
	s_or_b32 exec_lo, exec_lo, s1
                                        ; implicit-def: $vgpr24
	s_and_saveexec_b32 s1, s13
	s_cbranch_execz .LBB668_59
.LBB668_179:
	flat_load_u16 v24, v0, s[36:37] offset:5632 scale_offset
	s_wait_xcnt 0x0
	s_or_b32 exec_lo, exec_lo, s1
                                        ; implicit-def: $vgpr25
	s_and_saveexec_b32 s1, s14
	s_cbranch_execnz .LBB668_60
.LBB668_180:
	s_or_b32 exec_lo, exec_lo, s1
                                        ; implicit-def: $vgpr26
	s_and_saveexec_b32 s1, s15
	s_cbranch_execz .LBB668_61
.LBB668_181:
	flat_load_u16 v26, v0, s[36:37] offset:6656 scale_offset
	s_wait_xcnt 0x0
	s_or_b32 exec_lo, exec_lo, s1
                                        ; implicit-def: $vgpr27
	s_and_saveexec_b32 s1, s16
	s_cbranch_execnz .LBB668_62
.LBB668_182:
	s_or_b32 exec_lo, exec_lo, s1
                                        ; implicit-def: $vgpr28
	s_and_saveexec_b32 s1, s17
	s_cbranch_execz .LBB668_63
.LBB668_183:
	flat_load_u16 v28, v0, s[36:37] offset:7680 scale_offset
	s_wait_xcnt 0x0
	s_or_b32 exec_lo, exec_lo, s1
                                        ; implicit-def: $vgpr29
	s_and_saveexec_b32 s1, s18
	s_cbranch_execnz .LBB668_64
.LBB668_184:
	s_or_b32 exec_lo, exec_lo, s1
                                        ; implicit-def: $vgpr30
	s_and_saveexec_b32 s1, s19
	s_cbranch_execz .LBB668_65
.LBB668_185:
	flat_load_u16 v30, v0, s[36:37] offset:8704 scale_offset
	s_wait_xcnt 0x0
	s_or_b32 exec_lo, exec_lo, s1
                                        ; implicit-def: $vgpr31
	s_and_saveexec_b32 s1, s20
	s_cbranch_execz .LBB668_67
	s_branch .LBB668_66
.LBB668_186:
                                        ; implicit-def: $vgpr4
                                        ; implicit-def: $vgpr5
                                        ; implicit-def: $vgpr6
                                        ; implicit-def: $vgpr7
                                        ; implicit-def: $vgpr8
                                        ; implicit-def: $vgpr9
                                        ; implicit-def: $vgpr36
                                        ; implicit-def: $vgpr38
                                        ; implicit-def: $vgpr18
                                        ; implicit-def: $vgpr37
                                        ; implicit-def: $vgpr39
                                        ; implicit-def: $vgpr40
                                        ; implicit-def: $vgpr41
                                        ; implicit-def: $vgpr42
                                        ; implicit-def: $vgpr43
                                        ; implicit-def: $vgpr45
                                        ; implicit-def: $vgpr44
                                        ; implicit-def: $vgpr46
                                        ; implicit-def: $vgpr47
                                        ; implicit-def: $vgpr48
	s_cbranch_execnz .LBB668_264
.LBB668_187:
	s_add_nc_u64 s[2:3], s[26:27], s[34:35]
	s_and_b32 vcc_lo, exec_lo, s0
	s_add_nc_u64 s[0:1], s[2:3], s[24:25]
	s_cbranch_vccz .LBB668_283
.LBB668_188:
	v_mul_u32_u24_e32 v1, 20, v0
	s_add_co_i32 s23, s23, s30
	s_mov_b32 s2, exec_lo
	s_delay_alu instid0(VALU_DEP_1)
	v_cmpx_gt_u32_e64 s23, v1
	s_cbranch_execz .LBB668_220
; %bb.189:
	v_or_b32_e32 v2, 1, v1
	s_mov_b32 s3, exec_lo
	s_delay_alu instid0(VALU_DEP_1)
	v_cmpx_gt_u32_e64 s23, v2
	s_cbranch_execz .LBB668_219
; %bb.190:
	v_or_b32_e32 v2, 2, v1
	;; [unrolled: 6-line block ×3, first 2 shown]
	s_mov_b32 s5, exec_lo
	s_delay_alu instid0(VALU_DEP_1)
	v_cmpx_gt_u32_e64 s23, v2
	s_cbranch_execz .LBB668_217
; %bb.192:
	v_add_nc_u32_e32 v2, 4, v1
	s_mov_b32 s6, exec_lo
	s_delay_alu instid0(VALU_DEP_1)
	v_cmpx_gt_u32_e64 s23, v2
	s_cbranch_execz .LBB668_216
; %bb.193:
	v_add_nc_u32_e32 v2, 5, v1
	;; [unrolled: 6-line block ×12, first 2 shown]
	s_mov_b32 s17, exec_lo
	s_delay_alu instid0(VALU_DEP_1)
	v_cmpx_gt_u32_e64 s23, v2
; %bb.204:
	v_add_nc_u32_e32 v2, 16, v1
	s_mov_b32 s18, exec_lo
	s_delay_alu instid0(VALU_DEP_1)
	v_cmpx_gt_u32_e64 s23, v2
	s_or_b32 exec_lo, exec_lo, s18
; %bb.205:
	s_delay_alu instid0(SALU_CYCLE_1)
	s_or_b32 exec_lo, exec_lo, s17
.LBB668_206:
	s_delay_alu instid0(SALU_CYCLE_1)
	s_or_b32 exec_lo, exec_lo, s16
.LBB668_207:
	s_delay_alu instid0(SALU_CYCLE_1)
	s_or_b32 exec_lo, exec_lo, s15
.LBB668_208:
	s_delay_alu instid0(SALU_CYCLE_1)
	s_or_b32 exec_lo, exec_lo, s14
.LBB668_209:
	s_delay_alu instid0(SALU_CYCLE_1)
	s_or_b32 exec_lo, exec_lo, s13
.LBB668_210:
	s_delay_alu instid0(SALU_CYCLE_1)
	s_or_b32 exec_lo, exec_lo, s12
.LBB668_211:
	s_delay_alu instid0(SALU_CYCLE_1)
	s_or_b32 exec_lo, exec_lo, s11
.LBB668_212:
	s_delay_alu instid0(SALU_CYCLE_1)
	s_or_b32 exec_lo, exec_lo, s10
.LBB668_213:
	s_delay_alu instid0(SALU_CYCLE_1)
	s_or_b32 exec_lo, exec_lo, s9
.LBB668_214:
	s_delay_alu instid0(SALU_CYCLE_1)
	s_or_b32 exec_lo, exec_lo, s8
.LBB668_215:
	s_delay_alu instid0(SALU_CYCLE_1)
	s_or_b32 exec_lo, exec_lo, s7
.LBB668_216:
	s_delay_alu instid0(SALU_CYCLE_1)
	s_or_b32 exec_lo, exec_lo, s6
.LBB668_217:
	s_delay_alu instid0(SALU_CYCLE_1)
	s_or_b32 exec_lo, exec_lo, s5
.LBB668_218:
	s_delay_alu instid0(SALU_CYCLE_1)
	s_or_b32 exec_lo, exec_lo, s4
.LBB668_219:
	s_delay_alu instid0(SALU_CYCLE_1)
	s_or_b32 exec_lo, exec_lo, s3
.LBB668_220:
	s_delay_alu instid0(SALU_CYCLE_1)
	s_or_b32 exec_lo, exec_lo, s2
	v_dual_mov_b32 v21, 0 :: v_dual_lshlrev_b32 v28, 1, v1
	v_perm_b32 v3, v38, v36, 0x5040100
	v_perm_b32 v2, v9, v8, 0x5040100
	;; [unrolled: 1-line block ×4, first 2 shown]
	v_mad_i32_i24 v1, 0xffffffda, v0, v28
	v_perm_b32 v13, v45, v43, 0x5040100
	v_perm_b32 v12, v42, v41, 0x5040100
	;; [unrolled: 1-line block ×6, first 2 shown]
	s_wait_storecnt 0x0
	s_barrier_signal -1
	s_barrier_wait -1
	ds_store_2addr_b64 v28, v[10:11], v[2:3] offset1:1
	ds_store_2addr_b64 v28, v[14:15], v[12:13] offset0:2 offset1:3
	ds_store_b64 v28, v[16:17] offset:32
	s_wait_dscnt 0x0
	s_barrier_signal -1
	s_barrier_wait -1
	ds_load_u16 v31, v1 offset:512
	ds_load_u16 v30, v1 offset:1024
	;; [unrolled: 1-line block ×19, first 2 shown]
	v_add_nc_u64_e32 v[2:3], s[0:1], v[20:21]
	s_mov_b32 s2, exec_lo
	v_cmpx_gt_u32_e64 s23, v0
	s_cbranch_execz .LBB668_222
; %bb.221:
	v_mul_i32_i24_e32 v20, 0xffffffda, v0
	s_delay_alu instid0(VALU_DEP_1)
	v_add_nc_u32_e32 v20, v28, v20
	ds_load_u16 v20, v20
	s_wait_dscnt 0x0
	flat_store_b16 v[2:3], v20
.LBB668_222:
	s_wait_xcnt 0x0
	s_or_b32 exec_lo, exec_lo, s2
	v_or_b32_e32 v20, 0x100, v0
	s_mov_b32 s2, exec_lo
	s_delay_alu instid0(VALU_DEP_1)
	v_cmpx_gt_u32_e64 s23, v20
	s_cbranch_execz .LBB668_224
; %bb.223:
	s_wait_dscnt 0x12
	flat_store_b16 v[2:3], v31 offset:512
.LBB668_224:
	s_wait_xcnt 0x0
	s_or_b32 exec_lo, exec_lo, s2
	v_or_b32_e32 v20, 0x200, v0
	s_mov_b32 s2, exec_lo
	s_delay_alu instid0(VALU_DEP_1)
	v_cmpx_gt_u32_e64 s23, v20
	s_cbranch_execz .LBB668_226
; %bb.225:
	s_wait_dscnt 0x11
	flat_store_b16 v[2:3], v30 offset:1024
.LBB668_226:
	s_wait_xcnt 0x0
	s_or_b32 exec_lo, exec_lo, s2
	v_or_b32_e32 v20, 0x300, v0
	s_mov_b32 s2, exec_lo
	s_delay_alu instid0(VALU_DEP_1)
	v_cmpx_gt_u32_e64 s23, v20
	s_cbranch_execz .LBB668_228
; %bb.227:
	s_wait_dscnt 0x10
	flat_store_b16 v[2:3], v29 offset:1536
.LBB668_228:
	s_wait_xcnt 0x0
	s_or_b32 exec_lo, exec_lo, s2
	v_or_b32_e32 v20, 0x400, v0
	s_mov_b32 s2, exec_lo
	s_delay_alu instid0(VALU_DEP_1)
	v_cmpx_gt_u32_e64 s23, v20
	s_cbranch_execz .LBB668_230
; %bb.229:
	s_wait_dscnt 0xf
	flat_store_b16 v[2:3], v27 offset:2048
.LBB668_230:
	s_wait_xcnt 0x0
	s_or_b32 exec_lo, exec_lo, s2
	v_or_b32_e32 v20, 0x500, v0
	s_mov_b32 s2, exec_lo
	s_delay_alu instid0(VALU_DEP_1)
	v_cmpx_gt_u32_e64 s23, v20
	s_cbranch_execz .LBB668_232
; %bb.231:
	s_wait_dscnt 0xe
	flat_store_b16 v[2:3], v26 offset:2560
.LBB668_232:
	s_wait_xcnt 0x0
	s_or_b32 exec_lo, exec_lo, s2
	v_or_b32_e32 v20, 0x600, v0
	s_mov_b32 s2, exec_lo
	s_delay_alu instid0(VALU_DEP_1)
	v_cmpx_gt_u32_e64 s23, v20
	s_cbranch_execz .LBB668_234
; %bb.233:
	s_wait_dscnt 0xd
	flat_store_b16 v[2:3], v25 offset:3072
.LBB668_234:
	s_wait_xcnt 0x0
	s_or_b32 exec_lo, exec_lo, s2
	v_or_b32_e32 v20, 0x700, v0
	s_mov_b32 s2, exec_lo
	s_delay_alu instid0(VALU_DEP_1)
	v_cmpx_gt_u32_e64 s23, v20
	s_cbranch_execz .LBB668_236
; %bb.235:
	s_wait_dscnt 0xc
	flat_store_b16 v[2:3], v24 offset:3584
.LBB668_236:
	s_wait_xcnt 0x0
	s_or_b32 exec_lo, exec_lo, s2
	v_or_b32_e32 v20, 0x800, v0
	s_mov_b32 s2, exec_lo
	s_delay_alu instid0(VALU_DEP_1)
	v_cmpx_gt_u32_e64 s23, v20
	s_cbranch_execz .LBB668_238
; %bb.237:
	s_wait_dscnt 0xb
	flat_store_b16 v[2:3], v23 offset:4096
.LBB668_238:
	s_wait_xcnt 0x0
	s_or_b32 exec_lo, exec_lo, s2
	v_or_b32_e32 v20, 0x900, v0
	s_mov_b32 s2, exec_lo
	s_delay_alu instid0(VALU_DEP_1)
	v_cmpx_gt_u32_e64 s23, v20
	s_cbranch_execz .LBB668_240
; %bb.239:
	s_wait_dscnt 0xa
	flat_store_b16 v[2:3], v22 offset:4608
.LBB668_240:
	s_wait_xcnt 0x0
	s_or_b32 exec_lo, exec_lo, s2
	v_or_b32_e32 v20, 0xa00, v0
	s_mov_b32 s2, exec_lo
	s_delay_alu instid0(VALU_DEP_1)
	v_cmpx_gt_u32_e64 s23, v20
	s_cbranch_execz .LBB668_242
; %bb.241:
	s_wait_dscnt 0x9
	flat_store_b16 v[2:3], v19 offset:5120
.LBB668_242:
	s_wait_xcnt 0x0
	s_or_b32 exec_lo, exec_lo, s2
	s_wait_dscnt 0x9
	v_or_b32_e32 v19, 0xb00, v0
	s_mov_b32 s2, exec_lo
	s_delay_alu instid0(VALU_DEP_1)
	v_cmpx_gt_u32_e64 s23, v19
	s_cbranch_execz .LBB668_244
; %bb.243:
	s_wait_dscnt 0x8
	flat_store_b16 v[2:3], v17 offset:5632
.LBB668_244:
	s_wait_xcnt 0x0
	s_or_b32 exec_lo, exec_lo, s2
	s_wait_dscnt 0x8
	v_or_b32_e32 v17, 0xc00, v0
	s_mov_b32 s2, exec_lo
	s_delay_alu instid0(VALU_DEP_1)
	v_cmpx_gt_u32_e64 s23, v17
	s_cbranch_execz .LBB668_246
; %bb.245:
	s_wait_dscnt 0x7
	flat_store_b16 v[2:3], v16 offset:6144
.LBB668_246:
	;; [unrolled: 12-line block ×8, first 2 shown]
	s_wait_xcnt 0x0
	s_or_b32 exec_lo, exec_lo, s2
	v_or_b32_e32 v2, 0x1300, v0
	s_delay_alu instid0(VALU_DEP_1)
	v_cmp_gt_u32_e64 s2, s23, v2
	s_branch .LBB668_285
.LBB668_259:
	s_and_saveexec_b32 s31, s21
	s_cbranch_execz .LBB668_261
; %bb.260:
	v_and_b32_e32 v3, 0xff0000, v2
	v_and_b32_e32 v5, 0x10000, v2
	s_delay_alu instid0(VALU_DEP_2) | instskip(SKIP_1) | instid1(VALU_DEP_3)
	v_cmp_eq_u32_e32 vcc_lo, 0, v3
	v_dual_cndmask_b32 v3, 0, v49, vcc_lo :: v_dual_bitop2_b32 v4, 1, v48 bitop3:0x40
	v_cmp_eq_u32_e32 vcc_lo, 0, v5
	s_delay_alu instid0(VALU_DEP_2) | instskip(NEXT) | instid1(VALU_DEP_1)
	v_add_nc_u16 v2, v3, v2
	v_and_b32_e32 v2, 0xffff, v2
	s_delay_alu instid0(VALU_DEP_4) | instskip(NEXT) | instid1(VALU_DEP_1)
	v_lshlrev_b32_e32 v4, 16, v4
	v_cndmask_b32_e32 v3, 0x10000, v4, vcc_lo
	s_delay_alu instid0(VALU_DEP_1)
	v_dual_mov_b32 v3, 2 :: v_dual_bitop2_b32 v2, v3, v2 bitop3:0x54
	global_store_b64 v38, v[2:3], s[28:29] scale_offset scope:SCOPE_DEV
.LBB668_261:
	s_wait_xcnt 0x0
	s_or_b32 exec_lo, exec_lo, s31
	s_delay_alu instid0(SALU_CYCLE_1)
	s_and_b32 exec_lo, exec_lo, s2
	s_cbranch_execz .LBB668_263
; %bb.262:
	v_mov_b32_e32 v2, 0
	ds_store_b16 v2, v49
	ds_store_b8 v2, v48 offset:2
.LBB668_263:
	s_or_b32 exec_lo, exec_lo, s22
	v_mov_b32_e32 v2, 0
	s_wait_storecnt_dscnt 0x0
	s_barrier_signal -1
	s_barrier_wait -1
	ds_load_b32 v2, v2
	v_and_b32_e32 v3, 0xff, v37
	v_and_b32_e32 v5, 0xff0000, v32
	s_delay_alu instid0(VALU_DEP_2) | instskip(SKIP_2) | instid1(VALU_DEP_3)
	v_cmp_eq_u16_e32 vcc_lo, 0, v3
	s_wait_dscnt 0x0
	v_cndmask_b32_e32 v3, 0, v2, vcc_lo
	v_cmp_eq_u32_e32 vcc_lo, 0, v5
	s_delay_alu instid0(VALU_DEP_2) | instskip(NEXT) | instid1(VALU_DEP_1)
	v_add_nc_u16 v3, v3, v36
	v_cndmask_b32_e64 v4, v3, v2, s2
	s_delay_alu instid0(VALU_DEP_1) | instskip(NEXT) | instid1(VALU_DEP_1)
	v_cndmask_b32_e32 v2, 0, v4, vcc_lo
	v_add_nc_u16 v5, v2, v32
	s_delay_alu instid0(VALU_DEP_1) | instskip(NEXT) | instid1(VALU_DEP_1)
	v_cndmask_b32_e64 v2, 0, v5, s20
	v_add_nc_u16 v6, v2, v11
	s_delay_alu instid0(VALU_DEP_1) | instskip(NEXT) | instid1(VALU_DEP_1)
	v_cndmask_b32_e64 v2, 0, v6, s19
	;; [unrolled: 3-line block ×18, first 2 shown]
	v_add_nc_u16 v48, v2, v1
	s_branch .LBB668_187
.LBB668_264:
	s_cmp_eq_u64 s[40:41], 0
	v_mov_b32_e32 v2, s33
	s_cselect_b32 s1, -1, 0
	s_cmp_eq_u64 s[38:39], 0
	s_cselect_b32 s4, -1, 0
	s_delay_alu instid0(SALU_CYCLE_1) | instskip(NEXT) | instid1(SALU_CYCLE_1)
	s_or_b32 s1, s1, s4
	s_and_b32 vcc_lo, exec_lo, s1
	s_cbranch_vccnz .LBB668_266
; %bb.265:
	v_mov_b32_e32 v2, 0
	global_load_u16 v2, v2, s[38:39]
.LBB668_266:
	v_cmp_gt_u32_e32 vcc_lo, 0x10000, v11
	v_cmp_gt_u32_e64 s1, 0x10000, v10
	v_cmp_gt_u32_e64 s4, 0x10000, v33
	;; [unrolled: 1-line block ×4, first 2 shown]
	v_dual_cndmask_b32 v3, 0, v32, vcc_lo :: v_dual_bitop2_b32 v6, 28, v34 bitop3:0x40
	v_cmp_gt_u32_e64 s7, 0x10000, v29
	v_cmp_gt_u32_e64 s8, 0x10000, v28
	;; [unrolled: 1-line block ×3, first 2 shown]
	s_delay_alu instid0(VALU_DEP_4)
	v_add_nc_u16 v3, v3, v11
	v_cmp_gt_u32_e64 s10, 0x10000, v26
	v_cmp_gt_u32_e64 s11, 0x10000, v25
	;; [unrolled: 1-line block ×4, first 2 shown]
	v_cndmask_b32_e64 v3, 0, v3, s1
	v_cmp_gt_u32_e64 s14, 0x10000, v22
	v_cmp_gt_u32_e64 s15, 0x10000, v21
	;; [unrolled: 1-line block ×4, first 2 shown]
	v_add_nc_u16 v3, v3, v10
	v_cmp_gt_u32_e64 s18, 0x10000, v16
	v_or3_b32 v4, v35, v23, v24
	v_or3_b32 v5, v15, v31, v33
	v_cmp_gt_u32_e64 s19, 0x10000, v1
	v_cndmask_b32_e64 v3, 0, v3, s4
	v_cmp_gt_u32_e64 s20, 0x10000, v12
	v_or3_b32 v4, v4, v25, v26
	v_or3_b32 v5, v5, v10, v11
	v_lshl_add_u32 v6, v0, 2, v6
	v_add_nc_u16 v3, v3, v33
	s_mov_b32 s21, exec_lo
	v_or3_b32 v4, v12, v13, v4
	s_delay_alu instid0(VALU_DEP_2) | instskip(NEXT) | instid1(VALU_DEP_2)
	v_cndmask_b32_e64 v3, 0, v3, s5
	v_bitop3_b32 v5, v4, 0xff0000, v5 bitop3:0xc8
	s_delay_alu instid0(VALU_DEP_2) | instskip(NEXT) | instid1(VALU_DEP_1)
	v_add_nc_u16 v3, v3, v31
	v_cndmask_b32_e64 v3, 0, v3, s6
	s_delay_alu instid0(VALU_DEP_1) | instskip(NEXT) | instid1(VALU_DEP_1)
	v_add_nc_u16 v3, v3, v30
	v_cndmask_b32_e64 v3, 0, v3, s7
	s_delay_alu instid0(VALU_DEP_1) | instskip(NEXT) | instid1(VALU_DEP_1)
	;; [unrolled: 3-line block ×14, first 2 shown]
	v_add_nc_u16 v3, v3, v1
	v_cndmask_b32_e64 v3, 0, v3, s20
	v_cmp_eq_u32_e64 s20, 0, v5
	s_delay_alu instid0(VALU_DEP_2) | instskip(NEXT) | instid1(VALU_DEP_2)
	v_add_nc_u16 v4, v3, v12
	v_cndmask_b32_e64 v5, 1, v14, s20
	ds_store_b16 v6, v4
	ds_store_b8 v6, v5 offset:2
	s_wait_loadcnt_dscnt 0x0
	s_barrier_signal -1
	s_barrier_wait -1
	v_cmpx_gt_u32_e32 32, v0
	s_cbranch_execz .LBB668_278
; %bb.267:
	v_and_b32_e32 v3, 0xfc, v0
	v_lshlrev_b32_e32 v6, 5, v0
	s_mov_b32 s22, exec_lo
	s_delay_alu instid0(VALU_DEP_1)
	v_add_nc_u32_e32 v3, v3, v6
	ds_load_u8 v7, v3 offset:6
	ds_load_b32 v6, v3
	ds_load_u16 v8, v3 offset:4
	ds_load_u8 v9, v3 offset:10
	ds_load_u16 v12, v3 offset:8
	ds_load_u16 v13, v3 offset:12
	ds_load_u8 v14, v3 offset:14
	ds_load_u16 v15, v3 offset:16
	s_wait_dscnt 0x7
	v_cmp_eq_u16_e64 s20, 0, v7
	s_wait_dscnt 0x4
	s_delay_alu instid0(VALU_DEP_1) | instskip(SKIP_1) | instid1(VALU_DEP_2)
	v_dual_cndmask_b32 v18, 0, v6, s20 :: v_dual_bitop2_b32 v7, v9, v7 bitop3:0x54
	v_cmp_eq_u16_e64 s20, 0, v9
	v_add_nc_u16 v8, v18, v8
	ds_load_u8 v18, v3 offset:18
	v_cndmask_b32_e64 v8, 0, v8, s20
	s_wait_dscnt 0x2
	v_cmp_eq_u16_e64 s20, 0, v14
	s_delay_alu instid0(VALU_DEP_2) | instskip(SKIP_2) | instid1(VALU_DEP_1)
	v_add_nc_u16 v8, v8, v12
	ds_load_u8 v12, v3 offset:22
	v_cndmask_b32_e64 v8, 0, v8, s20
	v_add_nc_u16 v8, v8, v13
	s_wait_dscnt 0x1
	v_cmp_eq_u16_e64 s20, 0, v18
	ds_load_u16 v13, v3 offset:20
	ds_load_u16 v34, v3 offset:24
	ds_load_u8 v35, v3 offset:26
	ds_load_u16 v36, v3 offset:28
	ds_load_u8 v37, v3 offset:30
	v_bitop3_b16 v9, v7, v18, v14 bitop3:0xfe
	v_and_b32_e32 v7, 0x10000, v6
	v_cndmask_b32_e64 v8, 0, v8, s20
	s_delay_alu instid0(VALU_DEP_1) | instskip(SKIP_2) | instid1(VALU_DEP_1)
	v_add_nc_u16 v8, v8, v15
	s_wait_dscnt 0x5
	v_cmp_eq_u16_e64 s20, 0, v12
	v_cndmask_b32_e64 v8, 0, v8, s20
	s_wait_dscnt 0x2
	v_cmp_eq_u16_e64 s20, 0, v35
	v_bitop3_b16 v9, v9, v35, v12 bitop3:0xfe
	s_delay_alu instid0(VALU_DEP_3) | instskip(SKIP_1) | instid1(VALU_DEP_1)
	v_add_nc_u16 v8, v8, v13
	s_wait_dscnt 0x0
	v_dual_cndmask_b32 v8, 0, v8, s20 :: v_dual_bitop2_b32 v12, 1, v37 bitop3:0x40
	v_cmp_eq_u16_e64 s20, 0, v37
	s_delay_alu instid0(VALU_DEP_2) | instskip(NEXT) | instid1(VALU_DEP_1)
	v_add_nc_u16 v8, v8, v34
	v_cndmask_b32_e64 v8, 0, v8, s20
	v_cmp_eq_u16_e64 s20, 0, v9
	s_delay_alu instid0(VALU_DEP_2) | instskip(NEXT) | instid1(VALU_DEP_2)
	v_add_nc_u16 v9, v8, v36
	v_cndmask_b32_e64 v13, 0x10000, v7, s20
	v_cmp_eq_u32_e64 s20, 1, v12
	v_and_b32_e32 v8, 0xff000000, v6
	v_mbcnt_lo_u32_b32 v12, -1, 0
	v_and_b32_e32 v14, 0xffff, v9
	s_delay_alu instid0(VALU_DEP_4) | instskip(NEXT) | instid1(VALU_DEP_1)
	v_cndmask_b32_e64 v13, v13, 0x10000, s20
	v_or_b32_e32 v15, v13, v8
	s_delay_alu instid0(VALU_DEP_3) | instskip(NEXT) | instid1(VALU_DEP_2)
	v_or3_b32 v18, v8, v14, v13
	v_dual_lshrrev_b32 v14, 16, v15 :: v_dual_bitop2_b32 v13, 15, v12 bitop3:0x40
	s_delay_alu instid0(VALU_DEP_2) | instskip(NEXT) | instid1(VALU_DEP_2)
	v_mov_b32_dpp v34, v18 row_shr:1 row_mask:0xf bank_mask:0xf
	v_cmpx_ne_u32_e32 0, v13
	s_cbranch_execz .LBB668_269
; %bb.268:
	s_delay_alu instid0(VALU_DEP_2) | instskip(SKIP_1) | instid1(VALU_DEP_2)
	v_dual_lshrrev_b32 v14, 16, v15 :: v_dual_lshrrev_b32 v18, 16, v34
	v_and_b32_e32 v15, 0x10000, v15
	v_and_b32_e32 v14, 0xff, v14
	s_delay_alu instid0(VALU_DEP_3) | instskip(NEXT) | instid1(VALU_DEP_2)
	v_and_b32_e32 v18, 1, v18
	v_cmp_eq_u16_e64 s20, 0, v14
	s_delay_alu instid0(VALU_DEP_1) | instskip(SKIP_1) | instid1(VALU_DEP_2)
	v_cndmask_b32_e64 v34, 0, v34, s20
	v_cmp_ne_u32_e64 s20, 0, v15
	v_add_nc_u16 v9, v34, v9
	s_delay_alu instid0(VALU_DEP_2) | instskip(NEXT) | instid1(VALU_DEP_2)
	v_cndmask_b32_e64 v14, v18, 1, s20
	v_and_b32_e32 v18, 0xffff, v9
	s_delay_alu instid0(VALU_DEP_2) | instskip(NEXT) | instid1(VALU_DEP_1)
	v_lshlrev_b32_e32 v15, 16, v14
	v_or3_b32 v18, v15, v18, v8
.LBB668_269:
	s_or_b32 exec_lo, exec_lo, s22
	s_delay_alu instid0(VALU_DEP_1)
	v_lshrrev_b32_e32 v15, 16, v18
	v_mov_b32_dpp v34, v18 row_shr:2 row_mask:0xf bank_mask:0xf
	s_mov_b32 s22, exec_lo
	v_cmpx_lt_u32_e32 1, v13
	s_cbranch_execz .LBB668_271
; %bb.270:
	v_and_b32_e32 v15, 0xff, v15
	v_and_b32_e32 v18, 0x10000, v18
	s_delay_alu instid0(VALU_DEP_2) | instskip(NEXT) | instid1(VALU_DEP_1)
	v_cmp_eq_u16_e64 s20, 0, v15
	v_dual_lshrrev_b32 v14, 16, v34 :: v_dual_cndmask_b32 v15, 0, v34, s20
	s_delay_alu instid0(VALU_DEP_1) | instskip(NEXT) | instid1(VALU_DEP_4)
	v_and_b32_e32 v14, 1, v14
	v_cmp_ne_u32_e64 s20, 0, v18
	s_delay_alu instid0(VALU_DEP_3) | instskip(NEXT) | instid1(VALU_DEP_2)
	v_add_nc_u16 v9, v15, v9
	v_cndmask_b32_e64 v14, v14, 1, s20
	s_delay_alu instid0(VALU_DEP_2) | instskip(NEXT) | instid1(VALU_DEP_2)
	v_and_b32_e32 v18, 0xffff, v9
	v_lshlrev_b32_e32 v15, 16, v14
	s_delay_alu instid0(VALU_DEP_1)
	v_or3_b32 v18, v15, v18, v8
	v_mov_b32_e32 v15, v14
.LBB668_271:
	s_or_b32 exec_lo, exec_lo, s22
	s_delay_alu instid0(VALU_DEP_2)
	v_mov_b32_dpp v34, v18 row_shr:4 row_mask:0xf bank_mask:0xf
	s_mov_b32 s22, exec_lo
	v_cmpx_lt_u32_e32 3, v13
	s_cbranch_execz .LBB668_273
; %bb.272:
	v_and_b32_e32 v18, 0xff, v15
	v_dual_lshrrev_b32 v14, 16, v34 :: v_dual_bitop2_b32 v15, 1, v15 bitop3:0x40
	s_delay_alu instid0(VALU_DEP_2) | instskip(NEXT) | instid1(VALU_DEP_2)
	v_cmp_eq_u16_e64 s20, 0, v18
	v_and_b32_e32 v14, 1, v14
	s_delay_alu instid0(VALU_DEP_2) | instskip(NEXT) | instid1(VALU_DEP_4)
	v_cndmask_b32_e64 v18, 0, v34, s20
	v_cmp_eq_u32_e64 s20, 1, v15
	s_delay_alu instid0(VALU_DEP_2) | instskip(NEXT) | instid1(VALU_DEP_2)
	v_add_nc_u16 v9, v18, v9
	v_cndmask_b32_e64 v14, v14, 1, s20
	s_delay_alu instid0(VALU_DEP_2) | instskip(NEXT) | instid1(VALU_DEP_2)
	v_and_b32_e32 v18, 0xffff, v9
	v_lshlrev_b32_e32 v15, 16, v14
	s_delay_alu instid0(VALU_DEP_1)
	v_or3_b32 v18, v15, v18, v8
	v_mov_b32_e32 v15, v14
.LBB668_273:
	s_or_b32 exec_lo, exec_lo, s22
	s_delay_alu instid0(VALU_DEP_2)
	v_mov_b32_dpp v34, v18 row_shr:8 row_mask:0xf bank_mask:0xf
	s_mov_b32 s22, exec_lo
	v_cmpx_lt_u32_e32 7, v13
	s_cbranch_execz .LBB668_275
; %bb.274:
	v_and_b32_e32 v14, 0xff, v15
	v_dual_lshrrev_b32 v13, 16, v34 :: v_dual_bitop2_b32 v15, 1, v15 bitop3:0x40
	s_delay_alu instid0(VALU_DEP_2) | instskip(NEXT) | instid1(VALU_DEP_1)
	v_cmp_eq_u16_e64 s20, 0, v14
	v_dual_cndmask_b32 v18, 0, v34, s20 :: v_dual_bitop2_b32 v13, 1, v13 bitop3:0x40
	s_delay_alu instid0(VALU_DEP_3) | instskip(NEXT) | instid1(VALU_DEP_2)
	v_cmp_eq_u32_e64 s20, 1, v15
	v_add_nc_u16 v9, v18, v9
	s_delay_alu instid0(VALU_DEP_2) | instskip(NEXT) | instid1(VALU_DEP_2)
	v_cndmask_b32_e64 v14, v13, 1, s20
	v_and_b32_e32 v15, 0xffff, v9
	s_delay_alu instid0(VALU_DEP_2) | instskip(NEXT) | instid1(VALU_DEP_1)
	v_lshlrev_b32_e32 v13, 16, v14
	v_or3_b32 v18, v13, v15, v8
	v_mov_b32_e32 v15, v14
.LBB668_275:
	s_or_b32 exec_lo, exec_lo, s22
	ds_swizzle_b32 v13, v18 offset:swizzle(BROADCAST,32,15)
	v_and_b32_e32 v18, 16, v12
	s_mov_b32 s22, exec_lo
	s_delay_alu instid0(VALU_DEP_1)
	v_cmpx_ne_u32_e32 0, v18
	s_cbranch_execz .LBB668_277
; %bb.276:
	v_and_b32_e32 v14, 0xff, v15
	s_delay_alu instid0(VALU_DEP_1) | instskip(SKIP_2) | instid1(VALU_DEP_1)
	v_cmp_eq_u16_e64 s20, 0, v14
	s_wait_dscnt 0x0
	v_dual_lshrrev_b32 v18, 16, v13 :: v_dual_bitop2_b32 v14, 1, v15 bitop3:0x40
	v_dual_cndmask_b32 v13, 0, v13, s20 :: v_dual_bitop2_b32 v15, 1, v18 bitop3:0x40
	s_delay_alu instid0(VALU_DEP_2) | instskip(NEXT) | instid1(VALU_DEP_2)
	v_cmp_eq_u32_e64 s20, 1, v14
	v_add_nc_u16 v9, v13, v9
	s_delay_alu instid0(VALU_DEP_2)
	v_cndmask_b32_e64 v14, v15, 1, s20
.LBB668_277:
	s_or_b32 exec_lo, exec_lo, s22
	s_wait_dscnt 0x0
	s_delay_alu instid0(VALU_DEP_1) | instskip(SKIP_2) | instid1(VALU_DEP_3)
	v_and_b32_e32 v13, 0xff, v14
	v_add_nc_u32_e32 v14, -1, v12
	v_and_b32_e32 v9, 0xffff, v9
	; wave barrier
	v_lshlrev_b32_e32 v13, 16, v13
	s_delay_alu instid0(VALU_DEP_3) | instskip(NEXT) | instid1(VALU_DEP_2)
	v_cmp_gt_i32_e64 s20, 0, v14
	v_or3_b32 v8, v13, v9, v8
	s_delay_alu instid0(VALU_DEP_2) | instskip(NEXT) | instid1(VALU_DEP_1)
	v_cndmask_b32_e64 v12, v14, v12, s20
	v_lshlrev_b32_e32 v9, 2, v12
	ds_bpermute_b32 v8, v9, v8
	v_and_b32_e32 v9, 0xff0000, v6
	s_delay_alu instid0(VALU_DEP_1) | instskip(SKIP_1) | instid1(VALU_DEP_1)
	v_cmp_eq_u32_e64 s20, 0, v9
	s_wait_dscnt 0x0
	v_dual_lshrrev_b32 v12, 16, v8 :: v_dual_cndmask_b32 v8, 0, v8, s20
	v_cmp_eq_u32_e64 s20, 0, v7
	s_delay_alu instid0(VALU_DEP_2) | instskip(NEXT) | instid1(VALU_DEP_3)
	v_and_b32_e32 v9, 1, v12
	v_add_nc_u16 v6, v8, v6
	s_delay_alu instid0(VALU_DEP_1) | instskip(NEXT) | instid1(VALU_DEP_1)
	v_dual_cndmask_b32 v7, 1, v9, s20 :: v_dual_cndmask_b32 v4, v6, v4, s2
	v_cndmask_b32_e64 v5, v7, v5, s2
	ds_store_b16 v3, v4
	ds_store_b8 v3, v5 offset:2
	; wave barrier
	ds_load_u8 v6, v3 offset:6
	ds_load_u16 v7, v3 offset:4
	ds_load_u8 v8, v3 offset:10
	ds_load_u16 v9, v3 offset:8
	ds_load_u16 v12, v3 offset:12
	ds_load_u8 v13, v3 offset:14
	ds_load_u16 v14, v3 offset:16
	ds_load_u8 v15, v3 offset:18
	s_wait_dscnt 0x7
	v_cmp_eq_u16_e64 s20, 0, v6
	s_delay_alu instid0(VALU_DEP_1) | instskip(SKIP_2) | instid1(VALU_DEP_2)
	v_dual_cndmask_b32 v4, 0, v4, s20 :: v_dual_bitop2_b32 v6, 1, v6 bitop3:0x40
	s_wait_dscnt 0x5
	v_cmp_eq_u16_e64 s20, 0, v8
	v_add_nc_u16 v4, v4, v7
	s_delay_alu instid0(VALU_DEP_1) | instskip(SKIP_2) | instid1(VALU_DEP_2)
	v_cndmask_b32_e64 v7, 0, v4, s20
	s_wait_dscnt 0x2
	v_cmp_eq_u16_e64 s20, 0, v13
	v_add_nc_u16 v7, v7, v9
	ds_load_u8 v9, v3 offset:22
	ds_load_u16 v34, v3 offset:20
	ds_load_u8 v35, v3 offset:26
	ds_load_u8 v36, v3 offset:30
	v_cndmask_b32_e64 v18, 0, v7, s20
	v_cmp_eq_u32_e64 s20, 1, v6
	v_and_b32_e32 v6, 1, v13
	s_delay_alu instid0(VALU_DEP_3) | instskip(NEXT) | instid1(VALU_DEP_3)
	v_add_nc_u16 v12, v18, v12
	v_cndmask_b32_e64 v5, v5, 1, s20
	s_wait_dscnt 0x4
	v_cmp_eq_u16_e64 s20, 0, v15
	ds_load_u16 v18, v3 offset:24
	ds_load_u16 v37, v3 offset:28
	v_cndmask_b32_e64 v13, 0, v12, s20
	s_delay_alu instid0(VALU_DEP_1) | instskip(SKIP_4) | instid1(VALU_DEP_3)
	v_add_nc_u16 v13, v13, v14
	v_and_b32_e32 v8, 1, v8
	v_and_b32_e32 v14, 1, v15
	s_wait_dscnt 0x2
	v_and_b32_e32 v38, 1, v36
	v_cmp_eq_u32_e64 s20, 1, v8
	s_delay_alu instid0(VALU_DEP_1) | instskip(SKIP_1) | instid1(VALU_DEP_1)
	v_cndmask_b32_e64 v8, v5, 1, s20
	v_cmp_eq_u32_e64 s20, 1, v6
	v_cndmask_b32_e64 v6, v8, 1, s20
	v_cmp_eq_u16_e64 s20, 0, v9
	v_and_b32_e32 v9, 1, v9
	s_delay_alu instid0(VALU_DEP_2) | instskip(SKIP_1) | instid1(VALU_DEP_2)
	v_cndmask_b32_e64 v15, 0, v13, s20
	v_cmp_eq_u32_e64 s20, 1, v14
	v_add_nc_u16 v15, v15, v34
	s_delay_alu instid0(VALU_DEP_2)
	v_cndmask_b32_e64 v14, v6, 1, s20
	v_cmp_eq_u32_e64 s20, 1, v9
	v_and_b32_e32 v34, 1, v35
	ds_store_b16 v3, v4 offset:4
	ds_store_b8 v3, v5 offset:6
	ds_store_b16 v3, v7 offset:8
	ds_store_b8 v3, v8 offset:10
	;; [unrolled: 2-line block ×4, first 2 shown]
	v_cndmask_b32_e64 v9, v14, 1, s20
	v_cmp_eq_u16_e64 s20, 0, v35
	s_delay_alu instid0(VALU_DEP_1) | instskip(SKIP_2) | instid1(VALU_DEP_2)
	v_cndmask_b32_e64 v35, 0, v15, s20
	v_cmp_eq_u32_e64 s20, 1, v34
	s_wait_dscnt 0x9
	v_add_nc_u16 v18, v35, v18
	s_delay_alu instid0(VALU_DEP_2) | instskip(SKIP_1) | instid1(VALU_DEP_1)
	v_cndmask_b32_e64 v34, v9, 1, s20
	v_cmp_eq_u32_e64 s20, 1, v38
	v_cndmask_b32_e64 v35, v34, 1, s20
	v_cmp_eq_u16_e64 s20, 0, v36
	s_delay_alu instid0(VALU_DEP_1) | instskip(SKIP_1) | instid1(VALU_DEP_1)
	v_cndmask_b32_e64 v36, 0, v18, s20
	s_wait_dscnt 0x8
	v_add_nc_u16 v4, v36, v37
	ds_store_b16 v3, v15 offset:20
	ds_store_b8 v3, v9 offset:22
	ds_store_b16 v3, v18 offset:24
	ds_store_b8 v3, v34 offset:26
	;; [unrolled: 2-line block ×3, first 2 shown]
.LBB668_278:
	s_or_b32 exec_lo, exec_lo, s21
	v_mov_b32_e32 v4, v2
	s_wait_dscnt 0x0
	s_barrier_signal -1
	s_barrier_wait -1
	s_and_saveexec_b32 s20, s3
	s_cbranch_execz .LBB668_280
; %bb.279:
	v_add_nc_u32_e32 v3, -1, v0
	s_delay_alu instid0(VALU_DEP_1) | instskip(NEXT) | instid1(VALU_DEP_1)
	v_lshrrev_b32_e32 v4, 3, v3
	v_and_b32_e32 v4, 0x1ffffffc, v4
	s_delay_alu instid0(VALU_DEP_1) | instskip(SKIP_4) | instid1(VALU_DEP_1)
	v_lshl_add_u32 v3, v3, 2, v4
	ds_load_u8 v4, v3 offset:2
	ds_load_u16 v3, v3
	s_wait_dscnt 0x1
	v_cmp_eq_u16_e64 s3, 0, v4
	v_cndmask_b32_e64 v4, 0, v2, s3
	s_wait_dscnt 0x0
	s_delay_alu instid0(VALU_DEP_1)
	v_add_nc_u16 v4, v4, v3
.LBB668_280:
	s_or_b32 exec_lo, exec_lo, s20
	v_and_b32_e32 v3, 0xff0000, v32
	s_delay_alu instid0(VALU_DEP_1) | instskip(NEXT) | instid1(VALU_DEP_1)
	v_cmp_eq_u32_e64 s3, 0, v3
	v_cndmask_b32_e64 v3, 0, v4, s3
	s_delay_alu instid0(VALU_DEP_1) | instskip(NEXT) | instid1(VALU_DEP_1)
	v_add_nc_u16 v5, v3, v32
	v_cndmask_b32_e32 v3, 0, v5, vcc_lo
	s_delay_alu instid0(VALU_DEP_1) | instskip(NEXT) | instid1(VALU_DEP_1)
	v_add_nc_u16 v6, v3, v11
	v_cndmask_b32_e64 v3, 0, v6, s1
	s_delay_alu instid0(VALU_DEP_1) | instskip(NEXT) | instid1(VALU_DEP_1)
	v_add_nc_u16 v7, v3, v10
	v_cndmask_b32_e64 v3, 0, v7, s4
	s_delay_alu instid0(VALU_DEP_1) | instskip(NEXT) | instid1(VALU_DEP_1)
	v_add_nc_u16 v8, v3, v33
	v_cndmask_b32_e64 v3, 0, v8, s5
	s_delay_alu instid0(VALU_DEP_1) | instskip(NEXT) | instid1(VALU_DEP_1)
	v_add_nc_u16 v9, v3, v31
	v_cndmask_b32_e64 v3, 0, v9, s6
	s_delay_alu instid0(VALU_DEP_1) | instskip(NEXT) | instid1(VALU_DEP_1)
	v_add_nc_u16 v36, v3, v30
	v_cndmask_b32_e64 v3, 0, v36, s7
	s_delay_alu instid0(VALU_DEP_1) | instskip(NEXT) | instid1(VALU_DEP_1)
	v_add_nc_u16 v38, v3, v29
	v_cndmask_b32_e64 v3, 0, v38, s8
	s_delay_alu instid0(VALU_DEP_1) | instskip(NEXT) | instid1(VALU_DEP_1)
	v_add_nc_u16 v18, v3, v28
	v_cndmask_b32_e64 v3, 0, v18, s9
	s_delay_alu instid0(VALU_DEP_1) | instskip(NEXT) | instid1(VALU_DEP_1)
	v_add_nc_u16 v37, v3, v27
	v_cndmask_b32_e64 v3, 0, v37, s10
	s_delay_alu instid0(VALU_DEP_1) | instskip(NEXT) | instid1(VALU_DEP_1)
	v_add_nc_u16 v39, v3, v26
	v_cndmask_b32_e64 v3, 0, v39, s11
	s_delay_alu instid0(VALU_DEP_1) | instskip(NEXT) | instid1(VALU_DEP_1)
	v_add_nc_u16 v40, v3, v25
	v_cndmask_b32_e64 v3, 0, v40, s12
	s_delay_alu instid0(VALU_DEP_1) | instskip(NEXT) | instid1(VALU_DEP_1)
	v_add_nc_u16 v41, v3, v24
	v_cndmask_b32_e64 v3, 0, v41, s13
	s_delay_alu instid0(VALU_DEP_1) | instskip(NEXT) | instid1(VALU_DEP_1)
	v_add_nc_u16 v42, v3, v23
	v_cndmask_b32_e64 v3, 0, v42, s14
	s_delay_alu instid0(VALU_DEP_1) | instskip(NEXT) | instid1(VALU_DEP_1)
	v_add_nc_u16 v43, v3, v22
	v_cndmask_b32_e64 v3, 0, v43, s15
	s_delay_alu instid0(VALU_DEP_1) | instskip(NEXT) | instid1(VALU_DEP_1)
	v_add_nc_u16 v45, v3, v21
	v_cndmask_b32_e64 v3, 0, v45, s16
	s_delay_alu instid0(VALU_DEP_1) | instskip(NEXT) | instid1(VALU_DEP_1)
	v_add_nc_u16 v44, v3, v19
	v_cndmask_b32_e64 v3, 0, v44, s17
	s_delay_alu instid0(VALU_DEP_1) | instskip(NEXT) | instid1(VALU_DEP_1)
	v_add_nc_u16 v46, v3, v17
	v_cndmask_b32_e64 v3, 0, v46, s18
	s_delay_alu instid0(VALU_DEP_1) | instskip(NEXT) | instid1(VALU_DEP_1)
	v_add_nc_u16 v47, v3, v16
	v_cndmask_b32_e64 v3, 0, v47, s19
	s_and_saveexec_b32 s1, s2
	s_cbranch_execz .LBB668_282
; %bb.281:
	v_mov_b32_e32 v12, 0
	ds_load_u8 v10, v12 offset:1050
	ds_load_u16 v11, v12 offset:1048
	s_wait_dscnt 0x1
	v_cmp_eq_u32_e32 vcc_lo, 0, v10
	v_lshlrev_b32_e32 v10, 16, v10
	v_cndmask_b32_e32 v2, 0, v2, vcc_lo
	s_wait_dscnt 0x0
	s_delay_alu instid0(VALU_DEP_1) | instskip(NEXT) | instid1(VALU_DEP_1)
	v_dual_mov_b32 v11, 2 :: v_dual_add_nc_u32 v2, v2, v11
	v_and_b32_e32 v2, 0xffff, v2
	s_delay_alu instid0(VALU_DEP_1)
	v_or_b32_e32 v10, v10, v2
	global_store_b64 v12, v[10:11], s[28:29] offset:256 scope:SCOPE_DEV
.LBB668_282:
	s_wait_xcnt 0x0
	s_or_b32 exec_lo, exec_lo, s1
	v_add_nc_u16 v48, v3, v1
	s_add_nc_u64 s[2:3], s[26:27], s[34:35]
	s_and_b32 vcc_lo, exec_lo, s0
	s_add_nc_u64 s[0:1], s[2:3], s[24:25]
	s_cbranch_vccnz .LBB668_188
.LBB668_283:
	s_mov_b32 s2, 0
                                        ; implicit-def: $vgpr1
	s_cbranch_execz .LBB668_285
; %bb.284:
	s_wait_dscnt 0x0
	v_mul_u32_u24_e32 v1, 40, v0
	v_perm_b32 v3, v38, v36, 0x5040100
	v_perm_b32 v2, v9, v8, 0x5040100
	;; [unrolled: 1-line block ×4, first 2 shown]
	v_mul_i32_i24_e32 v12, 0xffffffda, v0
	v_perm_b32 v5, v45, v43, 0x5040100
	v_perm_b32 v4, v42, v41, 0x5040100
	;; [unrolled: 1-line block ×6, first 2 shown]
	s_wait_storecnt 0x0
	s_barrier_signal -1
	s_barrier_wait -1
	ds_store_2addr_b64 v1, v[6:7], v[2:3] offset1:1
	ds_store_2addr_b64 v1, v[8:9], v[4:5] offset0:2 offset1:3
	ds_store_b64 v1, v[10:11] offset:32
	v_mad_u32_u24 v1, v0, 40, v12
	s_wait_dscnt 0x0
	s_barrier_signal -1
	s_barrier_wait -1
	ds_load_u16 v2, v1
	ds_load_u16 v3, v1 offset:512
	ds_load_u16 v4, v1 offset:1024
	ds_load_u16 v5, v1 offset:1536
	ds_load_u16 v6, v1 offset:2048
	ds_load_u16 v7, v1 offset:2560
	ds_load_u16 v8, v1 offset:3072
	ds_load_u16 v9, v1 offset:3584
	ds_load_u16 v10, v1 offset:4096
	ds_load_u16 v11, v1 offset:4608
	ds_load_u16 v12, v1 offset:5120
	ds_load_u16 v13, v1 offset:5632
	ds_load_u16 v14, v1 offset:6144
	ds_load_u16 v15, v1 offset:6656
	ds_load_u16 v16, v1 offset:7168
	ds_load_u16 v17, v1 offset:7680
	ds_load_u16 v18, v1 offset:8192
	ds_load_u16 v19, v1 offset:8704
	ds_load_u16 v20, v1 offset:9216
	ds_load_u16 v1, v1 offset:9728
	s_or_b32 s2, s2, exec_lo
	s_wait_dscnt 0x13
	flat_store_b16 v0, v2, s[0:1] scale_offset
	s_wait_dscnt 0x13
	flat_store_b16 v0, v3, s[0:1] offset:512 scale_offset
	s_wait_dscnt 0x13
	flat_store_b16 v0, v4, s[0:1] offset:1024 scale_offset
	;; [unrolled: 2-line block ×18, first 2 shown]
.LBB668_285:
	s_wait_xcnt 0x0
	s_delay_alu instid0(VALU_DEP_1)
	s_and_saveexec_b32 s3, s2
	s_cbranch_execz .LBB668_287
; %bb.286:
	s_wait_dscnt 0x0
	flat_store_b16 v0, v1, s[0:1] offset:9728 scale_offset
	s_endpgm
.LBB668_287:
	s_endpgm
	.section	.rodata,"a",@progbits
	.p2align	6, 0x0
	.amdhsa_kernel _ZN7rocprim17ROCPRIM_400000_NS6detail17trampoline_kernelINS0_14default_configENS1_27scan_by_key_config_selectorIssEEZZNS1_16scan_by_key_implILNS1_25lookback_scan_determinismE0ELb1ES3_N6thrust23THRUST_200600_302600_NS6detail15normal_iteratorINS9_10device_ptrIsEEEESE_SE_sNS9_4plusIvEENS9_8equal_toIsEEsEE10hipError_tPvRmT2_T3_T4_T5_mT6_T7_P12ihipStream_tbENKUlT_T0_E_clISt17integral_constantIbLb0EESY_IbLb1EEEEDaSU_SV_EUlSU_E_NS1_11comp_targetILNS1_3genE0ELNS1_11target_archE4294967295ELNS1_3gpuE0ELNS1_3repE0EEENS1_30default_config_static_selectorELNS0_4arch9wavefront6targetE0EEEvT1_
		.amdhsa_group_segment_fixed_size 11264
		.amdhsa_private_segment_fixed_size 0
		.amdhsa_kernarg_size 112
		.amdhsa_user_sgpr_count 2
		.amdhsa_user_sgpr_dispatch_ptr 0
		.amdhsa_user_sgpr_queue_ptr 0
		.amdhsa_user_sgpr_kernarg_segment_ptr 1
		.amdhsa_user_sgpr_dispatch_id 0
		.amdhsa_user_sgpr_kernarg_preload_length 0
		.amdhsa_user_sgpr_kernarg_preload_offset 0
		.amdhsa_user_sgpr_private_segment_size 0
		.amdhsa_wavefront_size32 1
		.amdhsa_uses_dynamic_stack 0
		.amdhsa_enable_private_segment 0
		.amdhsa_system_sgpr_workgroup_id_x 1
		.amdhsa_system_sgpr_workgroup_id_y 0
		.amdhsa_system_sgpr_workgroup_id_z 0
		.amdhsa_system_sgpr_workgroup_info 0
		.amdhsa_system_vgpr_workitem_id 0
		.amdhsa_next_free_vgpr 57
		.amdhsa_next_free_sgpr 46
		.amdhsa_named_barrier_count 0
		.amdhsa_reserve_vcc 1
		.amdhsa_float_round_mode_32 0
		.amdhsa_float_round_mode_16_64 0
		.amdhsa_float_denorm_mode_32 3
		.amdhsa_float_denorm_mode_16_64 3
		.amdhsa_fp16_overflow 0
		.amdhsa_memory_ordered 1
		.amdhsa_forward_progress 1
		.amdhsa_inst_pref_size 151
		.amdhsa_round_robin_scheduling 0
		.amdhsa_exception_fp_ieee_invalid_op 0
		.amdhsa_exception_fp_denorm_src 0
		.amdhsa_exception_fp_ieee_div_zero 0
		.amdhsa_exception_fp_ieee_overflow 0
		.amdhsa_exception_fp_ieee_underflow 0
		.amdhsa_exception_fp_ieee_inexact 0
		.amdhsa_exception_int_div_zero 0
	.end_amdhsa_kernel
	.section	.text._ZN7rocprim17ROCPRIM_400000_NS6detail17trampoline_kernelINS0_14default_configENS1_27scan_by_key_config_selectorIssEEZZNS1_16scan_by_key_implILNS1_25lookback_scan_determinismE0ELb1ES3_N6thrust23THRUST_200600_302600_NS6detail15normal_iteratorINS9_10device_ptrIsEEEESE_SE_sNS9_4plusIvEENS9_8equal_toIsEEsEE10hipError_tPvRmT2_T3_T4_T5_mT6_T7_P12ihipStream_tbENKUlT_T0_E_clISt17integral_constantIbLb0EESY_IbLb1EEEEDaSU_SV_EUlSU_E_NS1_11comp_targetILNS1_3genE0ELNS1_11target_archE4294967295ELNS1_3gpuE0ELNS1_3repE0EEENS1_30default_config_static_selectorELNS0_4arch9wavefront6targetE0EEEvT1_,"axG",@progbits,_ZN7rocprim17ROCPRIM_400000_NS6detail17trampoline_kernelINS0_14default_configENS1_27scan_by_key_config_selectorIssEEZZNS1_16scan_by_key_implILNS1_25lookback_scan_determinismE0ELb1ES3_N6thrust23THRUST_200600_302600_NS6detail15normal_iteratorINS9_10device_ptrIsEEEESE_SE_sNS9_4plusIvEENS9_8equal_toIsEEsEE10hipError_tPvRmT2_T3_T4_T5_mT6_T7_P12ihipStream_tbENKUlT_T0_E_clISt17integral_constantIbLb0EESY_IbLb1EEEEDaSU_SV_EUlSU_E_NS1_11comp_targetILNS1_3genE0ELNS1_11target_archE4294967295ELNS1_3gpuE0ELNS1_3repE0EEENS1_30default_config_static_selectorELNS0_4arch9wavefront6targetE0EEEvT1_,comdat
.Lfunc_end668:
	.size	_ZN7rocprim17ROCPRIM_400000_NS6detail17trampoline_kernelINS0_14default_configENS1_27scan_by_key_config_selectorIssEEZZNS1_16scan_by_key_implILNS1_25lookback_scan_determinismE0ELb1ES3_N6thrust23THRUST_200600_302600_NS6detail15normal_iteratorINS9_10device_ptrIsEEEESE_SE_sNS9_4plusIvEENS9_8equal_toIsEEsEE10hipError_tPvRmT2_T3_T4_T5_mT6_T7_P12ihipStream_tbENKUlT_T0_E_clISt17integral_constantIbLb0EESY_IbLb1EEEEDaSU_SV_EUlSU_E_NS1_11comp_targetILNS1_3genE0ELNS1_11target_archE4294967295ELNS1_3gpuE0ELNS1_3repE0EEENS1_30default_config_static_selectorELNS0_4arch9wavefront6targetE0EEEvT1_, .Lfunc_end668-_ZN7rocprim17ROCPRIM_400000_NS6detail17trampoline_kernelINS0_14default_configENS1_27scan_by_key_config_selectorIssEEZZNS1_16scan_by_key_implILNS1_25lookback_scan_determinismE0ELb1ES3_N6thrust23THRUST_200600_302600_NS6detail15normal_iteratorINS9_10device_ptrIsEEEESE_SE_sNS9_4plusIvEENS9_8equal_toIsEEsEE10hipError_tPvRmT2_T3_T4_T5_mT6_T7_P12ihipStream_tbENKUlT_T0_E_clISt17integral_constantIbLb0EESY_IbLb1EEEEDaSU_SV_EUlSU_E_NS1_11comp_targetILNS1_3genE0ELNS1_11target_archE4294967295ELNS1_3gpuE0ELNS1_3repE0EEENS1_30default_config_static_selectorELNS0_4arch9wavefront6targetE0EEEvT1_
                                        ; -- End function
	.set _ZN7rocprim17ROCPRIM_400000_NS6detail17trampoline_kernelINS0_14default_configENS1_27scan_by_key_config_selectorIssEEZZNS1_16scan_by_key_implILNS1_25lookback_scan_determinismE0ELb1ES3_N6thrust23THRUST_200600_302600_NS6detail15normal_iteratorINS9_10device_ptrIsEEEESE_SE_sNS9_4plusIvEENS9_8equal_toIsEEsEE10hipError_tPvRmT2_T3_T4_T5_mT6_T7_P12ihipStream_tbENKUlT_T0_E_clISt17integral_constantIbLb0EESY_IbLb1EEEEDaSU_SV_EUlSU_E_NS1_11comp_targetILNS1_3genE0ELNS1_11target_archE4294967295ELNS1_3gpuE0ELNS1_3repE0EEENS1_30default_config_static_selectorELNS0_4arch9wavefront6targetE0EEEvT1_.num_vgpr, 57
	.set _ZN7rocprim17ROCPRIM_400000_NS6detail17trampoline_kernelINS0_14default_configENS1_27scan_by_key_config_selectorIssEEZZNS1_16scan_by_key_implILNS1_25lookback_scan_determinismE0ELb1ES3_N6thrust23THRUST_200600_302600_NS6detail15normal_iteratorINS9_10device_ptrIsEEEESE_SE_sNS9_4plusIvEENS9_8equal_toIsEEsEE10hipError_tPvRmT2_T3_T4_T5_mT6_T7_P12ihipStream_tbENKUlT_T0_E_clISt17integral_constantIbLb0EESY_IbLb1EEEEDaSU_SV_EUlSU_E_NS1_11comp_targetILNS1_3genE0ELNS1_11target_archE4294967295ELNS1_3gpuE0ELNS1_3repE0EEENS1_30default_config_static_selectorELNS0_4arch9wavefront6targetE0EEEvT1_.num_agpr, 0
	.set _ZN7rocprim17ROCPRIM_400000_NS6detail17trampoline_kernelINS0_14default_configENS1_27scan_by_key_config_selectorIssEEZZNS1_16scan_by_key_implILNS1_25lookback_scan_determinismE0ELb1ES3_N6thrust23THRUST_200600_302600_NS6detail15normal_iteratorINS9_10device_ptrIsEEEESE_SE_sNS9_4plusIvEENS9_8equal_toIsEEsEE10hipError_tPvRmT2_T3_T4_T5_mT6_T7_P12ihipStream_tbENKUlT_T0_E_clISt17integral_constantIbLb0EESY_IbLb1EEEEDaSU_SV_EUlSU_E_NS1_11comp_targetILNS1_3genE0ELNS1_11target_archE4294967295ELNS1_3gpuE0ELNS1_3repE0EEENS1_30default_config_static_selectorELNS0_4arch9wavefront6targetE0EEEvT1_.numbered_sgpr, 46
	.set _ZN7rocprim17ROCPRIM_400000_NS6detail17trampoline_kernelINS0_14default_configENS1_27scan_by_key_config_selectorIssEEZZNS1_16scan_by_key_implILNS1_25lookback_scan_determinismE0ELb1ES3_N6thrust23THRUST_200600_302600_NS6detail15normal_iteratorINS9_10device_ptrIsEEEESE_SE_sNS9_4plusIvEENS9_8equal_toIsEEsEE10hipError_tPvRmT2_T3_T4_T5_mT6_T7_P12ihipStream_tbENKUlT_T0_E_clISt17integral_constantIbLb0EESY_IbLb1EEEEDaSU_SV_EUlSU_E_NS1_11comp_targetILNS1_3genE0ELNS1_11target_archE4294967295ELNS1_3gpuE0ELNS1_3repE0EEENS1_30default_config_static_selectorELNS0_4arch9wavefront6targetE0EEEvT1_.num_named_barrier, 0
	.set _ZN7rocprim17ROCPRIM_400000_NS6detail17trampoline_kernelINS0_14default_configENS1_27scan_by_key_config_selectorIssEEZZNS1_16scan_by_key_implILNS1_25lookback_scan_determinismE0ELb1ES3_N6thrust23THRUST_200600_302600_NS6detail15normal_iteratorINS9_10device_ptrIsEEEESE_SE_sNS9_4plusIvEENS9_8equal_toIsEEsEE10hipError_tPvRmT2_T3_T4_T5_mT6_T7_P12ihipStream_tbENKUlT_T0_E_clISt17integral_constantIbLb0EESY_IbLb1EEEEDaSU_SV_EUlSU_E_NS1_11comp_targetILNS1_3genE0ELNS1_11target_archE4294967295ELNS1_3gpuE0ELNS1_3repE0EEENS1_30default_config_static_selectorELNS0_4arch9wavefront6targetE0EEEvT1_.private_seg_size, 0
	.set _ZN7rocprim17ROCPRIM_400000_NS6detail17trampoline_kernelINS0_14default_configENS1_27scan_by_key_config_selectorIssEEZZNS1_16scan_by_key_implILNS1_25lookback_scan_determinismE0ELb1ES3_N6thrust23THRUST_200600_302600_NS6detail15normal_iteratorINS9_10device_ptrIsEEEESE_SE_sNS9_4plusIvEENS9_8equal_toIsEEsEE10hipError_tPvRmT2_T3_T4_T5_mT6_T7_P12ihipStream_tbENKUlT_T0_E_clISt17integral_constantIbLb0EESY_IbLb1EEEEDaSU_SV_EUlSU_E_NS1_11comp_targetILNS1_3genE0ELNS1_11target_archE4294967295ELNS1_3gpuE0ELNS1_3repE0EEENS1_30default_config_static_selectorELNS0_4arch9wavefront6targetE0EEEvT1_.uses_vcc, 1
	.set _ZN7rocprim17ROCPRIM_400000_NS6detail17trampoline_kernelINS0_14default_configENS1_27scan_by_key_config_selectorIssEEZZNS1_16scan_by_key_implILNS1_25lookback_scan_determinismE0ELb1ES3_N6thrust23THRUST_200600_302600_NS6detail15normal_iteratorINS9_10device_ptrIsEEEESE_SE_sNS9_4plusIvEENS9_8equal_toIsEEsEE10hipError_tPvRmT2_T3_T4_T5_mT6_T7_P12ihipStream_tbENKUlT_T0_E_clISt17integral_constantIbLb0EESY_IbLb1EEEEDaSU_SV_EUlSU_E_NS1_11comp_targetILNS1_3genE0ELNS1_11target_archE4294967295ELNS1_3gpuE0ELNS1_3repE0EEENS1_30default_config_static_selectorELNS0_4arch9wavefront6targetE0EEEvT1_.uses_flat_scratch, 1
	.set _ZN7rocprim17ROCPRIM_400000_NS6detail17trampoline_kernelINS0_14default_configENS1_27scan_by_key_config_selectorIssEEZZNS1_16scan_by_key_implILNS1_25lookback_scan_determinismE0ELb1ES3_N6thrust23THRUST_200600_302600_NS6detail15normal_iteratorINS9_10device_ptrIsEEEESE_SE_sNS9_4plusIvEENS9_8equal_toIsEEsEE10hipError_tPvRmT2_T3_T4_T5_mT6_T7_P12ihipStream_tbENKUlT_T0_E_clISt17integral_constantIbLb0EESY_IbLb1EEEEDaSU_SV_EUlSU_E_NS1_11comp_targetILNS1_3genE0ELNS1_11target_archE4294967295ELNS1_3gpuE0ELNS1_3repE0EEENS1_30default_config_static_selectorELNS0_4arch9wavefront6targetE0EEEvT1_.has_dyn_sized_stack, 0
	.set _ZN7rocprim17ROCPRIM_400000_NS6detail17trampoline_kernelINS0_14default_configENS1_27scan_by_key_config_selectorIssEEZZNS1_16scan_by_key_implILNS1_25lookback_scan_determinismE0ELb1ES3_N6thrust23THRUST_200600_302600_NS6detail15normal_iteratorINS9_10device_ptrIsEEEESE_SE_sNS9_4plusIvEENS9_8equal_toIsEEsEE10hipError_tPvRmT2_T3_T4_T5_mT6_T7_P12ihipStream_tbENKUlT_T0_E_clISt17integral_constantIbLb0EESY_IbLb1EEEEDaSU_SV_EUlSU_E_NS1_11comp_targetILNS1_3genE0ELNS1_11target_archE4294967295ELNS1_3gpuE0ELNS1_3repE0EEENS1_30default_config_static_selectorELNS0_4arch9wavefront6targetE0EEEvT1_.has_recursion, 0
	.set _ZN7rocprim17ROCPRIM_400000_NS6detail17trampoline_kernelINS0_14default_configENS1_27scan_by_key_config_selectorIssEEZZNS1_16scan_by_key_implILNS1_25lookback_scan_determinismE0ELb1ES3_N6thrust23THRUST_200600_302600_NS6detail15normal_iteratorINS9_10device_ptrIsEEEESE_SE_sNS9_4plusIvEENS9_8equal_toIsEEsEE10hipError_tPvRmT2_T3_T4_T5_mT6_T7_P12ihipStream_tbENKUlT_T0_E_clISt17integral_constantIbLb0EESY_IbLb1EEEEDaSU_SV_EUlSU_E_NS1_11comp_targetILNS1_3genE0ELNS1_11target_archE4294967295ELNS1_3gpuE0ELNS1_3repE0EEENS1_30default_config_static_selectorELNS0_4arch9wavefront6targetE0EEEvT1_.has_indirect_call, 0
	.section	.AMDGPU.csdata,"",@progbits
; Kernel info:
; codeLenInByte = 19244
; TotalNumSgprs: 48
; NumVgprs: 57
; ScratchSize: 0
; MemoryBound: 0
; FloatMode: 240
; IeeeMode: 1
; LDSByteSize: 11264 bytes/workgroup (compile time only)
; SGPRBlocks: 0
; VGPRBlocks: 3
; NumSGPRsForWavesPerEU: 48
; NumVGPRsForWavesPerEU: 57
; NamedBarCnt: 0
; Occupancy: 16
; WaveLimiterHint : 1
; COMPUTE_PGM_RSRC2:SCRATCH_EN: 0
; COMPUTE_PGM_RSRC2:USER_SGPR: 2
; COMPUTE_PGM_RSRC2:TRAP_HANDLER: 0
; COMPUTE_PGM_RSRC2:TGID_X_EN: 1
; COMPUTE_PGM_RSRC2:TGID_Y_EN: 0
; COMPUTE_PGM_RSRC2:TGID_Z_EN: 0
; COMPUTE_PGM_RSRC2:TIDIG_COMP_CNT: 0
	.section	.text._ZN7rocprim17ROCPRIM_400000_NS6detail17trampoline_kernelINS0_14default_configENS1_27scan_by_key_config_selectorIssEEZZNS1_16scan_by_key_implILNS1_25lookback_scan_determinismE0ELb1ES3_N6thrust23THRUST_200600_302600_NS6detail15normal_iteratorINS9_10device_ptrIsEEEESE_SE_sNS9_4plusIvEENS9_8equal_toIsEEsEE10hipError_tPvRmT2_T3_T4_T5_mT6_T7_P12ihipStream_tbENKUlT_T0_E_clISt17integral_constantIbLb0EESY_IbLb1EEEEDaSU_SV_EUlSU_E_NS1_11comp_targetILNS1_3genE10ELNS1_11target_archE1201ELNS1_3gpuE5ELNS1_3repE0EEENS1_30default_config_static_selectorELNS0_4arch9wavefront6targetE0EEEvT1_,"axG",@progbits,_ZN7rocprim17ROCPRIM_400000_NS6detail17trampoline_kernelINS0_14default_configENS1_27scan_by_key_config_selectorIssEEZZNS1_16scan_by_key_implILNS1_25lookback_scan_determinismE0ELb1ES3_N6thrust23THRUST_200600_302600_NS6detail15normal_iteratorINS9_10device_ptrIsEEEESE_SE_sNS9_4plusIvEENS9_8equal_toIsEEsEE10hipError_tPvRmT2_T3_T4_T5_mT6_T7_P12ihipStream_tbENKUlT_T0_E_clISt17integral_constantIbLb0EESY_IbLb1EEEEDaSU_SV_EUlSU_E_NS1_11comp_targetILNS1_3genE10ELNS1_11target_archE1201ELNS1_3gpuE5ELNS1_3repE0EEENS1_30default_config_static_selectorELNS0_4arch9wavefront6targetE0EEEvT1_,comdat
	.protected	_ZN7rocprim17ROCPRIM_400000_NS6detail17trampoline_kernelINS0_14default_configENS1_27scan_by_key_config_selectorIssEEZZNS1_16scan_by_key_implILNS1_25lookback_scan_determinismE0ELb1ES3_N6thrust23THRUST_200600_302600_NS6detail15normal_iteratorINS9_10device_ptrIsEEEESE_SE_sNS9_4plusIvEENS9_8equal_toIsEEsEE10hipError_tPvRmT2_T3_T4_T5_mT6_T7_P12ihipStream_tbENKUlT_T0_E_clISt17integral_constantIbLb0EESY_IbLb1EEEEDaSU_SV_EUlSU_E_NS1_11comp_targetILNS1_3genE10ELNS1_11target_archE1201ELNS1_3gpuE5ELNS1_3repE0EEENS1_30default_config_static_selectorELNS0_4arch9wavefront6targetE0EEEvT1_ ; -- Begin function _ZN7rocprim17ROCPRIM_400000_NS6detail17trampoline_kernelINS0_14default_configENS1_27scan_by_key_config_selectorIssEEZZNS1_16scan_by_key_implILNS1_25lookback_scan_determinismE0ELb1ES3_N6thrust23THRUST_200600_302600_NS6detail15normal_iteratorINS9_10device_ptrIsEEEESE_SE_sNS9_4plusIvEENS9_8equal_toIsEEsEE10hipError_tPvRmT2_T3_T4_T5_mT6_T7_P12ihipStream_tbENKUlT_T0_E_clISt17integral_constantIbLb0EESY_IbLb1EEEEDaSU_SV_EUlSU_E_NS1_11comp_targetILNS1_3genE10ELNS1_11target_archE1201ELNS1_3gpuE5ELNS1_3repE0EEENS1_30default_config_static_selectorELNS0_4arch9wavefront6targetE0EEEvT1_
	.globl	_ZN7rocprim17ROCPRIM_400000_NS6detail17trampoline_kernelINS0_14default_configENS1_27scan_by_key_config_selectorIssEEZZNS1_16scan_by_key_implILNS1_25lookback_scan_determinismE0ELb1ES3_N6thrust23THRUST_200600_302600_NS6detail15normal_iteratorINS9_10device_ptrIsEEEESE_SE_sNS9_4plusIvEENS9_8equal_toIsEEsEE10hipError_tPvRmT2_T3_T4_T5_mT6_T7_P12ihipStream_tbENKUlT_T0_E_clISt17integral_constantIbLb0EESY_IbLb1EEEEDaSU_SV_EUlSU_E_NS1_11comp_targetILNS1_3genE10ELNS1_11target_archE1201ELNS1_3gpuE5ELNS1_3repE0EEENS1_30default_config_static_selectorELNS0_4arch9wavefront6targetE0EEEvT1_
	.p2align	8
	.type	_ZN7rocprim17ROCPRIM_400000_NS6detail17trampoline_kernelINS0_14default_configENS1_27scan_by_key_config_selectorIssEEZZNS1_16scan_by_key_implILNS1_25lookback_scan_determinismE0ELb1ES3_N6thrust23THRUST_200600_302600_NS6detail15normal_iteratorINS9_10device_ptrIsEEEESE_SE_sNS9_4plusIvEENS9_8equal_toIsEEsEE10hipError_tPvRmT2_T3_T4_T5_mT6_T7_P12ihipStream_tbENKUlT_T0_E_clISt17integral_constantIbLb0EESY_IbLb1EEEEDaSU_SV_EUlSU_E_NS1_11comp_targetILNS1_3genE10ELNS1_11target_archE1201ELNS1_3gpuE5ELNS1_3repE0EEENS1_30default_config_static_selectorELNS0_4arch9wavefront6targetE0EEEvT1_,@function
_ZN7rocprim17ROCPRIM_400000_NS6detail17trampoline_kernelINS0_14default_configENS1_27scan_by_key_config_selectorIssEEZZNS1_16scan_by_key_implILNS1_25lookback_scan_determinismE0ELb1ES3_N6thrust23THRUST_200600_302600_NS6detail15normal_iteratorINS9_10device_ptrIsEEEESE_SE_sNS9_4plusIvEENS9_8equal_toIsEEsEE10hipError_tPvRmT2_T3_T4_T5_mT6_T7_P12ihipStream_tbENKUlT_T0_E_clISt17integral_constantIbLb0EESY_IbLb1EEEEDaSU_SV_EUlSU_E_NS1_11comp_targetILNS1_3genE10ELNS1_11target_archE1201ELNS1_3gpuE5ELNS1_3repE0EEENS1_30default_config_static_selectorELNS0_4arch9wavefront6targetE0EEEvT1_: ; @_ZN7rocprim17ROCPRIM_400000_NS6detail17trampoline_kernelINS0_14default_configENS1_27scan_by_key_config_selectorIssEEZZNS1_16scan_by_key_implILNS1_25lookback_scan_determinismE0ELb1ES3_N6thrust23THRUST_200600_302600_NS6detail15normal_iteratorINS9_10device_ptrIsEEEESE_SE_sNS9_4plusIvEENS9_8equal_toIsEEsEE10hipError_tPvRmT2_T3_T4_T5_mT6_T7_P12ihipStream_tbENKUlT_T0_E_clISt17integral_constantIbLb0EESY_IbLb1EEEEDaSU_SV_EUlSU_E_NS1_11comp_targetILNS1_3genE10ELNS1_11target_archE1201ELNS1_3gpuE5ELNS1_3repE0EEENS1_30default_config_static_selectorELNS0_4arch9wavefront6targetE0EEEvT1_
; %bb.0:
	.section	.rodata,"a",@progbits
	.p2align	6, 0x0
	.amdhsa_kernel _ZN7rocprim17ROCPRIM_400000_NS6detail17trampoline_kernelINS0_14default_configENS1_27scan_by_key_config_selectorIssEEZZNS1_16scan_by_key_implILNS1_25lookback_scan_determinismE0ELb1ES3_N6thrust23THRUST_200600_302600_NS6detail15normal_iteratorINS9_10device_ptrIsEEEESE_SE_sNS9_4plusIvEENS9_8equal_toIsEEsEE10hipError_tPvRmT2_T3_T4_T5_mT6_T7_P12ihipStream_tbENKUlT_T0_E_clISt17integral_constantIbLb0EESY_IbLb1EEEEDaSU_SV_EUlSU_E_NS1_11comp_targetILNS1_3genE10ELNS1_11target_archE1201ELNS1_3gpuE5ELNS1_3repE0EEENS1_30default_config_static_selectorELNS0_4arch9wavefront6targetE0EEEvT1_
		.amdhsa_group_segment_fixed_size 0
		.amdhsa_private_segment_fixed_size 0
		.amdhsa_kernarg_size 112
		.amdhsa_user_sgpr_count 2
		.amdhsa_user_sgpr_dispatch_ptr 0
		.amdhsa_user_sgpr_queue_ptr 0
		.amdhsa_user_sgpr_kernarg_segment_ptr 1
		.amdhsa_user_sgpr_dispatch_id 0
		.amdhsa_user_sgpr_kernarg_preload_length 0
		.amdhsa_user_sgpr_kernarg_preload_offset 0
		.amdhsa_user_sgpr_private_segment_size 0
		.amdhsa_wavefront_size32 1
		.amdhsa_uses_dynamic_stack 0
		.amdhsa_enable_private_segment 0
		.amdhsa_system_sgpr_workgroup_id_x 1
		.amdhsa_system_sgpr_workgroup_id_y 0
		.amdhsa_system_sgpr_workgroup_id_z 0
		.amdhsa_system_sgpr_workgroup_info 0
		.amdhsa_system_vgpr_workitem_id 0
		.amdhsa_next_free_vgpr 1
		.amdhsa_next_free_sgpr 1
		.amdhsa_named_barrier_count 0
		.amdhsa_reserve_vcc 0
		.amdhsa_float_round_mode_32 0
		.amdhsa_float_round_mode_16_64 0
		.amdhsa_float_denorm_mode_32 3
		.amdhsa_float_denorm_mode_16_64 3
		.amdhsa_fp16_overflow 0
		.amdhsa_memory_ordered 1
		.amdhsa_forward_progress 1
		.amdhsa_inst_pref_size 0
		.amdhsa_round_robin_scheduling 0
		.amdhsa_exception_fp_ieee_invalid_op 0
		.amdhsa_exception_fp_denorm_src 0
		.amdhsa_exception_fp_ieee_div_zero 0
		.amdhsa_exception_fp_ieee_overflow 0
		.amdhsa_exception_fp_ieee_underflow 0
		.amdhsa_exception_fp_ieee_inexact 0
		.amdhsa_exception_int_div_zero 0
	.end_amdhsa_kernel
	.section	.text._ZN7rocprim17ROCPRIM_400000_NS6detail17trampoline_kernelINS0_14default_configENS1_27scan_by_key_config_selectorIssEEZZNS1_16scan_by_key_implILNS1_25lookback_scan_determinismE0ELb1ES3_N6thrust23THRUST_200600_302600_NS6detail15normal_iteratorINS9_10device_ptrIsEEEESE_SE_sNS9_4plusIvEENS9_8equal_toIsEEsEE10hipError_tPvRmT2_T3_T4_T5_mT6_T7_P12ihipStream_tbENKUlT_T0_E_clISt17integral_constantIbLb0EESY_IbLb1EEEEDaSU_SV_EUlSU_E_NS1_11comp_targetILNS1_3genE10ELNS1_11target_archE1201ELNS1_3gpuE5ELNS1_3repE0EEENS1_30default_config_static_selectorELNS0_4arch9wavefront6targetE0EEEvT1_,"axG",@progbits,_ZN7rocprim17ROCPRIM_400000_NS6detail17trampoline_kernelINS0_14default_configENS1_27scan_by_key_config_selectorIssEEZZNS1_16scan_by_key_implILNS1_25lookback_scan_determinismE0ELb1ES3_N6thrust23THRUST_200600_302600_NS6detail15normal_iteratorINS9_10device_ptrIsEEEESE_SE_sNS9_4plusIvEENS9_8equal_toIsEEsEE10hipError_tPvRmT2_T3_T4_T5_mT6_T7_P12ihipStream_tbENKUlT_T0_E_clISt17integral_constantIbLb0EESY_IbLb1EEEEDaSU_SV_EUlSU_E_NS1_11comp_targetILNS1_3genE10ELNS1_11target_archE1201ELNS1_3gpuE5ELNS1_3repE0EEENS1_30default_config_static_selectorELNS0_4arch9wavefront6targetE0EEEvT1_,comdat
.Lfunc_end669:
	.size	_ZN7rocprim17ROCPRIM_400000_NS6detail17trampoline_kernelINS0_14default_configENS1_27scan_by_key_config_selectorIssEEZZNS1_16scan_by_key_implILNS1_25lookback_scan_determinismE0ELb1ES3_N6thrust23THRUST_200600_302600_NS6detail15normal_iteratorINS9_10device_ptrIsEEEESE_SE_sNS9_4plusIvEENS9_8equal_toIsEEsEE10hipError_tPvRmT2_T3_T4_T5_mT6_T7_P12ihipStream_tbENKUlT_T0_E_clISt17integral_constantIbLb0EESY_IbLb1EEEEDaSU_SV_EUlSU_E_NS1_11comp_targetILNS1_3genE10ELNS1_11target_archE1201ELNS1_3gpuE5ELNS1_3repE0EEENS1_30default_config_static_selectorELNS0_4arch9wavefront6targetE0EEEvT1_, .Lfunc_end669-_ZN7rocprim17ROCPRIM_400000_NS6detail17trampoline_kernelINS0_14default_configENS1_27scan_by_key_config_selectorIssEEZZNS1_16scan_by_key_implILNS1_25lookback_scan_determinismE0ELb1ES3_N6thrust23THRUST_200600_302600_NS6detail15normal_iteratorINS9_10device_ptrIsEEEESE_SE_sNS9_4plusIvEENS9_8equal_toIsEEsEE10hipError_tPvRmT2_T3_T4_T5_mT6_T7_P12ihipStream_tbENKUlT_T0_E_clISt17integral_constantIbLb0EESY_IbLb1EEEEDaSU_SV_EUlSU_E_NS1_11comp_targetILNS1_3genE10ELNS1_11target_archE1201ELNS1_3gpuE5ELNS1_3repE0EEENS1_30default_config_static_selectorELNS0_4arch9wavefront6targetE0EEEvT1_
                                        ; -- End function
	.set _ZN7rocprim17ROCPRIM_400000_NS6detail17trampoline_kernelINS0_14default_configENS1_27scan_by_key_config_selectorIssEEZZNS1_16scan_by_key_implILNS1_25lookback_scan_determinismE0ELb1ES3_N6thrust23THRUST_200600_302600_NS6detail15normal_iteratorINS9_10device_ptrIsEEEESE_SE_sNS9_4plusIvEENS9_8equal_toIsEEsEE10hipError_tPvRmT2_T3_T4_T5_mT6_T7_P12ihipStream_tbENKUlT_T0_E_clISt17integral_constantIbLb0EESY_IbLb1EEEEDaSU_SV_EUlSU_E_NS1_11comp_targetILNS1_3genE10ELNS1_11target_archE1201ELNS1_3gpuE5ELNS1_3repE0EEENS1_30default_config_static_selectorELNS0_4arch9wavefront6targetE0EEEvT1_.num_vgpr, 0
	.set _ZN7rocprim17ROCPRIM_400000_NS6detail17trampoline_kernelINS0_14default_configENS1_27scan_by_key_config_selectorIssEEZZNS1_16scan_by_key_implILNS1_25lookback_scan_determinismE0ELb1ES3_N6thrust23THRUST_200600_302600_NS6detail15normal_iteratorINS9_10device_ptrIsEEEESE_SE_sNS9_4plusIvEENS9_8equal_toIsEEsEE10hipError_tPvRmT2_T3_T4_T5_mT6_T7_P12ihipStream_tbENKUlT_T0_E_clISt17integral_constantIbLb0EESY_IbLb1EEEEDaSU_SV_EUlSU_E_NS1_11comp_targetILNS1_3genE10ELNS1_11target_archE1201ELNS1_3gpuE5ELNS1_3repE0EEENS1_30default_config_static_selectorELNS0_4arch9wavefront6targetE0EEEvT1_.num_agpr, 0
	.set _ZN7rocprim17ROCPRIM_400000_NS6detail17trampoline_kernelINS0_14default_configENS1_27scan_by_key_config_selectorIssEEZZNS1_16scan_by_key_implILNS1_25lookback_scan_determinismE0ELb1ES3_N6thrust23THRUST_200600_302600_NS6detail15normal_iteratorINS9_10device_ptrIsEEEESE_SE_sNS9_4plusIvEENS9_8equal_toIsEEsEE10hipError_tPvRmT2_T3_T4_T5_mT6_T7_P12ihipStream_tbENKUlT_T0_E_clISt17integral_constantIbLb0EESY_IbLb1EEEEDaSU_SV_EUlSU_E_NS1_11comp_targetILNS1_3genE10ELNS1_11target_archE1201ELNS1_3gpuE5ELNS1_3repE0EEENS1_30default_config_static_selectorELNS0_4arch9wavefront6targetE0EEEvT1_.numbered_sgpr, 0
	.set _ZN7rocprim17ROCPRIM_400000_NS6detail17trampoline_kernelINS0_14default_configENS1_27scan_by_key_config_selectorIssEEZZNS1_16scan_by_key_implILNS1_25lookback_scan_determinismE0ELb1ES3_N6thrust23THRUST_200600_302600_NS6detail15normal_iteratorINS9_10device_ptrIsEEEESE_SE_sNS9_4plusIvEENS9_8equal_toIsEEsEE10hipError_tPvRmT2_T3_T4_T5_mT6_T7_P12ihipStream_tbENKUlT_T0_E_clISt17integral_constantIbLb0EESY_IbLb1EEEEDaSU_SV_EUlSU_E_NS1_11comp_targetILNS1_3genE10ELNS1_11target_archE1201ELNS1_3gpuE5ELNS1_3repE0EEENS1_30default_config_static_selectorELNS0_4arch9wavefront6targetE0EEEvT1_.num_named_barrier, 0
	.set _ZN7rocprim17ROCPRIM_400000_NS6detail17trampoline_kernelINS0_14default_configENS1_27scan_by_key_config_selectorIssEEZZNS1_16scan_by_key_implILNS1_25lookback_scan_determinismE0ELb1ES3_N6thrust23THRUST_200600_302600_NS6detail15normal_iteratorINS9_10device_ptrIsEEEESE_SE_sNS9_4plusIvEENS9_8equal_toIsEEsEE10hipError_tPvRmT2_T3_T4_T5_mT6_T7_P12ihipStream_tbENKUlT_T0_E_clISt17integral_constantIbLb0EESY_IbLb1EEEEDaSU_SV_EUlSU_E_NS1_11comp_targetILNS1_3genE10ELNS1_11target_archE1201ELNS1_3gpuE5ELNS1_3repE0EEENS1_30default_config_static_selectorELNS0_4arch9wavefront6targetE0EEEvT1_.private_seg_size, 0
	.set _ZN7rocprim17ROCPRIM_400000_NS6detail17trampoline_kernelINS0_14default_configENS1_27scan_by_key_config_selectorIssEEZZNS1_16scan_by_key_implILNS1_25lookback_scan_determinismE0ELb1ES3_N6thrust23THRUST_200600_302600_NS6detail15normal_iteratorINS9_10device_ptrIsEEEESE_SE_sNS9_4plusIvEENS9_8equal_toIsEEsEE10hipError_tPvRmT2_T3_T4_T5_mT6_T7_P12ihipStream_tbENKUlT_T0_E_clISt17integral_constantIbLb0EESY_IbLb1EEEEDaSU_SV_EUlSU_E_NS1_11comp_targetILNS1_3genE10ELNS1_11target_archE1201ELNS1_3gpuE5ELNS1_3repE0EEENS1_30default_config_static_selectorELNS0_4arch9wavefront6targetE0EEEvT1_.uses_vcc, 0
	.set _ZN7rocprim17ROCPRIM_400000_NS6detail17trampoline_kernelINS0_14default_configENS1_27scan_by_key_config_selectorIssEEZZNS1_16scan_by_key_implILNS1_25lookback_scan_determinismE0ELb1ES3_N6thrust23THRUST_200600_302600_NS6detail15normal_iteratorINS9_10device_ptrIsEEEESE_SE_sNS9_4plusIvEENS9_8equal_toIsEEsEE10hipError_tPvRmT2_T3_T4_T5_mT6_T7_P12ihipStream_tbENKUlT_T0_E_clISt17integral_constantIbLb0EESY_IbLb1EEEEDaSU_SV_EUlSU_E_NS1_11comp_targetILNS1_3genE10ELNS1_11target_archE1201ELNS1_3gpuE5ELNS1_3repE0EEENS1_30default_config_static_selectorELNS0_4arch9wavefront6targetE0EEEvT1_.uses_flat_scratch, 0
	.set _ZN7rocprim17ROCPRIM_400000_NS6detail17trampoline_kernelINS0_14default_configENS1_27scan_by_key_config_selectorIssEEZZNS1_16scan_by_key_implILNS1_25lookback_scan_determinismE0ELb1ES3_N6thrust23THRUST_200600_302600_NS6detail15normal_iteratorINS9_10device_ptrIsEEEESE_SE_sNS9_4plusIvEENS9_8equal_toIsEEsEE10hipError_tPvRmT2_T3_T4_T5_mT6_T7_P12ihipStream_tbENKUlT_T0_E_clISt17integral_constantIbLb0EESY_IbLb1EEEEDaSU_SV_EUlSU_E_NS1_11comp_targetILNS1_3genE10ELNS1_11target_archE1201ELNS1_3gpuE5ELNS1_3repE0EEENS1_30default_config_static_selectorELNS0_4arch9wavefront6targetE0EEEvT1_.has_dyn_sized_stack, 0
	.set _ZN7rocprim17ROCPRIM_400000_NS6detail17trampoline_kernelINS0_14default_configENS1_27scan_by_key_config_selectorIssEEZZNS1_16scan_by_key_implILNS1_25lookback_scan_determinismE0ELb1ES3_N6thrust23THRUST_200600_302600_NS6detail15normal_iteratorINS9_10device_ptrIsEEEESE_SE_sNS9_4plusIvEENS9_8equal_toIsEEsEE10hipError_tPvRmT2_T3_T4_T5_mT6_T7_P12ihipStream_tbENKUlT_T0_E_clISt17integral_constantIbLb0EESY_IbLb1EEEEDaSU_SV_EUlSU_E_NS1_11comp_targetILNS1_3genE10ELNS1_11target_archE1201ELNS1_3gpuE5ELNS1_3repE0EEENS1_30default_config_static_selectorELNS0_4arch9wavefront6targetE0EEEvT1_.has_recursion, 0
	.set _ZN7rocprim17ROCPRIM_400000_NS6detail17trampoline_kernelINS0_14default_configENS1_27scan_by_key_config_selectorIssEEZZNS1_16scan_by_key_implILNS1_25lookback_scan_determinismE0ELb1ES3_N6thrust23THRUST_200600_302600_NS6detail15normal_iteratorINS9_10device_ptrIsEEEESE_SE_sNS9_4plusIvEENS9_8equal_toIsEEsEE10hipError_tPvRmT2_T3_T4_T5_mT6_T7_P12ihipStream_tbENKUlT_T0_E_clISt17integral_constantIbLb0EESY_IbLb1EEEEDaSU_SV_EUlSU_E_NS1_11comp_targetILNS1_3genE10ELNS1_11target_archE1201ELNS1_3gpuE5ELNS1_3repE0EEENS1_30default_config_static_selectorELNS0_4arch9wavefront6targetE0EEEvT1_.has_indirect_call, 0
	.section	.AMDGPU.csdata,"",@progbits
; Kernel info:
; codeLenInByte = 0
; TotalNumSgprs: 0
; NumVgprs: 0
; ScratchSize: 0
; MemoryBound: 0
; FloatMode: 240
; IeeeMode: 1
; LDSByteSize: 0 bytes/workgroup (compile time only)
; SGPRBlocks: 0
; VGPRBlocks: 0
; NumSGPRsForWavesPerEU: 1
; NumVGPRsForWavesPerEU: 1
; NamedBarCnt: 0
; Occupancy: 16
; WaveLimiterHint : 0
; COMPUTE_PGM_RSRC2:SCRATCH_EN: 0
; COMPUTE_PGM_RSRC2:USER_SGPR: 2
; COMPUTE_PGM_RSRC2:TRAP_HANDLER: 0
; COMPUTE_PGM_RSRC2:TGID_X_EN: 1
; COMPUTE_PGM_RSRC2:TGID_Y_EN: 0
; COMPUTE_PGM_RSRC2:TGID_Z_EN: 0
; COMPUTE_PGM_RSRC2:TIDIG_COMP_CNT: 0
	.section	.text._ZN7rocprim17ROCPRIM_400000_NS6detail17trampoline_kernelINS0_14default_configENS1_27scan_by_key_config_selectorIssEEZZNS1_16scan_by_key_implILNS1_25lookback_scan_determinismE0ELb1ES3_N6thrust23THRUST_200600_302600_NS6detail15normal_iteratorINS9_10device_ptrIsEEEESE_SE_sNS9_4plusIvEENS9_8equal_toIsEEsEE10hipError_tPvRmT2_T3_T4_T5_mT6_T7_P12ihipStream_tbENKUlT_T0_E_clISt17integral_constantIbLb0EESY_IbLb1EEEEDaSU_SV_EUlSU_E_NS1_11comp_targetILNS1_3genE5ELNS1_11target_archE942ELNS1_3gpuE9ELNS1_3repE0EEENS1_30default_config_static_selectorELNS0_4arch9wavefront6targetE0EEEvT1_,"axG",@progbits,_ZN7rocprim17ROCPRIM_400000_NS6detail17trampoline_kernelINS0_14default_configENS1_27scan_by_key_config_selectorIssEEZZNS1_16scan_by_key_implILNS1_25lookback_scan_determinismE0ELb1ES3_N6thrust23THRUST_200600_302600_NS6detail15normal_iteratorINS9_10device_ptrIsEEEESE_SE_sNS9_4plusIvEENS9_8equal_toIsEEsEE10hipError_tPvRmT2_T3_T4_T5_mT6_T7_P12ihipStream_tbENKUlT_T0_E_clISt17integral_constantIbLb0EESY_IbLb1EEEEDaSU_SV_EUlSU_E_NS1_11comp_targetILNS1_3genE5ELNS1_11target_archE942ELNS1_3gpuE9ELNS1_3repE0EEENS1_30default_config_static_selectorELNS0_4arch9wavefront6targetE0EEEvT1_,comdat
	.protected	_ZN7rocprim17ROCPRIM_400000_NS6detail17trampoline_kernelINS0_14default_configENS1_27scan_by_key_config_selectorIssEEZZNS1_16scan_by_key_implILNS1_25lookback_scan_determinismE0ELb1ES3_N6thrust23THRUST_200600_302600_NS6detail15normal_iteratorINS9_10device_ptrIsEEEESE_SE_sNS9_4plusIvEENS9_8equal_toIsEEsEE10hipError_tPvRmT2_T3_T4_T5_mT6_T7_P12ihipStream_tbENKUlT_T0_E_clISt17integral_constantIbLb0EESY_IbLb1EEEEDaSU_SV_EUlSU_E_NS1_11comp_targetILNS1_3genE5ELNS1_11target_archE942ELNS1_3gpuE9ELNS1_3repE0EEENS1_30default_config_static_selectorELNS0_4arch9wavefront6targetE0EEEvT1_ ; -- Begin function _ZN7rocprim17ROCPRIM_400000_NS6detail17trampoline_kernelINS0_14default_configENS1_27scan_by_key_config_selectorIssEEZZNS1_16scan_by_key_implILNS1_25lookback_scan_determinismE0ELb1ES3_N6thrust23THRUST_200600_302600_NS6detail15normal_iteratorINS9_10device_ptrIsEEEESE_SE_sNS9_4plusIvEENS9_8equal_toIsEEsEE10hipError_tPvRmT2_T3_T4_T5_mT6_T7_P12ihipStream_tbENKUlT_T0_E_clISt17integral_constantIbLb0EESY_IbLb1EEEEDaSU_SV_EUlSU_E_NS1_11comp_targetILNS1_3genE5ELNS1_11target_archE942ELNS1_3gpuE9ELNS1_3repE0EEENS1_30default_config_static_selectorELNS0_4arch9wavefront6targetE0EEEvT1_
	.globl	_ZN7rocprim17ROCPRIM_400000_NS6detail17trampoline_kernelINS0_14default_configENS1_27scan_by_key_config_selectorIssEEZZNS1_16scan_by_key_implILNS1_25lookback_scan_determinismE0ELb1ES3_N6thrust23THRUST_200600_302600_NS6detail15normal_iteratorINS9_10device_ptrIsEEEESE_SE_sNS9_4plusIvEENS9_8equal_toIsEEsEE10hipError_tPvRmT2_T3_T4_T5_mT6_T7_P12ihipStream_tbENKUlT_T0_E_clISt17integral_constantIbLb0EESY_IbLb1EEEEDaSU_SV_EUlSU_E_NS1_11comp_targetILNS1_3genE5ELNS1_11target_archE942ELNS1_3gpuE9ELNS1_3repE0EEENS1_30default_config_static_selectorELNS0_4arch9wavefront6targetE0EEEvT1_
	.p2align	8
	.type	_ZN7rocprim17ROCPRIM_400000_NS6detail17trampoline_kernelINS0_14default_configENS1_27scan_by_key_config_selectorIssEEZZNS1_16scan_by_key_implILNS1_25lookback_scan_determinismE0ELb1ES3_N6thrust23THRUST_200600_302600_NS6detail15normal_iteratorINS9_10device_ptrIsEEEESE_SE_sNS9_4plusIvEENS9_8equal_toIsEEsEE10hipError_tPvRmT2_T3_T4_T5_mT6_T7_P12ihipStream_tbENKUlT_T0_E_clISt17integral_constantIbLb0EESY_IbLb1EEEEDaSU_SV_EUlSU_E_NS1_11comp_targetILNS1_3genE5ELNS1_11target_archE942ELNS1_3gpuE9ELNS1_3repE0EEENS1_30default_config_static_selectorELNS0_4arch9wavefront6targetE0EEEvT1_,@function
_ZN7rocprim17ROCPRIM_400000_NS6detail17trampoline_kernelINS0_14default_configENS1_27scan_by_key_config_selectorIssEEZZNS1_16scan_by_key_implILNS1_25lookback_scan_determinismE0ELb1ES3_N6thrust23THRUST_200600_302600_NS6detail15normal_iteratorINS9_10device_ptrIsEEEESE_SE_sNS9_4plusIvEENS9_8equal_toIsEEsEE10hipError_tPvRmT2_T3_T4_T5_mT6_T7_P12ihipStream_tbENKUlT_T0_E_clISt17integral_constantIbLb0EESY_IbLb1EEEEDaSU_SV_EUlSU_E_NS1_11comp_targetILNS1_3genE5ELNS1_11target_archE942ELNS1_3gpuE9ELNS1_3repE0EEENS1_30default_config_static_selectorELNS0_4arch9wavefront6targetE0EEEvT1_: ; @_ZN7rocprim17ROCPRIM_400000_NS6detail17trampoline_kernelINS0_14default_configENS1_27scan_by_key_config_selectorIssEEZZNS1_16scan_by_key_implILNS1_25lookback_scan_determinismE0ELb1ES3_N6thrust23THRUST_200600_302600_NS6detail15normal_iteratorINS9_10device_ptrIsEEEESE_SE_sNS9_4plusIvEENS9_8equal_toIsEEsEE10hipError_tPvRmT2_T3_T4_T5_mT6_T7_P12ihipStream_tbENKUlT_T0_E_clISt17integral_constantIbLb0EESY_IbLb1EEEEDaSU_SV_EUlSU_E_NS1_11comp_targetILNS1_3genE5ELNS1_11target_archE942ELNS1_3gpuE9ELNS1_3repE0EEENS1_30default_config_static_selectorELNS0_4arch9wavefront6targetE0EEEvT1_
; %bb.0:
	.section	.rodata,"a",@progbits
	.p2align	6, 0x0
	.amdhsa_kernel _ZN7rocprim17ROCPRIM_400000_NS6detail17trampoline_kernelINS0_14default_configENS1_27scan_by_key_config_selectorIssEEZZNS1_16scan_by_key_implILNS1_25lookback_scan_determinismE0ELb1ES3_N6thrust23THRUST_200600_302600_NS6detail15normal_iteratorINS9_10device_ptrIsEEEESE_SE_sNS9_4plusIvEENS9_8equal_toIsEEsEE10hipError_tPvRmT2_T3_T4_T5_mT6_T7_P12ihipStream_tbENKUlT_T0_E_clISt17integral_constantIbLb0EESY_IbLb1EEEEDaSU_SV_EUlSU_E_NS1_11comp_targetILNS1_3genE5ELNS1_11target_archE942ELNS1_3gpuE9ELNS1_3repE0EEENS1_30default_config_static_selectorELNS0_4arch9wavefront6targetE0EEEvT1_
		.amdhsa_group_segment_fixed_size 0
		.amdhsa_private_segment_fixed_size 0
		.amdhsa_kernarg_size 112
		.amdhsa_user_sgpr_count 2
		.amdhsa_user_sgpr_dispatch_ptr 0
		.amdhsa_user_sgpr_queue_ptr 0
		.amdhsa_user_sgpr_kernarg_segment_ptr 1
		.amdhsa_user_sgpr_dispatch_id 0
		.amdhsa_user_sgpr_kernarg_preload_length 0
		.amdhsa_user_sgpr_kernarg_preload_offset 0
		.amdhsa_user_sgpr_private_segment_size 0
		.amdhsa_wavefront_size32 1
		.amdhsa_uses_dynamic_stack 0
		.amdhsa_enable_private_segment 0
		.amdhsa_system_sgpr_workgroup_id_x 1
		.amdhsa_system_sgpr_workgroup_id_y 0
		.amdhsa_system_sgpr_workgroup_id_z 0
		.amdhsa_system_sgpr_workgroup_info 0
		.amdhsa_system_vgpr_workitem_id 0
		.amdhsa_next_free_vgpr 1
		.amdhsa_next_free_sgpr 1
		.amdhsa_named_barrier_count 0
		.amdhsa_reserve_vcc 0
		.amdhsa_float_round_mode_32 0
		.amdhsa_float_round_mode_16_64 0
		.amdhsa_float_denorm_mode_32 3
		.amdhsa_float_denorm_mode_16_64 3
		.amdhsa_fp16_overflow 0
		.amdhsa_memory_ordered 1
		.amdhsa_forward_progress 1
		.amdhsa_inst_pref_size 0
		.amdhsa_round_robin_scheduling 0
		.amdhsa_exception_fp_ieee_invalid_op 0
		.amdhsa_exception_fp_denorm_src 0
		.amdhsa_exception_fp_ieee_div_zero 0
		.amdhsa_exception_fp_ieee_overflow 0
		.amdhsa_exception_fp_ieee_underflow 0
		.amdhsa_exception_fp_ieee_inexact 0
		.amdhsa_exception_int_div_zero 0
	.end_amdhsa_kernel
	.section	.text._ZN7rocprim17ROCPRIM_400000_NS6detail17trampoline_kernelINS0_14default_configENS1_27scan_by_key_config_selectorIssEEZZNS1_16scan_by_key_implILNS1_25lookback_scan_determinismE0ELb1ES3_N6thrust23THRUST_200600_302600_NS6detail15normal_iteratorINS9_10device_ptrIsEEEESE_SE_sNS9_4plusIvEENS9_8equal_toIsEEsEE10hipError_tPvRmT2_T3_T4_T5_mT6_T7_P12ihipStream_tbENKUlT_T0_E_clISt17integral_constantIbLb0EESY_IbLb1EEEEDaSU_SV_EUlSU_E_NS1_11comp_targetILNS1_3genE5ELNS1_11target_archE942ELNS1_3gpuE9ELNS1_3repE0EEENS1_30default_config_static_selectorELNS0_4arch9wavefront6targetE0EEEvT1_,"axG",@progbits,_ZN7rocprim17ROCPRIM_400000_NS6detail17trampoline_kernelINS0_14default_configENS1_27scan_by_key_config_selectorIssEEZZNS1_16scan_by_key_implILNS1_25lookback_scan_determinismE0ELb1ES3_N6thrust23THRUST_200600_302600_NS6detail15normal_iteratorINS9_10device_ptrIsEEEESE_SE_sNS9_4plusIvEENS9_8equal_toIsEEsEE10hipError_tPvRmT2_T3_T4_T5_mT6_T7_P12ihipStream_tbENKUlT_T0_E_clISt17integral_constantIbLb0EESY_IbLb1EEEEDaSU_SV_EUlSU_E_NS1_11comp_targetILNS1_3genE5ELNS1_11target_archE942ELNS1_3gpuE9ELNS1_3repE0EEENS1_30default_config_static_selectorELNS0_4arch9wavefront6targetE0EEEvT1_,comdat
.Lfunc_end670:
	.size	_ZN7rocprim17ROCPRIM_400000_NS6detail17trampoline_kernelINS0_14default_configENS1_27scan_by_key_config_selectorIssEEZZNS1_16scan_by_key_implILNS1_25lookback_scan_determinismE0ELb1ES3_N6thrust23THRUST_200600_302600_NS6detail15normal_iteratorINS9_10device_ptrIsEEEESE_SE_sNS9_4plusIvEENS9_8equal_toIsEEsEE10hipError_tPvRmT2_T3_T4_T5_mT6_T7_P12ihipStream_tbENKUlT_T0_E_clISt17integral_constantIbLb0EESY_IbLb1EEEEDaSU_SV_EUlSU_E_NS1_11comp_targetILNS1_3genE5ELNS1_11target_archE942ELNS1_3gpuE9ELNS1_3repE0EEENS1_30default_config_static_selectorELNS0_4arch9wavefront6targetE0EEEvT1_, .Lfunc_end670-_ZN7rocprim17ROCPRIM_400000_NS6detail17trampoline_kernelINS0_14default_configENS1_27scan_by_key_config_selectorIssEEZZNS1_16scan_by_key_implILNS1_25lookback_scan_determinismE0ELb1ES3_N6thrust23THRUST_200600_302600_NS6detail15normal_iteratorINS9_10device_ptrIsEEEESE_SE_sNS9_4plusIvEENS9_8equal_toIsEEsEE10hipError_tPvRmT2_T3_T4_T5_mT6_T7_P12ihipStream_tbENKUlT_T0_E_clISt17integral_constantIbLb0EESY_IbLb1EEEEDaSU_SV_EUlSU_E_NS1_11comp_targetILNS1_3genE5ELNS1_11target_archE942ELNS1_3gpuE9ELNS1_3repE0EEENS1_30default_config_static_selectorELNS0_4arch9wavefront6targetE0EEEvT1_
                                        ; -- End function
	.set _ZN7rocprim17ROCPRIM_400000_NS6detail17trampoline_kernelINS0_14default_configENS1_27scan_by_key_config_selectorIssEEZZNS1_16scan_by_key_implILNS1_25lookback_scan_determinismE0ELb1ES3_N6thrust23THRUST_200600_302600_NS6detail15normal_iteratorINS9_10device_ptrIsEEEESE_SE_sNS9_4plusIvEENS9_8equal_toIsEEsEE10hipError_tPvRmT2_T3_T4_T5_mT6_T7_P12ihipStream_tbENKUlT_T0_E_clISt17integral_constantIbLb0EESY_IbLb1EEEEDaSU_SV_EUlSU_E_NS1_11comp_targetILNS1_3genE5ELNS1_11target_archE942ELNS1_3gpuE9ELNS1_3repE0EEENS1_30default_config_static_selectorELNS0_4arch9wavefront6targetE0EEEvT1_.num_vgpr, 0
	.set _ZN7rocprim17ROCPRIM_400000_NS6detail17trampoline_kernelINS0_14default_configENS1_27scan_by_key_config_selectorIssEEZZNS1_16scan_by_key_implILNS1_25lookback_scan_determinismE0ELb1ES3_N6thrust23THRUST_200600_302600_NS6detail15normal_iteratorINS9_10device_ptrIsEEEESE_SE_sNS9_4plusIvEENS9_8equal_toIsEEsEE10hipError_tPvRmT2_T3_T4_T5_mT6_T7_P12ihipStream_tbENKUlT_T0_E_clISt17integral_constantIbLb0EESY_IbLb1EEEEDaSU_SV_EUlSU_E_NS1_11comp_targetILNS1_3genE5ELNS1_11target_archE942ELNS1_3gpuE9ELNS1_3repE0EEENS1_30default_config_static_selectorELNS0_4arch9wavefront6targetE0EEEvT1_.num_agpr, 0
	.set _ZN7rocprim17ROCPRIM_400000_NS6detail17trampoline_kernelINS0_14default_configENS1_27scan_by_key_config_selectorIssEEZZNS1_16scan_by_key_implILNS1_25lookback_scan_determinismE0ELb1ES3_N6thrust23THRUST_200600_302600_NS6detail15normal_iteratorINS9_10device_ptrIsEEEESE_SE_sNS9_4plusIvEENS9_8equal_toIsEEsEE10hipError_tPvRmT2_T3_T4_T5_mT6_T7_P12ihipStream_tbENKUlT_T0_E_clISt17integral_constantIbLb0EESY_IbLb1EEEEDaSU_SV_EUlSU_E_NS1_11comp_targetILNS1_3genE5ELNS1_11target_archE942ELNS1_3gpuE9ELNS1_3repE0EEENS1_30default_config_static_selectorELNS0_4arch9wavefront6targetE0EEEvT1_.numbered_sgpr, 0
	.set _ZN7rocprim17ROCPRIM_400000_NS6detail17trampoline_kernelINS0_14default_configENS1_27scan_by_key_config_selectorIssEEZZNS1_16scan_by_key_implILNS1_25lookback_scan_determinismE0ELb1ES3_N6thrust23THRUST_200600_302600_NS6detail15normal_iteratorINS9_10device_ptrIsEEEESE_SE_sNS9_4plusIvEENS9_8equal_toIsEEsEE10hipError_tPvRmT2_T3_T4_T5_mT6_T7_P12ihipStream_tbENKUlT_T0_E_clISt17integral_constantIbLb0EESY_IbLb1EEEEDaSU_SV_EUlSU_E_NS1_11comp_targetILNS1_3genE5ELNS1_11target_archE942ELNS1_3gpuE9ELNS1_3repE0EEENS1_30default_config_static_selectorELNS0_4arch9wavefront6targetE0EEEvT1_.num_named_barrier, 0
	.set _ZN7rocprim17ROCPRIM_400000_NS6detail17trampoline_kernelINS0_14default_configENS1_27scan_by_key_config_selectorIssEEZZNS1_16scan_by_key_implILNS1_25lookback_scan_determinismE0ELb1ES3_N6thrust23THRUST_200600_302600_NS6detail15normal_iteratorINS9_10device_ptrIsEEEESE_SE_sNS9_4plusIvEENS9_8equal_toIsEEsEE10hipError_tPvRmT2_T3_T4_T5_mT6_T7_P12ihipStream_tbENKUlT_T0_E_clISt17integral_constantIbLb0EESY_IbLb1EEEEDaSU_SV_EUlSU_E_NS1_11comp_targetILNS1_3genE5ELNS1_11target_archE942ELNS1_3gpuE9ELNS1_3repE0EEENS1_30default_config_static_selectorELNS0_4arch9wavefront6targetE0EEEvT1_.private_seg_size, 0
	.set _ZN7rocprim17ROCPRIM_400000_NS6detail17trampoline_kernelINS0_14default_configENS1_27scan_by_key_config_selectorIssEEZZNS1_16scan_by_key_implILNS1_25lookback_scan_determinismE0ELb1ES3_N6thrust23THRUST_200600_302600_NS6detail15normal_iteratorINS9_10device_ptrIsEEEESE_SE_sNS9_4plusIvEENS9_8equal_toIsEEsEE10hipError_tPvRmT2_T3_T4_T5_mT6_T7_P12ihipStream_tbENKUlT_T0_E_clISt17integral_constantIbLb0EESY_IbLb1EEEEDaSU_SV_EUlSU_E_NS1_11comp_targetILNS1_3genE5ELNS1_11target_archE942ELNS1_3gpuE9ELNS1_3repE0EEENS1_30default_config_static_selectorELNS0_4arch9wavefront6targetE0EEEvT1_.uses_vcc, 0
	.set _ZN7rocprim17ROCPRIM_400000_NS6detail17trampoline_kernelINS0_14default_configENS1_27scan_by_key_config_selectorIssEEZZNS1_16scan_by_key_implILNS1_25lookback_scan_determinismE0ELb1ES3_N6thrust23THRUST_200600_302600_NS6detail15normal_iteratorINS9_10device_ptrIsEEEESE_SE_sNS9_4plusIvEENS9_8equal_toIsEEsEE10hipError_tPvRmT2_T3_T4_T5_mT6_T7_P12ihipStream_tbENKUlT_T0_E_clISt17integral_constantIbLb0EESY_IbLb1EEEEDaSU_SV_EUlSU_E_NS1_11comp_targetILNS1_3genE5ELNS1_11target_archE942ELNS1_3gpuE9ELNS1_3repE0EEENS1_30default_config_static_selectorELNS0_4arch9wavefront6targetE0EEEvT1_.uses_flat_scratch, 0
	.set _ZN7rocprim17ROCPRIM_400000_NS6detail17trampoline_kernelINS0_14default_configENS1_27scan_by_key_config_selectorIssEEZZNS1_16scan_by_key_implILNS1_25lookback_scan_determinismE0ELb1ES3_N6thrust23THRUST_200600_302600_NS6detail15normal_iteratorINS9_10device_ptrIsEEEESE_SE_sNS9_4plusIvEENS9_8equal_toIsEEsEE10hipError_tPvRmT2_T3_T4_T5_mT6_T7_P12ihipStream_tbENKUlT_T0_E_clISt17integral_constantIbLb0EESY_IbLb1EEEEDaSU_SV_EUlSU_E_NS1_11comp_targetILNS1_3genE5ELNS1_11target_archE942ELNS1_3gpuE9ELNS1_3repE0EEENS1_30default_config_static_selectorELNS0_4arch9wavefront6targetE0EEEvT1_.has_dyn_sized_stack, 0
	.set _ZN7rocprim17ROCPRIM_400000_NS6detail17trampoline_kernelINS0_14default_configENS1_27scan_by_key_config_selectorIssEEZZNS1_16scan_by_key_implILNS1_25lookback_scan_determinismE0ELb1ES3_N6thrust23THRUST_200600_302600_NS6detail15normal_iteratorINS9_10device_ptrIsEEEESE_SE_sNS9_4plusIvEENS9_8equal_toIsEEsEE10hipError_tPvRmT2_T3_T4_T5_mT6_T7_P12ihipStream_tbENKUlT_T0_E_clISt17integral_constantIbLb0EESY_IbLb1EEEEDaSU_SV_EUlSU_E_NS1_11comp_targetILNS1_3genE5ELNS1_11target_archE942ELNS1_3gpuE9ELNS1_3repE0EEENS1_30default_config_static_selectorELNS0_4arch9wavefront6targetE0EEEvT1_.has_recursion, 0
	.set _ZN7rocprim17ROCPRIM_400000_NS6detail17trampoline_kernelINS0_14default_configENS1_27scan_by_key_config_selectorIssEEZZNS1_16scan_by_key_implILNS1_25lookback_scan_determinismE0ELb1ES3_N6thrust23THRUST_200600_302600_NS6detail15normal_iteratorINS9_10device_ptrIsEEEESE_SE_sNS9_4plusIvEENS9_8equal_toIsEEsEE10hipError_tPvRmT2_T3_T4_T5_mT6_T7_P12ihipStream_tbENKUlT_T0_E_clISt17integral_constantIbLb0EESY_IbLb1EEEEDaSU_SV_EUlSU_E_NS1_11comp_targetILNS1_3genE5ELNS1_11target_archE942ELNS1_3gpuE9ELNS1_3repE0EEENS1_30default_config_static_selectorELNS0_4arch9wavefront6targetE0EEEvT1_.has_indirect_call, 0
	.section	.AMDGPU.csdata,"",@progbits
; Kernel info:
; codeLenInByte = 0
; TotalNumSgprs: 0
; NumVgprs: 0
; ScratchSize: 0
; MemoryBound: 0
; FloatMode: 240
; IeeeMode: 1
; LDSByteSize: 0 bytes/workgroup (compile time only)
; SGPRBlocks: 0
; VGPRBlocks: 0
; NumSGPRsForWavesPerEU: 1
; NumVGPRsForWavesPerEU: 1
; NamedBarCnt: 0
; Occupancy: 16
; WaveLimiterHint : 0
; COMPUTE_PGM_RSRC2:SCRATCH_EN: 0
; COMPUTE_PGM_RSRC2:USER_SGPR: 2
; COMPUTE_PGM_RSRC2:TRAP_HANDLER: 0
; COMPUTE_PGM_RSRC2:TGID_X_EN: 1
; COMPUTE_PGM_RSRC2:TGID_Y_EN: 0
; COMPUTE_PGM_RSRC2:TGID_Z_EN: 0
; COMPUTE_PGM_RSRC2:TIDIG_COMP_CNT: 0
	.section	.text._ZN7rocprim17ROCPRIM_400000_NS6detail17trampoline_kernelINS0_14default_configENS1_27scan_by_key_config_selectorIssEEZZNS1_16scan_by_key_implILNS1_25lookback_scan_determinismE0ELb1ES3_N6thrust23THRUST_200600_302600_NS6detail15normal_iteratorINS9_10device_ptrIsEEEESE_SE_sNS9_4plusIvEENS9_8equal_toIsEEsEE10hipError_tPvRmT2_T3_T4_T5_mT6_T7_P12ihipStream_tbENKUlT_T0_E_clISt17integral_constantIbLb0EESY_IbLb1EEEEDaSU_SV_EUlSU_E_NS1_11comp_targetILNS1_3genE4ELNS1_11target_archE910ELNS1_3gpuE8ELNS1_3repE0EEENS1_30default_config_static_selectorELNS0_4arch9wavefront6targetE0EEEvT1_,"axG",@progbits,_ZN7rocprim17ROCPRIM_400000_NS6detail17trampoline_kernelINS0_14default_configENS1_27scan_by_key_config_selectorIssEEZZNS1_16scan_by_key_implILNS1_25lookback_scan_determinismE0ELb1ES3_N6thrust23THRUST_200600_302600_NS6detail15normal_iteratorINS9_10device_ptrIsEEEESE_SE_sNS9_4plusIvEENS9_8equal_toIsEEsEE10hipError_tPvRmT2_T3_T4_T5_mT6_T7_P12ihipStream_tbENKUlT_T0_E_clISt17integral_constantIbLb0EESY_IbLb1EEEEDaSU_SV_EUlSU_E_NS1_11comp_targetILNS1_3genE4ELNS1_11target_archE910ELNS1_3gpuE8ELNS1_3repE0EEENS1_30default_config_static_selectorELNS0_4arch9wavefront6targetE0EEEvT1_,comdat
	.protected	_ZN7rocprim17ROCPRIM_400000_NS6detail17trampoline_kernelINS0_14default_configENS1_27scan_by_key_config_selectorIssEEZZNS1_16scan_by_key_implILNS1_25lookback_scan_determinismE0ELb1ES3_N6thrust23THRUST_200600_302600_NS6detail15normal_iteratorINS9_10device_ptrIsEEEESE_SE_sNS9_4plusIvEENS9_8equal_toIsEEsEE10hipError_tPvRmT2_T3_T4_T5_mT6_T7_P12ihipStream_tbENKUlT_T0_E_clISt17integral_constantIbLb0EESY_IbLb1EEEEDaSU_SV_EUlSU_E_NS1_11comp_targetILNS1_3genE4ELNS1_11target_archE910ELNS1_3gpuE8ELNS1_3repE0EEENS1_30default_config_static_selectorELNS0_4arch9wavefront6targetE0EEEvT1_ ; -- Begin function _ZN7rocprim17ROCPRIM_400000_NS6detail17trampoline_kernelINS0_14default_configENS1_27scan_by_key_config_selectorIssEEZZNS1_16scan_by_key_implILNS1_25lookback_scan_determinismE0ELb1ES3_N6thrust23THRUST_200600_302600_NS6detail15normal_iteratorINS9_10device_ptrIsEEEESE_SE_sNS9_4plusIvEENS9_8equal_toIsEEsEE10hipError_tPvRmT2_T3_T4_T5_mT6_T7_P12ihipStream_tbENKUlT_T0_E_clISt17integral_constantIbLb0EESY_IbLb1EEEEDaSU_SV_EUlSU_E_NS1_11comp_targetILNS1_3genE4ELNS1_11target_archE910ELNS1_3gpuE8ELNS1_3repE0EEENS1_30default_config_static_selectorELNS0_4arch9wavefront6targetE0EEEvT1_
	.globl	_ZN7rocprim17ROCPRIM_400000_NS6detail17trampoline_kernelINS0_14default_configENS1_27scan_by_key_config_selectorIssEEZZNS1_16scan_by_key_implILNS1_25lookback_scan_determinismE0ELb1ES3_N6thrust23THRUST_200600_302600_NS6detail15normal_iteratorINS9_10device_ptrIsEEEESE_SE_sNS9_4plusIvEENS9_8equal_toIsEEsEE10hipError_tPvRmT2_T3_T4_T5_mT6_T7_P12ihipStream_tbENKUlT_T0_E_clISt17integral_constantIbLb0EESY_IbLb1EEEEDaSU_SV_EUlSU_E_NS1_11comp_targetILNS1_3genE4ELNS1_11target_archE910ELNS1_3gpuE8ELNS1_3repE0EEENS1_30default_config_static_selectorELNS0_4arch9wavefront6targetE0EEEvT1_
	.p2align	8
	.type	_ZN7rocprim17ROCPRIM_400000_NS6detail17trampoline_kernelINS0_14default_configENS1_27scan_by_key_config_selectorIssEEZZNS1_16scan_by_key_implILNS1_25lookback_scan_determinismE0ELb1ES3_N6thrust23THRUST_200600_302600_NS6detail15normal_iteratorINS9_10device_ptrIsEEEESE_SE_sNS9_4plusIvEENS9_8equal_toIsEEsEE10hipError_tPvRmT2_T3_T4_T5_mT6_T7_P12ihipStream_tbENKUlT_T0_E_clISt17integral_constantIbLb0EESY_IbLb1EEEEDaSU_SV_EUlSU_E_NS1_11comp_targetILNS1_3genE4ELNS1_11target_archE910ELNS1_3gpuE8ELNS1_3repE0EEENS1_30default_config_static_selectorELNS0_4arch9wavefront6targetE0EEEvT1_,@function
_ZN7rocprim17ROCPRIM_400000_NS6detail17trampoline_kernelINS0_14default_configENS1_27scan_by_key_config_selectorIssEEZZNS1_16scan_by_key_implILNS1_25lookback_scan_determinismE0ELb1ES3_N6thrust23THRUST_200600_302600_NS6detail15normal_iteratorINS9_10device_ptrIsEEEESE_SE_sNS9_4plusIvEENS9_8equal_toIsEEsEE10hipError_tPvRmT2_T3_T4_T5_mT6_T7_P12ihipStream_tbENKUlT_T0_E_clISt17integral_constantIbLb0EESY_IbLb1EEEEDaSU_SV_EUlSU_E_NS1_11comp_targetILNS1_3genE4ELNS1_11target_archE910ELNS1_3gpuE8ELNS1_3repE0EEENS1_30default_config_static_selectorELNS0_4arch9wavefront6targetE0EEEvT1_: ; @_ZN7rocprim17ROCPRIM_400000_NS6detail17trampoline_kernelINS0_14default_configENS1_27scan_by_key_config_selectorIssEEZZNS1_16scan_by_key_implILNS1_25lookback_scan_determinismE0ELb1ES3_N6thrust23THRUST_200600_302600_NS6detail15normal_iteratorINS9_10device_ptrIsEEEESE_SE_sNS9_4plusIvEENS9_8equal_toIsEEsEE10hipError_tPvRmT2_T3_T4_T5_mT6_T7_P12ihipStream_tbENKUlT_T0_E_clISt17integral_constantIbLb0EESY_IbLb1EEEEDaSU_SV_EUlSU_E_NS1_11comp_targetILNS1_3genE4ELNS1_11target_archE910ELNS1_3gpuE8ELNS1_3repE0EEENS1_30default_config_static_selectorELNS0_4arch9wavefront6targetE0EEEvT1_
; %bb.0:
	.section	.rodata,"a",@progbits
	.p2align	6, 0x0
	.amdhsa_kernel _ZN7rocprim17ROCPRIM_400000_NS6detail17trampoline_kernelINS0_14default_configENS1_27scan_by_key_config_selectorIssEEZZNS1_16scan_by_key_implILNS1_25lookback_scan_determinismE0ELb1ES3_N6thrust23THRUST_200600_302600_NS6detail15normal_iteratorINS9_10device_ptrIsEEEESE_SE_sNS9_4plusIvEENS9_8equal_toIsEEsEE10hipError_tPvRmT2_T3_T4_T5_mT6_T7_P12ihipStream_tbENKUlT_T0_E_clISt17integral_constantIbLb0EESY_IbLb1EEEEDaSU_SV_EUlSU_E_NS1_11comp_targetILNS1_3genE4ELNS1_11target_archE910ELNS1_3gpuE8ELNS1_3repE0EEENS1_30default_config_static_selectorELNS0_4arch9wavefront6targetE0EEEvT1_
		.amdhsa_group_segment_fixed_size 0
		.amdhsa_private_segment_fixed_size 0
		.amdhsa_kernarg_size 112
		.amdhsa_user_sgpr_count 2
		.amdhsa_user_sgpr_dispatch_ptr 0
		.amdhsa_user_sgpr_queue_ptr 0
		.amdhsa_user_sgpr_kernarg_segment_ptr 1
		.amdhsa_user_sgpr_dispatch_id 0
		.amdhsa_user_sgpr_kernarg_preload_length 0
		.amdhsa_user_sgpr_kernarg_preload_offset 0
		.amdhsa_user_sgpr_private_segment_size 0
		.amdhsa_wavefront_size32 1
		.amdhsa_uses_dynamic_stack 0
		.amdhsa_enable_private_segment 0
		.amdhsa_system_sgpr_workgroup_id_x 1
		.amdhsa_system_sgpr_workgroup_id_y 0
		.amdhsa_system_sgpr_workgroup_id_z 0
		.amdhsa_system_sgpr_workgroup_info 0
		.amdhsa_system_vgpr_workitem_id 0
		.amdhsa_next_free_vgpr 1
		.amdhsa_next_free_sgpr 1
		.amdhsa_named_barrier_count 0
		.amdhsa_reserve_vcc 0
		.amdhsa_float_round_mode_32 0
		.amdhsa_float_round_mode_16_64 0
		.amdhsa_float_denorm_mode_32 3
		.amdhsa_float_denorm_mode_16_64 3
		.amdhsa_fp16_overflow 0
		.amdhsa_memory_ordered 1
		.amdhsa_forward_progress 1
		.amdhsa_inst_pref_size 0
		.amdhsa_round_robin_scheduling 0
		.amdhsa_exception_fp_ieee_invalid_op 0
		.amdhsa_exception_fp_denorm_src 0
		.amdhsa_exception_fp_ieee_div_zero 0
		.amdhsa_exception_fp_ieee_overflow 0
		.amdhsa_exception_fp_ieee_underflow 0
		.amdhsa_exception_fp_ieee_inexact 0
		.amdhsa_exception_int_div_zero 0
	.end_amdhsa_kernel
	.section	.text._ZN7rocprim17ROCPRIM_400000_NS6detail17trampoline_kernelINS0_14default_configENS1_27scan_by_key_config_selectorIssEEZZNS1_16scan_by_key_implILNS1_25lookback_scan_determinismE0ELb1ES3_N6thrust23THRUST_200600_302600_NS6detail15normal_iteratorINS9_10device_ptrIsEEEESE_SE_sNS9_4plusIvEENS9_8equal_toIsEEsEE10hipError_tPvRmT2_T3_T4_T5_mT6_T7_P12ihipStream_tbENKUlT_T0_E_clISt17integral_constantIbLb0EESY_IbLb1EEEEDaSU_SV_EUlSU_E_NS1_11comp_targetILNS1_3genE4ELNS1_11target_archE910ELNS1_3gpuE8ELNS1_3repE0EEENS1_30default_config_static_selectorELNS0_4arch9wavefront6targetE0EEEvT1_,"axG",@progbits,_ZN7rocprim17ROCPRIM_400000_NS6detail17trampoline_kernelINS0_14default_configENS1_27scan_by_key_config_selectorIssEEZZNS1_16scan_by_key_implILNS1_25lookback_scan_determinismE0ELb1ES3_N6thrust23THRUST_200600_302600_NS6detail15normal_iteratorINS9_10device_ptrIsEEEESE_SE_sNS9_4plusIvEENS9_8equal_toIsEEsEE10hipError_tPvRmT2_T3_T4_T5_mT6_T7_P12ihipStream_tbENKUlT_T0_E_clISt17integral_constantIbLb0EESY_IbLb1EEEEDaSU_SV_EUlSU_E_NS1_11comp_targetILNS1_3genE4ELNS1_11target_archE910ELNS1_3gpuE8ELNS1_3repE0EEENS1_30default_config_static_selectorELNS0_4arch9wavefront6targetE0EEEvT1_,comdat
.Lfunc_end671:
	.size	_ZN7rocprim17ROCPRIM_400000_NS6detail17trampoline_kernelINS0_14default_configENS1_27scan_by_key_config_selectorIssEEZZNS1_16scan_by_key_implILNS1_25lookback_scan_determinismE0ELb1ES3_N6thrust23THRUST_200600_302600_NS6detail15normal_iteratorINS9_10device_ptrIsEEEESE_SE_sNS9_4plusIvEENS9_8equal_toIsEEsEE10hipError_tPvRmT2_T3_T4_T5_mT6_T7_P12ihipStream_tbENKUlT_T0_E_clISt17integral_constantIbLb0EESY_IbLb1EEEEDaSU_SV_EUlSU_E_NS1_11comp_targetILNS1_3genE4ELNS1_11target_archE910ELNS1_3gpuE8ELNS1_3repE0EEENS1_30default_config_static_selectorELNS0_4arch9wavefront6targetE0EEEvT1_, .Lfunc_end671-_ZN7rocprim17ROCPRIM_400000_NS6detail17trampoline_kernelINS0_14default_configENS1_27scan_by_key_config_selectorIssEEZZNS1_16scan_by_key_implILNS1_25lookback_scan_determinismE0ELb1ES3_N6thrust23THRUST_200600_302600_NS6detail15normal_iteratorINS9_10device_ptrIsEEEESE_SE_sNS9_4plusIvEENS9_8equal_toIsEEsEE10hipError_tPvRmT2_T3_T4_T5_mT6_T7_P12ihipStream_tbENKUlT_T0_E_clISt17integral_constantIbLb0EESY_IbLb1EEEEDaSU_SV_EUlSU_E_NS1_11comp_targetILNS1_3genE4ELNS1_11target_archE910ELNS1_3gpuE8ELNS1_3repE0EEENS1_30default_config_static_selectorELNS0_4arch9wavefront6targetE0EEEvT1_
                                        ; -- End function
	.set _ZN7rocprim17ROCPRIM_400000_NS6detail17trampoline_kernelINS0_14default_configENS1_27scan_by_key_config_selectorIssEEZZNS1_16scan_by_key_implILNS1_25lookback_scan_determinismE0ELb1ES3_N6thrust23THRUST_200600_302600_NS6detail15normal_iteratorINS9_10device_ptrIsEEEESE_SE_sNS9_4plusIvEENS9_8equal_toIsEEsEE10hipError_tPvRmT2_T3_T4_T5_mT6_T7_P12ihipStream_tbENKUlT_T0_E_clISt17integral_constantIbLb0EESY_IbLb1EEEEDaSU_SV_EUlSU_E_NS1_11comp_targetILNS1_3genE4ELNS1_11target_archE910ELNS1_3gpuE8ELNS1_3repE0EEENS1_30default_config_static_selectorELNS0_4arch9wavefront6targetE0EEEvT1_.num_vgpr, 0
	.set _ZN7rocprim17ROCPRIM_400000_NS6detail17trampoline_kernelINS0_14default_configENS1_27scan_by_key_config_selectorIssEEZZNS1_16scan_by_key_implILNS1_25lookback_scan_determinismE0ELb1ES3_N6thrust23THRUST_200600_302600_NS6detail15normal_iteratorINS9_10device_ptrIsEEEESE_SE_sNS9_4plusIvEENS9_8equal_toIsEEsEE10hipError_tPvRmT2_T3_T4_T5_mT6_T7_P12ihipStream_tbENKUlT_T0_E_clISt17integral_constantIbLb0EESY_IbLb1EEEEDaSU_SV_EUlSU_E_NS1_11comp_targetILNS1_3genE4ELNS1_11target_archE910ELNS1_3gpuE8ELNS1_3repE0EEENS1_30default_config_static_selectorELNS0_4arch9wavefront6targetE0EEEvT1_.num_agpr, 0
	.set _ZN7rocprim17ROCPRIM_400000_NS6detail17trampoline_kernelINS0_14default_configENS1_27scan_by_key_config_selectorIssEEZZNS1_16scan_by_key_implILNS1_25lookback_scan_determinismE0ELb1ES3_N6thrust23THRUST_200600_302600_NS6detail15normal_iteratorINS9_10device_ptrIsEEEESE_SE_sNS9_4plusIvEENS9_8equal_toIsEEsEE10hipError_tPvRmT2_T3_T4_T5_mT6_T7_P12ihipStream_tbENKUlT_T0_E_clISt17integral_constantIbLb0EESY_IbLb1EEEEDaSU_SV_EUlSU_E_NS1_11comp_targetILNS1_3genE4ELNS1_11target_archE910ELNS1_3gpuE8ELNS1_3repE0EEENS1_30default_config_static_selectorELNS0_4arch9wavefront6targetE0EEEvT1_.numbered_sgpr, 0
	.set _ZN7rocprim17ROCPRIM_400000_NS6detail17trampoline_kernelINS0_14default_configENS1_27scan_by_key_config_selectorIssEEZZNS1_16scan_by_key_implILNS1_25lookback_scan_determinismE0ELb1ES3_N6thrust23THRUST_200600_302600_NS6detail15normal_iteratorINS9_10device_ptrIsEEEESE_SE_sNS9_4plusIvEENS9_8equal_toIsEEsEE10hipError_tPvRmT2_T3_T4_T5_mT6_T7_P12ihipStream_tbENKUlT_T0_E_clISt17integral_constantIbLb0EESY_IbLb1EEEEDaSU_SV_EUlSU_E_NS1_11comp_targetILNS1_3genE4ELNS1_11target_archE910ELNS1_3gpuE8ELNS1_3repE0EEENS1_30default_config_static_selectorELNS0_4arch9wavefront6targetE0EEEvT1_.num_named_barrier, 0
	.set _ZN7rocprim17ROCPRIM_400000_NS6detail17trampoline_kernelINS0_14default_configENS1_27scan_by_key_config_selectorIssEEZZNS1_16scan_by_key_implILNS1_25lookback_scan_determinismE0ELb1ES3_N6thrust23THRUST_200600_302600_NS6detail15normal_iteratorINS9_10device_ptrIsEEEESE_SE_sNS9_4plusIvEENS9_8equal_toIsEEsEE10hipError_tPvRmT2_T3_T4_T5_mT6_T7_P12ihipStream_tbENKUlT_T0_E_clISt17integral_constantIbLb0EESY_IbLb1EEEEDaSU_SV_EUlSU_E_NS1_11comp_targetILNS1_3genE4ELNS1_11target_archE910ELNS1_3gpuE8ELNS1_3repE0EEENS1_30default_config_static_selectorELNS0_4arch9wavefront6targetE0EEEvT1_.private_seg_size, 0
	.set _ZN7rocprim17ROCPRIM_400000_NS6detail17trampoline_kernelINS0_14default_configENS1_27scan_by_key_config_selectorIssEEZZNS1_16scan_by_key_implILNS1_25lookback_scan_determinismE0ELb1ES3_N6thrust23THRUST_200600_302600_NS6detail15normal_iteratorINS9_10device_ptrIsEEEESE_SE_sNS9_4plusIvEENS9_8equal_toIsEEsEE10hipError_tPvRmT2_T3_T4_T5_mT6_T7_P12ihipStream_tbENKUlT_T0_E_clISt17integral_constantIbLb0EESY_IbLb1EEEEDaSU_SV_EUlSU_E_NS1_11comp_targetILNS1_3genE4ELNS1_11target_archE910ELNS1_3gpuE8ELNS1_3repE0EEENS1_30default_config_static_selectorELNS0_4arch9wavefront6targetE0EEEvT1_.uses_vcc, 0
	.set _ZN7rocprim17ROCPRIM_400000_NS6detail17trampoline_kernelINS0_14default_configENS1_27scan_by_key_config_selectorIssEEZZNS1_16scan_by_key_implILNS1_25lookback_scan_determinismE0ELb1ES3_N6thrust23THRUST_200600_302600_NS6detail15normal_iteratorINS9_10device_ptrIsEEEESE_SE_sNS9_4plusIvEENS9_8equal_toIsEEsEE10hipError_tPvRmT2_T3_T4_T5_mT6_T7_P12ihipStream_tbENKUlT_T0_E_clISt17integral_constantIbLb0EESY_IbLb1EEEEDaSU_SV_EUlSU_E_NS1_11comp_targetILNS1_3genE4ELNS1_11target_archE910ELNS1_3gpuE8ELNS1_3repE0EEENS1_30default_config_static_selectorELNS0_4arch9wavefront6targetE0EEEvT1_.uses_flat_scratch, 0
	.set _ZN7rocprim17ROCPRIM_400000_NS6detail17trampoline_kernelINS0_14default_configENS1_27scan_by_key_config_selectorIssEEZZNS1_16scan_by_key_implILNS1_25lookback_scan_determinismE0ELb1ES3_N6thrust23THRUST_200600_302600_NS6detail15normal_iteratorINS9_10device_ptrIsEEEESE_SE_sNS9_4plusIvEENS9_8equal_toIsEEsEE10hipError_tPvRmT2_T3_T4_T5_mT6_T7_P12ihipStream_tbENKUlT_T0_E_clISt17integral_constantIbLb0EESY_IbLb1EEEEDaSU_SV_EUlSU_E_NS1_11comp_targetILNS1_3genE4ELNS1_11target_archE910ELNS1_3gpuE8ELNS1_3repE0EEENS1_30default_config_static_selectorELNS0_4arch9wavefront6targetE0EEEvT1_.has_dyn_sized_stack, 0
	.set _ZN7rocprim17ROCPRIM_400000_NS6detail17trampoline_kernelINS0_14default_configENS1_27scan_by_key_config_selectorIssEEZZNS1_16scan_by_key_implILNS1_25lookback_scan_determinismE0ELb1ES3_N6thrust23THRUST_200600_302600_NS6detail15normal_iteratorINS9_10device_ptrIsEEEESE_SE_sNS9_4plusIvEENS9_8equal_toIsEEsEE10hipError_tPvRmT2_T3_T4_T5_mT6_T7_P12ihipStream_tbENKUlT_T0_E_clISt17integral_constantIbLb0EESY_IbLb1EEEEDaSU_SV_EUlSU_E_NS1_11comp_targetILNS1_3genE4ELNS1_11target_archE910ELNS1_3gpuE8ELNS1_3repE0EEENS1_30default_config_static_selectorELNS0_4arch9wavefront6targetE0EEEvT1_.has_recursion, 0
	.set _ZN7rocprim17ROCPRIM_400000_NS6detail17trampoline_kernelINS0_14default_configENS1_27scan_by_key_config_selectorIssEEZZNS1_16scan_by_key_implILNS1_25lookback_scan_determinismE0ELb1ES3_N6thrust23THRUST_200600_302600_NS6detail15normal_iteratorINS9_10device_ptrIsEEEESE_SE_sNS9_4plusIvEENS9_8equal_toIsEEsEE10hipError_tPvRmT2_T3_T4_T5_mT6_T7_P12ihipStream_tbENKUlT_T0_E_clISt17integral_constantIbLb0EESY_IbLb1EEEEDaSU_SV_EUlSU_E_NS1_11comp_targetILNS1_3genE4ELNS1_11target_archE910ELNS1_3gpuE8ELNS1_3repE0EEENS1_30default_config_static_selectorELNS0_4arch9wavefront6targetE0EEEvT1_.has_indirect_call, 0
	.section	.AMDGPU.csdata,"",@progbits
; Kernel info:
; codeLenInByte = 0
; TotalNumSgprs: 0
; NumVgprs: 0
; ScratchSize: 0
; MemoryBound: 0
; FloatMode: 240
; IeeeMode: 1
; LDSByteSize: 0 bytes/workgroup (compile time only)
; SGPRBlocks: 0
; VGPRBlocks: 0
; NumSGPRsForWavesPerEU: 1
; NumVGPRsForWavesPerEU: 1
; NamedBarCnt: 0
; Occupancy: 16
; WaveLimiterHint : 0
; COMPUTE_PGM_RSRC2:SCRATCH_EN: 0
; COMPUTE_PGM_RSRC2:USER_SGPR: 2
; COMPUTE_PGM_RSRC2:TRAP_HANDLER: 0
; COMPUTE_PGM_RSRC2:TGID_X_EN: 1
; COMPUTE_PGM_RSRC2:TGID_Y_EN: 0
; COMPUTE_PGM_RSRC2:TGID_Z_EN: 0
; COMPUTE_PGM_RSRC2:TIDIG_COMP_CNT: 0
	.section	.text._ZN7rocprim17ROCPRIM_400000_NS6detail17trampoline_kernelINS0_14default_configENS1_27scan_by_key_config_selectorIssEEZZNS1_16scan_by_key_implILNS1_25lookback_scan_determinismE0ELb1ES3_N6thrust23THRUST_200600_302600_NS6detail15normal_iteratorINS9_10device_ptrIsEEEESE_SE_sNS9_4plusIvEENS9_8equal_toIsEEsEE10hipError_tPvRmT2_T3_T4_T5_mT6_T7_P12ihipStream_tbENKUlT_T0_E_clISt17integral_constantIbLb0EESY_IbLb1EEEEDaSU_SV_EUlSU_E_NS1_11comp_targetILNS1_3genE3ELNS1_11target_archE908ELNS1_3gpuE7ELNS1_3repE0EEENS1_30default_config_static_selectorELNS0_4arch9wavefront6targetE0EEEvT1_,"axG",@progbits,_ZN7rocprim17ROCPRIM_400000_NS6detail17trampoline_kernelINS0_14default_configENS1_27scan_by_key_config_selectorIssEEZZNS1_16scan_by_key_implILNS1_25lookback_scan_determinismE0ELb1ES3_N6thrust23THRUST_200600_302600_NS6detail15normal_iteratorINS9_10device_ptrIsEEEESE_SE_sNS9_4plusIvEENS9_8equal_toIsEEsEE10hipError_tPvRmT2_T3_T4_T5_mT6_T7_P12ihipStream_tbENKUlT_T0_E_clISt17integral_constantIbLb0EESY_IbLb1EEEEDaSU_SV_EUlSU_E_NS1_11comp_targetILNS1_3genE3ELNS1_11target_archE908ELNS1_3gpuE7ELNS1_3repE0EEENS1_30default_config_static_selectorELNS0_4arch9wavefront6targetE0EEEvT1_,comdat
	.protected	_ZN7rocprim17ROCPRIM_400000_NS6detail17trampoline_kernelINS0_14default_configENS1_27scan_by_key_config_selectorIssEEZZNS1_16scan_by_key_implILNS1_25lookback_scan_determinismE0ELb1ES3_N6thrust23THRUST_200600_302600_NS6detail15normal_iteratorINS9_10device_ptrIsEEEESE_SE_sNS9_4plusIvEENS9_8equal_toIsEEsEE10hipError_tPvRmT2_T3_T4_T5_mT6_T7_P12ihipStream_tbENKUlT_T0_E_clISt17integral_constantIbLb0EESY_IbLb1EEEEDaSU_SV_EUlSU_E_NS1_11comp_targetILNS1_3genE3ELNS1_11target_archE908ELNS1_3gpuE7ELNS1_3repE0EEENS1_30default_config_static_selectorELNS0_4arch9wavefront6targetE0EEEvT1_ ; -- Begin function _ZN7rocprim17ROCPRIM_400000_NS6detail17trampoline_kernelINS0_14default_configENS1_27scan_by_key_config_selectorIssEEZZNS1_16scan_by_key_implILNS1_25lookback_scan_determinismE0ELb1ES3_N6thrust23THRUST_200600_302600_NS6detail15normal_iteratorINS9_10device_ptrIsEEEESE_SE_sNS9_4plusIvEENS9_8equal_toIsEEsEE10hipError_tPvRmT2_T3_T4_T5_mT6_T7_P12ihipStream_tbENKUlT_T0_E_clISt17integral_constantIbLb0EESY_IbLb1EEEEDaSU_SV_EUlSU_E_NS1_11comp_targetILNS1_3genE3ELNS1_11target_archE908ELNS1_3gpuE7ELNS1_3repE0EEENS1_30default_config_static_selectorELNS0_4arch9wavefront6targetE0EEEvT1_
	.globl	_ZN7rocprim17ROCPRIM_400000_NS6detail17trampoline_kernelINS0_14default_configENS1_27scan_by_key_config_selectorIssEEZZNS1_16scan_by_key_implILNS1_25lookback_scan_determinismE0ELb1ES3_N6thrust23THRUST_200600_302600_NS6detail15normal_iteratorINS9_10device_ptrIsEEEESE_SE_sNS9_4plusIvEENS9_8equal_toIsEEsEE10hipError_tPvRmT2_T3_T4_T5_mT6_T7_P12ihipStream_tbENKUlT_T0_E_clISt17integral_constantIbLb0EESY_IbLb1EEEEDaSU_SV_EUlSU_E_NS1_11comp_targetILNS1_3genE3ELNS1_11target_archE908ELNS1_3gpuE7ELNS1_3repE0EEENS1_30default_config_static_selectorELNS0_4arch9wavefront6targetE0EEEvT1_
	.p2align	8
	.type	_ZN7rocprim17ROCPRIM_400000_NS6detail17trampoline_kernelINS0_14default_configENS1_27scan_by_key_config_selectorIssEEZZNS1_16scan_by_key_implILNS1_25lookback_scan_determinismE0ELb1ES3_N6thrust23THRUST_200600_302600_NS6detail15normal_iteratorINS9_10device_ptrIsEEEESE_SE_sNS9_4plusIvEENS9_8equal_toIsEEsEE10hipError_tPvRmT2_T3_T4_T5_mT6_T7_P12ihipStream_tbENKUlT_T0_E_clISt17integral_constantIbLb0EESY_IbLb1EEEEDaSU_SV_EUlSU_E_NS1_11comp_targetILNS1_3genE3ELNS1_11target_archE908ELNS1_3gpuE7ELNS1_3repE0EEENS1_30default_config_static_selectorELNS0_4arch9wavefront6targetE0EEEvT1_,@function
_ZN7rocprim17ROCPRIM_400000_NS6detail17trampoline_kernelINS0_14default_configENS1_27scan_by_key_config_selectorIssEEZZNS1_16scan_by_key_implILNS1_25lookback_scan_determinismE0ELb1ES3_N6thrust23THRUST_200600_302600_NS6detail15normal_iteratorINS9_10device_ptrIsEEEESE_SE_sNS9_4plusIvEENS9_8equal_toIsEEsEE10hipError_tPvRmT2_T3_T4_T5_mT6_T7_P12ihipStream_tbENKUlT_T0_E_clISt17integral_constantIbLb0EESY_IbLb1EEEEDaSU_SV_EUlSU_E_NS1_11comp_targetILNS1_3genE3ELNS1_11target_archE908ELNS1_3gpuE7ELNS1_3repE0EEENS1_30default_config_static_selectorELNS0_4arch9wavefront6targetE0EEEvT1_: ; @_ZN7rocprim17ROCPRIM_400000_NS6detail17trampoline_kernelINS0_14default_configENS1_27scan_by_key_config_selectorIssEEZZNS1_16scan_by_key_implILNS1_25lookback_scan_determinismE0ELb1ES3_N6thrust23THRUST_200600_302600_NS6detail15normal_iteratorINS9_10device_ptrIsEEEESE_SE_sNS9_4plusIvEENS9_8equal_toIsEEsEE10hipError_tPvRmT2_T3_T4_T5_mT6_T7_P12ihipStream_tbENKUlT_T0_E_clISt17integral_constantIbLb0EESY_IbLb1EEEEDaSU_SV_EUlSU_E_NS1_11comp_targetILNS1_3genE3ELNS1_11target_archE908ELNS1_3gpuE7ELNS1_3repE0EEENS1_30default_config_static_selectorELNS0_4arch9wavefront6targetE0EEEvT1_
; %bb.0:
	.section	.rodata,"a",@progbits
	.p2align	6, 0x0
	.amdhsa_kernel _ZN7rocprim17ROCPRIM_400000_NS6detail17trampoline_kernelINS0_14default_configENS1_27scan_by_key_config_selectorIssEEZZNS1_16scan_by_key_implILNS1_25lookback_scan_determinismE0ELb1ES3_N6thrust23THRUST_200600_302600_NS6detail15normal_iteratorINS9_10device_ptrIsEEEESE_SE_sNS9_4plusIvEENS9_8equal_toIsEEsEE10hipError_tPvRmT2_T3_T4_T5_mT6_T7_P12ihipStream_tbENKUlT_T0_E_clISt17integral_constantIbLb0EESY_IbLb1EEEEDaSU_SV_EUlSU_E_NS1_11comp_targetILNS1_3genE3ELNS1_11target_archE908ELNS1_3gpuE7ELNS1_3repE0EEENS1_30default_config_static_selectorELNS0_4arch9wavefront6targetE0EEEvT1_
		.amdhsa_group_segment_fixed_size 0
		.amdhsa_private_segment_fixed_size 0
		.amdhsa_kernarg_size 112
		.amdhsa_user_sgpr_count 2
		.amdhsa_user_sgpr_dispatch_ptr 0
		.amdhsa_user_sgpr_queue_ptr 0
		.amdhsa_user_sgpr_kernarg_segment_ptr 1
		.amdhsa_user_sgpr_dispatch_id 0
		.amdhsa_user_sgpr_kernarg_preload_length 0
		.amdhsa_user_sgpr_kernarg_preload_offset 0
		.amdhsa_user_sgpr_private_segment_size 0
		.amdhsa_wavefront_size32 1
		.amdhsa_uses_dynamic_stack 0
		.amdhsa_enable_private_segment 0
		.amdhsa_system_sgpr_workgroup_id_x 1
		.amdhsa_system_sgpr_workgroup_id_y 0
		.amdhsa_system_sgpr_workgroup_id_z 0
		.amdhsa_system_sgpr_workgroup_info 0
		.amdhsa_system_vgpr_workitem_id 0
		.amdhsa_next_free_vgpr 1
		.amdhsa_next_free_sgpr 1
		.amdhsa_named_barrier_count 0
		.amdhsa_reserve_vcc 0
		.amdhsa_float_round_mode_32 0
		.amdhsa_float_round_mode_16_64 0
		.amdhsa_float_denorm_mode_32 3
		.amdhsa_float_denorm_mode_16_64 3
		.amdhsa_fp16_overflow 0
		.amdhsa_memory_ordered 1
		.amdhsa_forward_progress 1
		.amdhsa_inst_pref_size 0
		.amdhsa_round_robin_scheduling 0
		.amdhsa_exception_fp_ieee_invalid_op 0
		.amdhsa_exception_fp_denorm_src 0
		.amdhsa_exception_fp_ieee_div_zero 0
		.amdhsa_exception_fp_ieee_overflow 0
		.amdhsa_exception_fp_ieee_underflow 0
		.amdhsa_exception_fp_ieee_inexact 0
		.amdhsa_exception_int_div_zero 0
	.end_amdhsa_kernel
	.section	.text._ZN7rocprim17ROCPRIM_400000_NS6detail17trampoline_kernelINS0_14default_configENS1_27scan_by_key_config_selectorIssEEZZNS1_16scan_by_key_implILNS1_25lookback_scan_determinismE0ELb1ES3_N6thrust23THRUST_200600_302600_NS6detail15normal_iteratorINS9_10device_ptrIsEEEESE_SE_sNS9_4plusIvEENS9_8equal_toIsEEsEE10hipError_tPvRmT2_T3_T4_T5_mT6_T7_P12ihipStream_tbENKUlT_T0_E_clISt17integral_constantIbLb0EESY_IbLb1EEEEDaSU_SV_EUlSU_E_NS1_11comp_targetILNS1_3genE3ELNS1_11target_archE908ELNS1_3gpuE7ELNS1_3repE0EEENS1_30default_config_static_selectorELNS0_4arch9wavefront6targetE0EEEvT1_,"axG",@progbits,_ZN7rocprim17ROCPRIM_400000_NS6detail17trampoline_kernelINS0_14default_configENS1_27scan_by_key_config_selectorIssEEZZNS1_16scan_by_key_implILNS1_25lookback_scan_determinismE0ELb1ES3_N6thrust23THRUST_200600_302600_NS6detail15normal_iteratorINS9_10device_ptrIsEEEESE_SE_sNS9_4plusIvEENS9_8equal_toIsEEsEE10hipError_tPvRmT2_T3_T4_T5_mT6_T7_P12ihipStream_tbENKUlT_T0_E_clISt17integral_constantIbLb0EESY_IbLb1EEEEDaSU_SV_EUlSU_E_NS1_11comp_targetILNS1_3genE3ELNS1_11target_archE908ELNS1_3gpuE7ELNS1_3repE0EEENS1_30default_config_static_selectorELNS0_4arch9wavefront6targetE0EEEvT1_,comdat
.Lfunc_end672:
	.size	_ZN7rocprim17ROCPRIM_400000_NS6detail17trampoline_kernelINS0_14default_configENS1_27scan_by_key_config_selectorIssEEZZNS1_16scan_by_key_implILNS1_25lookback_scan_determinismE0ELb1ES3_N6thrust23THRUST_200600_302600_NS6detail15normal_iteratorINS9_10device_ptrIsEEEESE_SE_sNS9_4plusIvEENS9_8equal_toIsEEsEE10hipError_tPvRmT2_T3_T4_T5_mT6_T7_P12ihipStream_tbENKUlT_T0_E_clISt17integral_constantIbLb0EESY_IbLb1EEEEDaSU_SV_EUlSU_E_NS1_11comp_targetILNS1_3genE3ELNS1_11target_archE908ELNS1_3gpuE7ELNS1_3repE0EEENS1_30default_config_static_selectorELNS0_4arch9wavefront6targetE0EEEvT1_, .Lfunc_end672-_ZN7rocprim17ROCPRIM_400000_NS6detail17trampoline_kernelINS0_14default_configENS1_27scan_by_key_config_selectorIssEEZZNS1_16scan_by_key_implILNS1_25lookback_scan_determinismE0ELb1ES3_N6thrust23THRUST_200600_302600_NS6detail15normal_iteratorINS9_10device_ptrIsEEEESE_SE_sNS9_4plusIvEENS9_8equal_toIsEEsEE10hipError_tPvRmT2_T3_T4_T5_mT6_T7_P12ihipStream_tbENKUlT_T0_E_clISt17integral_constantIbLb0EESY_IbLb1EEEEDaSU_SV_EUlSU_E_NS1_11comp_targetILNS1_3genE3ELNS1_11target_archE908ELNS1_3gpuE7ELNS1_3repE0EEENS1_30default_config_static_selectorELNS0_4arch9wavefront6targetE0EEEvT1_
                                        ; -- End function
	.set _ZN7rocprim17ROCPRIM_400000_NS6detail17trampoline_kernelINS0_14default_configENS1_27scan_by_key_config_selectorIssEEZZNS1_16scan_by_key_implILNS1_25lookback_scan_determinismE0ELb1ES3_N6thrust23THRUST_200600_302600_NS6detail15normal_iteratorINS9_10device_ptrIsEEEESE_SE_sNS9_4plusIvEENS9_8equal_toIsEEsEE10hipError_tPvRmT2_T3_T4_T5_mT6_T7_P12ihipStream_tbENKUlT_T0_E_clISt17integral_constantIbLb0EESY_IbLb1EEEEDaSU_SV_EUlSU_E_NS1_11comp_targetILNS1_3genE3ELNS1_11target_archE908ELNS1_3gpuE7ELNS1_3repE0EEENS1_30default_config_static_selectorELNS0_4arch9wavefront6targetE0EEEvT1_.num_vgpr, 0
	.set _ZN7rocprim17ROCPRIM_400000_NS6detail17trampoline_kernelINS0_14default_configENS1_27scan_by_key_config_selectorIssEEZZNS1_16scan_by_key_implILNS1_25lookback_scan_determinismE0ELb1ES3_N6thrust23THRUST_200600_302600_NS6detail15normal_iteratorINS9_10device_ptrIsEEEESE_SE_sNS9_4plusIvEENS9_8equal_toIsEEsEE10hipError_tPvRmT2_T3_T4_T5_mT6_T7_P12ihipStream_tbENKUlT_T0_E_clISt17integral_constantIbLb0EESY_IbLb1EEEEDaSU_SV_EUlSU_E_NS1_11comp_targetILNS1_3genE3ELNS1_11target_archE908ELNS1_3gpuE7ELNS1_3repE0EEENS1_30default_config_static_selectorELNS0_4arch9wavefront6targetE0EEEvT1_.num_agpr, 0
	.set _ZN7rocprim17ROCPRIM_400000_NS6detail17trampoline_kernelINS0_14default_configENS1_27scan_by_key_config_selectorIssEEZZNS1_16scan_by_key_implILNS1_25lookback_scan_determinismE0ELb1ES3_N6thrust23THRUST_200600_302600_NS6detail15normal_iteratorINS9_10device_ptrIsEEEESE_SE_sNS9_4plusIvEENS9_8equal_toIsEEsEE10hipError_tPvRmT2_T3_T4_T5_mT6_T7_P12ihipStream_tbENKUlT_T0_E_clISt17integral_constantIbLb0EESY_IbLb1EEEEDaSU_SV_EUlSU_E_NS1_11comp_targetILNS1_3genE3ELNS1_11target_archE908ELNS1_3gpuE7ELNS1_3repE0EEENS1_30default_config_static_selectorELNS0_4arch9wavefront6targetE0EEEvT1_.numbered_sgpr, 0
	.set _ZN7rocprim17ROCPRIM_400000_NS6detail17trampoline_kernelINS0_14default_configENS1_27scan_by_key_config_selectorIssEEZZNS1_16scan_by_key_implILNS1_25lookback_scan_determinismE0ELb1ES3_N6thrust23THRUST_200600_302600_NS6detail15normal_iteratorINS9_10device_ptrIsEEEESE_SE_sNS9_4plusIvEENS9_8equal_toIsEEsEE10hipError_tPvRmT2_T3_T4_T5_mT6_T7_P12ihipStream_tbENKUlT_T0_E_clISt17integral_constantIbLb0EESY_IbLb1EEEEDaSU_SV_EUlSU_E_NS1_11comp_targetILNS1_3genE3ELNS1_11target_archE908ELNS1_3gpuE7ELNS1_3repE0EEENS1_30default_config_static_selectorELNS0_4arch9wavefront6targetE0EEEvT1_.num_named_barrier, 0
	.set _ZN7rocprim17ROCPRIM_400000_NS6detail17trampoline_kernelINS0_14default_configENS1_27scan_by_key_config_selectorIssEEZZNS1_16scan_by_key_implILNS1_25lookback_scan_determinismE0ELb1ES3_N6thrust23THRUST_200600_302600_NS6detail15normal_iteratorINS9_10device_ptrIsEEEESE_SE_sNS9_4plusIvEENS9_8equal_toIsEEsEE10hipError_tPvRmT2_T3_T4_T5_mT6_T7_P12ihipStream_tbENKUlT_T0_E_clISt17integral_constantIbLb0EESY_IbLb1EEEEDaSU_SV_EUlSU_E_NS1_11comp_targetILNS1_3genE3ELNS1_11target_archE908ELNS1_3gpuE7ELNS1_3repE0EEENS1_30default_config_static_selectorELNS0_4arch9wavefront6targetE0EEEvT1_.private_seg_size, 0
	.set _ZN7rocprim17ROCPRIM_400000_NS6detail17trampoline_kernelINS0_14default_configENS1_27scan_by_key_config_selectorIssEEZZNS1_16scan_by_key_implILNS1_25lookback_scan_determinismE0ELb1ES3_N6thrust23THRUST_200600_302600_NS6detail15normal_iteratorINS9_10device_ptrIsEEEESE_SE_sNS9_4plusIvEENS9_8equal_toIsEEsEE10hipError_tPvRmT2_T3_T4_T5_mT6_T7_P12ihipStream_tbENKUlT_T0_E_clISt17integral_constantIbLb0EESY_IbLb1EEEEDaSU_SV_EUlSU_E_NS1_11comp_targetILNS1_3genE3ELNS1_11target_archE908ELNS1_3gpuE7ELNS1_3repE0EEENS1_30default_config_static_selectorELNS0_4arch9wavefront6targetE0EEEvT1_.uses_vcc, 0
	.set _ZN7rocprim17ROCPRIM_400000_NS6detail17trampoline_kernelINS0_14default_configENS1_27scan_by_key_config_selectorIssEEZZNS1_16scan_by_key_implILNS1_25lookback_scan_determinismE0ELb1ES3_N6thrust23THRUST_200600_302600_NS6detail15normal_iteratorINS9_10device_ptrIsEEEESE_SE_sNS9_4plusIvEENS9_8equal_toIsEEsEE10hipError_tPvRmT2_T3_T4_T5_mT6_T7_P12ihipStream_tbENKUlT_T0_E_clISt17integral_constantIbLb0EESY_IbLb1EEEEDaSU_SV_EUlSU_E_NS1_11comp_targetILNS1_3genE3ELNS1_11target_archE908ELNS1_3gpuE7ELNS1_3repE0EEENS1_30default_config_static_selectorELNS0_4arch9wavefront6targetE0EEEvT1_.uses_flat_scratch, 0
	.set _ZN7rocprim17ROCPRIM_400000_NS6detail17trampoline_kernelINS0_14default_configENS1_27scan_by_key_config_selectorIssEEZZNS1_16scan_by_key_implILNS1_25lookback_scan_determinismE0ELb1ES3_N6thrust23THRUST_200600_302600_NS6detail15normal_iteratorINS9_10device_ptrIsEEEESE_SE_sNS9_4plusIvEENS9_8equal_toIsEEsEE10hipError_tPvRmT2_T3_T4_T5_mT6_T7_P12ihipStream_tbENKUlT_T0_E_clISt17integral_constantIbLb0EESY_IbLb1EEEEDaSU_SV_EUlSU_E_NS1_11comp_targetILNS1_3genE3ELNS1_11target_archE908ELNS1_3gpuE7ELNS1_3repE0EEENS1_30default_config_static_selectorELNS0_4arch9wavefront6targetE0EEEvT1_.has_dyn_sized_stack, 0
	.set _ZN7rocprim17ROCPRIM_400000_NS6detail17trampoline_kernelINS0_14default_configENS1_27scan_by_key_config_selectorIssEEZZNS1_16scan_by_key_implILNS1_25lookback_scan_determinismE0ELb1ES3_N6thrust23THRUST_200600_302600_NS6detail15normal_iteratorINS9_10device_ptrIsEEEESE_SE_sNS9_4plusIvEENS9_8equal_toIsEEsEE10hipError_tPvRmT2_T3_T4_T5_mT6_T7_P12ihipStream_tbENKUlT_T0_E_clISt17integral_constantIbLb0EESY_IbLb1EEEEDaSU_SV_EUlSU_E_NS1_11comp_targetILNS1_3genE3ELNS1_11target_archE908ELNS1_3gpuE7ELNS1_3repE0EEENS1_30default_config_static_selectorELNS0_4arch9wavefront6targetE0EEEvT1_.has_recursion, 0
	.set _ZN7rocprim17ROCPRIM_400000_NS6detail17trampoline_kernelINS0_14default_configENS1_27scan_by_key_config_selectorIssEEZZNS1_16scan_by_key_implILNS1_25lookback_scan_determinismE0ELb1ES3_N6thrust23THRUST_200600_302600_NS6detail15normal_iteratorINS9_10device_ptrIsEEEESE_SE_sNS9_4plusIvEENS9_8equal_toIsEEsEE10hipError_tPvRmT2_T3_T4_T5_mT6_T7_P12ihipStream_tbENKUlT_T0_E_clISt17integral_constantIbLb0EESY_IbLb1EEEEDaSU_SV_EUlSU_E_NS1_11comp_targetILNS1_3genE3ELNS1_11target_archE908ELNS1_3gpuE7ELNS1_3repE0EEENS1_30default_config_static_selectorELNS0_4arch9wavefront6targetE0EEEvT1_.has_indirect_call, 0
	.section	.AMDGPU.csdata,"",@progbits
; Kernel info:
; codeLenInByte = 0
; TotalNumSgprs: 0
; NumVgprs: 0
; ScratchSize: 0
; MemoryBound: 0
; FloatMode: 240
; IeeeMode: 1
; LDSByteSize: 0 bytes/workgroup (compile time only)
; SGPRBlocks: 0
; VGPRBlocks: 0
; NumSGPRsForWavesPerEU: 1
; NumVGPRsForWavesPerEU: 1
; NamedBarCnt: 0
; Occupancy: 16
; WaveLimiterHint : 0
; COMPUTE_PGM_RSRC2:SCRATCH_EN: 0
; COMPUTE_PGM_RSRC2:USER_SGPR: 2
; COMPUTE_PGM_RSRC2:TRAP_HANDLER: 0
; COMPUTE_PGM_RSRC2:TGID_X_EN: 1
; COMPUTE_PGM_RSRC2:TGID_Y_EN: 0
; COMPUTE_PGM_RSRC2:TGID_Z_EN: 0
; COMPUTE_PGM_RSRC2:TIDIG_COMP_CNT: 0
	.section	.text._ZN7rocprim17ROCPRIM_400000_NS6detail17trampoline_kernelINS0_14default_configENS1_27scan_by_key_config_selectorIssEEZZNS1_16scan_by_key_implILNS1_25lookback_scan_determinismE0ELb1ES3_N6thrust23THRUST_200600_302600_NS6detail15normal_iteratorINS9_10device_ptrIsEEEESE_SE_sNS9_4plusIvEENS9_8equal_toIsEEsEE10hipError_tPvRmT2_T3_T4_T5_mT6_T7_P12ihipStream_tbENKUlT_T0_E_clISt17integral_constantIbLb0EESY_IbLb1EEEEDaSU_SV_EUlSU_E_NS1_11comp_targetILNS1_3genE2ELNS1_11target_archE906ELNS1_3gpuE6ELNS1_3repE0EEENS1_30default_config_static_selectorELNS0_4arch9wavefront6targetE0EEEvT1_,"axG",@progbits,_ZN7rocprim17ROCPRIM_400000_NS6detail17trampoline_kernelINS0_14default_configENS1_27scan_by_key_config_selectorIssEEZZNS1_16scan_by_key_implILNS1_25lookback_scan_determinismE0ELb1ES3_N6thrust23THRUST_200600_302600_NS6detail15normal_iteratorINS9_10device_ptrIsEEEESE_SE_sNS9_4plusIvEENS9_8equal_toIsEEsEE10hipError_tPvRmT2_T3_T4_T5_mT6_T7_P12ihipStream_tbENKUlT_T0_E_clISt17integral_constantIbLb0EESY_IbLb1EEEEDaSU_SV_EUlSU_E_NS1_11comp_targetILNS1_3genE2ELNS1_11target_archE906ELNS1_3gpuE6ELNS1_3repE0EEENS1_30default_config_static_selectorELNS0_4arch9wavefront6targetE0EEEvT1_,comdat
	.protected	_ZN7rocprim17ROCPRIM_400000_NS6detail17trampoline_kernelINS0_14default_configENS1_27scan_by_key_config_selectorIssEEZZNS1_16scan_by_key_implILNS1_25lookback_scan_determinismE0ELb1ES3_N6thrust23THRUST_200600_302600_NS6detail15normal_iteratorINS9_10device_ptrIsEEEESE_SE_sNS9_4plusIvEENS9_8equal_toIsEEsEE10hipError_tPvRmT2_T3_T4_T5_mT6_T7_P12ihipStream_tbENKUlT_T0_E_clISt17integral_constantIbLb0EESY_IbLb1EEEEDaSU_SV_EUlSU_E_NS1_11comp_targetILNS1_3genE2ELNS1_11target_archE906ELNS1_3gpuE6ELNS1_3repE0EEENS1_30default_config_static_selectorELNS0_4arch9wavefront6targetE0EEEvT1_ ; -- Begin function _ZN7rocprim17ROCPRIM_400000_NS6detail17trampoline_kernelINS0_14default_configENS1_27scan_by_key_config_selectorIssEEZZNS1_16scan_by_key_implILNS1_25lookback_scan_determinismE0ELb1ES3_N6thrust23THRUST_200600_302600_NS6detail15normal_iteratorINS9_10device_ptrIsEEEESE_SE_sNS9_4plusIvEENS9_8equal_toIsEEsEE10hipError_tPvRmT2_T3_T4_T5_mT6_T7_P12ihipStream_tbENKUlT_T0_E_clISt17integral_constantIbLb0EESY_IbLb1EEEEDaSU_SV_EUlSU_E_NS1_11comp_targetILNS1_3genE2ELNS1_11target_archE906ELNS1_3gpuE6ELNS1_3repE0EEENS1_30default_config_static_selectorELNS0_4arch9wavefront6targetE0EEEvT1_
	.globl	_ZN7rocprim17ROCPRIM_400000_NS6detail17trampoline_kernelINS0_14default_configENS1_27scan_by_key_config_selectorIssEEZZNS1_16scan_by_key_implILNS1_25lookback_scan_determinismE0ELb1ES3_N6thrust23THRUST_200600_302600_NS6detail15normal_iteratorINS9_10device_ptrIsEEEESE_SE_sNS9_4plusIvEENS9_8equal_toIsEEsEE10hipError_tPvRmT2_T3_T4_T5_mT6_T7_P12ihipStream_tbENKUlT_T0_E_clISt17integral_constantIbLb0EESY_IbLb1EEEEDaSU_SV_EUlSU_E_NS1_11comp_targetILNS1_3genE2ELNS1_11target_archE906ELNS1_3gpuE6ELNS1_3repE0EEENS1_30default_config_static_selectorELNS0_4arch9wavefront6targetE0EEEvT1_
	.p2align	8
	.type	_ZN7rocprim17ROCPRIM_400000_NS6detail17trampoline_kernelINS0_14default_configENS1_27scan_by_key_config_selectorIssEEZZNS1_16scan_by_key_implILNS1_25lookback_scan_determinismE0ELb1ES3_N6thrust23THRUST_200600_302600_NS6detail15normal_iteratorINS9_10device_ptrIsEEEESE_SE_sNS9_4plusIvEENS9_8equal_toIsEEsEE10hipError_tPvRmT2_T3_T4_T5_mT6_T7_P12ihipStream_tbENKUlT_T0_E_clISt17integral_constantIbLb0EESY_IbLb1EEEEDaSU_SV_EUlSU_E_NS1_11comp_targetILNS1_3genE2ELNS1_11target_archE906ELNS1_3gpuE6ELNS1_3repE0EEENS1_30default_config_static_selectorELNS0_4arch9wavefront6targetE0EEEvT1_,@function
_ZN7rocprim17ROCPRIM_400000_NS6detail17trampoline_kernelINS0_14default_configENS1_27scan_by_key_config_selectorIssEEZZNS1_16scan_by_key_implILNS1_25lookback_scan_determinismE0ELb1ES3_N6thrust23THRUST_200600_302600_NS6detail15normal_iteratorINS9_10device_ptrIsEEEESE_SE_sNS9_4plusIvEENS9_8equal_toIsEEsEE10hipError_tPvRmT2_T3_T4_T5_mT6_T7_P12ihipStream_tbENKUlT_T0_E_clISt17integral_constantIbLb0EESY_IbLb1EEEEDaSU_SV_EUlSU_E_NS1_11comp_targetILNS1_3genE2ELNS1_11target_archE906ELNS1_3gpuE6ELNS1_3repE0EEENS1_30default_config_static_selectorELNS0_4arch9wavefront6targetE0EEEvT1_: ; @_ZN7rocprim17ROCPRIM_400000_NS6detail17trampoline_kernelINS0_14default_configENS1_27scan_by_key_config_selectorIssEEZZNS1_16scan_by_key_implILNS1_25lookback_scan_determinismE0ELb1ES3_N6thrust23THRUST_200600_302600_NS6detail15normal_iteratorINS9_10device_ptrIsEEEESE_SE_sNS9_4plusIvEENS9_8equal_toIsEEsEE10hipError_tPvRmT2_T3_T4_T5_mT6_T7_P12ihipStream_tbENKUlT_T0_E_clISt17integral_constantIbLb0EESY_IbLb1EEEEDaSU_SV_EUlSU_E_NS1_11comp_targetILNS1_3genE2ELNS1_11target_archE906ELNS1_3gpuE6ELNS1_3repE0EEENS1_30default_config_static_selectorELNS0_4arch9wavefront6targetE0EEEvT1_
; %bb.0:
	.section	.rodata,"a",@progbits
	.p2align	6, 0x0
	.amdhsa_kernel _ZN7rocprim17ROCPRIM_400000_NS6detail17trampoline_kernelINS0_14default_configENS1_27scan_by_key_config_selectorIssEEZZNS1_16scan_by_key_implILNS1_25lookback_scan_determinismE0ELb1ES3_N6thrust23THRUST_200600_302600_NS6detail15normal_iteratorINS9_10device_ptrIsEEEESE_SE_sNS9_4plusIvEENS9_8equal_toIsEEsEE10hipError_tPvRmT2_T3_T4_T5_mT6_T7_P12ihipStream_tbENKUlT_T0_E_clISt17integral_constantIbLb0EESY_IbLb1EEEEDaSU_SV_EUlSU_E_NS1_11comp_targetILNS1_3genE2ELNS1_11target_archE906ELNS1_3gpuE6ELNS1_3repE0EEENS1_30default_config_static_selectorELNS0_4arch9wavefront6targetE0EEEvT1_
		.amdhsa_group_segment_fixed_size 0
		.amdhsa_private_segment_fixed_size 0
		.amdhsa_kernarg_size 112
		.amdhsa_user_sgpr_count 2
		.amdhsa_user_sgpr_dispatch_ptr 0
		.amdhsa_user_sgpr_queue_ptr 0
		.amdhsa_user_sgpr_kernarg_segment_ptr 1
		.amdhsa_user_sgpr_dispatch_id 0
		.amdhsa_user_sgpr_kernarg_preload_length 0
		.amdhsa_user_sgpr_kernarg_preload_offset 0
		.amdhsa_user_sgpr_private_segment_size 0
		.amdhsa_wavefront_size32 1
		.amdhsa_uses_dynamic_stack 0
		.amdhsa_enable_private_segment 0
		.amdhsa_system_sgpr_workgroup_id_x 1
		.amdhsa_system_sgpr_workgroup_id_y 0
		.amdhsa_system_sgpr_workgroup_id_z 0
		.amdhsa_system_sgpr_workgroup_info 0
		.amdhsa_system_vgpr_workitem_id 0
		.amdhsa_next_free_vgpr 1
		.amdhsa_next_free_sgpr 1
		.amdhsa_named_barrier_count 0
		.amdhsa_reserve_vcc 0
		.amdhsa_float_round_mode_32 0
		.amdhsa_float_round_mode_16_64 0
		.amdhsa_float_denorm_mode_32 3
		.amdhsa_float_denorm_mode_16_64 3
		.amdhsa_fp16_overflow 0
		.amdhsa_memory_ordered 1
		.amdhsa_forward_progress 1
		.amdhsa_inst_pref_size 0
		.amdhsa_round_robin_scheduling 0
		.amdhsa_exception_fp_ieee_invalid_op 0
		.amdhsa_exception_fp_denorm_src 0
		.amdhsa_exception_fp_ieee_div_zero 0
		.amdhsa_exception_fp_ieee_overflow 0
		.amdhsa_exception_fp_ieee_underflow 0
		.amdhsa_exception_fp_ieee_inexact 0
		.amdhsa_exception_int_div_zero 0
	.end_amdhsa_kernel
	.section	.text._ZN7rocprim17ROCPRIM_400000_NS6detail17trampoline_kernelINS0_14default_configENS1_27scan_by_key_config_selectorIssEEZZNS1_16scan_by_key_implILNS1_25lookback_scan_determinismE0ELb1ES3_N6thrust23THRUST_200600_302600_NS6detail15normal_iteratorINS9_10device_ptrIsEEEESE_SE_sNS9_4plusIvEENS9_8equal_toIsEEsEE10hipError_tPvRmT2_T3_T4_T5_mT6_T7_P12ihipStream_tbENKUlT_T0_E_clISt17integral_constantIbLb0EESY_IbLb1EEEEDaSU_SV_EUlSU_E_NS1_11comp_targetILNS1_3genE2ELNS1_11target_archE906ELNS1_3gpuE6ELNS1_3repE0EEENS1_30default_config_static_selectorELNS0_4arch9wavefront6targetE0EEEvT1_,"axG",@progbits,_ZN7rocprim17ROCPRIM_400000_NS6detail17trampoline_kernelINS0_14default_configENS1_27scan_by_key_config_selectorIssEEZZNS1_16scan_by_key_implILNS1_25lookback_scan_determinismE0ELb1ES3_N6thrust23THRUST_200600_302600_NS6detail15normal_iteratorINS9_10device_ptrIsEEEESE_SE_sNS9_4plusIvEENS9_8equal_toIsEEsEE10hipError_tPvRmT2_T3_T4_T5_mT6_T7_P12ihipStream_tbENKUlT_T0_E_clISt17integral_constantIbLb0EESY_IbLb1EEEEDaSU_SV_EUlSU_E_NS1_11comp_targetILNS1_3genE2ELNS1_11target_archE906ELNS1_3gpuE6ELNS1_3repE0EEENS1_30default_config_static_selectorELNS0_4arch9wavefront6targetE0EEEvT1_,comdat
.Lfunc_end673:
	.size	_ZN7rocprim17ROCPRIM_400000_NS6detail17trampoline_kernelINS0_14default_configENS1_27scan_by_key_config_selectorIssEEZZNS1_16scan_by_key_implILNS1_25lookback_scan_determinismE0ELb1ES3_N6thrust23THRUST_200600_302600_NS6detail15normal_iteratorINS9_10device_ptrIsEEEESE_SE_sNS9_4plusIvEENS9_8equal_toIsEEsEE10hipError_tPvRmT2_T3_T4_T5_mT6_T7_P12ihipStream_tbENKUlT_T0_E_clISt17integral_constantIbLb0EESY_IbLb1EEEEDaSU_SV_EUlSU_E_NS1_11comp_targetILNS1_3genE2ELNS1_11target_archE906ELNS1_3gpuE6ELNS1_3repE0EEENS1_30default_config_static_selectorELNS0_4arch9wavefront6targetE0EEEvT1_, .Lfunc_end673-_ZN7rocprim17ROCPRIM_400000_NS6detail17trampoline_kernelINS0_14default_configENS1_27scan_by_key_config_selectorIssEEZZNS1_16scan_by_key_implILNS1_25lookback_scan_determinismE0ELb1ES3_N6thrust23THRUST_200600_302600_NS6detail15normal_iteratorINS9_10device_ptrIsEEEESE_SE_sNS9_4plusIvEENS9_8equal_toIsEEsEE10hipError_tPvRmT2_T3_T4_T5_mT6_T7_P12ihipStream_tbENKUlT_T0_E_clISt17integral_constantIbLb0EESY_IbLb1EEEEDaSU_SV_EUlSU_E_NS1_11comp_targetILNS1_3genE2ELNS1_11target_archE906ELNS1_3gpuE6ELNS1_3repE0EEENS1_30default_config_static_selectorELNS0_4arch9wavefront6targetE0EEEvT1_
                                        ; -- End function
	.set _ZN7rocprim17ROCPRIM_400000_NS6detail17trampoline_kernelINS0_14default_configENS1_27scan_by_key_config_selectorIssEEZZNS1_16scan_by_key_implILNS1_25lookback_scan_determinismE0ELb1ES3_N6thrust23THRUST_200600_302600_NS6detail15normal_iteratorINS9_10device_ptrIsEEEESE_SE_sNS9_4plusIvEENS9_8equal_toIsEEsEE10hipError_tPvRmT2_T3_T4_T5_mT6_T7_P12ihipStream_tbENKUlT_T0_E_clISt17integral_constantIbLb0EESY_IbLb1EEEEDaSU_SV_EUlSU_E_NS1_11comp_targetILNS1_3genE2ELNS1_11target_archE906ELNS1_3gpuE6ELNS1_3repE0EEENS1_30default_config_static_selectorELNS0_4arch9wavefront6targetE0EEEvT1_.num_vgpr, 0
	.set _ZN7rocprim17ROCPRIM_400000_NS6detail17trampoline_kernelINS0_14default_configENS1_27scan_by_key_config_selectorIssEEZZNS1_16scan_by_key_implILNS1_25lookback_scan_determinismE0ELb1ES3_N6thrust23THRUST_200600_302600_NS6detail15normal_iteratorINS9_10device_ptrIsEEEESE_SE_sNS9_4plusIvEENS9_8equal_toIsEEsEE10hipError_tPvRmT2_T3_T4_T5_mT6_T7_P12ihipStream_tbENKUlT_T0_E_clISt17integral_constantIbLb0EESY_IbLb1EEEEDaSU_SV_EUlSU_E_NS1_11comp_targetILNS1_3genE2ELNS1_11target_archE906ELNS1_3gpuE6ELNS1_3repE0EEENS1_30default_config_static_selectorELNS0_4arch9wavefront6targetE0EEEvT1_.num_agpr, 0
	.set _ZN7rocprim17ROCPRIM_400000_NS6detail17trampoline_kernelINS0_14default_configENS1_27scan_by_key_config_selectorIssEEZZNS1_16scan_by_key_implILNS1_25lookback_scan_determinismE0ELb1ES3_N6thrust23THRUST_200600_302600_NS6detail15normal_iteratorINS9_10device_ptrIsEEEESE_SE_sNS9_4plusIvEENS9_8equal_toIsEEsEE10hipError_tPvRmT2_T3_T4_T5_mT6_T7_P12ihipStream_tbENKUlT_T0_E_clISt17integral_constantIbLb0EESY_IbLb1EEEEDaSU_SV_EUlSU_E_NS1_11comp_targetILNS1_3genE2ELNS1_11target_archE906ELNS1_3gpuE6ELNS1_3repE0EEENS1_30default_config_static_selectorELNS0_4arch9wavefront6targetE0EEEvT1_.numbered_sgpr, 0
	.set _ZN7rocprim17ROCPRIM_400000_NS6detail17trampoline_kernelINS0_14default_configENS1_27scan_by_key_config_selectorIssEEZZNS1_16scan_by_key_implILNS1_25lookback_scan_determinismE0ELb1ES3_N6thrust23THRUST_200600_302600_NS6detail15normal_iteratorINS9_10device_ptrIsEEEESE_SE_sNS9_4plusIvEENS9_8equal_toIsEEsEE10hipError_tPvRmT2_T3_T4_T5_mT6_T7_P12ihipStream_tbENKUlT_T0_E_clISt17integral_constantIbLb0EESY_IbLb1EEEEDaSU_SV_EUlSU_E_NS1_11comp_targetILNS1_3genE2ELNS1_11target_archE906ELNS1_3gpuE6ELNS1_3repE0EEENS1_30default_config_static_selectorELNS0_4arch9wavefront6targetE0EEEvT1_.num_named_barrier, 0
	.set _ZN7rocprim17ROCPRIM_400000_NS6detail17trampoline_kernelINS0_14default_configENS1_27scan_by_key_config_selectorIssEEZZNS1_16scan_by_key_implILNS1_25lookback_scan_determinismE0ELb1ES3_N6thrust23THRUST_200600_302600_NS6detail15normal_iteratorINS9_10device_ptrIsEEEESE_SE_sNS9_4plusIvEENS9_8equal_toIsEEsEE10hipError_tPvRmT2_T3_T4_T5_mT6_T7_P12ihipStream_tbENKUlT_T0_E_clISt17integral_constantIbLb0EESY_IbLb1EEEEDaSU_SV_EUlSU_E_NS1_11comp_targetILNS1_3genE2ELNS1_11target_archE906ELNS1_3gpuE6ELNS1_3repE0EEENS1_30default_config_static_selectorELNS0_4arch9wavefront6targetE0EEEvT1_.private_seg_size, 0
	.set _ZN7rocprim17ROCPRIM_400000_NS6detail17trampoline_kernelINS0_14default_configENS1_27scan_by_key_config_selectorIssEEZZNS1_16scan_by_key_implILNS1_25lookback_scan_determinismE0ELb1ES3_N6thrust23THRUST_200600_302600_NS6detail15normal_iteratorINS9_10device_ptrIsEEEESE_SE_sNS9_4plusIvEENS9_8equal_toIsEEsEE10hipError_tPvRmT2_T3_T4_T5_mT6_T7_P12ihipStream_tbENKUlT_T0_E_clISt17integral_constantIbLb0EESY_IbLb1EEEEDaSU_SV_EUlSU_E_NS1_11comp_targetILNS1_3genE2ELNS1_11target_archE906ELNS1_3gpuE6ELNS1_3repE0EEENS1_30default_config_static_selectorELNS0_4arch9wavefront6targetE0EEEvT1_.uses_vcc, 0
	.set _ZN7rocprim17ROCPRIM_400000_NS6detail17trampoline_kernelINS0_14default_configENS1_27scan_by_key_config_selectorIssEEZZNS1_16scan_by_key_implILNS1_25lookback_scan_determinismE0ELb1ES3_N6thrust23THRUST_200600_302600_NS6detail15normal_iteratorINS9_10device_ptrIsEEEESE_SE_sNS9_4plusIvEENS9_8equal_toIsEEsEE10hipError_tPvRmT2_T3_T4_T5_mT6_T7_P12ihipStream_tbENKUlT_T0_E_clISt17integral_constantIbLb0EESY_IbLb1EEEEDaSU_SV_EUlSU_E_NS1_11comp_targetILNS1_3genE2ELNS1_11target_archE906ELNS1_3gpuE6ELNS1_3repE0EEENS1_30default_config_static_selectorELNS0_4arch9wavefront6targetE0EEEvT1_.uses_flat_scratch, 0
	.set _ZN7rocprim17ROCPRIM_400000_NS6detail17trampoline_kernelINS0_14default_configENS1_27scan_by_key_config_selectorIssEEZZNS1_16scan_by_key_implILNS1_25lookback_scan_determinismE0ELb1ES3_N6thrust23THRUST_200600_302600_NS6detail15normal_iteratorINS9_10device_ptrIsEEEESE_SE_sNS9_4plusIvEENS9_8equal_toIsEEsEE10hipError_tPvRmT2_T3_T4_T5_mT6_T7_P12ihipStream_tbENKUlT_T0_E_clISt17integral_constantIbLb0EESY_IbLb1EEEEDaSU_SV_EUlSU_E_NS1_11comp_targetILNS1_3genE2ELNS1_11target_archE906ELNS1_3gpuE6ELNS1_3repE0EEENS1_30default_config_static_selectorELNS0_4arch9wavefront6targetE0EEEvT1_.has_dyn_sized_stack, 0
	.set _ZN7rocprim17ROCPRIM_400000_NS6detail17trampoline_kernelINS0_14default_configENS1_27scan_by_key_config_selectorIssEEZZNS1_16scan_by_key_implILNS1_25lookback_scan_determinismE0ELb1ES3_N6thrust23THRUST_200600_302600_NS6detail15normal_iteratorINS9_10device_ptrIsEEEESE_SE_sNS9_4plusIvEENS9_8equal_toIsEEsEE10hipError_tPvRmT2_T3_T4_T5_mT6_T7_P12ihipStream_tbENKUlT_T0_E_clISt17integral_constantIbLb0EESY_IbLb1EEEEDaSU_SV_EUlSU_E_NS1_11comp_targetILNS1_3genE2ELNS1_11target_archE906ELNS1_3gpuE6ELNS1_3repE0EEENS1_30default_config_static_selectorELNS0_4arch9wavefront6targetE0EEEvT1_.has_recursion, 0
	.set _ZN7rocprim17ROCPRIM_400000_NS6detail17trampoline_kernelINS0_14default_configENS1_27scan_by_key_config_selectorIssEEZZNS1_16scan_by_key_implILNS1_25lookback_scan_determinismE0ELb1ES3_N6thrust23THRUST_200600_302600_NS6detail15normal_iteratorINS9_10device_ptrIsEEEESE_SE_sNS9_4plusIvEENS9_8equal_toIsEEsEE10hipError_tPvRmT2_T3_T4_T5_mT6_T7_P12ihipStream_tbENKUlT_T0_E_clISt17integral_constantIbLb0EESY_IbLb1EEEEDaSU_SV_EUlSU_E_NS1_11comp_targetILNS1_3genE2ELNS1_11target_archE906ELNS1_3gpuE6ELNS1_3repE0EEENS1_30default_config_static_selectorELNS0_4arch9wavefront6targetE0EEEvT1_.has_indirect_call, 0
	.section	.AMDGPU.csdata,"",@progbits
; Kernel info:
; codeLenInByte = 0
; TotalNumSgprs: 0
; NumVgprs: 0
; ScratchSize: 0
; MemoryBound: 0
; FloatMode: 240
; IeeeMode: 1
; LDSByteSize: 0 bytes/workgroup (compile time only)
; SGPRBlocks: 0
; VGPRBlocks: 0
; NumSGPRsForWavesPerEU: 1
; NumVGPRsForWavesPerEU: 1
; NamedBarCnt: 0
; Occupancy: 16
; WaveLimiterHint : 0
; COMPUTE_PGM_RSRC2:SCRATCH_EN: 0
; COMPUTE_PGM_RSRC2:USER_SGPR: 2
; COMPUTE_PGM_RSRC2:TRAP_HANDLER: 0
; COMPUTE_PGM_RSRC2:TGID_X_EN: 1
; COMPUTE_PGM_RSRC2:TGID_Y_EN: 0
; COMPUTE_PGM_RSRC2:TGID_Z_EN: 0
; COMPUTE_PGM_RSRC2:TIDIG_COMP_CNT: 0
	.section	.text._ZN7rocprim17ROCPRIM_400000_NS6detail17trampoline_kernelINS0_14default_configENS1_27scan_by_key_config_selectorIssEEZZNS1_16scan_by_key_implILNS1_25lookback_scan_determinismE0ELb1ES3_N6thrust23THRUST_200600_302600_NS6detail15normal_iteratorINS9_10device_ptrIsEEEESE_SE_sNS9_4plusIvEENS9_8equal_toIsEEsEE10hipError_tPvRmT2_T3_T4_T5_mT6_T7_P12ihipStream_tbENKUlT_T0_E_clISt17integral_constantIbLb0EESY_IbLb1EEEEDaSU_SV_EUlSU_E_NS1_11comp_targetILNS1_3genE10ELNS1_11target_archE1200ELNS1_3gpuE4ELNS1_3repE0EEENS1_30default_config_static_selectorELNS0_4arch9wavefront6targetE0EEEvT1_,"axG",@progbits,_ZN7rocprim17ROCPRIM_400000_NS6detail17trampoline_kernelINS0_14default_configENS1_27scan_by_key_config_selectorIssEEZZNS1_16scan_by_key_implILNS1_25lookback_scan_determinismE0ELb1ES3_N6thrust23THRUST_200600_302600_NS6detail15normal_iteratorINS9_10device_ptrIsEEEESE_SE_sNS9_4plusIvEENS9_8equal_toIsEEsEE10hipError_tPvRmT2_T3_T4_T5_mT6_T7_P12ihipStream_tbENKUlT_T0_E_clISt17integral_constantIbLb0EESY_IbLb1EEEEDaSU_SV_EUlSU_E_NS1_11comp_targetILNS1_3genE10ELNS1_11target_archE1200ELNS1_3gpuE4ELNS1_3repE0EEENS1_30default_config_static_selectorELNS0_4arch9wavefront6targetE0EEEvT1_,comdat
	.protected	_ZN7rocprim17ROCPRIM_400000_NS6detail17trampoline_kernelINS0_14default_configENS1_27scan_by_key_config_selectorIssEEZZNS1_16scan_by_key_implILNS1_25lookback_scan_determinismE0ELb1ES3_N6thrust23THRUST_200600_302600_NS6detail15normal_iteratorINS9_10device_ptrIsEEEESE_SE_sNS9_4plusIvEENS9_8equal_toIsEEsEE10hipError_tPvRmT2_T3_T4_T5_mT6_T7_P12ihipStream_tbENKUlT_T0_E_clISt17integral_constantIbLb0EESY_IbLb1EEEEDaSU_SV_EUlSU_E_NS1_11comp_targetILNS1_3genE10ELNS1_11target_archE1200ELNS1_3gpuE4ELNS1_3repE0EEENS1_30default_config_static_selectorELNS0_4arch9wavefront6targetE0EEEvT1_ ; -- Begin function _ZN7rocprim17ROCPRIM_400000_NS6detail17trampoline_kernelINS0_14default_configENS1_27scan_by_key_config_selectorIssEEZZNS1_16scan_by_key_implILNS1_25lookback_scan_determinismE0ELb1ES3_N6thrust23THRUST_200600_302600_NS6detail15normal_iteratorINS9_10device_ptrIsEEEESE_SE_sNS9_4plusIvEENS9_8equal_toIsEEsEE10hipError_tPvRmT2_T3_T4_T5_mT6_T7_P12ihipStream_tbENKUlT_T0_E_clISt17integral_constantIbLb0EESY_IbLb1EEEEDaSU_SV_EUlSU_E_NS1_11comp_targetILNS1_3genE10ELNS1_11target_archE1200ELNS1_3gpuE4ELNS1_3repE0EEENS1_30default_config_static_selectorELNS0_4arch9wavefront6targetE0EEEvT1_
	.globl	_ZN7rocprim17ROCPRIM_400000_NS6detail17trampoline_kernelINS0_14default_configENS1_27scan_by_key_config_selectorIssEEZZNS1_16scan_by_key_implILNS1_25lookback_scan_determinismE0ELb1ES3_N6thrust23THRUST_200600_302600_NS6detail15normal_iteratorINS9_10device_ptrIsEEEESE_SE_sNS9_4plusIvEENS9_8equal_toIsEEsEE10hipError_tPvRmT2_T3_T4_T5_mT6_T7_P12ihipStream_tbENKUlT_T0_E_clISt17integral_constantIbLb0EESY_IbLb1EEEEDaSU_SV_EUlSU_E_NS1_11comp_targetILNS1_3genE10ELNS1_11target_archE1200ELNS1_3gpuE4ELNS1_3repE0EEENS1_30default_config_static_selectorELNS0_4arch9wavefront6targetE0EEEvT1_
	.p2align	8
	.type	_ZN7rocprim17ROCPRIM_400000_NS6detail17trampoline_kernelINS0_14default_configENS1_27scan_by_key_config_selectorIssEEZZNS1_16scan_by_key_implILNS1_25lookback_scan_determinismE0ELb1ES3_N6thrust23THRUST_200600_302600_NS6detail15normal_iteratorINS9_10device_ptrIsEEEESE_SE_sNS9_4plusIvEENS9_8equal_toIsEEsEE10hipError_tPvRmT2_T3_T4_T5_mT6_T7_P12ihipStream_tbENKUlT_T0_E_clISt17integral_constantIbLb0EESY_IbLb1EEEEDaSU_SV_EUlSU_E_NS1_11comp_targetILNS1_3genE10ELNS1_11target_archE1200ELNS1_3gpuE4ELNS1_3repE0EEENS1_30default_config_static_selectorELNS0_4arch9wavefront6targetE0EEEvT1_,@function
_ZN7rocprim17ROCPRIM_400000_NS6detail17trampoline_kernelINS0_14default_configENS1_27scan_by_key_config_selectorIssEEZZNS1_16scan_by_key_implILNS1_25lookback_scan_determinismE0ELb1ES3_N6thrust23THRUST_200600_302600_NS6detail15normal_iteratorINS9_10device_ptrIsEEEESE_SE_sNS9_4plusIvEENS9_8equal_toIsEEsEE10hipError_tPvRmT2_T3_T4_T5_mT6_T7_P12ihipStream_tbENKUlT_T0_E_clISt17integral_constantIbLb0EESY_IbLb1EEEEDaSU_SV_EUlSU_E_NS1_11comp_targetILNS1_3genE10ELNS1_11target_archE1200ELNS1_3gpuE4ELNS1_3repE0EEENS1_30default_config_static_selectorELNS0_4arch9wavefront6targetE0EEEvT1_: ; @_ZN7rocprim17ROCPRIM_400000_NS6detail17trampoline_kernelINS0_14default_configENS1_27scan_by_key_config_selectorIssEEZZNS1_16scan_by_key_implILNS1_25lookback_scan_determinismE0ELb1ES3_N6thrust23THRUST_200600_302600_NS6detail15normal_iteratorINS9_10device_ptrIsEEEESE_SE_sNS9_4plusIvEENS9_8equal_toIsEEsEE10hipError_tPvRmT2_T3_T4_T5_mT6_T7_P12ihipStream_tbENKUlT_T0_E_clISt17integral_constantIbLb0EESY_IbLb1EEEEDaSU_SV_EUlSU_E_NS1_11comp_targetILNS1_3genE10ELNS1_11target_archE1200ELNS1_3gpuE4ELNS1_3repE0EEENS1_30default_config_static_selectorELNS0_4arch9wavefront6targetE0EEEvT1_
; %bb.0:
	.section	.rodata,"a",@progbits
	.p2align	6, 0x0
	.amdhsa_kernel _ZN7rocprim17ROCPRIM_400000_NS6detail17trampoline_kernelINS0_14default_configENS1_27scan_by_key_config_selectorIssEEZZNS1_16scan_by_key_implILNS1_25lookback_scan_determinismE0ELb1ES3_N6thrust23THRUST_200600_302600_NS6detail15normal_iteratorINS9_10device_ptrIsEEEESE_SE_sNS9_4plusIvEENS9_8equal_toIsEEsEE10hipError_tPvRmT2_T3_T4_T5_mT6_T7_P12ihipStream_tbENKUlT_T0_E_clISt17integral_constantIbLb0EESY_IbLb1EEEEDaSU_SV_EUlSU_E_NS1_11comp_targetILNS1_3genE10ELNS1_11target_archE1200ELNS1_3gpuE4ELNS1_3repE0EEENS1_30default_config_static_selectorELNS0_4arch9wavefront6targetE0EEEvT1_
		.amdhsa_group_segment_fixed_size 0
		.amdhsa_private_segment_fixed_size 0
		.amdhsa_kernarg_size 112
		.amdhsa_user_sgpr_count 2
		.amdhsa_user_sgpr_dispatch_ptr 0
		.amdhsa_user_sgpr_queue_ptr 0
		.amdhsa_user_sgpr_kernarg_segment_ptr 1
		.amdhsa_user_sgpr_dispatch_id 0
		.amdhsa_user_sgpr_kernarg_preload_length 0
		.amdhsa_user_sgpr_kernarg_preload_offset 0
		.amdhsa_user_sgpr_private_segment_size 0
		.amdhsa_wavefront_size32 1
		.amdhsa_uses_dynamic_stack 0
		.amdhsa_enable_private_segment 0
		.amdhsa_system_sgpr_workgroup_id_x 1
		.amdhsa_system_sgpr_workgroup_id_y 0
		.amdhsa_system_sgpr_workgroup_id_z 0
		.amdhsa_system_sgpr_workgroup_info 0
		.amdhsa_system_vgpr_workitem_id 0
		.amdhsa_next_free_vgpr 1
		.amdhsa_next_free_sgpr 1
		.amdhsa_named_barrier_count 0
		.amdhsa_reserve_vcc 0
		.amdhsa_float_round_mode_32 0
		.amdhsa_float_round_mode_16_64 0
		.amdhsa_float_denorm_mode_32 3
		.amdhsa_float_denorm_mode_16_64 3
		.amdhsa_fp16_overflow 0
		.amdhsa_memory_ordered 1
		.amdhsa_forward_progress 1
		.amdhsa_inst_pref_size 0
		.amdhsa_round_robin_scheduling 0
		.amdhsa_exception_fp_ieee_invalid_op 0
		.amdhsa_exception_fp_denorm_src 0
		.amdhsa_exception_fp_ieee_div_zero 0
		.amdhsa_exception_fp_ieee_overflow 0
		.amdhsa_exception_fp_ieee_underflow 0
		.amdhsa_exception_fp_ieee_inexact 0
		.amdhsa_exception_int_div_zero 0
	.end_amdhsa_kernel
	.section	.text._ZN7rocprim17ROCPRIM_400000_NS6detail17trampoline_kernelINS0_14default_configENS1_27scan_by_key_config_selectorIssEEZZNS1_16scan_by_key_implILNS1_25lookback_scan_determinismE0ELb1ES3_N6thrust23THRUST_200600_302600_NS6detail15normal_iteratorINS9_10device_ptrIsEEEESE_SE_sNS9_4plusIvEENS9_8equal_toIsEEsEE10hipError_tPvRmT2_T3_T4_T5_mT6_T7_P12ihipStream_tbENKUlT_T0_E_clISt17integral_constantIbLb0EESY_IbLb1EEEEDaSU_SV_EUlSU_E_NS1_11comp_targetILNS1_3genE10ELNS1_11target_archE1200ELNS1_3gpuE4ELNS1_3repE0EEENS1_30default_config_static_selectorELNS0_4arch9wavefront6targetE0EEEvT1_,"axG",@progbits,_ZN7rocprim17ROCPRIM_400000_NS6detail17trampoline_kernelINS0_14default_configENS1_27scan_by_key_config_selectorIssEEZZNS1_16scan_by_key_implILNS1_25lookback_scan_determinismE0ELb1ES3_N6thrust23THRUST_200600_302600_NS6detail15normal_iteratorINS9_10device_ptrIsEEEESE_SE_sNS9_4plusIvEENS9_8equal_toIsEEsEE10hipError_tPvRmT2_T3_T4_T5_mT6_T7_P12ihipStream_tbENKUlT_T0_E_clISt17integral_constantIbLb0EESY_IbLb1EEEEDaSU_SV_EUlSU_E_NS1_11comp_targetILNS1_3genE10ELNS1_11target_archE1200ELNS1_3gpuE4ELNS1_3repE0EEENS1_30default_config_static_selectorELNS0_4arch9wavefront6targetE0EEEvT1_,comdat
.Lfunc_end674:
	.size	_ZN7rocprim17ROCPRIM_400000_NS6detail17trampoline_kernelINS0_14default_configENS1_27scan_by_key_config_selectorIssEEZZNS1_16scan_by_key_implILNS1_25lookback_scan_determinismE0ELb1ES3_N6thrust23THRUST_200600_302600_NS6detail15normal_iteratorINS9_10device_ptrIsEEEESE_SE_sNS9_4plusIvEENS9_8equal_toIsEEsEE10hipError_tPvRmT2_T3_T4_T5_mT6_T7_P12ihipStream_tbENKUlT_T0_E_clISt17integral_constantIbLb0EESY_IbLb1EEEEDaSU_SV_EUlSU_E_NS1_11comp_targetILNS1_3genE10ELNS1_11target_archE1200ELNS1_3gpuE4ELNS1_3repE0EEENS1_30default_config_static_selectorELNS0_4arch9wavefront6targetE0EEEvT1_, .Lfunc_end674-_ZN7rocprim17ROCPRIM_400000_NS6detail17trampoline_kernelINS0_14default_configENS1_27scan_by_key_config_selectorIssEEZZNS1_16scan_by_key_implILNS1_25lookback_scan_determinismE0ELb1ES3_N6thrust23THRUST_200600_302600_NS6detail15normal_iteratorINS9_10device_ptrIsEEEESE_SE_sNS9_4plusIvEENS9_8equal_toIsEEsEE10hipError_tPvRmT2_T3_T4_T5_mT6_T7_P12ihipStream_tbENKUlT_T0_E_clISt17integral_constantIbLb0EESY_IbLb1EEEEDaSU_SV_EUlSU_E_NS1_11comp_targetILNS1_3genE10ELNS1_11target_archE1200ELNS1_3gpuE4ELNS1_3repE0EEENS1_30default_config_static_selectorELNS0_4arch9wavefront6targetE0EEEvT1_
                                        ; -- End function
	.set _ZN7rocprim17ROCPRIM_400000_NS6detail17trampoline_kernelINS0_14default_configENS1_27scan_by_key_config_selectorIssEEZZNS1_16scan_by_key_implILNS1_25lookback_scan_determinismE0ELb1ES3_N6thrust23THRUST_200600_302600_NS6detail15normal_iteratorINS9_10device_ptrIsEEEESE_SE_sNS9_4plusIvEENS9_8equal_toIsEEsEE10hipError_tPvRmT2_T3_T4_T5_mT6_T7_P12ihipStream_tbENKUlT_T0_E_clISt17integral_constantIbLb0EESY_IbLb1EEEEDaSU_SV_EUlSU_E_NS1_11comp_targetILNS1_3genE10ELNS1_11target_archE1200ELNS1_3gpuE4ELNS1_3repE0EEENS1_30default_config_static_selectorELNS0_4arch9wavefront6targetE0EEEvT1_.num_vgpr, 0
	.set _ZN7rocprim17ROCPRIM_400000_NS6detail17trampoline_kernelINS0_14default_configENS1_27scan_by_key_config_selectorIssEEZZNS1_16scan_by_key_implILNS1_25lookback_scan_determinismE0ELb1ES3_N6thrust23THRUST_200600_302600_NS6detail15normal_iteratorINS9_10device_ptrIsEEEESE_SE_sNS9_4plusIvEENS9_8equal_toIsEEsEE10hipError_tPvRmT2_T3_T4_T5_mT6_T7_P12ihipStream_tbENKUlT_T0_E_clISt17integral_constantIbLb0EESY_IbLb1EEEEDaSU_SV_EUlSU_E_NS1_11comp_targetILNS1_3genE10ELNS1_11target_archE1200ELNS1_3gpuE4ELNS1_3repE0EEENS1_30default_config_static_selectorELNS0_4arch9wavefront6targetE0EEEvT1_.num_agpr, 0
	.set _ZN7rocprim17ROCPRIM_400000_NS6detail17trampoline_kernelINS0_14default_configENS1_27scan_by_key_config_selectorIssEEZZNS1_16scan_by_key_implILNS1_25lookback_scan_determinismE0ELb1ES3_N6thrust23THRUST_200600_302600_NS6detail15normal_iteratorINS9_10device_ptrIsEEEESE_SE_sNS9_4plusIvEENS9_8equal_toIsEEsEE10hipError_tPvRmT2_T3_T4_T5_mT6_T7_P12ihipStream_tbENKUlT_T0_E_clISt17integral_constantIbLb0EESY_IbLb1EEEEDaSU_SV_EUlSU_E_NS1_11comp_targetILNS1_3genE10ELNS1_11target_archE1200ELNS1_3gpuE4ELNS1_3repE0EEENS1_30default_config_static_selectorELNS0_4arch9wavefront6targetE0EEEvT1_.numbered_sgpr, 0
	.set _ZN7rocprim17ROCPRIM_400000_NS6detail17trampoline_kernelINS0_14default_configENS1_27scan_by_key_config_selectorIssEEZZNS1_16scan_by_key_implILNS1_25lookback_scan_determinismE0ELb1ES3_N6thrust23THRUST_200600_302600_NS6detail15normal_iteratorINS9_10device_ptrIsEEEESE_SE_sNS9_4plusIvEENS9_8equal_toIsEEsEE10hipError_tPvRmT2_T3_T4_T5_mT6_T7_P12ihipStream_tbENKUlT_T0_E_clISt17integral_constantIbLb0EESY_IbLb1EEEEDaSU_SV_EUlSU_E_NS1_11comp_targetILNS1_3genE10ELNS1_11target_archE1200ELNS1_3gpuE4ELNS1_3repE0EEENS1_30default_config_static_selectorELNS0_4arch9wavefront6targetE0EEEvT1_.num_named_barrier, 0
	.set _ZN7rocprim17ROCPRIM_400000_NS6detail17trampoline_kernelINS0_14default_configENS1_27scan_by_key_config_selectorIssEEZZNS1_16scan_by_key_implILNS1_25lookback_scan_determinismE0ELb1ES3_N6thrust23THRUST_200600_302600_NS6detail15normal_iteratorINS9_10device_ptrIsEEEESE_SE_sNS9_4plusIvEENS9_8equal_toIsEEsEE10hipError_tPvRmT2_T3_T4_T5_mT6_T7_P12ihipStream_tbENKUlT_T0_E_clISt17integral_constantIbLb0EESY_IbLb1EEEEDaSU_SV_EUlSU_E_NS1_11comp_targetILNS1_3genE10ELNS1_11target_archE1200ELNS1_3gpuE4ELNS1_3repE0EEENS1_30default_config_static_selectorELNS0_4arch9wavefront6targetE0EEEvT1_.private_seg_size, 0
	.set _ZN7rocprim17ROCPRIM_400000_NS6detail17trampoline_kernelINS0_14default_configENS1_27scan_by_key_config_selectorIssEEZZNS1_16scan_by_key_implILNS1_25lookback_scan_determinismE0ELb1ES3_N6thrust23THRUST_200600_302600_NS6detail15normal_iteratorINS9_10device_ptrIsEEEESE_SE_sNS9_4plusIvEENS9_8equal_toIsEEsEE10hipError_tPvRmT2_T3_T4_T5_mT6_T7_P12ihipStream_tbENKUlT_T0_E_clISt17integral_constantIbLb0EESY_IbLb1EEEEDaSU_SV_EUlSU_E_NS1_11comp_targetILNS1_3genE10ELNS1_11target_archE1200ELNS1_3gpuE4ELNS1_3repE0EEENS1_30default_config_static_selectorELNS0_4arch9wavefront6targetE0EEEvT1_.uses_vcc, 0
	.set _ZN7rocprim17ROCPRIM_400000_NS6detail17trampoline_kernelINS0_14default_configENS1_27scan_by_key_config_selectorIssEEZZNS1_16scan_by_key_implILNS1_25lookback_scan_determinismE0ELb1ES3_N6thrust23THRUST_200600_302600_NS6detail15normal_iteratorINS9_10device_ptrIsEEEESE_SE_sNS9_4plusIvEENS9_8equal_toIsEEsEE10hipError_tPvRmT2_T3_T4_T5_mT6_T7_P12ihipStream_tbENKUlT_T0_E_clISt17integral_constantIbLb0EESY_IbLb1EEEEDaSU_SV_EUlSU_E_NS1_11comp_targetILNS1_3genE10ELNS1_11target_archE1200ELNS1_3gpuE4ELNS1_3repE0EEENS1_30default_config_static_selectorELNS0_4arch9wavefront6targetE0EEEvT1_.uses_flat_scratch, 0
	.set _ZN7rocprim17ROCPRIM_400000_NS6detail17trampoline_kernelINS0_14default_configENS1_27scan_by_key_config_selectorIssEEZZNS1_16scan_by_key_implILNS1_25lookback_scan_determinismE0ELb1ES3_N6thrust23THRUST_200600_302600_NS6detail15normal_iteratorINS9_10device_ptrIsEEEESE_SE_sNS9_4plusIvEENS9_8equal_toIsEEsEE10hipError_tPvRmT2_T3_T4_T5_mT6_T7_P12ihipStream_tbENKUlT_T0_E_clISt17integral_constantIbLb0EESY_IbLb1EEEEDaSU_SV_EUlSU_E_NS1_11comp_targetILNS1_3genE10ELNS1_11target_archE1200ELNS1_3gpuE4ELNS1_3repE0EEENS1_30default_config_static_selectorELNS0_4arch9wavefront6targetE0EEEvT1_.has_dyn_sized_stack, 0
	.set _ZN7rocprim17ROCPRIM_400000_NS6detail17trampoline_kernelINS0_14default_configENS1_27scan_by_key_config_selectorIssEEZZNS1_16scan_by_key_implILNS1_25lookback_scan_determinismE0ELb1ES3_N6thrust23THRUST_200600_302600_NS6detail15normal_iteratorINS9_10device_ptrIsEEEESE_SE_sNS9_4plusIvEENS9_8equal_toIsEEsEE10hipError_tPvRmT2_T3_T4_T5_mT6_T7_P12ihipStream_tbENKUlT_T0_E_clISt17integral_constantIbLb0EESY_IbLb1EEEEDaSU_SV_EUlSU_E_NS1_11comp_targetILNS1_3genE10ELNS1_11target_archE1200ELNS1_3gpuE4ELNS1_3repE0EEENS1_30default_config_static_selectorELNS0_4arch9wavefront6targetE0EEEvT1_.has_recursion, 0
	.set _ZN7rocprim17ROCPRIM_400000_NS6detail17trampoline_kernelINS0_14default_configENS1_27scan_by_key_config_selectorIssEEZZNS1_16scan_by_key_implILNS1_25lookback_scan_determinismE0ELb1ES3_N6thrust23THRUST_200600_302600_NS6detail15normal_iteratorINS9_10device_ptrIsEEEESE_SE_sNS9_4plusIvEENS9_8equal_toIsEEsEE10hipError_tPvRmT2_T3_T4_T5_mT6_T7_P12ihipStream_tbENKUlT_T0_E_clISt17integral_constantIbLb0EESY_IbLb1EEEEDaSU_SV_EUlSU_E_NS1_11comp_targetILNS1_3genE10ELNS1_11target_archE1200ELNS1_3gpuE4ELNS1_3repE0EEENS1_30default_config_static_selectorELNS0_4arch9wavefront6targetE0EEEvT1_.has_indirect_call, 0
	.section	.AMDGPU.csdata,"",@progbits
; Kernel info:
; codeLenInByte = 0
; TotalNumSgprs: 0
; NumVgprs: 0
; ScratchSize: 0
; MemoryBound: 0
; FloatMode: 240
; IeeeMode: 1
; LDSByteSize: 0 bytes/workgroup (compile time only)
; SGPRBlocks: 0
; VGPRBlocks: 0
; NumSGPRsForWavesPerEU: 1
; NumVGPRsForWavesPerEU: 1
; NamedBarCnt: 0
; Occupancy: 16
; WaveLimiterHint : 0
; COMPUTE_PGM_RSRC2:SCRATCH_EN: 0
; COMPUTE_PGM_RSRC2:USER_SGPR: 2
; COMPUTE_PGM_RSRC2:TRAP_HANDLER: 0
; COMPUTE_PGM_RSRC2:TGID_X_EN: 1
; COMPUTE_PGM_RSRC2:TGID_Y_EN: 0
; COMPUTE_PGM_RSRC2:TGID_Z_EN: 0
; COMPUTE_PGM_RSRC2:TIDIG_COMP_CNT: 0
	.section	.text._ZN7rocprim17ROCPRIM_400000_NS6detail17trampoline_kernelINS0_14default_configENS1_27scan_by_key_config_selectorIssEEZZNS1_16scan_by_key_implILNS1_25lookback_scan_determinismE0ELb1ES3_N6thrust23THRUST_200600_302600_NS6detail15normal_iteratorINS9_10device_ptrIsEEEESE_SE_sNS9_4plusIvEENS9_8equal_toIsEEsEE10hipError_tPvRmT2_T3_T4_T5_mT6_T7_P12ihipStream_tbENKUlT_T0_E_clISt17integral_constantIbLb0EESY_IbLb1EEEEDaSU_SV_EUlSU_E_NS1_11comp_targetILNS1_3genE9ELNS1_11target_archE1100ELNS1_3gpuE3ELNS1_3repE0EEENS1_30default_config_static_selectorELNS0_4arch9wavefront6targetE0EEEvT1_,"axG",@progbits,_ZN7rocprim17ROCPRIM_400000_NS6detail17trampoline_kernelINS0_14default_configENS1_27scan_by_key_config_selectorIssEEZZNS1_16scan_by_key_implILNS1_25lookback_scan_determinismE0ELb1ES3_N6thrust23THRUST_200600_302600_NS6detail15normal_iteratorINS9_10device_ptrIsEEEESE_SE_sNS9_4plusIvEENS9_8equal_toIsEEsEE10hipError_tPvRmT2_T3_T4_T5_mT6_T7_P12ihipStream_tbENKUlT_T0_E_clISt17integral_constantIbLb0EESY_IbLb1EEEEDaSU_SV_EUlSU_E_NS1_11comp_targetILNS1_3genE9ELNS1_11target_archE1100ELNS1_3gpuE3ELNS1_3repE0EEENS1_30default_config_static_selectorELNS0_4arch9wavefront6targetE0EEEvT1_,comdat
	.protected	_ZN7rocprim17ROCPRIM_400000_NS6detail17trampoline_kernelINS0_14default_configENS1_27scan_by_key_config_selectorIssEEZZNS1_16scan_by_key_implILNS1_25lookback_scan_determinismE0ELb1ES3_N6thrust23THRUST_200600_302600_NS6detail15normal_iteratorINS9_10device_ptrIsEEEESE_SE_sNS9_4plusIvEENS9_8equal_toIsEEsEE10hipError_tPvRmT2_T3_T4_T5_mT6_T7_P12ihipStream_tbENKUlT_T0_E_clISt17integral_constantIbLb0EESY_IbLb1EEEEDaSU_SV_EUlSU_E_NS1_11comp_targetILNS1_3genE9ELNS1_11target_archE1100ELNS1_3gpuE3ELNS1_3repE0EEENS1_30default_config_static_selectorELNS0_4arch9wavefront6targetE0EEEvT1_ ; -- Begin function _ZN7rocprim17ROCPRIM_400000_NS6detail17trampoline_kernelINS0_14default_configENS1_27scan_by_key_config_selectorIssEEZZNS1_16scan_by_key_implILNS1_25lookback_scan_determinismE0ELb1ES3_N6thrust23THRUST_200600_302600_NS6detail15normal_iteratorINS9_10device_ptrIsEEEESE_SE_sNS9_4plusIvEENS9_8equal_toIsEEsEE10hipError_tPvRmT2_T3_T4_T5_mT6_T7_P12ihipStream_tbENKUlT_T0_E_clISt17integral_constantIbLb0EESY_IbLb1EEEEDaSU_SV_EUlSU_E_NS1_11comp_targetILNS1_3genE9ELNS1_11target_archE1100ELNS1_3gpuE3ELNS1_3repE0EEENS1_30default_config_static_selectorELNS0_4arch9wavefront6targetE0EEEvT1_
	.globl	_ZN7rocprim17ROCPRIM_400000_NS6detail17trampoline_kernelINS0_14default_configENS1_27scan_by_key_config_selectorIssEEZZNS1_16scan_by_key_implILNS1_25lookback_scan_determinismE0ELb1ES3_N6thrust23THRUST_200600_302600_NS6detail15normal_iteratorINS9_10device_ptrIsEEEESE_SE_sNS9_4plusIvEENS9_8equal_toIsEEsEE10hipError_tPvRmT2_T3_T4_T5_mT6_T7_P12ihipStream_tbENKUlT_T0_E_clISt17integral_constantIbLb0EESY_IbLb1EEEEDaSU_SV_EUlSU_E_NS1_11comp_targetILNS1_3genE9ELNS1_11target_archE1100ELNS1_3gpuE3ELNS1_3repE0EEENS1_30default_config_static_selectorELNS0_4arch9wavefront6targetE0EEEvT1_
	.p2align	8
	.type	_ZN7rocprim17ROCPRIM_400000_NS6detail17trampoline_kernelINS0_14default_configENS1_27scan_by_key_config_selectorIssEEZZNS1_16scan_by_key_implILNS1_25lookback_scan_determinismE0ELb1ES3_N6thrust23THRUST_200600_302600_NS6detail15normal_iteratorINS9_10device_ptrIsEEEESE_SE_sNS9_4plusIvEENS9_8equal_toIsEEsEE10hipError_tPvRmT2_T3_T4_T5_mT6_T7_P12ihipStream_tbENKUlT_T0_E_clISt17integral_constantIbLb0EESY_IbLb1EEEEDaSU_SV_EUlSU_E_NS1_11comp_targetILNS1_3genE9ELNS1_11target_archE1100ELNS1_3gpuE3ELNS1_3repE0EEENS1_30default_config_static_selectorELNS0_4arch9wavefront6targetE0EEEvT1_,@function
_ZN7rocprim17ROCPRIM_400000_NS6detail17trampoline_kernelINS0_14default_configENS1_27scan_by_key_config_selectorIssEEZZNS1_16scan_by_key_implILNS1_25lookback_scan_determinismE0ELb1ES3_N6thrust23THRUST_200600_302600_NS6detail15normal_iteratorINS9_10device_ptrIsEEEESE_SE_sNS9_4plusIvEENS9_8equal_toIsEEsEE10hipError_tPvRmT2_T3_T4_T5_mT6_T7_P12ihipStream_tbENKUlT_T0_E_clISt17integral_constantIbLb0EESY_IbLb1EEEEDaSU_SV_EUlSU_E_NS1_11comp_targetILNS1_3genE9ELNS1_11target_archE1100ELNS1_3gpuE3ELNS1_3repE0EEENS1_30default_config_static_selectorELNS0_4arch9wavefront6targetE0EEEvT1_: ; @_ZN7rocprim17ROCPRIM_400000_NS6detail17trampoline_kernelINS0_14default_configENS1_27scan_by_key_config_selectorIssEEZZNS1_16scan_by_key_implILNS1_25lookback_scan_determinismE0ELb1ES3_N6thrust23THRUST_200600_302600_NS6detail15normal_iteratorINS9_10device_ptrIsEEEESE_SE_sNS9_4plusIvEENS9_8equal_toIsEEsEE10hipError_tPvRmT2_T3_T4_T5_mT6_T7_P12ihipStream_tbENKUlT_T0_E_clISt17integral_constantIbLb0EESY_IbLb1EEEEDaSU_SV_EUlSU_E_NS1_11comp_targetILNS1_3genE9ELNS1_11target_archE1100ELNS1_3gpuE3ELNS1_3repE0EEENS1_30default_config_static_selectorELNS0_4arch9wavefront6targetE0EEEvT1_
; %bb.0:
	.section	.rodata,"a",@progbits
	.p2align	6, 0x0
	.amdhsa_kernel _ZN7rocprim17ROCPRIM_400000_NS6detail17trampoline_kernelINS0_14default_configENS1_27scan_by_key_config_selectorIssEEZZNS1_16scan_by_key_implILNS1_25lookback_scan_determinismE0ELb1ES3_N6thrust23THRUST_200600_302600_NS6detail15normal_iteratorINS9_10device_ptrIsEEEESE_SE_sNS9_4plusIvEENS9_8equal_toIsEEsEE10hipError_tPvRmT2_T3_T4_T5_mT6_T7_P12ihipStream_tbENKUlT_T0_E_clISt17integral_constantIbLb0EESY_IbLb1EEEEDaSU_SV_EUlSU_E_NS1_11comp_targetILNS1_3genE9ELNS1_11target_archE1100ELNS1_3gpuE3ELNS1_3repE0EEENS1_30default_config_static_selectorELNS0_4arch9wavefront6targetE0EEEvT1_
		.amdhsa_group_segment_fixed_size 0
		.amdhsa_private_segment_fixed_size 0
		.amdhsa_kernarg_size 112
		.amdhsa_user_sgpr_count 2
		.amdhsa_user_sgpr_dispatch_ptr 0
		.amdhsa_user_sgpr_queue_ptr 0
		.amdhsa_user_sgpr_kernarg_segment_ptr 1
		.amdhsa_user_sgpr_dispatch_id 0
		.amdhsa_user_sgpr_kernarg_preload_length 0
		.amdhsa_user_sgpr_kernarg_preload_offset 0
		.amdhsa_user_sgpr_private_segment_size 0
		.amdhsa_wavefront_size32 1
		.amdhsa_uses_dynamic_stack 0
		.amdhsa_enable_private_segment 0
		.amdhsa_system_sgpr_workgroup_id_x 1
		.amdhsa_system_sgpr_workgroup_id_y 0
		.amdhsa_system_sgpr_workgroup_id_z 0
		.amdhsa_system_sgpr_workgroup_info 0
		.amdhsa_system_vgpr_workitem_id 0
		.amdhsa_next_free_vgpr 1
		.amdhsa_next_free_sgpr 1
		.amdhsa_named_barrier_count 0
		.amdhsa_reserve_vcc 0
		.amdhsa_float_round_mode_32 0
		.amdhsa_float_round_mode_16_64 0
		.amdhsa_float_denorm_mode_32 3
		.amdhsa_float_denorm_mode_16_64 3
		.amdhsa_fp16_overflow 0
		.amdhsa_memory_ordered 1
		.amdhsa_forward_progress 1
		.amdhsa_inst_pref_size 0
		.amdhsa_round_robin_scheduling 0
		.amdhsa_exception_fp_ieee_invalid_op 0
		.amdhsa_exception_fp_denorm_src 0
		.amdhsa_exception_fp_ieee_div_zero 0
		.amdhsa_exception_fp_ieee_overflow 0
		.amdhsa_exception_fp_ieee_underflow 0
		.amdhsa_exception_fp_ieee_inexact 0
		.amdhsa_exception_int_div_zero 0
	.end_amdhsa_kernel
	.section	.text._ZN7rocprim17ROCPRIM_400000_NS6detail17trampoline_kernelINS0_14default_configENS1_27scan_by_key_config_selectorIssEEZZNS1_16scan_by_key_implILNS1_25lookback_scan_determinismE0ELb1ES3_N6thrust23THRUST_200600_302600_NS6detail15normal_iteratorINS9_10device_ptrIsEEEESE_SE_sNS9_4plusIvEENS9_8equal_toIsEEsEE10hipError_tPvRmT2_T3_T4_T5_mT6_T7_P12ihipStream_tbENKUlT_T0_E_clISt17integral_constantIbLb0EESY_IbLb1EEEEDaSU_SV_EUlSU_E_NS1_11comp_targetILNS1_3genE9ELNS1_11target_archE1100ELNS1_3gpuE3ELNS1_3repE0EEENS1_30default_config_static_selectorELNS0_4arch9wavefront6targetE0EEEvT1_,"axG",@progbits,_ZN7rocprim17ROCPRIM_400000_NS6detail17trampoline_kernelINS0_14default_configENS1_27scan_by_key_config_selectorIssEEZZNS1_16scan_by_key_implILNS1_25lookback_scan_determinismE0ELb1ES3_N6thrust23THRUST_200600_302600_NS6detail15normal_iteratorINS9_10device_ptrIsEEEESE_SE_sNS9_4plusIvEENS9_8equal_toIsEEsEE10hipError_tPvRmT2_T3_T4_T5_mT6_T7_P12ihipStream_tbENKUlT_T0_E_clISt17integral_constantIbLb0EESY_IbLb1EEEEDaSU_SV_EUlSU_E_NS1_11comp_targetILNS1_3genE9ELNS1_11target_archE1100ELNS1_3gpuE3ELNS1_3repE0EEENS1_30default_config_static_selectorELNS0_4arch9wavefront6targetE0EEEvT1_,comdat
.Lfunc_end675:
	.size	_ZN7rocprim17ROCPRIM_400000_NS6detail17trampoline_kernelINS0_14default_configENS1_27scan_by_key_config_selectorIssEEZZNS1_16scan_by_key_implILNS1_25lookback_scan_determinismE0ELb1ES3_N6thrust23THRUST_200600_302600_NS6detail15normal_iteratorINS9_10device_ptrIsEEEESE_SE_sNS9_4plusIvEENS9_8equal_toIsEEsEE10hipError_tPvRmT2_T3_T4_T5_mT6_T7_P12ihipStream_tbENKUlT_T0_E_clISt17integral_constantIbLb0EESY_IbLb1EEEEDaSU_SV_EUlSU_E_NS1_11comp_targetILNS1_3genE9ELNS1_11target_archE1100ELNS1_3gpuE3ELNS1_3repE0EEENS1_30default_config_static_selectorELNS0_4arch9wavefront6targetE0EEEvT1_, .Lfunc_end675-_ZN7rocprim17ROCPRIM_400000_NS6detail17trampoline_kernelINS0_14default_configENS1_27scan_by_key_config_selectorIssEEZZNS1_16scan_by_key_implILNS1_25lookback_scan_determinismE0ELb1ES3_N6thrust23THRUST_200600_302600_NS6detail15normal_iteratorINS9_10device_ptrIsEEEESE_SE_sNS9_4plusIvEENS9_8equal_toIsEEsEE10hipError_tPvRmT2_T3_T4_T5_mT6_T7_P12ihipStream_tbENKUlT_T0_E_clISt17integral_constantIbLb0EESY_IbLb1EEEEDaSU_SV_EUlSU_E_NS1_11comp_targetILNS1_3genE9ELNS1_11target_archE1100ELNS1_3gpuE3ELNS1_3repE0EEENS1_30default_config_static_selectorELNS0_4arch9wavefront6targetE0EEEvT1_
                                        ; -- End function
	.set _ZN7rocprim17ROCPRIM_400000_NS6detail17trampoline_kernelINS0_14default_configENS1_27scan_by_key_config_selectorIssEEZZNS1_16scan_by_key_implILNS1_25lookback_scan_determinismE0ELb1ES3_N6thrust23THRUST_200600_302600_NS6detail15normal_iteratorINS9_10device_ptrIsEEEESE_SE_sNS9_4plusIvEENS9_8equal_toIsEEsEE10hipError_tPvRmT2_T3_T4_T5_mT6_T7_P12ihipStream_tbENKUlT_T0_E_clISt17integral_constantIbLb0EESY_IbLb1EEEEDaSU_SV_EUlSU_E_NS1_11comp_targetILNS1_3genE9ELNS1_11target_archE1100ELNS1_3gpuE3ELNS1_3repE0EEENS1_30default_config_static_selectorELNS0_4arch9wavefront6targetE0EEEvT1_.num_vgpr, 0
	.set _ZN7rocprim17ROCPRIM_400000_NS6detail17trampoline_kernelINS0_14default_configENS1_27scan_by_key_config_selectorIssEEZZNS1_16scan_by_key_implILNS1_25lookback_scan_determinismE0ELb1ES3_N6thrust23THRUST_200600_302600_NS6detail15normal_iteratorINS9_10device_ptrIsEEEESE_SE_sNS9_4plusIvEENS9_8equal_toIsEEsEE10hipError_tPvRmT2_T3_T4_T5_mT6_T7_P12ihipStream_tbENKUlT_T0_E_clISt17integral_constantIbLb0EESY_IbLb1EEEEDaSU_SV_EUlSU_E_NS1_11comp_targetILNS1_3genE9ELNS1_11target_archE1100ELNS1_3gpuE3ELNS1_3repE0EEENS1_30default_config_static_selectorELNS0_4arch9wavefront6targetE0EEEvT1_.num_agpr, 0
	.set _ZN7rocprim17ROCPRIM_400000_NS6detail17trampoline_kernelINS0_14default_configENS1_27scan_by_key_config_selectorIssEEZZNS1_16scan_by_key_implILNS1_25lookback_scan_determinismE0ELb1ES3_N6thrust23THRUST_200600_302600_NS6detail15normal_iteratorINS9_10device_ptrIsEEEESE_SE_sNS9_4plusIvEENS9_8equal_toIsEEsEE10hipError_tPvRmT2_T3_T4_T5_mT6_T7_P12ihipStream_tbENKUlT_T0_E_clISt17integral_constantIbLb0EESY_IbLb1EEEEDaSU_SV_EUlSU_E_NS1_11comp_targetILNS1_3genE9ELNS1_11target_archE1100ELNS1_3gpuE3ELNS1_3repE0EEENS1_30default_config_static_selectorELNS0_4arch9wavefront6targetE0EEEvT1_.numbered_sgpr, 0
	.set _ZN7rocprim17ROCPRIM_400000_NS6detail17trampoline_kernelINS0_14default_configENS1_27scan_by_key_config_selectorIssEEZZNS1_16scan_by_key_implILNS1_25lookback_scan_determinismE0ELb1ES3_N6thrust23THRUST_200600_302600_NS6detail15normal_iteratorINS9_10device_ptrIsEEEESE_SE_sNS9_4plusIvEENS9_8equal_toIsEEsEE10hipError_tPvRmT2_T3_T4_T5_mT6_T7_P12ihipStream_tbENKUlT_T0_E_clISt17integral_constantIbLb0EESY_IbLb1EEEEDaSU_SV_EUlSU_E_NS1_11comp_targetILNS1_3genE9ELNS1_11target_archE1100ELNS1_3gpuE3ELNS1_3repE0EEENS1_30default_config_static_selectorELNS0_4arch9wavefront6targetE0EEEvT1_.num_named_barrier, 0
	.set _ZN7rocprim17ROCPRIM_400000_NS6detail17trampoline_kernelINS0_14default_configENS1_27scan_by_key_config_selectorIssEEZZNS1_16scan_by_key_implILNS1_25lookback_scan_determinismE0ELb1ES3_N6thrust23THRUST_200600_302600_NS6detail15normal_iteratorINS9_10device_ptrIsEEEESE_SE_sNS9_4plusIvEENS9_8equal_toIsEEsEE10hipError_tPvRmT2_T3_T4_T5_mT6_T7_P12ihipStream_tbENKUlT_T0_E_clISt17integral_constantIbLb0EESY_IbLb1EEEEDaSU_SV_EUlSU_E_NS1_11comp_targetILNS1_3genE9ELNS1_11target_archE1100ELNS1_3gpuE3ELNS1_3repE0EEENS1_30default_config_static_selectorELNS0_4arch9wavefront6targetE0EEEvT1_.private_seg_size, 0
	.set _ZN7rocprim17ROCPRIM_400000_NS6detail17trampoline_kernelINS0_14default_configENS1_27scan_by_key_config_selectorIssEEZZNS1_16scan_by_key_implILNS1_25lookback_scan_determinismE0ELb1ES3_N6thrust23THRUST_200600_302600_NS6detail15normal_iteratorINS9_10device_ptrIsEEEESE_SE_sNS9_4plusIvEENS9_8equal_toIsEEsEE10hipError_tPvRmT2_T3_T4_T5_mT6_T7_P12ihipStream_tbENKUlT_T0_E_clISt17integral_constantIbLb0EESY_IbLb1EEEEDaSU_SV_EUlSU_E_NS1_11comp_targetILNS1_3genE9ELNS1_11target_archE1100ELNS1_3gpuE3ELNS1_3repE0EEENS1_30default_config_static_selectorELNS0_4arch9wavefront6targetE0EEEvT1_.uses_vcc, 0
	.set _ZN7rocprim17ROCPRIM_400000_NS6detail17trampoline_kernelINS0_14default_configENS1_27scan_by_key_config_selectorIssEEZZNS1_16scan_by_key_implILNS1_25lookback_scan_determinismE0ELb1ES3_N6thrust23THRUST_200600_302600_NS6detail15normal_iteratorINS9_10device_ptrIsEEEESE_SE_sNS9_4plusIvEENS9_8equal_toIsEEsEE10hipError_tPvRmT2_T3_T4_T5_mT6_T7_P12ihipStream_tbENKUlT_T0_E_clISt17integral_constantIbLb0EESY_IbLb1EEEEDaSU_SV_EUlSU_E_NS1_11comp_targetILNS1_3genE9ELNS1_11target_archE1100ELNS1_3gpuE3ELNS1_3repE0EEENS1_30default_config_static_selectorELNS0_4arch9wavefront6targetE0EEEvT1_.uses_flat_scratch, 0
	.set _ZN7rocprim17ROCPRIM_400000_NS6detail17trampoline_kernelINS0_14default_configENS1_27scan_by_key_config_selectorIssEEZZNS1_16scan_by_key_implILNS1_25lookback_scan_determinismE0ELb1ES3_N6thrust23THRUST_200600_302600_NS6detail15normal_iteratorINS9_10device_ptrIsEEEESE_SE_sNS9_4plusIvEENS9_8equal_toIsEEsEE10hipError_tPvRmT2_T3_T4_T5_mT6_T7_P12ihipStream_tbENKUlT_T0_E_clISt17integral_constantIbLb0EESY_IbLb1EEEEDaSU_SV_EUlSU_E_NS1_11comp_targetILNS1_3genE9ELNS1_11target_archE1100ELNS1_3gpuE3ELNS1_3repE0EEENS1_30default_config_static_selectorELNS0_4arch9wavefront6targetE0EEEvT1_.has_dyn_sized_stack, 0
	.set _ZN7rocprim17ROCPRIM_400000_NS6detail17trampoline_kernelINS0_14default_configENS1_27scan_by_key_config_selectorIssEEZZNS1_16scan_by_key_implILNS1_25lookback_scan_determinismE0ELb1ES3_N6thrust23THRUST_200600_302600_NS6detail15normal_iteratorINS9_10device_ptrIsEEEESE_SE_sNS9_4plusIvEENS9_8equal_toIsEEsEE10hipError_tPvRmT2_T3_T4_T5_mT6_T7_P12ihipStream_tbENKUlT_T0_E_clISt17integral_constantIbLb0EESY_IbLb1EEEEDaSU_SV_EUlSU_E_NS1_11comp_targetILNS1_3genE9ELNS1_11target_archE1100ELNS1_3gpuE3ELNS1_3repE0EEENS1_30default_config_static_selectorELNS0_4arch9wavefront6targetE0EEEvT1_.has_recursion, 0
	.set _ZN7rocprim17ROCPRIM_400000_NS6detail17trampoline_kernelINS0_14default_configENS1_27scan_by_key_config_selectorIssEEZZNS1_16scan_by_key_implILNS1_25lookback_scan_determinismE0ELb1ES3_N6thrust23THRUST_200600_302600_NS6detail15normal_iteratorINS9_10device_ptrIsEEEESE_SE_sNS9_4plusIvEENS9_8equal_toIsEEsEE10hipError_tPvRmT2_T3_T4_T5_mT6_T7_P12ihipStream_tbENKUlT_T0_E_clISt17integral_constantIbLb0EESY_IbLb1EEEEDaSU_SV_EUlSU_E_NS1_11comp_targetILNS1_3genE9ELNS1_11target_archE1100ELNS1_3gpuE3ELNS1_3repE0EEENS1_30default_config_static_selectorELNS0_4arch9wavefront6targetE0EEEvT1_.has_indirect_call, 0
	.section	.AMDGPU.csdata,"",@progbits
; Kernel info:
; codeLenInByte = 0
; TotalNumSgprs: 0
; NumVgprs: 0
; ScratchSize: 0
; MemoryBound: 0
; FloatMode: 240
; IeeeMode: 1
; LDSByteSize: 0 bytes/workgroup (compile time only)
; SGPRBlocks: 0
; VGPRBlocks: 0
; NumSGPRsForWavesPerEU: 1
; NumVGPRsForWavesPerEU: 1
; NamedBarCnt: 0
; Occupancy: 16
; WaveLimiterHint : 0
; COMPUTE_PGM_RSRC2:SCRATCH_EN: 0
; COMPUTE_PGM_RSRC2:USER_SGPR: 2
; COMPUTE_PGM_RSRC2:TRAP_HANDLER: 0
; COMPUTE_PGM_RSRC2:TGID_X_EN: 1
; COMPUTE_PGM_RSRC2:TGID_Y_EN: 0
; COMPUTE_PGM_RSRC2:TGID_Z_EN: 0
; COMPUTE_PGM_RSRC2:TIDIG_COMP_CNT: 0
	.section	.text._ZN7rocprim17ROCPRIM_400000_NS6detail17trampoline_kernelINS0_14default_configENS1_27scan_by_key_config_selectorIssEEZZNS1_16scan_by_key_implILNS1_25lookback_scan_determinismE0ELb1ES3_N6thrust23THRUST_200600_302600_NS6detail15normal_iteratorINS9_10device_ptrIsEEEESE_SE_sNS9_4plusIvEENS9_8equal_toIsEEsEE10hipError_tPvRmT2_T3_T4_T5_mT6_T7_P12ihipStream_tbENKUlT_T0_E_clISt17integral_constantIbLb0EESY_IbLb1EEEEDaSU_SV_EUlSU_E_NS1_11comp_targetILNS1_3genE8ELNS1_11target_archE1030ELNS1_3gpuE2ELNS1_3repE0EEENS1_30default_config_static_selectorELNS0_4arch9wavefront6targetE0EEEvT1_,"axG",@progbits,_ZN7rocprim17ROCPRIM_400000_NS6detail17trampoline_kernelINS0_14default_configENS1_27scan_by_key_config_selectorIssEEZZNS1_16scan_by_key_implILNS1_25lookback_scan_determinismE0ELb1ES3_N6thrust23THRUST_200600_302600_NS6detail15normal_iteratorINS9_10device_ptrIsEEEESE_SE_sNS9_4plusIvEENS9_8equal_toIsEEsEE10hipError_tPvRmT2_T3_T4_T5_mT6_T7_P12ihipStream_tbENKUlT_T0_E_clISt17integral_constantIbLb0EESY_IbLb1EEEEDaSU_SV_EUlSU_E_NS1_11comp_targetILNS1_3genE8ELNS1_11target_archE1030ELNS1_3gpuE2ELNS1_3repE0EEENS1_30default_config_static_selectorELNS0_4arch9wavefront6targetE0EEEvT1_,comdat
	.protected	_ZN7rocprim17ROCPRIM_400000_NS6detail17trampoline_kernelINS0_14default_configENS1_27scan_by_key_config_selectorIssEEZZNS1_16scan_by_key_implILNS1_25lookback_scan_determinismE0ELb1ES3_N6thrust23THRUST_200600_302600_NS6detail15normal_iteratorINS9_10device_ptrIsEEEESE_SE_sNS9_4plusIvEENS9_8equal_toIsEEsEE10hipError_tPvRmT2_T3_T4_T5_mT6_T7_P12ihipStream_tbENKUlT_T0_E_clISt17integral_constantIbLb0EESY_IbLb1EEEEDaSU_SV_EUlSU_E_NS1_11comp_targetILNS1_3genE8ELNS1_11target_archE1030ELNS1_3gpuE2ELNS1_3repE0EEENS1_30default_config_static_selectorELNS0_4arch9wavefront6targetE0EEEvT1_ ; -- Begin function _ZN7rocprim17ROCPRIM_400000_NS6detail17trampoline_kernelINS0_14default_configENS1_27scan_by_key_config_selectorIssEEZZNS1_16scan_by_key_implILNS1_25lookback_scan_determinismE0ELb1ES3_N6thrust23THRUST_200600_302600_NS6detail15normal_iteratorINS9_10device_ptrIsEEEESE_SE_sNS9_4plusIvEENS9_8equal_toIsEEsEE10hipError_tPvRmT2_T3_T4_T5_mT6_T7_P12ihipStream_tbENKUlT_T0_E_clISt17integral_constantIbLb0EESY_IbLb1EEEEDaSU_SV_EUlSU_E_NS1_11comp_targetILNS1_3genE8ELNS1_11target_archE1030ELNS1_3gpuE2ELNS1_3repE0EEENS1_30default_config_static_selectorELNS0_4arch9wavefront6targetE0EEEvT1_
	.globl	_ZN7rocprim17ROCPRIM_400000_NS6detail17trampoline_kernelINS0_14default_configENS1_27scan_by_key_config_selectorIssEEZZNS1_16scan_by_key_implILNS1_25lookback_scan_determinismE0ELb1ES3_N6thrust23THRUST_200600_302600_NS6detail15normal_iteratorINS9_10device_ptrIsEEEESE_SE_sNS9_4plusIvEENS9_8equal_toIsEEsEE10hipError_tPvRmT2_T3_T4_T5_mT6_T7_P12ihipStream_tbENKUlT_T0_E_clISt17integral_constantIbLb0EESY_IbLb1EEEEDaSU_SV_EUlSU_E_NS1_11comp_targetILNS1_3genE8ELNS1_11target_archE1030ELNS1_3gpuE2ELNS1_3repE0EEENS1_30default_config_static_selectorELNS0_4arch9wavefront6targetE0EEEvT1_
	.p2align	8
	.type	_ZN7rocprim17ROCPRIM_400000_NS6detail17trampoline_kernelINS0_14default_configENS1_27scan_by_key_config_selectorIssEEZZNS1_16scan_by_key_implILNS1_25lookback_scan_determinismE0ELb1ES3_N6thrust23THRUST_200600_302600_NS6detail15normal_iteratorINS9_10device_ptrIsEEEESE_SE_sNS9_4plusIvEENS9_8equal_toIsEEsEE10hipError_tPvRmT2_T3_T4_T5_mT6_T7_P12ihipStream_tbENKUlT_T0_E_clISt17integral_constantIbLb0EESY_IbLb1EEEEDaSU_SV_EUlSU_E_NS1_11comp_targetILNS1_3genE8ELNS1_11target_archE1030ELNS1_3gpuE2ELNS1_3repE0EEENS1_30default_config_static_selectorELNS0_4arch9wavefront6targetE0EEEvT1_,@function
_ZN7rocprim17ROCPRIM_400000_NS6detail17trampoline_kernelINS0_14default_configENS1_27scan_by_key_config_selectorIssEEZZNS1_16scan_by_key_implILNS1_25lookback_scan_determinismE0ELb1ES3_N6thrust23THRUST_200600_302600_NS6detail15normal_iteratorINS9_10device_ptrIsEEEESE_SE_sNS9_4plusIvEENS9_8equal_toIsEEsEE10hipError_tPvRmT2_T3_T4_T5_mT6_T7_P12ihipStream_tbENKUlT_T0_E_clISt17integral_constantIbLb0EESY_IbLb1EEEEDaSU_SV_EUlSU_E_NS1_11comp_targetILNS1_3genE8ELNS1_11target_archE1030ELNS1_3gpuE2ELNS1_3repE0EEENS1_30default_config_static_selectorELNS0_4arch9wavefront6targetE0EEEvT1_: ; @_ZN7rocprim17ROCPRIM_400000_NS6detail17trampoline_kernelINS0_14default_configENS1_27scan_by_key_config_selectorIssEEZZNS1_16scan_by_key_implILNS1_25lookback_scan_determinismE0ELb1ES3_N6thrust23THRUST_200600_302600_NS6detail15normal_iteratorINS9_10device_ptrIsEEEESE_SE_sNS9_4plusIvEENS9_8equal_toIsEEsEE10hipError_tPvRmT2_T3_T4_T5_mT6_T7_P12ihipStream_tbENKUlT_T0_E_clISt17integral_constantIbLb0EESY_IbLb1EEEEDaSU_SV_EUlSU_E_NS1_11comp_targetILNS1_3genE8ELNS1_11target_archE1030ELNS1_3gpuE2ELNS1_3repE0EEENS1_30default_config_static_selectorELNS0_4arch9wavefront6targetE0EEEvT1_
; %bb.0:
	.section	.rodata,"a",@progbits
	.p2align	6, 0x0
	.amdhsa_kernel _ZN7rocprim17ROCPRIM_400000_NS6detail17trampoline_kernelINS0_14default_configENS1_27scan_by_key_config_selectorIssEEZZNS1_16scan_by_key_implILNS1_25lookback_scan_determinismE0ELb1ES3_N6thrust23THRUST_200600_302600_NS6detail15normal_iteratorINS9_10device_ptrIsEEEESE_SE_sNS9_4plusIvEENS9_8equal_toIsEEsEE10hipError_tPvRmT2_T3_T4_T5_mT6_T7_P12ihipStream_tbENKUlT_T0_E_clISt17integral_constantIbLb0EESY_IbLb1EEEEDaSU_SV_EUlSU_E_NS1_11comp_targetILNS1_3genE8ELNS1_11target_archE1030ELNS1_3gpuE2ELNS1_3repE0EEENS1_30default_config_static_selectorELNS0_4arch9wavefront6targetE0EEEvT1_
		.amdhsa_group_segment_fixed_size 0
		.amdhsa_private_segment_fixed_size 0
		.amdhsa_kernarg_size 112
		.amdhsa_user_sgpr_count 2
		.amdhsa_user_sgpr_dispatch_ptr 0
		.amdhsa_user_sgpr_queue_ptr 0
		.amdhsa_user_sgpr_kernarg_segment_ptr 1
		.amdhsa_user_sgpr_dispatch_id 0
		.amdhsa_user_sgpr_kernarg_preload_length 0
		.amdhsa_user_sgpr_kernarg_preload_offset 0
		.amdhsa_user_sgpr_private_segment_size 0
		.amdhsa_wavefront_size32 1
		.amdhsa_uses_dynamic_stack 0
		.amdhsa_enable_private_segment 0
		.amdhsa_system_sgpr_workgroup_id_x 1
		.amdhsa_system_sgpr_workgroup_id_y 0
		.amdhsa_system_sgpr_workgroup_id_z 0
		.amdhsa_system_sgpr_workgroup_info 0
		.amdhsa_system_vgpr_workitem_id 0
		.amdhsa_next_free_vgpr 1
		.amdhsa_next_free_sgpr 1
		.amdhsa_named_barrier_count 0
		.amdhsa_reserve_vcc 0
		.amdhsa_float_round_mode_32 0
		.amdhsa_float_round_mode_16_64 0
		.amdhsa_float_denorm_mode_32 3
		.amdhsa_float_denorm_mode_16_64 3
		.amdhsa_fp16_overflow 0
		.amdhsa_memory_ordered 1
		.amdhsa_forward_progress 1
		.amdhsa_inst_pref_size 0
		.amdhsa_round_robin_scheduling 0
		.amdhsa_exception_fp_ieee_invalid_op 0
		.amdhsa_exception_fp_denorm_src 0
		.amdhsa_exception_fp_ieee_div_zero 0
		.amdhsa_exception_fp_ieee_overflow 0
		.amdhsa_exception_fp_ieee_underflow 0
		.amdhsa_exception_fp_ieee_inexact 0
		.amdhsa_exception_int_div_zero 0
	.end_amdhsa_kernel
	.section	.text._ZN7rocprim17ROCPRIM_400000_NS6detail17trampoline_kernelINS0_14default_configENS1_27scan_by_key_config_selectorIssEEZZNS1_16scan_by_key_implILNS1_25lookback_scan_determinismE0ELb1ES3_N6thrust23THRUST_200600_302600_NS6detail15normal_iteratorINS9_10device_ptrIsEEEESE_SE_sNS9_4plusIvEENS9_8equal_toIsEEsEE10hipError_tPvRmT2_T3_T4_T5_mT6_T7_P12ihipStream_tbENKUlT_T0_E_clISt17integral_constantIbLb0EESY_IbLb1EEEEDaSU_SV_EUlSU_E_NS1_11comp_targetILNS1_3genE8ELNS1_11target_archE1030ELNS1_3gpuE2ELNS1_3repE0EEENS1_30default_config_static_selectorELNS0_4arch9wavefront6targetE0EEEvT1_,"axG",@progbits,_ZN7rocprim17ROCPRIM_400000_NS6detail17trampoline_kernelINS0_14default_configENS1_27scan_by_key_config_selectorIssEEZZNS1_16scan_by_key_implILNS1_25lookback_scan_determinismE0ELb1ES3_N6thrust23THRUST_200600_302600_NS6detail15normal_iteratorINS9_10device_ptrIsEEEESE_SE_sNS9_4plusIvEENS9_8equal_toIsEEsEE10hipError_tPvRmT2_T3_T4_T5_mT6_T7_P12ihipStream_tbENKUlT_T0_E_clISt17integral_constantIbLb0EESY_IbLb1EEEEDaSU_SV_EUlSU_E_NS1_11comp_targetILNS1_3genE8ELNS1_11target_archE1030ELNS1_3gpuE2ELNS1_3repE0EEENS1_30default_config_static_selectorELNS0_4arch9wavefront6targetE0EEEvT1_,comdat
.Lfunc_end676:
	.size	_ZN7rocprim17ROCPRIM_400000_NS6detail17trampoline_kernelINS0_14default_configENS1_27scan_by_key_config_selectorIssEEZZNS1_16scan_by_key_implILNS1_25lookback_scan_determinismE0ELb1ES3_N6thrust23THRUST_200600_302600_NS6detail15normal_iteratorINS9_10device_ptrIsEEEESE_SE_sNS9_4plusIvEENS9_8equal_toIsEEsEE10hipError_tPvRmT2_T3_T4_T5_mT6_T7_P12ihipStream_tbENKUlT_T0_E_clISt17integral_constantIbLb0EESY_IbLb1EEEEDaSU_SV_EUlSU_E_NS1_11comp_targetILNS1_3genE8ELNS1_11target_archE1030ELNS1_3gpuE2ELNS1_3repE0EEENS1_30default_config_static_selectorELNS0_4arch9wavefront6targetE0EEEvT1_, .Lfunc_end676-_ZN7rocprim17ROCPRIM_400000_NS6detail17trampoline_kernelINS0_14default_configENS1_27scan_by_key_config_selectorIssEEZZNS1_16scan_by_key_implILNS1_25lookback_scan_determinismE0ELb1ES3_N6thrust23THRUST_200600_302600_NS6detail15normal_iteratorINS9_10device_ptrIsEEEESE_SE_sNS9_4plusIvEENS9_8equal_toIsEEsEE10hipError_tPvRmT2_T3_T4_T5_mT6_T7_P12ihipStream_tbENKUlT_T0_E_clISt17integral_constantIbLb0EESY_IbLb1EEEEDaSU_SV_EUlSU_E_NS1_11comp_targetILNS1_3genE8ELNS1_11target_archE1030ELNS1_3gpuE2ELNS1_3repE0EEENS1_30default_config_static_selectorELNS0_4arch9wavefront6targetE0EEEvT1_
                                        ; -- End function
	.set _ZN7rocprim17ROCPRIM_400000_NS6detail17trampoline_kernelINS0_14default_configENS1_27scan_by_key_config_selectorIssEEZZNS1_16scan_by_key_implILNS1_25lookback_scan_determinismE0ELb1ES3_N6thrust23THRUST_200600_302600_NS6detail15normal_iteratorINS9_10device_ptrIsEEEESE_SE_sNS9_4plusIvEENS9_8equal_toIsEEsEE10hipError_tPvRmT2_T3_T4_T5_mT6_T7_P12ihipStream_tbENKUlT_T0_E_clISt17integral_constantIbLb0EESY_IbLb1EEEEDaSU_SV_EUlSU_E_NS1_11comp_targetILNS1_3genE8ELNS1_11target_archE1030ELNS1_3gpuE2ELNS1_3repE0EEENS1_30default_config_static_selectorELNS0_4arch9wavefront6targetE0EEEvT1_.num_vgpr, 0
	.set _ZN7rocprim17ROCPRIM_400000_NS6detail17trampoline_kernelINS0_14default_configENS1_27scan_by_key_config_selectorIssEEZZNS1_16scan_by_key_implILNS1_25lookback_scan_determinismE0ELb1ES3_N6thrust23THRUST_200600_302600_NS6detail15normal_iteratorINS9_10device_ptrIsEEEESE_SE_sNS9_4plusIvEENS9_8equal_toIsEEsEE10hipError_tPvRmT2_T3_T4_T5_mT6_T7_P12ihipStream_tbENKUlT_T0_E_clISt17integral_constantIbLb0EESY_IbLb1EEEEDaSU_SV_EUlSU_E_NS1_11comp_targetILNS1_3genE8ELNS1_11target_archE1030ELNS1_3gpuE2ELNS1_3repE0EEENS1_30default_config_static_selectorELNS0_4arch9wavefront6targetE0EEEvT1_.num_agpr, 0
	.set _ZN7rocprim17ROCPRIM_400000_NS6detail17trampoline_kernelINS0_14default_configENS1_27scan_by_key_config_selectorIssEEZZNS1_16scan_by_key_implILNS1_25lookback_scan_determinismE0ELb1ES3_N6thrust23THRUST_200600_302600_NS6detail15normal_iteratorINS9_10device_ptrIsEEEESE_SE_sNS9_4plusIvEENS9_8equal_toIsEEsEE10hipError_tPvRmT2_T3_T4_T5_mT6_T7_P12ihipStream_tbENKUlT_T0_E_clISt17integral_constantIbLb0EESY_IbLb1EEEEDaSU_SV_EUlSU_E_NS1_11comp_targetILNS1_3genE8ELNS1_11target_archE1030ELNS1_3gpuE2ELNS1_3repE0EEENS1_30default_config_static_selectorELNS0_4arch9wavefront6targetE0EEEvT1_.numbered_sgpr, 0
	.set _ZN7rocprim17ROCPRIM_400000_NS6detail17trampoline_kernelINS0_14default_configENS1_27scan_by_key_config_selectorIssEEZZNS1_16scan_by_key_implILNS1_25lookback_scan_determinismE0ELb1ES3_N6thrust23THRUST_200600_302600_NS6detail15normal_iteratorINS9_10device_ptrIsEEEESE_SE_sNS9_4plusIvEENS9_8equal_toIsEEsEE10hipError_tPvRmT2_T3_T4_T5_mT6_T7_P12ihipStream_tbENKUlT_T0_E_clISt17integral_constantIbLb0EESY_IbLb1EEEEDaSU_SV_EUlSU_E_NS1_11comp_targetILNS1_3genE8ELNS1_11target_archE1030ELNS1_3gpuE2ELNS1_3repE0EEENS1_30default_config_static_selectorELNS0_4arch9wavefront6targetE0EEEvT1_.num_named_barrier, 0
	.set _ZN7rocprim17ROCPRIM_400000_NS6detail17trampoline_kernelINS0_14default_configENS1_27scan_by_key_config_selectorIssEEZZNS1_16scan_by_key_implILNS1_25lookback_scan_determinismE0ELb1ES3_N6thrust23THRUST_200600_302600_NS6detail15normal_iteratorINS9_10device_ptrIsEEEESE_SE_sNS9_4plusIvEENS9_8equal_toIsEEsEE10hipError_tPvRmT2_T3_T4_T5_mT6_T7_P12ihipStream_tbENKUlT_T0_E_clISt17integral_constantIbLb0EESY_IbLb1EEEEDaSU_SV_EUlSU_E_NS1_11comp_targetILNS1_3genE8ELNS1_11target_archE1030ELNS1_3gpuE2ELNS1_3repE0EEENS1_30default_config_static_selectorELNS0_4arch9wavefront6targetE0EEEvT1_.private_seg_size, 0
	.set _ZN7rocprim17ROCPRIM_400000_NS6detail17trampoline_kernelINS0_14default_configENS1_27scan_by_key_config_selectorIssEEZZNS1_16scan_by_key_implILNS1_25lookback_scan_determinismE0ELb1ES3_N6thrust23THRUST_200600_302600_NS6detail15normal_iteratorINS9_10device_ptrIsEEEESE_SE_sNS9_4plusIvEENS9_8equal_toIsEEsEE10hipError_tPvRmT2_T3_T4_T5_mT6_T7_P12ihipStream_tbENKUlT_T0_E_clISt17integral_constantIbLb0EESY_IbLb1EEEEDaSU_SV_EUlSU_E_NS1_11comp_targetILNS1_3genE8ELNS1_11target_archE1030ELNS1_3gpuE2ELNS1_3repE0EEENS1_30default_config_static_selectorELNS0_4arch9wavefront6targetE0EEEvT1_.uses_vcc, 0
	.set _ZN7rocprim17ROCPRIM_400000_NS6detail17trampoline_kernelINS0_14default_configENS1_27scan_by_key_config_selectorIssEEZZNS1_16scan_by_key_implILNS1_25lookback_scan_determinismE0ELb1ES3_N6thrust23THRUST_200600_302600_NS6detail15normal_iteratorINS9_10device_ptrIsEEEESE_SE_sNS9_4plusIvEENS9_8equal_toIsEEsEE10hipError_tPvRmT2_T3_T4_T5_mT6_T7_P12ihipStream_tbENKUlT_T0_E_clISt17integral_constantIbLb0EESY_IbLb1EEEEDaSU_SV_EUlSU_E_NS1_11comp_targetILNS1_3genE8ELNS1_11target_archE1030ELNS1_3gpuE2ELNS1_3repE0EEENS1_30default_config_static_selectorELNS0_4arch9wavefront6targetE0EEEvT1_.uses_flat_scratch, 0
	.set _ZN7rocprim17ROCPRIM_400000_NS6detail17trampoline_kernelINS0_14default_configENS1_27scan_by_key_config_selectorIssEEZZNS1_16scan_by_key_implILNS1_25lookback_scan_determinismE0ELb1ES3_N6thrust23THRUST_200600_302600_NS6detail15normal_iteratorINS9_10device_ptrIsEEEESE_SE_sNS9_4plusIvEENS9_8equal_toIsEEsEE10hipError_tPvRmT2_T3_T4_T5_mT6_T7_P12ihipStream_tbENKUlT_T0_E_clISt17integral_constantIbLb0EESY_IbLb1EEEEDaSU_SV_EUlSU_E_NS1_11comp_targetILNS1_3genE8ELNS1_11target_archE1030ELNS1_3gpuE2ELNS1_3repE0EEENS1_30default_config_static_selectorELNS0_4arch9wavefront6targetE0EEEvT1_.has_dyn_sized_stack, 0
	.set _ZN7rocprim17ROCPRIM_400000_NS6detail17trampoline_kernelINS0_14default_configENS1_27scan_by_key_config_selectorIssEEZZNS1_16scan_by_key_implILNS1_25lookback_scan_determinismE0ELb1ES3_N6thrust23THRUST_200600_302600_NS6detail15normal_iteratorINS9_10device_ptrIsEEEESE_SE_sNS9_4plusIvEENS9_8equal_toIsEEsEE10hipError_tPvRmT2_T3_T4_T5_mT6_T7_P12ihipStream_tbENKUlT_T0_E_clISt17integral_constantIbLb0EESY_IbLb1EEEEDaSU_SV_EUlSU_E_NS1_11comp_targetILNS1_3genE8ELNS1_11target_archE1030ELNS1_3gpuE2ELNS1_3repE0EEENS1_30default_config_static_selectorELNS0_4arch9wavefront6targetE0EEEvT1_.has_recursion, 0
	.set _ZN7rocprim17ROCPRIM_400000_NS6detail17trampoline_kernelINS0_14default_configENS1_27scan_by_key_config_selectorIssEEZZNS1_16scan_by_key_implILNS1_25lookback_scan_determinismE0ELb1ES3_N6thrust23THRUST_200600_302600_NS6detail15normal_iteratorINS9_10device_ptrIsEEEESE_SE_sNS9_4plusIvEENS9_8equal_toIsEEsEE10hipError_tPvRmT2_T3_T4_T5_mT6_T7_P12ihipStream_tbENKUlT_T0_E_clISt17integral_constantIbLb0EESY_IbLb1EEEEDaSU_SV_EUlSU_E_NS1_11comp_targetILNS1_3genE8ELNS1_11target_archE1030ELNS1_3gpuE2ELNS1_3repE0EEENS1_30default_config_static_selectorELNS0_4arch9wavefront6targetE0EEEvT1_.has_indirect_call, 0
	.section	.AMDGPU.csdata,"",@progbits
; Kernel info:
; codeLenInByte = 0
; TotalNumSgprs: 0
; NumVgprs: 0
; ScratchSize: 0
; MemoryBound: 0
; FloatMode: 240
; IeeeMode: 1
; LDSByteSize: 0 bytes/workgroup (compile time only)
; SGPRBlocks: 0
; VGPRBlocks: 0
; NumSGPRsForWavesPerEU: 1
; NumVGPRsForWavesPerEU: 1
; NamedBarCnt: 0
; Occupancy: 16
; WaveLimiterHint : 0
; COMPUTE_PGM_RSRC2:SCRATCH_EN: 0
; COMPUTE_PGM_RSRC2:USER_SGPR: 2
; COMPUTE_PGM_RSRC2:TRAP_HANDLER: 0
; COMPUTE_PGM_RSRC2:TGID_X_EN: 1
; COMPUTE_PGM_RSRC2:TGID_Y_EN: 0
; COMPUTE_PGM_RSRC2:TGID_Z_EN: 0
; COMPUTE_PGM_RSRC2:TIDIG_COMP_CNT: 0
	.section	.text._ZN7rocprim17ROCPRIM_400000_NS6detail17trampoline_kernelINS0_14default_configENS1_27scan_by_key_config_selectorIxxEEZZNS1_16scan_by_key_implILNS1_25lookback_scan_determinismE0ELb0ES3_N6thrust23THRUST_200600_302600_NS6detail15normal_iteratorINS9_10device_ptrIxEEEESE_SE_xNS9_4plusIxEE19head_flag_predicatexEE10hipError_tPvRmT2_T3_T4_T5_mT6_T7_P12ihipStream_tbENKUlT_T0_E_clISt17integral_constantIbLb0EESY_EEDaST_SU_EUlST_E_NS1_11comp_targetILNS1_3genE0ELNS1_11target_archE4294967295ELNS1_3gpuE0ELNS1_3repE0EEENS1_30default_config_static_selectorELNS0_4arch9wavefront6targetE0EEEvT1_,"axG",@progbits,_ZN7rocprim17ROCPRIM_400000_NS6detail17trampoline_kernelINS0_14default_configENS1_27scan_by_key_config_selectorIxxEEZZNS1_16scan_by_key_implILNS1_25lookback_scan_determinismE0ELb0ES3_N6thrust23THRUST_200600_302600_NS6detail15normal_iteratorINS9_10device_ptrIxEEEESE_SE_xNS9_4plusIxEE19head_flag_predicatexEE10hipError_tPvRmT2_T3_T4_T5_mT6_T7_P12ihipStream_tbENKUlT_T0_E_clISt17integral_constantIbLb0EESY_EEDaST_SU_EUlST_E_NS1_11comp_targetILNS1_3genE0ELNS1_11target_archE4294967295ELNS1_3gpuE0ELNS1_3repE0EEENS1_30default_config_static_selectorELNS0_4arch9wavefront6targetE0EEEvT1_,comdat
	.protected	_ZN7rocprim17ROCPRIM_400000_NS6detail17trampoline_kernelINS0_14default_configENS1_27scan_by_key_config_selectorIxxEEZZNS1_16scan_by_key_implILNS1_25lookback_scan_determinismE0ELb0ES3_N6thrust23THRUST_200600_302600_NS6detail15normal_iteratorINS9_10device_ptrIxEEEESE_SE_xNS9_4plusIxEE19head_flag_predicatexEE10hipError_tPvRmT2_T3_T4_T5_mT6_T7_P12ihipStream_tbENKUlT_T0_E_clISt17integral_constantIbLb0EESY_EEDaST_SU_EUlST_E_NS1_11comp_targetILNS1_3genE0ELNS1_11target_archE4294967295ELNS1_3gpuE0ELNS1_3repE0EEENS1_30default_config_static_selectorELNS0_4arch9wavefront6targetE0EEEvT1_ ; -- Begin function _ZN7rocprim17ROCPRIM_400000_NS6detail17trampoline_kernelINS0_14default_configENS1_27scan_by_key_config_selectorIxxEEZZNS1_16scan_by_key_implILNS1_25lookback_scan_determinismE0ELb0ES3_N6thrust23THRUST_200600_302600_NS6detail15normal_iteratorINS9_10device_ptrIxEEEESE_SE_xNS9_4plusIxEE19head_flag_predicatexEE10hipError_tPvRmT2_T3_T4_T5_mT6_T7_P12ihipStream_tbENKUlT_T0_E_clISt17integral_constantIbLb0EESY_EEDaST_SU_EUlST_E_NS1_11comp_targetILNS1_3genE0ELNS1_11target_archE4294967295ELNS1_3gpuE0ELNS1_3repE0EEENS1_30default_config_static_selectorELNS0_4arch9wavefront6targetE0EEEvT1_
	.globl	_ZN7rocprim17ROCPRIM_400000_NS6detail17trampoline_kernelINS0_14default_configENS1_27scan_by_key_config_selectorIxxEEZZNS1_16scan_by_key_implILNS1_25lookback_scan_determinismE0ELb0ES3_N6thrust23THRUST_200600_302600_NS6detail15normal_iteratorINS9_10device_ptrIxEEEESE_SE_xNS9_4plusIxEE19head_flag_predicatexEE10hipError_tPvRmT2_T3_T4_T5_mT6_T7_P12ihipStream_tbENKUlT_T0_E_clISt17integral_constantIbLb0EESY_EEDaST_SU_EUlST_E_NS1_11comp_targetILNS1_3genE0ELNS1_11target_archE4294967295ELNS1_3gpuE0ELNS1_3repE0EEENS1_30default_config_static_selectorELNS0_4arch9wavefront6targetE0EEEvT1_
	.p2align	8
	.type	_ZN7rocprim17ROCPRIM_400000_NS6detail17trampoline_kernelINS0_14default_configENS1_27scan_by_key_config_selectorIxxEEZZNS1_16scan_by_key_implILNS1_25lookback_scan_determinismE0ELb0ES3_N6thrust23THRUST_200600_302600_NS6detail15normal_iteratorINS9_10device_ptrIxEEEESE_SE_xNS9_4plusIxEE19head_flag_predicatexEE10hipError_tPvRmT2_T3_T4_T5_mT6_T7_P12ihipStream_tbENKUlT_T0_E_clISt17integral_constantIbLb0EESY_EEDaST_SU_EUlST_E_NS1_11comp_targetILNS1_3genE0ELNS1_11target_archE4294967295ELNS1_3gpuE0ELNS1_3repE0EEENS1_30default_config_static_selectorELNS0_4arch9wavefront6targetE0EEEvT1_,@function
_ZN7rocprim17ROCPRIM_400000_NS6detail17trampoline_kernelINS0_14default_configENS1_27scan_by_key_config_selectorIxxEEZZNS1_16scan_by_key_implILNS1_25lookback_scan_determinismE0ELb0ES3_N6thrust23THRUST_200600_302600_NS6detail15normal_iteratorINS9_10device_ptrIxEEEESE_SE_xNS9_4plusIxEE19head_flag_predicatexEE10hipError_tPvRmT2_T3_T4_T5_mT6_T7_P12ihipStream_tbENKUlT_T0_E_clISt17integral_constantIbLb0EESY_EEDaST_SU_EUlST_E_NS1_11comp_targetILNS1_3genE0ELNS1_11target_archE4294967295ELNS1_3gpuE0ELNS1_3repE0EEENS1_30default_config_static_selectorELNS0_4arch9wavefront6targetE0EEEvT1_: ; @_ZN7rocprim17ROCPRIM_400000_NS6detail17trampoline_kernelINS0_14default_configENS1_27scan_by_key_config_selectorIxxEEZZNS1_16scan_by_key_implILNS1_25lookback_scan_determinismE0ELb0ES3_N6thrust23THRUST_200600_302600_NS6detail15normal_iteratorINS9_10device_ptrIxEEEESE_SE_xNS9_4plusIxEE19head_flag_predicatexEE10hipError_tPvRmT2_T3_T4_T5_mT6_T7_P12ihipStream_tbENKUlT_T0_E_clISt17integral_constantIbLb0EESY_EEDaST_SU_EUlST_E_NS1_11comp_targetILNS1_3genE0ELNS1_11target_archE4294967295ELNS1_3gpuE0ELNS1_3repE0EEENS1_30default_config_static_selectorELNS0_4arch9wavefront6targetE0EEEvT1_
; %bb.0:
	s_clause 0x2
	s_load_b96 s[44:46], s[0:1], 0x50
	s_load_b256 s[20:27], s[0:1], 0x0
	s_load_b128 s[28:31], s[0:1], 0x60
	s_bfe_u32 s4, ttmp6, 0x4000c
	s_load_b256 s[36:43], s[0:1], 0x30
	s_add_co_i32 s4, s4, 1
	s_and_b32 s2, ttmp6, 15
	s_wait_xcnt 0x0
	s_mul_i32 s0, ttmp9, s4
	s_getreg_b32 s5, hwreg(HW_REG_IB_STS2, 6, 4)
	s_add_co_i32 s6, s2, s0
	s_mov_b32 s3, 0
	s_delay_alu instid0(SALU_CYCLE_1)
	s_mov_b32 s47, s3
	s_barrier_signal -1
	s_barrier_wait -1
	s_wait_kmcnt 0x0
	s_mov_b32 s2, s46
	s_lshl_b64 s[34:35], s[22:23], 3
	s_cmp_eq_u32 s5, 0
	s_mul_u64 s[4:5], s[44:45], s[2:3]
	s_cselect_b32 s46, ttmp9, s6
	s_add_nc_u64 s[8:9], s[28:29], -1
	s_add_nc_u64 s[4:5], s[4:5], s[46:47]
	s_mul_i32 s2, s46, 0xe00
	v_cmp_ge_u64_e64 s23, s[4:5], s[8:9]
	s_add_nc_u64 s[0:1], s[20:21], s[34:35]
	s_add_nc_u64 s[6:7], s[24:25], s[34:35]
	s_lshl_b64 s[24:25], s[2:3], 3
	s_mul_i32 s28, s8, 0xfffff200
	s_add_nc_u64 s[16:17], s[0:1], s[24:25]
	s_add_nc_u64 s[14:15], s[6:7], s[24:25]
	s_and_b32 vcc_lo, exec_lo, s23
	s_cbranch_vccz .LBB677_72
; %bb.1:
	v_mov_b32_e32 v1, 0
	s_add_co_i32 s20, s28, s42
	s_delay_alu instid0(SALU_CYCLE_1)
	v_cmp_gt_u32_e32 vcc_lo, s20, v0
	flat_load_b64 v[2:3], v1, s[16:17]
	s_wait_loadcnt_dscnt 0x0
	v_mov_b64_e32 v[4:5], v[2:3]
	s_and_saveexec_b32 s0, vcc_lo
	s_cbranch_execz .LBB677_3
; %bb.2:
	flat_load_b64 v[4:5], v0, s[16:17] scale_offset
.LBB677_3:
	s_wait_xcnt 0x0
	s_or_b32 exec_lo, exec_lo, s0
	v_or_b32_e32 v1, 0x100, v0
	v_mov_b64_e32 v[6:7], v[2:3]
	s_delay_alu instid0(VALU_DEP_2)
	v_cmp_gt_u32_e64 s0, s20, v1
	s_and_saveexec_b32 s1, s0
	s_cbranch_execz .LBB677_5
; %bb.4:
	flat_load_b64 v[6:7], v0, s[16:17] offset:2048 scale_offset
.LBB677_5:
	s_wait_xcnt 0x0
	s_or_b32 exec_lo, exec_lo, s1
	v_or_b32_e32 v1, 0x200, v0
	v_mov_b64_e32 v[8:9], v[2:3]
	s_delay_alu instid0(VALU_DEP_2)
	v_cmp_gt_u32_e64 s1, s20, v1
	s_and_saveexec_b32 s2, s1
	s_cbranch_execz .LBB677_7
; %bb.6:
	flat_load_b64 v[8:9], v0, s[16:17] offset:4096 scale_offset
.LBB677_7:
	;; [unrolled: 11-line block ×12, first 2 shown]
	s_wait_xcnt 0x0
	s_or_b32 exec_lo, exec_lo, s12
	v_or_b32_e32 v1, 0xd00, v0
	s_delay_alu instid0(VALU_DEP_1)
	v_cmp_gt_u32_e64 s12, s20, v1
	s_and_saveexec_b32 s13, s12
	s_cbranch_execz .LBB677_29
; %bb.28:
	flat_load_b64 v[2:3], v0, s[16:17] offset:26624 scale_offset
.LBB677_29:
	s_wait_xcnt 0x0
	s_or_b32 exec_lo, exec_lo, s13
	v_lshlrev_b32_e32 v1, 3, v0
	s_wait_loadcnt_dscnt 0x0
	ds_store_2addr_stride64_b64 v1, v[4:5], v[6:7] offset1:4
	ds_store_2addr_stride64_b64 v1, v[8:9], v[10:11] offset0:8 offset1:12
	ds_store_2addr_stride64_b64 v1, v[12:13], v[14:15] offset0:16 offset1:20
	;; [unrolled: 1-line block ×6, first 2 shown]
	v_mad_u32_u24 v102, 0x68, v0, v1
	s_wait_dscnt 0x0
	s_barrier_signal -1
	s_barrier_wait -1
	ds_load_b128 v[30:33], v102 offset:96
	ds_load_b128 v[78:81], v102
	ds_load_b128 v[74:77], v102 offset:16
	ds_load_b128 v[70:73], v102 offset:32
	;; [unrolled: 1-line block ×5, first 2 shown]
	v_mad_i32_i24 v2, 0xffffff98, v0, v102
	s_wait_dscnt 0x6
	ds_store_b64 v2, v[32:33] offset:28672
	s_wait_dscnt 0x0
	s_barrier_signal -1
	s_barrier_wait -1
	s_barrier_signal -1
	s_barrier_wait -1
                                        ; implicit-def: $vgpr2_vgpr3
	s_and_saveexec_b32 s13, vcc_lo
	s_cbranch_execz .LBB677_126
; %bb.30:
	flat_load_b64 v[2:3], v0, s[14:15] scale_offset
	s_wait_xcnt 0x0
	s_or_b32 exec_lo, exec_lo, s13
                                        ; implicit-def: $vgpr4_vgpr5
	s_and_saveexec_b32 s13, s0
	s_cbranch_execnz .LBB677_127
.LBB677_31:
	s_or_b32 exec_lo, exec_lo, s13
                                        ; implicit-def: $vgpr6_vgpr7
	s_and_saveexec_b32 s0, s1
	s_cbranch_execz .LBB677_128
.LBB677_32:
	flat_load_b64 v[6:7], v0, s[14:15] offset:4096 scale_offset
	s_wait_xcnt 0x0
	s_or_b32 exec_lo, exec_lo, s0
                                        ; implicit-def: $vgpr8_vgpr9
	s_and_saveexec_b32 s0, s2
	s_cbranch_execnz .LBB677_129
.LBB677_33:
	s_or_b32 exec_lo, exec_lo, s0
                                        ; implicit-def: $vgpr10_vgpr11
	s_and_saveexec_b32 s0, s3
	s_cbranch_execz .LBB677_130
.LBB677_34:
	flat_load_b64 v[10:11], v0, s[14:15] offset:8192 scale_offset
	s_wait_xcnt 0x0
	s_or_b32 exec_lo, exec_lo, s0
                                        ; implicit-def: $vgpr12_vgpr13
	s_and_saveexec_b32 s0, s4
	s_cbranch_execnz .LBB677_131
.LBB677_35:
	s_or_b32 exec_lo, exec_lo, s0
                                        ; implicit-def: $vgpr14_vgpr15
	s_and_saveexec_b32 s0, s5
	s_cbranch_execz .LBB677_132
.LBB677_36:
	flat_load_b64 v[14:15], v0, s[14:15] offset:12288 scale_offset
	s_wait_xcnt 0x0
	s_or_b32 exec_lo, exec_lo, s0
                                        ; implicit-def: $vgpr16_vgpr17
	s_and_saveexec_b32 s0, s6
	s_cbranch_execnz .LBB677_133
.LBB677_37:
	s_or_b32 exec_lo, exec_lo, s0
                                        ; implicit-def: $vgpr18_vgpr19
	s_and_saveexec_b32 s0, s7
	s_cbranch_execz .LBB677_134
.LBB677_38:
	flat_load_b64 v[18:19], v0, s[14:15] offset:16384 scale_offset
	s_wait_xcnt 0x0
	s_or_b32 exec_lo, exec_lo, s0
                                        ; implicit-def: $vgpr20_vgpr21
	s_and_saveexec_b32 s0, s8
	s_cbranch_execnz .LBB677_135
.LBB677_39:
	s_or_b32 exec_lo, exec_lo, s0
                                        ; implicit-def: $vgpr22_vgpr23
	s_and_saveexec_b32 s0, s9
	s_cbranch_execz .LBB677_136
.LBB677_40:
	flat_load_b64 v[22:23], v0, s[14:15] offset:20480 scale_offset
	s_wait_xcnt 0x0
	s_or_b32 exec_lo, exec_lo, s0
                                        ; implicit-def: $vgpr24_vgpr25
	s_and_saveexec_b32 s0, s10
	s_cbranch_execnz .LBB677_137
.LBB677_41:
	s_or_b32 exec_lo, exec_lo, s0
                                        ; implicit-def: $vgpr26_vgpr27
	s_and_saveexec_b32 s0, s11
	s_cbranch_execz .LBB677_43
.LBB677_42:
	flat_load_b64 v[26:27], v0, s[14:15] offset:24576 scale_offset
.LBB677_43:
	s_wait_xcnt 0x0
	s_or_b32 exec_lo, exec_lo, s0
	v_mul_u32_u24_e32 v104, 14, v0
                                        ; implicit-def: $vgpr28_vgpr29
	s_and_saveexec_b32 s0, s12
	s_cbranch_execz .LBB677_45
; %bb.44:
	flat_load_b64 v[28:29], v0, s[14:15] offset:26624 scale_offset
.LBB677_45:
	s_wait_xcnt 0x0
	s_or_b32 exec_lo, exec_lo, s0
	s_wait_loadcnt_dscnt 0x0
	ds_store_2addr_stride64_b64 v1, v[2:3], v[4:5] offset1:4
	ds_store_2addr_stride64_b64 v1, v[6:7], v[8:9] offset0:8 offset1:12
	ds_store_2addr_stride64_b64 v1, v[10:11], v[12:13] offset0:16 offset1:20
	;; [unrolled: 1-line block ×6, first 2 shown]
	v_mov_b64_e32 v[34:35], 0
	v_mov_b64_e32 v[6:7], 0
	;; [unrolled: 1-line block ×24, first 2 shown]
	v_cmp_gt_u32_e32 vcc_lo, s20, v104
	v_dual_mov_b32 v36, 0 :: v_dual_mov_b32 v37, 0
	v_dual_mov_b32 v44, 0 :: v_dual_mov_b32 v45, 0
	v_dual_mov_b32 v92, 0 :: v_dual_mov_b32 v96, 0
	v_dual_mov_b32 v52, 0 :: v_dual_mov_b32 v53, 0
	v_dual_mov_b32 v48, 0 :: v_dual_mov_b32 v49, 0
	v_dual_mov_b32 v40, 0 :: v_dual_mov_b32 v41, 0
	v_dual_mov_b32 v91, 0 :: v_dual_mov_b32 v94, 0
	v_dual_mov_b32 v93, 0 :: v_dual_mov_b32 v95, 0
	v_dual_mov_b32 v97, 0 :: v_dual_mov_b32 v98, 0
	v_dual_mov_b32 v99, 0 :: v_dual_mov_b32 v100, 0
	v_dual_mov_b32 v101, 0 :: v_dual_mov_b32 v103, 0
	v_dual_mov_b32 v105, 0 :: v_dual_mov_b32 v90, 0
	v_mov_b32_e32 v1, 0
	s_mov_b32 s13, 0
	s_mov_b32 s3, 0
	s_wait_dscnt 0x0
	s_barrier_signal -1
	s_barrier_wait -1
	s_and_saveexec_b32 s18, vcc_lo
	s_cbranch_execz .LBB677_71
; %bb.46:
	ds_load_b64 v[2:3], v102
	v_dual_mov_b32 v36, 0 :: v_dual_bitop2_b32 v1, 1, v104 bitop3:0x54
	v_mov_b64_e32 v[34:35], 0
	v_mov_b64_e32 v[6:7], 0
	v_mov_b64_e32 v[42:43], 0
	v_mov_b64_e32 v[10:11], 0
	v_mov_b64_e32 v[54:55], 0
	v_mov_b64_e32 v[18:19], 0
	v_mov_b64_e32 v[50:51], 0
	v_mov_b64_e32 v[22:23], 0
	v_mov_b64_e32 v[46:47], 0
	v_mov_b64_e32 v[26:27], 0
	v_mov_b64_e32 v[38:39], 0
	v_mov_b64_e32 v[14:15], 0
	v_mov_b64_e32 v[8:9], 0
	v_mov_b64_e32 v[82:83], 0
	v_mov_b64_e32 v[12:13], 0
	v_mov_b64_e32 v[84:85], 0
	v_mov_b64_e32 v[20:21], 0
	v_mov_b64_e32 v[56:57], 0
	v_mov_b64_e32 v[24:25], 0
	v_mov_b64_e32 v[86:87], 0
	v_mov_b64_e32 v[28:29], 0
	v_mov_b64_e32 v[88:89], 0
	v_mov_b64_e32 v[4:5], 0
	v_cmp_gt_u32_e64 s0, s20, v1
	v_dual_mov_b32 v37, 0 :: v_dual_mov_b32 v44, 0
	v_dual_mov_b32 v45, 0 :: v_dual_mov_b32 v92, 0
	v_dual_mov_b32 v96, 0 :: v_dual_mov_b32 v52, 0
	v_dual_mov_b32 v53, 0 :: v_dual_mov_b32 v48, 0
	v_dual_mov_b32 v49, 0 :: v_dual_mov_b32 v40, 0
	v_dual_mov_b32 v91, 0 :: v_dual_mov_b32 v94, 0
	v_dual_mov_b32 v93, 0 :: v_dual_mov_b32 v95, 0
	v_dual_mov_b32 v97, 0 :: v_dual_mov_b32 v98, 0
	v_dual_mov_b32 v99, 0 :: v_dual_mov_b32 v100, 0
	v_dual_mov_b32 v101, 0 :: v_dual_mov_b32 v103, 0
	v_dual_mov_b32 v105, 0 :: v_dual_mov_b32 v90, 0
	s_mov_b32 s1, 0
	v_cmp_ne_u64_e32 vcc_lo, 0, v[78:79]
	s_and_saveexec_b32 s19, s0
	s_cbranch_execz .LBB677_70
; %bb.47:
	ds_load_2addr_b64 v[38:41], v102 offset0:1 offset1:2
	v_dual_mov_b32 v36, 0 :: v_dual_add_nc_u32 v1, 2, v104
	v_mov_b64_e32 v[34:35], 0
	v_cmp_ne_u64_e64 s0, 0, v[80:81]
	v_mov_b64_e32 v[6:7], 0
	v_mov_b64_e32 v[42:43], 0
	;; [unrolled: 1-line block ×20, first 2 shown]
	v_cmp_gt_u32_e64 s1, s20, v1
	v_dual_mov_b32 v37, 0 :: v_dual_mov_b32 v44, 0
	v_dual_mov_b32 v45, 0 :: v_dual_mov_b32 v92, 0
	;; [unrolled: 1-line block ×10, first 2 shown]
	s_mov_b32 s2, 0
	s_and_saveexec_b32 s21, s1
	s_cbranch_execz .LBB677_69
; %bb.48:
	v_dual_mov_b32 v36, 0 :: v_dual_add_nc_u32 v1, 3, v104
	v_mov_b64_e32 v[34:35], 0
	v_cmp_ne_u64_e64 s1, 0, v[74:75]
	v_mov_b64_e32 v[6:7], 0
	v_mov_b64_e32 v[42:43], 0
	;; [unrolled: 1-line block ×18, first 2 shown]
	v_dual_mov_b32 v37, 0 :: v_dual_mov_b32 v44, 0
	v_cmp_gt_u32_e64 s2, s20, v1
	v_dual_mov_b32 v45, 0 :: v_dual_mov_b32 v92, 0
	v_dual_mov_b32 v96, 0 :: v_dual_mov_b32 v52, 0
	;; [unrolled: 1-line block ×8, first 2 shown]
	s_and_saveexec_b32 s22, s2
	s_cbranch_execz .LBB677_68
; %bb.49:
	ds_load_2addr_b64 v[46:49], v102 offset0:3 offset1:4
	v_dual_mov_b32 v36, 0 :: v_dual_add_nc_u32 v1, 4, v104
	v_mov_b64_e32 v[34:35], 0
	v_cmp_ne_u64_e64 s2, 0, v[76:77]
	v_mov_b64_e32 v[6:7], 0
	v_mov_b64_e32 v[42:43], 0
	;; [unrolled: 1-line block ×16, first 2 shown]
	v_cmp_gt_u32_e64 s3, s20, v1
	v_dual_mov_b32 v37, 0 :: v_dual_mov_b32 v44, 0
	v_dual_mov_b32 v45, 0 :: v_dual_mov_b32 v92, 0
	;; [unrolled: 1-line block ×8, first 2 shown]
	s_mov_b32 s4, 0
	s_and_saveexec_b32 s29, s3
	s_cbranch_execz .LBB677_67
; %bb.50:
	v_dual_mov_b32 v36, 0 :: v_dual_add_nc_u32 v1, 5, v104
	v_mov_b64_e32 v[34:35], 0
	v_cmp_ne_u64_e64 s3, 0, v[70:71]
	v_mov_b64_e32 v[6:7], 0
	v_mov_b64_e32 v[42:43], 0
	;; [unrolled: 1-line block ×14, first 2 shown]
	v_dual_mov_b32 v37, 0 :: v_dual_mov_b32 v44, 0
	v_cmp_gt_u32_e64 s4, s20, v1
	v_dual_mov_b32 v45, 0 :: v_dual_mov_b32 v92, 0
	v_dual_mov_b32 v96, 0 :: v_dual_mov_b32 v52, 0
	;; [unrolled: 1-line block ×6, first 2 shown]
	s_mov_b32 s5, 0
	s_and_saveexec_b32 s33, s4
	s_cbranch_execz .LBB677_66
; %bb.51:
	ds_load_2addr_b64 v[50:53], v102 offset0:5 offset1:6
	v_dual_mov_b32 v36, 0 :: v_dual_add_nc_u32 v1, 6, v104
	v_mov_b64_e32 v[34:35], 0
	v_cmp_ne_u64_e64 s4, 0, v[72:73]
	v_mov_b64_e32 v[6:7], 0
	v_mov_b64_e32 v[42:43], 0
	;; [unrolled: 1-line block ×12, first 2 shown]
	v_cmp_gt_u32_e64 s5, s20, v1
	v_dual_mov_b32 v37, 0 :: v_dual_mov_b32 v44, 0
	v_dual_mov_b32 v45, 0 :: v_dual_mov_b32 v92, 0
	;; [unrolled: 1-line block ×6, first 2 shown]
	s_mov_b32 s6, 0
	s_and_saveexec_b32 s43, s5
	s_cbranch_execz .LBB677_65
; %bb.52:
	v_dual_mov_b32 v36, 0 :: v_dual_add_nc_u32 v1, 7, v104
	v_mov_b64_e32 v[34:35], 0
	v_cmp_ne_u64_e64 s5, 0, v[66:67]
	v_mov_b64_e32 v[6:7], 0
	v_mov_b64_e32 v[42:43], 0
	;; [unrolled: 1-line block ×10, first 2 shown]
	v_dual_mov_b32 v37, 0 :: v_dual_mov_b32 v44, 0
	v_cmp_gt_u32_e64 s6, s20, v1
	v_dual_mov_b32 v45, 0 :: v_dual_mov_b32 v92, 0
	v_dual_mov_b32 v91, 0 :: v_dual_mov_b32 v94, 0
	;; [unrolled: 1-line block ×4, first 2 shown]
	s_mov_b32 s7, 0
	s_and_saveexec_b32 s47, s6
	s_cbranch_execz .LBB677_64
; %bb.53:
	ds_load_2addr_b64 v[54:57], v102 offset0:7 offset1:8
	v_mov_b64_e32 v[34:35], 0
	v_cmp_ne_u64_e64 s6, 0, v[68:69]
	v_mov_b64_e32 v[6:7], 0
	v_mov_b64_e32 v[42:43], 0
	;; [unrolled: 1-line block ×8, first 2 shown]
	v_dual_mov_b32 v36, 0 :: v_dual_add_nc_u32 v1, 8, v104
	v_dual_mov_b32 v37, 0 :: v_dual_mov_b32 v44, 0
	v_dual_mov_b32 v45, 0 :: v_dual_mov_b32 v91, 0
	;; [unrolled: 1-line block ×4, first 2 shown]
	s_mov_b32 s8, 0
	s_mov_b32 s48, exec_lo
	v_cmpx_gt_u32_e64 s20, v1
	s_cbranch_execz .LBB677_63
; %bb.54:
	v_mov_b64_e32 v[34:35], 0
	v_cmp_ne_u64_e64 s7, 0, v[62:63]
	v_mov_b64_e32 v[6:7], 0
	v_mov_b64_e32 v[42:43], 0
	v_mov_b64_e32 v[14:15], 0
	v_mov_b64_e32 v[8:9], 0
	v_mov_b64_e32 v[82:83], 0
	v_mov_b64_e32 v[12:13], 0
	v_dual_mov_b32 v36, 0 :: v_dual_add_nc_u32 v1, 9, v104
	v_dual_mov_b32 v37, 0 :: v_dual_mov_b32 v44, 0
	v_dual_mov_b32 v91, 0 :: v_dual_mov_b32 v94, 0
	;; [unrolled: 1-line block ×3, first 2 shown]
	s_mov_b32 s9, 0
	s_mov_b32 s49, exec_lo
	v_cmpx_gt_u32_e64 s20, v1
	s_cbranch_execz .LBB677_62
; %bb.55:
	ds_load_2addr_b64 v[42:45], v102 offset0:9 offset1:10
	v_mov_b64_e32 v[34:35], 0
	v_cmp_ne_u64_e64 s8, 0, v[64:65]
	v_mov_b64_e32 v[6:7], 0
	v_mov_b64_e32 v[14:15], 0
	;; [unrolled: 1-line block ×4, first 2 shown]
	v_dual_mov_b32 v36, 0 :: v_dual_add_nc_u32 v1, 10, v104
	v_dual_mov_b32 v37, 0 :: v_dual_mov_b32 v91, 0
	v_mov_b32_e32 v93, 0
	s_mov_b32 s10, 0
	s_mov_b32 s50, exec_lo
	v_cmpx_gt_u32_e64 s20, v1
	s_cbranch_execz .LBB677_61
; %bb.56:
	v_mov_b64_e32 v[34:35], 0
	v_cmp_ne_u64_e64 s9, 0, v[58:59]
	v_mov_b64_e32 v[14:15], 0
	v_dual_mov_b32 v36, 0 :: v_dual_add_nc_u32 v1, 11, v104
	v_mov_b32_e32 v91, 0
	s_mov_b32 s11, 0
	s_mov_b32 s51, exec_lo
	s_delay_alu instid0(VALU_DEP_2)
	v_cmpx_gt_u32_e64 s20, v1
	s_cbranch_execz .LBB677_60
; %bb.57:
	ds_load_2addr_b64 v[34:37], v102 offset0:11 offset1:12
	v_mov_b64_e32 v[14:15], 0
	v_cmp_ne_u64_e64 s10, 0, v[60:61]
	v_dual_add_nc_u32 v1, 12, v104 :: v_dual_mov_b32 v91, 0
	s_mov_b32 s12, 0
	s_mov_b32 s52, exec_lo
	s_delay_alu instid0(VALU_DEP_1)
	v_cmpx_gt_u32_e64 s20, v1
	s_xor_b32 s52, exec_lo, s52
	s_cbranch_execz .LBB677_59
; %bb.58:
	ds_load_b64 v[16:17], v102 offset:104
	v_add_nc_u32_e32 v1, 13, v104
	v_cmp_ne_u64_e64 s12, 0, v[30:31]
	s_wait_dscnt 0x1
	v_mov_b64_e32 v[14:15], v[36:37]
	s_delay_alu instid0(VALU_DEP_3) | instskip(NEXT) | instid1(VALU_DEP_3)
	v_cmp_gt_u32_e64 s11, s20, v1
	v_cndmask_b32_e64 v91, 0, 1, s12
	s_and_b32 s12, s11, exec_lo
.LBB677_59:
	s_or_b32 exec_lo, exec_lo, s52
	s_wait_dscnt 0x0
	v_cndmask_b32_e64 v36, 0, 1, s10
	s_and_b32 s11, s12, exec_lo
.LBB677_60:
	s_or_b32 exec_lo, exec_lo, s51
	v_cndmask_b32_e64 v37, 0, 1, s9
	s_wait_dscnt 0x0
	v_mov_b64_e32 v[6:7], v[44:45]
	v_mov_b64_e32 v[8:9], v[34:35]
	;; [unrolled: 1-line block ×3, first 2 shown]
	s_and_b32 s10, s11, exec_lo
	v_mov_b32_e32 v93, v37
.LBB677_61:
	s_or_b32 exec_lo, exec_lo, s50
	s_wait_dscnt 0x0
	v_cndmask_b32_e64 v44, 0, 1, s8
	v_mov_b64_e32 v[12:13], v[42:43]
	v_mov_b32_e32 v94, v36
	s_and_b32 s9, s10, exec_lo
	s_delay_alu instid0(VALU_DEP_3)
	v_mov_b32_e32 v95, v44
.LBB677_62:
	s_or_b32 exec_lo, exec_lo, s49
	v_cndmask_b32_e64 v45, 0, 1, s7
	s_wait_dscnt 0x0
	v_mov_b64_e32 v[10:11], v[56:57]
	v_mov_b64_e32 v[84:85], v[56:57]
	s_and_b32 s8, s9, exec_lo
	v_mov_b32_e32 v97, v45
.LBB677_63:
	s_or_b32 exec_lo, exec_lo, s48
	v_cndmask_b32_e64 v92, 0, 1, s6
	s_wait_dscnt 0x0
	v_mov_b64_e32 v[20:21], v[54:55]
	s_and_b32 s7, s8, exec_lo
	s_delay_alu instid0(VALU_DEP_2)
	v_mov_b32_e32 v98, v92
.LBB677_64:
	s_or_b32 exec_lo, exec_lo, s47
	v_cndmask_b32_e64 v96, 0, 1, s5
	s_wait_dscnt 0x0
	v_mov_b64_e32 v[18:19], v[52:53]
	v_mov_b64_e32 v[56:57], v[52:53]
	s_and_b32 s6, s7, exec_lo
	v_mov_b32_e32 v99, v96
.LBB677_65:
	s_or_b32 exec_lo, exec_lo, s43
	s_wait_dscnt 0x0
	v_cndmask_b32_e64 v52, 0, 1, s4
	v_mov_b64_e32 v[24:25], v[50:51]
	s_and_b32 s5, s6, exec_lo
	s_delay_alu instid0(VALU_DEP_2)
	v_mov_b32_e32 v100, v52
.LBB677_66:
	s_or_b32 exec_lo, exec_lo, s33
	v_cndmask_b32_e64 v53, 0, 1, s3
	s_wait_dscnt 0x0
	v_mov_b64_e32 v[22:23], v[48:49]
	v_mov_b64_e32 v[86:87], v[48:49]
	s_and_b32 s4, s5, exec_lo
	v_mov_b32_e32 v101, v53
.LBB677_67:
	s_or_b32 exec_lo, exec_lo, s29
	s_wait_dscnt 0x0
	v_cndmask_b32_e64 v48, 0, 1, s2
	v_mov_b64_e32 v[28:29], v[46:47]
	s_and_b32 s3, s4, exec_lo
	s_delay_alu instid0(VALU_DEP_2)
	v_mov_b32_e32 v103, v48
.LBB677_68:
	s_or_b32 exec_lo, exec_lo, s22
	v_cndmask_b32_e64 v49, 0, 1, s1
	s_wait_dscnt 0x0
	v_mov_b64_e32 v[26:27], v[40:41]
	v_mov_b64_e32 v[88:89], v[40:41]
	s_and_b32 s2, s3, exec_lo
	v_mov_b32_e32 v105, v49
.LBB677_69:
	s_or_b32 exec_lo, exec_lo, s21
	s_wait_dscnt 0x0
	v_cndmask_b32_e64 v40, 0, 1, s0
	v_mov_b64_e32 v[4:5], v[38:39]
	s_and_b32 s1, s2, exec_lo
	s_delay_alu instid0(VALU_DEP_2)
	v_mov_b32_e32 v90, v40
.LBB677_70:
	s_or_b32 exec_lo, exec_lo, s19
	v_cndmask_b32_e64 v41, 0, 1, vcc_lo
	s_and_b32 s3, s1, exec_lo
	s_delay_alu instid0(VALU_DEP_1)
	v_mov_b32_e32 v1, v41
.LBB677_71:
	s_or_b32 exec_lo, exec_lo, s18
	v_lshlrev_b32_e32 v62, 3, v0
	s_and_b32 vcc_lo, exec_lo, s13
	s_cbranch_vccnz .LBB677_73
	s_branch .LBB677_74
.LBB677_72:
                                        ; implicit-def: $vgpr32_vgpr33
                                        ; implicit-def: $vgpr16_vgpr17
                                        ; implicit-def: $vgpr36
                                        ; implicit-def: $vgpr34_vgpr35
                                        ; implicit-def: $vgpr37
                                        ; implicit-def: $vgpr6_vgpr7
                                        ; implicit-def: $vgpr44
                                        ; implicit-def: $vgpr42_vgpr43
                                        ; implicit-def: $vgpr45
                                        ; implicit-def: $vgpr10_vgpr11
                                        ; implicit-def: $vgpr92
                                        ; implicit-def: $vgpr96
                                        ; implicit-def: $vgpr52
                                        ; implicit-def: $vgpr53
                                        ; implicit-def: $vgpr48
                                        ; implicit-def: $vgpr49
                                        ; implicit-def: $vgpr40
                                        ; implicit-def: $vgpr41
                                        ; implicit-def: $vgpr91
                                        ; implicit-def: $vgpr94
                                        ; implicit-def: $vgpr93
                                        ; implicit-def: $vgpr82_vgpr83
                                        ; implicit-def: $vgpr95
                                        ; implicit-def: $vgpr97
                                        ; implicit-def: $vgpr84_vgpr85
                                        ; implicit-def: $vgpr98
                                        ; implicit-def: $vgpr99
                                        ; implicit-def: $vgpr56_vgpr57
                                        ; implicit-def: $vgpr100
                                        ; implicit-def: $vgpr101
                                        ; implicit-def: $vgpr86_vgpr87
                                        ; implicit-def: $vgpr103
                                        ; implicit-def: $vgpr105
                                        ; implicit-def: $vgpr88_vgpr89
                                        ; implicit-def: $vgpr90
                                        ; implicit-def: $vgpr1
                                        ; implicit-def: $vgpr54_vgpr55
                                        ; implicit-def: $vgpr18_vgpr19
                                        ; implicit-def: $vgpr50_vgpr51
                                        ; implicit-def: $vgpr22_vgpr23
                                        ; implicit-def: $vgpr46_vgpr47
                                        ; implicit-def: $vgpr26_vgpr27
                                        ; implicit-def: $vgpr38_vgpr39
                                        ; implicit-def: $vgpr2_vgpr3
	v_lshlrev_b32_e32 v62, 3, v0
	s_cbranch_execz .LBB677_74
.LBB677_73:
	s_wait_dscnt 0x0
	s_clause 0xd
	flat_load_b64 v[2:3], v0, s[16:17] scale_offset
	flat_load_b64 v[4:5], v0, s[16:17] offset:2048 scale_offset
	flat_load_b64 v[6:7], v0, s[16:17] offset:4096 scale_offset
	;; [unrolled: 1-line block ×13, first 2 shown]
	v_mad_u32_u24 v1, 0x68, v0, v62
	s_or_b32 s3, s3, exec_lo
	s_wait_loadcnt_dscnt 0xc0c
	ds_store_2addr_stride64_b64 v62, v[2:3], v[4:5] offset1:4
	s_wait_loadcnt_dscnt 0xa0b
	ds_store_2addr_stride64_b64 v62, v[6:7], v[8:9] offset0:8 offset1:12
	s_wait_loadcnt_dscnt 0x80a
	ds_store_2addr_stride64_b64 v62, v[10:11], v[12:13] offset0:16 offset1:20
	;; [unrolled: 2-line block ×6, first 2 shown]
	s_wait_dscnt 0x0
	s_barrier_signal -1
	s_barrier_wait -1
	ds_load_b128 v[30:33], v1 offset:96
	v_mad_i32_i24 v26, 0xffffff98, v0, v1
	ds_load_b128 v[2:5], v1 offset:80
	ds_load_b128 v[6:9], v1 offset:64
	ds_load_b128 v[14:17], v1
	ds_load_b128 v[10:13], v1 offset:16
	ds_load_b128 v[18:21], v1 offset:32
	;; [unrolled: 1-line block ×3, first 2 shown]
	s_wait_dscnt 0x6
	ds_store_b64 v26, v[32:33] offset:28672
	s_wait_dscnt 0x0
	s_barrier_signal -1
	s_barrier_wait -1
	s_barrier_signal -1
	s_barrier_wait -1
	s_clause 0xd
	flat_load_b64 v[26:27], v0, s[14:15] scale_offset
	flat_load_b64 v[28:29], v0, s[14:15] offset:2048 scale_offset
	flat_load_b64 v[34:35], v0, s[14:15] offset:4096 scale_offset
	;; [unrolled: 1-line block ×13, first 2 shown]
	v_cmp_ne_u64_e32 vcc_lo, 0, v[30:31]
	s_wait_loadcnt_dscnt 0xc0c
	ds_store_2addr_stride64_b64 v62, v[26:27], v[28:29] offset1:4
	s_wait_loadcnt_dscnt 0xa0b
	ds_store_2addr_stride64_b64 v62, v[34:35], v[38:39] offset0:8 offset1:12
	s_wait_loadcnt_dscnt 0x80a
	ds_store_2addr_stride64_b64 v62, v[42:43], v[46:47] offset0:16 offset1:20
	;; [unrolled: 2-line block ×6, first 2 shown]
	v_cndmask_b32_e64 v91, 0, 1, vcc_lo
	v_cmp_ne_u64_e32 vcc_lo, 0, v[4:5]
	s_wait_dscnt 0x0
	s_barrier_signal -1
	s_barrier_wait -1
	v_cndmask_b32_e64 v36, 0, 1, vcc_lo
	v_cmp_ne_u64_e32 vcc_lo, 0, v[2:3]
	v_cndmask_b32_e64 v37, 0, 1, vcc_lo
	v_cmp_ne_u64_e32 vcc_lo, 0, v[8:9]
	s_delay_alu instid0(VALU_DEP_2) | instskip(SKIP_4) | instid1(VALU_DEP_2)
	v_dual_mov_b32 v94, v36 :: v_dual_mov_b32 v93, v37
	v_cndmask_b32_e64 v44, 0, 1, vcc_lo
	v_cmp_ne_u64_e32 vcc_lo, 0, v[6:7]
	v_cndmask_b32_e64 v45, 0, 1, vcc_lo
	v_cmp_ne_u64_e32 vcc_lo, 0, v[24:25]
	v_dual_mov_b32 v95, v44 :: v_dual_mov_b32 v97, v45
	v_cndmask_b32_e64 v92, 0, 1, vcc_lo
	v_cmp_ne_u64_e32 vcc_lo, 0, v[22:23]
	v_cndmask_b32_e64 v96, 0, 1, vcc_lo
	v_cmp_ne_u64_e32 vcc_lo, 0, v[20:21]
	s_delay_alu instid0(VALU_DEP_2) | instskip(SKIP_4) | instid1(VALU_DEP_2)
	v_dual_mov_b32 v98, v92 :: v_dual_mov_b32 v99, v96
	v_cndmask_b32_e64 v52, 0, 1, vcc_lo
	v_cmp_ne_u64_e32 vcc_lo, 0, v[18:19]
	v_cndmask_b32_e64 v53, 0, 1, vcc_lo
	v_cmp_ne_u64_e32 vcc_lo, 0, v[12:13]
	v_dual_mov_b32 v100, v52 :: v_dual_mov_b32 v101, v53
	v_cndmask_b32_e64 v48, 0, 1, vcc_lo
	v_cmp_ne_u64_e32 vcc_lo, 0, v[10:11]
	ds_load_b128 v[10:13], v1 offset:64
	ds_load_b128 v[6:9], v1 offset:80
	;; [unrolled: 1-line block ×5, first 2 shown]
	ds_load_b128 v[2:5], v1
	v_cndmask_b32_e64 v49, 0, 1, vcc_lo
	v_cmp_ne_u64_e32 vcc_lo, 0, v[16:17]
	s_delay_alu instid0(VALU_DEP_2)
	v_dual_mov_b32 v103, v48 :: v_dual_mov_b32 v105, v49
	v_cndmask_b32_e64 v40, 0, 1, vcc_lo
	v_cmp_ne_u64_e32 vcc_lo, 0, v[14:15]
	ds_load_b128 v[14:17], v1 offset:96
	s_wait_dscnt 0x5
	v_mov_b64_e32 v[82:83], v[6:7]
	v_mov_b64_e32 v[84:85], v[10:11]
	s_wait_dscnt 0x3
	v_mov_b64_e32 v[56:57], v[18:19]
	v_mov_b64_e32 v[86:87], v[22:23]
	s_wait_dscnt 0x2
	v_mov_b64_e32 v[88:89], v[26:27]
	v_cndmask_b32_e64 v41, 0, 1, vcc_lo
	v_mov_b64_e32 v[34:35], v[8:9]
	v_mov_b64_e32 v[42:43], v[12:13]
	;; [unrolled: 1-line block ×5, first 2 shown]
	s_wait_dscnt 0x1
	v_mov_b64_e32 v[38:39], v[4:5]
	v_dual_mov_b32 v90, v40 :: v_dual_mov_b32 v1, v41
.LBB677_74:
	v_mov_b64_e32 v[58:59], 0
	v_mov_b32_e32 v60, 0
	s_and_saveexec_b32 s0, s3
	s_cbranch_execz .LBB677_76
; %bb.75:
	v_cmp_ne_u64_e32 vcc_lo, 0, v[32:33]
	v_mov_b64_e32 v[4:5], v[38:39]
	v_mov_b64_e32 v[88:89], v[26:27]
	;; [unrolled: 1-line block ×11, first 2 shown]
	s_wait_dscnt 0x0
	v_mov_b64_e32 v[58:59], v[16:17]
	v_cndmask_b32_e64 v60, 0, 1, vcc_lo
	v_dual_mov_b32 v1, v41 :: v_dual_mov_b32 v90, v40
	v_dual_mov_b32 v105, v49 :: v_dual_mov_b32 v103, v48
	;; [unrolled: 1-line block ×6, first 2 shown]
.LBB677_76:
	s_or_b32 exec_lo, exec_lo, s0
	v_dual_lshrrev_b32 v55, 1, v0 :: v_dual_bitop2_b32 v61, 1, v105 bitop3:0x40
	v_and_b32_e32 v54, 1, v100
	v_and_b32_e32 v27, 1, v97
	;; [unrolled: 1-line block ×5, first 2 shown]
	v_cmp_eq_u32_e64 s13, 1, v61
	v_and_b32_e32 v76, 0xff, v103
	v_and_b32_e32 v75, 0xff, v101
	v_bitop3_b16 v64, v101, 0xff, v103 bitop3:0xc8
	v_and_b32_e32 v74, 0xff, v100
	v_cmp_eq_u32_e64 s14, 1, v54
	v_and_b32_e32 v73, 0xff, v99
	v_and_b32_e32 v72, 0xff, v98
	v_bitop3_b16 v65, v98, 0xff, v99 bitop3:0xc8
	v_and_b32_e32 v71, 0xff, v97
	;; [unrolled: 5-line block ×3, first 2 shown]
	v_cmp_eq_u32_e64 s16, 1, v26
	v_and_b32_e32 v67, 0xff, v91
	v_cmp_eq_u16_e64 s0, 0, v60
	v_bitop3_b16 v63, v60, 0xff, v91 bitop3:0xc8
	s_cmp_lg_u32 s46, 0
	s_wait_dscnt 0x0
	v_cmp_gt_u32_e32 vcc_lo, 32, v0
	s_barrier_signal -1
	s_barrier_wait -1
	s_cbranch_scc0 .LBB677_138
; %bb.77:
	v_cmp_eq_u16_e64 s1, 0, v78
	v_cmp_eq_u16_e64 s2, 0, v77
	;; [unrolled: 1-line block ×5, first 2 shown]
	v_dual_cndmask_b32 v7, 0, v3, s1 :: v_dual_cndmask_b32 v6, 0, v2, s1
	v_cmp_eq_u16_e64 s6, 0, v73
	v_cmp_eq_u16_e64 s7, 0, v72
	;; [unrolled: 1-line block ×4, first 2 shown]
	v_add_nc_u64_e32 v[6:7], v[6:7], v[4:5]
	v_cmp_eq_u16_e64 s10, 0, v69
	v_cmp_eq_u16_e64 s11, 0, v68
	v_cmp_eq_u16_e64 s12, 0, v67
	v_cmp_ne_u16_e64 s19, 0, v66
	v_bitop3_b16 v10, v90, 0xff, v1 bitop3:0xc8
	v_cmp_ne_u16_e64 s18, 0, v65
	v_dual_cndmask_b32 v7, 0, v7, s2 :: v_dual_cndmask_b32 v6, 0, v6, s2
	v_cmp_ne_u16_e64 s20, 0, v63
	v_cmp_ne_u16_e64 s17, 0, v64
	s_or_b32 s16, s19, s16
	v_cmp_ne_u16_e64 s21, 0, v10
	v_add_nc_u64_e32 v[6:7], v[6:7], v[88:89]
	s_or_b32 s15, s18, s15
	s_or_b32 s16, s20, s16
	s_or_b32 s14, s17, s14
	s_or_b32 s15, s16, s15
	v_and_b32_e32 v11, 0x70, v55
	s_or_b32 s13, s21, s13
	v_dual_cndmask_b32 v7, 0, v7, s3 :: v_dual_cndmask_b32 v6, 0, v6, s3
	s_or_b32 s14, s15, s14
	s_delay_alu instid0(VALU_DEP_2) | instskip(SKIP_1) | instid1(VALU_DEP_2)
	v_lshl_add_u32 v10, v0, 4, v11
	s_or_b32 s18, s14, s13
	v_add_nc_u64_e32 v[6:7], v[6:7], v[28:29]
	v_cndmask_b32_e64 v19, 0, 1, s18
	s_delay_alu instid0(VALU_DEP_2) | instskip(NEXT) | instid1(VALU_DEP_1)
	v_dual_cndmask_b32 v7, 0, v7, s4 :: v_dual_cndmask_b32 v6, 0, v6, s4
	v_add_nc_u64_e32 v[6:7], v[6:7], v[86:87]
	s_delay_alu instid0(VALU_DEP_1) | instskip(NEXT) | instid1(VALU_DEP_1)
	v_dual_cndmask_b32 v7, 0, v7, s5 :: v_dual_cndmask_b32 v6, 0, v6, s5
	v_add_nc_u64_e32 v[6:7], v[6:7], v[24:25]
	s_delay_alu instid0(VALU_DEP_1) | instskip(NEXT) | instid1(VALU_DEP_1)
	;; [unrolled: 3-line block ×9, first 2 shown]
	v_dual_cndmask_b32 v7, 0, v7, s0 :: v_dual_cndmask_b32 v6, 0, v6, s0
	v_add_nc_u64_e32 v[6:7], v[6:7], v[58:59]
	ds_store_b64 v10, v[6:7]
	ds_store_b8 v10, v19 offset:8
	s_wait_dscnt 0x0
	s_barrier_signal -1
	s_barrier_wait -1
	s_and_saveexec_b32 s16, vcc_lo
	s_cbranch_execz .LBB677_89
; %bb.78:
	v_dual_lshlrev_b32 v10, 2, v0 :: v_dual_lshlrev_b32 v11, 7, v0
	s_delay_alu instid0(VALU_DEP_1) | instskip(NEXT) | instid1(VALU_DEP_1)
	v_and_b32_e32 v10, 0x3f0, v10
	v_add_nc_u32_e32 v18, v10, v11
	ds_load_u8 v23, v18 offset:24
	ds_load_b64 v[10:11], v18
	ds_load_2addr_b64 v[30:33], v18 offset0:2 offset1:4
	ds_load_u8 v38, v18 offset:40
	ds_load_b32 v22, v18 offset:8
	ds_load_u8 v39, v18 offset:56
	ds_load_u8 v40, v18 offset:72
	;; [unrolled: 1-line block ×4, first 2 shown]
	s_wait_dscnt 0x8
	v_cmp_eq_u16_e64 s13, 0, v23
	s_wait_dscnt 0x7
	s_delay_alu instid0(VALU_DEP_1)
	v_dual_cndmask_b32 v17, 0, v11, s13 :: v_dual_cndmask_b32 v16, 0, v10, s13
	s_wait_dscnt 0x5
	v_cmp_eq_u16_e64 s13, 0, v38
	ds_load_2addr_b64 v[34:37], v18 offset0:6 offset1:8
	s_wait_dscnt 0x4
	v_bitop3_b16 v23, v38, v39, v23 bitop3:0xfe
	v_add_nc_u64_e32 v[16:17], v[16:17], v[30:31]
	s_delay_alu instid0(VALU_DEP_1) | instskip(SKIP_1) | instid1(VALU_DEP_2)
	v_dual_cndmask_b32 v17, 0, v17, s13 :: v_dual_cndmask_b32 v16, 0, v16, s13
	v_cmp_eq_u16_e64 s13, 0, v39
	v_add_nc_u64_e32 v[16:17], v[16:17], v[32:33]
	ds_load_2addr_b64 v[30:33], v18 offset0:10 offset1:12
	ds_load_u8 v43, v18 offset:120
	v_dual_cndmask_b32 v17, 0, v17, s13 :: v_dual_cndmask_b32 v16, 0, v16, s13
	s_wait_dscnt 0x5
	v_cmp_eq_u16_e64 s13, 0, v40
	s_wait_dscnt 0x2
	s_delay_alu instid0(VALU_DEP_2) | instskip(SKIP_1) | instid1(VALU_DEP_2)
	v_add_nc_u64_e32 v[16:17], v[16:17], v[34:35]
	v_bitop3_b16 v34, v41, v42, v40 bitop3:0xfe
	v_dual_cndmask_b32 v17, 0, v17, s13 :: v_dual_cndmask_b32 v16, 0, v16, s13
	v_cmp_eq_u16_e64 s13, 0, v41
	s_wait_dscnt 0x0
	s_delay_alu instid0(VALU_DEP_3) | instskip(SKIP_3) | instid1(VALU_DEP_1)
	v_bitop3_b16 v23, v43, v23, v34 bitop3:0xfe
	ds_load_b64 v[34:35], v18 offset:112
	v_cmp_eq_u16_e64 s15, 0, v43
	v_add_nc_u64_e32 v[16:17], v[16:17], v[36:37]
	v_dual_cndmask_b32 v17, 0, v17, s13 :: v_dual_cndmask_b32 v16, 0, v16, s13
	v_cmp_eq_u16_e64 s13, 0, v42
	s_delay_alu instid0(VALU_DEP_2) | instskip(SKIP_1) | instid1(VALU_DEP_2)
	v_add_nc_u64_e32 v[16:17], v[16:17], v[30:31]
	v_and_b32_e32 v30, 1, v22
	v_dual_cndmask_b32 v17, 0, v17, s13 :: v_dual_bitop2_b32 v23, 1, v23 bitop3:0x40
	s_delay_alu instid0(VALU_DEP_3) | instskip(NEXT) | instid1(VALU_DEP_3)
	v_cndmask_b32_e64 v16, 0, v16, s13
	v_cmp_eq_u32_e64 s13, 1, v30
	s_delay_alu instid0(VALU_DEP_3) | instskip(SKIP_4) | instid1(SALU_CYCLE_1)
	v_cmp_eq_u32_e64 s14, 1, v23
	v_and_b32_e32 v23, 0xffffff00, v22
	v_mbcnt_lo_u32_b32 v30, -1, 0
	v_add_nc_u64_e32 v[16:17], v[16:17], v[32:33]
	s_or_b32 s14, s14, s13
	v_cndmask_b32_e64 v32, 0, 1, s14
	v_cndmask_b32_e64 v31, 0, 1, s14
	s_delay_alu instid0(VALU_DEP_3) | instskip(NEXT) | instid1(VALU_DEP_3)
	v_dual_cndmask_b32 v17, 0, v17, s15 :: v_dual_cndmask_b32 v16, 0, v16, s15
	v_or_b32_e32 v33, v23, v32
	v_and_b32_e32 v32, 15, v30
	s_mov_b32 s15, exec_lo
	s_wait_dscnt 0x0
	v_add_nc_u64_e32 v[16:17], v[16:17], v[34:35]
	v_mov_b32_dpp v35, v33 row_shr:1 row_mask:0xf bank_mask:0xf
	s_delay_alu instid0(VALU_DEP_2) | instskip(NEXT) | instid1(VALU_DEP_3)
	v_mov_b32_dpp v34, v16 row_shr:1 row_mask:0xf bank_mask:0xf
	v_mov_b32_dpp v36, v17 row_shr:1 row_mask:0xf bank_mask:0xf
	v_cmpx_ne_u32_e32 0, v32
; %bb.79:
	s_delay_alu instid0(VALU_DEP_4) | instskip(NEXT) | instid1(VALU_DEP_3)
	v_bitop3_b16 v31, v35, v31, 1 bitop3:0xec
	v_cndmask_b32_e64 v35, v36, 0, s14
	v_cndmask_b32_e64 v34, v34, 0, s14
	s_delay_alu instid0(VALU_DEP_3) | instskip(NEXT) | instid1(VALU_DEP_2)
	v_and_b32_e32 v33, 0xffff, v31
	v_add_nc_u64_e32 v[16:17], v[34:35], v[16:17]
	s_delay_alu instid0(VALU_DEP_2)
	v_or_b32_e32 v33, v23, v33
; %bb.80:
	s_or_b32 exec_lo, exec_lo, s15
	s_delay_alu instid0(VALU_DEP_2) | instskip(NEXT) | instid1(VALU_DEP_3)
	v_mov_b32_dpp v34, v16 row_shr:2 row_mask:0xf bank_mask:0xf
	v_mov_b32_dpp v35, v17 row_shr:2 row_mask:0xf bank_mask:0xf
	s_delay_alu instid0(VALU_DEP_3)
	v_mov_b32_dpp v36, v33 row_shr:2 row_mask:0xf bank_mask:0xf
	s_mov_b32 s17, exec_lo
	v_cmpx_lt_u32_e32 1, v32
	s_cbranch_execz .LBB677_82
; %bb.81:
	v_cmp_eq_u16_e64 s13, 0, v31
	v_and_b32_e32 v33, 1, v31
	s_delay_alu instid0(VALU_DEP_2) | instskip(SKIP_1) | instid1(VALU_DEP_3)
	v_dual_cndmask_b32 v35, 0, v35, s13 :: v_dual_bitop2_b32 v36, 1, v36 bitop3:0x40
	v_cndmask_b32_e64 v34, 0, v34, s13
	v_cmp_eq_u32_e64 s14, 1, v33
	s_delay_alu instid0(VALU_DEP_3) | instskip(NEXT) | instid1(VALU_DEP_3)
	v_cmp_eq_u32_e64 s15, 1, v36
	v_add_nc_u64_e32 v[16:17], v[34:35], v[16:17]
	s_or_b32 s13, s14, s15
	s_delay_alu instid0(SALU_CYCLE_1) | instskip(SKIP_1) | instid1(VALU_DEP_2)
	v_cndmask_b32_e64 v33, 0, 1, s13
	v_cndmask_b32_e64 v31, 0, 1, s13
	v_or_b32_e32 v33, v23, v33
.LBB677_82:
	s_or_b32 exec_lo, exec_lo, s17
	s_delay_alu instid0(VALU_DEP_4) | instskip(SKIP_1) | instid1(VALU_DEP_3)
	v_mov_b32_dpp v34, v16 row_shr:4 row_mask:0xf bank_mask:0xf
	v_mov_b32_dpp v35, v17 row_shr:4 row_mask:0xf bank_mask:0xf
	;; [unrolled: 1-line block ×3, first 2 shown]
	s_mov_b32 s17, exec_lo
	v_cmpx_lt_u32_e32 3, v32
	s_cbranch_execz .LBB677_84
; %bb.83:
	v_cmp_eq_u16_e64 s13, 0, v31
	v_and_b32_e32 v33, 1, v31
	s_delay_alu instid0(VALU_DEP_2) | instskip(SKIP_1) | instid1(VALU_DEP_3)
	v_dual_cndmask_b32 v35, 0, v35, s13 :: v_dual_bitop2_b32 v36, 1, v36 bitop3:0x40
	v_cndmask_b32_e64 v34, 0, v34, s13
	v_cmp_eq_u32_e64 s14, 1, v33
	s_delay_alu instid0(VALU_DEP_3) | instskip(NEXT) | instid1(VALU_DEP_3)
	v_cmp_eq_u32_e64 s15, 1, v36
	v_add_nc_u64_e32 v[16:17], v[34:35], v[16:17]
	s_or_b32 s13, s14, s15
	s_delay_alu instid0(SALU_CYCLE_1) | instskip(SKIP_1) | instid1(VALU_DEP_2)
	v_cndmask_b32_e64 v33, 0, 1, s13
	v_cndmask_b32_e64 v31, 0, 1, s13
	v_or_b32_e32 v33, v23, v33
.LBB677_84:
	s_or_b32 exec_lo, exec_lo, s17
	s_delay_alu instid0(VALU_DEP_4) | instskip(SKIP_1) | instid1(VALU_DEP_3)
	v_mov_b32_dpp v34, v16 row_shr:8 row_mask:0xf bank_mask:0xf
	v_mov_b32_dpp v35, v17 row_shr:8 row_mask:0xf bank_mask:0xf
	;; [unrolled: 1-line block ×3, first 2 shown]
	s_mov_b32 s17, exec_lo
	v_cmpx_lt_u32_e32 7, v32
	s_cbranch_execz .LBB677_86
; %bb.85:
	v_and_b32_e32 v32, 1, v31
	v_cmp_eq_u16_e64 s13, 0, v31
	v_and_b32_e32 v33, 1, v36
	s_delay_alu instid0(VALU_DEP_3) | instskip(NEXT) | instid1(VALU_DEP_3)
	v_cmp_eq_u32_e64 s14, 1, v32
	v_cndmask_b32_e64 v32, 0, v34, s13
	s_delay_alu instid0(VALU_DEP_3) | instskip(SKIP_2) | instid1(VALU_DEP_1)
	v_cmp_eq_u32_e64 s15, 1, v33
	v_cndmask_b32_e64 v33, 0, v35, s13
	s_or_b32 s13, s14, s15
	v_add_nc_u64_e32 v[16:17], v[32:33], v[16:17]
	v_cndmask_b32_e64 v34, 0, 1, s13
	v_cndmask_b32_e64 v31, 0, 1, s13
	s_delay_alu instid0(VALU_DEP_2)
	v_or_b32_e32 v33, v23, v34
.LBB677_86:
	s_or_b32 exec_lo, exec_lo, s17
	ds_swizzle_b32 v32, v16 offset:swizzle(BROADCAST,32,15)
	ds_swizzle_b32 v34, v17 offset:swizzle(BROADCAST,32,15)
	;; [unrolled: 1-line block ×3, first 2 shown]
	v_and_b32_e32 v35, 16, v30
	s_mov_b32 s15, exec_lo
	s_delay_alu instid0(VALU_DEP_1)
	v_cmpx_ne_u32_e32 0, v35
	s_cbranch_execz .LBB677_88
; %bb.87:
	v_cmp_eq_u16_e64 s13, 0, v31
	v_and_b32_e32 v31, 1, v31
	s_wait_dscnt 0x0
	s_delay_alu instid0(VALU_DEP_2) | instskip(SKIP_1) | instid1(VALU_DEP_3)
	v_dual_cndmask_b32 v32, 0, v32, s13 :: v_dual_bitop2_b32 v35, 1, v33 bitop3:0x40
	v_cndmask_b32_e64 v33, 0, v34, s13
	v_cmp_eq_u32_e64 s13, 1, v31
	s_delay_alu instid0(VALU_DEP_3) | instskip(NEXT) | instid1(VALU_DEP_3)
	v_cmp_eq_u32_e64 s14, 1, v35
	v_add_nc_u64_e32 v[16:17], v[32:33], v[16:17]
	s_or_b32 s13, s13, s14
	s_delay_alu instid0(SALU_CYCLE_1)
	v_cndmask_b32_e64 v31, 0, 1, s13
.LBB677_88:
	s_or_b32 exec_lo, exec_lo, s15
	s_wait_dscnt 0x2
	v_add_nc_u32_e32 v32, -1, v30
	s_delay_alu instid0(VALU_DEP_2) | instskip(NEXT) | instid1(VALU_DEP_2)
	v_and_b32_e32 v31, 0xffff, v31
	; wave barrier
	v_cmp_gt_i32_e64 s13, 0, v32
	s_delay_alu instid0(VALU_DEP_1) | instskip(NEXT) | instid1(VALU_DEP_1)
	v_dual_cndmask_b32 v30, v32, v30, s13 :: v_dual_bitop2_b32 v23, v23, v31 bitop3:0x54
	v_lshlrev_b32_e32 v30, 2, v30
	ds_bpermute_b32 v17, v30, v17
	ds_bpermute_b32 v16, v30, v16
	;; [unrolled: 1-line block ×3, first 2 shown]
	v_and_b32_e32 v30, 0xff, v22
	s_delay_alu instid0(VALU_DEP_1) | instskip(SKIP_1) | instid1(VALU_DEP_1)
	v_cmp_eq_u32_e64 s13, 0, v30
	s_wait_dscnt 0x1
	v_dual_cndmask_b32 v17, 0, v17, s13 :: v_dual_cndmask_b32 v16, 0, v16, s13
	v_cmp_eq_u32_e64 s13, 0, v0
	s_wait_dscnt 0x0
	v_or_b32_e32 v22, v23, v22
	s_delay_alu instid0(VALU_DEP_3) | instskip(NEXT) | instid1(VALU_DEP_1)
	v_add_nc_u64_e32 v[10:11], v[16:17], v[10:11]
	v_dual_cndmask_b32 v11, v11, v7, s13 :: v_dual_bitop2_b32 v16, 1, v22 bitop3:0x40
	s_delay_alu instid0(VALU_DEP_1)
	v_dual_cndmask_b32 v10, v10, v6, s13 :: v_dual_cndmask_b32 v19, v16, v19, s13
	ds_store_b64 v18, v[10:11]
	ds_store_b8 v18, v19 offset:8
	; wave barrier
	ds_load_u8 v40, v18 offset:24
	ds_load_2addr_b64 v[30:33], v18 offset0:2 offset1:4
	ds_load_u8 v41, v18 offset:40
	ds_load_u8 v42, v18 offset:56
	;; [unrolled: 1-line block ×5, first 2 shown]
	ds_load_b64 v[16:17], v18 offset:112
	ds_load_u8 v46, v18 offset:120
	ds_load_2addr_b64 v[34:37], v18 offset0:6 offset1:8
	s_wait_dscnt 0x9
	v_and_b32_e32 v22, 0xff, v40
	v_bitop3_b16 v48, v40, 1, v19 bitop3:0xc8
	s_delay_alu instid0(VALU_DEP_2)
	v_cmp_eq_u16_e64 s13, 0, v22
	s_wait_dscnt 0x7
	v_and_b32_e32 v22, 0xff, v41
	s_wait_dscnt 0x4
	v_and_b32_e32 v47, 0xff, v44
	v_dual_cndmask_b32 v11, 0, v11, s13 :: v_dual_cndmask_b32 v10, 0, v10, s13
	s_delay_alu instid0(VALU_DEP_3) | instskip(NEXT) | instid1(VALU_DEP_2)
	v_cmp_eq_u16_e64 s13, 0, v22
	v_add_nc_u64_e32 v[10:11], v[10:11], v[30:31]
	v_and_b32_e32 v30, 0xff, v42
	s_delay_alu instid0(VALU_DEP_2) | instskip(NEXT) | instid1(VALU_DEP_2)
	v_dual_cndmask_b32 v23, 0, v11, s13 :: v_dual_cndmask_b32 v22, 0, v10, s13
	v_cmp_eq_u16_e64 s13, 0, v30
	s_delay_alu instid0(VALU_DEP_2) | instskip(SKIP_1) | instid1(VALU_DEP_2)
	v_add_nc_u64_e32 v[22:23], v[22:23], v[32:33]
	v_and_b32_e32 v32, 0xff, v43
	v_dual_cndmask_b32 v31, 0, v23, s13 :: v_dual_cndmask_b32 v30, 0, v22, s13
	s_delay_alu instid0(VALU_DEP_2) | instskip(SKIP_1) | instid1(VALU_DEP_2)
	v_cmp_eq_u16_e64 s13, 0, v32
	s_wait_dscnt 0x0
	v_add_nc_u64_e32 v[34:35], v[30:31], v[34:35]
	ds_load_2addr_b64 v[30:33], v18 offset0:10 offset1:12
	v_dual_cndmask_b32 v39, 0, v35, s13 :: v_dual_cndmask_b32 v38, 0, v34, s13
	v_cmp_eq_u16_e64 s13, 0, v47
	v_and_b32_e32 v47, 0xff, v45
	s_delay_alu instid0(VALU_DEP_3) | instskip(NEXT) | instid1(VALU_DEP_1)
	v_add_nc_u64_e32 v[36:37], v[38:39], v[36:37]
	v_dual_cndmask_b32 v39, 0, v37, s13 :: v_dual_cndmask_b32 v38, 0, v36, s13
	s_delay_alu instid0(VALU_DEP_3) | instskip(SKIP_4) | instid1(VALU_DEP_3)
	v_cmp_eq_u16_e64 s13, 0, v47
	v_or_b32_e32 v47, v40, v19
	v_bitop3_b16 v19, v41, v40, v19 bitop3:0xfe
	s_wait_dscnt 0x0
	v_add_nc_u64_e32 v[30:31], v[38:39], v[30:31]
	v_bitop3_b16 v40, v42, v41, v47 bitop3:0xfe
	v_bitop3_b16 v41, v41, 1, v47 bitop3:0xc8
	;; [unrolled: 1-line block ×4, first 2 shown]
	v_dual_cndmask_b32 v39, 0, v31, s13 :: v_dual_cndmask_b32 v38, 0, v30, s13
	v_cmp_eq_u16_e64 s13, 0, v46
	s_delay_alu instid0(VALU_DEP_3) | instskip(SKIP_1) | instid1(VALU_DEP_4)
	v_bitop3_b16 v42, v45, v44, v19 bitop3:0xfe
	v_bitop3_b16 v19, v44, 1, v19 bitop3:0xc8
	v_add_nc_u64_e32 v[32:33], v[38:39], v[32:33]
	v_bitop3_b16 v38, v44, v43, v40 bitop3:0xfe
	v_bitop3_b16 v40, v43, 1, v40 bitop3:0xc8
	ds_store_2addr_b64 v18, v[10:11], v[22:23] offset0:2 offset1:4
	ds_store_2addr_b64 v18, v[34:35], v[36:37] offset0:6 offset1:8
	;; [unrolled: 1-line block ×3, first 2 shown]
	v_bitop3_b16 v43, v45, 1, v38 bitop3:0xc8
	v_dual_cndmask_b32 v39, 0, v33, s13 :: v_dual_cndmask_b32 v38, 0, v32, s13
	v_bitop3_b16 v42, v46, 1, v42 bitop3:0xc8
	s_delay_alu instid0(VALU_DEP_2)
	v_add_nc_u64_e32 v[10:11], v[38:39], v[16:17]
	ds_store_b8 v18, v48 offset:24
	ds_store_b8 v18, v41 offset:40
	;; [unrolled: 1-line block ×6, first 2 shown]
	ds_store_b64 v18, v[10:11] offset:112
	ds_store_b8 v18, v42 offset:120
.LBB677_89:
	s_or_b32 exec_lo, exec_lo, s16
	v_cmp_eq_u32_e64 s13, 0, v0
	s_mov_b32 s15, exec_lo
	s_wait_dscnt 0x0
	s_barrier_signal -1
	s_barrier_wait -1
	v_cmpx_ne_u32_e32 0, v0
	s_cbranch_execz .LBB677_91
; %bb.90:
	v_add_nc_u32_e32 v6, -1, v0
	s_and_not1_b32 s16, s18, exec_lo
	s_delay_alu instid0(VALU_DEP_1) | instskip(NEXT) | instid1(VALU_DEP_1)
	v_lshrrev_b32_e32 v7, 1, v6
	v_and_b32_e32 v7, 0x7ffffff0, v7
	s_delay_alu instid0(VALU_DEP_1) | instskip(SKIP_4) | instid1(VALU_DEP_1)
	v_lshl_add_u32 v6, v6, 4, v7
	ds_load_u8 v10, v6 offset:8
	ds_load_b64 v[6:7], v6
	s_wait_dscnt 0x1
	v_and_b32_e32 v10, 1, v10
	v_cmp_eq_u32_e64 s14, 1, v10
	s_and_b32 s14, s14, exec_lo
	s_delay_alu instid0(SALU_CYCLE_1)
	s_or_b32 s18, s16, s14
.LBB677_91:
	s_or_b32 exec_lo, exec_lo, s15
	s_and_saveexec_b32 s19, vcc_lo
	s_cbranch_execz .LBB677_191
; %bb.92:
	v_mov_b32_e32 v19, 0
	v_mbcnt_lo_u32_b32 v31, -1, 0
	s_mov_b32 s17, 0
	ds_load_b64 v[10:11], v19 offset:4192
	ds_load_u8 v30, v19 offset:4200
	v_cmp_eq_u32_e64 s14, 0, v31
	s_and_saveexec_b32 s15, s14
	s_cbranch_execz .LBB677_94
; %bb.93:
	s_add_co_i32 s16, s46, 32
	s_delay_alu instid0(SALU_CYCLE_1) | instskip(SKIP_1) | instid1(SALU_CYCLE_1)
	v_dual_mov_b32 v16, 1 :: v_dual_mov_b32 v17, s16
	s_lshl_b64 s[20:21], s[16:17], 4
	s_add_nc_u64 s[16:17], s[36:37], s[20:21]
	s_wait_dscnt 0x1
	global_store_b64 v19, v[10:11], s[16:17]
	s_wait_dscnt 0x0
	global_store_b8 v19, v30, s[16:17] offset:8
	global_wb scope:SCOPE_DEV
	s_wait_storecnt 0x0
	global_inv scope:SCOPE_DEV
	s_wait_xcnt 0x0
	global_store_b8 v17, v16, s[40:41] scope:SCOPE_DEV
.LBB677_94:
	s_wait_xcnt 0x0
	s_or_b32 exec_lo, exec_lo, s15
	v_xad_u32 v16, v31, -1, s46
	s_mov_b32 s15, exec_lo
	s_delay_alu instid0(VALU_DEP_1)
	v_add_nc_u32_e32 v18, 32, v16
	global_load_u8 v32, v18, s[40:41] scope:SCOPE_DEV
	s_wait_loadcnt 0x0
	v_cmpx_eq_u16_e32 0, v32
	s_cbranch_execz .LBB677_98
; %bb.95:
	v_add_nc_u64_e32 v[22:23], s[40:41], v[18:19]
	s_mov_b32 s16, 0
.LBB677_96:                             ; =>This Inner Loop Header: Depth=1
	global_load_u8 v32, v[22:23], off scope:SCOPE_DEV
	s_wait_loadcnt 0x0
	v_cmp_ne_u16_e32 vcc_lo, 0, v32
	s_or_b32 s16, vcc_lo, s16
	s_wait_xcnt 0x0
	s_and_not1_b32 exec_lo, exec_lo, s16
	s_cbranch_execnz .LBB677_96
; %bb.97:
	s_or_b32 exec_lo, exec_lo, s16
.LBB677_98:
	s_delay_alu instid0(SALU_CYCLE_1)
	s_or_b32 exec_lo, exec_lo, s15
	v_dual_mov_b32 v17, s37 :: v_dual_mov_b32 v22, s36
	v_cmp_eq_u16_e32 vcc_lo, 1, v32
	global_wb scope:SCOPE_DEV
	s_wait_storecnt_dscnt 0x0
	global_inv scope:SCOPE_DEV
	v_lshlrev_b32_e64 v34, v31, -1
	s_mov_b32 s15, exec_lo
	v_cndmask_b32_e32 v23, s39, v17, vcc_lo
	v_cndmask_b32_e32 v22, s38, v22, vcc_lo
	v_cmp_ne_u32_e32 vcc_lo, 31, v31
	v_add_co_ci_u32_e64 v17, null, 0, v31, vcc_lo
	v_cmp_eq_u16_e32 vcc_lo, 2, v32
	s_delay_alu instid0(VALU_DEP_2)
	v_lshlrev_b32_e32 v33, 2, v17
	v_lshl_add_u64 v[18:19], v[18:19], 4, v[22:23]
	s_clause 0x1
	global_load_u8 v44, v[18:19], off offset:8
	global_load_b64 v[22:23], v[18:19], off
	v_and_or_b32 v17, vcc_lo, v34, 0x80000000
	s_delay_alu instid0(VALU_DEP_1)
	v_ctz_i32_b32_e32 v17, v17
	s_wait_loadcnt 0x1
	s_wait_xcnt 0x0
	v_and_b32_e32 v18, 1, v44
	s_wait_loadcnt 0x0
	ds_bpermute_b32 v35, v33, v22
	ds_bpermute_b32 v36, v33, v23
	;; [unrolled: 1-line block ×3, first 2 shown]
	v_cmpx_lt_u32_e64 v31, v17
	s_cbranch_execz .LBB677_100
; %bb.99:
	v_and_b32_e32 v18, 0xff, v44
	s_wait_dscnt 0x0
	v_bitop3_b16 v44, v19, v44, 1 bitop3:0xec
	s_delay_alu instid0(VALU_DEP_2) | instskip(NEXT) | instid1(VALU_DEP_2)
	v_cmp_eq_u16_e32 vcc_lo, 0, v18
	v_and_b32_e32 v18, 0xff, v44
	v_dual_cndmask_b32 v37, 0, v36 :: v_dual_cndmask_b32 v36, 0, v35
	s_delay_alu instid0(VALU_DEP_1)
	v_add_nc_u64_e32 v[22:23], v[36:37], v[22:23]
.LBB677_100:
	s_or_b32 exec_lo, exec_lo, s15
	v_cmp_gt_u32_e32 vcc_lo, 30, v31
	s_wait_dscnt 0x1
	v_add_nc_u32_e32 v36, 2, v31
	s_mov_b32 s16, exec_lo
	s_wait_dscnt 0x0
	v_cndmask_b32_e64 v19, 0, 2, vcc_lo
	s_delay_alu instid0(VALU_DEP_1)
	v_add_lshl_u32 v35, v19, v31, 2
	ds_bpermute_b32 v19, v35, v22
	ds_bpermute_b32 v37, v35, v23
	;; [unrolled: 1-line block ×3, first 2 shown]
	v_cmpx_le_u32_e64 v36, v17
	s_cbranch_execz .LBB677_102
; %bb.101:
	v_and_b32_e32 v18, 0xff, v44
	s_delay_alu instid0(VALU_DEP_1) | instskip(SKIP_4) | instid1(VALU_DEP_3)
	v_cmp_eq_u16_e32 vcc_lo, 0, v18
	v_and_b32_e32 v40, 1, v44
	s_wait_dscnt 0x0
	v_dual_cndmask_b32 v38, 0, v19, vcc_lo :: v_dual_bitop2_b32 v18, 1, v38 bitop3:0x40
	v_cndmask_b32_e32 v39, 0, v37, vcc_lo
	v_cmp_eq_u32_e64 s15, 1, v40
	s_delay_alu instid0(VALU_DEP_3) | instskip(NEXT) | instid1(VALU_DEP_3)
	v_cmp_eq_u32_e32 vcc_lo, 1, v18
	v_add_nc_u64_e32 v[22:23], v[38:39], v[22:23]
	s_or_b32 s15, s15, vcc_lo
	s_delay_alu instid0(SALU_CYCLE_1)
	v_cndmask_b32_e64 v44, 0, 1, s15
	v_cndmask_b32_e64 v18, 0, 1, s15
.LBB677_102:
	s_or_b32 exec_lo, exec_lo, s16
	v_cmp_gt_u32_e32 vcc_lo, 28, v31
	s_wait_dscnt 0x0
	v_add_nc_u32_e32 v38, 4, v31
	s_mov_b32 s16, exec_lo
	v_cndmask_b32_e64 v19, 0, 4, vcc_lo
	s_delay_alu instid0(VALU_DEP_1)
	v_add_lshl_u32 v37, v19, v31, 2
	ds_bpermute_b32 v19, v37, v22
	ds_bpermute_b32 v39, v37, v23
	;; [unrolled: 1-line block ×3, first 2 shown]
	v_cmpx_le_u32_e64 v38, v17
	s_cbranch_execz .LBB677_104
; %bb.103:
	v_and_b32_e32 v18, 0xff, v44
	s_delay_alu instid0(VALU_DEP_1) | instskip(SKIP_4) | instid1(VALU_DEP_3)
	v_cmp_eq_u16_e32 vcc_lo, 0, v18
	v_and_b32_e32 v42, 1, v44
	s_wait_dscnt 0x0
	v_dual_cndmask_b32 v40, 0, v19, vcc_lo :: v_dual_bitop2_b32 v18, 1, v40 bitop3:0x40
	v_cndmask_b32_e32 v41, 0, v39, vcc_lo
	v_cmp_eq_u32_e64 s15, 1, v42
	s_delay_alu instid0(VALU_DEP_3) | instskip(NEXT) | instid1(VALU_DEP_3)
	v_cmp_eq_u32_e32 vcc_lo, 1, v18
	v_add_nc_u64_e32 v[22:23], v[40:41], v[22:23]
	s_or_b32 s15, s15, vcc_lo
	s_delay_alu instid0(SALU_CYCLE_1)
	v_cndmask_b32_e64 v44, 0, 1, s15
	v_cndmask_b32_e64 v18, 0, 1, s15
.LBB677_104:
	s_or_b32 exec_lo, exec_lo, s16
	v_cmp_gt_u32_e32 vcc_lo, 24, v31
	s_wait_dscnt 0x0
	v_add_nc_u32_e32 v40, 8, v31
	s_mov_b32 s16, exec_lo
	v_cndmask_b32_e64 v19, 0, 8, vcc_lo
	s_delay_alu instid0(VALU_DEP_1)
	v_add_lshl_u32 v39, v19, v31, 2
	ds_bpermute_b32 v19, v39, v22
	ds_bpermute_b32 v41, v39, v23
	;; [unrolled: 1-line block ×3, first 2 shown]
	v_cmpx_le_u32_e64 v40, v17
	s_cbranch_execz .LBB677_106
; %bb.105:
	v_and_b32_e32 v18, 0xff, v44
	s_delay_alu instid0(VALU_DEP_1) | instskip(SKIP_4) | instid1(VALU_DEP_3)
	v_cmp_eq_u16_e32 vcc_lo, 0, v18
	v_and_b32_e32 v44, 1, v44
	s_wait_dscnt 0x0
	v_dual_cndmask_b32 v42, 0, v19, vcc_lo :: v_dual_bitop2_b32 v18, 1, v42 bitop3:0x40
	v_cndmask_b32_e32 v43, 0, v41, vcc_lo
	v_cmp_eq_u32_e64 s15, 1, v44
	s_delay_alu instid0(VALU_DEP_3) | instskip(NEXT) | instid1(VALU_DEP_3)
	v_cmp_eq_u32_e32 vcc_lo, 1, v18
	v_add_nc_u64_e32 v[22:23], v[42:43], v[22:23]
	s_or_b32 s15, s15, vcc_lo
	s_delay_alu instid0(SALU_CYCLE_1)
	v_cndmask_b32_e64 v44, 0, 1, s15
	v_cndmask_b32_e64 v18, 0, 1, s15
.LBB677_106:
	s_or_b32 exec_lo, exec_lo, s16
	s_wait_dscnt 0x1
	v_lshl_or_b32 v41, v31, 2, 64
	v_add_nc_u32_e32 v43, 16, v31
	s_mov_b32 s16, exec_lo
	ds_bpermute_b32 v19, v41, v22
	s_wait_dscnt 0x1
	ds_bpermute_b32 v42, v41, v23
	ds_bpermute_b32 v18, v41, v18
	v_cmpx_le_u32_e64 v43, v17
	s_cbranch_execz .LBB677_108
; %bb.107:
	v_and_b32_e32 v17, 0xff, v44
	s_delay_alu instid0(VALU_DEP_1) | instskip(SKIP_4) | instid1(VALU_DEP_3)
	v_cmp_eq_u16_e32 vcc_lo, 0, v17
	v_and_b32_e32 v17, 1, v44
	s_wait_dscnt 0x0
	v_dual_cndmask_b32 v44, 0, v19, vcc_lo :: v_dual_bitop2_b32 v18, 1, v18 bitop3:0x40
	v_cndmask_b32_e32 v45, 0, v42, vcc_lo
	v_cmp_eq_u32_e32 vcc_lo, 1, v17
	s_delay_alu instid0(VALU_DEP_3) | instskip(NEXT) | instid1(VALU_DEP_3)
	v_cmp_eq_u32_e64 s15, 1, v18
	v_add_nc_u64_e32 v[22:23], v[44:45], v[22:23]
	s_or_b32 s15, vcc_lo, s15
	s_delay_alu instid0(SALU_CYCLE_1)
	v_cndmask_b32_e64 v44, 0, 1, s15
.LBB677_108:
	s_or_b32 exec_lo, exec_lo, s16
	v_mov_b32_e32 v17, 0
	s_branch .LBB677_111
.LBB677_109:                            ;   in Loop: Header=BB677_111 Depth=1
	s_or_b32 exec_lo, exec_lo, s17
	v_and_b32_e32 v44, 0xff, v42
	v_subrev_nc_u32_e32 v16, 32, v16
	s_delay_alu instid0(VALU_DEP_2) | instskip(SKIP_2) | instid1(VALU_DEP_2)
	v_cmp_eq_u16_e32 vcc_lo, 0, v44
	v_dual_cndmask_b32 v23, 0, v23, vcc_lo :: v_dual_bitop2_b32 v44, 1, v42 bitop3:0x40
	v_cndmask_b32_e32 v22, 0, v22, vcc_lo
	v_cmp_eq_u32_e32 vcc_lo, 1, v44
	s_delay_alu instid0(VALU_DEP_2) | instskip(SKIP_1) | instid1(SALU_CYCLE_1)
	v_add_nc_u64_e32 v[22:23], v[22:23], v[18:19]
	s_or_b32 s15, vcc_lo, s16
	v_cndmask_b32_e64 v44, 0, 1, s15
	s_mov_b32 s15, 0
.LBB677_110:                            ;   in Loop: Header=BB677_111 Depth=1
	s_delay_alu instid0(SALU_CYCLE_1)
	s_and_b32 vcc_lo, exec_lo, s15
	s_cbranch_vccnz .LBB677_187
.LBB677_111:                            ; =>This Loop Header: Depth=1
                                        ;     Child Loop BB677_114 Depth 2
	s_wait_dscnt 0x0
	v_and_b32_e32 v18, 0xff, v32
	v_mov_b32_e32 v42, v44
	s_mov_b32 s15, -1
                                        ; implicit-def: $vgpr44
                                        ; implicit-def: $vgpr32
	s_delay_alu instid0(VALU_DEP_2)
	v_cmp_ne_u16_e32 vcc_lo, 2, v18
	v_mov_b64_e32 v[18:19], v[22:23]
                                        ; implicit-def: $vgpr22_vgpr23
	s_cmp_lg_u32 vcc_lo, exec_lo
	s_cbranch_scc1 .LBB677_110
; %bb.112:                              ;   in Loop: Header=BB677_111 Depth=1
	global_load_u8 v32, v16, s[40:41] scope:SCOPE_DEV
	s_mov_b32 s15, exec_lo
	s_wait_loadcnt 0x0
	v_cmpx_eq_u16_e32 0, v32
	s_cbranch_execz .LBB677_116
; %bb.113:                              ;   in Loop: Header=BB677_111 Depth=1
	v_add_nc_u64_e32 v[22:23], s[40:41], v[16:17]
	s_mov_b32 s16, 0
.LBB677_114:                            ;   Parent Loop BB677_111 Depth=1
                                        ; =>  This Inner Loop Header: Depth=2
	global_load_u8 v32, v[22:23], off scope:SCOPE_DEV
	s_wait_loadcnt 0x0
	v_cmp_ne_u16_e32 vcc_lo, 0, v32
	s_or_b32 s16, vcc_lo, s16
	s_delay_alu instid0(SALU_CYCLE_1)
	s_and_not1_b32 exec_lo, exec_lo, s16
	s_cbranch_execnz .LBB677_114
; %bb.115:                              ;   in Loop: Header=BB677_111 Depth=1
	s_or_b32 exec_lo, exec_lo, s16
.LBB677_116:                            ;   in Loop: Header=BB677_111 Depth=1
	s_delay_alu instid0(SALU_CYCLE_1)
	s_or_b32 exec_lo, exec_lo, s15
	v_dual_mov_b32 v22, s37 :: v_dual_mov_b32 v44, s36
	v_cmp_eq_u16_e32 vcc_lo, 1, v32
	global_wb scope:SCOPE_DEV
	s_wait_storecnt 0x0
	global_inv scope:SCOPE_DEV
	s_mov_b32 s15, exec_lo
	v_cndmask_b32_e32 v23, s39, v22, vcc_lo
	v_cndmask_b32_e32 v22, s38, v44, vcc_lo
	v_cmp_eq_u16_e32 vcc_lo, 2, v32
	s_delay_alu instid0(VALU_DEP_2)
	v_lshl_add_u64 v[46:47], v[16:17], 4, v[22:23]
	v_and_or_b32 v44, vcc_lo, v34, 0x80000000
	s_clause 0x1
	global_load_u8 v45, v[46:47], off offset:8
	global_load_b64 v[22:23], v[46:47], off
	v_ctz_i32_b32_e32 v44, v44
	s_wait_loadcnt 0x1
	s_wait_xcnt 0x0
	v_and_b32_e32 v46, 1, v45
	s_wait_loadcnt 0x0
	ds_bpermute_b32 v48, v33, v22
	ds_bpermute_b32 v49, v33, v23
	;; [unrolled: 1-line block ×3, first 2 shown]
	v_cmpx_lt_u32_e64 v31, v44
	s_cbranch_execz .LBB677_118
; %bb.117:                              ;   in Loop: Header=BB677_111 Depth=1
	v_and_b32_e32 v46, 0xff, v45
	s_wait_dscnt 0x0
	v_bitop3_b16 v45, v47, v45, 1 bitop3:0xec
	s_delay_alu instid0(VALU_DEP_2) | instskip(NEXT) | instid1(VALU_DEP_2)
	v_cmp_eq_u16_e32 vcc_lo, 0, v46
	v_and_b32_e32 v46, 0xff, v45
	v_dual_cndmask_b32 v49, 0, v49 :: v_dual_cndmask_b32 v48, 0, v48
	s_delay_alu instid0(VALU_DEP_1)
	v_add_nc_u64_e32 v[22:23], v[48:49], v[22:23]
.LBB677_118:                            ;   in Loop: Header=BB677_111 Depth=1
	s_or_b32 exec_lo, exec_lo, s15
	s_wait_dscnt 0x0
	ds_bpermute_b32 v47, v35, v22
	ds_bpermute_b32 v48, v35, v23
	;; [unrolled: 1-line block ×3, first 2 shown]
	v_and_b32_e32 v50, 1, v45
	s_mov_b32 s15, exec_lo
	s_delay_alu instid0(VALU_DEP_1)
	v_cmp_eq_u32_e64 s16, 1, v50
	v_cmpx_le_u32_e64 v36, v44
	s_cbranch_execz .LBB677_120
; %bb.119:                              ;   in Loop: Header=BB677_111 Depth=1
	v_and_b32_e32 v45, 0xff, v45
	s_delay_alu instid0(VALU_DEP_1) | instskip(SKIP_3) | instid1(VALU_DEP_2)
	v_cmp_eq_u16_e32 vcc_lo, 0, v45
	s_wait_dscnt 0x0
	v_dual_cndmask_b32 v49, 0, v48, vcc_lo :: v_dual_bitop2_b32 v45, 1, v49 bitop3:0x40
	v_cndmask_b32_e32 v48, 0, v47, vcc_lo
	v_cmp_eq_u32_e32 vcc_lo, 1, v45
	s_delay_alu instid0(VALU_DEP_2)
	v_add_nc_u64_e32 v[22:23], v[48:49], v[22:23]
	s_or_b32 s17, s16, vcc_lo
	s_and_not1_b32 s16, s16, exec_lo
	v_cndmask_b32_e64 v45, 0, 1, s17
	v_cndmask_b32_e64 v46, 0, 1, s17
	s_and_b32 s17, s17, exec_lo
	s_delay_alu instid0(SALU_CYCLE_1)
	s_or_b32 s16, s16, s17
.LBB677_120:                            ;   in Loop: Header=BB677_111 Depth=1
	s_or_b32 exec_lo, exec_lo, s15
	s_wait_dscnt 0x2
	ds_bpermute_b32 v47, v37, v22
	s_wait_dscnt 0x2
	ds_bpermute_b32 v48, v37, v23
	;; [unrolled: 2-line block ×3, first 2 shown]
	s_mov_b32 s17, exec_lo
	v_cmpx_le_u32_e64 v38, v44
	s_cbranch_execz .LBB677_122
; %bb.121:                              ;   in Loop: Header=BB677_111 Depth=1
	v_and_b32_e32 v46, 0xff, v45
	s_and_not1_b32 s16, s16, exec_lo
	s_delay_alu instid0(VALU_DEP_1) | instskip(SKIP_3) | instid1(VALU_DEP_2)
	v_cmp_eq_u16_e32 vcc_lo, 0, v46
	v_and_b32_e32 v45, 1, v45
	s_wait_dscnt 0x0
	v_dual_cndmask_b32 v49, 0, v48, vcc_lo :: v_dual_bitop2_b32 v46, 1, v49 bitop3:0x40
	v_cmp_eq_u32_e64 s15, 1, v45
	v_cndmask_b32_e32 v48, 0, v47, vcc_lo
	s_delay_alu instid0(VALU_DEP_3) | instskip(NEXT) | instid1(VALU_DEP_2)
	v_cmp_eq_u32_e32 vcc_lo, 1, v46
	v_add_nc_u64_e32 v[22:23], v[48:49], v[22:23]
	s_or_b32 s15, s15, vcc_lo
	s_delay_alu instid0(SALU_CYCLE_1) | instskip(SKIP_2) | instid1(SALU_CYCLE_1)
	v_cndmask_b32_e64 v45, 0, 1, s15
	v_cndmask_b32_e64 v46, 0, 1, s15
	s_and_b32 s15, s15, exec_lo
	s_or_b32 s16, s16, s15
.LBB677_122:                            ;   in Loop: Header=BB677_111 Depth=1
	s_or_b32 exec_lo, exec_lo, s17
	s_wait_dscnt 0x2
	ds_bpermute_b32 v47, v39, v22
	s_wait_dscnt 0x2
	ds_bpermute_b32 v48, v39, v23
	;; [unrolled: 2-line block ×3, first 2 shown]
	s_mov_b32 s17, exec_lo
	v_cmpx_le_u32_e64 v40, v44
	s_cbranch_execz .LBB677_124
; %bb.123:                              ;   in Loop: Header=BB677_111 Depth=1
	v_and_b32_e32 v46, 0xff, v45
	s_and_not1_b32 s16, s16, exec_lo
	s_delay_alu instid0(VALU_DEP_1) | instskip(SKIP_3) | instid1(VALU_DEP_2)
	v_cmp_eq_u16_e32 vcc_lo, 0, v46
	v_and_b32_e32 v45, 1, v45
	s_wait_dscnt 0x0
	v_dual_cndmask_b32 v49, 0, v48, vcc_lo :: v_dual_bitop2_b32 v46, 1, v49 bitop3:0x40
	v_cmp_eq_u32_e64 s15, 1, v45
	v_cndmask_b32_e32 v48, 0, v47, vcc_lo
	s_delay_alu instid0(VALU_DEP_3) | instskip(NEXT) | instid1(VALU_DEP_2)
	v_cmp_eq_u32_e32 vcc_lo, 1, v46
	v_add_nc_u64_e32 v[22:23], v[48:49], v[22:23]
	s_or_b32 s15, s15, vcc_lo
	s_delay_alu instid0(SALU_CYCLE_1) | instskip(SKIP_2) | instid1(SALU_CYCLE_1)
	v_cndmask_b32_e64 v45, 0, 1, s15
	v_cndmask_b32_e64 v46, 0, 1, s15
	s_and_b32 s15, s15, exec_lo
	s_or_b32 s16, s16, s15
.LBB677_124:                            ;   in Loop: Header=BB677_111 Depth=1
	s_or_b32 exec_lo, exec_lo, s17
	s_wait_dscnt 0x2
	ds_bpermute_b32 v47, v41, v22
	s_wait_dscnt 0x2
	ds_bpermute_b32 v48, v41, v23
	ds_bpermute_b32 v46, v41, v46
	s_mov_b32 s17, exec_lo
	v_cmpx_le_u32_e64 v43, v44
	s_cbranch_execz .LBB677_109
; %bb.125:                              ;   in Loop: Header=BB677_111 Depth=1
	v_and_b32_e32 v44, 0xff, v45
	s_and_not1_b32 s16, s16, exec_lo
	s_delay_alu instid0(VALU_DEP_1)
	v_cmp_eq_u16_e32 vcc_lo, 0, v44
	s_wait_dscnt 0x3
	v_and_b32_e32 v49, 1, v45
	s_wait_dscnt 0x0
	v_dual_cndmask_b32 v44, 0, v47, vcc_lo :: v_dual_bitop2_b32 v46, 1, v46 bitop3:0x40
	v_cndmask_b32_e32 v45, 0, v48, vcc_lo
	s_delay_alu instid0(VALU_DEP_3) | instskip(NEXT) | instid1(VALU_DEP_3)
	v_cmp_eq_u32_e32 vcc_lo, 1, v49
	v_cmp_eq_u32_e64 s15, 1, v46
	s_delay_alu instid0(VALU_DEP_3) | instskip(SKIP_1) | instid1(SALU_CYCLE_1)
	v_add_nc_u64_e32 v[22:23], v[44:45], v[22:23]
	s_or_b32 s15, vcc_lo, s15
	s_and_b32 s15, s15, exec_lo
	s_delay_alu instid0(SALU_CYCLE_1)
	s_or_b32 s16, s16, s15
	s_branch .LBB677_109
.LBB677_126:
	s_or_b32 exec_lo, exec_lo, s13
                                        ; implicit-def: $vgpr4_vgpr5
	s_and_saveexec_b32 s13, s0
	s_cbranch_execz .LBB677_31
.LBB677_127:
	flat_load_b64 v[4:5], v0, s[14:15] offset:2048 scale_offset
	s_wait_xcnt 0x0
	s_or_b32 exec_lo, exec_lo, s13
                                        ; implicit-def: $vgpr6_vgpr7
	s_and_saveexec_b32 s0, s1
	s_cbranch_execnz .LBB677_32
.LBB677_128:
	s_or_b32 exec_lo, exec_lo, s0
                                        ; implicit-def: $vgpr8_vgpr9
	s_and_saveexec_b32 s0, s2
	s_cbranch_execz .LBB677_33
.LBB677_129:
	flat_load_b64 v[8:9], v0, s[14:15] offset:6144 scale_offset
	s_wait_xcnt 0x0
	s_or_b32 exec_lo, exec_lo, s0
                                        ; implicit-def: $vgpr10_vgpr11
	s_and_saveexec_b32 s0, s3
	s_cbranch_execnz .LBB677_34
.LBB677_130:
	s_or_b32 exec_lo, exec_lo, s0
                                        ; implicit-def: $vgpr12_vgpr13
	s_and_saveexec_b32 s0, s4
	s_cbranch_execz .LBB677_35
.LBB677_131:
	flat_load_b64 v[12:13], v0, s[14:15] offset:10240 scale_offset
	s_wait_xcnt 0x0
	s_or_b32 exec_lo, exec_lo, s0
                                        ; implicit-def: $vgpr14_vgpr15
	s_and_saveexec_b32 s0, s5
	s_cbranch_execnz .LBB677_36
.LBB677_132:
	s_or_b32 exec_lo, exec_lo, s0
                                        ; implicit-def: $vgpr16_vgpr17
	s_and_saveexec_b32 s0, s6
	s_cbranch_execz .LBB677_37
.LBB677_133:
	flat_load_b64 v[16:17], v0, s[14:15] offset:14336 scale_offset
	s_wait_xcnt 0x0
	s_or_b32 exec_lo, exec_lo, s0
                                        ; implicit-def: $vgpr18_vgpr19
	s_and_saveexec_b32 s0, s7
	s_cbranch_execnz .LBB677_38
.LBB677_134:
	s_or_b32 exec_lo, exec_lo, s0
                                        ; implicit-def: $vgpr20_vgpr21
	s_and_saveexec_b32 s0, s8
	s_cbranch_execz .LBB677_39
.LBB677_135:
	flat_load_b64 v[20:21], v0, s[14:15] offset:18432 scale_offset
	s_wait_xcnt 0x0
	s_or_b32 exec_lo, exec_lo, s0
                                        ; implicit-def: $vgpr22_vgpr23
	s_and_saveexec_b32 s0, s9
	s_cbranch_execnz .LBB677_40
.LBB677_136:
	s_or_b32 exec_lo, exec_lo, s0
                                        ; implicit-def: $vgpr24_vgpr25
	s_and_saveexec_b32 s0, s10
	s_cbranch_execz .LBB677_41
.LBB677_137:
	flat_load_b64 v[24:25], v0, s[14:15] offset:22528 scale_offset
	s_wait_xcnt 0x0
	s_or_b32 exec_lo, exec_lo, s0
                                        ; implicit-def: $vgpr26_vgpr27
	s_and_saveexec_b32 s0, s11
	s_cbranch_execz .LBB677_43
	s_branch .LBB677_42
.LBB677_138:
                                        ; implicit-def: $vgpr52_vgpr53
                                        ; implicit-def: $vgpr48_vgpr49
                                        ; implicit-def: $vgpr44_vgpr45
                                        ; implicit-def: $vgpr40_vgpr41
                                        ; implicit-def: $vgpr36_vgpr37
                                        ; implicit-def: $vgpr32_vgpr33
                                        ; implicit-def: $vgpr18_vgpr19
	s_cbranch_execnz .LBB677_192
.LBB677_139:
	s_add_nc_u64 s[0:1], s[26:27], s[34:35]
	s_and_b32 vcc_lo, exec_lo, s23
	s_add_nc_u64 s[0:1], s[0:1], s[24:25]
	s_cbranch_vccz .LBB677_211
.LBB677_140:
	v_mul_u32_u24_e32 v1, 14, v0
	s_add_co_i32 s28, s28, s42
	s_mov_b32 s2, exec_lo
	s_delay_alu instid0(VALU_DEP_1)
	v_cmpx_gt_u32_e64 s28, v1
	s_cbranch_execz .LBB677_160
; %bb.141:
	v_or_b32_e32 v2, 1, v1
	s_mov_b32 s3, exec_lo
	s_delay_alu instid0(VALU_DEP_1)
	v_cmpx_gt_u32_e64 s28, v2
	s_cbranch_execz .LBB677_159
; %bb.142:
	v_add_nc_u32_e32 v2, 2, v1
	s_mov_b32 s4, exec_lo
	s_delay_alu instid0(VALU_DEP_1)
	v_cmpx_gt_u32_e64 s28, v2
	s_cbranch_execz .LBB677_158
; %bb.143:
	v_add_nc_u32_e32 v2, 3, v1
	;; [unrolled: 6-line block ×8, first 2 shown]
	s_mov_b32 s11, exec_lo
	s_delay_alu instid0(VALU_DEP_1)
	v_cmpx_gt_u32_e64 s28, v2
; %bb.150:
	v_add_nc_u32_e32 v2, 10, v1
	s_mov_b32 s12, exec_lo
	s_delay_alu instid0(VALU_DEP_1)
	v_cmpx_gt_u32_e64 s28, v2
	s_or_b32 exec_lo, exec_lo, s12
; %bb.151:
	s_delay_alu instid0(SALU_CYCLE_1)
	s_or_b32 exec_lo, exec_lo, s11
.LBB677_152:
	s_delay_alu instid0(SALU_CYCLE_1)
	s_or_b32 exec_lo, exec_lo, s10
.LBB677_153:
	s_delay_alu instid0(SALU_CYCLE_1)
	s_or_b32 exec_lo, exec_lo, s9
.LBB677_154:
	s_delay_alu instid0(SALU_CYCLE_1)
	s_or_b32 exec_lo, exec_lo, s8
.LBB677_155:
	s_delay_alu instid0(SALU_CYCLE_1)
	s_or_b32 exec_lo, exec_lo, s7
.LBB677_156:
	s_delay_alu instid0(SALU_CYCLE_1)
	s_or_b32 exec_lo, exec_lo, s6
.LBB677_157:
	s_delay_alu instid0(SALU_CYCLE_1)
	s_or_b32 exec_lo, exec_lo, s5
.LBB677_158:
	s_delay_alu instid0(SALU_CYCLE_1)
	s_or_b32 exec_lo, exec_lo, s4
.LBB677_159:
	s_delay_alu instid0(SALU_CYCLE_1)
	s_or_b32 exec_lo, exec_lo, s3
.LBB677_160:
	s_delay_alu instid0(SALU_CYCLE_1)
	s_or_b32 exec_lo, exec_lo, s2
	v_dual_lshlrev_b32 v1, 3, v1 :: v_dual_mov_b32 v63, 0
	s_wait_loadcnt 0x0
	s_wait_storecnt 0x0
	s_barrier_signal -1
	s_barrier_wait -1
	v_mad_i32_i24 v2, 0xffffff98, v0, v1
	ds_store_b128 v1, v[16:19]
	ds_store_b128 v1, v[30:33] offset:16
	ds_store_b128 v1, v[34:37] offset:32
	;; [unrolled: 1-line block ×6, first 2 shown]
	s_wait_dscnt 0x0
	s_barrier_signal -1
	s_barrier_wait -1
	ds_load_2addr_stride64_b64 v[58:61], v2 offset0:4 offset1:8
	ds_load_2addr_stride64_b64 v[54:57], v2 offset0:12 offset1:16
	;; [unrolled: 1-line block ×6, first 2 shown]
	ds_load_b64 v[4:5], v2 offset:26624
	v_add_nc_u64_e32 v[2:3], s[0:1], v[62:63]
	s_mov_b32 s2, exec_lo
	v_cmpx_gt_u32_e64 s28, v0
	s_cbranch_execz .LBB677_162
; %bb.161:
	v_mul_i32_i24_e32 v14, 0xffffff98, v0
	s_delay_alu instid0(VALU_DEP_1)
	v_add_nc_u32_e32 v1, v1, v14
	ds_load_b64 v[14:15], v1
	s_wait_dscnt 0x0
	flat_store_b64 v[2:3], v[14:15]
.LBB677_162:
	s_wait_xcnt 0x0
	s_or_b32 exec_lo, exec_lo, s2
	v_or_b32_e32 v1, 0x100, v0
	s_mov_b32 s2, exec_lo
	s_delay_alu instid0(VALU_DEP_1)
	v_cmpx_gt_u32_e64 s28, v1
	s_cbranch_execz .LBB677_164
; %bb.163:
	s_wait_dscnt 0x6
	flat_store_b64 v[2:3], v[58:59] offset:2048
.LBB677_164:
	s_wait_xcnt 0x0
	s_or_b32 exec_lo, exec_lo, s2
	v_or_b32_e32 v1, 0x200, v0
	s_mov_b32 s2, exec_lo
	s_delay_alu instid0(VALU_DEP_1)
	v_cmpx_gt_u32_e64 s28, v1
	s_cbranch_execz .LBB677_166
; %bb.165:
	s_wait_dscnt 0x6
	flat_store_b64 v[2:3], v[60:61] offset:4096
.LBB677_166:
	;; [unrolled: 11-line block ×12, first 2 shown]
	s_wait_xcnt 0x0
	s_or_b32 exec_lo, exec_lo, s2
	v_or_b32_e32 v1, 0xd00, v0
	s_delay_alu instid0(VALU_DEP_1)
	v_cmp_gt_u32_e64 s2, s28, v1
	s_branch .LBB677_213
.LBB677_187:
	s_and_saveexec_b32 s15, s14
	s_cbranch_execz .LBB677_189
; %bb.188:
	v_and_b32_e32 v16, 0xff, v30
	s_add_co_i32 s16, s46, 32
	s_mov_b32 s17, 0
	v_mov_b32_e32 v23, s16
	v_bitop3_b16 v22, v30, 1, v42 bitop3:0xc8
	v_cmp_eq_u32_e32 vcc_lo, 0, v16
	s_lshl_b64 s[20:21], s[16:17], 4
	s_delay_alu instid0(SALU_CYCLE_1) | instskip(SKIP_1) | instid1(VALU_DEP_1)
	s_add_nc_u64 s[16:17], s[38:39], s[20:21]
	v_dual_cndmask_b32 v17, 0, v19 :: v_dual_cndmask_b32 v16, 0, v18
	v_add_nc_u64_e32 v[10:11], v[16:17], v[10:11]
	v_dual_mov_b32 v16, 0 :: v_dual_mov_b32 v17, 2
	s_clause 0x1
	global_store_b64 v16, v[10:11], s[16:17]
	global_store_b8 v16, v22, s[16:17] offset:8
	global_wb scope:SCOPE_DEV
	s_wait_storecnt_dscnt 0x0
	global_inv scope:SCOPE_DEV
	s_wait_xcnt 0x0
	global_store_b8 v23, v17, s[40:41] scope:SCOPE_DEV
.LBB677_189:
	s_wait_xcnt 0x0
	s_or_b32 exec_lo, exec_lo, s15
	s_delay_alu instid0(SALU_CYCLE_1)
	s_and_b32 exec_lo, exec_lo, s13
	s_cbranch_execz .LBB677_191
; %bb.190:
	v_mov_b32_e32 v10, 0
	ds_store_b64 v10, v[18:19]
	ds_store_b8 v10, v42 offset:8
.LBB677_191:
	s_or_b32 exec_lo, exec_lo, s19
	v_dual_mov_b32 v11, 0 :: v_dual_bitop2_b32 v10, 1, v1 bitop3:0x40
	s_wait_storecnt 0x0
	s_wait_loadcnt_dscnt 0x0
	s_barrier_signal -1
	s_barrier_wait -1
	v_cmp_eq_u32_e32 vcc_lo, 1, v10
	v_and_b32_e32 v16, 0xff, v1
	ds_load_b64 v[10:11], v11
	s_or_b32 s14, vcc_lo, s18
	v_cmp_eq_u16_e32 vcc_lo, 0, v16
	v_cndmask_b32_e64 v17, 0, 1, s14
	s_delay_alu instid0(VALU_DEP_1) | instskip(SKIP_1) | instid1(VALU_DEP_2)
	v_dual_cndmask_b32 v7, 0, v7, vcc_lo :: v_dual_cndmask_b32 v16, v17, v1, s13
	v_cndmask_b32_e32 v6, 0, v6, vcc_lo
	v_and_b32_e32 v16, 0xff, v16
	s_delay_alu instid0(VALU_DEP_2) | instskip(NEXT) | instid1(VALU_DEP_2)
	v_cndmask_b32_e64 v6, v6, 0, s13
	v_cmp_eq_u16_e32 vcc_lo, 0, v16
	s_wait_dscnt 0x0
	v_cndmask_b32_e32 v10, 0, v10, vcc_lo
	v_cndmask_b32_e64 v7, v7, 0, s13
	v_cndmask_b32_e32 v11, 0, v11, vcc_lo
	s_delay_alu instid0(VALU_DEP_2) | instskip(NEXT) | instid1(VALU_DEP_1)
	v_add_nc_u64_e32 v[6:7], v[6:7], v[2:3]
	v_add_nc_u64_e32 v[16:17], v[6:7], v[10:11]
	s_delay_alu instid0(VALU_DEP_1) | instskip(NEXT) | instid1(VALU_DEP_1)
	v_dual_cndmask_b32 v7, 0, v17, s1 :: v_dual_cndmask_b32 v6, 0, v16, s1
	v_add_nc_u64_e32 v[18:19], v[6:7], v[4:5]
	s_delay_alu instid0(VALU_DEP_1) | instskip(NEXT) | instid1(VALU_DEP_1)
	v_dual_cndmask_b32 v7, 0, v19, s2 :: v_dual_cndmask_b32 v6, 0, v18, s2
	;; [unrolled: 3-line block ×13, first 2 shown]
	v_add_nc_u64_e32 v[52:53], v[6:7], v[58:59]
	s_branch .LBB677_139
.LBB677_192:
	s_cmp_lg_u64 s[44:45], 0
	v_cmp_eq_u32_e32 vcc_lo, 0, v0
	s_cselect_b32 s1, -1, 0
	s_cmp_lg_u64 s[30:31], 0
	v_cmp_ne_u32_e64 s0, 0, v0
	s_cselect_b32 s2, -1, 0
	s_delay_alu instid0(SALU_CYCLE_1) | instskip(NEXT) | instid1(SALU_CYCLE_1)
	s_and_b32 s1, s1, s2
	s_and_b32 s1, vcc_lo, s1
	s_delay_alu instid0(SALU_CYCLE_1)
	s_and_saveexec_b32 s2, s1
	s_cbranch_execz .LBB677_194
; %bb.193:
	v_mov_b32_e32 v10, 0
	s_clause 0x1
	global_load_b64 v[6:7], v10, s[30:31]
	global_load_u8 v11, v10, s[30:31] offset:8
	s_wait_xcnt 0x0
	v_and_b32_e32 v10, 0xff, v1
	s_delay_alu instid0(VALU_DEP_1) | instskip(SKIP_1) | instid1(VALU_DEP_1)
	v_cmp_eq_u16_e64 s1, 0, v10
	s_wait_loadcnt 0x1
	v_dual_cndmask_b32 v7, 0, v7, s1 :: v_dual_cndmask_b32 v6, 0, v6, s1
	s_wait_loadcnt 0x0
	v_bitop3_b16 v1, v1, 1, v11 bitop3:0xc8
	s_delay_alu instid0(VALU_DEP_2)
	v_add_nc_u64_e32 v[2:3], v[6:7], v[2:3]
.LBB677_194:
	s_or_b32 exec_lo, exec_lo, s2
	v_cmp_eq_u16_e64 s1, 0, v78
	v_cmp_eq_u16_e64 s2, 0, v77
	;; [unrolled: 1-line block ×5, first 2 shown]
	v_dual_cndmask_b32 v7, 0, v3, s1 :: v_dual_cndmask_b32 v6, 0, v2, s1
	v_cmp_eq_u16_e64 s6, 0, v73
	v_cmp_eq_u16_e64 s7, 0, v72
	;; [unrolled: 1-line block ×4, first 2 shown]
	v_add_nc_u64_e32 v[18:19], v[6:7], v[4:5]
	v_cmp_eq_u16_e64 s10, 0, v69
	v_cmp_eq_u16_e64 s11, 0, v68
	v_cmp_eq_u16_e64 s12, 0, v67
	v_cmp_ne_u16_e64 s19, 0, v66
	v_cmp_eq_u32_e64 s20, 1, v26
	v_bitop3_b16 v10, v1, 0xff, v90 bitop3:0xc8
	v_dual_cndmask_b32 v7, 0, v19, s2 :: v_dual_cndmask_b32 v6, 0, v18, s2
	v_cmp_ne_u16_e64 s17, 0, v65
	v_cmp_eq_u32_e64 s18, 1, v27
	v_cmp_ne_u16_e64 s21, 0, v63
	v_cmp_eq_u16_e64 s13, 0, v60
	v_add_nc_u64_e32 v[30:31], v[6:7], v[88:89]
	v_cmp_ne_u16_e64 s15, 0, v64
	v_cmp_eq_u32_e64 s16, 1, v54
	s_or_b32 s19, s19, s20
	v_cmp_eq_u32_e64 s14, 1, v61
	v_cmp_ne_u16_e64 s22, 0, v10
	s_or_b32 s17, s17, s18
	v_dual_cndmask_b32 v7, 0, v31, s3 :: v_dual_cndmask_b32 v6, 0, v30, s3
	s_or_b32 s18, s21, s19
	s_or_b32 s15, s15, s16
	;; [unrolled: 1-line block ×3, first 2 shown]
	v_and_b32_e32 v11, 0x70, v55
	v_add_nc_u64_e32 v[32:33], v[6:7], v[28:29]
	s_or_b32 s14, s22, s14
	s_or_b32 s15, s16, s15
	s_mov_b32 s17, exec_lo
	s_or_b32 s14, s15, s14
	s_delay_alu instid0(SALU_CYCLE_1) | instskip(NEXT) | instid1(VALU_DEP_2)
	v_cndmask_b32_e64 v17, 0, 1, s14
	v_dual_cndmask_b32 v7, 0, v33, s4 :: v_dual_cndmask_b32 v6, 0, v32, s4
	s_delay_alu instid0(VALU_DEP_1) | instskip(NEXT) | instid1(VALU_DEP_1)
	v_add_nc_u64_e32 v[34:35], v[6:7], v[86:87]
	v_dual_cndmask_b32 v7, 0, v35, s5 :: v_dual_cndmask_b32 v6, 0, v34, s5
	s_delay_alu instid0(VALU_DEP_1) | instskip(NEXT) | instid1(VALU_DEP_1)
	v_add_nc_u64_e32 v[36:37], v[6:7], v[24:25]
	;; [unrolled: 3-line block ×9, first 2 shown]
	v_dual_cndmask_b32 v7, 0, v51, s13 :: v_dual_cndmask_b32 v6, 0, v50, s13
	s_delay_alu instid0(VALU_DEP_1)
	v_add_nc_u64_e32 v[52:53], v[6:7], v[58:59]
	v_lshl_add_u32 v6, v0, 4, v11
	ds_store_b64 v6, v[52:53]
	ds_store_b8 v6, v17 offset:8
	s_wait_dscnt 0x0
	s_barrier_signal -1
	s_barrier_wait -1
	v_cmpx_gt_u32_e32 32, v0
	s_cbranch_execz .LBB677_206
; %bb.195:
	v_dual_lshlrev_b32 v6, 2, v0 :: v_dual_lshlrev_b32 v7, 7, v0
	s_delay_alu instid0(VALU_DEP_1) | instskip(NEXT) | instid1(VALU_DEP_1)
	v_and_b32_e32 v6, 0x3f0, v6
	v_add_nc_u32_e32 v16, v6, v7
	ds_load_u8 v23, v16 offset:24
	ds_load_b64 v[6:7], v16
	ds_load_2addr_b64 v[64:67], v16 offset0:2 offset1:4
	ds_load_u8 v26, v16 offset:40
	ds_load_b32 v22, v16 offset:8
	ds_load_u8 v27, v16 offset:56
	ds_load_u8 v54, v16 offset:72
	;; [unrolled: 1-line block ×4, first 2 shown]
	s_wait_dscnt 0x8
	v_cmp_eq_u16_e64 s14, 0, v23
	s_wait_dscnt 0x7
	s_delay_alu instid0(VALU_DEP_1)
	v_dual_cndmask_b32 v11, 0, v7, s14 :: v_dual_cndmask_b32 v10, 0, v6, s14
	s_wait_dscnt 0x5
	v_cmp_eq_u16_e64 s14, 0, v26
	ds_load_2addr_b64 v[68:71], v16 offset0:6 offset1:8
	s_wait_dscnt 0x4
	v_bitop3_b16 v23, v26, v27, v23 bitop3:0xfe
	s_wait_dscnt 0x1
	v_bitop3_b16 v26, v55, v60, v54 bitop3:0xfe
	v_add_nc_u64_e32 v[10:11], v[10:11], v[64:65]
	s_delay_alu instid0(VALU_DEP_1) | instskip(SKIP_1) | instid1(VALU_DEP_2)
	v_dual_cndmask_b32 v11, 0, v11, s14 :: v_dual_cndmask_b32 v10, 0, v10, s14
	v_cmp_eq_u16_e64 s14, 0, v27
	v_add_nc_u64_e32 v[10:11], v[10:11], v[66:67]
	ds_load_2addr_b64 v[64:67], v16 offset0:10 offset1:12
	ds_load_u8 v61, v16 offset:120
	v_dual_cndmask_b32 v11, 0, v11, s14 :: v_dual_cndmask_b32 v10, 0, v10, s14
	v_cmp_eq_u16_e64 s14, 0, v54
	s_wait_dscnt 0x2
	s_delay_alu instid0(VALU_DEP_2) | instskip(NEXT) | instid1(VALU_DEP_1)
	v_add_nc_u64_e32 v[10:11], v[10:11], v[68:69]
	v_dual_cndmask_b32 v11, 0, v11, s14 :: v_dual_cndmask_b32 v10, 0, v10, s14
	v_cmp_eq_u16_e64 s14, 0, v55
	s_wait_dscnt 0x0
	v_bitop3_b16 v23, v61, v23, v26 bitop3:0xfe
	ds_load_b64 v[54:55], v16 offset:112
	v_cmp_eq_u16_e64 s16, 0, v61
	v_add_nc_u64_e32 v[10:11], v[10:11], v[70:71]
	s_delay_alu instid0(VALU_DEP_1) | instskip(NEXT) | instid1(VALU_DEP_2)
	v_dual_cndmask_b32 v10, 0, v10, s14 :: v_dual_bitop2_b32 v23, 1, v23 bitop3:0x40
	v_cndmask_b32_e64 v11, 0, v11, s14
	v_cmp_eq_u16_e64 s14, 0, v60
	s_delay_alu instid0(VALU_DEP_3) | instskip(SKIP_1) | instid1(VALU_DEP_4)
	v_cmp_eq_u32_e64 s15, 1, v23
	v_and_b32_e32 v23, 0xffffff00, v22
	v_add_nc_u64_e32 v[10:11], v[10:11], v[64:65]
	s_delay_alu instid0(VALU_DEP_1) | instskip(NEXT) | instid1(VALU_DEP_2)
	v_dual_cndmask_b32 v11, 0, v11, s14 :: v_dual_bitop2_b32 v26, 1, v22 bitop3:0x40
	v_cndmask_b32_e64 v10, 0, v10, s14
	s_delay_alu instid0(VALU_DEP_2) | instskip(SKIP_1) | instid1(VALU_DEP_3)
	v_cmp_eq_u32_e64 s14, 1, v26
	v_mbcnt_lo_u32_b32 v26, -1, 0
	v_add_nc_u64_e32 v[10:11], v[10:11], v[66:67]
	s_or_b32 s15, s15, s14
	s_delay_alu instid0(SALU_CYCLE_1) | instskip(SKIP_1) | instid1(VALU_DEP_3)
	v_cndmask_b32_e64 v60, 0, 1, s15
	v_cndmask_b32_e64 v27, 0, 1, s15
	v_dual_cndmask_b32 v11, 0, v11, s16 :: v_dual_cndmask_b32 v10, 0, v10, s16
	s_mov_b32 s16, exec_lo
	s_wait_dscnt 0x0
	s_delay_alu instid0(VALU_DEP_1) | instskip(SKIP_2) | instid1(VALU_DEP_2)
	v_add_nc_u64_e32 v[10:11], v[10:11], v[54:55]
	v_or_b32_e32 v55, v23, v60
	v_and_b32_e32 v54, 15, v26
	v_mov_b32_dpp v61, v55 row_shr:1 row_mask:0xf bank_mask:0xf
	s_delay_alu instid0(VALU_DEP_4) | instskip(SKIP_1) | instid1(VALU_DEP_4)
	v_mov_b32_dpp v60, v10 row_shr:1 row_mask:0xf bank_mask:0xf
	v_mov_b32_dpp v63, v11 row_shr:1 row_mask:0xf bank_mask:0xf
	v_cmpx_ne_u32_e32 0, v54
; %bb.196:
	s_delay_alu instid0(VALU_DEP_4) | instskip(NEXT) | instid1(VALU_DEP_3)
	v_bitop3_b16 v27, v61, v27, 1 bitop3:0xec
	v_cndmask_b32_e64 v61, v63, 0, s15
	v_cndmask_b32_e64 v60, v60, 0, s15
	s_delay_alu instid0(VALU_DEP_3) | instskip(NEXT) | instid1(VALU_DEP_2)
	v_and_b32_e32 v55, 0xffff, v27
	v_add_nc_u64_e32 v[10:11], v[60:61], v[10:11]
	s_delay_alu instid0(VALU_DEP_2)
	v_or_b32_e32 v55, v23, v55
; %bb.197:
	s_or_b32 exec_lo, exec_lo, s16
	s_delay_alu instid0(VALU_DEP_2) | instskip(NEXT) | instid1(VALU_DEP_3)
	v_mov_b32_dpp v60, v10 row_shr:2 row_mask:0xf bank_mask:0xf
	v_mov_b32_dpp v61, v11 row_shr:2 row_mask:0xf bank_mask:0xf
	s_delay_alu instid0(VALU_DEP_3)
	v_mov_b32_dpp v63, v55 row_shr:2 row_mask:0xf bank_mask:0xf
	s_mov_b32 s18, exec_lo
	v_cmpx_lt_u32_e32 1, v54
	s_cbranch_execz .LBB677_199
; %bb.198:
	v_cmp_eq_u16_e64 s14, 0, v27
	v_and_b32_e32 v55, 1, v27
	s_delay_alu instid0(VALU_DEP_2) | instskip(SKIP_1) | instid1(VALU_DEP_3)
	v_dual_cndmask_b32 v60, 0, v60, s14 :: v_dual_bitop2_b32 v63, 1, v63 bitop3:0x40
	v_cndmask_b32_e64 v61, 0, v61, s14
	v_cmp_eq_u32_e64 s15, 1, v55
	s_delay_alu instid0(VALU_DEP_3) | instskip(NEXT) | instid1(VALU_DEP_3)
	v_cmp_eq_u32_e64 s16, 1, v63
	v_add_nc_u64_e32 v[10:11], v[60:61], v[10:11]
	s_or_b32 s14, s15, s16
	s_delay_alu instid0(SALU_CYCLE_1) | instskip(SKIP_1) | instid1(VALU_DEP_2)
	v_cndmask_b32_e64 v55, 0, 1, s14
	v_cndmask_b32_e64 v27, 0, 1, s14
	v_or_b32_e32 v55, v23, v55
.LBB677_199:
	s_or_b32 exec_lo, exec_lo, s18
	s_delay_alu instid0(VALU_DEP_4) | instskip(SKIP_1) | instid1(VALU_DEP_3)
	v_mov_b32_dpp v60, v10 row_shr:4 row_mask:0xf bank_mask:0xf
	v_mov_b32_dpp v61, v11 row_shr:4 row_mask:0xf bank_mask:0xf
	;; [unrolled: 1-line block ×3, first 2 shown]
	s_mov_b32 s18, exec_lo
	v_cmpx_lt_u32_e32 3, v54
	s_cbranch_execz .LBB677_201
; %bb.200:
	v_cmp_eq_u16_e64 s14, 0, v27
	v_and_b32_e32 v55, 1, v27
	s_delay_alu instid0(VALU_DEP_2) | instskip(SKIP_1) | instid1(VALU_DEP_3)
	v_dual_cndmask_b32 v60, 0, v60, s14 :: v_dual_bitop2_b32 v63, 1, v63 bitop3:0x40
	v_cndmask_b32_e64 v61, 0, v61, s14
	v_cmp_eq_u32_e64 s15, 1, v55
	s_delay_alu instid0(VALU_DEP_3) | instskip(NEXT) | instid1(VALU_DEP_3)
	v_cmp_eq_u32_e64 s16, 1, v63
	v_add_nc_u64_e32 v[10:11], v[60:61], v[10:11]
	s_or_b32 s14, s15, s16
	s_delay_alu instid0(SALU_CYCLE_1) | instskip(SKIP_1) | instid1(VALU_DEP_2)
	v_cndmask_b32_e64 v55, 0, 1, s14
	v_cndmask_b32_e64 v27, 0, 1, s14
	v_or_b32_e32 v55, v23, v55
.LBB677_201:
	s_or_b32 exec_lo, exec_lo, s18
	s_delay_alu instid0(VALU_DEP_4) | instskip(SKIP_1) | instid1(VALU_DEP_3)
	v_mov_b32_dpp v60, v10 row_shr:8 row_mask:0xf bank_mask:0xf
	v_mov_b32_dpp v61, v11 row_shr:8 row_mask:0xf bank_mask:0xf
	;; [unrolled: 1-line block ×3, first 2 shown]
	s_mov_b32 s18, exec_lo
	v_cmpx_lt_u32_e32 7, v54
	s_cbranch_execz .LBB677_203
; %bb.202:
	v_cmp_eq_u16_e64 s14, 0, v27
	v_and_b32_e32 v54, 1, v27
	v_and_b32_e32 v55, 1, v63
	s_delay_alu instid0(VALU_DEP_1) | instskip(NEXT) | instid1(VALU_DEP_4)
	v_cmp_eq_u32_e64 s16, 1, v55
	v_cndmask_b32_e64 v55, 0, v61, s14
	s_delay_alu instid0(VALU_DEP_4) | instskip(SKIP_2) | instid1(VALU_DEP_1)
	v_cmp_eq_u32_e64 s15, 1, v54
	v_cndmask_b32_e64 v54, 0, v60, s14
	s_or_b32 s14, s15, s16
	v_add_nc_u64_e32 v[10:11], v[54:55], v[10:11]
	v_cndmask_b32_e64 v60, 0, 1, s14
	v_cndmask_b32_e64 v27, 0, 1, s14
	s_delay_alu instid0(VALU_DEP_2)
	v_or_b32_e32 v55, v23, v60
.LBB677_203:
	s_or_b32 exec_lo, exec_lo, s18
	ds_swizzle_b32 v54, v10 offset:swizzle(BROADCAST,32,15)
	ds_swizzle_b32 v60, v11 offset:swizzle(BROADCAST,32,15)
	;; [unrolled: 1-line block ×3, first 2 shown]
	v_and_b32_e32 v61, 16, v26
	s_mov_b32 s16, exec_lo
	s_delay_alu instid0(VALU_DEP_1)
	v_cmpx_ne_u32_e32 0, v61
	s_cbranch_execz .LBB677_205
; %bb.204:
	v_cmp_eq_u16_e64 s14, 0, v27
	v_and_b32_e32 v27, 1, v27
	s_wait_dscnt 0x0
	s_delay_alu instid0(VALU_DEP_2) | instskip(SKIP_1) | instid1(VALU_DEP_3)
	v_dual_cndmask_b32 v54, 0, v54, s14 :: v_dual_bitop2_b32 v61, 1, v55 bitop3:0x40
	v_cndmask_b32_e64 v55, 0, v60, s14
	v_cmp_eq_u32_e64 s14, 1, v27
	s_delay_alu instid0(VALU_DEP_3) | instskip(NEXT) | instid1(VALU_DEP_3)
	v_cmp_eq_u32_e64 s15, 1, v61
	v_add_nc_u64_e32 v[10:11], v[54:55], v[10:11]
	s_or_b32 s14, s14, s15
	s_delay_alu instid0(SALU_CYCLE_1)
	v_cndmask_b32_e64 v27, 0, 1, s14
.LBB677_205:
	s_or_b32 exec_lo, exec_lo, s16
	s_wait_dscnt 0x2
	v_add_nc_u32_e32 v54, -1, v26
	s_delay_alu instid0(VALU_DEP_2) | instskip(NEXT) | instid1(VALU_DEP_2)
	v_and_b32_e32 v27, 0xffff, v27
	; wave barrier
	v_cmp_gt_i32_e64 s14, 0, v54
	s_delay_alu instid0(VALU_DEP_1) | instskip(NEXT) | instid1(VALU_DEP_1)
	v_dual_cndmask_b32 v26, v54, v26, s14 :: v_dual_bitop2_b32 v23, v23, v27 bitop3:0x54
	v_lshlrev_b32_e32 v26, 2, v26
	ds_bpermute_b32 v11, v26, v11
	ds_bpermute_b32 v10, v26, v10
	;; [unrolled: 1-line block ×3, first 2 shown]
	v_and_b32_e32 v26, 0xff, v22
	s_delay_alu instid0(VALU_DEP_1) | instskip(SKIP_1) | instid1(VALU_DEP_1)
	v_cmp_eq_u32_e64 s14, 0, v26
	s_wait_dscnt 0x1
	v_dual_cndmask_b32 v11, 0, v11, s14 :: v_dual_cndmask_b32 v10, 0, v10, s14
	s_delay_alu instid0(VALU_DEP_1) | instskip(SKIP_1) | instid1(VALU_DEP_1)
	v_add_nc_u64_e32 v[6:7], v[10:11], v[6:7]
	s_wait_dscnt 0x0
	v_dual_cndmask_b32 v6, v6, v52, vcc_lo :: v_dual_bitop2_b32 v22, v23, v22 bitop3:0x54
	s_delay_alu instid0(VALU_DEP_1) | instskip(NEXT) | instid1(VALU_DEP_1)
	v_dual_cndmask_b32 v7, v7, v53, vcc_lo :: v_dual_bitop2_b32 v10, 1, v22 bitop3:0x40
	v_cndmask_b32_e32 v17, v10, v17, vcc_lo
	ds_store_b64 v16, v[6:7]
	ds_store_b8 v16, v17 offset:8
	; wave barrier
	ds_load_u8 v63, v16 offset:24
	ds_load_2addr_b64 v[64:67], v16 offset0:2 offset1:4
	ds_load_u8 v72, v16 offset:40
	ds_load_u8 v73, v16 offset:56
	;; [unrolled: 1-line block ×5, first 2 shown]
	ds_load_b64 v[10:11], v16 offset:112
	ds_load_u8 v77, v16 offset:120
	ds_load_2addr_b64 v[68:71], v16 offset0:6 offset1:8
	s_wait_dscnt 0x9
	v_and_b32_e32 v22, 0xff, v63
	s_wait_dscnt 0x6
	v_and_b32_e32 v26, 0xff, v73
	;; [unrolled: 2-line block ×3, first 2 shown]
	v_cmp_eq_u16_e64 s14, 0, v22
	v_and_b32_e32 v22, 0xff, v72
	s_wait_dscnt 0x4
	v_and_b32_e32 v60, 0xff, v75
	s_delay_alu instid0(VALU_DEP_3) | instskip(NEXT) | instid1(VALU_DEP_3)
	v_dual_cndmask_b32 v7, 0, v7, s14 :: v_dual_cndmask_b32 v6, 0, v6, s14
	v_cmp_eq_u16_e64 s14, 0, v22
	s_delay_alu instid0(VALU_DEP_2) | instskip(NEXT) | instid1(VALU_DEP_1)
	v_add_nc_u64_e32 v[6:7], v[6:7], v[64:65]
	v_dual_cndmask_b32 v23, 0, v7, s14 :: v_dual_cndmask_b32 v22, 0, v6, s14
	v_cmp_eq_u16_e64 s14, 0, v26
	s_delay_alu instid0(VALU_DEP_2) | instskip(SKIP_4) | instid1(VALU_DEP_2)
	v_add_nc_u64_e32 v[22:23], v[22:23], v[66:67]
	ds_load_2addr_b64 v[64:67], v16 offset0:10 offset1:12
	v_dual_cndmask_b32 v27, 0, v23, s14 :: v_dual_cndmask_b32 v26, 0, v22, s14
	v_cmp_eq_u16_e64 s14, 0, v54
	s_wait_dscnt 0x1
	v_add_nc_u64_e32 v[26:27], v[26:27], v[68:69]
	v_and_b32_e32 v68, 0xff, v76
	v_bitop3_b16 v69, v63, 1, v17 bitop3:0xc8
	s_delay_alu instid0(VALU_DEP_3) | instskip(SKIP_1) | instid1(VALU_DEP_2)
	v_dual_cndmask_b32 v55, 0, v27, s14 :: v_dual_cndmask_b32 v54, 0, v26, s14
	v_cmp_eq_u16_e64 s14, 0, v60
	v_add_nc_u64_e32 v[54:55], v[54:55], v[70:71]
	s_delay_alu instid0(VALU_DEP_1)
	v_dual_cndmask_b32 v61, 0, v55, s14 :: v_dual_cndmask_b32 v60, 0, v54, s14
	v_cmp_eq_u16_e64 s14, 0, v68
	v_or_b32_e32 v68, v63, v17
	v_bitop3_b16 v17, v72, v63, v17 bitop3:0xfe
	s_wait_dscnt 0x0
	v_add_nc_u64_e32 v[60:61], v[60:61], v[64:65]
	s_delay_alu instid0(VALU_DEP_3) | instskip(NEXT) | instid1(VALU_DEP_3)
	v_bitop3_b16 v63, v73, v72, v68 bitop3:0xfe
	v_bitop3_b16 v70, v73, 1, v17 bitop3:0xc8
	;; [unrolled: 1-line block ×4, first 2 shown]
	v_dual_cndmask_b32 v65, 0, v61, s14 :: v_dual_cndmask_b32 v64, 0, v60, s14
	v_cmp_eq_u16_e64 s14, 0, v77
	s_delay_alu instid0(VALU_DEP_4) | instskip(SKIP_1) | instid1(VALU_DEP_4)
	v_bitop3_b16 v71, v76, v75, v17 bitop3:0xfe
	v_bitop3_b16 v17, v75, 1, v17 bitop3:0xc8
	v_add_nc_u64_e32 v[64:65], v[64:65], v[66:67]
	v_bitop3_b16 v66, v75, v74, v63 bitop3:0xfe
	v_bitop3_b16 v63, v74, 1, v63 bitop3:0xc8
	ds_store_2addr_b64 v16, v[6:7], v[22:23] offset0:2 offset1:4
	ds_store_2addr_b64 v16, v[26:27], v[54:55] offset0:6 offset1:8
	;; [unrolled: 1-line block ×3, first 2 shown]
	v_bitop3_b16 v72, v76, 1, v66 bitop3:0xc8
	v_dual_cndmask_b32 v67, 0, v65, s14 :: v_dual_cndmask_b32 v66, 0, v64, s14
	v_bitop3_b16 v71, v77, 1, v71 bitop3:0xc8
	s_delay_alu instid0(VALU_DEP_2)
	v_add_nc_u64_e32 v[6:7], v[66:67], v[10:11]
	ds_store_b8 v16, v69 offset:24
	ds_store_b8 v16, v68 offset:40
	;; [unrolled: 1-line block ×6, first 2 shown]
	ds_store_b64 v16, v[6:7] offset:112
	ds_store_b8 v16, v71 offset:120
.LBB677_206:
	s_or_b32 exec_lo, exec_lo, s17
	s_wait_dscnt 0x0
	s_barrier_signal -1
	s_barrier_wait -1
	s_and_saveexec_b32 s14, s0
	s_cbranch_execz .LBB677_208
; %bb.207:
	v_and_b32_e32 v1, 0xff, v1
	s_delay_alu instid0(VALU_DEP_1) | instskip(SKIP_1) | instid1(VALU_DEP_1)
	v_cmp_eq_u16_e64 s0, 0, v1
	v_add_nc_u32_e32 v6, -1, v0
	v_lshrrev_b32_e32 v7, 1, v6
	s_delay_alu instid0(VALU_DEP_1) | instskip(NEXT) | instid1(VALU_DEP_1)
	v_and_b32_e32 v7, 0x7ffffff0, v7
	v_lshl_add_u32 v6, v6, 4, v7
	ds_load_b64 v[6:7], v6
	;;#ASMSTART
	;;#ASMEND
	s_wait_dscnt 0x0
	v_dual_cndmask_b32 v7, 0, v7, s0 :: v_dual_cndmask_b32 v6, 0, v6, s0
	s_delay_alu instid0(VALU_DEP_1) | instskip(NEXT) | instid1(VALU_DEP_1)
	v_add_nc_u64_e32 v[2:3], v[6:7], v[2:3]
	v_dual_cndmask_b32 v7, 0, v3, s1 :: v_dual_cndmask_b32 v6, 0, v2, s1
	s_delay_alu instid0(VALU_DEP_1) | instskip(NEXT) | instid1(VALU_DEP_1)
	v_add_nc_u64_e32 v[18:19], v[6:7], v[4:5]
	;; [unrolled: 3-line block ×13, first 2 shown]
	v_dual_cndmask_b32 v5, 0, v51, s13 :: v_dual_cndmask_b32 v4, 0, v50, s13
	s_delay_alu instid0(VALU_DEP_1)
	v_add_nc_u64_e32 v[52:53], v[4:5], v[58:59]
.LBB677_208:
	s_or_b32 exec_lo, exec_lo, s14
	s_and_saveexec_b32 s0, vcc_lo
	s_cbranch_execz .LBB677_210
; %bb.209:
	v_dual_mov_b32 v1, 0 :: v_dual_mov_b32 v7, 2
	ds_load_b64 v[4:5], v1 offset:4192
	ds_load_u8 v6, v1 offset:4200
	s_wait_dscnt 0x1
	global_store_b64 v1, v[4:5], s[38:39] offset:512
	s_wait_dscnt 0x0
	global_store_b8 v1, v6, s[38:39] offset:520
	global_wb scope:SCOPE_DEV
	s_wait_storecnt 0x0
	global_inv scope:SCOPE_DEV
	s_wait_xcnt 0x0
	global_store_b8 v1, v7, s[40:41] offset:32 scope:SCOPE_DEV
.LBB677_210:
	s_wait_xcnt 0x0
	s_or_b32 exec_lo, exec_lo, s0
	v_mov_b64_e32 v[16:17], v[2:3]
	s_add_nc_u64 s[0:1], s[26:27], s[34:35]
	s_and_b32 vcc_lo, exec_lo, s23
	s_add_nc_u64 s[0:1], s[0:1], s[24:25]
	s_cbranch_vccnz .LBB677_140
.LBB677_211:
	s_mov_b32 s2, 0
                                        ; implicit-def: $vgpr4_vgpr5
	s_cbranch_execz .LBB677_213
; %bb.212:
	v_mul_u32_u24_e32 v1, 0x70, v0
	v_mul_i32_i24_e32 v2, 0xffffff98, v0
	s_wait_storecnt 0x0
	s_wait_loadcnt_dscnt 0x0
	s_barrier_signal -1
	s_barrier_wait -1
	ds_store_b128 v1, v[16:19]
	ds_store_b128 v1, v[30:33] offset:16
	ds_store_b128 v1, v[34:37] offset:32
	;; [unrolled: 1-line block ×6, first 2 shown]
	v_mad_u32_u24 v1, 0x70, v0, v2
	s_wait_dscnt 0x0
	s_barrier_signal -1
	s_barrier_wait -1
	ds_load_2addr_stride64_b64 v[6:9], v1 offset1:4
	ds_load_2addr_stride64_b64 v[10:13], v1 offset0:8 offset1:12
	ds_load_2addr_stride64_b64 v[14:17], v1 offset0:16 offset1:20
	;; [unrolled: 1-line block ×6, first 2 shown]
	s_or_b32 s2, s2, exec_lo
	s_wait_dscnt 0x6
	s_clause 0x1
	flat_store_b64 v0, v[6:7], s[0:1] scale_offset
	flat_store_b64 v0, v[8:9], s[0:1] offset:2048 scale_offset
	s_wait_dscnt 0x7
	s_clause 0x1
	flat_store_b64 v0, v[10:11], s[0:1] offset:4096 scale_offset
	flat_store_b64 v0, v[12:13], s[0:1] offset:6144 scale_offset
	s_wait_dscnt 0x8
	s_clause 0x1
	flat_store_b64 v0, v[14:15], s[0:1] offset:8192 scale_offset
	;; [unrolled: 4-line block ×5, first 2 shown]
	flat_store_b64 v0, v[28:29], s[0:1] offset:22528 scale_offset
	s_wait_dscnt 0xc
	flat_store_b64 v0, v[2:3], s[0:1] offset:24576 scale_offset
.LBB677_213:
	s_wait_xcnt 0x0
	s_delay_alu instid0(VALU_DEP_1)
	s_and_saveexec_b32 s3, s2
	s_cbranch_execz .LBB677_215
; %bb.214:
	s_wait_dscnt 0x0
	flat_store_b64 v0, v[4:5], s[0:1] offset:26624 scale_offset
	s_sendmsg sendmsg(MSG_DEALLOC_VGPRS)
	s_endpgm
.LBB677_215:
	s_sendmsg sendmsg(MSG_DEALLOC_VGPRS)
	s_endpgm
	.section	.rodata,"a",@progbits
	.p2align	6, 0x0
	.amdhsa_kernel _ZN7rocprim17ROCPRIM_400000_NS6detail17trampoline_kernelINS0_14default_configENS1_27scan_by_key_config_selectorIxxEEZZNS1_16scan_by_key_implILNS1_25lookback_scan_determinismE0ELb0ES3_N6thrust23THRUST_200600_302600_NS6detail15normal_iteratorINS9_10device_ptrIxEEEESE_SE_xNS9_4plusIxEE19head_flag_predicatexEE10hipError_tPvRmT2_T3_T4_T5_mT6_T7_P12ihipStream_tbENKUlT_T0_E_clISt17integral_constantIbLb0EESY_EEDaST_SU_EUlST_E_NS1_11comp_targetILNS1_3genE0ELNS1_11target_archE4294967295ELNS1_3gpuE0ELNS1_3repE0EEENS1_30default_config_static_selectorELNS0_4arch9wavefront6targetE0EEEvT1_
		.amdhsa_group_segment_fixed_size 32768
		.amdhsa_private_segment_fixed_size 0
		.amdhsa_kernarg_size 136
		.amdhsa_user_sgpr_count 2
		.amdhsa_user_sgpr_dispatch_ptr 0
		.amdhsa_user_sgpr_queue_ptr 0
		.amdhsa_user_sgpr_kernarg_segment_ptr 1
		.amdhsa_user_sgpr_dispatch_id 0
		.amdhsa_user_sgpr_kernarg_preload_length 0
		.amdhsa_user_sgpr_kernarg_preload_offset 0
		.amdhsa_user_sgpr_private_segment_size 0
		.amdhsa_wavefront_size32 1
		.amdhsa_uses_dynamic_stack 0
		.amdhsa_enable_private_segment 0
		.amdhsa_system_sgpr_workgroup_id_x 1
		.amdhsa_system_sgpr_workgroup_id_y 0
		.amdhsa_system_sgpr_workgroup_id_z 0
		.amdhsa_system_sgpr_workgroup_info 0
		.amdhsa_system_vgpr_workitem_id 0
		.amdhsa_next_free_vgpr 106
		.amdhsa_next_free_sgpr 53
		.amdhsa_named_barrier_count 0
		.amdhsa_reserve_vcc 1
		.amdhsa_float_round_mode_32 0
		.amdhsa_float_round_mode_16_64 0
		.amdhsa_float_denorm_mode_32 3
		.amdhsa_float_denorm_mode_16_64 3
		.amdhsa_fp16_overflow 0
		.amdhsa_memory_ordered 1
		.amdhsa_forward_progress 1
		.amdhsa_inst_pref_size 120
		.amdhsa_round_robin_scheduling 0
		.amdhsa_exception_fp_ieee_invalid_op 0
		.amdhsa_exception_fp_denorm_src 0
		.amdhsa_exception_fp_ieee_div_zero 0
		.amdhsa_exception_fp_ieee_overflow 0
		.amdhsa_exception_fp_ieee_underflow 0
		.amdhsa_exception_fp_ieee_inexact 0
		.amdhsa_exception_int_div_zero 0
	.end_amdhsa_kernel
	.section	.text._ZN7rocprim17ROCPRIM_400000_NS6detail17trampoline_kernelINS0_14default_configENS1_27scan_by_key_config_selectorIxxEEZZNS1_16scan_by_key_implILNS1_25lookback_scan_determinismE0ELb0ES3_N6thrust23THRUST_200600_302600_NS6detail15normal_iteratorINS9_10device_ptrIxEEEESE_SE_xNS9_4plusIxEE19head_flag_predicatexEE10hipError_tPvRmT2_T3_T4_T5_mT6_T7_P12ihipStream_tbENKUlT_T0_E_clISt17integral_constantIbLb0EESY_EEDaST_SU_EUlST_E_NS1_11comp_targetILNS1_3genE0ELNS1_11target_archE4294967295ELNS1_3gpuE0ELNS1_3repE0EEENS1_30default_config_static_selectorELNS0_4arch9wavefront6targetE0EEEvT1_,"axG",@progbits,_ZN7rocprim17ROCPRIM_400000_NS6detail17trampoline_kernelINS0_14default_configENS1_27scan_by_key_config_selectorIxxEEZZNS1_16scan_by_key_implILNS1_25lookback_scan_determinismE0ELb0ES3_N6thrust23THRUST_200600_302600_NS6detail15normal_iteratorINS9_10device_ptrIxEEEESE_SE_xNS9_4plusIxEE19head_flag_predicatexEE10hipError_tPvRmT2_T3_T4_T5_mT6_T7_P12ihipStream_tbENKUlT_T0_E_clISt17integral_constantIbLb0EESY_EEDaST_SU_EUlST_E_NS1_11comp_targetILNS1_3genE0ELNS1_11target_archE4294967295ELNS1_3gpuE0ELNS1_3repE0EEENS1_30default_config_static_selectorELNS0_4arch9wavefront6targetE0EEEvT1_,comdat
.Lfunc_end677:
	.size	_ZN7rocprim17ROCPRIM_400000_NS6detail17trampoline_kernelINS0_14default_configENS1_27scan_by_key_config_selectorIxxEEZZNS1_16scan_by_key_implILNS1_25lookback_scan_determinismE0ELb0ES3_N6thrust23THRUST_200600_302600_NS6detail15normal_iteratorINS9_10device_ptrIxEEEESE_SE_xNS9_4plusIxEE19head_flag_predicatexEE10hipError_tPvRmT2_T3_T4_T5_mT6_T7_P12ihipStream_tbENKUlT_T0_E_clISt17integral_constantIbLb0EESY_EEDaST_SU_EUlST_E_NS1_11comp_targetILNS1_3genE0ELNS1_11target_archE4294967295ELNS1_3gpuE0ELNS1_3repE0EEENS1_30default_config_static_selectorELNS0_4arch9wavefront6targetE0EEEvT1_, .Lfunc_end677-_ZN7rocprim17ROCPRIM_400000_NS6detail17trampoline_kernelINS0_14default_configENS1_27scan_by_key_config_selectorIxxEEZZNS1_16scan_by_key_implILNS1_25lookback_scan_determinismE0ELb0ES3_N6thrust23THRUST_200600_302600_NS6detail15normal_iteratorINS9_10device_ptrIxEEEESE_SE_xNS9_4plusIxEE19head_flag_predicatexEE10hipError_tPvRmT2_T3_T4_T5_mT6_T7_P12ihipStream_tbENKUlT_T0_E_clISt17integral_constantIbLb0EESY_EEDaST_SU_EUlST_E_NS1_11comp_targetILNS1_3genE0ELNS1_11target_archE4294967295ELNS1_3gpuE0ELNS1_3repE0EEENS1_30default_config_static_selectorELNS0_4arch9wavefront6targetE0EEEvT1_
                                        ; -- End function
	.set _ZN7rocprim17ROCPRIM_400000_NS6detail17trampoline_kernelINS0_14default_configENS1_27scan_by_key_config_selectorIxxEEZZNS1_16scan_by_key_implILNS1_25lookback_scan_determinismE0ELb0ES3_N6thrust23THRUST_200600_302600_NS6detail15normal_iteratorINS9_10device_ptrIxEEEESE_SE_xNS9_4plusIxEE19head_flag_predicatexEE10hipError_tPvRmT2_T3_T4_T5_mT6_T7_P12ihipStream_tbENKUlT_T0_E_clISt17integral_constantIbLb0EESY_EEDaST_SU_EUlST_E_NS1_11comp_targetILNS1_3genE0ELNS1_11target_archE4294967295ELNS1_3gpuE0ELNS1_3repE0EEENS1_30default_config_static_selectorELNS0_4arch9wavefront6targetE0EEEvT1_.num_vgpr, 106
	.set _ZN7rocprim17ROCPRIM_400000_NS6detail17trampoline_kernelINS0_14default_configENS1_27scan_by_key_config_selectorIxxEEZZNS1_16scan_by_key_implILNS1_25lookback_scan_determinismE0ELb0ES3_N6thrust23THRUST_200600_302600_NS6detail15normal_iteratorINS9_10device_ptrIxEEEESE_SE_xNS9_4plusIxEE19head_flag_predicatexEE10hipError_tPvRmT2_T3_T4_T5_mT6_T7_P12ihipStream_tbENKUlT_T0_E_clISt17integral_constantIbLb0EESY_EEDaST_SU_EUlST_E_NS1_11comp_targetILNS1_3genE0ELNS1_11target_archE4294967295ELNS1_3gpuE0ELNS1_3repE0EEENS1_30default_config_static_selectorELNS0_4arch9wavefront6targetE0EEEvT1_.num_agpr, 0
	.set _ZN7rocprim17ROCPRIM_400000_NS6detail17trampoline_kernelINS0_14default_configENS1_27scan_by_key_config_selectorIxxEEZZNS1_16scan_by_key_implILNS1_25lookback_scan_determinismE0ELb0ES3_N6thrust23THRUST_200600_302600_NS6detail15normal_iteratorINS9_10device_ptrIxEEEESE_SE_xNS9_4plusIxEE19head_flag_predicatexEE10hipError_tPvRmT2_T3_T4_T5_mT6_T7_P12ihipStream_tbENKUlT_T0_E_clISt17integral_constantIbLb0EESY_EEDaST_SU_EUlST_E_NS1_11comp_targetILNS1_3genE0ELNS1_11target_archE4294967295ELNS1_3gpuE0ELNS1_3repE0EEENS1_30default_config_static_selectorELNS0_4arch9wavefront6targetE0EEEvT1_.numbered_sgpr, 53
	.set _ZN7rocprim17ROCPRIM_400000_NS6detail17trampoline_kernelINS0_14default_configENS1_27scan_by_key_config_selectorIxxEEZZNS1_16scan_by_key_implILNS1_25lookback_scan_determinismE0ELb0ES3_N6thrust23THRUST_200600_302600_NS6detail15normal_iteratorINS9_10device_ptrIxEEEESE_SE_xNS9_4plusIxEE19head_flag_predicatexEE10hipError_tPvRmT2_T3_T4_T5_mT6_T7_P12ihipStream_tbENKUlT_T0_E_clISt17integral_constantIbLb0EESY_EEDaST_SU_EUlST_E_NS1_11comp_targetILNS1_3genE0ELNS1_11target_archE4294967295ELNS1_3gpuE0ELNS1_3repE0EEENS1_30default_config_static_selectorELNS0_4arch9wavefront6targetE0EEEvT1_.num_named_barrier, 0
	.set _ZN7rocprim17ROCPRIM_400000_NS6detail17trampoline_kernelINS0_14default_configENS1_27scan_by_key_config_selectorIxxEEZZNS1_16scan_by_key_implILNS1_25lookback_scan_determinismE0ELb0ES3_N6thrust23THRUST_200600_302600_NS6detail15normal_iteratorINS9_10device_ptrIxEEEESE_SE_xNS9_4plusIxEE19head_flag_predicatexEE10hipError_tPvRmT2_T3_T4_T5_mT6_T7_P12ihipStream_tbENKUlT_T0_E_clISt17integral_constantIbLb0EESY_EEDaST_SU_EUlST_E_NS1_11comp_targetILNS1_3genE0ELNS1_11target_archE4294967295ELNS1_3gpuE0ELNS1_3repE0EEENS1_30default_config_static_selectorELNS0_4arch9wavefront6targetE0EEEvT1_.private_seg_size, 0
	.set _ZN7rocprim17ROCPRIM_400000_NS6detail17trampoline_kernelINS0_14default_configENS1_27scan_by_key_config_selectorIxxEEZZNS1_16scan_by_key_implILNS1_25lookback_scan_determinismE0ELb0ES3_N6thrust23THRUST_200600_302600_NS6detail15normal_iteratorINS9_10device_ptrIxEEEESE_SE_xNS9_4plusIxEE19head_flag_predicatexEE10hipError_tPvRmT2_T3_T4_T5_mT6_T7_P12ihipStream_tbENKUlT_T0_E_clISt17integral_constantIbLb0EESY_EEDaST_SU_EUlST_E_NS1_11comp_targetILNS1_3genE0ELNS1_11target_archE4294967295ELNS1_3gpuE0ELNS1_3repE0EEENS1_30default_config_static_selectorELNS0_4arch9wavefront6targetE0EEEvT1_.uses_vcc, 1
	.set _ZN7rocprim17ROCPRIM_400000_NS6detail17trampoline_kernelINS0_14default_configENS1_27scan_by_key_config_selectorIxxEEZZNS1_16scan_by_key_implILNS1_25lookback_scan_determinismE0ELb0ES3_N6thrust23THRUST_200600_302600_NS6detail15normal_iteratorINS9_10device_ptrIxEEEESE_SE_xNS9_4plusIxEE19head_flag_predicatexEE10hipError_tPvRmT2_T3_T4_T5_mT6_T7_P12ihipStream_tbENKUlT_T0_E_clISt17integral_constantIbLb0EESY_EEDaST_SU_EUlST_E_NS1_11comp_targetILNS1_3genE0ELNS1_11target_archE4294967295ELNS1_3gpuE0ELNS1_3repE0EEENS1_30default_config_static_selectorELNS0_4arch9wavefront6targetE0EEEvT1_.uses_flat_scratch, 1
	.set _ZN7rocprim17ROCPRIM_400000_NS6detail17trampoline_kernelINS0_14default_configENS1_27scan_by_key_config_selectorIxxEEZZNS1_16scan_by_key_implILNS1_25lookback_scan_determinismE0ELb0ES3_N6thrust23THRUST_200600_302600_NS6detail15normal_iteratorINS9_10device_ptrIxEEEESE_SE_xNS9_4plusIxEE19head_flag_predicatexEE10hipError_tPvRmT2_T3_T4_T5_mT6_T7_P12ihipStream_tbENKUlT_T0_E_clISt17integral_constantIbLb0EESY_EEDaST_SU_EUlST_E_NS1_11comp_targetILNS1_3genE0ELNS1_11target_archE4294967295ELNS1_3gpuE0ELNS1_3repE0EEENS1_30default_config_static_selectorELNS0_4arch9wavefront6targetE0EEEvT1_.has_dyn_sized_stack, 0
	.set _ZN7rocprim17ROCPRIM_400000_NS6detail17trampoline_kernelINS0_14default_configENS1_27scan_by_key_config_selectorIxxEEZZNS1_16scan_by_key_implILNS1_25lookback_scan_determinismE0ELb0ES3_N6thrust23THRUST_200600_302600_NS6detail15normal_iteratorINS9_10device_ptrIxEEEESE_SE_xNS9_4plusIxEE19head_flag_predicatexEE10hipError_tPvRmT2_T3_T4_T5_mT6_T7_P12ihipStream_tbENKUlT_T0_E_clISt17integral_constantIbLb0EESY_EEDaST_SU_EUlST_E_NS1_11comp_targetILNS1_3genE0ELNS1_11target_archE4294967295ELNS1_3gpuE0ELNS1_3repE0EEENS1_30default_config_static_selectorELNS0_4arch9wavefront6targetE0EEEvT1_.has_recursion, 0
	.set _ZN7rocprim17ROCPRIM_400000_NS6detail17trampoline_kernelINS0_14default_configENS1_27scan_by_key_config_selectorIxxEEZZNS1_16scan_by_key_implILNS1_25lookback_scan_determinismE0ELb0ES3_N6thrust23THRUST_200600_302600_NS6detail15normal_iteratorINS9_10device_ptrIxEEEESE_SE_xNS9_4plusIxEE19head_flag_predicatexEE10hipError_tPvRmT2_T3_T4_T5_mT6_T7_P12ihipStream_tbENKUlT_T0_E_clISt17integral_constantIbLb0EESY_EEDaST_SU_EUlST_E_NS1_11comp_targetILNS1_3genE0ELNS1_11target_archE4294967295ELNS1_3gpuE0ELNS1_3repE0EEENS1_30default_config_static_selectorELNS0_4arch9wavefront6targetE0EEEvT1_.has_indirect_call, 0
	.section	.AMDGPU.csdata,"",@progbits
; Kernel info:
; codeLenInByte = 15284
; TotalNumSgprs: 55
; NumVgprs: 106
; ScratchSize: 0
; MemoryBound: 0
; FloatMode: 240
; IeeeMode: 1
; LDSByteSize: 32768 bytes/workgroup (compile time only)
; SGPRBlocks: 0
; VGPRBlocks: 6
; NumSGPRsForWavesPerEU: 55
; NumVGPRsForWavesPerEU: 106
; NamedBarCnt: 0
; Occupancy: 9
; WaveLimiterHint : 1
; COMPUTE_PGM_RSRC2:SCRATCH_EN: 0
; COMPUTE_PGM_RSRC2:USER_SGPR: 2
; COMPUTE_PGM_RSRC2:TRAP_HANDLER: 0
; COMPUTE_PGM_RSRC2:TGID_X_EN: 1
; COMPUTE_PGM_RSRC2:TGID_Y_EN: 0
; COMPUTE_PGM_RSRC2:TGID_Z_EN: 0
; COMPUTE_PGM_RSRC2:TIDIG_COMP_CNT: 0
	.section	.text._ZN7rocprim17ROCPRIM_400000_NS6detail17trampoline_kernelINS0_14default_configENS1_27scan_by_key_config_selectorIxxEEZZNS1_16scan_by_key_implILNS1_25lookback_scan_determinismE0ELb0ES3_N6thrust23THRUST_200600_302600_NS6detail15normal_iteratorINS9_10device_ptrIxEEEESE_SE_xNS9_4plusIxEE19head_flag_predicatexEE10hipError_tPvRmT2_T3_T4_T5_mT6_T7_P12ihipStream_tbENKUlT_T0_E_clISt17integral_constantIbLb0EESY_EEDaST_SU_EUlST_E_NS1_11comp_targetILNS1_3genE10ELNS1_11target_archE1201ELNS1_3gpuE5ELNS1_3repE0EEENS1_30default_config_static_selectorELNS0_4arch9wavefront6targetE0EEEvT1_,"axG",@progbits,_ZN7rocprim17ROCPRIM_400000_NS6detail17trampoline_kernelINS0_14default_configENS1_27scan_by_key_config_selectorIxxEEZZNS1_16scan_by_key_implILNS1_25lookback_scan_determinismE0ELb0ES3_N6thrust23THRUST_200600_302600_NS6detail15normal_iteratorINS9_10device_ptrIxEEEESE_SE_xNS9_4plusIxEE19head_flag_predicatexEE10hipError_tPvRmT2_T3_T4_T5_mT6_T7_P12ihipStream_tbENKUlT_T0_E_clISt17integral_constantIbLb0EESY_EEDaST_SU_EUlST_E_NS1_11comp_targetILNS1_3genE10ELNS1_11target_archE1201ELNS1_3gpuE5ELNS1_3repE0EEENS1_30default_config_static_selectorELNS0_4arch9wavefront6targetE0EEEvT1_,comdat
	.protected	_ZN7rocprim17ROCPRIM_400000_NS6detail17trampoline_kernelINS0_14default_configENS1_27scan_by_key_config_selectorIxxEEZZNS1_16scan_by_key_implILNS1_25lookback_scan_determinismE0ELb0ES3_N6thrust23THRUST_200600_302600_NS6detail15normal_iteratorINS9_10device_ptrIxEEEESE_SE_xNS9_4plusIxEE19head_flag_predicatexEE10hipError_tPvRmT2_T3_T4_T5_mT6_T7_P12ihipStream_tbENKUlT_T0_E_clISt17integral_constantIbLb0EESY_EEDaST_SU_EUlST_E_NS1_11comp_targetILNS1_3genE10ELNS1_11target_archE1201ELNS1_3gpuE5ELNS1_3repE0EEENS1_30default_config_static_selectorELNS0_4arch9wavefront6targetE0EEEvT1_ ; -- Begin function _ZN7rocprim17ROCPRIM_400000_NS6detail17trampoline_kernelINS0_14default_configENS1_27scan_by_key_config_selectorIxxEEZZNS1_16scan_by_key_implILNS1_25lookback_scan_determinismE0ELb0ES3_N6thrust23THRUST_200600_302600_NS6detail15normal_iteratorINS9_10device_ptrIxEEEESE_SE_xNS9_4plusIxEE19head_flag_predicatexEE10hipError_tPvRmT2_T3_T4_T5_mT6_T7_P12ihipStream_tbENKUlT_T0_E_clISt17integral_constantIbLb0EESY_EEDaST_SU_EUlST_E_NS1_11comp_targetILNS1_3genE10ELNS1_11target_archE1201ELNS1_3gpuE5ELNS1_3repE0EEENS1_30default_config_static_selectorELNS0_4arch9wavefront6targetE0EEEvT1_
	.globl	_ZN7rocprim17ROCPRIM_400000_NS6detail17trampoline_kernelINS0_14default_configENS1_27scan_by_key_config_selectorIxxEEZZNS1_16scan_by_key_implILNS1_25lookback_scan_determinismE0ELb0ES3_N6thrust23THRUST_200600_302600_NS6detail15normal_iteratorINS9_10device_ptrIxEEEESE_SE_xNS9_4plusIxEE19head_flag_predicatexEE10hipError_tPvRmT2_T3_T4_T5_mT6_T7_P12ihipStream_tbENKUlT_T0_E_clISt17integral_constantIbLb0EESY_EEDaST_SU_EUlST_E_NS1_11comp_targetILNS1_3genE10ELNS1_11target_archE1201ELNS1_3gpuE5ELNS1_3repE0EEENS1_30default_config_static_selectorELNS0_4arch9wavefront6targetE0EEEvT1_
	.p2align	8
	.type	_ZN7rocprim17ROCPRIM_400000_NS6detail17trampoline_kernelINS0_14default_configENS1_27scan_by_key_config_selectorIxxEEZZNS1_16scan_by_key_implILNS1_25lookback_scan_determinismE0ELb0ES3_N6thrust23THRUST_200600_302600_NS6detail15normal_iteratorINS9_10device_ptrIxEEEESE_SE_xNS9_4plusIxEE19head_flag_predicatexEE10hipError_tPvRmT2_T3_T4_T5_mT6_T7_P12ihipStream_tbENKUlT_T0_E_clISt17integral_constantIbLb0EESY_EEDaST_SU_EUlST_E_NS1_11comp_targetILNS1_3genE10ELNS1_11target_archE1201ELNS1_3gpuE5ELNS1_3repE0EEENS1_30default_config_static_selectorELNS0_4arch9wavefront6targetE0EEEvT1_,@function
_ZN7rocprim17ROCPRIM_400000_NS6detail17trampoline_kernelINS0_14default_configENS1_27scan_by_key_config_selectorIxxEEZZNS1_16scan_by_key_implILNS1_25lookback_scan_determinismE0ELb0ES3_N6thrust23THRUST_200600_302600_NS6detail15normal_iteratorINS9_10device_ptrIxEEEESE_SE_xNS9_4plusIxEE19head_flag_predicatexEE10hipError_tPvRmT2_T3_T4_T5_mT6_T7_P12ihipStream_tbENKUlT_T0_E_clISt17integral_constantIbLb0EESY_EEDaST_SU_EUlST_E_NS1_11comp_targetILNS1_3genE10ELNS1_11target_archE1201ELNS1_3gpuE5ELNS1_3repE0EEENS1_30default_config_static_selectorELNS0_4arch9wavefront6targetE0EEEvT1_: ; @_ZN7rocprim17ROCPRIM_400000_NS6detail17trampoline_kernelINS0_14default_configENS1_27scan_by_key_config_selectorIxxEEZZNS1_16scan_by_key_implILNS1_25lookback_scan_determinismE0ELb0ES3_N6thrust23THRUST_200600_302600_NS6detail15normal_iteratorINS9_10device_ptrIxEEEESE_SE_xNS9_4plusIxEE19head_flag_predicatexEE10hipError_tPvRmT2_T3_T4_T5_mT6_T7_P12ihipStream_tbENKUlT_T0_E_clISt17integral_constantIbLb0EESY_EEDaST_SU_EUlST_E_NS1_11comp_targetILNS1_3genE10ELNS1_11target_archE1201ELNS1_3gpuE5ELNS1_3repE0EEENS1_30default_config_static_selectorELNS0_4arch9wavefront6targetE0EEEvT1_
; %bb.0:
	.section	.rodata,"a",@progbits
	.p2align	6, 0x0
	.amdhsa_kernel _ZN7rocprim17ROCPRIM_400000_NS6detail17trampoline_kernelINS0_14default_configENS1_27scan_by_key_config_selectorIxxEEZZNS1_16scan_by_key_implILNS1_25lookback_scan_determinismE0ELb0ES3_N6thrust23THRUST_200600_302600_NS6detail15normal_iteratorINS9_10device_ptrIxEEEESE_SE_xNS9_4plusIxEE19head_flag_predicatexEE10hipError_tPvRmT2_T3_T4_T5_mT6_T7_P12ihipStream_tbENKUlT_T0_E_clISt17integral_constantIbLb0EESY_EEDaST_SU_EUlST_E_NS1_11comp_targetILNS1_3genE10ELNS1_11target_archE1201ELNS1_3gpuE5ELNS1_3repE0EEENS1_30default_config_static_selectorELNS0_4arch9wavefront6targetE0EEEvT1_
		.amdhsa_group_segment_fixed_size 0
		.amdhsa_private_segment_fixed_size 0
		.amdhsa_kernarg_size 136
		.amdhsa_user_sgpr_count 2
		.amdhsa_user_sgpr_dispatch_ptr 0
		.amdhsa_user_sgpr_queue_ptr 0
		.amdhsa_user_sgpr_kernarg_segment_ptr 1
		.amdhsa_user_sgpr_dispatch_id 0
		.amdhsa_user_sgpr_kernarg_preload_length 0
		.amdhsa_user_sgpr_kernarg_preload_offset 0
		.amdhsa_user_sgpr_private_segment_size 0
		.amdhsa_wavefront_size32 1
		.amdhsa_uses_dynamic_stack 0
		.amdhsa_enable_private_segment 0
		.amdhsa_system_sgpr_workgroup_id_x 1
		.amdhsa_system_sgpr_workgroup_id_y 0
		.amdhsa_system_sgpr_workgroup_id_z 0
		.amdhsa_system_sgpr_workgroup_info 0
		.amdhsa_system_vgpr_workitem_id 0
		.amdhsa_next_free_vgpr 1
		.amdhsa_next_free_sgpr 1
		.amdhsa_named_barrier_count 0
		.amdhsa_reserve_vcc 0
		.amdhsa_float_round_mode_32 0
		.amdhsa_float_round_mode_16_64 0
		.amdhsa_float_denorm_mode_32 3
		.amdhsa_float_denorm_mode_16_64 3
		.amdhsa_fp16_overflow 0
		.amdhsa_memory_ordered 1
		.amdhsa_forward_progress 1
		.amdhsa_inst_pref_size 0
		.amdhsa_round_robin_scheduling 0
		.amdhsa_exception_fp_ieee_invalid_op 0
		.amdhsa_exception_fp_denorm_src 0
		.amdhsa_exception_fp_ieee_div_zero 0
		.amdhsa_exception_fp_ieee_overflow 0
		.amdhsa_exception_fp_ieee_underflow 0
		.amdhsa_exception_fp_ieee_inexact 0
		.amdhsa_exception_int_div_zero 0
	.end_amdhsa_kernel
	.section	.text._ZN7rocprim17ROCPRIM_400000_NS6detail17trampoline_kernelINS0_14default_configENS1_27scan_by_key_config_selectorIxxEEZZNS1_16scan_by_key_implILNS1_25lookback_scan_determinismE0ELb0ES3_N6thrust23THRUST_200600_302600_NS6detail15normal_iteratorINS9_10device_ptrIxEEEESE_SE_xNS9_4plusIxEE19head_flag_predicatexEE10hipError_tPvRmT2_T3_T4_T5_mT6_T7_P12ihipStream_tbENKUlT_T0_E_clISt17integral_constantIbLb0EESY_EEDaST_SU_EUlST_E_NS1_11comp_targetILNS1_3genE10ELNS1_11target_archE1201ELNS1_3gpuE5ELNS1_3repE0EEENS1_30default_config_static_selectorELNS0_4arch9wavefront6targetE0EEEvT1_,"axG",@progbits,_ZN7rocprim17ROCPRIM_400000_NS6detail17trampoline_kernelINS0_14default_configENS1_27scan_by_key_config_selectorIxxEEZZNS1_16scan_by_key_implILNS1_25lookback_scan_determinismE0ELb0ES3_N6thrust23THRUST_200600_302600_NS6detail15normal_iteratorINS9_10device_ptrIxEEEESE_SE_xNS9_4plusIxEE19head_flag_predicatexEE10hipError_tPvRmT2_T3_T4_T5_mT6_T7_P12ihipStream_tbENKUlT_T0_E_clISt17integral_constantIbLb0EESY_EEDaST_SU_EUlST_E_NS1_11comp_targetILNS1_3genE10ELNS1_11target_archE1201ELNS1_3gpuE5ELNS1_3repE0EEENS1_30default_config_static_selectorELNS0_4arch9wavefront6targetE0EEEvT1_,comdat
.Lfunc_end678:
	.size	_ZN7rocprim17ROCPRIM_400000_NS6detail17trampoline_kernelINS0_14default_configENS1_27scan_by_key_config_selectorIxxEEZZNS1_16scan_by_key_implILNS1_25lookback_scan_determinismE0ELb0ES3_N6thrust23THRUST_200600_302600_NS6detail15normal_iteratorINS9_10device_ptrIxEEEESE_SE_xNS9_4plusIxEE19head_flag_predicatexEE10hipError_tPvRmT2_T3_T4_T5_mT6_T7_P12ihipStream_tbENKUlT_T0_E_clISt17integral_constantIbLb0EESY_EEDaST_SU_EUlST_E_NS1_11comp_targetILNS1_3genE10ELNS1_11target_archE1201ELNS1_3gpuE5ELNS1_3repE0EEENS1_30default_config_static_selectorELNS0_4arch9wavefront6targetE0EEEvT1_, .Lfunc_end678-_ZN7rocprim17ROCPRIM_400000_NS6detail17trampoline_kernelINS0_14default_configENS1_27scan_by_key_config_selectorIxxEEZZNS1_16scan_by_key_implILNS1_25lookback_scan_determinismE0ELb0ES3_N6thrust23THRUST_200600_302600_NS6detail15normal_iteratorINS9_10device_ptrIxEEEESE_SE_xNS9_4plusIxEE19head_flag_predicatexEE10hipError_tPvRmT2_T3_T4_T5_mT6_T7_P12ihipStream_tbENKUlT_T0_E_clISt17integral_constantIbLb0EESY_EEDaST_SU_EUlST_E_NS1_11comp_targetILNS1_3genE10ELNS1_11target_archE1201ELNS1_3gpuE5ELNS1_3repE0EEENS1_30default_config_static_selectorELNS0_4arch9wavefront6targetE0EEEvT1_
                                        ; -- End function
	.set _ZN7rocprim17ROCPRIM_400000_NS6detail17trampoline_kernelINS0_14default_configENS1_27scan_by_key_config_selectorIxxEEZZNS1_16scan_by_key_implILNS1_25lookback_scan_determinismE0ELb0ES3_N6thrust23THRUST_200600_302600_NS6detail15normal_iteratorINS9_10device_ptrIxEEEESE_SE_xNS9_4plusIxEE19head_flag_predicatexEE10hipError_tPvRmT2_T3_T4_T5_mT6_T7_P12ihipStream_tbENKUlT_T0_E_clISt17integral_constantIbLb0EESY_EEDaST_SU_EUlST_E_NS1_11comp_targetILNS1_3genE10ELNS1_11target_archE1201ELNS1_3gpuE5ELNS1_3repE0EEENS1_30default_config_static_selectorELNS0_4arch9wavefront6targetE0EEEvT1_.num_vgpr, 0
	.set _ZN7rocprim17ROCPRIM_400000_NS6detail17trampoline_kernelINS0_14default_configENS1_27scan_by_key_config_selectorIxxEEZZNS1_16scan_by_key_implILNS1_25lookback_scan_determinismE0ELb0ES3_N6thrust23THRUST_200600_302600_NS6detail15normal_iteratorINS9_10device_ptrIxEEEESE_SE_xNS9_4plusIxEE19head_flag_predicatexEE10hipError_tPvRmT2_T3_T4_T5_mT6_T7_P12ihipStream_tbENKUlT_T0_E_clISt17integral_constantIbLb0EESY_EEDaST_SU_EUlST_E_NS1_11comp_targetILNS1_3genE10ELNS1_11target_archE1201ELNS1_3gpuE5ELNS1_3repE0EEENS1_30default_config_static_selectorELNS0_4arch9wavefront6targetE0EEEvT1_.num_agpr, 0
	.set _ZN7rocprim17ROCPRIM_400000_NS6detail17trampoline_kernelINS0_14default_configENS1_27scan_by_key_config_selectorIxxEEZZNS1_16scan_by_key_implILNS1_25lookback_scan_determinismE0ELb0ES3_N6thrust23THRUST_200600_302600_NS6detail15normal_iteratorINS9_10device_ptrIxEEEESE_SE_xNS9_4plusIxEE19head_flag_predicatexEE10hipError_tPvRmT2_T3_T4_T5_mT6_T7_P12ihipStream_tbENKUlT_T0_E_clISt17integral_constantIbLb0EESY_EEDaST_SU_EUlST_E_NS1_11comp_targetILNS1_3genE10ELNS1_11target_archE1201ELNS1_3gpuE5ELNS1_3repE0EEENS1_30default_config_static_selectorELNS0_4arch9wavefront6targetE0EEEvT1_.numbered_sgpr, 0
	.set _ZN7rocprim17ROCPRIM_400000_NS6detail17trampoline_kernelINS0_14default_configENS1_27scan_by_key_config_selectorIxxEEZZNS1_16scan_by_key_implILNS1_25lookback_scan_determinismE0ELb0ES3_N6thrust23THRUST_200600_302600_NS6detail15normal_iteratorINS9_10device_ptrIxEEEESE_SE_xNS9_4plusIxEE19head_flag_predicatexEE10hipError_tPvRmT2_T3_T4_T5_mT6_T7_P12ihipStream_tbENKUlT_T0_E_clISt17integral_constantIbLb0EESY_EEDaST_SU_EUlST_E_NS1_11comp_targetILNS1_3genE10ELNS1_11target_archE1201ELNS1_3gpuE5ELNS1_3repE0EEENS1_30default_config_static_selectorELNS0_4arch9wavefront6targetE0EEEvT1_.num_named_barrier, 0
	.set _ZN7rocprim17ROCPRIM_400000_NS6detail17trampoline_kernelINS0_14default_configENS1_27scan_by_key_config_selectorIxxEEZZNS1_16scan_by_key_implILNS1_25lookback_scan_determinismE0ELb0ES3_N6thrust23THRUST_200600_302600_NS6detail15normal_iteratorINS9_10device_ptrIxEEEESE_SE_xNS9_4plusIxEE19head_flag_predicatexEE10hipError_tPvRmT2_T3_T4_T5_mT6_T7_P12ihipStream_tbENKUlT_T0_E_clISt17integral_constantIbLb0EESY_EEDaST_SU_EUlST_E_NS1_11comp_targetILNS1_3genE10ELNS1_11target_archE1201ELNS1_3gpuE5ELNS1_3repE0EEENS1_30default_config_static_selectorELNS0_4arch9wavefront6targetE0EEEvT1_.private_seg_size, 0
	.set _ZN7rocprim17ROCPRIM_400000_NS6detail17trampoline_kernelINS0_14default_configENS1_27scan_by_key_config_selectorIxxEEZZNS1_16scan_by_key_implILNS1_25lookback_scan_determinismE0ELb0ES3_N6thrust23THRUST_200600_302600_NS6detail15normal_iteratorINS9_10device_ptrIxEEEESE_SE_xNS9_4plusIxEE19head_flag_predicatexEE10hipError_tPvRmT2_T3_T4_T5_mT6_T7_P12ihipStream_tbENKUlT_T0_E_clISt17integral_constantIbLb0EESY_EEDaST_SU_EUlST_E_NS1_11comp_targetILNS1_3genE10ELNS1_11target_archE1201ELNS1_3gpuE5ELNS1_3repE0EEENS1_30default_config_static_selectorELNS0_4arch9wavefront6targetE0EEEvT1_.uses_vcc, 0
	.set _ZN7rocprim17ROCPRIM_400000_NS6detail17trampoline_kernelINS0_14default_configENS1_27scan_by_key_config_selectorIxxEEZZNS1_16scan_by_key_implILNS1_25lookback_scan_determinismE0ELb0ES3_N6thrust23THRUST_200600_302600_NS6detail15normal_iteratorINS9_10device_ptrIxEEEESE_SE_xNS9_4plusIxEE19head_flag_predicatexEE10hipError_tPvRmT2_T3_T4_T5_mT6_T7_P12ihipStream_tbENKUlT_T0_E_clISt17integral_constantIbLb0EESY_EEDaST_SU_EUlST_E_NS1_11comp_targetILNS1_3genE10ELNS1_11target_archE1201ELNS1_3gpuE5ELNS1_3repE0EEENS1_30default_config_static_selectorELNS0_4arch9wavefront6targetE0EEEvT1_.uses_flat_scratch, 0
	.set _ZN7rocprim17ROCPRIM_400000_NS6detail17trampoline_kernelINS0_14default_configENS1_27scan_by_key_config_selectorIxxEEZZNS1_16scan_by_key_implILNS1_25lookback_scan_determinismE0ELb0ES3_N6thrust23THRUST_200600_302600_NS6detail15normal_iteratorINS9_10device_ptrIxEEEESE_SE_xNS9_4plusIxEE19head_flag_predicatexEE10hipError_tPvRmT2_T3_T4_T5_mT6_T7_P12ihipStream_tbENKUlT_T0_E_clISt17integral_constantIbLb0EESY_EEDaST_SU_EUlST_E_NS1_11comp_targetILNS1_3genE10ELNS1_11target_archE1201ELNS1_3gpuE5ELNS1_3repE0EEENS1_30default_config_static_selectorELNS0_4arch9wavefront6targetE0EEEvT1_.has_dyn_sized_stack, 0
	.set _ZN7rocprim17ROCPRIM_400000_NS6detail17trampoline_kernelINS0_14default_configENS1_27scan_by_key_config_selectorIxxEEZZNS1_16scan_by_key_implILNS1_25lookback_scan_determinismE0ELb0ES3_N6thrust23THRUST_200600_302600_NS6detail15normal_iteratorINS9_10device_ptrIxEEEESE_SE_xNS9_4plusIxEE19head_flag_predicatexEE10hipError_tPvRmT2_T3_T4_T5_mT6_T7_P12ihipStream_tbENKUlT_T0_E_clISt17integral_constantIbLb0EESY_EEDaST_SU_EUlST_E_NS1_11comp_targetILNS1_3genE10ELNS1_11target_archE1201ELNS1_3gpuE5ELNS1_3repE0EEENS1_30default_config_static_selectorELNS0_4arch9wavefront6targetE0EEEvT1_.has_recursion, 0
	.set _ZN7rocprim17ROCPRIM_400000_NS6detail17trampoline_kernelINS0_14default_configENS1_27scan_by_key_config_selectorIxxEEZZNS1_16scan_by_key_implILNS1_25lookback_scan_determinismE0ELb0ES3_N6thrust23THRUST_200600_302600_NS6detail15normal_iteratorINS9_10device_ptrIxEEEESE_SE_xNS9_4plusIxEE19head_flag_predicatexEE10hipError_tPvRmT2_T3_T4_T5_mT6_T7_P12ihipStream_tbENKUlT_T0_E_clISt17integral_constantIbLb0EESY_EEDaST_SU_EUlST_E_NS1_11comp_targetILNS1_3genE10ELNS1_11target_archE1201ELNS1_3gpuE5ELNS1_3repE0EEENS1_30default_config_static_selectorELNS0_4arch9wavefront6targetE0EEEvT1_.has_indirect_call, 0
	.section	.AMDGPU.csdata,"",@progbits
; Kernel info:
; codeLenInByte = 0
; TotalNumSgprs: 0
; NumVgprs: 0
; ScratchSize: 0
; MemoryBound: 0
; FloatMode: 240
; IeeeMode: 1
; LDSByteSize: 0 bytes/workgroup (compile time only)
; SGPRBlocks: 0
; VGPRBlocks: 0
; NumSGPRsForWavesPerEU: 1
; NumVGPRsForWavesPerEU: 1
; NamedBarCnt: 0
; Occupancy: 16
; WaveLimiterHint : 0
; COMPUTE_PGM_RSRC2:SCRATCH_EN: 0
; COMPUTE_PGM_RSRC2:USER_SGPR: 2
; COMPUTE_PGM_RSRC2:TRAP_HANDLER: 0
; COMPUTE_PGM_RSRC2:TGID_X_EN: 1
; COMPUTE_PGM_RSRC2:TGID_Y_EN: 0
; COMPUTE_PGM_RSRC2:TGID_Z_EN: 0
; COMPUTE_PGM_RSRC2:TIDIG_COMP_CNT: 0
	.section	.text._ZN7rocprim17ROCPRIM_400000_NS6detail17trampoline_kernelINS0_14default_configENS1_27scan_by_key_config_selectorIxxEEZZNS1_16scan_by_key_implILNS1_25lookback_scan_determinismE0ELb0ES3_N6thrust23THRUST_200600_302600_NS6detail15normal_iteratorINS9_10device_ptrIxEEEESE_SE_xNS9_4plusIxEE19head_flag_predicatexEE10hipError_tPvRmT2_T3_T4_T5_mT6_T7_P12ihipStream_tbENKUlT_T0_E_clISt17integral_constantIbLb0EESY_EEDaST_SU_EUlST_E_NS1_11comp_targetILNS1_3genE5ELNS1_11target_archE942ELNS1_3gpuE9ELNS1_3repE0EEENS1_30default_config_static_selectorELNS0_4arch9wavefront6targetE0EEEvT1_,"axG",@progbits,_ZN7rocprim17ROCPRIM_400000_NS6detail17trampoline_kernelINS0_14default_configENS1_27scan_by_key_config_selectorIxxEEZZNS1_16scan_by_key_implILNS1_25lookback_scan_determinismE0ELb0ES3_N6thrust23THRUST_200600_302600_NS6detail15normal_iteratorINS9_10device_ptrIxEEEESE_SE_xNS9_4plusIxEE19head_flag_predicatexEE10hipError_tPvRmT2_T3_T4_T5_mT6_T7_P12ihipStream_tbENKUlT_T0_E_clISt17integral_constantIbLb0EESY_EEDaST_SU_EUlST_E_NS1_11comp_targetILNS1_3genE5ELNS1_11target_archE942ELNS1_3gpuE9ELNS1_3repE0EEENS1_30default_config_static_selectorELNS0_4arch9wavefront6targetE0EEEvT1_,comdat
	.protected	_ZN7rocprim17ROCPRIM_400000_NS6detail17trampoline_kernelINS0_14default_configENS1_27scan_by_key_config_selectorIxxEEZZNS1_16scan_by_key_implILNS1_25lookback_scan_determinismE0ELb0ES3_N6thrust23THRUST_200600_302600_NS6detail15normal_iteratorINS9_10device_ptrIxEEEESE_SE_xNS9_4plusIxEE19head_flag_predicatexEE10hipError_tPvRmT2_T3_T4_T5_mT6_T7_P12ihipStream_tbENKUlT_T0_E_clISt17integral_constantIbLb0EESY_EEDaST_SU_EUlST_E_NS1_11comp_targetILNS1_3genE5ELNS1_11target_archE942ELNS1_3gpuE9ELNS1_3repE0EEENS1_30default_config_static_selectorELNS0_4arch9wavefront6targetE0EEEvT1_ ; -- Begin function _ZN7rocprim17ROCPRIM_400000_NS6detail17trampoline_kernelINS0_14default_configENS1_27scan_by_key_config_selectorIxxEEZZNS1_16scan_by_key_implILNS1_25lookback_scan_determinismE0ELb0ES3_N6thrust23THRUST_200600_302600_NS6detail15normal_iteratorINS9_10device_ptrIxEEEESE_SE_xNS9_4plusIxEE19head_flag_predicatexEE10hipError_tPvRmT2_T3_T4_T5_mT6_T7_P12ihipStream_tbENKUlT_T0_E_clISt17integral_constantIbLb0EESY_EEDaST_SU_EUlST_E_NS1_11comp_targetILNS1_3genE5ELNS1_11target_archE942ELNS1_3gpuE9ELNS1_3repE0EEENS1_30default_config_static_selectorELNS0_4arch9wavefront6targetE0EEEvT1_
	.globl	_ZN7rocprim17ROCPRIM_400000_NS6detail17trampoline_kernelINS0_14default_configENS1_27scan_by_key_config_selectorIxxEEZZNS1_16scan_by_key_implILNS1_25lookback_scan_determinismE0ELb0ES3_N6thrust23THRUST_200600_302600_NS6detail15normal_iteratorINS9_10device_ptrIxEEEESE_SE_xNS9_4plusIxEE19head_flag_predicatexEE10hipError_tPvRmT2_T3_T4_T5_mT6_T7_P12ihipStream_tbENKUlT_T0_E_clISt17integral_constantIbLb0EESY_EEDaST_SU_EUlST_E_NS1_11comp_targetILNS1_3genE5ELNS1_11target_archE942ELNS1_3gpuE9ELNS1_3repE0EEENS1_30default_config_static_selectorELNS0_4arch9wavefront6targetE0EEEvT1_
	.p2align	8
	.type	_ZN7rocprim17ROCPRIM_400000_NS6detail17trampoline_kernelINS0_14default_configENS1_27scan_by_key_config_selectorIxxEEZZNS1_16scan_by_key_implILNS1_25lookback_scan_determinismE0ELb0ES3_N6thrust23THRUST_200600_302600_NS6detail15normal_iteratorINS9_10device_ptrIxEEEESE_SE_xNS9_4plusIxEE19head_flag_predicatexEE10hipError_tPvRmT2_T3_T4_T5_mT6_T7_P12ihipStream_tbENKUlT_T0_E_clISt17integral_constantIbLb0EESY_EEDaST_SU_EUlST_E_NS1_11comp_targetILNS1_3genE5ELNS1_11target_archE942ELNS1_3gpuE9ELNS1_3repE0EEENS1_30default_config_static_selectorELNS0_4arch9wavefront6targetE0EEEvT1_,@function
_ZN7rocprim17ROCPRIM_400000_NS6detail17trampoline_kernelINS0_14default_configENS1_27scan_by_key_config_selectorIxxEEZZNS1_16scan_by_key_implILNS1_25lookback_scan_determinismE0ELb0ES3_N6thrust23THRUST_200600_302600_NS6detail15normal_iteratorINS9_10device_ptrIxEEEESE_SE_xNS9_4plusIxEE19head_flag_predicatexEE10hipError_tPvRmT2_T3_T4_T5_mT6_T7_P12ihipStream_tbENKUlT_T0_E_clISt17integral_constantIbLb0EESY_EEDaST_SU_EUlST_E_NS1_11comp_targetILNS1_3genE5ELNS1_11target_archE942ELNS1_3gpuE9ELNS1_3repE0EEENS1_30default_config_static_selectorELNS0_4arch9wavefront6targetE0EEEvT1_: ; @_ZN7rocprim17ROCPRIM_400000_NS6detail17trampoline_kernelINS0_14default_configENS1_27scan_by_key_config_selectorIxxEEZZNS1_16scan_by_key_implILNS1_25lookback_scan_determinismE0ELb0ES3_N6thrust23THRUST_200600_302600_NS6detail15normal_iteratorINS9_10device_ptrIxEEEESE_SE_xNS9_4plusIxEE19head_flag_predicatexEE10hipError_tPvRmT2_T3_T4_T5_mT6_T7_P12ihipStream_tbENKUlT_T0_E_clISt17integral_constantIbLb0EESY_EEDaST_SU_EUlST_E_NS1_11comp_targetILNS1_3genE5ELNS1_11target_archE942ELNS1_3gpuE9ELNS1_3repE0EEENS1_30default_config_static_selectorELNS0_4arch9wavefront6targetE0EEEvT1_
; %bb.0:
	.section	.rodata,"a",@progbits
	.p2align	6, 0x0
	.amdhsa_kernel _ZN7rocprim17ROCPRIM_400000_NS6detail17trampoline_kernelINS0_14default_configENS1_27scan_by_key_config_selectorIxxEEZZNS1_16scan_by_key_implILNS1_25lookback_scan_determinismE0ELb0ES3_N6thrust23THRUST_200600_302600_NS6detail15normal_iteratorINS9_10device_ptrIxEEEESE_SE_xNS9_4plusIxEE19head_flag_predicatexEE10hipError_tPvRmT2_T3_T4_T5_mT6_T7_P12ihipStream_tbENKUlT_T0_E_clISt17integral_constantIbLb0EESY_EEDaST_SU_EUlST_E_NS1_11comp_targetILNS1_3genE5ELNS1_11target_archE942ELNS1_3gpuE9ELNS1_3repE0EEENS1_30default_config_static_selectorELNS0_4arch9wavefront6targetE0EEEvT1_
		.amdhsa_group_segment_fixed_size 0
		.amdhsa_private_segment_fixed_size 0
		.amdhsa_kernarg_size 136
		.amdhsa_user_sgpr_count 2
		.amdhsa_user_sgpr_dispatch_ptr 0
		.amdhsa_user_sgpr_queue_ptr 0
		.amdhsa_user_sgpr_kernarg_segment_ptr 1
		.amdhsa_user_sgpr_dispatch_id 0
		.amdhsa_user_sgpr_kernarg_preload_length 0
		.amdhsa_user_sgpr_kernarg_preload_offset 0
		.amdhsa_user_sgpr_private_segment_size 0
		.amdhsa_wavefront_size32 1
		.amdhsa_uses_dynamic_stack 0
		.amdhsa_enable_private_segment 0
		.amdhsa_system_sgpr_workgroup_id_x 1
		.amdhsa_system_sgpr_workgroup_id_y 0
		.amdhsa_system_sgpr_workgroup_id_z 0
		.amdhsa_system_sgpr_workgroup_info 0
		.amdhsa_system_vgpr_workitem_id 0
		.amdhsa_next_free_vgpr 1
		.amdhsa_next_free_sgpr 1
		.amdhsa_named_barrier_count 0
		.amdhsa_reserve_vcc 0
		.amdhsa_float_round_mode_32 0
		.amdhsa_float_round_mode_16_64 0
		.amdhsa_float_denorm_mode_32 3
		.amdhsa_float_denorm_mode_16_64 3
		.amdhsa_fp16_overflow 0
		.amdhsa_memory_ordered 1
		.amdhsa_forward_progress 1
		.amdhsa_inst_pref_size 0
		.amdhsa_round_robin_scheduling 0
		.amdhsa_exception_fp_ieee_invalid_op 0
		.amdhsa_exception_fp_denorm_src 0
		.amdhsa_exception_fp_ieee_div_zero 0
		.amdhsa_exception_fp_ieee_overflow 0
		.amdhsa_exception_fp_ieee_underflow 0
		.amdhsa_exception_fp_ieee_inexact 0
		.amdhsa_exception_int_div_zero 0
	.end_amdhsa_kernel
	.section	.text._ZN7rocprim17ROCPRIM_400000_NS6detail17trampoline_kernelINS0_14default_configENS1_27scan_by_key_config_selectorIxxEEZZNS1_16scan_by_key_implILNS1_25lookback_scan_determinismE0ELb0ES3_N6thrust23THRUST_200600_302600_NS6detail15normal_iteratorINS9_10device_ptrIxEEEESE_SE_xNS9_4plusIxEE19head_flag_predicatexEE10hipError_tPvRmT2_T3_T4_T5_mT6_T7_P12ihipStream_tbENKUlT_T0_E_clISt17integral_constantIbLb0EESY_EEDaST_SU_EUlST_E_NS1_11comp_targetILNS1_3genE5ELNS1_11target_archE942ELNS1_3gpuE9ELNS1_3repE0EEENS1_30default_config_static_selectorELNS0_4arch9wavefront6targetE0EEEvT1_,"axG",@progbits,_ZN7rocprim17ROCPRIM_400000_NS6detail17trampoline_kernelINS0_14default_configENS1_27scan_by_key_config_selectorIxxEEZZNS1_16scan_by_key_implILNS1_25lookback_scan_determinismE0ELb0ES3_N6thrust23THRUST_200600_302600_NS6detail15normal_iteratorINS9_10device_ptrIxEEEESE_SE_xNS9_4plusIxEE19head_flag_predicatexEE10hipError_tPvRmT2_T3_T4_T5_mT6_T7_P12ihipStream_tbENKUlT_T0_E_clISt17integral_constantIbLb0EESY_EEDaST_SU_EUlST_E_NS1_11comp_targetILNS1_3genE5ELNS1_11target_archE942ELNS1_3gpuE9ELNS1_3repE0EEENS1_30default_config_static_selectorELNS0_4arch9wavefront6targetE0EEEvT1_,comdat
.Lfunc_end679:
	.size	_ZN7rocprim17ROCPRIM_400000_NS6detail17trampoline_kernelINS0_14default_configENS1_27scan_by_key_config_selectorIxxEEZZNS1_16scan_by_key_implILNS1_25lookback_scan_determinismE0ELb0ES3_N6thrust23THRUST_200600_302600_NS6detail15normal_iteratorINS9_10device_ptrIxEEEESE_SE_xNS9_4plusIxEE19head_flag_predicatexEE10hipError_tPvRmT2_T3_T4_T5_mT6_T7_P12ihipStream_tbENKUlT_T0_E_clISt17integral_constantIbLb0EESY_EEDaST_SU_EUlST_E_NS1_11comp_targetILNS1_3genE5ELNS1_11target_archE942ELNS1_3gpuE9ELNS1_3repE0EEENS1_30default_config_static_selectorELNS0_4arch9wavefront6targetE0EEEvT1_, .Lfunc_end679-_ZN7rocprim17ROCPRIM_400000_NS6detail17trampoline_kernelINS0_14default_configENS1_27scan_by_key_config_selectorIxxEEZZNS1_16scan_by_key_implILNS1_25lookback_scan_determinismE0ELb0ES3_N6thrust23THRUST_200600_302600_NS6detail15normal_iteratorINS9_10device_ptrIxEEEESE_SE_xNS9_4plusIxEE19head_flag_predicatexEE10hipError_tPvRmT2_T3_T4_T5_mT6_T7_P12ihipStream_tbENKUlT_T0_E_clISt17integral_constantIbLb0EESY_EEDaST_SU_EUlST_E_NS1_11comp_targetILNS1_3genE5ELNS1_11target_archE942ELNS1_3gpuE9ELNS1_3repE0EEENS1_30default_config_static_selectorELNS0_4arch9wavefront6targetE0EEEvT1_
                                        ; -- End function
	.set _ZN7rocprim17ROCPRIM_400000_NS6detail17trampoline_kernelINS0_14default_configENS1_27scan_by_key_config_selectorIxxEEZZNS1_16scan_by_key_implILNS1_25lookback_scan_determinismE0ELb0ES3_N6thrust23THRUST_200600_302600_NS6detail15normal_iteratorINS9_10device_ptrIxEEEESE_SE_xNS9_4plusIxEE19head_flag_predicatexEE10hipError_tPvRmT2_T3_T4_T5_mT6_T7_P12ihipStream_tbENKUlT_T0_E_clISt17integral_constantIbLb0EESY_EEDaST_SU_EUlST_E_NS1_11comp_targetILNS1_3genE5ELNS1_11target_archE942ELNS1_3gpuE9ELNS1_3repE0EEENS1_30default_config_static_selectorELNS0_4arch9wavefront6targetE0EEEvT1_.num_vgpr, 0
	.set _ZN7rocprim17ROCPRIM_400000_NS6detail17trampoline_kernelINS0_14default_configENS1_27scan_by_key_config_selectorIxxEEZZNS1_16scan_by_key_implILNS1_25lookback_scan_determinismE0ELb0ES3_N6thrust23THRUST_200600_302600_NS6detail15normal_iteratorINS9_10device_ptrIxEEEESE_SE_xNS9_4plusIxEE19head_flag_predicatexEE10hipError_tPvRmT2_T3_T4_T5_mT6_T7_P12ihipStream_tbENKUlT_T0_E_clISt17integral_constantIbLb0EESY_EEDaST_SU_EUlST_E_NS1_11comp_targetILNS1_3genE5ELNS1_11target_archE942ELNS1_3gpuE9ELNS1_3repE0EEENS1_30default_config_static_selectorELNS0_4arch9wavefront6targetE0EEEvT1_.num_agpr, 0
	.set _ZN7rocprim17ROCPRIM_400000_NS6detail17trampoline_kernelINS0_14default_configENS1_27scan_by_key_config_selectorIxxEEZZNS1_16scan_by_key_implILNS1_25lookback_scan_determinismE0ELb0ES3_N6thrust23THRUST_200600_302600_NS6detail15normal_iteratorINS9_10device_ptrIxEEEESE_SE_xNS9_4plusIxEE19head_flag_predicatexEE10hipError_tPvRmT2_T3_T4_T5_mT6_T7_P12ihipStream_tbENKUlT_T0_E_clISt17integral_constantIbLb0EESY_EEDaST_SU_EUlST_E_NS1_11comp_targetILNS1_3genE5ELNS1_11target_archE942ELNS1_3gpuE9ELNS1_3repE0EEENS1_30default_config_static_selectorELNS0_4arch9wavefront6targetE0EEEvT1_.numbered_sgpr, 0
	.set _ZN7rocprim17ROCPRIM_400000_NS6detail17trampoline_kernelINS0_14default_configENS1_27scan_by_key_config_selectorIxxEEZZNS1_16scan_by_key_implILNS1_25lookback_scan_determinismE0ELb0ES3_N6thrust23THRUST_200600_302600_NS6detail15normal_iteratorINS9_10device_ptrIxEEEESE_SE_xNS9_4plusIxEE19head_flag_predicatexEE10hipError_tPvRmT2_T3_T4_T5_mT6_T7_P12ihipStream_tbENKUlT_T0_E_clISt17integral_constantIbLb0EESY_EEDaST_SU_EUlST_E_NS1_11comp_targetILNS1_3genE5ELNS1_11target_archE942ELNS1_3gpuE9ELNS1_3repE0EEENS1_30default_config_static_selectorELNS0_4arch9wavefront6targetE0EEEvT1_.num_named_barrier, 0
	.set _ZN7rocprim17ROCPRIM_400000_NS6detail17trampoline_kernelINS0_14default_configENS1_27scan_by_key_config_selectorIxxEEZZNS1_16scan_by_key_implILNS1_25lookback_scan_determinismE0ELb0ES3_N6thrust23THRUST_200600_302600_NS6detail15normal_iteratorINS9_10device_ptrIxEEEESE_SE_xNS9_4plusIxEE19head_flag_predicatexEE10hipError_tPvRmT2_T3_T4_T5_mT6_T7_P12ihipStream_tbENKUlT_T0_E_clISt17integral_constantIbLb0EESY_EEDaST_SU_EUlST_E_NS1_11comp_targetILNS1_3genE5ELNS1_11target_archE942ELNS1_3gpuE9ELNS1_3repE0EEENS1_30default_config_static_selectorELNS0_4arch9wavefront6targetE0EEEvT1_.private_seg_size, 0
	.set _ZN7rocprim17ROCPRIM_400000_NS6detail17trampoline_kernelINS0_14default_configENS1_27scan_by_key_config_selectorIxxEEZZNS1_16scan_by_key_implILNS1_25lookback_scan_determinismE0ELb0ES3_N6thrust23THRUST_200600_302600_NS6detail15normal_iteratorINS9_10device_ptrIxEEEESE_SE_xNS9_4plusIxEE19head_flag_predicatexEE10hipError_tPvRmT2_T3_T4_T5_mT6_T7_P12ihipStream_tbENKUlT_T0_E_clISt17integral_constantIbLb0EESY_EEDaST_SU_EUlST_E_NS1_11comp_targetILNS1_3genE5ELNS1_11target_archE942ELNS1_3gpuE9ELNS1_3repE0EEENS1_30default_config_static_selectorELNS0_4arch9wavefront6targetE0EEEvT1_.uses_vcc, 0
	.set _ZN7rocprim17ROCPRIM_400000_NS6detail17trampoline_kernelINS0_14default_configENS1_27scan_by_key_config_selectorIxxEEZZNS1_16scan_by_key_implILNS1_25lookback_scan_determinismE0ELb0ES3_N6thrust23THRUST_200600_302600_NS6detail15normal_iteratorINS9_10device_ptrIxEEEESE_SE_xNS9_4plusIxEE19head_flag_predicatexEE10hipError_tPvRmT2_T3_T4_T5_mT6_T7_P12ihipStream_tbENKUlT_T0_E_clISt17integral_constantIbLb0EESY_EEDaST_SU_EUlST_E_NS1_11comp_targetILNS1_3genE5ELNS1_11target_archE942ELNS1_3gpuE9ELNS1_3repE0EEENS1_30default_config_static_selectorELNS0_4arch9wavefront6targetE0EEEvT1_.uses_flat_scratch, 0
	.set _ZN7rocprim17ROCPRIM_400000_NS6detail17trampoline_kernelINS0_14default_configENS1_27scan_by_key_config_selectorIxxEEZZNS1_16scan_by_key_implILNS1_25lookback_scan_determinismE0ELb0ES3_N6thrust23THRUST_200600_302600_NS6detail15normal_iteratorINS9_10device_ptrIxEEEESE_SE_xNS9_4plusIxEE19head_flag_predicatexEE10hipError_tPvRmT2_T3_T4_T5_mT6_T7_P12ihipStream_tbENKUlT_T0_E_clISt17integral_constantIbLb0EESY_EEDaST_SU_EUlST_E_NS1_11comp_targetILNS1_3genE5ELNS1_11target_archE942ELNS1_3gpuE9ELNS1_3repE0EEENS1_30default_config_static_selectorELNS0_4arch9wavefront6targetE0EEEvT1_.has_dyn_sized_stack, 0
	.set _ZN7rocprim17ROCPRIM_400000_NS6detail17trampoline_kernelINS0_14default_configENS1_27scan_by_key_config_selectorIxxEEZZNS1_16scan_by_key_implILNS1_25lookback_scan_determinismE0ELb0ES3_N6thrust23THRUST_200600_302600_NS6detail15normal_iteratorINS9_10device_ptrIxEEEESE_SE_xNS9_4plusIxEE19head_flag_predicatexEE10hipError_tPvRmT2_T3_T4_T5_mT6_T7_P12ihipStream_tbENKUlT_T0_E_clISt17integral_constantIbLb0EESY_EEDaST_SU_EUlST_E_NS1_11comp_targetILNS1_3genE5ELNS1_11target_archE942ELNS1_3gpuE9ELNS1_3repE0EEENS1_30default_config_static_selectorELNS0_4arch9wavefront6targetE0EEEvT1_.has_recursion, 0
	.set _ZN7rocprim17ROCPRIM_400000_NS6detail17trampoline_kernelINS0_14default_configENS1_27scan_by_key_config_selectorIxxEEZZNS1_16scan_by_key_implILNS1_25lookback_scan_determinismE0ELb0ES3_N6thrust23THRUST_200600_302600_NS6detail15normal_iteratorINS9_10device_ptrIxEEEESE_SE_xNS9_4plusIxEE19head_flag_predicatexEE10hipError_tPvRmT2_T3_T4_T5_mT6_T7_P12ihipStream_tbENKUlT_T0_E_clISt17integral_constantIbLb0EESY_EEDaST_SU_EUlST_E_NS1_11comp_targetILNS1_3genE5ELNS1_11target_archE942ELNS1_3gpuE9ELNS1_3repE0EEENS1_30default_config_static_selectorELNS0_4arch9wavefront6targetE0EEEvT1_.has_indirect_call, 0
	.section	.AMDGPU.csdata,"",@progbits
; Kernel info:
; codeLenInByte = 0
; TotalNumSgprs: 0
; NumVgprs: 0
; ScratchSize: 0
; MemoryBound: 0
; FloatMode: 240
; IeeeMode: 1
; LDSByteSize: 0 bytes/workgroup (compile time only)
; SGPRBlocks: 0
; VGPRBlocks: 0
; NumSGPRsForWavesPerEU: 1
; NumVGPRsForWavesPerEU: 1
; NamedBarCnt: 0
; Occupancy: 16
; WaveLimiterHint : 0
; COMPUTE_PGM_RSRC2:SCRATCH_EN: 0
; COMPUTE_PGM_RSRC2:USER_SGPR: 2
; COMPUTE_PGM_RSRC2:TRAP_HANDLER: 0
; COMPUTE_PGM_RSRC2:TGID_X_EN: 1
; COMPUTE_PGM_RSRC2:TGID_Y_EN: 0
; COMPUTE_PGM_RSRC2:TGID_Z_EN: 0
; COMPUTE_PGM_RSRC2:TIDIG_COMP_CNT: 0
	.section	.text._ZN7rocprim17ROCPRIM_400000_NS6detail17trampoline_kernelINS0_14default_configENS1_27scan_by_key_config_selectorIxxEEZZNS1_16scan_by_key_implILNS1_25lookback_scan_determinismE0ELb0ES3_N6thrust23THRUST_200600_302600_NS6detail15normal_iteratorINS9_10device_ptrIxEEEESE_SE_xNS9_4plusIxEE19head_flag_predicatexEE10hipError_tPvRmT2_T3_T4_T5_mT6_T7_P12ihipStream_tbENKUlT_T0_E_clISt17integral_constantIbLb0EESY_EEDaST_SU_EUlST_E_NS1_11comp_targetILNS1_3genE4ELNS1_11target_archE910ELNS1_3gpuE8ELNS1_3repE0EEENS1_30default_config_static_selectorELNS0_4arch9wavefront6targetE0EEEvT1_,"axG",@progbits,_ZN7rocprim17ROCPRIM_400000_NS6detail17trampoline_kernelINS0_14default_configENS1_27scan_by_key_config_selectorIxxEEZZNS1_16scan_by_key_implILNS1_25lookback_scan_determinismE0ELb0ES3_N6thrust23THRUST_200600_302600_NS6detail15normal_iteratorINS9_10device_ptrIxEEEESE_SE_xNS9_4plusIxEE19head_flag_predicatexEE10hipError_tPvRmT2_T3_T4_T5_mT6_T7_P12ihipStream_tbENKUlT_T0_E_clISt17integral_constantIbLb0EESY_EEDaST_SU_EUlST_E_NS1_11comp_targetILNS1_3genE4ELNS1_11target_archE910ELNS1_3gpuE8ELNS1_3repE0EEENS1_30default_config_static_selectorELNS0_4arch9wavefront6targetE0EEEvT1_,comdat
	.protected	_ZN7rocprim17ROCPRIM_400000_NS6detail17trampoline_kernelINS0_14default_configENS1_27scan_by_key_config_selectorIxxEEZZNS1_16scan_by_key_implILNS1_25lookback_scan_determinismE0ELb0ES3_N6thrust23THRUST_200600_302600_NS6detail15normal_iteratorINS9_10device_ptrIxEEEESE_SE_xNS9_4plusIxEE19head_flag_predicatexEE10hipError_tPvRmT2_T3_T4_T5_mT6_T7_P12ihipStream_tbENKUlT_T0_E_clISt17integral_constantIbLb0EESY_EEDaST_SU_EUlST_E_NS1_11comp_targetILNS1_3genE4ELNS1_11target_archE910ELNS1_3gpuE8ELNS1_3repE0EEENS1_30default_config_static_selectorELNS0_4arch9wavefront6targetE0EEEvT1_ ; -- Begin function _ZN7rocprim17ROCPRIM_400000_NS6detail17trampoline_kernelINS0_14default_configENS1_27scan_by_key_config_selectorIxxEEZZNS1_16scan_by_key_implILNS1_25lookback_scan_determinismE0ELb0ES3_N6thrust23THRUST_200600_302600_NS6detail15normal_iteratorINS9_10device_ptrIxEEEESE_SE_xNS9_4plusIxEE19head_flag_predicatexEE10hipError_tPvRmT2_T3_T4_T5_mT6_T7_P12ihipStream_tbENKUlT_T0_E_clISt17integral_constantIbLb0EESY_EEDaST_SU_EUlST_E_NS1_11comp_targetILNS1_3genE4ELNS1_11target_archE910ELNS1_3gpuE8ELNS1_3repE0EEENS1_30default_config_static_selectorELNS0_4arch9wavefront6targetE0EEEvT1_
	.globl	_ZN7rocprim17ROCPRIM_400000_NS6detail17trampoline_kernelINS0_14default_configENS1_27scan_by_key_config_selectorIxxEEZZNS1_16scan_by_key_implILNS1_25lookback_scan_determinismE0ELb0ES3_N6thrust23THRUST_200600_302600_NS6detail15normal_iteratorINS9_10device_ptrIxEEEESE_SE_xNS9_4plusIxEE19head_flag_predicatexEE10hipError_tPvRmT2_T3_T4_T5_mT6_T7_P12ihipStream_tbENKUlT_T0_E_clISt17integral_constantIbLb0EESY_EEDaST_SU_EUlST_E_NS1_11comp_targetILNS1_3genE4ELNS1_11target_archE910ELNS1_3gpuE8ELNS1_3repE0EEENS1_30default_config_static_selectorELNS0_4arch9wavefront6targetE0EEEvT1_
	.p2align	8
	.type	_ZN7rocprim17ROCPRIM_400000_NS6detail17trampoline_kernelINS0_14default_configENS1_27scan_by_key_config_selectorIxxEEZZNS1_16scan_by_key_implILNS1_25lookback_scan_determinismE0ELb0ES3_N6thrust23THRUST_200600_302600_NS6detail15normal_iteratorINS9_10device_ptrIxEEEESE_SE_xNS9_4plusIxEE19head_flag_predicatexEE10hipError_tPvRmT2_T3_T4_T5_mT6_T7_P12ihipStream_tbENKUlT_T0_E_clISt17integral_constantIbLb0EESY_EEDaST_SU_EUlST_E_NS1_11comp_targetILNS1_3genE4ELNS1_11target_archE910ELNS1_3gpuE8ELNS1_3repE0EEENS1_30default_config_static_selectorELNS0_4arch9wavefront6targetE0EEEvT1_,@function
_ZN7rocprim17ROCPRIM_400000_NS6detail17trampoline_kernelINS0_14default_configENS1_27scan_by_key_config_selectorIxxEEZZNS1_16scan_by_key_implILNS1_25lookback_scan_determinismE0ELb0ES3_N6thrust23THRUST_200600_302600_NS6detail15normal_iteratorINS9_10device_ptrIxEEEESE_SE_xNS9_4plusIxEE19head_flag_predicatexEE10hipError_tPvRmT2_T3_T4_T5_mT6_T7_P12ihipStream_tbENKUlT_T0_E_clISt17integral_constantIbLb0EESY_EEDaST_SU_EUlST_E_NS1_11comp_targetILNS1_3genE4ELNS1_11target_archE910ELNS1_3gpuE8ELNS1_3repE0EEENS1_30default_config_static_selectorELNS0_4arch9wavefront6targetE0EEEvT1_: ; @_ZN7rocprim17ROCPRIM_400000_NS6detail17trampoline_kernelINS0_14default_configENS1_27scan_by_key_config_selectorIxxEEZZNS1_16scan_by_key_implILNS1_25lookback_scan_determinismE0ELb0ES3_N6thrust23THRUST_200600_302600_NS6detail15normal_iteratorINS9_10device_ptrIxEEEESE_SE_xNS9_4plusIxEE19head_flag_predicatexEE10hipError_tPvRmT2_T3_T4_T5_mT6_T7_P12ihipStream_tbENKUlT_T0_E_clISt17integral_constantIbLb0EESY_EEDaST_SU_EUlST_E_NS1_11comp_targetILNS1_3genE4ELNS1_11target_archE910ELNS1_3gpuE8ELNS1_3repE0EEENS1_30default_config_static_selectorELNS0_4arch9wavefront6targetE0EEEvT1_
; %bb.0:
	.section	.rodata,"a",@progbits
	.p2align	6, 0x0
	.amdhsa_kernel _ZN7rocprim17ROCPRIM_400000_NS6detail17trampoline_kernelINS0_14default_configENS1_27scan_by_key_config_selectorIxxEEZZNS1_16scan_by_key_implILNS1_25lookback_scan_determinismE0ELb0ES3_N6thrust23THRUST_200600_302600_NS6detail15normal_iteratorINS9_10device_ptrIxEEEESE_SE_xNS9_4plusIxEE19head_flag_predicatexEE10hipError_tPvRmT2_T3_T4_T5_mT6_T7_P12ihipStream_tbENKUlT_T0_E_clISt17integral_constantIbLb0EESY_EEDaST_SU_EUlST_E_NS1_11comp_targetILNS1_3genE4ELNS1_11target_archE910ELNS1_3gpuE8ELNS1_3repE0EEENS1_30default_config_static_selectorELNS0_4arch9wavefront6targetE0EEEvT1_
		.amdhsa_group_segment_fixed_size 0
		.amdhsa_private_segment_fixed_size 0
		.amdhsa_kernarg_size 136
		.amdhsa_user_sgpr_count 2
		.amdhsa_user_sgpr_dispatch_ptr 0
		.amdhsa_user_sgpr_queue_ptr 0
		.amdhsa_user_sgpr_kernarg_segment_ptr 1
		.amdhsa_user_sgpr_dispatch_id 0
		.amdhsa_user_sgpr_kernarg_preload_length 0
		.amdhsa_user_sgpr_kernarg_preload_offset 0
		.amdhsa_user_sgpr_private_segment_size 0
		.amdhsa_wavefront_size32 1
		.amdhsa_uses_dynamic_stack 0
		.amdhsa_enable_private_segment 0
		.amdhsa_system_sgpr_workgroup_id_x 1
		.amdhsa_system_sgpr_workgroup_id_y 0
		.amdhsa_system_sgpr_workgroup_id_z 0
		.amdhsa_system_sgpr_workgroup_info 0
		.amdhsa_system_vgpr_workitem_id 0
		.amdhsa_next_free_vgpr 1
		.amdhsa_next_free_sgpr 1
		.amdhsa_named_barrier_count 0
		.amdhsa_reserve_vcc 0
		.amdhsa_float_round_mode_32 0
		.amdhsa_float_round_mode_16_64 0
		.amdhsa_float_denorm_mode_32 3
		.amdhsa_float_denorm_mode_16_64 3
		.amdhsa_fp16_overflow 0
		.amdhsa_memory_ordered 1
		.amdhsa_forward_progress 1
		.amdhsa_inst_pref_size 0
		.amdhsa_round_robin_scheduling 0
		.amdhsa_exception_fp_ieee_invalid_op 0
		.amdhsa_exception_fp_denorm_src 0
		.amdhsa_exception_fp_ieee_div_zero 0
		.amdhsa_exception_fp_ieee_overflow 0
		.amdhsa_exception_fp_ieee_underflow 0
		.amdhsa_exception_fp_ieee_inexact 0
		.amdhsa_exception_int_div_zero 0
	.end_amdhsa_kernel
	.section	.text._ZN7rocprim17ROCPRIM_400000_NS6detail17trampoline_kernelINS0_14default_configENS1_27scan_by_key_config_selectorIxxEEZZNS1_16scan_by_key_implILNS1_25lookback_scan_determinismE0ELb0ES3_N6thrust23THRUST_200600_302600_NS6detail15normal_iteratorINS9_10device_ptrIxEEEESE_SE_xNS9_4plusIxEE19head_flag_predicatexEE10hipError_tPvRmT2_T3_T4_T5_mT6_T7_P12ihipStream_tbENKUlT_T0_E_clISt17integral_constantIbLb0EESY_EEDaST_SU_EUlST_E_NS1_11comp_targetILNS1_3genE4ELNS1_11target_archE910ELNS1_3gpuE8ELNS1_3repE0EEENS1_30default_config_static_selectorELNS0_4arch9wavefront6targetE0EEEvT1_,"axG",@progbits,_ZN7rocprim17ROCPRIM_400000_NS6detail17trampoline_kernelINS0_14default_configENS1_27scan_by_key_config_selectorIxxEEZZNS1_16scan_by_key_implILNS1_25lookback_scan_determinismE0ELb0ES3_N6thrust23THRUST_200600_302600_NS6detail15normal_iteratorINS9_10device_ptrIxEEEESE_SE_xNS9_4plusIxEE19head_flag_predicatexEE10hipError_tPvRmT2_T3_T4_T5_mT6_T7_P12ihipStream_tbENKUlT_T0_E_clISt17integral_constantIbLb0EESY_EEDaST_SU_EUlST_E_NS1_11comp_targetILNS1_3genE4ELNS1_11target_archE910ELNS1_3gpuE8ELNS1_3repE0EEENS1_30default_config_static_selectorELNS0_4arch9wavefront6targetE0EEEvT1_,comdat
.Lfunc_end680:
	.size	_ZN7rocprim17ROCPRIM_400000_NS6detail17trampoline_kernelINS0_14default_configENS1_27scan_by_key_config_selectorIxxEEZZNS1_16scan_by_key_implILNS1_25lookback_scan_determinismE0ELb0ES3_N6thrust23THRUST_200600_302600_NS6detail15normal_iteratorINS9_10device_ptrIxEEEESE_SE_xNS9_4plusIxEE19head_flag_predicatexEE10hipError_tPvRmT2_T3_T4_T5_mT6_T7_P12ihipStream_tbENKUlT_T0_E_clISt17integral_constantIbLb0EESY_EEDaST_SU_EUlST_E_NS1_11comp_targetILNS1_3genE4ELNS1_11target_archE910ELNS1_3gpuE8ELNS1_3repE0EEENS1_30default_config_static_selectorELNS0_4arch9wavefront6targetE0EEEvT1_, .Lfunc_end680-_ZN7rocprim17ROCPRIM_400000_NS6detail17trampoline_kernelINS0_14default_configENS1_27scan_by_key_config_selectorIxxEEZZNS1_16scan_by_key_implILNS1_25lookback_scan_determinismE0ELb0ES3_N6thrust23THRUST_200600_302600_NS6detail15normal_iteratorINS9_10device_ptrIxEEEESE_SE_xNS9_4plusIxEE19head_flag_predicatexEE10hipError_tPvRmT2_T3_T4_T5_mT6_T7_P12ihipStream_tbENKUlT_T0_E_clISt17integral_constantIbLb0EESY_EEDaST_SU_EUlST_E_NS1_11comp_targetILNS1_3genE4ELNS1_11target_archE910ELNS1_3gpuE8ELNS1_3repE0EEENS1_30default_config_static_selectorELNS0_4arch9wavefront6targetE0EEEvT1_
                                        ; -- End function
	.set _ZN7rocprim17ROCPRIM_400000_NS6detail17trampoline_kernelINS0_14default_configENS1_27scan_by_key_config_selectorIxxEEZZNS1_16scan_by_key_implILNS1_25lookback_scan_determinismE0ELb0ES3_N6thrust23THRUST_200600_302600_NS6detail15normal_iteratorINS9_10device_ptrIxEEEESE_SE_xNS9_4plusIxEE19head_flag_predicatexEE10hipError_tPvRmT2_T3_T4_T5_mT6_T7_P12ihipStream_tbENKUlT_T0_E_clISt17integral_constantIbLb0EESY_EEDaST_SU_EUlST_E_NS1_11comp_targetILNS1_3genE4ELNS1_11target_archE910ELNS1_3gpuE8ELNS1_3repE0EEENS1_30default_config_static_selectorELNS0_4arch9wavefront6targetE0EEEvT1_.num_vgpr, 0
	.set _ZN7rocprim17ROCPRIM_400000_NS6detail17trampoline_kernelINS0_14default_configENS1_27scan_by_key_config_selectorIxxEEZZNS1_16scan_by_key_implILNS1_25lookback_scan_determinismE0ELb0ES3_N6thrust23THRUST_200600_302600_NS6detail15normal_iteratorINS9_10device_ptrIxEEEESE_SE_xNS9_4plusIxEE19head_flag_predicatexEE10hipError_tPvRmT2_T3_T4_T5_mT6_T7_P12ihipStream_tbENKUlT_T0_E_clISt17integral_constantIbLb0EESY_EEDaST_SU_EUlST_E_NS1_11comp_targetILNS1_3genE4ELNS1_11target_archE910ELNS1_3gpuE8ELNS1_3repE0EEENS1_30default_config_static_selectorELNS0_4arch9wavefront6targetE0EEEvT1_.num_agpr, 0
	.set _ZN7rocprim17ROCPRIM_400000_NS6detail17trampoline_kernelINS0_14default_configENS1_27scan_by_key_config_selectorIxxEEZZNS1_16scan_by_key_implILNS1_25lookback_scan_determinismE0ELb0ES3_N6thrust23THRUST_200600_302600_NS6detail15normal_iteratorINS9_10device_ptrIxEEEESE_SE_xNS9_4plusIxEE19head_flag_predicatexEE10hipError_tPvRmT2_T3_T4_T5_mT6_T7_P12ihipStream_tbENKUlT_T0_E_clISt17integral_constantIbLb0EESY_EEDaST_SU_EUlST_E_NS1_11comp_targetILNS1_3genE4ELNS1_11target_archE910ELNS1_3gpuE8ELNS1_3repE0EEENS1_30default_config_static_selectorELNS0_4arch9wavefront6targetE0EEEvT1_.numbered_sgpr, 0
	.set _ZN7rocprim17ROCPRIM_400000_NS6detail17trampoline_kernelINS0_14default_configENS1_27scan_by_key_config_selectorIxxEEZZNS1_16scan_by_key_implILNS1_25lookback_scan_determinismE0ELb0ES3_N6thrust23THRUST_200600_302600_NS6detail15normal_iteratorINS9_10device_ptrIxEEEESE_SE_xNS9_4plusIxEE19head_flag_predicatexEE10hipError_tPvRmT2_T3_T4_T5_mT6_T7_P12ihipStream_tbENKUlT_T0_E_clISt17integral_constantIbLb0EESY_EEDaST_SU_EUlST_E_NS1_11comp_targetILNS1_3genE4ELNS1_11target_archE910ELNS1_3gpuE8ELNS1_3repE0EEENS1_30default_config_static_selectorELNS0_4arch9wavefront6targetE0EEEvT1_.num_named_barrier, 0
	.set _ZN7rocprim17ROCPRIM_400000_NS6detail17trampoline_kernelINS0_14default_configENS1_27scan_by_key_config_selectorIxxEEZZNS1_16scan_by_key_implILNS1_25lookback_scan_determinismE0ELb0ES3_N6thrust23THRUST_200600_302600_NS6detail15normal_iteratorINS9_10device_ptrIxEEEESE_SE_xNS9_4plusIxEE19head_flag_predicatexEE10hipError_tPvRmT2_T3_T4_T5_mT6_T7_P12ihipStream_tbENKUlT_T0_E_clISt17integral_constantIbLb0EESY_EEDaST_SU_EUlST_E_NS1_11comp_targetILNS1_3genE4ELNS1_11target_archE910ELNS1_3gpuE8ELNS1_3repE0EEENS1_30default_config_static_selectorELNS0_4arch9wavefront6targetE0EEEvT1_.private_seg_size, 0
	.set _ZN7rocprim17ROCPRIM_400000_NS6detail17trampoline_kernelINS0_14default_configENS1_27scan_by_key_config_selectorIxxEEZZNS1_16scan_by_key_implILNS1_25lookback_scan_determinismE0ELb0ES3_N6thrust23THRUST_200600_302600_NS6detail15normal_iteratorINS9_10device_ptrIxEEEESE_SE_xNS9_4plusIxEE19head_flag_predicatexEE10hipError_tPvRmT2_T3_T4_T5_mT6_T7_P12ihipStream_tbENKUlT_T0_E_clISt17integral_constantIbLb0EESY_EEDaST_SU_EUlST_E_NS1_11comp_targetILNS1_3genE4ELNS1_11target_archE910ELNS1_3gpuE8ELNS1_3repE0EEENS1_30default_config_static_selectorELNS0_4arch9wavefront6targetE0EEEvT1_.uses_vcc, 0
	.set _ZN7rocprim17ROCPRIM_400000_NS6detail17trampoline_kernelINS0_14default_configENS1_27scan_by_key_config_selectorIxxEEZZNS1_16scan_by_key_implILNS1_25lookback_scan_determinismE0ELb0ES3_N6thrust23THRUST_200600_302600_NS6detail15normal_iteratorINS9_10device_ptrIxEEEESE_SE_xNS9_4plusIxEE19head_flag_predicatexEE10hipError_tPvRmT2_T3_T4_T5_mT6_T7_P12ihipStream_tbENKUlT_T0_E_clISt17integral_constantIbLb0EESY_EEDaST_SU_EUlST_E_NS1_11comp_targetILNS1_3genE4ELNS1_11target_archE910ELNS1_3gpuE8ELNS1_3repE0EEENS1_30default_config_static_selectorELNS0_4arch9wavefront6targetE0EEEvT1_.uses_flat_scratch, 0
	.set _ZN7rocprim17ROCPRIM_400000_NS6detail17trampoline_kernelINS0_14default_configENS1_27scan_by_key_config_selectorIxxEEZZNS1_16scan_by_key_implILNS1_25lookback_scan_determinismE0ELb0ES3_N6thrust23THRUST_200600_302600_NS6detail15normal_iteratorINS9_10device_ptrIxEEEESE_SE_xNS9_4plusIxEE19head_flag_predicatexEE10hipError_tPvRmT2_T3_T4_T5_mT6_T7_P12ihipStream_tbENKUlT_T0_E_clISt17integral_constantIbLb0EESY_EEDaST_SU_EUlST_E_NS1_11comp_targetILNS1_3genE4ELNS1_11target_archE910ELNS1_3gpuE8ELNS1_3repE0EEENS1_30default_config_static_selectorELNS0_4arch9wavefront6targetE0EEEvT1_.has_dyn_sized_stack, 0
	.set _ZN7rocprim17ROCPRIM_400000_NS6detail17trampoline_kernelINS0_14default_configENS1_27scan_by_key_config_selectorIxxEEZZNS1_16scan_by_key_implILNS1_25lookback_scan_determinismE0ELb0ES3_N6thrust23THRUST_200600_302600_NS6detail15normal_iteratorINS9_10device_ptrIxEEEESE_SE_xNS9_4plusIxEE19head_flag_predicatexEE10hipError_tPvRmT2_T3_T4_T5_mT6_T7_P12ihipStream_tbENKUlT_T0_E_clISt17integral_constantIbLb0EESY_EEDaST_SU_EUlST_E_NS1_11comp_targetILNS1_3genE4ELNS1_11target_archE910ELNS1_3gpuE8ELNS1_3repE0EEENS1_30default_config_static_selectorELNS0_4arch9wavefront6targetE0EEEvT1_.has_recursion, 0
	.set _ZN7rocprim17ROCPRIM_400000_NS6detail17trampoline_kernelINS0_14default_configENS1_27scan_by_key_config_selectorIxxEEZZNS1_16scan_by_key_implILNS1_25lookback_scan_determinismE0ELb0ES3_N6thrust23THRUST_200600_302600_NS6detail15normal_iteratorINS9_10device_ptrIxEEEESE_SE_xNS9_4plusIxEE19head_flag_predicatexEE10hipError_tPvRmT2_T3_T4_T5_mT6_T7_P12ihipStream_tbENKUlT_T0_E_clISt17integral_constantIbLb0EESY_EEDaST_SU_EUlST_E_NS1_11comp_targetILNS1_3genE4ELNS1_11target_archE910ELNS1_3gpuE8ELNS1_3repE0EEENS1_30default_config_static_selectorELNS0_4arch9wavefront6targetE0EEEvT1_.has_indirect_call, 0
	.section	.AMDGPU.csdata,"",@progbits
; Kernel info:
; codeLenInByte = 0
; TotalNumSgprs: 0
; NumVgprs: 0
; ScratchSize: 0
; MemoryBound: 0
; FloatMode: 240
; IeeeMode: 1
; LDSByteSize: 0 bytes/workgroup (compile time only)
; SGPRBlocks: 0
; VGPRBlocks: 0
; NumSGPRsForWavesPerEU: 1
; NumVGPRsForWavesPerEU: 1
; NamedBarCnt: 0
; Occupancy: 16
; WaveLimiterHint : 0
; COMPUTE_PGM_RSRC2:SCRATCH_EN: 0
; COMPUTE_PGM_RSRC2:USER_SGPR: 2
; COMPUTE_PGM_RSRC2:TRAP_HANDLER: 0
; COMPUTE_PGM_RSRC2:TGID_X_EN: 1
; COMPUTE_PGM_RSRC2:TGID_Y_EN: 0
; COMPUTE_PGM_RSRC2:TGID_Z_EN: 0
; COMPUTE_PGM_RSRC2:TIDIG_COMP_CNT: 0
	.section	.text._ZN7rocprim17ROCPRIM_400000_NS6detail17trampoline_kernelINS0_14default_configENS1_27scan_by_key_config_selectorIxxEEZZNS1_16scan_by_key_implILNS1_25lookback_scan_determinismE0ELb0ES3_N6thrust23THRUST_200600_302600_NS6detail15normal_iteratorINS9_10device_ptrIxEEEESE_SE_xNS9_4plusIxEE19head_flag_predicatexEE10hipError_tPvRmT2_T3_T4_T5_mT6_T7_P12ihipStream_tbENKUlT_T0_E_clISt17integral_constantIbLb0EESY_EEDaST_SU_EUlST_E_NS1_11comp_targetILNS1_3genE3ELNS1_11target_archE908ELNS1_3gpuE7ELNS1_3repE0EEENS1_30default_config_static_selectorELNS0_4arch9wavefront6targetE0EEEvT1_,"axG",@progbits,_ZN7rocprim17ROCPRIM_400000_NS6detail17trampoline_kernelINS0_14default_configENS1_27scan_by_key_config_selectorIxxEEZZNS1_16scan_by_key_implILNS1_25lookback_scan_determinismE0ELb0ES3_N6thrust23THRUST_200600_302600_NS6detail15normal_iteratorINS9_10device_ptrIxEEEESE_SE_xNS9_4plusIxEE19head_flag_predicatexEE10hipError_tPvRmT2_T3_T4_T5_mT6_T7_P12ihipStream_tbENKUlT_T0_E_clISt17integral_constantIbLb0EESY_EEDaST_SU_EUlST_E_NS1_11comp_targetILNS1_3genE3ELNS1_11target_archE908ELNS1_3gpuE7ELNS1_3repE0EEENS1_30default_config_static_selectorELNS0_4arch9wavefront6targetE0EEEvT1_,comdat
	.protected	_ZN7rocprim17ROCPRIM_400000_NS6detail17trampoline_kernelINS0_14default_configENS1_27scan_by_key_config_selectorIxxEEZZNS1_16scan_by_key_implILNS1_25lookback_scan_determinismE0ELb0ES3_N6thrust23THRUST_200600_302600_NS6detail15normal_iteratorINS9_10device_ptrIxEEEESE_SE_xNS9_4plusIxEE19head_flag_predicatexEE10hipError_tPvRmT2_T3_T4_T5_mT6_T7_P12ihipStream_tbENKUlT_T0_E_clISt17integral_constantIbLb0EESY_EEDaST_SU_EUlST_E_NS1_11comp_targetILNS1_3genE3ELNS1_11target_archE908ELNS1_3gpuE7ELNS1_3repE0EEENS1_30default_config_static_selectorELNS0_4arch9wavefront6targetE0EEEvT1_ ; -- Begin function _ZN7rocprim17ROCPRIM_400000_NS6detail17trampoline_kernelINS0_14default_configENS1_27scan_by_key_config_selectorIxxEEZZNS1_16scan_by_key_implILNS1_25lookback_scan_determinismE0ELb0ES3_N6thrust23THRUST_200600_302600_NS6detail15normal_iteratorINS9_10device_ptrIxEEEESE_SE_xNS9_4plusIxEE19head_flag_predicatexEE10hipError_tPvRmT2_T3_T4_T5_mT6_T7_P12ihipStream_tbENKUlT_T0_E_clISt17integral_constantIbLb0EESY_EEDaST_SU_EUlST_E_NS1_11comp_targetILNS1_3genE3ELNS1_11target_archE908ELNS1_3gpuE7ELNS1_3repE0EEENS1_30default_config_static_selectorELNS0_4arch9wavefront6targetE0EEEvT1_
	.globl	_ZN7rocprim17ROCPRIM_400000_NS6detail17trampoline_kernelINS0_14default_configENS1_27scan_by_key_config_selectorIxxEEZZNS1_16scan_by_key_implILNS1_25lookback_scan_determinismE0ELb0ES3_N6thrust23THRUST_200600_302600_NS6detail15normal_iteratorINS9_10device_ptrIxEEEESE_SE_xNS9_4plusIxEE19head_flag_predicatexEE10hipError_tPvRmT2_T3_T4_T5_mT6_T7_P12ihipStream_tbENKUlT_T0_E_clISt17integral_constantIbLb0EESY_EEDaST_SU_EUlST_E_NS1_11comp_targetILNS1_3genE3ELNS1_11target_archE908ELNS1_3gpuE7ELNS1_3repE0EEENS1_30default_config_static_selectorELNS0_4arch9wavefront6targetE0EEEvT1_
	.p2align	8
	.type	_ZN7rocprim17ROCPRIM_400000_NS6detail17trampoline_kernelINS0_14default_configENS1_27scan_by_key_config_selectorIxxEEZZNS1_16scan_by_key_implILNS1_25lookback_scan_determinismE0ELb0ES3_N6thrust23THRUST_200600_302600_NS6detail15normal_iteratorINS9_10device_ptrIxEEEESE_SE_xNS9_4plusIxEE19head_flag_predicatexEE10hipError_tPvRmT2_T3_T4_T5_mT6_T7_P12ihipStream_tbENKUlT_T0_E_clISt17integral_constantIbLb0EESY_EEDaST_SU_EUlST_E_NS1_11comp_targetILNS1_3genE3ELNS1_11target_archE908ELNS1_3gpuE7ELNS1_3repE0EEENS1_30default_config_static_selectorELNS0_4arch9wavefront6targetE0EEEvT1_,@function
_ZN7rocprim17ROCPRIM_400000_NS6detail17trampoline_kernelINS0_14default_configENS1_27scan_by_key_config_selectorIxxEEZZNS1_16scan_by_key_implILNS1_25lookback_scan_determinismE0ELb0ES3_N6thrust23THRUST_200600_302600_NS6detail15normal_iteratorINS9_10device_ptrIxEEEESE_SE_xNS9_4plusIxEE19head_flag_predicatexEE10hipError_tPvRmT2_T3_T4_T5_mT6_T7_P12ihipStream_tbENKUlT_T0_E_clISt17integral_constantIbLb0EESY_EEDaST_SU_EUlST_E_NS1_11comp_targetILNS1_3genE3ELNS1_11target_archE908ELNS1_3gpuE7ELNS1_3repE0EEENS1_30default_config_static_selectorELNS0_4arch9wavefront6targetE0EEEvT1_: ; @_ZN7rocprim17ROCPRIM_400000_NS6detail17trampoline_kernelINS0_14default_configENS1_27scan_by_key_config_selectorIxxEEZZNS1_16scan_by_key_implILNS1_25lookback_scan_determinismE0ELb0ES3_N6thrust23THRUST_200600_302600_NS6detail15normal_iteratorINS9_10device_ptrIxEEEESE_SE_xNS9_4plusIxEE19head_flag_predicatexEE10hipError_tPvRmT2_T3_T4_T5_mT6_T7_P12ihipStream_tbENKUlT_T0_E_clISt17integral_constantIbLb0EESY_EEDaST_SU_EUlST_E_NS1_11comp_targetILNS1_3genE3ELNS1_11target_archE908ELNS1_3gpuE7ELNS1_3repE0EEENS1_30default_config_static_selectorELNS0_4arch9wavefront6targetE0EEEvT1_
; %bb.0:
	.section	.rodata,"a",@progbits
	.p2align	6, 0x0
	.amdhsa_kernel _ZN7rocprim17ROCPRIM_400000_NS6detail17trampoline_kernelINS0_14default_configENS1_27scan_by_key_config_selectorIxxEEZZNS1_16scan_by_key_implILNS1_25lookback_scan_determinismE0ELb0ES3_N6thrust23THRUST_200600_302600_NS6detail15normal_iteratorINS9_10device_ptrIxEEEESE_SE_xNS9_4plusIxEE19head_flag_predicatexEE10hipError_tPvRmT2_T3_T4_T5_mT6_T7_P12ihipStream_tbENKUlT_T0_E_clISt17integral_constantIbLb0EESY_EEDaST_SU_EUlST_E_NS1_11comp_targetILNS1_3genE3ELNS1_11target_archE908ELNS1_3gpuE7ELNS1_3repE0EEENS1_30default_config_static_selectorELNS0_4arch9wavefront6targetE0EEEvT1_
		.amdhsa_group_segment_fixed_size 0
		.amdhsa_private_segment_fixed_size 0
		.amdhsa_kernarg_size 136
		.amdhsa_user_sgpr_count 2
		.amdhsa_user_sgpr_dispatch_ptr 0
		.amdhsa_user_sgpr_queue_ptr 0
		.amdhsa_user_sgpr_kernarg_segment_ptr 1
		.amdhsa_user_sgpr_dispatch_id 0
		.amdhsa_user_sgpr_kernarg_preload_length 0
		.amdhsa_user_sgpr_kernarg_preload_offset 0
		.amdhsa_user_sgpr_private_segment_size 0
		.amdhsa_wavefront_size32 1
		.amdhsa_uses_dynamic_stack 0
		.amdhsa_enable_private_segment 0
		.amdhsa_system_sgpr_workgroup_id_x 1
		.amdhsa_system_sgpr_workgroup_id_y 0
		.amdhsa_system_sgpr_workgroup_id_z 0
		.amdhsa_system_sgpr_workgroup_info 0
		.amdhsa_system_vgpr_workitem_id 0
		.amdhsa_next_free_vgpr 1
		.amdhsa_next_free_sgpr 1
		.amdhsa_named_barrier_count 0
		.amdhsa_reserve_vcc 0
		.amdhsa_float_round_mode_32 0
		.amdhsa_float_round_mode_16_64 0
		.amdhsa_float_denorm_mode_32 3
		.amdhsa_float_denorm_mode_16_64 3
		.amdhsa_fp16_overflow 0
		.amdhsa_memory_ordered 1
		.amdhsa_forward_progress 1
		.amdhsa_inst_pref_size 0
		.amdhsa_round_robin_scheduling 0
		.amdhsa_exception_fp_ieee_invalid_op 0
		.amdhsa_exception_fp_denorm_src 0
		.amdhsa_exception_fp_ieee_div_zero 0
		.amdhsa_exception_fp_ieee_overflow 0
		.amdhsa_exception_fp_ieee_underflow 0
		.amdhsa_exception_fp_ieee_inexact 0
		.amdhsa_exception_int_div_zero 0
	.end_amdhsa_kernel
	.section	.text._ZN7rocprim17ROCPRIM_400000_NS6detail17trampoline_kernelINS0_14default_configENS1_27scan_by_key_config_selectorIxxEEZZNS1_16scan_by_key_implILNS1_25lookback_scan_determinismE0ELb0ES3_N6thrust23THRUST_200600_302600_NS6detail15normal_iteratorINS9_10device_ptrIxEEEESE_SE_xNS9_4plusIxEE19head_flag_predicatexEE10hipError_tPvRmT2_T3_T4_T5_mT6_T7_P12ihipStream_tbENKUlT_T0_E_clISt17integral_constantIbLb0EESY_EEDaST_SU_EUlST_E_NS1_11comp_targetILNS1_3genE3ELNS1_11target_archE908ELNS1_3gpuE7ELNS1_3repE0EEENS1_30default_config_static_selectorELNS0_4arch9wavefront6targetE0EEEvT1_,"axG",@progbits,_ZN7rocprim17ROCPRIM_400000_NS6detail17trampoline_kernelINS0_14default_configENS1_27scan_by_key_config_selectorIxxEEZZNS1_16scan_by_key_implILNS1_25lookback_scan_determinismE0ELb0ES3_N6thrust23THRUST_200600_302600_NS6detail15normal_iteratorINS9_10device_ptrIxEEEESE_SE_xNS9_4plusIxEE19head_flag_predicatexEE10hipError_tPvRmT2_T3_T4_T5_mT6_T7_P12ihipStream_tbENKUlT_T0_E_clISt17integral_constantIbLb0EESY_EEDaST_SU_EUlST_E_NS1_11comp_targetILNS1_3genE3ELNS1_11target_archE908ELNS1_3gpuE7ELNS1_3repE0EEENS1_30default_config_static_selectorELNS0_4arch9wavefront6targetE0EEEvT1_,comdat
.Lfunc_end681:
	.size	_ZN7rocprim17ROCPRIM_400000_NS6detail17trampoline_kernelINS0_14default_configENS1_27scan_by_key_config_selectorIxxEEZZNS1_16scan_by_key_implILNS1_25lookback_scan_determinismE0ELb0ES3_N6thrust23THRUST_200600_302600_NS6detail15normal_iteratorINS9_10device_ptrIxEEEESE_SE_xNS9_4plusIxEE19head_flag_predicatexEE10hipError_tPvRmT2_T3_T4_T5_mT6_T7_P12ihipStream_tbENKUlT_T0_E_clISt17integral_constantIbLb0EESY_EEDaST_SU_EUlST_E_NS1_11comp_targetILNS1_3genE3ELNS1_11target_archE908ELNS1_3gpuE7ELNS1_3repE0EEENS1_30default_config_static_selectorELNS0_4arch9wavefront6targetE0EEEvT1_, .Lfunc_end681-_ZN7rocprim17ROCPRIM_400000_NS6detail17trampoline_kernelINS0_14default_configENS1_27scan_by_key_config_selectorIxxEEZZNS1_16scan_by_key_implILNS1_25lookback_scan_determinismE0ELb0ES3_N6thrust23THRUST_200600_302600_NS6detail15normal_iteratorINS9_10device_ptrIxEEEESE_SE_xNS9_4plusIxEE19head_flag_predicatexEE10hipError_tPvRmT2_T3_T4_T5_mT6_T7_P12ihipStream_tbENKUlT_T0_E_clISt17integral_constantIbLb0EESY_EEDaST_SU_EUlST_E_NS1_11comp_targetILNS1_3genE3ELNS1_11target_archE908ELNS1_3gpuE7ELNS1_3repE0EEENS1_30default_config_static_selectorELNS0_4arch9wavefront6targetE0EEEvT1_
                                        ; -- End function
	.set _ZN7rocprim17ROCPRIM_400000_NS6detail17trampoline_kernelINS0_14default_configENS1_27scan_by_key_config_selectorIxxEEZZNS1_16scan_by_key_implILNS1_25lookback_scan_determinismE0ELb0ES3_N6thrust23THRUST_200600_302600_NS6detail15normal_iteratorINS9_10device_ptrIxEEEESE_SE_xNS9_4plusIxEE19head_flag_predicatexEE10hipError_tPvRmT2_T3_T4_T5_mT6_T7_P12ihipStream_tbENKUlT_T0_E_clISt17integral_constantIbLb0EESY_EEDaST_SU_EUlST_E_NS1_11comp_targetILNS1_3genE3ELNS1_11target_archE908ELNS1_3gpuE7ELNS1_3repE0EEENS1_30default_config_static_selectorELNS0_4arch9wavefront6targetE0EEEvT1_.num_vgpr, 0
	.set _ZN7rocprim17ROCPRIM_400000_NS6detail17trampoline_kernelINS0_14default_configENS1_27scan_by_key_config_selectorIxxEEZZNS1_16scan_by_key_implILNS1_25lookback_scan_determinismE0ELb0ES3_N6thrust23THRUST_200600_302600_NS6detail15normal_iteratorINS9_10device_ptrIxEEEESE_SE_xNS9_4plusIxEE19head_flag_predicatexEE10hipError_tPvRmT2_T3_T4_T5_mT6_T7_P12ihipStream_tbENKUlT_T0_E_clISt17integral_constantIbLb0EESY_EEDaST_SU_EUlST_E_NS1_11comp_targetILNS1_3genE3ELNS1_11target_archE908ELNS1_3gpuE7ELNS1_3repE0EEENS1_30default_config_static_selectorELNS0_4arch9wavefront6targetE0EEEvT1_.num_agpr, 0
	.set _ZN7rocprim17ROCPRIM_400000_NS6detail17trampoline_kernelINS0_14default_configENS1_27scan_by_key_config_selectorIxxEEZZNS1_16scan_by_key_implILNS1_25lookback_scan_determinismE0ELb0ES3_N6thrust23THRUST_200600_302600_NS6detail15normal_iteratorINS9_10device_ptrIxEEEESE_SE_xNS9_4plusIxEE19head_flag_predicatexEE10hipError_tPvRmT2_T3_T4_T5_mT6_T7_P12ihipStream_tbENKUlT_T0_E_clISt17integral_constantIbLb0EESY_EEDaST_SU_EUlST_E_NS1_11comp_targetILNS1_3genE3ELNS1_11target_archE908ELNS1_3gpuE7ELNS1_3repE0EEENS1_30default_config_static_selectorELNS0_4arch9wavefront6targetE0EEEvT1_.numbered_sgpr, 0
	.set _ZN7rocprim17ROCPRIM_400000_NS6detail17trampoline_kernelINS0_14default_configENS1_27scan_by_key_config_selectorIxxEEZZNS1_16scan_by_key_implILNS1_25lookback_scan_determinismE0ELb0ES3_N6thrust23THRUST_200600_302600_NS6detail15normal_iteratorINS9_10device_ptrIxEEEESE_SE_xNS9_4plusIxEE19head_flag_predicatexEE10hipError_tPvRmT2_T3_T4_T5_mT6_T7_P12ihipStream_tbENKUlT_T0_E_clISt17integral_constantIbLb0EESY_EEDaST_SU_EUlST_E_NS1_11comp_targetILNS1_3genE3ELNS1_11target_archE908ELNS1_3gpuE7ELNS1_3repE0EEENS1_30default_config_static_selectorELNS0_4arch9wavefront6targetE0EEEvT1_.num_named_barrier, 0
	.set _ZN7rocprim17ROCPRIM_400000_NS6detail17trampoline_kernelINS0_14default_configENS1_27scan_by_key_config_selectorIxxEEZZNS1_16scan_by_key_implILNS1_25lookback_scan_determinismE0ELb0ES3_N6thrust23THRUST_200600_302600_NS6detail15normal_iteratorINS9_10device_ptrIxEEEESE_SE_xNS9_4plusIxEE19head_flag_predicatexEE10hipError_tPvRmT2_T3_T4_T5_mT6_T7_P12ihipStream_tbENKUlT_T0_E_clISt17integral_constantIbLb0EESY_EEDaST_SU_EUlST_E_NS1_11comp_targetILNS1_3genE3ELNS1_11target_archE908ELNS1_3gpuE7ELNS1_3repE0EEENS1_30default_config_static_selectorELNS0_4arch9wavefront6targetE0EEEvT1_.private_seg_size, 0
	.set _ZN7rocprim17ROCPRIM_400000_NS6detail17trampoline_kernelINS0_14default_configENS1_27scan_by_key_config_selectorIxxEEZZNS1_16scan_by_key_implILNS1_25lookback_scan_determinismE0ELb0ES3_N6thrust23THRUST_200600_302600_NS6detail15normal_iteratorINS9_10device_ptrIxEEEESE_SE_xNS9_4plusIxEE19head_flag_predicatexEE10hipError_tPvRmT2_T3_T4_T5_mT6_T7_P12ihipStream_tbENKUlT_T0_E_clISt17integral_constantIbLb0EESY_EEDaST_SU_EUlST_E_NS1_11comp_targetILNS1_3genE3ELNS1_11target_archE908ELNS1_3gpuE7ELNS1_3repE0EEENS1_30default_config_static_selectorELNS0_4arch9wavefront6targetE0EEEvT1_.uses_vcc, 0
	.set _ZN7rocprim17ROCPRIM_400000_NS6detail17trampoline_kernelINS0_14default_configENS1_27scan_by_key_config_selectorIxxEEZZNS1_16scan_by_key_implILNS1_25lookback_scan_determinismE0ELb0ES3_N6thrust23THRUST_200600_302600_NS6detail15normal_iteratorINS9_10device_ptrIxEEEESE_SE_xNS9_4plusIxEE19head_flag_predicatexEE10hipError_tPvRmT2_T3_T4_T5_mT6_T7_P12ihipStream_tbENKUlT_T0_E_clISt17integral_constantIbLb0EESY_EEDaST_SU_EUlST_E_NS1_11comp_targetILNS1_3genE3ELNS1_11target_archE908ELNS1_3gpuE7ELNS1_3repE0EEENS1_30default_config_static_selectorELNS0_4arch9wavefront6targetE0EEEvT1_.uses_flat_scratch, 0
	.set _ZN7rocprim17ROCPRIM_400000_NS6detail17trampoline_kernelINS0_14default_configENS1_27scan_by_key_config_selectorIxxEEZZNS1_16scan_by_key_implILNS1_25lookback_scan_determinismE0ELb0ES3_N6thrust23THRUST_200600_302600_NS6detail15normal_iteratorINS9_10device_ptrIxEEEESE_SE_xNS9_4plusIxEE19head_flag_predicatexEE10hipError_tPvRmT2_T3_T4_T5_mT6_T7_P12ihipStream_tbENKUlT_T0_E_clISt17integral_constantIbLb0EESY_EEDaST_SU_EUlST_E_NS1_11comp_targetILNS1_3genE3ELNS1_11target_archE908ELNS1_3gpuE7ELNS1_3repE0EEENS1_30default_config_static_selectorELNS0_4arch9wavefront6targetE0EEEvT1_.has_dyn_sized_stack, 0
	.set _ZN7rocprim17ROCPRIM_400000_NS6detail17trampoline_kernelINS0_14default_configENS1_27scan_by_key_config_selectorIxxEEZZNS1_16scan_by_key_implILNS1_25lookback_scan_determinismE0ELb0ES3_N6thrust23THRUST_200600_302600_NS6detail15normal_iteratorINS9_10device_ptrIxEEEESE_SE_xNS9_4plusIxEE19head_flag_predicatexEE10hipError_tPvRmT2_T3_T4_T5_mT6_T7_P12ihipStream_tbENKUlT_T0_E_clISt17integral_constantIbLb0EESY_EEDaST_SU_EUlST_E_NS1_11comp_targetILNS1_3genE3ELNS1_11target_archE908ELNS1_3gpuE7ELNS1_3repE0EEENS1_30default_config_static_selectorELNS0_4arch9wavefront6targetE0EEEvT1_.has_recursion, 0
	.set _ZN7rocprim17ROCPRIM_400000_NS6detail17trampoline_kernelINS0_14default_configENS1_27scan_by_key_config_selectorIxxEEZZNS1_16scan_by_key_implILNS1_25lookback_scan_determinismE0ELb0ES3_N6thrust23THRUST_200600_302600_NS6detail15normal_iteratorINS9_10device_ptrIxEEEESE_SE_xNS9_4plusIxEE19head_flag_predicatexEE10hipError_tPvRmT2_T3_T4_T5_mT6_T7_P12ihipStream_tbENKUlT_T0_E_clISt17integral_constantIbLb0EESY_EEDaST_SU_EUlST_E_NS1_11comp_targetILNS1_3genE3ELNS1_11target_archE908ELNS1_3gpuE7ELNS1_3repE0EEENS1_30default_config_static_selectorELNS0_4arch9wavefront6targetE0EEEvT1_.has_indirect_call, 0
	.section	.AMDGPU.csdata,"",@progbits
; Kernel info:
; codeLenInByte = 0
; TotalNumSgprs: 0
; NumVgprs: 0
; ScratchSize: 0
; MemoryBound: 0
; FloatMode: 240
; IeeeMode: 1
; LDSByteSize: 0 bytes/workgroup (compile time only)
; SGPRBlocks: 0
; VGPRBlocks: 0
; NumSGPRsForWavesPerEU: 1
; NumVGPRsForWavesPerEU: 1
; NamedBarCnt: 0
; Occupancy: 16
; WaveLimiterHint : 0
; COMPUTE_PGM_RSRC2:SCRATCH_EN: 0
; COMPUTE_PGM_RSRC2:USER_SGPR: 2
; COMPUTE_PGM_RSRC2:TRAP_HANDLER: 0
; COMPUTE_PGM_RSRC2:TGID_X_EN: 1
; COMPUTE_PGM_RSRC2:TGID_Y_EN: 0
; COMPUTE_PGM_RSRC2:TGID_Z_EN: 0
; COMPUTE_PGM_RSRC2:TIDIG_COMP_CNT: 0
	.section	.text._ZN7rocprim17ROCPRIM_400000_NS6detail17trampoline_kernelINS0_14default_configENS1_27scan_by_key_config_selectorIxxEEZZNS1_16scan_by_key_implILNS1_25lookback_scan_determinismE0ELb0ES3_N6thrust23THRUST_200600_302600_NS6detail15normal_iteratorINS9_10device_ptrIxEEEESE_SE_xNS9_4plusIxEE19head_flag_predicatexEE10hipError_tPvRmT2_T3_T4_T5_mT6_T7_P12ihipStream_tbENKUlT_T0_E_clISt17integral_constantIbLb0EESY_EEDaST_SU_EUlST_E_NS1_11comp_targetILNS1_3genE2ELNS1_11target_archE906ELNS1_3gpuE6ELNS1_3repE0EEENS1_30default_config_static_selectorELNS0_4arch9wavefront6targetE0EEEvT1_,"axG",@progbits,_ZN7rocprim17ROCPRIM_400000_NS6detail17trampoline_kernelINS0_14default_configENS1_27scan_by_key_config_selectorIxxEEZZNS1_16scan_by_key_implILNS1_25lookback_scan_determinismE0ELb0ES3_N6thrust23THRUST_200600_302600_NS6detail15normal_iteratorINS9_10device_ptrIxEEEESE_SE_xNS9_4plusIxEE19head_flag_predicatexEE10hipError_tPvRmT2_T3_T4_T5_mT6_T7_P12ihipStream_tbENKUlT_T0_E_clISt17integral_constantIbLb0EESY_EEDaST_SU_EUlST_E_NS1_11comp_targetILNS1_3genE2ELNS1_11target_archE906ELNS1_3gpuE6ELNS1_3repE0EEENS1_30default_config_static_selectorELNS0_4arch9wavefront6targetE0EEEvT1_,comdat
	.protected	_ZN7rocprim17ROCPRIM_400000_NS6detail17trampoline_kernelINS0_14default_configENS1_27scan_by_key_config_selectorIxxEEZZNS1_16scan_by_key_implILNS1_25lookback_scan_determinismE0ELb0ES3_N6thrust23THRUST_200600_302600_NS6detail15normal_iteratorINS9_10device_ptrIxEEEESE_SE_xNS9_4plusIxEE19head_flag_predicatexEE10hipError_tPvRmT2_T3_T4_T5_mT6_T7_P12ihipStream_tbENKUlT_T0_E_clISt17integral_constantIbLb0EESY_EEDaST_SU_EUlST_E_NS1_11comp_targetILNS1_3genE2ELNS1_11target_archE906ELNS1_3gpuE6ELNS1_3repE0EEENS1_30default_config_static_selectorELNS0_4arch9wavefront6targetE0EEEvT1_ ; -- Begin function _ZN7rocprim17ROCPRIM_400000_NS6detail17trampoline_kernelINS0_14default_configENS1_27scan_by_key_config_selectorIxxEEZZNS1_16scan_by_key_implILNS1_25lookback_scan_determinismE0ELb0ES3_N6thrust23THRUST_200600_302600_NS6detail15normal_iteratorINS9_10device_ptrIxEEEESE_SE_xNS9_4plusIxEE19head_flag_predicatexEE10hipError_tPvRmT2_T3_T4_T5_mT6_T7_P12ihipStream_tbENKUlT_T0_E_clISt17integral_constantIbLb0EESY_EEDaST_SU_EUlST_E_NS1_11comp_targetILNS1_3genE2ELNS1_11target_archE906ELNS1_3gpuE6ELNS1_3repE0EEENS1_30default_config_static_selectorELNS0_4arch9wavefront6targetE0EEEvT1_
	.globl	_ZN7rocprim17ROCPRIM_400000_NS6detail17trampoline_kernelINS0_14default_configENS1_27scan_by_key_config_selectorIxxEEZZNS1_16scan_by_key_implILNS1_25lookback_scan_determinismE0ELb0ES3_N6thrust23THRUST_200600_302600_NS6detail15normal_iteratorINS9_10device_ptrIxEEEESE_SE_xNS9_4plusIxEE19head_flag_predicatexEE10hipError_tPvRmT2_T3_T4_T5_mT6_T7_P12ihipStream_tbENKUlT_T0_E_clISt17integral_constantIbLb0EESY_EEDaST_SU_EUlST_E_NS1_11comp_targetILNS1_3genE2ELNS1_11target_archE906ELNS1_3gpuE6ELNS1_3repE0EEENS1_30default_config_static_selectorELNS0_4arch9wavefront6targetE0EEEvT1_
	.p2align	8
	.type	_ZN7rocprim17ROCPRIM_400000_NS6detail17trampoline_kernelINS0_14default_configENS1_27scan_by_key_config_selectorIxxEEZZNS1_16scan_by_key_implILNS1_25lookback_scan_determinismE0ELb0ES3_N6thrust23THRUST_200600_302600_NS6detail15normal_iteratorINS9_10device_ptrIxEEEESE_SE_xNS9_4plusIxEE19head_flag_predicatexEE10hipError_tPvRmT2_T3_T4_T5_mT6_T7_P12ihipStream_tbENKUlT_T0_E_clISt17integral_constantIbLb0EESY_EEDaST_SU_EUlST_E_NS1_11comp_targetILNS1_3genE2ELNS1_11target_archE906ELNS1_3gpuE6ELNS1_3repE0EEENS1_30default_config_static_selectorELNS0_4arch9wavefront6targetE0EEEvT1_,@function
_ZN7rocprim17ROCPRIM_400000_NS6detail17trampoline_kernelINS0_14default_configENS1_27scan_by_key_config_selectorIxxEEZZNS1_16scan_by_key_implILNS1_25lookback_scan_determinismE0ELb0ES3_N6thrust23THRUST_200600_302600_NS6detail15normal_iteratorINS9_10device_ptrIxEEEESE_SE_xNS9_4plusIxEE19head_flag_predicatexEE10hipError_tPvRmT2_T3_T4_T5_mT6_T7_P12ihipStream_tbENKUlT_T0_E_clISt17integral_constantIbLb0EESY_EEDaST_SU_EUlST_E_NS1_11comp_targetILNS1_3genE2ELNS1_11target_archE906ELNS1_3gpuE6ELNS1_3repE0EEENS1_30default_config_static_selectorELNS0_4arch9wavefront6targetE0EEEvT1_: ; @_ZN7rocprim17ROCPRIM_400000_NS6detail17trampoline_kernelINS0_14default_configENS1_27scan_by_key_config_selectorIxxEEZZNS1_16scan_by_key_implILNS1_25lookback_scan_determinismE0ELb0ES3_N6thrust23THRUST_200600_302600_NS6detail15normal_iteratorINS9_10device_ptrIxEEEESE_SE_xNS9_4plusIxEE19head_flag_predicatexEE10hipError_tPvRmT2_T3_T4_T5_mT6_T7_P12ihipStream_tbENKUlT_T0_E_clISt17integral_constantIbLb0EESY_EEDaST_SU_EUlST_E_NS1_11comp_targetILNS1_3genE2ELNS1_11target_archE906ELNS1_3gpuE6ELNS1_3repE0EEENS1_30default_config_static_selectorELNS0_4arch9wavefront6targetE0EEEvT1_
; %bb.0:
	.section	.rodata,"a",@progbits
	.p2align	6, 0x0
	.amdhsa_kernel _ZN7rocprim17ROCPRIM_400000_NS6detail17trampoline_kernelINS0_14default_configENS1_27scan_by_key_config_selectorIxxEEZZNS1_16scan_by_key_implILNS1_25lookback_scan_determinismE0ELb0ES3_N6thrust23THRUST_200600_302600_NS6detail15normal_iteratorINS9_10device_ptrIxEEEESE_SE_xNS9_4plusIxEE19head_flag_predicatexEE10hipError_tPvRmT2_T3_T4_T5_mT6_T7_P12ihipStream_tbENKUlT_T0_E_clISt17integral_constantIbLb0EESY_EEDaST_SU_EUlST_E_NS1_11comp_targetILNS1_3genE2ELNS1_11target_archE906ELNS1_3gpuE6ELNS1_3repE0EEENS1_30default_config_static_selectorELNS0_4arch9wavefront6targetE0EEEvT1_
		.amdhsa_group_segment_fixed_size 0
		.amdhsa_private_segment_fixed_size 0
		.amdhsa_kernarg_size 136
		.amdhsa_user_sgpr_count 2
		.amdhsa_user_sgpr_dispatch_ptr 0
		.amdhsa_user_sgpr_queue_ptr 0
		.amdhsa_user_sgpr_kernarg_segment_ptr 1
		.amdhsa_user_sgpr_dispatch_id 0
		.amdhsa_user_sgpr_kernarg_preload_length 0
		.amdhsa_user_sgpr_kernarg_preload_offset 0
		.amdhsa_user_sgpr_private_segment_size 0
		.amdhsa_wavefront_size32 1
		.amdhsa_uses_dynamic_stack 0
		.amdhsa_enable_private_segment 0
		.amdhsa_system_sgpr_workgroup_id_x 1
		.amdhsa_system_sgpr_workgroup_id_y 0
		.amdhsa_system_sgpr_workgroup_id_z 0
		.amdhsa_system_sgpr_workgroup_info 0
		.amdhsa_system_vgpr_workitem_id 0
		.amdhsa_next_free_vgpr 1
		.amdhsa_next_free_sgpr 1
		.amdhsa_named_barrier_count 0
		.amdhsa_reserve_vcc 0
		.amdhsa_float_round_mode_32 0
		.amdhsa_float_round_mode_16_64 0
		.amdhsa_float_denorm_mode_32 3
		.amdhsa_float_denorm_mode_16_64 3
		.amdhsa_fp16_overflow 0
		.amdhsa_memory_ordered 1
		.amdhsa_forward_progress 1
		.amdhsa_inst_pref_size 0
		.amdhsa_round_robin_scheduling 0
		.amdhsa_exception_fp_ieee_invalid_op 0
		.amdhsa_exception_fp_denorm_src 0
		.amdhsa_exception_fp_ieee_div_zero 0
		.amdhsa_exception_fp_ieee_overflow 0
		.amdhsa_exception_fp_ieee_underflow 0
		.amdhsa_exception_fp_ieee_inexact 0
		.amdhsa_exception_int_div_zero 0
	.end_amdhsa_kernel
	.section	.text._ZN7rocprim17ROCPRIM_400000_NS6detail17trampoline_kernelINS0_14default_configENS1_27scan_by_key_config_selectorIxxEEZZNS1_16scan_by_key_implILNS1_25lookback_scan_determinismE0ELb0ES3_N6thrust23THRUST_200600_302600_NS6detail15normal_iteratorINS9_10device_ptrIxEEEESE_SE_xNS9_4plusIxEE19head_flag_predicatexEE10hipError_tPvRmT2_T3_T4_T5_mT6_T7_P12ihipStream_tbENKUlT_T0_E_clISt17integral_constantIbLb0EESY_EEDaST_SU_EUlST_E_NS1_11comp_targetILNS1_3genE2ELNS1_11target_archE906ELNS1_3gpuE6ELNS1_3repE0EEENS1_30default_config_static_selectorELNS0_4arch9wavefront6targetE0EEEvT1_,"axG",@progbits,_ZN7rocprim17ROCPRIM_400000_NS6detail17trampoline_kernelINS0_14default_configENS1_27scan_by_key_config_selectorIxxEEZZNS1_16scan_by_key_implILNS1_25lookback_scan_determinismE0ELb0ES3_N6thrust23THRUST_200600_302600_NS6detail15normal_iteratorINS9_10device_ptrIxEEEESE_SE_xNS9_4plusIxEE19head_flag_predicatexEE10hipError_tPvRmT2_T3_T4_T5_mT6_T7_P12ihipStream_tbENKUlT_T0_E_clISt17integral_constantIbLb0EESY_EEDaST_SU_EUlST_E_NS1_11comp_targetILNS1_3genE2ELNS1_11target_archE906ELNS1_3gpuE6ELNS1_3repE0EEENS1_30default_config_static_selectorELNS0_4arch9wavefront6targetE0EEEvT1_,comdat
.Lfunc_end682:
	.size	_ZN7rocprim17ROCPRIM_400000_NS6detail17trampoline_kernelINS0_14default_configENS1_27scan_by_key_config_selectorIxxEEZZNS1_16scan_by_key_implILNS1_25lookback_scan_determinismE0ELb0ES3_N6thrust23THRUST_200600_302600_NS6detail15normal_iteratorINS9_10device_ptrIxEEEESE_SE_xNS9_4plusIxEE19head_flag_predicatexEE10hipError_tPvRmT2_T3_T4_T5_mT6_T7_P12ihipStream_tbENKUlT_T0_E_clISt17integral_constantIbLb0EESY_EEDaST_SU_EUlST_E_NS1_11comp_targetILNS1_3genE2ELNS1_11target_archE906ELNS1_3gpuE6ELNS1_3repE0EEENS1_30default_config_static_selectorELNS0_4arch9wavefront6targetE0EEEvT1_, .Lfunc_end682-_ZN7rocprim17ROCPRIM_400000_NS6detail17trampoline_kernelINS0_14default_configENS1_27scan_by_key_config_selectorIxxEEZZNS1_16scan_by_key_implILNS1_25lookback_scan_determinismE0ELb0ES3_N6thrust23THRUST_200600_302600_NS6detail15normal_iteratorINS9_10device_ptrIxEEEESE_SE_xNS9_4plusIxEE19head_flag_predicatexEE10hipError_tPvRmT2_T3_T4_T5_mT6_T7_P12ihipStream_tbENKUlT_T0_E_clISt17integral_constantIbLb0EESY_EEDaST_SU_EUlST_E_NS1_11comp_targetILNS1_3genE2ELNS1_11target_archE906ELNS1_3gpuE6ELNS1_3repE0EEENS1_30default_config_static_selectorELNS0_4arch9wavefront6targetE0EEEvT1_
                                        ; -- End function
	.set _ZN7rocprim17ROCPRIM_400000_NS6detail17trampoline_kernelINS0_14default_configENS1_27scan_by_key_config_selectorIxxEEZZNS1_16scan_by_key_implILNS1_25lookback_scan_determinismE0ELb0ES3_N6thrust23THRUST_200600_302600_NS6detail15normal_iteratorINS9_10device_ptrIxEEEESE_SE_xNS9_4plusIxEE19head_flag_predicatexEE10hipError_tPvRmT2_T3_T4_T5_mT6_T7_P12ihipStream_tbENKUlT_T0_E_clISt17integral_constantIbLb0EESY_EEDaST_SU_EUlST_E_NS1_11comp_targetILNS1_3genE2ELNS1_11target_archE906ELNS1_3gpuE6ELNS1_3repE0EEENS1_30default_config_static_selectorELNS0_4arch9wavefront6targetE0EEEvT1_.num_vgpr, 0
	.set _ZN7rocprim17ROCPRIM_400000_NS6detail17trampoline_kernelINS0_14default_configENS1_27scan_by_key_config_selectorIxxEEZZNS1_16scan_by_key_implILNS1_25lookback_scan_determinismE0ELb0ES3_N6thrust23THRUST_200600_302600_NS6detail15normal_iteratorINS9_10device_ptrIxEEEESE_SE_xNS9_4plusIxEE19head_flag_predicatexEE10hipError_tPvRmT2_T3_T4_T5_mT6_T7_P12ihipStream_tbENKUlT_T0_E_clISt17integral_constantIbLb0EESY_EEDaST_SU_EUlST_E_NS1_11comp_targetILNS1_3genE2ELNS1_11target_archE906ELNS1_3gpuE6ELNS1_3repE0EEENS1_30default_config_static_selectorELNS0_4arch9wavefront6targetE0EEEvT1_.num_agpr, 0
	.set _ZN7rocprim17ROCPRIM_400000_NS6detail17trampoline_kernelINS0_14default_configENS1_27scan_by_key_config_selectorIxxEEZZNS1_16scan_by_key_implILNS1_25lookback_scan_determinismE0ELb0ES3_N6thrust23THRUST_200600_302600_NS6detail15normal_iteratorINS9_10device_ptrIxEEEESE_SE_xNS9_4plusIxEE19head_flag_predicatexEE10hipError_tPvRmT2_T3_T4_T5_mT6_T7_P12ihipStream_tbENKUlT_T0_E_clISt17integral_constantIbLb0EESY_EEDaST_SU_EUlST_E_NS1_11comp_targetILNS1_3genE2ELNS1_11target_archE906ELNS1_3gpuE6ELNS1_3repE0EEENS1_30default_config_static_selectorELNS0_4arch9wavefront6targetE0EEEvT1_.numbered_sgpr, 0
	.set _ZN7rocprim17ROCPRIM_400000_NS6detail17trampoline_kernelINS0_14default_configENS1_27scan_by_key_config_selectorIxxEEZZNS1_16scan_by_key_implILNS1_25lookback_scan_determinismE0ELb0ES3_N6thrust23THRUST_200600_302600_NS6detail15normal_iteratorINS9_10device_ptrIxEEEESE_SE_xNS9_4plusIxEE19head_flag_predicatexEE10hipError_tPvRmT2_T3_T4_T5_mT6_T7_P12ihipStream_tbENKUlT_T0_E_clISt17integral_constantIbLb0EESY_EEDaST_SU_EUlST_E_NS1_11comp_targetILNS1_3genE2ELNS1_11target_archE906ELNS1_3gpuE6ELNS1_3repE0EEENS1_30default_config_static_selectorELNS0_4arch9wavefront6targetE0EEEvT1_.num_named_barrier, 0
	.set _ZN7rocprim17ROCPRIM_400000_NS6detail17trampoline_kernelINS0_14default_configENS1_27scan_by_key_config_selectorIxxEEZZNS1_16scan_by_key_implILNS1_25lookback_scan_determinismE0ELb0ES3_N6thrust23THRUST_200600_302600_NS6detail15normal_iteratorINS9_10device_ptrIxEEEESE_SE_xNS9_4plusIxEE19head_flag_predicatexEE10hipError_tPvRmT2_T3_T4_T5_mT6_T7_P12ihipStream_tbENKUlT_T0_E_clISt17integral_constantIbLb0EESY_EEDaST_SU_EUlST_E_NS1_11comp_targetILNS1_3genE2ELNS1_11target_archE906ELNS1_3gpuE6ELNS1_3repE0EEENS1_30default_config_static_selectorELNS0_4arch9wavefront6targetE0EEEvT1_.private_seg_size, 0
	.set _ZN7rocprim17ROCPRIM_400000_NS6detail17trampoline_kernelINS0_14default_configENS1_27scan_by_key_config_selectorIxxEEZZNS1_16scan_by_key_implILNS1_25lookback_scan_determinismE0ELb0ES3_N6thrust23THRUST_200600_302600_NS6detail15normal_iteratorINS9_10device_ptrIxEEEESE_SE_xNS9_4plusIxEE19head_flag_predicatexEE10hipError_tPvRmT2_T3_T4_T5_mT6_T7_P12ihipStream_tbENKUlT_T0_E_clISt17integral_constantIbLb0EESY_EEDaST_SU_EUlST_E_NS1_11comp_targetILNS1_3genE2ELNS1_11target_archE906ELNS1_3gpuE6ELNS1_3repE0EEENS1_30default_config_static_selectorELNS0_4arch9wavefront6targetE0EEEvT1_.uses_vcc, 0
	.set _ZN7rocprim17ROCPRIM_400000_NS6detail17trampoline_kernelINS0_14default_configENS1_27scan_by_key_config_selectorIxxEEZZNS1_16scan_by_key_implILNS1_25lookback_scan_determinismE0ELb0ES3_N6thrust23THRUST_200600_302600_NS6detail15normal_iteratorINS9_10device_ptrIxEEEESE_SE_xNS9_4plusIxEE19head_flag_predicatexEE10hipError_tPvRmT2_T3_T4_T5_mT6_T7_P12ihipStream_tbENKUlT_T0_E_clISt17integral_constantIbLb0EESY_EEDaST_SU_EUlST_E_NS1_11comp_targetILNS1_3genE2ELNS1_11target_archE906ELNS1_3gpuE6ELNS1_3repE0EEENS1_30default_config_static_selectorELNS0_4arch9wavefront6targetE0EEEvT1_.uses_flat_scratch, 0
	.set _ZN7rocprim17ROCPRIM_400000_NS6detail17trampoline_kernelINS0_14default_configENS1_27scan_by_key_config_selectorIxxEEZZNS1_16scan_by_key_implILNS1_25lookback_scan_determinismE0ELb0ES3_N6thrust23THRUST_200600_302600_NS6detail15normal_iteratorINS9_10device_ptrIxEEEESE_SE_xNS9_4plusIxEE19head_flag_predicatexEE10hipError_tPvRmT2_T3_T4_T5_mT6_T7_P12ihipStream_tbENKUlT_T0_E_clISt17integral_constantIbLb0EESY_EEDaST_SU_EUlST_E_NS1_11comp_targetILNS1_3genE2ELNS1_11target_archE906ELNS1_3gpuE6ELNS1_3repE0EEENS1_30default_config_static_selectorELNS0_4arch9wavefront6targetE0EEEvT1_.has_dyn_sized_stack, 0
	.set _ZN7rocprim17ROCPRIM_400000_NS6detail17trampoline_kernelINS0_14default_configENS1_27scan_by_key_config_selectorIxxEEZZNS1_16scan_by_key_implILNS1_25lookback_scan_determinismE0ELb0ES3_N6thrust23THRUST_200600_302600_NS6detail15normal_iteratorINS9_10device_ptrIxEEEESE_SE_xNS9_4plusIxEE19head_flag_predicatexEE10hipError_tPvRmT2_T3_T4_T5_mT6_T7_P12ihipStream_tbENKUlT_T0_E_clISt17integral_constantIbLb0EESY_EEDaST_SU_EUlST_E_NS1_11comp_targetILNS1_3genE2ELNS1_11target_archE906ELNS1_3gpuE6ELNS1_3repE0EEENS1_30default_config_static_selectorELNS0_4arch9wavefront6targetE0EEEvT1_.has_recursion, 0
	.set _ZN7rocprim17ROCPRIM_400000_NS6detail17trampoline_kernelINS0_14default_configENS1_27scan_by_key_config_selectorIxxEEZZNS1_16scan_by_key_implILNS1_25lookback_scan_determinismE0ELb0ES3_N6thrust23THRUST_200600_302600_NS6detail15normal_iteratorINS9_10device_ptrIxEEEESE_SE_xNS9_4plusIxEE19head_flag_predicatexEE10hipError_tPvRmT2_T3_T4_T5_mT6_T7_P12ihipStream_tbENKUlT_T0_E_clISt17integral_constantIbLb0EESY_EEDaST_SU_EUlST_E_NS1_11comp_targetILNS1_3genE2ELNS1_11target_archE906ELNS1_3gpuE6ELNS1_3repE0EEENS1_30default_config_static_selectorELNS0_4arch9wavefront6targetE0EEEvT1_.has_indirect_call, 0
	.section	.AMDGPU.csdata,"",@progbits
; Kernel info:
; codeLenInByte = 0
; TotalNumSgprs: 0
; NumVgprs: 0
; ScratchSize: 0
; MemoryBound: 0
; FloatMode: 240
; IeeeMode: 1
; LDSByteSize: 0 bytes/workgroup (compile time only)
; SGPRBlocks: 0
; VGPRBlocks: 0
; NumSGPRsForWavesPerEU: 1
; NumVGPRsForWavesPerEU: 1
; NamedBarCnt: 0
; Occupancy: 16
; WaveLimiterHint : 0
; COMPUTE_PGM_RSRC2:SCRATCH_EN: 0
; COMPUTE_PGM_RSRC2:USER_SGPR: 2
; COMPUTE_PGM_RSRC2:TRAP_HANDLER: 0
; COMPUTE_PGM_RSRC2:TGID_X_EN: 1
; COMPUTE_PGM_RSRC2:TGID_Y_EN: 0
; COMPUTE_PGM_RSRC2:TGID_Z_EN: 0
; COMPUTE_PGM_RSRC2:TIDIG_COMP_CNT: 0
	.section	.text._ZN7rocprim17ROCPRIM_400000_NS6detail17trampoline_kernelINS0_14default_configENS1_27scan_by_key_config_selectorIxxEEZZNS1_16scan_by_key_implILNS1_25lookback_scan_determinismE0ELb0ES3_N6thrust23THRUST_200600_302600_NS6detail15normal_iteratorINS9_10device_ptrIxEEEESE_SE_xNS9_4plusIxEE19head_flag_predicatexEE10hipError_tPvRmT2_T3_T4_T5_mT6_T7_P12ihipStream_tbENKUlT_T0_E_clISt17integral_constantIbLb0EESY_EEDaST_SU_EUlST_E_NS1_11comp_targetILNS1_3genE10ELNS1_11target_archE1200ELNS1_3gpuE4ELNS1_3repE0EEENS1_30default_config_static_selectorELNS0_4arch9wavefront6targetE0EEEvT1_,"axG",@progbits,_ZN7rocprim17ROCPRIM_400000_NS6detail17trampoline_kernelINS0_14default_configENS1_27scan_by_key_config_selectorIxxEEZZNS1_16scan_by_key_implILNS1_25lookback_scan_determinismE0ELb0ES3_N6thrust23THRUST_200600_302600_NS6detail15normal_iteratorINS9_10device_ptrIxEEEESE_SE_xNS9_4plusIxEE19head_flag_predicatexEE10hipError_tPvRmT2_T3_T4_T5_mT6_T7_P12ihipStream_tbENKUlT_T0_E_clISt17integral_constantIbLb0EESY_EEDaST_SU_EUlST_E_NS1_11comp_targetILNS1_3genE10ELNS1_11target_archE1200ELNS1_3gpuE4ELNS1_3repE0EEENS1_30default_config_static_selectorELNS0_4arch9wavefront6targetE0EEEvT1_,comdat
	.protected	_ZN7rocprim17ROCPRIM_400000_NS6detail17trampoline_kernelINS0_14default_configENS1_27scan_by_key_config_selectorIxxEEZZNS1_16scan_by_key_implILNS1_25lookback_scan_determinismE0ELb0ES3_N6thrust23THRUST_200600_302600_NS6detail15normal_iteratorINS9_10device_ptrIxEEEESE_SE_xNS9_4plusIxEE19head_flag_predicatexEE10hipError_tPvRmT2_T3_T4_T5_mT6_T7_P12ihipStream_tbENKUlT_T0_E_clISt17integral_constantIbLb0EESY_EEDaST_SU_EUlST_E_NS1_11comp_targetILNS1_3genE10ELNS1_11target_archE1200ELNS1_3gpuE4ELNS1_3repE0EEENS1_30default_config_static_selectorELNS0_4arch9wavefront6targetE0EEEvT1_ ; -- Begin function _ZN7rocprim17ROCPRIM_400000_NS6detail17trampoline_kernelINS0_14default_configENS1_27scan_by_key_config_selectorIxxEEZZNS1_16scan_by_key_implILNS1_25lookback_scan_determinismE0ELb0ES3_N6thrust23THRUST_200600_302600_NS6detail15normal_iteratorINS9_10device_ptrIxEEEESE_SE_xNS9_4plusIxEE19head_flag_predicatexEE10hipError_tPvRmT2_T3_T4_T5_mT6_T7_P12ihipStream_tbENKUlT_T0_E_clISt17integral_constantIbLb0EESY_EEDaST_SU_EUlST_E_NS1_11comp_targetILNS1_3genE10ELNS1_11target_archE1200ELNS1_3gpuE4ELNS1_3repE0EEENS1_30default_config_static_selectorELNS0_4arch9wavefront6targetE0EEEvT1_
	.globl	_ZN7rocprim17ROCPRIM_400000_NS6detail17trampoline_kernelINS0_14default_configENS1_27scan_by_key_config_selectorIxxEEZZNS1_16scan_by_key_implILNS1_25lookback_scan_determinismE0ELb0ES3_N6thrust23THRUST_200600_302600_NS6detail15normal_iteratorINS9_10device_ptrIxEEEESE_SE_xNS9_4plusIxEE19head_flag_predicatexEE10hipError_tPvRmT2_T3_T4_T5_mT6_T7_P12ihipStream_tbENKUlT_T0_E_clISt17integral_constantIbLb0EESY_EEDaST_SU_EUlST_E_NS1_11comp_targetILNS1_3genE10ELNS1_11target_archE1200ELNS1_3gpuE4ELNS1_3repE0EEENS1_30default_config_static_selectorELNS0_4arch9wavefront6targetE0EEEvT1_
	.p2align	8
	.type	_ZN7rocprim17ROCPRIM_400000_NS6detail17trampoline_kernelINS0_14default_configENS1_27scan_by_key_config_selectorIxxEEZZNS1_16scan_by_key_implILNS1_25lookback_scan_determinismE0ELb0ES3_N6thrust23THRUST_200600_302600_NS6detail15normal_iteratorINS9_10device_ptrIxEEEESE_SE_xNS9_4plusIxEE19head_flag_predicatexEE10hipError_tPvRmT2_T3_T4_T5_mT6_T7_P12ihipStream_tbENKUlT_T0_E_clISt17integral_constantIbLb0EESY_EEDaST_SU_EUlST_E_NS1_11comp_targetILNS1_3genE10ELNS1_11target_archE1200ELNS1_3gpuE4ELNS1_3repE0EEENS1_30default_config_static_selectorELNS0_4arch9wavefront6targetE0EEEvT1_,@function
_ZN7rocprim17ROCPRIM_400000_NS6detail17trampoline_kernelINS0_14default_configENS1_27scan_by_key_config_selectorIxxEEZZNS1_16scan_by_key_implILNS1_25lookback_scan_determinismE0ELb0ES3_N6thrust23THRUST_200600_302600_NS6detail15normal_iteratorINS9_10device_ptrIxEEEESE_SE_xNS9_4plusIxEE19head_flag_predicatexEE10hipError_tPvRmT2_T3_T4_T5_mT6_T7_P12ihipStream_tbENKUlT_T0_E_clISt17integral_constantIbLb0EESY_EEDaST_SU_EUlST_E_NS1_11comp_targetILNS1_3genE10ELNS1_11target_archE1200ELNS1_3gpuE4ELNS1_3repE0EEENS1_30default_config_static_selectorELNS0_4arch9wavefront6targetE0EEEvT1_: ; @_ZN7rocprim17ROCPRIM_400000_NS6detail17trampoline_kernelINS0_14default_configENS1_27scan_by_key_config_selectorIxxEEZZNS1_16scan_by_key_implILNS1_25lookback_scan_determinismE0ELb0ES3_N6thrust23THRUST_200600_302600_NS6detail15normal_iteratorINS9_10device_ptrIxEEEESE_SE_xNS9_4plusIxEE19head_flag_predicatexEE10hipError_tPvRmT2_T3_T4_T5_mT6_T7_P12ihipStream_tbENKUlT_T0_E_clISt17integral_constantIbLb0EESY_EEDaST_SU_EUlST_E_NS1_11comp_targetILNS1_3genE10ELNS1_11target_archE1200ELNS1_3gpuE4ELNS1_3repE0EEENS1_30default_config_static_selectorELNS0_4arch9wavefront6targetE0EEEvT1_
; %bb.0:
	.section	.rodata,"a",@progbits
	.p2align	6, 0x0
	.amdhsa_kernel _ZN7rocprim17ROCPRIM_400000_NS6detail17trampoline_kernelINS0_14default_configENS1_27scan_by_key_config_selectorIxxEEZZNS1_16scan_by_key_implILNS1_25lookback_scan_determinismE0ELb0ES3_N6thrust23THRUST_200600_302600_NS6detail15normal_iteratorINS9_10device_ptrIxEEEESE_SE_xNS9_4plusIxEE19head_flag_predicatexEE10hipError_tPvRmT2_T3_T4_T5_mT6_T7_P12ihipStream_tbENKUlT_T0_E_clISt17integral_constantIbLb0EESY_EEDaST_SU_EUlST_E_NS1_11comp_targetILNS1_3genE10ELNS1_11target_archE1200ELNS1_3gpuE4ELNS1_3repE0EEENS1_30default_config_static_selectorELNS0_4arch9wavefront6targetE0EEEvT1_
		.amdhsa_group_segment_fixed_size 0
		.amdhsa_private_segment_fixed_size 0
		.amdhsa_kernarg_size 136
		.amdhsa_user_sgpr_count 2
		.amdhsa_user_sgpr_dispatch_ptr 0
		.amdhsa_user_sgpr_queue_ptr 0
		.amdhsa_user_sgpr_kernarg_segment_ptr 1
		.amdhsa_user_sgpr_dispatch_id 0
		.amdhsa_user_sgpr_kernarg_preload_length 0
		.amdhsa_user_sgpr_kernarg_preload_offset 0
		.amdhsa_user_sgpr_private_segment_size 0
		.amdhsa_wavefront_size32 1
		.amdhsa_uses_dynamic_stack 0
		.amdhsa_enable_private_segment 0
		.amdhsa_system_sgpr_workgroup_id_x 1
		.amdhsa_system_sgpr_workgroup_id_y 0
		.amdhsa_system_sgpr_workgroup_id_z 0
		.amdhsa_system_sgpr_workgroup_info 0
		.amdhsa_system_vgpr_workitem_id 0
		.amdhsa_next_free_vgpr 1
		.amdhsa_next_free_sgpr 1
		.amdhsa_named_barrier_count 0
		.amdhsa_reserve_vcc 0
		.amdhsa_float_round_mode_32 0
		.amdhsa_float_round_mode_16_64 0
		.amdhsa_float_denorm_mode_32 3
		.amdhsa_float_denorm_mode_16_64 3
		.amdhsa_fp16_overflow 0
		.amdhsa_memory_ordered 1
		.amdhsa_forward_progress 1
		.amdhsa_inst_pref_size 0
		.amdhsa_round_robin_scheduling 0
		.amdhsa_exception_fp_ieee_invalid_op 0
		.amdhsa_exception_fp_denorm_src 0
		.amdhsa_exception_fp_ieee_div_zero 0
		.amdhsa_exception_fp_ieee_overflow 0
		.amdhsa_exception_fp_ieee_underflow 0
		.amdhsa_exception_fp_ieee_inexact 0
		.amdhsa_exception_int_div_zero 0
	.end_amdhsa_kernel
	.section	.text._ZN7rocprim17ROCPRIM_400000_NS6detail17trampoline_kernelINS0_14default_configENS1_27scan_by_key_config_selectorIxxEEZZNS1_16scan_by_key_implILNS1_25lookback_scan_determinismE0ELb0ES3_N6thrust23THRUST_200600_302600_NS6detail15normal_iteratorINS9_10device_ptrIxEEEESE_SE_xNS9_4plusIxEE19head_flag_predicatexEE10hipError_tPvRmT2_T3_T4_T5_mT6_T7_P12ihipStream_tbENKUlT_T0_E_clISt17integral_constantIbLb0EESY_EEDaST_SU_EUlST_E_NS1_11comp_targetILNS1_3genE10ELNS1_11target_archE1200ELNS1_3gpuE4ELNS1_3repE0EEENS1_30default_config_static_selectorELNS0_4arch9wavefront6targetE0EEEvT1_,"axG",@progbits,_ZN7rocprim17ROCPRIM_400000_NS6detail17trampoline_kernelINS0_14default_configENS1_27scan_by_key_config_selectorIxxEEZZNS1_16scan_by_key_implILNS1_25lookback_scan_determinismE0ELb0ES3_N6thrust23THRUST_200600_302600_NS6detail15normal_iteratorINS9_10device_ptrIxEEEESE_SE_xNS9_4plusIxEE19head_flag_predicatexEE10hipError_tPvRmT2_T3_T4_T5_mT6_T7_P12ihipStream_tbENKUlT_T0_E_clISt17integral_constantIbLb0EESY_EEDaST_SU_EUlST_E_NS1_11comp_targetILNS1_3genE10ELNS1_11target_archE1200ELNS1_3gpuE4ELNS1_3repE0EEENS1_30default_config_static_selectorELNS0_4arch9wavefront6targetE0EEEvT1_,comdat
.Lfunc_end683:
	.size	_ZN7rocprim17ROCPRIM_400000_NS6detail17trampoline_kernelINS0_14default_configENS1_27scan_by_key_config_selectorIxxEEZZNS1_16scan_by_key_implILNS1_25lookback_scan_determinismE0ELb0ES3_N6thrust23THRUST_200600_302600_NS6detail15normal_iteratorINS9_10device_ptrIxEEEESE_SE_xNS9_4plusIxEE19head_flag_predicatexEE10hipError_tPvRmT2_T3_T4_T5_mT6_T7_P12ihipStream_tbENKUlT_T0_E_clISt17integral_constantIbLb0EESY_EEDaST_SU_EUlST_E_NS1_11comp_targetILNS1_3genE10ELNS1_11target_archE1200ELNS1_3gpuE4ELNS1_3repE0EEENS1_30default_config_static_selectorELNS0_4arch9wavefront6targetE0EEEvT1_, .Lfunc_end683-_ZN7rocprim17ROCPRIM_400000_NS6detail17trampoline_kernelINS0_14default_configENS1_27scan_by_key_config_selectorIxxEEZZNS1_16scan_by_key_implILNS1_25lookback_scan_determinismE0ELb0ES3_N6thrust23THRUST_200600_302600_NS6detail15normal_iteratorINS9_10device_ptrIxEEEESE_SE_xNS9_4plusIxEE19head_flag_predicatexEE10hipError_tPvRmT2_T3_T4_T5_mT6_T7_P12ihipStream_tbENKUlT_T0_E_clISt17integral_constantIbLb0EESY_EEDaST_SU_EUlST_E_NS1_11comp_targetILNS1_3genE10ELNS1_11target_archE1200ELNS1_3gpuE4ELNS1_3repE0EEENS1_30default_config_static_selectorELNS0_4arch9wavefront6targetE0EEEvT1_
                                        ; -- End function
	.set _ZN7rocprim17ROCPRIM_400000_NS6detail17trampoline_kernelINS0_14default_configENS1_27scan_by_key_config_selectorIxxEEZZNS1_16scan_by_key_implILNS1_25lookback_scan_determinismE0ELb0ES3_N6thrust23THRUST_200600_302600_NS6detail15normal_iteratorINS9_10device_ptrIxEEEESE_SE_xNS9_4plusIxEE19head_flag_predicatexEE10hipError_tPvRmT2_T3_T4_T5_mT6_T7_P12ihipStream_tbENKUlT_T0_E_clISt17integral_constantIbLb0EESY_EEDaST_SU_EUlST_E_NS1_11comp_targetILNS1_3genE10ELNS1_11target_archE1200ELNS1_3gpuE4ELNS1_3repE0EEENS1_30default_config_static_selectorELNS0_4arch9wavefront6targetE0EEEvT1_.num_vgpr, 0
	.set _ZN7rocprim17ROCPRIM_400000_NS6detail17trampoline_kernelINS0_14default_configENS1_27scan_by_key_config_selectorIxxEEZZNS1_16scan_by_key_implILNS1_25lookback_scan_determinismE0ELb0ES3_N6thrust23THRUST_200600_302600_NS6detail15normal_iteratorINS9_10device_ptrIxEEEESE_SE_xNS9_4plusIxEE19head_flag_predicatexEE10hipError_tPvRmT2_T3_T4_T5_mT6_T7_P12ihipStream_tbENKUlT_T0_E_clISt17integral_constantIbLb0EESY_EEDaST_SU_EUlST_E_NS1_11comp_targetILNS1_3genE10ELNS1_11target_archE1200ELNS1_3gpuE4ELNS1_3repE0EEENS1_30default_config_static_selectorELNS0_4arch9wavefront6targetE0EEEvT1_.num_agpr, 0
	.set _ZN7rocprim17ROCPRIM_400000_NS6detail17trampoline_kernelINS0_14default_configENS1_27scan_by_key_config_selectorIxxEEZZNS1_16scan_by_key_implILNS1_25lookback_scan_determinismE0ELb0ES3_N6thrust23THRUST_200600_302600_NS6detail15normal_iteratorINS9_10device_ptrIxEEEESE_SE_xNS9_4plusIxEE19head_flag_predicatexEE10hipError_tPvRmT2_T3_T4_T5_mT6_T7_P12ihipStream_tbENKUlT_T0_E_clISt17integral_constantIbLb0EESY_EEDaST_SU_EUlST_E_NS1_11comp_targetILNS1_3genE10ELNS1_11target_archE1200ELNS1_3gpuE4ELNS1_3repE0EEENS1_30default_config_static_selectorELNS0_4arch9wavefront6targetE0EEEvT1_.numbered_sgpr, 0
	.set _ZN7rocprim17ROCPRIM_400000_NS6detail17trampoline_kernelINS0_14default_configENS1_27scan_by_key_config_selectorIxxEEZZNS1_16scan_by_key_implILNS1_25lookback_scan_determinismE0ELb0ES3_N6thrust23THRUST_200600_302600_NS6detail15normal_iteratorINS9_10device_ptrIxEEEESE_SE_xNS9_4plusIxEE19head_flag_predicatexEE10hipError_tPvRmT2_T3_T4_T5_mT6_T7_P12ihipStream_tbENKUlT_T0_E_clISt17integral_constantIbLb0EESY_EEDaST_SU_EUlST_E_NS1_11comp_targetILNS1_3genE10ELNS1_11target_archE1200ELNS1_3gpuE4ELNS1_3repE0EEENS1_30default_config_static_selectorELNS0_4arch9wavefront6targetE0EEEvT1_.num_named_barrier, 0
	.set _ZN7rocprim17ROCPRIM_400000_NS6detail17trampoline_kernelINS0_14default_configENS1_27scan_by_key_config_selectorIxxEEZZNS1_16scan_by_key_implILNS1_25lookback_scan_determinismE0ELb0ES3_N6thrust23THRUST_200600_302600_NS6detail15normal_iteratorINS9_10device_ptrIxEEEESE_SE_xNS9_4plusIxEE19head_flag_predicatexEE10hipError_tPvRmT2_T3_T4_T5_mT6_T7_P12ihipStream_tbENKUlT_T0_E_clISt17integral_constantIbLb0EESY_EEDaST_SU_EUlST_E_NS1_11comp_targetILNS1_3genE10ELNS1_11target_archE1200ELNS1_3gpuE4ELNS1_3repE0EEENS1_30default_config_static_selectorELNS0_4arch9wavefront6targetE0EEEvT1_.private_seg_size, 0
	.set _ZN7rocprim17ROCPRIM_400000_NS6detail17trampoline_kernelINS0_14default_configENS1_27scan_by_key_config_selectorIxxEEZZNS1_16scan_by_key_implILNS1_25lookback_scan_determinismE0ELb0ES3_N6thrust23THRUST_200600_302600_NS6detail15normal_iteratorINS9_10device_ptrIxEEEESE_SE_xNS9_4plusIxEE19head_flag_predicatexEE10hipError_tPvRmT2_T3_T4_T5_mT6_T7_P12ihipStream_tbENKUlT_T0_E_clISt17integral_constantIbLb0EESY_EEDaST_SU_EUlST_E_NS1_11comp_targetILNS1_3genE10ELNS1_11target_archE1200ELNS1_3gpuE4ELNS1_3repE0EEENS1_30default_config_static_selectorELNS0_4arch9wavefront6targetE0EEEvT1_.uses_vcc, 0
	.set _ZN7rocprim17ROCPRIM_400000_NS6detail17trampoline_kernelINS0_14default_configENS1_27scan_by_key_config_selectorIxxEEZZNS1_16scan_by_key_implILNS1_25lookback_scan_determinismE0ELb0ES3_N6thrust23THRUST_200600_302600_NS6detail15normal_iteratorINS9_10device_ptrIxEEEESE_SE_xNS9_4plusIxEE19head_flag_predicatexEE10hipError_tPvRmT2_T3_T4_T5_mT6_T7_P12ihipStream_tbENKUlT_T0_E_clISt17integral_constantIbLb0EESY_EEDaST_SU_EUlST_E_NS1_11comp_targetILNS1_3genE10ELNS1_11target_archE1200ELNS1_3gpuE4ELNS1_3repE0EEENS1_30default_config_static_selectorELNS0_4arch9wavefront6targetE0EEEvT1_.uses_flat_scratch, 0
	.set _ZN7rocprim17ROCPRIM_400000_NS6detail17trampoline_kernelINS0_14default_configENS1_27scan_by_key_config_selectorIxxEEZZNS1_16scan_by_key_implILNS1_25lookback_scan_determinismE0ELb0ES3_N6thrust23THRUST_200600_302600_NS6detail15normal_iteratorINS9_10device_ptrIxEEEESE_SE_xNS9_4plusIxEE19head_flag_predicatexEE10hipError_tPvRmT2_T3_T4_T5_mT6_T7_P12ihipStream_tbENKUlT_T0_E_clISt17integral_constantIbLb0EESY_EEDaST_SU_EUlST_E_NS1_11comp_targetILNS1_3genE10ELNS1_11target_archE1200ELNS1_3gpuE4ELNS1_3repE0EEENS1_30default_config_static_selectorELNS0_4arch9wavefront6targetE0EEEvT1_.has_dyn_sized_stack, 0
	.set _ZN7rocprim17ROCPRIM_400000_NS6detail17trampoline_kernelINS0_14default_configENS1_27scan_by_key_config_selectorIxxEEZZNS1_16scan_by_key_implILNS1_25lookback_scan_determinismE0ELb0ES3_N6thrust23THRUST_200600_302600_NS6detail15normal_iteratorINS9_10device_ptrIxEEEESE_SE_xNS9_4plusIxEE19head_flag_predicatexEE10hipError_tPvRmT2_T3_T4_T5_mT6_T7_P12ihipStream_tbENKUlT_T0_E_clISt17integral_constantIbLb0EESY_EEDaST_SU_EUlST_E_NS1_11comp_targetILNS1_3genE10ELNS1_11target_archE1200ELNS1_3gpuE4ELNS1_3repE0EEENS1_30default_config_static_selectorELNS0_4arch9wavefront6targetE0EEEvT1_.has_recursion, 0
	.set _ZN7rocprim17ROCPRIM_400000_NS6detail17trampoline_kernelINS0_14default_configENS1_27scan_by_key_config_selectorIxxEEZZNS1_16scan_by_key_implILNS1_25lookback_scan_determinismE0ELb0ES3_N6thrust23THRUST_200600_302600_NS6detail15normal_iteratorINS9_10device_ptrIxEEEESE_SE_xNS9_4plusIxEE19head_flag_predicatexEE10hipError_tPvRmT2_T3_T4_T5_mT6_T7_P12ihipStream_tbENKUlT_T0_E_clISt17integral_constantIbLb0EESY_EEDaST_SU_EUlST_E_NS1_11comp_targetILNS1_3genE10ELNS1_11target_archE1200ELNS1_3gpuE4ELNS1_3repE0EEENS1_30default_config_static_selectorELNS0_4arch9wavefront6targetE0EEEvT1_.has_indirect_call, 0
	.section	.AMDGPU.csdata,"",@progbits
; Kernel info:
; codeLenInByte = 0
; TotalNumSgprs: 0
; NumVgprs: 0
; ScratchSize: 0
; MemoryBound: 0
; FloatMode: 240
; IeeeMode: 1
; LDSByteSize: 0 bytes/workgroup (compile time only)
; SGPRBlocks: 0
; VGPRBlocks: 0
; NumSGPRsForWavesPerEU: 1
; NumVGPRsForWavesPerEU: 1
; NamedBarCnt: 0
; Occupancy: 16
; WaveLimiterHint : 0
; COMPUTE_PGM_RSRC2:SCRATCH_EN: 0
; COMPUTE_PGM_RSRC2:USER_SGPR: 2
; COMPUTE_PGM_RSRC2:TRAP_HANDLER: 0
; COMPUTE_PGM_RSRC2:TGID_X_EN: 1
; COMPUTE_PGM_RSRC2:TGID_Y_EN: 0
; COMPUTE_PGM_RSRC2:TGID_Z_EN: 0
; COMPUTE_PGM_RSRC2:TIDIG_COMP_CNT: 0
	.section	.text._ZN7rocprim17ROCPRIM_400000_NS6detail17trampoline_kernelINS0_14default_configENS1_27scan_by_key_config_selectorIxxEEZZNS1_16scan_by_key_implILNS1_25lookback_scan_determinismE0ELb0ES3_N6thrust23THRUST_200600_302600_NS6detail15normal_iteratorINS9_10device_ptrIxEEEESE_SE_xNS9_4plusIxEE19head_flag_predicatexEE10hipError_tPvRmT2_T3_T4_T5_mT6_T7_P12ihipStream_tbENKUlT_T0_E_clISt17integral_constantIbLb0EESY_EEDaST_SU_EUlST_E_NS1_11comp_targetILNS1_3genE9ELNS1_11target_archE1100ELNS1_3gpuE3ELNS1_3repE0EEENS1_30default_config_static_selectorELNS0_4arch9wavefront6targetE0EEEvT1_,"axG",@progbits,_ZN7rocprim17ROCPRIM_400000_NS6detail17trampoline_kernelINS0_14default_configENS1_27scan_by_key_config_selectorIxxEEZZNS1_16scan_by_key_implILNS1_25lookback_scan_determinismE0ELb0ES3_N6thrust23THRUST_200600_302600_NS6detail15normal_iteratorINS9_10device_ptrIxEEEESE_SE_xNS9_4plusIxEE19head_flag_predicatexEE10hipError_tPvRmT2_T3_T4_T5_mT6_T7_P12ihipStream_tbENKUlT_T0_E_clISt17integral_constantIbLb0EESY_EEDaST_SU_EUlST_E_NS1_11comp_targetILNS1_3genE9ELNS1_11target_archE1100ELNS1_3gpuE3ELNS1_3repE0EEENS1_30default_config_static_selectorELNS0_4arch9wavefront6targetE0EEEvT1_,comdat
	.protected	_ZN7rocprim17ROCPRIM_400000_NS6detail17trampoline_kernelINS0_14default_configENS1_27scan_by_key_config_selectorIxxEEZZNS1_16scan_by_key_implILNS1_25lookback_scan_determinismE0ELb0ES3_N6thrust23THRUST_200600_302600_NS6detail15normal_iteratorINS9_10device_ptrIxEEEESE_SE_xNS9_4plusIxEE19head_flag_predicatexEE10hipError_tPvRmT2_T3_T4_T5_mT6_T7_P12ihipStream_tbENKUlT_T0_E_clISt17integral_constantIbLb0EESY_EEDaST_SU_EUlST_E_NS1_11comp_targetILNS1_3genE9ELNS1_11target_archE1100ELNS1_3gpuE3ELNS1_3repE0EEENS1_30default_config_static_selectorELNS0_4arch9wavefront6targetE0EEEvT1_ ; -- Begin function _ZN7rocprim17ROCPRIM_400000_NS6detail17trampoline_kernelINS0_14default_configENS1_27scan_by_key_config_selectorIxxEEZZNS1_16scan_by_key_implILNS1_25lookback_scan_determinismE0ELb0ES3_N6thrust23THRUST_200600_302600_NS6detail15normal_iteratorINS9_10device_ptrIxEEEESE_SE_xNS9_4plusIxEE19head_flag_predicatexEE10hipError_tPvRmT2_T3_T4_T5_mT6_T7_P12ihipStream_tbENKUlT_T0_E_clISt17integral_constantIbLb0EESY_EEDaST_SU_EUlST_E_NS1_11comp_targetILNS1_3genE9ELNS1_11target_archE1100ELNS1_3gpuE3ELNS1_3repE0EEENS1_30default_config_static_selectorELNS0_4arch9wavefront6targetE0EEEvT1_
	.globl	_ZN7rocprim17ROCPRIM_400000_NS6detail17trampoline_kernelINS0_14default_configENS1_27scan_by_key_config_selectorIxxEEZZNS1_16scan_by_key_implILNS1_25lookback_scan_determinismE0ELb0ES3_N6thrust23THRUST_200600_302600_NS6detail15normal_iteratorINS9_10device_ptrIxEEEESE_SE_xNS9_4plusIxEE19head_flag_predicatexEE10hipError_tPvRmT2_T3_T4_T5_mT6_T7_P12ihipStream_tbENKUlT_T0_E_clISt17integral_constantIbLb0EESY_EEDaST_SU_EUlST_E_NS1_11comp_targetILNS1_3genE9ELNS1_11target_archE1100ELNS1_3gpuE3ELNS1_3repE0EEENS1_30default_config_static_selectorELNS0_4arch9wavefront6targetE0EEEvT1_
	.p2align	8
	.type	_ZN7rocprim17ROCPRIM_400000_NS6detail17trampoline_kernelINS0_14default_configENS1_27scan_by_key_config_selectorIxxEEZZNS1_16scan_by_key_implILNS1_25lookback_scan_determinismE0ELb0ES3_N6thrust23THRUST_200600_302600_NS6detail15normal_iteratorINS9_10device_ptrIxEEEESE_SE_xNS9_4plusIxEE19head_flag_predicatexEE10hipError_tPvRmT2_T3_T4_T5_mT6_T7_P12ihipStream_tbENKUlT_T0_E_clISt17integral_constantIbLb0EESY_EEDaST_SU_EUlST_E_NS1_11comp_targetILNS1_3genE9ELNS1_11target_archE1100ELNS1_3gpuE3ELNS1_3repE0EEENS1_30default_config_static_selectorELNS0_4arch9wavefront6targetE0EEEvT1_,@function
_ZN7rocprim17ROCPRIM_400000_NS6detail17trampoline_kernelINS0_14default_configENS1_27scan_by_key_config_selectorIxxEEZZNS1_16scan_by_key_implILNS1_25lookback_scan_determinismE0ELb0ES3_N6thrust23THRUST_200600_302600_NS6detail15normal_iteratorINS9_10device_ptrIxEEEESE_SE_xNS9_4plusIxEE19head_flag_predicatexEE10hipError_tPvRmT2_T3_T4_T5_mT6_T7_P12ihipStream_tbENKUlT_T0_E_clISt17integral_constantIbLb0EESY_EEDaST_SU_EUlST_E_NS1_11comp_targetILNS1_3genE9ELNS1_11target_archE1100ELNS1_3gpuE3ELNS1_3repE0EEENS1_30default_config_static_selectorELNS0_4arch9wavefront6targetE0EEEvT1_: ; @_ZN7rocprim17ROCPRIM_400000_NS6detail17trampoline_kernelINS0_14default_configENS1_27scan_by_key_config_selectorIxxEEZZNS1_16scan_by_key_implILNS1_25lookback_scan_determinismE0ELb0ES3_N6thrust23THRUST_200600_302600_NS6detail15normal_iteratorINS9_10device_ptrIxEEEESE_SE_xNS9_4plusIxEE19head_flag_predicatexEE10hipError_tPvRmT2_T3_T4_T5_mT6_T7_P12ihipStream_tbENKUlT_T0_E_clISt17integral_constantIbLb0EESY_EEDaST_SU_EUlST_E_NS1_11comp_targetILNS1_3genE9ELNS1_11target_archE1100ELNS1_3gpuE3ELNS1_3repE0EEENS1_30default_config_static_selectorELNS0_4arch9wavefront6targetE0EEEvT1_
; %bb.0:
	.section	.rodata,"a",@progbits
	.p2align	6, 0x0
	.amdhsa_kernel _ZN7rocprim17ROCPRIM_400000_NS6detail17trampoline_kernelINS0_14default_configENS1_27scan_by_key_config_selectorIxxEEZZNS1_16scan_by_key_implILNS1_25lookback_scan_determinismE0ELb0ES3_N6thrust23THRUST_200600_302600_NS6detail15normal_iteratorINS9_10device_ptrIxEEEESE_SE_xNS9_4plusIxEE19head_flag_predicatexEE10hipError_tPvRmT2_T3_T4_T5_mT6_T7_P12ihipStream_tbENKUlT_T0_E_clISt17integral_constantIbLb0EESY_EEDaST_SU_EUlST_E_NS1_11comp_targetILNS1_3genE9ELNS1_11target_archE1100ELNS1_3gpuE3ELNS1_3repE0EEENS1_30default_config_static_selectorELNS0_4arch9wavefront6targetE0EEEvT1_
		.amdhsa_group_segment_fixed_size 0
		.amdhsa_private_segment_fixed_size 0
		.amdhsa_kernarg_size 136
		.amdhsa_user_sgpr_count 2
		.amdhsa_user_sgpr_dispatch_ptr 0
		.amdhsa_user_sgpr_queue_ptr 0
		.amdhsa_user_sgpr_kernarg_segment_ptr 1
		.amdhsa_user_sgpr_dispatch_id 0
		.amdhsa_user_sgpr_kernarg_preload_length 0
		.amdhsa_user_sgpr_kernarg_preload_offset 0
		.amdhsa_user_sgpr_private_segment_size 0
		.amdhsa_wavefront_size32 1
		.amdhsa_uses_dynamic_stack 0
		.amdhsa_enable_private_segment 0
		.amdhsa_system_sgpr_workgroup_id_x 1
		.amdhsa_system_sgpr_workgroup_id_y 0
		.amdhsa_system_sgpr_workgroup_id_z 0
		.amdhsa_system_sgpr_workgroup_info 0
		.amdhsa_system_vgpr_workitem_id 0
		.amdhsa_next_free_vgpr 1
		.amdhsa_next_free_sgpr 1
		.amdhsa_named_barrier_count 0
		.amdhsa_reserve_vcc 0
		.amdhsa_float_round_mode_32 0
		.amdhsa_float_round_mode_16_64 0
		.amdhsa_float_denorm_mode_32 3
		.amdhsa_float_denorm_mode_16_64 3
		.amdhsa_fp16_overflow 0
		.amdhsa_memory_ordered 1
		.amdhsa_forward_progress 1
		.amdhsa_inst_pref_size 0
		.amdhsa_round_robin_scheduling 0
		.amdhsa_exception_fp_ieee_invalid_op 0
		.amdhsa_exception_fp_denorm_src 0
		.amdhsa_exception_fp_ieee_div_zero 0
		.amdhsa_exception_fp_ieee_overflow 0
		.amdhsa_exception_fp_ieee_underflow 0
		.amdhsa_exception_fp_ieee_inexact 0
		.amdhsa_exception_int_div_zero 0
	.end_amdhsa_kernel
	.section	.text._ZN7rocprim17ROCPRIM_400000_NS6detail17trampoline_kernelINS0_14default_configENS1_27scan_by_key_config_selectorIxxEEZZNS1_16scan_by_key_implILNS1_25lookback_scan_determinismE0ELb0ES3_N6thrust23THRUST_200600_302600_NS6detail15normal_iteratorINS9_10device_ptrIxEEEESE_SE_xNS9_4plusIxEE19head_flag_predicatexEE10hipError_tPvRmT2_T3_T4_T5_mT6_T7_P12ihipStream_tbENKUlT_T0_E_clISt17integral_constantIbLb0EESY_EEDaST_SU_EUlST_E_NS1_11comp_targetILNS1_3genE9ELNS1_11target_archE1100ELNS1_3gpuE3ELNS1_3repE0EEENS1_30default_config_static_selectorELNS0_4arch9wavefront6targetE0EEEvT1_,"axG",@progbits,_ZN7rocprim17ROCPRIM_400000_NS6detail17trampoline_kernelINS0_14default_configENS1_27scan_by_key_config_selectorIxxEEZZNS1_16scan_by_key_implILNS1_25lookback_scan_determinismE0ELb0ES3_N6thrust23THRUST_200600_302600_NS6detail15normal_iteratorINS9_10device_ptrIxEEEESE_SE_xNS9_4plusIxEE19head_flag_predicatexEE10hipError_tPvRmT2_T3_T4_T5_mT6_T7_P12ihipStream_tbENKUlT_T0_E_clISt17integral_constantIbLb0EESY_EEDaST_SU_EUlST_E_NS1_11comp_targetILNS1_3genE9ELNS1_11target_archE1100ELNS1_3gpuE3ELNS1_3repE0EEENS1_30default_config_static_selectorELNS0_4arch9wavefront6targetE0EEEvT1_,comdat
.Lfunc_end684:
	.size	_ZN7rocprim17ROCPRIM_400000_NS6detail17trampoline_kernelINS0_14default_configENS1_27scan_by_key_config_selectorIxxEEZZNS1_16scan_by_key_implILNS1_25lookback_scan_determinismE0ELb0ES3_N6thrust23THRUST_200600_302600_NS6detail15normal_iteratorINS9_10device_ptrIxEEEESE_SE_xNS9_4plusIxEE19head_flag_predicatexEE10hipError_tPvRmT2_T3_T4_T5_mT6_T7_P12ihipStream_tbENKUlT_T0_E_clISt17integral_constantIbLb0EESY_EEDaST_SU_EUlST_E_NS1_11comp_targetILNS1_3genE9ELNS1_11target_archE1100ELNS1_3gpuE3ELNS1_3repE0EEENS1_30default_config_static_selectorELNS0_4arch9wavefront6targetE0EEEvT1_, .Lfunc_end684-_ZN7rocprim17ROCPRIM_400000_NS6detail17trampoline_kernelINS0_14default_configENS1_27scan_by_key_config_selectorIxxEEZZNS1_16scan_by_key_implILNS1_25lookback_scan_determinismE0ELb0ES3_N6thrust23THRUST_200600_302600_NS6detail15normal_iteratorINS9_10device_ptrIxEEEESE_SE_xNS9_4plusIxEE19head_flag_predicatexEE10hipError_tPvRmT2_T3_T4_T5_mT6_T7_P12ihipStream_tbENKUlT_T0_E_clISt17integral_constantIbLb0EESY_EEDaST_SU_EUlST_E_NS1_11comp_targetILNS1_3genE9ELNS1_11target_archE1100ELNS1_3gpuE3ELNS1_3repE0EEENS1_30default_config_static_selectorELNS0_4arch9wavefront6targetE0EEEvT1_
                                        ; -- End function
	.set _ZN7rocprim17ROCPRIM_400000_NS6detail17trampoline_kernelINS0_14default_configENS1_27scan_by_key_config_selectorIxxEEZZNS1_16scan_by_key_implILNS1_25lookback_scan_determinismE0ELb0ES3_N6thrust23THRUST_200600_302600_NS6detail15normal_iteratorINS9_10device_ptrIxEEEESE_SE_xNS9_4plusIxEE19head_flag_predicatexEE10hipError_tPvRmT2_T3_T4_T5_mT6_T7_P12ihipStream_tbENKUlT_T0_E_clISt17integral_constantIbLb0EESY_EEDaST_SU_EUlST_E_NS1_11comp_targetILNS1_3genE9ELNS1_11target_archE1100ELNS1_3gpuE3ELNS1_3repE0EEENS1_30default_config_static_selectorELNS0_4arch9wavefront6targetE0EEEvT1_.num_vgpr, 0
	.set _ZN7rocprim17ROCPRIM_400000_NS6detail17trampoline_kernelINS0_14default_configENS1_27scan_by_key_config_selectorIxxEEZZNS1_16scan_by_key_implILNS1_25lookback_scan_determinismE0ELb0ES3_N6thrust23THRUST_200600_302600_NS6detail15normal_iteratorINS9_10device_ptrIxEEEESE_SE_xNS9_4plusIxEE19head_flag_predicatexEE10hipError_tPvRmT2_T3_T4_T5_mT6_T7_P12ihipStream_tbENKUlT_T0_E_clISt17integral_constantIbLb0EESY_EEDaST_SU_EUlST_E_NS1_11comp_targetILNS1_3genE9ELNS1_11target_archE1100ELNS1_3gpuE3ELNS1_3repE0EEENS1_30default_config_static_selectorELNS0_4arch9wavefront6targetE0EEEvT1_.num_agpr, 0
	.set _ZN7rocprim17ROCPRIM_400000_NS6detail17trampoline_kernelINS0_14default_configENS1_27scan_by_key_config_selectorIxxEEZZNS1_16scan_by_key_implILNS1_25lookback_scan_determinismE0ELb0ES3_N6thrust23THRUST_200600_302600_NS6detail15normal_iteratorINS9_10device_ptrIxEEEESE_SE_xNS9_4plusIxEE19head_flag_predicatexEE10hipError_tPvRmT2_T3_T4_T5_mT6_T7_P12ihipStream_tbENKUlT_T0_E_clISt17integral_constantIbLb0EESY_EEDaST_SU_EUlST_E_NS1_11comp_targetILNS1_3genE9ELNS1_11target_archE1100ELNS1_3gpuE3ELNS1_3repE0EEENS1_30default_config_static_selectorELNS0_4arch9wavefront6targetE0EEEvT1_.numbered_sgpr, 0
	.set _ZN7rocprim17ROCPRIM_400000_NS6detail17trampoline_kernelINS0_14default_configENS1_27scan_by_key_config_selectorIxxEEZZNS1_16scan_by_key_implILNS1_25lookback_scan_determinismE0ELb0ES3_N6thrust23THRUST_200600_302600_NS6detail15normal_iteratorINS9_10device_ptrIxEEEESE_SE_xNS9_4plusIxEE19head_flag_predicatexEE10hipError_tPvRmT2_T3_T4_T5_mT6_T7_P12ihipStream_tbENKUlT_T0_E_clISt17integral_constantIbLb0EESY_EEDaST_SU_EUlST_E_NS1_11comp_targetILNS1_3genE9ELNS1_11target_archE1100ELNS1_3gpuE3ELNS1_3repE0EEENS1_30default_config_static_selectorELNS0_4arch9wavefront6targetE0EEEvT1_.num_named_barrier, 0
	.set _ZN7rocprim17ROCPRIM_400000_NS6detail17trampoline_kernelINS0_14default_configENS1_27scan_by_key_config_selectorIxxEEZZNS1_16scan_by_key_implILNS1_25lookback_scan_determinismE0ELb0ES3_N6thrust23THRUST_200600_302600_NS6detail15normal_iteratorINS9_10device_ptrIxEEEESE_SE_xNS9_4plusIxEE19head_flag_predicatexEE10hipError_tPvRmT2_T3_T4_T5_mT6_T7_P12ihipStream_tbENKUlT_T0_E_clISt17integral_constantIbLb0EESY_EEDaST_SU_EUlST_E_NS1_11comp_targetILNS1_3genE9ELNS1_11target_archE1100ELNS1_3gpuE3ELNS1_3repE0EEENS1_30default_config_static_selectorELNS0_4arch9wavefront6targetE0EEEvT1_.private_seg_size, 0
	.set _ZN7rocprim17ROCPRIM_400000_NS6detail17trampoline_kernelINS0_14default_configENS1_27scan_by_key_config_selectorIxxEEZZNS1_16scan_by_key_implILNS1_25lookback_scan_determinismE0ELb0ES3_N6thrust23THRUST_200600_302600_NS6detail15normal_iteratorINS9_10device_ptrIxEEEESE_SE_xNS9_4plusIxEE19head_flag_predicatexEE10hipError_tPvRmT2_T3_T4_T5_mT6_T7_P12ihipStream_tbENKUlT_T0_E_clISt17integral_constantIbLb0EESY_EEDaST_SU_EUlST_E_NS1_11comp_targetILNS1_3genE9ELNS1_11target_archE1100ELNS1_3gpuE3ELNS1_3repE0EEENS1_30default_config_static_selectorELNS0_4arch9wavefront6targetE0EEEvT1_.uses_vcc, 0
	.set _ZN7rocprim17ROCPRIM_400000_NS6detail17trampoline_kernelINS0_14default_configENS1_27scan_by_key_config_selectorIxxEEZZNS1_16scan_by_key_implILNS1_25lookback_scan_determinismE0ELb0ES3_N6thrust23THRUST_200600_302600_NS6detail15normal_iteratorINS9_10device_ptrIxEEEESE_SE_xNS9_4plusIxEE19head_flag_predicatexEE10hipError_tPvRmT2_T3_T4_T5_mT6_T7_P12ihipStream_tbENKUlT_T0_E_clISt17integral_constantIbLb0EESY_EEDaST_SU_EUlST_E_NS1_11comp_targetILNS1_3genE9ELNS1_11target_archE1100ELNS1_3gpuE3ELNS1_3repE0EEENS1_30default_config_static_selectorELNS0_4arch9wavefront6targetE0EEEvT1_.uses_flat_scratch, 0
	.set _ZN7rocprim17ROCPRIM_400000_NS6detail17trampoline_kernelINS0_14default_configENS1_27scan_by_key_config_selectorIxxEEZZNS1_16scan_by_key_implILNS1_25lookback_scan_determinismE0ELb0ES3_N6thrust23THRUST_200600_302600_NS6detail15normal_iteratorINS9_10device_ptrIxEEEESE_SE_xNS9_4plusIxEE19head_flag_predicatexEE10hipError_tPvRmT2_T3_T4_T5_mT6_T7_P12ihipStream_tbENKUlT_T0_E_clISt17integral_constantIbLb0EESY_EEDaST_SU_EUlST_E_NS1_11comp_targetILNS1_3genE9ELNS1_11target_archE1100ELNS1_3gpuE3ELNS1_3repE0EEENS1_30default_config_static_selectorELNS0_4arch9wavefront6targetE0EEEvT1_.has_dyn_sized_stack, 0
	.set _ZN7rocprim17ROCPRIM_400000_NS6detail17trampoline_kernelINS0_14default_configENS1_27scan_by_key_config_selectorIxxEEZZNS1_16scan_by_key_implILNS1_25lookback_scan_determinismE0ELb0ES3_N6thrust23THRUST_200600_302600_NS6detail15normal_iteratorINS9_10device_ptrIxEEEESE_SE_xNS9_4plusIxEE19head_flag_predicatexEE10hipError_tPvRmT2_T3_T4_T5_mT6_T7_P12ihipStream_tbENKUlT_T0_E_clISt17integral_constantIbLb0EESY_EEDaST_SU_EUlST_E_NS1_11comp_targetILNS1_3genE9ELNS1_11target_archE1100ELNS1_3gpuE3ELNS1_3repE0EEENS1_30default_config_static_selectorELNS0_4arch9wavefront6targetE0EEEvT1_.has_recursion, 0
	.set _ZN7rocprim17ROCPRIM_400000_NS6detail17trampoline_kernelINS0_14default_configENS1_27scan_by_key_config_selectorIxxEEZZNS1_16scan_by_key_implILNS1_25lookback_scan_determinismE0ELb0ES3_N6thrust23THRUST_200600_302600_NS6detail15normal_iteratorINS9_10device_ptrIxEEEESE_SE_xNS9_4plusIxEE19head_flag_predicatexEE10hipError_tPvRmT2_T3_T4_T5_mT6_T7_P12ihipStream_tbENKUlT_T0_E_clISt17integral_constantIbLb0EESY_EEDaST_SU_EUlST_E_NS1_11comp_targetILNS1_3genE9ELNS1_11target_archE1100ELNS1_3gpuE3ELNS1_3repE0EEENS1_30default_config_static_selectorELNS0_4arch9wavefront6targetE0EEEvT1_.has_indirect_call, 0
	.section	.AMDGPU.csdata,"",@progbits
; Kernel info:
; codeLenInByte = 0
; TotalNumSgprs: 0
; NumVgprs: 0
; ScratchSize: 0
; MemoryBound: 0
; FloatMode: 240
; IeeeMode: 1
; LDSByteSize: 0 bytes/workgroup (compile time only)
; SGPRBlocks: 0
; VGPRBlocks: 0
; NumSGPRsForWavesPerEU: 1
; NumVGPRsForWavesPerEU: 1
; NamedBarCnt: 0
; Occupancy: 16
; WaveLimiterHint : 0
; COMPUTE_PGM_RSRC2:SCRATCH_EN: 0
; COMPUTE_PGM_RSRC2:USER_SGPR: 2
; COMPUTE_PGM_RSRC2:TRAP_HANDLER: 0
; COMPUTE_PGM_RSRC2:TGID_X_EN: 1
; COMPUTE_PGM_RSRC2:TGID_Y_EN: 0
; COMPUTE_PGM_RSRC2:TGID_Z_EN: 0
; COMPUTE_PGM_RSRC2:TIDIG_COMP_CNT: 0
	.section	.text._ZN7rocprim17ROCPRIM_400000_NS6detail17trampoline_kernelINS0_14default_configENS1_27scan_by_key_config_selectorIxxEEZZNS1_16scan_by_key_implILNS1_25lookback_scan_determinismE0ELb0ES3_N6thrust23THRUST_200600_302600_NS6detail15normal_iteratorINS9_10device_ptrIxEEEESE_SE_xNS9_4plusIxEE19head_flag_predicatexEE10hipError_tPvRmT2_T3_T4_T5_mT6_T7_P12ihipStream_tbENKUlT_T0_E_clISt17integral_constantIbLb0EESY_EEDaST_SU_EUlST_E_NS1_11comp_targetILNS1_3genE8ELNS1_11target_archE1030ELNS1_3gpuE2ELNS1_3repE0EEENS1_30default_config_static_selectorELNS0_4arch9wavefront6targetE0EEEvT1_,"axG",@progbits,_ZN7rocprim17ROCPRIM_400000_NS6detail17trampoline_kernelINS0_14default_configENS1_27scan_by_key_config_selectorIxxEEZZNS1_16scan_by_key_implILNS1_25lookback_scan_determinismE0ELb0ES3_N6thrust23THRUST_200600_302600_NS6detail15normal_iteratorINS9_10device_ptrIxEEEESE_SE_xNS9_4plusIxEE19head_flag_predicatexEE10hipError_tPvRmT2_T3_T4_T5_mT6_T7_P12ihipStream_tbENKUlT_T0_E_clISt17integral_constantIbLb0EESY_EEDaST_SU_EUlST_E_NS1_11comp_targetILNS1_3genE8ELNS1_11target_archE1030ELNS1_3gpuE2ELNS1_3repE0EEENS1_30default_config_static_selectorELNS0_4arch9wavefront6targetE0EEEvT1_,comdat
	.protected	_ZN7rocprim17ROCPRIM_400000_NS6detail17trampoline_kernelINS0_14default_configENS1_27scan_by_key_config_selectorIxxEEZZNS1_16scan_by_key_implILNS1_25lookback_scan_determinismE0ELb0ES3_N6thrust23THRUST_200600_302600_NS6detail15normal_iteratorINS9_10device_ptrIxEEEESE_SE_xNS9_4plusIxEE19head_flag_predicatexEE10hipError_tPvRmT2_T3_T4_T5_mT6_T7_P12ihipStream_tbENKUlT_T0_E_clISt17integral_constantIbLb0EESY_EEDaST_SU_EUlST_E_NS1_11comp_targetILNS1_3genE8ELNS1_11target_archE1030ELNS1_3gpuE2ELNS1_3repE0EEENS1_30default_config_static_selectorELNS0_4arch9wavefront6targetE0EEEvT1_ ; -- Begin function _ZN7rocprim17ROCPRIM_400000_NS6detail17trampoline_kernelINS0_14default_configENS1_27scan_by_key_config_selectorIxxEEZZNS1_16scan_by_key_implILNS1_25lookback_scan_determinismE0ELb0ES3_N6thrust23THRUST_200600_302600_NS6detail15normal_iteratorINS9_10device_ptrIxEEEESE_SE_xNS9_4plusIxEE19head_flag_predicatexEE10hipError_tPvRmT2_T3_T4_T5_mT6_T7_P12ihipStream_tbENKUlT_T0_E_clISt17integral_constantIbLb0EESY_EEDaST_SU_EUlST_E_NS1_11comp_targetILNS1_3genE8ELNS1_11target_archE1030ELNS1_3gpuE2ELNS1_3repE0EEENS1_30default_config_static_selectorELNS0_4arch9wavefront6targetE0EEEvT1_
	.globl	_ZN7rocprim17ROCPRIM_400000_NS6detail17trampoline_kernelINS0_14default_configENS1_27scan_by_key_config_selectorIxxEEZZNS1_16scan_by_key_implILNS1_25lookback_scan_determinismE0ELb0ES3_N6thrust23THRUST_200600_302600_NS6detail15normal_iteratorINS9_10device_ptrIxEEEESE_SE_xNS9_4plusIxEE19head_flag_predicatexEE10hipError_tPvRmT2_T3_T4_T5_mT6_T7_P12ihipStream_tbENKUlT_T0_E_clISt17integral_constantIbLb0EESY_EEDaST_SU_EUlST_E_NS1_11comp_targetILNS1_3genE8ELNS1_11target_archE1030ELNS1_3gpuE2ELNS1_3repE0EEENS1_30default_config_static_selectorELNS0_4arch9wavefront6targetE0EEEvT1_
	.p2align	8
	.type	_ZN7rocprim17ROCPRIM_400000_NS6detail17trampoline_kernelINS0_14default_configENS1_27scan_by_key_config_selectorIxxEEZZNS1_16scan_by_key_implILNS1_25lookback_scan_determinismE0ELb0ES3_N6thrust23THRUST_200600_302600_NS6detail15normal_iteratorINS9_10device_ptrIxEEEESE_SE_xNS9_4plusIxEE19head_flag_predicatexEE10hipError_tPvRmT2_T3_T4_T5_mT6_T7_P12ihipStream_tbENKUlT_T0_E_clISt17integral_constantIbLb0EESY_EEDaST_SU_EUlST_E_NS1_11comp_targetILNS1_3genE8ELNS1_11target_archE1030ELNS1_3gpuE2ELNS1_3repE0EEENS1_30default_config_static_selectorELNS0_4arch9wavefront6targetE0EEEvT1_,@function
_ZN7rocprim17ROCPRIM_400000_NS6detail17trampoline_kernelINS0_14default_configENS1_27scan_by_key_config_selectorIxxEEZZNS1_16scan_by_key_implILNS1_25lookback_scan_determinismE0ELb0ES3_N6thrust23THRUST_200600_302600_NS6detail15normal_iteratorINS9_10device_ptrIxEEEESE_SE_xNS9_4plusIxEE19head_flag_predicatexEE10hipError_tPvRmT2_T3_T4_T5_mT6_T7_P12ihipStream_tbENKUlT_T0_E_clISt17integral_constantIbLb0EESY_EEDaST_SU_EUlST_E_NS1_11comp_targetILNS1_3genE8ELNS1_11target_archE1030ELNS1_3gpuE2ELNS1_3repE0EEENS1_30default_config_static_selectorELNS0_4arch9wavefront6targetE0EEEvT1_: ; @_ZN7rocprim17ROCPRIM_400000_NS6detail17trampoline_kernelINS0_14default_configENS1_27scan_by_key_config_selectorIxxEEZZNS1_16scan_by_key_implILNS1_25lookback_scan_determinismE0ELb0ES3_N6thrust23THRUST_200600_302600_NS6detail15normal_iteratorINS9_10device_ptrIxEEEESE_SE_xNS9_4plusIxEE19head_flag_predicatexEE10hipError_tPvRmT2_T3_T4_T5_mT6_T7_P12ihipStream_tbENKUlT_T0_E_clISt17integral_constantIbLb0EESY_EEDaST_SU_EUlST_E_NS1_11comp_targetILNS1_3genE8ELNS1_11target_archE1030ELNS1_3gpuE2ELNS1_3repE0EEENS1_30default_config_static_selectorELNS0_4arch9wavefront6targetE0EEEvT1_
; %bb.0:
	.section	.rodata,"a",@progbits
	.p2align	6, 0x0
	.amdhsa_kernel _ZN7rocprim17ROCPRIM_400000_NS6detail17trampoline_kernelINS0_14default_configENS1_27scan_by_key_config_selectorIxxEEZZNS1_16scan_by_key_implILNS1_25lookback_scan_determinismE0ELb0ES3_N6thrust23THRUST_200600_302600_NS6detail15normal_iteratorINS9_10device_ptrIxEEEESE_SE_xNS9_4plusIxEE19head_flag_predicatexEE10hipError_tPvRmT2_T3_T4_T5_mT6_T7_P12ihipStream_tbENKUlT_T0_E_clISt17integral_constantIbLb0EESY_EEDaST_SU_EUlST_E_NS1_11comp_targetILNS1_3genE8ELNS1_11target_archE1030ELNS1_3gpuE2ELNS1_3repE0EEENS1_30default_config_static_selectorELNS0_4arch9wavefront6targetE0EEEvT1_
		.amdhsa_group_segment_fixed_size 0
		.amdhsa_private_segment_fixed_size 0
		.amdhsa_kernarg_size 136
		.amdhsa_user_sgpr_count 2
		.amdhsa_user_sgpr_dispatch_ptr 0
		.amdhsa_user_sgpr_queue_ptr 0
		.amdhsa_user_sgpr_kernarg_segment_ptr 1
		.amdhsa_user_sgpr_dispatch_id 0
		.amdhsa_user_sgpr_kernarg_preload_length 0
		.amdhsa_user_sgpr_kernarg_preload_offset 0
		.amdhsa_user_sgpr_private_segment_size 0
		.amdhsa_wavefront_size32 1
		.amdhsa_uses_dynamic_stack 0
		.amdhsa_enable_private_segment 0
		.amdhsa_system_sgpr_workgroup_id_x 1
		.amdhsa_system_sgpr_workgroup_id_y 0
		.amdhsa_system_sgpr_workgroup_id_z 0
		.amdhsa_system_sgpr_workgroup_info 0
		.amdhsa_system_vgpr_workitem_id 0
		.amdhsa_next_free_vgpr 1
		.amdhsa_next_free_sgpr 1
		.amdhsa_named_barrier_count 0
		.amdhsa_reserve_vcc 0
		.amdhsa_float_round_mode_32 0
		.amdhsa_float_round_mode_16_64 0
		.amdhsa_float_denorm_mode_32 3
		.amdhsa_float_denorm_mode_16_64 3
		.amdhsa_fp16_overflow 0
		.amdhsa_memory_ordered 1
		.amdhsa_forward_progress 1
		.amdhsa_inst_pref_size 0
		.amdhsa_round_robin_scheduling 0
		.amdhsa_exception_fp_ieee_invalid_op 0
		.amdhsa_exception_fp_denorm_src 0
		.amdhsa_exception_fp_ieee_div_zero 0
		.amdhsa_exception_fp_ieee_overflow 0
		.amdhsa_exception_fp_ieee_underflow 0
		.amdhsa_exception_fp_ieee_inexact 0
		.amdhsa_exception_int_div_zero 0
	.end_amdhsa_kernel
	.section	.text._ZN7rocprim17ROCPRIM_400000_NS6detail17trampoline_kernelINS0_14default_configENS1_27scan_by_key_config_selectorIxxEEZZNS1_16scan_by_key_implILNS1_25lookback_scan_determinismE0ELb0ES3_N6thrust23THRUST_200600_302600_NS6detail15normal_iteratorINS9_10device_ptrIxEEEESE_SE_xNS9_4plusIxEE19head_flag_predicatexEE10hipError_tPvRmT2_T3_T4_T5_mT6_T7_P12ihipStream_tbENKUlT_T0_E_clISt17integral_constantIbLb0EESY_EEDaST_SU_EUlST_E_NS1_11comp_targetILNS1_3genE8ELNS1_11target_archE1030ELNS1_3gpuE2ELNS1_3repE0EEENS1_30default_config_static_selectorELNS0_4arch9wavefront6targetE0EEEvT1_,"axG",@progbits,_ZN7rocprim17ROCPRIM_400000_NS6detail17trampoline_kernelINS0_14default_configENS1_27scan_by_key_config_selectorIxxEEZZNS1_16scan_by_key_implILNS1_25lookback_scan_determinismE0ELb0ES3_N6thrust23THRUST_200600_302600_NS6detail15normal_iteratorINS9_10device_ptrIxEEEESE_SE_xNS9_4plusIxEE19head_flag_predicatexEE10hipError_tPvRmT2_T3_T4_T5_mT6_T7_P12ihipStream_tbENKUlT_T0_E_clISt17integral_constantIbLb0EESY_EEDaST_SU_EUlST_E_NS1_11comp_targetILNS1_3genE8ELNS1_11target_archE1030ELNS1_3gpuE2ELNS1_3repE0EEENS1_30default_config_static_selectorELNS0_4arch9wavefront6targetE0EEEvT1_,comdat
.Lfunc_end685:
	.size	_ZN7rocprim17ROCPRIM_400000_NS6detail17trampoline_kernelINS0_14default_configENS1_27scan_by_key_config_selectorIxxEEZZNS1_16scan_by_key_implILNS1_25lookback_scan_determinismE0ELb0ES3_N6thrust23THRUST_200600_302600_NS6detail15normal_iteratorINS9_10device_ptrIxEEEESE_SE_xNS9_4plusIxEE19head_flag_predicatexEE10hipError_tPvRmT2_T3_T4_T5_mT6_T7_P12ihipStream_tbENKUlT_T0_E_clISt17integral_constantIbLb0EESY_EEDaST_SU_EUlST_E_NS1_11comp_targetILNS1_3genE8ELNS1_11target_archE1030ELNS1_3gpuE2ELNS1_3repE0EEENS1_30default_config_static_selectorELNS0_4arch9wavefront6targetE0EEEvT1_, .Lfunc_end685-_ZN7rocprim17ROCPRIM_400000_NS6detail17trampoline_kernelINS0_14default_configENS1_27scan_by_key_config_selectorIxxEEZZNS1_16scan_by_key_implILNS1_25lookback_scan_determinismE0ELb0ES3_N6thrust23THRUST_200600_302600_NS6detail15normal_iteratorINS9_10device_ptrIxEEEESE_SE_xNS9_4plusIxEE19head_flag_predicatexEE10hipError_tPvRmT2_T3_T4_T5_mT6_T7_P12ihipStream_tbENKUlT_T0_E_clISt17integral_constantIbLb0EESY_EEDaST_SU_EUlST_E_NS1_11comp_targetILNS1_3genE8ELNS1_11target_archE1030ELNS1_3gpuE2ELNS1_3repE0EEENS1_30default_config_static_selectorELNS0_4arch9wavefront6targetE0EEEvT1_
                                        ; -- End function
	.set _ZN7rocprim17ROCPRIM_400000_NS6detail17trampoline_kernelINS0_14default_configENS1_27scan_by_key_config_selectorIxxEEZZNS1_16scan_by_key_implILNS1_25lookback_scan_determinismE0ELb0ES3_N6thrust23THRUST_200600_302600_NS6detail15normal_iteratorINS9_10device_ptrIxEEEESE_SE_xNS9_4plusIxEE19head_flag_predicatexEE10hipError_tPvRmT2_T3_T4_T5_mT6_T7_P12ihipStream_tbENKUlT_T0_E_clISt17integral_constantIbLb0EESY_EEDaST_SU_EUlST_E_NS1_11comp_targetILNS1_3genE8ELNS1_11target_archE1030ELNS1_3gpuE2ELNS1_3repE0EEENS1_30default_config_static_selectorELNS0_4arch9wavefront6targetE0EEEvT1_.num_vgpr, 0
	.set _ZN7rocprim17ROCPRIM_400000_NS6detail17trampoline_kernelINS0_14default_configENS1_27scan_by_key_config_selectorIxxEEZZNS1_16scan_by_key_implILNS1_25lookback_scan_determinismE0ELb0ES3_N6thrust23THRUST_200600_302600_NS6detail15normal_iteratorINS9_10device_ptrIxEEEESE_SE_xNS9_4plusIxEE19head_flag_predicatexEE10hipError_tPvRmT2_T3_T4_T5_mT6_T7_P12ihipStream_tbENKUlT_T0_E_clISt17integral_constantIbLb0EESY_EEDaST_SU_EUlST_E_NS1_11comp_targetILNS1_3genE8ELNS1_11target_archE1030ELNS1_3gpuE2ELNS1_3repE0EEENS1_30default_config_static_selectorELNS0_4arch9wavefront6targetE0EEEvT1_.num_agpr, 0
	.set _ZN7rocprim17ROCPRIM_400000_NS6detail17trampoline_kernelINS0_14default_configENS1_27scan_by_key_config_selectorIxxEEZZNS1_16scan_by_key_implILNS1_25lookback_scan_determinismE0ELb0ES3_N6thrust23THRUST_200600_302600_NS6detail15normal_iteratorINS9_10device_ptrIxEEEESE_SE_xNS9_4plusIxEE19head_flag_predicatexEE10hipError_tPvRmT2_T3_T4_T5_mT6_T7_P12ihipStream_tbENKUlT_T0_E_clISt17integral_constantIbLb0EESY_EEDaST_SU_EUlST_E_NS1_11comp_targetILNS1_3genE8ELNS1_11target_archE1030ELNS1_3gpuE2ELNS1_3repE0EEENS1_30default_config_static_selectorELNS0_4arch9wavefront6targetE0EEEvT1_.numbered_sgpr, 0
	.set _ZN7rocprim17ROCPRIM_400000_NS6detail17trampoline_kernelINS0_14default_configENS1_27scan_by_key_config_selectorIxxEEZZNS1_16scan_by_key_implILNS1_25lookback_scan_determinismE0ELb0ES3_N6thrust23THRUST_200600_302600_NS6detail15normal_iteratorINS9_10device_ptrIxEEEESE_SE_xNS9_4plusIxEE19head_flag_predicatexEE10hipError_tPvRmT2_T3_T4_T5_mT6_T7_P12ihipStream_tbENKUlT_T0_E_clISt17integral_constantIbLb0EESY_EEDaST_SU_EUlST_E_NS1_11comp_targetILNS1_3genE8ELNS1_11target_archE1030ELNS1_3gpuE2ELNS1_3repE0EEENS1_30default_config_static_selectorELNS0_4arch9wavefront6targetE0EEEvT1_.num_named_barrier, 0
	.set _ZN7rocprim17ROCPRIM_400000_NS6detail17trampoline_kernelINS0_14default_configENS1_27scan_by_key_config_selectorIxxEEZZNS1_16scan_by_key_implILNS1_25lookback_scan_determinismE0ELb0ES3_N6thrust23THRUST_200600_302600_NS6detail15normal_iteratorINS9_10device_ptrIxEEEESE_SE_xNS9_4plusIxEE19head_flag_predicatexEE10hipError_tPvRmT2_T3_T4_T5_mT6_T7_P12ihipStream_tbENKUlT_T0_E_clISt17integral_constantIbLb0EESY_EEDaST_SU_EUlST_E_NS1_11comp_targetILNS1_3genE8ELNS1_11target_archE1030ELNS1_3gpuE2ELNS1_3repE0EEENS1_30default_config_static_selectorELNS0_4arch9wavefront6targetE0EEEvT1_.private_seg_size, 0
	.set _ZN7rocprim17ROCPRIM_400000_NS6detail17trampoline_kernelINS0_14default_configENS1_27scan_by_key_config_selectorIxxEEZZNS1_16scan_by_key_implILNS1_25lookback_scan_determinismE0ELb0ES3_N6thrust23THRUST_200600_302600_NS6detail15normal_iteratorINS9_10device_ptrIxEEEESE_SE_xNS9_4plusIxEE19head_flag_predicatexEE10hipError_tPvRmT2_T3_T4_T5_mT6_T7_P12ihipStream_tbENKUlT_T0_E_clISt17integral_constantIbLb0EESY_EEDaST_SU_EUlST_E_NS1_11comp_targetILNS1_3genE8ELNS1_11target_archE1030ELNS1_3gpuE2ELNS1_3repE0EEENS1_30default_config_static_selectorELNS0_4arch9wavefront6targetE0EEEvT1_.uses_vcc, 0
	.set _ZN7rocprim17ROCPRIM_400000_NS6detail17trampoline_kernelINS0_14default_configENS1_27scan_by_key_config_selectorIxxEEZZNS1_16scan_by_key_implILNS1_25lookback_scan_determinismE0ELb0ES3_N6thrust23THRUST_200600_302600_NS6detail15normal_iteratorINS9_10device_ptrIxEEEESE_SE_xNS9_4plusIxEE19head_flag_predicatexEE10hipError_tPvRmT2_T3_T4_T5_mT6_T7_P12ihipStream_tbENKUlT_T0_E_clISt17integral_constantIbLb0EESY_EEDaST_SU_EUlST_E_NS1_11comp_targetILNS1_3genE8ELNS1_11target_archE1030ELNS1_3gpuE2ELNS1_3repE0EEENS1_30default_config_static_selectorELNS0_4arch9wavefront6targetE0EEEvT1_.uses_flat_scratch, 0
	.set _ZN7rocprim17ROCPRIM_400000_NS6detail17trampoline_kernelINS0_14default_configENS1_27scan_by_key_config_selectorIxxEEZZNS1_16scan_by_key_implILNS1_25lookback_scan_determinismE0ELb0ES3_N6thrust23THRUST_200600_302600_NS6detail15normal_iteratorINS9_10device_ptrIxEEEESE_SE_xNS9_4plusIxEE19head_flag_predicatexEE10hipError_tPvRmT2_T3_T4_T5_mT6_T7_P12ihipStream_tbENKUlT_T0_E_clISt17integral_constantIbLb0EESY_EEDaST_SU_EUlST_E_NS1_11comp_targetILNS1_3genE8ELNS1_11target_archE1030ELNS1_3gpuE2ELNS1_3repE0EEENS1_30default_config_static_selectorELNS0_4arch9wavefront6targetE0EEEvT1_.has_dyn_sized_stack, 0
	.set _ZN7rocprim17ROCPRIM_400000_NS6detail17trampoline_kernelINS0_14default_configENS1_27scan_by_key_config_selectorIxxEEZZNS1_16scan_by_key_implILNS1_25lookback_scan_determinismE0ELb0ES3_N6thrust23THRUST_200600_302600_NS6detail15normal_iteratorINS9_10device_ptrIxEEEESE_SE_xNS9_4plusIxEE19head_flag_predicatexEE10hipError_tPvRmT2_T3_T4_T5_mT6_T7_P12ihipStream_tbENKUlT_T0_E_clISt17integral_constantIbLb0EESY_EEDaST_SU_EUlST_E_NS1_11comp_targetILNS1_3genE8ELNS1_11target_archE1030ELNS1_3gpuE2ELNS1_3repE0EEENS1_30default_config_static_selectorELNS0_4arch9wavefront6targetE0EEEvT1_.has_recursion, 0
	.set _ZN7rocprim17ROCPRIM_400000_NS6detail17trampoline_kernelINS0_14default_configENS1_27scan_by_key_config_selectorIxxEEZZNS1_16scan_by_key_implILNS1_25lookback_scan_determinismE0ELb0ES3_N6thrust23THRUST_200600_302600_NS6detail15normal_iteratorINS9_10device_ptrIxEEEESE_SE_xNS9_4plusIxEE19head_flag_predicatexEE10hipError_tPvRmT2_T3_T4_T5_mT6_T7_P12ihipStream_tbENKUlT_T0_E_clISt17integral_constantIbLb0EESY_EEDaST_SU_EUlST_E_NS1_11comp_targetILNS1_3genE8ELNS1_11target_archE1030ELNS1_3gpuE2ELNS1_3repE0EEENS1_30default_config_static_selectorELNS0_4arch9wavefront6targetE0EEEvT1_.has_indirect_call, 0
	.section	.AMDGPU.csdata,"",@progbits
; Kernel info:
; codeLenInByte = 0
; TotalNumSgprs: 0
; NumVgprs: 0
; ScratchSize: 0
; MemoryBound: 0
; FloatMode: 240
; IeeeMode: 1
; LDSByteSize: 0 bytes/workgroup (compile time only)
; SGPRBlocks: 0
; VGPRBlocks: 0
; NumSGPRsForWavesPerEU: 1
; NumVGPRsForWavesPerEU: 1
; NamedBarCnt: 0
; Occupancy: 16
; WaveLimiterHint : 0
; COMPUTE_PGM_RSRC2:SCRATCH_EN: 0
; COMPUTE_PGM_RSRC2:USER_SGPR: 2
; COMPUTE_PGM_RSRC2:TRAP_HANDLER: 0
; COMPUTE_PGM_RSRC2:TGID_X_EN: 1
; COMPUTE_PGM_RSRC2:TGID_Y_EN: 0
; COMPUTE_PGM_RSRC2:TGID_Z_EN: 0
; COMPUTE_PGM_RSRC2:TIDIG_COMP_CNT: 0
	.section	.text._ZN7rocprim17ROCPRIM_400000_NS6detail17trampoline_kernelINS0_14default_configENS1_27scan_by_key_config_selectorIxxEEZZNS1_16scan_by_key_implILNS1_25lookback_scan_determinismE0ELb0ES3_N6thrust23THRUST_200600_302600_NS6detail15normal_iteratorINS9_10device_ptrIxEEEESE_SE_xNS9_4plusIxEE19head_flag_predicatexEE10hipError_tPvRmT2_T3_T4_T5_mT6_T7_P12ihipStream_tbENKUlT_T0_E_clISt17integral_constantIbLb1EESY_EEDaST_SU_EUlST_E_NS1_11comp_targetILNS1_3genE0ELNS1_11target_archE4294967295ELNS1_3gpuE0ELNS1_3repE0EEENS1_30default_config_static_selectorELNS0_4arch9wavefront6targetE0EEEvT1_,"axG",@progbits,_ZN7rocprim17ROCPRIM_400000_NS6detail17trampoline_kernelINS0_14default_configENS1_27scan_by_key_config_selectorIxxEEZZNS1_16scan_by_key_implILNS1_25lookback_scan_determinismE0ELb0ES3_N6thrust23THRUST_200600_302600_NS6detail15normal_iteratorINS9_10device_ptrIxEEEESE_SE_xNS9_4plusIxEE19head_flag_predicatexEE10hipError_tPvRmT2_T3_T4_T5_mT6_T7_P12ihipStream_tbENKUlT_T0_E_clISt17integral_constantIbLb1EESY_EEDaST_SU_EUlST_E_NS1_11comp_targetILNS1_3genE0ELNS1_11target_archE4294967295ELNS1_3gpuE0ELNS1_3repE0EEENS1_30default_config_static_selectorELNS0_4arch9wavefront6targetE0EEEvT1_,comdat
	.protected	_ZN7rocprim17ROCPRIM_400000_NS6detail17trampoline_kernelINS0_14default_configENS1_27scan_by_key_config_selectorIxxEEZZNS1_16scan_by_key_implILNS1_25lookback_scan_determinismE0ELb0ES3_N6thrust23THRUST_200600_302600_NS6detail15normal_iteratorINS9_10device_ptrIxEEEESE_SE_xNS9_4plusIxEE19head_flag_predicatexEE10hipError_tPvRmT2_T3_T4_T5_mT6_T7_P12ihipStream_tbENKUlT_T0_E_clISt17integral_constantIbLb1EESY_EEDaST_SU_EUlST_E_NS1_11comp_targetILNS1_3genE0ELNS1_11target_archE4294967295ELNS1_3gpuE0ELNS1_3repE0EEENS1_30default_config_static_selectorELNS0_4arch9wavefront6targetE0EEEvT1_ ; -- Begin function _ZN7rocprim17ROCPRIM_400000_NS6detail17trampoline_kernelINS0_14default_configENS1_27scan_by_key_config_selectorIxxEEZZNS1_16scan_by_key_implILNS1_25lookback_scan_determinismE0ELb0ES3_N6thrust23THRUST_200600_302600_NS6detail15normal_iteratorINS9_10device_ptrIxEEEESE_SE_xNS9_4plusIxEE19head_flag_predicatexEE10hipError_tPvRmT2_T3_T4_T5_mT6_T7_P12ihipStream_tbENKUlT_T0_E_clISt17integral_constantIbLb1EESY_EEDaST_SU_EUlST_E_NS1_11comp_targetILNS1_3genE0ELNS1_11target_archE4294967295ELNS1_3gpuE0ELNS1_3repE0EEENS1_30default_config_static_selectorELNS0_4arch9wavefront6targetE0EEEvT1_
	.globl	_ZN7rocprim17ROCPRIM_400000_NS6detail17trampoline_kernelINS0_14default_configENS1_27scan_by_key_config_selectorIxxEEZZNS1_16scan_by_key_implILNS1_25lookback_scan_determinismE0ELb0ES3_N6thrust23THRUST_200600_302600_NS6detail15normal_iteratorINS9_10device_ptrIxEEEESE_SE_xNS9_4plusIxEE19head_flag_predicatexEE10hipError_tPvRmT2_T3_T4_T5_mT6_T7_P12ihipStream_tbENKUlT_T0_E_clISt17integral_constantIbLb1EESY_EEDaST_SU_EUlST_E_NS1_11comp_targetILNS1_3genE0ELNS1_11target_archE4294967295ELNS1_3gpuE0ELNS1_3repE0EEENS1_30default_config_static_selectorELNS0_4arch9wavefront6targetE0EEEvT1_
	.p2align	8
	.type	_ZN7rocprim17ROCPRIM_400000_NS6detail17trampoline_kernelINS0_14default_configENS1_27scan_by_key_config_selectorIxxEEZZNS1_16scan_by_key_implILNS1_25lookback_scan_determinismE0ELb0ES3_N6thrust23THRUST_200600_302600_NS6detail15normal_iteratorINS9_10device_ptrIxEEEESE_SE_xNS9_4plusIxEE19head_flag_predicatexEE10hipError_tPvRmT2_T3_T4_T5_mT6_T7_P12ihipStream_tbENKUlT_T0_E_clISt17integral_constantIbLb1EESY_EEDaST_SU_EUlST_E_NS1_11comp_targetILNS1_3genE0ELNS1_11target_archE4294967295ELNS1_3gpuE0ELNS1_3repE0EEENS1_30default_config_static_selectorELNS0_4arch9wavefront6targetE0EEEvT1_,@function
_ZN7rocprim17ROCPRIM_400000_NS6detail17trampoline_kernelINS0_14default_configENS1_27scan_by_key_config_selectorIxxEEZZNS1_16scan_by_key_implILNS1_25lookback_scan_determinismE0ELb0ES3_N6thrust23THRUST_200600_302600_NS6detail15normal_iteratorINS9_10device_ptrIxEEEESE_SE_xNS9_4plusIxEE19head_flag_predicatexEE10hipError_tPvRmT2_T3_T4_T5_mT6_T7_P12ihipStream_tbENKUlT_T0_E_clISt17integral_constantIbLb1EESY_EEDaST_SU_EUlST_E_NS1_11comp_targetILNS1_3genE0ELNS1_11target_archE4294967295ELNS1_3gpuE0ELNS1_3repE0EEENS1_30default_config_static_selectorELNS0_4arch9wavefront6targetE0EEEvT1_: ; @_ZN7rocprim17ROCPRIM_400000_NS6detail17trampoline_kernelINS0_14default_configENS1_27scan_by_key_config_selectorIxxEEZZNS1_16scan_by_key_implILNS1_25lookback_scan_determinismE0ELb0ES3_N6thrust23THRUST_200600_302600_NS6detail15normal_iteratorINS9_10device_ptrIxEEEESE_SE_xNS9_4plusIxEE19head_flag_predicatexEE10hipError_tPvRmT2_T3_T4_T5_mT6_T7_P12ihipStream_tbENKUlT_T0_E_clISt17integral_constantIbLb1EESY_EEDaST_SU_EUlST_E_NS1_11comp_targetILNS1_3genE0ELNS1_11target_archE4294967295ELNS1_3gpuE0ELNS1_3repE0EEENS1_30default_config_static_selectorELNS0_4arch9wavefront6targetE0EEEvT1_
; %bb.0:
	s_endpgm
	.section	.rodata,"a",@progbits
	.p2align	6, 0x0
	.amdhsa_kernel _ZN7rocprim17ROCPRIM_400000_NS6detail17trampoline_kernelINS0_14default_configENS1_27scan_by_key_config_selectorIxxEEZZNS1_16scan_by_key_implILNS1_25lookback_scan_determinismE0ELb0ES3_N6thrust23THRUST_200600_302600_NS6detail15normal_iteratorINS9_10device_ptrIxEEEESE_SE_xNS9_4plusIxEE19head_flag_predicatexEE10hipError_tPvRmT2_T3_T4_T5_mT6_T7_P12ihipStream_tbENKUlT_T0_E_clISt17integral_constantIbLb1EESY_EEDaST_SU_EUlST_E_NS1_11comp_targetILNS1_3genE0ELNS1_11target_archE4294967295ELNS1_3gpuE0ELNS1_3repE0EEENS1_30default_config_static_selectorELNS0_4arch9wavefront6targetE0EEEvT1_
		.amdhsa_group_segment_fixed_size 0
		.amdhsa_private_segment_fixed_size 0
		.amdhsa_kernarg_size 136
		.amdhsa_user_sgpr_count 2
		.amdhsa_user_sgpr_dispatch_ptr 0
		.amdhsa_user_sgpr_queue_ptr 0
		.amdhsa_user_sgpr_kernarg_segment_ptr 1
		.amdhsa_user_sgpr_dispatch_id 0
		.amdhsa_user_sgpr_kernarg_preload_length 0
		.amdhsa_user_sgpr_kernarg_preload_offset 0
		.amdhsa_user_sgpr_private_segment_size 0
		.amdhsa_wavefront_size32 1
		.amdhsa_uses_dynamic_stack 0
		.amdhsa_enable_private_segment 0
		.amdhsa_system_sgpr_workgroup_id_x 1
		.amdhsa_system_sgpr_workgroup_id_y 0
		.amdhsa_system_sgpr_workgroup_id_z 0
		.amdhsa_system_sgpr_workgroup_info 0
		.amdhsa_system_vgpr_workitem_id 0
		.amdhsa_next_free_vgpr 1
		.amdhsa_next_free_sgpr 1
		.amdhsa_named_barrier_count 0
		.amdhsa_reserve_vcc 0
		.amdhsa_float_round_mode_32 0
		.amdhsa_float_round_mode_16_64 0
		.amdhsa_float_denorm_mode_32 3
		.amdhsa_float_denorm_mode_16_64 3
		.amdhsa_fp16_overflow 0
		.amdhsa_memory_ordered 1
		.amdhsa_forward_progress 1
		.amdhsa_inst_pref_size 1
		.amdhsa_round_robin_scheduling 0
		.amdhsa_exception_fp_ieee_invalid_op 0
		.amdhsa_exception_fp_denorm_src 0
		.amdhsa_exception_fp_ieee_div_zero 0
		.amdhsa_exception_fp_ieee_overflow 0
		.amdhsa_exception_fp_ieee_underflow 0
		.amdhsa_exception_fp_ieee_inexact 0
		.amdhsa_exception_int_div_zero 0
	.end_amdhsa_kernel
	.section	.text._ZN7rocprim17ROCPRIM_400000_NS6detail17trampoline_kernelINS0_14default_configENS1_27scan_by_key_config_selectorIxxEEZZNS1_16scan_by_key_implILNS1_25lookback_scan_determinismE0ELb0ES3_N6thrust23THRUST_200600_302600_NS6detail15normal_iteratorINS9_10device_ptrIxEEEESE_SE_xNS9_4plusIxEE19head_flag_predicatexEE10hipError_tPvRmT2_T3_T4_T5_mT6_T7_P12ihipStream_tbENKUlT_T0_E_clISt17integral_constantIbLb1EESY_EEDaST_SU_EUlST_E_NS1_11comp_targetILNS1_3genE0ELNS1_11target_archE4294967295ELNS1_3gpuE0ELNS1_3repE0EEENS1_30default_config_static_selectorELNS0_4arch9wavefront6targetE0EEEvT1_,"axG",@progbits,_ZN7rocprim17ROCPRIM_400000_NS6detail17trampoline_kernelINS0_14default_configENS1_27scan_by_key_config_selectorIxxEEZZNS1_16scan_by_key_implILNS1_25lookback_scan_determinismE0ELb0ES3_N6thrust23THRUST_200600_302600_NS6detail15normal_iteratorINS9_10device_ptrIxEEEESE_SE_xNS9_4plusIxEE19head_flag_predicatexEE10hipError_tPvRmT2_T3_T4_T5_mT6_T7_P12ihipStream_tbENKUlT_T0_E_clISt17integral_constantIbLb1EESY_EEDaST_SU_EUlST_E_NS1_11comp_targetILNS1_3genE0ELNS1_11target_archE4294967295ELNS1_3gpuE0ELNS1_3repE0EEENS1_30default_config_static_selectorELNS0_4arch9wavefront6targetE0EEEvT1_,comdat
.Lfunc_end686:
	.size	_ZN7rocprim17ROCPRIM_400000_NS6detail17trampoline_kernelINS0_14default_configENS1_27scan_by_key_config_selectorIxxEEZZNS1_16scan_by_key_implILNS1_25lookback_scan_determinismE0ELb0ES3_N6thrust23THRUST_200600_302600_NS6detail15normal_iteratorINS9_10device_ptrIxEEEESE_SE_xNS9_4plusIxEE19head_flag_predicatexEE10hipError_tPvRmT2_T3_T4_T5_mT6_T7_P12ihipStream_tbENKUlT_T0_E_clISt17integral_constantIbLb1EESY_EEDaST_SU_EUlST_E_NS1_11comp_targetILNS1_3genE0ELNS1_11target_archE4294967295ELNS1_3gpuE0ELNS1_3repE0EEENS1_30default_config_static_selectorELNS0_4arch9wavefront6targetE0EEEvT1_, .Lfunc_end686-_ZN7rocprim17ROCPRIM_400000_NS6detail17trampoline_kernelINS0_14default_configENS1_27scan_by_key_config_selectorIxxEEZZNS1_16scan_by_key_implILNS1_25lookback_scan_determinismE0ELb0ES3_N6thrust23THRUST_200600_302600_NS6detail15normal_iteratorINS9_10device_ptrIxEEEESE_SE_xNS9_4plusIxEE19head_flag_predicatexEE10hipError_tPvRmT2_T3_T4_T5_mT6_T7_P12ihipStream_tbENKUlT_T0_E_clISt17integral_constantIbLb1EESY_EEDaST_SU_EUlST_E_NS1_11comp_targetILNS1_3genE0ELNS1_11target_archE4294967295ELNS1_3gpuE0ELNS1_3repE0EEENS1_30default_config_static_selectorELNS0_4arch9wavefront6targetE0EEEvT1_
                                        ; -- End function
	.set _ZN7rocprim17ROCPRIM_400000_NS6detail17trampoline_kernelINS0_14default_configENS1_27scan_by_key_config_selectorIxxEEZZNS1_16scan_by_key_implILNS1_25lookback_scan_determinismE0ELb0ES3_N6thrust23THRUST_200600_302600_NS6detail15normal_iteratorINS9_10device_ptrIxEEEESE_SE_xNS9_4plusIxEE19head_flag_predicatexEE10hipError_tPvRmT2_T3_T4_T5_mT6_T7_P12ihipStream_tbENKUlT_T0_E_clISt17integral_constantIbLb1EESY_EEDaST_SU_EUlST_E_NS1_11comp_targetILNS1_3genE0ELNS1_11target_archE4294967295ELNS1_3gpuE0ELNS1_3repE0EEENS1_30default_config_static_selectorELNS0_4arch9wavefront6targetE0EEEvT1_.num_vgpr, 0
	.set _ZN7rocprim17ROCPRIM_400000_NS6detail17trampoline_kernelINS0_14default_configENS1_27scan_by_key_config_selectorIxxEEZZNS1_16scan_by_key_implILNS1_25lookback_scan_determinismE0ELb0ES3_N6thrust23THRUST_200600_302600_NS6detail15normal_iteratorINS9_10device_ptrIxEEEESE_SE_xNS9_4plusIxEE19head_flag_predicatexEE10hipError_tPvRmT2_T3_T4_T5_mT6_T7_P12ihipStream_tbENKUlT_T0_E_clISt17integral_constantIbLb1EESY_EEDaST_SU_EUlST_E_NS1_11comp_targetILNS1_3genE0ELNS1_11target_archE4294967295ELNS1_3gpuE0ELNS1_3repE0EEENS1_30default_config_static_selectorELNS0_4arch9wavefront6targetE0EEEvT1_.num_agpr, 0
	.set _ZN7rocprim17ROCPRIM_400000_NS6detail17trampoline_kernelINS0_14default_configENS1_27scan_by_key_config_selectorIxxEEZZNS1_16scan_by_key_implILNS1_25lookback_scan_determinismE0ELb0ES3_N6thrust23THRUST_200600_302600_NS6detail15normal_iteratorINS9_10device_ptrIxEEEESE_SE_xNS9_4plusIxEE19head_flag_predicatexEE10hipError_tPvRmT2_T3_T4_T5_mT6_T7_P12ihipStream_tbENKUlT_T0_E_clISt17integral_constantIbLb1EESY_EEDaST_SU_EUlST_E_NS1_11comp_targetILNS1_3genE0ELNS1_11target_archE4294967295ELNS1_3gpuE0ELNS1_3repE0EEENS1_30default_config_static_selectorELNS0_4arch9wavefront6targetE0EEEvT1_.numbered_sgpr, 0
	.set _ZN7rocprim17ROCPRIM_400000_NS6detail17trampoline_kernelINS0_14default_configENS1_27scan_by_key_config_selectorIxxEEZZNS1_16scan_by_key_implILNS1_25lookback_scan_determinismE0ELb0ES3_N6thrust23THRUST_200600_302600_NS6detail15normal_iteratorINS9_10device_ptrIxEEEESE_SE_xNS9_4plusIxEE19head_flag_predicatexEE10hipError_tPvRmT2_T3_T4_T5_mT6_T7_P12ihipStream_tbENKUlT_T0_E_clISt17integral_constantIbLb1EESY_EEDaST_SU_EUlST_E_NS1_11comp_targetILNS1_3genE0ELNS1_11target_archE4294967295ELNS1_3gpuE0ELNS1_3repE0EEENS1_30default_config_static_selectorELNS0_4arch9wavefront6targetE0EEEvT1_.num_named_barrier, 0
	.set _ZN7rocprim17ROCPRIM_400000_NS6detail17trampoline_kernelINS0_14default_configENS1_27scan_by_key_config_selectorIxxEEZZNS1_16scan_by_key_implILNS1_25lookback_scan_determinismE0ELb0ES3_N6thrust23THRUST_200600_302600_NS6detail15normal_iteratorINS9_10device_ptrIxEEEESE_SE_xNS9_4plusIxEE19head_flag_predicatexEE10hipError_tPvRmT2_T3_T4_T5_mT6_T7_P12ihipStream_tbENKUlT_T0_E_clISt17integral_constantIbLb1EESY_EEDaST_SU_EUlST_E_NS1_11comp_targetILNS1_3genE0ELNS1_11target_archE4294967295ELNS1_3gpuE0ELNS1_3repE0EEENS1_30default_config_static_selectorELNS0_4arch9wavefront6targetE0EEEvT1_.private_seg_size, 0
	.set _ZN7rocprim17ROCPRIM_400000_NS6detail17trampoline_kernelINS0_14default_configENS1_27scan_by_key_config_selectorIxxEEZZNS1_16scan_by_key_implILNS1_25lookback_scan_determinismE0ELb0ES3_N6thrust23THRUST_200600_302600_NS6detail15normal_iteratorINS9_10device_ptrIxEEEESE_SE_xNS9_4plusIxEE19head_flag_predicatexEE10hipError_tPvRmT2_T3_T4_T5_mT6_T7_P12ihipStream_tbENKUlT_T0_E_clISt17integral_constantIbLb1EESY_EEDaST_SU_EUlST_E_NS1_11comp_targetILNS1_3genE0ELNS1_11target_archE4294967295ELNS1_3gpuE0ELNS1_3repE0EEENS1_30default_config_static_selectorELNS0_4arch9wavefront6targetE0EEEvT1_.uses_vcc, 0
	.set _ZN7rocprim17ROCPRIM_400000_NS6detail17trampoline_kernelINS0_14default_configENS1_27scan_by_key_config_selectorIxxEEZZNS1_16scan_by_key_implILNS1_25lookback_scan_determinismE0ELb0ES3_N6thrust23THRUST_200600_302600_NS6detail15normal_iteratorINS9_10device_ptrIxEEEESE_SE_xNS9_4plusIxEE19head_flag_predicatexEE10hipError_tPvRmT2_T3_T4_T5_mT6_T7_P12ihipStream_tbENKUlT_T0_E_clISt17integral_constantIbLb1EESY_EEDaST_SU_EUlST_E_NS1_11comp_targetILNS1_3genE0ELNS1_11target_archE4294967295ELNS1_3gpuE0ELNS1_3repE0EEENS1_30default_config_static_selectorELNS0_4arch9wavefront6targetE0EEEvT1_.uses_flat_scratch, 0
	.set _ZN7rocprim17ROCPRIM_400000_NS6detail17trampoline_kernelINS0_14default_configENS1_27scan_by_key_config_selectorIxxEEZZNS1_16scan_by_key_implILNS1_25lookback_scan_determinismE0ELb0ES3_N6thrust23THRUST_200600_302600_NS6detail15normal_iteratorINS9_10device_ptrIxEEEESE_SE_xNS9_4plusIxEE19head_flag_predicatexEE10hipError_tPvRmT2_T3_T4_T5_mT6_T7_P12ihipStream_tbENKUlT_T0_E_clISt17integral_constantIbLb1EESY_EEDaST_SU_EUlST_E_NS1_11comp_targetILNS1_3genE0ELNS1_11target_archE4294967295ELNS1_3gpuE0ELNS1_3repE0EEENS1_30default_config_static_selectorELNS0_4arch9wavefront6targetE0EEEvT1_.has_dyn_sized_stack, 0
	.set _ZN7rocprim17ROCPRIM_400000_NS6detail17trampoline_kernelINS0_14default_configENS1_27scan_by_key_config_selectorIxxEEZZNS1_16scan_by_key_implILNS1_25lookback_scan_determinismE0ELb0ES3_N6thrust23THRUST_200600_302600_NS6detail15normal_iteratorINS9_10device_ptrIxEEEESE_SE_xNS9_4plusIxEE19head_flag_predicatexEE10hipError_tPvRmT2_T3_T4_T5_mT6_T7_P12ihipStream_tbENKUlT_T0_E_clISt17integral_constantIbLb1EESY_EEDaST_SU_EUlST_E_NS1_11comp_targetILNS1_3genE0ELNS1_11target_archE4294967295ELNS1_3gpuE0ELNS1_3repE0EEENS1_30default_config_static_selectorELNS0_4arch9wavefront6targetE0EEEvT1_.has_recursion, 0
	.set _ZN7rocprim17ROCPRIM_400000_NS6detail17trampoline_kernelINS0_14default_configENS1_27scan_by_key_config_selectorIxxEEZZNS1_16scan_by_key_implILNS1_25lookback_scan_determinismE0ELb0ES3_N6thrust23THRUST_200600_302600_NS6detail15normal_iteratorINS9_10device_ptrIxEEEESE_SE_xNS9_4plusIxEE19head_flag_predicatexEE10hipError_tPvRmT2_T3_T4_T5_mT6_T7_P12ihipStream_tbENKUlT_T0_E_clISt17integral_constantIbLb1EESY_EEDaST_SU_EUlST_E_NS1_11comp_targetILNS1_3genE0ELNS1_11target_archE4294967295ELNS1_3gpuE0ELNS1_3repE0EEENS1_30default_config_static_selectorELNS0_4arch9wavefront6targetE0EEEvT1_.has_indirect_call, 0
	.section	.AMDGPU.csdata,"",@progbits
; Kernel info:
; codeLenInByte = 4
; TotalNumSgprs: 0
; NumVgprs: 0
; ScratchSize: 0
; MemoryBound: 0
; FloatMode: 240
; IeeeMode: 1
; LDSByteSize: 0 bytes/workgroup (compile time only)
; SGPRBlocks: 0
; VGPRBlocks: 0
; NumSGPRsForWavesPerEU: 1
; NumVGPRsForWavesPerEU: 1
; NamedBarCnt: 0
; Occupancy: 16
; WaveLimiterHint : 0
; COMPUTE_PGM_RSRC2:SCRATCH_EN: 0
; COMPUTE_PGM_RSRC2:USER_SGPR: 2
; COMPUTE_PGM_RSRC2:TRAP_HANDLER: 0
; COMPUTE_PGM_RSRC2:TGID_X_EN: 1
; COMPUTE_PGM_RSRC2:TGID_Y_EN: 0
; COMPUTE_PGM_RSRC2:TGID_Z_EN: 0
; COMPUTE_PGM_RSRC2:TIDIG_COMP_CNT: 0
	.section	.text._ZN7rocprim17ROCPRIM_400000_NS6detail17trampoline_kernelINS0_14default_configENS1_27scan_by_key_config_selectorIxxEEZZNS1_16scan_by_key_implILNS1_25lookback_scan_determinismE0ELb0ES3_N6thrust23THRUST_200600_302600_NS6detail15normal_iteratorINS9_10device_ptrIxEEEESE_SE_xNS9_4plusIxEE19head_flag_predicatexEE10hipError_tPvRmT2_T3_T4_T5_mT6_T7_P12ihipStream_tbENKUlT_T0_E_clISt17integral_constantIbLb1EESY_EEDaST_SU_EUlST_E_NS1_11comp_targetILNS1_3genE10ELNS1_11target_archE1201ELNS1_3gpuE5ELNS1_3repE0EEENS1_30default_config_static_selectorELNS0_4arch9wavefront6targetE0EEEvT1_,"axG",@progbits,_ZN7rocprim17ROCPRIM_400000_NS6detail17trampoline_kernelINS0_14default_configENS1_27scan_by_key_config_selectorIxxEEZZNS1_16scan_by_key_implILNS1_25lookback_scan_determinismE0ELb0ES3_N6thrust23THRUST_200600_302600_NS6detail15normal_iteratorINS9_10device_ptrIxEEEESE_SE_xNS9_4plusIxEE19head_flag_predicatexEE10hipError_tPvRmT2_T3_T4_T5_mT6_T7_P12ihipStream_tbENKUlT_T0_E_clISt17integral_constantIbLb1EESY_EEDaST_SU_EUlST_E_NS1_11comp_targetILNS1_3genE10ELNS1_11target_archE1201ELNS1_3gpuE5ELNS1_3repE0EEENS1_30default_config_static_selectorELNS0_4arch9wavefront6targetE0EEEvT1_,comdat
	.protected	_ZN7rocprim17ROCPRIM_400000_NS6detail17trampoline_kernelINS0_14default_configENS1_27scan_by_key_config_selectorIxxEEZZNS1_16scan_by_key_implILNS1_25lookback_scan_determinismE0ELb0ES3_N6thrust23THRUST_200600_302600_NS6detail15normal_iteratorINS9_10device_ptrIxEEEESE_SE_xNS9_4plusIxEE19head_flag_predicatexEE10hipError_tPvRmT2_T3_T4_T5_mT6_T7_P12ihipStream_tbENKUlT_T0_E_clISt17integral_constantIbLb1EESY_EEDaST_SU_EUlST_E_NS1_11comp_targetILNS1_3genE10ELNS1_11target_archE1201ELNS1_3gpuE5ELNS1_3repE0EEENS1_30default_config_static_selectorELNS0_4arch9wavefront6targetE0EEEvT1_ ; -- Begin function _ZN7rocprim17ROCPRIM_400000_NS6detail17trampoline_kernelINS0_14default_configENS1_27scan_by_key_config_selectorIxxEEZZNS1_16scan_by_key_implILNS1_25lookback_scan_determinismE0ELb0ES3_N6thrust23THRUST_200600_302600_NS6detail15normal_iteratorINS9_10device_ptrIxEEEESE_SE_xNS9_4plusIxEE19head_flag_predicatexEE10hipError_tPvRmT2_T3_T4_T5_mT6_T7_P12ihipStream_tbENKUlT_T0_E_clISt17integral_constantIbLb1EESY_EEDaST_SU_EUlST_E_NS1_11comp_targetILNS1_3genE10ELNS1_11target_archE1201ELNS1_3gpuE5ELNS1_3repE0EEENS1_30default_config_static_selectorELNS0_4arch9wavefront6targetE0EEEvT1_
	.globl	_ZN7rocprim17ROCPRIM_400000_NS6detail17trampoline_kernelINS0_14default_configENS1_27scan_by_key_config_selectorIxxEEZZNS1_16scan_by_key_implILNS1_25lookback_scan_determinismE0ELb0ES3_N6thrust23THRUST_200600_302600_NS6detail15normal_iteratorINS9_10device_ptrIxEEEESE_SE_xNS9_4plusIxEE19head_flag_predicatexEE10hipError_tPvRmT2_T3_T4_T5_mT6_T7_P12ihipStream_tbENKUlT_T0_E_clISt17integral_constantIbLb1EESY_EEDaST_SU_EUlST_E_NS1_11comp_targetILNS1_3genE10ELNS1_11target_archE1201ELNS1_3gpuE5ELNS1_3repE0EEENS1_30default_config_static_selectorELNS0_4arch9wavefront6targetE0EEEvT1_
	.p2align	8
	.type	_ZN7rocprim17ROCPRIM_400000_NS6detail17trampoline_kernelINS0_14default_configENS1_27scan_by_key_config_selectorIxxEEZZNS1_16scan_by_key_implILNS1_25lookback_scan_determinismE0ELb0ES3_N6thrust23THRUST_200600_302600_NS6detail15normal_iteratorINS9_10device_ptrIxEEEESE_SE_xNS9_4plusIxEE19head_flag_predicatexEE10hipError_tPvRmT2_T3_T4_T5_mT6_T7_P12ihipStream_tbENKUlT_T0_E_clISt17integral_constantIbLb1EESY_EEDaST_SU_EUlST_E_NS1_11comp_targetILNS1_3genE10ELNS1_11target_archE1201ELNS1_3gpuE5ELNS1_3repE0EEENS1_30default_config_static_selectorELNS0_4arch9wavefront6targetE0EEEvT1_,@function
_ZN7rocprim17ROCPRIM_400000_NS6detail17trampoline_kernelINS0_14default_configENS1_27scan_by_key_config_selectorIxxEEZZNS1_16scan_by_key_implILNS1_25lookback_scan_determinismE0ELb0ES3_N6thrust23THRUST_200600_302600_NS6detail15normal_iteratorINS9_10device_ptrIxEEEESE_SE_xNS9_4plusIxEE19head_flag_predicatexEE10hipError_tPvRmT2_T3_T4_T5_mT6_T7_P12ihipStream_tbENKUlT_T0_E_clISt17integral_constantIbLb1EESY_EEDaST_SU_EUlST_E_NS1_11comp_targetILNS1_3genE10ELNS1_11target_archE1201ELNS1_3gpuE5ELNS1_3repE0EEENS1_30default_config_static_selectorELNS0_4arch9wavefront6targetE0EEEvT1_: ; @_ZN7rocprim17ROCPRIM_400000_NS6detail17trampoline_kernelINS0_14default_configENS1_27scan_by_key_config_selectorIxxEEZZNS1_16scan_by_key_implILNS1_25lookback_scan_determinismE0ELb0ES3_N6thrust23THRUST_200600_302600_NS6detail15normal_iteratorINS9_10device_ptrIxEEEESE_SE_xNS9_4plusIxEE19head_flag_predicatexEE10hipError_tPvRmT2_T3_T4_T5_mT6_T7_P12ihipStream_tbENKUlT_T0_E_clISt17integral_constantIbLb1EESY_EEDaST_SU_EUlST_E_NS1_11comp_targetILNS1_3genE10ELNS1_11target_archE1201ELNS1_3gpuE5ELNS1_3repE0EEENS1_30default_config_static_selectorELNS0_4arch9wavefront6targetE0EEEvT1_
; %bb.0:
	.section	.rodata,"a",@progbits
	.p2align	6, 0x0
	.amdhsa_kernel _ZN7rocprim17ROCPRIM_400000_NS6detail17trampoline_kernelINS0_14default_configENS1_27scan_by_key_config_selectorIxxEEZZNS1_16scan_by_key_implILNS1_25lookback_scan_determinismE0ELb0ES3_N6thrust23THRUST_200600_302600_NS6detail15normal_iteratorINS9_10device_ptrIxEEEESE_SE_xNS9_4plusIxEE19head_flag_predicatexEE10hipError_tPvRmT2_T3_T4_T5_mT6_T7_P12ihipStream_tbENKUlT_T0_E_clISt17integral_constantIbLb1EESY_EEDaST_SU_EUlST_E_NS1_11comp_targetILNS1_3genE10ELNS1_11target_archE1201ELNS1_3gpuE5ELNS1_3repE0EEENS1_30default_config_static_selectorELNS0_4arch9wavefront6targetE0EEEvT1_
		.amdhsa_group_segment_fixed_size 0
		.amdhsa_private_segment_fixed_size 0
		.amdhsa_kernarg_size 136
		.amdhsa_user_sgpr_count 2
		.amdhsa_user_sgpr_dispatch_ptr 0
		.amdhsa_user_sgpr_queue_ptr 0
		.amdhsa_user_sgpr_kernarg_segment_ptr 1
		.amdhsa_user_sgpr_dispatch_id 0
		.amdhsa_user_sgpr_kernarg_preload_length 0
		.amdhsa_user_sgpr_kernarg_preload_offset 0
		.amdhsa_user_sgpr_private_segment_size 0
		.amdhsa_wavefront_size32 1
		.amdhsa_uses_dynamic_stack 0
		.amdhsa_enable_private_segment 0
		.amdhsa_system_sgpr_workgroup_id_x 1
		.amdhsa_system_sgpr_workgroup_id_y 0
		.amdhsa_system_sgpr_workgroup_id_z 0
		.amdhsa_system_sgpr_workgroup_info 0
		.amdhsa_system_vgpr_workitem_id 0
		.amdhsa_next_free_vgpr 1
		.amdhsa_next_free_sgpr 1
		.amdhsa_named_barrier_count 0
		.amdhsa_reserve_vcc 0
		.amdhsa_float_round_mode_32 0
		.amdhsa_float_round_mode_16_64 0
		.amdhsa_float_denorm_mode_32 3
		.amdhsa_float_denorm_mode_16_64 3
		.amdhsa_fp16_overflow 0
		.amdhsa_memory_ordered 1
		.amdhsa_forward_progress 1
		.amdhsa_inst_pref_size 0
		.amdhsa_round_robin_scheduling 0
		.amdhsa_exception_fp_ieee_invalid_op 0
		.amdhsa_exception_fp_denorm_src 0
		.amdhsa_exception_fp_ieee_div_zero 0
		.amdhsa_exception_fp_ieee_overflow 0
		.amdhsa_exception_fp_ieee_underflow 0
		.amdhsa_exception_fp_ieee_inexact 0
		.amdhsa_exception_int_div_zero 0
	.end_amdhsa_kernel
	.section	.text._ZN7rocprim17ROCPRIM_400000_NS6detail17trampoline_kernelINS0_14default_configENS1_27scan_by_key_config_selectorIxxEEZZNS1_16scan_by_key_implILNS1_25lookback_scan_determinismE0ELb0ES3_N6thrust23THRUST_200600_302600_NS6detail15normal_iteratorINS9_10device_ptrIxEEEESE_SE_xNS9_4plusIxEE19head_flag_predicatexEE10hipError_tPvRmT2_T3_T4_T5_mT6_T7_P12ihipStream_tbENKUlT_T0_E_clISt17integral_constantIbLb1EESY_EEDaST_SU_EUlST_E_NS1_11comp_targetILNS1_3genE10ELNS1_11target_archE1201ELNS1_3gpuE5ELNS1_3repE0EEENS1_30default_config_static_selectorELNS0_4arch9wavefront6targetE0EEEvT1_,"axG",@progbits,_ZN7rocprim17ROCPRIM_400000_NS6detail17trampoline_kernelINS0_14default_configENS1_27scan_by_key_config_selectorIxxEEZZNS1_16scan_by_key_implILNS1_25lookback_scan_determinismE0ELb0ES3_N6thrust23THRUST_200600_302600_NS6detail15normal_iteratorINS9_10device_ptrIxEEEESE_SE_xNS9_4plusIxEE19head_flag_predicatexEE10hipError_tPvRmT2_T3_T4_T5_mT6_T7_P12ihipStream_tbENKUlT_T0_E_clISt17integral_constantIbLb1EESY_EEDaST_SU_EUlST_E_NS1_11comp_targetILNS1_3genE10ELNS1_11target_archE1201ELNS1_3gpuE5ELNS1_3repE0EEENS1_30default_config_static_selectorELNS0_4arch9wavefront6targetE0EEEvT1_,comdat
.Lfunc_end687:
	.size	_ZN7rocprim17ROCPRIM_400000_NS6detail17trampoline_kernelINS0_14default_configENS1_27scan_by_key_config_selectorIxxEEZZNS1_16scan_by_key_implILNS1_25lookback_scan_determinismE0ELb0ES3_N6thrust23THRUST_200600_302600_NS6detail15normal_iteratorINS9_10device_ptrIxEEEESE_SE_xNS9_4plusIxEE19head_flag_predicatexEE10hipError_tPvRmT2_T3_T4_T5_mT6_T7_P12ihipStream_tbENKUlT_T0_E_clISt17integral_constantIbLb1EESY_EEDaST_SU_EUlST_E_NS1_11comp_targetILNS1_3genE10ELNS1_11target_archE1201ELNS1_3gpuE5ELNS1_3repE0EEENS1_30default_config_static_selectorELNS0_4arch9wavefront6targetE0EEEvT1_, .Lfunc_end687-_ZN7rocprim17ROCPRIM_400000_NS6detail17trampoline_kernelINS0_14default_configENS1_27scan_by_key_config_selectorIxxEEZZNS1_16scan_by_key_implILNS1_25lookback_scan_determinismE0ELb0ES3_N6thrust23THRUST_200600_302600_NS6detail15normal_iteratorINS9_10device_ptrIxEEEESE_SE_xNS9_4plusIxEE19head_flag_predicatexEE10hipError_tPvRmT2_T3_T4_T5_mT6_T7_P12ihipStream_tbENKUlT_T0_E_clISt17integral_constantIbLb1EESY_EEDaST_SU_EUlST_E_NS1_11comp_targetILNS1_3genE10ELNS1_11target_archE1201ELNS1_3gpuE5ELNS1_3repE0EEENS1_30default_config_static_selectorELNS0_4arch9wavefront6targetE0EEEvT1_
                                        ; -- End function
	.set _ZN7rocprim17ROCPRIM_400000_NS6detail17trampoline_kernelINS0_14default_configENS1_27scan_by_key_config_selectorIxxEEZZNS1_16scan_by_key_implILNS1_25lookback_scan_determinismE0ELb0ES3_N6thrust23THRUST_200600_302600_NS6detail15normal_iteratorINS9_10device_ptrIxEEEESE_SE_xNS9_4plusIxEE19head_flag_predicatexEE10hipError_tPvRmT2_T3_T4_T5_mT6_T7_P12ihipStream_tbENKUlT_T0_E_clISt17integral_constantIbLb1EESY_EEDaST_SU_EUlST_E_NS1_11comp_targetILNS1_3genE10ELNS1_11target_archE1201ELNS1_3gpuE5ELNS1_3repE0EEENS1_30default_config_static_selectorELNS0_4arch9wavefront6targetE0EEEvT1_.num_vgpr, 0
	.set _ZN7rocprim17ROCPRIM_400000_NS6detail17trampoline_kernelINS0_14default_configENS1_27scan_by_key_config_selectorIxxEEZZNS1_16scan_by_key_implILNS1_25lookback_scan_determinismE0ELb0ES3_N6thrust23THRUST_200600_302600_NS6detail15normal_iteratorINS9_10device_ptrIxEEEESE_SE_xNS9_4plusIxEE19head_flag_predicatexEE10hipError_tPvRmT2_T3_T4_T5_mT6_T7_P12ihipStream_tbENKUlT_T0_E_clISt17integral_constantIbLb1EESY_EEDaST_SU_EUlST_E_NS1_11comp_targetILNS1_3genE10ELNS1_11target_archE1201ELNS1_3gpuE5ELNS1_3repE0EEENS1_30default_config_static_selectorELNS0_4arch9wavefront6targetE0EEEvT1_.num_agpr, 0
	.set _ZN7rocprim17ROCPRIM_400000_NS6detail17trampoline_kernelINS0_14default_configENS1_27scan_by_key_config_selectorIxxEEZZNS1_16scan_by_key_implILNS1_25lookback_scan_determinismE0ELb0ES3_N6thrust23THRUST_200600_302600_NS6detail15normal_iteratorINS9_10device_ptrIxEEEESE_SE_xNS9_4plusIxEE19head_flag_predicatexEE10hipError_tPvRmT2_T3_T4_T5_mT6_T7_P12ihipStream_tbENKUlT_T0_E_clISt17integral_constantIbLb1EESY_EEDaST_SU_EUlST_E_NS1_11comp_targetILNS1_3genE10ELNS1_11target_archE1201ELNS1_3gpuE5ELNS1_3repE0EEENS1_30default_config_static_selectorELNS0_4arch9wavefront6targetE0EEEvT1_.numbered_sgpr, 0
	.set _ZN7rocprim17ROCPRIM_400000_NS6detail17trampoline_kernelINS0_14default_configENS1_27scan_by_key_config_selectorIxxEEZZNS1_16scan_by_key_implILNS1_25lookback_scan_determinismE0ELb0ES3_N6thrust23THRUST_200600_302600_NS6detail15normal_iteratorINS9_10device_ptrIxEEEESE_SE_xNS9_4plusIxEE19head_flag_predicatexEE10hipError_tPvRmT2_T3_T4_T5_mT6_T7_P12ihipStream_tbENKUlT_T0_E_clISt17integral_constantIbLb1EESY_EEDaST_SU_EUlST_E_NS1_11comp_targetILNS1_3genE10ELNS1_11target_archE1201ELNS1_3gpuE5ELNS1_3repE0EEENS1_30default_config_static_selectorELNS0_4arch9wavefront6targetE0EEEvT1_.num_named_barrier, 0
	.set _ZN7rocprim17ROCPRIM_400000_NS6detail17trampoline_kernelINS0_14default_configENS1_27scan_by_key_config_selectorIxxEEZZNS1_16scan_by_key_implILNS1_25lookback_scan_determinismE0ELb0ES3_N6thrust23THRUST_200600_302600_NS6detail15normal_iteratorINS9_10device_ptrIxEEEESE_SE_xNS9_4plusIxEE19head_flag_predicatexEE10hipError_tPvRmT2_T3_T4_T5_mT6_T7_P12ihipStream_tbENKUlT_T0_E_clISt17integral_constantIbLb1EESY_EEDaST_SU_EUlST_E_NS1_11comp_targetILNS1_3genE10ELNS1_11target_archE1201ELNS1_3gpuE5ELNS1_3repE0EEENS1_30default_config_static_selectorELNS0_4arch9wavefront6targetE0EEEvT1_.private_seg_size, 0
	.set _ZN7rocprim17ROCPRIM_400000_NS6detail17trampoline_kernelINS0_14default_configENS1_27scan_by_key_config_selectorIxxEEZZNS1_16scan_by_key_implILNS1_25lookback_scan_determinismE0ELb0ES3_N6thrust23THRUST_200600_302600_NS6detail15normal_iteratorINS9_10device_ptrIxEEEESE_SE_xNS9_4plusIxEE19head_flag_predicatexEE10hipError_tPvRmT2_T3_T4_T5_mT6_T7_P12ihipStream_tbENKUlT_T0_E_clISt17integral_constantIbLb1EESY_EEDaST_SU_EUlST_E_NS1_11comp_targetILNS1_3genE10ELNS1_11target_archE1201ELNS1_3gpuE5ELNS1_3repE0EEENS1_30default_config_static_selectorELNS0_4arch9wavefront6targetE0EEEvT1_.uses_vcc, 0
	.set _ZN7rocprim17ROCPRIM_400000_NS6detail17trampoline_kernelINS0_14default_configENS1_27scan_by_key_config_selectorIxxEEZZNS1_16scan_by_key_implILNS1_25lookback_scan_determinismE0ELb0ES3_N6thrust23THRUST_200600_302600_NS6detail15normal_iteratorINS9_10device_ptrIxEEEESE_SE_xNS9_4plusIxEE19head_flag_predicatexEE10hipError_tPvRmT2_T3_T4_T5_mT6_T7_P12ihipStream_tbENKUlT_T0_E_clISt17integral_constantIbLb1EESY_EEDaST_SU_EUlST_E_NS1_11comp_targetILNS1_3genE10ELNS1_11target_archE1201ELNS1_3gpuE5ELNS1_3repE0EEENS1_30default_config_static_selectorELNS0_4arch9wavefront6targetE0EEEvT1_.uses_flat_scratch, 0
	.set _ZN7rocprim17ROCPRIM_400000_NS6detail17trampoline_kernelINS0_14default_configENS1_27scan_by_key_config_selectorIxxEEZZNS1_16scan_by_key_implILNS1_25lookback_scan_determinismE0ELb0ES3_N6thrust23THRUST_200600_302600_NS6detail15normal_iteratorINS9_10device_ptrIxEEEESE_SE_xNS9_4plusIxEE19head_flag_predicatexEE10hipError_tPvRmT2_T3_T4_T5_mT6_T7_P12ihipStream_tbENKUlT_T0_E_clISt17integral_constantIbLb1EESY_EEDaST_SU_EUlST_E_NS1_11comp_targetILNS1_3genE10ELNS1_11target_archE1201ELNS1_3gpuE5ELNS1_3repE0EEENS1_30default_config_static_selectorELNS0_4arch9wavefront6targetE0EEEvT1_.has_dyn_sized_stack, 0
	.set _ZN7rocprim17ROCPRIM_400000_NS6detail17trampoline_kernelINS0_14default_configENS1_27scan_by_key_config_selectorIxxEEZZNS1_16scan_by_key_implILNS1_25lookback_scan_determinismE0ELb0ES3_N6thrust23THRUST_200600_302600_NS6detail15normal_iteratorINS9_10device_ptrIxEEEESE_SE_xNS9_4plusIxEE19head_flag_predicatexEE10hipError_tPvRmT2_T3_T4_T5_mT6_T7_P12ihipStream_tbENKUlT_T0_E_clISt17integral_constantIbLb1EESY_EEDaST_SU_EUlST_E_NS1_11comp_targetILNS1_3genE10ELNS1_11target_archE1201ELNS1_3gpuE5ELNS1_3repE0EEENS1_30default_config_static_selectorELNS0_4arch9wavefront6targetE0EEEvT1_.has_recursion, 0
	.set _ZN7rocprim17ROCPRIM_400000_NS6detail17trampoline_kernelINS0_14default_configENS1_27scan_by_key_config_selectorIxxEEZZNS1_16scan_by_key_implILNS1_25lookback_scan_determinismE0ELb0ES3_N6thrust23THRUST_200600_302600_NS6detail15normal_iteratorINS9_10device_ptrIxEEEESE_SE_xNS9_4plusIxEE19head_flag_predicatexEE10hipError_tPvRmT2_T3_T4_T5_mT6_T7_P12ihipStream_tbENKUlT_T0_E_clISt17integral_constantIbLb1EESY_EEDaST_SU_EUlST_E_NS1_11comp_targetILNS1_3genE10ELNS1_11target_archE1201ELNS1_3gpuE5ELNS1_3repE0EEENS1_30default_config_static_selectorELNS0_4arch9wavefront6targetE0EEEvT1_.has_indirect_call, 0
	.section	.AMDGPU.csdata,"",@progbits
; Kernel info:
; codeLenInByte = 0
; TotalNumSgprs: 0
; NumVgprs: 0
; ScratchSize: 0
; MemoryBound: 0
; FloatMode: 240
; IeeeMode: 1
; LDSByteSize: 0 bytes/workgroup (compile time only)
; SGPRBlocks: 0
; VGPRBlocks: 0
; NumSGPRsForWavesPerEU: 1
; NumVGPRsForWavesPerEU: 1
; NamedBarCnt: 0
; Occupancy: 16
; WaveLimiterHint : 0
; COMPUTE_PGM_RSRC2:SCRATCH_EN: 0
; COMPUTE_PGM_RSRC2:USER_SGPR: 2
; COMPUTE_PGM_RSRC2:TRAP_HANDLER: 0
; COMPUTE_PGM_RSRC2:TGID_X_EN: 1
; COMPUTE_PGM_RSRC2:TGID_Y_EN: 0
; COMPUTE_PGM_RSRC2:TGID_Z_EN: 0
; COMPUTE_PGM_RSRC2:TIDIG_COMP_CNT: 0
	.section	.text._ZN7rocprim17ROCPRIM_400000_NS6detail17trampoline_kernelINS0_14default_configENS1_27scan_by_key_config_selectorIxxEEZZNS1_16scan_by_key_implILNS1_25lookback_scan_determinismE0ELb0ES3_N6thrust23THRUST_200600_302600_NS6detail15normal_iteratorINS9_10device_ptrIxEEEESE_SE_xNS9_4plusIxEE19head_flag_predicatexEE10hipError_tPvRmT2_T3_T4_T5_mT6_T7_P12ihipStream_tbENKUlT_T0_E_clISt17integral_constantIbLb1EESY_EEDaST_SU_EUlST_E_NS1_11comp_targetILNS1_3genE5ELNS1_11target_archE942ELNS1_3gpuE9ELNS1_3repE0EEENS1_30default_config_static_selectorELNS0_4arch9wavefront6targetE0EEEvT1_,"axG",@progbits,_ZN7rocprim17ROCPRIM_400000_NS6detail17trampoline_kernelINS0_14default_configENS1_27scan_by_key_config_selectorIxxEEZZNS1_16scan_by_key_implILNS1_25lookback_scan_determinismE0ELb0ES3_N6thrust23THRUST_200600_302600_NS6detail15normal_iteratorINS9_10device_ptrIxEEEESE_SE_xNS9_4plusIxEE19head_flag_predicatexEE10hipError_tPvRmT2_T3_T4_T5_mT6_T7_P12ihipStream_tbENKUlT_T0_E_clISt17integral_constantIbLb1EESY_EEDaST_SU_EUlST_E_NS1_11comp_targetILNS1_3genE5ELNS1_11target_archE942ELNS1_3gpuE9ELNS1_3repE0EEENS1_30default_config_static_selectorELNS0_4arch9wavefront6targetE0EEEvT1_,comdat
	.protected	_ZN7rocprim17ROCPRIM_400000_NS6detail17trampoline_kernelINS0_14default_configENS1_27scan_by_key_config_selectorIxxEEZZNS1_16scan_by_key_implILNS1_25lookback_scan_determinismE0ELb0ES3_N6thrust23THRUST_200600_302600_NS6detail15normal_iteratorINS9_10device_ptrIxEEEESE_SE_xNS9_4plusIxEE19head_flag_predicatexEE10hipError_tPvRmT2_T3_T4_T5_mT6_T7_P12ihipStream_tbENKUlT_T0_E_clISt17integral_constantIbLb1EESY_EEDaST_SU_EUlST_E_NS1_11comp_targetILNS1_3genE5ELNS1_11target_archE942ELNS1_3gpuE9ELNS1_3repE0EEENS1_30default_config_static_selectorELNS0_4arch9wavefront6targetE0EEEvT1_ ; -- Begin function _ZN7rocprim17ROCPRIM_400000_NS6detail17trampoline_kernelINS0_14default_configENS1_27scan_by_key_config_selectorIxxEEZZNS1_16scan_by_key_implILNS1_25lookback_scan_determinismE0ELb0ES3_N6thrust23THRUST_200600_302600_NS6detail15normal_iteratorINS9_10device_ptrIxEEEESE_SE_xNS9_4plusIxEE19head_flag_predicatexEE10hipError_tPvRmT2_T3_T4_T5_mT6_T7_P12ihipStream_tbENKUlT_T0_E_clISt17integral_constantIbLb1EESY_EEDaST_SU_EUlST_E_NS1_11comp_targetILNS1_3genE5ELNS1_11target_archE942ELNS1_3gpuE9ELNS1_3repE0EEENS1_30default_config_static_selectorELNS0_4arch9wavefront6targetE0EEEvT1_
	.globl	_ZN7rocprim17ROCPRIM_400000_NS6detail17trampoline_kernelINS0_14default_configENS1_27scan_by_key_config_selectorIxxEEZZNS1_16scan_by_key_implILNS1_25lookback_scan_determinismE0ELb0ES3_N6thrust23THRUST_200600_302600_NS6detail15normal_iteratorINS9_10device_ptrIxEEEESE_SE_xNS9_4plusIxEE19head_flag_predicatexEE10hipError_tPvRmT2_T3_T4_T5_mT6_T7_P12ihipStream_tbENKUlT_T0_E_clISt17integral_constantIbLb1EESY_EEDaST_SU_EUlST_E_NS1_11comp_targetILNS1_3genE5ELNS1_11target_archE942ELNS1_3gpuE9ELNS1_3repE0EEENS1_30default_config_static_selectorELNS0_4arch9wavefront6targetE0EEEvT1_
	.p2align	8
	.type	_ZN7rocprim17ROCPRIM_400000_NS6detail17trampoline_kernelINS0_14default_configENS1_27scan_by_key_config_selectorIxxEEZZNS1_16scan_by_key_implILNS1_25lookback_scan_determinismE0ELb0ES3_N6thrust23THRUST_200600_302600_NS6detail15normal_iteratorINS9_10device_ptrIxEEEESE_SE_xNS9_4plusIxEE19head_flag_predicatexEE10hipError_tPvRmT2_T3_T4_T5_mT6_T7_P12ihipStream_tbENKUlT_T0_E_clISt17integral_constantIbLb1EESY_EEDaST_SU_EUlST_E_NS1_11comp_targetILNS1_3genE5ELNS1_11target_archE942ELNS1_3gpuE9ELNS1_3repE0EEENS1_30default_config_static_selectorELNS0_4arch9wavefront6targetE0EEEvT1_,@function
_ZN7rocprim17ROCPRIM_400000_NS6detail17trampoline_kernelINS0_14default_configENS1_27scan_by_key_config_selectorIxxEEZZNS1_16scan_by_key_implILNS1_25lookback_scan_determinismE0ELb0ES3_N6thrust23THRUST_200600_302600_NS6detail15normal_iteratorINS9_10device_ptrIxEEEESE_SE_xNS9_4plusIxEE19head_flag_predicatexEE10hipError_tPvRmT2_T3_T4_T5_mT6_T7_P12ihipStream_tbENKUlT_T0_E_clISt17integral_constantIbLb1EESY_EEDaST_SU_EUlST_E_NS1_11comp_targetILNS1_3genE5ELNS1_11target_archE942ELNS1_3gpuE9ELNS1_3repE0EEENS1_30default_config_static_selectorELNS0_4arch9wavefront6targetE0EEEvT1_: ; @_ZN7rocprim17ROCPRIM_400000_NS6detail17trampoline_kernelINS0_14default_configENS1_27scan_by_key_config_selectorIxxEEZZNS1_16scan_by_key_implILNS1_25lookback_scan_determinismE0ELb0ES3_N6thrust23THRUST_200600_302600_NS6detail15normal_iteratorINS9_10device_ptrIxEEEESE_SE_xNS9_4plusIxEE19head_flag_predicatexEE10hipError_tPvRmT2_T3_T4_T5_mT6_T7_P12ihipStream_tbENKUlT_T0_E_clISt17integral_constantIbLb1EESY_EEDaST_SU_EUlST_E_NS1_11comp_targetILNS1_3genE5ELNS1_11target_archE942ELNS1_3gpuE9ELNS1_3repE0EEENS1_30default_config_static_selectorELNS0_4arch9wavefront6targetE0EEEvT1_
; %bb.0:
	.section	.rodata,"a",@progbits
	.p2align	6, 0x0
	.amdhsa_kernel _ZN7rocprim17ROCPRIM_400000_NS6detail17trampoline_kernelINS0_14default_configENS1_27scan_by_key_config_selectorIxxEEZZNS1_16scan_by_key_implILNS1_25lookback_scan_determinismE0ELb0ES3_N6thrust23THRUST_200600_302600_NS6detail15normal_iteratorINS9_10device_ptrIxEEEESE_SE_xNS9_4plusIxEE19head_flag_predicatexEE10hipError_tPvRmT2_T3_T4_T5_mT6_T7_P12ihipStream_tbENKUlT_T0_E_clISt17integral_constantIbLb1EESY_EEDaST_SU_EUlST_E_NS1_11comp_targetILNS1_3genE5ELNS1_11target_archE942ELNS1_3gpuE9ELNS1_3repE0EEENS1_30default_config_static_selectorELNS0_4arch9wavefront6targetE0EEEvT1_
		.amdhsa_group_segment_fixed_size 0
		.amdhsa_private_segment_fixed_size 0
		.amdhsa_kernarg_size 136
		.amdhsa_user_sgpr_count 2
		.amdhsa_user_sgpr_dispatch_ptr 0
		.amdhsa_user_sgpr_queue_ptr 0
		.amdhsa_user_sgpr_kernarg_segment_ptr 1
		.amdhsa_user_sgpr_dispatch_id 0
		.amdhsa_user_sgpr_kernarg_preload_length 0
		.amdhsa_user_sgpr_kernarg_preload_offset 0
		.amdhsa_user_sgpr_private_segment_size 0
		.amdhsa_wavefront_size32 1
		.amdhsa_uses_dynamic_stack 0
		.amdhsa_enable_private_segment 0
		.amdhsa_system_sgpr_workgroup_id_x 1
		.amdhsa_system_sgpr_workgroup_id_y 0
		.amdhsa_system_sgpr_workgroup_id_z 0
		.amdhsa_system_sgpr_workgroup_info 0
		.amdhsa_system_vgpr_workitem_id 0
		.amdhsa_next_free_vgpr 1
		.amdhsa_next_free_sgpr 1
		.amdhsa_named_barrier_count 0
		.amdhsa_reserve_vcc 0
		.amdhsa_float_round_mode_32 0
		.amdhsa_float_round_mode_16_64 0
		.amdhsa_float_denorm_mode_32 3
		.amdhsa_float_denorm_mode_16_64 3
		.amdhsa_fp16_overflow 0
		.amdhsa_memory_ordered 1
		.amdhsa_forward_progress 1
		.amdhsa_inst_pref_size 0
		.amdhsa_round_robin_scheduling 0
		.amdhsa_exception_fp_ieee_invalid_op 0
		.amdhsa_exception_fp_denorm_src 0
		.amdhsa_exception_fp_ieee_div_zero 0
		.amdhsa_exception_fp_ieee_overflow 0
		.amdhsa_exception_fp_ieee_underflow 0
		.amdhsa_exception_fp_ieee_inexact 0
		.amdhsa_exception_int_div_zero 0
	.end_amdhsa_kernel
	.section	.text._ZN7rocprim17ROCPRIM_400000_NS6detail17trampoline_kernelINS0_14default_configENS1_27scan_by_key_config_selectorIxxEEZZNS1_16scan_by_key_implILNS1_25lookback_scan_determinismE0ELb0ES3_N6thrust23THRUST_200600_302600_NS6detail15normal_iteratorINS9_10device_ptrIxEEEESE_SE_xNS9_4plusIxEE19head_flag_predicatexEE10hipError_tPvRmT2_T3_T4_T5_mT6_T7_P12ihipStream_tbENKUlT_T0_E_clISt17integral_constantIbLb1EESY_EEDaST_SU_EUlST_E_NS1_11comp_targetILNS1_3genE5ELNS1_11target_archE942ELNS1_3gpuE9ELNS1_3repE0EEENS1_30default_config_static_selectorELNS0_4arch9wavefront6targetE0EEEvT1_,"axG",@progbits,_ZN7rocprim17ROCPRIM_400000_NS6detail17trampoline_kernelINS0_14default_configENS1_27scan_by_key_config_selectorIxxEEZZNS1_16scan_by_key_implILNS1_25lookback_scan_determinismE0ELb0ES3_N6thrust23THRUST_200600_302600_NS6detail15normal_iteratorINS9_10device_ptrIxEEEESE_SE_xNS9_4plusIxEE19head_flag_predicatexEE10hipError_tPvRmT2_T3_T4_T5_mT6_T7_P12ihipStream_tbENKUlT_T0_E_clISt17integral_constantIbLb1EESY_EEDaST_SU_EUlST_E_NS1_11comp_targetILNS1_3genE5ELNS1_11target_archE942ELNS1_3gpuE9ELNS1_3repE0EEENS1_30default_config_static_selectorELNS0_4arch9wavefront6targetE0EEEvT1_,comdat
.Lfunc_end688:
	.size	_ZN7rocprim17ROCPRIM_400000_NS6detail17trampoline_kernelINS0_14default_configENS1_27scan_by_key_config_selectorIxxEEZZNS1_16scan_by_key_implILNS1_25lookback_scan_determinismE0ELb0ES3_N6thrust23THRUST_200600_302600_NS6detail15normal_iteratorINS9_10device_ptrIxEEEESE_SE_xNS9_4plusIxEE19head_flag_predicatexEE10hipError_tPvRmT2_T3_T4_T5_mT6_T7_P12ihipStream_tbENKUlT_T0_E_clISt17integral_constantIbLb1EESY_EEDaST_SU_EUlST_E_NS1_11comp_targetILNS1_3genE5ELNS1_11target_archE942ELNS1_3gpuE9ELNS1_3repE0EEENS1_30default_config_static_selectorELNS0_4arch9wavefront6targetE0EEEvT1_, .Lfunc_end688-_ZN7rocprim17ROCPRIM_400000_NS6detail17trampoline_kernelINS0_14default_configENS1_27scan_by_key_config_selectorIxxEEZZNS1_16scan_by_key_implILNS1_25lookback_scan_determinismE0ELb0ES3_N6thrust23THRUST_200600_302600_NS6detail15normal_iteratorINS9_10device_ptrIxEEEESE_SE_xNS9_4plusIxEE19head_flag_predicatexEE10hipError_tPvRmT2_T3_T4_T5_mT6_T7_P12ihipStream_tbENKUlT_T0_E_clISt17integral_constantIbLb1EESY_EEDaST_SU_EUlST_E_NS1_11comp_targetILNS1_3genE5ELNS1_11target_archE942ELNS1_3gpuE9ELNS1_3repE0EEENS1_30default_config_static_selectorELNS0_4arch9wavefront6targetE0EEEvT1_
                                        ; -- End function
	.set _ZN7rocprim17ROCPRIM_400000_NS6detail17trampoline_kernelINS0_14default_configENS1_27scan_by_key_config_selectorIxxEEZZNS1_16scan_by_key_implILNS1_25lookback_scan_determinismE0ELb0ES3_N6thrust23THRUST_200600_302600_NS6detail15normal_iteratorINS9_10device_ptrIxEEEESE_SE_xNS9_4plusIxEE19head_flag_predicatexEE10hipError_tPvRmT2_T3_T4_T5_mT6_T7_P12ihipStream_tbENKUlT_T0_E_clISt17integral_constantIbLb1EESY_EEDaST_SU_EUlST_E_NS1_11comp_targetILNS1_3genE5ELNS1_11target_archE942ELNS1_3gpuE9ELNS1_3repE0EEENS1_30default_config_static_selectorELNS0_4arch9wavefront6targetE0EEEvT1_.num_vgpr, 0
	.set _ZN7rocprim17ROCPRIM_400000_NS6detail17trampoline_kernelINS0_14default_configENS1_27scan_by_key_config_selectorIxxEEZZNS1_16scan_by_key_implILNS1_25lookback_scan_determinismE0ELb0ES3_N6thrust23THRUST_200600_302600_NS6detail15normal_iteratorINS9_10device_ptrIxEEEESE_SE_xNS9_4plusIxEE19head_flag_predicatexEE10hipError_tPvRmT2_T3_T4_T5_mT6_T7_P12ihipStream_tbENKUlT_T0_E_clISt17integral_constantIbLb1EESY_EEDaST_SU_EUlST_E_NS1_11comp_targetILNS1_3genE5ELNS1_11target_archE942ELNS1_3gpuE9ELNS1_3repE0EEENS1_30default_config_static_selectorELNS0_4arch9wavefront6targetE0EEEvT1_.num_agpr, 0
	.set _ZN7rocprim17ROCPRIM_400000_NS6detail17trampoline_kernelINS0_14default_configENS1_27scan_by_key_config_selectorIxxEEZZNS1_16scan_by_key_implILNS1_25lookback_scan_determinismE0ELb0ES3_N6thrust23THRUST_200600_302600_NS6detail15normal_iteratorINS9_10device_ptrIxEEEESE_SE_xNS9_4plusIxEE19head_flag_predicatexEE10hipError_tPvRmT2_T3_T4_T5_mT6_T7_P12ihipStream_tbENKUlT_T0_E_clISt17integral_constantIbLb1EESY_EEDaST_SU_EUlST_E_NS1_11comp_targetILNS1_3genE5ELNS1_11target_archE942ELNS1_3gpuE9ELNS1_3repE0EEENS1_30default_config_static_selectorELNS0_4arch9wavefront6targetE0EEEvT1_.numbered_sgpr, 0
	.set _ZN7rocprim17ROCPRIM_400000_NS6detail17trampoline_kernelINS0_14default_configENS1_27scan_by_key_config_selectorIxxEEZZNS1_16scan_by_key_implILNS1_25lookback_scan_determinismE0ELb0ES3_N6thrust23THRUST_200600_302600_NS6detail15normal_iteratorINS9_10device_ptrIxEEEESE_SE_xNS9_4plusIxEE19head_flag_predicatexEE10hipError_tPvRmT2_T3_T4_T5_mT6_T7_P12ihipStream_tbENKUlT_T0_E_clISt17integral_constantIbLb1EESY_EEDaST_SU_EUlST_E_NS1_11comp_targetILNS1_3genE5ELNS1_11target_archE942ELNS1_3gpuE9ELNS1_3repE0EEENS1_30default_config_static_selectorELNS0_4arch9wavefront6targetE0EEEvT1_.num_named_barrier, 0
	.set _ZN7rocprim17ROCPRIM_400000_NS6detail17trampoline_kernelINS0_14default_configENS1_27scan_by_key_config_selectorIxxEEZZNS1_16scan_by_key_implILNS1_25lookback_scan_determinismE0ELb0ES3_N6thrust23THRUST_200600_302600_NS6detail15normal_iteratorINS9_10device_ptrIxEEEESE_SE_xNS9_4plusIxEE19head_flag_predicatexEE10hipError_tPvRmT2_T3_T4_T5_mT6_T7_P12ihipStream_tbENKUlT_T0_E_clISt17integral_constantIbLb1EESY_EEDaST_SU_EUlST_E_NS1_11comp_targetILNS1_3genE5ELNS1_11target_archE942ELNS1_3gpuE9ELNS1_3repE0EEENS1_30default_config_static_selectorELNS0_4arch9wavefront6targetE0EEEvT1_.private_seg_size, 0
	.set _ZN7rocprim17ROCPRIM_400000_NS6detail17trampoline_kernelINS0_14default_configENS1_27scan_by_key_config_selectorIxxEEZZNS1_16scan_by_key_implILNS1_25lookback_scan_determinismE0ELb0ES3_N6thrust23THRUST_200600_302600_NS6detail15normal_iteratorINS9_10device_ptrIxEEEESE_SE_xNS9_4plusIxEE19head_flag_predicatexEE10hipError_tPvRmT2_T3_T4_T5_mT6_T7_P12ihipStream_tbENKUlT_T0_E_clISt17integral_constantIbLb1EESY_EEDaST_SU_EUlST_E_NS1_11comp_targetILNS1_3genE5ELNS1_11target_archE942ELNS1_3gpuE9ELNS1_3repE0EEENS1_30default_config_static_selectorELNS0_4arch9wavefront6targetE0EEEvT1_.uses_vcc, 0
	.set _ZN7rocprim17ROCPRIM_400000_NS6detail17trampoline_kernelINS0_14default_configENS1_27scan_by_key_config_selectorIxxEEZZNS1_16scan_by_key_implILNS1_25lookback_scan_determinismE0ELb0ES3_N6thrust23THRUST_200600_302600_NS6detail15normal_iteratorINS9_10device_ptrIxEEEESE_SE_xNS9_4plusIxEE19head_flag_predicatexEE10hipError_tPvRmT2_T3_T4_T5_mT6_T7_P12ihipStream_tbENKUlT_T0_E_clISt17integral_constantIbLb1EESY_EEDaST_SU_EUlST_E_NS1_11comp_targetILNS1_3genE5ELNS1_11target_archE942ELNS1_3gpuE9ELNS1_3repE0EEENS1_30default_config_static_selectorELNS0_4arch9wavefront6targetE0EEEvT1_.uses_flat_scratch, 0
	.set _ZN7rocprim17ROCPRIM_400000_NS6detail17trampoline_kernelINS0_14default_configENS1_27scan_by_key_config_selectorIxxEEZZNS1_16scan_by_key_implILNS1_25lookback_scan_determinismE0ELb0ES3_N6thrust23THRUST_200600_302600_NS6detail15normal_iteratorINS9_10device_ptrIxEEEESE_SE_xNS9_4plusIxEE19head_flag_predicatexEE10hipError_tPvRmT2_T3_T4_T5_mT6_T7_P12ihipStream_tbENKUlT_T0_E_clISt17integral_constantIbLb1EESY_EEDaST_SU_EUlST_E_NS1_11comp_targetILNS1_3genE5ELNS1_11target_archE942ELNS1_3gpuE9ELNS1_3repE0EEENS1_30default_config_static_selectorELNS0_4arch9wavefront6targetE0EEEvT1_.has_dyn_sized_stack, 0
	.set _ZN7rocprim17ROCPRIM_400000_NS6detail17trampoline_kernelINS0_14default_configENS1_27scan_by_key_config_selectorIxxEEZZNS1_16scan_by_key_implILNS1_25lookback_scan_determinismE0ELb0ES3_N6thrust23THRUST_200600_302600_NS6detail15normal_iteratorINS9_10device_ptrIxEEEESE_SE_xNS9_4plusIxEE19head_flag_predicatexEE10hipError_tPvRmT2_T3_T4_T5_mT6_T7_P12ihipStream_tbENKUlT_T0_E_clISt17integral_constantIbLb1EESY_EEDaST_SU_EUlST_E_NS1_11comp_targetILNS1_3genE5ELNS1_11target_archE942ELNS1_3gpuE9ELNS1_3repE0EEENS1_30default_config_static_selectorELNS0_4arch9wavefront6targetE0EEEvT1_.has_recursion, 0
	.set _ZN7rocprim17ROCPRIM_400000_NS6detail17trampoline_kernelINS0_14default_configENS1_27scan_by_key_config_selectorIxxEEZZNS1_16scan_by_key_implILNS1_25lookback_scan_determinismE0ELb0ES3_N6thrust23THRUST_200600_302600_NS6detail15normal_iteratorINS9_10device_ptrIxEEEESE_SE_xNS9_4plusIxEE19head_flag_predicatexEE10hipError_tPvRmT2_T3_T4_T5_mT6_T7_P12ihipStream_tbENKUlT_T0_E_clISt17integral_constantIbLb1EESY_EEDaST_SU_EUlST_E_NS1_11comp_targetILNS1_3genE5ELNS1_11target_archE942ELNS1_3gpuE9ELNS1_3repE0EEENS1_30default_config_static_selectorELNS0_4arch9wavefront6targetE0EEEvT1_.has_indirect_call, 0
	.section	.AMDGPU.csdata,"",@progbits
; Kernel info:
; codeLenInByte = 0
; TotalNumSgprs: 0
; NumVgprs: 0
; ScratchSize: 0
; MemoryBound: 0
; FloatMode: 240
; IeeeMode: 1
; LDSByteSize: 0 bytes/workgroup (compile time only)
; SGPRBlocks: 0
; VGPRBlocks: 0
; NumSGPRsForWavesPerEU: 1
; NumVGPRsForWavesPerEU: 1
; NamedBarCnt: 0
; Occupancy: 16
; WaveLimiterHint : 0
; COMPUTE_PGM_RSRC2:SCRATCH_EN: 0
; COMPUTE_PGM_RSRC2:USER_SGPR: 2
; COMPUTE_PGM_RSRC2:TRAP_HANDLER: 0
; COMPUTE_PGM_RSRC2:TGID_X_EN: 1
; COMPUTE_PGM_RSRC2:TGID_Y_EN: 0
; COMPUTE_PGM_RSRC2:TGID_Z_EN: 0
; COMPUTE_PGM_RSRC2:TIDIG_COMP_CNT: 0
	.section	.text._ZN7rocprim17ROCPRIM_400000_NS6detail17trampoline_kernelINS0_14default_configENS1_27scan_by_key_config_selectorIxxEEZZNS1_16scan_by_key_implILNS1_25lookback_scan_determinismE0ELb0ES3_N6thrust23THRUST_200600_302600_NS6detail15normal_iteratorINS9_10device_ptrIxEEEESE_SE_xNS9_4plusIxEE19head_flag_predicatexEE10hipError_tPvRmT2_T3_T4_T5_mT6_T7_P12ihipStream_tbENKUlT_T0_E_clISt17integral_constantIbLb1EESY_EEDaST_SU_EUlST_E_NS1_11comp_targetILNS1_3genE4ELNS1_11target_archE910ELNS1_3gpuE8ELNS1_3repE0EEENS1_30default_config_static_selectorELNS0_4arch9wavefront6targetE0EEEvT1_,"axG",@progbits,_ZN7rocprim17ROCPRIM_400000_NS6detail17trampoline_kernelINS0_14default_configENS1_27scan_by_key_config_selectorIxxEEZZNS1_16scan_by_key_implILNS1_25lookback_scan_determinismE0ELb0ES3_N6thrust23THRUST_200600_302600_NS6detail15normal_iteratorINS9_10device_ptrIxEEEESE_SE_xNS9_4plusIxEE19head_flag_predicatexEE10hipError_tPvRmT2_T3_T4_T5_mT6_T7_P12ihipStream_tbENKUlT_T0_E_clISt17integral_constantIbLb1EESY_EEDaST_SU_EUlST_E_NS1_11comp_targetILNS1_3genE4ELNS1_11target_archE910ELNS1_3gpuE8ELNS1_3repE0EEENS1_30default_config_static_selectorELNS0_4arch9wavefront6targetE0EEEvT1_,comdat
	.protected	_ZN7rocprim17ROCPRIM_400000_NS6detail17trampoline_kernelINS0_14default_configENS1_27scan_by_key_config_selectorIxxEEZZNS1_16scan_by_key_implILNS1_25lookback_scan_determinismE0ELb0ES3_N6thrust23THRUST_200600_302600_NS6detail15normal_iteratorINS9_10device_ptrIxEEEESE_SE_xNS9_4plusIxEE19head_flag_predicatexEE10hipError_tPvRmT2_T3_T4_T5_mT6_T7_P12ihipStream_tbENKUlT_T0_E_clISt17integral_constantIbLb1EESY_EEDaST_SU_EUlST_E_NS1_11comp_targetILNS1_3genE4ELNS1_11target_archE910ELNS1_3gpuE8ELNS1_3repE0EEENS1_30default_config_static_selectorELNS0_4arch9wavefront6targetE0EEEvT1_ ; -- Begin function _ZN7rocprim17ROCPRIM_400000_NS6detail17trampoline_kernelINS0_14default_configENS1_27scan_by_key_config_selectorIxxEEZZNS1_16scan_by_key_implILNS1_25lookback_scan_determinismE0ELb0ES3_N6thrust23THRUST_200600_302600_NS6detail15normal_iteratorINS9_10device_ptrIxEEEESE_SE_xNS9_4plusIxEE19head_flag_predicatexEE10hipError_tPvRmT2_T3_T4_T5_mT6_T7_P12ihipStream_tbENKUlT_T0_E_clISt17integral_constantIbLb1EESY_EEDaST_SU_EUlST_E_NS1_11comp_targetILNS1_3genE4ELNS1_11target_archE910ELNS1_3gpuE8ELNS1_3repE0EEENS1_30default_config_static_selectorELNS0_4arch9wavefront6targetE0EEEvT1_
	.globl	_ZN7rocprim17ROCPRIM_400000_NS6detail17trampoline_kernelINS0_14default_configENS1_27scan_by_key_config_selectorIxxEEZZNS1_16scan_by_key_implILNS1_25lookback_scan_determinismE0ELb0ES3_N6thrust23THRUST_200600_302600_NS6detail15normal_iteratorINS9_10device_ptrIxEEEESE_SE_xNS9_4plusIxEE19head_flag_predicatexEE10hipError_tPvRmT2_T3_T4_T5_mT6_T7_P12ihipStream_tbENKUlT_T0_E_clISt17integral_constantIbLb1EESY_EEDaST_SU_EUlST_E_NS1_11comp_targetILNS1_3genE4ELNS1_11target_archE910ELNS1_3gpuE8ELNS1_3repE0EEENS1_30default_config_static_selectorELNS0_4arch9wavefront6targetE0EEEvT1_
	.p2align	8
	.type	_ZN7rocprim17ROCPRIM_400000_NS6detail17trampoline_kernelINS0_14default_configENS1_27scan_by_key_config_selectorIxxEEZZNS1_16scan_by_key_implILNS1_25lookback_scan_determinismE0ELb0ES3_N6thrust23THRUST_200600_302600_NS6detail15normal_iteratorINS9_10device_ptrIxEEEESE_SE_xNS9_4plusIxEE19head_flag_predicatexEE10hipError_tPvRmT2_T3_T4_T5_mT6_T7_P12ihipStream_tbENKUlT_T0_E_clISt17integral_constantIbLb1EESY_EEDaST_SU_EUlST_E_NS1_11comp_targetILNS1_3genE4ELNS1_11target_archE910ELNS1_3gpuE8ELNS1_3repE0EEENS1_30default_config_static_selectorELNS0_4arch9wavefront6targetE0EEEvT1_,@function
_ZN7rocprim17ROCPRIM_400000_NS6detail17trampoline_kernelINS0_14default_configENS1_27scan_by_key_config_selectorIxxEEZZNS1_16scan_by_key_implILNS1_25lookback_scan_determinismE0ELb0ES3_N6thrust23THRUST_200600_302600_NS6detail15normal_iteratorINS9_10device_ptrIxEEEESE_SE_xNS9_4plusIxEE19head_flag_predicatexEE10hipError_tPvRmT2_T3_T4_T5_mT6_T7_P12ihipStream_tbENKUlT_T0_E_clISt17integral_constantIbLb1EESY_EEDaST_SU_EUlST_E_NS1_11comp_targetILNS1_3genE4ELNS1_11target_archE910ELNS1_3gpuE8ELNS1_3repE0EEENS1_30default_config_static_selectorELNS0_4arch9wavefront6targetE0EEEvT1_: ; @_ZN7rocprim17ROCPRIM_400000_NS6detail17trampoline_kernelINS0_14default_configENS1_27scan_by_key_config_selectorIxxEEZZNS1_16scan_by_key_implILNS1_25lookback_scan_determinismE0ELb0ES3_N6thrust23THRUST_200600_302600_NS6detail15normal_iteratorINS9_10device_ptrIxEEEESE_SE_xNS9_4plusIxEE19head_flag_predicatexEE10hipError_tPvRmT2_T3_T4_T5_mT6_T7_P12ihipStream_tbENKUlT_T0_E_clISt17integral_constantIbLb1EESY_EEDaST_SU_EUlST_E_NS1_11comp_targetILNS1_3genE4ELNS1_11target_archE910ELNS1_3gpuE8ELNS1_3repE0EEENS1_30default_config_static_selectorELNS0_4arch9wavefront6targetE0EEEvT1_
; %bb.0:
	.section	.rodata,"a",@progbits
	.p2align	6, 0x0
	.amdhsa_kernel _ZN7rocprim17ROCPRIM_400000_NS6detail17trampoline_kernelINS0_14default_configENS1_27scan_by_key_config_selectorIxxEEZZNS1_16scan_by_key_implILNS1_25lookback_scan_determinismE0ELb0ES3_N6thrust23THRUST_200600_302600_NS6detail15normal_iteratorINS9_10device_ptrIxEEEESE_SE_xNS9_4plusIxEE19head_flag_predicatexEE10hipError_tPvRmT2_T3_T4_T5_mT6_T7_P12ihipStream_tbENKUlT_T0_E_clISt17integral_constantIbLb1EESY_EEDaST_SU_EUlST_E_NS1_11comp_targetILNS1_3genE4ELNS1_11target_archE910ELNS1_3gpuE8ELNS1_3repE0EEENS1_30default_config_static_selectorELNS0_4arch9wavefront6targetE0EEEvT1_
		.amdhsa_group_segment_fixed_size 0
		.amdhsa_private_segment_fixed_size 0
		.amdhsa_kernarg_size 136
		.amdhsa_user_sgpr_count 2
		.amdhsa_user_sgpr_dispatch_ptr 0
		.amdhsa_user_sgpr_queue_ptr 0
		.amdhsa_user_sgpr_kernarg_segment_ptr 1
		.amdhsa_user_sgpr_dispatch_id 0
		.amdhsa_user_sgpr_kernarg_preload_length 0
		.amdhsa_user_sgpr_kernarg_preload_offset 0
		.amdhsa_user_sgpr_private_segment_size 0
		.amdhsa_wavefront_size32 1
		.amdhsa_uses_dynamic_stack 0
		.amdhsa_enable_private_segment 0
		.amdhsa_system_sgpr_workgroup_id_x 1
		.amdhsa_system_sgpr_workgroup_id_y 0
		.amdhsa_system_sgpr_workgroup_id_z 0
		.amdhsa_system_sgpr_workgroup_info 0
		.amdhsa_system_vgpr_workitem_id 0
		.amdhsa_next_free_vgpr 1
		.amdhsa_next_free_sgpr 1
		.amdhsa_named_barrier_count 0
		.amdhsa_reserve_vcc 0
		.amdhsa_float_round_mode_32 0
		.amdhsa_float_round_mode_16_64 0
		.amdhsa_float_denorm_mode_32 3
		.amdhsa_float_denorm_mode_16_64 3
		.amdhsa_fp16_overflow 0
		.amdhsa_memory_ordered 1
		.amdhsa_forward_progress 1
		.amdhsa_inst_pref_size 0
		.amdhsa_round_robin_scheduling 0
		.amdhsa_exception_fp_ieee_invalid_op 0
		.amdhsa_exception_fp_denorm_src 0
		.amdhsa_exception_fp_ieee_div_zero 0
		.amdhsa_exception_fp_ieee_overflow 0
		.amdhsa_exception_fp_ieee_underflow 0
		.amdhsa_exception_fp_ieee_inexact 0
		.amdhsa_exception_int_div_zero 0
	.end_amdhsa_kernel
	.section	.text._ZN7rocprim17ROCPRIM_400000_NS6detail17trampoline_kernelINS0_14default_configENS1_27scan_by_key_config_selectorIxxEEZZNS1_16scan_by_key_implILNS1_25lookback_scan_determinismE0ELb0ES3_N6thrust23THRUST_200600_302600_NS6detail15normal_iteratorINS9_10device_ptrIxEEEESE_SE_xNS9_4plusIxEE19head_flag_predicatexEE10hipError_tPvRmT2_T3_T4_T5_mT6_T7_P12ihipStream_tbENKUlT_T0_E_clISt17integral_constantIbLb1EESY_EEDaST_SU_EUlST_E_NS1_11comp_targetILNS1_3genE4ELNS1_11target_archE910ELNS1_3gpuE8ELNS1_3repE0EEENS1_30default_config_static_selectorELNS0_4arch9wavefront6targetE0EEEvT1_,"axG",@progbits,_ZN7rocprim17ROCPRIM_400000_NS6detail17trampoline_kernelINS0_14default_configENS1_27scan_by_key_config_selectorIxxEEZZNS1_16scan_by_key_implILNS1_25lookback_scan_determinismE0ELb0ES3_N6thrust23THRUST_200600_302600_NS6detail15normal_iteratorINS9_10device_ptrIxEEEESE_SE_xNS9_4plusIxEE19head_flag_predicatexEE10hipError_tPvRmT2_T3_T4_T5_mT6_T7_P12ihipStream_tbENKUlT_T0_E_clISt17integral_constantIbLb1EESY_EEDaST_SU_EUlST_E_NS1_11comp_targetILNS1_3genE4ELNS1_11target_archE910ELNS1_3gpuE8ELNS1_3repE0EEENS1_30default_config_static_selectorELNS0_4arch9wavefront6targetE0EEEvT1_,comdat
.Lfunc_end689:
	.size	_ZN7rocprim17ROCPRIM_400000_NS6detail17trampoline_kernelINS0_14default_configENS1_27scan_by_key_config_selectorIxxEEZZNS1_16scan_by_key_implILNS1_25lookback_scan_determinismE0ELb0ES3_N6thrust23THRUST_200600_302600_NS6detail15normal_iteratorINS9_10device_ptrIxEEEESE_SE_xNS9_4plusIxEE19head_flag_predicatexEE10hipError_tPvRmT2_T3_T4_T5_mT6_T7_P12ihipStream_tbENKUlT_T0_E_clISt17integral_constantIbLb1EESY_EEDaST_SU_EUlST_E_NS1_11comp_targetILNS1_3genE4ELNS1_11target_archE910ELNS1_3gpuE8ELNS1_3repE0EEENS1_30default_config_static_selectorELNS0_4arch9wavefront6targetE0EEEvT1_, .Lfunc_end689-_ZN7rocprim17ROCPRIM_400000_NS6detail17trampoline_kernelINS0_14default_configENS1_27scan_by_key_config_selectorIxxEEZZNS1_16scan_by_key_implILNS1_25lookback_scan_determinismE0ELb0ES3_N6thrust23THRUST_200600_302600_NS6detail15normal_iteratorINS9_10device_ptrIxEEEESE_SE_xNS9_4plusIxEE19head_flag_predicatexEE10hipError_tPvRmT2_T3_T4_T5_mT6_T7_P12ihipStream_tbENKUlT_T0_E_clISt17integral_constantIbLb1EESY_EEDaST_SU_EUlST_E_NS1_11comp_targetILNS1_3genE4ELNS1_11target_archE910ELNS1_3gpuE8ELNS1_3repE0EEENS1_30default_config_static_selectorELNS0_4arch9wavefront6targetE0EEEvT1_
                                        ; -- End function
	.set _ZN7rocprim17ROCPRIM_400000_NS6detail17trampoline_kernelINS0_14default_configENS1_27scan_by_key_config_selectorIxxEEZZNS1_16scan_by_key_implILNS1_25lookback_scan_determinismE0ELb0ES3_N6thrust23THRUST_200600_302600_NS6detail15normal_iteratorINS9_10device_ptrIxEEEESE_SE_xNS9_4plusIxEE19head_flag_predicatexEE10hipError_tPvRmT2_T3_T4_T5_mT6_T7_P12ihipStream_tbENKUlT_T0_E_clISt17integral_constantIbLb1EESY_EEDaST_SU_EUlST_E_NS1_11comp_targetILNS1_3genE4ELNS1_11target_archE910ELNS1_3gpuE8ELNS1_3repE0EEENS1_30default_config_static_selectorELNS0_4arch9wavefront6targetE0EEEvT1_.num_vgpr, 0
	.set _ZN7rocprim17ROCPRIM_400000_NS6detail17trampoline_kernelINS0_14default_configENS1_27scan_by_key_config_selectorIxxEEZZNS1_16scan_by_key_implILNS1_25lookback_scan_determinismE0ELb0ES3_N6thrust23THRUST_200600_302600_NS6detail15normal_iteratorINS9_10device_ptrIxEEEESE_SE_xNS9_4plusIxEE19head_flag_predicatexEE10hipError_tPvRmT2_T3_T4_T5_mT6_T7_P12ihipStream_tbENKUlT_T0_E_clISt17integral_constantIbLb1EESY_EEDaST_SU_EUlST_E_NS1_11comp_targetILNS1_3genE4ELNS1_11target_archE910ELNS1_3gpuE8ELNS1_3repE0EEENS1_30default_config_static_selectorELNS0_4arch9wavefront6targetE0EEEvT1_.num_agpr, 0
	.set _ZN7rocprim17ROCPRIM_400000_NS6detail17trampoline_kernelINS0_14default_configENS1_27scan_by_key_config_selectorIxxEEZZNS1_16scan_by_key_implILNS1_25lookback_scan_determinismE0ELb0ES3_N6thrust23THRUST_200600_302600_NS6detail15normal_iteratorINS9_10device_ptrIxEEEESE_SE_xNS9_4plusIxEE19head_flag_predicatexEE10hipError_tPvRmT2_T3_T4_T5_mT6_T7_P12ihipStream_tbENKUlT_T0_E_clISt17integral_constantIbLb1EESY_EEDaST_SU_EUlST_E_NS1_11comp_targetILNS1_3genE4ELNS1_11target_archE910ELNS1_3gpuE8ELNS1_3repE0EEENS1_30default_config_static_selectorELNS0_4arch9wavefront6targetE0EEEvT1_.numbered_sgpr, 0
	.set _ZN7rocprim17ROCPRIM_400000_NS6detail17trampoline_kernelINS0_14default_configENS1_27scan_by_key_config_selectorIxxEEZZNS1_16scan_by_key_implILNS1_25lookback_scan_determinismE0ELb0ES3_N6thrust23THRUST_200600_302600_NS6detail15normal_iteratorINS9_10device_ptrIxEEEESE_SE_xNS9_4plusIxEE19head_flag_predicatexEE10hipError_tPvRmT2_T3_T4_T5_mT6_T7_P12ihipStream_tbENKUlT_T0_E_clISt17integral_constantIbLb1EESY_EEDaST_SU_EUlST_E_NS1_11comp_targetILNS1_3genE4ELNS1_11target_archE910ELNS1_3gpuE8ELNS1_3repE0EEENS1_30default_config_static_selectorELNS0_4arch9wavefront6targetE0EEEvT1_.num_named_barrier, 0
	.set _ZN7rocprim17ROCPRIM_400000_NS6detail17trampoline_kernelINS0_14default_configENS1_27scan_by_key_config_selectorIxxEEZZNS1_16scan_by_key_implILNS1_25lookback_scan_determinismE0ELb0ES3_N6thrust23THRUST_200600_302600_NS6detail15normal_iteratorINS9_10device_ptrIxEEEESE_SE_xNS9_4plusIxEE19head_flag_predicatexEE10hipError_tPvRmT2_T3_T4_T5_mT6_T7_P12ihipStream_tbENKUlT_T0_E_clISt17integral_constantIbLb1EESY_EEDaST_SU_EUlST_E_NS1_11comp_targetILNS1_3genE4ELNS1_11target_archE910ELNS1_3gpuE8ELNS1_3repE0EEENS1_30default_config_static_selectorELNS0_4arch9wavefront6targetE0EEEvT1_.private_seg_size, 0
	.set _ZN7rocprim17ROCPRIM_400000_NS6detail17trampoline_kernelINS0_14default_configENS1_27scan_by_key_config_selectorIxxEEZZNS1_16scan_by_key_implILNS1_25lookback_scan_determinismE0ELb0ES3_N6thrust23THRUST_200600_302600_NS6detail15normal_iteratorINS9_10device_ptrIxEEEESE_SE_xNS9_4plusIxEE19head_flag_predicatexEE10hipError_tPvRmT2_T3_T4_T5_mT6_T7_P12ihipStream_tbENKUlT_T0_E_clISt17integral_constantIbLb1EESY_EEDaST_SU_EUlST_E_NS1_11comp_targetILNS1_3genE4ELNS1_11target_archE910ELNS1_3gpuE8ELNS1_3repE0EEENS1_30default_config_static_selectorELNS0_4arch9wavefront6targetE0EEEvT1_.uses_vcc, 0
	.set _ZN7rocprim17ROCPRIM_400000_NS6detail17trampoline_kernelINS0_14default_configENS1_27scan_by_key_config_selectorIxxEEZZNS1_16scan_by_key_implILNS1_25lookback_scan_determinismE0ELb0ES3_N6thrust23THRUST_200600_302600_NS6detail15normal_iteratorINS9_10device_ptrIxEEEESE_SE_xNS9_4plusIxEE19head_flag_predicatexEE10hipError_tPvRmT2_T3_T4_T5_mT6_T7_P12ihipStream_tbENKUlT_T0_E_clISt17integral_constantIbLb1EESY_EEDaST_SU_EUlST_E_NS1_11comp_targetILNS1_3genE4ELNS1_11target_archE910ELNS1_3gpuE8ELNS1_3repE0EEENS1_30default_config_static_selectorELNS0_4arch9wavefront6targetE0EEEvT1_.uses_flat_scratch, 0
	.set _ZN7rocprim17ROCPRIM_400000_NS6detail17trampoline_kernelINS0_14default_configENS1_27scan_by_key_config_selectorIxxEEZZNS1_16scan_by_key_implILNS1_25lookback_scan_determinismE0ELb0ES3_N6thrust23THRUST_200600_302600_NS6detail15normal_iteratorINS9_10device_ptrIxEEEESE_SE_xNS9_4plusIxEE19head_flag_predicatexEE10hipError_tPvRmT2_T3_T4_T5_mT6_T7_P12ihipStream_tbENKUlT_T0_E_clISt17integral_constantIbLb1EESY_EEDaST_SU_EUlST_E_NS1_11comp_targetILNS1_3genE4ELNS1_11target_archE910ELNS1_3gpuE8ELNS1_3repE0EEENS1_30default_config_static_selectorELNS0_4arch9wavefront6targetE0EEEvT1_.has_dyn_sized_stack, 0
	.set _ZN7rocprim17ROCPRIM_400000_NS6detail17trampoline_kernelINS0_14default_configENS1_27scan_by_key_config_selectorIxxEEZZNS1_16scan_by_key_implILNS1_25lookback_scan_determinismE0ELb0ES3_N6thrust23THRUST_200600_302600_NS6detail15normal_iteratorINS9_10device_ptrIxEEEESE_SE_xNS9_4plusIxEE19head_flag_predicatexEE10hipError_tPvRmT2_T3_T4_T5_mT6_T7_P12ihipStream_tbENKUlT_T0_E_clISt17integral_constantIbLb1EESY_EEDaST_SU_EUlST_E_NS1_11comp_targetILNS1_3genE4ELNS1_11target_archE910ELNS1_3gpuE8ELNS1_3repE0EEENS1_30default_config_static_selectorELNS0_4arch9wavefront6targetE0EEEvT1_.has_recursion, 0
	.set _ZN7rocprim17ROCPRIM_400000_NS6detail17trampoline_kernelINS0_14default_configENS1_27scan_by_key_config_selectorIxxEEZZNS1_16scan_by_key_implILNS1_25lookback_scan_determinismE0ELb0ES3_N6thrust23THRUST_200600_302600_NS6detail15normal_iteratorINS9_10device_ptrIxEEEESE_SE_xNS9_4plusIxEE19head_flag_predicatexEE10hipError_tPvRmT2_T3_T4_T5_mT6_T7_P12ihipStream_tbENKUlT_T0_E_clISt17integral_constantIbLb1EESY_EEDaST_SU_EUlST_E_NS1_11comp_targetILNS1_3genE4ELNS1_11target_archE910ELNS1_3gpuE8ELNS1_3repE0EEENS1_30default_config_static_selectorELNS0_4arch9wavefront6targetE0EEEvT1_.has_indirect_call, 0
	.section	.AMDGPU.csdata,"",@progbits
; Kernel info:
; codeLenInByte = 0
; TotalNumSgprs: 0
; NumVgprs: 0
; ScratchSize: 0
; MemoryBound: 0
; FloatMode: 240
; IeeeMode: 1
; LDSByteSize: 0 bytes/workgroup (compile time only)
; SGPRBlocks: 0
; VGPRBlocks: 0
; NumSGPRsForWavesPerEU: 1
; NumVGPRsForWavesPerEU: 1
; NamedBarCnt: 0
; Occupancy: 16
; WaveLimiterHint : 0
; COMPUTE_PGM_RSRC2:SCRATCH_EN: 0
; COMPUTE_PGM_RSRC2:USER_SGPR: 2
; COMPUTE_PGM_RSRC2:TRAP_HANDLER: 0
; COMPUTE_PGM_RSRC2:TGID_X_EN: 1
; COMPUTE_PGM_RSRC2:TGID_Y_EN: 0
; COMPUTE_PGM_RSRC2:TGID_Z_EN: 0
; COMPUTE_PGM_RSRC2:TIDIG_COMP_CNT: 0
	.section	.text._ZN7rocprim17ROCPRIM_400000_NS6detail17trampoline_kernelINS0_14default_configENS1_27scan_by_key_config_selectorIxxEEZZNS1_16scan_by_key_implILNS1_25lookback_scan_determinismE0ELb0ES3_N6thrust23THRUST_200600_302600_NS6detail15normal_iteratorINS9_10device_ptrIxEEEESE_SE_xNS9_4plusIxEE19head_flag_predicatexEE10hipError_tPvRmT2_T3_T4_T5_mT6_T7_P12ihipStream_tbENKUlT_T0_E_clISt17integral_constantIbLb1EESY_EEDaST_SU_EUlST_E_NS1_11comp_targetILNS1_3genE3ELNS1_11target_archE908ELNS1_3gpuE7ELNS1_3repE0EEENS1_30default_config_static_selectorELNS0_4arch9wavefront6targetE0EEEvT1_,"axG",@progbits,_ZN7rocprim17ROCPRIM_400000_NS6detail17trampoline_kernelINS0_14default_configENS1_27scan_by_key_config_selectorIxxEEZZNS1_16scan_by_key_implILNS1_25lookback_scan_determinismE0ELb0ES3_N6thrust23THRUST_200600_302600_NS6detail15normal_iteratorINS9_10device_ptrIxEEEESE_SE_xNS9_4plusIxEE19head_flag_predicatexEE10hipError_tPvRmT2_T3_T4_T5_mT6_T7_P12ihipStream_tbENKUlT_T0_E_clISt17integral_constantIbLb1EESY_EEDaST_SU_EUlST_E_NS1_11comp_targetILNS1_3genE3ELNS1_11target_archE908ELNS1_3gpuE7ELNS1_3repE0EEENS1_30default_config_static_selectorELNS0_4arch9wavefront6targetE0EEEvT1_,comdat
	.protected	_ZN7rocprim17ROCPRIM_400000_NS6detail17trampoline_kernelINS0_14default_configENS1_27scan_by_key_config_selectorIxxEEZZNS1_16scan_by_key_implILNS1_25lookback_scan_determinismE0ELb0ES3_N6thrust23THRUST_200600_302600_NS6detail15normal_iteratorINS9_10device_ptrIxEEEESE_SE_xNS9_4plusIxEE19head_flag_predicatexEE10hipError_tPvRmT2_T3_T4_T5_mT6_T7_P12ihipStream_tbENKUlT_T0_E_clISt17integral_constantIbLb1EESY_EEDaST_SU_EUlST_E_NS1_11comp_targetILNS1_3genE3ELNS1_11target_archE908ELNS1_3gpuE7ELNS1_3repE0EEENS1_30default_config_static_selectorELNS0_4arch9wavefront6targetE0EEEvT1_ ; -- Begin function _ZN7rocprim17ROCPRIM_400000_NS6detail17trampoline_kernelINS0_14default_configENS1_27scan_by_key_config_selectorIxxEEZZNS1_16scan_by_key_implILNS1_25lookback_scan_determinismE0ELb0ES3_N6thrust23THRUST_200600_302600_NS6detail15normal_iteratorINS9_10device_ptrIxEEEESE_SE_xNS9_4plusIxEE19head_flag_predicatexEE10hipError_tPvRmT2_T3_T4_T5_mT6_T7_P12ihipStream_tbENKUlT_T0_E_clISt17integral_constantIbLb1EESY_EEDaST_SU_EUlST_E_NS1_11comp_targetILNS1_3genE3ELNS1_11target_archE908ELNS1_3gpuE7ELNS1_3repE0EEENS1_30default_config_static_selectorELNS0_4arch9wavefront6targetE0EEEvT1_
	.globl	_ZN7rocprim17ROCPRIM_400000_NS6detail17trampoline_kernelINS0_14default_configENS1_27scan_by_key_config_selectorIxxEEZZNS1_16scan_by_key_implILNS1_25lookback_scan_determinismE0ELb0ES3_N6thrust23THRUST_200600_302600_NS6detail15normal_iteratorINS9_10device_ptrIxEEEESE_SE_xNS9_4plusIxEE19head_flag_predicatexEE10hipError_tPvRmT2_T3_T4_T5_mT6_T7_P12ihipStream_tbENKUlT_T0_E_clISt17integral_constantIbLb1EESY_EEDaST_SU_EUlST_E_NS1_11comp_targetILNS1_3genE3ELNS1_11target_archE908ELNS1_3gpuE7ELNS1_3repE0EEENS1_30default_config_static_selectorELNS0_4arch9wavefront6targetE0EEEvT1_
	.p2align	8
	.type	_ZN7rocprim17ROCPRIM_400000_NS6detail17trampoline_kernelINS0_14default_configENS1_27scan_by_key_config_selectorIxxEEZZNS1_16scan_by_key_implILNS1_25lookback_scan_determinismE0ELb0ES3_N6thrust23THRUST_200600_302600_NS6detail15normal_iteratorINS9_10device_ptrIxEEEESE_SE_xNS9_4plusIxEE19head_flag_predicatexEE10hipError_tPvRmT2_T3_T4_T5_mT6_T7_P12ihipStream_tbENKUlT_T0_E_clISt17integral_constantIbLb1EESY_EEDaST_SU_EUlST_E_NS1_11comp_targetILNS1_3genE3ELNS1_11target_archE908ELNS1_3gpuE7ELNS1_3repE0EEENS1_30default_config_static_selectorELNS0_4arch9wavefront6targetE0EEEvT1_,@function
_ZN7rocprim17ROCPRIM_400000_NS6detail17trampoline_kernelINS0_14default_configENS1_27scan_by_key_config_selectorIxxEEZZNS1_16scan_by_key_implILNS1_25lookback_scan_determinismE0ELb0ES3_N6thrust23THRUST_200600_302600_NS6detail15normal_iteratorINS9_10device_ptrIxEEEESE_SE_xNS9_4plusIxEE19head_flag_predicatexEE10hipError_tPvRmT2_T3_T4_T5_mT6_T7_P12ihipStream_tbENKUlT_T0_E_clISt17integral_constantIbLb1EESY_EEDaST_SU_EUlST_E_NS1_11comp_targetILNS1_3genE3ELNS1_11target_archE908ELNS1_3gpuE7ELNS1_3repE0EEENS1_30default_config_static_selectorELNS0_4arch9wavefront6targetE0EEEvT1_: ; @_ZN7rocprim17ROCPRIM_400000_NS6detail17trampoline_kernelINS0_14default_configENS1_27scan_by_key_config_selectorIxxEEZZNS1_16scan_by_key_implILNS1_25lookback_scan_determinismE0ELb0ES3_N6thrust23THRUST_200600_302600_NS6detail15normal_iteratorINS9_10device_ptrIxEEEESE_SE_xNS9_4plusIxEE19head_flag_predicatexEE10hipError_tPvRmT2_T3_T4_T5_mT6_T7_P12ihipStream_tbENKUlT_T0_E_clISt17integral_constantIbLb1EESY_EEDaST_SU_EUlST_E_NS1_11comp_targetILNS1_3genE3ELNS1_11target_archE908ELNS1_3gpuE7ELNS1_3repE0EEENS1_30default_config_static_selectorELNS0_4arch9wavefront6targetE0EEEvT1_
; %bb.0:
	.section	.rodata,"a",@progbits
	.p2align	6, 0x0
	.amdhsa_kernel _ZN7rocprim17ROCPRIM_400000_NS6detail17trampoline_kernelINS0_14default_configENS1_27scan_by_key_config_selectorIxxEEZZNS1_16scan_by_key_implILNS1_25lookback_scan_determinismE0ELb0ES3_N6thrust23THRUST_200600_302600_NS6detail15normal_iteratorINS9_10device_ptrIxEEEESE_SE_xNS9_4plusIxEE19head_flag_predicatexEE10hipError_tPvRmT2_T3_T4_T5_mT6_T7_P12ihipStream_tbENKUlT_T0_E_clISt17integral_constantIbLb1EESY_EEDaST_SU_EUlST_E_NS1_11comp_targetILNS1_3genE3ELNS1_11target_archE908ELNS1_3gpuE7ELNS1_3repE0EEENS1_30default_config_static_selectorELNS0_4arch9wavefront6targetE0EEEvT1_
		.amdhsa_group_segment_fixed_size 0
		.amdhsa_private_segment_fixed_size 0
		.amdhsa_kernarg_size 136
		.amdhsa_user_sgpr_count 2
		.amdhsa_user_sgpr_dispatch_ptr 0
		.amdhsa_user_sgpr_queue_ptr 0
		.amdhsa_user_sgpr_kernarg_segment_ptr 1
		.amdhsa_user_sgpr_dispatch_id 0
		.amdhsa_user_sgpr_kernarg_preload_length 0
		.amdhsa_user_sgpr_kernarg_preload_offset 0
		.amdhsa_user_sgpr_private_segment_size 0
		.amdhsa_wavefront_size32 1
		.amdhsa_uses_dynamic_stack 0
		.amdhsa_enable_private_segment 0
		.amdhsa_system_sgpr_workgroup_id_x 1
		.amdhsa_system_sgpr_workgroup_id_y 0
		.amdhsa_system_sgpr_workgroup_id_z 0
		.amdhsa_system_sgpr_workgroup_info 0
		.amdhsa_system_vgpr_workitem_id 0
		.amdhsa_next_free_vgpr 1
		.amdhsa_next_free_sgpr 1
		.amdhsa_named_barrier_count 0
		.amdhsa_reserve_vcc 0
		.amdhsa_float_round_mode_32 0
		.amdhsa_float_round_mode_16_64 0
		.amdhsa_float_denorm_mode_32 3
		.amdhsa_float_denorm_mode_16_64 3
		.amdhsa_fp16_overflow 0
		.amdhsa_memory_ordered 1
		.amdhsa_forward_progress 1
		.amdhsa_inst_pref_size 0
		.amdhsa_round_robin_scheduling 0
		.amdhsa_exception_fp_ieee_invalid_op 0
		.amdhsa_exception_fp_denorm_src 0
		.amdhsa_exception_fp_ieee_div_zero 0
		.amdhsa_exception_fp_ieee_overflow 0
		.amdhsa_exception_fp_ieee_underflow 0
		.amdhsa_exception_fp_ieee_inexact 0
		.amdhsa_exception_int_div_zero 0
	.end_amdhsa_kernel
	.section	.text._ZN7rocprim17ROCPRIM_400000_NS6detail17trampoline_kernelINS0_14default_configENS1_27scan_by_key_config_selectorIxxEEZZNS1_16scan_by_key_implILNS1_25lookback_scan_determinismE0ELb0ES3_N6thrust23THRUST_200600_302600_NS6detail15normal_iteratorINS9_10device_ptrIxEEEESE_SE_xNS9_4plusIxEE19head_flag_predicatexEE10hipError_tPvRmT2_T3_T4_T5_mT6_T7_P12ihipStream_tbENKUlT_T0_E_clISt17integral_constantIbLb1EESY_EEDaST_SU_EUlST_E_NS1_11comp_targetILNS1_3genE3ELNS1_11target_archE908ELNS1_3gpuE7ELNS1_3repE0EEENS1_30default_config_static_selectorELNS0_4arch9wavefront6targetE0EEEvT1_,"axG",@progbits,_ZN7rocprim17ROCPRIM_400000_NS6detail17trampoline_kernelINS0_14default_configENS1_27scan_by_key_config_selectorIxxEEZZNS1_16scan_by_key_implILNS1_25lookback_scan_determinismE0ELb0ES3_N6thrust23THRUST_200600_302600_NS6detail15normal_iteratorINS9_10device_ptrIxEEEESE_SE_xNS9_4plusIxEE19head_flag_predicatexEE10hipError_tPvRmT2_T3_T4_T5_mT6_T7_P12ihipStream_tbENKUlT_T0_E_clISt17integral_constantIbLb1EESY_EEDaST_SU_EUlST_E_NS1_11comp_targetILNS1_3genE3ELNS1_11target_archE908ELNS1_3gpuE7ELNS1_3repE0EEENS1_30default_config_static_selectorELNS0_4arch9wavefront6targetE0EEEvT1_,comdat
.Lfunc_end690:
	.size	_ZN7rocprim17ROCPRIM_400000_NS6detail17trampoline_kernelINS0_14default_configENS1_27scan_by_key_config_selectorIxxEEZZNS1_16scan_by_key_implILNS1_25lookback_scan_determinismE0ELb0ES3_N6thrust23THRUST_200600_302600_NS6detail15normal_iteratorINS9_10device_ptrIxEEEESE_SE_xNS9_4plusIxEE19head_flag_predicatexEE10hipError_tPvRmT2_T3_T4_T5_mT6_T7_P12ihipStream_tbENKUlT_T0_E_clISt17integral_constantIbLb1EESY_EEDaST_SU_EUlST_E_NS1_11comp_targetILNS1_3genE3ELNS1_11target_archE908ELNS1_3gpuE7ELNS1_3repE0EEENS1_30default_config_static_selectorELNS0_4arch9wavefront6targetE0EEEvT1_, .Lfunc_end690-_ZN7rocprim17ROCPRIM_400000_NS6detail17trampoline_kernelINS0_14default_configENS1_27scan_by_key_config_selectorIxxEEZZNS1_16scan_by_key_implILNS1_25lookback_scan_determinismE0ELb0ES3_N6thrust23THRUST_200600_302600_NS6detail15normal_iteratorINS9_10device_ptrIxEEEESE_SE_xNS9_4plusIxEE19head_flag_predicatexEE10hipError_tPvRmT2_T3_T4_T5_mT6_T7_P12ihipStream_tbENKUlT_T0_E_clISt17integral_constantIbLb1EESY_EEDaST_SU_EUlST_E_NS1_11comp_targetILNS1_3genE3ELNS1_11target_archE908ELNS1_3gpuE7ELNS1_3repE0EEENS1_30default_config_static_selectorELNS0_4arch9wavefront6targetE0EEEvT1_
                                        ; -- End function
	.set _ZN7rocprim17ROCPRIM_400000_NS6detail17trampoline_kernelINS0_14default_configENS1_27scan_by_key_config_selectorIxxEEZZNS1_16scan_by_key_implILNS1_25lookback_scan_determinismE0ELb0ES3_N6thrust23THRUST_200600_302600_NS6detail15normal_iteratorINS9_10device_ptrIxEEEESE_SE_xNS9_4plusIxEE19head_flag_predicatexEE10hipError_tPvRmT2_T3_T4_T5_mT6_T7_P12ihipStream_tbENKUlT_T0_E_clISt17integral_constantIbLb1EESY_EEDaST_SU_EUlST_E_NS1_11comp_targetILNS1_3genE3ELNS1_11target_archE908ELNS1_3gpuE7ELNS1_3repE0EEENS1_30default_config_static_selectorELNS0_4arch9wavefront6targetE0EEEvT1_.num_vgpr, 0
	.set _ZN7rocprim17ROCPRIM_400000_NS6detail17trampoline_kernelINS0_14default_configENS1_27scan_by_key_config_selectorIxxEEZZNS1_16scan_by_key_implILNS1_25lookback_scan_determinismE0ELb0ES3_N6thrust23THRUST_200600_302600_NS6detail15normal_iteratorINS9_10device_ptrIxEEEESE_SE_xNS9_4plusIxEE19head_flag_predicatexEE10hipError_tPvRmT2_T3_T4_T5_mT6_T7_P12ihipStream_tbENKUlT_T0_E_clISt17integral_constantIbLb1EESY_EEDaST_SU_EUlST_E_NS1_11comp_targetILNS1_3genE3ELNS1_11target_archE908ELNS1_3gpuE7ELNS1_3repE0EEENS1_30default_config_static_selectorELNS0_4arch9wavefront6targetE0EEEvT1_.num_agpr, 0
	.set _ZN7rocprim17ROCPRIM_400000_NS6detail17trampoline_kernelINS0_14default_configENS1_27scan_by_key_config_selectorIxxEEZZNS1_16scan_by_key_implILNS1_25lookback_scan_determinismE0ELb0ES3_N6thrust23THRUST_200600_302600_NS6detail15normal_iteratorINS9_10device_ptrIxEEEESE_SE_xNS9_4plusIxEE19head_flag_predicatexEE10hipError_tPvRmT2_T3_T4_T5_mT6_T7_P12ihipStream_tbENKUlT_T0_E_clISt17integral_constantIbLb1EESY_EEDaST_SU_EUlST_E_NS1_11comp_targetILNS1_3genE3ELNS1_11target_archE908ELNS1_3gpuE7ELNS1_3repE0EEENS1_30default_config_static_selectorELNS0_4arch9wavefront6targetE0EEEvT1_.numbered_sgpr, 0
	.set _ZN7rocprim17ROCPRIM_400000_NS6detail17trampoline_kernelINS0_14default_configENS1_27scan_by_key_config_selectorIxxEEZZNS1_16scan_by_key_implILNS1_25lookback_scan_determinismE0ELb0ES3_N6thrust23THRUST_200600_302600_NS6detail15normal_iteratorINS9_10device_ptrIxEEEESE_SE_xNS9_4plusIxEE19head_flag_predicatexEE10hipError_tPvRmT2_T3_T4_T5_mT6_T7_P12ihipStream_tbENKUlT_T0_E_clISt17integral_constantIbLb1EESY_EEDaST_SU_EUlST_E_NS1_11comp_targetILNS1_3genE3ELNS1_11target_archE908ELNS1_3gpuE7ELNS1_3repE0EEENS1_30default_config_static_selectorELNS0_4arch9wavefront6targetE0EEEvT1_.num_named_barrier, 0
	.set _ZN7rocprim17ROCPRIM_400000_NS6detail17trampoline_kernelINS0_14default_configENS1_27scan_by_key_config_selectorIxxEEZZNS1_16scan_by_key_implILNS1_25lookback_scan_determinismE0ELb0ES3_N6thrust23THRUST_200600_302600_NS6detail15normal_iteratorINS9_10device_ptrIxEEEESE_SE_xNS9_4plusIxEE19head_flag_predicatexEE10hipError_tPvRmT2_T3_T4_T5_mT6_T7_P12ihipStream_tbENKUlT_T0_E_clISt17integral_constantIbLb1EESY_EEDaST_SU_EUlST_E_NS1_11comp_targetILNS1_3genE3ELNS1_11target_archE908ELNS1_3gpuE7ELNS1_3repE0EEENS1_30default_config_static_selectorELNS0_4arch9wavefront6targetE0EEEvT1_.private_seg_size, 0
	.set _ZN7rocprim17ROCPRIM_400000_NS6detail17trampoline_kernelINS0_14default_configENS1_27scan_by_key_config_selectorIxxEEZZNS1_16scan_by_key_implILNS1_25lookback_scan_determinismE0ELb0ES3_N6thrust23THRUST_200600_302600_NS6detail15normal_iteratorINS9_10device_ptrIxEEEESE_SE_xNS9_4plusIxEE19head_flag_predicatexEE10hipError_tPvRmT2_T3_T4_T5_mT6_T7_P12ihipStream_tbENKUlT_T0_E_clISt17integral_constantIbLb1EESY_EEDaST_SU_EUlST_E_NS1_11comp_targetILNS1_3genE3ELNS1_11target_archE908ELNS1_3gpuE7ELNS1_3repE0EEENS1_30default_config_static_selectorELNS0_4arch9wavefront6targetE0EEEvT1_.uses_vcc, 0
	.set _ZN7rocprim17ROCPRIM_400000_NS6detail17trampoline_kernelINS0_14default_configENS1_27scan_by_key_config_selectorIxxEEZZNS1_16scan_by_key_implILNS1_25lookback_scan_determinismE0ELb0ES3_N6thrust23THRUST_200600_302600_NS6detail15normal_iteratorINS9_10device_ptrIxEEEESE_SE_xNS9_4plusIxEE19head_flag_predicatexEE10hipError_tPvRmT2_T3_T4_T5_mT6_T7_P12ihipStream_tbENKUlT_T0_E_clISt17integral_constantIbLb1EESY_EEDaST_SU_EUlST_E_NS1_11comp_targetILNS1_3genE3ELNS1_11target_archE908ELNS1_3gpuE7ELNS1_3repE0EEENS1_30default_config_static_selectorELNS0_4arch9wavefront6targetE0EEEvT1_.uses_flat_scratch, 0
	.set _ZN7rocprim17ROCPRIM_400000_NS6detail17trampoline_kernelINS0_14default_configENS1_27scan_by_key_config_selectorIxxEEZZNS1_16scan_by_key_implILNS1_25lookback_scan_determinismE0ELb0ES3_N6thrust23THRUST_200600_302600_NS6detail15normal_iteratorINS9_10device_ptrIxEEEESE_SE_xNS9_4plusIxEE19head_flag_predicatexEE10hipError_tPvRmT2_T3_T4_T5_mT6_T7_P12ihipStream_tbENKUlT_T0_E_clISt17integral_constantIbLb1EESY_EEDaST_SU_EUlST_E_NS1_11comp_targetILNS1_3genE3ELNS1_11target_archE908ELNS1_3gpuE7ELNS1_3repE0EEENS1_30default_config_static_selectorELNS0_4arch9wavefront6targetE0EEEvT1_.has_dyn_sized_stack, 0
	.set _ZN7rocprim17ROCPRIM_400000_NS6detail17trampoline_kernelINS0_14default_configENS1_27scan_by_key_config_selectorIxxEEZZNS1_16scan_by_key_implILNS1_25lookback_scan_determinismE0ELb0ES3_N6thrust23THRUST_200600_302600_NS6detail15normal_iteratorINS9_10device_ptrIxEEEESE_SE_xNS9_4plusIxEE19head_flag_predicatexEE10hipError_tPvRmT2_T3_T4_T5_mT6_T7_P12ihipStream_tbENKUlT_T0_E_clISt17integral_constantIbLb1EESY_EEDaST_SU_EUlST_E_NS1_11comp_targetILNS1_3genE3ELNS1_11target_archE908ELNS1_3gpuE7ELNS1_3repE0EEENS1_30default_config_static_selectorELNS0_4arch9wavefront6targetE0EEEvT1_.has_recursion, 0
	.set _ZN7rocprim17ROCPRIM_400000_NS6detail17trampoline_kernelINS0_14default_configENS1_27scan_by_key_config_selectorIxxEEZZNS1_16scan_by_key_implILNS1_25lookback_scan_determinismE0ELb0ES3_N6thrust23THRUST_200600_302600_NS6detail15normal_iteratorINS9_10device_ptrIxEEEESE_SE_xNS9_4plusIxEE19head_flag_predicatexEE10hipError_tPvRmT2_T3_T4_T5_mT6_T7_P12ihipStream_tbENKUlT_T0_E_clISt17integral_constantIbLb1EESY_EEDaST_SU_EUlST_E_NS1_11comp_targetILNS1_3genE3ELNS1_11target_archE908ELNS1_3gpuE7ELNS1_3repE0EEENS1_30default_config_static_selectorELNS0_4arch9wavefront6targetE0EEEvT1_.has_indirect_call, 0
	.section	.AMDGPU.csdata,"",@progbits
; Kernel info:
; codeLenInByte = 0
; TotalNumSgprs: 0
; NumVgprs: 0
; ScratchSize: 0
; MemoryBound: 0
; FloatMode: 240
; IeeeMode: 1
; LDSByteSize: 0 bytes/workgroup (compile time only)
; SGPRBlocks: 0
; VGPRBlocks: 0
; NumSGPRsForWavesPerEU: 1
; NumVGPRsForWavesPerEU: 1
; NamedBarCnt: 0
; Occupancy: 16
; WaveLimiterHint : 0
; COMPUTE_PGM_RSRC2:SCRATCH_EN: 0
; COMPUTE_PGM_RSRC2:USER_SGPR: 2
; COMPUTE_PGM_RSRC2:TRAP_HANDLER: 0
; COMPUTE_PGM_RSRC2:TGID_X_EN: 1
; COMPUTE_PGM_RSRC2:TGID_Y_EN: 0
; COMPUTE_PGM_RSRC2:TGID_Z_EN: 0
; COMPUTE_PGM_RSRC2:TIDIG_COMP_CNT: 0
	.section	.text._ZN7rocprim17ROCPRIM_400000_NS6detail17trampoline_kernelINS0_14default_configENS1_27scan_by_key_config_selectorIxxEEZZNS1_16scan_by_key_implILNS1_25lookback_scan_determinismE0ELb0ES3_N6thrust23THRUST_200600_302600_NS6detail15normal_iteratorINS9_10device_ptrIxEEEESE_SE_xNS9_4plusIxEE19head_flag_predicatexEE10hipError_tPvRmT2_T3_T4_T5_mT6_T7_P12ihipStream_tbENKUlT_T0_E_clISt17integral_constantIbLb1EESY_EEDaST_SU_EUlST_E_NS1_11comp_targetILNS1_3genE2ELNS1_11target_archE906ELNS1_3gpuE6ELNS1_3repE0EEENS1_30default_config_static_selectorELNS0_4arch9wavefront6targetE0EEEvT1_,"axG",@progbits,_ZN7rocprim17ROCPRIM_400000_NS6detail17trampoline_kernelINS0_14default_configENS1_27scan_by_key_config_selectorIxxEEZZNS1_16scan_by_key_implILNS1_25lookback_scan_determinismE0ELb0ES3_N6thrust23THRUST_200600_302600_NS6detail15normal_iteratorINS9_10device_ptrIxEEEESE_SE_xNS9_4plusIxEE19head_flag_predicatexEE10hipError_tPvRmT2_T3_T4_T5_mT6_T7_P12ihipStream_tbENKUlT_T0_E_clISt17integral_constantIbLb1EESY_EEDaST_SU_EUlST_E_NS1_11comp_targetILNS1_3genE2ELNS1_11target_archE906ELNS1_3gpuE6ELNS1_3repE0EEENS1_30default_config_static_selectorELNS0_4arch9wavefront6targetE0EEEvT1_,comdat
	.protected	_ZN7rocprim17ROCPRIM_400000_NS6detail17trampoline_kernelINS0_14default_configENS1_27scan_by_key_config_selectorIxxEEZZNS1_16scan_by_key_implILNS1_25lookback_scan_determinismE0ELb0ES3_N6thrust23THRUST_200600_302600_NS6detail15normal_iteratorINS9_10device_ptrIxEEEESE_SE_xNS9_4plusIxEE19head_flag_predicatexEE10hipError_tPvRmT2_T3_T4_T5_mT6_T7_P12ihipStream_tbENKUlT_T0_E_clISt17integral_constantIbLb1EESY_EEDaST_SU_EUlST_E_NS1_11comp_targetILNS1_3genE2ELNS1_11target_archE906ELNS1_3gpuE6ELNS1_3repE0EEENS1_30default_config_static_selectorELNS0_4arch9wavefront6targetE0EEEvT1_ ; -- Begin function _ZN7rocprim17ROCPRIM_400000_NS6detail17trampoline_kernelINS0_14default_configENS1_27scan_by_key_config_selectorIxxEEZZNS1_16scan_by_key_implILNS1_25lookback_scan_determinismE0ELb0ES3_N6thrust23THRUST_200600_302600_NS6detail15normal_iteratorINS9_10device_ptrIxEEEESE_SE_xNS9_4plusIxEE19head_flag_predicatexEE10hipError_tPvRmT2_T3_T4_T5_mT6_T7_P12ihipStream_tbENKUlT_T0_E_clISt17integral_constantIbLb1EESY_EEDaST_SU_EUlST_E_NS1_11comp_targetILNS1_3genE2ELNS1_11target_archE906ELNS1_3gpuE6ELNS1_3repE0EEENS1_30default_config_static_selectorELNS0_4arch9wavefront6targetE0EEEvT1_
	.globl	_ZN7rocprim17ROCPRIM_400000_NS6detail17trampoline_kernelINS0_14default_configENS1_27scan_by_key_config_selectorIxxEEZZNS1_16scan_by_key_implILNS1_25lookback_scan_determinismE0ELb0ES3_N6thrust23THRUST_200600_302600_NS6detail15normal_iteratorINS9_10device_ptrIxEEEESE_SE_xNS9_4plusIxEE19head_flag_predicatexEE10hipError_tPvRmT2_T3_T4_T5_mT6_T7_P12ihipStream_tbENKUlT_T0_E_clISt17integral_constantIbLb1EESY_EEDaST_SU_EUlST_E_NS1_11comp_targetILNS1_3genE2ELNS1_11target_archE906ELNS1_3gpuE6ELNS1_3repE0EEENS1_30default_config_static_selectorELNS0_4arch9wavefront6targetE0EEEvT1_
	.p2align	8
	.type	_ZN7rocprim17ROCPRIM_400000_NS6detail17trampoline_kernelINS0_14default_configENS1_27scan_by_key_config_selectorIxxEEZZNS1_16scan_by_key_implILNS1_25lookback_scan_determinismE0ELb0ES3_N6thrust23THRUST_200600_302600_NS6detail15normal_iteratorINS9_10device_ptrIxEEEESE_SE_xNS9_4plusIxEE19head_flag_predicatexEE10hipError_tPvRmT2_T3_T4_T5_mT6_T7_P12ihipStream_tbENKUlT_T0_E_clISt17integral_constantIbLb1EESY_EEDaST_SU_EUlST_E_NS1_11comp_targetILNS1_3genE2ELNS1_11target_archE906ELNS1_3gpuE6ELNS1_3repE0EEENS1_30default_config_static_selectorELNS0_4arch9wavefront6targetE0EEEvT1_,@function
_ZN7rocprim17ROCPRIM_400000_NS6detail17trampoline_kernelINS0_14default_configENS1_27scan_by_key_config_selectorIxxEEZZNS1_16scan_by_key_implILNS1_25lookback_scan_determinismE0ELb0ES3_N6thrust23THRUST_200600_302600_NS6detail15normal_iteratorINS9_10device_ptrIxEEEESE_SE_xNS9_4plusIxEE19head_flag_predicatexEE10hipError_tPvRmT2_T3_T4_T5_mT6_T7_P12ihipStream_tbENKUlT_T0_E_clISt17integral_constantIbLb1EESY_EEDaST_SU_EUlST_E_NS1_11comp_targetILNS1_3genE2ELNS1_11target_archE906ELNS1_3gpuE6ELNS1_3repE0EEENS1_30default_config_static_selectorELNS0_4arch9wavefront6targetE0EEEvT1_: ; @_ZN7rocprim17ROCPRIM_400000_NS6detail17trampoline_kernelINS0_14default_configENS1_27scan_by_key_config_selectorIxxEEZZNS1_16scan_by_key_implILNS1_25lookback_scan_determinismE0ELb0ES3_N6thrust23THRUST_200600_302600_NS6detail15normal_iteratorINS9_10device_ptrIxEEEESE_SE_xNS9_4plusIxEE19head_flag_predicatexEE10hipError_tPvRmT2_T3_T4_T5_mT6_T7_P12ihipStream_tbENKUlT_T0_E_clISt17integral_constantIbLb1EESY_EEDaST_SU_EUlST_E_NS1_11comp_targetILNS1_3genE2ELNS1_11target_archE906ELNS1_3gpuE6ELNS1_3repE0EEENS1_30default_config_static_selectorELNS0_4arch9wavefront6targetE0EEEvT1_
; %bb.0:
	.section	.rodata,"a",@progbits
	.p2align	6, 0x0
	.amdhsa_kernel _ZN7rocprim17ROCPRIM_400000_NS6detail17trampoline_kernelINS0_14default_configENS1_27scan_by_key_config_selectorIxxEEZZNS1_16scan_by_key_implILNS1_25lookback_scan_determinismE0ELb0ES3_N6thrust23THRUST_200600_302600_NS6detail15normal_iteratorINS9_10device_ptrIxEEEESE_SE_xNS9_4plusIxEE19head_flag_predicatexEE10hipError_tPvRmT2_T3_T4_T5_mT6_T7_P12ihipStream_tbENKUlT_T0_E_clISt17integral_constantIbLb1EESY_EEDaST_SU_EUlST_E_NS1_11comp_targetILNS1_3genE2ELNS1_11target_archE906ELNS1_3gpuE6ELNS1_3repE0EEENS1_30default_config_static_selectorELNS0_4arch9wavefront6targetE0EEEvT1_
		.amdhsa_group_segment_fixed_size 0
		.amdhsa_private_segment_fixed_size 0
		.amdhsa_kernarg_size 136
		.amdhsa_user_sgpr_count 2
		.amdhsa_user_sgpr_dispatch_ptr 0
		.amdhsa_user_sgpr_queue_ptr 0
		.amdhsa_user_sgpr_kernarg_segment_ptr 1
		.amdhsa_user_sgpr_dispatch_id 0
		.amdhsa_user_sgpr_kernarg_preload_length 0
		.amdhsa_user_sgpr_kernarg_preload_offset 0
		.amdhsa_user_sgpr_private_segment_size 0
		.amdhsa_wavefront_size32 1
		.amdhsa_uses_dynamic_stack 0
		.amdhsa_enable_private_segment 0
		.amdhsa_system_sgpr_workgroup_id_x 1
		.amdhsa_system_sgpr_workgroup_id_y 0
		.amdhsa_system_sgpr_workgroup_id_z 0
		.amdhsa_system_sgpr_workgroup_info 0
		.amdhsa_system_vgpr_workitem_id 0
		.amdhsa_next_free_vgpr 1
		.amdhsa_next_free_sgpr 1
		.amdhsa_named_barrier_count 0
		.amdhsa_reserve_vcc 0
		.amdhsa_float_round_mode_32 0
		.amdhsa_float_round_mode_16_64 0
		.amdhsa_float_denorm_mode_32 3
		.amdhsa_float_denorm_mode_16_64 3
		.amdhsa_fp16_overflow 0
		.amdhsa_memory_ordered 1
		.amdhsa_forward_progress 1
		.amdhsa_inst_pref_size 0
		.amdhsa_round_robin_scheduling 0
		.amdhsa_exception_fp_ieee_invalid_op 0
		.amdhsa_exception_fp_denorm_src 0
		.amdhsa_exception_fp_ieee_div_zero 0
		.amdhsa_exception_fp_ieee_overflow 0
		.amdhsa_exception_fp_ieee_underflow 0
		.amdhsa_exception_fp_ieee_inexact 0
		.amdhsa_exception_int_div_zero 0
	.end_amdhsa_kernel
	.section	.text._ZN7rocprim17ROCPRIM_400000_NS6detail17trampoline_kernelINS0_14default_configENS1_27scan_by_key_config_selectorIxxEEZZNS1_16scan_by_key_implILNS1_25lookback_scan_determinismE0ELb0ES3_N6thrust23THRUST_200600_302600_NS6detail15normal_iteratorINS9_10device_ptrIxEEEESE_SE_xNS9_4plusIxEE19head_flag_predicatexEE10hipError_tPvRmT2_T3_T4_T5_mT6_T7_P12ihipStream_tbENKUlT_T0_E_clISt17integral_constantIbLb1EESY_EEDaST_SU_EUlST_E_NS1_11comp_targetILNS1_3genE2ELNS1_11target_archE906ELNS1_3gpuE6ELNS1_3repE0EEENS1_30default_config_static_selectorELNS0_4arch9wavefront6targetE0EEEvT1_,"axG",@progbits,_ZN7rocprim17ROCPRIM_400000_NS6detail17trampoline_kernelINS0_14default_configENS1_27scan_by_key_config_selectorIxxEEZZNS1_16scan_by_key_implILNS1_25lookback_scan_determinismE0ELb0ES3_N6thrust23THRUST_200600_302600_NS6detail15normal_iteratorINS9_10device_ptrIxEEEESE_SE_xNS9_4plusIxEE19head_flag_predicatexEE10hipError_tPvRmT2_T3_T4_T5_mT6_T7_P12ihipStream_tbENKUlT_T0_E_clISt17integral_constantIbLb1EESY_EEDaST_SU_EUlST_E_NS1_11comp_targetILNS1_3genE2ELNS1_11target_archE906ELNS1_3gpuE6ELNS1_3repE0EEENS1_30default_config_static_selectorELNS0_4arch9wavefront6targetE0EEEvT1_,comdat
.Lfunc_end691:
	.size	_ZN7rocprim17ROCPRIM_400000_NS6detail17trampoline_kernelINS0_14default_configENS1_27scan_by_key_config_selectorIxxEEZZNS1_16scan_by_key_implILNS1_25lookback_scan_determinismE0ELb0ES3_N6thrust23THRUST_200600_302600_NS6detail15normal_iteratorINS9_10device_ptrIxEEEESE_SE_xNS9_4plusIxEE19head_flag_predicatexEE10hipError_tPvRmT2_T3_T4_T5_mT6_T7_P12ihipStream_tbENKUlT_T0_E_clISt17integral_constantIbLb1EESY_EEDaST_SU_EUlST_E_NS1_11comp_targetILNS1_3genE2ELNS1_11target_archE906ELNS1_3gpuE6ELNS1_3repE0EEENS1_30default_config_static_selectorELNS0_4arch9wavefront6targetE0EEEvT1_, .Lfunc_end691-_ZN7rocprim17ROCPRIM_400000_NS6detail17trampoline_kernelINS0_14default_configENS1_27scan_by_key_config_selectorIxxEEZZNS1_16scan_by_key_implILNS1_25lookback_scan_determinismE0ELb0ES3_N6thrust23THRUST_200600_302600_NS6detail15normal_iteratorINS9_10device_ptrIxEEEESE_SE_xNS9_4plusIxEE19head_flag_predicatexEE10hipError_tPvRmT2_T3_T4_T5_mT6_T7_P12ihipStream_tbENKUlT_T0_E_clISt17integral_constantIbLb1EESY_EEDaST_SU_EUlST_E_NS1_11comp_targetILNS1_3genE2ELNS1_11target_archE906ELNS1_3gpuE6ELNS1_3repE0EEENS1_30default_config_static_selectorELNS0_4arch9wavefront6targetE0EEEvT1_
                                        ; -- End function
	.set _ZN7rocprim17ROCPRIM_400000_NS6detail17trampoline_kernelINS0_14default_configENS1_27scan_by_key_config_selectorIxxEEZZNS1_16scan_by_key_implILNS1_25lookback_scan_determinismE0ELb0ES3_N6thrust23THRUST_200600_302600_NS6detail15normal_iteratorINS9_10device_ptrIxEEEESE_SE_xNS9_4plusIxEE19head_flag_predicatexEE10hipError_tPvRmT2_T3_T4_T5_mT6_T7_P12ihipStream_tbENKUlT_T0_E_clISt17integral_constantIbLb1EESY_EEDaST_SU_EUlST_E_NS1_11comp_targetILNS1_3genE2ELNS1_11target_archE906ELNS1_3gpuE6ELNS1_3repE0EEENS1_30default_config_static_selectorELNS0_4arch9wavefront6targetE0EEEvT1_.num_vgpr, 0
	.set _ZN7rocprim17ROCPRIM_400000_NS6detail17trampoline_kernelINS0_14default_configENS1_27scan_by_key_config_selectorIxxEEZZNS1_16scan_by_key_implILNS1_25lookback_scan_determinismE0ELb0ES3_N6thrust23THRUST_200600_302600_NS6detail15normal_iteratorINS9_10device_ptrIxEEEESE_SE_xNS9_4plusIxEE19head_flag_predicatexEE10hipError_tPvRmT2_T3_T4_T5_mT6_T7_P12ihipStream_tbENKUlT_T0_E_clISt17integral_constantIbLb1EESY_EEDaST_SU_EUlST_E_NS1_11comp_targetILNS1_3genE2ELNS1_11target_archE906ELNS1_3gpuE6ELNS1_3repE0EEENS1_30default_config_static_selectorELNS0_4arch9wavefront6targetE0EEEvT1_.num_agpr, 0
	.set _ZN7rocprim17ROCPRIM_400000_NS6detail17trampoline_kernelINS0_14default_configENS1_27scan_by_key_config_selectorIxxEEZZNS1_16scan_by_key_implILNS1_25lookback_scan_determinismE0ELb0ES3_N6thrust23THRUST_200600_302600_NS6detail15normal_iteratorINS9_10device_ptrIxEEEESE_SE_xNS9_4plusIxEE19head_flag_predicatexEE10hipError_tPvRmT2_T3_T4_T5_mT6_T7_P12ihipStream_tbENKUlT_T0_E_clISt17integral_constantIbLb1EESY_EEDaST_SU_EUlST_E_NS1_11comp_targetILNS1_3genE2ELNS1_11target_archE906ELNS1_3gpuE6ELNS1_3repE0EEENS1_30default_config_static_selectorELNS0_4arch9wavefront6targetE0EEEvT1_.numbered_sgpr, 0
	.set _ZN7rocprim17ROCPRIM_400000_NS6detail17trampoline_kernelINS0_14default_configENS1_27scan_by_key_config_selectorIxxEEZZNS1_16scan_by_key_implILNS1_25lookback_scan_determinismE0ELb0ES3_N6thrust23THRUST_200600_302600_NS6detail15normal_iteratorINS9_10device_ptrIxEEEESE_SE_xNS9_4plusIxEE19head_flag_predicatexEE10hipError_tPvRmT2_T3_T4_T5_mT6_T7_P12ihipStream_tbENKUlT_T0_E_clISt17integral_constantIbLb1EESY_EEDaST_SU_EUlST_E_NS1_11comp_targetILNS1_3genE2ELNS1_11target_archE906ELNS1_3gpuE6ELNS1_3repE0EEENS1_30default_config_static_selectorELNS0_4arch9wavefront6targetE0EEEvT1_.num_named_barrier, 0
	.set _ZN7rocprim17ROCPRIM_400000_NS6detail17trampoline_kernelINS0_14default_configENS1_27scan_by_key_config_selectorIxxEEZZNS1_16scan_by_key_implILNS1_25lookback_scan_determinismE0ELb0ES3_N6thrust23THRUST_200600_302600_NS6detail15normal_iteratorINS9_10device_ptrIxEEEESE_SE_xNS9_4plusIxEE19head_flag_predicatexEE10hipError_tPvRmT2_T3_T4_T5_mT6_T7_P12ihipStream_tbENKUlT_T0_E_clISt17integral_constantIbLb1EESY_EEDaST_SU_EUlST_E_NS1_11comp_targetILNS1_3genE2ELNS1_11target_archE906ELNS1_3gpuE6ELNS1_3repE0EEENS1_30default_config_static_selectorELNS0_4arch9wavefront6targetE0EEEvT1_.private_seg_size, 0
	.set _ZN7rocprim17ROCPRIM_400000_NS6detail17trampoline_kernelINS0_14default_configENS1_27scan_by_key_config_selectorIxxEEZZNS1_16scan_by_key_implILNS1_25lookback_scan_determinismE0ELb0ES3_N6thrust23THRUST_200600_302600_NS6detail15normal_iteratorINS9_10device_ptrIxEEEESE_SE_xNS9_4plusIxEE19head_flag_predicatexEE10hipError_tPvRmT2_T3_T4_T5_mT6_T7_P12ihipStream_tbENKUlT_T0_E_clISt17integral_constantIbLb1EESY_EEDaST_SU_EUlST_E_NS1_11comp_targetILNS1_3genE2ELNS1_11target_archE906ELNS1_3gpuE6ELNS1_3repE0EEENS1_30default_config_static_selectorELNS0_4arch9wavefront6targetE0EEEvT1_.uses_vcc, 0
	.set _ZN7rocprim17ROCPRIM_400000_NS6detail17trampoline_kernelINS0_14default_configENS1_27scan_by_key_config_selectorIxxEEZZNS1_16scan_by_key_implILNS1_25lookback_scan_determinismE0ELb0ES3_N6thrust23THRUST_200600_302600_NS6detail15normal_iteratorINS9_10device_ptrIxEEEESE_SE_xNS9_4plusIxEE19head_flag_predicatexEE10hipError_tPvRmT2_T3_T4_T5_mT6_T7_P12ihipStream_tbENKUlT_T0_E_clISt17integral_constantIbLb1EESY_EEDaST_SU_EUlST_E_NS1_11comp_targetILNS1_3genE2ELNS1_11target_archE906ELNS1_3gpuE6ELNS1_3repE0EEENS1_30default_config_static_selectorELNS0_4arch9wavefront6targetE0EEEvT1_.uses_flat_scratch, 0
	.set _ZN7rocprim17ROCPRIM_400000_NS6detail17trampoline_kernelINS0_14default_configENS1_27scan_by_key_config_selectorIxxEEZZNS1_16scan_by_key_implILNS1_25lookback_scan_determinismE0ELb0ES3_N6thrust23THRUST_200600_302600_NS6detail15normal_iteratorINS9_10device_ptrIxEEEESE_SE_xNS9_4plusIxEE19head_flag_predicatexEE10hipError_tPvRmT2_T3_T4_T5_mT6_T7_P12ihipStream_tbENKUlT_T0_E_clISt17integral_constantIbLb1EESY_EEDaST_SU_EUlST_E_NS1_11comp_targetILNS1_3genE2ELNS1_11target_archE906ELNS1_3gpuE6ELNS1_3repE0EEENS1_30default_config_static_selectorELNS0_4arch9wavefront6targetE0EEEvT1_.has_dyn_sized_stack, 0
	.set _ZN7rocprim17ROCPRIM_400000_NS6detail17trampoline_kernelINS0_14default_configENS1_27scan_by_key_config_selectorIxxEEZZNS1_16scan_by_key_implILNS1_25lookback_scan_determinismE0ELb0ES3_N6thrust23THRUST_200600_302600_NS6detail15normal_iteratorINS9_10device_ptrIxEEEESE_SE_xNS9_4plusIxEE19head_flag_predicatexEE10hipError_tPvRmT2_T3_T4_T5_mT6_T7_P12ihipStream_tbENKUlT_T0_E_clISt17integral_constantIbLb1EESY_EEDaST_SU_EUlST_E_NS1_11comp_targetILNS1_3genE2ELNS1_11target_archE906ELNS1_3gpuE6ELNS1_3repE0EEENS1_30default_config_static_selectorELNS0_4arch9wavefront6targetE0EEEvT1_.has_recursion, 0
	.set _ZN7rocprim17ROCPRIM_400000_NS6detail17trampoline_kernelINS0_14default_configENS1_27scan_by_key_config_selectorIxxEEZZNS1_16scan_by_key_implILNS1_25lookback_scan_determinismE0ELb0ES3_N6thrust23THRUST_200600_302600_NS6detail15normal_iteratorINS9_10device_ptrIxEEEESE_SE_xNS9_4plusIxEE19head_flag_predicatexEE10hipError_tPvRmT2_T3_T4_T5_mT6_T7_P12ihipStream_tbENKUlT_T0_E_clISt17integral_constantIbLb1EESY_EEDaST_SU_EUlST_E_NS1_11comp_targetILNS1_3genE2ELNS1_11target_archE906ELNS1_3gpuE6ELNS1_3repE0EEENS1_30default_config_static_selectorELNS0_4arch9wavefront6targetE0EEEvT1_.has_indirect_call, 0
	.section	.AMDGPU.csdata,"",@progbits
; Kernel info:
; codeLenInByte = 0
; TotalNumSgprs: 0
; NumVgprs: 0
; ScratchSize: 0
; MemoryBound: 0
; FloatMode: 240
; IeeeMode: 1
; LDSByteSize: 0 bytes/workgroup (compile time only)
; SGPRBlocks: 0
; VGPRBlocks: 0
; NumSGPRsForWavesPerEU: 1
; NumVGPRsForWavesPerEU: 1
; NamedBarCnt: 0
; Occupancy: 16
; WaveLimiterHint : 0
; COMPUTE_PGM_RSRC2:SCRATCH_EN: 0
; COMPUTE_PGM_RSRC2:USER_SGPR: 2
; COMPUTE_PGM_RSRC2:TRAP_HANDLER: 0
; COMPUTE_PGM_RSRC2:TGID_X_EN: 1
; COMPUTE_PGM_RSRC2:TGID_Y_EN: 0
; COMPUTE_PGM_RSRC2:TGID_Z_EN: 0
; COMPUTE_PGM_RSRC2:TIDIG_COMP_CNT: 0
	.section	.text._ZN7rocprim17ROCPRIM_400000_NS6detail17trampoline_kernelINS0_14default_configENS1_27scan_by_key_config_selectorIxxEEZZNS1_16scan_by_key_implILNS1_25lookback_scan_determinismE0ELb0ES3_N6thrust23THRUST_200600_302600_NS6detail15normal_iteratorINS9_10device_ptrIxEEEESE_SE_xNS9_4plusIxEE19head_flag_predicatexEE10hipError_tPvRmT2_T3_T4_T5_mT6_T7_P12ihipStream_tbENKUlT_T0_E_clISt17integral_constantIbLb1EESY_EEDaST_SU_EUlST_E_NS1_11comp_targetILNS1_3genE10ELNS1_11target_archE1200ELNS1_3gpuE4ELNS1_3repE0EEENS1_30default_config_static_selectorELNS0_4arch9wavefront6targetE0EEEvT1_,"axG",@progbits,_ZN7rocprim17ROCPRIM_400000_NS6detail17trampoline_kernelINS0_14default_configENS1_27scan_by_key_config_selectorIxxEEZZNS1_16scan_by_key_implILNS1_25lookback_scan_determinismE0ELb0ES3_N6thrust23THRUST_200600_302600_NS6detail15normal_iteratorINS9_10device_ptrIxEEEESE_SE_xNS9_4plusIxEE19head_flag_predicatexEE10hipError_tPvRmT2_T3_T4_T5_mT6_T7_P12ihipStream_tbENKUlT_T0_E_clISt17integral_constantIbLb1EESY_EEDaST_SU_EUlST_E_NS1_11comp_targetILNS1_3genE10ELNS1_11target_archE1200ELNS1_3gpuE4ELNS1_3repE0EEENS1_30default_config_static_selectorELNS0_4arch9wavefront6targetE0EEEvT1_,comdat
	.protected	_ZN7rocprim17ROCPRIM_400000_NS6detail17trampoline_kernelINS0_14default_configENS1_27scan_by_key_config_selectorIxxEEZZNS1_16scan_by_key_implILNS1_25lookback_scan_determinismE0ELb0ES3_N6thrust23THRUST_200600_302600_NS6detail15normal_iteratorINS9_10device_ptrIxEEEESE_SE_xNS9_4plusIxEE19head_flag_predicatexEE10hipError_tPvRmT2_T3_T4_T5_mT6_T7_P12ihipStream_tbENKUlT_T0_E_clISt17integral_constantIbLb1EESY_EEDaST_SU_EUlST_E_NS1_11comp_targetILNS1_3genE10ELNS1_11target_archE1200ELNS1_3gpuE4ELNS1_3repE0EEENS1_30default_config_static_selectorELNS0_4arch9wavefront6targetE0EEEvT1_ ; -- Begin function _ZN7rocprim17ROCPRIM_400000_NS6detail17trampoline_kernelINS0_14default_configENS1_27scan_by_key_config_selectorIxxEEZZNS1_16scan_by_key_implILNS1_25lookback_scan_determinismE0ELb0ES3_N6thrust23THRUST_200600_302600_NS6detail15normal_iteratorINS9_10device_ptrIxEEEESE_SE_xNS9_4plusIxEE19head_flag_predicatexEE10hipError_tPvRmT2_T3_T4_T5_mT6_T7_P12ihipStream_tbENKUlT_T0_E_clISt17integral_constantIbLb1EESY_EEDaST_SU_EUlST_E_NS1_11comp_targetILNS1_3genE10ELNS1_11target_archE1200ELNS1_3gpuE4ELNS1_3repE0EEENS1_30default_config_static_selectorELNS0_4arch9wavefront6targetE0EEEvT1_
	.globl	_ZN7rocprim17ROCPRIM_400000_NS6detail17trampoline_kernelINS0_14default_configENS1_27scan_by_key_config_selectorIxxEEZZNS1_16scan_by_key_implILNS1_25lookback_scan_determinismE0ELb0ES3_N6thrust23THRUST_200600_302600_NS6detail15normal_iteratorINS9_10device_ptrIxEEEESE_SE_xNS9_4plusIxEE19head_flag_predicatexEE10hipError_tPvRmT2_T3_T4_T5_mT6_T7_P12ihipStream_tbENKUlT_T0_E_clISt17integral_constantIbLb1EESY_EEDaST_SU_EUlST_E_NS1_11comp_targetILNS1_3genE10ELNS1_11target_archE1200ELNS1_3gpuE4ELNS1_3repE0EEENS1_30default_config_static_selectorELNS0_4arch9wavefront6targetE0EEEvT1_
	.p2align	8
	.type	_ZN7rocprim17ROCPRIM_400000_NS6detail17trampoline_kernelINS0_14default_configENS1_27scan_by_key_config_selectorIxxEEZZNS1_16scan_by_key_implILNS1_25lookback_scan_determinismE0ELb0ES3_N6thrust23THRUST_200600_302600_NS6detail15normal_iteratorINS9_10device_ptrIxEEEESE_SE_xNS9_4plusIxEE19head_flag_predicatexEE10hipError_tPvRmT2_T3_T4_T5_mT6_T7_P12ihipStream_tbENKUlT_T0_E_clISt17integral_constantIbLb1EESY_EEDaST_SU_EUlST_E_NS1_11comp_targetILNS1_3genE10ELNS1_11target_archE1200ELNS1_3gpuE4ELNS1_3repE0EEENS1_30default_config_static_selectorELNS0_4arch9wavefront6targetE0EEEvT1_,@function
_ZN7rocprim17ROCPRIM_400000_NS6detail17trampoline_kernelINS0_14default_configENS1_27scan_by_key_config_selectorIxxEEZZNS1_16scan_by_key_implILNS1_25lookback_scan_determinismE0ELb0ES3_N6thrust23THRUST_200600_302600_NS6detail15normal_iteratorINS9_10device_ptrIxEEEESE_SE_xNS9_4plusIxEE19head_flag_predicatexEE10hipError_tPvRmT2_T3_T4_T5_mT6_T7_P12ihipStream_tbENKUlT_T0_E_clISt17integral_constantIbLb1EESY_EEDaST_SU_EUlST_E_NS1_11comp_targetILNS1_3genE10ELNS1_11target_archE1200ELNS1_3gpuE4ELNS1_3repE0EEENS1_30default_config_static_selectorELNS0_4arch9wavefront6targetE0EEEvT1_: ; @_ZN7rocprim17ROCPRIM_400000_NS6detail17trampoline_kernelINS0_14default_configENS1_27scan_by_key_config_selectorIxxEEZZNS1_16scan_by_key_implILNS1_25lookback_scan_determinismE0ELb0ES3_N6thrust23THRUST_200600_302600_NS6detail15normal_iteratorINS9_10device_ptrIxEEEESE_SE_xNS9_4plusIxEE19head_flag_predicatexEE10hipError_tPvRmT2_T3_T4_T5_mT6_T7_P12ihipStream_tbENKUlT_T0_E_clISt17integral_constantIbLb1EESY_EEDaST_SU_EUlST_E_NS1_11comp_targetILNS1_3genE10ELNS1_11target_archE1200ELNS1_3gpuE4ELNS1_3repE0EEENS1_30default_config_static_selectorELNS0_4arch9wavefront6targetE0EEEvT1_
; %bb.0:
	.section	.rodata,"a",@progbits
	.p2align	6, 0x0
	.amdhsa_kernel _ZN7rocprim17ROCPRIM_400000_NS6detail17trampoline_kernelINS0_14default_configENS1_27scan_by_key_config_selectorIxxEEZZNS1_16scan_by_key_implILNS1_25lookback_scan_determinismE0ELb0ES3_N6thrust23THRUST_200600_302600_NS6detail15normal_iteratorINS9_10device_ptrIxEEEESE_SE_xNS9_4plusIxEE19head_flag_predicatexEE10hipError_tPvRmT2_T3_T4_T5_mT6_T7_P12ihipStream_tbENKUlT_T0_E_clISt17integral_constantIbLb1EESY_EEDaST_SU_EUlST_E_NS1_11comp_targetILNS1_3genE10ELNS1_11target_archE1200ELNS1_3gpuE4ELNS1_3repE0EEENS1_30default_config_static_selectorELNS0_4arch9wavefront6targetE0EEEvT1_
		.amdhsa_group_segment_fixed_size 0
		.amdhsa_private_segment_fixed_size 0
		.amdhsa_kernarg_size 136
		.amdhsa_user_sgpr_count 2
		.amdhsa_user_sgpr_dispatch_ptr 0
		.amdhsa_user_sgpr_queue_ptr 0
		.amdhsa_user_sgpr_kernarg_segment_ptr 1
		.amdhsa_user_sgpr_dispatch_id 0
		.amdhsa_user_sgpr_kernarg_preload_length 0
		.amdhsa_user_sgpr_kernarg_preload_offset 0
		.amdhsa_user_sgpr_private_segment_size 0
		.amdhsa_wavefront_size32 1
		.amdhsa_uses_dynamic_stack 0
		.amdhsa_enable_private_segment 0
		.amdhsa_system_sgpr_workgroup_id_x 1
		.amdhsa_system_sgpr_workgroup_id_y 0
		.amdhsa_system_sgpr_workgroup_id_z 0
		.amdhsa_system_sgpr_workgroup_info 0
		.amdhsa_system_vgpr_workitem_id 0
		.amdhsa_next_free_vgpr 1
		.amdhsa_next_free_sgpr 1
		.amdhsa_named_barrier_count 0
		.amdhsa_reserve_vcc 0
		.amdhsa_float_round_mode_32 0
		.amdhsa_float_round_mode_16_64 0
		.amdhsa_float_denorm_mode_32 3
		.amdhsa_float_denorm_mode_16_64 3
		.amdhsa_fp16_overflow 0
		.amdhsa_memory_ordered 1
		.amdhsa_forward_progress 1
		.amdhsa_inst_pref_size 0
		.amdhsa_round_robin_scheduling 0
		.amdhsa_exception_fp_ieee_invalid_op 0
		.amdhsa_exception_fp_denorm_src 0
		.amdhsa_exception_fp_ieee_div_zero 0
		.amdhsa_exception_fp_ieee_overflow 0
		.amdhsa_exception_fp_ieee_underflow 0
		.amdhsa_exception_fp_ieee_inexact 0
		.amdhsa_exception_int_div_zero 0
	.end_amdhsa_kernel
	.section	.text._ZN7rocprim17ROCPRIM_400000_NS6detail17trampoline_kernelINS0_14default_configENS1_27scan_by_key_config_selectorIxxEEZZNS1_16scan_by_key_implILNS1_25lookback_scan_determinismE0ELb0ES3_N6thrust23THRUST_200600_302600_NS6detail15normal_iteratorINS9_10device_ptrIxEEEESE_SE_xNS9_4plusIxEE19head_flag_predicatexEE10hipError_tPvRmT2_T3_T4_T5_mT6_T7_P12ihipStream_tbENKUlT_T0_E_clISt17integral_constantIbLb1EESY_EEDaST_SU_EUlST_E_NS1_11comp_targetILNS1_3genE10ELNS1_11target_archE1200ELNS1_3gpuE4ELNS1_3repE0EEENS1_30default_config_static_selectorELNS0_4arch9wavefront6targetE0EEEvT1_,"axG",@progbits,_ZN7rocprim17ROCPRIM_400000_NS6detail17trampoline_kernelINS0_14default_configENS1_27scan_by_key_config_selectorIxxEEZZNS1_16scan_by_key_implILNS1_25lookback_scan_determinismE0ELb0ES3_N6thrust23THRUST_200600_302600_NS6detail15normal_iteratorINS9_10device_ptrIxEEEESE_SE_xNS9_4plusIxEE19head_flag_predicatexEE10hipError_tPvRmT2_T3_T4_T5_mT6_T7_P12ihipStream_tbENKUlT_T0_E_clISt17integral_constantIbLb1EESY_EEDaST_SU_EUlST_E_NS1_11comp_targetILNS1_3genE10ELNS1_11target_archE1200ELNS1_3gpuE4ELNS1_3repE0EEENS1_30default_config_static_selectorELNS0_4arch9wavefront6targetE0EEEvT1_,comdat
.Lfunc_end692:
	.size	_ZN7rocprim17ROCPRIM_400000_NS6detail17trampoline_kernelINS0_14default_configENS1_27scan_by_key_config_selectorIxxEEZZNS1_16scan_by_key_implILNS1_25lookback_scan_determinismE0ELb0ES3_N6thrust23THRUST_200600_302600_NS6detail15normal_iteratorINS9_10device_ptrIxEEEESE_SE_xNS9_4plusIxEE19head_flag_predicatexEE10hipError_tPvRmT2_T3_T4_T5_mT6_T7_P12ihipStream_tbENKUlT_T0_E_clISt17integral_constantIbLb1EESY_EEDaST_SU_EUlST_E_NS1_11comp_targetILNS1_3genE10ELNS1_11target_archE1200ELNS1_3gpuE4ELNS1_3repE0EEENS1_30default_config_static_selectorELNS0_4arch9wavefront6targetE0EEEvT1_, .Lfunc_end692-_ZN7rocprim17ROCPRIM_400000_NS6detail17trampoline_kernelINS0_14default_configENS1_27scan_by_key_config_selectorIxxEEZZNS1_16scan_by_key_implILNS1_25lookback_scan_determinismE0ELb0ES3_N6thrust23THRUST_200600_302600_NS6detail15normal_iteratorINS9_10device_ptrIxEEEESE_SE_xNS9_4plusIxEE19head_flag_predicatexEE10hipError_tPvRmT2_T3_T4_T5_mT6_T7_P12ihipStream_tbENKUlT_T0_E_clISt17integral_constantIbLb1EESY_EEDaST_SU_EUlST_E_NS1_11comp_targetILNS1_3genE10ELNS1_11target_archE1200ELNS1_3gpuE4ELNS1_3repE0EEENS1_30default_config_static_selectorELNS0_4arch9wavefront6targetE0EEEvT1_
                                        ; -- End function
	.set _ZN7rocprim17ROCPRIM_400000_NS6detail17trampoline_kernelINS0_14default_configENS1_27scan_by_key_config_selectorIxxEEZZNS1_16scan_by_key_implILNS1_25lookback_scan_determinismE0ELb0ES3_N6thrust23THRUST_200600_302600_NS6detail15normal_iteratorINS9_10device_ptrIxEEEESE_SE_xNS9_4plusIxEE19head_flag_predicatexEE10hipError_tPvRmT2_T3_T4_T5_mT6_T7_P12ihipStream_tbENKUlT_T0_E_clISt17integral_constantIbLb1EESY_EEDaST_SU_EUlST_E_NS1_11comp_targetILNS1_3genE10ELNS1_11target_archE1200ELNS1_3gpuE4ELNS1_3repE0EEENS1_30default_config_static_selectorELNS0_4arch9wavefront6targetE0EEEvT1_.num_vgpr, 0
	.set _ZN7rocprim17ROCPRIM_400000_NS6detail17trampoline_kernelINS0_14default_configENS1_27scan_by_key_config_selectorIxxEEZZNS1_16scan_by_key_implILNS1_25lookback_scan_determinismE0ELb0ES3_N6thrust23THRUST_200600_302600_NS6detail15normal_iteratorINS9_10device_ptrIxEEEESE_SE_xNS9_4plusIxEE19head_flag_predicatexEE10hipError_tPvRmT2_T3_T4_T5_mT6_T7_P12ihipStream_tbENKUlT_T0_E_clISt17integral_constantIbLb1EESY_EEDaST_SU_EUlST_E_NS1_11comp_targetILNS1_3genE10ELNS1_11target_archE1200ELNS1_3gpuE4ELNS1_3repE0EEENS1_30default_config_static_selectorELNS0_4arch9wavefront6targetE0EEEvT1_.num_agpr, 0
	.set _ZN7rocprim17ROCPRIM_400000_NS6detail17trampoline_kernelINS0_14default_configENS1_27scan_by_key_config_selectorIxxEEZZNS1_16scan_by_key_implILNS1_25lookback_scan_determinismE0ELb0ES3_N6thrust23THRUST_200600_302600_NS6detail15normal_iteratorINS9_10device_ptrIxEEEESE_SE_xNS9_4plusIxEE19head_flag_predicatexEE10hipError_tPvRmT2_T3_T4_T5_mT6_T7_P12ihipStream_tbENKUlT_T0_E_clISt17integral_constantIbLb1EESY_EEDaST_SU_EUlST_E_NS1_11comp_targetILNS1_3genE10ELNS1_11target_archE1200ELNS1_3gpuE4ELNS1_3repE0EEENS1_30default_config_static_selectorELNS0_4arch9wavefront6targetE0EEEvT1_.numbered_sgpr, 0
	.set _ZN7rocprim17ROCPRIM_400000_NS6detail17trampoline_kernelINS0_14default_configENS1_27scan_by_key_config_selectorIxxEEZZNS1_16scan_by_key_implILNS1_25lookback_scan_determinismE0ELb0ES3_N6thrust23THRUST_200600_302600_NS6detail15normal_iteratorINS9_10device_ptrIxEEEESE_SE_xNS9_4plusIxEE19head_flag_predicatexEE10hipError_tPvRmT2_T3_T4_T5_mT6_T7_P12ihipStream_tbENKUlT_T0_E_clISt17integral_constantIbLb1EESY_EEDaST_SU_EUlST_E_NS1_11comp_targetILNS1_3genE10ELNS1_11target_archE1200ELNS1_3gpuE4ELNS1_3repE0EEENS1_30default_config_static_selectorELNS0_4arch9wavefront6targetE0EEEvT1_.num_named_barrier, 0
	.set _ZN7rocprim17ROCPRIM_400000_NS6detail17trampoline_kernelINS0_14default_configENS1_27scan_by_key_config_selectorIxxEEZZNS1_16scan_by_key_implILNS1_25lookback_scan_determinismE0ELb0ES3_N6thrust23THRUST_200600_302600_NS6detail15normal_iteratorINS9_10device_ptrIxEEEESE_SE_xNS9_4plusIxEE19head_flag_predicatexEE10hipError_tPvRmT2_T3_T4_T5_mT6_T7_P12ihipStream_tbENKUlT_T0_E_clISt17integral_constantIbLb1EESY_EEDaST_SU_EUlST_E_NS1_11comp_targetILNS1_3genE10ELNS1_11target_archE1200ELNS1_3gpuE4ELNS1_3repE0EEENS1_30default_config_static_selectorELNS0_4arch9wavefront6targetE0EEEvT1_.private_seg_size, 0
	.set _ZN7rocprim17ROCPRIM_400000_NS6detail17trampoline_kernelINS0_14default_configENS1_27scan_by_key_config_selectorIxxEEZZNS1_16scan_by_key_implILNS1_25lookback_scan_determinismE0ELb0ES3_N6thrust23THRUST_200600_302600_NS6detail15normal_iteratorINS9_10device_ptrIxEEEESE_SE_xNS9_4plusIxEE19head_flag_predicatexEE10hipError_tPvRmT2_T3_T4_T5_mT6_T7_P12ihipStream_tbENKUlT_T0_E_clISt17integral_constantIbLb1EESY_EEDaST_SU_EUlST_E_NS1_11comp_targetILNS1_3genE10ELNS1_11target_archE1200ELNS1_3gpuE4ELNS1_3repE0EEENS1_30default_config_static_selectorELNS0_4arch9wavefront6targetE0EEEvT1_.uses_vcc, 0
	.set _ZN7rocprim17ROCPRIM_400000_NS6detail17trampoline_kernelINS0_14default_configENS1_27scan_by_key_config_selectorIxxEEZZNS1_16scan_by_key_implILNS1_25lookback_scan_determinismE0ELb0ES3_N6thrust23THRUST_200600_302600_NS6detail15normal_iteratorINS9_10device_ptrIxEEEESE_SE_xNS9_4plusIxEE19head_flag_predicatexEE10hipError_tPvRmT2_T3_T4_T5_mT6_T7_P12ihipStream_tbENKUlT_T0_E_clISt17integral_constantIbLb1EESY_EEDaST_SU_EUlST_E_NS1_11comp_targetILNS1_3genE10ELNS1_11target_archE1200ELNS1_3gpuE4ELNS1_3repE0EEENS1_30default_config_static_selectorELNS0_4arch9wavefront6targetE0EEEvT1_.uses_flat_scratch, 0
	.set _ZN7rocprim17ROCPRIM_400000_NS6detail17trampoline_kernelINS0_14default_configENS1_27scan_by_key_config_selectorIxxEEZZNS1_16scan_by_key_implILNS1_25lookback_scan_determinismE0ELb0ES3_N6thrust23THRUST_200600_302600_NS6detail15normal_iteratorINS9_10device_ptrIxEEEESE_SE_xNS9_4plusIxEE19head_flag_predicatexEE10hipError_tPvRmT2_T3_T4_T5_mT6_T7_P12ihipStream_tbENKUlT_T0_E_clISt17integral_constantIbLb1EESY_EEDaST_SU_EUlST_E_NS1_11comp_targetILNS1_3genE10ELNS1_11target_archE1200ELNS1_3gpuE4ELNS1_3repE0EEENS1_30default_config_static_selectorELNS0_4arch9wavefront6targetE0EEEvT1_.has_dyn_sized_stack, 0
	.set _ZN7rocprim17ROCPRIM_400000_NS6detail17trampoline_kernelINS0_14default_configENS1_27scan_by_key_config_selectorIxxEEZZNS1_16scan_by_key_implILNS1_25lookback_scan_determinismE0ELb0ES3_N6thrust23THRUST_200600_302600_NS6detail15normal_iteratorINS9_10device_ptrIxEEEESE_SE_xNS9_4plusIxEE19head_flag_predicatexEE10hipError_tPvRmT2_T3_T4_T5_mT6_T7_P12ihipStream_tbENKUlT_T0_E_clISt17integral_constantIbLb1EESY_EEDaST_SU_EUlST_E_NS1_11comp_targetILNS1_3genE10ELNS1_11target_archE1200ELNS1_3gpuE4ELNS1_3repE0EEENS1_30default_config_static_selectorELNS0_4arch9wavefront6targetE0EEEvT1_.has_recursion, 0
	.set _ZN7rocprim17ROCPRIM_400000_NS6detail17trampoline_kernelINS0_14default_configENS1_27scan_by_key_config_selectorIxxEEZZNS1_16scan_by_key_implILNS1_25lookback_scan_determinismE0ELb0ES3_N6thrust23THRUST_200600_302600_NS6detail15normal_iteratorINS9_10device_ptrIxEEEESE_SE_xNS9_4plusIxEE19head_flag_predicatexEE10hipError_tPvRmT2_T3_T4_T5_mT6_T7_P12ihipStream_tbENKUlT_T0_E_clISt17integral_constantIbLb1EESY_EEDaST_SU_EUlST_E_NS1_11comp_targetILNS1_3genE10ELNS1_11target_archE1200ELNS1_3gpuE4ELNS1_3repE0EEENS1_30default_config_static_selectorELNS0_4arch9wavefront6targetE0EEEvT1_.has_indirect_call, 0
	.section	.AMDGPU.csdata,"",@progbits
; Kernel info:
; codeLenInByte = 0
; TotalNumSgprs: 0
; NumVgprs: 0
; ScratchSize: 0
; MemoryBound: 0
; FloatMode: 240
; IeeeMode: 1
; LDSByteSize: 0 bytes/workgroup (compile time only)
; SGPRBlocks: 0
; VGPRBlocks: 0
; NumSGPRsForWavesPerEU: 1
; NumVGPRsForWavesPerEU: 1
; NamedBarCnt: 0
; Occupancy: 16
; WaveLimiterHint : 0
; COMPUTE_PGM_RSRC2:SCRATCH_EN: 0
; COMPUTE_PGM_RSRC2:USER_SGPR: 2
; COMPUTE_PGM_RSRC2:TRAP_HANDLER: 0
; COMPUTE_PGM_RSRC2:TGID_X_EN: 1
; COMPUTE_PGM_RSRC2:TGID_Y_EN: 0
; COMPUTE_PGM_RSRC2:TGID_Z_EN: 0
; COMPUTE_PGM_RSRC2:TIDIG_COMP_CNT: 0
	.section	.text._ZN7rocprim17ROCPRIM_400000_NS6detail17trampoline_kernelINS0_14default_configENS1_27scan_by_key_config_selectorIxxEEZZNS1_16scan_by_key_implILNS1_25lookback_scan_determinismE0ELb0ES3_N6thrust23THRUST_200600_302600_NS6detail15normal_iteratorINS9_10device_ptrIxEEEESE_SE_xNS9_4plusIxEE19head_flag_predicatexEE10hipError_tPvRmT2_T3_T4_T5_mT6_T7_P12ihipStream_tbENKUlT_T0_E_clISt17integral_constantIbLb1EESY_EEDaST_SU_EUlST_E_NS1_11comp_targetILNS1_3genE9ELNS1_11target_archE1100ELNS1_3gpuE3ELNS1_3repE0EEENS1_30default_config_static_selectorELNS0_4arch9wavefront6targetE0EEEvT1_,"axG",@progbits,_ZN7rocprim17ROCPRIM_400000_NS6detail17trampoline_kernelINS0_14default_configENS1_27scan_by_key_config_selectorIxxEEZZNS1_16scan_by_key_implILNS1_25lookback_scan_determinismE0ELb0ES3_N6thrust23THRUST_200600_302600_NS6detail15normal_iteratorINS9_10device_ptrIxEEEESE_SE_xNS9_4plusIxEE19head_flag_predicatexEE10hipError_tPvRmT2_T3_T4_T5_mT6_T7_P12ihipStream_tbENKUlT_T0_E_clISt17integral_constantIbLb1EESY_EEDaST_SU_EUlST_E_NS1_11comp_targetILNS1_3genE9ELNS1_11target_archE1100ELNS1_3gpuE3ELNS1_3repE0EEENS1_30default_config_static_selectorELNS0_4arch9wavefront6targetE0EEEvT1_,comdat
	.protected	_ZN7rocprim17ROCPRIM_400000_NS6detail17trampoline_kernelINS0_14default_configENS1_27scan_by_key_config_selectorIxxEEZZNS1_16scan_by_key_implILNS1_25lookback_scan_determinismE0ELb0ES3_N6thrust23THRUST_200600_302600_NS6detail15normal_iteratorINS9_10device_ptrIxEEEESE_SE_xNS9_4plusIxEE19head_flag_predicatexEE10hipError_tPvRmT2_T3_T4_T5_mT6_T7_P12ihipStream_tbENKUlT_T0_E_clISt17integral_constantIbLb1EESY_EEDaST_SU_EUlST_E_NS1_11comp_targetILNS1_3genE9ELNS1_11target_archE1100ELNS1_3gpuE3ELNS1_3repE0EEENS1_30default_config_static_selectorELNS0_4arch9wavefront6targetE0EEEvT1_ ; -- Begin function _ZN7rocprim17ROCPRIM_400000_NS6detail17trampoline_kernelINS0_14default_configENS1_27scan_by_key_config_selectorIxxEEZZNS1_16scan_by_key_implILNS1_25lookback_scan_determinismE0ELb0ES3_N6thrust23THRUST_200600_302600_NS6detail15normal_iteratorINS9_10device_ptrIxEEEESE_SE_xNS9_4plusIxEE19head_flag_predicatexEE10hipError_tPvRmT2_T3_T4_T5_mT6_T7_P12ihipStream_tbENKUlT_T0_E_clISt17integral_constantIbLb1EESY_EEDaST_SU_EUlST_E_NS1_11comp_targetILNS1_3genE9ELNS1_11target_archE1100ELNS1_3gpuE3ELNS1_3repE0EEENS1_30default_config_static_selectorELNS0_4arch9wavefront6targetE0EEEvT1_
	.globl	_ZN7rocprim17ROCPRIM_400000_NS6detail17trampoline_kernelINS0_14default_configENS1_27scan_by_key_config_selectorIxxEEZZNS1_16scan_by_key_implILNS1_25lookback_scan_determinismE0ELb0ES3_N6thrust23THRUST_200600_302600_NS6detail15normal_iteratorINS9_10device_ptrIxEEEESE_SE_xNS9_4plusIxEE19head_flag_predicatexEE10hipError_tPvRmT2_T3_T4_T5_mT6_T7_P12ihipStream_tbENKUlT_T0_E_clISt17integral_constantIbLb1EESY_EEDaST_SU_EUlST_E_NS1_11comp_targetILNS1_3genE9ELNS1_11target_archE1100ELNS1_3gpuE3ELNS1_3repE0EEENS1_30default_config_static_selectorELNS0_4arch9wavefront6targetE0EEEvT1_
	.p2align	8
	.type	_ZN7rocprim17ROCPRIM_400000_NS6detail17trampoline_kernelINS0_14default_configENS1_27scan_by_key_config_selectorIxxEEZZNS1_16scan_by_key_implILNS1_25lookback_scan_determinismE0ELb0ES3_N6thrust23THRUST_200600_302600_NS6detail15normal_iteratorINS9_10device_ptrIxEEEESE_SE_xNS9_4plusIxEE19head_flag_predicatexEE10hipError_tPvRmT2_T3_T4_T5_mT6_T7_P12ihipStream_tbENKUlT_T0_E_clISt17integral_constantIbLb1EESY_EEDaST_SU_EUlST_E_NS1_11comp_targetILNS1_3genE9ELNS1_11target_archE1100ELNS1_3gpuE3ELNS1_3repE0EEENS1_30default_config_static_selectorELNS0_4arch9wavefront6targetE0EEEvT1_,@function
_ZN7rocprim17ROCPRIM_400000_NS6detail17trampoline_kernelINS0_14default_configENS1_27scan_by_key_config_selectorIxxEEZZNS1_16scan_by_key_implILNS1_25lookback_scan_determinismE0ELb0ES3_N6thrust23THRUST_200600_302600_NS6detail15normal_iteratorINS9_10device_ptrIxEEEESE_SE_xNS9_4plusIxEE19head_flag_predicatexEE10hipError_tPvRmT2_T3_T4_T5_mT6_T7_P12ihipStream_tbENKUlT_T0_E_clISt17integral_constantIbLb1EESY_EEDaST_SU_EUlST_E_NS1_11comp_targetILNS1_3genE9ELNS1_11target_archE1100ELNS1_3gpuE3ELNS1_3repE0EEENS1_30default_config_static_selectorELNS0_4arch9wavefront6targetE0EEEvT1_: ; @_ZN7rocprim17ROCPRIM_400000_NS6detail17trampoline_kernelINS0_14default_configENS1_27scan_by_key_config_selectorIxxEEZZNS1_16scan_by_key_implILNS1_25lookback_scan_determinismE0ELb0ES3_N6thrust23THRUST_200600_302600_NS6detail15normal_iteratorINS9_10device_ptrIxEEEESE_SE_xNS9_4plusIxEE19head_flag_predicatexEE10hipError_tPvRmT2_T3_T4_T5_mT6_T7_P12ihipStream_tbENKUlT_T0_E_clISt17integral_constantIbLb1EESY_EEDaST_SU_EUlST_E_NS1_11comp_targetILNS1_3genE9ELNS1_11target_archE1100ELNS1_3gpuE3ELNS1_3repE0EEENS1_30default_config_static_selectorELNS0_4arch9wavefront6targetE0EEEvT1_
; %bb.0:
	.section	.rodata,"a",@progbits
	.p2align	6, 0x0
	.amdhsa_kernel _ZN7rocprim17ROCPRIM_400000_NS6detail17trampoline_kernelINS0_14default_configENS1_27scan_by_key_config_selectorIxxEEZZNS1_16scan_by_key_implILNS1_25lookback_scan_determinismE0ELb0ES3_N6thrust23THRUST_200600_302600_NS6detail15normal_iteratorINS9_10device_ptrIxEEEESE_SE_xNS9_4plusIxEE19head_flag_predicatexEE10hipError_tPvRmT2_T3_T4_T5_mT6_T7_P12ihipStream_tbENKUlT_T0_E_clISt17integral_constantIbLb1EESY_EEDaST_SU_EUlST_E_NS1_11comp_targetILNS1_3genE9ELNS1_11target_archE1100ELNS1_3gpuE3ELNS1_3repE0EEENS1_30default_config_static_selectorELNS0_4arch9wavefront6targetE0EEEvT1_
		.amdhsa_group_segment_fixed_size 0
		.amdhsa_private_segment_fixed_size 0
		.amdhsa_kernarg_size 136
		.amdhsa_user_sgpr_count 2
		.amdhsa_user_sgpr_dispatch_ptr 0
		.amdhsa_user_sgpr_queue_ptr 0
		.amdhsa_user_sgpr_kernarg_segment_ptr 1
		.amdhsa_user_sgpr_dispatch_id 0
		.amdhsa_user_sgpr_kernarg_preload_length 0
		.amdhsa_user_sgpr_kernarg_preload_offset 0
		.amdhsa_user_sgpr_private_segment_size 0
		.amdhsa_wavefront_size32 1
		.amdhsa_uses_dynamic_stack 0
		.amdhsa_enable_private_segment 0
		.amdhsa_system_sgpr_workgroup_id_x 1
		.amdhsa_system_sgpr_workgroup_id_y 0
		.amdhsa_system_sgpr_workgroup_id_z 0
		.amdhsa_system_sgpr_workgroup_info 0
		.amdhsa_system_vgpr_workitem_id 0
		.amdhsa_next_free_vgpr 1
		.amdhsa_next_free_sgpr 1
		.amdhsa_named_barrier_count 0
		.amdhsa_reserve_vcc 0
		.amdhsa_float_round_mode_32 0
		.amdhsa_float_round_mode_16_64 0
		.amdhsa_float_denorm_mode_32 3
		.amdhsa_float_denorm_mode_16_64 3
		.amdhsa_fp16_overflow 0
		.amdhsa_memory_ordered 1
		.amdhsa_forward_progress 1
		.amdhsa_inst_pref_size 0
		.amdhsa_round_robin_scheduling 0
		.amdhsa_exception_fp_ieee_invalid_op 0
		.amdhsa_exception_fp_denorm_src 0
		.amdhsa_exception_fp_ieee_div_zero 0
		.amdhsa_exception_fp_ieee_overflow 0
		.amdhsa_exception_fp_ieee_underflow 0
		.amdhsa_exception_fp_ieee_inexact 0
		.amdhsa_exception_int_div_zero 0
	.end_amdhsa_kernel
	.section	.text._ZN7rocprim17ROCPRIM_400000_NS6detail17trampoline_kernelINS0_14default_configENS1_27scan_by_key_config_selectorIxxEEZZNS1_16scan_by_key_implILNS1_25lookback_scan_determinismE0ELb0ES3_N6thrust23THRUST_200600_302600_NS6detail15normal_iteratorINS9_10device_ptrIxEEEESE_SE_xNS9_4plusIxEE19head_flag_predicatexEE10hipError_tPvRmT2_T3_T4_T5_mT6_T7_P12ihipStream_tbENKUlT_T0_E_clISt17integral_constantIbLb1EESY_EEDaST_SU_EUlST_E_NS1_11comp_targetILNS1_3genE9ELNS1_11target_archE1100ELNS1_3gpuE3ELNS1_3repE0EEENS1_30default_config_static_selectorELNS0_4arch9wavefront6targetE0EEEvT1_,"axG",@progbits,_ZN7rocprim17ROCPRIM_400000_NS6detail17trampoline_kernelINS0_14default_configENS1_27scan_by_key_config_selectorIxxEEZZNS1_16scan_by_key_implILNS1_25lookback_scan_determinismE0ELb0ES3_N6thrust23THRUST_200600_302600_NS6detail15normal_iteratorINS9_10device_ptrIxEEEESE_SE_xNS9_4plusIxEE19head_flag_predicatexEE10hipError_tPvRmT2_T3_T4_T5_mT6_T7_P12ihipStream_tbENKUlT_T0_E_clISt17integral_constantIbLb1EESY_EEDaST_SU_EUlST_E_NS1_11comp_targetILNS1_3genE9ELNS1_11target_archE1100ELNS1_3gpuE3ELNS1_3repE0EEENS1_30default_config_static_selectorELNS0_4arch9wavefront6targetE0EEEvT1_,comdat
.Lfunc_end693:
	.size	_ZN7rocprim17ROCPRIM_400000_NS6detail17trampoline_kernelINS0_14default_configENS1_27scan_by_key_config_selectorIxxEEZZNS1_16scan_by_key_implILNS1_25lookback_scan_determinismE0ELb0ES3_N6thrust23THRUST_200600_302600_NS6detail15normal_iteratorINS9_10device_ptrIxEEEESE_SE_xNS9_4plusIxEE19head_flag_predicatexEE10hipError_tPvRmT2_T3_T4_T5_mT6_T7_P12ihipStream_tbENKUlT_T0_E_clISt17integral_constantIbLb1EESY_EEDaST_SU_EUlST_E_NS1_11comp_targetILNS1_3genE9ELNS1_11target_archE1100ELNS1_3gpuE3ELNS1_3repE0EEENS1_30default_config_static_selectorELNS0_4arch9wavefront6targetE0EEEvT1_, .Lfunc_end693-_ZN7rocprim17ROCPRIM_400000_NS6detail17trampoline_kernelINS0_14default_configENS1_27scan_by_key_config_selectorIxxEEZZNS1_16scan_by_key_implILNS1_25lookback_scan_determinismE0ELb0ES3_N6thrust23THRUST_200600_302600_NS6detail15normal_iteratorINS9_10device_ptrIxEEEESE_SE_xNS9_4plusIxEE19head_flag_predicatexEE10hipError_tPvRmT2_T3_T4_T5_mT6_T7_P12ihipStream_tbENKUlT_T0_E_clISt17integral_constantIbLb1EESY_EEDaST_SU_EUlST_E_NS1_11comp_targetILNS1_3genE9ELNS1_11target_archE1100ELNS1_3gpuE3ELNS1_3repE0EEENS1_30default_config_static_selectorELNS0_4arch9wavefront6targetE0EEEvT1_
                                        ; -- End function
	.set _ZN7rocprim17ROCPRIM_400000_NS6detail17trampoline_kernelINS0_14default_configENS1_27scan_by_key_config_selectorIxxEEZZNS1_16scan_by_key_implILNS1_25lookback_scan_determinismE0ELb0ES3_N6thrust23THRUST_200600_302600_NS6detail15normal_iteratorINS9_10device_ptrIxEEEESE_SE_xNS9_4plusIxEE19head_flag_predicatexEE10hipError_tPvRmT2_T3_T4_T5_mT6_T7_P12ihipStream_tbENKUlT_T0_E_clISt17integral_constantIbLb1EESY_EEDaST_SU_EUlST_E_NS1_11comp_targetILNS1_3genE9ELNS1_11target_archE1100ELNS1_3gpuE3ELNS1_3repE0EEENS1_30default_config_static_selectorELNS0_4arch9wavefront6targetE0EEEvT1_.num_vgpr, 0
	.set _ZN7rocprim17ROCPRIM_400000_NS6detail17trampoline_kernelINS0_14default_configENS1_27scan_by_key_config_selectorIxxEEZZNS1_16scan_by_key_implILNS1_25lookback_scan_determinismE0ELb0ES3_N6thrust23THRUST_200600_302600_NS6detail15normal_iteratorINS9_10device_ptrIxEEEESE_SE_xNS9_4plusIxEE19head_flag_predicatexEE10hipError_tPvRmT2_T3_T4_T5_mT6_T7_P12ihipStream_tbENKUlT_T0_E_clISt17integral_constantIbLb1EESY_EEDaST_SU_EUlST_E_NS1_11comp_targetILNS1_3genE9ELNS1_11target_archE1100ELNS1_3gpuE3ELNS1_3repE0EEENS1_30default_config_static_selectorELNS0_4arch9wavefront6targetE0EEEvT1_.num_agpr, 0
	.set _ZN7rocprim17ROCPRIM_400000_NS6detail17trampoline_kernelINS0_14default_configENS1_27scan_by_key_config_selectorIxxEEZZNS1_16scan_by_key_implILNS1_25lookback_scan_determinismE0ELb0ES3_N6thrust23THRUST_200600_302600_NS6detail15normal_iteratorINS9_10device_ptrIxEEEESE_SE_xNS9_4plusIxEE19head_flag_predicatexEE10hipError_tPvRmT2_T3_T4_T5_mT6_T7_P12ihipStream_tbENKUlT_T0_E_clISt17integral_constantIbLb1EESY_EEDaST_SU_EUlST_E_NS1_11comp_targetILNS1_3genE9ELNS1_11target_archE1100ELNS1_3gpuE3ELNS1_3repE0EEENS1_30default_config_static_selectorELNS0_4arch9wavefront6targetE0EEEvT1_.numbered_sgpr, 0
	.set _ZN7rocprim17ROCPRIM_400000_NS6detail17trampoline_kernelINS0_14default_configENS1_27scan_by_key_config_selectorIxxEEZZNS1_16scan_by_key_implILNS1_25lookback_scan_determinismE0ELb0ES3_N6thrust23THRUST_200600_302600_NS6detail15normal_iteratorINS9_10device_ptrIxEEEESE_SE_xNS9_4plusIxEE19head_flag_predicatexEE10hipError_tPvRmT2_T3_T4_T5_mT6_T7_P12ihipStream_tbENKUlT_T0_E_clISt17integral_constantIbLb1EESY_EEDaST_SU_EUlST_E_NS1_11comp_targetILNS1_3genE9ELNS1_11target_archE1100ELNS1_3gpuE3ELNS1_3repE0EEENS1_30default_config_static_selectorELNS0_4arch9wavefront6targetE0EEEvT1_.num_named_barrier, 0
	.set _ZN7rocprim17ROCPRIM_400000_NS6detail17trampoline_kernelINS0_14default_configENS1_27scan_by_key_config_selectorIxxEEZZNS1_16scan_by_key_implILNS1_25lookback_scan_determinismE0ELb0ES3_N6thrust23THRUST_200600_302600_NS6detail15normal_iteratorINS9_10device_ptrIxEEEESE_SE_xNS9_4plusIxEE19head_flag_predicatexEE10hipError_tPvRmT2_T3_T4_T5_mT6_T7_P12ihipStream_tbENKUlT_T0_E_clISt17integral_constantIbLb1EESY_EEDaST_SU_EUlST_E_NS1_11comp_targetILNS1_3genE9ELNS1_11target_archE1100ELNS1_3gpuE3ELNS1_3repE0EEENS1_30default_config_static_selectorELNS0_4arch9wavefront6targetE0EEEvT1_.private_seg_size, 0
	.set _ZN7rocprim17ROCPRIM_400000_NS6detail17trampoline_kernelINS0_14default_configENS1_27scan_by_key_config_selectorIxxEEZZNS1_16scan_by_key_implILNS1_25lookback_scan_determinismE0ELb0ES3_N6thrust23THRUST_200600_302600_NS6detail15normal_iteratorINS9_10device_ptrIxEEEESE_SE_xNS9_4plusIxEE19head_flag_predicatexEE10hipError_tPvRmT2_T3_T4_T5_mT6_T7_P12ihipStream_tbENKUlT_T0_E_clISt17integral_constantIbLb1EESY_EEDaST_SU_EUlST_E_NS1_11comp_targetILNS1_3genE9ELNS1_11target_archE1100ELNS1_3gpuE3ELNS1_3repE0EEENS1_30default_config_static_selectorELNS0_4arch9wavefront6targetE0EEEvT1_.uses_vcc, 0
	.set _ZN7rocprim17ROCPRIM_400000_NS6detail17trampoline_kernelINS0_14default_configENS1_27scan_by_key_config_selectorIxxEEZZNS1_16scan_by_key_implILNS1_25lookback_scan_determinismE0ELb0ES3_N6thrust23THRUST_200600_302600_NS6detail15normal_iteratorINS9_10device_ptrIxEEEESE_SE_xNS9_4plusIxEE19head_flag_predicatexEE10hipError_tPvRmT2_T3_T4_T5_mT6_T7_P12ihipStream_tbENKUlT_T0_E_clISt17integral_constantIbLb1EESY_EEDaST_SU_EUlST_E_NS1_11comp_targetILNS1_3genE9ELNS1_11target_archE1100ELNS1_3gpuE3ELNS1_3repE0EEENS1_30default_config_static_selectorELNS0_4arch9wavefront6targetE0EEEvT1_.uses_flat_scratch, 0
	.set _ZN7rocprim17ROCPRIM_400000_NS6detail17trampoline_kernelINS0_14default_configENS1_27scan_by_key_config_selectorIxxEEZZNS1_16scan_by_key_implILNS1_25lookback_scan_determinismE0ELb0ES3_N6thrust23THRUST_200600_302600_NS6detail15normal_iteratorINS9_10device_ptrIxEEEESE_SE_xNS9_4plusIxEE19head_flag_predicatexEE10hipError_tPvRmT2_T3_T4_T5_mT6_T7_P12ihipStream_tbENKUlT_T0_E_clISt17integral_constantIbLb1EESY_EEDaST_SU_EUlST_E_NS1_11comp_targetILNS1_3genE9ELNS1_11target_archE1100ELNS1_3gpuE3ELNS1_3repE0EEENS1_30default_config_static_selectorELNS0_4arch9wavefront6targetE0EEEvT1_.has_dyn_sized_stack, 0
	.set _ZN7rocprim17ROCPRIM_400000_NS6detail17trampoline_kernelINS0_14default_configENS1_27scan_by_key_config_selectorIxxEEZZNS1_16scan_by_key_implILNS1_25lookback_scan_determinismE0ELb0ES3_N6thrust23THRUST_200600_302600_NS6detail15normal_iteratorINS9_10device_ptrIxEEEESE_SE_xNS9_4plusIxEE19head_flag_predicatexEE10hipError_tPvRmT2_T3_T4_T5_mT6_T7_P12ihipStream_tbENKUlT_T0_E_clISt17integral_constantIbLb1EESY_EEDaST_SU_EUlST_E_NS1_11comp_targetILNS1_3genE9ELNS1_11target_archE1100ELNS1_3gpuE3ELNS1_3repE0EEENS1_30default_config_static_selectorELNS0_4arch9wavefront6targetE0EEEvT1_.has_recursion, 0
	.set _ZN7rocprim17ROCPRIM_400000_NS6detail17trampoline_kernelINS0_14default_configENS1_27scan_by_key_config_selectorIxxEEZZNS1_16scan_by_key_implILNS1_25lookback_scan_determinismE0ELb0ES3_N6thrust23THRUST_200600_302600_NS6detail15normal_iteratorINS9_10device_ptrIxEEEESE_SE_xNS9_4plusIxEE19head_flag_predicatexEE10hipError_tPvRmT2_T3_T4_T5_mT6_T7_P12ihipStream_tbENKUlT_T0_E_clISt17integral_constantIbLb1EESY_EEDaST_SU_EUlST_E_NS1_11comp_targetILNS1_3genE9ELNS1_11target_archE1100ELNS1_3gpuE3ELNS1_3repE0EEENS1_30default_config_static_selectorELNS0_4arch9wavefront6targetE0EEEvT1_.has_indirect_call, 0
	.section	.AMDGPU.csdata,"",@progbits
; Kernel info:
; codeLenInByte = 0
; TotalNumSgprs: 0
; NumVgprs: 0
; ScratchSize: 0
; MemoryBound: 0
; FloatMode: 240
; IeeeMode: 1
; LDSByteSize: 0 bytes/workgroup (compile time only)
; SGPRBlocks: 0
; VGPRBlocks: 0
; NumSGPRsForWavesPerEU: 1
; NumVGPRsForWavesPerEU: 1
; NamedBarCnt: 0
; Occupancy: 16
; WaveLimiterHint : 0
; COMPUTE_PGM_RSRC2:SCRATCH_EN: 0
; COMPUTE_PGM_RSRC2:USER_SGPR: 2
; COMPUTE_PGM_RSRC2:TRAP_HANDLER: 0
; COMPUTE_PGM_RSRC2:TGID_X_EN: 1
; COMPUTE_PGM_RSRC2:TGID_Y_EN: 0
; COMPUTE_PGM_RSRC2:TGID_Z_EN: 0
; COMPUTE_PGM_RSRC2:TIDIG_COMP_CNT: 0
	.section	.text._ZN7rocprim17ROCPRIM_400000_NS6detail17trampoline_kernelINS0_14default_configENS1_27scan_by_key_config_selectorIxxEEZZNS1_16scan_by_key_implILNS1_25lookback_scan_determinismE0ELb0ES3_N6thrust23THRUST_200600_302600_NS6detail15normal_iteratorINS9_10device_ptrIxEEEESE_SE_xNS9_4plusIxEE19head_flag_predicatexEE10hipError_tPvRmT2_T3_T4_T5_mT6_T7_P12ihipStream_tbENKUlT_T0_E_clISt17integral_constantIbLb1EESY_EEDaST_SU_EUlST_E_NS1_11comp_targetILNS1_3genE8ELNS1_11target_archE1030ELNS1_3gpuE2ELNS1_3repE0EEENS1_30default_config_static_selectorELNS0_4arch9wavefront6targetE0EEEvT1_,"axG",@progbits,_ZN7rocprim17ROCPRIM_400000_NS6detail17trampoline_kernelINS0_14default_configENS1_27scan_by_key_config_selectorIxxEEZZNS1_16scan_by_key_implILNS1_25lookback_scan_determinismE0ELb0ES3_N6thrust23THRUST_200600_302600_NS6detail15normal_iteratorINS9_10device_ptrIxEEEESE_SE_xNS9_4plusIxEE19head_flag_predicatexEE10hipError_tPvRmT2_T3_T4_T5_mT6_T7_P12ihipStream_tbENKUlT_T0_E_clISt17integral_constantIbLb1EESY_EEDaST_SU_EUlST_E_NS1_11comp_targetILNS1_3genE8ELNS1_11target_archE1030ELNS1_3gpuE2ELNS1_3repE0EEENS1_30default_config_static_selectorELNS0_4arch9wavefront6targetE0EEEvT1_,comdat
	.protected	_ZN7rocprim17ROCPRIM_400000_NS6detail17trampoline_kernelINS0_14default_configENS1_27scan_by_key_config_selectorIxxEEZZNS1_16scan_by_key_implILNS1_25lookback_scan_determinismE0ELb0ES3_N6thrust23THRUST_200600_302600_NS6detail15normal_iteratorINS9_10device_ptrIxEEEESE_SE_xNS9_4plusIxEE19head_flag_predicatexEE10hipError_tPvRmT2_T3_T4_T5_mT6_T7_P12ihipStream_tbENKUlT_T0_E_clISt17integral_constantIbLb1EESY_EEDaST_SU_EUlST_E_NS1_11comp_targetILNS1_3genE8ELNS1_11target_archE1030ELNS1_3gpuE2ELNS1_3repE0EEENS1_30default_config_static_selectorELNS0_4arch9wavefront6targetE0EEEvT1_ ; -- Begin function _ZN7rocprim17ROCPRIM_400000_NS6detail17trampoline_kernelINS0_14default_configENS1_27scan_by_key_config_selectorIxxEEZZNS1_16scan_by_key_implILNS1_25lookback_scan_determinismE0ELb0ES3_N6thrust23THRUST_200600_302600_NS6detail15normal_iteratorINS9_10device_ptrIxEEEESE_SE_xNS9_4plusIxEE19head_flag_predicatexEE10hipError_tPvRmT2_T3_T4_T5_mT6_T7_P12ihipStream_tbENKUlT_T0_E_clISt17integral_constantIbLb1EESY_EEDaST_SU_EUlST_E_NS1_11comp_targetILNS1_3genE8ELNS1_11target_archE1030ELNS1_3gpuE2ELNS1_3repE0EEENS1_30default_config_static_selectorELNS0_4arch9wavefront6targetE0EEEvT1_
	.globl	_ZN7rocprim17ROCPRIM_400000_NS6detail17trampoline_kernelINS0_14default_configENS1_27scan_by_key_config_selectorIxxEEZZNS1_16scan_by_key_implILNS1_25lookback_scan_determinismE0ELb0ES3_N6thrust23THRUST_200600_302600_NS6detail15normal_iteratorINS9_10device_ptrIxEEEESE_SE_xNS9_4plusIxEE19head_flag_predicatexEE10hipError_tPvRmT2_T3_T4_T5_mT6_T7_P12ihipStream_tbENKUlT_T0_E_clISt17integral_constantIbLb1EESY_EEDaST_SU_EUlST_E_NS1_11comp_targetILNS1_3genE8ELNS1_11target_archE1030ELNS1_3gpuE2ELNS1_3repE0EEENS1_30default_config_static_selectorELNS0_4arch9wavefront6targetE0EEEvT1_
	.p2align	8
	.type	_ZN7rocprim17ROCPRIM_400000_NS6detail17trampoline_kernelINS0_14default_configENS1_27scan_by_key_config_selectorIxxEEZZNS1_16scan_by_key_implILNS1_25lookback_scan_determinismE0ELb0ES3_N6thrust23THRUST_200600_302600_NS6detail15normal_iteratorINS9_10device_ptrIxEEEESE_SE_xNS9_4plusIxEE19head_flag_predicatexEE10hipError_tPvRmT2_T3_T4_T5_mT6_T7_P12ihipStream_tbENKUlT_T0_E_clISt17integral_constantIbLb1EESY_EEDaST_SU_EUlST_E_NS1_11comp_targetILNS1_3genE8ELNS1_11target_archE1030ELNS1_3gpuE2ELNS1_3repE0EEENS1_30default_config_static_selectorELNS0_4arch9wavefront6targetE0EEEvT1_,@function
_ZN7rocprim17ROCPRIM_400000_NS6detail17trampoline_kernelINS0_14default_configENS1_27scan_by_key_config_selectorIxxEEZZNS1_16scan_by_key_implILNS1_25lookback_scan_determinismE0ELb0ES3_N6thrust23THRUST_200600_302600_NS6detail15normal_iteratorINS9_10device_ptrIxEEEESE_SE_xNS9_4plusIxEE19head_flag_predicatexEE10hipError_tPvRmT2_T3_T4_T5_mT6_T7_P12ihipStream_tbENKUlT_T0_E_clISt17integral_constantIbLb1EESY_EEDaST_SU_EUlST_E_NS1_11comp_targetILNS1_3genE8ELNS1_11target_archE1030ELNS1_3gpuE2ELNS1_3repE0EEENS1_30default_config_static_selectorELNS0_4arch9wavefront6targetE0EEEvT1_: ; @_ZN7rocprim17ROCPRIM_400000_NS6detail17trampoline_kernelINS0_14default_configENS1_27scan_by_key_config_selectorIxxEEZZNS1_16scan_by_key_implILNS1_25lookback_scan_determinismE0ELb0ES3_N6thrust23THRUST_200600_302600_NS6detail15normal_iteratorINS9_10device_ptrIxEEEESE_SE_xNS9_4plusIxEE19head_flag_predicatexEE10hipError_tPvRmT2_T3_T4_T5_mT6_T7_P12ihipStream_tbENKUlT_T0_E_clISt17integral_constantIbLb1EESY_EEDaST_SU_EUlST_E_NS1_11comp_targetILNS1_3genE8ELNS1_11target_archE1030ELNS1_3gpuE2ELNS1_3repE0EEENS1_30default_config_static_selectorELNS0_4arch9wavefront6targetE0EEEvT1_
; %bb.0:
	.section	.rodata,"a",@progbits
	.p2align	6, 0x0
	.amdhsa_kernel _ZN7rocprim17ROCPRIM_400000_NS6detail17trampoline_kernelINS0_14default_configENS1_27scan_by_key_config_selectorIxxEEZZNS1_16scan_by_key_implILNS1_25lookback_scan_determinismE0ELb0ES3_N6thrust23THRUST_200600_302600_NS6detail15normal_iteratorINS9_10device_ptrIxEEEESE_SE_xNS9_4plusIxEE19head_flag_predicatexEE10hipError_tPvRmT2_T3_T4_T5_mT6_T7_P12ihipStream_tbENKUlT_T0_E_clISt17integral_constantIbLb1EESY_EEDaST_SU_EUlST_E_NS1_11comp_targetILNS1_3genE8ELNS1_11target_archE1030ELNS1_3gpuE2ELNS1_3repE0EEENS1_30default_config_static_selectorELNS0_4arch9wavefront6targetE0EEEvT1_
		.amdhsa_group_segment_fixed_size 0
		.amdhsa_private_segment_fixed_size 0
		.amdhsa_kernarg_size 136
		.amdhsa_user_sgpr_count 2
		.amdhsa_user_sgpr_dispatch_ptr 0
		.amdhsa_user_sgpr_queue_ptr 0
		.amdhsa_user_sgpr_kernarg_segment_ptr 1
		.amdhsa_user_sgpr_dispatch_id 0
		.amdhsa_user_sgpr_kernarg_preload_length 0
		.amdhsa_user_sgpr_kernarg_preload_offset 0
		.amdhsa_user_sgpr_private_segment_size 0
		.amdhsa_wavefront_size32 1
		.amdhsa_uses_dynamic_stack 0
		.amdhsa_enable_private_segment 0
		.amdhsa_system_sgpr_workgroup_id_x 1
		.amdhsa_system_sgpr_workgroup_id_y 0
		.amdhsa_system_sgpr_workgroup_id_z 0
		.amdhsa_system_sgpr_workgroup_info 0
		.amdhsa_system_vgpr_workitem_id 0
		.amdhsa_next_free_vgpr 1
		.amdhsa_next_free_sgpr 1
		.amdhsa_named_barrier_count 0
		.amdhsa_reserve_vcc 0
		.amdhsa_float_round_mode_32 0
		.amdhsa_float_round_mode_16_64 0
		.amdhsa_float_denorm_mode_32 3
		.amdhsa_float_denorm_mode_16_64 3
		.amdhsa_fp16_overflow 0
		.amdhsa_memory_ordered 1
		.amdhsa_forward_progress 1
		.amdhsa_inst_pref_size 0
		.amdhsa_round_robin_scheduling 0
		.amdhsa_exception_fp_ieee_invalid_op 0
		.amdhsa_exception_fp_denorm_src 0
		.amdhsa_exception_fp_ieee_div_zero 0
		.amdhsa_exception_fp_ieee_overflow 0
		.amdhsa_exception_fp_ieee_underflow 0
		.amdhsa_exception_fp_ieee_inexact 0
		.amdhsa_exception_int_div_zero 0
	.end_amdhsa_kernel
	.section	.text._ZN7rocprim17ROCPRIM_400000_NS6detail17trampoline_kernelINS0_14default_configENS1_27scan_by_key_config_selectorIxxEEZZNS1_16scan_by_key_implILNS1_25lookback_scan_determinismE0ELb0ES3_N6thrust23THRUST_200600_302600_NS6detail15normal_iteratorINS9_10device_ptrIxEEEESE_SE_xNS9_4plusIxEE19head_flag_predicatexEE10hipError_tPvRmT2_T3_T4_T5_mT6_T7_P12ihipStream_tbENKUlT_T0_E_clISt17integral_constantIbLb1EESY_EEDaST_SU_EUlST_E_NS1_11comp_targetILNS1_3genE8ELNS1_11target_archE1030ELNS1_3gpuE2ELNS1_3repE0EEENS1_30default_config_static_selectorELNS0_4arch9wavefront6targetE0EEEvT1_,"axG",@progbits,_ZN7rocprim17ROCPRIM_400000_NS6detail17trampoline_kernelINS0_14default_configENS1_27scan_by_key_config_selectorIxxEEZZNS1_16scan_by_key_implILNS1_25lookback_scan_determinismE0ELb0ES3_N6thrust23THRUST_200600_302600_NS6detail15normal_iteratorINS9_10device_ptrIxEEEESE_SE_xNS9_4plusIxEE19head_flag_predicatexEE10hipError_tPvRmT2_T3_T4_T5_mT6_T7_P12ihipStream_tbENKUlT_T0_E_clISt17integral_constantIbLb1EESY_EEDaST_SU_EUlST_E_NS1_11comp_targetILNS1_3genE8ELNS1_11target_archE1030ELNS1_3gpuE2ELNS1_3repE0EEENS1_30default_config_static_selectorELNS0_4arch9wavefront6targetE0EEEvT1_,comdat
.Lfunc_end694:
	.size	_ZN7rocprim17ROCPRIM_400000_NS6detail17trampoline_kernelINS0_14default_configENS1_27scan_by_key_config_selectorIxxEEZZNS1_16scan_by_key_implILNS1_25lookback_scan_determinismE0ELb0ES3_N6thrust23THRUST_200600_302600_NS6detail15normal_iteratorINS9_10device_ptrIxEEEESE_SE_xNS9_4plusIxEE19head_flag_predicatexEE10hipError_tPvRmT2_T3_T4_T5_mT6_T7_P12ihipStream_tbENKUlT_T0_E_clISt17integral_constantIbLb1EESY_EEDaST_SU_EUlST_E_NS1_11comp_targetILNS1_3genE8ELNS1_11target_archE1030ELNS1_3gpuE2ELNS1_3repE0EEENS1_30default_config_static_selectorELNS0_4arch9wavefront6targetE0EEEvT1_, .Lfunc_end694-_ZN7rocprim17ROCPRIM_400000_NS6detail17trampoline_kernelINS0_14default_configENS1_27scan_by_key_config_selectorIxxEEZZNS1_16scan_by_key_implILNS1_25lookback_scan_determinismE0ELb0ES3_N6thrust23THRUST_200600_302600_NS6detail15normal_iteratorINS9_10device_ptrIxEEEESE_SE_xNS9_4plusIxEE19head_flag_predicatexEE10hipError_tPvRmT2_T3_T4_T5_mT6_T7_P12ihipStream_tbENKUlT_T0_E_clISt17integral_constantIbLb1EESY_EEDaST_SU_EUlST_E_NS1_11comp_targetILNS1_3genE8ELNS1_11target_archE1030ELNS1_3gpuE2ELNS1_3repE0EEENS1_30default_config_static_selectorELNS0_4arch9wavefront6targetE0EEEvT1_
                                        ; -- End function
	.set _ZN7rocprim17ROCPRIM_400000_NS6detail17trampoline_kernelINS0_14default_configENS1_27scan_by_key_config_selectorIxxEEZZNS1_16scan_by_key_implILNS1_25lookback_scan_determinismE0ELb0ES3_N6thrust23THRUST_200600_302600_NS6detail15normal_iteratorINS9_10device_ptrIxEEEESE_SE_xNS9_4plusIxEE19head_flag_predicatexEE10hipError_tPvRmT2_T3_T4_T5_mT6_T7_P12ihipStream_tbENKUlT_T0_E_clISt17integral_constantIbLb1EESY_EEDaST_SU_EUlST_E_NS1_11comp_targetILNS1_3genE8ELNS1_11target_archE1030ELNS1_3gpuE2ELNS1_3repE0EEENS1_30default_config_static_selectorELNS0_4arch9wavefront6targetE0EEEvT1_.num_vgpr, 0
	.set _ZN7rocprim17ROCPRIM_400000_NS6detail17trampoline_kernelINS0_14default_configENS1_27scan_by_key_config_selectorIxxEEZZNS1_16scan_by_key_implILNS1_25lookback_scan_determinismE0ELb0ES3_N6thrust23THRUST_200600_302600_NS6detail15normal_iteratorINS9_10device_ptrIxEEEESE_SE_xNS9_4plusIxEE19head_flag_predicatexEE10hipError_tPvRmT2_T3_T4_T5_mT6_T7_P12ihipStream_tbENKUlT_T0_E_clISt17integral_constantIbLb1EESY_EEDaST_SU_EUlST_E_NS1_11comp_targetILNS1_3genE8ELNS1_11target_archE1030ELNS1_3gpuE2ELNS1_3repE0EEENS1_30default_config_static_selectorELNS0_4arch9wavefront6targetE0EEEvT1_.num_agpr, 0
	.set _ZN7rocprim17ROCPRIM_400000_NS6detail17trampoline_kernelINS0_14default_configENS1_27scan_by_key_config_selectorIxxEEZZNS1_16scan_by_key_implILNS1_25lookback_scan_determinismE0ELb0ES3_N6thrust23THRUST_200600_302600_NS6detail15normal_iteratorINS9_10device_ptrIxEEEESE_SE_xNS9_4plusIxEE19head_flag_predicatexEE10hipError_tPvRmT2_T3_T4_T5_mT6_T7_P12ihipStream_tbENKUlT_T0_E_clISt17integral_constantIbLb1EESY_EEDaST_SU_EUlST_E_NS1_11comp_targetILNS1_3genE8ELNS1_11target_archE1030ELNS1_3gpuE2ELNS1_3repE0EEENS1_30default_config_static_selectorELNS0_4arch9wavefront6targetE0EEEvT1_.numbered_sgpr, 0
	.set _ZN7rocprim17ROCPRIM_400000_NS6detail17trampoline_kernelINS0_14default_configENS1_27scan_by_key_config_selectorIxxEEZZNS1_16scan_by_key_implILNS1_25lookback_scan_determinismE0ELb0ES3_N6thrust23THRUST_200600_302600_NS6detail15normal_iteratorINS9_10device_ptrIxEEEESE_SE_xNS9_4plusIxEE19head_flag_predicatexEE10hipError_tPvRmT2_T3_T4_T5_mT6_T7_P12ihipStream_tbENKUlT_T0_E_clISt17integral_constantIbLb1EESY_EEDaST_SU_EUlST_E_NS1_11comp_targetILNS1_3genE8ELNS1_11target_archE1030ELNS1_3gpuE2ELNS1_3repE0EEENS1_30default_config_static_selectorELNS0_4arch9wavefront6targetE0EEEvT1_.num_named_barrier, 0
	.set _ZN7rocprim17ROCPRIM_400000_NS6detail17trampoline_kernelINS0_14default_configENS1_27scan_by_key_config_selectorIxxEEZZNS1_16scan_by_key_implILNS1_25lookback_scan_determinismE0ELb0ES3_N6thrust23THRUST_200600_302600_NS6detail15normal_iteratorINS9_10device_ptrIxEEEESE_SE_xNS9_4plusIxEE19head_flag_predicatexEE10hipError_tPvRmT2_T3_T4_T5_mT6_T7_P12ihipStream_tbENKUlT_T0_E_clISt17integral_constantIbLb1EESY_EEDaST_SU_EUlST_E_NS1_11comp_targetILNS1_3genE8ELNS1_11target_archE1030ELNS1_3gpuE2ELNS1_3repE0EEENS1_30default_config_static_selectorELNS0_4arch9wavefront6targetE0EEEvT1_.private_seg_size, 0
	.set _ZN7rocprim17ROCPRIM_400000_NS6detail17trampoline_kernelINS0_14default_configENS1_27scan_by_key_config_selectorIxxEEZZNS1_16scan_by_key_implILNS1_25lookback_scan_determinismE0ELb0ES3_N6thrust23THRUST_200600_302600_NS6detail15normal_iteratorINS9_10device_ptrIxEEEESE_SE_xNS9_4plusIxEE19head_flag_predicatexEE10hipError_tPvRmT2_T3_T4_T5_mT6_T7_P12ihipStream_tbENKUlT_T0_E_clISt17integral_constantIbLb1EESY_EEDaST_SU_EUlST_E_NS1_11comp_targetILNS1_3genE8ELNS1_11target_archE1030ELNS1_3gpuE2ELNS1_3repE0EEENS1_30default_config_static_selectorELNS0_4arch9wavefront6targetE0EEEvT1_.uses_vcc, 0
	.set _ZN7rocprim17ROCPRIM_400000_NS6detail17trampoline_kernelINS0_14default_configENS1_27scan_by_key_config_selectorIxxEEZZNS1_16scan_by_key_implILNS1_25lookback_scan_determinismE0ELb0ES3_N6thrust23THRUST_200600_302600_NS6detail15normal_iteratorINS9_10device_ptrIxEEEESE_SE_xNS9_4plusIxEE19head_flag_predicatexEE10hipError_tPvRmT2_T3_T4_T5_mT6_T7_P12ihipStream_tbENKUlT_T0_E_clISt17integral_constantIbLb1EESY_EEDaST_SU_EUlST_E_NS1_11comp_targetILNS1_3genE8ELNS1_11target_archE1030ELNS1_3gpuE2ELNS1_3repE0EEENS1_30default_config_static_selectorELNS0_4arch9wavefront6targetE0EEEvT1_.uses_flat_scratch, 0
	.set _ZN7rocprim17ROCPRIM_400000_NS6detail17trampoline_kernelINS0_14default_configENS1_27scan_by_key_config_selectorIxxEEZZNS1_16scan_by_key_implILNS1_25lookback_scan_determinismE0ELb0ES3_N6thrust23THRUST_200600_302600_NS6detail15normal_iteratorINS9_10device_ptrIxEEEESE_SE_xNS9_4plusIxEE19head_flag_predicatexEE10hipError_tPvRmT2_T3_T4_T5_mT6_T7_P12ihipStream_tbENKUlT_T0_E_clISt17integral_constantIbLb1EESY_EEDaST_SU_EUlST_E_NS1_11comp_targetILNS1_3genE8ELNS1_11target_archE1030ELNS1_3gpuE2ELNS1_3repE0EEENS1_30default_config_static_selectorELNS0_4arch9wavefront6targetE0EEEvT1_.has_dyn_sized_stack, 0
	.set _ZN7rocprim17ROCPRIM_400000_NS6detail17trampoline_kernelINS0_14default_configENS1_27scan_by_key_config_selectorIxxEEZZNS1_16scan_by_key_implILNS1_25lookback_scan_determinismE0ELb0ES3_N6thrust23THRUST_200600_302600_NS6detail15normal_iteratorINS9_10device_ptrIxEEEESE_SE_xNS9_4plusIxEE19head_flag_predicatexEE10hipError_tPvRmT2_T3_T4_T5_mT6_T7_P12ihipStream_tbENKUlT_T0_E_clISt17integral_constantIbLb1EESY_EEDaST_SU_EUlST_E_NS1_11comp_targetILNS1_3genE8ELNS1_11target_archE1030ELNS1_3gpuE2ELNS1_3repE0EEENS1_30default_config_static_selectorELNS0_4arch9wavefront6targetE0EEEvT1_.has_recursion, 0
	.set _ZN7rocprim17ROCPRIM_400000_NS6detail17trampoline_kernelINS0_14default_configENS1_27scan_by_key_config_selectorIxxEEZZNS1_16scan_by_key_implILNS1_25lookback_scan_determinismE0ELb0ES3_N6thrust23THRUST_200600_302600_NS6detail15normal_iteratorINS9_10device_ptrIxEEEESE_SE_xNS9_4plusIxEE19head_flag_predicatexEE10hipError_tPvRmT2_T3_T4_T5_mT6_T7_P12ihipStream_tbENKUlT_T0_E_clISt17integral_constantIbLb1EESY_EEDaST_SU_EUlST_E_NS1_11comp_targetILNS1_3genE8ELNS1_11target_archE1030ELNS1_3gpuE2ELNS1_3repE0EEENS1_30default_config_static_selectorELNS0_4arch9wavefront6targetE0EEEvT1_.has_indirect_call, 0
	.section	.AMDGPU.csdata,"",@progbits
; Kernel info:
; codeLenInByte = 0
; TotalNumSgprs: 0
; NumVgprs: 0
; ScratchSize: 0
; MemoryBound: 0
; FloatMode: 240
; IeeeMode: 1
; LDSByteSize: 0 bytes/workgroup (compile time only)
; SGPRBlocks: 0
; VGPRBlocks: 0
; NumSGPRsForWavesPerEU: 1
; NumVGPRsForWavesPerEU: 1
; NamedBarCnt: 0
; Occupancy: 16
; WaveLimiterHint : 0
; COMPUTE_PGM_RSRC2:SCRATCH_EN: 0
; COMPUTE_PGM_RSRC2:USER_SGPR: 2
; COMPUTE_PGM_RSRC2:TRAP_HANDLER: 0
; COMPUTE_PGM_RSRC2:TGID_X_EN: 1
; COMPUTE_PGM_RSRC2:TGID_Y_EN: 0
; COMPUTE_PGM_RSRC2:TGID_Z_EN: 0
; COMPUTE_PGM_RSRC2:TIDIG_COMP_CNT: 0
	.section	.text._ZN7rocprim17ROCPRIM_400000_NS6detail17trampoline_kernelINS0_14default_configENS1_27scan_by_key_config_selectorIxxEEZZNS1_16scan_by_key_implILNS1_25lookback_scan_determinismE0ELb0ES3_N6thrust23THRUST_200600_302600_NS6detail15normal_iteratorINS9_10device_ptrIxEEEESE_SE_xNS9_4plusIxEE19head_flag_predicatexEE10hipError_tPvRmT2_T3_T4_T5_mT6_T7_P12ihipStream_tbENKUlT_T0_E_clISt17integral_constantIbLb1EESX_IbLb0EEEEDaST_SU_EUlST_E_NS1_11comp_targetILNS1_3genE0ELNS1_11target_archE4294967295ELNS1_3gpuE0ELNS1_3repE0EEENS1_30default_config_static_selectorELNS0_4arch9wavefront6targetE0EEEvT1_,"axG",@progbits,_ZN7rocprim17ROCPRIM_400000_NS6detail17trampoline_kernelINS0_14default_configENS1_27scan_by_key_config_selectorIxxEEZZNS1_16scan_by_key_implILNS1_25lookback_scan_determinismE0ELb0ES3_N6thrust23THRUST_200600_302600_NS6detail15normal_iteratorINS9_10device_ptrIxEEEESE_SE_xNS9_4plusIxEE19head_flag_predicatexEE10hipError_tPvRmT2_T3_T4_T5_mT6_T7_P12ihipStream_tbENKUlT_T0_E_clISt17integral_constantIbLb1EESX_IbLb0EEEEDaST_SU_EUlST_E_NS1_11comp_targetILNS1_3genE0ELNS1_11target_archE4294967295ELNS1_3gpuE0ELNS1_3repE0EEENS1_30default_config_static_selectorELNS0_4arch9wavefront6targetE0EEEvT1_,comdat
	.protected	_ZN7rocprim17ROCPRIM_400000_NS6detail17trampoline_kernelINS0_14default_configENS1_27scan_by_key_config_selectorIxxEEZZNS1_16scan_by_key_implILNS1_25lookback_scan_determinismE0ELb0ES3_N6thrust23THRUST_200600_302600_NS6detail15normal_iteratorINS9_10device_ptrIxEEEESE_SE_xNS9_4plusIxEE19head_flag_predicatexEE10hipError_tPvRmT2_T3_T4_T5_mT6_T7_P12ihipStream_tbENKUlT_T0_E_clISt17integral_constantIbLb1EESX_IbLb0EEEEDaST_SU_EUlST_E_NS1_11comp_targetILNS1_3genE0ELNS1_11target_archE4294967295ELNS1_3gpuE0ELNS1_3repE0EEENS1_30default_config_static_selectorELNS0_4arch9wavefront6targetE0EEEvT1_ ; -- Begin function _ZN7rocprim17ROCPRIM_400000_NS6detail17trampoline_kernelINS0_14default_configENS1_27scan_by_key_config_selectorIxxEEZZNS1_16scan_by_key_implILNS1_25lookback_scan_determinismE0ELb0ES3_N6thrust23THRUST_200600_302600_NS6detail15normal_iteratorINS9_10device_ptrIxEEEESE_SE_xNS9_4plusIxEE19head_flag_predicatexEE10hipError_tPvRmT2_T3_T4_T5_mT6_T7_P12ihipStream_tbENKUlT_T0_E_clISt17integral_constantIbLb1EESX_IbLb0EEEEDaST_SU_EUlST_E_NS1_11comp_targetILNS1_3genE0ELNS1_11target_archE4294967295ELNS1_3gpuE0ELNS1_3repE0EEENS1_30default_config_static_selectorELNS0_4arch9wavefront6targetE0EEEvT1_
	.globl	_ZN7rocprim17ROCPRIM_400000_NS6detail17trampoline_kernelINS0_14default_configENS1_27scan_by_key_config_selectorIxxEEZZNS1_16scan_by_key_implILNS1_25lookback_scan_determinismE0ELb0ES3_N6thrust23THRUST_200600_302600_NS6detail15normal_iteratorINS9_10device_ptrIxEEEESE_SE_xNS9_4plusIxEE19head_flag_predicatexEE10hipError_tPvRmT2_T3_T4_T5_mT6_T7_P12ihipStream_tbENKUlT_T0_E_clISt17integral_constantIbLb1EESX_IbLb0EEEEDaST_SU_EUlST_E_NS1_11comp_targetILNS1_3genE0ELNS1_11target_archE4294967295ELNS1_3gpuE0ELNS1_3repE0EEENS1_30default_config_static_selectorELNS0_4arch9wavefront6targetE0EEEvT1_
	.p2align	8
	.type	_ZN7rocprim17ROCPRIM_400000_NS6detail17trampoline_kernelINS0_14default_configENS1_27scan_by_key_config_selectorIxxEEZZNS1_16scan_by_key_implILNS1_25lookback_scan_determinismE0ELb0ES3_N6thrust23THRUST_200600_302600_NS6detail15normal_iteratorINS9_10device_ptrIxEEEESE_SE_xNS9_4plusIxEE19head_flag_predicatexEE10hipError_tPvRmT2_T3_T4_T5_mT6_T7_P12ihipStream_tbENKUlT_T0_E_clISt17integral_constantIbLb1EESX_IbLb0EEEEDaST_SU_EUlST_E_NS1_11comp_targetILNS1_3genE0ELNS1_11target_archE4294967295ELNS1_3gpuE0ELNS1_3repE0EEENS1_30default_config_static_selectorELNS0_4arch9wavefront6targetE0EEEvT1_,@function
_ZN7rocprim17ROCPRIM_400000_NS6detail17trampoline_kernelINS0_14default_configENS1_27scan_by_key_config_selectorIxxEEZZNS1_16scan_by_key_implILNS1_25lookback_scan_determinismE0ELb0ES3_N6thrust23THRUST_200600_302600_NS6detail15normal_iteratorINS9_10device_ptrIxEEEESE_SE_xNS9_4plusIxEE19head_flag_predicatexEE10hipError_tPvRmT2_T3_T4_T5_mT6_T7_P12ihipStream_tbENKUlT_T0_E_clISt17integral_constantIbLb1EESX_IbLb0EEEEDaST_SU_EUlST_E_NS1_11comp_targetILNS1_3genE0ELNS1_11target_archE4294967295ELNS1_3gpuE0ELNS1_3repE0EEENS1_30default_config_static_selectorELNS0_4arch9wavefront6targetE0EEEvT1_: ; @_ZN7rocprim17ROCPRIM_400000_NS6detail17trampoline_kernelINS0_14default_configENS1_27scan_by_key_config_selectorIxxEEZZNS1_16scan_by_key_implILNS1_25lookback_scan_determinismE0ELb0ES3_N6thrust23THRUST_200600_302600_NS6detail15normal_iteratorINS9_10device_ptrIxEEEESE_SE_xNS9_4plusIxEE19head_flag_predicatexEE10hipError_tPvRmT2_T3_T4_T5_mT6_T7_P12ihipStream_tbENKUlT_T0_E_clISt17integral_constantIbLb1EESX_IbLb0EEEEDaST_SU_EUlST_E_NS1_11comp_targetILNS1_3genE0ELNS1_11target_archE4294967295ELNS1_3gpuE0ELNS1_3repE0EEENS1_30default_config_static_selectorELNS0_4arch9wavefront6targetE0EEEvT1_
; %bb.0:
	s_endpgm
	.section	.rodata,"a",@progbits
	.p2align	6, 0x0
	.amdhsa_kernel _ZN7rocprim17ROCPRIM_400000_NS6detail17trampoline_kernelINS0_14default_configENS1_27scan_by_key_config_selectorIxxEEZZNS1_16scan_by_key_implILNS1_25lookback_scan_determinismE0ELb0ES3_N6thrust23THRUST_200600_302600_NS6detail15normal_iteratorINS9_10device_ptrIxEEEESE_SE_xNS9_4plusIxEE19head_flag_predicatexEE10hipError_tPvRmT2_T3_T4_T5_mT6_T7_P12ihipStream_tbENKUlT_T0_E_clISt17integral_constantIbLb1EESX_IbLb0EEEEDaST_SU_EUlST_E_NS1_11comp_targetILNS1_3genE0ELNS1_11target_archE4294967295ELNS1_3gpuE0ELNS1_3repE0EEENS1_30default_config_static_selectorELNS0_4arch9wavefront6targetE0EEEvT1_
		.amdhsa_group_segment_fixed_size 0
		.amdhsa_private_segment_fixed_size 0
		.amdhsa_kernarg_size 136
		.amdhsa_user_sgpr_count 2
		.amdhsa_user_sgpr_dispatch_ptr 0
		.amdhsa_user_sgpr_queue_ptr 0
		.amdhsa_user_sgpr_kernarg_segment_ptr 1
		.amdhsa_user_sgpr_dispatch_id 0
		.amdhsa_user_sgpr_kernarg_preload_length 0
		.amdhsa_user_sgpr_kernarg_preload_offset 0
		.amdhsa_user_sgpr_private_segment_size 0
		.amdhsa_wavefront_size32 1
		.amdhsa_uses_dynamic_stack 0
		.amdhsa_enable_private_segment 0
		.amdhsa_system_sgpr_workgroup_id_x 1
		.amdhsa_system_sgpr_workgroup_id_y 0
		.amdhsa_system_sgpr_workgroup_id_z 0
		.amdhsa_system_sgpr_workgroup_info 0
		.amdhsa_system_vgpr_workitem_id 0
		.amdhsa_next_free_vgpr 1
		.amdhsa_next_free_sgpr 1
		.amdhsa_named_barrier_count 0
		.amdhsa_reserve_vcc 0
		.amdhsa_float_round_mode_32 0
		.amdhsa_float_round_mode_16_64 0
		.amdhsa_float_denorm_mode_32 3
		.amdhsa_float_denorm_mode_16_64 3
		.amdhsa_fp16_overflow 0
		.amdhsa_memory_ordered 1
		.amdhsa_forward_progress 1
		.amdhsa_inst_pref_size 1
		.amdhsa_round_robin_scheduling 0
		.amdhsa_exception_fp_ieee_invalid_op 0
		.amdhsa_exception_fp_denorm_src 0
		.amdhsa_exception_fp_ieee_div_zero 0
		.amdhsa_exception_fp_ieee_overflow 0
		.amdhsa_exception_fp_ieee_underflow 0
		.amdhsa_exception_fp_ieee_inexact 0
		.amdhsa_exception_int_div_zero 0
	.end_amdhsa_kernel
	.section	.text._ZN7rocprim17ROCPRIM_400000_NS6detail17trampoline_kernelINS0_14default_configENS1_27scan_by_key_config_selectorIxxEEZZNS1_16scan_by_key_implILNS1_25lookback_scan_determinismE0ELb0ES3_N6thrust23THRUST_200600_302600_NS6detail15normal_iteratorINS9_10device_ptrIxEEEESE_SE_xNS9_4plusIxEE19head_flag_predicatexEE10hipError_tPvRmT2_T3_T4_T5_mT6_T7_P12ihipStream_tbENKUlT_T0_E_clISt17integral_constantIbLb1EESX_IbLb0EEEEDaST_SU_EUlST_E_NS1_11comp_targetILNS1_3genE0ELNS1_11target_archE4294967295ELNS1_3gpuE0ELNS1_3repE0EEENS1_30default_config_static_selectorELNS0_4arch9wavefront6targetE0EEEvT1_,"axG",@progbits,_ZN7rocprim17ROCPRIM_400000_NS6detail17trampoline_kernelINS0_14default_configENS1_27scan_by_key_config_selectorIxxEEZZNS1_16scan_by_key_implILNS1_25lookback_scan_determinismE0ELb0ES3_N6thrust23THRUST_200600_302600_NS6detail15normal_iteratorINS9_10device_ptrIxEEEESE_SE_xNS9_4plusIxEE19head_flag_predicatexEE10hipError_tPvRmT2_T3_T4_T5_mT6_T7_P12ihipStream_tbENKUlT_T0_E_clISt17integral_constantIbLb1EESX_IbLb0EEEEDaST_SU_EUlST_E_NS1_11comp_targetILNS1_3genE0ELNS1_11target_archE4294967295ELNS1_3gpuE0ELNS1_3repE0EEENS1_30default_config_static_selectorELNS0_4arch9wavefront6targetE0EEEvT1_,comdat
.Lfunc_end695:
	.size	_ZN7rocprim17ROCPRIM_400000_NS6detail17trampoline_kernelINS0_14default_configENS1_27scan_by_key_config_selectorIxxEEZZNS1_16scan_by_key_implILNS1_25lookback_scan_determinismE0ELb0ES3_N6thrust23THRUST_200600_302600_NS6detail15normal_iteratorINS9_10device_ptrIxEEEESE_SE_xNS9_4plusIxEE19head_flag_predicatexEE10hipError_tPvRmT2_T3_T4_T5_mT6_T7_P12ihipStream_tbENKUlT_T0_E_clISt17integral_constantIbLb1EESX_IbLb0EEEEDaST_SU_EUlST_E_NS1_11comp_targetILNS1_3genE0ELNS1_11target_archE4294967295ELNS1_3gpuE0ELNS1_3repE0EEENS1_30default_config_static_selectorELNS0_4arch9wavefront6targetE0EEEvT1_, .Lfunc_end695-_ZN7rocprim17ROCPRIM_400000_NS6detail17trampoline_kernelINS0_14default_configENS1_27scan_by_key_config_selectorIxxEEZZNS1_16scan_by_key_implILNS1_25lookback_scan_determinismE0ELb0ES3_N6thrust23THRUST_200600_302600_NS6detail15normal_iteratorINS9_10device_ptrIxEEEESE_SE_xNS9_4plusIxEE19head_flag_predicatexEE10hipError_tPvRmT2_T3_T4_T5_mT6_T7_P12ihipStream_tbENKUlT_T0_E_clISt17integral_constantIbLb1EESX_IbLb0EEEEDaST_SU_EUlST_E_NS1_11comp_targetILNS1_3genE0ELNS1_11target_archE4294967295ELNS1_3gpuE0ELNS1_3repE0EEENS1_30default_config_static_selectorELNS0_4arch9wavefront6targetE0EEEvT1_
                                        ; -- End function
	.set _ZN7rocprim17ROCPRIM_400000_NS6detail17trampoline_kernelINS0_14default_configENS1_27scan_by_key_config_selectorIxxEEZZNS1_16scan_by_key_implILNS1_25lookback_scan_determinismE0ELb0ES3_N6thrust23THRUST_200600_302600_NS6detail15normal_iteratorINS9_10device_ptrIxEEEESE_SE_xNS9_4plusIxEE19head_flag_predicatexEE10hipError_tPvRmT2_T3_T4_T5_mT6_T7_P12ihipStream_tbENKUlT_T0_E_clISt17integral_constantIbLb1EESX_IbLb0EEEEDaST_SU_EUlST_E_NS1_11comp_targetILNS1_3genE0ELNS1_11target_archE4294967295ELNS1_3gpuE0ELNS1_3repE0EEENS1_30default_config_static_selectorELNS0_4arch9wavefront6targetE0EEEvT1_.num_vgpr, 0
	.set _ZN7rocprim17ROCPRIM_400000_NS6detail17trampoline_kernelINS0_14default_configENS1_27scan_by_key_config_selectorIxxEEZZNS1_16scan_by_key_implILNS1_25lookback_scan_determinismE0ELb0ES3_N6thrust23THRUST_200600_302600_NS6detail15normal_iteratorINS9_10device_ptrIxEEEESE_SE_xNS9_4plusIxEE19head_flag_predicatexEE10hipError_tPvRmT2_T3_T4_T5_mT6_T7_P12ihipStream_tbENKUlT_T0_E_clISt17integral_constantIbLb1EESX_IbLb0EEEEDaST_SU_EUlST_E_NS1_11comp_targetILNS1_3genE0ELNS1_11target_archE4294967295ELNS1_3gpuE0ELNS1_3repE0EEENS1_30default_config_static_selectorELNS0_4arch9wavefront6targetE0EEEvT1_.num_agpr, 0
	.set _ZN7rocprim17ROCPRIM_400000_NS6detail17trampoline_kernelINS0_14default_configENS1_27scan_by_key_config_selectorIxxEEZZNS1_16scan_by_key_implILNS1_25lookback_scan_determinismE0ELb0ES3_N6thrust23THRUST_200600_302600_NS6detail15normal_iteratorINS9_10device_ptrIxEEEESE_SE_xNS9_4plusIxEE19head_flag_predicatexEE10hipError_tPvRmT2_T3_T4_T5_mT6_T7_P12ihipStream_tbENKUlT_T0_E_clISt17integral_constantIbLb1EESX_IbLb0EEEEDaST_SU_EUlST_E_NS1_11comp_targetILNS1_3genE0ELNS1_11target_archE4294967295ELNS1_3gpuE0ELNS1_3repE0EEENS1_30default_config_static_selectorELNS0_4arch9wavefront6targetE0EEEvT1_.numbered_sgpr, 0
	.set _ZN7rocprim17ROCPRIM_400000_NS6detail17trampoline_kernelINS0_14default_configENS1_27scan_by_key_config_selectorIxxEEZZNS1_16scan_by_key_implILNS1_25lookback_scan_determinismE0ELb0ES3_N6thrust23THRUST_200600_302600_NS6detail15normal_iteratorINS9_10device_ptrIxEEEESE_SE_xNS9_4plusIxEE19head_flag_predicatexEE10hipError_tPvRmT2_T3_T4_T5_mT6_T7_P12ihipStream_tbENKUlT_T0_E_clISt17integral_constantIbLb1EESX_IbLb0EEEEDaST_SU_EUlST_E_NS1_11comp_targetILNS1_3genE0ELNS1_11target_archE4294967295ELNS1_3gpuE0ELNS1_3repE0EEENS1_30default_config_static_selectorELNS0_4arch9wavefront6targetE0EEEvT1_.num_named_barrier, 0
	.set _ZN7rocprim17ROCPRIM_400000_NS6detail17trampoline_kernelINS0_14default_configENS1_27scan_by_key_config_selectorIxxEEZZNS1_16scan_by_key_implILNS1_25lookback_scan_determinismE0ELb0ES3_N6thrust23THRUST_200600_302600_NS6detail15normal_iteratorINS9_10device_ptrIxEEEESE_SE_xNS9_4plusIxEE19head_flag_predicatexEE10hipError_tPvRmT2_T3_T4_T5_mT6_T7_P12ihipStream_tbENKUlT_T0_E_clISt17integral_constantIbLb1EESX_IbLb0EEEEDaST_SU_EUlST_E_NS1_11comp_targetILNS1_3genE0ELNS1_11target_archE4294967295ELNS1_3gpuE0ELNS1_3repE0EEENS1_30default_config_static_selectorELNS0_4arch9wavefront6targetE0EEEvT1_.private_seg_size, 0
	.set _ZN7rocprim17ROCPRIM_400000_NS6detail17trampoline_kernelINS0_14default_configENS1_27scan_by_key_config_selectorIxxEEZZNS1_16scan_by_key_implILNS1_25lookback_scan_determinismE0ELb0ES3_N6thrust23THRUST_200600_302600_NS6detail15normal_iteratorINS9_10device_ptrIxEEEESE_SE_xNS9_4plusIxEE19head_flag_predicatexEE10hipError_tPvRmT2_T3_T4_T5_mT6_T7_P12ihipStream_tbENKUlT_T0_E_clISt17integral_constantIbLb1EESX_IbLb0EEEEDaST_SU_EUlST_E_NS1_11comp_targetILNS1_3genE0ELNS1_11target_archE4294967295ELNS1_3gpuE0ELNS1_3repE0EEENS1_30default_config_static_selectorELNS0_4arch9wavefront6targetE0EEEvT1_.uses_vcc, 0
	.set _ZN7rocprim17ROCPRIM_400000_NS6detail17trampoline_kernelINS0_14default_configENS1_27scan_by_key_config_selectorIxxEEZZNS1_16scan_by_key_implILNS1_25lookback_scan_determinismE0ELb0ES3_N6thrust23THRUST_200600_302600_NS6detail15normal_iteratorINS9_10device_ptrIxEEEESE_SE_xNS9_4plusIxEE19head_flag_predicatexEE10hipError_tPvRmT2_T3_T4_T5_mT6_T7_P12ihipStream_tbENKUlT_T0_E_clISt17integral_constantIbLb1EESX_IbLb0EEEEDaST_SU_EUlST_E_NS1_11comp_targetILNS1_3genE0ELNS1_11target_archE4294967295ELNS1_3gpuE0ELNS1_3repE0EEENS1_30default_config_static_selectorELNS0_4arch9wavefront6targetE0EEEvT1_.uses_flat_scratch, 0
	.set _ZN7rocprim17ROCPRIM_400000_NS6detail17trampoline_kernelINS0_14default_configENS1_27scan_by_key_config_selectorIxxEEZZNS1_16scan_by_key_implILNS1_25lookback_scan_determinismE0ELb0ES3_N6thrust23THRUST_200600_302600_NS6detail15normal_iteratorINS9_10device_ptrIxEEEESE_SE_xNS9_4plusIxEE19head_flag_predicatexEE10hipError_tPvRmT2_T3_T4_T5_mT6_T7_P12ihipStream_tbENKUlT_T0_E_clISt17integral_constantIbLb1EESX_IbLb0EEEEDaST_SU_EUlST_E_NS1_11comp_targetILNS1_3genE0ELNS1_11target_archE4294967295ELNS1_3gpuE0ELNS1_3repE0EEENS1_30default_config_static_selectorELNS0_4arch9wavefront6targetE0EEEvT1_.has_dyn_sized_stack, 0
	.set _ZN7rocprim17ROCPRIM_400000_NS6detail17trampoline_kernelINS0_14default_configENS1_27scan_by_key_config_selectorIxxEEZZNS1_16scan_by_key_implILNS1_25lookback_scan_determinismE0ELb0ES3_N6thrust23THRUST_200600_302600_NS6detail15normal_iteratorINS9_10device_ptrIxEEEESE_SE_xNS9_4plusIxEE19head_flag_predicatexEE10hipError_tPvRmT2_T3_T4_T5_mT6_T7_P12ihipStream_tbENKUlT_T0_E_clISt17integral_constantIbLb1EESX_IbLb0EEEEDaST_SU_EUlST_E_NS1_11comp_targetILNS1_3genE0ELNS1_11target_archE4294967295ELNS1_3gpuE0ELNS1_3repE0EEENS1_30default_config_static_selectorELNS0_4arch9wavefront6targetE0EEEvT1_.has_recursion, 0
	.set _ZN7rocprim17ROCPRIM_400000_NS6detail17trampoline_kernelINS0_14default_configENS1_27scan_by_key_config_selectorIxxEEZZNS1_16scan_by_key_implILNS1_25lookback_scan_determinismE0ELb0ES3_N6thrust23THRUST_200600_302600_NS6detail15normal_iteratorINS9_10device_ptrIxEEEESE_SE_xNS9_4plusIxEE19head_flag_predicatexEE10hipError_tPvRmT2_T3_T4_T5_mT6_T7_P12ihipStream_tbENKUlT_T0_E_clISt17integral_constantIbLb1EESX_IbLb0EEEEDaST_SU_EUlST_E_NS1_11comp_targetILNS1_3genE0ELNS1_11target_archE4294967295ELNS1_3gpuE0ELNS1_3repE0EEENS1_30default_config_static_selectorELNS0_4arch9wavefront6targetE0EEEvT1_.has_indirect_call, 0
	.section	.AMDGPU.csdata,"",@progbits
; Kernel info:
; codeLenInByte = 4
; TotalNumSgprs: 0
; NumVgprs: 0
; ScratchSize: 0
; MemoryBound: 0
; FloatMode: 240
; IeeeMode: 1
; LDSByteSize: 0 bytes/workgroup (compile time only)
; SGPRBlocks: 0
; VGPRBlocks: 0
; NumSGPRsForWavesPerEU: 1
; NumVGPRsForWavesPerEU: 1
; NamedBarCnt: 0
; Occupancy: 16
; WaveLimiterHint : 0
; COMPUTE_PGM_RSRC2:SCRATCH_EN: 0
; COMPUTE_PGM_RSRC2:USER_SGPR: 2
; COMPUTE_PGM_RSRC2:TRAP_HANDLER: 0
; COMPUTE_PGM_RSRC2:TGID_X_EN: 1
; COMPUTE_PGM_RSRC2:TGID_Y_EN: 0
; COMPUTE_PGM_RSRC2:TGID_Z_EN: 0
; COMPUTE_PGM_RSRC2:TIDIG_COMP_CNT: 0
	.section	.text._ZN7rocprim17ROCPRIM_400000_NS6detail17trampoline_kernelINS0_14default_configENS1_27scan_by_key_config_selectorIxxEEZZNS1_16scan_by_key_implILNS1_25lookback_scan_determinismE0ELb0ES3_N6thrust23THRUST_200600_302600_NS6detail15normal_iteratorINS9_10device_ptrIxEEEESE_SE_xNS9_4plusIxEE19head_flag_predicatexEE10hipError_tPvRmT2_T3_T4_T5_mT6_T7_P12ihipStream_tbENKUlT_T0_E_clISt17integral_constantIbLb1EESX_IbLb0EEEEDaST_SU_EUlST_E_NS1_11comp_targetILNS1_3genE10ELNS1_11target_archE1201ELNS1_3gpuE5ELNS1_3repE0EEENS1_30default_config_static_selectorELNS0_4arch9wavefront6targetE0EEEvT1_,"axG",@progbits,_ZN7rocprim17ROCPRIM_400000_NS6detail17trampoline_kernelINS0_14default_configENS1_27scan_by_key_config_selectorIxxEEZZNS1_16scan_by_key_implILNS1_25lookback_scan_determinismE0ELb0ES3_N6thrust23THRUST_200600_302600_NS6detail15normal_iteratorINS9_10device_ptrIxEEEESE_SE_xNS9_4plusIxEE19head_flag_predicatexEE10hipError_tPvRmT2_T3_T4_T5_mT6_T7_P12ihipStream_tbENKUlT_T0_E_clISt17integral_constantIbLb1EESX_IbLb0EEEEDaST_SU_EUlST_E_NS1_11comp_targetILNS1_3genE10ELNS1_11target_archE1201ELNS1_3gpuE5ELNS1_3repE0EEENS1_30default_config_static_selectorELNS0_4arch9wavefront6targetE0EEEvT1_,comdat
	.protected	_ZN7rocprim17ROCPRIM_400000_NS6detail17trampoline_kernelINS0_14default_configENS1_27scan_by_key_config_selectorIxxEEZZNS1_16scan_by_key_implILNS1_25lookback_scan_determinismE0ELb0ES3_N6thrust23THRUST_200600_302600_NS6detail15normal_iteratorINS9_10device_ptrIxEEEESE_SE_xNS9_4plusIxEE19head_flag_predicatexEE10hipError_tPvRmT2_T3_T4_T5_mT6_T7_P12ihipStream_tbENKUlT_T0_E_clISt17integral_constantIbLb1EESX_IbLb0EEEEDaST_SU_EUlST_E_NS1_11comp_targetILNS1_3genE10ELNS1_11target_archE1201ELNS1_3gpuE5ELNS1_3repE0EEENS1_30default_config_static_selectorELNS0_4arch9wavefront6targetE0EEEvT1_ ; -- Begin function _ZN7rocprim17ROCPRIM_400000_NS6detail17trampoline_kernelINS0_14default_configENS1_27scan_by_key_config_selectorIxxEEZZNS1_16scan_by_key_implILNS1_25lookback_scan_determinismE0ELb0ES3_N6thrust23THRUST_200600_302600_NS6detail15normal_iteratorINS9_10device_ptrIxEEEESE_SE_xNS9_4plusIxEE19head_flag_predicatexEE10hipError_tPvRmT2_T3_T4_T5_mT6_T7_P12ihipStream_tbENKUlT_T0_E_clISt17integral_constantIbLb1EESX_IbLb0EEEEDaST_SU_EUlST_E_NS1_11comp_targetILNS1_3genE10ELNS1_11target_archE1201ELNS1_3gpuE5ELNS1_3repE0EEENS1_30default_config_static_selectorELNS0_4arch9wavefront6targetE0EEEvT1_
	.globl	_ZN7rocprim17ROCPRIM_400000_NS6detail17trampoline_kernelINS0_14default_configENS1_27scan_by_key_config_selectorIxxEEZZNS1_16scan_by_key_implILNS1_25lookback_scan_determinismE0ELb0ES3_N6thrust23THRUST_200600_302600_NS6detail15normal_iteratorINS9_10device_ptrIxEEEESE_SE_xNS9_4plusIxEE19head_flag_predicatexEE10hipError_tPvRmT2_T3_T4_T5_mT6_T7_P12ihipStream_tbENKUlT_T0_E_clISt17integral_constantIbLb1EESX_IbLb0EEEEDaST_SU_EUlST_E_NS1_11comp_targetILNS1_3genE10ELNS1_11target_archE1201ELNS1_3gpuE5ELNS1_3repE0EEENS1_30default_config_static_selectorELNS0_4arch9wavefront6targetE0EEEvT1_
	.p2align	8
	.type	_ZN7rocprim17ROCPRIM_400000_NS6detail17trampoline_kernelINS0_14default_configENS1_27scan_by_key_config_selectorIxxEEZZNS1_16scan_by_key_implILNS1_25lookback_scan_determinismE0ELb0ES3_N6thrust23THRUST_200600_302600_NS6detail15normal_iteratorINS9_10device_ptrIxEEEESE_SE_xNS9_4plusIxEE19head_flag_predicatexEE10hipError_tPvRmT2_T3_T4_T5_mT6_T7_P12ihipStream_tbENKUlT_T0_E_clISt17integral_constantIbLb1EESX_IbLb0EEEEDaST_SU_EUlST_E_NS1_11comp_targetILNS1_3genE10ELNS1_11target_archE1201ELNS1_3gpuE5ELNS1_3repE0EEENS1_30default_config_static_selectorELNS0_4arch9wavefront6targetE0EEEvT1_,@function
_ZN7rocprim17ROCPRIM_400000_NS6detail17trampoline_kernelINS0_14default_configENS1_27scan_by_key_config_selectorIxxEEZZNS1_16scan_by_key_implILNS1_25lookback_scan_determinismE0ELb0ES3_N6thrust23THRUST_200600_302600_NS6detail15normal_iteratorINS9_10device_ptrIxEEEESE_SE_xNS9_4plusIxEE19head_flag_predicatexEE10hipError_tPvRmT2_T3_T4_T5_mT6_T7_P12ihipStream_tbENKUlT_T0_E_clISt17integral_constantIbLb1EESX_IbLb0EEEEDaST_SU_EUlST_E_NS1_11comp_targetILNS1_3genE10ELNS1_11target_archE1201ELNS1_3gpuE5ELNS1_3repE0EEENS1_30default_config_static_selectorELNS0_4arch9wavefront6targetE0EEEvT1_: ; @_ZN7rocprim17ROCPRIM_400000_NS6detail17trampoline_kernelINS0_14default_configENS1_27scan_by_key_config_selectorIxxEEZZNS1_16scan_by_key_implILNS1_25lookback_scan_determinismE0ELb0ES3_N6thrust23THRUST_200600_302600_NS6detail15normal_iteratorINS9_10device_ptrIxEEEESE_SE_xNS9_4plusIxEE19head_flag_predicatexEE10hipError_tPvRmT2_T3_T4_T5_mT6_T7_P12ihipStream_tbENKUlT_T0_E_clISt17integral_constantIbLb1EESX_IbLb0EEEEDaST_SU_EUlST_E_NS1_11comp_targetILNS1_3genE10ELNS1_11target_archE1201ELNS1_3gpuE5ELNS1_3repE0EEENS1_30default_config_static_selectorELNS0_4arch9wavefront6targetE0EEEvT1_
; %bb.0:
	.section	.rodata,"a",@progbits
	.p2align	6, 0x0
	.amdhsa_kernel _ZN7rocprim17ROCPRIM_400000_NS6detail17trampoline_kernelINS0_14default_configENS1_27scan_by_key_config_selectorIxxEEZZNS1_16scan_by_key_implILNS1_25lookback_scan_determinismE0ELb0ES3_N6thrust23THRUST_200600_302600_NS6detail15normal_iteratorINS9_10device_ptrIxEEEESE_SE_xNS9_4plusIxEE19head_flag_predicatexEE10hipError_tPvRmT2_T3_T4_T5_mT6_T7_P12ihipStream_tbENKUlT_T0_E_clISt17integral_constantIbLb1EESX_IbLb0EEEEDaST_SU_EUlST_E_NS1_11comp_targetILNS1_3genE10ELNS1_11target_archE1201ELNS1_3gpuE5ELNS1_3repE0EEENS1_30default_config_static_selectorELNS0_4arch9wavefront6targetE0EEEvT1_
		.amdhsa_group_segment_fixed_size 0
		.amdhsa_private_segment_fixed_size 0
		.amdhsa_kernarg_size 136
		.amdhsa_user_sgpr_count 2
		.amdhsa_user_sgpr_dispatch_ptr 0
		.amdhsa_user_sgpr_queue_ptr 0
		.amdhsa_user_sgpr_kernarg_segment_ptr 1
		.amdhsa_user_sgpr_dispatch_id 0
		.amdhsa_user_sgpr_kernarg_preload_length 0
		.amdhsa_user_sgpr_kernarg_preload_offset 0
		.amdhsa_user_sgpr_private_segment_size 0
		.amdhsa_wavefront_size32 1
		.amdhsa_uses_dynamic_stack 0
		.amdhsa_enable_private_segment 0
		.amdhsa_system_sgpr_workgroup_id_x 1
		.amdhsa_system_sgpr_workgroup_id_y 0
		.amdhsa_system_sgpr_workgroup_id_z 0
		.amdhsa_system_sgpr_workgroup_info 0
		.amdhsa_system_vgpr_workitem_id 0
		.amdhsa_next_free_vgpr 1
		.amdhsa_next_free_sgpr 1
		.amdhsa_named_barrier_count 0
		.amdhsa_reserve_vcc 0
		.amdhsa_float_round_mode_32 0
		.amdhsa_float_round_mode_16_64 0
		.amdhsa_float_denorm_mode_32 3
		.amdhsa_float_denorm_mode_16_64 3
		.amdhsa_fp16_overflow 0
		.amdhsa_memory_ordered 1
		.amdhsa_forward_progress 1
		.amdhsa_inst_pref_size 0
		.amdhsa_round_robin_scheduling 0
		.amdhsa_exception_fp_ieee_invalid_op 0
		.amdhsa_exception_fp_denorm_src 0
		.amdhsa_exception_fp_ieee_div_zero 0
		.amdhsa_exception_fp_ieee_overflow 0
		.amdhsa_exception_fp_ieee_underflow 0
		.amdhsa_exception_fp_ieee_inexact 0
		.amdhsa_exception_int_div_zero 0
	.end_amdhsa_kernel
	.section	.text._ZN7rocprim17ROCPRIM_400000_NS6detail17trampoline_kernelINS0_14default_configENS1_27scan_by_key_config_selectorIxxEEZZNS1_16scan_by_key_implILNS1_25lookback_scan_determinismE0ELb0ES3_N6thrust23THRUST_200600_302600_NS6detail15normal_iteratorINS9_10device_ptrIxEEEESE_SE_xNS9_4plusIxEE19head_flag_predicatexEE10hipError_tPvRmT2_T3_T4_T5_mT6_T7_P12ihipStream_tbENKUlT_T0_E_clISt17integral_constantIbLb1EESX_IbLb0EEEEDaST_SU_EUlST_E_NS1_11comp_targetILNS1_3genE10ELNS1_11target_archE1201ELNS1_3gpuE5ELNS1_3repE0EEENS1_30default_config_static_selectorELNS0_4arch9wavefront6targetE0EEEvT1_,"axG",@progbits,_ZN7rocprim17ROCPRIM_400000_NS6detail17trampoline_kernelINS0_14default_configENS1_27scan_by_key_config_selectorIxxEEZZNS1_16scan_by_key_implILNS1_25lookback_scan_determinismE0ELb0ES3_N6thrust23THRUST_200600_302600_NS6detail15normal_iteratorINS9_10device_ptrIxEEEESE_SE_xNS9_4plusIxEE19head_flag_predicatexEE10hipError_tPvRmT2_T3_T4_T5_mT6_T7_P12ihipStream_tbENKUlT_T0_E_clISt17integral_constantIbLb1EESX_IbLb0EEEEDaST_SU_EUlST_E_NS1_11comp_targetILNS1_3genE10ELNS1_11target_archE1201ELNS1_3gpuE5ELNS1_3repE0EEENS1_30default_config_static_selectorELNS0_4arch9wavefront6targetE0EEEvT1_,comdat
.Lfunc_end696:
	.size	_ZN7rocprim17ROCPRIM_400000_NS6detail17trampoline_kernelINS0_14default_configENS1_27scan_by_key_config_selectorIxxEEZZNS1_16scan_by_key_implILNS1_25lookback_scan_determinismE0ELb0ES3_N6thrust23THRUST_200600_302600_NS6detail15normal_iteratorINS9_10device_ptrIxEEEESE_SE_xNS9_4plusIxEE19head_flag_predicatexEE10hipError_tPvRmT2_T3_T4_T5_mT6_T7_P12ihipStream_tbENKUlT_T0_E_clISt17integral_constantIbLb1EESX_IbLb0EEEEDaST_SU_EUlST_E_NS1_11comp_targetILNS1_3genE10ELNS1_11target_archE1201ELNS1_3gpuE5ELNS1_3repE0EEENS1_30default_config_static_selectorELNS0_4arch9wavefront6targetE0EEEvT1_, .Lfunc_end696-_ZN7rocprim17ROCPRIM_400000_NS6detail17trampoline_kernelINS0_14default_configENS1_27scan_by_key_config_selectorIxxEEZZNS1_16scan_by_key_implILNS1_25lookback_scan_determinismE0ELb0ES3_N6thrust23THRUST_200600_302600_NS6detail15normal_iteratorINS9_10device_ptrIxEEEESE_SE_xNS9_4plusIxEE19head_flag_predicatexEE10hipError_tPvRmT2_T3_T4_T5_mT6_T7_P12ihipStream_tbENKUlT_T0_E_clISt17integral_constantIbLb1EESX_IbLb0EEEEDaST_SU_EUlST_E_NS1_11comp_targetILNS1_3genE10ELNS1_11target_archE1201ELNS1_3gpuE5ELNS1_3repE0EEENS1_30default_config_static_selectorELNS0_4arch9wavefront6targetE0EEEvT1_
                                        ; -- End function
	.set _ZN7rocprim17ROCPRIM_400000_NS6detail17trampoline_kernelINS0_14default_configENS1_27scan_by_key_config_selectorIxxEEZZNS1_16scan_by_key_implILNS1_25lookback_scan_determinismE0ELb0ES3_N6thrust23THRUST_200600_302600_NS6detail15normal_iteratorINS9_10device_ptrIxEEEESE_SE_xNS9_4plusIxEE19head_flag_predicatexEE10hipError_tPvRmT2_T3_T4_T5_mT6_T7_P12ihipStream_tbENKUlT_T0_E_clISt17integral_constantIbLb1EESX_IbLb0EEEEDaST_SU_EUlST_E_NS1_11comp_targetILNS1_3genE10ELNS1_11target_archE1201ELNS1_3gpuE5ELNS1_3repE0EEENS1_30default_config_static_selectorELNS0_4arch9wavefront6targetE0EEEvT1_.num_vgpr, 0
	.set _ZN7rocprim17ROCPRIM_400000_NS6detail17trampoline_kernelINS0_14default_configENS1_27scan_by_key_config_selectorIxxEEZZNS1_16scan_by_key_implILNS1_25lookback_scan_determinismE0ELb0ES3_N6thrust23THRUST_200600_302600_NS6detail15normal_iteratorINS9_10device_ptrIxEEEESE_SE_xNS9_4plusIxEE19head_flag_predicatexEE10hipError_tPvRmT2_T3_T4_T5_mT6_T7_P12ihipStream_tbENKUlT_T0_E_clISt17integral_constantIbLb1EESX_IbLb0EEEEDaST_SU_EUlST_E_NS1_11comp_targetILNS1_3genE10ELNS1_11target_archE1201ELNS1_3gpuE5ELNS1_3repE0EEENS1_30default_config_static_selectorELNS0_4arch9wavefront6targetE0EEEvT1_.num_agpr, 0
	.set _ZN7rocprim17ROCPRIM_400000_NS6detail17trampoline_kernelINS0_14default_configENS1_27scan_by_key_config_selectorIxxEEZZNS1_16scan_by_key_implILNS1_25lookback_scan_determinismE0ELb0ES3_N6thrust23THRUST_200600_302600_NS6detail15normal_iteratorINS9_10device_ptrIxEEEESE_SE_xNS9_4plusIxEE19head_flag_predicatexEE10hipError_tPvRmT2_T3_T4_T5_mT6_T7_P12ihipStream_tbENKUlT_T0_E_clISt17integral_constantIbLb1EESX_IbLb0EEEEDaST_SU_EUlST_E_NS1_11comp_targetILNS1_3genE10ELNS1_11target_archE1201ELNS1_3gpuE5ELNS1_3repE0EEENS1_30default_config_static_selectorELNS0_4arch9wavefront6targetE0EEEvT1_.numbered_sgpr, 0
	.set _ZN7rocprim17ROCPRIM_400000_NS6detail17trampoline_kernelINS0_14default_configENS1_27scan_by_key_config_selectorIxxEEZZNS1_16scan_by_key_implILNS1_25lookback_scan_determinismE0ELb0ES3_N6thrust23THRUST_200600_302600_NS6detail15normal_iteratorINS9_10device_ptrIxEEEESE_SE_xNS9_4plusIxEE19head_flag_predicatexEE10hipError_tPvRmT2_T3_T4_T5_mT6_T7_P12ihipStream_tbENKUlT_T0_E_clISt17integral_constantIbLb1EESX_IbLb0EEEEDaST_SU_EUlST_E_NS1_11comp_targetILNS1_3genE10ELNS1_11target_archE1201ELNS1_3gpuE5ELNS1_3repE0EEENS1_30default_config_static_selectorELNS0_4arch9wavefront6targetE0EEEvT1_.num_named_barrier, 0
	.set _ZN7rocprim17ROCPRIM_400000_NS6detail17trampoline_kernelINS0_14default_configENS1_27scan_by_key_config_selectorIxxEEZZNS1_16scan_by_key_implILNS1_25lookback_scan_determinismE0ELb0ES3_N6thrust23THRUST_200600_302600_NS6detail15normal_iteratorINS9_10device_ptrIxEEEESE_SE_xNS9_4plusIxEE19head_flag_predicatexEE10hipError_tPvRmT2_T3_T4_T5_mT6_T7_P12ihipStream_tbENKUlT_T0_E_clISt17integral_constantIbLb1EESX_IbLb0EEEEDaST_SU_EUlST_E_NS1_11comp_targetILNS1_3genE10ELNS1_11target_archE1201ELNS1_3gpuE5ELNS1_3repE0EEENS1_30default_config_static_selectorELNS0_4arch9wavefront6targetE0EEEvT1_.private_seg_size, 0
	.set _ZN7rocprim17ROCPRIM_400000_NS6detail17trampoline_kernelINS0_14default_configENS1_27scan_by_key_config_selectorIxxEEZZNS1_16scan_by_key_implILNS1_25lookback_scan_determinismE0ELb0ES3_N6thrust23THRUST_200600_302600_NS6detail15normal_iteratorINS9_10device_ptrIxEEEESE_SE_xNS9_4plusIxEE19head_flag_predicatexEE10hipError_tPvRmT2_T3_T4_T5_mT6_T7_P12ihipStream_tbENKUlT_T0_E_clISt17integral_constantIbLb1EESX_IbLb0EEEEDaST_SU_EUlST_E_NS1_11comp_targetILNS1_3genE10ELNS1_11target_archE1201ELNS1_3gpuE5ELNS1_3repE0EEENS1_30default_config_static_selectorELNS0_4arch9wavefront6targetE0EEEvT1_.uses_vcc, 0
	.set _ZN7rocprim17ROCPRIM_400000_NS6detail17trampoline_kernelINS0_14default_configENS1_27scan_by_key_config_selectorIxxEEZZNS1_16scan_by_key_implILNS1_25lookback_scan_determinismE0ELb0ES3_N6thrust23THRUST_200600_302600_NS6detail15normal_iteratorINS9_10device_ptrIxEEEESE_SE_xNS9_4plusIxEE19head_flag_predicatexEE10hipError_tPvRmT2_T3_T4_T5_mT6_T7_P12ihipStream_tbENKUlT_T0_E_clISt17integral_constantIbLb1EESX_IbLb0EEEEDaST_SU_EUlST_E_NS1_11comp_targetILNS1_3genE10ELNS1_11target_archE1201ELNS1_3gpuE5ELNS1_3repE0EEENS1_30default_config_static_selectorELNS0_4arch9wavefront6targetE0EEEvT1_.uses_flat_scratch, 0
	.set _ZN7rocprim17ROCPRIM_400000_NS6detail17trampoline_kernelINS0_14default_configENS1_27scan_by_key_config_selectorIxxEEZZNS1_16scan_by_key_implILNS1_25lookback_scan_determinismE0ELb0ES3_N6thrust23THRUST_200600_302600_NS6detail15normal_iteratorINS9_10device_ptrIxEEEESE_SE_xNS9_4plusIxEE19head_flag_predicatexEE10hipError_tPvRmT2_T3_T4_T5_mT6_T7_P12ihipStream_tbENKUlT_T0_E_clISt17integral_constantIbLb1EESX_IbLb0EEEEDaST_SU_EUlST_E_NS1_11comp_targetILNS1_3genE10ELNS1_11target_archE1201ELNS1_3gpuE5ELNS1_3repE0EEENS1_30default_config_static_selectorELNS0_4arch9wavefront6targetE0EEEvT1_.has_dyn_sized_stack, 0
	.set _ZN7rocprim17ROCPRIM_400000_NS6detail17trampoline_kernelINS0_14default_configENS1_27scan_by_key_config_selectorIxxEEZZNS1_16scan_by_key_implILNS1_25lookback_scan_determinismE0ELb0ES3_N6thrust23THRUST_200600_302600_NS6detail15normal_iteratorINS9_10device_ptrIxEEEESE_SE_xNS9_4plusIxEE19head_flag_predicatexEE10hipError_tPvRmT2_T3_T4_T5_mT6_T7_P12ihipStream_tbENKUlT_T0_E_clISt17integral_constantIbLb1EESX_IbLb0EEEEDaST_SU_EUlST_E_NS1_11comp_targetILNS1_3genE10ELNS1_11target_archE1201ELNS1_3gpuE5ELNS1_3repE0EEENS1_30default_config_static_selectorELNS0_4arch9wavefront6targetE0EEEvT1_.has_recursion, 0
	.set _ZN7rocprim17ROCPRIM_400000_NS6detail17trampoline_kernelINS0_14default_configENS1_27scan_by_key_config_selectorIxxEEZZNS1_16scan_by_key_implILNS1_25lookback_scan_determinismE0ELb0ES3_N6thrust23THRUST_200600_302600_NS6detail15normal_iteratorINS9_10device_ptrIxEEEESE_SE_xNS9_4plusIxEE19head_flag_predicatexEE10hipError_tPvRmT2_T3_T4_T5_mT6_T7_P12ihipStream_tbENKUlT_T0_E_clISt17integral_constantIbLb1EESX_IbLb0EEEEDaST_SU_EUlST_E_NS1_11comp_targetILNS1_3genE10ELNS1_11target_archE1201ELNS1_3gpuE5ELNS1_3repE0EEENS1_30default_config_static_selectorELNS0_4arch9wavefront6targetE0EEEvT1_.has_indirect_call, 0
	.section	.AMDGPU.csdata,"",@progbits
; Kernel info:
; codeLenInByte = 0
; TotalNumSgprs: 0
; NumVgprs: 0
; ScratchSize: 0
; MemoryBound: 0
; FloatMode: 240
; IeeeMode: 1
; LDSByteSize: 0 bytes/workgroup (compile time only)
; SGPRBlocks: 0
; VGPRBlocks: 0
; NumSGPRsForWavesPerEU: 1
; NumVGPRsForWavesPerEU: 1
; NamedBarCnt: 0
; Occupancy: 16
; WaveLimiterHint : 0
; COMPUTE_PGM_RSRC2:SCRATCH_EN: 0
; COMPUTE_PGM_RSRC2:USER_SGPR: 2
; COMPUTE_PGM_RSRC2:TRAP_HANDLER: 0
; COMPUTE_PGM_RSRC2:TGID_X_EN: 1
; COMPUTE_PGM_RSRC2:TGID_Y_EN: 0
; COMPUTE_PGM_RSRC2:TGID_Z_EN: 0
; COMPUTE_PGM_RSRC2:TIDIG_COMP_CNT: 0
	.section	.text._ZN7rocprim17ROCPRIM_400000_NS6detail17trampoline_kernelINS0_14default_configENS1_27scan_by_key_config_selectorIxxEEZZNS1_16scan_by_key_implILNS1_25lookback_scan_determinismE0ELb0ES3_N6thrust23THRUST_200600_302600_NS6detail15normal_iteratorINS9_10device_ptrIxEEEESE_SE_xNS9_4plusIxEE19head_flag_predicatexEE10hipError_tPvRmT2_T3_T4_T5_mT6_T7_P12ihipStream_tbENKUlT_T0_E_clISt17integral_constantIbLb1EESX_IbLb0EEEEDaST_SU_EUlST_E_NS1_11comp_targetILNS1_3genE5ELNS1_11target_archE942ELNS1_3gpuE9ELNS1_3repE0EEENS1_30default_config_static_selectorELNS0_4arch9wavefront6targetE0EEEvT1_,"axG",@progbits,_ZN7rocprim17ROCPRIM_400000_NS6detail17trampoline_kernelINS0_14default_configENS1_27scan_by_key_config_selectorIxxEEZZNS1_16scan_by_key_implILNS1_25lookback_scan_determinismE0ELb0ES3_N6thrust23THRUST_200600_302600_NS6detail15normal_iteratorINS9_10device_ptrIxEEEESE_SE_xNS9_4plusIxEE19head_flag_predicatexEE10hipError_tPvRmT2_T3_T4_T5_mT6_T7_P12ihipStream_tbENKUlT_T0_E_clISt17integral_constantIbLb1EESX_IbLb0EEEEDaST_SU_EUlST_E_NS1_11comp_targetILNS1_3genE5ELNS1_11target_archE942ELNS1_3gpuE9ELNS1_3repE0EEENS1_30default_config_static_selectorELNS0_4arch9wavefront6targetE0EEEvT1_,comdat
	.protected	_ZN7rocprim17ROCPRIM_400000_NS6detail17trampoline_kernelINS0_14default_configENS1_27scan_by_key_config_selectorIxxEEZZNS1_16scan_by_key_implILNS1_25lookback_scan_determinismE0ELb0ES3_N6thrust23THRUST_200600_302600_NS6detail15normal_iteratorINS9_10device_ptrIxEEEESE_SE_xNS9_4plusIxEE19head_flag_predicatexEE10hipError_tPvRmT2_T3_T4_T5_mT6_T7_P12ihipStream_tbENKUlT_T0_E_clISt17integral_constantIbLb1EESX_IbLb0EEEEDaST_SU_EUlST_E_NS1_11comp_targetILNS1_3genE5ELNS1_11target_archE942ELNS1_3gpuE9ELNS1_3repE0EEENS1_30default_config_static_selectorELNS0_4arch9wavefront6targetE0EEEvT1_ ; -- Begin function _ZN7rocprim17ROCPRIM_400000_NS6detail17trampoline_kernelINS0_14default_configENS1_27scan_by_key_config_selectorIxxEEZZNS1_16scan_by_key_implILNS1_25lookback_scan_determinismE0ELb0ES3_N6thrust23THRUST_200600_302600_NS6detail15normal_iteratorINS9_10device_ptrIxEEEESE_SE_xNS9_4plusIxEE19head_flag_predicatexEE10hipError_tPvRmT2_T3_T4_T5_mT6_T7_P12ihipStream_tbENKUlT_T0_E_clISt17integral_constantIbLb1EESX_IbLb0EEEEDaST_SU_EUlST_E_NS1_11comp_targetILNS1_3genE5ELNS1_11target_archE942ELNS1_3gpuE9ELNS1_3repE0EEENS1_30default_config_static_selectorELNS0_4arch9wavefront6targetE0EEEvT1_
	.globl	_ZN7rocprim17ROCPRIM_400000_NS6detail17trampoline_kernelINS0_14default_configENS1_27scan_by_key_config_selectorIxxEEZZNS1_16scan_by_key_implILNS1_25lookback_scan_determinismE0ELb0ES3_N6thrust23THRUST_200600_302600_NS6detail15normal_iteratorINS9_10device_ptrIxEEEESE_SE_xNS9_4plusIxEE19head_flag_predicatexEE10hipError_tPvRmT2_T3_T4_T5_mT6_T7_P12ihipStream_tbENKUlT_T0_E_clISt17integral_constantIbLb1EESX_IbLb0EEEEDaST_SU_EUlST_E_NS1_11comp_targetILNS1_3genE5ELNS1_11target_archE942ELNS1_3gpuE9ELNS1_3repE0EEENS1_30default_config_static_selectorELNS0_4arch9wavefront6targetE0EEEvT1_
	.p2align	8
	.type	_ZN7rocprim17ROCPRIM_400000_NS6detail17trampoline_kernelINS0_14default_configENS1_27scan_by_key_config_selectorIxxEEZZNS1_16scan_by_key_implILNS1_25lookback_scan_determinismE0ELb0ES3_N6thrust23THRUST_200600_302600_NS6detail15normal_iteratorINS9_10device_ptrIxEEEESE_SE_xNS9_4plusIxEE19head_flag_predicatexEE10hipError_tPvRmT2_T3_T4_T5_mT6_T7_P12ihipStream_tbENKUlT_T0_E_clISt17integral_constantIbLb1EESX_IbLb0EEEEDaST_SU_EUlST_E_NS1_11comp_targetILNS1_3genE5ELNS1_11target_archE942ELNS1_3gpuE9ELNS1_3repE0EEENS1_30default_config_static_selectorELNS0_4arch9wavefront6targetE0EEEvT1_,@function
_ZN7rocprim17ROCPRIM_400000_NS6detail17trampoline_kernelINS0_14default_configENS1_27scan_by_key_config_selectorIxxEEZZNS1_16scan_by_key_implILNS1_25lookback_scan_determinismE0ELb0ES3_N6thrust23THRUST_200600_302600_NS6detail15normal_iteratorINS9_10device_ptrIxEEEESE_SE_xNS9_4plusIxEE19head_flag_predicatexEE10hipError_tPvRmT2_T3_T4_T5_mT6_T7_P12ihipStream_tbENKUlT_T0_E_clISt17integral_constantIbLb1EESX_IbLb0EEEEDaST_SU_EUlST_E_NS1_11comp_targetILNS1_3genE5ELNS1_11target_archE942ELNS1_3gpuE9ELNS1_3repE0EEENS1_30default_config_static_selectorELNS0_4arch9wavefront6targetE0EEEvT1_: ; @_ZN7rocprim17ROCPRIM_400000_NS6detail17trampoline_kernelINS0_14default_configENS1_27scan_by_key_config_selectorIxxEEZZNS1_16scan_by_key_implILNS1_25lookback_scan_determinismE0ELb0ES3_N6thrust23THRUST_200600_302600_NS6detail15normal_iteratorINS9_10device_ptrIxEEEESE_SE_xNS9_4plusIxEE19head_flag_predicatexEE10hipError_tPvRmT2_T3_T4_T5_mT6_T7_P12ihipStream_tbENKUlT_T0_E_clISt17integral_constantIbLb1EESX_IbLb0EEEEDaST_SU_EUlST_E_NS1_11comp_targetILNS1_3genE5ELNS1_11target_archE942ELNS1_3gpuE9ELNS1_3repE0EEENS1_30default_config_static_selectorELNS0_4arch9wavefront6targetE0EEEvT1_
; %bb.0:
	.section	.rodata,"a",@progbits
	.p2align	6, 0x0
	.amdhsa_kernel _ZN7rocprim17ROCPRIM_400000_NS6detail17trampoline_kernelINS0_14default_configENS1_27scan_by_key_config_selectorIxxEEZZNS1_16scan_by_key_implILNS1_25lookback_scan_determinismE0ELb0ES3_N6thrust23THRUST_200600_302600_NS6detail15normal_iteratorINS9_10device_ptrIxEEEESE_SE_xNS9_4plusIxEE19head_flag_predicatexEE10hipError_tPvRmT2_T3_T4_T5_mT6_T7_P12ihipStream_tbENKUlT_T0_E_clISt17integral_constantIbLb1EESX_IbLb0EEEEDaST_SU_EUlST_E_NS1_11comp_targetILNS1_3genE5ELNS1_11target_archE942ELNS1_3gpuE9ELNS1_3repE0EEENS1_30default_config_static_selectorELNS0_4arch9wavefront6targetE0EEEvT1_
		.amdhsa_group_segment_fixed_size 0
		.amdhsa_private_segment_fixed_size 0
		.amdhsa_kernarg_size 136
		.amdhsa_user_sgpr_count 2
		.amdhsa_user_sgpr_dispatch_ptr 0
		.amdhsa_user_sgpr_queue_ptr 0
		.amdhsa_user_sgpr_kernarg_segment_ptr 1
		.amdhsa_user_sgpr_dispatch_id 0
		.amdhsa_user_sgpr_kernarg_preload_length 0
		.amdhsa_user_sgpr_kernarg_preload_offset 0
		.amdhsa_user_sgpr_private_segment_size 0
		.amdhsa_wavefront_size32 1
		.amdhsa_uses_dynamic_stack 0
		.amdhsa_enable_private_segment 0
		.amdhsa_system_sgpr_workgroup_id_x 1
		.amdhsa_system_sgpr_workgroup_id_y 0
		.amdhsa_system_sgpr_workgroup_id_z 0
		.amdhsa_system_sgpr_workgroup_info 0
		.amdhsa_system_vgpr_workitem_id 0
		.amdhsa_next_free_vgpr 1
		.amdhsa_next_free_sgpr 1
		.amdhsa_named_barrier_count 0
		.amdhsa_reserve_vcc 0
		.amdhsa_float_round_mode_32 0
		.amdhsa_float_round_mode_16_64 0
		.amdhsa_float_denorm_mode_32 3
		.amdhsa_float_denorm_mode_16_64 3
		.amdhsa_fp16_overflow 0
		.amdhsa_memory_ordered 1
		.amdhsa_forward_progress 1
		.amdhsa_inst_pref_size 0
		.amdhsa_round_robin_scheduling 0
		.amdhsa_exception_fp_ieee_invalid_op 0
		.amdhsa_exception_fp_denorm_src 0
		.amdhsa_exception_fp_ieee_div_zero 0
		.amdhsa_exception_fp_ieee_overflow 0
		.amdhsa_exception_fp_ieee_underflow 0
		.amdhsa_exception_fp_ieee_inexact 0
		.amdhsa_exception_int_div_zero 0
	.end_amdhsa_kernel
	.section	.text._ZN7rocprim17ROCPRIM_400000_NS6detail17trampoline_kernelINS0_14default_configENS1_27scan_by_key_config_selectorIxxEEZZNS1_16scan_by_key_implILNS1_25lookback_scan_determinismE0ELb0ES3_N6thrust23THRUST_200600_302600_NS6detail15normal_iteratorINS9_10device_ptrIxEEEESE_SE_xNS9_4plusIxEE19head_flag_predicatexEE10hipError_tPvRmT2_T3_T4_T5_mT6_T7_P12ihipStream_tbENKUlT_T0_E_clISt17integral_constantIbLb1EESX_IbLb0EEEEDaST_SU_EUlST_E_NS1_11comp_targetILNS1_3genE5ELNS1_11target_archE942ELNS1_3gpuE9ELNS1_3repE0EEENS1_30default_config_static_selectorELNS0_4arch9wavefront6targetE0EEEvT1_,"axG",@progbits,_ZN7rocprim17ROCPRIM_400000_NS6detail17trampoline_kernelINS0_14default_configENS1_27scan_by_key_config_selectorIxxEEZZNS1_16scan_by_key_implILNS1_25lookback_scan_determinismE0ELb0ES3_N6thrust23THRUST_200600_302600_NS6detail15normal_iteratorINS9_10device_ptrIxEEEESE_SE_xNS9_4plusIxEE19head_flag_predicatexEE10hipError_tPvRmT2_T3_T4_T5_mT6_T7_P12ihipStream_tbENKUlT_T0_E_clISt17integral_constantIbLb1EESX_IbLb0EEEEDaST_SU_EUlST_E_NS1_11comp_targetILNS1_3genE5ELNS1_11target_archE942ELNS1_3gpuE9ELNS1_3repE0EEENS1_30default_config_static_selectorELNS0_4arch9wavefront6targetE0EEEvT1_,comdat
.Lfunc_end697:
	.size	_ZN7rocprim17ROCPRIM_400000_NS6detail17trampoline_kernelINS0_14default_configENS1_27scan_by_key_config_selectorIxxEEZZNS1_16scan_by_key_implILNS1_25lookback_scan_determinismE0ELb0ES3_N6thrust23THRUST_200600_302600_NS6detail15normal_iteratorINS9_10device_ptrIxEEEESE_SE_xNS9_4plusIxEE19head_flag_predicatexEE10hipError_tPvRmT2_T3_T4_T5_mT6_T7_P12ihipStream_tbENKUlT_T0_E_clISt17integral_constantIbLb1EESX_IbLb0EEEEDaST_SU_EUlST_E_NS1_11comp_targetILNS1_3genE5ELNS1_11target_archE942ELNS1_3gpuE9ELNS1_3repE0EEENS1_30default_config_static_selectorELNS0_4arch9wavefront6targetE0EEEvT1_, .Lfunc_end697-_ZN7rocprim17ROCPRIM_400000_NS6detail17trampoline_kernelINS0_14default_configENS1_27scan_by_key_config_selectorIxxEEZZNS1_16scan_by_key_implILNS1_25lookback_scan_determinismE0ELb0ES3_N6thrust23THRUST_200600_302600_NS6detail15normal_iteratorINS9_10device_ptrIxEEEESE_SE_xNS9_4plusIxEE19head_flag_predicatexEE10hipError_tPvRmT2_T3_T4_T5_mT6_T7_P12ihipStream_tbENKUlT_T0_E_clISt17integral_constantIbLb1EESX_IbLb0EEEEDaST_SU_EUlST_E_NS1_11comp_targetILNS1_3genE5ELNS1_11target_archE942ELNS1_3gpuE9ELNS1_3repE0EEENS1_30default_config_static_selectorELNS0_4arch9wavefront6targetE0EEEvT1_
                                        ; -- End function
	.set _ZN7rocprim17ROCPRIM_400000_NS6detail17trampoline_kernelINS0_14default_configENS1_27scan_by_key_config_selectorIxxEEZZNS1_16scan_by_key_implILNS1_25lookback_scan_determinismE0ELb0ES3_N6thrust23THRUST_200600_302600_NS6detail15normal_iteratorINS9_10device_ptrIxEEEESE_SE_xNS9_4plusIxEE19head_flag_predicatexEE10hipError_tPvRmT2_T3_T4_T5_mT6_T7_P12ihipStream_tbENKUlT_T0_E_clISt17integral_constantIbLb1EESX_IbLb0EEEEDaST_SU_EUlST_E_NS1_11comp_targetILNS1_3genE5ELNS1_11target_archE942ELNS1_3gpuE9ELNS1_3repE0EEENS1_30default_config_static_selectorELNS0_4arch9wavefront6targetE0EEEvT1_.num_vgpr, 0
	.set _ZN7rocprim17ROCPRIM_400000_NS6detail17trampoline_kernelINS0_14default_configENS1_27scan_by_key_config_selectorIxxEEZZNS1_16scan_by_key_implILNS1_25lookback_scan_determinismE0ELb0ES3_N6thrust23THRUST_200600_302600_NS6detail15normal_iteratorINS9_10device_ptrIxEEEESE_SE_xNS9_4plusIxEE19head_flag_predicatexEE10hipError_tPvRmT2_T3_T4_T5_mT6_T7_P12ihipStream_tbENKUlT_T0_E_clISt17integral_constantIbLb1EESX_IbLb0EEEEDaST_SU_EUlST_E_NS1_11comp_targetILNS1_3genE5ELNS1_11target_archE942ELNS1_3gpuE9ELNS1_3repE0EEENS1_30default_config_static_selectorELNS0_4arch9wavefront6targetE0EEEvT1_.num_agpr, 0
	.set _ZN7rocprim17ROCPRIM_400000_NS6detail17trampoline_kernelINS0_14default_configENS1_27scan_by_key_config_selectorIxxEEZZNS1_16scan_by_key_implILNS1_25lookback_scan_determinismE0ELb0ES3_N6thrust23THRUST_200600_302600_NS6detail15normal_iteratorINS9_10device_ptrIxEEEESE_SE_xNS9_4plusIxEE19head_flag_predicatexEE10hipError_tPvRmT2_T3_T4_T5_mT6_T7_P12ihipStream_tbENKUlT_T0_E_clISt17integral_constantIbLb1EESX_IbLb0EEEEDaST_SU_EUlST_E_NS1_11comp_targetILNS1_3genE5ELNS1_11target_archE942ELNS1_3gpuE9ELNS1_3repE0EEENS1_30default_config_static_selectorELNS0_4arch9wavefront6targetE0EEEvT1_.numbered_sgpr, 0
	.set _ZN7rocprim17ROCPRIM_400000_NS6detail17trampoline_kernelINS0_14default_configENS1_27scan_by_key_config_selectorIxxEEZZNS1_16scan_by_key_implILNS1_25lookback_scan_determinismE0ELb0ES3_N6thrust23THRUST_200600_302600_NS6detail15normal_iteratorINS9_10device_ptrIxEEEESE_SE_xNS9_4plusIxEE19head_flag_predicatexEE10hipError_tPvRmT2_T3_T4_T5_mT6_T7_P12ihipStream_tbENKUlT_T0_E_clISt17integral_constantIbLb1EESX_IbLb0EEEEDaST_SU_EUlST_E_NS1_11comp_targetILNS1_3genE5ELNS1_11target_archE942ELNS1_3gpuE9ELNS1_3repE0EEENS1_30default_config_static_selectorELNS0_4arch9wavefront6targetE0EEEvT1_.num_named_barrier, 0
	.set _ZN7rocprim17ROCPRIM_400000_NS6detail17trampoline_kernelINS0_14default_configENS1_27scan_by_key_config_selectorIxxEEZZNS1_16scan_by_key_implILNS1_25lookback_scan_determinismE0ELb0ES3_N6thrust23THRUST_200600_302600_NS6detail15normal_iteratorINS9_10device_ptrIxEEEESE_SE_xNS9_4plusIxEE19head_flag_predicatexEE10hipError_tPvRmT2_T3_T4_T5_mT6_T7_P12ihipStream_tbENKUlT_T0_E_clISt17integral_constantIbLb1EESX_IbLb0EEEEDaST_SU_EUlST_E_NS1_11comp_targetILNS1_3genE5ELNS1_11target_archE942ELNS1_3gpuE9ELNS1_3repE0EEENS1_30default_config_static_selectorELNS0_4arch9wavefront6targetE0EEEvT1_.private_seg_size, 0
	.set _ZN7rocprim17ROCPRIM_400000_NS6detail17trampoline_kernelINS0_14default_configENS1_27scan_by_key_config_selectorIxxEEZZNS1_16scan_by_key_implILNS1_25lookback_scan_determinismE0ELb0ES3_N6thrust23THRUST_200600_302600_NS6detail15normal_iteratorINS9_10device_ptrIxEEEESE_SE_xNS9_4plusIxEE19head_flag_predicatexEE10hipError_tPvRmT2_T3_T4_T5_mT6_T7_P12ihipStream_tbENKUlT_T0_E_clISt17integral_constantIbLb1EESX_IbLb0EEEEDaST_SU_EUlST_E_NS1_11comp_targetILNS1_3genE5ELNS1_11target_archE942ELNS1_3gpuE9ELNS1_3repE0EEENS1_30default_config_static_selectorELNS0_4arch9wavefront6targetE0EEEvT1_.uses_vcc, 0
	.set _ZN7rocprim17ROCPRIM_400000_NS6detail17trampoline_kernelINS0_14default_configENS1_27scan_by_key_config_selectorIxxEEZZNS1_16scan_by_key_implILNS1_25lookback_scan_determinismE0ELb0ES3_N6thrust23THRUST_200600_302600_NS6detail15normal_iteratorINS9_10device_ptrIxEEEESE_SE_xNS9_4plusIxEE19head_flag_predicatexEE10hipError_tPvRmT2_T3_T4_T5_mT6_T7_P12ihipStream_tbENKUlT_T0_E_clISt17integral_constantIbLb1EESX_IbLb0EEEEDaST_SU_EUlST_E_NS1_11comp_targetILNS1_3genE5ELNS1_11target_archE942ELNS1_3gpuE9ELNS1_3repE0EEENS1_30default_config_static_selectorELNS0_4arch9wavefront6targetE0EEEvT1_.uses_flat_scratch, 0
	.set _ZN7rocprim17ROCPRIM_400000_NS6detail17trampoline_kernelINS0_14default_configENS1_27scan_by_key_config_selectorIxxEEZZNS1_16scan_by_key_implILNS1_25lookback_scan_determinismE0ELb0ES3_N6thrust23THRUST_200600_302600_NS6detail15normal_iteratorINS9_10device_ptrIxEEEESE_SE_xNS9_4plusIxEE19head_flag_predicatexEE10hipError_tPvRmT2_T3_T4_T5_mT6_T7_P12ihipStream_tbENKUlT_T0_E_clISt17integral_constantIbLb1EESX_IbLb0EEEEDaST_SU_EUlST_E_NS1_11comp_targetILNS1_3genE5ELNS1_11target_archE942ELNS1_3gpuE9ELNS1_3repE0EEENS1_30default_config_static_selectorELNS0_4arch9wavefront6targetE0EEEvT1_.has_dyn_sized_stack, 0
	.set _ZN7rocprim17ROCPRIM_400000_NS6detail17trampoline_kernelINS0_14default_configENS1_27scan_by_key_config_selectorIxxEEZZNS1_16scan_by_key_implILNS1_25lookback_scan_determinismE0ELb0ES3_N6thrust23THRUST_200600_302600_NS6detail15normal_iteratorINS9_10device_ptrIxEEEESE_SE_xNS9_4plusIxEE19head_flag_predicatexEE10hipError_tPvRmT2_T3_T4_T5_mT6_T7_P12ihipStream_tbENKUlT_T0_E_clISt17integral_constantIbLb1EESX_IbLb0EEEEDaST_SU_EUlST_E_NS1_11comp_targetILNS1_3genE5ELNS1_11target_archE942ELNS1_3gpuE9ELNS1_3repE0EEENS1_30default_config_static_selectorELNS0_4arch9wavefront6targetE0EEEvT1_.has_recursion, 0
	.set _ZN7rocprim17ROCPRIM_400000_NS6detail17trampoline_kernelINS0_14default_configENS1_27scan_by_key_config_selectorIxxEEZZNS1_16scan_by_key_implILNS1_25lookback_scan_determinismE0ELb0ES3_N6thrust23THRUST_200600_302600_NS6detail15normal_iteratorINS9_10device_ptrIxEEEESE_SE_xNS9_4plusIxEE19head_flag_predicatexEE10hipError_tPvRmT2_T3_T4_T5_mT6_T7_P12ihipStream_tbENKUlT_T0_E_clISt17integral_constantIbLb1EESX_IbLb0EEEEDaST_SU_EUlST_E_NS1_11comp_targetILNS1_3genE5ELNS1_11target_archE942ELNS1_3gpuE9ELNS1_3repE0EEENS1_30default_config_static_selectorELNS0_4arch9wavefront6targetE0EEEvT1_.has_indirect_call, 0
	.section	.AMDGPU.csdata,"",@progbits
; Kernel info:
; codeLenInByte = 0
; TotalNumSgprs: 0
; NumVgprs: 0
; ScratchSize: 0
; MemoryBound: 0
; FloatMode: 240
; IeeeMode: 1
; LDSByteSize: 0 bytes/workgroup (compile time only)
; SGPRBlocks: 0
; VGPRBlocks: 0
; NumSGPRsForWavesPerEU: 1
; NumVGPRsForWavesPerEU: 1
; NamedBarCnt: 0
; Occupancy: 16
; WaveLimiterHint : 0
; COMPUTE_PGM_RSRC2:SCRATCH_EN: 0
; COMPUTE_PGM_RSRC2:USER_SGPR: 2
; COMPUTE_PGM_RSRC2:TRAP_HANDLER: 0
; COMPUTE_PGM_RSRC2:TGID_X_EN: 1
; COMPUTE_PGM_RSRC2:TGID_Y_EN: 0
; COMPUTE_PGM_RSRC2:TGID_Z_EN: 0
; COMPUTE_PGM_RSRC2:TIDIG_COMP_CNT: 0
	.section	.text._ZN7rocprim17ROCPRIM_400000_NS6detail17trampoline_kernelINS0_14default_configENS1_27scan_by_key_config_selectorIxxEEZZNS1_16scan_by_key_implILNS1_25lookback_scan_determinismE0ELb0ES3_N6thrust23THRUST_200600_302600_NS6detail15normal_iteratorINS9_10device_ptrIxEEEESE_SE_xNS9_4plusIxEE19head_flag_predicatexEE10hipError_tPvRmT2_T3_T4_T5_mT6_T7_P12ihipStream_tbENKUlT_T0_E_clISt17integral_constantIbLb1EESX_IbLb0EEEEDaST_SU_EUlST_E_NS1_11comp_targetILNS1_3genE4ELNS1_11target_archE910ELNS1_3gpuE8ELNS1_3repE0EEENS1_30default_config_static_selectorELNS0_4arch9wavefront6targetE0EEEvT1_,"axG",@progbits,_ZN7rocprim17ROCPRIM_400000_NS6detail17trampoline_kernelINS0_14default_configENS1_27scan_by_key_config_selectorIxxEEZZNS1_16scan_by_key_implILNS1_25lookback_scan_determinismE0ELb0ES3_N6thrust23THRUST_200600_302600_NS6detail15normal_iteratorINS9_10device_ptrIxEEEESE_SE_xNS9_4plusIxEE19head_flag_predicatexEE10hipError_tPvRmT2_T3_T4_T5_mT6_T7_P12ihipStream_tbENKUlT_T0_E_clISt17integral_constantIbLb1EESX_IbLb0EEEEDaST_SU_EUlST_E_NS1_11comp_targetILNS1_3genE4ELNS1_11target_archE910ELNS1_3gpuE8ELNS1_3repE0EEENS1_30default_config_static_selectorELNS0_4arch9wavefront6targetE0EEEvT1_,comdat
	.protected	_ZN7rocprim17ROCPRIM_400000_NS6detail17trampoline_kernelINS0_14default_configENS1_27scan_by_key_config_selectorIxxEEZZNS1_16scan_by_key_implILNS1_25lookback_scan_determinismE0ELb0ES3_N6thrust23THRUST_200600_302600_NS6detail15normal_iteratorINS9_10device_ptrIxEEEESE_SE_xNS9_4plusIxEE19head_flag_predicatexEE10hipError_tPvRmT2_T3_T4_T5_mT6_T7_P12ihipStream_tbENKUlT_T0_E_clISt17integral_constantIbLb1EESX_IbLb0EEEEDaST_SU_EUlST_E_NS1_11comp_targetILNS1_3genE4ELNS1_11target_archE910ELNS1_3gpuE8ELNS1_3repE0EEENS1_30default_config_static_selectorELNS0_4arch9wavefront6targetE0EEEvT1_ ; -- Begin function _ZN7rocprim17ROCPRIM_400000_NS6detail17trampoline_kernelINS0_14default_configENS1_27scan_by_key_config_selectorIxxEEZZNS1_16scan_by_key_implILNS1_25lookback_scan_determinismE0ELb0ES3_N6thrust23THRUST_200600_302600_NS6detail15normal_iteratorINS9_10device_ptrIxEEEESE_SE_xNS9_4plusIxEE19head_flag_predicatexEE10hipError_tPvRmT2_T3_T4_T5_mT6_T7_P12ihipStream_tbENKUlT_T0_E_clISt17integral_constantIbLb1EESX_IbLb0EEEEDaST_SU_EUlST_E_NS1_11comp_targetILNS1_3genE4ELNS1_11target_archE910ELNS1_3gpuE8ELNS1_3repE0EEENS1_30default_config_static_selectorELNS0_4arch9wavefront6targetE0EEEvT1_
	.globl	_ZN7rocprim17ROCPRIM_400000_NS6detail17trampoline_kernelINS0_14default_configENS1_27scan_by_key_config_selectorIxxEEZZNS1_16scan_by_key_implILNS1_25lookback_scan_determinismE0ELb0ES3_N6thrust23THRUST_200600_302600_NS6detail15normal_iteratorINS9_10device_ptrIxEEEESE_SE_xNS9_4plusIxEE19head_flag_predicatexEE10hipError_tPvRmT2_T3_T4_T5_mT6_T7_P12ihipStream_tbENKUlT_T0_E_clISt17integral_constantIbLb1EESX_IbLb0EEEEDaST_SU_EUlST_E_NS1_11comp_targetILNS1_3genE4ELNS1_11target_archE910ELNS1_3gpuE8ELNS1_3repE0EEENS1_30default_config_static_selectorELNS0_4arch9wavefront6targetE0EEEvT1_
	.p2align	8
	.type	_ZN7rocprim17ROCPRIM_400000_NS6detail17trampoline_kernelINS0_14default_configENS1_27scan_by_key_config_selectorIxxEEZZNS1_16scan_by_key_implILNS1_25lookback_scan_determinismE0ELb0ES3_N6thrust23THRUST_200600_302600_NS6detail15normal_iteratorINS9_10device_ptrIxEEEESE_SE_xNS9_4plusIxEE19head_flag_predicatexEE10hipError_tPvRmT2_T3_T4_T5_mT6_T7_P12ihipStream_tbENKUlT_T0_E_clISt17integral_constantIbLb1EESX_IbLb0EEEEDaST_SU_EUlST_E_NS1_11comp_targetILNS1_3genE4ELNS1_11target_archE910ELNS1_3gpuE8ELNS1_3repE0EEENS1_30default_config_static_selectorELNS0_4arch9wavefront6targetE0EEEvT1_,@function
_ZN7rocprim17ROCPRIM_400000_NS6detail17trampoline_kernelINS0_14default_configENS1_27scan_by_key_config_selectorIxxEEZZNS1_16scan_by_key_implILNS1_25lookback_scan_determinismE0ELb0ES3_N6thrust23THRUST_200600_302600_NS6detail15normal_iteratorINS9_10device_ptrIxEEEESE_SE_xNS9_4plusIxEE19head_flag_predicatexEE10hipError_tPvRmT2_T3_T4_T5_mT6_T7_P12ihipStream_tbENKUlT_T0_E_clISt17integral_constantIbLb1EESX_IbLb0EEEEDaST_SU_EUlST_E_NS1_11comp_targetILNS1_3genE4ELNS1_11target_archE910ELNS1_3gpuE8ELNS1_3repE0EEENS1_30default_config_static_selectorELNS0_4arch9wavefront6targetE0EEEvT1_: ; @_ZN7rocprim17ROCPRIM_400000_NS6detail17trampoline_kernelINS0_14default_configENS1_27scan_by_key_config_selectorIxxEEZZNS1_16scan_by_key_implILNS1_25lookback_scan_determinismE0ELb0ES3_N6thrust23THRUST_200600_302600_NS6detail15normal_iteratorINS9_10device_ptrIxEEEESE_SE_xNS9_4plusIxEE19head_flag_predicatexEE10hipError_tPvRmT2_T3_T4_T5_mT6_T7_P12ihipStream_tbENKUlT_T0_E_clISt17integral_constantIbLb1EESX_IbLb0EEEEDaST_SU_EUlST_E_NS1_11comp_targetILNS1_3genE4ELNS1_11target_archE910ELNS1_3gpuE8ELNS1_3repE0EEENS1_30default_config_static_selectorELNS0_4arch9wavefront6targetE0EEEvT1_
; %bb.0:
	.section	.rodata,"a",@progbits
	.p2align	6, 0x0
	.amdhsa_kernel _ZN7rocprim17ROCPRIM_400000_NS6detail17trampoline_kernelINS0_14default_configENS1_27scan_by_key_config_selectorIxxEEZZNS1_16scan_by_key_implILNS1_25lookback_scan_determinismE0ELb0ES3_N6thrust23THRUST_200600_302600_NS6detail15normal_iteratorINS9_10device_ptrIxEEEESE_SE_xNS9_4plusIxEE19head_flag_predicatexEE10hipError_tPvRmT2_T3_T4_T5_mT6_T7_P12ihipStream_tbENKUlT_T0_E_clISt17integral_constantIbLb1EESX_IbLb0EEEEDaST_SU_EUlST_E_NS1_11comp_targetILNS1_3genE4ELNS1_11target_archE910ELNS1_3gpuE8ELNS1_3repE0EEENS1_30default_config_static_selectorELNS0_4arch9wavefront6targetE0EEEvT1_
		.amdhsa_group_segment_fixed_size 0
		.amdhsa_private_segment_fixed_size 0
		.amdhsa_kernarg_size 136
		.amdhsa_user_sgpr_count 2
		.amdhsa_user_sgpr_dispatch_ptr 0
		.amdhsa_user_sgpr_queue_ptr 0
		.amdhsa_user_sgpr_kernarg_segment_ptr 1
		.amdhsa_user_sgpr_dispatch_id 0
		.amdhsa_user_sgpr_kernarg_preload_length 0
		.amdhsa_user_sgpr_kernarg_preload_offset 0
		.amdhsa_user_sgpr_private_segment_size 0
		.amdhsa_wavefront_size32 1
		.amdhsa_uses_dynamic_stack 0
		.amdhsa_enable_private_segment 0
		.amdhsa_system_sgpr_workgroup_id_x 1
		.amdhsa_system_sgpr_workgroup_id_y 0
		.amdhsa_system_sgpr_workgroup_id_z 0
		.amdhsa_system_sgpr_workgroup_info 0
		.amdhsa_system_vgpr_workitem_id 0
		.amdhsa_next_free_vgpr 1
		.amdhsa_next_free_sgpr 1
		.amdhsa_named_barrier_count 0
		.amdhsa_reserve_vcc 0
		.amdhsa_float_round_mode_32 0
		.amdhsa_float_round_mode_16_64 0
		.amdhsa_float_denorm_mode_32 3
		.amdhsa_float_denorm_mode_16_64 3
		.amdhsa_fp16_overflow 0
		.amdhsa_memory_ordered 1
		.amdhsa_forward_progress 1
		.amdhsa_inst_pref_size 0
		.amdhsa_round_robin_scheduling 0
		.amdhsa_exception_fp_ieee_invalid_op 0
		.amdhsa_exception_fp_denorm_src 0
		.amdhsa_exception_fp_ieee_div_zero 0
		.amdhsa_exception_fp_ieee_overflow 0
		.amdhsa_exception_fp_ieee_underflow 0
		.amdhsa_exception_fp_ieee_inexact 0
		.amdhsa_exception_int_div_zero 0
	.end_amdhsa_kernel
	.section	.text._ZN7rocprim17ROCPRIM_400000_NS6detail17trampoline_kernelINS0_14default_configENS1_27scan_by_key_config_selectorIxxEEZZNS1_16scan_by_key_implILNS1_25lookback_scan_determinismE0ELb0ES3_N6thrust23THRUST_200600_302600_NS6detail15normal_iteratorINS9_10device_ptrIxEEEESE_SE_xNS9_4plusIxEE19head_flag_predicatexEE10hipError_tPvRmT2_T3_T4_T5_mT6_T7_P12ihipStream_tbENKUlT_T0_E_clISt17integral_constantIbLb1EESX_IbLb0EEEEDaST_SU_EUlST_E_NS1_11comp_targetILNS1_3genE4ELNS1_11target_archE910ELNS1_3gpuE8ELNS1_3repE0EEENS1_30default_config_static_selectorELNS0_4arch9wavefront6targetE0EEEvT1_,"axG",@progbits,_ZN7rocprim17ROCPRIM_400000_NS6detail17trampoline_kernelINS0_14default_configENS1_27scan_by_key_config_selectorIxxEEZZNS1_16scan_by_key_implILNS1_25lookback_scan_determinismE0ELb0ES3_N6thrust23THRUST_200600_302600_NS6detail15normal_iteratorINS9_10device_ptrIxEEEESE_SE_xNS9_4plusIxEE19head_flag_predicatexEE10hipError_tPvRmT2_T3_T4_T5_mT6_T7_P12ihipStream_tbENKUlT_T0_E_clISt17integral_constantIbLb1EESX_IbLb0EEEEDaST_SU_EUlST_E_NS1_11comp_targetILNS1_3genE4ELNS1_11target_archE910ELNS1_3gpuE8ELNS1_3repE0EEENS1_30default_config_static_selectorELNS0_4arch9wavefront6targetE0EEEvT1_,comdat
.Lfunc_end698:
	.size	_ZN7rocprim17ROCPRIM_400000_NS6detail17trampoline_kernelINS0_14default_configENS1_27scan_by_key_config_selectorIxxEEZZNS1_16scan_by_key_implILNS1_25lookback_scan_determinismE0ELb0ES3_N6thrust23THRUST_200600_302600_NS6detail15normal_iteratorINS9_10device_ptrIxEEEESE_SE_xNS9_4plusIxEE19head_flag_predicatexEE10hipError_tPvRmT2_T3_T4_T5_mT6_T7_P12ihipStream_tbENKUlT_T0_E_clISt17integral_constantIbLb1EESX_IbLb0EEEEDaST_SU_EUlST_E_NS1_11comp_targetILNS1_3genE4ELNS1_11target_archE910ELNS1_3gpuE8ELNS1_3repE0EEENS1_30default_config_static_selectorELNS0_4arch9wavefront6targetE0EEEvT1_, .Lfunc_end698-_ZN7rocprim17ROCPRIM_400000_NS6detail17trampoline_kernelINS0_14default_configENS1_27scan_by_key_config_selectorIxxEEZZNS1_16scan_by_key_implILNS1_25lookback_scan_determinismE0ELb0ES3_N6thrust23THRUST_200600_302600_NS6detail15normal_iteratorINS9_10device_ptrIxEEEESE_SE_xNS9_4plusIxEE19head_flag_predicatexEE10hipError_tPvRmT2_T3_T4_T5_mT6_T7_P12ihipStream_tbENKUlT_T0_E_clISt17integral_constantIbLb1EESX_IbLb0EEEEDaST_SU_EUlST_E_NS1_11comp_targetILNS1_3genE4ELNS1_11target_archE910ELNS1_3gpuE8ELNS1_3repE0EEENS1_30default_config_static_selectorELNS0_4arch9wavefront6targetE0EEEvT1_
                                        ; -- End function
	.set _ZN7rocprim17ROCPRIM_400000_NS6detail17trampoline_kernelINS0_14default_configENS1_27scan_by_key_config_selectorIxxEEZZNS1_16scan_by_key_implILNS1_25lookback_scan_determinismE0ELb0ES3_N6thrust23THRUST_200600_302600_NS6detail15normal_iteratorINS9_10device_ptrIxEEEESE_SE_xNS9_4plusIxEE19head_flag_predicatexEE10hipError_tPvRmT2_T3_T4_T5_mT6_T7_P12ihipStream_tbENKUlT_T0_E_clISt17integral_constantIbLb1EESX_IbLb0EEEEDaST_SU_EUlST_E_NS1_11comp_targetILNS1_3genE4ELNS1_11target_archE910ELNS1_3gpuE8ELNS1_3repE0EEENS1_30default_config_static_selectorELNS0_4arch9wavefront6targetE0EEEvT1_.num_vgpr, 0
	.set _ZN7rocprim17ROCPRIM_400000_NS6detail17trampoline_kernelINS0_14default_configENS1_27scan_by_key_config_selectorIxxEEZZNS1_16scan_by_key_implILNS1_25lookback_scan_determinismE0ELb0ES3_N6thrust23THRUST_200600_302600_NS6detail15normal_iteratorINS9_10device_ptrIxEEEESE_SE_xNS9_4plusIxEE19head_flag_predicatexEE10hipError_tPvRmT2_T3_T4_T5_mT6_T7_P12ihipStream_tbENKUlT_T0_E_clISt17integral_constantIbLb1EESX_IbLb0EEEEDaST_SU_EUlST_E_NS1_11comp_targetILNS1_3genE4ELNS1_11target_archE910ELNS1_3gpuE8ELNS1_3repE0EEENS1_30default_config_static_selectorELNS0_4arch9wavefront6targetE0EEEvT1_.num_agpr, 0
	.set _ZN7rocprim17ROCPRIM_400000_NS6detail17trampoline_kernelINS0_14default_configENS1_27scan_by_key_config_selectorIxxEEZZNS1_16scan_by_key_implILNS1_25lookback_scan_determinismE0ELb0ES3_N6thrust23THRUST_200600_302600_NS6detail15normal_iteratorINS9_10device_ptrIxEEEESE_SE_xNS9_4plusIxEE19head_flag_predicatexEE10hipError_tPvRmT2_T3_T4_T5_mT6_T7_P12ihipStream_tbENKUlT_T0_E_clISt17integral_constantIbLb1EESX_IbLb0EEEEDaST_SU_EUlST_E_NS1_11comp_targetILNS1_3genE4ELNS1_11target_archE910ELNS1_3gpuE8ELNS1_3repE0EEENS1_30default_config_static_selectorELNS0_4arch9wavefront6targetE0EEEvT1_.numbered_sgpr, 0
	.set _ZN7rocprim17ROCPRIM_400000_NS6detail17trampoline_kernelINS0_14default_configENS1_27scan_by_key_config_selectorIxxEEZZNS1_16scan_by_key_implILNS1_25lookback_scan_determinismE0ELb0ES3_N6thrust23THRUST_200600_302600_NS6detail15normal_iteratorINS9_10device_ptrIxEEEESE_SE_xNS9_4plusIxEE19head_flag_predicatexEE10hipError_tPvRmT2_T3_T4_T5_mT6_T7_P12ihipStream_tbENKUlT_T0_E_clISt17integral_constantIbLb1EESX_IbLb0EEEEDaST_SU_EUlST_E_NS1_11comp_targetILNS1_3genE4ELNS1_11target_archE910ELNS1_3gpuE8ELNS1_3repE0EEENS1_30default_config_static_selectorELNS0_4arch9wavefront6targetE0EEEvT1_.num_named_barrier, 0
	.set _ZN7rocprim17ROCPRIM_400000_NS6detail17trampoline_kernelINS0_14default_configENS1_27scan_by_key_config_selectorIxxEEZZNS1_16scan_by_key_implILNS1_25lookback_scan_determinismE0ELb0ES3_N6thrust23THRUST_200600_302600_NS6detail15normal_iteratorINS9_10device_ptrIxEEEESE_SE_xNS9_4plusIxEE19head_flag_predicatexEE10hipError_tPvRmT2_T3_T4_T5_mT6_T7_P12ihipStream_tbENKUlT_T0_E_clISt17integral_constantIbLb1EESX_IbLb0EEEEDaST_SU_EUlST_E_NS1_11comp_targetILNS1_3genE4ELNS1_11target_archE910ELNS1_3gpuE8ELNS1_3repE0EEENS1_30default_config_static_selectorELNS0_4arch9wavefront6targetE0EEEvT1_.private_seg_size, 0
	.set _ZN7rocprim17ROCPRIM_400000_NS6detail17trampoline_kernelINS0_14default_configENS1_27scan_by_key_config_selectorIxxEEZZNS1_16scan_by_key_implILNS1_25lookback_scan_determinismE0ELb0ES3_N6thrust23THRUST_200600_302600_NS6detail15normal_iteratorINS9_10device_ptrIxEEEESE_SE_xNS9_4plusIxEE19head_flag_predicatexEE10hipError_tPvRmT2_T3_T4_T5_mT6_T7_P12ihipStream_tbENKUlT_T0_E_clISt17integral_constantIbLb1EESX_IbLb0EEEEDaST_SU_EUlST_E_NS1_11comp_targetILNS1_3genE4ELNS1_11target_archE910ELNS1_3gpuE8ELNS1_3repE0EEENS1_30default_config_static_selectorELNS0_4arch9wavefront6targetE0EEEvT1_.uses_vcc, 0
	.set _ZN7rocprim17ROCPRIM_400000_NS6detail17trampoline_kernelINS0_14default_configENS1_27scan_by_key_config_selectorIxxEEZZNS1_16scan_by_key_implILNS1_25lookback_scan_determinismE0ELb0ES3_N6thrust23THRUST_200600_302600_NS6detail15normal_iteratorINS9_10device_ptrIxEEEESE_SE_xNS9_4plusIxEE19head_flag_predicatexEE10hipError_tPvRmT2_T3_T4_T5_mT6_T7_P12ihipStream_tbENKUlT_T0_E_clISt17integral_constantIbLb1EESX_IbLb0EEEEDaST_SU_EUlST_E_NS1_11comp_targetILNS1_3genE4ELNS1_11target_archE910ELNS1_3gpuE8ELNS1_3repE0EEENS1_30default_config_static_selectorELNS0_4arch9wavefront6targetE0EEEvT1_.uses_flat_scratch, 0
	.set _ZN7rocprim17ROCPRIM_400000_NS6detail17trampoline_kernelINS0_14default_configENS1_27scan_by_key_config_selectorIxxEEZZNS1_16scan_by_key_implILNS1_25lookback_scan_determinismE0ELb0ES3_N6thrust23THRUST_200600_302600_NS6detail15normal_iteratorINS9_10device_ptrIxEEEESE_SE_xNS9_4plusIxEE19head_flag_predicatexEE10hipError_tPvRmT2_T3_T4_T5_mT6_T7_P12ihipStream_tbENKUlT_T0_E_clISt17integral_constantIbLb1EESX_IbLb0EEEEDaST_SU_EUlST_E_NS1_11comp_targetILNS1_3genE4ELNS1_11target_archE910ELNS1_3gpuE8ELNS1_3repE0EEENS1_30default_config_static_selectorELNS0_4arch9wavefront6targetE0EEEvT1_.has_dyn_sized_stack, 0
	.set _ZN7rocprim17ROCPRIM_400000_NS6detail17trampoline_kernelINS0_14default_configENS1_27scan_by_key_config_selectorIxxEEZZNS1_16scan_by_key_implILNS1_25lookback_scan_determinismE0ELb0ES3_N6thrust23THRUST_200600_302600_NS6detail15normal_iteratorINS9_10device_ptrIxEEEESE_SE_xNS9_4plusIxEE19head_flag_predicatexEE10hipError_tPvRmT2_T3_T4_T5_mT6_T7_P12ihipStream_tbENKUlT_T0_E_clISt17integral_constantIbLb1EESX_IbLb0EEEEDaST_SU_EUlST_E_NS1_11comp_targetILNS1_3genE4ELNS1_11target_archE910ELNS1_3gpuE8ELNS1_3repE0EEENS1_30default_config_static_selectorELNS0_4arch9wavefront6targetE0EEEvT1_.has_recursion, 0
	.set _ZN7rocprim17ROCPRIM_400000_NS6detail17trampoline_kernelINS0_14default_configENS1_27scan_by_key_config_selectorIxxEEZZNS1_16scan_by_key_implILNS1_25lookback_scan_determinismE0ELb0ES3_N6thrust23THRUST_200600_302600_NS6detail15normal_iteratorINS9_10device_ptrIxEEEESE_SE_xNS9_4plusIxEE19head_flag_predicatexEE10hipError_tPvRmT2_T3_T4_T5_mT6_T7_P12ihipStream_tbENKUlT_T0_E_clISt17integral_constantIbLb1EESX_IbLb0EEEEDaST_SU_EUlST_E_NS1_11comp_targetILNS1_3genE4ELNS1_11target_archE910ELNS1_3gpuE8ELNS1_3repE0EEENS1_30default_config_static_selectorELNS0_4arch9wavefront6targetE0EEEvT1_.has_indirect_call, 0
	.section	.AMDGPU.csdata,"",@progbits
; Kernel info:
; codeLenInByte = 0
; TotalNumSgprs: 0
; NumVgprs: 0
; ScratchSize: 0
; MemoryBound: 0
; FloatMode: 240
; IeeeMode: 1
; LDSByteSize: 0 bytes/workgroup (compile time only)
; SGPRBlocks: 0
; VGPRBlocks: 0
; NumSGPRsForWavesPerEU: 1
; NumVGPRsForWavesPerEU: 1
; NamedBarCnt: 0
; Occupancy: 16
; WaveLimiterHint : 0
; COMPUTE_PGM_RSRC2:SCRATCH_EN: 0
; COMPUTE_PGM_RSRC2:USER_SGPR: 2
; COMPUTE_PGM_RSRC2:TRAP_HANDLER: 0
; COMPUTE_PGM_RSRC2:TGID_X_EN: 1
; COMPUTE_PGM_RSRC2:TGID_Y_EN: 0
; COMPUTE_PGM_RSRC2:TGID_Z_EN: 0
; COMPUTE_PGM_RSRC2:TIDIG_COMP_CNT: 0
	.section	.text._ZN7rocprim17ROCPRIM_400000_NS6detail17trampoline_kernelINS0_14default_configENS1_27scan_by_key_config_selectorIxxEEZZNS1_16scan_by_key_implILNS1_25lookback_scan_determinismE0ELb0ES3_N6thrust23THRUST_200600_302600_NS6detail15normal_iteratorINS9_10device_ptrIxEEEESE_SE_xNS9_4plusIxEE19head_flag_predicatexEE10hipError_tPvRmT2_T3_T4_T5_mT6_T7_P12ihipStream_tbENKUlT_T0_E_clISt17integral_constantIbLb1EESX_IbLb0EEEEDaST_SU_EUlST_E_NS1_11comp_targetILNS1_3genE3ELNS1_11target_archE908ELNS1_3gpuE7ELNS1_3repE0EEENS1_30default_config_static_selectorELNS0_4arch9wavefront6targetE0EEEvT1_,"axG",@progbits,_ZN7rocprim17ROCPRIM_400000_NS6detail17trampoline_kernelINS0_14default_configENS1_27scan_by_key_config_selectorIxxEEZZNS1_16scan_by_key_implILNS1_25lookback_scan_determinismE0ELb0ES3_N6thrust23THRUST_200600_302600_NS6detail15normal_iteratorINS9_10device_ptrIxEEEESE_SE_xNS9_4plusIxEE19head_flag_predicatexEE10hipError_tPvRmT2_T3_T4_T5_mT6_T7_P12ihipStream_tbENKUlT_T0_E_clISt17integral_constantIbLb1EESX_IbLb0EEEEDaST_SU_EUlST_E_NS1_11comp_targetILNS1_3genE3ELNS1_11target_archE908ELNS1_3gpuE7ELNS1_3repE0EEENS1_30default_config_static_selectorELNS0_4arch9wavefront6targetE0EEEvT1_,comdat
	.protected	_ZN7rocprim17ROCPRIM_400000_NS6detail17trampoline_kernelINS0_14default_configENS1_27scan_by_key_config_selectorIxxEEZZNS1_16scan_by_key_implILNS1_25lookback_scan_determinismE0ELb0ES3_N6thrust23THRUST_200600_302600_NS6detail15normal_iteratorINS9_10device_ptrIxEEEESE_SE_xNS9_4plusIxEE19head_flag_predicatexEE10hipError_tPvRmT2_T3_T4_T5_mT6_T7_P12ihipStream_tbENKUlT_T0_E_clISt17integral_constantIbLb1EESX_IbLb0EEEEDaST_SU_EUlST_E_NS1_11comp_targetILNS1_3genE3ELNS1_11target_archE908ELNS1_3gpuE7ELNS1_3repE0EEENS1_30default_config_static_selectorELNS0_4arch9wavefront6targetE0EEEvT1_ ; -- Begin function _ZN7rocprim17ROCPRIM_400000_NS6detail17trampoline_kernelINS0_14default_configENS1_27scan_by_key_config_selectorIxxEEZZNS1_16scan_by_key_implILNS1_25lookback_scan_determinismE0ELb0ES3_N6thrust23THRUST_200600_302600_NS6detail15normal_iteratorINS9_10device_ptrIxEEEESE_SE_xNS9_4plusIxEE19head_flag_predicatexEE10hipError_tPvRmT2_T3_T4_T5_mT6_T7_P12ihipStream_tbENKUlT_T0_E_clISt17integral_constantIbLb1EESX_IbLb0EEEEDaST_SU_EUlST_E_NS1_11comp_targetILNS1_3genE3ELNS1_11target_archE908ELNS1_3gpuE7ELNS1_3repE0EEENS1_30default_config_static_selectorELNS0_4arch9wavefront6targetE0EEEvT1_
	.globl	_ZN7rocprim17ROCPRIM_400000_NS6detail17trampoline_kernelINS0_14default_configENS1_27scan_by_key_config_selectorIxxEEZZNS1_16scan_by_key_implILNS1_25lookback_scan_determinismE0ELb0ES3_N6thrust23THRUST_200600_302600_NS6detail15normal_iteratorINS9_10device_ptrIxEEEESE_SE_xNS9_4plusIxEE19head_flag_predicatexEE10hipError_tPvRmT2_T3_T4_T5_mT6_T7_P12ihipStream_tbENKUlT_T0_E_clISt17integral_constantIbLb1EESX_IbLb0EEEEDaST_SU_EUlST_E_NS1_11comp_targetILNS1_3genE3ELNS1_11target_archE908ELNS1_3gpuE7ELNS1_3repE0EEENS1_30default_config_static_selectorELNS0_4arch9wavefront6targetE0EEEvT1_
	.p2align	8
	.type	_ZN7rocprim17ROCPRIM_400000_NS6detail17trampoline_kernelINS0_14default_configENS1_27scan_by_key_config_selectorIxxEEZZNS1_16scan_by_key_implILNS1_25lookback_scan_determinismE0ELb0ES3_N6thrust23THRUST_200600_302600_NS6detail15normal_iteratorINS9_10device_ptrIxEEEESE_SE_xNS9_4plusIxEE19head_flag_predicatexEE10hipError_tPvRmT2_T3_T4_T5_mT6_T7_P12ihipStream_tbENKUlT_T0_E_clISt17integral_constantIbLb1EESX_IbLb0EEEEDaST_SU_EUlST_E_NS1_11comp_targetILNS1_3genE3ELNS1_11target_archE908ELNS1_3gpuE7ELNS1_3repE0EEENS1_30default_config_static_selectorELNS0_4arch9wavefront6targetE0EEEvT1_,@function
_ZN7rocprim17ROCPRIM_400000_NS6detail17trampoline_kernelINS0_14default_configENS1_27scan_by_key_config_selectorIxxEEZZNS1_16scan_by_key_implILNS1_25lookback_scan_determinismE0ELb0ES3_N6thrust23THRUST_200600_302600_NS6detail15normal_iteratorINS9_10device_ptrIxEEEESE_SE_xNS9_4plusIxEE19head_flag_predicatexEE10hipError_tPvRmT2_T3_T4_T5_mT6_T7_P12ihipStream_tbENKUlT_T0_E_clISt17integral_constantIbLb1EESX_IbLb0EEEEDaST_SU_EUlST_E_NS1_11comp_targetILNS1_3genE3ELNS1_11target_archE908ELNS1_3gpuE7ELNS1_3repE0EEENS1_30default_config_static_selectorELNS0_4arch9wavefront6targetE0EEEvT1_: ; @_ZN7rocprim17ROCPRIM_400000_NS6detail17trampoline_kernelINS0_14default_configENS1_27scan_by_key_config_selectorIxxEEZZNS1_16scan_by_key_implILNS1_25lookback_scan_determinismE0ELb0ES3_N6thrust23THRUST_200600_302600_NS6detail15normal_iteratorINS9_10device_ptrIxEEEESE_SE_xNS9_4plusIxEE19head_flag_predicatexEE10hipError_tPvRmT2_T3_T4_T5_mT6_T7_P12ihipStream_tbENKUlT_T0_E_clISt17integral_constantIbLb1EESX_IbLb0EEEEDaST_SU_EUlST_E_NS1_11comp_targetILNS1_3genE3ELNS1_11target_archE908ELNS1_3gpuE7ELNS1_3repE0EEENS1_30default_config_static_selectorELNS0_4arch9wavefront6targetE0EEEvT1_
; %bb.0:
	.section	.rodata,"a",@progbits
	.p2align	6, 0x0
	.amdhsa_kernel _ZN7rocprim17ROCPRIM_400000_NS6detail17trampoline_kernelINS0_14default_configENS1_27scan_by_key_config_selectorIxxEEZZNS1_16scan_by_key_implILNS1_25lookback_scan_determinismE0ELb0ES3_N6thrust23THRUST_200600_302600_NS6detail15normal_iteratorINS9_10device_ptrIxEEEESE_SE_xNS9_4plusIxEE19head_flag_predicatexEE10hipError_tPvRmT2_T3_T4_T5_mT6_T7_P12ihipStream_tbENKUlT_T0_E_clISt17integral_constantIbLb1EESX_IbLb0EEEEDaST_SU_EUlST_E_NS1_11comp_targetILNS1_3genE3ELNS1_11target_archE908ELNS1_3gpuE7ELNS1_3repE0EEENS1_30default_config_static_selectorELNS0_4arch9wavefront6targetE0EEEvT1_
		.amdhsa_group_segment_fixed_size 0
		.amdhsa_private_segment_fixed_size 0
		.amdhsa_kernarg_size 136
		.amdhsa_user_sgpr_count 2
		.amdhsa_user_sgpr_dispatch_ptr 0
		.amdhsa_user_sgpr_queue_ptr 0
		.amdhsa_user_sgpr_kernarg_segment_ptr 1
		.amdhsa_user_sgpr_dispatch_id 0
		.amdhsa_user_sgpr_kernarg_preload_length 0
		.amdhsa_user_sgpr_kernarg_preload_offset 0
		.amdhsa_user_sgpr_private_segment_size 0
		.amdhsa_wavefront_size32 1
		.amdhsa_uses_dynamic_stack 0
		.amdhsa_enable_private_segment 0
		.amdhsa_system_sgpr_workgroup_id_x 1
		.amdhsa_system_sgpr_workgroup_id_y 0
		.amdhsa_system_sgpr_workgroup_id_z 0
		.amdhsa_system_sgpr_workgroup_info 0
		.amdhsa_system_vgpr_workitem_id 0
		.amdhsa_next_free_vgpr 1
		.amdhsa_next_free_sgpr 1
		.amdhsa_named_barrier_count 0
		.amdhsa_reserve_vcc 0
		.amdhsa_float_round_mode_32 0
		.amdhsa_float_round_mode_16_64 0
		.amdhsa_float_denorm_mode_32 3
		.amdhsa_float_denorm_mode_16_64 3
		.amdhsa_fp16_overflow 0
		.amdhsa_memory_ordered 1
		.amdhsa_forward_progress 1
		.amdhsa_inst_pref_size 0
		.amdhsa_round_robin_scheduling 0
		.amdhsa_exception_fp_ieee_invalid_op 0
		.amdhsa_exception_fp_denorm_src 0
		.amdhsa_exception_fp_ieee_div_zero 0
		.amdhsa_exception_fp_ieee_overflow 0
		.amdhsa_exception_fp_ieee_underflow 0
		.amdhsa_exception_fp_ieee_inexact 0
		.amdhsa_exception_int_div_zero 0
	.end_amdhsa_kernel
	.section	.text._ZN7rocprim17ROCPRIM_400000_NS6detail17trampoline_kernelINS0_14default_configENS1_27scan_by_key_config_selectorIxxEEZZNS1_16scan_by_key_implILNS1_25lookback_scan_determinismE0ELb0ES3_N6thrust23THRUST_200600_302600_NS6detail15normal_iteratorINS9_10device_ptrIxEEEESE_SE_xNS9_4plusIxEE19head_flag_predicatexEE10hipError_tPvRmT2_T3_T4_T5_mT6_T7_P12ihipStream_tbENKUlT_T0_E_clISt17integral_constantIbLb1EESX_IbLb0EEEEDaST_SU_EUlST_E_NS1_11comp_targetILNS1_3genE3ELNS1_11target_archE908ELNS1_3gpuE7ELNS1_3repE0EEENS1_30default_config_static_selectorELNS0_4arch9wavefront6targetE0EEEvT1_,"axG",@progbits,_ZN7rocprim17ROCPRIM_400000_NS6detail17trampoline_kernelINS0_14default_configENS1_27scan_by_key_config_selectorIxxEEZZNS1_16scan_by_key_implILNS1_25lookback_scan_determinismE0ELb0ES3_N6thrust23THRUST_200600_302600_NS6detail15normal_iteratorINS9_10device_ptrIxEEEESE_SE_xNS9_4plusIxEE19head_flag_predicatexEE10hipError_tPvRmT2_T3_T4_T5_mT6_T7_P12ihipStream_tbENKUlT_T0_E_clISt17integral_constantIbLb1EESX_IbLb0EEEEDaST_SU_EUlST_E_NS1_11comp_targetILNS1_3genE3ELNS1_11target_archE908ELNS1_3gpuE7ELNS1_3repE0EEENS1_30default_config_static_selectorELNS0_4arch9wavefront6targetE0EEEvT1_,comdat
.Lfunc_end699:
	.size	_ZN7rocprim17ROCPRIM_400000_NS6detail17trampoline_kernelINS0_14default_configENS1_27scan_by_key_config_selectorIxxEEZZNS1_16scan_by_key_implILNS1_25lookback_scan_determinismE0ELb0ES3_N6thrust23THRUST_200600_302600_NS6detail15normal_iteratorINS9_10device_ptrIxEEEESE_SE_xNS9_4plusIxEE19head_flag_predicatexEE10hipError_tPvRmT2_T3_T4_T5_mT6_T7_P12ihipStream_tbENKUlT_T0_E_clISt17integral_constantIbLb1EESX_IbLb0EEEEDaST_SU_EUlST_E_NS1_11comp_targetILNS1_3genE3ELNS1_11target_archE908ELNS1_3gpuE7ELNS1_3repE0EEENS1_30default_config_static_selectorELNS0_4arch9wavefront6targetE0EEEvT1_, .Lfunc_end699-_ZN7rocprim17ROCPRIM_400000_NS6detail17trampoline_kernelINS0_14default_configENS1_27scan_by_key_config_selectorIxxEEZZNS1_16scan_by_key_implILNS1_25lookback_scan_determinismE0ELb0ES3_N6thrust23THRUST_200600_302600_NS6detail15normal_iteratorINS9_10device_ptrIxEEEESE_SE_xNS9_4plusIxEE19head_flag_predicatexEE10hipError_tPvRmT2_T3_T4_T5_mT6_T7_P12ihipStream_tbENKUlT_T0_E_clISt17integral_constantIbLb1EESX_IbLb0EEEEDaST_SU_EUlST_E_NS1_11comp_targetILNS1_3genE3ELNS1_11target_archE908ELNS1_3gpuE7ELNS1_3repE0EEENS1_30default_config_static_selectorELNS0_4arch9wavefront6targetE0EEEvT1_
                                        ; -- End function
	.set _ZN7rocprim17ROCPRIM_400000_NS6detail17trampoline_kernelINS0_14default_configENS1_27scan_by_key_config_selectorIxxEEZZNS1_16scan_by_key_implILNS1_25lookback_scan_determinismE0ELb0ES3_N6thrust23THRUST_200600_302600_NS6detail15normal_iteratorINS9_10device_ptrIxEEEESE_SE_xNS9_4plusIxEE19head_flag_predicatexEE10hipError_tPvRmT2_T3_T4_T5_mT6_T7_P12ihipStream_tbENKUlT_T0_E_clISt17integral_constantIbLb1EESX_IbLb0EEEEDaST_SU_EUlST_E_NS1_11comp_targetILNS1_3genE3ELNS1_11target_archE908ELNS1_3gpuE7ELNS1_3repE0EEENS1_30default_config_static_selectorELNS0_4arch9wavefront6targetE0EEEvT1_.num_vgpr, 0
	.set _ZN7rocprim17ROCPRIM_400000_NS6detail17trampoline_kernelINS0_14default_configENS1_27scan_by_key_config_selectorIxxEEZZNS1_16scan_by_key_implILNS1_25lookback_scan_determinismE0ELb0ES3_N6thrust23THRUST_200600_302600_NS6detail15normal_iteratorINS9_10device_ptrIxEEEESE_SE_xNS9_4plusIxEE19head_flag_predicatexEE10hipError_tPvRmT2_T3_T4_T5_mT6_T7_P12ihipStream_tbENKUlT_T0_E_clISt17integral_constantIbLb1EESX_IbLb0EEEEDaST_SU_EUlST_E_NS1_11comp_targetILNS1_3genE3ELNS1_11target_archE908ELNS1_3gpuE7ELNS1_3repE0EEENS1_30default_config_static_selectorELNS0_4arch9wavefront6targetE0EEEvT1_.num_agpr, 0
	.set _ZN7rocprim17ROCPRIM_400000_NS6detail17trampoline_kernelINS0_14default_configENS1_27scan_by_key_config_selectorIxxEEZZNS1_16scan_by_key_implILNS1_25lookback_scan_determinismE0ELb0ES3_N6thrust23THRUST_200600_302600_NS6detail15normal_iteratorINS9_10device_ptrIxEEEESE_SE_xNS9_4plusIxEE19head_flag_predicatexEE10hipError_tPvRmT2_T3_T4_T5_mT6_T7_P12ihipStream_tbENKUlT_T0_E_clISt17integral_constantIbLb1EESX_IbLb0EEEEDaST_SU_EUlST_E_NS1_11comp_targetILNS1_3genE3ELNS1_11target_archE908ELNS1_3gpuE7ELNS1_3repE0EEENS1_30default_config_static_selectorELNS0_4arch9wavefront6targetE0EEEvT1_.numbered_sgpr, 0
	.set _ZN7rocprim17ROCPRIM_400000_NS6detail17trampoline_kernelINS0_14default_configENS1_27scan_by_key_config_selectorIxxEEZZNS1_16scan_by_key_implILNS1_25lookback_scan_determinismE0ELb0ES3_N6thrust23THRUST_200600_302600_NS6detail15normal_iteratorINS9_10device_ptrIxEEEESE_SE_xNS9_4plusIxEE19head_flag_predicatexEE10hipError_tPvRmT2_T3_T4_T5_mT6_T7_P12ihipStream_tbENKUlT_T0_E_clISt17integral_constantIbLb1EESX_IbLb0EEEEDaST_SU_EUlST_E_NS1_11comp_targetILNS1_3genE3ELNS1_11target_archE908ELNS1_3gpuE7ELNS1_3repE0EEENS1_30default_config_static_selectorELNS0_4arch9wavefront6targetE0EEEvT1_.num_named_barrier, 0
	.set _ZN7rocprim17ROCPRIM_400000_NS6detail17trampoline_kernelINS0_14default_configENS1_27scan_by_key_config_selectorIxxEEZZNS1_16scan_by_key_implILNS1_25lookback_scan_determinismE0ELb0ES3_N6thrust23THRUST_200600_302600_NS6detail15normal_iteratorINS9_10device_ptrIxEEEESE_SE_xNS9_4plusIxEE19head_flag_predicatexEE10hipError_tPvRmT2_T3_T4_T5_mT6_T7_P12ihipStream_tbENKUlT_T0_E_clISt17integral_constantIbLb1EESX_IbLb0EEEEDaST_SU_EUlST_E_NS1_11comp_targetILNS1_3genE3ELNS1_11target_archE908ELNS1_3gpuE7ELNS1_3repE0EEENS1_30default_config_static_selectorELNS0_4arch9wavefront6targetE0EEEvT1_.private_seg_size, 0
	.set _ZN7rocprim17ROCPRIM_400000_NS6detail17trampoline_kernelINS0_14default_configENS1_27scan_by_key_config_selectorIxxEEZZNS1_16scan_by_key_implILNS1_25lookback_scan_determinismE0ELb0ES3_N6thrust23THRUST_200600_302600_NS6detail15normal_iteratorINS9_10device_ptrIxEEEESE_SE_xNS9_4plusIxEE19head_flag_predicatexEE10hipError_tPvRmT2_T3_T4_T5_mT6_T7_P12ihipStream_tbENKUlT_T0_E_clISt17integral_constantIbLb1EESX_IbLb0EEEEDaST_SU_EUlST_E_NS1_11comp_targetILNS1_3genE3ELNS1_11target_archE908ELNS1_3gpuE7ELNS1_3repE0EEENS1_30default_config_static_selectorELNS0_4arch9wavefront6targetE0EEEvT1_.uses_vcc, 0
	.set _ZN7rocprim17ROCPRIM_400000_NS6detail17trampoline_kernelINS0_14default_configENS1_27scan_by_key_config_selectorIxxEEZZNS1_16scan_by_key_implILNS1_25lookback_scan_determinismE0ELb0ES3_N6thrust23THRUST_200600_302600_NS6detail15normal_iteratorINS9_10device_ptrIxEEEESE_SE_xNS9_4plusIxEE19head_flag_predicatexEE10hipError_tPvRmT2_T3_T4_T5_mT6_T7_P12ihipStream_tbENKUlT_T0_E_clISt17integral_constantIbLb1EESX_IbLb0EEEEDaST_SU_EUlST_E_NS1_11comp_targetILNS1_3genE3ELNS1_11target_archE908ELNS1_3gpuE7ELNS1_3repE0EEENS1_30default_config_static_selectorELNS0_4arch9wavefront6targetE0EEEvT1_.uses_flat_scratch, 0
	.set _ZN7rocprim17ROCPRIM_400000_NS6detail17trampoline_kernelINS0_14default_configENS1_27scan_by_key_config_selectorIxxEEZZNS1_16scan_by_key_implILNS1_25lookback_scan_determinismE0ELb0ES3_N6thrust23THRUST_200600_302600_NS6detail15normal_iteratorINS9_10device_ptrIxEEEESE_SE_xNS9_4plusIxEE19head_flag_predicatexEE10hipError_tPvRmT2_T3_T4_T5_mT6_T7_P12ihipStream_tbENKUlT_T0_E_clISt17integral_constantIbLb1EESX_IbLb0EEEEDaST_SU_EUlST_E_NS1_11comp_targetILNS1_3genE3ELNS1_11target_archE908ELNS1_3gpuE7ELNS1_3repE0EEENS1_30default_config_static_selectorELNS0_4arch9wavefront6targetE0EEEvT1_.has_dyn_sized_stack, 0
	.set _ZN7rocprim17ROCPRIM_400000_NS6detail17trampoline_kernelINS0_14default_configENS1_27scan_by_key_config_selectorIxxEEZZNS1_16scan_by_key_implILNS1_25lookback_scan_determinismE0ELb0ES3_N6thrust23THRUST_200600_302600_NS6detail15normal_iteratorINS9_10device_ptrIxEEEESE_SE_xNS9_4plusIxEE19head_flag_predicatexEE10hipError_tPvRmT2_T3_T4_T5_mT6_T7_P12ihipStream_tbENKUlT_T0_E_clISt17integral_constantIbLb1EESX_IbLb0EEEEDaST_SU_EUlST_E_NS1_11comp_targetILNS1_3genE3ELNS1_11target_archE908ELNS1_3gpuE7ELNS1_3repE0EEENS1_30default_config_static_selectorELNS0_4arch9wavefront6targetE0EEEvT1_.has_recursion, 0
	.set _ZN7rocprim17ROCPRIM_400000_NS6detail17trampoline_kernelINS0_14default_configENS1_27scan_by_key_config_selectorIxxEEZZNS1_16scan_by_key_implILNS1_25lookback_scan_determinismE0ELb0ES3_N6thrust23THRUST_200600_302600_NS6detail15normal_iteratorINS9_10device_ptrIxEEEESE_SE_xNS9_4plusIxEE19head_flag_predicatexEE10hipError_tPvRmT2_T3_T4_T5_mT6_T7_P12ihipStream_tbENKUlT_T0_E_clISt17integral_constantIbLb1EESX_IbLb0EEEEDaST_SU_EUlST_E_NS1_11comp_targetILNS1_3genE3ELNS1_11target_archE908ELNS1_3gpuE7ELNS1_3repE0EEENS1_30default_config_static_selectorELNS0_4arch9wavefront6targetE0EEEvT1_.has_indirect_call, 0
	.section	.AMDGPU.csdata,"",@progbits
; Kernel info:
; codeLenInByte = 0
; TotalNumSgprs: 0
; NumVgprs: 0
; ScratchSize: 0
; MemoryBound: 0
; FloatMode: 240
; IeeeMode: 1
; LDSByteSize: 0 bytes/workgroup (compile time only)
; SGPRBlocks: 0
; VGPRBlocks: 0
; NumSGPRsForWavesPerEU: 1
; NumVGPRsForWavesPerEU: 1
; NamedBarCnt: 0
; Occupancy: 16
; WaveLimiterHint : 0
; COMPUTE_PGM_RSRC2:SCRATCH_EN: 0
; COMPUTE_PGM_RSRC2:USER_SGPR: 2
; COMPUTE_PGM_RSRC2:TRAP_HANDLER: 0
; COMPUTE_PGM_RSRC2:TGID_X_EN: 1
; COMPUTE_PGM_RSRC2:TGID_Y_EN: 0
; COMPUTE_PGM_RSRC2:TGID_Z_EN: 0
; COMPUTE_PGM_RSRC2:TIDIG_COMP_CNT: 0
	.section	.text._ZN7rocprim17ROCPRIM_400000_NS6detail17trampoline_kernelINS0_14default_configENS1_27scan_by_key_config_selectorIxxEEZZNS1_16scan_by_key_implILNS1_25lookback_scan_determinismE0ELb0ES3_N6thrust23THRUST_200600_302600_NS6detail15normal_iteratorINS9_10device_ptrIxEEEESE_SE_xNS9_4plusIxEE19head_flag_predicatexEE10hipError_tPvRmT2_T3_T4_T5_mT6_T7_P12ihipStream_tbENKUlT_T0_E_clISt17integral_constantIbLb1EESX_IbLb0EEEEDaST_SU_EUlST_E_NS1_11comp_targetILNS1_3genE2ELNS1_11target_archE906ELNS1_3gpuE6ELNS1_3repE0EEENS1_30default_config_static_selectorELNS0_4arch9wavefront6targetE0EEEvT1_,"axG",@progbits,_ZN7rocprim17ROCPRIM_400000_NS6detail17trampoline_kernelINS0_14default_configENS1_27scan_by_key_config_selectorIxxEEZZNS1_16scan_by_key_implILNS1_25lookback_scan_determinismE0ELb0ES3_N6thrust23THRUST_200600_302600_NS6detail15normal_iteratorINS9_10device_ptrIxEEEESE_SE_xNS9_4plusIxEE19head_flag_predicatexEE10hipError_tPvRmT2_T3_T4_T5_mT6_T7_P12ihipStream_tbENKUlT_T0_E_clISt17integral_constantIbLb1EESX_IbLb0EEEEDaST_SU_EUlST_E_NS1_11comp_targetILNS1_3genE2ELNS1_11target_archE906ELNS1_3gpuE6ELNS1_3repE0EEENS1_30default_config_static_selectorELNS0_4arch9wavefront6targetE0EEEvT1_,comdat
	.protected	_ZN7rocprim17ROCPRIM_400000_NS6detail17trampoline_kernelINS0_14default_configENS1_27scan_by_key_config_selectorIxxEEZZNS1_16scan_by_key_implILNS1_25lookback_scan_determinismE0ELb0ES3_N6thrust23THRUST_200600_302600_NS6detail15normal_iteratorINS9_10device_ptrIxEEEESE_SE_xNS9_4plusIxEE19head_flag_predicatexEE10hipError_tPvRmT2_T3_T4_T5_mT6_T7_P12ihipStream_tbENKUlT_T0_E_clISt17integral_constantIbLb1EESX_IbLb0EEEEDaST_SU_EUlST_E_NS1_11comp_targetILNS1_3genE2ELNS1_11target_archE906ELNS1_3gpuE6ELNS1_3repE0EEENS1_30default_config_static_selectorELNS0_4arch9wavefront6targetE0EEEvT1_ ; -- Begin function _ZN7rocprim17ROCPRIM_400000_NS6detail17trampoline_kernelINS0_14default_configENS1_27scan_by_key_config_selectorIxxEEZZNS1_16scan_by_key_implILNS1_25lookback_scan_determinismE0ELb0ES3_N6thrust23THRUST_200600_302600_NS6detail15normal_iteratorINS9_10device_ptrIxEEEESE_SE_xNS9_4plusIxEE19head_flag_predicatexEE10hipError_tPvRmT2_T3_T4_T5_mT6_T7_P12ihipStream_tbENKUlT_T0_E_clISt17integral_constantIbLb1EESX_IbLb0EEEEDaST_SU_EUlST_E_NS1_11comp_targetILNS1_3genE2ELNS1_11target_archE906ELNS1_3gpuE6ELNS1_3repE0EEENS1_30default_config_static_selectorELNS0_4arch9wavefront6targetE0EEEvT1_
	.globl	_ZN7rocprim17ROCPRIM_400000_NS6detail17trampoline_kernelINS0_14default_configENS1_27scan_by_key_config_selectorIxxEEZZNS1_16scan_by_key_implILNS1_25lookback_scan_determinismE0ELb0ES3_N6thrust23THRUST_200600_302600_NS6detail15normal_iteratorINS9_10device_ptrIxEEEESE_SE_xNS9_4plusIxEE19head_flag_predicatexEE10hipError_tPvRmT2_T3_T4_T5_mT6_T7_P12ihipStream_tbENKUlT_T0_E_clISt17integral_constantIbLb1EESX_IbLb0EEEEDaST_SU_EUlST_E_NS1_11comp_targetILNS1_3genE2ELNS1_11target_archE906ELNS1_3gpuE6ELNS1_3repE0EEENS1_30default_config_static_selectorELNS0_4arch9wavefront6targetE0EEEvT1_
	.p2align	8
	.type	_ZN7rocprim17ROCPRIM_400000_NS6detail17trampoline_kernelINS0_14default_configENS1_27scan_by_key_config_selectorIxxEEZZNS1_16scan_by_key_implILNS1_25lookback_scan_determinismE0ELb0ES3_N6thrust23THRUST_200600_302600_NS6detail15normal_iteratorINS9_10device_ptrIxEEEESE_SE_xNS9_4plusIxEE19head_flag_predicatexEE10hipError_tPvRmT2_T3_T4_T5_mT6_T7_P12ihipStream_tbENKUlT_T0_E_clISt17integral_constantIbLb1EESX_IbLb0EEEEDaST_SU_EUlST_E_NS1_11comp_targetILNS1_3genE2ELNS1_11target_archE906ELNS1_3gpuE6ELNS1_3repE0EEENS1_30default_config_static_selectorELNS0_4arch9wavefront6targetE0EEEvT1_,@function
_ZN7rocprim17ROCPRIM_400000_NS6detail17trampoline_kernelINS0_14default_configENS1_27scan_by_key_config_selectorIxxEEZZNS1_16scan_by_key_implILNS1_25lookback_scan_determinismE0ELb0ES3_N6thrust23THRUST_200600_302600_NS6detail15normal_iteratorINS9_10device_ptrIxEEEESE_SE_xNS9_4plusIxEE19head_flag_predicatexEE10hipError_tPvRmT2_T3_T4_T5_mT6_T7_P12ihipStream_tbENKUlT_T0_E_clISt17integral_constantIbLb1EESX_IbLb0EEEEDaST_SU_EUlST_E_NS1_11comp_targetILNS1_3genE2ELNS1_11target_archE906ELNS1_3gpuE6ELNS1_3repE0EEENS1_30default_config_static_selectorELNS0_4arch9wavefront6targetE0EEEvT1_: ; @_ZN7rocprim17ROCPRIM_400000_NS6detail17trampoline_kernelINS0_14default_configENS1_27scan_by_key_config_selectorIxxEEZZNS1_16scan_by_key_implILNS1_25lookback_scan_determinismE0ELb0ES3_N6thrust23THRUST_200600_302600_NS6detail15normal_iteratorINS9_10device_ptrIxEEEESE_SE_xNS9_4plusIxEE19head_flag_predicatexEE10hipError_tPvRmT2_T3_T4_T5_mT6_T7_P12ihipStream_tbENKUlT_T0_E_clISt17integral_constantIbLb1EESX_IbLb0EEEEDaST_SU_EUlST_E_NS1_11comp_targetILNS1_3genE2ELNS1_11target_archE906ELNS1_3gpuE6ELNS1_3repE0EEENS1_30default_config_static_selectorELNS0_4arch9wavefront6targetE0EEEvT1_
; %bb.0:
	.section	.rodata,"a",@progbits
	.p2align	6, 0x0
	.amdhsa_kernel _ZN7rocprim17ROCPRIM_400000_NS6detail17trampoline_kernelINS0_14default_configENS1_27scan_by_key_config_selectorIxxEEZZNS1_16scan_by_key_implILNS1_25lookback_scan_determinismE0ELb0ES3_N6thrust23THRUST_200600_302600_NS6detail15normal_iteratorINS9_10device_ptrIxEEEESE_SE_xNS9_4plusIxEE19head_flag_predicatexEE10hipError_tPvRmT2_T3_T4_T5_mT6_T7_P12ihipStream_tbENKUlT_T0_E_clISt17integral_constantIbLb1EESX_IbLb0EEEEDaST_SU_EUlST_E_NS1_11comp_targetILNS1_3genE2ELNS1_11target_archE906ELNS1_3gpuE6ELNS1_3repE0EEENS1_30default_config_static_selectorELNS0_4arch9wavefront6targetE0EEEvT1_
		.amdhsa_group_segment_fixed_size 0
		.amdhsa_private_segment_fixed_size 0
		.amdhsa_kernarg_size 136
		.amdhsa_user_sgpr_count 2
		.amdhsa_user_sgpr_dispatch_ptr 0
		.amdhsa_user_sgpr_queue_ptr 0
		.amdhsa_user_sgpr_kernarg_segment_ptr 1
		.amdhsa_user_sgpr_dispatch_id 0
		.amdhsa_user_sgpr_kernarg_preload_length 0
		.amdhsa_user_sgpr_kernarg_preload_offset 0
		.amdhsa_user_sgpr_private_segment_size 0
		.amdhsa_wavefront_size32 1
		.amdhsa_uses_dynamic_stack 0
		.amdhsa_enable_private_segment 0
		.amdhsa_system_sgpr_workgroup_id_x 1
		.amdhsa_system_sgpr_workgroup_id_y 0
		.amdhsa_system_sgpr_workgroup_id_z 0
		.amdhsa_system_sgpr_workgroup_info 0
		.amdhsa_system_vgpr_workitem_id 0
		.amdhsa_next_free_vgpr 1
		.amdhsa_next_free_sgpr 1
		.amdhsa_named_barrier_count 0
		.amdhsa_reserve_vcc 0
		.amdhsa_float_round_mode_32 0
		.amdhsa_float_round_mode_16_64 0
		.amdhsa_float_denorm_mode_32 3
		.amdhsa_float_denorm_mode_16_64 3
		.amdhsa_fp16_overflow 0
		.amdhsa_memory_ordered 1
		.amdhsa_forward_progress 1
		.amdhsa_inst_pref_size 0
		.amdhsa_round_robin_scheduling 0
		.amdhsa_exception_fp_ieee_invalid_op 0
		.amdhsa_exception_fp_denorm_src 0
		.amdhsa_exception_fp_ieee_div_zero 0
		.amdhsa_exception_fp_ieee_overflow 0
		.amdhsa_exception_fp_ieee_underflow 0
		.amdhsa_exception_fp_ieee_inexact 0
		.amdhsa_exception_int_div_zero 0
	.end_amdhsa_kernel
	.section	.text._ZN7rocprim17ROCPRIM_400000_NS6detail17trampoline_kernelINS0_14default_configENS1_27scan_by_key_config_selectorIxxEEZZNS1_16scan_by_key_implILNS1_25lookback_scan_determinismE0ELb0ES3_N6thrust23THRUST_200600_302600_NS6detail15normal_iteratorINS9_10device_ptrIxEEEESE_SE_xNS9_4plusIxEE19head_flag_predicatexEE10hipError_tPvRmT2_T3_T4_T5_mT6_T7_P12ihipStream_tbENKUlT_T0_E_clISt17integral_constantIbLb1EESX_IbLb0EEEEDaST_SU_EUlST_E_NS1_11comp_targetILNS1_3genE2ELNS1_11target_archE906ELNS1_3gpuE6ELNS1_3repE0EEENS1_30default_config_static_selectorELNS0_4arch9wavefront6targetE0EEEvT1_,"axG",@progbits,_ZN7rocprim17ROCPRIM_400000_NS6detail17trampoline_kernelINS0_14default_configENS1_27scan_by_key_config_selectorIxxEEZZNS1_16scan_by_key_implILNS1_25lookback_scan_determinismE0ELb0ES3_N6thrust23THRUST_200600_302600_NS6detail15normal_iteratorINS9_10device_ptrIxEEEESE_SE_xNS9_4plusIxEE19head_flag_predicatexEE10hipError_tPvRmT2_T3_T4_T5_mT6_T7_P12ihipStream_tbENKUlT_T0_E_clISt17integral_constantIbLb1EESX_IbLb0EEEEDaST_SU_EUlST_E_NS1_11comp_targetILNS1_3genE2ELNS1_11target_archE906ELNS1_3gpuE6ELNS1_3repE0EEENS1_30default_config_static_selectorELNS0_4arch9wavefront6targetE0EEEvT1_,comdat
.Lfunc_end700:
	.size	_ZN7rocprim17ROCPRIM_400000_NS6detail17trampoline_kernelINS0_14default_configENS1_27scan_by_key_config_selectorIxxEEZZNS1_16scan_by_key_implILNS1_25lookback_scan_determinismE0ELb0ES3_N6thrust23THRUST_200600_302600_NS6detail15normal_iteratorINS9_10device_ptrIxEEEESE_SE_xNS9_4plusIxEE19head_flag_predicatexEE10hipError_tPvRmT2_T3_T4_T5_mT6_T7_P12ihipStream_tbENKUlT_T0_E_clISt17integral_constantIbLb1EESX_IbLb0EEEEDaST_SU_EUlST_E_NS1_11comp_targetILNS1_3genE2ELNS1_11target_archE906ELNS1_3gpuE6ELNS1_3repE0EEENS1_30default_config_static_selectorELNS0_4arch9wavefront6targetE0EEEvT1_, .Lfunc_end700-_ZN7rocprim17ROCPRIM_400000_NS6detail17trampoline_kernelINS0_14default_configENS1_27scan_by_key_config_selectorIxxEEZZNS1_16scan_by_key_implILNS1_25lookback_scan_determinismE0ELb0ES3_N6thrust23THRUST_200600_302600_NS6detail15normal_iteratorINS9_10device_ptrIxEEEESE_SE_xNS9_4plusIxEE19head_flag_predicatexEE10hipError_tPvRmT2_T3_T4_T5_mT6_T7_P12ihipStream_tbENKUlT_T0_E_clISt17integral_constantIbLb1EESX_IbLb0EEEEDaST_SU_EUlST_E_NS1_11comp_targetILNS1_3genE2ELNS1_11target_archE906ELNS1_3gpuE6ELNS1_3repE0EEENS1_30default_config_static_selectorELNS0_4arch9wavefront6targetE0EEEvT1_
                                        ; -- End function
	.set _ZN7rocprim17ROCPRIM_400000_NS6detail17trampoline_kernelINS0_14default_configENS1_27scan_by_key_config_selectorIxxEEZZNS1_16scan_by_key_implILNS1_25lookback_scan_determinismE0ELb0ES3_N6thrust23THRUST_200600_302600_NS6detail15normal_iteratorINS9_10device_ptrIxEEEESE_SE_xNS9_4plusIxEE19head_flag_predicatexEE10hipError_tPvRmT2_T3_T4_T5_mT6_T7_P12ihipStream_tbENKUlT_T0_E_clISt17integral_constantIbLb1EESX_IbLb0EEEEDaST_SU_EUlST_E_NS1_11comp_targetILNS1_3genE2ELNS1_11target_archE906ELNS1_3gpuE6ELNS1_3repE0EEENS1_30default_config_static_selectorELNS0_4arch9wavefront6targetE0EEEvT1_.num_vgpr, 0
	.set _ZN7rocprim17ROCPRIM_400000_NS6detail17trampoline_kernelINS0_14default_configENS1_27scan_by_key_config_selectorIxxEEZZNS1_16scan_by_key_implILNS1_25lookback_scan_determinismE0ELb0ES3_N6thrust23THRUST_200600_302600_NS6detail15normal_iteratorINS9_10device_ptrIxEEEESE_SE_xNS9_4plusIxEE19head_flag_predicatexEE10hipError_tPvRmT2_T3_T4_T5_mT6_T7_P12ihipStream_tbENKUlT_T0_E_clISt17integral_constantIbLb1EESX_IbLb0EEEEDaST_SU_EUlST_E_NS1_11comp_targetILNS1_3genE2ELNS1_11target_archE906ELNS1_3gpuE6ELNS1_3repE0EEENS1_30default_config_static_selectorELNS0_4arch9wavefront6targetE0EEEvT1_.num_agpr, 0
	.set _ZN7rocprim17ROCPRIM_400000_NS6detail17trampoline_kernelINS0_14default_configENS1_27scan_by_key_config_selectorIxxEEZZNS1_16scan_by_key_implILNS1_25lookback_scan_determinismE0ELb0ES3_N6thrust23THRUST_200600_302600_NS6detail15normal_iteratorINS9_10device_ptrIxEEEESE_SE_xNS9_4plusIxEE19head_flag_predicatexEE10hipError_tPvRmT2_T3_T4_T5_mT6_T7_P12ihipStream_tbENKUlT_T0_E_clISt17integral_constantIbLb1EESX_IbLb0EEEEDaST_SU_EUlST_E_NS1_11comp_targetILNS1_3genE2ELNS1_11target_archE906ELNS1_3gpuE6ELNS1_3repE0EEENS1_30default_config_static_selectorELNS0_4arch9wavefront6targetE0EEEvT1_.numbered_sgpr, 0
	.set _ZN7rocprim17ROCPRIM_400000_NS6detail17trampoline_kernelINS0_14default_configENS1_27scan_by_key_config_selectorIxxEEZZNS1_16scan_by_key_implILNS1_25lookback_scan_determinismE0ELb0ES3_N6thrust23THRUST_200600_302600_NS6detail15normal_iteratorINS9_10device_ptrIxEEEESE_SE_xNS9_4plusIxEE19head_flag_predicatexEE10hipError_tPvRmT2_T3_T4_T5_mT6_T7_P12ihipStream_tbENKUlT_T0_E_clISt17integral_constantIbLb1EESX_IbLb0EEEEDaST_SU_EUlST_E_NS1_11comp_targetILNS1_3genE2ELNS1_11target_archE906ELNS1_3gpuE6ELNS1_3repE0EEENS1_30default_config_static_selectorELNS0_4arch9wavefront6targetE0EEEvT1_.num_named_barrier, 0
	.set _ZN7rocprim17ROCPRIM_400000_NS6detail17trampoline_kernelINS0_14default_configENS1_27scan_by_key_config_selectorIxxEEZZNS1_16scan_by_key_implILNS1_25lookback_scan_determinismE0ELb0ES3_N6thrust23THRUST_200600_302600_NS6detail15normal_iteratorINS9_10device_ptrIxEEEESE_SE_xNS9_4plusIxEE19head_flag_predicatexEE10hipError_tPvRmT2_T3_T4_T5_mT6_T7_P12ihipStream_tbENKUlT_T0_E_clISt17integral_constantIbLb1EESX_IbLb0EEEEDaST_SU_EUlST_E_NS1_11comp_targetILNS1_3genE2ELNS1_11target_archE906ELNS1_3gpuE6ELNS1_3repE0EEENS1_30default_config_static_selectorELNS0_4arch9wavefront6targetE0EEEvT1_.private_seg_size, 0
	.set _ZN7rocprim17ROCPRIM_400000_NS6detail17trampoline_kernelINS0_14default_configENS1_27scan_by_key_config_selectorIxxEEZZNS1_16scan_by_key_implILNS1_25lookback_scan_determinismE0ELb0ES3_N6thrust23THRUST_200600_302600_NS6detail15normal_iteratorINS9_10device_ptrIxEEEESE_SE_xNS9_4plusIxEE19head_flag_predicatexEE10hipError_tPvRmT2_T3_T4_T5_mT6_T7_P12ihipStream_tbENKUlT_T0_E_clISt17integral_constantIbLb1EESX_IbLb0EEEEDaST_SU_EUlST_E_NS1_11comp_targetILNS1_3genE2ELNS1_11target_archE906ELNS1_3gpuE6ELNS1_3repE0EEENS1_30default_config_static_selectorELNS0_4arch9wavefront6targetE0EEEvT1_.uses_vcc, 0
	.set _ZN7rocprim17ROCPRIM_400000_NS6detail17trampoline_kernelINS0_14default_configENS1_27scan_by_key_config_selectorIxxEEZZNS1_16scan_by_key_implILNS1_25lookback_scan_determinismE0ELb0ES3_N6thrust23THRUST_200600_302600_NS6detail15normal_iteratorINS9_10device_ptrIxEEEESE_SE_xNS9_4plusIxEE19head_flag_predicatexEE10hipError_tPvRmT2_T3_T4_T5_mT6_T7_P12ihipStream_tbENKUlT_T0_E_clISt17integral_constantIbLb1EESX_IbLb0EEEEDaST_SU_EUlST_E_NS1_11comp_targetILNS1_3genE2ELNS1_11target_archE906ELNS1_3gpuE6ELNS1_3repE0EEENS1_30default_config_static_selectorELNS0_4arch9wavefront6targetE0EEEvT1_.uses_flat_scratch, 0
	.set _ZN7rocprim17ROCPRIM_400000_NS6detail17trampoline_kernelINS0_14default_configENS1_27scan_by_key_config_selectorIxxEEZZNS1_16scan_by_key_implILNS1_25lookback_scan_determinismE0ELb0ES3_N6thrust23THRUST_200600_302600_NS6detail15normal_iteratorINS9_10device_ptrIxEEEESE_SE_xNS9_4plusIxEE19head_flag_predicatexEE10hipError_tPvRmT2_T3_T4_T5_mT6_T7_P12ihipStream_tbENKUlT_T0_E_clISt17integral_constantIbLb1EESX_IbLb0EEEEDaST_SU_EUlST_E_NS1_11comp_targetILNS1_3genE2ELNS1_11target_archE906ELNS1_3gpuE6ELNS1_3repE0EEENS1_30default_config_static_selectorELNS0_4arch9wavefront6targetE0EEEvT1_.has_dyn_sized_stack, 0
	.set _ZN7rocprim17ROCPRIM_400000_NS6detail17trampoline_kernelINS0_14default_configENS1_27scan_by_key_config_selectorIxxEEZZNS1_16scan_by_key_implILNS1_25lookback_scan_determinismE0ELb0ES3_N6thrust23THRUST_200600_302600_NS6detail15normal_iteratorINS9_10device_ptrIxEEEESE_SE_xNS9_4plusIxEE19head_flag_predicatexEE10hipError_tPvRmT2_T3_T4_T5_mT6_T7_P12ihipStream_tbENKUlT_T0_E_clISt17integral_constantIbLb1EESX_IbLb0EEEEDaST_SU_EUlST_E_NS1_11comp_targetILNS1_3genE2ELNS1_11target_archE906ELNS1_3gpuE6ELNS1_3repE0EEENS1_30default_config_static_selectorELNS0_4arch9wavefront6targetE0EEEvT1_.has_recursion, 0
	.set _ZN7rocprim17ROCPRIM_400000_NS6detail17trampoline_kernelINS0_14default_configENS1_27scan_by_key_config_selectorIxxEEZZNS1_16scan_by_key_implILNS1_25lookback_scan_determinismE0ELb0ES3_N6thrust23THRUST_200600_302600_NS6detail15normal_iteratorINS9_10device_ptrIxEEEESE_SE_xNS9_4plusIxEE19head_flag_predicatexEE10hipError_tPvRmT2_T3_T4_T5_mT6_T7_P12ihipStream_tbENKUlT_T0_E_clISt17integral_constantIbLb1EESX_IbLb0EEEEDaST_SU_EUlST_E_NS1_11comp_targetILNS1_3genE2ELNS1_11target_archE906ELNS1_3gpuE6ELNS1_3repE0EEENS1_30default_config_static_selectorELNS0_4arch9wavefront6targetE0EEEvT1_.has_indirect_call, 0
	.section	.AMDGPU.csdata,"",@progbits
; Kernel info:
; codeLenInByte = 0
; TotalNumSgprs: 0
; NumVgprs: 0
; ScratchSize: 0
; MemoryBound: 0
; FloatMode: 240
; IeeeMode: 1
; LDSByteSize: 0 bytes/workgroup (compile time only)
; SGPRBlocks: 0
; VGPRBlocks: 0
; NumSGPRsForWavesPerEU: 1
; NumVGPRsForWavesPerEU: 1
; NamedBarCnt: 0
; Occupancy: 16
; WaveLimiterHint : 0
; COMPUTE_PGM_RSRC2:SCRATCH_EN: 0
; COMPUTE_PGM_RSRC2:USER_SGPR: 2
; COMPUTE_PGM_RSRC2:TRAP_HANDLER: 0
; COMPUTE_PGM_RSRC2:TGID_X_EN: 1
; COMPUTE_PGM_RSRC2:TGID_Y_EN: 0
; COMPUTE_PGM_RSRC2:TGID_Z_EN: 0
; COMPUTE_PGM_RSRC2:TIDIG_COMP_CNT: 0
	.section	.text._ZN7rocprim17ROCPRIM_400000_NS6detail17trampoline_kernelINS0_14default_configENS1_27scan_by_key_config_selectorIxxEEZZNS1_16scan_by_key_implILNS1_25lookback_scan_determinismE0ELb0ES3_N6thrust23THRUST_200600_302600_NS6detail15normal_iteratorINS9_10device_ptrIxEEEESE_SE_xNS9_4plusIxEE19head_flag_predicatexEE10hipError_tPvRmT2_T3_T4_T5_mT6_T7_P12ihipStream_tbENKUlT_T0_E_clISt17integral_constantIbLb1EESX_IbLb0EEEEDaST_SU_EUlST_E_NS1_11comp_targetILNS1_3genE10ELNS1_11target_archE1200ELNS1_3gpuE4ELNS1_3repE0EEENS1_30default_config_static_selectorELNS0_4arch9wavefront6targetE0EEEvT1_,"axG",@progbits,_ZN7rocprim17ROCPRIM_400000_NS6detail17trampoline_kernelINS0_14default_configENS1_27scan_by_key_config_selectorIxxEEZZNS1_16scan_by_key_implILNS1_25lookback_scan_determinismE0ELb0ES3_N6thrust23THRUST_200600_302600_NS6detail15normal_iteratorINS9_10device_ptrIxEEEESE_SE_xNS9_4plusIxEE19head_flag_predicatexEE10hipError_tPvRmT2_T3_T4_T5_mT6_T7_P12ihipStream_tbENKUlT_T0_E_clISt17integral_constantIbLb1EESX_IbLb0EEEEDaST_SU_EUlST_E_NS1_11comp_targetILNS1_3genE10ELNS1_11target_archE1200ELNS1_3gpuE4ELNS1_3repE0EEENS1_30default_config_static_selectorELNS0_4arch9wavefront6targetE0EEEvT1_,comdat
	.protected	_ZN7rocprim17ROCPRIM_400000_NS6detail17trampoline_kernelINS0_14default_configENS1_27scan_by_key_config_selectorIxxEEZZNS1_16scan_by_key_implILNS1_25lookback_scan_determinismE0ELb0ES3_N6thrust23THRUST_200600_302600_NS6detail15normal_iteratorINS9_10device_ptrIxEEEESE_SE_xNS9_4plusIxEE19head_flag_predicatexEE10hipError_tPvRmT2_T3_T4_T5_mT6_T7_P12ihipStream_tbENKUlT_T0_E_clISt17integral_constantIbLb1EESX_IbLb0EEEEDaST_SU_EUlST_E_NS1_11comp_targetILNS1_3genE10ELNS1_11target_archE1200ELNS1_3gpuE4ELNS1_3repE0EEENS1_30default_config_static_selectorELNS0_4arch9wavefront6targetE0EEEvT1_ ; -- Begin function _ZN7rocprim17ROCPRIM_400000_NS6detail17trampoline_kernelINS0_14default_configENS1_27scan_by_key_config_selectorIxxEEZZNS1_16scan_by_key_implILNS1_25lookback_scan_determinismE0ELb0ES3_N6thrust23THRUST_200600_302600_NS6detail15normal_iteratorINS9_10device_ptrIxEEEESE_SE_xNS9_4plusIxEE19head_flag_predicatexEE10hipError_tPvRmT2_T3_T4_T5_mT6_T7_P12ihipStream_tbENKUlT_T0_E_clISt17integral_constantIbLb1EESX_IbLb0EEEEDaST_SU_EUlST_E_NS1_11comp_targetILNS1_3genE10ELNS1_11target_archE1200ELNS1_3gpuE4ELNS1_3repE0EEENS1_30default_config_static_selectorELNS0_4arch9wavefront6targetE0EEEvT1_
	.globl	_ZN7rocprim17ROCPRIM_400000_NS6detail17trampoline_kernelINS0_14default_configENS1_27scan_by_key_config_selectorIxxEEZZNS1_16scan_by_key_implILNS1_25lookback_scan_determinismE0ELb0ES3_N6thrust23THRUST_200600_302600_NS6detail15normal_iteratorINS9_10device_ptrIxEEEESE_SE_xNS9_4plusIxEE19head_flag_predicatexEE10hipError_tPvRmT2_T3_T4_T5_mT6_T7_P12ihipStream_tbENKUlT_T0_E_clISt17integral_constantIbLb1EESX_IbLb0EEEEDaST_SU_EUlST_E_NS1_11comp_targetILNS1_3genE10ELNS1_11target_archE1200ELNS1_3gpuE4ELNS1_3repE0EEENS1_30default_config_static_selectorELNS0_4arch9wavefront6targetE0EEEvT1_
	.p2align	8
	.type	_ZN7rocprim17ROCPRIM_400000_NS6detail17trampoline_kernelINS0_14default_configENS1_27scan_by_key_config_selectorIxxEEZZNS1_16scan_by_key_implILNS1_25lookback_scan_determinismE0ELb0ES3_N6thrust23THRUST_200600_302600_NS6detail15normal_iteratorINS9_10device_ptrIxEEEESE_SE_xNS9_4plusIxEE19head_flag_predicatexEE10hipError_tPvRmT2_T3_T4_T5_mT6_T7_P12ihipStream_tbENKUlT_T0_E_clISt17integral_constantIbLb1EESX_IbLb0EEEEDaST_SU_EUlST_E_NS1_11comp_targetILNS1_3genE10ELNS1_11target_archE1200ELNS1_3gpuE4ELNS1_3repE0EEENS1_30default_config_static_selectorELNS0_4arch9wavefront6targetE0EEEvT1_,@function
_ZN7rocprim17ROCPRIM_400000_NS6detail17trampoline_kernelINS0_14default_configENS1_27scan_by_key_config_selectorIxxEEZZNS1_16scan_by_key_implILNS1_25lookback_scan_determinismE0ELb0ES3_N6thrust23THRUST_200600_302600_NS6detail15normal_iteratorINS9_10device_ptrIxEEEESE_SE_xNS9_4plusIxEE19head_flag_predicatexEE10hipError_tPvRmT2_T3_T4_T5_mT6_T7_P12ihipStream_tbENKUlT_T0_E_clISt17integral_constantIbLb1EESX_IbLb0EEEEDaST_SU_EUlST_E_NS1_11comp_targetILNS1_3genE10ELNS1_11target_archE1200ELNS1_3gpuE4ELNS1_3repE0EEENS1_30default_config_static_selectorELNS0_4arch9wavefront6targetE0EEEvT1_: ; @_ZN7rocprim17ROCPRIM_400000_NS6detail17trampoline_kernelINS0_14default_configENS1_27scan_by_key_config_selectorIxxEEZZNS1_16scan_by_key_implILNS1_25lookback_scan_determinismE0ELb0ES3_N6thrust23THRUST_200600_302600_NS6detail15normal_iteratorINS9_10device_ptrIxEEEESE_SE_xNS9_4plusIxEE19head_flag_predicatexEE10hipError_tPvRmT2_T3_T4_T5_mT6_T7_P12ihipStream_tbENKUlT_T0_E_clISt17integral_constantIbLb1EESX_IbLb0EEEEDaST_SU_EUlST_E_NS1_11comp_targetILNS1_3genE10ELNS1_11target_archE1200ELNS1_3gpuE4ELNS1_3repE0EEENS1_30default_config_static_selectorELNS0_4arch9wavefront6targetE0EEEvT1_
; %bb.0:
	.section	.rodata,"a",@progbits
	.p2align	6, 0x0
	.amdhsa_kernel _ZN7rocprim17ROCPRIM_400000_NS6detail17trampoline_kernelINS0_14default_configENS1_27scan_by_key_config_selectorIxxEEZZNS1_16scan_by_key_implILNS1_25lookback_scan_determinismE0ELb0ES3_N6thrust23THRUST_200600_302600_NS6detail15normal_iteratorINS9_10device_ptrIxEEEESE_SE_xNS9_4plusIxEE19head_flag_predicatexEE10hipError_tPvRmT2_T3_T4_T5_mT6_T7_P12ihipStream_tbENKUlT_T0_E_clISt17integral_constantIbLb1EESX_IbLb0EEEEDaST_SU_EUlST_E_NS1_11comp_targetILNS1_3genE10ELNS1_11target_archE1200ELNS1_3gpuE4ELNS1_3repE0EEENS1_30default_config_static_selectorELNS0_4arch9wavefront6targetE0EEEvT1_
		.amdhsa_group_segment_fixed_size 0
		.amdhsa_private_segment_fixed_size 0
		.amdhsa_kernarg_size 136
		.amdhsa_user_sgpr_count 2
		.amdhsa_user_sgpr_dispatch_ptr 0
		.amdhsa_user_sgpr_queue_ptr 0
		.amdhsa_user_sgpr_kernarg_segment_ptr 1
		.amdhsa_user_sgpr_dispatch_id 0
		.amdhsa_user_sgpr_kernarg_preload_length 0
		.amdhsa_user_sgpr_kernarg_preload_offset 0
		.amdhsa_user_sgpr_private_segment_size 0
		.amdhsa_wavefront_size32 1
		.amdhsa_uses_dynamic_stack 0
		.amdhsa_enable_private_segment 0
		.amdhsa_system_sgpr_workgroup_id_x 1
		.amdhsa_system_sgpr_workgroup_id_y 0
		.amdhsa_system_sgpr_workgroup_id_z 0
		.amdhsa_system_sgpr_workgroup_info 0
		.amdhsa_system_vgpr_workitem_id 0
		.amdhsa_next_free_vgpr 1
		.amdhsa_next_free_sgpr 1
		.amdhsa_named_barrier_count 0
		.amdhsa_reserve_vcc 0
		.amdhsa_float_round_mode_32 0
		.amdhsa_float_round_mode_16_64 0
		.amdhsa_float_denorm_mode_32 3
		.amdhsa_float_denorm_mode_16_64 3
		.amdhsa_fp16_overflow 0
		.amdhsa_memory_ordered 1
		.amdhsa_forward_progress 1
		.amdhsa_inst_pref_size 0
		.amdhsa_round_robin_scheduling 0
		.amdhsa_exception_fp_ieee_invalid_op 0
		.amdhsa_exception_fp_denorm_src 0
		.amdhsa_exception_fp_ieee_div_zero 0
		.amdhsa_exception_fp_ieee_overflow 0
		.amdhsa_exception_fp_ieee_underflow 0
		.amdhsa_exception_fp_ieee_inexact 0
		.amdhsa_exception_int_div_zero 0
	.end_amdhsa_kernel
	.section	.text._ZN7rocprim17ROCPRIM_400000_NS6detail17trampoline_kernelINS0_14default_configENS1_27scan_by_key_config_selectorIxxEEZZNS1_16scan_by_key_implILNS1_25lookback_scan_determinismE0ELb0ES3_N6thrust23THRUST_200600_302600_NS6detail15normal_iteratorINS9_10device_ptrIxEEEESE_SE_xNS9_4plusIxEE19head_flag_predicatexEE10hipError_tPvRmT2_T3_T4_T5_mT6_T7_P12ihipStream_tbENKUlT_T0_E_clISt17integral_constantIbLb1EESX_IbLb0EEEEDaST_SU_EUlST_E_NS1_11comp_targetILNS1_3genE10ELNS1_11target_archE1200ELNS1_3gpuE4ELNS1_3repE0EEENS1_30default_config_static_selectorELNS0_4arch9wavefront6targetE0EEEvT1_,"axG",@progbits,_ZN7rocprim17ROCPRIM_400000_NS6detail17trampoline_kernelINS0_14default_configENS1_27scan_by_key_config_selectorIxxEEZZNS1_16scan_by_key_implILNS1_25lookback_scan_determinismE0ELb0ES3_N6thrust23THRUST_200600_302600_NS6detail15normal_iteratorINS9_10device_ptrIxEEEESE_SE_xNS9_4plusIxEE19head_flag_predicatexEE10hipError_tPvRmT2_T3_T4_T5_mT6_T7_P12ihipStream_tbENKUlT_T0_E_clISt17integral_constantIbLb1EESX_IbLb0EEEEDaST_SU_EUlST_E_NS1_11comp_targetILNS1_3genE10ELNS1_11target_archE1200ELNS1_3gpuE4ELNS1_3repE0EEENS1_30default_config_static_selectorELNS0_4arch9wavefront6targetE0EEEvT1_,comdat
.Lfunc_end701:
	.size	_ZN7rocprim17ROCPRIM_400000_NS6detail17trampoline_kernelINS0_14default_configENS1_27scan_by_key_config_selectorIxxEEZZNS1_16scan_by_key_implILNS1_25lookback_scan_determinismE0ELb0ES3_N6thrust23THRUST_200600_302600_NS6detail15normal_iteratorINS9_10device_ptrIxEEEESE_SE_xNS9_4plusIxEE19head_flag_predicatexEE10hipError_tPvRmT2_T3_T4_T5_mT6_T7_P12ihipStream_tbENKUlT_T0_E_clISt17integral_constantIbLb1EESX_IbLb0EEEEDaST_SU_EUlST_E_NS1_11comp_targetILNS1_3genE10ELNS1_11target_archE1200ELNS1_3gpuE4ELNS1_3repE0EEENS1_30default_config_static_selectorELNS0_4arch9wavefront6targetE0EEEvT1_, .Lfunc_end701-_ZN7rocprim17ROCPRIM_400000_NS6detail17trampoline_kernelINS0_14default_configENS1_27scan_by_key_config_selectorIxxEEZZNS1_16scan_by_key_implILNS1_25lookback_scan_determinismE0ELb0ES3_N6thrust23THRUST_200600_302600_NS6detail15normal_iteratorINS9_10device_ptrIxEEEESE_SE_xNS9_4plusIxEE19head_flag_predicatexEE10hipError_tPvRmT2_T3_T4_T5_mT6_T7_P12ihipStream_tbENKUlT_T0_E_clISt17integral_constantIbLb1EESX_IbLb0EEEEDaST_SU_EUlST_E_NS1_11comp_targetILNS1_3genE10ELNS1_11target_archE1200ELNS1_3gpuE4ELNS1_3repE0EEENS1_30default_config_static_selectorELNS0_4arch9wavefront6targetE0EEEvT1_
                                        ; -- End function
	.set _ZN7rocprim17ROCPRIM_400000_NS6detail17trampoline_kernelINS0_14default_configENS1_27scan_by_key_config_selectorIxxEEZZNS1_16scan_by_key_implILNS1_25lookback_scan_determinismE0ELb0ES3_N6thrust23THRUST_200600_302600_NS6detail15normal_iteratorINS9_10device_ptrIxEEEESE_SE_xNS9_4plusIxEE19head_flag_predicatexEE10hipError_tPvRmT2_T3_T4_T5_mT6_T7_P12ihipStream_tbENKUlT_T0_E_clISt17integral_constantIbLb1EESX_IbLb0EEEEDaST_SU_EUlST_E_NS1_11comp_targetILNS1_3genE10ELNS1_11target_archE1200ELNS1_3gpuE4ELNS1_3repE0EEENS1_30default_config_static_selectorELNS0_4arch9wavefront6targetE0EEEvT1_.num_vgpr, 0
	.set _ZN7rocprim17ROCPRIM_400000_NS6detail17trampoline_kernelINS0_14default_configENS1_27scan_by_key_config_selectorIxxEEZZNS1_16scan_by_key_implILNS1_25lookback_scan_determinismE0ELb0ES3_N6thrust23THRUST_200600_302600_NS6detail15normal_iteratorINS9_10device_ptrIxEEEESE_SE_xNS9_4plusIxEE19head_flag_predicatexEE10hipError_tPvRmT2_T3_T4_T5_mT6_T7_P12ihipStream_tbENKUlT_T0_E_clISt17integral_constantIbLb1EESX_IbLb0EEEEDaST_SU_EUlST_E_NS1_11comp_targetILNS1_3genE10ELNS1_11target_archE1200ELNS1_3gpuE4ELNS1_3repE0EEENS1_30default_config_static_selectorELNS0_4arch9wavefront6targetE0EEEvT1_.num_agpr, 0
	.set _ZN7rocprim17ROCPRIM_400000_NS6detail17trampoline_kernelINS0_14default_configENS1_27scan_by_key_config_selectorIxxEEZZNS1_16scan_by_key_implILNS1_25lookback_scan_determinismE0ELb0ES3_N6thrust23THRUST_200600_302600_NS6detail15normal_iteratorINS9_10device_ptrIxEEEESE_SE_xNS9_4plusIxEE19head_flag_predicatexEE10hipError_tPvRmT2_T3_T4_T5_mT6_T7_P12ihipStream_tbENKUlT_T0_E_clISt17integral_constantIbLb1EESX_IbLb0EEEEDaST_SU_EUlST_E_NS1_11comp_targetILNS1_3genE10ELNS1_11target_archE1200ELNS1_3gpuE4ELNS1_3repE0EEENS1_30default_config_static_selectorELNS0_4arch9wavefront6targetE0EEEvT1_.numbered_sgpr, 0
	.set _ZN7rocprim17ROCPRIM_400000_NS6detail17trampoline_kernelINS0_14default_configENS1_27scan_by_key_config_selectorIxxEEZZNS1_16scan_by_key_implILNS1_25lookback_scan_determinismE0ELb0ES3_N6thrust23THRUST_200600_302600_NS6detail15normal_iteratorINS9_10device_ptrIxEEEESE_SE_xNS9_4plusIxEE19head_flag_predicatexEE10hipError_tPvRmT2_T3_T4_T5_mT6_T7_P12ihipStream_tbENKUlT_T0_E_clISt17integral_constantIbLb1EESX_IbLb0EEEEDaST_SU_EUlST_E_NS1_11comp_targetILNS1_3genE10ELNS1_11target_archE1200ELNS1_3gpuE4ELNS1_3repE0EEENS1_30default_config_static_selectorELNS0_4arch9wavefront6targetE0EEEvT1_.num_named_barrier, 0
	.set _ZN7rocprim17ROCPRIM_400000_NS6detail17trampoline_kernelINS0_14default_configENS1_27scan_by_key_config_selectorIxxEEZZNS1_16scan_by_key_implILNS1_25lookback_scan_determinismE0ELb0ES3_N6thrust23THRUST_200600_302600_NS6detail15normal_iteratorINS9_10device_ptrIxEEEESE_SE_xNS9_4plusIxEE19head_flag_predicatexEE10hipError_tPvRmT2_T3_T4_T5_mT6_T7_P12ihipStream_tbENKUlT_T0_E_clISt17integral_constantIbLb1EESX_IbLb0EEEEDaST_SU_EUlST_E_NS1_11comp_targetILNS1_3genE10ELNS1_11target_archE1200ELNS1_3gpuE4ELNS1_3repE0EEENS1_30default_config_static_selectorELNS0_4arch9wavefront6targetE0EEEvT1_.private_seg_size, 0
	.set _ZN7rocprim17ROCPRIM_400000_NS6detail17trampoline_kernelINS0_14default_configENS1_27scan_by_key_config_selectorIxxEEZZNS1_16scan_by_key_implILNS1_25lookback_scan_determinismE0ELb0ES3_N6thrust23THRUST_200600_302600_NS6detail15normal_iteratorINS9_10device_ptrIxEEEESE_SE_xNS9_4plusIxEE19head_flag_predicatexEE10hipError_tPvRmT2_T3_T4_T5_mT6_T7_P12ihipStream_tbENKUlT_T0_E_clISt17integral_constantIbLb1EESX_IbLb0EEEEDaST_SU_EUlST_E_NS1_11comp_targetILNS1_3genE10ELNS1_11target_archE1200ELNS1_3gpuE4ELNS1_3repE0EEENS1_30default_config_static_selectorELNS0_4arch9wavefront6targetE0EEEvT1_.uses_vcc, 0
	.set _ZN7rocprim17ROCPRIM_400000_NS6detail17trampoline_kernelINS0_14default_configENS1_27scan_by_key_config_selectorIxxEEZZNS1_16scan_by_key_implILNS1_25lookback_scan_determinismE0ELb0ES3_N6thrust23THRUST_200600_302600_NS6detail15normal_iteratorINS9_10device_ptrIxEEEESE_SE_xNS9_4plusIxEE19head_flag_predicatexEE10hipError_tPvRmT2_T3_T4_T5_mT6_T7_P12ihipStream_tbENKUlT_T0_E_clISt17integral_constantIbLb1EESX_IbLb0EEEEDaST_SU_EUlST_E_NS1_11comp_targetILNS1_3genE10ELNS1_11target_archE1200ELNS1_3gpuE4ELNS1_3repE0EEENS1_30default_config_static_selectorELNS0_4arch9wavefront6targetE0EEEvT1_.uses_flat_scratch, 0
	.set _ZN7rocprim17ROCPRIM_400000_NS6detail17trampoline_kernelINS0_14default_configENS1_27scan_by_key_config_selectorIxxEEZZNS1_16scan_by_key_implILNS1_25lookback_scan_determinismE0ELb0ES3_N6thrust23THRUST_200600_302600_NS6detail15normal_iteratorINS9_10device_ptrIxEEEESE_SE_xNS9_4plusIxEE19head_flag_predicatexEE10hipError_tPvRmT2_T3_T4_T5_mT6_T7_P12ihipStream_tbENKUlT_T0_E_clISt17integral_constantIbLb1EESX_IbLb0EEEEDaST_SU_EUlST_E_NS1_11comp_targetILNS1_3genE10ELNS1_11target_archE1200ELNS1_3gpuE4ELNS1_3repE0EEENS1_30default_config_static_selectorELNS0_4arch9wavefront6targetE0EEEvT1_.has_dyn_sized_stack, 0
	.set _ZN7rocprim17ROCPRIM_400000_NS6detail17trampoline_kernelINS0_14default_configENS1_27scan_by_key_config_selectorIxxEEZZNS1_16scan_by_key_implILNS1_25lookback_scan_determinismE0ELb0ES3_N6thrust23THRUST_200600_302600_NS6detail15normal_iteratorINS9_10device_ptrIxEEEESE_SE_xNS9_4plusIxEE19head_flag_predicatexEE10hipError_tPvRmT2_T3_T4_T5_mT6_T7_P12ihipStream_tbENKUlT_T0_E_clISt17integral_constantIbLb1EESX_IbLb0EEEEDaST_SU_EUlST_E_NS1_11comp_targetILNS1_3genE10ELNS1_11target_archE1200ELNS1_3gpuE4ELNS1_3repE0EEENS1_30default_config_static_selectorELNS0_4arch9wavefront6targetE0EEEvT1_.has_recursion, 0
	.set _ZN7rocprim17ROCPRIM_400000_NS6detail17trampoline_kernelINS0_14default_configENS1_27scan_by_key_config_selectorIxxEEZZNS1_16scan_by_key_implILNS1_25lookback_scan_determinismE0ELb0ES3_N6thrust23THRUST_200600_302600_NS6detail15normal_iteratorINS9_10device_ptrIxEEEESE_SE_xNS9_4plusIxEE19head_flag_predicatexEE10hipError_tPvRmT2_T3_T4_T5_mT6_T7_P12ihipStream_tbENKUlT_T0_E_clISt17integral_constantIbLb1EESX_IbLb0EEEEDaST_SU_EUlST_E_NS1_11comp_targetILNS1_3genE10ELNS1_11target_archE1200ELNS1_3gpuE4ELNS1_3repE0EEENS1_30default_config_static_selectorELNS0_4arch9wavefront6targetE0EEEvT1_.has_indirect_call, 0
	.section	.AMDGPU.csdata,"",@progbits
; Kernel info:
; codeLenInByte = 0
; TotalNumSgprs: 0
; NumVgprs: 0
; ScratchSize: 0
; MemoryBound: 0
; FloatMode: 240
; IeeeMode: 1
; LDSByteSize: 0 bytes/workgroup (compile time only)
; SGPRBlocks: 0
; VGPRBlocks: 0
; NumSGPRsForWavesPerEU: 1
; NumVGPRsForWavesPerEU: 1
; NamedBarCnt: 0
; Occupancy: 16
; WaveLimiterHint : 0
; COMPUTE_PGM_RSRC2:SCRATCH_EN: 0
; COMPUTE_PGM_RSRC2:USER_SGPR: 2
; COMPUTE_PGM_RSRC2:TRAP_HANDLER: 0
; COMPUTE_PGM_RSRC2:TGID_X_EN: 1
; COMPUTE_PGM_RSRC2:TGID_Y_EN: 0
; COMPUTE_PGM_RSRC2:TGID_Z_EN: 0
; COMPUTE_PGM_RSRC2:TIDIG_COMP_CNT: 0
	.section	.text._ZN7rocprim17ROCPRIM_400000_NS6detail17trampoline_kernelINS0_14default_configENS1_27scan_by_key_config_selectorIxxEEZZNS1_16scan_by_key_implILNS1_25lookback_scan_determinismE0ELb0ES3_N6thrust23THRUST_200600_302600_NS6detail15normal_iteratorINS9_10device_ptrIxEEEESE_SE_xNS9_4plusIxEE19head_flag_predicatexEE10hipError_tPvRmT2_T3_T4_T5_mT6_T7_P12ihipStream_tbENKUlT_T0_E_clISt17integral_constantIbLb1EESX_IbLb0EEEEDaST_SU_EUlST_E_NS1_11comp_targetILNS1_3genE9ELNS1_11target_archE1100ELNS1_3gpuE3ELNS1_3repE0EEENS1_30default_config_static_selectorELNS0_4arch9wavefront6targetE0EEEvT1_,"axG",@progbits,_ZN7rocprim17ROCPRIM_400000_NS6detail17trampoline_kernelINS0_14default_configENS1_27scan_by_key_config_selectorIxxEEZZNS1_16scan_by_key_implILNS1_25lookback_scan_determinismE0ELb0ES3_N6thrust23THRUST_200600_302600_NS6detail15normal_iteratorINS9_10device_ptrIxEEEESE_SE_xNS9_4plusIxEE19head_flag_predicatexEE10hipError_tPvRmT2_T3_T4_T5_mT6_T7_P12ihipStream_tbENKUlT_T0_E_clISt17integral_constantIbLb1EESX_IbLb0EEEEDaST_SU_EUlST_E_NS1_11comp_targetILNS1_3genE9ELNS1_11target_archE1100ELNS1_3gpuE3ELNS1_3repE0EEENS1_30default_config_static_selectorELNS0_4arch9wavefront6targetE0EEEvT1_,comdat
	.protected	_ZN7rocprim17ROCPRIM_400000_NS6detail17trampoline_kernelINS0_14default_configENS1_27scan_by_key_config_selectorIxxEEZZNS1_16scan_by_key_implILNS1_25lookback_scan_determinismE0ELb0ES3_N6thrust23THRUST_200600_302600_NS6detail15normal_iteratorINS9_10device_ptrIxEEEESE_SE_xNS9_4plusIxEE19head_flag_predicatexEE10hipError_tPvRmT2_T3_T4_T5_mT6_T7_P12ihipStream_tbENKUlT_T0_E_clISt17integral_constantIbLb1EESX_IbLb0EEEEDaST_SU_EUlST_E_NS1_11comp_targetILNS1_3genE9ELNS1_11target_archE1100ELNS1_3gpuE3ELNS1_3repE0EEENS1_30default_config_static_selectorELNS0_4arch9wavefront6targetE0EEEvT1_ ; -- Begin function _ZN7rocprim17ROCPRIM_400000_NS6detail17trampoline_kernelINS0_14default_configENS1_27scan_by_key_config_selectorIxxEEZZNS1_16scan_by_key_implILNS1_25lookback_scan_determinismE0ELb0ES3_N6thrust23THRUST_200600_302600_NS6detail15normal_iteratorINS9_10device_ptrIxEEEESE_SE_xNS9_4plusIxEE19head_flag_predicatexEE10hipError_tPvRmT2_T3_T4_T5_mT6_T7_P12ihipStream_tbENKUlT_T0_E_clISt17integral_constantIbLb1EESX_IbLb0EEEEDaST_SU_EUlST_E_NS1_11comp_targetILNS1_3genE9ELNS1_11target_archE1100ELNS1_3gpuE3ELNS1_3repE0EEENS1_30default_config_static_selectorELNS0_4arch9wavefront6targetE0EEEvT1_
	.globl	_ZN7rocprim17ROCPRIM_400000_NS6detail17trampoline_kernelINS0_14default_configENS1_27scan_by_key_config_selectorIxxEEZZNS1_16scan_by_key_implILNS1_25lookback_scan_determinismE0ELb0ES3_N6thrust23THRUST_200600_302600_NS6detail15normal_iteratorINS9_10device_ptrIxEEEESE_SE_xNS9_4plusIxEE19head_flag_predicatexEE10hipError_tPvRmT2_T3_T4_T5_mT6_T7_P12ihipStream_tbENKUlT_T0_E_clISt17integral_constantIbLb1EESX_IbLb0EEEEDaST_SU_EUlST_E_NS1_11comp_targetILNS1_3genE9ELNS1_11target_archE1100ELNS1_3gpuE3ELNS1_3repE0EEENS1_30default_config_static_selectorELNS0_4arch9wavefront6targetE0EEEvT1_
	.p2align	8
	.type	_ZN7rocprim17ROCPRIM_400000_NS6detail17trampoline_kernelINS0_14default_configENS1_27scan_by_key_config_selectorIxxEEZZNS1_16scan_by_key_implILNS1_25lookback_scan_determinismE0ELb0ES3_N6thrust23THRUST_200600_302600_NS6detail15normal_iteratorINS9_10device_ptrIxEEEESE_SE_xNS9_4plusIxEE19head_flag_predicatexEE10hipError_tPvRmT2_T3_T4_T5_mT6_T7_P12ihipStream_tbENKUlT_T0_E_clISt17integral_constantIbLb1EESX_IbLb0EEEEDaST_SU_EUlST_E_NS1_11comp_targetILNS1_3genE9ELNS1_11target_archE1100ELNS1_3gpuE3ELNS1_3repE0EEENS1_30default_config_static_selectorELNS0_4arch9wavefront6targetE0EEEvT1_,@function
_ZN7rocprim17ROCPRIM_400000_NS6detail17trampoline_kernelINS0_14default_configENS1_27scan_by_key_config_selectorIxxEEZZNS1_16scan_by_key_implILNS1_25lookback_scan_determinismE0ELb0ES3_N6thrust23THRUST_200600_302600_NS6detail15normal_iteratorINS9_10device_ptrIxEEEESE_SE_xNS9_4plusIxEE19head_flag_predicatexEE10hipError_tPvRmT2_T3_T4_T5_mT6_T7_P12ihipStream_tbENKUlT_T0_E_clISt17integral_constantIbLb1EESX_IbLb0EEEEDaST_SU_EUlST_E_NS1_11comp_targetILNS1_3genE9ELNS1_11target_archE1100ELNS1_3gpuE3ELNS1_3repE0EEENS1_30default_config_static_selectorELNS0_4arch9wavefront6targetE0EEEvT1_: ; @_ZN7rocprim17ROCPRIM_400000_NS6detail17trampoline_kernelINS0_14default_configENS1_27scan_by_key_config_selectorIxxEEZZNS1_16scan_by_key_implILNS1_25lookback_scan_determinismE0ELb0ES3_N6thrust23THRUST_200600_302600_NS6detail15normal_iteratorINS9_10device_ptrIxEEEESE_SE_xNS9_4plusIxEE19head_flag_predicatexEE10hipError_tPvRmT2_T3_T4_T5_mT6_T7_P12ihipStream_tbENKUlT_T0_E_clISt17integral_constantIbLb1EESX_IbLb0EEEEDaST_SU_EUlST_E_NS1_11comp_targetILNS1_3genE9ELNS1_11target_archE1100ELNS1_3gpuE3ELNS1_3repE0EEENS1_30default_config_static_selectorELNS0_4arch9wavefront6targetE0EEEvT1_
; %bb.0:
	.section	.rodata,"a",@progbits
	.p2align	6, 0x0
	.amdhsa_kernel _ZN7rocprim17ROCPRIM_400000_NS6detail17trampoline_kernelINS0_14default_configENS1_27scan_by_key_config_selectorIxxEEZZNS1_16scan_by_key_implILNS1_25lookback_scan_determinismE0ELb0ES3_N6thrust23THRUST_200600_302600_NS6detail15normal_iteratorINS9_10device_ptrIxEEEESE_SE_xNS9_4plusIxEE19head_flag_predicatexEE10hipError_tPvRmT2_T3_T4_T5_mT6_T7_P12ihipStream_tbENKUlT_T0_E_clISt17integral_constantIbLb1EESX_IbLb0EEEEDaST_SU_EUlST_E_NS1_11comp_targetILNS1_3genE9ELNS1_11target_archE1100ELNS1_3gpuE3ELNS1_3repE0EEENS1_30default_config_static_selectorELNS0_4arch9wavefront6targetE0EEEvT1_
		.amdhsa_group_segment_fixed_size 0
		.amdhsa_private_segment_fixed_size 0
		.amdhsa_kernarg_size 136
		.amdhsa_user_sgpr_count 2
		.amdhsa_user_sgpr_dispatch_ptr 0
		.amdhsa_user_sgpr_queue_ptr 0
		.amdhsa_user_sgpr_kernarg_segment_ptr 1
		.amdhsa_user_sgpr_dispatch_id 0
		.amdhsa_user_sgpr_kernarg_preload_length 0
		.amdhsa_user_sgpr_kernarg_preload_offset 0
		.amdhsa_user_sgpr_private_segment_size 0
		.amdhsa_wavefront_size32 1
		.amdhsa_uses_dynamic_stack 0
		.amdhsa_enable_private_segment 0
		.amdhsa_system_sgpr_workgroup_id_x 1
		.amdhsa_system_sgpr_workgroup_id_y 0
		.amdhsa_system_sgpr_workgroup_id_z 0
		.amdhsa_system_sgpr_workgroup_info 0
		.amdhsa_system_vgpr_workitem_id 0
		.amdhsa_next_free_vgpr 1
		.amdhsa_next_free_sgpr 1
		.amdhsa_named_barrier_count 0
		.amdhsa_reserve_vcc 0
		.amdhsa_float_round_mode_32 0
		.amdhsa_float_round_mode_16_64 0
		.amdhsa_float_denorm_mode_32 3
		.amdhsa_float_denorm_mode_16_64 3
		.amdhsa_fp16_overflow 0
		.amdhsa_memory_ordered 1
		.amdhsa_forward_progress 1
		.amdhsa_inst_pref_size 0
		.amdhsa_round_robin_scheduling 0
		.amdhsa_exception_fp_ieee_invalid_op 0
		.amdhsa_exception_fp_denorm_src 0
		.amdhsa_exception_fp_ieee_div_zero 0
		.amdhsa_exception_fp_ieee_overflow 0
		.amdhsa_exception_fp_ieee_underflow 0
		.amdhsa_exception_fp_ieee_inexact 0
		.amdhsa_exception_int_div_zero 0
	.end_amdhsa_kernel
	.section	.text._ZN7rocprim17ROCPRIM_400000_NS6detail17trampoline_kernelINS0_14default_configENS1_27scan_by_key_config_selectorIxxEEZZNS1_16scan_by_key_implILNS1_25lookback_scan_determinismE0ELb0ES3_N6thrust23THRUST_200600_302600_NS6detail15normal_iteratorINS9_10device_ptrIxEEEESE_SE_xNS9_4plusIxEE19head_flag_predicatexEE10hipError_tPvRmT2_T3_T4_T5_mT6_T7_P12ihipStream_tbENKUlT_T0_E_clISt17integral_constantIbLb1EESX_IbLb0EEEEDaST_SU_EUlST_E_NS1_11comp_targetILNS1_3genE9ELNS1_11target_archE1100ELNS1_3gpuE3ELNS1_3repE0EEENS1_30default_config_static_selectorELNS0_4arch9wavefront6targetE0EEEvT1_,"axG",@progbits,_ZN7rocprim17ROCPRIM_400000_NS6detail17trampoline_kernelINS0_14default_configENS1_27scan_by_key_config_selectorIxxEEZZNS1_16scan_by_key_implILNS1_25lookback_scan_determinismE0ELb0ES3_N6thrust23THRUST_200600_302600_NS6detail15normal_iteratorINS9_10device_ptrIxEEEESE_SE_xNS9_4plusIxEE19head_flag_predicatexEE10hipError_tPvRmT2_T3_T4_T5_mT6_T7_P12ihipStream_tbENKUlT_T0_E_clISt17integral_constantIbLb1EESX_IbLb0EEEEDaST_SU_EUlST_E_NS1_11comp_targetILNS1_3genE9ELNS1_11target_archE1100ELNS1_3gpuE3ELNS1_3repE0EEENS1_30default_config_static_selectorELNS0_4arch9wavefront6targetE0EEEvT1_,comdat
.Lfunc_end702:
	.size	_ZN7rocprim17ROCPRIM_400000_NS6detail17trampoline_kernelINS0_14default_configENS1_27scan_by_key_config_selectorIxxEEZZNS1_16scan_by_key_implILNS1_25lookback_scan_determinismE0ELb0ES3_N6thrust23THRUST_200600_302600_NS6detail15normal_iteratorINS9_10device_ptrIxEEEESE_SE_xNS9_4plusIxEE19head_flag_predicatexEE10hipError_tPvRmT2_T3_T4_T5_mT6_T7_P12ihipStream_tbENKUlT_T0_E_clISt17integral_constantIbLb1EESX_IbLb0EEEEDaST_SU_EUlST_E_NS1_11comp_targetILNS1_3genE9ELNS1_11target_archE1100ELNS1_3gpuE3ELNS1_3repE0EEENS1_30default_config_static_selectorELNS0_4arch9wavefront6targetE0EEEvT1_, .Lfunc_end702-_ZN7rocprim17ROCPRIM_400000_NS6detail17trampoline_kernelINS0_14default_configENS1_27scan_by_key_config_selectorIxxEEZZNS1_16scan_by_key_implILNS1_25lookback_scan_determinismE0ELb0ES3_N6thrust23THRUST_200600_302600_NS6detail15normal_iteratorINS9_10device_ptrIxEEEESE_SE_xNS9_4plusIxEE19head_flag_predicatexEE10hipError_tPvRmT2_T3_T4_T5_mT6_T7_P12ihipStream_tbENKUlT_T0_E_clISt17integral_constantIbLb1EESX_IbLb0EEEEDaST_SU_EUlST_E_NS1_11comp_targetILNS1_3genE9ELNS1_11target_archE1100ELNS1_3gpuE3ELNS1_3repE0EEENS1_30default_config_static_selectorELNS0_4arch9wavefront6targetE0EEEvT1_
                                        ; -- End function
	.set _ZN7rocprim17ROCPRIM_400000_NS6detail17trampoline_kernelINS0_14default_configENS1_27scan_by_key_config_selectorIxxEEZZNS1_16scan_by_key_implILNS1_25lookback_scan_determinismE0ELb0ES3_N6thrust23THRUST_200600_302600_NS6detail15normal_iteratorINS9_10device_ptrIxEEEESE_SE_xNS9_4plusIxEE19head_flag_predicatexEE10hipError_tPvRmT2_T3_T4_T5_mT6_T7_P12ihipStream_tbENKUlT_T0_E_clISt17integral_constantIbLb1EESX_IbLb0EEEEDaST_SU_EUlST_E_NS1_11comp_targetILNS1_3genE9ELNS1_11target_archE1100ELNS1_3gpuE3ELNS1_3repE0EEENS1_30default_config_static_selectorELNS0_4arch9wavefront6targetE0EEEvT1_.num_vgpr, 0
	.set _ZN7rocprim17ROCPRIM_400000_NS6detail17trampoline_kernelINS0_14default_configENS1_27scan_by_key_config_selectorIxxEEZZNS1_16scan_by_key_implILNS1_25lookback_scan_determinismE0ELb0ES3_N6thrust23THRUST_200600_302600_NS6detail15normal_iteratorINS9_10device_ptrIxEEEESE_SE_xNS9_4plusIxEE19head_flag_predicatexEE10hipError_tPvRmT2_T3_T4_T5_mT6_T7_P12ihipStream_tbENKUlT_T0_E_clISt17integral_constantIbLb1EESX_IbLb0EEEEDaST_SU_EUlST_E_NS1_11comp_targetILNS1_3genE9ELNS1_11target_archE1100ELNS1_3gpuE3ELNS1_3repE0EEENS1_30default_config_static_selectorELNS0_4arch9wavefront6targetE0EEEvT1_.num_agpr, 0
	.set _ZN7rocprim17ROCPRIM_400000_NS6detail17trampoline_kernelINS0_14default_configENS1_27scan_by_key_config_selectorIxxEEZZNS1_16scan_by_key_implILNS1_25lookback_scan_determinismE0ELb0ES3_N6thrust23THRUST_200600_302600_NS6detail15normal_iteratorINS9_10device_ptrIxEEEESE_SE_xNS9_4plusIxEE19head_flag_predicatexEE10hipError_tPvRmT2_T3_T4_T5_mT6_T7_P12ihipStream_tbENKUlT_T0_E_clISt17integral_constantIbLb1EESX_IbLb0EEEEDaST_SU_EUlST_E_NS1_11comp_targetILNS1_3genE9ELNS1_11target_archE1100ELNS1_3gpuE3ELNS1_3repE0EEENS1_30default_config_static_selectorELNS0_4arch9wavefront6targetE0EEEvT1_.numbered_sgpr, 0
	.set _ZN7rocprim17ROCPRIM_400000_NS6detail17trampoline_kernelINS0_14default_configENS1_27scan_by_key_config_selectorIxxEEZZNS1_16scan_by_key_implILNS1_25lookback_scan_determinismE0ELb0ES3_N6thrust23THRUST_200600_302600_NS6detail15normal_iteratorINS9_10device_ptrIxEEEESE_SE_xNS9_4plusIxEE19head_flag_predicatexEE10hipError_tPvRmT2_T3_T4_T5_mT6_T7_P12ihipStream_tbENKUlT_T0_E_clISt17integral_constantIbLb1EESX_IbLb0EEEEDaST_SU_EUlST_E_NS1_11comp_targetILNS1_3genE9ELNS1_11target_archE1100ELNS1_3gpuE3ELNS1_3repE0EEENS1_30default_config_static_selectorELNS0_4arch9wavefront6targetE0EEEvT1_.num_named_barrier, 0
	.set _ZN7rocprim17ROCPRIM_400000_NS6detail17trampoline_kernelINS0_14default_configENS1_27scan_by_key_config_selectorIxxEEZZNS1_16scan_by_key_implILNS1_25lookback_scan_determinismE0ELb0ES3_N6thrust23THRUST_200600_302600_NS6detail15normal_iteratorINS9_10device_ptrIxEEEESE_SE_xNS9_4plusIxEE19head_flag_predicatexEE10hipError_tPvRmT2_T3_T4_T5_mT6_T7_P12ihipStream_tbENKUlT_T0_E_clISt17integral_constantIbLb1EESX_IbLb0EEEEDaST_SU_EUlST_E_NS1_11comp_targetILNS1_3genE9ELNS1_11target_archE1100ELNS1_3gpuE3ELNS1_3repE0EEENS1_30default_config_static_selectorELNS0_4arch9wavefront6targetE0EEEvT1_.private_seg_size, 0
	.set _ZN7rocprim17ROCPRIM_400000_NS6detail17trampoline_kernelINS0_14default_configENS1_27scan_by_key_config_selectorIxxEEZZNS1_16scan_by_key_implILNS1_25lookback_scan_determinismE0ELb0ES3_N6thrust23THRUST_200600_302600_NS6detail15normal_iteratorINS9_10device_ptrIxEEEESE_SE_xNS9_4plusIxEE19head_flag_predicatexEE10hipError_tPvRmT2_T3_T4_T5_mT6_T7_P12ihipStream_tbENKUlT_T0_E_clISt17integral_constantIbLb1EESX_IbLb0EEEEDaST_SU_EUlST_E_NS1_11comp_targetILNS1_3genE9ELNS1_11target_archE1100ELNS1_3gpuE3ELNS1_3repE0EEENS1_30default_config_static_selectorELNS0_4arch9wavefront6targetE0EEEvT1_.uses_vcc, 0
	.set _ZN7rocprim17ROCPRIM_400000_NS6detail17trampoline_kernelINS0_14default_configENS1_27scan_by_key_config_selectorIxxEEZZNS1_16scan_by_key_implILNS1_25lookback_scan_determinismE0ELb0ES3_N6thrust23THRUST_200600_302600_NS6detail15normal_iteratorINS9_10device_ptrIxEEEESE_SE_xNS9_4plusIxEE19head_flag_predicatexEE10hipError_tPvRmT2_T3_T4_T5_mT6_T7_P12ihipStream_tbENKUlT_T0_E_clISt17integral_constantIbLb1EESX_IbLb0EEEEDaST_SU_EUlST_E_NS1_11comp_targetILNS1_3genE9ELNS1_11target_archE1100ELNS1_3gpuE3ELNS1_3repE0EEENS1_30default_config_static_selectorELNS0_4arch9wavefront6targetE0EEEvT1_.uses_flat_scratch, 0
	.set _ZN7rocprim17ROCPRIM_400000_NS6detail17trampoline_kernelINS0_14default_configENS1_27scan_by_key_config_selectorIxxEEZZNS1_16scan_by_key_implILNS1_25lookback_scan_determinismE0ELb0ES3_N6thrust23THRUST_200600_302600_NS6detail15normal_iteratorINS9_10device_ptrIxEEEESE_SE_xNS9_4plusIxEE19head_flag_predicatexEE10hipError_tPvRmT2_T3_T4_T5_mT6_T7_P12ihipStream_tbENKUlT_T0_E_clISt17integral_constantIbLb1EESX_IbLb0EEEEDaST_SU_EUlST_E_NS1_11comp_targetILNS1_3genE9ELNS1_11target_archE1100ELNS1_3gpuE3ELNS1_3repE0EEENS1_30default_config_static_selectorELNS0_4arch9wavefront6targetE0EEEvT1_.has_dyn_sized_stack, 0
	.set _ZN7rocprim17ROCPRIM_400000_NS6detail17trampoline_kernelINS0_14default_configENS1_27scan_by_key_config_selectorIxxEEZZNS1_16scan_by_key_implILNS1_25lookback_scan_determinismE0ELb0ES3_N6thrust23THRUST_200600_302600_NS6detail15normal_iteratorINS9_10device_ptrIxEEEESE_SE_xNS9_4plusIxEE19head_flag_predicatexEE10hipError_tPvRmT2_T3_T4_T5_mT6_T7_P12ihipStream_tbENKUlT_T0_E_clISt17integral_constantIbLb1EESX_IbLb0EEEEDaST_SU_EUlST_E_NS1_11comp_targetILNS1_3genE9ELNS1_11target_archE1100ELNS1_3gpuE3ELNS1_3repE0EEENS1_30default_config_static_selectorELNS0_4arch9wavefront6targetE0EEEvT1_.has_recursion, 0
	.set _ZN7rocprim17ROCPRIM_400000_NS6detail17trampoline_kernelINS0_14default_configENS1_27scan_by_key_config_selectorIxxEEZZNS1_16scan_by_key_implILNS1_25lookback_scan_determinismE0ELb0ES3_N6thrust23THRUST_200600_302600_NS6detail15normal_iteratorINS9_10device_ptrIxEEEESE_SE_xNS9_4plusIxEE19head_flag_predicatexEE10hipError_tPvRmT2_T3_T4_T5_mT6_T7_P12ihipStream_tbENKUlT_T0_E_clISt17integral_constantIbLb1EESX_IbLb0EEEEDaST_SU_EUlST_E_NS1_11comp_targetILNS1_3genE9ELNS1_11target_archE1100ELNS1_3gpuE3ELNS1_3repE0EEENS1_30default_config_static_selectorELNS0_4arch9wavefront6targetE0EEEvT1_.has_indirect_call, 0
	.section	.AMDGPU.csdata,"",@progbits
; Kernel info:
; codeLenInByte = 0
; TotalNumSgprs: 0
; NumVgprs: 0
; ScratchSize: 0
; MemoryBound: 0
; FloatMode: 240
; IeeeMode: 1
; LDSByteSize: 0 bytes/workgroup (compile time only)
; SGPRBlocks: 0
; VGPRBlocks: 0
; NumSGPRsForWavesPerEU: 1
; NumVGPRsForWavesPerEU: 1
; NamedBarCnt: 0
; Occupancy: 16
; WaveLimiterHint : 0
; COMPUTE_PGM_RSRC2:SCRATCH_EN: 0
; COMPUTE_PGM_RSRC2:USER_SGPR: 2
; COMPUTE_PGM_RSRC2:TRAP_HANDLER: 0
; COMPUTE_PGM_RSRC2:TGID_X_EN: 1
; COMPUTE_PGM_RSRC2:TGID_Y_EN: 0
; COMPUTE_PGM_RSRC2:TGID_Z_EN: 0
; COMPUTE_PGM_RSRC2:TIDIG_COMP_CNT: 0
	.section	.text._ZN7rocprim17ROCPRIM_400000_NS6detail17trampoline_kernelINS0_14default_configENS1_27scan_by_key_config_selectorIxxEEZZNS1_16scan_by_key_implILNS1_25lookback_scan_determinismE0ELb0ES3_N6thrust23THRUST_200600_302600_NS6detail15normal_iteratorINS9_10device_ptrIxEEEESE_SE_xNS9_4plusIxEE19head_flag_predicatexEE10hipError_tPvRmT2_T3_T4_T5_mT6_T7_P12ihipStream_tbENKUlT_T0_E_clISt17integral_constantIbLb1EESX_IbLb0EEEEDaST_SU_EUlST_E_NS1_11comp_targetILNS1_3genE8ELNS1_11target_archE1030ELNS1_3gpuE2ELNS1_3repE0EEENS1_30default_config_static_selectorELNS0_4arch9wavefront6targetE0EEEvT1_,"axG",@progbits,_ZN7rocprim17ROCPRIM_400000_NS6detail17trampoline_kernelINS0_14default_configENS1_27scan_by_key_config_selectorIxxEEZZNS1_16scan_by_key_implILNS1_25lookback_scan_determinismE0ELb0ES3_N6thrust23THRUST_200600_302600_NS6detail15normal_iteratorINS9_10device_ptrIxEEEESE_SE_xNS9_4plusIxEE19head_flag_predicatexEE10hipError_tPvRmT2_T3_T4_T5_mT6_T7_P12ihipStream_tbENKUlT_T0_E_clISt17integral_constantIbLb1EESX_IbLb0EEEEDaST_SU_EUlST_E_NS1_11comp_targetILNS1_3genE8ELNS1_11target_archE1030ELNS1_3gpuE2ELNS1_3repE0EEENS1_30default_config_static_selectorELNS0_4arch9wavefront6targetE0EEEvT1_,comdat
	.protected	_ZN7rocprim17ROCPRIM_400000_NS6detail17trampoline_kernelINS0_14default_configENS1_27scan_by_key_config_selectorIxxEEZZNS1_16scan_by_key_implILNS1_25lookback_scan_determinismE0ELb0ES3_N6thrust23THRUST_200600_302600_NS6detail15normal_iteratorINS9_10device_ptrIxEEEESE_SE_xNS9_4plusIxEE19head_flag_predicatexEE10hipError_tPvRmT2_T3_T4_T5_mT6_T7_P12ihipStream_tbENKUlT_T0_E_clISt17integral_constantIbLb1EESX_IbLb0EEEEDaST_SU_EUlST_E_NS1_11comp_targetILNS1_3genE8ELNS1_11target_archE1030ELNS1_3gpuE2ELNS1_3repE0EEENS1_30default_config_static_selectorELNS0_4arch9wavefront6targetE0EEEvT1_ ; -- Begin function _ZN7rocprim17ROCPRIM_400000_NS6detail17trampoline_kernelINS0_14default_configENS1_27scan_by_key_config_selectorIxxEEZZNS1_16scan_by_key_implILNS1_25lookback_scan_determinismE0ELb0ES3_N6thrust23THRUST_200600_302600_NS6detail15normal_iteratorINS9_10device_ptrIxEEEESE_SE_xNS9_4plusIxEE19head_flag_predicatexEE10hipError_tPvRmT2_T3_T4_T5_mT6_T7_P12ihipStream_tbENKUlT_T0_E_clISt17integral_constantIbLb1EESX_IbLb0EEEEDaST_SU_EUlST_E_NS1_11comp_targetILNS1_3genE8ELNS1_11target_archE1030ELNS1_3gpuE2ELNS1_3repE0EEENS1_30default_config_static_selectorELNS0_4arch9wavefront6targetE0EEEvT1_
	.globl	_ZN7rocprim17ROCPRIM_400000_NS6detail17trampoline_kernelINS0_14default_configENS1_27scan_by_key_config_selectorIxxEEZZNS1_16scan_by_key_implILNS1_25lookback_scan_determinismE0ELb0ES3_N6thrust23THRUST_200600_302600_NS6detail15normal_iteratorINS9_10device_ptrIxEEEESE_SE_xNS9_4plusIxEE19head_flag_predicatexEE10hipError_tPvRmT2_T3_T4_T5_mT6_T7_P12ihipStream_tbENKUlT_T0_E_clISt17integral_constantIbLb1EESX_IbLb0EEEEDaST_SU_EUlST_E_NS1_11comp_targetILNS1_3genE8ELNS1_11target_archE1030ELNS1_3gpuE2ELNS1_3repE0EEENS1_30default_config_static_selectorELNS0_4arch9wavefront6targetE0EEEvT1_
	.p2align	8
	.type	_ZN7rocprim17ROCPRIM_400000_NS6detail17trampoline_kernelINS0_14default_configENS1_27scan_by_key_config_selectorIxxEEZZNS1_16scan_by_key_implILNS1_25lookback_scan_determinismE0ELb0ES3_N6thrust23THRUST_200600_302600_NS6detail15normal_iteratorINS9_10device_ptrIxEEEESE_SE_xNS9_4plusIxEE19head_flag_predicatexEE10hipError_tPvRmT2_T3_T4_T5_mT6_T7_P12ihipStream_tbENKUlT_T0_E_clISt17integral_constantIbLb1EESX_IbLb0EEEEDaST_SU_EUlST_E_NS1_11comp_targetILNS1_3genE8ELNS1_11target_archE1030ELNS1_3gpuE2ELNS1_3repE0EEENS1_30default_config_static_selectorELNS0_4arch9wavefront6targetE0EEEvT1_,@function
_ZN7rocprim17ROCPRIM_400000_NS6detail17trampoline_kernelINS0_14default_configENS1_27scan_by_key_config_selectorIxxEEZZNS1_16scan_by_key_implILNS1_25lookback_scan_determinismE0ELb0ES3_N6thrust23THRUST_200600_302600_NS6detail15normal_iteratorINS9_10device_ptrIxEEEESE_SE_xNS9_4plusIxEE19head_flag_predicatexEE10hipError_tPvRmT2_T3_T4_T5_mT6_T7_P12ihipStream_tbENKUlT_T0_E_clISt17integral_constantIbLb1EESX_IbLb0EEEEDaST_SU_EUlST_E_NS1_11comp_targetILNS1_3genE8ELNS1_11target_archE1030ELNS1_3gpuE2ELNS1_3repE0EEENS1_30default_config_static_selectorELNS0_4arch9wavefront6targetE0EEEvT1_: ; @_ZN7rocprim17ROCPRIM_400000_NS6detail17trampoline_kernelINS0_14default_configENS1_27scan_by_key_config_selectorIxxEEZZNS1_16scan_by_key_implILNS1_25lookback_scan_determinismE0ELb0ES3_N6thrust23THRUST_200600_302600_NS6detail15normal_iteratorINS9_10device_ptrIxEEEESE_SE_xNS9_4plusIxEE19head_flag_predicatexEE10hipError_tPvRmT2_T3_T4_T5_mT6_T7_P12ihipStream_tbENKUlT_T0_E_clISt17integral_constantIbLb1EESX_IbLb0EEEEDaST_SU_EUlST_E_NS1_11comp_targetILNS1_3genE8ELNS1_11target_archE1030ELNS1_3gpuE2ELNS1_3repE0EEENS1_30default_config_static_selectorELNS0_4arch9wavefront6targetE0EEEvT1_
; %bb.0:
	.section	.rodata,"a",@progbits
	.p2align	6, 0x0
	.amdhsa_kernel _ZN7rocprim17ROCPRIM_400000_NS6detail17trampoline_kernelINS0_14default_configENS1_27scan_by_key_config_selectorIxxEEZZNS1_16scan_by_key_implILNS1_25lookback_scan_determinismE0ELb0ES3_N6thrust23THRUST_200600_302600_NS6detail15normal_iteratorINS9_10device_ptrIxEEEESE_SE_xNS9_4plusIxEE19head_flag_predicatexEE10hipError_tPvRmT2_T3_T4_T5_mT6_T7_P12ihipStream_tbENKUlT_T0_E_clISt17integral_constantIbLb1EESX_IbLb0EEEEDaST_SU_EUlST_E_NS1_11comp_targetILNS1_3genE8ELNS1_11target_archE1030ELNS1_3gpuE2ELNS1_3repE0EEENS1_30default_config_static_selectorELNS0_4arch9wavefront6targetE0EEEvT1_
		.amdhsa_group_segment_fixed_size 0
		.amdhsa_private_segment_fixed_size 0
		.amdhsa_kernarg_size 136
		.amdhsa_user_sgpr_count 2
		.amdhsa_user_sgpr_dispatch_ptr 0
		.amdhsa_user_sgpr_queue_ptr 0
		.amdhsa_user_sgpr_kernarg_segment_ptr 1
		.amdhsa_user_sgpr_dispatch_id 0
		.amdhsa_user_sgpr_kernarg_preload_length 0
		.amdhsa_user_sgpr_kernarg_preload_offset 0
		.amdhsa_user_sgpr_private_segment_size 0
		.amdhsa_wavefront_size32 1
		.amdhsa_uses_dynamic_stack 0
		.amdhsa_enable_private_segment 0
		.amdhsa_system_sgpr_workgroup_id_x 1
		.amdhsa_system_sgpr_workgroup_id_y 0
		.amdhsa_system_sgpr_workgroup_id_z 0
		.amdhsa_system_sgpr_workgroup_info 0
		.amdhsa_system_vgpr_workitem_id 0
		.amdhsa_next_free_vgpr 1
		.amdhsa_next_free_sgpr 1
		.amdhsa_named_barrier_count 0
		.amdhsa_reserve_vcc 0
		.amdhsa_float_round_mode_32 0
		.amdhsa_float_round_mode_16_64 0
		.amdhsa_float_denorm_mode_32 3
		.amdhsa_float_denorm_mode_16_64 3
		.amdhsa_fp16_overflow 0
		.amdhsa_memory_ordered 1
		.amdhsa_forward_progress 1
		.amdhsa_inst_pref_size 0
		.amdhsa_round_robin_scheduling 0
		.amdhsa_exception_fp_ieee_invalid_op 0
		.amdhsa_exception_fp_denorm_src 0
		.amdhsa_exception_fp_ieee_div_zero 0
		.amdhsa_exception_fp_ieee_overflow 0
		.amdhsa_exception_fp_ieee_underflow 0
		.amdhsa_exception_fp_ieee_inexact 0
		.amdhsa_exception_int_div_zero 0
	.end_amdhsa_kernel
	.section	.text._ZN7rocprim17ROCPRIM_400000_NS6detail17trampoline_kernelINS0_14default_configENS1_27scan_by_key_config_selectorIxxEEZZNS1_16scan_by_key_implILNS1_25lookback_scan_determinismE0ELb0ES3_N6thrust23THRUST_200600_302600_NS6detail15normal_iteratorINS9_10device_ptrIxEEEESE_SE_xNS9_4plusIxEE19head_flag_predicatexEE10hipError_tPvRmT2_T3_T4_T5_mT6_T7_P12ihipStream_tbENKUlT_T0_E_clISt17integral_constantIbLb1EESX_IbLb0EEEEDaST_SU_EUlST_E_NS1_11comp_targetILNS1_3genE8ELNS1_11target_archE1030ELNS1_3gpuE2ELNS1_3repE0EEENS1_30default_config_static_selectorELNS0_4arch9wavefront6targetE0EEEvT1_,"axG",@progbits,_ZN7rocprim17ROCPRIM_400000_NS6detail17trampoline_kernelINS0_14default_configENS1_27scan_by_key_config_selectorIxxEEZZNS1_16scan_by_key_implILNS1_25lookback_scan_determinismE0ELb0ES3_N6thrust23THRUST_200600_302600_NS6detail15normal_iteratorINS9_10device_ptrIxEEEESE_SE_xNS9_4plusIxEE19head_flag_predicatexEE10hipError_tPvRmT2_T3_T4_T5_mT6_T7_P12ihipStream_tbENKUlT_T0_E_clISt17integral_constantIbLb1EESX_IbLb0EEEEDaST_SU_EUlST_E_NS1_11comp_targetILNS1_3genE8ELNS1_11target_archE1030ELNS1_3gpuE2ELNS1_3repE0EEENS1_30default_config_static_selectorELNS0_4arch9wavefront6targetE0EEEvT1_,comdat
.Lfunc_end703:
	.size	_ZN7rocprim17ROCPRIM_400000_NS6detail17trampoline_kernelINS0_14default_configENS1_27scan_by_key_config_selectorIxxEEZZNS1_16scan_by_key_implILNS1_25lookback_scan_determinismE0ELb0ES3_N6thrust23THRUST_200600_302600_NS6detail15normal_iteratorINS9_10device_ptrIxEEEESE_SE_xNS9_4plusIxEE19head_flag_predicatexEE10hipError_tPvRmT2_T3_T4_T5_mT6_T7_P12ihipStream_tbENKUlT_T0_E_clISt17integral_constantIbLb1EESX_IbLb0EEEEDaST_SU_EUlST_E_NS1_11comp_targetILNS1_3genE8ELNS1_11target_archE1030ELNS1_3gpuE2ELNS1_3repE0EEENS1_30default_config_static_selectorELNS0_4arch9wavefront6targetE0EEEvT1_, .Lfunc_end703-_ZN7rocprim17ROCPRIM_400000_NS6detail17trampoline_kernelINS0_14default_configENS1_27scan_by_key_config_selectorIxxEEZZNS1_16scan_by_key_implILNS1_25lookback_scan_determinismE0ELb0ES3_N6thrust23THRUST_200600_302600_NS6detail15normal_iteratorINS9_10device_ptrIxEEEESE_SE_xNS9_4plusIxEE19head_flag_predicatexEE10hipError_tPvRmT2_T3_T4_T5_mT6_T7_P12ihipStream_tbENKUlT_T0_E_clISt17integral_constantIbLb1EESX_IbLb0EEEEDaST_SU_EUlST_E_NS1_11comp_targetILNS1_3genE8ELNS1_11target_archE1030ELNS1_3gpuE2ELNS1_3repE0EEENS1_30default_config_static_selectorELNS0_4arch9wavefront6targetE0EEEvT1_
                                        ; -- End function
	.set _ZN7rocprim17ROCPRIM_400000_NS6detail17trampoline_kernelINS0_14default_configENS1_27scan_by_key_config_selectorIxxEEZZNS1_16scan_by_key_implILNS1_25lookback_scan_determinismE0ELb0ES3_N6thrust23THRUST_200600_302600_NS6detail15normal_iteratorINS9_10device_ptrIxEEEESE_SE_xNS9_4plusIxEE19head_flag_predicatexEE10hipError_tPvRmT2_T3_T4_T5_mT6_T7_P12ihipStream_tbENKUlT_T0_E_clISt17integral_constantIbLb1EESX_IbLb0EEEEDaST_SU_EUlST_E_NS1_11comp_targetILNS1_3genE8ELNS1_11target_archE1030ELNS1_3gpuE2ELNS1_3repE0EEENS1_30default_config_static_selectorELNS0_4arch9wavefront6targetE0EEEvT1_.num_vgpr, 0
	.set _ZN7rocprim17ROCPRIM_400000_NS6detail17trampoline_kernelINS0_14default_configENS1_27scan_by_key_config_selectorIxxEEZZNS1_16scan_by_key_implILNS1_25lookback_scan_determinismE0ELb0ES3_N6thrust23THRUST_200600_302600_NS6detail15normal_iteratorINS9_10device_ptrIxEEEESE_SE_xNS9_4plusIxEE19head_flag_predicatexEE10hipError_tPvRmT2_T3_T4_T5_mT6_T7_P12ihipStream_tbENKUlT_T0_E_clISt17integral_constantIbLb1EESX_IbLb0EEEEDaST_SU_EUlST_E_NS1_11comp_targetILNS1_3genE8ELNS1_11target_archE1030ELNS1_3gpuE2ELNS1_3repE0EEENS1_30default_config_static_selectorELNS0_4arch9wavefront6targetE0EEEvT1_.num_agpr, 0
	.set _ZN7rocprim17ROCPRIM_400000_NS6detail17trampoline_kernelINS0_14default_configENS1_27scan_by_key_config_selectorIxxEEZZNS1_16scan_by_key_implILNS1_25lookback_scan_determinismE0ELb0ES3_N6thrust23THRUST_200600_302600_NS6detail15normal_iteratorINS9_10device_ptrIxEEEESE_SE_xNS9_4plusIxEE19head_flag_predicatexEE10hipError_tPvRmT2_T3_T4_T5_mT6_T7_P12ihipStream_tbENKUlT_T0_E_clISt17integral_constantIbLb1EESX_IbLb0EEEEDaST_SU_EUlST_E_NS1_11comp_targetILNS1_3genE8ELNS1_11target_archE1030ELNS1_3gpuE2ELNS1_3repE0EEENS1_30default_config_static_selectorELNS0_4arch9wavefront6targetE0EEEvT1_.numbered_sgpr, 0
	.set _ZN7rocprim17ROCPRIM_400000_NS6detail17trampoline_kernelINS0_14default_configENS1_27scan_by_key_config_selectorIxxEEZZNS1_16scan_by_key_implILNS1_25lookback_scan_determinismE0ELb0ES3_N6thrust23THRUST_200600_302600_NS6detail15normal_iteratorINS9_10device_ptrIxEEEESE_SE_xNS9_4plusIxEE19head_flag_predicatexEE10hipError_tPvRmT2_T3_T4_T5_mT6_T7_P12ihipStream_tbENKUlT_T0_E_clISt17integral_constantIbLb1EESX_IbLb0EEEEDaST_SU_EUlST_E_NS1_11comp_targetILNS1_3genE8ELNS1_11target_archE1030ELNS1_3gpuE2ELNS1_3repE0EEENS1_30default_config_static_selectorELNS0_4arch9wavefront6targetE0EEEvT1_.num_named_barrier, 0
	.set _ZN7rocprim17ROCPRIM_400000_NS6detail17trampoline_kernelINS0_14default_configENS1_27scan_by_key_config_selectorIxxEEZZNS1_16scan_by_key_implILNS1_25lookback_scan_determinismE0ELb0ES3_N6thrust23THRUST_200600_302600_NS6detail15normal_iteratorINS9_10device_ptrIxEEEESE_SE_xNS9_4plusIxEE19head_flag_predicatexEE10hipError_tPvRmT2_T3_T4_T5_mT6_T7_P12ihipStream_tbENKUlT_T0_E_clISt17integral_constantIbLb1EESX_IbLb0EEEEDaST_SU_EUlST_E_NS1_11comp_targetILNS1_3genE8ELNS1_11target_archE1030ELNS1_3gpuE2ELNS1_3repE0EEENS1_30default_config_static_selectorELNS0_4arch9wavefront6targetE0EEEvT1_.private_seg_size, 0
	.set _ZN7rocprim17ROCPRIM_400000_NS6detail17trampoline_kernelINS0_14default_configENS1_27scan_by_key_config_selectorIxxEEZZNS1_16scan_by_key_implILNS1_25lookback_scan_determinismE0ELb0ES3_N6thrust23THRUST_200600_302600_NS6detail15normal_iteratorINS9_10device_ptrIxEEEESE_SE_xNS9_4plusIxEE19head_flag_predicatexEE10hipError_tPvRmT2_T3_T4_T5_mT6_T7_P12ihipStream_tbENKUlT_T0_E_clISt17integral_constantIbLb1EESX_IbLb0EEEEDaST_SU_EUlST_E_NS1_11comp_targetILNS1_3genE8ELNS1_11target_archE1030ELNS1_3gpuE2ELNS1_3repE0EEENS1_30default_config_static_selectorELNS0_4arch9wavefront6targetE0EEEvT1_.uses_vcc, 0
	.set _ZN7rocprim17ROCPRIM_400000_NS6detail17trampoline_kernelINS0_14default_configENS1_27scan_by_key_config_selectorIxxEEZZNS1_16scan_by_key_implILNS1_25lookback_scan_determinismE0ELb0ES3_N6thrust23THRUST_200600_302600_NS6detail15normal_iteratorINS9_10device_ptrIxEEEESE_SE_xNS9_4plusIxEE19head_flag_predicatexEE10hipError_tPvRmT2_T3_T4_T5_mT6_T7_P12ihipStream_tbENKUlT_T0_E_clISt17integral_constantIbLb1EESX_IbLb0EEEEDaST_SU_EUlST_E_NS1_11comp_targetILNS1_3genE8ELNS1_11target_archE1030ELNS1_3gpuE2ELNS1_3repE0EEENS1_30default_config_static_selectorELNS0_4arch9wavefront6targetE0EEEvT1_.uses_flat_scratch, 0
	.set _ZN7rocprim17ROCPRIM_400000_NS6detail17trampoline_kernelINS0_14default_configENS1_27scan_by_key_config_selectorIxxEEZZNS1_16scan_by_key_implILNS1_25lookback_scan_determinismE0ELb0ES3_N6thrust23THRUST_200600_302600_NS6detail15normal_iteratorINS9_10device_ptrIxEEEESE_SE_xNS9_4plusIxEE19head_flag_predicatexEE10hipError_tPvRmT2_T3_T4_T5_mT6_T7_P12ihipStream_tbENKUlT_T0_E_clISt17integral_constantIbLb1EESX_IbLb0EEEEDaST_SU_EUlST_E_NS1_11comp_targetILNS1_3genE8ELNS1_11target_archE1030ELNS1_3gpuE2ELNS1_3repE0EEENS1_30default_config_static_selectorELNS0_4arch9wavefront6targetE0EEEvT1_.has_dyn_sized_stack, 0
	.set _ZN7rocprim17ROCPRIM_400000_NS6detail17trampoline_kernelINS0_14default_configENS1_27scan_by_key_config_selectorIxxEEZZNS1_16scan_by_key_implILNS1_25lookback_scan_determinismE0ELb0ES3_N6thrust23THRUST_200600_302600_NS6detail15normal_iteratorINS9_10device_ptrIxEEEESE_SE_xNS9_4plusIxEE19head_flag_predicatexEE10hipError_tPvRmT2_T3_T4_T5_mT6_T7_P12ihipStream_tbENKUlT_T0_E_clISt17integral_constantIbLb1EESX_IbLb0EEEEDaST_SU_EUlST_E_NS1_11comp_targetILNS1_3genE8ELNS1_11target_archE1030ELNS1_3gpuE2ELNS1_3repE0EEENS1_30default_config_static_selectorELNS0_4arch9wavefront6targetE0EEEvT1_.has_recursion, 0
	.set _ZN7rocprim17ROCPRIM_400000_NS6detail17trampoline_kernelINS0_14default_configENS1_27scan_by_key_config_selectorIxxEEZZNS1_16scan_by_key_implILNS1_25lookback_scan_determinismE0ELb0ES3_N6thrust23THRUST_200600_302600_NS6detail15normal_iteratorINS9_10device_ptrIxEEEESE_SE_xNS9_4plusIxEE19head_flag_predicatexEE10hipError_tPvRmT2_T3_T4_T5_mT6_T7_P12ihipStream_tbENKUlT_T0_E_clISt17integral_constantIbLb1EESX_IbLb0EEEEDaST_SU_EUlST_E_NS1_11comp_targetILNS1_3genE8ELNS1_11target_archE1030ELNS1_3gpuE2ELNS1_3repE0EEENS1_30default_config_static_selectorELNS0_4arch9wavefront6targetE0EEEvT1_.has_indirect_call, 0
	.section	.AMDGPU.csdata,"",@progbits
; Kernel info:
; codeLenInByte = 0
; TotalNumSgprs: 0
; NumVgprs: 0
; ScratchSize: 0
; MemoryBound: 0
; FloatMode: 240
; IeeeMode: 1
; LDSByteSize: 0 bytes/workgroup (compile time only)
; SGPRBlocks: 0
; VGPRBlocks: 0
; NumSGPRsForWavesPerEU: 1
; NumVGPRsForWavesPerEU: 1
; NamedBarCnt: 0
; Occupancy: 16
; WaveLimiterHint : 0
; COMPUTE_PGM_RSRC2:SCRATCH_EN: 0
; COMPUTE_PGM_RSRC2:USER_SGPR: 2
; COMPUTE_PGM_RSRC2:TRAP_HANDLER: 0
; COMPUTE_PGM_RSRC2:TGID_X_EN: 1
; COMPUTE_PGM_RSRC2:TGID_Y_EN: 0
; COMPUTE_PGM_RSRC2:TGID_Z_EN: 0
; COMPUTE_PGM_RSRC2:TIDIG_COMP_CNT: 0
	.section	.text._ZN7rocprim17ROCPRIM_400000_NS6detail17trampoline_kernelINS0_14default_configENS1_27scan_by_key_config_selectorIxxEEZZNS1_16scan_by_key_implILNS1_25lookback_scan_determinismE0ELb0ES3_N6thrust23THRUST_200600_302600_NS6detail15normal_iteratorINS9_10device_ptrIxEEEESE_SE_xNS9_4plusIxEE19head_flag_predicatexEE10hipError_tPvRmT2_T3_T4_T5_mT6_T7_P12ihipStream_tbENKUlT_T0_E_clISt17integral_constantIbLb0EESX_IbLb1EEEEDaST_SU_EUlST_E_NS1_11comp_targetILNS1_3genE0ELNS1_11target_archE4294967295ELNS1_3gpuE0ELNS1_3repE0EEENS1_30default_config_static_selectorELNS0_4arch9wavefront6targetE0EEEvT1_,"axG",@progbits,_ZN7rocprim17ROCPRIM_400000_NS6detail17trampoline_kernelINS0_14default_configENS1_27scan_by_key_config_selectorIxxEEZZNS1_16scan_by_key_implILNS1_25lookback_scan_determinismE0ELb0ES3_N6thrust23THRUST_200600_302600_NS6detail15normal_iteratorINS9_10device_ptrIxEEEESE_SE_xNS9_4plusIxEE19head_flag_predicatexEE10hipError_tPvRmT2_T3_T4_T5_mT6_T7_P12ihipStream_tbENKUlT_T0_E_clISt17integral_constantIbLb0EESX_IbLb1EEEEDaST_SU_EUlST_E_NS1_11comp_targetILNS1_3genE0ELNS1_11target_archE4294967295ELNS1_3gpuE0ELNS1_3repE0EEENS1_30default_config_static_selectorELNS0_4arch9wavefront6targetE0EEEvT1_,comdat
	.protected	_ZN7rocprim17ROCPRIM_400000_NS6detail17trampoline_kernelINS0_14default_configENS1_27scan_by_key_config_selectorIxxEEZZNS1_16scan_by_key_implILNS1_25lookback_scan_determinismE0ELb0ES3_N6thrust23THRUST_200600_302600_NS6detail15normal_iteratorINS9_10device_ptrIxEEEESE_SE_xNS9_4plusIxEE19head_flag_predicatexEE10hipError_tPvRmT2_T3_T4_T5_mT6_T7_P12ihipStream_tbENKUlT_T0_E_clISt17integral_constantIbLb0EESX_IbLb1EEEEDaST_SU_EUlST_E_NS1_11comp_targetILNS1_3genE0ELNS1_11target_archE4294967295ELNS1_3gpuE0ELNS1_3repE0EEENS1_30default_config_static_selectorELNS0_4arch9wavefront6targetE0EEEvT1_ ; -- Begin function _ZN7rocprim17ROCPRIM_400000_NS6detail17trampoline_kernelINS0_14default_configENS1_27scan_by_key_config_selectorIxxEEZZNS1_16scan_by_key_implILNS1_25lookback_scan_determinismE0ELb0ES3_N6thrust23THRUST_200600_302600_NS6detail15normal_iteratorINS9_10device_ptrIxEEEESE_SE_xNS9_4plusIxEE19head_flag_predicatexEE10hipError_tPvRmT2_T3_T4_T5_mT6_T7_P12ihipStream_tbENKUlT_T0_E_clISt17integral_constantIbLb0EESX_IbLb1EEEEDaST_SU_EUlST_E_NS1_11comp_targetILNS1_3genE0ELNS1_11target_archE4294967295ELNS1_3gpuE0ELNS1_3repE0EEENS1_30default_config_static_selectorELNS0_4arch9wavefront6targetE0EEEvT1_
	.globl	_ZN7rocprim17ROCPRIM_400000_NS6detail17trampoline_kernelINS0_14default_configENS1_27scan_by_key_config_selectorIxxEEZZNS1_16scan_by_key_implILNS1_25lookback_scan_determinismE0ELb0ES3_N6thrust23THRUST_200600_302600_NS6detail15normal_iteratorINS9_10device_ptrIxEEEESE_SE_xNS9_4plusIxEE19head_flag_predicatexEE10hipError_tPvRmT2_T3_T4_T5_mT6_T7_P12ihipStream_tbENKUlT_T0_E_clISt17integral_constantIbLb0EESX_IbLb1EEEEDaST_SU_EUlST_E_NS1_11comp_targetILNS1_3genE0ELNS1_11target_archE4294967295ELNS1_3gpuE0ELNS1_3repE0EEENS1_30default_config_static_selectorELNS0_4arch9wavefront6targetE0EEEvT1_
	.p2align	8
	.type	_ZN7rocprim17ROCPRIM_400000_NS6detail17trampoline_kernelINS0_14default_configENS1_27scan_by_key_config_selectorIxxEEZZNS1_16scan_by_key_implILNS1_25lookback_scan_determinismE0ELb0ES3_N6thrust23THRUST_200600_302600_NS6detail15normal_iteratorINS9_10device_ptrIxEEEESE_SE_xNS9_4plusIxEE19head_flag_predicatexEE10hipError_tPvRmT2_T3_T4_T5_mT6_T7_P12ihipStream_tbENKUlT_T0_E_clISt17integral_constantIbLb0EESX_IbLb1EEEEDaST_SU_EUlST_E_NS1_11comp_targetILNS1_3genE0ELNS1_11target_archE4294967295ELNS1_3gpuE0ELNS1_3repE0EEENS1_30default_config_static_selectorELNS0_4arch9wavefront6targetE0EEEvT1_,@function
_ZN7rocprim17ROCPRIM_400000_NS6detail17trampoline_kernelINS0_14default_configENS1_27scan_by_key_config_selectorIxxEEZZNS1_16scan_by_key_implILNS1_25lookback_scan_determinismE0ELb0ES3_N6thrust23THRUST_200600_302600_NS6detail15normal_iteratorINS9_10device_ptrIxEEEESE_SE_xNS9_4plusIxEE19head_flag_predicatexEE10hipError_tPvRmT2_T3_T4_T5_mT6_T7_P12ihipStream_tbENKUlT_T0_E_clISt17integral_constantIbLb0EESX_IbLb1EEEEDaST_SU_EUlST_E_NS1_11comp_targetILNS1_3genE0ELNS1_11target_archE4294967295ELNS1_3gpuE0ELNS1_3repE0EEENS1_30default_config_static_selectorELNS0_4arch9wavefront6targetE0EEEvT1_: ; @_ZN7rocprim17ROCPRIM_400000_NS6detail17trampoline_kernelINS0_14default_configENS1_27scan_by_key_config_selectorIxxEEZZNS1_16scan_by_key_implILNS1_25lookback_scan_determinismE0ELb0ES3_N6thrust23THRUST_200600_302600_NS6detail15normal_iteratorINS9_10device_ptrIxEEEESE_SE_xNS9_4plusIxEE19head_flag_predicatexEE10hipError_tPvRmT2_T3_T4_T5_mT6_T7_P12ihipStream_tbENKUlT_T0_E_clISt17integral_constantIbLb0EESX_IbLb1EEEEDaST_SU_EUlST_E_NS1_11comp_targetILNS1_3genE0ELNS1_11target_archE4294967295ELNS1_3gpuE0ELNS1_3repE0EEENS1_30default_config_static_selectorELNS0_4arch9wavefront6targetE0EEEvT1_
; %bb.0:
	s_clause 0x1
	s_load_b256 s[36:43], s[0:1], 0x30
	s_load_b64 s[44:45], s[0:1], 0x50
	v_cmp_ne_u32_e64 s3, 0, v0
	v_cmp_eq_u32_e64 s2, 0, v0
	s_and_saveexec_b32 s4, s2
	s_cbranch_execz .LBB704_4
; %bb.1:
	s_mov_b32 s6, exec_lo
	s_mov_b32 s5, exec_lo
	v_mbcnt_lo_u32_b32 v1, s6, 0
                                        ; implicit-def: $vgpr2
	s_delay_alu instid0(VALU_DEP_1)
	v_cmpx_eq_u32_e32 0, v1
	s_cbranch_execz .LBB704_3
; %bb.2:
	s_load_b64 s[8:9], s[0:1], 0x80
	s_bcnt1_i32_b32 s6, s6
	s_delay_alu instid0(SALU_CYCLE_1)
	v_dual_mov_b32 v2, 0 :: v_dual_mov_b32 v3, s6
	s_wait_xcnt 0x0
	s_wait_kmcnt 0x0
	global_atomic_add_u32 v2, v2, v3, s[8:9] th:TH_ATOMIC_RETURN scope:SCOPE_DEV
.LBB704_3:
	s_wait_xcnt 0x0
	s_or_b32 exec_lo, exec_lo, s5
	s_wait_loadcnt 0x0
	v_readfirstlane_b32 s5, v2
	s_delay_alu instid0(VALU_DEP_1)
	v_dual_mov_b32 v2, 0 :: v_dual_add_nc_u32 v1, s5, v1
	ds_store_b32 v2, v1
.LBB704_4:
	s_or_b32 exec_lo, exec_lo, s4
	v_mov_b32_e32 v3, 0
	s_clause 0x2
	s_load_b256 s[20:27], s[0:1], 0x0
	s_load_b32 s4, s[0:1], 0x58
	s_load_b128 s[28:31], s[0:1], 0x60
	s_wait_dscnt 0x0
	s_barrier_signal -1
	s_barrier_wait -1
	ds_load_b32 v2, v3
	s_mov_b32 s5, 0
	s_wait_dscnt 0x0
	s_barrier_signal -1
	s_barrier_wait -1
	s_barrier_signal -1
	s_barrier_wait -1
	s_wait_kmcnt 0x0
	s_lshl_b64 s[34:35], s[22:23], 3
	s_mul_u64 s[0:1], s[44:45], s[4:5]
	s_add_nc_u64 s[10:11], s[28:29], -1
	s_add_nc_u64 s[6:7], s[20:21], s[34:35]
	s_add_nc_u64 s[8:9], s[24:25], s[34:35]
	s_mul_i32 s25, s10, 0xfffff200
	v_add_nc_u64_e32 v[4:5], s[0:1], v[2:3]
	v_readfirstlane_b32 s33, v2
	s_mul_i32 s4, s33, 0xe00
	v_cmp_le_u64_e64 s0, s[10:11], v[4:5]
	s_lshl_b64 s[28:29], s[4:5], 3
	s_delay_alu instid0(SALU_CYCLE_1)
	s_add_nc_u64 s[18:19], s[6:7], s[28:29]
	s_add_nc_u64 s[16:17], s[8:9], s[28:29]
	s_and_b32 vcc_lo, exec_lo, s0
	s_cbranch_vccz .LBB704_76
; %bb.5:
	flat_load_b64 v[2:3], v3, s[18:19]
	s_add_co_i32 s23, s25, s42
	s_delay_alu instid0(SALU_CYCLE_1)
	v_cmp_gt_u32_e32 vcc_lo, s23, v0
	s_wait_loadcnt_dscnt 0x0
	v_mov_b64_e32 v[4:5], v[2:3]
	s_and_saveexec_b32 s1, vcc_lo
	s_cbranch_execz .LBB704_7
; %bb.6:
	flat_load_b64 v[4:5], v0, s[18:19] scale_offset
.LBB704_7:
	s_wait_xcnt 0x0
	s_or_b32 exec_lo, exec_lo, s1
	v_or_b32_e32 v1, 0x100, v0
	v_mov_b64_e32 v[6:7], v[2:3]
	s_delay_alu instid0(VALU_DEP_2)
	v_cmp_gt_u32_e64 s1, s23, v1
	s_and_saveexec_b32 s4, s1
	s_cbranch_execz .LBB704_9
; %bb.8:
	flat_load_b64 v[6:7], v0, s[18:19] offset:2048 scale_offset
.LBB704_9:
	s_wait_xcnt 0x0
	s_or_b32 exec_lo, exec_lo, s4
	v_or_b32_e32 v1, 0x200, v0
	v_mov_b64_e32 v[8:9], v[2:3]
	s_delay_alu instid0(VALU_DEP_2)
	v_cmp_gt_u32_e64 s4, s23, v1
	s_and_saveexec_b32 s5, s4
	s_cbranch_execz .LBB704_11
; %bb.10:
	flat_load_b64 v[8:9], v0, s[18:19] offset:4096 scale_offset
.LBB704_11:
	;; [unrolled: 11-line block ×12, first 2 shown]
	s_wait_xcnt 0x0
	s_or_b32 exec_lo, exec_lo, s15
	v_or_b32_e32 v1, 0xd00, v0
	s_delay_alu instid0(VALU_DEP_1)
	v_cmp_gt_u32_e64 s15, s23, v1
	s_and_saveexec_b32 s20, s15
	s_cbranch_execz .LBB704_33
; %bb.32:
	flat_load_b64 v[2:3], v0, s[18:19] offset:26624 scale_offset
.LBB704_33:
	s_wait_xcnt 0x0
	s_or_b32 exec_lo, exec_lo, s20
	v_lshlrev_b32_e32 v1, 3, v0
	s_wait_loadcnt_dscnt 0x0
	ds_store_2addr_stride64_b64 v1, v[4:5], v[6:7] offset1:4
	ds_store_2addr_stride64_b64 v1, v[8:9], v[10:11] offset0:8 offset1:12
	ds_store_2addr_stride64_b64 v1, v[12:13], v[14:15] offset0:16 offset1:20
	;; [unrolled: 1-line block ×6, first 2 shown]
	v_mad_u32_u24 v102, 0x68, v0, v1
	s_wait_dscnt 0x0
	s_barrier_signal -1
	s_barrier_wait -1
	ds_load_b128 v[30:33], v102 offset:96
	ds_load_b128 v[78:81], v102
	ds_load_b128 v[74:77], v102 offset:16
	ds_load_b128 v[70:73], v102 offset:32
	ds_load_b128 v[66:69], v102 offset:48
	ds_load_b128 v[62:65], v102 offset:64
	ds_load_b128 v[58:61], v102 offset:80
	v_mad_i32_i24 v2, 0xffffff98, v0, v102
	s_wait_dscnt 0x6
	ds_store_b64 v2, v[32:33] offset:28672
	s_wait_dscnt 0x0
	s_barrier_signal -1
	s_barrier_wait -1
	s_barrier_signal -1
	s_barrier_wait -1
                                        ; implicit-def: $vgpr2_vgpr3
	s_and_saveexec_b32 s20, vcc_lo
	s_cbranch_execz .LBB704_130
; %bb.34:
	flat_load_b64 v[2:3], v0, s[16:17] scale_offset
	s_wait_xcnt 0x0
	s_or_b32 exec_lo, exec_lo, s20
                                        ; implicit-def: $vgpr4_vgpr5
	s_and_saveexec_b32 s20, s1
	s_cbranch_execnz .LBB704_131
.LBB704_35:
	s_or_b32 exec_lo, exec_lo, s20
                                        ; implicit-def: $vgpr6_vgpr7
	s_and_saveexec_b32 s1, s4
	s_cbranch_execz .LBB704_132
.LBB704_36:
	flat_load_b64 v[6:7], v0, s[16:17] offset:4096 scale_offset
	s_wait_xcnt 0x0
	s_or_b32 exec_lo, exec_lo, s1
                                        ; implicit-def: $vgpr8_vgpr9
	s_and_saveexec_b32 s1, s5
	s_cbranch_execnz .LBB704_133
.LBB704_37:
	s_or_b32 exec_lo, exec_lo, s1
                                        ; implicit-def: $vgpr10_vgpr11
	s_and_saveexec_b32 s1, s6
	s_cbranch_execz .LBB704_134
.LBB704_38:
	flat_load_b64 v[10:11], v0, s[16:17] offset:8192 scale_offset
	s_wait_xcnt 0x0
	s_or_b32 exec_lo, exec_lo, s1
                                        ; implicit-def: $vgpr12_vgpr13
	s_and_saveexec_b32 s1, s7
	s_cbranch_execnz .LBB704_135
.LBB704_39:
	s_or_b32 exec_lo, exec_lo, s1
                                        ; implicit-def: $vgpr14_vgpr15
	s_and_saveexec_b32 s1, s8
	s_cbranch_execz .LBB704_136
.LBB704_40:
	flat_load_b64 v[14:15], v0, s[16:17] offset:12288 scale_offset
	s_wait_xcnt 0x0
	s_or_b32 exec_lo, exec_lo, s1
                                        ; implicit-def: $vgpr16_vgpr17
	s_and_saveexec_b32 s1, s9
	s_cbranch_execnz .LBB704_137
.LBB704_41:
	s_or_b32 exec_lo, exec_lo, s1
                                        ; implicit-def: $vgpr18_vgpr19
	s_and_saveexec_b32 s1, s10
	s_cbranch_execz .LBB704_138
.LBB704_42:
	flat_load_b64 v[18:19], v0, s[16:17] offset:16384 scale_offset
	s_wait_xcnt 0x0
	s_or_b32 exec_lo, exec_lo, s1
                                        ; implicit-def: $vgpr20_vgpr21
	s_and_saveexec_b32 s1, s11
	s_cbranch_execnz .LBB704_139
.LBB704_43:
	s_or_b32 exec_lo, exec_lo, s1
                                        ; implicit-def: $vgpr22_vgpr23
	s_and_saveexec_b32 s1, s12
	s_cbranch_execz .LBB704_140
.LBB704_44:
	flat_load_b64 v[22:23], v0, s[16:17] offset:20480 scale_offset
	s_wait_xcnt 0x0
	s_or_b32 exec_lo, exec_lo, s1
                                        ; implicit-def: $vgpr24_vgpr25
	s_and_saveexec_b32 s1, s13
	s_cbranch_execnz .LBB704_141
.LBB704_45:
	s_or_b32 exec_lo, exec_lo, s1
                                        ; implicit-def: $vgpr26_vgpr27
	s_and_saveexec_b32 s1, s14
	s_cbranch_execz .LBB704_47
.LBB704_46:
	flat_load_b64 v[26:27], v0, s[16:17] offset:24576 scale_offset
.LBB704_47:
	s_wait_xcnt 0x0
	s_or_b32 exec_lo, exec_lo, s1
	v_mul_u32_u24_e32 v104, 14, v0
                                        ; implicit-def: $vgpr28_vgpr29
	s_and_saveexec_b32 s1, s15
	s_cbranch_execz .LBB704_49
; %bb.48:
	flat_load_b64 v[28:29], v0, s[16:17] offset:26624 scale_offset
.LBB704_49:
	s_wait_xcnt 0x0
	s_or_b32 exec_lo, exec_lo, s1
	s_wait_loadcnt_dscnt 0x0
	ds_store_2addr_stride64_b64 v1, v[2:3], v[4:5] offset1:4
	ds_store_2addr_stride64_b64 v1, v[6:7], v[8:9] offset0:8 offset1:12
	ds_store_2addr_stride64_b64 v1, v[10:11], v[12:13] offset0:16 offset1:20
	;; [unrolled: 1-line block ×6, first 2 shown]
	v_mov_b64_e32 v[34:35], 0
	v_mov_b64_e32 v[6:7], 0
	;; [unrolled: 1-line block ×24, first 2 shown]
	v_cmp_gt_u32_e32 vcc_lo, s23, v104
	v_dual_mov_b32 v36, 0 :: v_dual_mov_b32 v37, 0
	v_dual_mov_b32 v44, 0 :: v_dual_mov_b32 v45, 0
	;; [unrolled: 1-line block ×12, first 2 shown]
	v_mov_b32_e32 v1, 0
	s_mov_b32 s20, 0
	s_mov_b32 s5, 0
	s_wait_dscnt 0x0
	s_barrier_signal -1
	s_barrier_wait -1
	s_and_saveexec_b32 s21, vcc_lo
	s_cbranch_execz .LBB704_75
; %bb.50:
	ds_load_b64 v[2:3], v102
	v_dual_mov_b32 v36, 0 :: v_dual_bitop2_b32 v1, 1, v104 bitop3:0x54
	v_mov_b64_e32 v[34:35], 0
	v_mov_b64_e32 v[6:7], 0
	;; [unrolled: 1-line block ×23, first 2 shown]
	v_cmp_gt_u32_e64 s1, s23, v1
	v_dual_mov_b32 v37, 0 :: v_dual_mov_b32 v44, 0
	v_dual_mov_b32 v45, 0 :: v_dual_mov_b32 v92, 0
	;; [unrolled: 1-line block ×11, first 2 shown]
	s_mov_b32 s4, 0
	v_cmp_ne_u64_e32 vcc_lo, 0, v[78:79]
	s_and_saveexec_b32 s22, s1
	s_cbranch_execz .LBB704_74
; %bb.51:
	ds_load_2addr_b64 v[38:41], v102 offset0:1 offset1:2
	v_dual_mov_b32 v36, 0 :: v_dual_add_nc_u32 v1, 2, v104
	v_mov_b64_e32 v[34:35], 0
	v_cmp_ne_u64_e64 s1, 0, v[80:81]
	v_mov_b64_e32 v[6:7], 0
	v_mov_b64_e32 v[42:43], 0
	;; [unrolled: 1-line block ×20, first 2 shown]
	v_cmp_gt_u32_e64 s4, s23, v1
	v_dual_mov_b32 v37, 0 :: v_dual_mov_b32 v44, 0
	v_dual_mov_b32 v45, 0 :: v_dual_mov_b32 v92, 0
	;; [unrolled: 1-line block ×10, first 2 shown]
	s_and_saveexec_b32 s24, s4
	s_cbranch_execz .LBB704_73
; %bb.52:
	v_dual_mov_b32 v36, 0 :: v_dual_add_nc_u32 v1, 3, v104
	v_mov_b64_e32 v[34:35], 0
	v_cmp_ne_u64_e64 s4, 0, v[74:75]
	v_mov_b64_e32 v[6:7], 0
	v_mov_b64_e32 v[42:43], 0
	;; [unrolled: 1-line block ×18, first 2 shown]
	v_dual_mov_b32 v37, 0 :: v_dual_mov_b32 v44, 0
	v_cmp_gt_u32_e64 s5, s23, v1
	v_dual_mov_b32 v45, 0 :: v_dual_mov_b32 v92, 0
	v_dual_mov_b32 v96, 0 :: v_dual_mov_b32 v52, 0
	v_dual_mov_b32 v53, 0 :: v_dual_mov_b32 v48, 0
	v_dual_mov_b32 v91, 0 :: v_dual_mov_b32 v94, 0
	v_dual_mov_b32 v93, 0 :: v_dual_mov_b32 v95, 0
	v_dual_mov_b32 v97, 0 :: v_dual_mov_b32 v98, 0
	v_dual_mov_b32 v99, 0 :: v_dual_mov_b32 v100, 0
	v_dual_mov_b32 v101, 0 :: v_dual_mov_b32 v103, 0
	s_mov_b32 s6, 0
	s_and_saveexec_b32 s43, s5
	s_cbranch_execz .LBB704_72
; %bb.53:
	ds_load_2addr_b64 v[46:49], v102 offset0:3 offset1:4
	v_dual_mov_b32 v36, 0 :: v_dual_add_nc_u32 v1, 4, v104
	v_mov_b64_e32 v[34:35], 0
	v_cmp_ne_u64_e64 s5, 0, v[76:77]
	v_mov_b64_e32 v[6:7], 0
	v_mov_b64_e32 v[42:43], 0
	;; [unrolled: 1-line block ×16, first 2 shown]
	v_cmp_gt_u32_e64 s6, s23, v1
	v_dual_mov_b32 v37, 0 :: v_dual_mov_b32 v44, 0
	v_dual_mov_b32 v45, 0 :: v_dual_mov_b32 v92, 0
	;; [unrolled: 1-line block ×8, first 2 shown]
	s_mov_b32 s7, 0
	s_and_saveexec_b32 s46, s6
	s_cbranch_execz .LBB704_71
; %bb.54:
	v_dual_mov_b32 v36, 0 :: v_dual_add_nc_u32 v1, 5, v104
	v_mov_b64_e32 v[34:35], 0
	v_cmp_ne_u64_e64 s6, 0, v[70:71]
	v_mov_b64_e32 v[6:7], 0
	v_mov_b64_e32 v[42:43], 0
	;; [unrolled: 1-line block ×14, first 2 shown]
	v_dual_mov_b32 v37, 0 :: v_dual_mov_b32 v44, 0
	v_cmp_gt_u32_e64 s7, s23, v1
	v_dual_mov_b32 v45, 0 :: v_dual_mov_b32 v92, 0
	v_dual_mov_b32 v96, 0 :: v_dual_mov_b32 v52, 0
	;; [unrolled: 1-line block ×6, first 2 shown]
	s_mov_b32 s8, 0
	s_and_saveexec_b32 s47, s7
	s_cbranch_execz .LBB704_70
; %bb.55:
	ds_load_2addr_b64 v[50:53], v102 offset0:5 offset1:6
	v_dual_mov_b32 v36, 0 :: v_dual_add_nc_u32 v1, 6, v104
	v_mov_b64_e32 v[34:35], 0
	v_cmp_ne_u64_e64 s7, 0, v[72:73]
	v_mov_b64_e32 v[6:7], 0
	v_mov_b64_e32 v[42:43], 0
	;; [unrolled: 1-line block ×12, first 2 shown]
	v_cmp_gt_u32_e64 s8, s23, v1
	v_dual_mov_b32 v37, 0 :: v_dual_mov_b32 v44, 0
	v_dual_mov_b32 v45, 0 :: v_dual_mov_b32 v92, 0
	;; [unrolled: 1-line block ×6, first 2 shown]
	s_mov_b32 s9, 0
	s_and_saveexec_b32 s48, s8
	s_cbranch_execz .LBB704_69
; %bb.56:
	v_dual_mov_b32 v36, 0 :: v_dual_add_nc_u32 v1, 7, v104
	v_mov_b64_e32 v[34:35], 0
	v_cmp_ne_u64_e64 s8, 0, v[66:67]
	v_mov_b64_e32 v[6:7], 0
	v_mov_b64_e32 v[42:43], 0
	v_mov_b64_e32 v[10:11], 0
	v_mov_b64_e32 v[54:55], 0
	v_mov_b64_e32 v[14:15], 0
	v_mov_b64_e32 v[8:9], 0
	v_mov_b64_e32 v[82:83], 0
	v_mov_b64_e32 v[12:13], 0
	v_mov_b64_e32 v[84:85], 0
	v_mov_b64_e32 v[20:21], 0
	v_dual_mov_b32 v37, 0 :: v_dual_mov_b32 v44, 0
	v_cmp_gt_u32_e64 s9, s23, v1
	v_dual_mov_b32 v45, 0 :: v_dual_mov_b32 v92, 0
	v_dual_mov_b32 v91, 0 :: v_dual_mov_b32 v94, 0
	;; [unrolled: 1-line block ×4, first 2 shown]
	s_mov_b32 s10, 0
	s_and_saveexec_b32 s49, s9
	s_cbranch_execz .LBB704_68
; %bb.57:
	ds_load_2addr_b64 v[54:57], v102 offset0:7 offset1:8
	v_mov_b64_e32 v[34:35], 0
	v_cmp_ne_u64_e64 s9, 0, v[68:69]
	v_mov_b64_e32 v[6:7], 0
	v_mov_b64_e32 v[42:43], 0
	;; [unrolled: 1-line block ×8, first 2 shown]
	v_dual_mov_b32 v36, 0 :: v_dual_add_nc_u32 v1, 8, v104
	v_dual_mov_b32 v37, 0 :: v_dual_mov_b32 v44, 0
	v_dual_mov_b32 v45, 0 :: v_dual_mov_b32 v91, 0
	;; [unrolled: 1-line block ×4, first 2 shown]
	s_mov_b32 s11, 0
	s_mov_b32 s50, exec_lo
	v_cmpx_gt_u32_e64 s23, v1
	s_cbranch_execz .LBB704_67
; %bb.58:
	v_mov_b64_e32 v[34:35], 0
	v_cmp_ne_u64_e64 s10, 0, v[62:63]
	v_mov_b64_e32 v[6:7], 0
	v_mov_b64_e32 v[42:43], 0
	;; [unrolled: 1-line block ×6, first 2 shown]
	v_dual_mov_b32 v36, 0 :: v_dual_add_nc_u32 v1, 9, v104
	v_dual_mov_b32 v37, 0 :: v_dual_mov_b32 v44, 0
	v_dual_mov_b32 v91, 0 :: v_dual_mov_b32 v94, 0
	;; [unrolled: 1-line block ×3, first 2 shown]
	s_mov_b32 s12, 0
	s_mov_b32 s51, exec_lo
	v_cmpx_gt_u32_e64 s23, v1
	s_cbranch_execz .LBB704_66
; %bb.59:
	ds_load_2addr_b64 v[42:45], v102 offset0:9 offset1:10
	v_mov_b64_e32 v[34:35], 0
	v_cmp_ne_u64_e64 s11, 0, v[64:65]
	v_mov_b64_e32 v[6:7], 0
	v_mov_b64_e32 v[14:15], 0
	v_mov_b64_e32 v[8:9], 0
	v_mov_b64_e32 v[82:83], 0
	v_dual_mov_b32 v36, 0 :: v_dual_add_nc_u32 v1, 10, v104
	v_dual_mov_b32 v37, 0 :: v_dual_mov_b32 v91, 0
	v_mov_b32_e32 v93, 0
	s_mov_b32 s13, 0
	s_mov_b32 s52, exec_lo
	v_cmpx_gt_u32_e64 s23, v1
	s_cbranch_execz .LBB704_65
; %bb.60:
	v_mov_b64_e32 v[34:35], 0
	v_cmp_ne_u64_e64 s12, 0, v[58:59]
	v_mov_b64_e32 v[14:15], 0
	v_dual_mov_b32 v36, 0 :: v_dual_add_nc_u32 v1, 11, v104
	v_mov_b32_e32 v91, 0
	s_mov_b32 s14, 0
	s_mov_b32 s53, exec_lo
	s_delay_alu instid0(VALU_DEP_2)
	v_cmpx_gt_u32_e64 s23, v1
	s_cbranch_execz .LBB704_64
; %bb.61:
	ds_load_2addr_b64 v[34:37], v102 offset0:11 offset1:12
	v_mov_b64_e32 v[14:15], 0
	v_cmp_ne_u64_e64 s13, 0, v[60:61]
	v_dual_add_nc_u32 v1, 12, v104 :: v_dual_mov_b32 v91, 0
	s_mov_b32 s15, 0
	s_mov_b32 s54, exec_lo
	s_delay_alu instid0(VALU_DEP_1)
	v_cmpx_gt_u32_e64 s23, v1
	s_xor_b32 s54, exec_lo, s54
	s_cbranch_execz .LBB704_63
; %bb.62:
	ds_load_b64 v[16:17], v102 offset:104
	v_add_nc_u32_e32 v1, 13, v104
	v_cmp_ne_u64_e64 s15, 0, v[30:31]
	s_wait_dscnt 0x1
	v_mov_b64_e32 v[14:15], v[36:37]
	s_delay_alu instid0(VALU_DEP_3) | instskip(NEXT) | instid1(VALU_DEP_3)
	v_cmp_gt_u32_e64 s14, s23, v1
	v_cndmask_b32_e64 v91, 0, 1, s15
	s_and_b32 s15, s14, exec_lo
.LBB704_63:
	s_or_b32 exec_lo, exec_lo, s54
	s_wait_dscnt 0x0
	v_cndmask_b32_e64 v36, 0, 1, s13
	s_and_b32 s14, s15, exec_lo
.LBB704_64:
	s_or_b32 exec_lo, exec_lo, s53
	v_cndmask_b32_e64 v37, 0, 1, s12
	s_wait_dscnt 0x0
	v_mov_b64_e32 v[6:7], v[44:45]
	v_mov_b64_e32 v[8:9], v[34:35]
	;; [unrolled: 1-line block ×3, first 2 shown]
	s_and_b32 s13, s14, exec_lo
	v_mov_b32_e32 v93, v37
.LBB704_65:
	s_or_b32 exec_lo, exec_lo, s52
	s_wait_dscnt 0x0
	v_cndmask_b32_e64 v44, 0, 1, s11
	v_mov_b64_e32 v[12:13], v[42:43]
	v_mov_b32_e32 v94, v36
	s_and_b32 s12, s13, exec_lo
	s_delay_alu instid0(VALU_DEP_3)
	v_mov_b32_e32 v95, v44
.LBB704_66:
	s_or_b32 exec_lo, exec_lo, s51
	v_cndmask_b32_e64 v45, 0, 1, s10
	s_wait_dscnt 0x0
	v_mov_b64_e32 v[10:11], v[56:57]
	v_mov_b64_e32 v[84:85], v[56:57]
	s_and_b32 s11, s12, exec_lo
	v_mov_b32_e32 v97, v45
.LBB704_67:
	s_or_b32 exec_lo, exec_lo, s50
	v_cndmask_b32_e64 v92, 0, 1, s9
	s_wait_dscnt 0x0
	v_mov_b64_e32 v[20:21], v[54:55]
	s_and_b32 s10, s11, exec_lo
	s_delay_alu instid0(VALU_DEP_2)
	v_mov_b32_e32 v98, v92
.LBB704_68:
	s_or_b32 exec_lo, exec_lo, s49
	v_cndmask_b32_e64 v96, 0, 1, s8
	s_wait_dscnt 0x0
	v_mov_b64_e32 v[18:19], v[52:53]
	v_mov_b64_e32 v[56:57], v[52:53]
	s_and_b32 s9, s10, exec_lo
	v_mov_b32_e32 v99, v96
.LBB704_69:
	s_or_b32 exec_lo, exec_lo, s48
	s_wait_dscnt 0x0
	v_cndmask_b32_e64 v52, 0, 1, s7
	v_mov_b64_e32 v[24:25], v[50:51]
	s_and_b32 s8, s9, exec_lo
	s_delay_alu instid0(VALU_DEP_2)
	v_mov_b32_e32 v100, v52
.LBB704_70:
	s_or_b32 exec_lo, exec_lo, s47
	v_cndmask_b32_e64 v53, 0, 1, s6
	s_wait_dscnt 0x0
	v_mov_b64_e32 v[22:23], v[48:49]
	v_mov_b64_e32 v[86:87], v[48:49]
	s_and_b32 s7, s8, exec_lo
	v_mov_b32_e32 v101, v53
.LBB704_71:
	s_or_b32 exec_lo, exec_lo, s46
	s_wait_dscnt 0x0
	v_cndmask_b32_e64 v48, 0, 1, s5
	v_mov_b64_e32 v[28:29], v[46:47]
	s_and_b32 s6, s7, exec_lo
	s_delay_alu instid0(VALU_DEP_2)
	v_mov_b32_e32 v103, v48
.LBB704_72:
	s_or_b32 exec_lo, exec_lo, s43
	v_cndmask_b32_e64 v49, 0, 1, s4
	s_wait_dscnt 0x0
	v_mov_b64_e32 v[26:27], v[40:41]
	v_mov_b64_e32 v[88:89], v[40:41]
	s_and_b32 s5, s6, exec_lo
	v_mov_b32_e32 v105, v49
.LBB704_73:
	s_or_b32 exec_lo, exec_lo, s24
	s_wait_dscnt 0x0
	v_cndmask_b32_e64 v40, 0, 1, s1
	v_mov_b64_e32 v[4:5], v[38:39]
	s_and_b32 s4, s5, exec_lo
	s_delay_alu instid0(VALU_DEP_2)
	v_mov_b32_e32 v90, v40
.LBB704_74:
	s_or_b32 exec_lo, exec_lo, s22
	v_cndmask_b32_e64 v41, 0, 1, vcc_lo
	s_and_b32 s5, s4, exec_lo
	s_delay_alu instid0(VALU_DEP_1)
	v_mov_b32_e32 v1, v41
.LBB704_75:
	s_or_b32 exec_lo, exec_lo, s21
	v_lshlrev_b32_e32 v62, 3, v0
	s_and_b32 vcc_lo, exec_lo, s20
	s_cbranch_vccnz .LBB704_77
	s_branch .LBB704_78
.LBB704_76:
                                        ; implicit-def: $vgpr32_vgpr33
                                        ; implicit-def: $vgpr16_vgpr17
                                        ; implicit-def: $vgpr36
                                        ; implicit-def: $vgpr34_vgpr35
                                        ; implicit-def: $vgpr37
                                        ; implicit-def: $vgpr6_vgpr7
                                        ; implicit-def: $vgpr44
                                        ; implicit-def: $vgpr42_vgpr43
                                        ; implicit-def: $vgpr45
                                        ; implicit-def: $vgpr10_vgpr11
                                        ; implicit-def: $vgpr92
                                        ; implicit-def: $vgpr96
                                        ; implicit-def: $vgpr52
                                        ; implicit-def: $vgpr53
                                        ; implicit-def: $vgpr48
                                        ; implicit-def: $vgpr49
                                        ; implicit-def: $vgpr40
                                        ; implicit-def: $vgpr41
                                        ; implicit-def: $vgpr91
                                        ; implicit-def: $vgpr94
                                        ; implicit-def: $vgpr93
                                        ; implicit-def: $vgpr82_vgpr83
                                        ; implicit-def: $vgpr95
                                        ; implicit-def: $vgpr97
                                        ; implicit-def: $vgpr84_vgpr85
                                        ; implicit-def: $vgpr98
                                        ; implicit-def: $vgpr99
                                        ; implicit-def: $vgpr56_vgpr57
                                        ; implicit-def: $vgpr100
                                        ; implicit-def: $vgpr101
                                        ; implicit-def: $vgpr86_vgpr87
                                        ; implicit-def: $vgpr103
                                        ; implicit-def: $vgpr105
                                        ; implicit-def: $vgpr88_vgpr89
                                        ; implicit-def: $vgpr90
                                        ; implicit-def: $vgpr1
                                        ; implicit-def: $vgpr54_vgpr55
                                        ; implicit-def: $vgpr18_vgpr19
                                        ; implicit-def: $vgpr50_vgpr51
                                        ; implicit-def: $vgpr22_vgpr23
                                        ; implicit-def: $vgpr46_vgpr47
                                        ; implicit-def: $vgpr26_vgpr27
                                        ; implicit-def: $vgpr38_vgpr39
                                        ; implicit-def: $vgpr2_vgpr3
	v_lshlrev_b32_e32 v62, 3, v0
	s_cbranch_execz .LBB704_78
.LBB704_77:
	s_wait_dscnt 0x0
	s_clause 0xd
	flat_load_b64 v[2:3], v0, s[18:19] scale_offset
	flat_load_b64 v[4:5], v0, s[18:19] offset:2048 scale_offset
	flat_load_b64 v[6:7], v0, s[18:19] offset:4096 scale_offset
	;; [unrolled: 1-line block ×13, first 2 shown]
	v_mad_u32_u24 v1, 0x68, v0, v62
	s_or_b32 s5, s5, exec_lo
	s_wait_loadcnt_dscnt 0xc0c
	ds_store_2addr_stride64_b64 v62, v[2:3], v[4:5] offset1:4
	s_wait_loadcnt_dscnt 0xa0b
	ds_store_2addr_stride64_b64 v62, v[6:7], v[8:9] offset0:8 offset1:12
	s_wait_loadcnt_dscnt 0x80a
	ds_store_2addr_stride64_b64 v62, v[10:11], v[12:13] offset0:16 offset1:20
	;; [unrolled: 2-line block ×6, first 2 shown]
	s_wait_dscnt 0x0
	s_barrier_signal -1
	s_barrier_wait -1
	ds_load_b128 v[30:33], v1 offset:96
	v_mad_i32_i24 v26, 0xffffff98, v0, v1
	ds_load_b128 v[2:5], v1 offset:80
	ds_load_b128 v[6:9], v1 offset:64
	ds_load_b128 v[14:17], v1
	ds_load_b128 v[10:13], v1 offset:16
	ds_load_b128 v[18:21], v1 offset:32
	;; [unrolled: 1-line block ×3, first 2 shown]
	s_wait_dscnt 0x6
	ds_store_b64 v26, v[32:33] offset:28672
	s_wait_dscnt 0x0
	s_barrier_signal -1
	s_barrier_wait -1
	s_barrier_signal -1
	s_barrier_wait -1
	s_clause 0xd
	flat_load_b64 v[26:27], v0, s[16:17] scale_offset
	flat_load_b64 v[28:29], v0, s[16:17] offset:2048 scale_offset
	flat_load_b64 v[34:35], v0, s[16:17] offset:4096 scale_offset
	;; [unrolled: 1-line block ×13, first 2 shown]
	v_cmp_ne_u64_e32 vcc_lo, 0, v[30:31]
	s_wait_loadcnt_dscnt 0xc0c
	ds_store_2addr_stride64_b64 v62, v[26:27], v[28:29] offset1:4
	s_wait_loadcnt_dscnt 0xa0b
	ds_store_2addr_stride64_b64 v62, v[34:35], v[38:39] offset0:8 offset1:12
	s_wait_loadcnt_dscnt 0x80a
	ds_store_2addr_stride64_b64 v62, v[42:43], v[46:47] offset0:16 offset1:20
	s_wait_loadcnt_dscnt 0x609
	ds_store_2addr_stride64_b64 v62, v[50:51], v[54:55] offset0:24 offset1:28
	s_wait_loadcnt_dscnt 0x408
	ds_store_2addr_stride64_b64 v62, v[56:57], v[58:59] offset0:32 offset1:36
	s_wait_loadcnt_dscnt 0x207
	ds_store_2addr_stride64_b64 v62, v[60:61], v[64:65] offset0:40 offset1:44
	s_wait_loadcnt_dscnt 0x6
	ds_store_2addr_stride64_b64 v62, v[66:67], v[68:69] offset0:48 offset1:52
	v_cndmask_b32_e64 v91, 0, 1, vcc_lo
	v_cmp_ne_u64_e32 vcc_lo, 0, v[4:5]
	s_wait_dscnt 0x0
	s_barrier_signal -1
	s_barrier_wait -1
	v_cndmask_b32_e64 v36, 0, 1, vcc_lo
	v_cmp_ne_u64_e32 vcc_lo, 0, v[2:3]
	v_cndmask_b32_e64 v37, 0, 1, vcc_lo
	v_cmp_ne_u64_e32 vcc_lo, 0, v[8:9]
	s_delay_alu instid0(VALU_DEP_2) | instskip(SKIP_4) | instid1(VALU_DEP_2)
	v_dual_mov_b32 v94, v36 :: v_dual_mov_b32 v93, v37
	v_cndmask_b32_e64 v44, 0, 1, vcc_lo
	v_cmp_ne_u64_e32 vcc_lo, 0, v[6:7]
	v_cndmask_b32_e64 v45, 0, 1, vcc_lo
	v_cmp_ne_u64_e32 vcc_lo, 0, v[24:25]
	v_dual_mov_b32 v95, v44 :: v_dual_mov_b32 v97, v45
	v_cndmask_b32_e64 v92, 0, 1, vcc_lo
	v_cmp_ne_u64_e32 vcc_lo, 0, v[22:23]
	v_cndmask_b32_e64 v96, 0, 1, vcc_lo
	v_cmp_ne_u64_e32 vcc_lo, 0, v[20:21]
	s_delay_alu instid0(VALU_DEP_2) | instskip(SKIP_4) | instid1(VALU_DEP_2)
	v_dual_mov_b32 v98, v92 :: v_dual_mov_b32 v99, v96
	v_cndmask_b32_e64 v52, 0, 1, vcc_lo
	v_cmp_ne_u64_e32 vcc_lo, 0, v[18:19]
	v_cndmask_b32_e64 v53, 0, 1, vcc_lo
	v_cmp_ne_u64_e32 vcc_lo, 0, v[12:13]
	v_dual_mov_b32 v100, v52 :: v_dual_mov_b32 v101, v53
	v_cndmask_b32_e64 v48, 0, 1, vcc_lo
	v_cmp_ne_u64_e32 vcc_lo, 0, v[10:11]
	ds_load_b128 v[10:13], v1 offset:64
	ds_load_b128 v[6:9], v1 offset:80
	;; [unrolled: 1-line block ×5, first 2 shown]
	ds_load_b128 v[2:5], v1
	v_cndmask_b32_e64 v49, 0, 1, vcc_lo
	v_cmp_ne_u64_e32 vcc_lo, 0, v[16:17]
	s_delay_alu instid0(VALU_DEP_2)
	v_dual_mov_b32 v103, v48 :: v_dual_mov_b32 v105, v49
	v_cndmask_b32_e64 v40, 0, 1, vcc_lo
	v_cmp_ne_u64_e32 vcc_lo, 0, v[14:15]
	ds_load_b128 v[14:17], v1 offset:96
	s_wait_dscnt 0x5
	v_mov_b64_e32 v[82:83], v[6:7]
	v_mov_b64_e32 v[84:85], v[10:11]
	s_wait_dscnt 0x3
	v_mov_b64_e32 v[56:57], v[18:19]
	v_mov_b64_e32 v[86:87], v[22:23]
	s_wait_dscnt 0x2
	v_mov_b64_e32 v[88:89], v[26:27]
	v_cndmask_b32_e64 v41, 0, 1, vcc_lo
	v_mov_b64_e32 v[34:35], v[8:9]
	v_mov_b64_e32 v[42:43], v[12:13]
	;; [unrolled: 1-line block ×5, first 2 shown]
	s_wait_dscnt 0x1
	v_mov_b64_e32 v[38:39], v[4:5]
	v_dual_mov_b32 v90, v40 :: v_dual_mov_b32 v1, v41
.LBB704_78:
	v_mov_b64_e32 v[58:59], 0
	v_mov_b32_e32 v60, 0
	s_and_saveexec_b32 s1, s5
	s_cbranch_execz .LBB704_80
; %bb.79:
	v_cmp_ne_u64_e32 vcc_lo, 0, v[32:33]
	v_mov_b64_e32 v[4:5], v[38:39]
	v_mov_b64_e32 v[88:89], v[26:27]
	;; [unrolled: 1-line block ×11, first 2 shown]
	s_wait_dscnt 0x0
	v_mov_b64_e32 v[58:59], v[16:17]
	v_cndmask_b32_e64 v60, 0, 1, vcc_lo
	v_dual_mov_b32 v1, v41 :: v_dual_mov_b32 v90, v40
	v_dual_mov_b32 v105, v49 :: v_dual_mov_b32 v103, v48
	;; [unrolled: 1-line block ×6, first 2 shown]
.LBB704_80:
	s_or_b32 exec_lo, exec_lo, s1
	v_dual_lshrrev_b32 v55, 1, v0 :: v_dual_bitop2_b32 v61, 1, v105 bitop3:0x40
	v_and_b32_e32 v54, 1, v100
	v_and_b32_e32 v27, 1, v97
	;; [unrolled: 1-line block ×5, first 2 shown]
	v_cmp_eq_u32_e64 s16, 1, v61
	v_and_b32_e32 v76, 0xff, v103
	v_and_b32_e32 v75, 0xff, v101
	v_bitop3_b16 v64, v101, 0xff, v103 bitop3:0xc8
	v_and_b32_e32 v74, 0xff, v100
	v_cmp_eq_u32_e64 s17, 1, v54
	v_and_b32_e32 v73, 0xff, v99
	v_and_b32_e32 v72, 0xff, v98
	v_bitop3_b16 v65, v98, 0xff, v99 bitop3:0xc8
	v_and_b32_e32 v71, 0xff, v97
	;; [unrolled: 5-line block ×3, first 2 shown]
	v_cmp_eq_u32_e64 s19, 1, v26
	v_and_b32_e32 v67, 0xff, v91
	v_cmp_eq_u16_e64 s1, 0, v60
	v_bitop3_b16 v63, v60, 0xff, v91 bitop3:0xc8
	s_cmp_lg_u32 s33, 0
	s_wait_dscnt 0x0
	v_cmp_gt_u32_e32 vcc_lo, 32, v0
	s_barrier_signal -1
	s_barrier_wait -1
	s_cbranch_scc0 .LBB704_142
; %bb.81:
	v_cmp_eq_u16_e64 s4, 0, v78
	v_cmp_eq_u16_e64 s5, 0, v77
	;; [unrolled: 1-line block ×5, first 2 shown]
	v_dual_cndmask_b32 v7, 0, v3, s4 :: v_dual_cndmask_b32 v6, 0, v2, s4
	v_cmp_eq_u16_e64 s9, 0, v73
	v_cmp_eq_u16_e64 s10, 0, v72
	;; [unrolled: 1-line block ×4, first 2 shown]
	v_add_nc_u64_e32 v[6:7], v[6:7], v[4:5]
	v_cmp_eq_u16_e64 s13, 0, v69
	v_cmp_eq_u16_e64 s14, 0, v68
	;; [unrolled: 1-line block ×3, first 2 shown]
	v_cmp_ne_u16_e64 s22, 0, v66
	v_bitop3_b16 v10, v90, 0xff, v1 bitop3:0xc8
	v_cmp_ne_u16_e64 s21, 0, v65
	v_dual_cndmask_b32 v7, 0, v7, s5 :: v_dual_cndmask_b32 v6, 0, v6, s5
	v_cmp_ne_u16_e64 s23, 0, v63
	v_cmp_ne_u16_e64 s20, 0, v64
	s_or_b32 s19, s22, s19
	v_cmp_ne_u16_e64 s24, 0, v10
	v_add_nc_u64_e32 v[6:7], v[6:7], v[88:89]
	s_or_b32 s18, s21, s18
	s_or_b32 s19, s23, s19
	;; [unrolled: 1-line block ×4, first 2 shown]
	v_and_b32_e32 v11, 0x70, v55
	s_or_b32 s16, s24, s16
	v_dual_cndmask_b32 v7, 0, v7, s6 :: v_dual_cndmask_b32 v6, 0, v6, s6
	s_or_b32 s17, s18, s17
	s_delay_alu instid0(VALU_DEP_2) | instskip(SKIP_1) | instid1(VALU_DEP_2)
	v_lshl_add_u32 v10, v0, 4, v11
	s_or_b32 s20, s17, s16
	v_add_nc_u64_e32 v[6:7], v[6:7], v[28:29]
	v_cndmask_b32_e64 v19, 0, 1, s20
	s_delay_alu instid0(VALU_DEP_2) | instskip(NEXT) | instid1(VALU_DEP_1)
	v_dual_cndmask_b32 v7, 0, v7, s7 :: v_dual_cndmask_b32 v6, 0, v6, s7
	v_add_nc_u64_e32 v[6:7], v[6:7], v[86:87]
	s_delay_alu instid0(VALU_DEP_1) | instskip(NEXT) | instid1(VALU_DEP_1)
	v_dual_cndmask_b32 v7, 0, v7, s8 :: v_dual_cndmask_b32 v6, 0, v6, s8
	v_add_nc_u64_e32 v[6:7], v[6:7], v[24:25]
	s_delay_alu instid0(VALU_DEP_1) | instskip(NEXT) | instid1(VALU_DEP_1)
	;; [unrolled: 3-line block ×9, first 2 shown]
	v_dual_cndmask_b32 v7, 0, v7, s1 :: v_dual_cndmask_b32 v6, 0, v6, s1
	v_add_nc_u64_e32 v[6:7], v[6:7], v[58:59]
	ds_store_b64 v10, v[6:7]
	ds_store_b8 v10, v19 offset:8
	s_wait_dscnt 0x0
	s_barrier_signal -1
	s_barrier_wait -1
	s_and_saveexec_b32 s19, vcc_lo
	s_cbranch_execz .LBB704_93
; %bb.82:
	v_dual_lshlrev_b32 v10, 2, v0 :: v_dual_lshlrev_b32 v11, 7, v0
	s_delay_alu instid0(VALU_DEP_1) | instskip(NEXT) | instid1(VALU_DEP_1)
	v_and_b32_e32 v10, 0x3f0, v10
	v_add_nc_u32_e32 v18, v10, v11
	ds_load_u8 v23, v18 offset:24
	ds_load_b64 v[10:11], v18
	ds_load_2addr_b64 v[30:33], v18 offset0:2 offset1:4
	ds_load_u8 v38, v18 offset:40
	ds_load_b32 v22, v18 offset:8
	ds_load_u8 v39, v18 offset:56
	ds_load_u8 v40, v18 offset:72
	;; [unrolled: 1-line block ×4, first 2 shown]
	s_wait_dscnt 0x8
	v_cmp_eq_u16_e64 s16, 0, v23
	s_wait_dscnt 0x7
	s_delay_alu instid0(VALU_DEP_1)
	v_dual_cndmask_b32 v17, 0, v11, s16 :: v_dual_cndmask_b32 v16, 0, v10, s16
	s_wait_dscnt 0x5
	v_cmp_eq_u16_e64 s16, 0, v38
	ds_load_2addr_b64 v[34:37], v18 offset0:6 offset1:8
	s_wait_dscnt 0x4
	v_bitop3_b16 v23, v38, v39, v23 bitop3:0xfe
	v_add_nc_u64_e32 v[16:17], v[16:17], v[30:31]
	s_delay_alu instid0(VALU_DEP_1) | instskip(SKIP_1) | instid1(VALU_DEP_2)
	v_dual_cndmask_b32 v17, 0, v17, s16 :: v_dual_cndmask_b32 v16, 0, v16, s16
	v_cmp_eq_u16_e64 s16, 0, v39
	v_add_nc_u64_e32 v[16:17], v[16:17], v[32:33]
	ds_load_2addr_b64 v[30:33], v18 offset0:10 offset1:12
	ds_load_u8 v43, v18 offset:120
	v_dual_cndmask_b32 v17, 0, v17, s16 :: v_dual_cndmask_b32 v16, 0, v16, s16
	s_wait_dscnt 0x5
	v_cmp_eq_u16_e64 s16, 0, v40
	s_wait_dscnt 0x2
	s_delay_alu instid0(VALU_DEP_2) | instskip(SKIP_1) | instid1(VALU_DEP_2)
	v_add_nc_u64_e32 v[16:17], v[16:17], v[34:35]
	v_bitop3_b16 v34, v41, v42, v40 bitop3:0xfe
	v_dual_cndmask_b32 v17, 0, v17, s16 :: v_dual_cndmask_b32 v16, 0, v16, s16
	v_cmp_eq_u16_e64 s16, 0, v41
	s_wait_dscnt 0x0
	s_delay_alu instid0(VALU_DEP_3) | instskip(SKIP_3) | instid1(VALU_DEP_1)
	v_bitop3_b16 v23, v43, v23, v34 bitop3:0xfe
	ds_load_b64 v[34:35], v18 offset:112
	v_cmp_eq_u16_e64 s18, 0, v43
	v_add_nc_u64_e32 v[16:17], v[16:17], v[36:37]
	v_dual_cndmask_b32 v17, 0, v17, s16 :: v_dual_cndmask_b32 v16, 0, v16, s16
	v_cmp_eq_u16_e64 s16, 0, v42
	s_delay_alu instid0(VALU_DEP_2) | instskip(SKIP_1) | instid1(VALU_DEP_2)
	v_add_nc_u64_e32 v[16:17], v[16:17], v[30:31]
	v_and_b32_e32 v30, 1, v22
	v_dual_cndmask_b32 v17, 0, v17, s16 :: v_dual_bitop2_b32 v23, 1, v23 bitop3:0x40
	s_delay_alu instid0(VALU_DEP_3) | instskip(NEXT) | instid1(VALU_DEP_3)
	v_cndmask_b32_e64 v16, 0, v16, s16
	v_cmp_eq_u32_e64 s16, 1, v30
	s_delay_alu instid0(VALU_DEP_3) | instskip(SKIP_4) | instid1(SALU_CYCLE_1)
	v_cmp_eq_u32_e64 s17, 1, v23
	v_and_b32_e32 v23, 0xffffff00, v22
	v_mbcnt_lo_u32_b32 v30, -1, 0
	v_add_nc_u64_e32 v[16:17], v[16:17], v[32:33]
	s_or_b32 s17, s17, s16
	v_cndmask_b32_e64 v32, 0, 1, s17
	v_cndmask_b32_e64 v31, 0, 1, s17
	s_delay_alu instid0(VALU_DEP_3) | instskip(NEXT) | instid1(VALU_DEP_3)
	v_dual_cndmask_b32 v17, 0, v17, s18 :: v_dual_cndmask_b32 v16, 0, v16, s18
	v_or_b32_e32 v33, v23, v32
	v_and_b32_e32 v32, 15, v30
	s_mov_b32 s18, exec_lo
	s_wait_dscnt 0x0
	v_add_nc_u64_e32 v[16:17], v[16:17], v[34:35]
	v_mov_b32_dpp v35, v33 row_shr:1 row_mask:0xf bank_mask:0xf
	s_delay_alu instid0(VALU_DEP_2) | instskip(NEXT) | instid1(VALU_DEP_3)
	v_mov_b32_dpp v34, v16 row_shr:1 row_mask:0xf bank_mask:0xf
	v_mov_b32_dpp v36, v17 row_shr:1 row_mask:0xf bank_mask:0xf
	v_cmpx_ne_u32_e32 0, v32
; %bb.83:
	s_delay_alu instid0(VALU_DEP_4) | instskip(NEXT) | instid1(VALU_DEP_3)
	v_bitop3_b16 v31, v35, v31, 1 bitop3:0xec
	v_cndmask_b32_e64 v35, v36, 0, s17
	v_cndmask_b32_e64 v34, v34, 0, s17
	s_delay_alu instid0(VALU_DEP_3) | instskip(NEXT) | instid1(VALU_DEP_2)
	v_and_b32_e32 v33, 0xffff, v31
	v_add_nc_u64_e32 v[16:17], v[34:35], v[16:17]
	s_delay_alu instid0(VALU_DEP_2)
	v_or_b32_e32 v33, v23, v33
; %bb.84:
	s_or_b32 exec_lo, exec_lo, s18
	s_delay_alu instid0(VALU_DEP_2) | instskip(NEXT) | instid1(VALU_DEP_3)
	v_mov_b32_dpp v34, v16 row_shr:2 row_mask:0xf bank_mask:0xf
	v_mov_b32_dpp v35, v17 row_shr:2 row_mask:0xf bank_mask:0xf
	s_delay_alu instid0(VALU_DEP_3)
	v_mov_b32_dpp v36, v33 row_shr:2 row_mask:0xf bank_mask:0xf
	s_mov_b32 s21, exec_lo
	v_cmpx_lt_u32_e32 1, v32
	s_cbranch_execz .LBB704_86
; %bb.85:
	v_cmp_eq_u16_e64 s16, 0, v31
	v_and_b32_e32 v33, 1, v31
	s_delay_alu instid0(VALU_DEP_2) | instskip(SKIP_1) | instid1(VALU_DEP_3)
	v_dual_cndmask_b32 v35, 0, v35, s16 :: v_dual_bitop2_b32 v36, 1, v36 bitop3:0x40
	v_cndmask_b32_e64 v34, 0, v34, s16
	v_cmp_eq_u32_e64 s17, 1, v33
	s_delay_alu instid0(VALU_DEP_3) | instskip(NEXT) | instid1(VALU_DEP_3)
	v_cmp_eq_u32_e64 s18, 1, v36
	v_add_nc_u64_e32 v[16:17], v[34:35], v[16:17]
	s_or_b32 s16, s17, s18
	s_delay_alu instid0(SALU_CYCLE_1) | instskip(SKIP_1) | instid1(VALU_DEP_2)
	v_cndmask_b32_e64 v33, 0, 1, s16
	v_cndmask_b32_e64 v31, 0, 1, s16
	v_or_b32_e32 v33, v23, v33
.LBB704_86:
	s_or_b32 exec_lo, exec_lo, s21
	s_delay_alu instid0(VALU_DEP_4) | instskip(SKIP_1) | instid1(VALU_DEP_3)
	v_mov_b32_dpp v34, v16 row_shr:4 row_mask:0xf bank_mask:0xf
	v_mov_b32_dpp v35, v17 row_shr:4 row_mask:0xf bank_mask:0xf
	;; [unrolled: 1-line block ×3, first 2 shown]
	s_mov_b32 s21, exec_lo
	v_cmpx_lt_u32_e32 3, v32
	s_cbranch_execz .LBB704_88
; %bb.87:
	v_cmp_eq_u16_e64 s16, 0, v31
	v_and_b32_e32 v33, 1, v31
	s_delay_alu instid0(VALU_DEP_2) | instskip(SKIP_1) | instid1(VALU_DEP_3)
	v_dual_cndmask_b32 v35, 0, v35, s16 :: v_dual_bitop2_b32 v36, 1, v36 bitop3:0x40
	v_cndmask_b32_e64 v34, 0, v34, s16
	v_cmp_eq_u32_e64 s17, 1, v33
	s_delay_alu instid0(VALU_DEP_3) | instskip(NEXT) | instid1(VALU_DEP_3)
	v_cmp_eq_u32_e64 s18, 1, v36
	v_add_nc_u64_e32 v[16:17], v[34:35], v[16:17]
	s_or_b32 s16, s17, s18
	s_delay_alu instid0(SALU_CYCLE_1) | instskip(SKIP_1) | instid1(VALU_DEP_2)
	v_cndmask_b32_e64 v33, 0, 1, s16
	v_cndmask_b32_e64 v31, 0, 1, s16
	v_or_b32_e32 v33, v23, v33
.LBB704_88:
	s_or_b32 exec_lo, exec_lo, s21
	s_delay_alu instid0(VALU_DEP_4) | instskip(SKIP_1) | instid1(VALU_DEP_3)
	v_mov_b32_dpp v34, v16 row_shr:8 row_mask:0xf bank_mask:0xf
	v_mov_b32_dpp v35, v17 row_shr:8 row_mask:0xf bank_mask:0xf
	;; [unrolled: 1-line block ×3, first 2 shown]
	s_mov_b32 s21, exec_lo
	v_cmpx_lt_u32_e32 7, v32
	s_cbranch_execz .LBB704_90
; %bb.89:
	v_and_b32_e32 v32, 1, v31
	v_cmp_eq_u16_e64 s16, 0, v31
	v_and_b32_e32 v33, 1, v36
	s_delay_alu instid0(VALU_DEP_3) | instskip(NEXT) | instid1(VALU_DEP_3)
	v_cmp_eq_u32_e64 s17, 1, v32
	v_cndmask_b32_e64 v32, 0, v34, s16
	s_delay_alu instid0(VALU_DEP_3) | instskip(SKIP_2) | instid1(VALU_DEP_1)
	v_cmp_eq_u32_e64 s18, 1, v33
	v_cndmask_b32_e64 v33, 0, v35, s16
	s_or_b32 s16, s17, s18
	v_add_nc_u64_e32 v[16:17], v[32:33], v[16:17]
	v_cndmask_b32_e64 v34, 0, 1, s16
	v_cndmask_b32_e64 v31, 0, 1, s16
	s_delay_alu instid0(VALU_DEP_2)
	v_or_b32_e32 v33, v23, v34
.LBB704_90:
	s_or_b32 exec_lo, exec_lo, s21
	ds_swizzle_b32 v32, v16 offset:swizzle(BROADCAST,32,15)
	ds_swizzle_b32 v34, v17 offset:swizzle(BROADCAST,32,15)
	;; [unrolled: 1-line block ×3, first 2 shown]
	v_and_b32_e32 v35, 16, v30
	s_mov_b32 s18, exec_lo
	s_delay_alu instid0(VALU_DEP_1)
	v_cmpx_ne_u32_e32 0, v35
	s_cbranch_execz .LBB704_92
; %bb.91:
	v_cmp_eq_u16_e64 s16, 0, v31
	v_and_b32_e32 v31, 1, v31
	s_wait_dscnt 0x0
	s_delay_alu instid0(VALU_DEP_2) | instskip(SKIP_1) | instid1(VALU_DEP_3)
	v_dual_cndmask_b32 v32, 0, v32, s16 :: v_dual_bitop2_b32 v35, 1, v33 bitop3:0x40
	v_cndmask_b32_e64 v33, 0, v34, s16
	v_cmp_eq_u32_e64 s16, 1, v31
	s_delay_alu instid0(VALU_DEP_3) | instskip(NEXT) | instid1(VALU_DEP_3)
	v_cmp_eq_u32_e64 s17, 1, v35
	v_add_nc_u64_e32 v[16:17], v[32:33], v[16:17]
	s_or_b32 s16, s16, s17
	s_delay_alu instid0(SALU_CYCLE_1)
	v_cndmask_b32_e64 v31, 0, 1, s16
.LBB704_92:
	s_or_b32 exec_lo, exec_lo, s18
	s_wait_dscnt 0x2
	v_add_nc_u32_e32 v32, -1, v30
	s_delay_alu instid0(VALU_DEP_2) | instskip(NEXT) | instid1(VALU_DEP_2)
	v_and_b32_e32 v31, 0xffff, v31
	; wave barrier
	v_cmp_gt_i32_e64 s16, 0, v32
	s_delay_alu instid0(VALU_DEP_1) | instskip(NEXT) | instid1(VALU_DEP_1)
	v_dual_cndmask_b32 v30, v32, v30, s16 :: v_dual_bitop2_b32 v23, v23, v31 bitop3:0x54
	v_lshlrev_b32_e32 v30, 2, v30
	ds_bpermute_b32 v17, v30, v17
	ds_bpermute_b32 v16, v30, v16
	ds_bpermute_b32 v23, v30, v23
	v_and_b32_e32 v30, 0xff, v22
	s_delay_alu instid0(VALU_DEP_1) | instskip(SKIP_1) | instid1(VALU_DEP_1)
	v_cmp_eq_u32_e64 s16, 0, v30
	s_wait_dscnt 0x1
	v_dual_cndmask_b32 v17, 0, v17, s16 :: v_dual_cndmask_b32 v16, 0, v16, s16
	s_wait_dscnt 0x0
	v_or_b32_e32 v22, v23, v22
	s_delay_alu instid0(VALU_DEP_2) | instskip(NEXT) | instid1(VALU_DEP_1)
	v_add_nc_u64_e32 v[10:11], v[16:17], v[10:11]
	v_dual_cndmask_b32 v11, v11, v7, s2 :: v_dual_bitop2_b32 v16, 1, v22 bitop3:0x40
	s_delay_alu instid0(VALU_DEP_1)
	v_dual_cndmask_b32 v10, v10, v6, s2 :: v_dual_cndmask_b32 v19, v16, v19, s2
	ds_store_b64 v18, v[10:11]
	ds_store_b8 v18, v19 offset:8
	; wave barrier
	ds_load_u8 v40, v18 offset:24
	ds_load_2addr_b64 v[30:33], v18 offset0:2 offset1:4
	ds_load_u8 v41, v18 offset:40
	ds_load_u8 v42, v18 offset:56
	;; [unrolled: 1-line block ×5, first 2 shown]
	ds_load_b64 v[16:17], v18 offset:112
	ds_load_u8 v46, v18 offset:120
	ds_load_2addr_b64 v[34:37], v18 offset0:6 offset1:8
	s_wait_dscnt 0x9
	v_and_b32_e32 v22, 0xff, v40
	v_bitop3_b16 v48, v40, 1, v19 bitop3:0xc8
	s_delay_alu instid0(VALU_DEP_2)
	v_cmp_eq_u16_e64 s16, 0, v22
	s_wait_dscnt 0x7
	v_and_b32_e32 v22, 0xff, v41
	s_wait_dscnt 0x4
	v_and_b32_e32 v47, 0xff, v44
	v_dual_cndmask_b32 v11, 0, v11, s16 :: v_dual_cndmask_b32 v10, 0, v10, s16
	s_delay_alu instid0(VALU_DEP_3) | instskip(NEXT) | instid1(VALU_DEP_2)
	v_cmp_eq_u16_e64 s16, 0, v22
	v_add_nc_u64_e32 v[10:11], v[10:11], v[30:31]
	v_and_b32_e32 v30, 0xff, v42
	s_delay_alu instid0(VALU_DEP_2) | instskip(NEXT) | instid1(VALU_DEP_2)
	v_dual_cndmask_b32 v23, 0, v11, s16 :: v_dual_cndmask_b32 v22, 0, v10, s16
	v_cmp_eq_u16_e64 s16, 0, v30
	s_delay_alu instid0(VALU_DEP_2) | instskip(SKIP_1) | instid1(VALU_DEP_2)
	v_add_nc_u64_e32 v[22:23], v[22:23], v[32:33]
	v_and_b32_e32 v32, 0xff, v43
	v_dual_cndmask_b32 v31, 0, v23, s16 :: v_dual_cndmask_b32 v30, 0, v22, s16
	s_delay_alu instid0(VALU_DEP_2) | instskip(SKIP_1) | instid1(VALU_DEP_2)
	v_cmp_eq_u16_e64 s16, 0, v32
	s_wait_dscnt 0x0
	v_add_nc_u64_e32 v[34:35], v[30:31], v[34:35]
	ds_load_2addr_b64 v[30:33], v18 offset0:10 offset1:12
	v_dual_cndmask_b32 v39, 0, v35, s16 :: v_dual_cndmask_b32 v38, 0, v34, s16
	v_cmp_eq_u16_e64 s16, 0, v47
	v_and_b32_e32 v47, 0xff, v45
	s_delay_alu instid0(VALU_DEP_3) | instskip(NEXT) | instid1(VALU_DEP_1)
	v_add_nc_u64_e32 v[36:37], v[38:39], v[36:37]
	v_dual_cndmask_b32 v39, 0, v37, s16 :: v_dual_cndmask_b32 v38, 0, v36, s16
	s_delay_alu instid0(VALU_DEP_3) | instskip(SKIP_4) | instid1(VALU_DEP_3)
	v_cmp_eq_u16_e64 s16, 0, v47
	v_or_b32_e32 v47, v40, v19
	v_bitop3_b16 v19, v41, v40, v19 bitop3:0xfe
	s_wait_dscnt 0x0
	v_add_nc_u64_e32 v[30:31], v[38:39], v[30:31]
	v_bitop3_b16 v40, v42, v41, v47 bitop3:0xfe
	v_bitop3_b16 v41, v41, 1, v47 bitop3:0xc8
	;; [unrolled: 1-line block ×4, first 2 shown]
	v_dual_cndmask_b32 v39, 0, v31, s16 :: v_dual_cndmask_b32 v38, 0, v30, s16
	v_cmp_eq_u16_e64 s16, 0, v46
	s_delay_alu instid0(VALU_DEP_3) | instskip(SKIP_1) | instid1(VALU_DEP_4)
	v_bitop3_b16 v42, v45, v44, v19 bitop3:0xfe
	v_bitop3_b16 v19, v44, 1, v19 bitop3:0xc8
	v_add_nc_u64_e32 v[32:33], v[38:39], v[32:33]
	v_bitop3_b16 v38, v44, v43, v40 bitop3:0xfe
	v_bitop3_b16 v40, v43, 1, v40 bitop3:0xc8
	ds_store_2addr_b64 v18, v[10:11], v[22:23] offset0:2 offset1:4
	ds_store_2addr_b64 v18, v[34:35], v[36:37] offset0:6 offset1:8
	;; [unrolled: 1-line block ×3, first 2 shown]
	v_bitop3_b16 v43, v45, 1, v38 bitop3:0xc8
	v_dual_cndmask_b32 v39, 0, v33, s16 :: v_dual_cndmask_b32 v38, 0, v32, s16
	v_bitop3_b16 v42, v46, 1, v42 bitop3:0xc8
	s_delay_alu instid0(VALU_DEP_2)
	v_add_nc_u64_e32 v[10:11], v[38:39], v[16:17]
	ds_store_b8 v18, v48 offset:24
	ds_store_b8 v18, v41 offset:40
	;; [unrolled: 1-line block ×6, first 2 shown]
	ds_store_b64 v18, v[10:11] offset:112
	ds_store_b8 v18, v42 offset:120
.LBB704_93:
	s_or_b32 exec_lo, exec_lo, s19
	s_wait_dscnt 0x0
	s_barrier_signal -1
	s_barrier_wait -1
	s_and_saveexec_b32 s17, s3
	s_cbranch_execz .LBB704_95
; %bb.94:
	v_add_nc_u32_e32 v6, -1, v0
	s_and_not1_b32 s18, s20, exec_lo
	s_delay_alu instid0(VALU_DEP_1) | instskip(NEXT) | instid1(VALU_DEP_1)
	v_lshrrev_b32_e32 v7, 1, v6
	v_and_b32_e32 v7, 0x7ffffff0, v7
	s_delay_alu instid0(VALU_DEP_1) | instskip(SKIP_4) | instid1(VALU_DEP_1)
	v_lshl_add_u32 v6, v6, 4, v7
	ds_load_u8 v10, v6 offset:8
	ds_load_b64 v[6:7], v6
	s_wait_dscnt 0x1
	v_and_b32_e32 v10, 1, v10
	v_cmp_eq_u32_e64 s16, 1, v10
	s_and_b32 s16, s16, exec_lo
	s_delay_alu instid0(SALU_CYCLE_1)
	s_or_b32 s20, s18, s16
.LBB704_95:
	s_or_b32 exec_lo, exec_lo, s17
	s_and_saveexec_b32 s21, vcc_lo
	s_cbranch_execz .LBB704_195
; %bb.96:
	v_mov_b32_e32 v19, 0
	v_mbcnt_lo_u32_b32 v31, -1, 0
	s_mov_b32 s19, 0
	ds_load_b64 v[10:11], v19 offset:4192
	ds_load_u8 v30, v19 offset:4200
	v_cmp_eq_u32_e64 s16, 0, v31
	s_and_saveexec_b32 s17, s16
	s_cbranch_execz .LBB704_98
; %bb.97:
	s_add_co_i32 s18, s33, 32
	s_delay_alu instid0(SALU_CYCLE_1) | instskip(SKIP_1) | instid1(SALU_CYCLE_1)
	v_dual_mov_b32 v16, 1 :: v_dual_mov_b32 v17, s18
	s_lshl_b64 s[22:23], s[18:19], 4
	s_add_nc_u64 s[18:19], s[36:37], s[22:23]
	s_wait_dscnt 0x1
	global_store_b64 v19, v[10:11], s[18:19]
	s_wait_dscnt 0x0
	global_store_b8 v19, v30, s[18:19] offset:8
	global_wb scope:SCOPE_DEV
	s_wait_storecnt 0x0
	global_inv scope:SCOPE_DEV
	s_wait_xcnt 0x0
	global_store_b8 v17, v16, s[40:41] scope:SCOPE_DEV
.LBB704_98:
	s_wait_xcnt 0x0
	s_or_b32 exec_lo, exec_lo, s17
	v_xad_u32 v16, v31, -1, s33
	s_mov_b32 s17, exec_lo
	s_delay_alu instid0(VALU_DEP_1)
	v_add_nc_u32_e32 v18, 32, v16
	global_load_u8 v32, v18, s[40:41] scope:SCOPE_DEV
	s_wait_loadcnt 0x0
	v_cmpx_eq_u16_e32 0, v32
	s_cbranch_execz .LBB704_102
; %bb.99:
	v_add_nc_u64_e32 v[22:23], s[40:41], v[18:19]
	s_mov_b32 s18, 0
.LBB704_100:                            ; =>This Inner Loop Header: Depth=1
	global_load_u8 v32, v[22:23], off scope:SCOPE_DEV
	s_wait_loadcnt 0x0
	v_cmp_ne_u16_e32 vcc_lo, 0, v32
	s_or_b32 s18, vcc_lo, s18
	s_wait_xcnt 0x0
	s_and_not1_b32 exec_lo, exec_lo, s18
	s_cbranch_execnz .LBB704_100
; %bb.101:
	s_or_b32 exec_lo, exec_lo, s18
.LBB704_102:
	s_delay_alu instid0(SALU_CYCLE_1)
	s_or_b32 exec_lo, exec_lo, s17
	v_dual_mov_b32 v17, s37 :: v_dual_mov_b32 v22, s36
	v_cmp_eq_u16_e32 vcc_lo, 1, v32
	global_wb scope:SCOPE_DEV
	s_wait_storecnt_dscnt 0x0
	global_inv scope:SCOPE_DEV
	v_lshlrev_b32_e64 v34, v31, -1
	s_mov_b32 s17, exec_lo
	v_cndmask_b32_e32 v23, s39, v17, vcc_lo
	v_cndmask_b32_e32 v22, s38, v22, vcc_lo
	v_cmp_ne_u32_e32 vcc_lo, 31, v31
	v_add_co_ci_u32_e64 v17, null, 0, v31, vcc_lo
	v_cmp_eq_u16_e32 vcc_lo, 2, v32
	s_delay_alu instid0(VALU_DEP_2)
	v_lshlrev_b32_e32 v33, 2, v17
	v_lshl_add_u64 v[18:19], v[18:19], 4, v[22:23]
	s_clause 0x1
	global_load_u8 v44, v[18:19], off offset:8
	global_load_b64 v[22:23], v[18:19], off
	v_and_or_b32 v17, vcc_lo, v34, 0x80000000
	s_delay_alu instid0(VALU_DEP_1)
	v_ctz_i32_b32_e32 v17, v17
	s_wait_loadcnt 0x1
	s_wait_xcnt 0x0
	v_and_b32_e32 v18, 1, v44
	s_wait_loadcnt 0x0
	ds_bpermute_b32 v35, v33, v22
	ds_bpermute_b32 v36, v33, v23
	;; [unrolled: 1-line block ×3, first 2 shown]
	v_cmpx_lt_u32_e64 v31, v17
	s_cbranch_execz .LBB704_104
; %bb.103:
	v_and_b32_e32 v18, 0xff, v44
	s_wait_dscnt 0x0
	v_bitop3_b16 v44, v19, v44, 1 bitop3:0xec
	s_delay_alu instid0(VALU_DEP_2) | instskip(NEXT) | instid1(VALU_DEP_2)
	v_cmp_eq_u16_e32 vcc_lo, 0, v18
	v_and_b32_e32 v18, 0xff, v44
	v_dual_cndmask_b32 v37, 0, v36 :: v_dual_cndmask_b32 v36, 0, v35
	s_delay_alu instid0(VALU_DEP_1)
	v_add_nc_u64_e32 v[22:23], v[36:37], v[22:23]
.LBB704_104:
	s_or_b32 exec_lo, exec_lo, s17
	v_cmp_gt_u32_e32 vcc_lo, 30, v31
	s_wait_dscnt 0x1
	v_add_nc_u32_e32 v36, 2, v31
	s_mov_b32 s18, exec_lo
	s_wait_dscnt 0x0
	v_cndmask_b32_e64 v19, 0, 2, vcc_lo
	s_delay_alu instid0(VALU_DEP_1)
	v_add_lshl_u32 v35, v19, v31, 2
	ds_bpermute_b32 v19, v35, v22
	ds_bpermute_b32 v37, v35, v23
	;; [unrolled: 1-line block ×3, first 2 shown]
	v_cmpx_le_u32_e64 v36, v17
	s_cbranch_execz .LBB704_106
; %bb.105:
	v_and_b32_e32 v18, 0xff, v44
	s_delay_alu instid0(VALU_DEP_1) | instskip(SKIP_4) | instid1(VALU_DEP_3)
	v_cmp_eq_u16_e32 vcc_lo, 0, v18
	v_and_b32_e32 v40, 1, v44
	s_wait_dscnt 0x0
	v_dual_cndmask_b32 v38, 0, v19, vcc_lo :: v_dual_bitop2_b32 v18, 1, v38 bitop3:0x40
	v_cndmask_b32_e32 v39, 0, v37, vcc_lo
	v_cmp_eq_u32_e64 s17, 1, v40
	s_delay_alu instid0(VALU_DEP_3) | instskip(NEXT) | instid1(VALU_DEP_3)
	v_cmp_eq_u32_e32 vcc_lo, 1, v18
	v_add_nc_u64_e32 v[22:23], v[38:39], v[22:23]
	s_or_b32 s17, s17, vcc_lo
	s_delay_alu instid0(SALU_CYCLE_1)
	v_cndmask_b32_e64 v44, 0, 1, s17
	v_cndmask_b32_e64 v18, 0, 1, s17
.LBB704_106:
	s_or_b32 exec_lo, exec_lo, s18
	v_cmp_gt_u32_e32 vcc_lo, 28, v31
	s_wait_dscnt 0x0
	v_add_nc_u32_e32 v38, 4, v31
	s_mov_b32 s18, exec_lo
	v_cndmask_b32_e64 v19, 0, 4, vcc_lo
	s_delay_alu instid0(VALU_DEP_1)
	v_add_lshl_u32 v37, v19, v31, 2
	ds_bpermute_b32 v19, v37, v22
	ds_bpermute_b32 v39, v37, v23
	;; [unrolled: 1-line block ×3, first 2 shown]
	v_cmpx_le_u32_e64 v38, v17
	s_cbranch_execz .LBB704_108
; %bb.107:
	v_and_b32_e32 v18, 0xff, v44
	s_delay_alu instid0(VALU_DEP_1) | instskip(SKIP_4) | instid1(VALU_DEP_3)
	v_cmp_eq_u16_e32 vcc_lo, 0, v18
	v_and_b32_e32 v42, 1, v44
	s_wait_dscnt 0x0
	v_dual_cndmask_b32 v40, 0, v19, vcc_lo :: v_dual_bitop2_b32 v18, 1, v40 bitop3:0x40
	v_cndmask_b32_e32 v41, 0, v39, vcc_lo
	v_cmp_eq_u32_e64 s17, 1, v42
	s_delay_alu instid0(VALU_DEP_3) | instskip(NEXT) | instid1(VALU_DEP_3)
	v_cmp_eq_u32_e32 vcc_lo, 1, v18
	v_add_nc_u64_e32 v[22:23], v[40:41], v[22:23]
	s_or_b32 s17, s17, vcc_lo
	s_delay_alu instid0(SALU_CYCLE_1)
	v_cndmask_b32_e64 v44, 0, 1, s17
	v_cndmask_b32_e64 v18, 0, 1, s17
.LBB704_108:
	s_or_b32 exec_lo, exec_lo, s18
	v_cmp_gt_u32_e32 vcc_lo, 24, v31
	s_wait_dscnt 0x0
	v_add_nc_u32_e32 v40, 8, v31
	s_mov_b32 s18, exec_lo
	v_cndmask_b32_e64 v19, 0, 8, vcc_lo
	s_delay_alu instid0(VALU_DEP_1)
	v_add_lshl_u32 v39, v19, v31, 2
	ds_bpermute_b32 v19, v39, v22
	ds_bpermute_b32 v41, v39, v23
	;; [unrolled: 1-line block ×3, first 2 shown]
	v_cmpx_le_u32_e64 v40, v17
	s_cbranch_execz .LBB704_110
; %bb.109:
	v_and_b32_e32 v18, 0xff, v44
	s_delay_alu instid0(VALU_DEP_1) | instskip(SKIP_4) | instid1(VALU_DEP_3)
	v_cmp_eq_u16_e32 vcc_lo, 0, v18
	v_and_b32_e32 v44, 1, v44
	s_wait_dscnt 0x0
	v_dual_cndmask_b32 v42, 0, v19, vcc_lo :: v_dual_bitop2_b32 v18, 1, v42 bitop3:0x40
	v_cndmask_b32_e32 v43, 0, v41, vcc_lo
	v_cmp_eq_u32_e64 s17, 1, v44
	s_delay_alu instid0(VALU_DEP_3) | instskip(NEXT) | instid1(VALU_DEP_3)
	v_cmp_eq_u32_e32 vcc_lo, 1, v18
	v_add_nc_u64_e32 v[22:23], v[42:43], v[22:23]
	s_or_b32 s17, s17, vcc_lo
	s_delay_alu instid0(SALU_CYCLE_1)
	v_cndmask_b32_e64 v44, 0, 1, s17
	v_cndmask_b32_e64 v18, 0, 1, s17
.LBB704_110:
	s_or_b32 exec_lo, exec_lo, s18
	s_wait_dscnt 0x1
	v_lshl_or_b32 v41, v31, 2, 64
	v_add_nc_u32_e32 v43, 16, v31
	s_mov_b32 s18, exec_lo
	ds_bpermute_b32 v19, v41, v22
	s_wait_dscnt 0x1
	ds_bpermute_b32 v42, v41, v23
	ds_bpermute_b32 v18, v41, v18
	v_cmpx_le_u32_e64 v43, v17
	s_cbranch_execz .LBB704_112
; %bb.111:
	v_and_b32_e32 v17, 0xff, v44
	s_delay_alu instid0(VALU_DEP_1) | instskip(SKIP_4) | instid1(VALU_DEP_3)
	v_cmp_eq_u16_e32 vcc_lo, 0, v17
	v_and_b32_e32 v17, 1, v44
	s_wait_dscnt 0x0
	v_dual_cndmask_b32 v44, 0, v19, vcc_lo :: v_dual_bitop2_b32 v18, 1, v18 bitop3:0x40
	v_cndmask_b32_e32 v45, 0, v42, vcc_lo
	v_cmp_eq_u32_e32 vcc_lo, 1, v17
	s_delay_alu instid0(VALU_DEP_3) | instskip(NEXT) | instid1(VALU_DEP_3)
	v_cmp_eq_u32_e64 s17, 1, v18
	v_add_nc_u64_e32 v[22:23], v[44:45], v[22:23]
	s_or_b32 s17, vcc_lo, s17
	s_delay_alu instid0(SALU_CYCLE_1)
	v_cndmask_b32_e64 v44, 0, 1, s17
.LBB704_112:
	s_or_b32 exec_lo, exec_lo, s18
	v_mov_b32_e32 v17, 0
	s_branch .LBB704_115
.LBB704_113:                            ;   in Loop: Header=BB704_115 Depth=1
	s_or_b32 exec_lo, exec_lo, s19
	v_and_b32_e32 v44, 0xff, v42
	v_subrev_nc_u32_e32 v16, 32, v16
	s_delay_alu instid0(VALU_DEP_2) | instskip(SKIP_2) | instid1(VALU_DEP_2)
	v_cmp_eq_u16_e32 vcc_lo, 0, v44
	v_dual_cndmask_b32 v23, 0, v23, vcc_lo :: v_dual_bitop2_b32 v44, 1, v42 bitop3:0x40
	v_cndmask_b32_e32 v22, 0, v22, vcc_lo
	v_cmp_eq_u32_e32 vcc_lo, 1, v44
	s_delay_alu instid0(VALU_DEP_2) | instskip(SKIP_1) | instid1(SALU_CYCLE_1)
	v_add_nc_u64_e32 v[22:23], v[22:23], v[18:19]
	s_or_b32 s17, vcc_lo, s18
	v_cndmask_b32_e64 v44, 0, 1, s17
	s_mov_b32 s17, 0
.LBB704_114:                            ;   in Loop: Header=BB704_115 Depth=1
	s_delay_alu instid0(SALU_CYCLE_1)
	s_and_b32 vcc_lo, exec_lo, s17
	s_cbranch_vccnz .LBB704_191
.LBB704_115:                            ; =>This Loop Header: Depth=1
                                        ;     Child Loop BB704_118 Depth 2
	s_wait_dscnt 0x0
	v_and_b32_e32 v18, 0xff, v32
	v_mov_b32_e32 v42, v44
	s_mov_b32 s17, -1
                                        ; implicit-def: $vgpr44
                                        ; implicit-def: $vgpr32
	s_delay_alu instid0(VALU_DEP_2)
	v_cmp_ne_u16_e32 vcc_lo, 2, v18
	v_mov_b64_e32 v[18:19], v[22:23]
                                        ; implicit-def: $vgpr22_vgpr23
	s_cmp_lg_u32 vcc_lo, exec_lo
	s_cbranch_scc1 .LBB704_114
; %bb.116:                              ;   in Loop: Header=BB704_115 Depth=1
	global_load_u8 v32, v16, s[40:41] scope:SCOPE_DEV
	s_mov_b32 s17, exec_lo
	s_wait_loadcnt 0x0
	v_cmpx_eq_u16_e32 0, v32
	s_cbranch_execz .LBB704_120
; %bb.117:                              ;   in Loop: Header=BB704_115 Depth=1
	v_add_nc_u64_e32 v[22:23], s[40:41], v[16:17]
	s_mov_b32 s18, 0
.LBB704_118:                            ;   Parent Loop BB704_115 Depth=1
                                        ; =>  This Inner Loop Header: Depth=2
	global_load_u8 v32, v[22:23], off scope:SCOPE_DEV
	s_wait_loadcnt 0x0
	v_cmp_ne_u16_e32 vcc_lo, 0, v32
	s_or_b32 s18, vcc_lo, s18
	s_delay_alu instid0(SALU_CYCLE_1)
	s_and_not1_b32 exec_lo, exec_lo, s18
	s_cbranch_execnz .LBB704_118
; %bb.119:                              ;   in Loop: Header=BB704_115 Depth=1
	s_or_b32 exec_lo, exec_lo, s18
.LBB704_120:                            ;   in Loop: Header=BB704_115 Depth=1
	s_delay_alu instid0(SALU_CYCLE_1)
	s_or_b32 exec_lo, exec_lo, s17
	v_dual_mov_b32 v22, s37 :: v_dual_mov_b32 v44, s36
	v_cmp_eq_u16_e32 vcc_lo, 1, v32
	global_wb scope:SCOPE_DEV
	s_wait_storecnt 0x0
	global_inv scope:SCOPE_DEV
	s_mov_b32 s17, exec_lo
	v_cndmask_b32_e32 v23, s39, v22, vcc_lo
	v_cndmask_b32_e32 v22, s38, v44, vcc_lo
	v_cmp_eq_u16_e32 vcc_lo, 2, v32
	s_delay_alu instid0(VALU_DEP_2)
	v_lshl_add_u64 v[46:47], v[16:17], 4, v[22:23]
	v_and_or_b32 v44, vcc_lo, v34, 0x80000000
	s_clause 0x1
	global_load_u8 v45, v[46:47], off offset:8
	global_load_b64 v[22:23], v[46:47], off
	v_ctz_i32_b32_e32 v44, v44
	s_wait_loadcnt 0x1
	s_wait_xcnt 0x0
	v_and_b32_e32 v46, 1, v45
	s_wait_loadcnt 0x0
	ds_bpermute_b32 v48, v33, v22
	ds_bpermute_b32 v49, v33, v23
	;; [unrolled: 1-line block ×3, first 2 shown]
	v_cmpx_lt_u32_e64 v31, v44
	s_cbranch_execz .LBB704_122
; %bb.121:                              ;   in Loop: Header=BB704_115 Depth=1
	v_and_b32_e32 v46, 0xff, v45
	s_wait_dscnt 0x0
	v_bitop3_b16 v45, v47, v45, 1 bitop3:0xec
	s_delay_alu instid0(VALU_DEP_2) | instskip(NEXT) | instid1(VALU_DEP_2)
	v_cmp_eq_u16_e32 vcc_lo, 0, v46
	v_and_b32_e32 v46, 0xff, v45
	v_dual_cndmask_b32 v49, 0, v49 :: v_dual_cndmask_b32 v48, 0, v48
	s_delay_alu instid0(VALU_DEP_1)
	v_add_nc_u64_e32 v[22:23], v[48:49], v[22:23]
.LBB704_122:                            ;   in Loop: Header=BB704_115 Depth=1
	s_or_b32 exec_lo, exec_lo, s17
	s_wait_dscnt 0x0
	ds_bpermute_b32 v47, v35, v22
	ds_bpermute_b32 v48, v35, v23
	;; [unrolled: 1-line block ×3, first 2 shown]
	v_and_b32_e32 v50, 1, v45
	s_mov_b32 s17, exec_lo
	s_delay_alu instid0(VALU_DEP_1)
	v_cmp_eq_u32_e64 s18, 1, v50
	v_cmpx_le_u32_e64 v36, v44
	s_cbranch_execz .LBB704_124
; %bb.123:                              ;   in Loop: Header=BB704_115 Depth=1
	v_and_b32_e32 v45, 0xff, v45
	s_delay_alu instid0(VALU_DEP_1) | instskip(SKIP_3) | instid1(VALU_DEP_2)
	v_cmp_eq_u16_e32 vcc_lo, 0, v45
	s_wait_dscnt 0x0
	v_dual_cndmask_b32 v49, 0, v48, vcc_lo :: v_dual_bitop2_b32 v45, 1, v49 bitop3:0x40
	v_cndmask_b32_e32 v48, 0, v47, vcc_lo
	v_cmp_eq_u32_e32 vcc_lo, 1, v45
	s_delay_alu instid0(VALU_DEP_2)
	v_add_nc_u64_e32 v[22:23], v[48:49], v[22:23]
	s_or_b32 s19, s18, vcc_lo
	s_and_not1_b32 s18, s18, exec_lo
	v_cndmask_b32_e64 v45, 0, 1, s19
	v_cndmask_b32_e64 v46, 0, 1, s19
	s_and_b32 s19, s19, exec_lo
	s_delay_alu instid0(SALU_CYCLE_1)
	s_or_b32 s18, s18, s19
.LBB704_124:                            ;   in Loop: Header=BB704_115 Depth=1
	s_or_b32 exec_lo, exec_lo, s17
	s_wait_dscnt 0x2
	ds_bpermute_b32 v47, v37, v22
	s_wait_dscnt 0x2
	ds_bpermute_b32 v48, v37, v23
	;; [unrolled: 2-line block ×3, first 2 shown]
	s_mov_b32 s19, exec_lo
	v_cmpx_le_u32_e64 v38, v44
	s_cbranch_execz .LBB704_126
; %bb.125:                              ;   in Loop: Header=BB704_115 Depth=1
	v_and_b32_e32 v46, 0xff, v45
	s_and_not1_b32 s18, s18, exec_lo
	s_delay_alu instid0(VALU_DEP_1) | instskip(SKIP_3) | instid1(VALU_DEP_2)
	v_cmp_eq_u16_e32 vcc_lo, 0, v46
	v_and_b32_e32 v45, 1, v45
	s_wait_dscnt 0x0
	v_dual_cndmask_b32 v49, 0, v48, vcc_lo :: v_dual_bitop2_b32 v46, 1, v49 bitop3:0x40
	v_cmp_eq_u32_e64 s17, 1, v45
	v_cndmask_b32_e32 v48, 0, v47, vcc_lo
	s_delay_alu instid0(VALU_DEP_3) | instskip(NEXT) | instid1(VALU_DEP_2)
	v_cmp_eq_u32_e32 vcc_lo, 1, v46
	v_add_nc_u64_e32 v[22:23], v[48:49], v[22:23]
	s_or_b32 s17, s17, vcc_lo
	s_delay_alu instid0(SALU_CYCLE_1) | instskip(SKIP_2) | instid1(SALU_CYCLE_1)
	v_cndmask_b32_e64 v45, 0, 1, s17
	v_cndmask_b32_e64 v46, 0, 1, s17
	s_and_b32 s17, s17, exec_lo
	s_or_b32 s18, s18, s17
.LBB704_126:                            ;   in Loop: Header=BB704_115 Depth=1
	s_or_b32 exec_lo, exec_lo, s19
	s_wait_dscnt 0x2
	ds_bpermute_b32 v47, v39, v22
	s_wait_dscnt 0x2
	ds_bpermute_b32 v48, v39, v23
	s_wait_dscnt 0x2
	ds_bpermute_b32 v49, v39, v46
	s_mov_b32 s19, exec_lo
	v_cmpx_le_u32_e64 v40, v44
	s_cbranch_execz .LBB704_128
; %bb.127:                              ;   in Loop: Header=BB704_115 Depth=1
	v_and_b32_e32 v46, 0xff, v45
	s_and_not1_b32 s18, s18, exec_lo
	s_delay_alu instid0(VALU_DEP_1) | instskip(SKIP_3) | instid1(VALU_DEP_2)
	v_cmp_eq_u16_e32 vcc_lo, 0, v46
	v_and_b32_e32 v45, 1, v45
	s_wait_dscnt 0x0
	v_dual_cndmask_b32 v49, 0, v48, vcc_lo :: v_dual_bitop2_b32 v46, 1, v49 bitop3:0x40
	v_cmp_eq_u32_e64 s17, 1, v45
	v_cndmask_b32_e32 v48, 0, v47, vcc_lo
	s_delay_alu instid0(VALU_DEP_3) | instskip(NEXT) | instid1(VALU_DEP_2)
	v_cmp_eq_u32_e32 vcc_lo, 1, v46
	v_add_nc_u64_e32 v[22:23], v[48:49], v[22:23]
	s_or_b32 s17, s17, vcc_lo
	s_delay_alu instid0(SALU_CYCLE_1) | instskip(SKIP_2) | instid1(SALU_CYCLE_1)
	v_cndmask_b32_e64 v45, 0, 1, s17
	v_cndmask_b32_e64 v46, 0, 1, s17
	s_and_b32 s17, s17, exec_lo
	s_or_b32 s18, s18, s17
.LBB704_128:                            ;   in Loop: Header=BB704_115 Depth=1
	s_or_b32 exec_lo, exec_lo, s19
	s_wait_dscnt 0x2
	ds_bpermute_b32 v47, v41, v22
	s_wait_dscnt 0x2
	ds_bpermute_b32 v48, v41, v23
	ds_bpermute_b32 v46, v41, v46
	s_mov_b32 s19, exec_lo
	v_cmpx_le_u32_e64 v43, v44
	s_cbranch_execz .LBB704_113
; %bb.129:                              ;   in Loop: Header=BB704_115 Depth=1
	v_and_b32_e32 v44, 0xff, v45
	s_and_not1_b32 s18, s18, exec_lo
	s_delay_alu instid0(VALU_DEP_1)
	v_cmp_eq_u16_e32 vcc_lo, 0, v44
	s_wait_dscnt 0x3
	v_and_b32_e32 v49, 1, v45
	s_wait_dscnt 0x0
	v_dual_cndmask_b32 v44, 0, v47, vcc_lo :: v_dual_bitop2_b32 v46, 1, v46 bitop3:0x40
	v_cndmask_b32_e32 v45, 0, v48, vcc_lo
	s_delay_alu instid0(VALU_DEP_3) | instskip(NEXT) | instid1(VALU_DEP_3)
	v_cmp_eq_u32_e32 vcc_lo, 1, v49
	v_cmp_eq_u32_e64 s17, 1, v46
	s_delay_alu instid0(VALU_DEP_3) | instskip(SKIP_1) | instid1(SALU_CYCLE_1)
	v_add_nc_u64_e32 v[22:23], v[44:45], v[22:23]
	s_or_b32 s17, vcc_lo, s17
	s_and_b32 s17, s17, exec_lo
	s_delay_alu instid0(SALU_CYCLE_1)
	s_or_b32 s18, s18, s17
	s_branch .LBB704_113
.LBB704_130:
	s_or_b32 exec_lo, exec_lo, s20
                                        ; implicit-def: $vgpr4_vgpr5
	s_and_saveexec_b32 s20, s1
	s_cbranch_execz .LBB704_35
.LBB704_131:
	flat_load_b64 v[4:5], v0, s[16:17] offset:2048 scale_offset
	s_wait_xcnt 0x0
	s_or_b32 exec_lo, exec_lo, s20
                                        ; implicit-def: $vgpr6_vgpr7
	s_and_saveexec_b32 s1, s4
	s_cbranch_execnz .LBB704_36
.LBB704_132:
	s_or_b32 exec_lo, exec_lo, s1
                                        ; implicit-def: $vgpr8_vgpr9
	s_and_saveexec_b32 s1, s5
	s_cbranch_execz .LBB704_37
.LBB704_133:
	flat_load_b64 v[8:9], v0, s[16:17] offset:6144 scale_offset
	s_wait_xcnt 0x0
	s_or_b32 exec_lo, exec_lo, s1
                                        ; implicit-def: $vgpr10_vgpr11
	s_and_saveexec_b32 s1, s6
	s_cbranch_execnz .LBB704_38
.LBB704_134:
	s_or_b32 exec_lo, exec_lo, s1
                                        ; implicit-def: $vgpr12_vgpr13
	s_and_saveexec_b32 s1, s7
	s_cbranch_execz .LBB704_39
.LBB704_135:
	flat_load_b64 v[12:13], v0, s[16:17] offset:10240 scale_offset
	s_wait_xcnt 0x0
	s_or_b32 exec_lo, exec_lo, s1
                                        ; implicit-def: $vgpr14_vgpr15
	s_and_saveexec_b32 s1, s8
	s_cbranch_execnz .LBB704_40
.LBB704_136:
	s_or_b32 exec_lo, exec_lo, s1
                                        ; implicit-def: $vgpr16_vgpr17
	s_and_saveexec_b32 s1, s9
	s_cbranch_execz .LBB704_41
.LBB704_137:
	flat_load_b64 v[16:17], v0, s[16:17] offset:14336 scale_offset
	s_wait_xcnt 0x0
	s_or_b32 exec_lo, exec_lo, s1
                                        ; implicit-def: $vgpr18_vgpr19
	s_and_saveexec_b32 s1, s10
	s_cbranch_execnz .LBB704_42
.LBB704_138:
	s_or_b32 exec_lo, exec_lo, s1
                                        ; implicit-def: $vgpr20_vgpr21
	s_and_saveexec_b32 s1, s11
	s_cbranch_execz .LBB704_43
.LBB704_139:
	flat_load_b64 v[20:21], v0, s[16:17] offset:18432 scale_offset
	s_wait_xcnt 0x0
	s_or_b32 exec_lo, exec_lo, s1
                                        ; implicit-def: $vgpr22_vgpr23
	s_and_saveexec_b32 s1, s12
	s_cbranch_execnz .LBB704_44
.LBB704_140:
	s_or_b32 exec_lo, exec_lo, s1
                                        ; implicit-def: $vgpr24_vgpr25
	s_and_saveexec_b32 s1, s13
	s_cbranch_execz .LBB704_45
.LBB704_141:
	flat_load_b64 v[24:25], v0, s[16:17] offset:22528 scale_offset
	s_wait_xcnt 0x0
	s_or_b32 exec_lo, exec_lo, s1
                                        ; implicit-def: $vgpr26_vgpr27
	s_and_saveexec_b32 s1, s14
	s_cbranch_execz .LBB704_47
	s_branch .LBB704_46
.LBB704_142:
                                        ; implicit-def: $vgpr52_vgpr53
                                        ; implicit-def: $vgpr48_vgpr49
                                        ; implicit-def: $vgpr44_vgpr45
                                        ; implicit-def: $vgpr40_vgpr41
                                        ; implicit-def: $vgpr36_vgpr37
                                        ; implicit-def: $vgpr32_vgpr33
                                        ; implicit-def: $vgpr18_vgpr19
	s_cbranch_execnz .LBB704_196
.LBB704_143:
	s_add_nc_u64 s[2:3], s[26:27], s[34:35]
	s_and_b32 vcc_lo, exec_lo, s0
	s_add_nc_u64 s[0:1], s[2:3], s[28:29]
	s_cbranch_vccz .LBB704_215
.LBB704_144:
	v_mul_u32_u24_e32 v1, 14, v0
	s_add_co_i32 s25, s25, s42
	s_mov_b32 s2, exec_lo
	s_delay_alu instid0(VALU_DEP_1)
	v_cmpx_gt_u32_e64 s25, v1
	s_cbranch_execz .LBB704_164
; %bb.145:
	v_or_b32_e32 v2, 1, v1
	s_mov_b32 s3, exec_lo
	s_delay_alu instid0(VALU_DEP_1)
	v_cmpx_gt_u32_e64 s25, v2
	s_cbranch_execz .LBB704_163
; %bb.146:
	v_add_nc_u32_e32 v2, 2, v1
	s_mov_b32 s4, exec_lo
	s_delay_alu instid0(VALU_DEP_1)
	v_cmpx_gt_u32_e64 s25, v2
	s_cbranch_execz .LBB704_162
; %bb.147:
	v_add_nc_u32_e32 v2, 3, v1
	;; [unrolled: 6-line block ×8, first 2 shown]
	s_mov_b32 s11, exec_lo
	s_delay_alu instid0(VALU_DEP_1)
	v_cmpx_gt_u32_e64 s25, v2
; %bb.154:
	v_add_nc_u32_e32 v2, 10, v1
	s_mov_b32 s12, exec_lo
	s_delay_alu instid0(VALU_DEP_1)
	v_cmpx_gt_u32_e64 s25, v2
	s_or_b32 exec_lo, exec_lo, s12
; %bb.155:
	s_delay_alu instid0(SALU_CYCLE_1)
	s_or_b32 exec_lo, exec_lo, s11
.LBB704_156:
	s_delay_alu instid0(SALU_CYCLE_1)
	s_or_b32 exec_lo, exec_lo, s10
.LBB704_157:
	s_delay_alu instid0(SALU_CYCLE_1)
	s_or_b32 exec_lo, exec_lo, s9
.LBB704_158:
	s_delay_alu instid0(SALU_CYCLE_1)
	s_or_b32 exec_lo, exec_lo, s8
.LBB704_159:
	s_delay_alu instid0(SALU_CYCLE_1)
	s_or_b32 exec_lo, exec_lo, s7
.LBB704_160:
	s_delay_alu instid0(SALU_CYCLE_1)
	s_or_b32 exec_lo, exec_lo, s6
.LBB704_161:
	s_delay_alu instid0(SALU_CYCLE_1)
	s_or_b32 exec_lo, exec_lo, s5
.LBB704_162:
	s_delay_alu instid0(SALU_CYCLE_1)
	s_or_b32 exec_lo, exec_lo, s4
.LBB704_163:
	s_delay_alu instid0(SALU_CYCLE_1)
	s_or_b32 exec_lo, exec_lo, s3
.LBB704_164:
	s_delay_alu instid0(SALU_CYCLE_1)
	s_or_b32 exec_lo, exec_lo, s2
	v_dual_lshlrev_b32 v1, 3, v1 :: v_dual_mov_b32 v63, 0
	s_wait_loadcnt 0x0
	s_wait_storecnt 0x0
	s_barrier_signal -1
	s_barrier_wait -1
	v_mad_i32_i24 v2, 0xffffff98, v0, v1
	ds_store_b128 v1, v[16:19]
	ds_store_b128 v1, v[30:33] offset:16
	ds_store_b128 v1, v[34:37] offset:32
	;; [unrolled: 1-line block ×6, first 2 shown]
	s_wait_dscnt 0x0
	s_barrier_signal -1
	s_barrier_wait -1
	ds_load_2addr_stride64_b64 v[58:61], v2 offset0:4 offset1:8
	ds_load_2addr_stride64_b64 v[54:57], v2 offset0:12 offset1:16
	;; [unrolled: 1-line block ×6, first 2 shown]
	ds_load_b64 v[4:5], v2 offset:26624
	v_add_nc_u64_e32 v[2:3], s[0:1], v[62:63]
	s_mov_b32 s2, exec_lo
	v_cmpx_gt_u32_e64 s25, v0
	s_cbranch_execz .LBB704_166
; %bb.165:
	v_mul_i32_i24_e32 v14, 0xffffff98, v0
	s_delay_alu instid0(VALU_DEP_1)
	v_add_nc_u32_e32 v1, v1, v14
	ds_load_b64 v[14:15], v1
	s_wait_dscnt 0x0
	flat_store_b64 v[2:3], v[14:15]
.LBB704_166:
	s_wait_xcnt 0x0
	s_or_b32 exec_lo, exec_lo, s2
	v_or_b32_e32 v1, 0x100, v0
	s_mov_b32 s2, exec_lo
	s_delay_alu instid0(VALU_DEP_1)
	v_cmpx_gt_u32_e64 s25, v1
	s_cbranch_execz .LBB704_168
; %bb.167:
	s_wait_dscnt 0x6
	flat_store_b64 v[2:3], v[58:59] offset:2048
.LBB704_168:
	s_wait_xcnt 0x0
	s_or_b32 exec_lo, exec_lo, s2
	v_or_b32_e32 v1, 0x200, v0
	s_mov_b32 s2, exec_lo
	s_delay_alu instid0(VALU_DEP_1)
	v_cmpx_gt_u32_e64 s25, v1
	s_cbranch_execz .LBB704_170
; %bb.169:
	s_wait_dscnt 0x6
	flat_store_b64 v[2:3], v[60:61] offset:4096
.LBB704_170:
	;; [unrolled: 11-line block ×12, first 2 shown]
	s_wait_xcnt 0x0
	s_or_b32 exec_lo, exec_lo, s2
	v_or_b32_e32 v1, 0xd00, v0
	s_delay_alu instid0(VALU_DEP_1)
	v_cmp_gt_u32_e64 s2, s25, v1
	s_branch .LBB704_217
.LBB704_191:
	s_and_saveexec_b32 s17, s16
	s_cbranch_execz .LBB704_193
; %bb.192:
	v_and_b32_e32 v16, 0xff, v30
	s_add_co_i32 s18, s33, 32
	s_mov_b32 s19, 0
	v_mov_b32_e32 v23, s18
	v_bitop3_b16 v22, v30, 1, v42 bitop3:0xc8
	v_cmp_eq_u32_e32 vcc_lo, 0, v16
	s_lshl_b64 s[22:23], s[18:19], 4
	s_delay_alu instid0(SALU_CYCLE_1) | instskip(SKIP_1) | instid1(VALU_DEP_1)
	s_add_nc_u64 s[18:19], s[38:39], s[22:23]
	v_dual_cndmask_b32 v17, 0, v19 :: v_dual_cndmask_b32 v16, 0, v18
	v_add_nc_u64_e32 v[10:11], v[16:17], v[10:11]
	v_dual_mov_b32 v16, 0 :: v_dual_mov_b32 v17, 2
	s_clause 0x1
	global_store_b64 v16, v[10:11], s[18:19]
	global_store_b8 v16, v22, s[18:19] offset:8
	global_wb scope:SCOPE_DEV
	s_wait_storecnt_dscnt 0x0
	global_inv scope:SCOPE_DEV
	s_wait_xcnt 0x0
	global_store_b8 v23, v17, s[40:41] scope:SCOPE_DEV
.LBB704_193:
	s_wait_xcnt 0x0
	s_or_b32 exec_lo, exec_lo, s17
	s_delay_alu instid0(SALU_CYCLE_1)
	s_and_b32 exec_lo, exec_lo, s2
	s_cbranch_execz .LBB704_195
; %bb.194:
	v_mov_b32_e32 v10, 0
	ds_store_b64 v10, v[18:19]
	ds_store_b8 v10, v42 offset:8
.LBB704_195:
	s_or_b32 exec_lo, exec_lo, s21
	v_dual_mov_b32 v11, 0 :: v_dual_bitop2_b32 v10, 1, v1 bitop3:0x40
	s_wait_storecnt 0x0
	s_wait_loadcnt_dscnt 0x0
	s_barrier_signal -1
	s_barrier_wait -1
	v_cmp_eq_u32_e32 vcc_lo, 1, v10
	v_and_b32_e32 v16, 0xff, v1
	ds_load_b64 v[10:11], v11
	s_or_b32 s16, vcc_lo, s20
	v_cmp_eq_u16_e32 vcc_lo, 0, v16
	v_cndmask_b32_e64 v17, 0, 1, s16
	s_delay_alu instid0(VALU_DEP_1) | instskip(SKIP_1) | instid1(VALU_DEP_2)
	v_dual_cndmask_b32 v7, 0, v7, vcc_lo :: v_dual_cndmask_b32 v16, v17, v1, s2
	v_cndmask_b32_e32 v6, 0, v6, vcc_lo
	v_and_b32_e32 v16, 0xff, v16
	s_delay_alu instid0(VALU_DEP_2) | instskip(NEXT) | instid1(VALU_DEP_2)
	v_cndmask_b32_e64 v6, v6, 0, s2
	v_cmp_eq_u16_e32 vcc_lo, 0, v16
	s_wait_dscnt 0x0
	v_cndmask_b32_e32 v10, 0, v10, vcc_lo
	v_cndmask_b32_e64 v7, v7, 0, s2
	v_cndmask_b32_e32 v11, 0, v11, vcc_lo
	s_delay_alu instid0(VALU_DEP_2) | instskip(NEXT) | instid1(VALU_DEP_1)
	v_add_nc_u64_e32 v[6:7], v[6:7], v[2:3]
	v_add_nc_u64_e32 v[16:17], v[6:7], v[10:11]
	s_delay_alu instid0(VALU_DEP_1) | instskip(NEXT) | instid1(VALU_DEP_1)
	v_dual_cndmask_b32 v7, 0, v17, s4 :: v_dual_cndmask_b32 v6, 0, v16, s4
	v_add_nc_u64_e32 v[18:19], v[6:7], v[4:5]
	s_delay_alu instid0(VALU_DEP_1) | instskip(NEXT) | instid1(VALU_DEP_1)
	v_dual_cndmask_b32 v7, 0, v19, s5 :: v_dual_cndmask_b32 v6, 0, v18, s5
	;; [unrolled: 3-line block ×13, first 2 shown]
	v_add_nc_u64_e32 v[52:53], v[6:7], v[58:59]
	s_branch .LBB704_143
.LBB704_196:
	s_cmp_lg_u64 s[44:45], 0
	s_cselect_b32 s1, -1, 0
	s_cmp_lg_u64 s[30:31], 0
	s_cselect_b32 s4, -1, 0
	s_delay_alu instid0(SALU_CYCLE_1) | instskip(NEXT) | instid1(SALU_CYCLE_1)
	s_and_b32 s1, s1, s4
	s_and_b32 s4, s2, s1
	s_delay_alu instid0(SALU_CYCLE_1)
	s_and_saveexec_b32 s1, s4
	s_cbranch_execz .LBB704_198
; %bb.197:
	v_mov_b32_e32 v10, 0
	s_clause 0x1
	global_load_b64 v[6:7], v10, s[30:31]
	global_load_u8 v11, v10, s[30:31] offset:8
	s_wait_xcnt 0x0
	v_and_b32_e32 v10, 0xff, v1
	s_delay_alu instid0(VALU_DEP_1) | instskip(SKIP_4) | instid1(VALU_DEP_2)
	v_cmp_eq_u16_e32 vcc_lo, 0, v10
	s_wait_loadcnt 0x1
	v_dual_cndmask_b32 v7, 0, v7 :: v_dual_cndmask_b32 v6, 0, v6
	s_wait_loadcnt 0x0
	v_bitop3_b16 v1, v1, 1, v11 bitop3:0xc8
	v_add_nc_u64_e32 v[2:3], v[6:7], v[2:3]
.LBB704_198:
	s_or_b32 exec_lo, exec_lo, s1
	v_cmp_eq_u16_e32 vcc_lo, 0, v78
	v_cmp_eq_u16_e64 s1, 0, v77
	v_cmp_eq_u16_e64 s4, 0, v76
	;; [unrolled: 1-line block ×4, first 2 shown]
	v_dual_cndmask_b32 v7, 0, v3 :: v_dual_cndmask_b32 v6, 0, v2
	v_cmp_eq_u16_e64 s7, 0, v73
	v_cmp_eq_u16_e64 s8, 0, v72
	;; [unrolled: 1-line block ×4, first 2 shown]
	v_add_nc_u64_e32 v[18:19], v[6:7], v[4:5]
	v_cmp_eq_u16_e64 s11, 0, v69
	v_cmp_eq_u16_e64 s12, 0, v68
	;; [unrolled: 1-line block ×3, first 2 shown]
	v_cmp_ne_u16_e64 s20, 0, v66
	v_cmp_eq_u32_e64 s21, 1, v26
	v_bitop3_b16 v10, v1, 0xff, v90 bitop3:0xc8
	v_dual_cndmask_b32 v7, 0, v19, s1 :: v_dual_cndmask_b32 v6, 0, v18, s1
	v_cmp_ne_u16_e64 s18, 0, v65
	v_cmp_eq_u32_e64 s19, 1, v27
	v_cmp_ne_u16_e64 s22, 0, v63
	v_cmp_eq_u16_e64 s14, 0, v60
	v_add_nc_u64_e32 v[30:31], v[6:7], v[88:89]
	v_cmp_ne_u16_e64 s16, 0, v64
	v_cmp_eq_u32_e64 s17, 1, v54
	s_or_b32 s20, s20, s21
	v_cmp_eq_u32_e64 s15, 1, v61
	v_cmp_ne_u16_e64 s23, 0, v10
	s_or_b32 s18, s18, s19
	v_dual_cndmask_b32 v7, 0, v31, s4 :: v_dual_cndmask_b32 v6, 0, v30, s4
	s_or_b32 s19, s22, s20
	s_or_b32 s16, s16, s17
	;; [unrolled: 1-line block ×3, first 2 shown]
	v_and_b32_e32 v11, 0x70, v55
	v_add_nc_u64_e32 v[32:33], v[6:7], v[28:29]
	s_or_b32 s15, s23, s15
	s_or_b32 s16, s17, s16
	s_mov_b32 s18, exec_lo
	s_or_b32 s15, s16, s15
	s_delay_alu instid0(SALU_CYCLE_1) | instskip(NEXT) | instid1(VALU_DEP_2)
	v_cndmask_b32_e64 v17, 0, 1, s15
	v_dual_cndmask_b32 v7, 0, v33, s5 :: v_dual_cndmask_b32 v6, 0, v32, s5
	s_delay_alu instid0(VALU_DEP_1) | instskip(NEXT) | instid1(VALU_DEP_1)
	v_add_nc_u64_e32 v[34:35], v[6:7], v[86:87]
	v_dual_cndmask_b32 v7, 0, v35, s6 :: v_dual_cndmask_b32 v6, 0, v34, s6
	s_delay_alu instid0(VALU_DEP_1) | instskip(NEXT) | instid1(VALU_DEP_1)
	v_add_nc_u64_e32 v[36:37], v[6:7], v[24:25]
	;; [unrolled: 3-line block ×9, first 2 shown]
	v_dual_cndmask_b32 v7, 0, v51, s14 :: v_dual_cndmask_b32 v6, 0, v50, s14
	s_delay_alu instid0(VALU_DEP_1)
	v_add_nc_u64_e32 v[52:53], v[6:7], v[58:59]
	v_lshl_add_u32 v6, v0, 4, v11
	ds_store_b64 v6, v[52:53]
	ds_store_b8 v6, v17 offset:8
	s_wait_dscnt 0x0
	s_barrier_signal -1
	s_barrier_wait -1
	v_cmpx_gt_u32_e32 32, v0
	s_cbranch_execz .LBB704_210
; %bb.199:
	v_dual_lshlrev_b32 v6, 2, v0 :: v_dual_lshlrev_b32 v7, 7, v0
	s_delay_alu instid0(VALU_DEP_1) | instskip(NEXT) | instid1(VALU_DEP_1)
	v_and_b32_e32 v6, 0x3f0, v6
	v_add_nc_u32_e32 v16, v6, v7
	ds_load_u8 v23, v16 offset:24
	ds_load_b64 v[6:7], v16
	ds_load_2addr_b64 v[64:67], v16 offset0:2 offset1:4
	ds_load_u8 v26, v16 offset:40
	ds_load_b32 v22, v16 offset:8
	ds_load_u8 v27, v16 offset:56
	ds_load_u8 v54, v16 offset:72
	;; [unrolled: 1-line block ×4, first 2 shown]
	s_wait_dscnt 0x8
	v_cmp_eq_u16_e64 s15, 0, v23
	s_wait_dscnt 0x7
	s_delay_alu instid0(VALU_DEP_1)
	v_dual_cndmask_b32 v11, 0, v7, s15 :: v_dual_cndmask_b32 v10, 0, v6, s15
	s_wait_dscnt 0x5
	v_cmp_eq_u16_e64 s15, 0, v26
	ds_load_2addr_b64 v[68:71], v16 offset0:6 offset1:8
	s_wait_dscnt 0x4
	v_bitop3_b16 v23, v26, v27, v23 bitop3:0xfe
	s_wait_dscnt 0x1
	v_bitop3_b16 v26, v55, v60, v54 bitop3:0xfe
	v_add_nc_u64_e32 v[10:11], v[10:11], v[64:65]
	s_delay_alu instid0(VALU_DEP_1) | instskip(SKIP_1) | instid1(VALU_DEP_2)
	v_dual_cndmask_b32 v11, 0, v11, s15 :: v_dual_cndmask_b32 v10, 0, v10, s15
	v_cmp_eq_u16_e64 s15, 0, v27
	v_add_nc_u64_e32 v[10:11], v[10:11], v[66:67]
	ds_load_2addr_b64 v[64:67], v16 offset0:10 offset1:12
	ds_load_u8 v61, v16 offset:120
	v_dual_cndmask_b32 v11, 0, v11, s15 :: v_dual_cndmask_b32 v10, 0, v10, s15
	v_cmp_eq_u16_e64 s15, 0, v54
	s_wait_dscnt 0x2
	s_delay_alu instid0(VALU_DEP_2) | instskip(NEXT) | instid1(VALU_DEP_1)
	v_add_nc_u64_e32 v[10:11], v[10:11], v[68:69]
	v_dual_cndmask_b32 v11, 0, v11, s15 :: v_dual_cndmask_b32 v10, 0, v10, s15
	v_cmp_eq_u16_e64 s15, 0, v55
	s_wait_dscnt 0x0
	v_bitop3_b16 v23, v61, v23, v26 bitop3:0xfe
	ds_load_b64 v[54:55], v16 offset:112
	v_cmp_eq_u16_e64 s17, 0, v61
	v_add_nc_u64_e32 v[10:11], v[10:11], v[70:71]
	s_delay_alu instid0(VALU_DEP_1) | instskip(NEXT) | instid1(VALU_DEP_2)
	v_dual_cndmask_b32 v10, 0, v10, s15 :: v_dual_bitop2_b32 v23, 1, v23 bitop3:0x40
	v_cndmask_b32_e64 v11, 0, v11, s15
	v_cmp_eq_u16_e64 s15, 0, v60
	s_delay_alu instid0(VALU_DEP_3) | instskip(SKIP_1) | instid1(VALU_DEP_4)
	v_cmp_eq_u32_e64 s16, 1, v23
	v_and_b32_e32 v23, 0xffffff00, v22
	v_add_nc_u64_e32 v[10:11], v[10:11], v[64:65]
	s_delay_alu instid0(VALU_DEP_1) | instskip(NEXT) | instid1(VALU_DEP_2)
	v_dual_cndmask_b32 v11, 0, v11, s15 :: v_dual_bitop2_b32 v26, 1, v22 bitop3:0x40
	v_cndmask_b32_e64 v10, 0, v10, s15
	s_delay_alu instid0(VALU_DEP_2) | instskip(SKIP_1) | instid1(VALU_DEP_3)
	v_cmp_eq_u32_e64 s15, 1, v26
	v_mbcnt_lo_u32_b32 v26, -1, 0
	v_add_nc_u64_e32 v[10:11], v[10:11], v[66:67]
	s_or_b32 s16, s16, s15
	s_delay_alu instid0(SALU_CYCLE_1) | instskip(SKIP_1) | instid1(VALU_DEP_3)
	v_cndmask_b32_e64 v60, 0, 1, s16
	v_cndmask_b32_e64 v27, 0, 1, s16
	v_dual_cndmask_b32 v11, 0, v11, s17 :: v_dual_cndmask_b32 v10, 0, v10, s17
	s_mov_b32 s17, exec_lo
	s_wait_dscnt 0x0
	s_delay_alu instid0(VALU_DEP_1) | instskip(SKIP_2) | instid1(VALU_DEP_2)
	v_add_nc_u64_e32 v[10:11], v[10:11], v[54:55]
	v_or_b32_e32 v55, v23, v60
	v_and_b32_e32 v54, 15, v26
	v_mov_b32_dpp v61, v55 row_shr:1 row_mask:0xf bank_mask:0xf
	s_delay_alu instid0(VALU_DEP_4) | instskip(SKIP_1) | instid1(VALU_DEP_4)
	v_mov_b32_dpp v60, v10 row_shr:1 row_mask:0xf bank_mask:0xf
	v_mov_b32_dpp v63, v11 row_shr:1 row_mask:0xf bank_mask:0xf
	v_cmpx_ne_u32_e32 0, v54
; %bb.200:
	s_delay_alu instid0(VALU_DEP_4) | instskip(NEXT) | instid1(VALU_DEP_3)
	v_bitop3_b16 v27, v61, v27, 1 bitop3:0xec
	v_cndmask_b32_e64 v61, v63, 0, s16
	v_cndmask_b32_e64 v60, v60, 0, s16
	s_delay_alu instid0(VALU_DEP_3) | instskip(NEXT) | instid1(VALU_DEP_2)
	v_and_b32_e32 v55, 0xffff, v27
	v_add_nc_u64_e32 v[10:11], v[60:61], v[10:11]
	s_delay_alu instid0(VALU_DEP_2)
	v_or_b32_e32 v55, v23, v55
; %bb.201:
	s_or_b32 exec_lo, exec_lo, s17
	s_delay_alu instid0(VALU_DEP_2) | instskip(NEXT) | instid1(VALU_DEP_3)
	v_mov_b32_dpp v60, v10 row_shr:2 row_mask:0xf bank_mask:0xf
	v_mov_b32_dpp v61, v11 row_shr:2 row_mask:0xf bank_mask:0xf
	s_delay_alu instid0(VALU_DEP_3)
	v_mov_b32_dpp v63, v55 row_shr:2 row_mask:0xf bank_mask:0xf
	s_mov_b32 s19, exec_lo
	v_cmpx_lt_u32_e32 1, v54
	s_cbranch_execz .LBB704_203
; %bb.202:
	v_cmp_eq_u16_e64 s15, 0, v27
	v_and_b32_e32 v55, 1, v27
	s_delay_alu instid0(VALU_DEP_2) | instskip(SKIP_1) | instid1(VALU_DEP_3)
	v_dual_cndmask_b32 v60, 0, v60, s15 :: v_dual_bitop2_b32 v63, 1, v63 bitop3:0x40
	v_cndmask_b32_e64 v61, 0, v61, s15
	v_cmp_eq_u32_e64 s16, 1, v55
	s_delay_alu instid0(VALU_DEP_3) | instskip(NEXT) | instid1(VALU_DEP_3)
	v_cmp_eq_u32_e64 s17, 1, v63
	v_add_nc_u64_e32 v[10:11], v[60:61], v[10:11]
	s_or_b32 s15, s16, s17
	s_delay_alu instid0(SALU_CYCLE_1) | instskip(SKIP_1) | instid1(VALU_DEP_2)
	v_cndmask_b32_e64 v55, 0, 1, s15
	v_cndmask_b32_e64 v27, 0, 1, s15
	v_or_b32_e32 v55, v23, v55
.LBB704_203:
	s_or_b32 exec_lo, exec_lo, s19
	s_delay_alu instid0(VALU_DEP_4) | instskip(SKIP_1) | instid1(VALU_DEP_3)
	v_mov_b32_dpp v60, v10 row_shr:4 row_mask:0xf bank_mask:0xf
	v_mov_b32_dpp v61, v11 row_shr:4 row_mask:0xf bank_mask:0xf
	;; [unrolled: 1-line block ×3, first 2 shown]
	s_mov_b32 s19, exec_lo
	v_cmpx_lt_u32_e32 3, v54
	s_cbranch_execz .LBB704_205
; %bb.204:
	v_cmp_eq_u16_e64 s15, 0, v27
	v_and_b32_e32 v55, 1, v27
	s_delay_alu instid0(VALU_DEP_2) | instskip(SKIP_1) | instid1(VALU_DEP_3)
	v_dual_cndmask_b32 v60, 0, v60, s15 :: v_dual_bitop2_b32 v63, 1, v63 bitop3:0x40
	v_cndmask_b32_e64 v61, 0, v61, s15
	v_cmp_eq_u32_e64 s16, 1, v55
	s_delay_alu instid0(VALU_DEP_3) | instskip(NEXT) | instid1(VALU_DEP_3)
	v_cmp_eq_u32_e64 s17, 1, v63
	v_add_nc_u64_e32 v[10:11], v[60:61], v[10:11]
	s_or_b32 s15, s16, s17
	s_delay_alu instid0(SALU_CYCLE_1) | instskip(SKIP_1) | instid1(VALU_DEP_2)
	v_cndmask_b32_e64 v55, 0, 1, s15
	v_cndmask_b32_e64 v27, 0, 1, s15
	v_or_b32_e32 v55, v23, v55
.LBB704_205:
	s_or_b32 exec_lo, exec_lo, s19
	s_delay_alu instid0(VALU_DEP_4) | instskip(SKIP_1) | instid1(VALU_DEP_3)
	v_mov_b32_dpp v60, v10 row_shr:8 row_mask:0xf bank_mask:0xf
	v_mov_b32_dpp v61, v11 row_shr:8 row_mask:0xf bank_mask:0xf
	;; [unrolled: 1-line block ×3, first 2 shown]
	s_mov_b32 s19, exec_lo
	v_cmpx_lt_u32_e32 7, v54
	s_cbranch_execz .LBB704_207
; %bb.206:
	v_cmp_eq_u16_e64 s15, 0, v27
	v_and_b32_e32 v54, 1, v27
	v_and_b32_e32 v55, 1, v63
	s_delay_alu instid0(VALU_DEP_1) | instskip(NEXT) | instid1(VALU_DEP_4)
	v_cmp_eq_u32_e64 s17, 1, v55
	v_cndmask_b32_e64 v55, 0, v61, s15
	s_delay_alu instid0(VALU_DEP_4) | instskip(SKIP_2) | instid1(VALU_DEP_1)
	v_cmp_eq_u32_e64 s16, 1, v54
	v_cndmask_b32_e64 v54, 0, v60, s15
	s_or_b32 s15, s16, s17
	v_add_nc_u64_e32 v[10:11], v[54:55], v[10:11]
	v_cndmask_b32_e64 v60, 0, 1, s15
	v_cndmask_b32_e64 v27, 0, 1, s15
	s_delay_alu instid0(VALU_DEP_2)
	v_or_b32_e32 v55, v23, v60
.LBB704_207:
	s_or_b32 exec_lo, exec_lo, s19
	ds_swizzle_b32 v54, v10 offset:swizzle(BROADCAST,32,15)
	ds_swizzle_b32 v60, v11 offset:swizzle(BROADCAST,32,15)
	;; [unrolled: 1-line block ×3, first 2 shown]
	v_and_b32_e32 v61, 16, v26
	s_mov_b32 s17, exec_lo
	s_delay_alu instid0(VALU_DEP_1)
	v_cmpx_ne_u32_e32 0, v61
	s_cbranch_execz .LBB704_209
; %bb.208:
	v_cmp_eq_u16_e64 s15, 0, v27
	v_and_b32_e32 v27, 1, v27
	s_wait_dscnt 0x0
	s_delay_alu instid0(VALU_DEP_2) | instskip(SKIP_1) | instid1(VALU_DEP_3)
	v_dual_cndmask_b32 v54, 0, v54, s15 :: v_dual_bitop2_b32 v61, 1, v55 bitop3:0x40
	v_cndmask_b32_e64 v55, 0, v60, s15
	v_cmp_eq_u32_e64 s15, 1, v27
	s_delay_alu instid0(VALU_DEP_3) | instskip(NEXT) | instid1(VALU_DEP_3)
	v_cmp_eq_u32_e64 s16, 1, v61
	v_add_nc_u64_e32 v[10:11], v[54:55], v[10:11]
	s_or_b32 s15, s15, s16
	s_delay_alu instid0(SALU_CYCLE_1)
	v_cndmask_b32_e64 v27, 0, 1, s15
.LBB704_209:
	s_or_b32 exec_lo, exec_lo, s17
	s_wait_dscnt 0x2
	v_add_nc_u32_e32 v54, -1, v26
	s_delay_alu instid0(VALU_DEP_2) | instskip(NEXT) | instid1(VALU_DEP_2)
	v_and_b32_e32 v27, 0xffff, v27
	; wave barrier
	v_cmp_gt_i32_e64 s15, 0, v54
	s_delay_alu instid0(VALU_DEP_1) | instskip(NEXT) | instid1(VALU_DEP_1)
	v_dual_cndmask_b32 v26, v54, v26, s15 :: v_dual_bitop2_b32 v23, v23, v27 bitop3:0x54
	v_lshlrev_b32_e32 v26, 2, v26
	ds_bpermute_b32 v11, v26, v11
	ds_bpermute_b32 v10, v26, v10
	;; [unrolled: 1-line block ×3, first 2 shown]
	v_and_b32_e32 v26, 0xff, v22
	s_delay_alu instid0(VALU_DEP_1) | instskip(SKIP_1) | instid1(VALU_DEP_1)
	v_cmp_eq_u32_e64 s15, 0, v26
	s_wait_dscnt 0x1
	v_dual_cndmask_b32 v11, 0, v11, s15 :: v_dual_cndmask_b32 v10, 0, v10, s15
	s_delay_alu instid0(VALU_DEP_1) | instskip(SKIP_1) | instid1(VALU_DEP_1)
	v_add_nc_u64_e32 v[6:7], v[10:11], v[6:7]
	s_wait_dscnt 0x0
	v_dual_cndmask_b32 v6, v6, v52, s2 :: v_dual_bitop2_b32 v22, v23, v22 bitop3:0x54
	s_delay_alu instid0(VALU_DEP_1) | instskip(NEXT) | instid1(VALU_DEP_1)
	v_dual_cndmask_b32 v7, v7, v53, s2 :: v_dual_bitop2_b32 v10, 1, v22 bitop3:0x40
	v_cndmask_b32_e64 v17, v10, v17, s2
	ds_store_b64 v16, v[6:7]
	ds_store_b8 v16, v17 offset:8
	; wave barrier
	ds_load_u8 v63, v16 offset:24
	ds_load_2addr_b64 v[64:67], v16 offset0:2 offset1:4
	ds_load_u8 v72, v16 offset:40
	ds_load_u8 v73, v16 offset:56
	;; [unrolled: 1-line block ×5, first 2 shown]
	ds_load_b64 v[10:11], v16 offset:112
	ds_load_u8 v77, v16 offset:120
	ds_load_2addr_b64 v[68:71], v16 offset0:6 offset1:8
	s_wait_dscnt 0x9
	v_and_b32_e32 v22, 0xff, v63
	s_wait_dscnt 0x6
	v_and_b32_e32 v26, 0xff, v73
	;; [unrolled: 2-line block ×3, first 2 shown]
	v_cmp_eq_u16_e64 s15, 0, v22
	v_and_b32_e32 v22, 0xff, v72
	s_wait_dscnt 0x4
	v_and_b32_e32 v60, 0xff, v75
	s_delay_alu instid0(VALU_DEP_3) | instskip(NEXT) | instid1(VALU_DEP_3)
	v_dual_cndmask_b32 v7, 0, v7, s15 :: v_dual_cndmask_b32 v6, 0, v6, s15
	v_cmp_eq_u16_e64 s15, 0, v22
	s_delay_alu instid0(VALU_DEP_2) | instskip(NEXT) | instid1(VALU_DEP_1)
	v_add_nc_u64_e32 v[6:7], v[6:7], v[64:65]
	v_dual_cndmask_b32 v23, 0, v7, s15 :: v_dual_cndmask_b32 v22, 0, v6, s15
	v_cmp_eq_u16_e64 s15, 0, v26
	s_delay_alu instid0(VALU_DEP_2) | instskip(SKIP_4) | instid1(VALU_DEP_2)
	v_add_nc_u64_e32 v[22:23], v[22:23], v[66:67]
	ds_load_2addr_b64 v[64:67], v16 offset0:10 offset1:12
	v_dual_cndmask_b32 v27, 0, v23, s15 :: v_dual_cndmask_b32 v26, 0, v22, s15
	v_cmp_eq_u16_e64 s15, 0, v54
	s_wait_dscnt 0x1
	v_add_nc_u64_e32 v[26:27], v[26:27], v[68:69]
	v_and_b32_e32 v68, 0xff, v76
	v_bitop3_b16 v69, v63, 1, v17 bitop3:0xc8
	s_delay_alu instid0(VALU_DEP_3) | instskip(SKIP_1) | instid1(VALU_DEP_2)
	v_dual_cndmask_b32 v55, 0, v27, s15 :: v_dual_cndmask_b32 v54, 0, v26, s15
	v_cmp_eq_u16_e64 s15, 0, v60
	v_add_nc_u64_e32 v[54:55], v[54:55], v[70:71]
	s_delay_alu instid0(VALU_DEP_1)
	v_dual_cndmask_b32 v61, 0, v55, s15 :: v_dual_cndmask_b32 v60, 0, v54, s15
	v_cmp_eq_u16_e64 s15, 0, v68
	v_or_b32_e32 v68, v63, v17
	v_bitop3_b16 v17, v72, v63, v17 bitop3:0xfe
	s_wait_dscnt 0x0
	v_add_nc_u64_e32 v[60:61], v[60:61], v[64:65]
	s_delay_alu instid0(VALU_DEP_3) | instskip(NEXT) | instid1(VALU_DEP_3)
	v_bitop3_b16 v63, v73, v72, v68 bitop3:0xfe
	v_bitop3_b16 v70, v73, 1, v17 bitop3:0xc8
	;; [unrolled: 1-line block ×4, first 2 shown]
	v_dual_cndmask_b32 v65, 0, v61, s15 :: v_dual_cndmask_b32 v64, 0, v60, s15
	v_cmp_eq_u16_e64 s15, 0, v77
	s_delay_alu instid0(VALU_DEP_4) | instskip(SKIP_1) | instid1(VALU_DEP_4)
	v_bitop3_b16 v71, v76, v75, v17 bitop3:0xfe
	v_bitop3_b16 v17, v75, 1, v17 bitop3:0xc8
	v_add_nc_u64_e32 v[64:65], v[64:65], v[66:67]
	v_bitop3_b16 v66, v75, v74, v63 bitop3:0xfe
	v_bitop3_b16 v63, v74, 1, v63 bitop3:0xc8
	ds_store_2addr_b64 v16, v[6:7], v[22:23] offset0:2 offset1:4
	ds_store_2addr_b64 v16, v[26:27], v[54:55] offset0:6 offset1:8
	;; [unrolled: 1-line block ×3, first 2 shown]
	v_bitop3_b16 v72, v76, 1, v66 bitop3:0xc8
	v_dual_cndmask_b32 v67, 0, v65, s15 :: v_dual_cndmask_b32 v66, 0, v64, s15
	v_bitop3_b16 v71, v77, 1, v71 bitop3:0xc8
	s_delay_alu instid0(VALU_DEP_2)
	v_add_nc_u64_e32 v[6:7], v[66:67], v[10:11]
	ds_store_b8 v16, v69 offset:24
	ds_store_b8 v16, v68 offset:40
	;; [unrolled: 1-line block ×6, first 2 shown]
	ds_store_b64 v16, v[6:7] offset:112
	ds_store_b8 v16, v71 offset:120
.LBB704_210:
	s_or_b32 exec_lo, exec_lo, s18
	s_wait_dscnt 0x0
	s_barrier_signal -1
	s_barrier_wait -1
	s_and_saveexec_b32 s15, s3
	s_cbranch_execz .LBB704_212
; %bb.211:
	v_and_b32_e32 v1, 0xff, v1
	s_delay_alu instid0(VALU_DEP_1) | instskip(SKIP_1) | instid1(VALU_DEP_1)
	v_cmp_eq_u16_e64 s3, 0, v1
	v_add_nc_u32_e32 v6, -1, v0
	v_lshrrev_b32_e32 v7, 1, v6
	s_delay_alu instid0(VALU_DEP_1) | instskip(NEXT) | instid1(VALU_DEP_1)
	v_and_b32_e32 v7, 0x7ffffff0, v7
	v_lshl_add_u32 v6, v6, 4, v7
	ds_load_b64 v[6:7], v6
	;;#ASMSTART
	;;#ASMEND
	s_wait_dscnt 0x0
	v_dual_cndmask_b32 v7, 0, v7, s3 :: v_dual_cndmask_b32 v6, 0, v6, s3
	s_delay_alu instid0(VALU_DEP_1) | instskip(NEXT) | instid1(VALU_DEP_1)
	v_add_nc_u64_e32 v[2:3], v[6:7], v[2:3]
	v_dual_cndmask_b32 v7, 0, v3 :: v_dual_cndmask_b32 v6, 0, v2
	s_delay_alu instid0(VALU_DEP_1) | instskip(NEXT) | instid1(VALU_DEP_1)
	v_add_nc_u64_e32 v[18:19], v[6:7], v[4:5]
	v_dual_cndmask_b32 v5, 0, v19, s1 :: v_dual_cndmask_b32 v4, 0, v18, s1
	s_delay_alu instid0(VALU_DEP_1) | instskip(NEXT) | instid1(VALU_DEP_1)
	v_add_nc_u64_e32 v[30:31], v[4:5], v[88:89]
	v_dual_cndmask_b32 v5, 0, v31, s4 :: v_dual_cndmask_b32 v4, 0, v30, s4
	;; [unrolled: 3-line block ×12, first 2 shown]
	s_delay_alu instid0(VALU_DEP_1)
	v_add_nc_u64_e32 v[52:53], v[4:5], v[58:59]
.LBB704_212:
	s_or_b32 exec_lo, exec_lo, s15
	s_and_saveexec_b32 s1, s2
	s_cbranch_execz .LBB704_214
; %bb.213:
	v_dual_mov_b32 v1, 0 :: v_dual_mov_b32 v7, 2
	ds_load_b64 v[4:5], v1 offset:4192
	ds_load_u8 v6, v1 offset:4200
	s_wait_dscnt 0x1
	global_store_b64 v1, v[4:5], s[38:39] offset:512
	s_wait_dscnt 0x0
	global_store_b8 v1, v6, s[38:39] offset:520
	global_wb scope:SCOPE_DEV
	s_wait_storecnt 0x0
	global_inv scope:SCOPE_DEV
	s_wait_xcnt 0x0
	global_store_b8 v1, v7, s[40:41] offset:32 scope:SCOPE_DEV
.LBB704_214:
	s_wait_xcnt 0x0
	s_or_b32 exec_lo, exec_lo, s1
	v_mov_b64_e32 v[16:17], v[2:3]
	s_add_nc_u64 s[2:3], s[26:27], s[34:35]
	s_and_b32 vcc_lo, exec_lo, s0
	s_add_nc_u64 s[0:1], s[2:3], s[28:29]
	s_cbranch_vccnz .LBB704_144
.LBB704_215:
	s_mov_b32 s2, 0
                                        ; implicit-def: $vgpr4_vgpr5
	s_cbranch_execz .LBB704_217
; %bb.216:
	v_mul_u32_u24_e32 v1, 0x70, v0
	v_mul_i32_i24_e32 v2, 0xffffff98, v0
	s_wait_storecnt 0x0
	s_wait_loadcnt_dscnt 0x0
	s_barrier_signal -1
	s_barrier_wait -1
	ds_store_b128 v1, v[16:19]
	ds_store_b128 v1, v[30:33] offset:16
	ds_store_b128 v1, v[34:37] offset:32
	;; [unrolled: 1-line block ×6, first 2 shown]
	v_mad_u32_u24 v1, 0x70, v0, v2
	s_wait_dscnt 0x0
	s_barrier_signal -1
	s_barrier_wait -1
	ds_load_2addr_stride64_b64 v[6:9], v1 offset1:4
	ds_load_2addr_stride64_b64 v[10:13], v1 offset0:8 offset1:12
	ds_load_2addr_stride64_b64 v[14:17], v1 offset0:16 offset1:20
	;; [unrolled: 1-line block ×6, first 2 shown]
	s_or_b32 s2, s2, exec_lo
	s_wait_dscnt 0x6
	s_clause 0x1
	flat_store_b64 v0, v[6:7], s[0:1] scale_offset
	flat_store_b64 v0, v[8:9], s[0:1] offset:2048 scale_offset
	s_wait_dscnt 0x7
	s_clause 0x1
	flat_store_b64 v0, v[10:11], s[0:1] offset:4096 scale_offset
	flat_store_b64 v0, v[12:13], s[0:1] offset:6144 scale_offset
	s_wait_dscnt 0x8
	s_clause 0x1
	flat_store_b64 v0, v[14:15], s[0:1] offset:8192 scale_offset
	;; [unrolled: 4-line block ×5, first 2 shown]
	flat_store_b64 v0, v[28:29], s[0:1] offset:22528 scale_offset
	s_wait_dscnt 0xc
	flat_store_b64 v0, v[2:3], s[0:1] offset:24576 scale_offset
.LBB704_217:
	s_wait_xcnt 0x0
	s_delay_alu instid0(VALU_DEP_1)
	s_and_saveexec_b32 s3, s2
	s_cbranch_execz .LBB704_219
; %bb.218:
	s_wait_dscnt 0x0
	flat_store_b64 v0, v[4:5], s[0:1] offset:26624 scale_offset
	s_sendmsg sendmsg(MSG_DEALLOC_VGPRS)
	s_endpgm
.LBB704_219:
	s_sendmsg sendmsg(MSG_DEALLOC_VGPRS)
	s_endpgm
	.section	.rodata,"a",@progbits
	.p2align	6, 0x0
	.amdhsa_kernel _ZN7rocprim17ROCPRIM_400000_NS6detail17trampoline_kernelINS0_14default_configENS1_27scan_by_key_config_selectorIxxEEZZNS1_16scan_by_key_implILNS1_25lookback_scan_determinismE0ELb0ES3_N6thrust23THRUST_200600_302600_NS6detail15normal_iteratorINS9_10device_ptrIxEEEESE_SE_xNS9_4plusIxEE19head_flag_predicatexEE10hipError_tPvRmT2_T3_T4_T5_mT6_T7_P12ihipStream_tbENKUlT_T0_E_clISt17integral_constantIbLb0EESX_IbLb1EEEEDaST_SU_EUlST_E_NS1_11comp_targetILNS1_3genE0ELNS1_11target_archE4294967295ELNS1_3gpuE0ELNS1_3repE0EEENS1_30default_config_static_selectorELNS0_4arch9wavefront6targetE0EEEvT1_
		.amdhsa_group_segment_fixed_size 32768
		.amdhsa_private_segment_fixed_size 0
		.amdhsa_kernarg_size 136
		.amdhsa_user_sgpr_count 2
		.amdhsa_user_sgpr_dispatch_ptr 0
		.amdhsa_user_sgpr_queue_ptr 0
		.amdhsa_user_sgpr_kernarg_segment_ptr 1
		.amdhsa_user_sgpr_dispatch_id 0
		.amdhsa_user_sgpr_kernarg_preload_length 0
		.amdhsa_user_sgpr_kernarg_preload_offset 0
		.amdhsa_user_sgpr_private_segment_size 0
		.amdhsa_wavefront_size32 1
		.amdhsa_uses_dynamic_stack 0
		.amdhsa_enable_private_segment 0
		.amdhsa_system_sgpr_workgroup_id_x 1
		.amdhsa_system_sgpr_workgroup_id_y 0
		.amdhsa_system_sgpr_workgroup_id_z 0
		.amdhsa_system_sgpr_workgroup_info 0
		.amdhsa_system_vgpr_workitem_id 0
		.amdhsa_next_free_vgpr 106
		.amdhsa_next_free_sgpr 55
		.amdhsa_named_barrier_count 0
		.amdhsa_reserve_vcc 1
		.amdhsa_float_round_mode_32 0
		.amdhsa_float_round_mode_16_64 0
		.amdhsa_float_denorm_mode_32 3
		.amdhsa_float_denorm_mode_16_64 3
		.amdhsa_fp16_overflow 0
		.amdhsa_memory_ordered 1
		.amdhsa_forward_progress 1
		.amdhsa_inst_pref_size 121
		.amdhsa_round_robin_scheduling 0
		.amdhsa_exception_fp_ieee_invalid_op 0
		.amdhsa_exception_fp_denorm_src 0
		.amdhsa_exception_fp_ieee_div_zero 0
		.amdhsa_exception_fp_ieee_overflow 0
		.amdhsa_exception_fp_ieee_underflow 0
		.amdhsa_exception_fp_ieee_inexact 0
		.amdhsa_exception_int_div_zero 0
	.end_amdhsa_kernel
	.section	.text._ZN7rocprim17ROCPRIM_400000_NS6detail17trampoline_kernelINS0_14default_configENS1_27scan_by_key_config_selectorIxxEEZZNS1_16scan_by_key_implILNS1_25lookback_scan_determinismE0ELb0ES3_N6thrust23THRUST_200600_302600_NS6detail15normal_iteratorINS9_10device_ptrIxEEEESE_SE_xNS9_4plusIxEE19head_flag_predicatexEE10hipError_tPvRmT2_T3_T4_T5_mT6_T7_P12ihipStream_tbENKUlT_T0_E_clISt17integral_constantIbLb0EESX_IbLb1EEEEDaST_SU_EUlST_E_NS1_11comp_targetILNS1_3genE0ELNS1_11target_archE4294967295ELNS1_3gpuE0ELNS1_3repE0EEENS1_30default_config_static_selectorELNS0_4arch9wavefront6targetE0EEEvT1_,"axG",@progbits,_ZN7rocprim17ROCPRIM_400000_NS6detail17trampoline_kernelINS0_14default_configENS1_27scan_by_key_config_selectorIxxEEZZNS1_16scan_by_key_implILNS1_25lookback_scan_determinismE0ELb0ES3_N6thrust23THRUST_200600_302600_NS6detail15normal_iteratorINS9_10device_ptrIxEEEESE_SE_xNS9_4plusIxEE19head_flag_predicatexEE10hipError_tPvRmT2_T3_T4_T5_mT6_T7_P12ihipStream_tbENKUlT_T0_E_clISt17integral_constantIbLb0EESX_IbLb1EEEEDaST_SU_EUlST_E_NS1_11comp_targetILNS1_3genE0ELNS1_11target_archE4294967295ELNS1_3gpuE0ELNS1_3repE0EEENS1_30default_config_static_selectorELNS0_4arch9wavefront6targetE0EEEvT1_,comdat
.Lfunc_end704:
	.size	_ZN7rocprim17ROCPRIM_400000_NS6detail17trampoline_kernelINS0_14default_configENS1_27scan_by_key_config_selectorIxxEEZZNS1_16scan_by_key_implILNS1_25lookback_scan_determinismE0ELb0ES3_N6thrust23THRUST_200600_302600_NS6detail15normal_iteratorINS9_10device_ptrIxEEEESE_SE_xNS9_4plusIxEE19head_flag_predicatexEE10hipError_tPvRmT2_T3_T4_T5_mT6_T7_P12ihipStream_tbENKUlT_T0_E_clISt17integral_constantIbLb0EESX_IbLb1EEEEDaST_SU_EUlST_E_NS1_11comp_targetILNS1_3genE0ELNS1_11target_archE4294967295ELNS1_3gpuE0ELNS1_3repE0EEENS1_30default_config_static_selectorELNS0_4arch9wavefront6targetE0EEEvT1_, .Lfunc_end704-_ZN7rocprim17ROCPRIM_400000_NS6detail17trampoline_kernelINS0_14default_configENS1_27scan_by_key_config_selectorIxxEEZZNS1_16scan_by_key_implILNS1_25lookback_scan_determinismE0ELb0ES3_N6thrust23THRUST_200600_302600_NS6detail15normal_iteratorINS9_10device_ptrIxEEEESE_SE_xNS9_4plusIxEE19head_flag_predicatexEE10hipError_tPvRmT2_T3_T4_T5_mT6_T7_P12ihipStream_tbENKUlT_T0_E_clISt17integral_constantIbLb0EESX_IbLb1EEEEDaST_SU_EUlST_E_NS1_11comp_targetILNS1_3genE0ELNS1_11target_archE4294967295ELNS1_3gpuE0ELNS1_3repE0EEENS1_30default_config_static_selectorELNS0_4arch9wavefront6targetE0EEEvT1_
                                        ; -- End function
	.set _ZN7rocprim17ROCPRIM_400000_NS6detail17trampoline_kernelINS0_14default_configENS1_27scan_by_key_config_selectorIxxEEZZNS1_16scan_by_key_implILNS1_25lookback_scan_determinismE0ELb0ES3_N6thrust23THRUST_200600_302600_NS6detail15normal_iteratorINS9_10device_ptrIxEEEESE_SE_xNS9_4plusIxEE19head_flag_predicatexEE10hipError_tPvRmT2_T3_T4_T5_mT6_T7_P12ihipStream_tbENKUlT_T0_E_clISt17integral_constantIbLb0EESX_IbLb1EEEEDaST_SU_EUlST_E_NS1_11comp_targetILNS1_3genE0ELNS1_11target_archE4294967295ELNS1_3gpuE0ELNS1_3repE0EEENS1_30default_config_static_selectorELNS0_4arch9wavefront6targetE0EEEvT1_.num_vgpr, 106
	.set _ZN7rocprim17ROCPRIM_400000_NS6detail17trampoline_kernelINS0_14default_configENS1_27scan_by_key_config_selectorIxxEEZZNS1_16scan_by_key_implILNS1_25lookback_scan_determinismE0ELb0ES3_N6thrust23THRUST_200600_302600_NS6detail15normal_iteratorINS9_10device_ptrIxEEEESE_SE_xNS9_4plusIxEE19head_flag_predicatexEE10hipError_tPvRmT2_T3_T4_T5_mT6_T7_P12ihipStream_tbENKUlT_T0_E_clISt17integral_constantIbLb0EESX_IbLb1EEEEDaST_SU_EUlST_E_NS1_11comp_targetILNS1_3genE0ELNS1_11target_archE4294967295ELNS1_3gpuE0ELNS1_3repE0EEENS1_30default_config_static_selectorELNS0_4arch9wavefront6targetE0EEEvT1_.num_agpr, 0
	.set _ZN7rocprim17ROCPRIM_400000_NS6detail17trampoline_kernelINS0_14default_configENS1_27scan_by_key_config_selectorIxxEEZZNS1_16scan_by_key_implILNS1_25lookback_scan_determinismE0ELb0ES3_N6thrust23THRUST_200600_302600_NS6detail15normal_iteratorINS9_10device_ptrIxEEEESE_SE_xNS9_4plusIxEE19head_flag_predicatexEE10hipError_tPvRmT2_T3_T4_T5_mT6_T7_P12ihipStream_tbENKUlT_T0_E_clISt17integral_constantIbLb0EESX_IbLb1EEEEDaST_SU_EUlST_E_NS1_11comp_targetILNS1_3genE0ELNS1_11target_archE4294967295ELNS1_3gpuE0ELNS1_3repE0EEENS1_30default_config_static_selectorELNS0_4arch9wavefront6targetE0EEEvT1_.numbered_sgpr, 55
	.set _ZN7rocprim17ROCPRIM_400000_NS6detail17trampoline_kernelINS0_14default_configENS1_27scan_by_key_config_selectorIxxEEZZNS1_16scan_by_key_implILNS1_25lookback_scan_determinismE0ELb0ES3_N6thrust23THRUST_200600_302600_NS6detail15normal_iteratorINS9_10device_ptrIxEEEESE_SE_xNS9_4plusIxEE19head_flag_predicatexEE10hipError_tPvRmT2_T3_T4_T5_mT6_T7_P12ihipStream_tbENKUlT_T0_E_clISt17integral_constantIbLb0EESX_IbLb1EEEEDaST_SU_EUlST_E_NS1_11comp_targetILNS1_3genE0ELNS1_11target_archE4294967295ELNS1_3gpuE0ELNS1_3repE0EEENS1_30default_config_static_selectorELNS0_4arch9wavefront6targetE0EEEvT1_.num_named_barrier, 0
	.set _ZN7rocprim17ROCPRIM_400000_NS6detail17trampoline_kernelINS0_14default_configENS1_27scan_by_key_config_selectorIxxEEZZNS1_16scan_by_key_implILNS1_25lookback_scan_determinismE0ELb0ES3_N6thrust23THRUST_200600_302600_NS6detail15normal_iteratorINS9_10device_ptrIxEEEESE_SE_xNS9_4plusIxEE19head_flag_predicatexEE10hipError_tPvRmT2_T3_T4_T5_mT6_T7_P12ihipStream_tbENKUlT_T0_E_clISt17integral_constantIbLb0EESX_IbLb1EEEEDaST_SU_EUlST_E_NS1_11comp_targetILNS1_3genE0ELNS1_11target_archE4294967295ELNS1_3gpuE0ELNS1_3repE0EEENS1_30default_config_static_selectorELNS0_4arch9wavefront6targetE0EEEvT1_.private_seg_size, 0
	.set _ZN7rocprim17ROCPRIM_400000_NS6detail17trampoline_kernelINS0_14default_configENS1_27scan_by_key_config_selectorIxxEEZZNS1_16scan_by_key_implILNS1_25lookback_scan_determinismE0ELb0ES3_N6thrust23THRUST_200600_302600_NS6detail15normal_iteratorINS9_10device_ptrIxEEEESE_SE_xNS9_4plusIxEE19head_flag_predicatexEE10hipError_tPvRmT2_T3_T4_T5_mT6_T7_P12ihipStream_tbENKUlT_T0_E_clISt17integral_constantIbLb0EESX_IbLb1EEEEDaST_SU_EUlST_E_NS1_11comp_targetILNS1_3genE0ELNS1_11target_archE4294967295ELNS1_3gpuE0ELNS1_3repE0EEENS1_30default_config_static_selectorELNS0_4arch9wavefront6targetE0EEEvT1_.uses_vcc, 1
	.set _ZN7rocprim17ROCPRIM_400000_NS6detail17trampoline_kernelINS0_14default_configENS1_27scan_by_key_config_selectorIxxEEZZNS1_16scan_by_key_implILNS1_25lookback_scan_determinismE0ELb0ES3_N6thrust23THRUST_200600_302600_NS6detail15normal_iteratorINS9_10device_ptrIxEEEESE_SE_xNS9_4plusIxEE19head_flag_predicatexEE10hipError_tPvRmT2_T3_T4_T5_mT6_T7_P12ihipStream_tbENKUlT_T0_E_clISt17integral_constantIbLb0EESX_IbLb1EEEEDaST_SU_EUlST_E_NS1_11comp_targetILNS1_3genE0ELNS1_11target_archE4294967295ELNS1_3gpuE0ELNS1_3repE0EEENS1_30default_config_static_selectorELNS0_4arch9wavefront6targetE0EEEvT1_.uses_flat_scratch, 1
	.set _ZN7rocprim17ROCPRIM_400000_NS6detail17trampoline_kernelINS0_14default_configENS1_27scan_by_key_config_selectorIxxEEZZNS1_16scan_by_key_implILNS1_25lookback_scan_determinismE0ELb0ES3_N6thrust23THRUST_200600_302600_NS6detail15normal_iteratorINS9_10device_ptrIxEEEESE_SE_xNS9_4plusIxEE19head_flag_predicatexEE10hipError_tPvRmT2_T3_T4_T5_mT6_T7_P12ihipStream_tbENKUlT_T0_E_clISt17integral_constantIbLb0EESX_IbLb1EEEEDaST_SU_EUlST_E_NS1_11comp_targetILNS1_3genE0ELNS1_11target_archE4294967295ELNS1_3gpuE0ELNS1_3repE0EEENS1_30default_config_static_selectorELNS0_4arch9wavefront6targetE0EEEvT1_.has_dyn_sized_stack, 0
	.set _ZN7rocprim17ROCPRIM_400000_NS6detail17trampoline_kernelINS0_14default_configENS1_27scan_by_key_config_selectorIxxEEZZNS1_16scan_by_key_implILNS1_25lookback_scan_determinismE0ELb0ES3_N6thrust23THRUST_200600_302600_NS6detail15normal_iteratorINS9_10device_ptrIxEEEESE_SE_xNS9_4plusIxEE19head_flag_predicatexEE10hipError_tPvRmT2_T3_T4_T5_mT6_T7_P12ihipStream_tbENKUlT_T0_E_clISt17integral_constantIbLb0EESX_IbLb1EEEEDaST_SU_EUlST_E_NS1_11comp_targetILNS1_3genE0ELNS1_11target_archE4294967295ELNS1_3gpuE0ELNS1_3repE0EEENS1_30default_config_static_selectorELNS0_4arch9wavefront6targetE0EEEvT1_.has_recursion, 0
	.set _ZN7rocprim17ROCPRIM_400000_NS6detail17trampoline_kernelINS0_14default_configENS1_27scan_by_key_config_selectorIxxEEZZNS1_16scan_by_key_implILNS1_25lookback_scan_determinismE0ELb0ES3_N6thrust23THRUST_200600_302600_NS6detail15normal_iteratorINS9_10device_ptrIxEEEESE_SE_xNS9_4plusIxEE19head_flag_predicatexEE10hipError_tPvRmT2_T3_T4_T5_mT6_T7_P12ihipStream_tbENKUlT_T0_E_clISt17integral_constantIbLb0EESX_IbLb1EEEEDaST_SU_EUlST_E_NS1_11comp_targetILNS1_3genE0ELNS1_11target_archE4294967295ELNS1_3gpuE0ELNS1_3repE0EEENS1_30default_config_static_selectorELNS0_4arch9wavefront6targetE0EEEvT1_.has_indirect_call, 0
	.section	.AMDGPU.csdata,"",@progbits
; Kernel info:
; codeLenInByte = 15368
; TotalNumSgprs: 57
; NumVgprs: 106
; ScratchSize: 0
; MemoryBound: 0
; FloatMode: 240
; IeeeMode: 1
; LDSByteSize: 32768 bytes/workgroup (compile time only)
; SGPRBlocks: 0
; VGPRBlocks: 6
; NumSGPRsForWavesPerEU: 57
; NumVGPRsForWavesPerEU: 106
; NamedBarCnt: 0
; Occupancy: 9
; WaveLimiterHint : 1
; COMPUTE_PGM_RSRC2:SCRATCH_EN: 0
; COMPUTE_PGM_RSRC2:USER_SGPR: 2
; COMPUTE_PGM_RSRC2:TRAP_HANDLER: 0
; COMPUTE_PGM_RSRC2:TGID_X_EN: 1
; COMPUTE_PGM_RSRC2:TGID_Y_EN: 0
; COMPUTE_PGM_RSRC2:TGID_Z_EN: 0
; COMPUTE_PGM_RSRC2:TIDIG_COMP_CNT: 0
	.section	.text._ZN7rocprim17ROCPRIM_400000_NS6detail17trampoline_kernelINS0_14default_configENS1_27scan_by_key_config_selectorIxxEEZZNS1_16scan_by_key_implILNS1_25lookback_scan_determinismE0ELb0ES3_N6thrust23THRUST_200600_302600_NS6detail15normal_iteratorINS9_10device_ptrIxEEEESE_SE_xNS9_4plusIxEE19head_flag_predicatexEE10hipError_tPvRmT2_T3_T4_T5_mT6_T7_P12ihipStream_tbENKUlT_T0_E_clISt17integral_constantIbLb0EESX_IbLb1EEEEDaST_SU_EUlST_E_NS1_11comp_targetILNS1_3genE10ELNS1_11target_archE1201ELNS1_3gpuE5ELNS1_3repE0EEENS1_30default_config_static_selectorELNS0_4arch9wavefront6targetE0EEEvT1_,"axG",@progbits,_ZN7rocprim17ROCPRIM_400000_NS6detail17trampoline_kernelINS0_14default_configENS1_27scan_by_key_config_selectorIxxEEZZNS1_16scan_by_key_implILNS1_25lookback_scan_determinismE0ELb0ES3_N6thrust23THRUST_200600_302600_NS6detail15normal_iteratorINS9_10device_ptrIxEEEESE_SE_xNS9_4plusIxEE19head_flag_predicatexEE10hipError_tPvRmT2_T3_T4_T5_mT6_T7_P12ihipStream_tbENKUlT_T0_E_clISt17integral_constantIbLb0EESX_IbLb1EEEEDaST_SU_EUlST_E_NS1_11comp_targetILNS1_3genE10ELNS1_11target_archE1201ELNS1_3gpuE5ELNS1_3repE0EEENS1_30default_config_static_selectorELNS0_4arch9wavefront6targetE0EEEvT1_,comdat
	.protected	_ZN7rocprim17ROCPRIM_400000_NS6detail17trampoline_kernelINS0_14default_configENS1_27scan_by_key_config_selectorIxxEEZZNS1_16scan_by_key_implILNS1_25lookback_scan_determinismE0ELb0ES3_N6thrust23THRUST_200600_302600_NS6detail15normal_iteratorINS9_10device_ptrIxEEEESE_SE_xNS9_4plusIxEE19head_flag_predicatexEE10hipError_tPvRmT2_T3_T4_T5_mT6_T7_P12ihipStream_tbENKUlT_T0_E_clISt17integral_constantIbLb0EESX_IbLb1EEEEDaST_SU_EUlST_E_NS1_11comp_targetILNS1_3genE10ELNS1_11target_archE1201ELNS1_3gpuE5ELNS1_3repE0EEENS1_30default_config_static_selectorELNS0_4arch9wavefront6targetE0EEEvT1_ ; -- Begin function _ZN7rocprim17ROCPRIM_400000_NS6detail17trampoline_kernelINS0_14default_configENS1_27scan_by_key_config_selectorIxxEEZZNS1_16scan_by_key_implILNS1_25lookback_scan_determinismE0ELb0ES3_N6thrust23THRUST_200600_302600_NS6detail15normal_iteratorINS9_10device_ptrIxEEEESE_SE_xNS9_4plusIxEE19head_flag_predicatexEE10hipError_tPvRmT2_T3_T4_T5_mT6_T7_P12ihipStream_tbENKUlT_T0_E_clISt17integral_constantIbLb0EESX_IbLb1EEEEDaST_SU_EUlST_E_NS1_11comp_targetILNS1_3genE10ELNS1_11target_archE1201ELNS1_3gpuE5ELNS1_3repE0EEENS1_30default_config_static_selectorELNS0_4arch9wavefront6targetE0EEEvT1_
	.globl	_ZN7rocprim17ROCPRIM_400000_NS6detail17trampoline_kernelINS0_14default_configENS1_27scan_by_key_config_selectorIxxEEZZNS1_16scan_by_key_implILNS1_25lookback_scan_determinismE0ELb0ES3_N6thrust23THRUST_200600_302600_NS6detail15normal_iteratorINS9_10device_ptrIxEEEESE_SE_xNS9_4plusIxEE19head_flag_predicatexEE10hipError_tPvRmT2_T3_T4_T5_mT6_T7_P12ihipStream_tbENKUlT_T0_E_clISt17integral_constantIbLb0EESX_IbLb1EEEEDaST_SU_EUlST_E_NS1_11comp_targetILNS1_3genE10ELNS1_11target_archE1201ELNS1_3gpuE5ELNS1_3repE0EEENS1_30default_config_static_selectorELNS0_4arch9wavefront6targetE0EEEvT1_
	.p2align	8
	.type	_ZN7rocprim17ROCPRIM_400000_NS6detail17trampoline_kernelINS0_14default_configENS1_27scan_by_key_config_selectorIxxEEZZNS1_16scan_by_key_implILNS1_25lookback_scan_determinismE0ELb0ES3_N6thrust23THRUST_200600_302600_NS6detail15normal_iteratorINS9_10device_ptrIxEEEESE_SE_xNS9_4plusIxEE19head_flag_predicatexEE10hipError_tPvRmT2_T3_T4_T5_mT6_T7_P12ihipStream_tbENKUlT_T0_E_clISt17integral_constantIbLb0EESX_IbLb1EEEEDaST_SU_EUlST_E_NS1_11comp_targetILNS1_3genE10ELNS1_11target_archE1201ELNS1_3gpuE5ELNS1_3repE0EEENS1_30default_config_static_selectorELNS0_4arch9wavefront6targetE0EEEvT1_,@function
_ZN7rocprim17ROCPRIM_400000_NS6detail17trampoline_kernelINS0_14default_configENS1_27scan_by_key_config_selectorIxxEEZZNS1_16scan_by_key_implILNS1_25lookback_scan_determinismE0ELb0ES3_N6thrust23THRUST_200600_302600_NS6detail15normal_iteratorINS9_10device_ptrIxEEEESE_SE_xNS9_4plusIxEE19head_flag_predicatexEE10hipError_tPvRmT2_T3_T4_T5_mT6_T7_P12ihipStream_tbENKUlT_T0_E_clISt17integral_constantIbLb0EESX_IbLb1EEEEDaST_SU_EUlST_E_NS1_11comp_targetILNS1_3genE10ELNS1_11target_archE1201ELNS1_3gpuE5ELNS1_3repE0EEENS1_30default_config_static_selectorELNS0_4arch9wavefront6targetE0EEEvT1_: ; @_ZN7rocprim17ROCPRIM_400000_NS6detail17trampoline_kernelINS0_14default_configENS1_27scan_by_key_config_selectorIxxEEZZNS1_16scan_by_key_implILNS1_25lookback_scan_determinismE0ELb0ES3_N6thrust23THRUST_200600_302600_NS6detail15normal_iteratorINS9_10device_ptrIxEEEESE_SE_xNS9_4plusIxEE19head_flag_predicatexEE10hipError_tPvRmT2_T3_T4_T5_mT6_T7_P12ihipStream_tbENKUlT_T0_E_clISt17integral_constantIbLb0EESX_IbLb1EEEEDaST_SU_EUlST_E_NS1_11comp_targetILNS1_3genE10ELNS1_11target_archE1201ELNS1_3gpuE5ELNS1_3repE0EEENS1_30default_config_static_selectorELNS0_4arch9wavefront6targetE0EEEvT1_
; %bb.0:
	.section	.rodata,"a",@progbits
	.p2align	6, 0x0
	.amdhsa_kernel _ZN7rocprim17ROCPRIM_400000_NS6detail17trampoline_kernelINS0_14default_configENS1_27scan_by_key_config_selectorIxxEEZZNS1_16scan_by_key_implILNS1_25lookback_scan_determinismE0ELb0ES3_N6thrust23THRUST_200600_302600_NS6detail15normal_iteratorINS9_10device_ptrIxEEEESE_SE_xNS9_4plusIxEE19head_flag_predicatexEE10hipError_tPvRmT2_T3_T4_T5_mT6_T7_P12ihipStream_tbENKUlT_T0_E_clISt17integral_constantIbLb0EESX_IbLb1EEEEDaST_SU_EUlST_E_NS1_11comp_targetILNS1_3genE10ELNS1_11target_archE1201ELNS1_3gpuE5ELNS1_3repE0EEENS1_30default_config_static_selectorELNS0_4arch9wavefront6targetE0EEEvT1_
		.amdhsa_group_segment_fixed_size 0
		.amdhsa_private_segment_fixed_size 0
		.amdhsa_kernarg_size 136
		.amdhsa_user_sgpr_count 2
		.amdhsa_user_sgpr_dispatch_ptr 0
		.amdhsa_user_sgpr_queue_ptr 0
		.amdhsa_user_sgpr_kernarg_segment_ptr 1
		.amdhsa_user_sgpr_dispatch_id 0
		.amdhsa_user_sgpr_kernarg_preload_length 0
		.amdhsa_user_sgpr_kernarg_preload_offset 0
		.amdhsa_user_sgpr_private_segment_size 0
		.amdhsa_wavefront_size32 1
		.amdhsa_uses_dynamic_stack 0
		.amdhsa_enable_private_segment 0
		.amdhsa_system_sgpr_workgroup_id_x 1
		.amdhsa_system_sgpr_workgroup_id_y 0
		.amdhsa_system_sgpr_workgroup_id_z 0
		.amdhsa_system_sgpr_workgroup_info 0
		.amdhsa_system_vgpr_workitem_id 0
		.amdhsa_next_free_vgpr 1
		.amdhsa_next_free_sgpr 1
		.amdhsa_named_barrier_count 0
		.amdhsa_reserve_vcc 0
		.amdhsa_float_round_mode_32 0
		.amdhsa_float_round_mode_16_64 0
		.amdhsa_float_denorm_mode_32 3
		.amdhsa_float_denorm_mode_16_64 3
		.amdhsa_fp16_overflow 0
		.amdhsa_memory_ordered 1
		.amdhsa_forward_progress 1
		.amdhsa_inst_pref_size 0
		.amdhsa_round_robin_scheduling 0
		.amdhsa_exception_fp_ieee_invalid_op 0
		.amdhsa_exception_fp_denorm_src 0
		.amdhsa_exception_fp_ieee_div_zero 0
		.amdhsa_exception_fp_ieee_overflow 0
		.amdhsa_exception_fp_ieee_underflow 0
		.amdhsa_exception_fp_ieee_inexact 0
		.amdhsa_exception_int_div_zero 0
	.end_amdhsa_kernel
	.section	.text._ZN7rocprim17ROCPRIM_400000_NS6detail17trampoline_kernelINS0_14default_configENS1_27scan_by_key_config_selectorIxxEEZZNS1_16scan_by_key_implILNS1_25lookback_scan_determinismE0ELb0ES3_N6thrust23THRUST_200600_302600_NS6detail15normal_iteratorINS9_10device_ptrIxEEEESE_SE_xNS9_4plusIxEE19head_flag_predicatexEE10hipError_tPvRmT2_T3_T4_T5_mT6_T7_P12ihipStream_tbENKUlT_T0_E_clISt17integral_constantIbLb0EESX_IbLb1EEEEDaST_SU_EUlST_E_NS1_11comp_targetILNS1_3genE10ELNS1_11target_archE1201ELNS1_3gpuE5ELNS1_3repE0EEENS1_30default_config_static_selectorELNS0_4arch9wavefront6targetE0EEEvT1_,"axG",@progbits,_ZN7rocprim17ROCPRIM_400000_NS6detail17trampoline_kernelINS0_14default_configENS1_27scan_by_key_config_selectorIxxEEZZNS1_16scan_by_key_implILNS1_25lookback_scan_determinismE0ELb0ES3_N6thrust23THRUST_200600_302600_NS6detail15normal_iteratorINS9_10device_ptrIxEEEESE_SE_xNS9_4plusIxEE19head_flag_predicatexEE10hipError_tPvRmT2_T3_T4_T5_mT6_T7_P12ihipStream_tbENKUlT_T0_E_clISt17integral_constantIbLb0EESX_IbLb1EEEEDaST_SU_EUlST_E_NS1_11comp_targetILNS1_3genE10ELNS1_11target_archE1201ELNS1_3gpuE5ELNS1_3repE0EEENS1_30default_config_static_selectorELNS0_4arch9wavefront6targetE0EEEvT1_,comdat
.Lfunc_end705:
	.size	_ZN7rocprim17ROCPRIM_400000_NS6detail17trampoline_kernelINS0_14default_configENS1_27scan_by_key_config_selectorIxxEEZZNS1_16scan_by_key_implILNS1_25lookback_scan_determinismE0ELb0ES3_N6thrust23THRUST_200600_302600_NS6detail15normal_iteratorINS9_10device_ptrIxEEEESE_SE_xNS9_4plusIxEE19head_flag_predicatexEE10hipError_tPvRmT2_T3_T4_T5_mT6_T7_P12ihipStream_tbENKUlT_T0_E_clISt17integral_constantIbLb0EESX_IbLb1EEEEDaST_SU_EUlST_E_NS1_11comp_targetILNS1_3genE10ELNS1_11target_archE1201ELNS1_3gpuE5ELNS1_3repE0EEENS1_30default_config_static_selectorELNS0_4arch9wavefront6targetE0EEEvT1_, .Lfunc_end705-_ZN7rocprim17ROCPRIM_400000_NS6detail17trampoline_kernelINS0_14default_configENS1_27scan_by_key_config_selectorIxxEEZZNS1_16scan_by_key_implILNS1_25lookback_scan_determinismE0ELb0ES3_N6thrust23THRUST_200600_302600_NS6detail15normal_iteratorINS9_10device_ptrIxEEEESE_SE_xNS9_4plusIxEE19head_flag_predicatexEE10hipError_tPvRmT2_T3_T4_T5_mT6_T7_P12ihipStream_tbENKUlT_T0_E_clISt17integral_constantIbLb0EESX_IbLb1EEEEDaST_SU_EUlST_E_NS1_11comp_targetILNS1_3genE10ELNS1_11target_archE1201ELNS1_3gpuE5ELNS1_3repE0EEENS1_30default_config_static_selectorELNS0_4arch9wavefront6targetE0EEEvT1_
                                        ; -- End function
	.set _ZN7rocprim17ROCPRIM_400000_NS6detail17trampoline_kernelINS0_14default_configENS1_27scan_by_key_config_selectorIxxEEZZNS1_16scan_by_key_implILNS1_25lookback_scan_determinismE0ELb0ES3_N6thrust23THRUST_200600_302600_NS6detail15normal_iteratorINS9_10device_ptrIxEEEESE_SE_xNS9_4plusIxEE19head_flag_predicatexEE10hipError_tPvRmT2_T3_T4_T5_mT6_T7_P12ihipStream_tbENKUlT_T0_E_clISt17integral_constantIbLb0EESX_IbLb1EEEEDaST_SU_EUlST_E_NS1_11comp_targetILNS1_3genE10ELNS1_11target_archE1201ELNS1_3gpuE5ELNS1_3repE0EEENS1_30default_config_static_selectorELNS0_4arch9wavefront6targetE0EEEvT1_.num_vgpr, 0
	.set _ZN7rocprim17ROCPRIM_400000_NS6detail17trampoline_kernelINS0_14default_configENS1_27scan_by_key_config_selectorIxxEEZZNS1_16scan_by_key_implILNS1_25lookback_scan_determinismE0ELb0ES3_N6thrust23THRUST_200600_302600_NS6detail15normal_iteratorINS9_10device_ptrIxEEEESE_SE_xNS9_4plusIxEE19head_flag_predicatexEE10hipError_tPvRmT2_T3_T4_T5_mT6_T7_P12ihipStream_tbENKUlT_T0_E_clISt17integral_constantIbLb0EESX_IbLb1EEEEDaST_SU_EUlST_E_NS1_11comp_targetILNS1_3genE10ELNS1_11target_archE1201ELNS1_3gpuE5ELNS1_3repE0EEENS1_30default_config_static_selectorELNS0_4arch9wavefront6targetE0EEEvT1_.num_agpr, 0
	.set _ZN7rocprim17ROCPRIM_400000_NS6detail17trampoline_kernelINS0_14default_configENS1_27scan_by_key_config_selectorIxxEEZZNS1_16scan_by_key_implILNS1_25lookback_scan_determinismE0ELb0ES3_N6thrust23THRUST_200600_302600_NS6detail15normal_iteratorINS9_10device_ptrIxEEEESE_SE_xNS9_4plusIxEE19head_flag_predicatexEE10hipError_tPvRmT2_T3_T4_T5_mT6_T7_P12ihipStream_tbENKUlT_T0_E_clISt17integral_constantIbLb0EESX_IbLb1EEEEDaST_SU_EUlST_E_NS1_11comp_targetILNS1_3genE10ELNS1_11target_archE1201ELNS1_3gpuE5ELNS1_3repE0EEENS1_30default_config_static_selectorELNS0_4arch9wavefront6targetE0EEEvT1_.numbered_sgpr, 0
	.set _ZN7rocprim17ROCPRIM_400000_NS6detail17trampoline_kernelINS0_14default_configENS1_27scan_by_key_config_selectorIxxEEZZNS1_16scan_by_key_implILNS1_25lookback_scan_determinismE0ELb0ES3_N6thrust23THRUST_200600_302600_NS6detail15normal_iteratorINS9_10device_ptrIxEEEESE_SE_xNS9_4plusIxEE19head_flag_predicatexEE10hipError_tPvRmT2_T3_T4_T5_mT6_T7_P12ihipStream_tbENKUlT_T0_E_clISt17integral_constantIbLb0EESX_IbLb1EEEEDaST_SU_EUlST_E_NS1_11comp_targetILNS1_3genE10ELNS1_11target_archE1201ELNS1_3gpuE5ELNS1_3repE0EEENS1_30default_config_static_selectorELNS0_4arch9wavefront6targetE0EEEvT1_.num_named_barrier, 0
	.set _ZN7rocprim17ROCPRIM_400000_NS6detail17trampoline_kernelINS0_14default_configENS1_27scan_by_key_config_selectorIxxEEZZNS1_16scan_by_key_implILNS1_25lookback_scan_determinismE0ELb0ES3_N6thrust23THRUST_200600_302600_NS6detail15normal_iteratorINS9_10device_ptrIxEEEESE_SE_xNS9_4plusIxEE19head_flag_predicatexEE10hipError_tPvRmT2_T3_T4_T5_mT6_T7_P12ihipStream_tbENKUlT_T0_E_clISt17integral_constantIbLb0EESX_IbLb1EEEEDaST_SU_EUlST_E_NS1_11comp_targetILNS1_3genE10ELNS1_11target_archE1201ELNS1_3gpuE5ELNS1_3repE0EEENS1_30default_config_static_selectorELNS0_4arch9wavefront6targetE0EEEvT1_.private_seg_size, 0
	.set _ZN7rocprim17ROCPRIM_400000_NS6detail17trampoline_kernelINS0_14default_configENS1_27scan_by_key_config_selectorIxxEEZZNS1_16scan_by_key_implILNS1_25lookback_scan_determinismE0ELb0ES3_N6thrust23THRUST_200600_302600_NS6detail15normal_iteratorINS9_10device_ptrIxEEEESE_SE_xNS9_4plusIxEE19head_flag_predicatexEE10hipError_tPvRmT2_T3_T4_T5_mT6_T7_P12ihipStream_tbENKUlT_T0_E_clISt17integral_constantIbLb0EESX_IbLb1EEEEDaST_SU_EUlST_E_NS1_11comp_targetILNS1_3genE10ELNS1_11target_archE1201ELNS1_3gpuE5ELNS1_3repE0EEENS1_30default_config_static_selectorELNS0_4arch9wavefront6targetE0EEEvT1_.uses_vcc, 0
	.set _ZN7rocprim17ROCPRIM_400000_NS6detail17trampoline_kernelINS0_14default_configENS1_27scan_by_key_config_selectorIxxEEZZNS1_16scan_by_key_implILNS1_25lookback_scan_determinismE0ELb0ES3_N6thrust23THRUST_200600_302600_NS6detail15normal_iteratorINS9_10device_ptrIxEEEESE_SE_xNS9_4plusIxEE19head_flag_predicatexEE10hipError_tPvRmT2_T3_T4_T5_mT6_T7_P12ihipStream_tbENKUlT_T0_E_clISt17integral_constantIbLb0EESX_IbLb1EEEEDaST_SU_EUlST_E_NS1_11comp_targetILNS1_3genE10ELNS1_11target_archE1201ELNS1_3gpuE5ELNS1_3repE0EEENS1_30default_config_static_selectorELNS0_4arch9wavefront6targetE0EEEvT1_.uses_flat_scratch, 0
	.set _ZN7rocprim17ROCPRIM_400000_NS6detail17trampoline_kernelINS0_14default_configENS1_27scan_by_key_config_selectorIxxEEZZNS1_16scan_by_key_implILNS1_25lookback_scan_determinismE0ELb0ES3_N6thrust23THRUST_200600_302600_NS6detail15normal_iteratorINS9_10device_ptrIxEEEESE_SE_xNS9_4plusIxEE19head_flag_predicatexEE10hipError_tPvRmT2_T3_T4_T5_mT6_T7_P12ihipStream_tbENKUlT_T0_E_clISt17integral_constantIbLb0EESX_IbLb1EEEEDaST_SU_EUlST_E_NS1_11comp_targetILNS1_3genE10ELNS1_11target_archE1201ELNS1_3gpuE5ELNS1_3repE0EEENS1_30default_config_static_selectorELNS0_4arch9wavefront6targetE0EEEvT1_.has_dyn_sized_stack, 0
	.set _ZN7rocprim17ROCPRIM_400000_NS6detail17trampoline_kernelINS0_14default_configENS1_27scan_by_key_config_selectorIxxEEZZNS1_16scan_by_key_implILNS1_25lookback_scan_determinismE0ELb0ES3_N6thrust23THRUST_200600_302600_NS6detail15normal_iteratorINS9_10device_ptrIxEEEESE_SE_xNS9_4plusIxEE19head_flag_predicatexEE10hipError_tPvRmT2_T3_T4_T5_mT6_T7_P12ihipStream_tbENKUlT_T0_E_clISt17integral_constantIbLb0EESX_IbLb1EEEEDaST_SU_EUlST_E_NS1_11comp_targetILNS1_3genE10ELNS1_11target_archE1201ELNS1_3gpuE5ELNS1_3repE0EEENS1_30default_config_static_selectorELNS0_4arch9wavefront6targetE0EEEvT1_.has_recursion, 0
	.set _ZN7rocprim17ROCPRIM_400000_NS6detail17trampoline_kernelINS0_14default_configENS1_27scan_by_key_config_selectorIxxEEZZNS1_16scan_by_key_implILNS1_25lookback_scan_determinismE0ELb0ES3_N6thrust23THRUST_200600_302600_NS6detail15normal_iteratorINS9_10device_ptrIxEEEESE_SE_xNS9_4plusIxEE19head_flag_predicatexEE10hipError_tPvRmT2_T3_T4_T5_mT6_T7_P12ihipStream_tbENKUlT_T0_E_clISt17integral_constantIbLb0EESX_IbLb1EEEEDaST_SU_EUlST_E_NS1_11comp_targetILNS1_3genE10ELNS1_11target_archE1201ELNS1_3gpuE5ELNS1_3repE0EEENS1_30default_config_static_selectorELNS0_4arch9wavefront6targetE0EEEvT1_.has_indirect_call, 0
	.section	.AMDGPU.csdata,"",@progbits
; Kernel info:
; codeLenInByte = 0
; TotalNumSgprs: 0
; NumVgprs: 0
; ScratchSize: 0
; MemoryBound: 0
; FloatMode: 240
; IeeeMode: 1
; LDSByteSize: 0 bytes/workgroup (compile time only)
; SGPRBlocks: 0
; VGPRBlocks: 0
; NumSGPRsForWavesPerEU: 1
; NumVGPRsForWavesPerEU: 1
; NamedBarCnt: 0
; Occupancy: 16
; WaveLimiterHint : 0
; COMPUTE_PGM_RSRC2:SCRATCH_EN: 0
; COMPUTE_PGM_RSRC2:USER_SGPR: 2
; COMPUTE_PGM_RSRC2:TRAP_HANDLER: 0
; COMPUTE_PGM_RSRC2:TGID_X_EN: 1
; COMPUTE_PGM_RSRC2:TGID_Y_EN: 0
; COMPUTE_PGM_RSRC2:TGID_Z_EN: 0
; COMPUTE_PGM_RSRC2:TIDIG_COMP_CNT: 0
	.section	.text._ZN7rocprim17ROCPRIM_400000_NS6detail17trampoline_kernelINS0_14default_configENS1_27scan_by_key_config_selectorIxxEEZZNS1_16scan_by_key_implILNS1_25lookback_scan_determinismE0ELb0ES3_N6thrust23THRUST_200600_302600_NS6detail15normal_iteratorINS9_10device_ptrIxEEEESE_SE_xNS9_4plusIxEE19head_flag_predicatexEE10hipError_tPvRmT2_T3_T4_T5_mT6_T7_P12ihipStream_tbENKUlT_T0_E_clISt17integral_constantIbLb0EESX_IbLb1EEEEDaST_SU_EUlST_E_NS1_11comp_targetILNS1_3genE5ELNS1_11target_archE942ELNS1_3gpuE9ELNS1_3repE0EEENS1_30default_config_static_selectorELNS0_4arch9wavefront6targetE0EEEvT1_,"axG",@progbits,_ZN7rocprim17ROCPRIM_400000_NS6detail17trampoline_kernelINS0_14default_configENS1_27scan_by_key_config_selectorIxxEEZZNS1_16scan_by_key_implILNS1_25lookback_scan_determinismE0ELb0ES3_N6thrust23THRUST_200600_302600_NS6detail15normal_iteratorINS9_10device_ptrIxEEEESE_SE_xNS9_4plusIxEE19head_flag_predicatexEE10hipError_tPvRmT2_T3_T4_T5_mT6_T7_P12ihipStream_tbENKUlT_T0_E_clISt17integral_constantIbLb0EESX_IbLb1EEEEDaST_SU_EUlST_E_NS1_11comp_targetILNS1_3genE5ELNS1_11target_archE942ELNS1_3gpuE9ELNS1_3repE0EEENS1_30default_config_static_selectorELNS0_4arch9wavefront6targetE0EEEvT1_,comdat
	.protected	_ZN7rocprim17ROCPRIM_400000_NS6detail17trampoline_kernelINS0_14default_configENS1_27scan_by_key_config_selectorIxxEEZZNS1_16scan_by_key_implILNS1_25lookback_scan_determinismE0ELb0ES3_N6thrust23THRUST_200600_302600_NS6detail15normal_iteratorINS9_10device_ptrIxEEEESE_SE_xNS9_4plusIxEE19head_flag_predicatexEE10hipError_tPvRmT2_T3_T4_T5_mT6_T7_P12ihipStream_tbENKUlT_T0_E_clISt17integral_constantIbLb0EESX_IbLb1EEEEDaST_SU_EUlST_E_NS1_11comp_targetILNS1_3genE5ELNS1_11target_archE942ELNS1_3gpuE9ELNS1_3repE0EEENS1_30default_config_static_selectorELNS0_4arch9wavefront6targetE0EEEvT1_ ; -- Begin function _ZN7rocprim17ROCPRIM_400000_NS6detail17trampoline_kernelINS0_14default_configENS1_27scan_by_key_config_selectorIxxEEZZNS1_16scan_by_key_implILNS1_25lookback_scan_determinismE0ELb0ES3_N6thrust23THRUST_200600_302600_NS6detail15normal_iteratorINS9_10device_ptrIxEEEESE_SE_xNS9_4plusIxEE19head_flag_predicatexEE10hipError_tPvRmT2_T3_T4_T5_mT6_T7_P12ihipStream_tbENKUlT_T0_E_clISt17integral_constantIbLb0EESX_IbLb1EEEEDaST_SU_EUlST_E_NS1_11comp_targetILNS1_3genE5ELNS1_11target_archE942ELNS1_3gpuE9ELNS1_3repE0EEENS1_30default_config_static_selectorELNS0_4arch9wavefront6targetE0EEEvT1_
	.globl	_ZN7rocprim17ROCPRIM_400000_NS6detail17trampoline_kernelINS0_14default_configENS1_27scan_by_key_config_selectorIxxEEZZNS1_16scan_by_key_implILNS1_25lookback_scan_determinismE0ELb0ES3_N6thrust23THRUST_200600_302600_NS6detail15normal_iteratorINS9_10device_ptrIxEEEESE_SE_xNS9_4plusIxEE19head_flag_predicatexEE10hipError_tPvRmT2_T3_T4_T5_mT6_T7_P12ihipStream_tbENKUlT_T0_E_clISt17integral_constantIbLb0EESX_IbLb1EEEEDaST_SU_EUlST_E_NS1_11comp_targetILNS1_3genE5ELNS1_11target_archE942ELNS1_3gpuE9ELNS1_3repE0EEENS1_30default_config_static_selectorELNS0_4arch9wavefront6targetE0EEEvT1_
	.p2align	8
	.type	_ZN7rocprim17ROCPRIM_400000_NS6detail17trampoline_kernelINS0_14default_configENS1_27scan_by_key_config_selectorIxxEEZZNS1_16scan_by_key_implILNS1_25lookback_scan_determinismE0ELb0ES3_N6thrust23THRUST_200600_302600_NS6detail15normal_iteratorINS9_10device_ptrIxEEEESE_SE_xNS9_4plusIxEE19head_flag_predicatexEE10hipError_tPvRmT2_T3_T4_T5_mT6_T7_P12ihipStream_tbENKUlT_T0_E_clISt17integral_constantIbLb0EESX_IbLb1EEEEDaST_SU_EUlST_E_NS1_11comp_targetILNS1_3genE5ELNS1_11target_archE942ELNS1_3gpuE9ELNS1_3repE0EEENS1_30default_config_static_selectorELNS0_4arch9wavefront6targetE0EEEvT1_,@function
_ZN7rocprim17ROCPRIM_400000_NS6detail17trampoline_kernelINS0_14default_configENS1_27scan_by_key_config_selectorIxxEEZZNS1_16scan_by_key_implILNS1_25lookback_scan_determinismE0ELb0ES3_N6thrust23THRUST_200600_302600_NS6detail15normal_iteratorINS9_10device_ptrIxEEEESE_SE_xNS9_4plusIxEE19head_flag_predicatexEE10hipError_tPvRmT2_T3_T4_T5_mT6_T7_P12ihipStream_tbENKUlT_T0_E_clISt17integral_constantIbLb0EESX_IbLb1EEEEDaST_SU_EUlST_E_NS1_11comp_targetILNS1_3genE5ELNS1_11target_archE942ELNS1_3gpuE9ELNS1_3repE0EEENS1_30default_config_static_selectorELNS0_4arch9wavefront6targetE0EEEvT1_: ; @_ZN7rocprim17ROCPRIM_400000_NS6detail17trampoline_kernelINS0_14default_configENS1_27scan_by_key_config_selectorIxxEEZZNS1_16scan_by_key_implILNS1_25lookback_scan_determinismE0ELb0ES3_N6thrust23THRUST_200600_302600_NS6detail15normal_iteratorINS9_10device_ptrIxEEEESE_SE_xNS9_4plusIxEE19head_flag_predicatexEE10hipError_tPvRmT2_T3_T4_T5_mT6_T7_P12ihipStream_tbENKUlT_T0_E_clISt17integral_constantIbLb0EESX_IbLb1EEEEDaST_SU_EUlST_E_NS1_11comp_targetILNS1_3genE5ELNS1_11target_archE942ELNS1_3gpuE9ELNS1_3repE0EEENS1_30default_config_static_selectorELNS0_4arch9wavefront6targetE0EEEvT1_
; %bb.0:
	.section	.rodata,"a",@progbits
	.p2align	6, 0x0
	.amdhsa_kernel _ZN7rocprim17ROCPRIM_400000_NS6detail17trampoline_kernelINS0_14default_configENS1_27scan_by_key_config_selectorIxxEEZZNS1_16scan_by_key_implILNS1_25lookback_scan_determinismE0ELb0ES3_N6thrust23THRUST_200600_302600_NS6detail15normal_iteratorINS9_10device_ptrIxEEEESE_SE_xNS9_4plusIxEE19head_flag_predicatexEE10hipError_tPvRmT2_T3_T4_T5_mT6_T7_P12ihipStream_tbENKUlT_T0_E_clISt17integral_constantIbLb0EESX_IbLb1EEEEDaST_SU_EUlST_E_NS1_11comp_targetILNS1_3genE5ELNS1_11target_archE942ELNS1_3gpuE9ELNS1_3repE0EEENS1_30default_config_static_selectorELNS0_4arch9wavefront6targetE0EEEvT1_
		.amdhsa_group_segment_fixed_size 0
		.amdhsa_private_segment_fixed_size 0
		.amdhsa_kernarg_size 136
		.amdhsa_user_sgpr_count 2
		.amdhsa_user_sgpr_dispatch_ptr 0
		.amdhsa_user_sgpr_queue_ptr 0
		.amdhsa_user_sgpr_kernarg_segment_ptr 1
		.amdhsa_user_sgpr_dispatch_id 0
		.amdhsa_user_sgpr_kernarg_preload_length 0
		.amdhsa_user_sgpr_kernarg_preload_offset 0
		.amdhsa_user_sgpr_private_segment_size 0
		.amdhsa_wavefront_size32 1
		.amdhsa_uses_dynamic_stack 0
		.amdhsa_enable_private_segment 0
		.amdhsa_system_sgpr_workgroup_id_x 1
		.amdhsa_system_sgpr_workgroup_id_y 0
		.amdhsa_system_sgpr_workgroup_id_z 0
		.amdhsa_system_sgpr_workgroup_info 0
		.amdhsa_system_vgpr_workitem_id 0
		.amdhsa_next_free_vgpr 1
		.amdhsa_next_free_sgpr 1
		.amdhsa_named_barrier_count 0
		.amdhsa_reserve_vcc 0
		.amdhsa_float_round_mode_32 0
		.amdhsa_float_round_mode_16_64 0
		.amdhsa_float_denorm_mode_32 3
		.amdhsa_float_denorm_mode_16_64 3
		.amdhsa_fp16_overflow 0
		.amdhsa_memory_ordered 1
		.amdhsa_forward_progress 1
		.amdhsa_inst_pref_size 0
		.amdhsa_round_robin_scheduling 0
		.amdhsa_exception_fp_ieee_invalid_op 0
		.amdhsa_exception_fp_denorm_src 0
		.amdhsa_exception_fp_ieee_div_zero 0
		.amdhsa_exception_fp_ieee_overflow 0
		.amdhsa_exception_fp_ieee_underflow 0
		.amdhsa_exception_fp_ieee_inexact 0
		.amdhsa_exception_int_div_zero 0
	.end_amdhsa_kernel
	.section	.text._ZN7rocprim17ROCPRIM_400000_NS6detail17trampoline_kernelINS0_14default_configENS1_27scan_by_key_config_selectorIxxEEZZNS1_16scan_by_key_implILNS1_25lookback_scan_determinismE0ELb0ES3_N6thrust23THRUST_200600_302600_NS6detail15normal_iteratorINS9_10device_ptrIxEEEESE_SE_xNS9_4plusIxEE19head_flag_predicatexEE10hipError_tPvRmT2_T3_T4_T5_mT6_T7_P12ihipStream_tbENKUlT_T0_E_clISt17integral_constantIbLb0EESX_IbLb1EEEEDaST_SU_EUlST_E_NS1_11comp_targetILNS1_3genE5ELNS1_11target_archE942ELNS1_3gpuE9ELNS1_3repE0EEENS1_30default_config_static_selectorELNS0_4arch9wavefront6targetE0EEEvT1_,"axG",@progbits,_ZN7rocprim17ROCPRIM_400000_NS6detail17trampoline_kernelINS0_14default_configENS1_27scan_by_key_config_selectorIxxEEZZNS1_16scan_by_key_implILNS1_25lookback_scan_determinismE0ELb0ES3_N6thrust23THRUST_200600_302600_NS6detail15normal_iteratorINS9_10device_ptrIxEEEESE_SE_xNS9_4plusIxEE19head_flag_predicatexEE10hipError_tPvRmT2_T3_T4_T5_mT6_T7_P12ihipStream_tbENKUlT_T0_E_clISt17integral_constantIbLb0EESX_IbLb1EEEEDaST_SU_EUlST_E_NS1_11comp_targetILNS1_3genE5ELNS1_11target_archE942ELNS1_3gpuE9ELNS1_3repE0EEENS1_30default_config_static_selectorELNS0_4arch9wavefront6targetE0EEEvT1_,comdat
.Lfunc_end706:
	.size	_ZN7rocprim17ROCPRIM_400000_NS6detail17trampoline_kernelINS0_14default_configENS1_27scan_by_key_config_selectorIxxEEZZNS1_16scan_by_key_implILNS1_25lookback_scan_determinismE0ELb0ES3_N6thrust23THRUST_200600_302600_NS6detail15normal_iteratorINS9_10device_ptrIxEEEESE_SE_xNS9_4plusIxEE19head_flag_predicatexEE10hipError_tPvRmT2_T3_T4_T5_mT6_T7_P12ihipStream_tbENKUlT_T0_E_clISt17integral_constantIbLb0EESX_IbLb1EEEEDaST_SU_EUlST_E_NS1_11comp_targetILNS1_3genE5ELNS1_11target_archE942ELNS1_3gpuE9ELNS1_3repE0EEENS1_30default_config_static_selectorELNS0_4arch9wavefront6targetE0EEEvT1_, .Lfunc_end706-_ZN7rocprim17ROCPRIM_400000_NS6detail17trampoline_kernelINS0_14default_configENS1_27scan_by_key_config_selectorIxxEEZZNS1_16scan_by_key_implILNS1_25lookback_scan_determinismE0ELb0ES3_N6thrust23THRUST_200600_302600_NS6detail15normal_iteratorINS9_10device_ptrIxEEEESE_SE_xNS9_4plusIxEE19head_flag_predicatexEE10hipError_tPvRmT2_T3_T4_T5_mT6_T7_P12ihipStream_tbENKUlT_T0_E_clISt17integral_constantIbLb0EESX_IbLb1EEEEDaST_SU_EUlST_E_NS1_11comp_targetILNS1_3genE5ELNS1_11target_archE942ELNS1_3gpuE9ELNS1_3repE0EEENS1_30default_config_static_selectorELNS0_4arch9wavefront6targetE0EEEvT1_
                                        ; -- End function
	.set _ZN7rocprim17ROCPRIM_400000_NS6detail17trampoline_kernelINS0_14default_configENS1_27scan_by_key_config_selectorIxxEEZZNS1_16scan_by_key_implILNS1_25lookback_scan_determinismE0ELb0ES3_N6thrust23THRUST_200600_302600_NS6detail15normal_iteratorINS9_10device_ptrIxEEEESE_SE_xNS9_4plusIxEE19head_flag_predicatexEE10hipError_tPvRmT2_T3_T4_T5_mT6_T7_P12ihipStream_tbENKUlT_T0_E_clISt17integral_constantIbLb0EESX_IbLb1EEEEDaST_SU_EUlST_E_NS1_11comp_targetILNS1_3genE5ELNS1_11target_archE942ELNS1_3gpuE9ELNS1_3repE0EEENS1_30default_config_static_selectorELNS0_4arch9wavefront6targetE0EEEvT1_.num_vgpr, 0
	.set _ZN7rocprim17ROCPRIM_400000_NS6detail17trampoline_kernelINS0_14default_configENS1_27scan_by_key_config_selectorIxxEEZZNS1_16scan_by_key_implILNS1_25lookback_scan_determinismE0ELb0ES3_N6thrust23THRUST_200600_302600_NS6detail15normal_iteratorINS9_10device_ptrIxEEEESE_SE_xNS9_4plusIxEE19head_flag_predicatexEE10hipError_tPvRmT2_T3_T4_T5_mT6_T7_P12ihipStream_tbENKUlT_T0_E_clISt17integral_constantIbLb0EESX_IbLb1EEEEDaST_SU_EUlST_E_NS1_11comp_targetILNS1_3genE5ELNS1_11target_archE942ELNS1_3gpuE9ELNS1_3repE0EEENS1_30default_config_static_selectorELNS0_4arch9wavefront6targetE0EEEvT1_.num_agpr, 0
	.set _ZN7rocprim17ROCPRIM_400000_NS6detail17trampoline_kernelINS0_14default_configENS1_27scan_by_key_config_selectorIxxEEZZNS1_16scan_by_key_implILNS1_25lookback_scan_determinismE0ELb0ES3_N6thrust23THRUST_200600_302600_NS6detail15normal_iteratorINS9_10device_ptrIxEEEESE_SE_xNS9_4plusIxEE19head_flag_predicatexEE10hipError_tPvRmT2_T3_T4_T5_mT6_T7_P12ihipStream_tbENKUlT_T0_E_clISt17integral_constantIbLb0EESX_IbLb1EEEEDaST_SU_EUlST_E_NS1_11comp_targetILNS1_3genE5ELNS1_11target_archE942ELNS1_3gpuE9ELNS1_3repE0EEENS1_30default_config_static_selectorELNS0_4arch9wavefront6targetE0EEEvT1_.numbered_sgpr, 0
	.set _ZN7rocprim17ROCPRIM_400000_NS6detail17trampoline_kernelINS0_14default_configENS1_27scan_by_key_config_selectorIxxEEZZNS1_16scan_by_key_implILNS1_25lookback_scan_determinismE0ELb0ES3_N6thrust23THRUST_200600_302600_NS6detail15normal_iteratorINS9_10device_ptrIxEEEESE_SE_xNS9_4plusIxEE19head_flag_predicatexEE10hipError_tPvRmT2_T3_T4_T5_mT6_T7_P12ihipStream_tbENKUlT_T0_E_clISt17integral_constantIbLb0EESX_IbLb1EEEEDaST_SU_EUlST_E_NS1_11comp_targetILNS1_3genE5ELNS1_11target_archE942ELNS1_3gpuE9ELNS1_3repE0EEENS1_30default_config_static_selectorELNS0_4arch9wavefront6targetE0EEEvT1_.num_named_barrier, 0
	.set _ZN7rocprim17ROCPRIM_400000_NS6detail17trampoline_kernelINS0_14default_configENS1_27scan_by_key_config_selectorIxxEEZZNS1_16scan_by_key_implILNS1_25lookback_scan_determinismE0ELb0ES3_N6thrust23THRUST_200600_302600_NS6detail15normal_iteratorINS9_10device_ptrIxEEEESE_SE_xNS9_4plusIxEE19head_flag_predicatexEE10hipError_tPvRmT2_T3_T4_T5_mT6_T7_P12ihipStream_tbENKUlT_T0_E_clISt17integral_constantIbLb0EESX_IbLb1EEEEDaST_SU_EUlST_E_NS1_11comp_targetILNS1_3genE5ELNS1_11target_archE942ELNS1_3gpuE9ELNS1_3repE0EEENS1_30default_config_static_selectorELNS0_4arch9wavefront6targetE0EEEvT1_.private_seg_size, 0
	.set _ZN7rocprim17ROCPRIM_400000_NS6detail17trampoline_kernelINS0_14default_configENS1_27scan_by_key_config_selectorIxxEEZZNS1_16scan_by_key_implILNS1_25lookback_scan_determinismE0ELb0ES3_N6thrust23THRUST_200600_302600_NS6detail15normal_iteratorINS9_10device_ptrIxEEEESE_SE_xNS9_4plusIxEE19head_flag_predicatexEE10hipError_tPvRmT2_T3_T4_T5_mT6_T7_P12ihipStream_tbENKUlT_T0_E_clISt17integral_constantIbLb0EESX_IbLb1EEEEDaST_SU_EUlST_E_NS1_11comp_targetILNS1_3genE5ELNS1_11target_archE942ELNS1_3gpuE9ELNS1_3repE0EEENS1_30default_config_static_selectorELNS0_4arch9wavefront6targetE0EEEvT1_.uses_vcc, 0
	.set _ZN7rocprim17ROCPRIM_400000_NS6detail17trampoline_kernelINS0_14default_configENS1_27scan_by_key_config_selectorIxxEEZZNS1_16scan_by_key_implILNS1_25lookback_scan_determinismE0ELb0ES3_N6thrust23THRUST_200600_302600_NS6detail15normal_iteratorINS9_10device_ptrIxEEEESE_SE_xNS9_4plusIxEE19head_flag_predicatexEE10hipError_tPvRmT2_T3_T4_T5_mT6_T7_P12ihipStream_tbENKUlT_T0_E_clISt17integral_constantIbLb0EESX_IbLb1EEEEDaST_SU_EUlST_E_NS1_11comp_targetILNS1_3genE5ELNS1_11target_archE942ELNS1_3gpuE9ELNS1_3repE0EEENS1_30default_config_static_selectorELNS0_4arch9wavefront6targetE0EEEvT1_.uses_flat_scratch, 0
	.set _ZN7rocprim17ROCPRIM_400000_NS6detail17trampoline_kernelINS0_14default_configENS1_27scan_by_key_config_selectorIxxEEZZNS1_16scan_by_key_implILNS1_25lookback_scan_determinismE0ELb0ES3_N6thrust23THRUST_200600_302600_NS6detail15normal_iteratorINS9_10device_ptrIxEEEESE_SE_xNS9_4plusIxEE19head_flag_predicatexEE10hipError_tPvRmT2_T3_T4_T5_mT6_T7_P12ihipStream_tbENKUlT_T0_E_clISt17integral_constantIbLb0EESX_IbLb1EEEEDaST_SU_EUlST_E_NS1_11comp_targetILNS1_3genE5ELNS1_11target_archE942ELNS1_3gpuE9ELNS1_3repE0EEENS1_30default_config_static_selectorELNS0_4arch9wavefront6targetE0EEEvT1_.has_dyn_sized_stack, 0
	.set _ZN7rocprim17ROCPRIM_400000_NS6detail17trampoline_kernelINS0_14default_configENS1_27scan_by_key_config_selectorIxxEEZZNS1_16scan_by_key_implILNS1_25lookback_scan_determinismE0ELb0ES3_N6thrust23THRUST_200600_302600_NS6detail15normal_iteratorINS9_10device_ptrIxEEEESE_SE_xNS9_4plusIxEE19head_flag_predicatexEE10hipError_tPvRmT2_T3_T4_T5_mT6_T7_P12ihipStream_tbENKUlT_T0_E_clISt17integral_constantIbLb0EESX_IbLb1EEEEDaST_SU_EUlST_E_NS1_11comp_targetILNS1_3genE5ELNS1_11target_archE942ELNS1_3gpuE9ELNS1_3repE0EEENS1_30default_config_static_selectorELNS0_4arch9wavefront6targetE0EEEvT1_.has_recursion, 0
	.set _ZN7rocprim17ROCPRIM_400000_NS6detail17trampoline_kernelINS0_14default_configENS1_27scan_by_key_config_selectorIxxEEZZNS1_16scan_by_key_implILNS1_25lookback_scan_determinismE0ELb0ES3_N6thrust23THRUST_200600_302600_NS6detail15normal_iteratorINS9_10device_ptrIxEEEESE_SE_xNS9_4plusIxEE19head_flag_predicatexEE10hipError_tPvRmT2_T3_T4_T5_mT6_T7_P12ihipStream_tbENKUlT_T0_E_clISt17integral_constantIbLb0EESX_IbLb1EEEEDaST_SU_EUlST_E_NS1_11comp_targetILNS1_3genE5ELNS1_11target_archE942ELNS1_3gpuE9ELNS1_3repE0EEENS1_30default_config_static_selectorELNS0_4arch9wavefront6targetE0EEEvT1_.has_indirect_call, 0
	.section	.AMDGPU.csdata,"",@progbits
; Kernel info:
; codeLenInByte = 0
; TotalNumSgprs: 0
; NumVgprs: 0
; ScratchSize: 0
; MemoryBound: 0
; FloatMode: 240
; IeeeMode: 1
; LDSByteSize: 0 bytes/workgroup (compile time only)
; SGPRBlocks: 0
; VGPRBlocks: 0
; NumSGPRsForWavesPerEU: 1
; NumVGPRsForWavesPerEU: 1
; NamedBarCnt: 0
; Occupancy: 16
; WaveLimiterHint : 0
; COMPUTE_PGM_RSRC2:SCRATCH_EN: 0
; COMPUTE_PGM_RSRC2:USER_SGPR: 2
; COMPUTE_PGM_RSRC2:TRAP_HANDLER: 0
; COMPUTE_PGM_RSRC2:TGID_X_EN: 1
; COMPUTE_PGM_RSRC2:TGID_Y_EN: 0
; COMPUTE_PGM_RSRC2:TGID_Z_EN: 0
; COMPUTE_PGM_RSRC2:TIDIG_COMP_CNT: 0
	.section	.text._ZN7rocprim17ROCPRIM_400000_NS6detail17trampoline_kernelINS0_14default_configENS1_27scan_by_key_config_selectorIxxEEZZNS1_16scan_by_key_implILNS1_25lookback_scan_determinismE0ELb0ES3_N6thrust23THRUST_200600_302600_NS6detail15normal_iteratorINS9_10device_ptrIxEEEESE_SE_xNS9_4plusIxEE19head_flag_predicatexEE10hipError_tPvRmT2_T3_T4_T5_mT6_T7_P12ihipStream_tbENKUlT_T0_E_clISt17integral_constantIbLb0EESX_IbLb1EEEEDaST_SU_EUlST_E_NS1_11comp_targetILNS1_3genE4ELNS1_11target_archE910ELNS1_3gpuE8ELNS1_3repE0EEENS1_30default_config_static_selectorELNS0_4arch9wavefront6targetE0EEEvT1_,"axG",@progbits,_ZN7rocprim17ROCPRIM_400000_NS6detail17trampoline_kernelINS0_14default_configENS1_27scan_by_key_config_selectorIxxEEZZNS1_16scan_by_key_implILNS1_25lookback_scan_determinismE0ELb0ES3_N6thrust23THRUST_200600_302600_NS6detail15normal_iteratorINS9_10device_ptrIxEEEESE_SE_xNS9_4plusIxEE19head_flag_predicatexEE10hipError_tPvRmT2_T3_T4_T5_mT6_T7_P12ihipStream_tbENKUlT_T0_E_clISt17integral_constantIbLb0EESX_IbLb1EEEEDaST_SU_EUlST_E_NS1_11comp_targetILNS1_3genE4ELNS1_11target_archE910ELNS1_3gpuE8ELNS1_3repE0EEENS1_30default_config_static_selectorELNS0_4arch9wavefront6targetE0EEEvT1_,comdat
	.protected	_ZN7rocprim17ROCPRIM_400000_NS6detail17trampoline_kernelINS0_14default_configENS1_27scan_by_key_config_selectorIxxEEZZNS1_16scan_by_key_implILNS1_25lookback_scan_determinismE0ELb0ES3_N6thrust23THRUST_200600_302600_NS6detail15normal_iteratorINS9_10device_ptrIxEEEESE_SE_xNS9_4plusIxEE19head_flag_predicatexEE10hipError_tPvRmT2_T3_T4_T5_mT6_T7_P12ihipStream_tbENKUlT_T0_E_clISt17integral_constantIbLb0EESX_IbLb1EEEEDaST_SU_EUlST_E_NS1_11comp_targetILNS1_3genE4ELNS1_11target_archE910ELNS1_3gpuE8ELNS1_3repE0EEENS1_30default_config_static_selectorELNS0_4arch9wavefront6targetE0EEEvT1_ ; -- Begin function _ZN7rocprim17ROCPRIM_400000_NS6detail17trampoline_kernelINS0_14default_configENS1_27scan_by_key_config_selectorIxxEEZZNS1_16scan_by_key_implILNS1_25lookback_scan_determinismE0ELb0ES3_N6thrust23THRUST_200600_302600_NS6detail15normal_iteratorINS9_10device_ptrIxEEEESE_SE_xNS9_4plusIxEE19head_flag_predicatexEE10hipError_tPvRmT2_T3_T4_T5_mT6_T7_P12ihipStream_tbENKUlT_T0_E_clISt17integral_constantIbLb0EESX_IbLb1EEEEDaST_SU_EUlST_E_NS1_11comp_targetILNS1_3genE4ELNS1_11target_archE910ELNS1_3gpuE8ELNS1_3repE0EEENS1_30default_config_static_selectorELNS0_4arch9wavefront6targetE0EEEvT1_
	.globl	_ZN7rocprim17ROCPRIM_400000_NS6detail17trampoline_kernelINS0_14default_configENS1_27scan_by_key_config_selectorIxxEEZZNS1_16scan_by_key_implILNS1_25lookback_scan_determinismE0ELb0ES3_N6thrust23THRUST_200600_302600_NS6detail15normal_iteratorINS9_10device_ptrIxEEEESE_SE_xNS9_4plusIxEE19head_flag_predicatexEE10hipError_tPvRmT2_T3_T4_T5_mT6_T7_P12ihipStream_tbENKUlT_T0_E_clISt17integral_constantIbLb0EESX_IbLb1EEEEDaST_SU_EUlST_E_NS1_11comp_targetILNS1_3genE4ELNS1_11target_archE910ELNS1_3gpuE8ELNS1_3repE0EEENS1_30default_config_static_selectorELNS0_4arch9wavefront6targetE0EEEvT1_
	.p2align	8
	.type	_ZN7rocprim17ROCPRIM_400000_NS6detail17trampoline_kernelINS0_14default_configENS1_27scan_by_key_config_selectorIxxEEZZNS1_16scan_by_key_implILNS1_25lookback_scan_determinismE0ELb0ES3_N6thrust23THRUST_200600_302600_NS6detail15normal_iteratorINS9_10device_ptrIxEEEESE_SE_xNS9_4plusIxEE19head_flag_predicatexEE10hipError_tPvRmT2_T3_T4_T5_mT6_T7_P12ihipStream_tbENKUlT_T0_E_clISt17integral_constantIbLb0EESX_IbLb1EEEEDaST_SU_EUlST_E_NS1_11comp_targetILNS1_3genE4ELNS1_11target_archE910ELNS1_3gpuE8ELNS1_3repE0EEENS1_30default_config_static_selectorELNS0_4arch9wavefront6targetE0EEEvT1_,@function
_ZN7rocprim17ROCPRIM_400000_NS6detail17trampoline_kernelINS0_14default_configENS1_27scan_by_key_config_selectorIxxEEZZNS1_16scan_by_key_implILNS1_25lookback_scan_determinismE0ELb0ES3_N6thrust23THRUST_200600_302600_NS6detail15normal_iteratorINS9_10device_ptrIxEEEESE_SE_xNS9_4plusIxEE19head_flag_predicatexEE10hipError_tPvRmT2_T3_T4_T5_mT6_T7_P12ihipStream_tbENKUlT_T0_E_clISt17integral_constantIbLb0EESX_IbLb1EEEEDaST_SU_EUlST_E_NS1_11comp_targetILNS1_3genE4ELNS1_11target_archE910ELNS1_3gpuE8ELNS1_3repE0EEENS1_30default_config_static_selectorELNS0_4arch9wavefront6targetE0EEEvT1_: ; @_ZN7rocprim17ROCPRIM_400000_NS6detail17trampoline_kernelINS0_14default_configENS1_27scan_by_key_config_selectorIxxEEZZNS1_16scan_by_key_implILNS1_25lookback_scan_determinismE0ELb0ES3_N6thrust23THRUST_200600_302600_NS6detail15normal_iteratorINS9_10device_ptrIxEEEESE_SE_xNS9_4plusIxEE19head_flag_predicatexEE10hipError_tPvRmT2_T3_T4_T5_mT6_T7_P12ihipStream_tbENKUlT_T0_E_clISt17integral_constantIbLb0EESX_IbLb1EEEEDaST_SU_EUlST_E_NS1_11comp_targetILNS1_3genE4ELNS1_11target_archE910ELNS1_3gpuE8ELNS1_3repE0EEENS1_30default_config_static_selectorELNS0_4arch9wavefront6targetE0EEEvT1_
; %bb.0:
	.section	.rodata,"a",@progbits
	.p2align	6, 0x0
	.amdhsa_kernel _ZN7rocprim17ROCPRIM_400000_NS6detail17trampoline_kernelINS0_14default_configENS1_27scan_by_key_config_selectorIxxEEZZNS1_16scan_by_key_implILNS1_25lookback_scan_determinismE0ELb0ES3_N6thrust23THRUST_200600_302600_NS6detail15normal_iteratorINS9_10device_ptrIxEEEESE_SE_xNS9_4plusIxEE19head_flag_predicatexEE10hipError_tPvRmT2_T3_T4_T5_mT6_T7_P12ihipStream_tbENKUlT_T0_E_clISt17integral_constantIbLb0EESX_IbLb1EEEEDaST_SU_EUlST_E_NS1_11comp_targetILNS1_3genE4ELNS1_11target_archE910ELNS1_3gpuE8ELNS1_3repE0EEENS1_30default_config_static_selectorELNS0_4arch9wavefront6targetE0EEEvT1_
		.amdhsa_group_segment_fixed_size 0
		.amdhsa_private_segment_fixed_size 0
		.amdhsa_kernarg_size 136
		.amdhsa_user_sgpr_count 2
		.amdhsa_user_sgpr_dispatch_ptr 0
		.amdhsa_user_sgpr_queue_ptr 0
		.amdhsa_user_sgpr_kernarg_segment_ptr 1
		.amdhsa_user_sgpr_dispatch_id 0
		.amdhsa_user_sgpr_kernarg_preload_length 0
		.amdhsa_user_sgpr_kernarg_preload_offset 0
		.amdhsa_user_sgpr_private_segment_size 0
		.amdhsa_wavefront_size32 1
		.amdhsa_uses_dynamic_stack 0
		.amdhsa_enable_private_segment 0
		.amdhsa_system_sgpr_workgroup_id_x 1
		.amdhsa_system_sgpr_workgroup_id_y 0
		.amdhsa_system_sgpr_workgroup_id_z 0
		.amdhsa_system_sgpr_workgroup_info 0
		.amdhsa_system_vgpr_workitem_id 0
		.amdhsa_next_free_vgpr 1
		.amdhsa_next_free_sgpr 1
		.amdhsa_named_barrier_count 0
		.amdhsa_reserve_vcc 0
		.amdhsa_float_round_mode_32 0
		.amdhsa_float_round_mode_16_64 0
		.amdhsa_float_denorm_mode_32 3
		.amdhsa_float_denorm_mode_16_64 3
		.amdhsa_fp16_overflow 0
		.amdhsa_memory_ordered 1
		.amdhsa_forward_progress 1
		.amdhsa_inst_pref_size 0
		.amdhsa_round_robin_scheduling 0
		.amdhsa_exception_fp_ieee_invalid_op 0
		.amdhsa_exception_fp_denorm_src 0
		.amdhsa_exception_fp_ieee_div_zero 0
		.amdhsa_exception_fp_ieee_overflow 0
		.amdhsa_exception_fp_ieee_underflow 0
		.amdhsa_exception_fp_ieee_inexact 0
		.amdhsa_exception_int_div_zero 0
	.end_amdhsa_kernel
	.section	.text._ZN7rocprim17ROCPRIM_400000_NS6detail17trampoline_kernelINS0_14default_configENS1_27scan_by_key_config_selectorIxxEEZZNS1_16scan_by_key_implILNS1_25lookback_scan_determinismE0ELb0ES3_N6thrust23THRUST_200600_302600_NS6detail15normal_iteratorINS9_10device_ptrIxEEEESE_SE_xNS9_4plusIxEE19head_flag_predicatexEE10hipError_tPvRmT2_T3_T4_T5_mT6_T7_P12ihipStream_tbENKUlT_T0_E_clISt17integral_constantIbLb0EESX_IbLb1EEEEDaST_SU_EUlST_E_NS1_11comp_targetILNS1_3genE4ELNS1_11target_archE910ELNS1_3gpuE8ELNS1_3repE0EEENS1_30default_config_static_selectorELNS0_4arch9wavefront6targetE0EEEvT1_,"axG",@progbits,_ZN7rocprim17ROCPRIM_400000_NS6detail17trampoline_kernelINS0_14default_configENS1_27scan_by_key_config_selectorIxxEEZZNS1_16scan_by_key_implILNS1_25lookback_scan_determinismE0ELb0ES3_N6thrust23THRUST_200600_302600_NS6detail15normal_iteratorINS9_10device_ptrIxEEEESE_SE_xNS9_4plusIxEE19head_flag_predicatexEE10hipError_tPvRmT2_T3_T4_T5_mT6_T7_P12ihipStream_tbENKUlT_T0_E_clISt17integral_constantIbLb0EESX_IbLb1EEEEDaST_SU_EUlST_E_NS1_11comp_targetILNS1_3genE4ELNS1_11target_archE910ELNS1_3gpuE8ELNS1_3repE0EEENS1_30default_config_static_selectorELNS0_4arch9wavefront6targetE0EEEvT1_,comdat
.Lfunc_end707:
	.size	_ZN7rocprim17ROCPRIM_400000_NS6detail17trampoline_kernelINS0_14default_configENS1_27scan_by_key_config_selectorIxxEEZZNS1_16scan_by_key_implILNS1_25lookback_scan_determinismE0ELb0ES3_N6thrust23THRUST_200600_302600_NS6detail15normal_iteratorINS9_10device_ptrIxEEEESE_SE_xNS9_4plusIxEE19head_flag_predicatexEE10hipError_tPvRmT2_T3_T4_T5_mT6_T7_P12ihipStream_tbENKUlT_T0_E_clISt17integral_constantIbLb0EESX_IbLb1EEEEDaST_SU_EUlST_E_NS1_11comp_targetILNS1_3genE4ELNS1_11target_archE910ELNS1_3gpuE8ELNS1_3repE0EEENS1_30default_config_static_selectorELNS0_4arch9wavefront6targetE0EEEvT1_, .Lfunc_end707-_ZN7rocprim17ROCPRIM_400000_NS6detail17trampoline_kernelINS0_14default_configENS1_27scan_by_key_config_selectorIxxEEZZNS1_16scan_by_key_implILNS1_25lookback_scan_determinismE0ELb0ES3_N6thrust23THRUST_200600_302600_NS6detail15normal_iteratorINS9_10device_ptrIxEEEESE_SE_xNS9_4plusIxEE19head_flag_predicatexEE10hipError_tPvRmT2_T3_T4_T5_mT6_T7_P12ihipStream_tbENKUlT_T0_E_clISt17integral_constantIbLb0EESX_IbLb1EEEEDaST_SU_EUlST_E_NS1_11comp_targetILNS1_3genE4ELNS1_11target_archE910ELNS1_3gpuE8ELNS1_3repE0EEENS1_30default_config_static_selectorELNS0_4arch9wavefront6targetE0EEEvT1_
                                        ; -- End function
	.set _ZN7rocprim17ROCPRIM_400000_NS6detail17trampoline_kernelINS0_14default_configENS1_27scan_by_key_config_selectorIxxEEZZNS1_16scan_by_key_implILNS1_25lookback_scan_determinismE0ELb0ES3_N6thrust23THRUST_200600_302600_NS6detail15normal_iteratorINS9_10device_ptrIxEEEESE_SE_xNS9_4plusIxEE19head_flag_predicatexEE10hipError_tPvRmT2_T3_T4_T5_mT6_T7_P12ihipStream_tbENKUlT_T0_E_clISt17integral_constantIbLb0EESX_IbLb1EEEEDaST_SU_EUlST_E_NS1_11comp_targetILNS1_3genE4ELNS1_11target_archE910ELNS1_3gpuE8ELNS1_3repE0EEENS1_30default_config_static_selectorELNS0_4arch9wavefront6targetE0EEEvT1_.num_vgpr, 0
	.set _ZN7rocprim17ROCPRIM_400000_NS6detail17trampoline_kernelINS0_14default_configENS1_27scan_by_key_config_selectorIxxEEZZNS1_16scan_by_key_implILNS1_25lookback_scan_determinismE0ELb0ES3_N6thrust23THRUST_200600_302600_NS6detail15normal_iteratorINS9_10device_ptrIxEEEESE_SE_xNS9_4plusIxEE19head_flag_predicatexEE10hipError_tPvRmT2_T3_T4_T5_mT6_T7_P12ihipStream_tbENKUlT_T0_E_clISt17integral_constantIbLb0EESX_IbLb1EEEEDaST_SU_EUlST_E_NS1_11comp_targetILNS1_3genE4ELNS1_11target_archE910ELNS1_3gpuE8ELNS1_3repE0EEENS1_30default_config_static_selectorELNS0_4arch9wavefront6targetE0EEEvT1_.num_agpr, 0
	.set _ZN7rocprim17ROCPRIM_400000_NS6detail17trampoline_kernelINS0_14default_configENS1_27scan_by_key_config_selectorIxxEEZZNS1_16scan_by_key_implILNS1_25lookback_scan_determinismE0ELb0ES3_N6thrust23THRUST_200600_302600_NS6detail15normal_iteratorINS9_10device_ptrIxEEEESE_SE_xNS9_4plusIxEE19head_flag_predicatexEE10hipError_tPvRmT2_T3_T4_T5_mT6_T7_P12ihipStream_tbENKUlT_T0_E_clISt17integral_constantIbLb0EESX_IbLb1EEEEDaST_SU_EUlST_E_NS1_11comp_targetILNS1_3genE4ELNS1_11target_archE910ELNS1_3gpuE8ELNS1_3repE0EEENS1_30default_config_static_selectorELNS0_4arch9wavefront6targetE0EEEvT1_.numbered_sgpr, 0
	.set _ZN7rocprim17ROCPRIM_400000_NS6detail17trampoline_kernelINS0_14default_configENS1_27scan_by_key_config_selectorIxxEEZZNS1_16scan_by_key_implILNS1_25lookback_scan_determinismE0ELb0ES3_N6thrust23THRUST_200600_302600_NS6detail15normal_iteratorINS9_10device_ptrIxEEEESE_SE_xNS9_4plusIxEE19head_flag_predicatexEE10hipError_tPvRmT2_T3_T4_T5_mT6_T7_P12ihipStream_tbENKUlT_T0_E_clISt17integral_constantIbLb0EESX_IbLb1EEEEDaST_SU_EUlST_E_NS1_11comp_targetILNS1_3genE4ELNS1_11target_archE910ELNS1_3gpuE8ELNS1_3repE0EEENS1_30default_config_static_selectorELNS0_4arch9wavefront6targetE0EEEvT1_.num_named_barrier, 0
	.set _ZN7rocprim17ROCPRIM_400000_NS6detail17trampoline_kernelINS0_14default_configENS1_27scan_by_key_config_selectorIxxEEZZNS1_16scan_by_key_implILNS1_25lookback_scan_determinismE0ELb0ES3_N6thrust23THRUST_200600_302600_NS6detail15normal_iteratorINS9_10device_ptrIxEEEESE_SE_xNS9_4plusIxEE19head_flag_predicatexEE10hipError_tPvRmT2_T3_T4_T5_mT6_T7_P12ihipStream_tbENKUlT_T0_E_clISt17integral_constantIbLb0EESX_IbLb1EEEEDaST_SU_EUlST_E_NS1_11comp_targetILNS1_3genE4ELNS1_11target_archE910ELNS1_3gpuE8ELNS1_3repE0EEENS1_30default_config_static_selectorELNS0_4arch9wavefront6targetE0EEEvT1_.private_seg_size, 0
	.set _ZN7rocprim17ROCPRIM_400000_NS6detail17trampoline_kernelINS0_14default_configENS1_27scan_by_key_config_selectorIxxEEZZNS1_16scan_by_key_implILNS1_25lookback_scan_determinismE0ELb0ES3_N6thrust23THRUST_200600_302600_NS6detail15normal_iteratorINS9_10device_ptrIxEEEESE_SE_xNS9_4plusIxEE19head_flag_predicatexEE10hipError_tPvRmT2_T3_T4_T5_mT6_T7_P12ihipStream_tbENKUlT_T0_E_clISt17integral_constantIbLb0EESX_IbLb1EEEEDaST_SU_EUlST_E_NS1_11comp_targetILNS1_3genE4ELNS1_11target_archE910ELNS1_3gpuE8ELNS1_3repE0EEENS1_30default_config_static_selectorELNS0_4arch9wavefront6targetE0EEEvT1_.uses_vcc, 0
	.set _ZN7rocprim17ROCPRIM_400000_NS6detail17trampoline_kernelINS0_14default_configENS1_27scan_by_key_config_selectorIxxEEZZNS1_16scan_by_key_implILNS1_25lookback_scan_determinismE0ELb0ES3_N6thrust23THRUST_200600_302600_NS6detail15normal_iteratorINS9_10device_ptrIxEEEESE_SE_xNS9_4plusIxEE19head_flag_predicatexEE10hipError_tPvRmT2_T3_T4_T5_mT6_T7_P12ihipStream_tbENKUlT_T0_E_clISt17integral_constantIbLb0EESX_IbLb1EEEEDaST_SU_EUlST_E_NS1_11comp_targetILNS1_3genE4ELNS1_11target_archE910ELNS1_3gpuE8ELNS1_3repE0EEENS1_30default_config_static_selectorELNS0_4arch9wavefront6targetE0EEEvT1_.uses_flat_scratch, 0
	.set _ZN7rocprim17ROCPRIM_400000_NS6detail17trampoline_kernelINS0_14default_configENS1_27scan_by_key_config_selectorIxxEEZZNS1_16scan_by_key_implILNS1_25lookback_scan_determinismE0ELb0ES3_N6thrust23THRUST_200600_302600_NS6detail15normal_iteratorINS9_10device_ptrIxEEEESE_SE_xNS9_4plusIxEE19head_flag_predicatexEE10hipError_tPvRmT2_T3_T4_T5_mT6_T7_P12ihipStream_tbENKUlT_T0_E_clISt17integral_constantIbLb0EESX_IbLb1EEEEDaST_SU_EUlST_E_NS1_11comp_targetILNS1_3genE4ELNS1_11target_archE910ELNS1_3gpuE8ELNS1_3repE0EEENS1_30default_config_static_selectorELNS0_4arch9wavefront6targetE0EEEvT1_.has_dyn_sized_stack, 0
	.set _ZN7rocprim17ROCPRIM_400000_NS6detail17trampoline_kernelINS0_14default_configENS1_27scan_by_key_config_selectorIxxEEZZNS1_16scan_by_key_implILNS1_25lookback_scan_determinismE0ELb0ES3_N6thrust23THRUST_200600_302600_NS6detail15normal_iteratorINS9_10device_ptrIxEEEESE_SE_xNS9_4plusIxEE19head_flag_predicatexEE10hipError_tPvRmT2_T3_T4_T5_mT6_T7_P12ihipStream_tbENKUlT_T0_E_clISt17integral_constantIbLb0EESX_IbLb1EEEEDaST_SU_EUlST_E_NS1_11comp_targetILNS1_3genE4ELNS1_11target_archE910ELNS1_3gpuE8ELNS1_3repE0EEENS1_30default_config_static_selectorELNS0_4arch9wavefront6targetE0EEEvT1_.has_recursion, 0
	.set _ZN7rocprim17ROCPRIM_400000_NS6detail17trampoline_kernelINS0_14default_configENS1_27scan_by_key_config_selectorIxxEEZZNS1_16scan_by_key_implILNS1_25lookback_scan_determinismE0ELb0ES3_N6thrust23THRUST_200600_302600_NS6detail15normal_iteratorINS9_10device_ptrIxEEEESE_SE_xNS9_4plusIxEE19head_flag_predicatexEE10hipError_tPvRmT2_T3_T4_T5_mT6_T7_P12ihipStream_tbENKUlT_T0_E_clISt17integral_constantIbLb0EESX_IbLb1EEEEDaST_SU_EUlST_E_NS1_11comp_targetILNS1_3genE4ELNS1_11target_archE910ELNS1_3gpuE8ELNS1_3repE0EEENS1_30default_config_static_selectorELNS0_4arch9wavefront6targetE0EEEvT1_.has_indirect_call, 0
	.section	.AMDGPU.csdata,"",@progbits
; Kernel info:
; codeLenInByte = 0
; TotalNumSgprs: 0
; NumVgprs: 0
; ScratchSize: 0
; MemoryBound: 0
; FloatMode: 240
; IeeeMode: 1
; LDSByteSize: 0 bytes/workgroup (compile time only)
; SGPRBlocks: 0
; VGPRBlocks: 0
; NumSGPRsForWavesPerEU: 1
; NumVGPRsForWavesPerEU: 1
; NamedBarCnt: 0
; Occupancy: 16
; WaveLimiterHint : 0
; COMPUTE_PGM_RSRC2:SCRATCH_EN: 0
; COMPUTE_PGM_RSRC2:USER_SGPR: 2
; COMPUTE_PGM_RSRC2:TRAP_HANDLER: 0
; COMPUTE_PGM_RSRC2:TGID_X_EN: 1
; COMPUTE_PGM_RSRC2:TGID_Y_EN: 0
; COMPUTE_PGM_RSRC2:TGID_Z_EN: 0
; COMPUTE_PGM_RSRC2:TIDIG_COMP_CNT: 0
	.section	.text._ZN7rocprim17ROCPRIM_400000_NS6detail17trampoline_kernelINS0_14default_configENS1_27scan_by_key_config_selectorIxxEEZZNS1_16scan_by_key_implILNS1_25lookback_scan_determinismE0ELb0ES3_N6thrust23THRUST_200600_302600_NS6detail15normal_iteratorINS9_10device_ptrIxEEEESE_SE_xNS9_4plusIxEE19head_flag_predicatexEE10hipError_tPvRmT2_T3_T4_T5_mT6_T7_P12ihipStream_tbENKUlT_T0_E_clISt17integral_constantIbLb0EESX_IbLb1EEEEDaST_SU_EUlST_E_NS1_11comp_targetILNS1_3genE3ELNS1_11target_archE908ELNS1_3gpuE7ELNS1_3repE0EEENS1_30default_config_static_selectorELNS0_4arch9wavefront6targetE0EEEvT1_,"axG",@progbits,_ZN7rocprim17ROCPRIM_400000_NS6detail17trampoline_kernelINS0_14default_configENS1_27scan_by_key_config_selectorIxxEEZZNS1_16scan_by_key_implILNS1_25lookback_scan_determinismE0ELb0ES3_N6thrust23THRUST_200600_302600_NS6detail15normal_iteratorINS9_10device_ptrIxEEEESE_SE_xNS9_4plusIxEE19head_flag_predicatexEE10hipError_tPvRmT2_T3_T4_T5_mT6_T7_P12ihipStream_tbENKUlT_T0_E_clISt17integral_constantIbLb0EESX_IbLb1EEEEDaST_SU_EUlST_E_NS1_11comp_targetILNS1_3genE3ELNS1_11target_archE908ELNS1_3gpuE7ELNS1_3repE0EEENS1_30default_config_static_selectorELNS0_4arch9wavefront6targetE0EEEvT1_,comdat
	.protected	_ZN7rocprim17ROCPRIM_400000_NS6detail17trampoline_kernelINS0_14default_configENS1_27scan_by_key_config_selectorIxxEEZZNS1_16scan_by_key_implILNS1_25lookback_scan_determinismE0ELb0ES3_N6thrust23THRUST_200600_302600_NS6detail15normal_iteratorINS9_10device_ptrIxEEEESE_SE_xNS9_4plusIxEE19head_flag_predicatexEE10hipError_tPvRmT2_T3_T4_T5_mT6_T7_P12ihipStream_tbENKUlT_T0_E_clISt17integral_constantIbLb0EESX_IbLb1EEEEDaST_SU_EUlST_E_NS1_11comp_targetILNS1_3genE3ELNS1_11target_archE908ELNS1_3gpuE7ELNS1_3repE0EEENS1_30default_config_static_selectorELNS0_4arch9wavefront6targetE0EEEvT1_ ; -- Begin function _ZN7rocprim17ROCPRIM_400000_NS6detail17trampoline_kernelINS0_14default_configENS1_27scan_by_key_config_selectorIxxEEZZNS1_16scan_by_key_implILNS1_25lookback_scan_determinismE0ELb0ES3_N6thrust23THRUST_200600_302600_NS6detail15normal_iteratorINS9_10device_ptrIxEEEESE_SE_xNS9_4plusIxEE19head_flag_predicatexEE10hipError_tPvRmT2_T3_T4_T5_mT6_T7_P12ihipStream_tbENKUlT_T0_E_clISt17integral_constantIbLb0EESX_IbLb1EEEEDaST_SU_EUlST_E_NS1_11comp_targetILNS1_3genE3ELNS1_11target_archE908ELNS1_3gpuE7ELNS1_3repE0EEENS1_30default_config_static_selectorELNS0_4arch9wavefront6targetE0EEEvT1_
	.globl	_ZN7rocprim17ROCPRIM_400000_NS6detail17trampoline_kernelINS0_14default_configENS1_27scan_by_key_config_selectorIxxEEZZNS1_16scan_by_key_implILNS1_25lookback_scan_determinismE0ELb0ES3_N6thrust23THRUST_200600_302600_NS6detail15normal_iteratorINS9_10device_ptrIxEEEESE_SE_xNS9_4plusIxEE19head_flag_predicatexEE10hipError_tPvRmT2_T3_T4_T5_mT6_T7_P12ihipStream_tbENKUlT_T0_E_clISt17integral_constantIbLb0EESX_IbLb1EEEEDaST_SU_EUlST_E_NS1_11comp_targetILNS1_3genE3ELNS1_11target_archE908ELNS1_3gpuE7ELNS1_3repE0EEENS1_30default_config_static_selectorELNS0_4arch9wavefront6targetE0EEEvT1_
	.p2align	8
	.type	_ZN7rocprim17ROCPRIM_400000_NS6detail17trampoline_kernelINS0_14default_configENS1_27scan_by_key_config_selectorIxxEEZZNS1_16scan_by_key_implILNS1_25lookback_scan_determinismE0ELb0ES3_N6thrust23THRUST_200600_302600_NS6detail15normal_iteratorINS9_10device_ptrIxEEEESE_SE_xNS9_4plusIxEE19head_flag_predicatexEE10hipError_tPvRmT2_T3_T4_T5_mT6_T7_P12ihipStream_tbENKUlT_T0_E_clISt17integral_constantIbLb0EESX_IbLb1EEEEDaST_SU_EUlST_E_NS1_11comp_targetILNS1_3genE3ELNS1_11target_archE908ELNS1_3gpuE7ELNS1_3repE0EEENS1_30default_config_static_selectorELNS0_4arch9wavefront6targetE0EEEvT1_,@function
_ZN7rocprim17ROCPRIM_400000_NS6detail17trampoline_kernelINS0_14default_configENS1_27scan_by_key_config_selectorIxxEEZZNS1_16scan_by_key_implILNS1_25lookback_scan_determinismE0ELb0ES3_N6thrust23THRUST_200600_302600_NS6detail15normal_iteratorINS9_10device_ptrIxEEEESE_SE_xNS9_4plusIxEE19head_flag_predicatexEE10hipError_tPvRmT2_T3_T4_T5_mT6_T7_P12ihipStream_tbENKUlT_T0_E_clISt17integral_constantIbLb0EESX_IbLb1EEEEDaST_SU_EUlST_E_NS1_11comp_targetILNS1_3genE3ELNS1_11target_archE908ELNS1_3gpuE7ELNS1_3repE0EEENS1_30default_config_static_selectorELNS0_4arch9wavefront6targetE0EEEvT1_: ; @_ZN7rocprim17ROCPRIM_400000_NS6detail17trampoline_kernelINS0_14default_configENS1_27scan_by_key_config_selectorIxxEEZZNS1_16scan_by_key_implILNS1_25lookback_scan_determinismE0ELb0ES3_N6thrust23THRUST_200600_302600_NS6detail15normal_iteratorINS9_10device_ptrIxEEEESE_SE_xNS9_4plusIxEE19head_flag_predicatexEE10hipError_tPvRmT2_T3_T4_T5_mT6_T7_P12ihipStream_tbENKUlT_T0_E_clISt17integral_constantIbLb0EESX_IbLb1EEEEDaST_SU_EUlST_E_NS1_11comp_targetILNS1_3genE3ELNS1_11target_archE908ELNS1_3gpuE7ELNS1_3repE0EEENS1_30default_config_static_selectorELNS0_4arch9wavefront6targetE0EEEvT1_
; %bb.0:
	.section	.rodata,"a",@progbits
	.p2align	6, 0x0
	.amdhsa_kernel _ZN7rocprim17ROCPRIM_400000_NS6detail17trampoline_kernelINS0_14default_configENS1_27scan_by_key_config_selectorIxxEEZZNS1_16scan_by_key_implILNS1_25lookback_scan_determinismE0ELb0ES3_N6thrust23THRUST_200600_302600_NS6detail15normal_iteratorINS9_10device_ptrIxEEEESE_SE_xNS9_4plusIxEE19head_flag_predicatexEE10hipError_tPvRmT2_T3_T4_T5_mT6_T7_P12ihipStream_tbENKUlT_T0_E_clISt17integral_constantIbLb0EESX_IbLb1EEEEDaST_SU_EUlST_E_NS1_11comp_targetILNS1_3genE3ELNS1_11target_archE908ELNS1_3gpuE7ELNS1_3repE0EEENS1_30default_config_static_selectorELNS0_4arch9wavefront6targetE0EEEvT1_
		.amdhsa_group_segment_fixed_size 0
		.amdhsa_private_segment_fixed_size 0
		.amdhsa_kernarg_size 136
		.amdhsa_user_sgpr_count 2
		.amdhsa_user_sgpr_dispatch_ptr 0
		.amdhsa_user_sgpr_queue_ptr 0
		.amdhsa_user_sgpr_kernarg_segment_ptr 1
		.amdhsa_user_sgpr_dispatch_id 0
		.amdhsa_user_sgpr_kernarg_preload_length 0
		.amdhsa_user_sgpr_kernarg_preload_offset 0
		.amdhsa_user_sgpr_private_segment_size 0
		.amdhsa_wavefront_size32 1
		.amdhsa_uses_dynamic_stack 0
		.amdhsa_enable_private_segment 0
		.amdhsa_system_sgpr_workgroup_id_x 1
		.amdhsa_system_sgpr_workgroup_id_y 0
		.amdhsa_system_sgpr_workgroup_id_z 0
		.amdhsa_system_sgpr_workgroup_info 0
		.amdhsa_system_vgpr_workitem_id 0
		.amdhsa_next_free_vgpr 1
		.amdhsa_next_free_sgpr 1
		.amdhsa_named_barrier_count 0
		.amdhsa_reserve_vcc 0
		.amdhsa_float_round_mode_32 0
		.amdhsa_float_round_mode_16_64 0
		.amdhsa_float_denorm_mode_32 3
		.amdhsa_float_denorm_mode_16_64 3
		.amdhsa_fp16_overflow 0
		.amdhsa_memory_ordered 1
		.amdhsa_forward_progress 1
		.amdhsa_inst_pref_size 0
		.amdhsa_round_robin_scheduling 0
		.amdhsa_exception_fp_ieee_invalid_op 0
		.amdhsa_exception_fp_denorm_src 0
		.amdhsa_exception_fp_ieee_div_zero 0
		.amdhsa_exception_fp_ieee_overflow 0
		.amdhsa_exception_fp_ieee_underflow 0
		.amdhsa_exception_fp_ieee_inexact 0
		.amdhsa_exception_int_div_zero 0
	.end_amdhsa_kernel
	.section	.text._ZN7rocprim17ROCPRIM_400000_NS6detail17trampoline_kernelINS0_14default_configENS1_27scan_by_key_config_selectorIxxEEZZNS1_16scan_by_key_implILNS1_25lookback_scan_determinismE0ELb0ES3_N6thrust23THRUST_200600_302600_NS6detail15normal_iteratorINS9_10device_ptrIxEEEESE_SE_xNS9_4plusIxEE19head_flag_predicatexEE10hipError_tPvRmT2_T3_T4_T5_mT6_T7_P12ihipStream_tbENKUlT_T0_E_clISt17integral_constantIbLb0EESX_IbLb1EEEEDaST_SU_EUlST_E_NS1_11comp_targetILNS1_3genE3ELNS1_11target_archE908ELNS1_3gpuE7ELNS1_3repE0EEENS1_30default_config_static_selectorELNS0_4arch9wavefront6targetE0EEEvT1_,"axG",@progbits,_ZN7rocprim17ROCPRIM_400000_NS6detail17trampoline_kernelINS0_14default_configENS1_27scan_by_key_config_selectorIxxEEZZNS1_16scan_by_key_implILNS1_25lookback_scan_determinismE0ELb0ES3_N6thrust23THRUST_200600_302600_NS6detail15normal_iteratorINS9_10device_ptrIxEEEESE_SE_xNS9_4plusIxEE19head_flag_predicatexEE10hipError_tPvRmT2_T3_T4_T5_mT6_T7_P12ihipStream_tbENKUlT_T0_E_clISt17integral_constantIbLb0EESX_IbLb1EEEEDaST_SU_EUlST_E_NS1_11comp_targetILNS1_3genE3ELNS1_11target_archE908ELNS1_3gpuE7ELNS1_3repE0EEENS1_30default_config_static_selectorELNS0_4arch9wavefront6targetE0EEEvT1_,comdat
.Lfunc_end708:
	.size	_ZN7rocprim17ROCPRIM_400000_NS6detail17trampoline_kernelINS0_14default_configENS1_27scan_by_key_config_selectorIxxEEZZNS1_16scan_by_key_implILNS1_25lookback_scan_determinismE0ELb0ES3_N6thrust23THRUST_200600_302600_NS6detail15normal_iteratorINS9_10device_ptrIxEEEESE_SE_xNS9_4plusIxEE19head_flag_predicatexEE10hipError_tPvRmT2_T3_T4_T5_mT6_T7_P12ihipStream_tbENKUlT_T0_E_clISt17integral_constantIbLb0EESX_IbLb1EEEEDaST_SU_EUlST_E_NS1_11comp_targetILNS1_3genE3ELNS1_11target_archE908ELNS1_3gpuE7ELNS1_3repE0EEENS1_30default_config_static_selectorELNS0_4arch9wavefront6targetE0EEEvT1_, .Lfunc_end708-_ZN7rocprim17ROCPRIM_400000_NS6detail17trampoline_kernelINS0_14default_configENS1_27scan_by_key_config_selectorIxxEEZZNS1_16scan_by_key_implILNS1_25lookback_scan_determinismE0ELb0ES3_N6thrust23THRUST_200600_302600_NS6detail15normal_iteratorINS9_10device_ptrIxEEEESE_SE_xNS9_4plusIxEE19head_flag_predicatexEE10hipError_tPvRmT2_T3_T4_T5_mT6_T7_P12ihipStream_tbENKUlT_T0_E_clISt17integral_constantIbLb0EESX_IbLb1EEEEDaST_SU_EUlST_E_NS1_11comp_targetILNS1_3genE3ELNS1_11target_archE908ELNS1_3gpuE7ELNS1_3repE0EEENS1_30default_config_static_selectorELNS0_4arch9wavefront6targetE0EEEvT1_
                                        ; -- End function
	.set _ZN7rocprim17ROCPRIM_400000_NS6detail17trampoline_kernelINS0_14default_configENS1_27scan_by_key_config_selectorIxxEEZZNS1_16scan_by_key_implILNS1_25lookback_scan_determinismE0ELb0ES3_N6thrust23THRUST_200600_302600_NS6detail15normal_iteratorINS9_10device_ptrIxEEEESE_SE_xNS9_4plusIxEE19head_flag_predicatexEE10hipError_tPvRmT2_T3_T4_T5_mT6_T7_P12ihipStream_tbENKUlT_T0_E_clISt17integral_constantIbLb0EESX_IbLb1EEEEDaST_SU_EUlST_E_NS1_11comp_targetILNS1_3genE3ELNS1_11target_archE908ELNS1_3gpuE7ELNS1_3repE0EEENS1_30default_config_static_selectorELNS0_4arch9wavefront6targetE0EEEvT1_.num_vgpr, 0
	.set _ZN7rocprim17ROCPRIM_400000_NS6detail17trampoline_kernelINS0_14default_configENS1_27scan_by_key_config_selectorIxxEEZZNS1_16scan_by_key_implILNS1_25lookback_scan_determinismE0ELb0ES3_N6thrust23THRUST_200600_302600_NS6detail15normal_iteratorINS9_10device_ptrIxEEEESE_SE_xNS9_4plusIxEE19head_flag_predicatexEE10hipError_tPvRmT2_T3_T4_T5_mT6_T7_P12ihipStream_tbENKUlT_T0_E_clISt17integral_constantIbLb0EESX_IbLb1EEEEDaST_SU_EUlST_E_NS1_11comp_targetILNS1_3genE3ELNS1_11target_archE908ELNS1_3gpuE7ELNS1_3repE0EEENS1_30default_config_static_selectorELNS0_4arch9wavefront6targetE0EEEvT1_.num_agpr, 0
	.set _ZN7rocprim17ROCPRIM_400000_NS6detail17trampoline_kernelINS0_14default_configENS1_27scan_by_key_config_selectorIxxEEZZNS1_16scan_by_key_implILNS1_25lookback_scan_determinismE0ELb0ES3_N6thrust23THRUST_200600_302600_NS6detail15normal_iteratorINS9_10device_ptrIxEEEESE_SE_xNS9_4plusIxEE19head_flag_predicatexEE10hipError_tPvRmT2_T3_T4_T5_mT6_T7_P12ihipStream_tbENKUlT_T0_E_clISt17integral_constantIbLb0EESX_IbLb1EEEEDaST_SU_EUlST_E_NS1_11comp_targetILNS1_3genE3ELNS1_11target_archE908ELNS1_3gpuE7ELNS1_3repE0EEENS1_30default_config_static_selectorELNS0_4arch9wavefront6targetE0EEEvT1_.numbered_sgpr, 0
	.set _ZN7rocprim17ROCPRIM_400000_NS6detail17trampoline_kernelINS0_14default_configENS1_27scan_by_key_config_selectorIxxEEZZNS1_16scan_by_key_implILNS1_25lookback_scan_determinismE0ELb0ES3_N6thrust23THRUST_200600_302600_NS6detail15normal_iteratorINS9_10device_ptrIxEEEESE_SE_xNS9_4plusIxEE19head_flag_predicatexEE10hipError_tPvRmT2_T3_T4_T5_mT6_T7_P12ihipStream_tbENKUlT_T0_E_clISt17integral_constantIbLb0EESX_IbLb1EEEEDaST_SU_EUlST_E_NS1_11comp_targetILNS1_3genE3ELNS1_11target_archE908ELNS1_3gpuE7ELNS1_3repE0EEENS1_30default_config_static_selectorELNS0_4arch9wavefront6targetE0EEEvT1_.num_named_barrier, 0
	.set _ZN7rocprim17ROCPRIM_400000_NS6detail17trampoline_kernelINS0_14default_configENS1_27scan_by_key_config_selectorIxxEEZZNS1_16scan_by_key_implILNS1_25lookback_scan_determinismE0ELb0ES3_N6thrust23THRUST_200600_302600_NS6detail15normal_iteratorINS9_10device_ptrIxEEEESE_SE_xNS9_4plusIxEE19head_flag_predicatexEE10hipError_tPvRmT2_T3_T4_T5_mT6_T7_P12ihipStream_tbENKUlT_T0_E_clISt17integral_constantIbLb0EESX_IbLb1EEEEDaST_SU_EUlST_E_NS1_11comp_targetILNS1_3genE3ELNS1_11target_archE908ELNS1_3gpuE7ELNS1_3repE0EEENS1_30default_config_static_selectorELNS0_4arch9wavefront6targetE0EEEvT1_.private_seg_size, 0
	.set _ZN7rocprim17ROCPRIM_400000_NS6detail17trampoline_kernelINS0_14default_configENS1_27scan_by_key_config_selectorIxxEEZZNS1_16scan_by_key_implILNS1_25lookback_scan_determinismE0ELb0ES3_N6thrust23THRUST_200600_302600_NS6detail15normal_iteratorINS9_10device_ptrIxEEEESE_SE_xNS9_4plusIxEE19head_flag_predicatexEE10hipError_tPvRmT2_T3_T4_T5_mT6_T7_P12ihipStream_tbENKUlT_T0_E_clISt17integral_constantIbLb0EESX_IbLb1EEEEDaST_SU_EUlST_E_NS1_11comp_targetILNS1_3genE3ELNS1_11target_archE908ELNS1_3gpuE7ELNS1_3repE0EEENS1_30default_config_static_selectorELNS0_4arch9wavefront6targetE0EEEvT1_.uses_vcc, 0
	.set _ZN7rocprim17ROCPRIM_400000_NS6detail17trampoline_kernelINS0_14default_configENS1_27scan_by_key_config_selectorIxxEEZZNS1_16scan_by_key_implILNS1_25lookback_scan_determinismE0ELb0ES3_N6thrust23THRUST_200600_302600_NS6detail15normal_iteratorINS9_10device_ptrIxEEEESE_SE_xNS9_4plusIxEE19head_flag_predicatexEE10hipError_tPvRmT2_T3_T4_T5_mT6_T7_P12ihipStream_tbENKUlT_T0_E_clISt17integral_constantIbLb0EESX_IbLb1EEEEDaST_SU_EUlST_E_NS1_11comp_targetILNS1_3genE3ELNS1_11target_archE908ELNS1_3gpuE7ELNS1_3repE0EEENS1_30default_config_static_selectorELNS0_4arch9wavefront6targetE0EEEvT1_.uses_flat_scratch, 0
	.set _ZN7rocprim17ROCPRIM_400000_NS6detail17trampoline_kernelINS0_14default_configENS1_27scan_by_key_config_selectorIxxEEZZNS1_16scan_by_key_implILNS1_25lookback_scan_determinismE0ELb0ES3_N6thrust23THRUST_200600_302600_NS6detail15normal_iteratorINS9_10device_ptrIxEEEESE_SE_xNS9_4plusIxEE19head_flag_predicatexEE10hipError_tPvRmT2_T3_T4_T5_mT6_T7_P12ihipStream_tbENKUlT_T0_E_clISt17integral_constantIbLb0EESX_IbLb1EEEEDaST_SU_EUlST_E_NS1_11comp_targetILNS1_3genE3ELNS1_11target_archE908ELNS1_3gpuE7ELNS1_3repE0EEENS1_30default_config_static_selectorELNS0_4arch9wavefront6targetE0EEEvT1_.has_dyn_sized_stack, 0
	.set _ZN7rocprim17ROCPRIM_400000_NS6detail17trampoline_kernelINS0_14default_configENS1_27scan_by_key_config_selectorIxxEEZZNS1_16scan_by_key_implILNS1_25lookback_scan_determinismE0ELb0ES3_N6thrust23THRUST_200600_302600_NS6detail15normal_iteratorINS9_10device_ptrIxEEEESE_SE_xNS9_4plusIxEE19head_flag_predicatexEE10hipError_tPvRmT2_T3_T4_T5_mT6_T7_P12ihipStream_tbENKUlT_T0_E_clISt17integral_constantIbLb0EESX_IbLb1EEEEDaST_SU_EUlST_E_NS1_11comp_targetILNS1_3genE3ELNS1_11target_archE908ELNS1_3gpuE7ELNS1_3repE0EEENS1_30default_config_static_selectorELNS0_4arch9wavefront6targetE0EEEvT1_.has_recursion, 0
	.set _ZN7rocprim17ROCPRIM_400000_NS6detail17trampoline_kernelINS0_14default_configENS1_27scan_by_key_config_selectorIxxEEZZNS1_16scan_by_key_implILNS1_25lookback_scan_determinismE0ELb0ES3_N6thrust23THRUST_200600_302600_NS6detail15normal_iteratorINS9_10device_ptrIxEEEESE_SE_xNS9_4plusIxEE19head_flag_predicatexEE10hipError_tPvRmT2_T3_T4_T5_mT6_T7_P12ihipStream_tbENKUlT_T0_E_clISt17integral_constantIbLb0EESX_IbLb1EEEEDaST_SU_EUlST_E_NS1_11comp_targetILNS1_3genE3ELNS1_11target_archE908ELNS1_3gpuE7ELNS1_3repE0EEENS1_30default_config_static_selectorELNS0_4arch9wavefront6targetE0EEEvT1_.has_indirect_call, 0
	.section	.AMDGPU.csdata,"",@progbits
; Kernel info:
; codeLenInByte = 0
; TotalNumSgprs: 0
; NumVgprs: 0
; ScratchSize: 0
; MemoryBound: 0
; FloatMode: 240
; IeeeMode: 1
; LDSByteSize: 0 bytes/workgroup (compile time only)
; SGPRBlocks: 0
; VGPRBlocks: 0
; NumSGPRsForWavesPerEU: 1
; NumVGPRsForWavesPerEU: 1
; NamedBarCnt: 0
; Occupancy: 16
; WaveLimiterHint : 0
; COMPUTE_PGM_RSRC2:SCRATCH_EN: 0
; COMPUTE_PGM_RSRC2:USER_SGPR: 2
; COMPUTE_PGM_RSRC2:TRAP_HANDLER: 0
; COMPUTE_PGM_RSRC2:TGID_X_EN: 1
; COMPUTE_PGM_RSRC2:TGID_Y_EN: 0
; COMPUTE_PGM_RSRC2:TGID_Z_EN: 0
; COMPUTE_PGM_RSRC2:TIDIG_COMP_CNT: 0
	.section	.text._ZN7rocprim17ROCPRIM_400000_NS6detail17trampoline_kernelINS0_14default_configENS1_27scan_by_key_config_selectorIxxEEZZNS1_16scan_by_key_implILNS1_25lookback_scan_determinismE0ELb0ES3_N6thrust23THRUST_200600_302600_NS6detail15normal_iteratorINS9_10device_ptrIxEEEESE_SE_xNS9_4plusIxEE19head_flag_predicatexEE10hipError_tPvRmT2_T3_T4_T5_mT6_T7_P12ihipStream_tbENKUlT_T0_E_clISt17integral_constantIbLb0EESX_IbLb1EEEEDaST_SU_EUlST_E_NS1_11comp_targetILNS1_3genE2ELNS1_11target_archE906ELNS1_3gpuE6ELNS1_3repE0EEENS1_30default_config_static_selectorELNS0_4arch9wavefront6targetE0EEEvT1_,"axG",@progbits,_ZN7rocprim17ROCPRIM_400000_NS6detail17trampoline_kernelINS0_14default_configENS1_27scan_by_key_config_selectorIxxEEZZNS1_16scan_by_key_implILNS1_25lookback_scan_determinismE0ELb0ES3_N6thrust23THRUST_200600_302600_NS6detail15normal_iteratorINS9_10device_ptrIxEEEESE_SE_xNS9_4plusIxEE19head_flag_predicatexEE10hipError_tPvRmT2_T3_T4_T5_mT6_T7_P12ihipStream_tbENKUlT_T0_E_clISt17integral_constantIbLb0EESX_IbLb1EEEEDaST_SU_EUlST_E_NS1_11comp_targetILNS1_3genE2ELNS1_11target_archE906ELNS1_3gpuE6ELNS1_3repE0EEENS1_30default_config_static_selectorELNS0_4arch9wavefront6targetE0EEEvT1_,comdat
	.protected	_ZN7rocprim17ROCPRIM_400000_NS6detail17trampoline_kernelINS0_14default_configENS1_27scan_by_key_config_selectorIxxEEZZNS1_16scan_by_key_implILNS1_25lookback_scan_determinismE0ELb0ES3_N6thrust23THRUST_200600_302600_NS6detail15normal_iteratorINS9_10device_ptrIxEEEESE_SE_xNS9_4plusIxEE19head_flag_predicatexEE10hipError_tPvRmT2_T3_T4_T5_mT6_T7_P12ihipStream_tbENKUlT_T0_E_clISt17integral_constantIbLb0EESX_IbLb1EEEEDaST_SU_EUlST_E_NS1_11comp_targetILNS1_3genE2ELNS1_11target_archE906ELNS1_3gpuE6ELNS1_3repE0EEENS1_30default_config_static_selectorELNS0_4arch9wavefront6targetE0EEEvT1_ ; -- Begin function _ZN7rocprim17ROCPRIM_400000_NS6detail17trampoline_kernelINS0_14default_configENS1_27scan_by_key_config_selectorIxxEEZZNS1_16scan_by_key_implILNS1_25lookback_scan_determinismE0ELb0ES3_N6thrust23THRUST_200600_302600_NS6detail15normal_iteratorINS9_10device_ptrIxEEEESE_SE_xNS9_4plusIxEE19head_flag_predicatexEE10hipError_tPvRmT2_T3_T4_T5_mT6_T7_P12ihipStream_tbENKUlT_T0_E_clISt17integral_constantIbLb0EESX_IbLb1EEEEDaST_SU_EUlST_E_NS1_11comp_targetILNS1_3genE2ELNS1_11target_archE906ELNS1_3gpuE6ELNS1_3repE0EEENS1_30default_config_static_selectorELNS0_4arch9wavefront6targetE0EEEvT1_
	.globl	_ZN7rocprim17ROCPRIM_400000_NS6detail17trampoline_kernelINS0_14default_configENS1_27scan_by_key_config_selectorIxxEEZZNS1_16scan_by_key_implILNS1_25lookback_scan_determinismE0ELb0ES3_N6thrust23THRUST_200600_302600_NS6detail15normal_iteratorINS9_10device_ptrIxEEEESE_SE_xNS9_4plusIxEE19head_flag_predicatexEE10hipError_tPvRmT2_T3_T4_T5_mT6_T7_P12ihipStream_tbENKUlT_T0_E_clISt17integral_constantIbLb0EESX_IbLb1EEEEDaST_SU_EUlST_E_NS1_11comp_targetILNS1_3genE2ELNS1_11target_archE906ELNS1_3gpuE6ELNS1_3repE0EEENS1_30default_config_static_selectorELNS0_4arch9wavefront6targetE0EEEvT1_
	.p2align	8
	.type	_ZN7rocprim17ROCPRIM_400000_NS6detail17trampoline_kernelINS0_14default_configENS1_27scan_by_key_config_selectorIxxEEZZNS1_16scan_by_key_implILNS1_25lookback_scan_determinismE0ELb0ES3_N6thrust23THRUST_200600_302600_NS6detail15normal_iteratorINS9_10device_ptrIxEEEESE_SE_xNS9_4plusIxEE19head_flag_predicatexEE10hipError_tPvRmT2_T3_T4_T5_mT6_T7_P12ihipStream_tbENKUlT_T0_E_clISt17integral_constantIbLb0EESX_IbLb1EEEEDaST_SU_EUlST_E_NS1_11comp_targetILNS1_3genE2ELNS1_11target_archE906ELNS1_3gpuE6ELNS1_3repE0EEENS1_30default_config_static_selectorELNS0_4arch9wavefront6targetE0EEEvT1_,@function
_ZN7rocprim17ROCPRIM_400000_NS6detail17trampoline_kernelINS0_14default_configENS1_27scan_by_key_config_selectorIxxEEZZNS1_16scan_by_key_implILNS1_25lookback_scan_determinismE0ELb0ES3_N6thrust23THRUST_200600_302600_NS6detail15normal_iteratorINS9_10device_ptrIxEEEESE_SE_xNS9_4plusIxEE19head_flag_predicatexEE10hipError_tPvRmT2_T3_T4_T5_mT6_T7_P12ihipStream_tbENKUlT_T0_E_clISt17integral_constantIbLb0EESX_IbLb1EEEEDaST_SU_EUlST_E_NS1_11comp_targetILNS1_3genE2ELNS1_11target_archE906ELNS1_3gpuE6ELNS1_3repE0EEENS1_30default_config_static_selectorELNS0_4arch9wavefront6targetE0EEEvT1_: ; @_ZN7rocprim17ROCPRIM_400000_NS6detail17trampoline_kernelINS0_14default_configENS1_27scan_by_key_config_selectorIxxEEZZNS1_16scan_by_key_implILNS1_25lookback_scan_determinismE0ELb0ES3_N6thrust23THRUST_200600_302600_NS6detail15normal_iteratorINS9_10device_ptrIxEEEESE_SE_xNS9_4plusIxEE19head_flag_predicatexEE10hipError_tPvRmT2_T3_T4_T5_mT6_T7_P12ihipStream_tbENKUlT_T0_E_clISt17integral_constantIbLb0EESX_IbLb1EEEEDaST_SU_EUlST_E_NS1_11comp_targetILNS1_3genE2ELNS1_11target_archE906ELNS1_3gpuE6ELNS1_3repE0EEENS1_30default_config_static_selectorELNS0_4arch9wavefront6targetE0EEEvT1_
; %bb.0:
	.section	.rodata,"a",@progbits
	.p2align	6, 0x0
	.amdhsa_kernel _ZN7rocprim17ROCPRIM_400000_NS6detail17trampoline_kernelINS0_14default_configENS1_27scan_by_key_config_selectorIxxEEZZNS1_16scan_by_key_implILNS1_25lookback_scan_determinismE0ELb0ES3_N6thrust23THRUST_200600_302600_NS6detail15normal_iteratorINS9_10device_ptrIxEEEESE_SE_xNS9_4plusIxEE19head_flag_predicatexEE10hipError_tPvRmT2_T3_T4_T5_mT6_T7_P12ihipStream_tbENKUlT_T0_E_clISt17integral_constantIbLb0EESX_IbLb1EEEEDaST_SU_EUlST_E_NS1_11comp_targetILNS1_3genE2ELNS1_11target_archE906ELNS1_3gpuE6ELNS1_3repE0EEENS1_30default_config_static_selectorELNS0_4arch9wavefront6targetE0EEEvT1_
		.amdhsa_group_segment_fixed_size 0
		.amdhsa_private_segment_fixed_size 0
		.amdhsa_kernarg_size 136
		.amdhsa_user_sgpr_count 2
		.amdhsa_user_sgpr_dispatch_ptr 0
		.amdhsa_user_sgpr_queue_ptr 0
		.amdhsa_user_sgpr_kernarg_segment_ptr 1
		.amdhsa_user_sgpr_dispatch_id 0
		.amdhsa_user_sgpr_kernarg_preload_length 0
		.amdhsa_user_sgpr_kernarg_preload_offset 0
		.amdhsa_user_sgpr_private_segment_size 0
		.amdhsa_wavefront_size32 1
		.amdhsa_uses_dynamic_stack 0
		.amdhsa_enable_private_segment 0
		.amdhsa_system_sgpr_workgroup_id_x 1
		.amdhsa_system_sgpr_workgroup_id_y 0
		.amdhsa_system_sgpr_workgroup_id_z 0
		.amdhsa_system_sgpr_workgroup_info 0
		.amdhsa_system_vgpr_workitem_id 0
		.amdhsa_next_free_vgpr 1
		.amdhsa_next_free_sgpr 1
		.amdhsa_named_barrier_count 0
		.amdhsa_reserve_vcc 0
		.amdhsa_float_round_mode_32 0
		.amdhsa_float_round_mode_16_64 0
		.amdhsa_float_denorm_mode_32 3
		.amdhsa_float_denorm_mode_16_64 3
		.amdhsa_fp16_overflow 0
		.amdhsa_memory_ordered 1
		.amdhsa_forward_progress 1
		.amdhsa_inst_pref_size 0
		.amdhsa_round_robin_scheduling 0
		.amdhsa_exception_fp_ieee_invalid_op 0
		.amdhsa_exception_fp_denorm_src 0
		.amdhsa_exception_fp_ieee_div_zero 0
		.amdhsa_exception_fp_ieee_overflow 0
		.amdhsa_exception_fp_ieee_underflow 0
		.amdhsa_exception_fp_ieee_inexact 0
		.amdhsa_exception_int_div_zero 0
	.end_amdhsa_kernel
	.section	.text._ZN7rocprim17ROCPRIM_400000_NS6detail17trampoline_kernelINS0_14default_configENS1_27scan_by_key_config_selectorIxxEEZZNS1_16scan_by_key_implILNS1_25lookback_scan_determinismE0ELb0ES3_N6thrust23THRUST_200600_302600_NS6detail15normal_iteratorINS9_10device_ptrIxEEEESE_SE_xNS9_4plusIxEE19head_flag_predicatexEE10hipError_tPvRmT2_T3_T4_T5_mT6_T7_P12ihipStream_tbENKUlT_T0_E_clISt17integral_constantIbLb0EESX_IbLb1EEEEDaST_SU_EUlST_E_NS1_11comp_targetILNS1_3genE2ELNS1_11target_archE906ELNS1_3gpuE6ELNS1_3repE0EEENS1_30default_config_static_selectorELNS0_4arch9wavefront6targetE0EEEvT1_,"axG",@progbits,_ZN7rocprim17ROCPRIM_400000_NS6detail17trampoline_kernelINS0_14default_configENS1_27scan_by_key_config_selectorIxxEEZZNS1_16scan_by_key_implILNS1_25lookback_scan_determinismE0ELb0ES3_N6thrust23THRUST_200600_302600_NS6detail15normal_iteratorINS9_10device_ptrIxEEEESE_SE_xNS9_4plusIxEE19head_flag_predicatexEE10hipError_tPvRmT2_T3_T4_T5_mT6_T7_P12ihipStream_tbENKUlT_T0_E_clISt17integral_constantIbLb0EESX_IbLb1EEEEDaST_SU_EUlST_E_NS1_11comp_targetILNS1_3genE2ELNS1_11target_archE906ELNS1_3gpuE6ELNS1_3repE0EEENS1_30default_config_static_selectorELNS0_4arch9wavefront6targetE0EEEvT1_,comdat
.Lfunc_end709:
	.size	_ZN7rocprim17ROCPRIM_400000_NS6detail17trampoline_kernelINS0_14default_configENS1_27scan_by_key_config_selectorIxxEEZZNS1_16scan_by_key_implILNS1_25lookback_scan_determinismE0ELb0ES3_N6thrust23THRUST_200600_302600_NS6detail15normal_iteratorINS9_10device_ptrIxEEEESE_SE_xNS9_4plusIxEE19head_flag_predicatexEE10hipError_tPvRmT2_T3_T4_T5_mT6_T7_P12ihipStream_tbENKUlT_T0_E_clISt17integral_constantIbLb0EESX_IbLb1EEEEDaST_SU_EUlST_E_NS1_11comp_targetILNS1_3genE2ELNS1_11target_archE906ELNS1_3gpuE6ELNS1_3repE0EEENS1_30default_config_static_selectorELNS0_4arch9wavefront6targetE0EEEvT1_, .Lfunc_end709-_ZN7rocprim17ROCPRIM_400000_NS6detail17trampoline_kernelINS0_14default_configENS1_27scan_by_key_config_selectorIxxEEZZNS1_16scan_by_key_implILNS1_25lookback_scan_determinismE0ELb0ES3_N6thrust23THRUST_200600_302600_NS6detail15normal_iteratorINS9_10device_ptrIxEEEESE_SE_xNS9_4plusIxEE19head_flag_predicatexEE10hipError_tPvRmT2_T3_T4_T5_mT6_T7_P12ihipStream_tbENKUlT_T0_E_clISt17integral_constantIbLb0EESX_IbLb1EEEEDaST_SU_EUlST_E_NS1_11comp_targetILNS1_3genE2ELNS1_11target_archE906ELNS1_3gpuE6ELNS1_3repE0EEENS1_30default_config_static_selectorELNS0_4arch9wavefront6targetE0EEEvT1_
                                        ; -- End function
	.set _ZN7rocprim17ROCPRIM_400000_NS6detail17trampoline_kernelINS0_14default_configENS1_27scan_by_key_config_selectorIxxEEZZNS1_16scan_by_key_implILNS1_25lookback_scan_determinismE0ELb0ES3_N6thrust23THRUST_200600_302600_NS6detail15normal_iteratorINS9_10device_ptrIxEEEESE_SE_xNS9_4plusIxEE19head_flag_predicatexEE10hipError_tPvRmT2_T3_T4_T5_mT6_T7_P12ihipStream_tbENKUlT_T0_E_clISt17integral_constantIbLb0EESX_IbLb1EEEEDaST_SU_EUlST_E_NS1_11comp_targetILNS1_3genE2ELNS1_11target_archE906ELNS1_3gpuE6ELNS1_3repE0EEENS1_30default_config_static_selectorELNS0_4arch9wavefront6targetE0EEEvT1_.num_vgpr, 0
	.set _ZN7rocprim17ROCPRIM_400000_NS6detail17trampoline_kernelINS0_14default_configENS1_27scan_by_key_config_selectorIxxEEZZNS1_16scan_by_key_implILNS1_25lookback_scan_determinismE0ELb0ES3_N6thrust23THRUST_200600_302600_NS6detail15normal_iteratorINS9_10device_ptrIxEEEESE_SE_xNS9_4plusIxEE19head_flag_predicatexEE10hipError_tPvRmT2_T3_T4_T5_mT6_T7_P12ihipStream_tbENKUlT_T0_E_clISt17integral_constantIbLb0EESX_IbLb1EEEEDaST_SU_EUlST_E_NS1_11comp_targetILNS1_3genE2ELNS1_11target_archE906ELNS1_3gpuE6ELNS1_3repE0EEENS1_30default_config_static_selectorELNS0_4arch9wavefront6targetE0EEEvT1_.num_agpr, 0
	.set _ZN7rocprim17ROCPRIM_400000_NS6detail17trampoline_kernelINS0_14default_configENS1_27scan_by_key_config_selectorIxxEEZZNS1_16scan_by_key_implILNS1_25lookback_scan_determinismE0ELb0ES3_N6thrust23THRUST_200600_302600_NS6detail15normal_iteratorINS9_10device_ptrIxEEEESE_SE_xNS9_4plusIxEE19head_flag_predicatexEE10hipError_tPvRmT2_T3_T4_T5_mT6_T7_P12ihipStream_tbENKUlT_T0_E_clISt17integral_constantIbLb0EESX_IbLb1EEEEDaST_SU_EUlST_E_NS1_11comp_targetILNS1_3genE2ELNS1_11target_archE906ELNS1_3gpuE6ELNS1_3repE0EEENS1_30default_config_static_selectorELNS0_4arch9wavefront6targetE0EEEvT1_.numbered_sgpr, 0
	.set _ZN7rocprim17ROCPRIM_400000_NS6detail17trampoline_kernelINS0_14default_configENS1_27scan_by_key_config_selectorIxxEEZZNS1_16scan_by_key_implILNS1_25lookback_scan_determinismE0ELb0ES3_N6thrust23THRUST_200600_302600_NS6detail15normal_iteratorINS9_10device_ptrIxEEEESE_SE_xNS9_4plusIxEE19head_flag_predicatexEE10hipError_tPvRmT2_T3_T4_T5_mT6_T7_P12ihipStream_tbENKUlT_T0_E_clISt17integral_constantIbLb0EESX_IbLb1EEEEDaST_SU_EUlST_E_NS1_11comp_targetILNS1_3genE2ELNS1_11target_archE906ELNS1_3gpuE6ELNS1_3repE0EEENS1_30default_config_static_selectorELNS0_4arch9wavefront6targetE0EEEvT1_.num_named_barrier, 0
	.set _ZN7rocprim17ROCPRIM_400000_NS6detail17trampoline_kernelINS0_14default_configENS1_27scan_by_key_config_selectorIxxEEZZNS1_16scan_by_key_implILNS1_25lookback_scan_determinismE0ELb0ES3_N6thrust23THRUST_200600_302600_NS6detail15normal_iteratorINS9_10device_ptrIxEEEESE_SE_xNS9_4plusIxEE19head_flag_predicatexEE10hipError_tPvRmT2_T3_T4_T5_mT6_T7_P12ihipStream_tbENKUlT_T0_E_clISt17integral_constantIbLb0EESX_IbLb1EEEEDaST_SU_EUlST_E_NS1_11comp_targetILNS1_3genE2ELNS1_11target_archE906ELNS1_3gpuE6ELNS1_3repE0EEENS1_30default_config_static_selectorELNS0_4arch9wavefront6targetE0EEEvT1_.private_seg_size, 0
	.set _ZN7rocprim17ROCPRIM_400000_NS6detail17trampoline_kernelINS0_14default_configENS1_27scan_by_key_config_selectorIxxEEZZNS1_16scan_by_key_implILNS1_25lookback_scan_determinismE0ELb0ES3_N6thrust23THRUST_200600_302600_NS6detail15normal_iteratorINS9_10device_ptrIxEEEESE_SE_xNS9_4plusIxEE19head_flag_predicatexEE10hipError_tPvRmT2_T3_T4_T5_mT6_T7_P12ihipStream_tbENKUlT_T0_E_clISt17integral_constantIbLb0EESX_IbLb1EEEEDaST_SU_EUlST_E_NS1_11comp_targetILNS1_3genE2ELNS1_11target_archE906ELNS1_3gpuE6ELNS1_3repE0EEENS1_30default_config_static_selectorELNS0_4arch9wavefront6targetE0EEEvT1_.uses_vcc, 0
	.set _ZN7rocprim17ROCPRIM_400000_NS6detail17trampoline_kernelINS0_14default_configENS1_27scan_by_key_config_selectorIxxEEZZNS1_16scan_by_key_implILNS1_25lookback_scan_determinismE0ELb0ES3_N6thrust23THRUST_200600_302600_NS6detail15normal_iteratorINS9_10device_ptrIxEEEESE_SE_xNS9_4plusIxEE19head_flag_predicatexEE10hipError_tPvRmT2_T3_T4_T5_mT6_T7_P12ihipStream_tbENKUlT_T0_E_clISt17integral_constantIbLb0EESX_IbLb1EEEEDaST_SU_EUlST_E_NS1_11comp_targetILNS1_3genE2ELNS1_11target_archE906ELNS1_3gpuE6ELNS1_3repE0EEENS1_30default_config_static_selectorELNS0_4arch9wavefront6targetE0EEEvT1_.uses_flat_scratch, 0
	.set _ZN7rocprim17ROCPRIM_400000_NS6detail17trampoline_kernelINS0_14default_configENS1_27scan_by_key_config_selectorIxxEEZZNS1_16scan_by_key_implILNS1_25lookback_scan_determinismE0ELb0ES3_N6thrust23THRUST_200600_302600_NS6detail15normal_iteratorINS9_10device_ptrIxEEEESE_SE_xNS9_4plusIxEE19head_flag_predicatexEE10hipError_tPvRmT2_T3_T4_T5_mT6_T7_P12ihipStream_tbENKUlT_T0_E_clISt17integral_constantIbLb0EESX_IbLb1EEEEDaST_SU_EUlST_E_NS1_11comp_targetILNS1_3genE2ELNS1_11target_archE906ELNS1_3gpuE6ELNS1_3repE0EEENS1_30default_config_static_selectorELNS0_4arch9wavefront6targetE0EEEvT1_.has_dyn_sized_stack, 0
	.set _ZN7rocprim17ROCPRIM_400000_NS6detail17trampoline_kernelINS0_14default_configENS1_27scan_by_key_config_selectorIxxEEZZNS1_16scan_by_key_implILNS1_25lookback_scan_determinismE0ELb0ES3_N6thrust23THRUST_200600_302600_NS6detail15normal_iteratorINS9_10device_ptrIxEEEESE_SE_xNS9_4plusIxEE19head_flag_predicatexEE10hipError_tPvRmT2_T3_T4_T5_mT6_T7_P12ihipStream_tbENKUlT_T0_E_clISt17integral_constantIbLb0EESX_IbLb1EEEEDaST_SU_EUlST_E_NS1_11comp_targetILNS1_3genE2ELNS1_11target_archE906ELNS1_3gpuE6ELNS1_3repE0EEENS1_30default_config_static_selectorELNS0_4arch9wavefront6targetE0EEEvT1_.has_recursion, 0
	.set _ZN7rocprim17ROCPRIM_400000_NS6detail17trampoline_kernelINS0_14default_configENS1_27scan_by_key_config_selectorIxxEEZZNS1_16scan_by_key_implILNS1_25lookback_scan_determinismE0ELb0ES3_N6thrust23THRUST_200600_302600_NS6detail15normal_iteratorINS9_10device_ptrIxEEEESE_SE_xNS9_4plusIxEE19head_flag_predicatexEE10hipError_tPvRmT2_T3_T4_T5_mT6_T7_P12ihipStream_tbENKUlT_T0_E_clISt17integral_constantIbLb0EESX_IbLb1EEEEDaST_SU_EUlST_E_NS1_11comp_targetILNS1_3genE2ELNS1_11target_archE906ELNS1_3gpuE6ELNS1_3repE0EEENS1_30default_config_static_selectorELNS0_4arch9wavefront6targetE0EEEvT1_.has_indirect_call, 0
	.section	.AMDGPU.csdata,"",@progbits
; Kernel info:
; codeLenInByte = 0
; TotalNumSgprs: 0
; NumVgprs: 0
; ScratchSize: 0
; MemoryBound: 0
; FloatMode: 240
; IeeeMode: 1
; LDSByteSize: 0 bytes/workgroup (compile time only)
; SGPRBlocks: 0
; VGPRBlocks: 0
; NumSGPRsForWavesPerEU: 1
; NumVGPRsForWavesPerEU: 1
; NamedBarCnt: 0
; Occupancy: 16
; WaveLimiterHint : 0
; COMPUTE_PGM_RSRC2:SCRATCH_EN: 0
; COMPUTE_PGM_RSRC2:USER_SGPR: 2
; COMPUTE_PGM_RSRC2:TRAP_HANDLER: 0
; COMPUTE_PGM_RSRC2:TGID_X_EN: 1
; COMPUTE_PGM_RSRC2:TGID_Y_EN: 0
; COMPUTE_PGM_RSRC2:TGID_Z_EN: 0
; COMPUTE_PGM_RSRC2:TIDIG_COMP_CNT: 0
	.section	.text._ZN7rocprim17ROCPRIM_400000_NS6detail17trampoline_kernelINS0_14default_configENS1_27scan_by_key_config_selectorIxxEEZZNS1_16scan_by_key_implILNS1_25lookback_scan_determinismE0ELb0ES3_N6thrust23THRUST_200600_302600_NS6detail15normal_iteratorINS9_10device_ptrIxEEEESE_SE_xNS9_4plusIxEE19head_flag_predicatexEE10hipError_tPvRmT2_T3_T4_T5_mT6_T7_P12ihipStream_tbENKUlT_T0_E_clISt17integral_constantIbLb0EESX_IbLb1EEEEDaST_SU_EUlST_E_NS1_11comp_targetILNS1_3genE10ELNS1_11target_archE1200ELNS1_3gpuE4ELNS1_3repE0EEENS1_30default_config_static_selectorELNS0_4arch9wavefront6targetE0EEEvT1_,"axG",@progbits,_ZN7rocprim17ROCPRIM_400000_NS6detail17trampoline_kernelINS0_14default_configENS1_27scan_by_key_config_selectorIxxEEZZNS1_16scan_by_key_implILNS1_25lookback_scan_determinismE0ELb0ES3_N6thrust23THRUST_200600_302600_NS6detail15normal_iteratorINS9_10device_ptrIxEEEESE_SE_xNS9_4plusIxEE19head_flag_predicatexEE10hipError_tPvRmT2_T3_T4_T5_mT6_T7_P12ihipStream_tbENKUlT_T0_E_clISt17integral_constantIbLb0EESX_IbLb1EEEEDaST_SU_EUlST_E_NS1_11comp_targetILNS1_3genE10ELNS1_11target_archE1200ELNS1_3gpuE4ELNS1_3repE0EEENS1_30default_config_static_selectorELNS0_4arch9wavefront6targetE0EEEvT1_,comdat
	.protected	_ZN7rocprim17ROCPRIM_400000_NS6detail17trampoline_kernelINS0_14default_configENS1_27scan_by_key_config_selectorIxxEEZZNS1_16scan_by_key_implILNS1_25lookback_scan_determinismE0ELb0ES3_N6thrust23THRUST_200600_302600_NS6detail15normal_iteratorINS9_10device_ptrIxEEEESE_SE_xNS9_4plusIxEE19head_flag_predicatexEE10hipError_tPvRmT2_T3_T4_T5_mT6_T7_P12ihipStream_tbENKUlT_T0_E_clISt17integral_constantIbLb0EESX_IbLb1EEEEDaST_SU_EUlST_E_NS1_11comp_targetILNS1_3genE10ELNS1_11target_archE1200ELNS1_3gpuE4ELNS1_3repE0EEENS1_30default_config_static_selectorELNS0_4arch9wavefront6targetE0EEEvT1_ ; -- Begin function _ZN7rocprim17ROCPRIM_400000_NS6detail17trampoline_kernelINS0_14default_configENS1_27scan_by_key_config_selectorIxxEEZZNS1_16scan_by_key_implILNS1_25lookback_scan_determinismE0ELb0ES3_N6thrust23THRUST_200600_302600_NS6detail15normal_iteratorINS9_10device_ptrIxEEEESE_SE_xNS9_4plusIxEE19head_flag_predicatexEE10hipError_tPvRmT2_T3_T4_T5_mT6_T7_P12ihipStream_tbENKUlT_T0_E_clISt17integral_constantIbLb0EESX_IbLb1EEEEDaST_SU_EUlST_E_NS1_11comp_targetILNS1_3genE10ELNS1_11target_archE1200ELNS1_3gpuE4ELNS1_3repE0EEENS1_30default_config_static_selectorELNS0_4arch9wavefront6targetE0EEEvT1_
	.globl	_ZN7rocprim17ROCPRIM_400000_NS6detail17trampoline_kernelINS0_14default_configENS1_27scan_by_key_config_selectorIxxEEZZNS1_16scan_by_key_implILNS1_25lookback_scan_determinismE0ELb0ES3_N6thrust23THRUST_200600_302600_NS6detail15normal_iteratorINS9_10device_ptrIxEEEESE_SE_xNS9_4plusIxEE19head_flag_predicatexEE10hipError_tPvRmT2_T3_T4_T5_mT6_T7_P12ihipStream_tbENKUlT_T0_E_clISt17integral_constantIbLb0EESX_IbLb1EEEEDaST_SU_EUlST_E_NS1_11comp_targetILNS1_3genE10ELNS1_11target_archE1200ELNS1_3gpuE4ELNS1_3repE0EEENS1_30default_config_static_selectorELNS0_4arch9wavefront6targetE0EEEvT1_
	.p2align	8
	.type	_ZN7rocprim17ROCPRIM_400000_NS6detail17trampoline_kernelINS0_14default_configENS1_27scan_by_key_config_selectorIxxEEZZNS1_16scan_by_key_implILNS1_25lookback_scan_determinismE0ELb0ES3_N6thrust23THRUST_200600_302600_NS6detail15normal_iteratorINS9_10device_ptrIxEEEESE_SE_xNS9_4plusIxEE19head_flag_predicatexEE10hipError_tPvRmT2_T3_T4_T5_mT6_T7_P12ihipStream_tbENKUlT_T0_E_clISt17integral_constantIbLb0EESX_IbLb1EEEEDaST_SU_EUlST_E_NS1_11comp_targetILNS1_3genE10ELNS1_11target_archE1200ELNS1_3gpuE4ELNS1_3repE0EEENS1_30default_config_static_selectorELNS0_4arch9wavefront6targetE0EEEvT1_,@function
_ZN7rocprim17ROCPRIM_400000_NS6detail17trampoline_kernelINS0_14default_configENS1_27scan_by_key_config_selectorIxxEEZZNS1_16scan_by_key_implILNS1_25lookback_scan_determinismE0ELb0ES3_N6thrust23THRUST_200600_302600_NS6detail15normal_iteratorINS9_10device_ptrIxEEEESE_SE_xNS9_4plusIxEE19head_flag_predicatexEE10hipError_tPvRmT2_T3_T4_T5_mT6_T7_P12ihipStream_tbENKUlT_T0_E_clISt17integral_constantIbLb0EESX_IbLb1EEEEDaST_SU_EUlST_E_NS1_11comp_targetILNS1_3genE10ELNS1_11target_archE1200ELNS1_3gpuE4ELNS1_3repE0EEENS1_30default_config_static_selectorELNS0_4arch9wavefront6targetE0EEEvT1_: ; @_ZN7rocprim17ROCPRIM_400000_NS6detail17trampoline_kernelINS0_14default_configENS1_27scan_by_key_config_selectorIxxEEZZNS1_16scan_by_key_implILNS1_25lookback_scan_determinismE0ELb0ES3_N6thrust23THRUST_200600_302600_NS6detail15normal_iteratorINS9_10device_ptrIxEEEESE_SE_xNS9_4plusIxEE19head_flag_predicatexEE10hipError_tPvRmT2_T3_T4_T5_mT6_T7_P12ihipStream_tbENKUlT_T0_E_clISt17integral_constantIbLb0EESX_IbLb1EEEEDaST_SU_EUlST_E_NS1_11comp_targetILNS1_3genE10ELNS1_11target_archE1200ELNS1_3gpuE4ELNS1_3repE0EEENS1_30default_config_static_selectorELNS0_4arch9wavefront6targetE0EEEvT1_
; %bb.0:
	.section	.rodata,"a",@progbits
	.p2align	6, 0x0
	.amdhsa_kernel _ZN7rocprim17ROCPRIM_400000_NS6detail17trampoline_kernelINS0_14default_configENS1_27scan_by_key_config_selectorIxxEEZZNS1_16scan_by_key_implILNS1_25lookback_scan_determinismE0ELb0ES3_N6thrust23THRUST_200600_302600_NS6detail15normal_iteratorINS9_10device_ptrIxEEEESE_SE_xNS9_4plusIxEE19head_flag_predicatexEE10hipError_tPvRmT2_T3_T4_T5_mT6_T7_P12ihipStream_tbENKUlT_T0_E_clISt17integral_constantIbLb0EESX_IbLb1EEEEDaST_SU_EUlST_E_NS1_11comp_targetILNS1_3genE10ELNS1_11target_archE1200ELNS1_3gpuE4ELNS1_3repE0EEENS1_30default_config_static_selectorELNS0_4arch9wavefront6targetE0EEEvT1_
		.amdhsa_group_segment_fixed_size 0
		.amdhsa_private_segment_fixed_size 0
		.amdhsa_kernarg_size 136
		.amdhsa_user_sgpr_count 2
		.amdhsa_user_sgpr_dispatch_ptr 0
		.amdhsa_user_sgpr_queue_ptr 0
		.amdhsa_user_sgpr_kernarg_segment_ptr 1
		.amdhsa_user_sgpr_dispatch_id 0
		.amdhsa_user_sgpr_kernarg_preload_length 0
		.amdhsa_user_sgpr_kernarg_preload_offset 0
		.amdhsa_user_sgpr_private_segment_size 0
		.amdhsa_wavefront_size32 1
		.amdhsa_uses_dynamic_stack 0
		.amdhsa_enable_private_segment 0
		.amdhsa_system_sgpr_workgroup_id_x 1
		.amdhsa_system_sgpr_workgroup_id_y 0
		.amdhsa_system_sgpr_workgroup_id_z 0
		.amdhsa_system_sgpr_workgroup_info 0
		.amdhsa_system_vgpr_workitem_id 0
		.amdhsa_next_free_vgpr 1
		.amdhsa_next_free_sgpr 1
		.amdhsa_named_barrier_count 0
		.amdhsa_reserve_vcc 0
		.amdhsa_float_round_mode_32 0
		.amdhsa_float_round_mode_16_64 0
		.amdhsa_float_denorm_mode_32 3
		.amdhsa_float_denorm_mode_16_64 3
		.amdhsa_fp16_overflow 0
		.amdhsa_memory_ordered 1
		.amdhsa_forward_progress 1
		.amdhsa_inst_pref_size 0
		.amdhsa_round_robin_scheduling 0
		.amdhsa_exception_fp_ieee_invalid_op 0
		.amdhsa_exception_fp_denorm_src 0
		.amdhsa_exception_fp_ieee_div_zero 0
		.amdhsa_exception_fp_ieee_overflow 0
		.amdhsa_exception_fp_ieee_underflow 0
		.amdhsa_exception_fp_ieee_inexact 0
		.amdhsa_exception_int_div_zero 0
	.end_amdhsa_kernel
	.section	.text._ZN7rocprim17ROCPRIM_400000_NS6detail17trampoline_kernelINS0_14default_configENS1_27scan_by_key_config_selectorIxxEEZZNS1_16scan_by_key_implILNS1_25lookback_scan_determinismE0ELb0ES3_N6thrust23THRUST_200600_302600_NS6detail15normal_iteratorINS9_10device_ptrIxEEEESE_SE_xNS9_4plusIxEE19head_flag_predicatexEE10hipError_tPvRmT2_T3_T4_T5_mT6_T7_P12ihipStream_tbENKUlT_T0_E_clISt17integral_constantIbLb0EESX_IbLb1EEEEDaST_SU_EUlST_E_NS1_11comp_targetILNS1_3genE10ELNS1_11target_archE1200ELNS1_3gpuE4ELNS1_3repE0EEENS1_30default_config_static_selectorELNS0_4arch9wavefront6targetE0EEEvT1_,"axG",@progbits,_ZN7rocprim17ROCPRIM_400000_NS6detail17trampoline_kernelINS0_14default_configENS1_27scan_by_key_config_selectorIxxEEZZNS1_16scan_by_key_implILNS1_25lookback_scan_determinismE0ELb0ES3_N6thrust23THRUST_200600_302600_NS6detail15normal_iteratorINS9_10device_ptrIxEEEESE_SE_xNS9_4plusIxEE19head_flag_predicatexEE10hipError_tPvRmT2_T3_T4_T5_mT6_T7_P12ihipStream_tbENKUlT_T0_E_clISt17integral_constantIbLb0EESX_IbLb1EEEEDaST_SU_EUlST_E_NS1_11comp_targetILNS1_3genE10ELNS1_11target_archE1200ELNS1_3gpuE4ELNS1_3repE0EEENS1_30default_config_static_selectorELNS0_4arch9wavefront6targetE0EEEvT1_,comdat
.Lfunc_end710:
	.size	_ZN7rocprim17ROCPRIM_400000_NS6detail17trampoline_kernelINS0_14default_configENS1_27scan_by_key_config_selectorIxxEEZZNS1_16scan_by_key_implILNS1_25lookback_scan_determinismE0ELb0ES3_N6thrust23THRUST_200600_302600_NS6detail15normal_iteratorINS9_10device_ptrIxEEEESE_SE_xNS9_4plusIxEE19head_flag_predicatexEE10hipError_tPvRmT2_T3_T4_T5_mT6_T7_P12ihipStream_tbENKUlT_T0_E_clISt17integral_constantIbLb0EESX_IbLb1EEEEDaST_SU_EUlST_E_NS1_11comp_targetILNS1_3genE10ELNS1_11target_archE1200ELNS1_3gpuE4ELNS1_3repE0EEENS1_30default_config_static_selectorELNS0_4arch9wavefront6targetE0EEEvT1_, .Lfunc_end710-_ZN7rocprim17ROCPRIM_400000_NS6detail17trampoline_kernelINS0_14default_configENS1_27scan_by_key_config_selectorIxxEEZZNS1_16scan_by_key_implILNS1_25lookback_scan_determinismE0ELb0ES3_N6thrust23THRUST_200600_302600_NS6detail15normal_iteratorINS9_10device_ptrIxEEEESE_SE_xNS9_4plusIxEE19head_flag_predicatexEE10hipError_tPvRmT2_T3_T4_T5_mT6_T7_P12ihipStream_tbENKUlT_T0_E_clISt17integral_constantIbLb0EESX_IbLb1EEEEDaST_SU_EUlST_E_NS1_11comp_targetILNS1_3genE10ELNS1_11target_archE1200ELNS1_3gpuE4ELNS1_3repE0EEENS1_30default_config_static_selectorELNS0_4arch9wavefront6targetE0EEEvT1_
                                        ; -- End function
	.set _ZN7rocprim17ROCPRIM_400000_NS6detail17trampoline_kernelINS0_14default_configENS1_27scan_by_key_config_selectorIxxEEZZNS1_16scan_by_key_implILNS1_25lookback_scan_determinismE0ELb0ES3_N6thrust23THRUST_200600_302600_NS6detail15normal_iteratorINS9_10device_ptrIxEEEESE_SE_xNS9_4plusIxEE19head_flag_predicatexEE10hipError_tPvRmT2_T3_T4_T5_mT6_T7_P12ihipStream_tbENKUlT_T0_E_clISt17integral_constantIbLb0EESX_IbLb1EEEEDaST_SU_EUlST_E_NS1_11comp_targetILNS1_3genE10ELNS1_11target_archE1200ELNS1_3gpuE4ELNS1_3repE0EEENS1_30default_config_static_selectorELNS0_4arch9wavefront6targetE0EEEvT1_.num_vgpr, 0
	.set _ZN7rocprim17ROCPRIM_400000_NS6detail17trampoline_kernelINS0_14default_configENS1_27scan_by_key_config_selectorIxxEEZZNS1_16scan_by_key_implILNS1_25lookback_scan_determinismE0ELb0ES3_N6thrust23THRUST_200600_302600_NS6detail15normal_iteratorINS9_10device_ptrIxEEEESE_SE_xNS9_4plusIxEE19head_flag_predicatexEE10hipError_tPvRmT2_T3_T4_T5_mT6_T7_P12ihipStream_tbENKUlT_T0_E_clISt17integral_constantIbLb0EESX_IbLb1EEEEDaST_SU_EUlST_E_NS1_11comp_targetILNS1_3genE10ELNS1_11target_archE1200ELNS1_3gpuE4ELNS1_3repE0EEENS1_30default_config_static_selectorELNS0_4arch9wavefront6targetE0EEEvT1_.num_agpr, 0
	.set _ZN7rocprim17ROCPRIM_400000_NS6detail17trampoline_kernelINS0_14default_configENS1_27scan_by_key_config_selectorIxxEEZZNS1_16scan_by_key_implILNS1_25lookback_scan_determinismE0ELb0ES3_N6thrust23THRUST_200600_302600_NS6detail15normal_iteratorINS9_10device_ptrIxEEEESE_SE_xNS9_4plusIxEE19head_flag_predicatexEE10hipError_tPvRmT2_T3_T4_T5_mT6_T7_P12ihipStream_tbENKUlT_T0_E_clISt17integral_constantIbLb0EESX_IbLb1EEEEDaST_SU_EUlST_E_NS1_11comp_targetILNS1_3genE10ELNS1_11target_archE1200ELNS1_3gpuE4ELNS1_3repE0EEENS1_30default_config_static_selectorELNS0_4arch9wavefront6targetE0EEEvT1_.numbered_sgpr, 0
	.set _ZN7rocprim17ROCPRIM_400000_NS6detail17trampoline_kernelINS0_14default_configENS1_27scan_by_key_config_selectorIxxEEZZNS1_16scan_by_key_implILNS1_25lookback_scan_determinismE0ELb0ES3_N6thrust23THRUST_200600_302600_NS6detail15normal_iteratorINS9_10device_ptrIxEEEESE_SE_xNS9_4plusIxEE19head_flag_predicatexEE10hipError_tPvRmT2_T3_T4_T5_mT6_T7_P12ihipStream_tbENKUlT_T0_E_clISt17integral_constantIbLb0EESX_IbLb1EEEEDaST_SU_EUlST_E_NS1_11comp_targetILNS1_3genE10ELNS1_11target_archE1200ELNS1_3gpuE4ELNS1_3repE0EEENS1_30default_config_static_selectorELNS0_4arch9wavefront6targetE0EEEvT1_.num_named_barrier, 0
	.set _ZN7rocprim17ROCPRIM_400000_NS6detail17trampoline_kernelINS0_14default_configENS1_27scan_by_key_config_selectorIxxEEZZNS1_16scan_by_key_implILNS1_25lookback_scan_determinismE0ELb0ES3_N6thrust23THRUST_200600_302600_NS6detail15normal_iteratorINS9_10device_ptrIxEEEESE_SE_xNS9_4plusIxEE19head_flag_predicatexEE10hipError_tPvRmT2_T3_T4_T5_mT6_T7_P12ihipStream_tbENKUlT_T0_E_clISt17integral_constantIbLb0EESX_IbLb1EEEEDaST_SU_EUlST_E_NS1_11comp_targetILNS1_3genE10ELNS1_11target_archE1200ELNS1_3gpuE4ELNS1_3repE0EEENS1_30default_config_static_selectorELNS0_4arch9wavefront6targetE0EEEvT1_.private_seg_size, 0
	.set _ZN7rocprim17ROCPRIM_400000_NS6detail17trampoline_kernelINS0_14default_configENS1_27scan_by_key_config_selectorIxxEEZZNS1_16scan_by_key_implILNS1_25lookback_scan_determinismE0ELb0ES3_N6thrust23THRUST_200600_302600_NS6detail15normal_iteratorINS9_10device_ptrIxEEEESE_SE_xNS9_4plusIxEE19head_flag_predicatexEE10hipError_tPvRmT2_T3_T4_T5_mT6_T7_P12ihipStream_tbENKUlT_T0_E_clISt17integral_constantIbLb0EESX_IbLb1EEEEDaST_SU_EUlST_E_NS1_11comp_targetILNS1_3genE10ELNS1_11target_archE1200ELNS1_3gpuE4ELNS1_3repE0EEENS1_30default_config_static_selectorELNS0_4arch9wavefront6targetE0EEEvT1_.uses_vcc, 0
	.set _ZN7rocprim17ROCPRIM_400000_NS6detail17trampoline_kernelINS0_14default_configENS1_27scan_by_key_config_selectorIxxEEZZNS1_16scan_by_key_implILNS1_25lookback_scan_determinismE0ELb0ES3_N6thrust23THRUST_200600_302600_NS6detail15normal_iteratorINS9_10device_ptrIxEEEESE_SE_xNS9_4plusIxEE19head_flag_predicatexEE10hipError_tPvRmT2_T3_T4_T5_mT6_T7_P12ihipStream_tbENKUlT_T0_E_clISt17integral_constantIbLb0EESX_IbLb1EEEEDaST_SU_EUlST_E_NS1_11comp_targetILNS1_3genE10ELNS1_11target_archE1200ELNS1_3gpuE4ELNS1_3repE0EEENS1_30default_config_static_selectorELNS0_4arch9wavefront6targetE0EEEvT1_.uses_flat_scratch, 0
	.set _ZN7rocprim17ROCPRIM_400000_NS6detail17trampoline_kernelINS0_14default_configENS1_27scan_by_key_config_selectorIxxEEZZNS1_16scan_by_key_implILNS1_25lookback_scan_determinismE0ELb0ES3_N6thrust23THRUST_200600_302600_NS6detail15normal_iteratorINS9_10device_ptrIxEEEESE_SE_xNS9_4plusIxEE19head_flag_predicatexEE10hipError_tPvRmT2_T3_T4_T5_mT6_T7_P12ihipStream_tbENKUlT_T0_E_clISt17integral_constantIbLb0EESX_IbLb1EEEEDaST_SU_EUlST_E_NS1_11comp_targetILNS1_3genE10ELNS1_11target_archE1200ELNS1_3gpuE4ELNS1_3repE0EEENS1_30default_config_static_selectorELNS0_4arch9wavefront6targetE0EEEvT1_.has_dyn_sized_stack, 0
	.set _ZN7rocprim17ROCPRIM_400000_NS6detail17trampoline_kernelINS0_14default_configENS1_27scan_by_key_config_selectorIxxEEZZNS1_16scan_by_key_implILNS1_25lookback_scan_determinismE0ELb0ES3_N6thrust23THRUST_200600_302600_NS6detail15normal_iteratorINS9_10device_ptrIxEEEESE_SE_xNS9_4plusIxEE19head_flag_predicatexEE10hipError_tPvRmT2_T3_T4_T5_mT6_T7_P12ihipStream_tbENKUlT_T0_E_clISt17integral_constantIbLb0EESX_IbLb1EEEEDaST_SU_EUlST_E_NS1_11comp_targetILNS1_3genE10ELNS1_11target_archE1200ELNS1_3gpuE4ELNS1_3repE0EEENS1_30default_config_static_selectorELNS0_4arch9wavefront6targetE0EEEvT1_.has_recursion, 0
	.set _ZN7rocprim17ROCPRIM_400000_NS6detail17trampoline_kernelINS0_14default_configENS1_27scan_by_key_config_selectorIxxEEZZNS1_16scan_by_key_implILNS1_25lookback_scan_determinismE0ELb0ES3_N6thrust23THRUST_200600_302600_NS6detail15normal_iteratorINS9_10device_ptrIxEEEESE_SE_xNS9_4plusIxEE19head_flag_predicatexEE10hipError_tPvRmT2_T3_T4_T5_mT6_T7_P12ihipStream_tbENKUlT_T0_E_clISt17integral_constantIbLb0EESX_IbLb1EEEEDaST_SU_EUlST_E_NS1_11comp_targetILNS1_3genE10ELNS1_11target_archE1200ELNS1_3gpuE4ELNS1_3repE0EEENS1_30default_config_static_selectorELNS0_4arch9wavefront6targetE0EEEvT1_.has_indirect_call, 0
	.section	.AMDGPU.csdata,"",@progbits
; Kernel info:
; codeLenInByte = 0
; TotalNumSgprs: 0
; NumVgprs: 0
; ScratchSize: 0
; MemoryBound: 0
; FloatMode: 240
; IeeeMode: 1
; LDSByteSize: 0 bytes/workgroup (compile time only)
; SGPRBlocks: 0
; VGPRBlocks: 0
; NumSGPRsForWavesPerEU: 1
; NumVGPRsForWavesPerEU: 1
; NamedBarCnt: 0
; Occupancy: 16
; WaveLimiterHint : 0
; COMPUTE_PGM_RSRC2:SCRATCH_EN: 0
; COMPUTE_PGM_RSRC2:USER_SGPR: 2
; COMPUTE_PGM_RSRC2:TRAP_HANDLER: 0
; COMPUTE_PGM_RSRC2:TGID_X_EN: 1
; COMPUTE_PGM_RSRC2:TGID_Y_EN: 0
; COMPUTE_PGM_RSRC2:TGID_Z_EN: 0
; COMPUTE_PGM_RSRC2:TIDIG_COMP_CNT: 0
	.section	.text._ZN7rocprim17ROCPRIM_400000_NS6detail17trampoline_kernelINS0_14default_configENS1_27scan_by_key_config_selectorIxxEEZZNS1_16scan_by_key_implILNS1_25lookback_scan_determinismE0ELb0ES3_N6thrust23THRUST_200600_302600_NS6detail15normal_iteratorINS9_10device_ptrIxEEEESE_SE_xNS9_4plusIxEE19head_flag_predicatexEE10hipError_tPvRmT2_T3_T4_T5_mT6_T7_P12ihipStream_tbENKUlT_T0_E_clISt17integral_constantIbLb0EESX_IbLb1EEEEDaST_SU_EUlST_E_NS1_11comp_targetILNS1_3genE9ELNS1_11target_archE1100ELNS1_3gpuE3ELNS1_3repE0EEENS1_30default_config_static_selectorELNS0_4arch9wavefront6targetE0EEEvT1_,"axG",@progbits,_ZN7rocprim17ROCPRIM_400000_NS6detail17trampoline_kernelINS0_14default_configENS1_27scan_by_key_config_selectorIxxEEZZNS1_16scan_by_key_implILNS1_25lookback_scan_determinismE0ELb0ES3_N6thrust23THRUST_200600_302600_NS6detail15normal_iteratorINS9_10device_ptrIxEEEESE_SE_xNS9_4plusIxEE19head_flag_predicatexEE10hipError_tPvRmT2_T3_T4_T5_mT6_T7_P12ihipStream_tbENKUlT_T0_E_clISt17integral_constantIbLb0EESX_IbLb1EEEEDaST_SU_EUlST_E_NS1_11comp_targetILNS1_3genE9ELNS1_11target_archE1100ELNS1_3gpuE3ELNS1_3repE0EEENS1_30default_config_static_selectorELNS0_4arch9wavefront6targetE0EEEvT1_,comdat
	.protected	_ZN7rocprim17ROCPRIM_400000_NS6detail17trampoline_kernelINS0_14default_configENS1_27scan_by_key_config_selectorIxxEEZZNS1_16scan_by_key_implILNS1_25lookback_scan_determinismE0ELb0ES3_N6thrust23THRUST_200600_302600_NS6detail15normal_iteratorINS9_10device_ptrIxEEEESE_SE_xNS9_4plusIxEE19head_flag_predicatexEE10hipError_tPvRmT2_T3_T4_T5_mT6_T7_P12ihipStream_tbENKUlT_T0_E_clISt17integral_constantIbLb0EESX_IbLb1EEEEDaST_SU_EUlST_E_NS1_11comp_targetILNS1_3genE9ELNS1_11target_archE1100ELNS1_3gpuE3ELNS1_3repE0EEENS1_30default_config_static_selectorELNS0_4arch9wavefront6targetE0EEEvT1_ ; -- Begin function _ZN7rocprim17ROCPRIM_400000_NS6detail17trampoline_kernelINS0_14default_configENS1_27scan_by_key_config_selectorIxxEEZZNS1_16scan_by_key_implILNS1_25lookback_scan_determinismE0ELb0ES3_N6thrust23THRUST_200600_302600_NS6detail15normal_iteratorINS9_10device_ptrIxEEEESE_SE_xNS9_4plusIxEE19head_flag_predicatexEE10hipError_tPvRmT2_T3_T4_T5_mT6_T7_P12ihipStream_tbENKUlT_T0_E_clISt17integral_constantIbLb0EESX_IbLb1EEEEDaST_SU_EUlST_E_NS1_11comp_targetILNS1_3genE9ELNS1_11target_archE1100ELNS1_3gpuE3ELNS1_3repE0EEENS1_30default_config_static_selectorELNS0_4arch9wavefront6targetE0EEEvT1_
	.globl	_ZN7rocprim17ROCPRIM_400000_NS6detail17trampoline_kernelINS0_14default_configENS1_27scan_by_key_config_selectorIxxEEZZNS1_16scan_by_key_implILNS1_25lookback_scan_determinismE0ELb0ES3_N6thrust23THRUST_200600_302600_NS6detail15normal_iteratorINS9_10device_ptrIxEEEESE_SE_xNS9_4plusIxEE19head_flag_predicatexEE10hipError_tPvRmT2_T3_T4_T5_mT6_T7_P12ihipStream_tbENKUlT_T0_E_clISt17integral_constantIbLb0EESX_IbLb1EEEEDaST_SU_EUlST_E_NS1_11comp_targetILNS1_3genE9ELNS1_11target_archE1100ELNS1_3gpuE3ELNS1_3repE0EEENS1_30default_config_static_selectorELNS0_4arch9wavefront6targetE0EEEvT1_
	.p2align	8
	.type	_ZN7rocprim17ROCPRIM_400000_NS6detail17trampoline_kernelINS0_14default_configENS1_27scan_by_key_config_selectorIxxEEZZNS1_16scan_by_key_implILNS1_25lookback_scan_determinismE0ELb0ES3_N6thrust23THRUST_200600_302600_NS6detail15normal_iteratorINS9_10device_ptrIxEEEESE_SE_xNS9_4plusIxEE19head_flag_predicatexEE10hipError_tPvRmT2_T3_T4_T5_mT6_T7_P12ihipStream_tbENKUlT_T0_E_clISt17integral_constantIbLb0EESX_IbLb1EEEEDaST_SU_EUlST_E_NS1_11comp_targetILNS1_3genE9ELNS1_11target_archE1100ELNS1_3gpuE3ELNS1_3repE0EEENS1_30default_config_static_selectorELNS0_4arch9wavefront6targetE0EEEvT1_,@function
_ZN7rocprim17ROCPRIM_400000_NS6detail17trampoline_kernelINS0_14default_configENS1_27scan_by_key_config_selectorIxxEEZZNS1_16scan_by_key_implILNS1_25lookback_scan_determinismE0ELb0ES3_N6thrust23THRUST_200600_302600_NS6detail15normal_iteratorINS9_10device_ptrIxEEEESE_SE_xNS9_4plusIxEE19head_flag_predicatexEE10hipError_tPvRmT2_T3_T4_T5_mT6_T7_P12ihipStream_tbENKUlT_T0_E_clISt17integral_constantIbLb0EESX_IbLb1EEEEDaST_SU_EUlST_E_NS1_11comp_targetILNS1_3genE9ELNS1_11target_archE1100ELNS1_3gpuE3ELNS1_3repE0EEENS1_30default_config_static_selectorELNS0_4arch9wavefront6targetE0EEEvT1_: ; @_ZN7rocprim17ROCPRIM_400000_NS6detail17trampoline_kernelINS0_14default_configENS1_27scan_by_key_config_selectorIxxEEZZNS1_16scan_by_key_implILNS1_25lookback_scan_determinismE0ELb0ES3_N6thrust23THRUST_200600_302600_NS6detail15normal_iteratorINS9_10device_ptrIxEEEESE_SE_xNS9_4plusIxEE19head_flag_predicatexEE10hipError_tPvRmT2_T3_T4_T5_mT6_T7_P12ihipStream_tbENKUlT_T0_E_clISt17integral_constantIbLb0EESX_IbLb1EEEEDaST_SU_EUlST_E_NS1_11comp_targetILNS1_3genE9ELNS1_11target_archE1100ELNS1_3gpuE3ELNS1_3repE0EEENS1_30default_config_static_selectorELNS0_4arch9wavefront6targetE0EEEvT1_
; %bb.0:
	.section	.rodata,"a",@progbits
	.p2align	6, 0x0
	.amdhsa_kernel _ZN7rocprim17ROCPRIM_400000_NS6detail17trampoline_kernelINS0_14default_configENS1_27scan_by_key_config_selectorIxxEEZZNS1_16scan_by_key_implILNS1_25lookback_scan_determinismE0ELb0ES3_N6thrust23THRUST_200600_302600_NS6detail15normal_iteratorINS9_10device_ptrIxEEEESE_SE_xNS9_4plusIxEE19head_flag_predicatexEE10hipError_tPvRmT2_T3_T4_T5_mT6_T7_P12ihipStream_tbENKUlT_T0_E_clISt17integral_constantIbLb0EESX_IbLb1EEEEDaST_SU_EUlST_E_NS1_11comp_targetILNS1_3genE9ELNS1_11target_archE1100ELNS1_3gpuE3ELNS1_3repE0EEENS1_30default_config_static_selectorELNS0_4arch9wavefront6targetE0EEEvT1_
		.amdhsa_group_segment_fixed_size 0
		.amdhsa_private_segment_fixed_size 0
		.amdhsa_kernarg_size 136
		.amdhsa_user_sgpr_count 2
		.amdhsa_user_sgpr_dispatch_ptr 0
		.amdhsa_user_sgpr_queue_ptr 0
		.amdhsa_user_sgpr_kernarg_segment_ptr 1
		.amdhsa_user_sgpr_dispatch_id 0
		.amdhsa_user_sgpr_kernarg_preload_length 0
		.amdhsa_user_sgpr_kernarg_preload_offset 0
		.amdhsa_user_sgpr_private_segment_size 0
		.amdhsa_wavefront_size32 1
		.amdhsa_uses_dynamic_stack 0
		.amdhsa_enable_private_segment 0
		.amdhsa_system_sgpr_workgroup_id_x 1
		.amdhsa_system_sgpr_workgroup_id_y 0
		.amdhsa_system_sgpr_workgroup_id_z 0
		.amdhsa_system_sgpr_workgroup_info 0
		.amdhsa_system_vgpr_workitem_id 0
		.amdhsa_next_free_vgpr 1
		.amdhsa_next_free_sgpr 1
		.amdhsa_named_barrier_count 0
		.amdhsa_reserve_vcc 0
		.amdhsa_float_round_mode_32 0
		.amdhsa_float_round_mode_16_64 0
		.amdhsa_float_denorm_mode_32 3
		.amdhsa_float_denorm_mode_16_64 3
		.amdhsa_fp16_overflow 0
		.amdhsa_memory_ordered 1
		.amdhsa_forward_progress 1
		.amdhsa_inst_pref_size 0
		.amdhsa_round_robin_scheduling 0
		.amdhsa_exception_fp_ieee_invalid_op 0
		.amdhsa_exception_fp_denorm_src 0
		.amdhsa_exception_fp_ieee_div_zero 0
		.amdhsa_exception_fp_ieee_overflow 0
		.amdhsa_exception_fp_ieee_underflow 0
		.amdhsa_exception_fp_ieee_inexact 0
		.amdhsa_exception_int_div_zero 0
	.end_amdhsa_kernel
	.section	.text._ZN7rocprim17ROCPRIM_400000_NS6detail17trampoline_kernelINS0_14default_configENS1_27scan_by_key_config_selectorIxxEEZZNS1_16scan_by_key_implILNS1_25lookback_scan_determinismE0ELb0ES3_N6thrust23THRUST_200600_302600_NS6detail15normal_iteratorINS9_10device_ptrIxEEEESE_SE_xNS9_4plusIxEE19head_flag_predicatexEE10hipError_tPvRmT2_T3_T4_T5_mT6_T7_P12ihipStream_tbENKUlT_T0_E_clISt17integral_constantIbLb0EESX_IbLb1EEEEDaST_SU_EUlST_E_NS1_11comp_targetILNS1_3genE9ELNS1_11target_archE1100ELNS1_3gpuE3ELNS1_3repE0EEENS1_30default_config_static_selectorELNS0_4arch9wavefront6targetE0EEEvT1_,"axG",@progbits,_ZN7rocprim17ROCPRIM_400000_NS6detail17trampoline_kernelINS0_14default_configENS1_27scan_by_key_config_selectorIxxEEZZNS1_16scan_by_key_implILNS1_25lookback_scan_determinismE0ELb0ES3_N6thrust23THRUST_200600_302600_NS6detail15normal_iteratorINS9_10device_ptrIxEEEESE_SE_xNS9_4plusIxEE19head_flag_predicatexEE10hipError_tPvRmT2_T3_T4_T5_mT6_T7_P12ihipStream_tbENKUlT_T0_E_clISt17integral_constantIbLb0EESX_IbLb1EEEEDaST_SU_EUlST_E_NS1_11comp_targetILNS1_3genE9ELNS1_11target_archE1100ELNS1_3gpuE3ELNS1_3repE0EEENS1_30default_config_static_selectorELNS0_4arch9wavefront6targetE0EEEvT1_,comdat
.Lfunc_end711:
	.size	_ZN7rocprim17ROCPRIM_400000_NS6detail17trampoline_kernelINS0_14default_configENS1_27scan_by_key_config_selectorIxxEEZZNS1_16scan_by_key_implILNS1_25lookback_scan_determinismE0ELb0ES3_N6thrust23THRUST_200600_302600_NS6detail15normal_iteratorINS9_10device_ptrIxEEEESE_SE_xNS9_4plusIxEE19head_flag_predicatexEE10hipError_tPvRmT2_T3_T4_T5_mT6_T7_P12ihipStream_tbENKUlT_T0_E_clISt17integral_constantIbLb0EESX_IbLb1EEEEDaST_SU_EUlST_E_NS1_11comp_targetILNS1_3genE9ELNS1_11target_archE1100ELNS1_3gpuE3ELNS1_3repE0EEENS1_30default_config_static_selectorELNS0_4arch9wavefront6targetE0EEEvT1_, .Lfunc_end711-_ZN7rocprim17ROCPRIM_400000_NS6detail17trampoline_kernelINS0_14default_configENS1_27scan_by_key_config_selectorIxxEEZZNS1_16scan_by_key_implILNS1_25lookback_scan_determinismE0ELb0ES3_N6thrust23THRUST_200600_302600_NS6detail15normal_iteratorINS9_10device_ptrIxEEEESE_SE_xNS9_4plusIxEE19head_flag_predicatexEE10hipError_tPvRmT2_T3_T4_T5_mT6_T7_P12ihipStream_tbENKUlT_T0_E_clISt17integral_constantIbLb0EESX_IbLb1EEEEDaST_SU_EUlST_E_NS1_11comp_targetILNS1_3genE9ELNS1_11target_archE1100ELNS1_3gpuE3ELNS1_3repE0EEENS1_30default_config_static_selectorELNS0_4arch9wavefront6targetE0EEEvT1_
                                        ; -- End function
	.set _ZN7rocprim17ROCPRIM_400000_NS6detail17trampoline_kernelINS0_14default_configENS1_27scan_by_key_config_selectorIxxEEZZNS1_16scan_by_key_implILNS1_25lookback_scan_determinismE0ELb0ES3_N6thrust23THRUST_200600_302600_NS6detail15normal_iteratorINS9_10device_ptrIxEEEESE_SE_xNS9_4plusIxEE19head_flag_predicatexEE10hipError_tPvRmT2_T3_T4_T5_mT6_T7_P12ihipStream_tbENKUlT_T0_E_clISt17integral_constantIbLb0EESX_IbLb1EEEEDaST_SU_EUlST_E_NS1_11comp_targetILNS1_3genE9ELNS1_11target_archE1100ELNS1_3gpuE3ELNS1_3repE0EEENS1_30default_config_static_selectorELNS0_4arch9wavefront6targetE0EEEvT1_.num_vgpr, 0
	.set _ZN7rocprim17ROCPRIM_400000_NS6detail17trampoline_kernelINS0_14default_configENS1_27scan_by_key_config_selectorIxxEEZZNS1_16scan_by_key_implILNS1_25lookback_scan_determinismE0ELb0ES3_N6thrust23THRUST_200600_302600_NS6detail15normal_iteratorINS9_10device_ptrIxEEEESE_SE_xNS9_4plusIxEE19head_flag_predicatexEE10hipError_tPvRmT2_T3_T4_T5_mT6_T7_P12ihipStream_tbENKUlT_T0_E_clISt17integral_constantIbLb0EESX_IbLb1EEEEDaST_SU_EUlST_E_NS1_11comp_targetILNS1_3genE9ELNS1_11target_archE1100ELNS1_3gpuE3ELNS1_3repE0EEENS1_30default_config_static_selectorELNS0_4arch9wavefront6targetE0EEEvT1_.num_agpr, 0
	.set _ZN7rocprim17ROCPRIM_400000_NS6detail17trampoline_kernelINS0_14default_configENS1_27scan_by_key_config_selectorIxxEEZZNS1_16scan_by_key_implILNS1_25lookback_scan_determinismE0ELb0ES3_N6thrust23THRUST_200600_302600_NS6detail15normal_iteratorINS9_10device_ptrIxEEEESE_SE_xNS9_4plusIxEE19head_flag_predicatexEE10hipError_tPvRmT2_T3_T4_T5_mT6_T7_P12ihipStream_tbENKUlT_T0_E_clISt17integral_constantIbLb0EESX_IbLb1EEEEDaST_SU_EUlST_E_NS1_11comp_targetILNS1_3genE9ELNS1_11target_archE1100ELNS1_3gpuE3ELNS1_3repE0EEENS1_30default_config_static_selectorELNS0_4arch9wavefront6targetE0EEEvT1_.numbered_sgpr, 0
	.set _ZN7rocprim17ROCPRIM_400000_NS6detail17trampoline_kernelINS0_14default_configENS1_27scan_by_key_config_selectorIxxEEZZNS1_16scan_by_key_implILNS1_25lookback_scan_determinismE0ELb0ES3_N6thrust23THRUST_200600_302600_NS6detail15normal_iteratorINS9_10device_ptrIxEEEESE_SE_xNS9_4plusIxEE19head_flag_predicatexEE10hipError_tPvRmT2_T3_T4_T5_mT6_T7_P12ihipStream_tbENKUlT_T0_E_clISt17integral_constantIbLb0EESX_IbLb1EEEEDaST_SU_EUlST_E_NS1_11comp_targetILNS1_3genE9ELNS1_11target_archE1100ELNS1_3gpuE3ELNS1_3repE0EEENS1_30default_config_static_selectorELNS0_4arch9wavefront6targetE0EEEvT1_.num_named_barrier, 0
	.set _ZN7rocprim17ROCPRIM_400000_NS6detail17trampoline_kernelINS0_14default_configENS1_27scan_by_key_config_selectorIxxEEZZNS1_16scan_by_key_implILNS1_25lookback_scan_determinismE0ELb0ES3_N6thrust23THRUST_200600_302600_NS6detail15normal_iteratorINS9_10device_ptrIxEEEESE_SE_xNS9_4plusIxEE19head_flag_predicatexEE10hipError_tPvRmT2_T3_T4_T5_mT6_T7_P12ihipStream_tbENKUlT_T0_E_clISt17integral_constantIbLb0EESX_IbLb1EEEEDaST_SU_EUlST_E_NS1_11comp_targetILNS1_3genE9ELNS1_11target_archE1100ELNS1_3gpuE3ELNS1_3repE0EEENS1_30default_config_static_selectorELNS0_4arch9wavefront6targetE0EEEvT1_.private_seg_size, 0
	.set _ZN7rocprim17ROCPRIM_400000_NS6detail17trampoline_kernelINS0_14default_configENS1_27scan_by_key_config_selectorIxxEEZZNS1_16scan_by_key_implILNS1_25lookback_scan_determinismE0ELb0ES3_N6thrust23THRUST_200600_302600_NS6detail15normal_iteratorINS9_10device_ptrIxEEEESE_SE_xNS9_4plusIxEE19head_flag_predicatexEE10hipError_tPvRmT2_T3_T4_T5_mT6_T7_P12ihipStream_tbENKUlT_T0_E_clISt17integral_constantIbLb0EESX_IbLb1EEEEDaST_SU_EUlST_E_NS1_11comp_targetILNS1_3genE9ELNS1_11target_archE1100ELNS1_3gpuE3ELNS1_3repE0EEENS1_30default_config_static_selectorELNS0_4arch9wavefront6targetE0EEEvT1_.uses_vcc, 0
	.set _ZN7rocprim17ROCPRIM_400000_NS6detail17trampoline_kernelINS0_14default_configENS1_27scan_by_key_config_selectorIxxEEZZNS1_16scan_by_key_implILNS1_25lookback_scan_determinismE0ELb0ES3_N6thrust23THRUST_200600_302600_NS6detail15normal_iteratorINS9_10device_ptrIxEEEESE_SE_xNS9_4plusIxEE19head_flag_predicatexEE10hipError_tPvRmT2_T3_T4_T5_mT6_T7_P12ihipStream_tbENKUlT_T0_E_clISt17integral_constantIbLb0EESX_IbLb1EEEEDaST_SU_EUlST_E_NS1_11comp_targetILNS1_3genE9ELNS1_11target_archE1100ELNS1_3gpuE3ELNS1_3repE0EEENS1_30default_config_static_selectorELNS0_4arch9wavefront6targetE0EEEvT1_.uses_flat_scratch, 0
	.set _ZN7rocprim17ROCPRIM_400000_NS6detail17trampoline_kernelINS0_14default_configENS1_27scan_by_key_config_selectorIxxEEZZNS1_16scan_by_key_implILNS1_25lookback_scan_determinismE0ELb0ES3_N6thrust23THRUST_200600_302600_NS6detail15normal_iteratorINS9_10device_ptrIxEEEESE_SE_xNS9_4plusIxEE19head_flag_predicatexEE10hipError_tPvRmT2_T3_T4_T5_mT6_T7_P12ihipStream_tbENKUlT_T0_E_clISt17integral_constantIbLb0EESX_IbLb1EEEEDaST_SU_EUlST_E_NS1_11comp_targetILNS1_3genE9ELNS1_11target_archE1100ELNS1_3gpuE3ELNS1_3repE0EEENS1_30default_config_static_selectorELNS0_4arch9wavefront6targetE0EEEvT1_.has_dyn_sized_stack, 0
	.set _ZN7rocprim17ROCPRIM_400000_NS6detail17trampoline_kernelINS0_14default_configENS1_27scan_by_key_config_selectorIxxEEZZNS1_16scan_by_key_implILNS1_25lookback_scan_determinismE0ELb0ES3_N6thrust23THRUST_200600_302600_NS6detail15normal_iteratorINS9_10device_ptrIxEEEESE_SE_xNS9_4plusIxEE19head_flag_predicatexEE10hipError_tPvRmT2_T3_T4_T5_mT6_T7_P12ihipStream_tbENKUlT_T0_E_clISt17integral_constantIbLb0EESX_IbLb1EEEEDaST_SU_EUlST_E_NS1_11comp_targetILNS1_3genE9ELNS1_11target_archE1100ELNS1_3gpuE3ELNS1_3repE0EEENS1_30default_config_static_selectorELNS0_4arch9wavefront6targetE0EEEvT1_.has_recursion, 0
	.set _ZN7rocprim17ROCPRIM_400000_NS6detail17trampoline_kernelINS0_14default_configENS1_27scan_by_key_config_selectorIxxEEZZNS1_16scan_by_key_implILNS1_25lookback_scan_determinismE0ELb0ES3_N6thrust23THRUST_200600_302600_NS6detail15normal_iteratorINS9_10device_ptrIxEEEESE_SE_xNS9_4plusIxEE19head_flag_predicatexEE10hipError_tPvRmT2_T3_T4_T5_mT6_T7_P12ihipStream_tbENKUlT_T0_E_clISt17integral_constantIbLb0EESX_IbLb1EEEEDaST_SU_EUlST_E_NS1_11comp_targetILNS1_3genE9ELNS1_11target_archE1100ELNS1_3gpuE3ELNS1_3repE0EEENS1_30default_config_static_selectorELNS0_4arch9wavefront6targetE0EEEvT1_.has_indirect_call, 0
	.section	.AMDGPU.csdata,"",@progbits
; Kernel info:
; codeLenInByte = 0
; TotalNumSgprs: 0
; NumVgprs: 0
; ScratchSize: 0
; MemoryBound: 0
; FloatMode: 240
; IeeeMode: 1
; LDSByteSize: 0 bytes/workgroup (compile time only)
; SGPRBlocks: 0
; VGPRBlocks: 0
; NumSGPRsForWavesPerEU: 1
; NumVGPRsForWavesPerEU: 1
; NamedBarCnt: 0
; Occupancy: 16
; WaveLimiterHint : 0
; COMPUTE_PGM_RSRC2:SCRATCH_EN: 0
; COMPUTE_PGM_RSRC2:USER_SGPR: 2
; COMPUTE_PGM_RSRC2:TRAP_HANDLER: 0
; COMPUTE_PGM_RSRC2:TGID_X_EN: 1
; COMPUTE_PGM_RSRC2:TGID_Y_EN: 0
; COMPUTE_PGM_RSRC2:TGID_Z_EN: 0
; COMPUTE_PGM_RSRC2:TIDIG_COMP_CNT: 0
	.section	.text._ZN7rocprim17ROCPRIM_400000_NS6detail17trampoline_kernelINS0_14default_configENS1_27scan_by_key_config_selectorIxxEEZZNS1_16scan_by_key_implILNS1_25lookback_scan_determinismE0ELb0ES3_N6thrust23THRUST_200600_302600_NS6detail15normal_iteratorINS9_10device_ptrIxEEEESE_SE_xNS9_4plusIxEE19head_flag_predicatexEE10hipError_tPvRmT2_T3_T4_T5_mT6_T7_P12ihipStream_tbENKUlT_T0_E_clISt17integral_constantIbLb0EESX_IbLb1EEEEDaST_SU_EUlST_E_NS1_11comp_targetILNS1_3genE8ELNS1_11target_archE1030ELNS1_3gpuE2ELNS1_3repE0EEENS1_30default_config_static_selectorELNS0_4arch9wavefront6targetE0EEEvT1_,"axG",@progbits,_ZN7rocprim17ROCPRIM_400000_NS6detail17trampoline_kernelINS0_14default_configENS1_27scan_by_key_config_selectorIxxEEZZNS1_16scan_by_key_implILNS1_25lookback_scan_determinismE0ELb0ES3_N6thrust23THRUST_200600_302600_NS6detail15normal_iteratorINS9_10device_ptrIxEEEESE_SE_xNS9_4plusIxEE19head_flag_predicatexEE10hipError_tPvRmT2_T3_T4_T5_mT6_T7_P12ihipStream_tbENKUlT_T0_E_clISt17integral_constantIbLb0EESX_IbLb1EEEEDaST_SU_EUlST_E_NS1_11comp_targetILNS1_3genE8ELNS1_11target_archE1030ELNS1_3gpuE2ELNS1_3repE0EEENS1_30default_config_static_selectorELNS0_4arch9wavefront6targetE0EEEvT1_,comdat
	.protected	_ZN7rocprim17ROCPRIM_400000_NS6detail17trampoline_kernelINS0_14default_configENS1_27scan_by_key_config_selectorIxxEEZZNS1_16scan_by_key_implILNS1_25lookback_scan_determinismE0ELb0ES3_N6thrust23THRUST_200600_302600_NS6detail15normal_iteratorINS9_10device_ptrIxEEEESE_SE_xNS9_4plusIxEE19head_flag_predicatexEE10hipError_tPvRmT2_T3_T4_T5_mT6_T7_P12ihipStream_tbENKUlT_T0_E_clISt17integral_constantIbLb0EESX_IbLb1EEEEDaST_SU_EUlST_E_NS1_11comp_targetILNS1_3genE8ELNS1_11target_archE1030ELNS1_3gpuE2ELNS1_3repE0EEENS1_30default_config_static_selectorELNS0_4arch9wavefront6targetE0EEEvT1_ ; -- Begin function _ZN7rocprim17ROCPRIM_400000_NS6detail17trampoline_kernelINS0_14default_configENS1_27scan_by_key_config_selectorIxxEEZZNS1_16scan_by_key_implILNS1_25lookback_scan_determinismE0ELb0ES3_N6thrust23THRUST_200600_302600_NS6detail15normal_iteratorINS9_10device_ptrIxEEEESE_SE_xNS9_4plusIxEE19head_flag_predicatexEE10hipError_tPvRmT2_T3_T4_T5_mT6_T7_P12ihipStream_tbENKUlT_T0_E_clISt17integral_constantIbLb0EESX_IbLb1EEEEDaST_SU_EUlST_E_NS1_11comp_targetILNS1_3genE8ELNS1_11target_archE1030ELNS1_3gpuE2ELNS1_3repE0EEENS1_30default_config_static_selectorELNS0_4arch9wavefront6targetE0EEEvT1_
	.globl	_ZN7rocprim17ROCPRIM_400000_NS6detail17trampoline_kernelINS0_14default_configENS1_27scan_by_key_config_selectorIxxEEZZNS1_16scan_by_key_implILNS1_25lookback_scan_determinismE0ELb0ES3_N6thrust23THRUST_200600_302600_NS6detail15normal_iteratorINS9_10device_ptrIxEEEESE_SE_xNS9_4plusIxEE19head_flag_predicatexEE10hipError_tPvRmT2_T3_T4_T5_mT6_T7_P12ihipStream_tbENKUlT_T0_E_clISt17integral_constantIbLb0EESX_IbLb1EEEEDaST_SU_EUlST_E_NS1_11comp_targetILNS1_3genE8ELNS1_11target_archE1030ELNS1_3gpuE2ELNS1_3repE0EEENS1_30default_config_static_selectorELNS0_4arch9wavefront6targetE0EEEvT1_
	.p2align	8
	.type	_ZN7rocprim17ROCPRIM_400000_NS6detail17trampoline_kernelINS0_14default_configENS1_27scan_by_key_config_selectorIxxEEZZNS1_16scan_by_key_implILNS1_25lookback_scan_determinismE0ELb0ES3_N6thrust23THRUST_200600_302600_NS6detail15normal_iteratorINS9_10device_ptrIxEEEESE_SE_xNS9_4plusIxEE19head_flag_predicatexEE10hipError_tPvRmT2_T3_T4_T5_mT6_T7_P12ihipStream_tbENKUlT_T0_E_clISt17integral_constantIbLb0EESX_IbLb1EEEEDaST_SU_EUlST_E_NS1_11comp_targetILNS1_3genE8ELNS1_11target_archE1030ELNS1_3gpuE2ELNS1_3repE0EEENS1_30default_config_static_selectorELNS0_4arch9wavefront6targetE0EEEvT1_,@function
_ZN7rocprim17ROCPRIM_400000_NS6detail17trampoline_kernelINS0_14default_configENS1_27scan_by_key_config_selectorIxxEEZZNS1_16scan_by_key_implILNS1_25lookback_scan_determinismE0ELb0ES3_N6thrust23THRUST_200600_302600_NS6detail15normal_iteratorINS9_10device_ptrIxEEEESE_SE_xNS9_4plusIxEE19head_flag_predicatexEE10hipError_tPvRmT2_T3_T4_T5_mT6_T7_P12ihipStream_tbENKUlT_T0_E_clISt17integral_constantIbLb0EESX_IbLb1EEEEDaST_SU_EUlST_E_NS1_11comp_targetILNS1_3genE8ELNS1_11target_archE1030ELNS1_3gpuE2ELNS1_3repE0EEENS1_30default_config_static_selectorELNS0_4arch9wavefront6targetE0EEEvT1_: ; @_ZN7rocprim17ROCPRIM_400000_NS6detail17trampoline_kernelINS0_14default_configENS1_27scan_by_key_config_selectorIxxEEZZNS1_16scan_by_key_implILNS1_25lookback_scan_determinismE0ELb0ES3_N6thrust23THRUST_200600_302600_NS6detail15normal_iteratorINS9_10device_ptrIxEEEESE_SE_xNS9_4plusIxEE19head_flag_predicatexEE10hipError_tPvRmT2_T3_T4_T5_mT6_T7_P12ihipStream_tbENKUlT_T0_E_clISt17integral_constantIbLb0EESX_IbLb1EEEEDaST_SU_EUlST_E_NS1_11comp_targetILNS1_3genE8ELNS1_11target_archE1030ELNS1_3gpuE2ELNS1_3repE0EEENS1_30default_config_static_selectorELNS0_4arch9wavefront6targetE0EEEvT1_
; %bb.0:
	.section	.rodata,"a",@progbits
	.p2align	6, 0x0
	.amdhsa_kernel _ZN7rocprim17ROCPRIM_400000_NS6detail17trampoline_kernelINS0_14default_configENS1_27scan_by_key_config_selectorIxxEEZZNS1_16scan_by_key_implILNS1_25lookback_scan_determinismE0ELb0ES3_N6thrust23THRUST_200600_302600_NS6detail15normal_iteratorINS9_10device_ptrIxEEEESE_SE_xNS9_4plusIxEE19head_flag_predicatexEE10hipError_tPvRmT2_T3_T4_T5_mT6_T7_P12ihipStream_tbENKUlT_T0_E_clISt17integral_constantIbLb0EESX_IbLb1EEEEDaST_SU_EUlST_E_NS1_11comp_targetILNS1_3genE8ELNS1_11target_archE1030ELNS1_3gpuE2ELNS1_3repE0EEENS1_30default_config_static_selectorELNS0_4arch9wavefront6targetE0EEEvT1_
		.amdhsa_group_segment_fixed_size 0
		.amdhsa_private_segment_fixed_size 0
		.amdhsa_kernarg_size 136
		.amdhsa_user_sgpr_count 2
		.amdhsa_user_sgpr_dispatch_ptr 0
		.amdhsa_user_sgpr_queue_ptr 0
		.amdhsa_user_sgpr_kernarg_segment_ptr 1
		.amdhsa_user_sgpr_dispatch_id 0
		.amdhsa_user_sgpr_kernarg_preload_length 0
		.amdhsa_user_sgpr_kernarg_preload_offset 0
		.amdhsa_user_sgpr_private_segment_size 0
		.amdhsa_wavefront_size32 1
		.amdhsa_uses_dynamic_stack 0
		.amdhsa_enable_private_segment 0
		.amdhsa_system_sgpr_workgroup_id_x 1
		.amdhsa_system_sgpr_workgroup_id_y 0
		.amdhsa_system_sgpr_workgroup_id_z 0
		.amdhsa_system_sgpr_workgroup_info 0
		.amdhsa_system_vgpr_workitem_id 0
		.amdhsa_next_free_vgpr 1
		.amdhsa_next_free_sgpr 1
		.amdhsa_named_barrier_count 0
		.amdhsa_reserve_vcc 0
		.amdhsa_float_round_mode_32 0
		.amdhsa_float_round_mode_16_64 0
		.amdhsa_float_denorm_mode_32 3
		.amdhsa_float_denorm_mode_16_64 3
		.amdhsa_fp16_overflow 0
		.amdhsa_memory_ordered 1
		.amdhsa_forward_progress 1
		.amdhsa_inst_pref_size 0
		.amdhsa_round_robin_scheduling 0
		.amdhsa_exception_fp_ieee_invalid_op 0
		.amdhsa_exception_fp_denorm_src 0
		.amdhsa_exception_fp_ieee_div_zero 0
		.amdhsa_exception_fp_ieee_overflow 0
		.amdhsa_exception_fp_ieee_underflow 0
		.amdhsa_exception_fp_ieee_inexact 0
		.amdhsa_exception_int_div_zero 0
	.end_amdhsa_kernel
	.section	.text._ZN7rocprim17ROCPRIM_400000_NS6detail17trampoline_kernelINS0_14default_configENS1_27scan_by_key_config_selectorIxxEEZZNS1_16scan_by_key_implILNS1_25lookback_scan_determinismE0ELb0ES3_N6thrust23THRUST_200600_302600_NS6detail15normal_iteratorINS9_10device_ptrIxEEEESE_SE_xNS9_4plusIxEE19head_flag_predicatexEE10hipError_tPvRmT2_T3_T4_T5_mT6_T7_P12ihipStream_tbENKUlT_T0_E_clISt17integral_constantIbLb0EESX_IbLb1EEEEDaST_SU_EUlST_E_NS1_11comp_targetILNS1_3genE8ELNS1_11target_archE1030ELNS1_3gpuE2ELNS1_3repE0EEENS1_30default_config_static_selectorELNS0_4arch9wavefront6targetE0EEEvT1_,"axG",@progbits,_ZN7rocprim17ROCPRIM_400000_NS6detail17trampoline_kernelINS0_14default_configENS1_27scan_by_key_config_selectorIxxEEZZNS1_16scan_by_key_implILNS1_25lookback_scan_determinismE0ELb0ES3_N6thrust23THRUST_200600_302600_NS6detail15normal_iteratorINS9_10device_ptrIxEEEESE_SE_xNS9_4plusIxEE19head_flag_predicatexEE10hipError_tPvRmT2_T3_T4_T5_mT6_T7_P12ihipStream_tbENKUlT_T0_E_clISt17integral_constantIbLb0EESX_IbLb1EEEEDaST_SU_EUlST_E_NS1_11comp_targetILNS1_3genE8ELNS1_11target_archE1030ELNS1_3gpuE2ELNS1_3repE0EEENS1_30default_config_static_selectorELNS0_4arch9wavefront6targetE0EEEvT1_,comdat
.Lfunc_end712:
	.size	_ZN7rocprim17ROCPRIM_400000_NS6detail17trampoline_kernelINS0_14default_configENS1_27scan_by_key_config_selectorIxxEEZZNS1_16scan_by_key_implILNS1_25lookback_scan_determinismE0ELb0ES3_N6thrust23THRUST_200600_302600_NS6detail15normal_iteratorINS9_10device_ptrIxEEEESE_SE_xNS9_4plusIxEE19head_flag_predicatexEE10hipError_tPvRmT2_T3_T4_T5_mT6_T7_P12ihipStream_tbENKUlT_T0_E_clISt17integral_constantIbLb0EESX_IbLb1EEEEDaST_SU_EUlST_E_NS1_11comp_targetILNS1_3genE8ELNS1_11target_archE1030ELNS1_3gpuE2ELNS1_3repE0EEENS1_30default_config_static_selectorELNS0_4arch9wavefront6targetE0EEEvT1_, .Lfunc_end712-_ZN7rocprim17ROCPRIM_400000_NS6detail17trampoline_kernelINS0_14default_configENS1_27scan_by_key_config_selectorIxxEEZZNS1_16scan_by_key_implILNS1_25lookback_scan_determinismE0ELb0ES3_N6thrust23THRUST_200600_302600_NS6detail15normal_iteratorINS9_10device_ptrIxEEEESE_SE_xNS9_4plusIxEE19head_flag_predicatexEE10hipError_tPvRmT2_T3_T4_T5_mT6_T7_P12ihipStream_tbENKUlT_T0_E_clISt17integral_constantIbLb0EESX_IbLb1EEEEDaST_SU_EUlST_E_NS1_11comp_targetILNS1_3genE8ELNS1_11target_archE1030ELNS1_3gpuE2ELNS1_3repE0EEENS1_30default_config_static_selectorELNS0_4arch9wavefront6targetE0EEEvT1_
                                        ; -- End function
	.set _ZN7rocprim17ROCPRIM_400000_NS6detail17trampoline_kernelINS0_14default_configENS1_27scan_by_key_config_selectorIxxEEZZNS1_16scan_by_key_implILNS1_25lookback_scan_determinismE0ELb0ES3_N6thrust23THRUST_200600_302600_NS6detail15normal_iteratorINS9_10device_ptrIxEEEESE_SE_xNS9_4plusIxEE19head_flag_predicatexEE10hipError_tPvRmT2_T3_T4_T5_mT6_T7_P12ihipStream_tbENKUlT_T0_E_clISt17integral_constantIbLb0EESX_IbLb1EEEEDaST_SU_EUlST_E_NS1_11comp_targetILNS1_3genE8ELNS1_11target_archE1030ELNS1_3gpuE2ELNS1_3repE0EEENS1_30default_config_static_selectorELNS0_4arch9wavefront6targetE0EEEvT1_.num_vgpr, 0
	.set _ZN7rocprim17ROCPRIM_400000_NS6detail17trampoline_kernelINS0_14default_configENS1_27scan_by_key_config_selectorIxxEEZZNS1_16scan_by_key_implILNS1_25lookback_scan_determinismE0ELb0ES3_N6thrust23THRUST_200600_302600_NS6detail15normal_iteratorINS9_10device_ptrIxEEEESE_SE_xNS9_4plusIxEE19head_flag_predicatexEE10hipError_tPvRmT2_T3_T4_T5_mT6_T7_P12ihipStream_tbENKUlT_T0_E_clISt17integral_constantIbLb0EESX_IbLb1EEEEDaST_SU_EUlST_E_NS1_11comp_targetILNS1_3genE8ELNS1_11target_archE1030ELNS1_3gpuE2ELNS1_3repE0EEENS1_30default_config_static_selectorELNS0_4arch9wavefront6targetE0EEEvT1_.num_agpr, 0
	.set _ZN7rocprim17ROCPRIM_400000_NS6detail17trampoline_kernelINS0_14default_configENS1_27scan_by_key_config_selectorIxxEEZZNS1_16scan_by_key_implILNS1_25lookback_scan_determinismE0ELb0ES3_N6thrust23THRUST_200600_302600_NS6detail15normal_iteratorINS9_10device_ptrIxEEEESE_SE_xNS9_4plusIxEE19head_flag_predicatexEE10hipError_tPvRmT2_T3_T4_T5_mT6_T7_P12ihipStream_tbENKUlT_T0_E_clISt17integral_constantIbLb0EESX_IbLb1EEEEDaST_SU_EUlST_E_NS1_11comp_targetILNS1_3genE8ELNS1_11target_archE1030ELNS1_3gpuE2ELNS1_3repE0EEENS1_30default_config_static_selectorELNS0_4arch9wavefront6targetE0EEEvT1_.numbered_sgpr, 0
	.set _ZN7rocprim17ROCPRIM_400000_NS6detail17trampoline_kernelINS0_14default_configENS1_27scan_by_key_config_selectorIxxEEZZNS1_16scan_by_key_implILNS1_25lookback_scan_determinismE0ELb0ES3_N6thrust23THRUST_200600_302600_NS6detail15normal_iteratorINS9_10device_ptrIxEEEESE_SE_xNS9_4plusIxEE19head_flag_predicatexEE10hipError_tPvRmT2_T3_T4_T5_mT6_T7_P12ihipStream_tbENKUlT_T0_E_clISt17integral_constantIbLb0EESX_IbLb1EEEEDaST_SU_EUlST_E_NS1_11comp_targetILNS1_3genE8ELNS1_11target_archE1030ELNS1_3gpuE2ELNS1_3repE0EEENS1_30default_config_static_selectorELNS0_4arch9wavefront6targetE0EEEvT1_.num_named_barrier, 0
	.set _ZN7rocprim17ROCPRIM_400000_NS6detail17trampoline_kernelINS0_14default_configENS1_27scan_by_key_config_selectorIxxEEZZNS1_16scan_by_key_implILNS1_25lookback_scan_determinismE0ELb0ES3_N6thrust23THRUST_200600_302600_NS6detail15normal_iteratorINS9_10device_ptrIxEEEESE_SE_xNS9_4plusIxEE19head_flag_predicatexEE10hipError_tPvRmT2_T3_T4_T5_mT6_T7_P12ihipStream_tbENKUlT_T0_E_clISt17integral_constantIbLb0EESX_IbLb1EEEEDaST_SU_EUlST_E_NS1_11comp_targetILNS1_3genE8ELNS1_11target_archE1030ELNS1_3gpuE2ELNS1_3repE0EEENS1_30default_config_static_selectorELNS0_4arch9wavefront6targetE0EEEvT1_.private_seg_size, 0
	.set _ZN7rocprim17ROCPRIM_400000_NS6detail17trampoline_kernelINS0_14default_configENS1_27scan_by_key_config_selectorIxxEEZZNS1_16scan_by_key_implILNS1_25lookback_scan_determinismE0ELb0ES3_N6thrust23THRUST_200600_302600_NS6detail15normal_iteratorINS9_10device_ptrIxEEEESE_SE_xNS9_4plusIxEE19head_flag_predicatexEE10hipError_tPvRmT2_T3_T4_T5_mT6_T7_P12ihipStream_tbENKUlT_T0_E_clISt17integral_constantIbLb0EESX_IbLb1EEEEDaST_SU_EUlST_E_NS1_11comp_targetILNS1_3genE8ELNS1_11target_archE1030ELNS1_3gpuE2ELNS1_3repE0EEENS1_30default_config_static_selectorELNS0_4arch9wavefront6targetE0EEEvT1_.uses_vcc, 0
	.set _ZN7rocprim17ROCPRIM_400000_NS6detail17trampoline_kernelINS0_14default_configENS1_27scan_by_key_config_selectorIxxEEZZNS1_16scan_by_key_implILNS1_25lookback_scan_determinismE0ELb0ES3_N6thrust23THRUST_200600_302600_NS6detail15normal_iteratorINS9_10device_ptrIxEEEESE_SE_xNS9_4plusIxEE19head_flag_predicatexEE10hipError_tPvRmT2_T3_T4_T5_mT6_T7_P12ihipStream_tbENKUlT_T0_E_clISt17integral_constantIbLb0EESX_IbLb1EEEEDaST_SU_EUlST_E_NS1_11comp_targetILNS1_3genE8ELNS1_11target_archE1030ELNS1_3gpuE2ELNS1_3repE0EEENS1_30default_config_static_selectorELNS0_4arch9wavefront6targetE0EEEvT1_.uses_flat_scratch, 0
	.set _ZN7rocprim17ROCPRIM_400000_NS6detail17trampoline_kernelINS0_14default_configENS1_27scan_by_key_config_selectorIxxEEZZNS1_16scan_by_key_implILNS1_25lookback_scan_determinismE0ELb0ES3_N6thrust23THRUST_200600_302600_NS6detail15normal_iteratorINS9_10device_ptrIxEEEESE_SE_xNS9_4plusIxEE19head_flag_predicatexEE10hipError_tPvRmT2_T3_T4_T5_mT6_T7_P12ihipStream_tbENKUlT_T0_E_clISt17integral_constantIbLb0EESX_IbLb1EEEEDaST_SU_EUlST_E_NS1_11comp_targetILNS1_3genE8ELNS1_11target_archE1030ELNS1_3gpuE2ELNS1_3repE0EEENS1_30default_config_static_selectorELNS0_4arch9wavefront6targetE0EEEvT1_.has_dyn_sized_stack, 0
	.set _ZN7rocprim17ROCPRIM_400000_NS6detail17trampoline_kernelINS0_14default_configENS1_27scan_by_key_config_selectorIxxEEZZNS1_16scan_by_key_implILNS1_25lookback_scan_determinismE0ELb0ES3_N6thrust23THRUST_200600_302600_NS6detail15normal_iteratorINS9_10device_ptrIxEEEESE_SE_xNS9_4plusIxEE19head_flag_predicatexEE10hipError_tPvRmT2_T3_T4_T5_mT6_T7_P12ihipStream_tbENKUlT_T0_E_clISt17integral_constantIbLb0EESX_IbLb1EEEEDaST_SU_EUlST_E_NS1_11comp_targetILNS1_3genE8ELNS1_11target_archE1030ELNS1_3gpuE2ELNS1_3repE0EEENS1_30default_config_static_selectorELNS0_4arch9wavefront6targetE0EEEvT1_.has_recursion, 0
	.set _ZN7rocprim17ROCPRIM_400000_NS6detail17trampoline_kernelINS0_14default_configENS1_27scan_by_key_config_selectorIxxEEZZNS1_16scan_by_key_implILNS1_25lookback_scan_determinismE0ELb0ES3_N6thrust23THRUST_200600_302600_NS6detail15normal_iteratorINS9_10device_ptrIxEEEESE_SE_xNS9_4plusIxEE19head_flag_predicatexEE10hipError_tPvRmT2_T3_T4_T5_mT6_T7_P12ihipStream_tbENKUlT_T0_E_clISt17integral_constantIbLb0EESX_IbLb1EEEEDaST_SU_EUlST_E_NS1_11comp_targetILNS1_3genE8ELNS1_11target_archE1030ELNS1_3gpuE2ELNS1_3repE0EEENS1_30default_config_static_selectorELNS0_4arch9wavefront6targetE0EEEvT1_.has_indirect_call, 0
	.section	.AMDGPU.csdata,"",@progbits
; Kernel info:
; codeLenInByte = 0
; TotalNumSgprs: 0
; NumVgprs: 0
; ScratchSize: 0
; MemoryBound: 0
; FloatMode: 240
; IeeeMode: 1
; LDSByteSize: 0 bytes/workgroup (compile time only)
; SGPRBlocks: 0
; VGPRBlocks: 0
; NumSGPRsForWavesPerEU: 1
; NumVGPRsForWavesPerEU: 1
; NamedBarCnt: 0
; Occupancy: 16
; WaveLimiterHint : 0
; COMPUTE_PGM_RSRC2:SCRATCH_EN: 0
; COMPUTE_PGM_RSRC2:USER_SGPR: 2
; COMPUTE_PGM_RSRC2:TRAP_HANDLER: 0
; COMPUTE_PGM_RSRC2:TGID_X_EN: 1
; COMPUTE_PGM_RSRC2:TGID_Y_EN: 0
; COMPUTE_PGM_RSRC2:TGID_Z_EN: 0
; COMPUTE_PGM_RSRC2:TIDIG_COMP_CNT: 0
	.section	.text._ZN7rocprim17ROCPRIM_400000_NS6detail17trampoline_kernelINS0_14default_configENS1_27scan_by_key_config_selectorIxxEEZZNS1_16scan_by_key_implILNS1_25lookback_scan_determinismE0ELb1ES3_N6thrust23THRUST_200600_302600_NS6detail15normal_iteratorINS9_10device_ptrIxEEEESE_SE_xNS9_4plusIxEE19head_flag_predicatexEE10hipError_tPvRmT2_T3_T4_T5_mT6_T7_P12ihipStream_tbENKUlT_T0_E_clISt17integral_constantIbLb0EESY_EEDaST_SU_EUlST_E_NS1_11comp_targetILNS1_3genE0ELNS1_11target_archE4294967295ELNS1_3gpuE0ELNS1_3repE0EEENS1_30default_config_static_selectorELNS0_4arch9wavefront6targetE0EEEvT1_,"axG",@progbits,_ZN7rocprim17ROCPRIM_400000_NS6detail17trampoline_kernelINS0_14default_configENS1_27scan_by_key_config_selectorIxxEEZZNS1_16scan_by_key_implILNS1_25lookback_scan_determinismE0ELb1ES3_N6thrust23THRUST_200600_302600_NS6detail15normal_iteratorINS9_10device_ptrIxEEEESE_SE_xNS9_4plusIxEE19head_flag_predicatexEE10hipError_tPvRmT2_T3_T4_T5_mT6_T7_P12ihipStream_tbENKUlT_T0_E_clISt17integral_constantIbLb0EESY_EEDaST_SU_EUlST_E_NS1_11comp_targetILNS1_3genE0ELNS1_11target_archE4294967295ELNS1_3gpuE0ELNS1_3repE0EEENS1_30default_config_static_selectorELNS0_4arch9wavefront6targetE0EEEvT1_,comdat
	.protected	_ZN7rocprim17ROCPRIM_400000_NS6detail17trampoline_kernelINS0_14default_configENS1_27scan_by_key_config_selectorIxxEEZZNS1_16scan_by_key_implILNS1_25lookback_scan_determinismE0ELb1ES3_N6thrust23THRUST_200600_302600_NS6detail15normal_iteratorINS9_10device_ptrIxEEEESE_SE_xNS9_4plusIxEE19head_flag_predicatexEE10hipError_tPvRmT2_T3_T4_T5_mT6_T7_P12ihipStream_tbENKUlT_T0_E_clISt17integral_constantIbLb0EESY_EEDaST_SU_EUlST_E_NS1_11comp_targetILNS1_3genE0ELNS1_11target_archE4294967295ELNS1_3gpuE0ELNS1_3repE0EEENS1_30default_config_static_selectorELNS0_4arch9wavefront6targetE0EEEvT1_ ; -- Begin function _ZN7rocprim17ROCPRIM_400000_NS6detail17trampoline_kernelINS0_14default_configENS1_27scan_by_key_config_selectorIxxEEZZNS1_16scan_by_key_implILNS1_25lookback_scan_determinismE0ELb1ES3_N6thrust23THRUST_200600_302600_NS6detail15normal_iteratorINS9_10device_ptrIxEEEESE_SE_xNS9_4plusIxEE19head_flag_predicatexEE10hipError_tPvRmT2_T3_T4_T5_mT6_T7_P12ihipStream_tbENKUlT_T0_E_clISt17integral_constantIbLb0EESY_EEDaST_SU_EUlST_E_NS1_11comp_targetILNS1_3genE0ELNS1_11target_archE4294967295ELNS1_3gpuE0ELNS1_3repE0EEENS1_30default_config_static_selectorELNS0_4arch9wavefront6targetE0EEEvT1_
	.globl	_ZN7rocprim17ROCPRIM_400000_NS6detail17trampoline_kernelINS0_14default_configENS1_27scan_by_key_config_selectorIxxEEZZNS1_16scan_by_key_implILNS1_25lookback_scan_determinismE0ELb1ES3_N6thrust23THRUST_200600_302600_NS6detail15normal_iteratorINS9_10device_ptrIxEEEESE_SE_xNS9_4plusIxEE19head_flag_predicatexEE10hipError_tPvRmT2_T3_T4_T5_mT6_T7_P12ihipStream_tbENKUlT_T0_E_clISt17integral_constantIbLb0EESY_EEDaST_SU_EUlST_E_NS1_11comp_targetILNS1_3genE0ELNS1_11target_archE4294967295ELNS1_3gpuE0ELNS1_3repE0EEENS1_30default_config_static_selectorELNS0_4arch9wavefront6targetE0EEEvT1_
	.p2align	8
	.type	_ZN7rocprim17ROCPRIM_400000_NS6detail17trampoline_kernelINS0_14default_configENS1_27scan_by_key_config_selectorIxxEEZZNS1_16scan_by_key_implILNS1_25lookback_scan_determinismE0ELb1ES3_N6thrust23THRUST_200600_302600_NS6detail15normal_iteratorINS9_10device_ptrIxEEEESE_SE_xNS9_4plusIxEE19head_flag_predicatexEE10hipError_tPvRmT2_T3_T4_T5_mT6_T7_P12ihipStream_tbENKUlT_T0_E_clISt17integral_constantIbLb0EESY_EEDaST_SU_EUlST_E_NS1_11comp_targetILNS1_3genE0ELNS1_11target_archE4294967295ELNS1_3gpuE0ELNS1_3repE0EEENS1_30default_config_static_selectorELNS0_4arch9wavefront6targetE0EEEvT1_,@function
_ZN7rocprim17ROCPRIM_400000_NS6detail17trampoline_kernelINS0_14default_configENS1_27scan_by_key_config_selectorIxxEEZZNS1_16scan_by_key_implILNS1_25lookback_scan_determinismE0ELb1ES3_N6thrust23THRUST_200600_302600_NS6detail15normal_iteratorINS9_10device_ptrIxEEEESE_SE_xNS9_4plusIxEE19head_flag_predicatexEE10hipError_tPvRmT2_T3_T4_T5_mT6_T7_P12ihipStream_tbENKUlT_T0_E_clISt17integral_constantIbLb0EESY_EEDaST_SU_EUlST_E_NS1_11comp_targetILNS1_3genE0ELNS1_11target_archE4294967295ELNS1_3gpuE0ELNS1_3repE0EEENS1_30default_config_static_selectorELNS0_4arch9wavefront6targetE0EEEvT1_: ; @_ZN7rocprim17ROCPRIM_400000_NS6detail17trampoline_kernelINS0_14default_configENS1_27scan_by_key_config_selectorIxxEEZZNS1_16scan_by_key_implILNS1_25lookback_scan_determinismE0ELb1ES3_N6thrust23THRUST_200600_302600_NS6detail15normal_iteratorINS9_10device_ptrIxEEEESE_SE_xNS9_4plusIxEE19head_flag_predicatexEE10hipError_tPvRmT2_T3_T4_T5_mT6_T7_P12ihipStream_tbENKUlT_T0_E_clISt17integral_constantIbLb0EESY_EEDaST_SU_EUlST_E_NS1_11comp_targetILNS1_3genE0ELNS1_11target_archE4294967295ELNS1_3gpuE0ELNS1_3repE0EEENS1_30default_config_static_selectorELNS0_4arch9wavefront6targetE0EEEvT1_
; %bb.0:
	s_clause 0x2
	s_load_b96 s[44:46], s[0:1], 0x50
	s_load_b256 s[20:27], s[0:1], 0x0
	s_load_b128 s[28:31], s[0:1], 0x60
	s_bfe_u32 s4, ttmp6, 0x4000c
	s_load_b64 s[48:49], s[0:1], 0x20
	s_add_co_i32 s4, s4, 1
	s_load_b256 s[36:43], s[0:1], 0x30
	s_and_b32 s2, ttmp6, 15
	s_wait_xcnt 0x0
	s_mul_i32 s0, ttmp9, s4
	s_getreg_b32 s5, hwreg(HW_REG_IB_STS2, 6, 4)
	s_add_co_i32 s6, s2, s0
	s_mov_b32 s3, 0
	s_delay_alu instid0(SALU_CYCLE_1)
	s_mov_b32 s47, s3
	s_barrier_signal -1
	s_barrier_wait -1
	s_wait_kmcnt 0x0
	s_mov_b32 s2, s46
	s_lshl_b64 s[34:35], s[22:23], 3
	s_cmp_eq_u32 s5, 0
	s_mul_u64 s[4:5], s[44:45], s[2:3]
	s_cselect_b32 s46, ttmp9, s6
	s_add_nc_u64 s[8:9], s[28:29], -1
	s_add_nc_u64 s[4:5], s[4:5], s[46:47]
	s_mul_i32 s2, s46, 0xe00
	v_cmp_ge_u64_e64 s23, s[4:5], s[8:9]
	s_add_nc_u64 s[0:1], s[20:21], s[34:35]
	s_add_nc_u64 s[6:7], s[24:25], s[34:35]
	s_lshl_b64 s[24:25], s[2:3], 3
	s_mul_i32 s28, s8, 0xfffff200
	s_add_nc_u64 s[16:17], s[0:1], s[24:25]
	s_add_nc_u64 s[14:15], s[6:7], s[24:25]
	s_and_b32 vcc_lo, exec_lo, s23
	s_cbranch_vccz .LBB713_76
; %bb.1:
	v_mov_b32_e32 v1, 0
	s_add_co_i32 s21, s28, s42
	s_delay_alu instid0(SALU_CYCLE_1)
	v_cmp_gt_u32_e32 vcc_lo, s21, v0
	flat_load_b64 v[2:3], v1, s[16:17]
	s_wait_loadcnt_dscnt 0x0
	v_mov_b64_e32 v[4:5], v[2:3]
	s_and_saveexec_b32 s0, vcc_lo
	s_cbranch_execz .LBB713_3
; %bb.2:
	flat_load_b64 v[4:5], v0, s[16:17] scale_offset
.LBB713_3:
	s_wait_xcnt 0x0
	s_or_b32 exec_lo, exec_lo, s0
	v_or_b32_e32 v1, 0x100, v0
	v_mov_b64_e32 v[6:7], v[2:3]
	s_delay_alu instid0(VALU_DEP_2)
	v_cmp_gt_u32_e64 s0, s21, v1
	s_and_saveexec_b32 s1, s0
	s_cbranch_execz .LBB713_5
; %bb.4:
	flat_load_b64 v[6:7], v0, s[16:17] offset:2048 scale_offset
.LBB713_5:
	s_wait_xcnt 0x0
	s_or_b32 exec_lo, exec_lo, s1
	v_or_b32_e32 v1, 0x200, v0
	v_mov_b64_e32 v[8:9], v[2:3]
	s_delay_alu instid0(VALU_DEP_2)
	v_cmp_gt_u32_e64 s1, s21, v1
	s_and_saveexec_b32 s2, s1
	s_cbranch_execz .LBB713_7
; %bb.6:
	flat_load_b64 v[8:9], v0, s[16:17] offset:4096 scale_offset
.LBB713_7:
	;; [unrolled: 11-line block ×12, first 2 shown]
	s_wait_xcnt 0x0
	s_or_b32 exec_lo, exec_lo, s12
	v_or_b32_e32 v1, 0xd00, v0
	s_delay_alu instid0(VALU_DEP_1) | instskip(SKIP_2) | instid1(SALU_CYCLE_1)
	v_cmp_gt_u32_e64 s12, s21, v1
	v_cmp_le_u32_e64 s13, s21, v1
	s_and_saveexec_b32 s18, s13
	s_xor_b32 s13, exec_lo, s18
	s_delay_alu instid0(SALU_CYCLE_1)
	s_and_not1_saveexec_b32 s13, s13
	s_cbranch_execz .LBB713_29
; %bb.28:
	flat_load_b64 v[2:3], v0, s[16:17] offset:26624 scale_offset
.LBB713_29:
	s_wait_xcnt 0x0
	s_or_b32 exec_lo, exec_lo, s13
	v_lshlrev_b32_e32 v1, 3, v0
	s_mov_b32 s18, exec_lo
	s_wait_loadcnt_dscnt 0x0
	ds_store_2addr_stride64_b64 v1, v[4:5], v[6:7] offset1:4
	ds_store_2addr_stride64_b64 v1, v[8:9], v[10:11] offset0:8 offset1:12
	ds_store_2addr_stride64_b64 v1, v[12:13], v[14:15] offset0:16 offset1:20
	;; [unrolled: 1-line block ×6, first 2 shown]
	v_mov_b32_e32 v2, 0
	s_wait_dscnt 0x0
	s_barrier_signal -1
	s_barrier_wait -1
	flat_load_b64 v[56:57], v2, s[16:17]
	v_mad_u32_u24 v102, 0x68, v0, v1
	ds_load_b128 v[26:29], v102
	ds_load_b128 v[22:25], v102 offset:16
	ds_load_b128 v[18:21], v102 offset:32
	;; [unrolled: 1-line block ×5, first 2 shown]
	s_wait_xcnt 0x0
	ds_load_b128 v[2:5], v102 offset:96
	v_mad_i32_i24 v30, 0xffffff98, v0, v102
	s_wait_dscnt 0x6
	ds_store_b64 v30, v[26:27] offset:30720
	s_wait_loadcnt_dscnt 0x0
	s_barrier_signal -1
	s_barrier_wait -1
	v_cmpx_ne_u32_e32 0xff, v0
; %bb.30:
	v_mul_i32_i24_e32 v26, 0xffffff98, v0
	s_delay_alu instid0(VALU_DEP_1)
	v_add_nc_u32_e32 v26, v102, v26
	ds_load_b64 v[56:57], v26 offset:30728
; %bb.31:
	s_or_b32 exec_lo, exec_lo, s18
	s_wait_dscnt 0x0
	s_barrier_signal -1
	s_barrier_wait -1
                                        ; implicit-def: $vgpr26_vgpr27
	s_and_saveexec_b32 s13, vcc_lo
	s_cbranch_execz .LBB713_134
; %bb.32:
	flat_load_b64 v[26:27], v0, s[14:15] scale_offset
	s_wait_xcnt 0x0
	s_or_b32 exec_lo, exec_lo, s13
                                        ; implicit-def: $vgpr30_vgpr31
	s_and_saveexec_b32 s13, s0
	s_cbranch_execnz .LBB713_135
.LBB713_33:
	s_or_b32 exec_lo, exec_lo, s13
                                        ; implicit-def: $vgpr32_vgpr33
	s_and_saveexec_b32 s0, s1
	s_cbranch_execz .LBB713_136
.LBB713_34:
	flat_load_b64 v[32:33], v0, s[14:15] offset:4096 scale_offset
	s_wait_xcnt 0x0
	s_or_b32 exec_lo, exec_lo, s0
                                        ; implicit-def: $vgpr34_vgpr35
	s_and_saveexec_b32 s0, s2
	s_cbranch_execnz .LBB713_137
.LBB713_35:
	s_or_b32 exec_lo, exec_lo, s0
                                        ; implicit-def: $vgpr36_vgpr37
	s_and_saveexec_b32 s0, s3
	s_cbranch_execz .LBB713_138
.LBB713_36:
	flat_load_b64 v[36:37], v0, s[14:15] offset:8192 scale_offset
	s_wait_xcnt 0x0
	s_or_b32 exec_lo, exec_lo, s0
                                        ; implicit-def: $vgpr38_vgpr39
	s_and_saveexec_b32 s0, s4
	s_cbranch_execnz .LBB713_139
.LBB713_37:
	s_or_b32 exec_lo, exec_lo, s0
                                        ; implicit-def: $vgpr40_vgpr41
	s_and_saveexec_b32 s0, s5
	s_cbranch_execz .LBB713_140
.LBB713_38:
	flat_load_b64 v[40:41], v0, s[14:15] offset:12288 scale_offset
	s_wait_xcnt 0x0
	s_or_b32 exec_lo, exec_lo, s0
                                        ; implicit-def: $vgpr42_vgpr43
	s_and_saveexec_b32 s0, s6
	s_cbranch_execnz .LBB713_141
.LBB713_39:
	s_or_b32 exec_lo, exec_lo, s0
                                        ; implicit-def: $vgpr44_vgpr45
	s_and_saveexec_b32 s0, s7
	s_cbranch_execz .LBB713_142
.LBB713_40:
	flat_load_b64 v[44:45], v0, s[14:15] offset:16384 scale_offset
	s_wait_xcnt 0x0
	s_or_b32 exec_lo, exec_lo, s0
                                        ; implicit-def: $vgpr46_vgpr47
	s_and_saveexec_b32 s0, s8
	s_cbranch_execnz .LBB713_143
.LBB713_41:
	s_or_b32 exec_lo, exec_lo, s0
                                        ; implicit-def: $vgpr48_vgpr49
	s_and_saveexec_b32 s0, s9
	s_cbranch_execz .LBB713_144
.LBB713_42:
	flat_load_b64 v[48:49], v0, s[14:15] offset:20480 scale_offset
	s_wait_xcnt 0x0
	s_or_b32 exec_lo, exec_lo, s0
                                        ; implicit-def: $vgpr50_vgpr51
	s_and_saveexec_b32 s0, s10
	s_cbranch_execnz .LBB713_145
.LBB713_43:
	s_or_b32 exec_lo, exec_lo, s0
                                        ; implicit-def: $vgpr52_vgpr53
	s_and_saveexec_b32 s0, s11
	s_cbranch_execz .LBB713_45
.LBB713_44:
	flat_load_b64 v[52:53], v0, s[14:15] offset:24576 scale_offset
.LBB713_45:
	s_wait_xcnt 0x0
	s_or_b32 exec_lo, exec_lo, s0
	v_mul_u32_u24_e32 v107, 14, v0
                                        ; implicit-def: $vgpr54_vgpr55
	s_and_saveexec_b32 s0, s12
	s_cbranch_execz .LBB713_47
; %bb.46:
	flat_load_b64 v[54:55], v0, s[14:15] offset:26624 scale_offset
.LBB713_47:
	s_wait_xcnt 0x0
	s_or_b32 exec_lo, exec_lo, s0
	s_wait_loadcnt_dscnt 0x0
	ds_store_2addr_stride64_b64 v1, v[26:27], v[30:31] offset1:4
	ds_store_2addr_stride64_b64 v1, v[32:33], v[34:35] offset0:8 offset1:12
	ds_store_2addr_stride64_b64 v1, v[36:37], v[38:39] offset0:16 offset1:20
	;; [unrolled: 1-line block ×6, first 2 shown]
	v_mov_b64_e32 v[62:63], 0
	v_mov_b64_e32 v[80:81], 0
	;; [unrolled: 1-line block ×27, first 2 shown]
	v_cmp_gt_u32_e32 vcc_lo, s21, v107
	v_dual_mov_b32 v84, 0 :: v_dual_mov_b32 v85, 0
	v_dual_mov_b32 v86, 0 :: v_dual_mov_b32 v87, 0
	;; [unrolled: 1-line block ×13, first 2 shown]
	s_mov_b32 s13, 0
	s_mov_b32 s3, 0
	s_wait_dscnt 0x0
	s_barrier_signal -1
	s_barrier_wait -1
                                        ; implicit-def: $sgpr19
	s_and_saveexec_b32 s18, vcc_lo
	s_cbranch_execz .LBB713_75
; %bb.48:
	ds_load_b64 v[26:27], v102
	v_cmp_ne_u64_e32 vcc_lo, 0, v[28:29]
	v_dual_mov_b32 v84, 0 :: v_dual_bitop2_b32 v1, 1, v107 bitop3:0x54
	v_mov_b64_e32 v[62:63], 0
	v_mov_b64_e32 v[80:81], 0
	;; [unrolled: 1-line block ×16, first 2 shown]
	s_wait_dscnt 0x0
	v_cndmask_b32_e64 v61, v27, s49, vcc_lo
	v_cndmask_b32_e64 v60, v26, s48, vcc_lo
	v_mov_b64_e32 v[26:27], 0
	v_mov_b64_e32 v[38:39], 0
	;; [unrolled: 1-line block ×9, first 2 shown]
	v_dual_mov_b32 v85, 0 :: v_dual_mov_b32 v86, 0
	v_dual_mov_b32 v87, 0 :: v_dual_mov_b32 v88, 0
	;; [unrolled: 1-line block ×4, first 2 shown]
	v_cmp_gt_u32_e64 s0, s21, v1
	v_dual_mov_b32 v100, 0 :: v_dual_mov_b32 v103, 0
	v_dual_mov_b32 v106, 0 :: v_dual_mov_b32 v90, 0
	;; [unrolled: 1-line block ×7, first 2 shown]
	v_mov_b32_e32 v110, 0
	s_mov_b32 s1, 0
                                        ; implicit-def: $sgpr19
	s_and_saveexec_b32 s20, s0
	s_cbranch_execz .LBB713_74
; %bb.49:
	ds_load_2addr_b64 v[26:29], v102 offset0:1 offset1:2
	v_cmp_ne_u64_e64 s0, 0, v[22:23]
	v_dual_mov_b32 v84, 0 :: v_dual_add_nc_u32 v1, 2, v107
	v_mov_b64_e32 v[62:63], 0
	v_mov_b64_e32 v[80:81], 0
	;; [unrolled: 1-line block ×23, first 2 shown]
	v_dual_mov_b32 v85, 0 :: v_dual_mov_b32 v86, 0
	v_dual_mov_b32 v87, 0 :: v_dual_mov_b32 v88, 0
	;; [unrolled: 1-line block ×4, first 2 shown]
	v_cmp_gt_u32_e64 s1, s21, v1
	s_wait_dscnt 0x0
	v_cndmask_b32_e64 v27, v27, s49, s0
	v_cndmask_b32_e64 v26, v26, s48, s0
	v_dual_mov_b32 v100, 0 :: v_dual_mov_b32 v103, 0
	v_dual_mov_b32 v90, 0 :: v_dual_mov_b32 v89, 0
	;; [unrolled: 1-line block ×6, first 2 shown]
	v_mov_b32_e32 v108, 0
	s_mov_b32 s2, 0
                                        ; implicit-def: $sgpr19
	s_and_saveexec_b32 s22, s1
	s_cbranch_execz .LBB713_73
; %bb.50:
	v_cmp_ne_u64_e64 s1, 0, v[24:25]
	v_dual_mov_b32 v84, 0 :: v_dual_add_nc_u32 v1, 3, v107
	v_mov_b64_e32 v[62:63], 0
	v_mov_b64_e32 v[80:81], 0
	;; [unrolled: 1-line block ×21, first 2 shown]
	v_cndmask_b32_e64 v65, v29, s49, s1
	v_dual_mov_b32 v85, 0 :: v_dual_mov_b32 v86, 0
	v_cmp_gt_u32_e64 s2, s21, v1
	v_cndmask_b32_e64 v64, v28, s48, s1
	v_dual_mov_b32 v87, 0 :: v_dual_mov_b32 v88, 0
	v_dual_mov_b32 v91, 0 :: v_dual_mov_b32 v93, 0
	v_dual_mov_b32 v96, 0 :: v_dual_mov_b32 v98, 0
	v_dual_mov_b32 v100, 0 :: v_dual_mov_b32 v90, 0
	v_dual_mov_b32 v89, 0 :: v_dual_mov_b32 v92, 0
	v_dual_mov_b32 v94, 0 :: v_dual_mov_b32 v95, 0
	v_dual_mov_b32 v97, 0 :: v_dual_mov_b32 v99, 0
	v_dual_mov_b32 v101, 0 :: v_dual_mov_b32 v104, 0
	v_mov_b32_e32 v105, 0
                                        ; implicit-def: $sgpr19
	s_and_saveexec_b32 s29, s2
	s_cbranch_execz .LBB713_72
; %bb.51:
	ds_load_2addr_b64 v[22:25], v102 offset0:3 offset1:4
	v_cmp_ne_u64_e64 s2, 0, v[18:19]
	v_dual_mov_b32 v84, 0 :: v_dual_add_nc_u32 v1, 4, v107
	v_mov_b64_e32 v[62:63], 0
	v_mov_b64_e32 v[80:81], 0
	;; [unrolled: 1-line block ×19, first 2 shown]
	v_dual_mov_b32 v85, 0 :: v_dual_mov_b32 v86, 0
	v_dual_mov_b32 v87, 0 :: v_dual_mov_b32 v88, 0
	;; [unrolled: 1-line block ×4, first 2 shown]
	v_cmp_gt_u32_e64 s3, s21, v1
	s_wait_dscnt 0x0
	v_cndmask_b32_e64 v67, v23, s49, s2
	v_cndmask_b32_e64 v66, v22, s48, s2
	v_dual_mov_b32 v90, 0 :: v_dual_mov_b32 v89, 0
	v_dual_mov_b32 v92, 0 :: v_dual_mov_b32 v94, 0
	;; [unrolled: 1-line block ×4, first 2 shown]
	v_mov_b32_e32 v104, 0
	s_mov_b32 s4, 0
                                        ; implicit-def: $sgpr19
	s_and_saveexec_b32 s33, s3
	s_cbranch_execz .LBB713_71
; %bb.52:
	v_cmp_ne_u64_e64 s3, 0, v[20:21]
	v_dual_mov_b32 v84, 0 :: v_dual_add_nc_u32 v1, 5, v107
	v_mov_b64_e32 v[62:63], 0
	v_mov_b64_e32 v[80:81], 0
	;; [unrolled: 1-line block ×17, first 2 shown]
	v_cndmask_b32_e64 v69, v25, s49, s3
	v_dual_mov_b32 v85, 0 :: v_dual_mov_b32 v86, 0
	v_cmp_gt_u32_e64 s4, s21, v1
	v_cndmask_b32_e64 v68, v24, s48, s3
	v_dual_mov_b32 v87, 0 :: v_dual_mov_b32 v88, 0
	v_dual_mov_b32 v91, 0 :: v_dual_mov_b32 v93, 0
	;; [unrolled: 1-line block ×6, first 2 shown]
	v_mov_b32_e32 v101, 0
	s_mov_b32 s5, 0
                                        ; implicit-def: $sgpr19
	s_and_saveexec_b32 s43, s4
	s_cbranch_execz .LBB713_70
; %bb.53:
	ds_load_2addr_b64 v[18:21], v102 offset0:5 offset1:6
	v_cmp_ne_u64_e64 s4, 0, v[14:15]
	v_mov_b64_e32 v[62:63], 0
	v_mov_b64_e32 v[80:81], 0
	;; [unrolled: 1-line block ×15, first 2 shown]
	v_dual_mov_b32 v84, 0 :: v_dual_add_nc_u32 v1, 6, v107
	v_dual_mov_b32 v85, 0 :: v_dual_mov_b32 v86, 0
	v_dual_mov_b32 v87, 0 :: v_dual_mov_b32 v88, 0
	;; [unrolled: 1-line block ×3, first 2 shown]
	s_wait_dscnt 0x0
	v_cndmask_b32_e64 v73, v19, s49, s4
	v_cndmask_b32_e64 v72, v18, s48, s4
	v_dual_mov_b32 v90, 0 :: v_dual_mov_b32 v89, 0
	v_dual_mov_b32 v92, 0 :: v_dual_mov_b32 v94, 0
	;; [unrolled: 1-line block ×3, first 2 shown]
	v_mov_b32_e32 v99, 0
	s_mov_b32 s6, 0
	s_mov_b32 s47, exec_lo
                                        ; implicit-def: $sgpr19
	v_cmpx_gt_u32_e64 s21, v1
	s_cbranch_execz .LBB713_69
; %bb.54:
	v_cmp_ne_u64_e64 s5, 0, v[16:17]
	v_dual_mov_b32 v84, 0 :: v_dual_add_nc_u32 v1, 7, v107
	v_mov_b64_e32 v[62:63], 0
	v_mov_b64_e32 v[80:81], 0
	;; [unrolled: 1-line block ×13, first 2 shown]
	v_cndmask_b32_e64 v71, v21, s49, s5
	v_dual_mov_b32 v85, 0 :: v_dual_mov_b32 v86, 0
	v_cmp_gt_u32_e64 s6, s21, v1
	v_cndmask_b32_e64 v70, v20, s48, s5
	v_dual_mov_b32 v87, 0 :: v_dual_mov_b32 v88, 0
	v_dual_mov_b32 v91, 0 :: v_dual_mov_b32 v90, 0
	;; [unrolled: 1-line block ×4, first 2 shown]
	v_mov_b32_e32 v97, 0
	s_mov_b32 s7, 0
                                        ; implicit-def: $sgpr19
	s_and_saveexec_b32 s50, s6
	s_cbranch_execz .LBB713_68
; %bb.55:
	ds_load_2addr_b64 v[14:17], v102 offset0:7 offset1:8
	v_cmp_ne_u64_e64 s6, 0, v[10:11]
	v_mov_b64_e32 v[62:63], 0
	v_mov_b64_e32 v[80:81], 0
	;; [unrolled: 1-line block ×11, first 2 shown]
	v_dual_mov_b32 v84, 0 :: v_dual_add_nc_u32 v1, 8, v107
	v_dual_mov_b32 v85, 0 :: v_dual_mov_b32 v86, 0
	v_dual_mov_b32 v87, 0 :: v_dual_mov_b32 v88, 0
	;; [unrolled: 1-line block ×3, first 2 shown]
	s_wait_dscnt 0x0
	v_cndmask_b32_e64 v79, v15, s49, s6
	v_cndmask_b32_e64 v78, v14, s48, s6
	v_dual_mov_b32 v92, 0 :: v_dual_mov_b32 v94, 0
	v_mov_b32_e32 v95, 0
	s_mov_b32 s8, 0
	s_mov_b32 s51, exec_lo
                                        ; implicit-def: $sgpr19
	v_cmpx_gt_u32_e64 s21, v1
	s_cbranch_execz .LBB713_67
; %bb.56:
	v_cmp_ne_u64_e64 s7, 0, v[12:13]
	v_mov_b64_e32 v[62:63], 0
	v_mov_b64_e32 v[80:81], 0
	v_mov_b64_e32 v[76:77], 0
	v_mov_b64_e32 v[82:83], 0
	v_mov_b64_e32 v[42:43], 0
	v_mov_b64_e32 v[30:31], 0
	v_mov_b64_e32 v[32:33], 0
	v_mov_b64_e32 v[34:35], 0
	v_mov_b64_e32 v[36:37], 0
	v_dual_mov_b32 v84, 0 :: v_dual_add_nc_u32 v1, 9, v107
	v_cndmask_b32_e64 v75, v17, s49, s7
	v_dual_mov_b32 v85, 0 :: v_dual_mov_b32 v86, 0
	v_cndmask_b32_e64 v74, v16, s48, s7
	v_dual_mov_b32 v87, 0 :: v_dual_mov_b32 v90, 0
	v_dual_mov_b32 v89, 0 :: v_dual_mov_b32 v92, 0
	v_mov_b32_e32 v94, 0
	s_mov_b32 s9, 0
	s_mov_b32 s52, exec_lo
                                        ; implicit-def: $sgpr19
	v_cmpx_gt_u32_e64 s21, v1
	s_cbranch_execz .LBB713_66
; %bb.57:
	ds_load_2addr_b64 v[10:13], v102 offset0:9 offset1:10
	v_cmp_ne_u64_e64 s8, 0, v[6:7]
	v_mov_b64_e32 v[62:63], 0
	v_mov_b64_e32 v[80:81], 0
	;; [unrolled: 1-line block ×7, first 2 shown]
	v_dual_mov_b32 v84, 0 :: v_dual_add_nc_u32 v1, 10, v107
	v_dual_mov_b32 v85, 0 :: v_dual_mov_b32 v86, 0
	v_dual_mov_b32 v90, 0 :: v_dual_mov_b32 v89, 0
	v_mov_b32_e32 v92, 0
	s_mov_b32 s10, 0
	s_mov_b32 s53, exec_lo
                                        ; implicit-def: $sgpr19
	s_wait_dscnt 0x0
	v_cndmask_b32_e64 v83, v11, s49, s8
	v_cndmask_b32_e64 v82, v10, s48, s8
	v_cmpx_gt_u32_e64 s21, v1
	s_cbranch_execz .LBB713_65
; %bb.58:
	v_cmp_ne_u64_e64 s9, 0, v[8:9]
	v_mov_b64_e32 v[62:63], 0
	v_mov_b64_e32 v[80:81], 0
	;; [unrolled: 1-line block ×4, first 2 shown]
	v_dual_mov_b32 v84, 0 :: v_dual_add_nc_u32 v1, 11, v107
	v_cndmask_b32_e64 v77, v13, s49, s9
	v_cndmask_b32_e64 v76, v12, s48, s9
	v_dual_mov_b32 v85, 0 :: v_dual_mov_b32 v89, 0
	s_mov_b32 s11, 0
	s_mov_b32 s54, exec_lo
                                        ; implicit-def: $sgpr19
	v_cmpx_gt_u32_e64 s21, v1
	s_cbranch_execz .LBB713_64
; %bb.59:
	ds_load_2addr_b64 v[6:9], v102 offset0:11 offset1:12
	v_cmp_ne_u64_e64 s10, 0, v[2:3]
	v_mov_b64_e32 v[62:63], 0
	v_mov_b64_e32 v[42:43], 0
	v_dual_mov_b32 v84, 0 :: v_dual_add_nc_u32 v1, 12, v107
	s_mov_b32 s12, 0
	s_mov_b32 s55, exec_lo
                                        ; implicit-def: $sgpr19
	s_wait_dscnt 0x0
	v_cndmask_b32_e64 v81, v7, s49, s10
	v_cndmask_b32_e64 v80, v6, s48, s10
	v_cmpx_gt_u32_e64 s21, v1
	s_cbranch_execz .LBB713_63
; %bb.60:
	v_cmp_ne_u64_e64 s11, 0, v[4:5]
	v_add_nc_u32_e32 v1, 13, v107
	v_mov_b64_e32 v[42:43], 0
                                        ; implicit-def: $sgpr19
	s_delay_alu instid0(VALU_DEP_2) | instskip(NEXT) | instid1(VALU_DEP_4)
	v_cmp_gt_u32_e64 s12, s21, v1
	v_cndmask_b32_e64 v63, v9, s49, s11
	v_cndmask_b32_e64 v62, v8, s48, s11
	s_mov_b32 s21, 0
	s_and_saveexec_b32 s56, s12
	s_delay_alu instid0(SALU_CYCLE_1)
	s_xor_b32 s12, exec_lo, s56
	s_cbranch_execz .LBB713_62
; %bb.61:
	ds_load_b64 v[2:3], v102 offset:104
	v_cmp_ne_u64_e64 s19, 0, v[56:57]
	s_mov_b32 s21, exec_lo
	s_wait_dscnt 0x0
	v_cndmask_b32_e64 v43, v3, s49, s19
	v_cndmask_b32_e64 v42, v2, s48, s19
.LBB713_62:
	s_or_b32 exec_lo, exec_lo, s12
	v_cndmask_b32_e64 v84, 0, 1, s11
	s_and_b32 s12, s21, exec_lo
.LBB713_63:
	s_or_b32 exec_lo, exec_lo, s55
	v_cndmask_b32_e64 v85, 0, 1, s10
	v_mov_b64_e32 v[32:33], v[80:81]
	s_and_b32 s11, s12, exec_lo
	s_delay_alu instid0(VALU_DEP_2)
	v_mov_b32_e32 v89, v85
.LBB713_64:
	s_or_b32 exec_lo, exec_lo, s54
	v_cndmask_b32_e64 v86, 0, 1, s9
	v_mov_b64_e32 v[30:31], v[62:63]
	v_mov_b64_e32 v[34:35], v[76:77]
	v_mov_b32_e32 v90, v84
	s_and_b32 s10, s11, exec_lo
	v_mov_b32_e32 v92, v86
.LBB713_65:
	s_or_b32 exec_lo, exec_lo, s53
	v_cndmask_b32_e64 v87, 0, 1, s8
	v_mov_b64_e32 v[36:37], v[82:83]
	s_and_b32 s9, s10, exec_lo
	s_delay_alu instid0(VALU_DEP_2)
	v_mov_b32_e32 v94, v87
.LBB713_66:
	s_or_b32 exec_lo, exec_lo, s52
	v_cndmask_b32_e64 v88, 0, 1, s7
	v_mov_b64_e32 v[38:39], v[74:75]
	s_and_b32 s8, s9, exec_lo
	s_delay_alu instid0(VALU_DEP_2)
	v_mov_b32_e32 v95, v88
.LBB713_67:
	s_or_b32 exec_lo, exec_lo, s51
	v_cndmask_b32_e64 v91, 0, 1, s6
	v_mov_b64_e32 v[40:41], v[78:79]
	s_and_b32 s7, s8, exec_lo
	s_delay_alu instid0(VALU_DEP_2)
	v_mov_b32_e32 v97, v91
.LBB713_68:
	s_or_b32 exec_lo, exec_lo, s50
	v_cndmask_b32_e64 v93, 0, 1, s5
	v_mov_b64_e32 v[44:45], v[70:71]
	s_and_b32 s6, s7, exec_lo
	s_delay_alu instid0(VALU_DEP_2)
	v_mov_b32_e32 v99, v93
.LBB713_69:
	s_or_b32 exec_lo, exec_lo, s47
	v_cndmask_b32_e64 v96, 0, 1, s4
	v_mov_b64_e32 v[46:47], v[72:73]
	s_and_b32 s5, s6, exec_lo
	s_delay_alu instid0(VALU_DEP_2)
	v_mov_b32_e32 v101, v96
.LBB713_70:
	s_or_b32 exec_lo, exec_lo, s43
	v_cndmask_b32_e64 v98, 0, 1, s3
	v_mov_b64_e32 v[48:49], v[68:69]
	s_and_b32 s4, s5, exec_lo
	s_delay_alu instid0(VALU_DEP_2)
	v_mov_b32_e32 v104, v98
.LBB713_71:
	s_or_b32 exec_lo, exec_lo, s33
	v_cndmask_b32_e64 v100, 0, 1, s2
	v_mov_b64_e32 v[50:51], v[66:67]
	s_and_b32 s3, s4, exec_lo
	s_delay_alu instid0(VALU_DEP_2)
	v_mov_b32_e32 v105, v100
.LBB713_72:
	s_or_b32 exec_lo, exec_lo, s29
	v_cndmask_b32_e64 v103, 0, 1, s1
	v_mov_b64_e32 v[52:53], v[64:65]
	s_and_b32 s2, s3, exec_lo
	s_delay_alu instid0(VALU_DEP_2)
	v_mov_b32_e32 v108, v103
.LBB713_73:
	s_or_b32 exec_lo, exec_lo, s22
	v_cndmask_b32_e64 v106, 0, 1, s0
	v_mov_b64_e32 v[54:55], v[26:27]
	s_and_b32 s1, s2, exec_lo
	s_delay_alu instid0(VALU_DEP_2)
	v_mov_b32_e32 v110, v106
.LBB713_74:
	s_or_b32 exec_lo, exec_lo, s20
	v_cndmask_b32_e64 v109, 0, 1, vcc_lo
	v_mov_b64_e32 v[58:59], v[60:61]
	s_and_b32 s3, s1, exec_lo
	s_delay_alu instid0(VALU_DEP_2)
	v_mov_b32_e32 v1, v109
.LBB713_75:
	s_or_b32 exec_lo, exec_lo, s18
	v_lshlrev_b32_e32 v56, 3, v0
	s_and_b32 vcc_lo, exec_lo, s13
	s_cbranch_vccnz .LBB713_77
	s_branch .LBB713_82
.LBB713_76:
                                        ; implicit-def: $sgpr19
                                        ; implicit-def: $vgpr84
                                        ; implicit-def: $vgpr62_vgpr63
                                        ; implicit-def: $vgpr85
                                        ; implicit-def: $vgpr80_vgpr81
                                        ; implicit-def: $vgpr86
                                        ; implicit-def: $vgpr76_vgpr77
                                        ; implicit-def: $vgpr87
                                        ; implicit-def: $vgpr82_vgpr83
                                        ; implicit-def: $vgpr88
                                        ; implicit-def: $vgpr74_vgpr75
                                        ; implicit-def: $vgpr91
                                        ; implicit-def: $vgpr78_vgpr79
                                        ; implicit-def: $vgpr93
                                        ; implicit-def: $vgpr70_vgpr71
                                        ; implicit-def: $vgpr96
                                        ; implicit-def: $vgpr72_vgpr73
                                        ; implicit-def: $vgpr98
                                        ; implicit-def: $vgpr68_vgpr69
                                        ; implicit-def: $vgpr100
                                        ; implicit-def: $vgpr66_vgpr67
                                        ; implicit-def: $vgpr103
                                        ; implicit-def: $vgpr64_vgpr65
                                        ; implicit-def: $vgpr106
                                        ; implicit-def: $vgpr26_vgpr27
                                        ; implicit-def: $vgpr109
                                        ; implicit-def: $vgpr60_vgpr61
                                        ; implicit-def: $vgpr42_vgpr43
                                        ; implicit-def: $vgpr90
                                        ; implicit-def: $vgpr30_vgpr31
                                        ; implicit-def: $vgpr89
                                        ; implicit-def: $vgpr32_vgpr33
                                        ; implicit-def: $vgpr92
                                        ; implicit-def: $vgpr34_vgpr35
                                        ; implicit-def: $vgpr94
                                        ; implicit-def: $vgpr95
                                        ; implicit-def: $vgpr97
                                        ; implicit-def: $vgpr99
                                        ; implicit-def: $vgpr101
                                        ; implicit-def: $vgpr104
                                        ; implicit-def: $vgpr105
                                        ; implicit-def: $vgpr108
                                        ; implicit-def: $vgpr110
                                        ; implicit-def: $vgpr1
                                        ; implicit-def: $vgpr36_vgpr37
                                        ; implicit-def: $vgpr38_vgpr39
                                        ; implicit-def: $vgpr40_vgpr41
                                        ; implicit-def: $vgpr44_vgpr45
                                        ; implicit-def: $vgpr46_vgpr47
                                        ; implicit-def: $vgpr48_vgpr49
                                        ; implicit-def: $vgpr50_vgpr51
                                        ; implicit-def: $vgpr52_vgpr53
                                        ; implicit-def: $vgpr54_vgpr55
                                        ; implicit-def: $vgpr58_vgpr59
	v_lshlrev_b32_e32 v56, 3, v0
	s_cbranch_execz .LBB713_82
.LBB713_77:
	s_clause 0xd
	flat_load_b64 v[2:3], v0, s[16:17] scale_offset
	flat_load_b64 v[4:5], v0, s[16:17] offset:2048 scale_offset
	flat_load_b64 v[6:7], v0, s[16:17] offset:4096 scale_offset
	;; [unrolled: 1-line block ×13, first 2 shown]
	v_mov_b32_e32 v1, 0
	s_mov_b32 s0, exec_lo
	s_wait_loadcnt_dscnt 0xc0c
	ds_store_2addr_stride64_b64 v56, v[2:3], v[4:5] offset1:4
	s_wait_loadcnt_dscnt 0xa0b
	ds_store_2addr_stride64_b64 v56, v[6:7], v[8:9] offset0:8 offset1:12
	s_wait_loadcnt_dscnt 0x80a
	ds_store_2addr_stride64_b64 v56, v[10:11], v[12:13] offset0:16 offset1:20
	;; [unrolled: 2-line block ×6, first 2 shown]
	s_wait_dscnt 0x0
	s_barrier_signal -1
	s_barrier_wait -1
	flat_load_b64 v[54:55], v1, s[16:17] offset:28672
	s_wait_xcnt 0x0
	v_mad_u32_u24 v1, 0x68, v0, v56
	ds_load_b128 v[48:51], v1
	ds_load_b128 v[26:29], v1 offset:16
	ds_load_b128 v[22:25], v1 offset:32
	;; [unrolled: 1-line block ×6, first 2 shown]
	v_mad_i32_i24 v14, 0xffffff98, v0, v1
	s_wait_dscnt 0x6
	ds_store_b64 v14, v[48:49] offset:30720
	s_wait_loadcnt_dscnt 0x0
	s_barrier_signal -1
	s_barrier_wait -1
	v_cmpx_ne_u32_e32 0xff, v0
; %bb.78:
	v_mul_i32_i24_e32 v14, 0xffffff98, v0
	s_delay_alu instid0(VALU_DEP_1)
	v_add_nc_u32_e32 v14, v1, v14
	ds_load_b64 v[54:55], v14 offset:30728
; %bb.79:
	s_or_b32 exec_lo, exec_lo, s0
	s_wait_dscnt 0x0
	s_barrier_signal -1
	s_barrier_wait -1
	s_clause 0xd
	flat_load_b64 v[14:15], v0, s[14:15] scale_offset
	flat_load_b64 v[16:17], v0, s[14:15] offset:2048 scale_offset
	flat_load_b64 v[30:31], v0, s[14:15] offset:4096 scale_offset
	;; [unrolled: 1-line block ×13, first 2 shown]
	v_mov_b64_e32 v[60:61], s[48:49]
	s_mov_b32 s1, exec_lo
	v_cmp_ne_u64_e32 vcc_lo, 0, v[50:51]
	s_wait_loadcnt_dscnt 0xc0c
	ds_store_2addr_stride64_b64 v56, v[14:15], v[16:17] offset1:4
	s_wait_loadcnt_dscnt 0xa0b
	ds_store_2addr_stride64_b64 v56, v[30:31], v[32:33] offset0:8 offset1:12
	s_wait_loadcnt_dscnt 0x80a
	ds_store_2addr_stride64_b64 v56, v[34:35], v[36:37] offset0:16 offset1:20
	;; [unrolled: 2-line block ×6, first 2 shown]
	s_wait_dscnt 0x0
	s_barrier_signal -1
	s_barrier_wait -1
	ds_load_2addr_b64 v[46:49], v1 offset0:1 offset1:2
	ds_load_2addr_b64 v[42:45], v1 offset0:3 offset1:4
	;; [unrolled: 1-line block ×6, first 2 shown]
	ds_load_b64 v[52:53], v1 offset:104
	v_cmpx_eq_u64_e32 0, v[50:51]
; %bb.80:
	ds_load_b64 v[60:61], v1
; %bb.81:
	s_or_b32 exec_lo, exec_lo, s1
	v_cndmask_b32_e64 v109, 0, 1, vcc_lo
	v_cmp_ne_u64_e32 vcc_lo, 0, v[26:27]
	v_cmp_ne_u64_e64 s0, 0, v[28:29]
	v_cmp_ne_u64_e64 s1, 0, v[22:23]
	;; [unrolled: 1-line block ×12, first 2 shown]
	s_wait_dscnt 0x6
	v_cndmask_b32_e64 v27, v47, s49, vcc_lo
	v_cndmask_b32_e64 v26, v46, s48, vcc_lo
	v_cndmask_b32_e64 v65, v49, s49, s0
	v_cndmask_b32_e64 v64, v48, s48, s0
	s_wait_dscnt 0x5
	v_cndmask_b32_e64 v67, v43, s49, s1
	v_cndmask_b32_e64 v66, v42, s48, s1
	v_cndmask_b32_e64 v69, v45, s49, s2
	v_cndmask_b32_e64 v68, v44, s48, s2
	s_wait_dscnt 0x4
	v_cndmask_b32_e64 v73, v39, s49, s3
	v_cndmask_b32_e64 v72, v38, s48, s3
	;; [unrolled: 5-line block ×5, first 2 shown]
	v_cndmask_b32_e64 v62, v16, s48, s10
	v_cndmask_b32_e64 v80, v14, s48, s9
	v_cndmask_b32_e64 v106, 0, 1, vcc_lo
	v_cndmask_b32_e64 v103, 0, 1, s0
	v_cndmask_b32_e64 v100, 0, 1, s1
	;; [unrolled: 1-line block ×11, first 2 shown]
	s_wait_dscnt 0x0
	v_cndmask_b32_e64 v43, v53, s49, s19
	v_cndmask_b32_e64 v42, v52, s48, s19
	v_mov_b64_e32 v[30:31], v[62:63]
	v_mov_b64_e32 v[32:33], v[80:81]
	;; [unrolled: 1-line block ×13, first 2 shown]
	v_dual_mov_b32 v90, v84 :: v_dual_mov_b32 v89, v85
	v_dual_mov_b32 v92, v86 :: v_dual_mov_b32 v94, v87
	;; [unrolled: 1-line block ×6, first 2 shown]
	v_mov_b32_e32 v1, v109
	s_mov_b32 s3, -1
.LBB713_82:
	v_mov_b32_e32 v57, 0
	s_and_saveexec_b32 s0, s3
	s_cbranch_execz .LBB713_84
; %bb.83:
	v_mov_b64_e32 v[58:59], v[60:61]
	v_mov_b64_e32 v[54:55], v[26:27]
	;; [unrolled: 1-line block ×13, first 2 shown]
	v_cndmask_b32_e64 v57, 0, 1, s19
	v_dual_mov_b32 v1, v109 :: v_dual_mov_b32 v110, v106
	v_dual_mov_b32 v108, v103 :: v_dual_mov_b32 v105, v100
	;; [unrolled: 1-line block ×6, first 2 shown]
	v_mov_b32_e32 v90, v84
.LBB713_84:
	s_or_b32 exec_lo, exec_lo, s0
	v_dual_lshrrev_b32 v65, 1, v0 :: v_dual_bitop2_b32 v67, 1, v1 bitop3:0x40
	v_and_b32_e32 v66, 1, v105
	v_and_b32_e32 v64, 1, v99
	;; [unrolled: 1-line block ×4, first 2 shown]
	v_cmp_eq_u32_e64 s12, 1, v67
	v_and_b32_e32 v84, 0xff, v110
	v_and_b32_e32 v83, 0xff, v108
	v_bitop3_b16 v69, v108, 0xff, v110 bitop3:0xc8
	v_and_b32_e32 v82, 0xff, v105
	v_cmp_eq_u32_e64 s13, 1, v66
	v_and_b32_e32 v81, 0xff, v104
	v_and_b32_e32 v80, 0xff, v101
	v_bitop3_b16 v70, v101, 0xff, v104 bitop3:0xc8
	v_and_b32_e32 v79, 0xff, v99
	;; [unrolled: 5-line block ×4, first 2 shown]
	v_cmp_eq_u32_e64 s17, 1, v62
	v_cmp_eq_u16_e64 s16, 0, v57
	v_and_b32_e32 v68, 1, v57
	s_cmp_lg_u32 s46, 0
	v_cmp_gt_u32_e32 vcc_lo, 32, v0
	s_barrier_signal -1
	s_barrier_wait -1
	s_cbranch_scc0 .LBB713_146
; %bb.85:
	v_cmp_eq_u16_e64 s0, 0, v84
	v_cmp_eq_u16_e64 s1, 0, v83
	;; [unrolled: 1-line block ×5, first 2 shown]
	v_dual_cndmask_b32 v3, 0, v59, s0 :: v_dual_cndmask_b32 v2, 0, v58, s0
	v_cmp_eq_u16_e64 s5, 0, v79
	v_cmp_eq_u16_e64 s6, 0, v78
	;; [unrolled: 1-line block ×4, first 2 shown]
	v_add_nc_u64_e32 v[2:3], v[2:3], v[54:55]
	v_cmp_eq_u16_e64 s9, 0, v75
	v_cmp_eq_u16_e64 s10, 0, v74
	;; [unrolled: 1-line block ×3, first 2 shown]
	v_cmp_ne_u16_e64 s20, 0, v72
	v_cmp_ne_u16_e64 s21, 0, v71
	v_cmp_eq_u32_e64 s22, 1, v68
	v_dual_cndmask_b32 v3, 0, v3, s1 :: v_dual_cndmask_b32 v2, 0, v2, s1
	v_cmp_ne_u16_e64 s19, 0, v70
	s_or_b32 s17, s20, s17
	v_cmp_ne_u16_e64 s18, 0, v69
	s_or_b32 s15, s21, s15
	v_add_nc_u64_e32 v[2:3], v[2:3], v[52:53]
	s_or_b32 s17, s22, s17
	s_or_b32 s14, s19, s14
	;; [unrolled: 1-line block ×5, first 2 shown]
	v_and_b32_e32 v4, 0x70, v65
	v_dual_cndmask_b32 v3, 0, v3, s2 :: v_dual_cndmask_b32 v2, 0, v2, s2
	s_or_b32 s13, s14, s13
	s_delay_alu instid0(SALU_CYCLE_1) | instskip(NEXT) | instid1(VALU_DEP_2)
	s_or_b32 s12, s13, s12
	v_lshl_add_u32 v4, v0, 4, v4
	s_delay_alu instid0(VALU_DEP_2) | instskip(SKIP_1) | instid1(VALU_DEP_2)
	v_add_nc_u64_e32 v[2:3], v[2:3], v[50:51]
	v_cndmask_b32_e64 v12, 0, 1, s12
	v_dual_cndmask_b32 v3, 0, v3, s3 :: v_dual_cndmask_b32 v2, 0, v2, s3
	s_delay_alu instid0(VALU_DEP_1) | instskip(NEXT) | instid1(VALU_DEP_1)
	v_add_nc_u64_e32 v[2:3], v[2:3], v[48:49]
	v_dual_cndmask_b32 v3, 0, v3, s4 :: v_dual_cndmask_b32 v2, 0, v2, s4
	s_delay_alu instid0(VALU_DEP_1) | instskip(NEXT) | instid1(VALU_DEP_1)
	v_add_nc_u64_e32 v[2:3], v[2:3], v[46:47]
	;; [unrolled: 3-line block ×9, first 2 shown]
	v_dual_cndmask_b32 v3, 0, v3, s16 :: v_dual_cndmask_b32 v2, 0, v2, s16
	s_delay_alu instid0(VALU_DEP_1)
	v_add_nc_u64_e32 v[2:3], v[2:3], v[42:43]
	ds_store_b64 v4, v[2:3]
	ds_store_b8 v4, v12 offset:8
	s_wait_dscnt 0x0
	s_barrier_signal -1
	s_barrier_wait -1
	s_and_saveexec_b32 s15, vcc_lo
	s_cbranch_execz .LBB713_97
; %bb.86:
	v_dual_lshlrev_b32 v4, 2, v0 :: v_dual_lshlrev_b32 v5, 7, v0
	s_delay_alu instid0(VALU_DEP_1) | instskip(NEXT) | instid1(VALU_DEP_1)
	v_and_b32_e32 v4, 0x3f0, v4
	v_add_nc_u32_e32 v8, v4, v5
	ds_load_u8 v10, v8 offset:24
	ds_load_b64 v[4:5], v8
	ds_load_2addr_b64 v[14:17], v8 offset0:2 offset1:4
	ds_load_u8 v11, v8 offset:40
	ds_load_b32 v9, v8 offset:8
	ds_load_u8 v13, v8 offset:56
	ds_load_u8 v22, v8 offset:72
	;; [unrolled: 1-line block ×4, first 2 shown]
	s_wait_dscnt 0x8
	v_cmp_eq_u16_e64 s12, 0, v10
	s_wait_dscnt 0x7
	s_delay_alu instid0(VALU_DEP_1)
	v_dual_cndmask_b32 v7, 0, v5, s12 :: v_dual_cndmask_b32 v6, 0, v4, s12
	s_wait_dscnt 0x5
	v_cmp_eq_u16_e64 s12, 0, v11
	ds_load_2addr_b64 v[18:21], v8 offset0:6 offset1:8
	s_wait_dscnt 0x4
	v_bitop3_b16 v10, v11, v13, v10 bitop3:0xfe
	s_wait_dscnt 0x1
	v_bitop3_b16 v11, v23, v24, v22 bitop3:0xfe
	v_add_nc_u64_e32 v[6:7], v[6:7], v[14:15]
	s_delay_alu instid0(VALU_DEP_1) | instskip(SKIP_1) | instid1(VALU_DEP_2)
	v_dual_cndmask_b32 v7, 0, v7, s12 :: v_dual_cndmask_b32 v6, 0, v6, s12
	v_cmp_eq_u16_e64 s12, 0, v13
	v_add_nc_u64_e32 v[6:7], v[6:7], v[16:17]
	s_delay_alu instid0(VALU_DEP_1) | instskip(SKIP_2) | instid1(VALU_DEP_2)
	v_dual_cndmask_b32 v7, 0, v7, s12 :: v_dual_cndmask_b32 v6, 0, v6, s12
	v_cmp_eq_u16_e64 s12, 0, v22
	s_wait_dscnt 0x0
	v_add_nc_u64_e32 v[6:7], v[6:7], v[18:19]
	ds_load_2addr_b64 v[14:17], v8 offset0:10 offset1:12
	ds_load_u8 v18, v8 offset:120
	v_dual_cndmask_b32 v7, 0, v7, s12 :: v_dual_cndmask_b32 v6, 0, v6, s12
	v_cmp_eq_u16_e64 s12, 0, v23
	s_delay_alu instid0(VALU_DEP_2) | instskip(NEXT) | instid1(VALU_DEP_1)
	v_add_nc_u64_e32 v[6:7], v[6:7], v[20:21]
	v_dual_cndmask_b32 v7, 0, v7, s12 :: v_dual_cndmask_b32 v6, 0, v6, s12
	s_wait_dscnt 0x0
	v_bitop3_b16 v10, v18, v10, v11 bitop3:0xfe
	v_and_b32_e32 v11, 1, v9
	v_cmp_eq_u16_e64 s12, 0, v24
	v_cmp_eq_u16_e64 s14, 0, v18
	v_add_nc_u64_e32 v[6:7], v[6:7], v[14:15]
	ds_load_b64 v[14:15], v8 offset:112
	v_dual_cndmask_b32 v7, 0, v7, s12 :: v_dual_bitop2_b32 v10, 1, v10 bitop3:0x40
	v_cndmask_b32_e64 v6, 0, v6, s12
	v_cmp_eq_u32_e64 s12, 1, v11
	s_delay_alu instid0(VALU_DEP_3) | instskip(SKIP_4) | instid1(SALU_CYCLE_1)
	v_cmp_eq_u32_e64 s13, 1, v10
	v_and_b32_e32 v10, 0xffffff00, v9
	v_mbcnt_lo_u32_b32 v11, -1, 0
	v_add_nc_u64_e32 v[6:7], v[6:7], v[16:17]
	s_or_b32 s13, s13, s12
	v_cndmask_b32_e64 v16, 0, 1, s13
	v_cndmask_b32_e64 v13, 0, 1, s13
	s_delay_alu instid0(VALU_DEP_3) | instskip(SKIP_2) | instid1(VALU_DEP_1)
	v_dual_cndmask_b32 v7, 0, v7, s14 :: v_dual_cndmask_b32 v6, 0, v6, s14
	s_mov_b32 s14, exec_lo
	s_wait_dscnt 0x0
	v_add_nc_u64_e32 v[6:7], v[6:7], v[14:15]
	v_or_b32_e32 v15, v10, v16
	v_and_b32_e32 v14, 15, v11
	s_delay_alu instid0(VALU_DEP_2) | instskip(NEXT) | instid1(VALU_DEP_4)
	v_mov_b32_dpp v17, v15 row_shr:1 row_mask:0xf bank_mask:0xf
	v_mov_b32_dpp v16, v6 row_shr:1 row_mask:0xf bank_mask:0xf
	;; [unrolled: 1-line block ×3, first 2 shown]
	s_delay_alu instid0(VALU_DEP_4)
	v_cmpx_ne_u32_e32 0, v14
; %bb.87:
	s_delay_alu instid0(VALU_DEP_4) | instskip(NEXT) | instid1(VALU_DEP_3)
	v_bitop3_b16 v13, v17, v13, 1 bitop3:0xec
	v_cndmask_b32_e64 v17, v18, 0, s13
	v_cndmask_b32_e64 v16, v16, 0, s13
	s_delay_alu instid0(VALU_DEP_3) | instskip(NEXT) | instid1(VALU_DEP_2)
	v_and_b32_e32 v15, 0xffff, v13
	v_add_nc_u64_e32 v[6:7], v[16:17], v[6:7]
	s_delay_alu instid0(VALU_DEP_2)
	v_or_b32_e32 v15, v10, v15
; %bb.88:
	s_or_b32 exec_lo, exec_lo, s14
	s_delay_alu instid0(VALU_DEP_2) | instskip(NEXT) | instid1(VALU_DEP_3)
	v_mov_b32_dpp v16, v6 row_shr:2 row_mask:0xf bank_mask:0xf
	v_mov_b32_dpp v17, v7 row_shr:2 row_mask:0xf bank_mask:0xf
	s_delay_alu instid0(VALU_DEP_3)
	v_mov_b32_dpp v18, v15 row_shr:2 row_mask:0xf bank_mask:0xf
	s_mov_b32 s16, exec_lo
	v_cmpx_lt_u32_e32 1, v14
	s_cbranch_execz .LBB713_90
; %bb.89:
	v_cmp_eq_u16_e64 s12, 0, v13
	v_and_b32_e32 v15, 1, v13
	s_delay_alu instid0(VALU_DEP_2) | instskip(SKIP_1) | instid1(VALU_DEP_3)
	v_dual_cndmask_b32 v17, 0, v17, s12 :: v_dual_bitop2_b32 v18, 1, v18 bitop3:0x40
	v_cndmask_b32_e64 v16, 0, v16, s12
	v_cmp_eq_u32_e64 s13, 1, v15
	s_delay_alu instid0(VALU_DEP_3) | instskip(NEXT) | instid1(VALU_DEP_3)
	v_cmp_eq_u32_e64 s14, 1, v18
	v_add_nc_u64_e32 v[6:7], v[16:17], v[6:7]
	s_or_b32 s12, s13, s14
	s_delay_alu instid0(SALU_CYCLE_1) | instskip(SKIP_1) | instid1(VALU_DEP_2)
	v_cndmask_b32_e64 v15, 0, 1, s12
	v_cndmask_b32_e64 v13, 0, 1, s12
	v_or_b32_e32 v15, v10, v15
.LBB713_90:
	s_or_b32 exec_lo, exec_lo, s16
	s_delay_alu instid0(VALU_DEP_4) | instskip(SKIP_1) | instid1(VALU_DEP_3)
	v_mov_b32_dpp v16, v6 row_shr:4 row_mask:0xf bank_mask:0xf
	v_mov_b32_dpp v17, v7 row_shr:4 row_mask:0xf bank_mask:0xf
	;; [unrolled: 1-line block ×3, first 2 shown]
	s_mov_b32 s16, exec_lo
	v_cmpx_lt_u32_e32 3, v14
	s_cbranch_execz .LBB713_92
; %bb.91:
	v_cmp_eq_u16_e64 s12, 0, v13
	v_and_b32_e32 v15, 1, v13
	s_delay_alu instid0(VALU_DEP_2) | instskip(SKIP_1) | instid1(VALU_DEP_3)
	v_dual_cndmask_b32 v17, 0, v17, s12 :: v_dual_bitop2_b32 v18, 1, v18 bitop3:0x40
	v_cndmask_b32_e64 v16, 0, v16, s12
	v_cmp_eq_u32_e64 s13, 1, v15
	s_delay_alu instid0(VALU_DEP_3) | instskip(NEXT) | instid1(VALU_DEP_3)
	v_cmp_eq_u32_e64 s14, 1, v18
	v_add_nc_u64_e32 v[6:7], v[16:17], v[6:7]
	s_or_b32 s12, s13, s14
	s_delay_alu instid0(SALU_CYCLE_1) | instskip(SKIP_1) | instid1(VALU_DEP_2)
	v_cndmask_b32_e64 v15, 0, 1, s12
	v_cndmask_b32_e64 v13, 0, 1, s12
	v_or_b32_e32 v15, v10, v15
.LBB713_92:
	s_or_b32 exec_lo, exec_lo, s16
	s_delay_alu instid0(VALU_DEP_4) | instskip(SKIP_1) | instid1(VALU_DEP_3)
	v_mov_b32_dpp v16, v6 row_shr:8 row_mask:0xf bank_mask:0xf
	v_mov_b32_dpp v17, v7 row_shr:8 row_mask:0xf bank_mask:0xf
	v_mov_b32_dpp v18, v15 row_shr:8 row_mask:0xf bank_mask:0xf
	s_mov_b32 s16, exec_lo
	v_cmpx_lt_u32_e32 7, v14
	s_cbranch_execz .LBB713_94
; %bb.93:
	v_and_b32_e32 v14, 1, v13
	v_cmp_eq_u16_e64 s12, 0, v13
	v_and_b32_e32 v15, 1, v18
	s_delay_alu instid0(VALU_DEP_3) | instskip(NEXT) | instid1(VALU_DEP_3)
	v_cmp_eq_u32_e64 s13, 1, v14
	v_cndmask_b32_e64 v14, 0, v16, s12
	s_delay_alu instid0(VALU_DEP_3) | instskip(SKIP_2) | instid1(VALU_DEP_1)
	v_cmp_eq_u32_e64 s14, 1, v15
	v_cndmask_b32_e64 v15, 0, v17, s12
	s_or_b32 s12, s13, s14
	v_add_nc_u64_e32 v[6:7], v[14:15], v[6:7]
	v_cndmask_b32_e64 v16, 0, 1, s12
	v_cndmask_b32_e64 v13, 0, 1, s12
	s_delay_alu instid0(VALU_DEP_2)
	v_or_b32_e32 v15, v10, v16
.LBB713_94:
	s_or_b32 exec_lo, exec_lo, s16
	ds_swizzle_b32 v14, v6 offset:swizzle(BROADCAST,32,15)
	ds_swizzle_b32 v16, v7 offset:swizzle(BROADCAST,32,15)
	;; [unrolled: 1-line block ×3, first 2 shown]
	v_and_b32_e32 v17, 16, v11
	s_mov_b32 s14, exec_lo
	s_delay_alu instid0(VALU_DEP_1)
	v_cmpx_ne_u32_e32 0, v17
	s_cbranch_execz .LBB713_96
; %bb.95:
	v_cmp_eq_u16_e64 s12, 0, v13
	v_and_b32_e32 v13, 1, v13
	s_wait_dscnt 0x0
	s_delay_alu instid0(VALU_DEP_2) | instskip(SKIP_1) | instid1(VALU_DEP_3)
	v_dual_cndmask_b32 v14, 0, v14, s12 :: v_dual_bitop2_b32 v17, 1, v15 bitop3:0x40
	v_cndmask_b32_e64 v15, 0, v16, s12
	v_cmp_eq_u32_e64 s12, 1, v13
	s_delay_alu instid0(VALU_DEP_3) | instskip(NEXT) | instid1(VALU_DEP_3)
	v_cmp_eq_u32_e64 s13, 1, v17
	v_add_nc_u64_e32 v[6:7], v[14:15], v[6:7]
	s_or_b32 s12, s12, s13
	s_delay_alu instid0(SALU_CYCLE_1)
	v_cndmask_b32_e64 v13, 0, 1, s12
.LBB713_96:
	s_or_b32 exec_lo, exec_lo, s14
	s_wait_dscnt 0x2
	v_add_nc_u32_e32 v14, -1, v11
	s_delay_alu instid0(VALU_DEP_2) | instskip(NEXT) | instid1(VALU_DEP_2)
	v_and_b32_e32 v13, 0xffff, v13
	; wave barrier
	v_cmp_gt_i32_e64 s12, 0, v14
	s_delay_alu instid0(VALU_DEP_1) | instskip(NEXT) | instid1(VALU_DEP_1)
	v_cndmask_b32_e64 v11, v14, v11, s12
	v_lshlrev_b32_e32 v11, 2, v11
	ds_bpermute_b32 v7, v11, v7
	ds_bpermute_b32 v6, v11, v6
	v_or_b32_e32 v10, v10, v13
	ds_bpermute_b32 v10, v11, v10
	v_and_b32_e32 v11, 0xff, v9
	s_delay_alu instid0(VALU_DEP_1) | instskip(SKIP_1) | instid1(VALU_DEP_1)
	v_cmp_eq_u32_e64 s12, 0, v11
	s_wait_dscnt 0x1
	v_dual_cndmask_b32 v7, 0, v7, s12 :: v_dual_cndmask_b32 v6, 0, v6, s12
	v_cmp_eq_u32_e64 s12, 0, v0
	s_delay_alu instid0(VALU_DEP_2) | instskip(SKIP_1) | instid1(VALU_DEP_1)
	v_add_nc_u64_e32 v[4:5], v[6:7], v[4:5]
	s_wait_dscnt 0x0
	v_dual_cndmask_b32 v11, v5, v3, s12 :: v_dual_bitop2_b32 v9, v10, v9 bitop3:0x54
	s_delay_alu instid0(VALU_DEP_1) | instskip(NEXT) | instid1(VALU_DEP_1)
	v_dual_cndmask_b32 v10, v4, v2, s12 :: v_dual_bitop2_b32 v6, 1, v9 bitop3:0x40
	v_cndmask_b32_e64 v9, v6, v12, s12
	ds_store_b64 v8, v[10:11]
	ds_store_b8 v8, v9 offset:8
	; wave barrier
	ds_load_u8 v13, v8 offset:24
	ds_load_2addr_b64 v[4:7], v8 offset0:2 offset1:4
	ds_load_u8 v24, v8 offset:40
	ds_load_u8 v25, v8 offset:56
	;; [unrolled: 1-line block ×5, first 2 shown]
	ds_load_b64 v[18:19], v8 offset:112
	ds_load_u8 v29, v8 offset:120
	s_wait_dscnt 0x8
	v_and_b32_e32 v14, 0xff, v13
	s_wait_dscnt 0x5
	v_and_b32_e32 v22, 0xff, v25
	s_delay_alu instid0(VALU_DEP_2) | instskip(SKIP_3) | instid1(VALU_DEP_3)
	v_cmp_eq_u16_e64 s12, 0, v14
	v_and_b32_e32 v14, 0xff, v24
	s_wait_dscnt 0x3
	v_and_b32_e32 v60, 0xff, v27
	v_dual_cndmask_b32 v11, 0, v11, s12 :: v_dual_cndmask_b32 v10, 0, v10, s12
	s_delay_alu instid0(VALU_DEP_3) | instskip(SKIP_3) | instid1(VALU_DEP_1)
	v_cmp_eq_u16_e64 s12, 0, v14
	ds_load_2addr_b64 v[14:17], v8 offset0:6 offset1:8
	v_bitop3_b16 v61, v13, 1, v9 bitop3:0xc8
	v_add_nc_u64_e32 v[10:11], v[10:11], v[4:5]
	v_dual_cndmask_b32 v5, 0, v11, s12 :: v_dual_cndmask_b32 v4, 0, v10, s12
	v_cmp_eq_u16_e64 s12, 0, v22
	s_delay_alu instid0(VALU_DEP_2) | instskip(SKIP_1) | instid1(VALU_DEP_2)
	v_add_nc_u64_e32 v[20:21], v[4:5], v[6:7]
	v_and_b32_e32 v6, 0xff, v26
	v_dual_cndmask_b32 v5, 0, v21, s12 :: v_dual_cndmask_b32 v4, 0, v20, s12
	s_delay_alu instid0(VALU_DEP_2) | instskip(SKIP_1) | instid1(VALU_DEP_2)
	v_cmp_eq_u16_e64 s12, 0, v6
	s_wait_dscnt 0x0
	v_add_nc_u64_e32 v[14:15], v[4:5], v[14:15]
	ds_load_2addr_b64 v[4:7], v8 offset0:10 offset1:12
	v_dual_cndmask_b32 v23, 0, v15, s12 :: v_dual_cndmask_b32 v22, 0, v14, s12
	v_cmp_eq_u16_e64 s12, 0, v60
	v_and_b32_e32 v60, 0xff, v28
	s_delay_alu instid0(VALU_DEP_3) | instskip(NEXT) | instid1(VALU_DEP_1)
	v_add_nc_u64_e32 v[16:17], v[22:23], v[16:17]
	v_dual_cndmask_b32 v23, 0, v17, s12 :: v_dual_cndmask_b32 v22, 0, v16, s12
	s_delay_alu instid0(VALU_DEP_3) | instskip(SKIP_4) | instid1(VALU_DEP_3)
	v_cmp_eq_u16_e64 s12, 0, v60
	v_or_b32_e32 v60, v13, v9
	v_bitop3_b16 v9, v24, v13, v9 bitop3:0xfe
	s_wait_dscnt 0x0
	v_add_nc_u64_e32 v[4:5], v[22:23], v[4:5]
	v_bitop3_b16 v13, v25, v24, v60 bitop3:0xfe
	v_bitop3_b16 v24, v24, 1, v60 bitop3:0xc8
	;; [unrolled: 1-line block ×4, first 2 shown]
	v_dual_cndmask_b32 v23, 0, v5, s12 :: v_dual_cndmask_b32 v22, 0, v4, s12
	v_cmp_eq_u16_e64 s12, 0, v29
	s_delay_alu instid0(VALU_DEP_3) | instskip(SKIP_1) | instid1(VALU_DEP_4)
	v_bitop3_b16 v25, v28, v27, v9 bitop3:0xfe
	v_bitop3_b16 v9, v27, 1, v9 bitop3:0xc8
	v_add_nc_u64_e32 v[6:7], v[22:23], v[6:7]
	v_bitop3_b16 v22, v27, v26, v13 bitop3:0xfe
	v_bitop3_b16 v13, v26, 1, v13 bitop3:0xc8
	ds_store_2addr_b64 v8, v[10:11], v[20:21] offset0:2 offset1:4
	ds_store_2addr_b64 v8, v[14:15], v[16:17] offset0:6 offset1:8
	;; [unrolled: 1-line block ×3, first 2 shown]
	v_bitop3_b16 v26, v28, 1, v22 bitop3:0xc8
	v_dual_cndmask_b32 v23, 0, v7, s12 :: v_dual_cndmask_b32 v22, 0, v6, s12
	v_bitop3_b16 v25, v29, 1, v25 bitop3:0xc8
	s_delay_alu instid0(VALU_DEP_2)
	v_add_nc_u64_e32 v[4:5], v[22:23], v[18:19]
	ds_store_b8 v8, v61 offset:24
	ds_store_b8 v8, v24 offset:40
	;; [unrolled: 1-line block ×6, first 2 shown]
	ds_store_b64 v8, v[4:5] offset:112
	ds_store_b8 v8, v25 offset:120
.LBB713_97:
	s_or_b32 exec_lo, exec_lo, s15
	v_cmp_eq_u32_e64 s12, 0, v0
	s_mov_b32 s14, exec_lo
	s_wait_dscnt 0x0
	s_barrier_signal -1
	s_barrier_wait -1
	v_cmpx_ne_u32_e32 0, v0
	s_cbranch_execz .LBB713_99
; %bb.98:
	v_add_nc_u32_e32 v2, -1, v0
	s_delay_alu instid0(VALU_DEP_1) | instskip(NEXT) | instid1(VALU_DEP_1)
	v_lshrrev_b32_e32 v3, 1, v2
	v_and_b32_e32 v3, 0x7ffffff0, v3
	s_delay_alu instid0(VALU_DEP_1)
	v_lshl_add_u32 v4, v2, 4, v3
	ds_load_b64 v[2:3], v4
	ds_load_u8 v12, v4 offset:8
.LBB713_99:
	s_or_b32 exec_lo, exec_lo, s14
	s_and_saveexec_b32 s16, vcc_lo
	s_cbranch_execz .LBB713_151
; %bb.100:
	v_mov_b32_e32 v9, 0
	v_mbcnt_lo_u32_b32 v14, -1, 0
	s_mov_b32 s15, 0
	ds_load_b64 v[4:5], v9 offset:4192
	ds_load_u8 v13, v9 offset:4200
	v_cmp_eq_u32_e64 s13, 0, v14
	s_and_saveexec_b32 s17, s13
	s_cbranch_execz .LBB713_102
; %bb.101:
	s_add_co_i32 s14, s46, 32
	s_delay_alu instid0(SALU_CYCLE_1) | instskip(SKIP_1) | instid1(SALU_CYCLE_1)
	v_dual_mov_b32 v6, 1 :: v_dual_mov_b32 v7, s14
	s_lshl_b64 s[18:19], s[14:15], 4
	s_add_nc_u64 s[14:15], s[36:37], s[18:19]
	s_wait_dscnt 0x1
	global_store_b64 v9, v[4:5], s[14:15]
	s_wait_dscnt 0x0
	global_store_b8 v9, v13, s[14:15] offset:8
	global_wb scope:SCOPE_DEV
	s_wait_storecnt 0x0
	global_inv scope:SCOPE_DEV
	s_wait_xcnt 0x0
	global_store_b8 v7, v6, s[40:41] scope:SCOPE_DEV
.LBB713_102:
	s_wait_xcnt 0x0
	s_or_b32 exec_lo, exec_lo, s17
	v_xad_u32 v6, v14, -1, s46
	s_mov_b32 s14, exec_lo
	s_delay_alu instid0(VALU_DEP_1)
	v_add_nc_u32_e32 v8, 32, v6
	global_load_u8 v15, v8, s[40:41] scope:SCOPE_DEV
	s_wait_loadcnt 0x0
	v_cmpx_eq_u16_e32 0, v15
	s_cbranch_execz .LBB713_106
; %bb.103:
	v_add_nc_u64_e32 v[10:11], s[40:41], v[8:9]
	s_mov_b32 s15, 0
.LBB713_104:                            ; =>This Inner Loop Header: Depth=1
	global_load_u8 v15, v[10:11], off scope:SCOPE_DEV
	s_wait_loadcnt 0x0
	v_cmp_ne_u16_e32 vcc_lo, 0, v15
	s_or_b32 s15, vcc_lo, s15
	s_wait_xcnt 0x0
	s_and_not1_b32 exec_lo, exec_lo, s15
	s_cbranch_execnz .LBB713_104
; %bb.105:
	s_or_b32 exec_lo, exec_lo, s15
.LBB713_106:
	s_delay_alu instid0(SALU_CYCLE_1)
	s_or_b32 exec_lo, exec_lo, s14
	v_dual_mov_b32 v7, s37 :: v_dual_mov_b32 v10, s36
	v_cmp_eq_u16_e32 vcc_lo, 1, v15
	global_wb scope:SCOPE_DEV
	s_wait_storecnt_dscnt 0x0
	global_inv scope:SCOPE_DEV
	v_lshlrev_b32_e64 v17, v14, -1
	s_mov_b32 s14, exec_lo
	v_cndmask_b32_e32 v11, s39, v7, vcc_lo
	v_cndmask_b32_e32 v10, s38, v10, vcc_lo
	v_cmp_ne_u32_e32 vcc_lo, 31, v14
	v_add_co_ci_u32_e64 v7, null, 0, v14, vcc_lo
	v_cmp_eq_u16_e32 vcc_lo, 2, v15
	s_delay_alu instid0(VALU_DEP_2)
	v_lshlrev_b32_e32 v16, 2, v7
	v_lshl_add_u64 v[8:9], v[8:9], 4, v[10:11]
	s_clause 0x1
	global_load_u8 v27, v[8:9], off offset:8
	global_load_b64 v[10:11], v[8:9], off
	v_and_or_b32 v7, vcc_lo, v17, 0x80000000
	s_delay_alu instid0(VALU_DEP_1)
	v_ctz_i32_b32_e32 v7, v7
	s_wait_loadcnt 0x1
	s_wait_xcnt 0x0
	v_and_b32_e32 v8, 1, v27
	s_wait_loadcnt 0x0
	ds_bpermute_b32 v18, v16, v10
	ds_bpermute_b32 v19, v16, v11
	;; [unrolled: 1-line block ×3, first 2 shown]
	v_cmpx_lt_u32_e64 v14, v7
	s_cbranch_execz .LBB713_108
; %bb.107:
	v_and_b32_e32 v8, 0xff, v27
	s_wait_dscnt 0x0
	v_bitop3_b16 v27, v9, v27, 1 bitop3:0xec
	s_delay_alu instid0(VALU_DEP_2) | instskip(NEXT) | instid1(VALU_DEP_2)
	v_cmp_eq_u16_e32 vcc_lo, 0, v8
	v_and_b32_e32 v8, 0xff, v27
	v_dual_cndmask_b32 v19, 0, v19 :: v_dual_cndmask_b32 v18, 0, v18
	s_delay_alu instid0(VALU_DEP_1)
	v_add_nc_u64_e32 v[10:11], v[18:19], v[10:11]
.LBB713_108:
	s_or_b32 exec_lo, exec_lo, s14
	v_cmp_gt_u32_e32 vcc_lo, 30, v14
	s_wait_dscnt 0x1
	v_add_nc_u32_e32 v19, 2, v14
	s_mov_b32 s15, exec_lo
	s_wait_dscnt 0x0
	v_cndmask_b32_e64 v9, 0, 2, vcc_lo
	s_delay_alu instid0(VALU_DEP_1)
	v_add_lshl_u32 v18, v9, v14, 2
	ds_bpermute_b32 v9, v18, v10
	ds_bpermute_b32 v20, v18, v11
	;; [unrolled: 1-line block ×3, first 2 shown]
	v_cmpx_le_u32_e64 v19, v7
	s_cbranch_execz .LBB713_110
; %bb.109:
	v_and_b32_e32 v8, 0xff, v27
	s_delay_alu instid0(VALU_DEP_1) | instskip(SKIP_3) | instid1(VALU_DEP_2)
	v_cmp_eq_u16_e32 vcc_lo, 0, v8
	v_and_b32_e32 v22, 1, v27
	s_wait_dscnt 0x0
	v_dual_cndmask_b32 v21, 0, v20, vcc_lo :: v_dual_bitop2_b32 v8, 1, v21 bitop3:0x40
	v_cmp_eq_u32_e64 s14, 1, v22
	v_cndmask_b32_e32 v20, 0, v9, vcc_lo
	s_delay_alu instid0(VALU_DEP_3) | instskip(NEXT) | instid1(VALU_DEP_2)
	v_cmp_eq_u32_e32 vcc_lo, 1, v8
	v_add_nc_u64_e32 v[10:11], v[20:21], v[10:11]
	s_or_b32 s14, s14, vcc_lo
	s_delay_alu instid0(SALU_CYCLE_1)
	v_cndmask_b32_e64 v27, 0, 1, s14
	v_cndmask_b32_e64 v8, 0, 1, s14
.LBB713_110:
	s_or_b32 exec_lo, exec_lo, s15
	v_cmp_gt_u32_e32 vcc_lo, 28, v14
	s_wait_dscnt 0x0
	v_add_nc_u32_e32 v21, 4, v14
	s_mov_b32 s15, exec_lo
	v_cndmask_b32_e64 v9, 0, 4, vcc_lo
	s_delay_alu instid0(VALU_DEP_1)
	v_add_lshl_u32 v20, v9, v14, 2
	ds_bpermute_b32 v9, v20, v10
	ds_bpermute_b32 v22, v20, v11
	;; [unrolled: 1-line block ×3, first 2 shown]
	v_cmpx_le_u32_e64 v21, v7
	s_cbranch_execz .LBB713_112
; %bb.111:
	v_and_b32_e32 v8, 0xff, v27
	s_delay_alu instid0(VALU_DEP_1) | instskip(SKIP_3) | instid1(VALU_DEP_2)
	v_cmp_eq_u16_e32 vcc_lo, 0, v8
	v_and_b32_e32 v24, 1, v27
	s_wait_dscnt 0x0
	v_dual_cndmask_b32 v23, 0, v22, vcc_lo :: v_dual_bitop2_b32 v8, 1, v23 bitop3:0x40
	v_cmp_eq_u32_e64 s14, 1, v24
	v_cndmask_b32_e32 v22, 0, v9, vcc_lo
	s_delay_alu instid0(VALU_DEP_3) | instskip(NEXT) | instid1(VALU_DEP_2)
	v_cmp_eq_u32_e32 vcc_lo, 1, v8
	v_add_nc_u64_e32 v[10:11], v[22:23], v[10:11]
	s_or_b32 s14, s14, vcc_lo
	s_delay_alu instid0(SALU_CYCLE_1)
	v_cndmask_b32_e64 v27, 0, 1, s14
	v_cndmask_b32_e64 v8, 0, 1, s14
.LBB713_112:
	s_or_b32 exec_lo, exec_lo, s15
	v_cmp_gt_u32_e32 vcc_lo, 24, v14
	s_wait_dscnt 0x0
	v_add_nc_u32_e32 v23, 8, v14
	s_mov_b32 s15, exec_lo
	v_cndmask_b32_e64 v9, 0, 8, vcc_lo
	s_delay_alu instid0(VALU_DEP_1)
	v_add_lshl_u32 v22, v9, v14, 2
	ds_bpermute_b32 v9, v22, v10
	ds_bpermute_b32 v24, v22, v11
	;; [unrolled: 1-line block ×3, first 2 shown]
	v_cmpx_le_u32_e64 v23, v7
	s_cbranch_execz .LBB713_114
; %bb.113:
	v_and_b32_e32 v8, 0xff, v27
	s_delay_alu instid0(VALU_DEP_1) | instskip(SKIP_3) | instid1(VALU_DEP_2)
	v_cmp_eq_u16_e32 vcc_lo, 0, v8
	v_and_b32_e32 v26, 1, v27
	s_wait_dscnt 0x0
	v_dual_cndmask_b32 v25, 0, v24, vcc_lo :: v_dual_bitop2_b32 v8, 1, v25 bitop3:0x40
	v_cmp_eq_u32_e64 s14, 1, v26
	v_cndmask_b32_e32 v24, 0, v9, vcc_lo
	s_delay_alu instid0(VALU_DEP_3) | instskip(NEXT) | instid1(VALU_DEP_2)
	v_cmp_eq_u32_e32 vcc_lo, 1, v8
	v_add_nc_u64_e32 v[10:11], v[24:25], v[10:11]
	s_or_b32 s14, s14, vcc_lo
	s_delay_alu instid0(SALU_CYCLE_1)
	v_cndmask_b32_e64 v27, 0, 1, s14
	v_cndmask_b32_e64 v8, 0, 1, s14
.LBB713_114:
	s_or_b32 exec_lo, exec_lo, s15
	s_wait_dscnt 0x1
	v_lshl_or_b32 v24, v14, 2, 64
	v_add_nc_u32_e32 v26, 16, v14
	s_mov_b32 s15, exec_lo
	ds_bpermute_b32 v9, v24, v10
	s_wait_dscnt 0x1
	ds_bpermute_b32 v25, v24, v11
	ds_bpermute_b32 v8, v24, v8
	v_cmpx_le_u32_e64 v26, v7
	s_cbranch_execz .LBB713_116
; %bb.115:
	v_and_b32_e32 v7, 0xff, v27
	s_delay_alu instid0(VALU_DEP_1) | instskip(SKIP_4) | instid1(VALU_DEP_3)
	v_cmp_eq_u16_e32 vcc_lo, 0, v7
	v_and_b32_e32 v7, 1, v27
	s_wait_dscnt 0x0
	v_dual_cndmask_b32 v28, 0, v9, vcc_lo :: v_dual_bitop2_b32 v8, 1, v8 bitop3:0x40
	v_cndmask_b32_e32 v29, 0, v25, vcc_lo
	v_cmp_eq_u32_e32 vcc_lo, 1, v7
	s_delay_alu instid0(VALU_DEP_3) | instskip(NEXT) | instid1(VALU_DEP_3)
	v_cmp_eq_u32_e64 s14, 1, v8
	v_add_nc_u64_e32 v[10:11], v[28:29], v[10:11]
	s_or_b32 s14, vcc_lo, s14
	s_delay_alu instid0(SALU_CYCLE_1)
	v_cndmask_b32_e64 v27, 0, 1, s14
.LBB713_116:
	s_or_b32 exec_lo, exec_lo, s15
	v_mov_b32_e32 v7, 0
	s_branch .LBB713_119
.LBB713_117:                            ;   in Loop: Header=BB713_119 Depth=1
	s_or_b32 exec_lo, exec_lo, s17
	v_and_b32_e32 v27, 0xff, v25
	v_subrev_nc_u32_e32 v6, 32, v6
	s_delay_alu instid0(VALU_DEP_2) | instskip(SKIP_2) | instid1(VALU_DEP_2)
	v_cmp_eq_u16_e32 vcc_lo, 0, v27
	v_dual_cndmask_b32 v11, 0, v11, vcc_lo :: v_dual_bitop2_b32 v27, 1, v25 bitop3:0x40
	v_cndmask_b32_e32 v10, 0, v10, vcc_lo
	v_cmp_eq_u32_e32 vcc_lo, 1, v27
	s_delay_alu instid0(VALU_DEP_2) | instskip(SKIP_1) | instid1(SALU_CYCLE_1)
	v_add_nc_u64_e32 v[10:11], v[10:11], v[8:9]
	s_or_b32 s14, vcc_lo, s15
	v_cndmask_b32_e64 v27, 0, 1, s14
	s_mov_b32 s14, 0
.LBB713_118:                            ;   in Loop: Header=BB713_119 Depth=1
	s_delay_alu instid0(SALU_CYCLE_1)
	s_and_b32 vcc_lo, exec_lo, s14
	s_cbranch_vccnz .LBB713_147
.LBB713_119:                            ; =>This Loop Header: Depth=1
                                        ;     Child Loop BB713_122 Depth 2
	s_wait_dscnt 0x0
	v_and_b32_e32 v8, 0xff, v15
	v_mov_b32_e32 v25, v27
	s_mov_b32 s14, -1
                                        ; implicit-def: $vgpr27
                                        ; implicit-def: $vgpr15
	s_delay_alu instid0(VALU_DEP_2)
	v_cmp_ne_u16_e32 vcc_lo, 2, v8
	v_mov_b64_e32 v[8:9], v[10:11]
                                        ; implicit-def: $vgpr10_vgpr11
	s_cmp_lg_u32 vcc_lo, exec_lo
	s_cbranch_scc1 .LBB713_118
; %bb.120:                              ;   in Loop: Header=BB713_119 Depth=1
	global_load_u8 v15, v6, s[40:41] scope:SCOPE_DEV
	s_mov_b32 s14, exec_lo
	s_wait_loadcnt 0x0
	v_cmpx_eq_u16_e32 0, v15
	s_cbranch_execz .LBB713_124
; %bb.121:                              ;   in Loop: Header=BB713_119 Depth=1
	v_add_nc_u64_e32 v[10:11], s[40:41], v[6:7]
	s_mov_b32 s15, 0
.LBB713_122:                            ;   Parent Loop BB713_119 Depth=1
                                        ; =>  This Inner Loop Header: Depth=2
	global_load_u8 v15, v[10:11], off scope:SCOPE_DEV
	s_wait_loadcnt 0x0
	v_cmp_ne_u16_e32 vcc_lo, 0, v15
	s_or_b32 s15, vcc_lo, s15
	s_delay_alu instid0(SALU_CYCLE_1)
	s_and_not1_b32 exec_lo, exec_lo, s15
	s_cbranch_execnz .LBB713_122
; %bb.123:                              ;   in Loop: Header=BB713_119 Depth=1
	s_or_b32 exec_lo, exec_lo, s15
.LBB713_124:                            ;   in Loop: Header=BB713_119 Depth=1
	s_delay_alu instid0(SALU_CYCLE_1)
	s_or_b32 exec_lo, exec_lo, s14
	v_dual_mov_b32 v10, s37 :: v_dual_mov_b32 v27, s36
	v_cmp_eq_u16_e32 vcc_lo, 1, v15
	global_wb scope:SCOPE_DEV
	s_wait_storecnt 0x0
	global_inv scope:SCOPE_DEV
	s_mov_b32 s14, exec_lo
	v_cndmask_b32_e32 v11, s39, v10, vcc_lo
	v_cndmask_b32_e32 v10, s38, v27, vcc_lo
	v_cmp_eq_u16_e32 vcc_lo, 2, v15
	s_delay_alu instid0(VALU_DEP_2)
	v_lshl_add_u64 v[60:61], v[6:7], 4, v[10:11]
	v_and_or_b32 v27, vcc_lo, v17, 0x80000000
	s_clause 0x1
	global_load_u8 v28, v[60:61], off offset:8
	global_load_b64 v[10:11], v[60:61], off
	v_ctz_i32_b32_e32 v27, v27
	s_wait_loadcnt 0x1
	v_and_b32_e32 v29, 1, v28
	s_wait_loadcnt 0x0
	ds_bpermute_b32 v61, v16, v10
	ds_bpermute_b32 v85, v16, v11
	;; [unrolled: 1-line block ×3, first 2 shown]
	v_cmpx_lt_u32_e64 v14, v27
	s_cbranch_execz .LBB713_126
; %bb.125:                              ;   in Loop: Header=BB713_119 Depth=1
	v_and_b32_e32 v29, 0xff, v28
	s_wait_dscnt 0x0
	v_bitop3_b16 v28, v60, v28, 1 bitop3:0xec
	s_delay_alu instid0(VALU_DEP_2) | instskip(NEXT) | instid1(VALU_DEP_2)
	v_cmp_eq_u16_e32 vcc_lo, 0, v29
	v_and_b32_e32 v29, 0xff, v28
	v_cndmask_b32_e32 v87, 0, v85, vcc_lo
	v_cndmask_b32_e32 v86, 0, v61, vcc_lo
	s_delay_alu instid0(VALU_DEP_1)
	v_add_nc_u64_e32 v[10:11], v[86:87], v[10:11]
.LBB713_126:                            ;   in Loop: Header=BB713_119 Depth=1
	s_or_b32 exec_lo, exec_lo, s14
	s_wait_dscnt 0x0
	ds_bpermute_b32 v60, v18, v10
	ds_bpermute_b32 v61, v18, v11
	;; [unrolled: 1-line block ×3, first 2 shown]
	v_and_b32_e32 v86, 1, v28
	s_mov_b32 s14, exec_lo
	s_delay_alu instid0(VALU_DEP_1)
	v_cmp_eq_u32_e64 s15, 1, v86
	v_cmpx_le_u32_e64 v19, v27
	s_cbranch_execz .LBB713_128
; %bb.127:                              ;   in Loop: Header=BB713_119 Depth=1
	v_and_b32_e32 v28, 0xff, v28
	s_delay_alu instid0(VALU_DEP_1) | instskip(SKIP_3) | instid1(VALU_DEP_2)
	v_cmp_eq_u16_e32 vcc_lo, 0, v28
	s_wait_dscnt 0x0
	v_dual_cndmask_b32 v28, 0, v60, vcc_lo :: v_dual_bitop2_b32 v85, 1, v85 bitop3:0x40
	v_cndmask_b32_e32 v29, 0, v61, vcc_lo
	v_cmp_eq_u32_e32 vcc_lo, 1, v85
	s_delay_alu instid0(VALU_DEP_2)
	v_add_nc_u64_e32 v[10:11], v[28:29], v[10:11]
	s_or_b32 s17, s15, vcc_lo
	s_and_not1_b32 s15, s15, exec_lo
	v_cndmask_b32_e64 v28, 0, 1, s17
	v_cndmask_b32_e64 v29, 0, 1, s17
	s_and_b32 s17, s17, exec_lo
	s_delay_alu instid0(SALU_CYCLE_1)
	s_or_b32 s15, s15, s17
.LBB713_128:                            ;   in Loop: Header=BB713_119 Depth=1
	s_or_b32 exec_lo, exec_lo, s14
	s_wait_dscnt 0x2
	ds_bpermute_b32 v60, v20, v10
	s_wait_dscnt 0x2
	ds_bpermute_b32 v61, v20, v11
	;; [unrolled: 2-line block ×3, first 2 shown]
	s_mov_b32 s17, exec_lo
	v_cmpx_le_u32_e64 v21, v27
	s_cbranch_execz .LBB713_130
; %bb.129:                              ;   in Loop: Header=BB713_119 Depth=1
	v_and_b32_e32 v29, 0xff, v28
	s_and_not1_b32 s15, s15, exec_lo
	s_delay_alu instid0(VALU_DEP_1) | instskip(SKIP_4) | instid1(VALU_DEP_3)
	v_cmp_eq_u16_e32 vcc_lo, 0, v29
	v_and_b32_e32 v28, 1, v28
	s_wait_dscnt 0x0
	v_and_b32_e32 v85, 1, v85
	v_cndmask_b32_e32 v29, 0, v61, vcc_lo
	v_cmp_eq_u32_e64 s14, 1, v28
	v_cndmask_b32_e32 v28, 0, v60, vcc_lo
	s_delay_alu instid0(VALU_DEP_4) | instskip(NEXT) | instid1(VALU_DEP_2)
	v_cmp_eq_u32_e32 vcc_lo, 1, v85
	v_add_nc_u64_e32 v[10:11], v[28:29], v[10:11]
	s_or_b32 s14, s14, vcc_lo
	s_delay_alu instid0(SALU_CYCLE_1) | instskip(SKIP_2) | instid1(SALU_CYCLE_1)
	v_cndmask_b32_e64 v28, 0, 1, s14
	v_cndmask_b32_e64 v29, 0, 1, s14
	s_and_b32 s14, s14, exec_lo
	s_or_b32 s15, s15, s14
.LBB713_130:                            ;   in Loop: Header=BB713_119 Depth=1
	s_or_b32 exec_lo, exec_lo, s17
	s_wait_dscnt 0x2
	ds_bpermute_b32 v60, v22, v10
	s_wait_dscnt 0x2
	ds_bpermute_b32 v61, v22, v11
	;; [unrolled: 2-line block ×3, first 2 shown]
	s_mov_b32 s17, exec_lo
	v_cmpx_le_u32_e64 v23, v27
	s_cbranch_execz .LBB713_132
; %bb.131:                              ;   in Loop: Header=BB713_119 Depth=1
	v_and_b32_e32 v29, 0xff, v28
	s_and_not1_b32 s15, s15, exec_lo
	s_delay_alu instid0(VALU_DEP_1) | instskip(SKIP_4) | instid1(VALU_DEP_3)
	v_cmp_eq_u16_e32 vcc_lo, 0, v29
	v_and_b32_e32 v28, 1, v28
	s_wait_dscnt 0x0
	v_and_b32_e32 v85, 1, v85
	v_cndmask_b32_e32 v29, 0, v61, vcc_lo
	v_cmp_eq_u32_e64 s14, 1, v28
	v_cndmask_b32_e32 v28, 0, v60, vcc_lo
	s_delay_alu instid0(VALU_DEP_4) | instskip(NEXT) | instid1(VALU_DEP_2)
	v_cmp_eq_u32_e32 vcc_lo, 1, v85
	v_add_nc_u64_e32 v[10:11], v[28:29], v[10:11]
	s_or_b32 s14, s14, vcc_lo
	s_delay_alu instid0(SALU_CYCLE_1) | instskip(SKIP_2) | instid1(SALU_CYCLE_1)
	v_cndmask_b32_e64 v28, 0, 1, s14
	v_cndmask_b32_e64 v29, 0, 1, s14
	s_and_b32 s14, s14, exec_lo
	s_or_b32 s15, s15, s14
.LBB713_132:                            ;   in Loop: Header=BB713_119 Depth=1
	s_or_b32 exec_lo, exec_lo, s17
	s_wait_dscnt 0x2
	ds_bpermute_b32 v60, v24, v10
	s_wait_dscnt 0x2
	ds_bpermute_b32 v61, v24, v11
	ds_bpermute_b32 v29, v24, v29
	s_mov_b32 s17, exec_lo
	v_cmpx_le_u32_e64 v26, v27
	s_cbranch_execz .LBB713_117
; %bb.133:                              ;   in Loop: Header=BB713_119 Depth=1
	v_and_b32_e32 v27, 0xff, v28
	s_and_not1_b32 s15, s15, exec_lo
	s_delay_alu instid0(VALU_DEP_1) | instskip(SKIP_4) | instid1(VALU_DEP_3)
	v_cmp_eq_u16_e32 vcc_lo, 0, v27
	v_and_b32_e32 v27, 1, v28
	s_wait_dscnt 0x0
	v_dual_cndmask_b32 v28, 0, v60, vcc_lo :: v_dual_bitop2_b32 v85, 1, v29 bitop3:0x40
	v_cndmask_b32_e32 v29, 0, v61, vcc_lo
	v_cmp_eq_u32_e32 vcc_lo, 1, v27
	s_delay_alu instid0(VALU_DEP_3) | instskip(NEXT) | instid1(VALU_DEP_3)
	v_cmp_eq_u32_e64 s14, 1, v85
	v_add_nc_u64_e32 v[10:11], v[28:29], v[10:11]
	s_or_b32 s14, vcc_lo, s14
	s_delay_alu instid0(SALU_CYCLE_1) | instskip(NEXT) | instid1(SALU_CYCLE_1)
	s_and_b32 s14, s14, exec_lo
	s_or_b32 s15, s15, s14
	s_branch .LBB713_117
.LBB713_134:
	s_or_b32 exec_lo, exec_lo, s13
                                        ; implicit-def: $vgpr30_vgpr31
	s_and_saveexec_b32 s13, s0
	s_cbranch_execz .LBB713_33
.LBB713_135:
	flat_load_b64 v[30:31], v0, s[14:15] offset:2048 scale_offset
	s_wait_xcnt 0x0
	s_or_b32 exec_lo, exec_lo, s13
                                        ; implicit-def: $vgpr32_vgpr33
	s_and_saveexec_b32 s0, s1
	s_cbranch_execnz .LBB713_34
.LBB713_136:
	s_or_b32 exec_lo, exec_lo, s0
                                        ; implicit-def: $vgpr34_vgpr35
	s_and_saveexec_b32 s0, s2
	s_cbranch_execz .LBB713_35
.LBB713_137:
	flat_load_b64 v[34:35], v0, s[14:15] offset:6144 scale_offset
	s_wait_xcnt 0x0
	s_or_b32 exec_lo, exec_lo, s0
                                        ; implicit-def: $vgpr36_vgpr37
	s_and_saveexec_b32 s0, s3
	s_cbranch_execnz .LBB713_36
.LBB713_138:
	s_or_b32 exec_lo, exec_lo, s0
                                        ; implicit-def: $vgpr38_vgpr39
	s_and_saveexec_b32 s0, s4
	s_cbranch_execz .LBB713_37
.LBB713_139:
	flat_load_b64 v[38:39], v0, s[14:15] offset:10240 scale_offset
	s_wait_xcnt 0x0
	s_or_b32 exec_lo, exec_lo, s0
                                        ; implicit-def: $vgpr40_vgpr41
	s_and_saveexec_b32 s0, s5
	s_cbranch_execnz .LBB713_38
.LBB713_140:
	s_or_b32 exec_lo, exec_lo, s0
                                        ; implicit-def: $vgpr42_vgpr43
	s_and_saveexec_b32 s0, s6
	s_cbranch_execz .LBB713_39
.LBB713_141:
	flat_load_b64 v[42:43], v0, s[14:15] offset:14336 scale_offset
	s_wait_xcnt 0x0
	s_or_b32 exec_lo, exec_lo, s0
                                        ; implicit-def: $vgpr44_vgpr45
	s_and_saveexec_b32 s0, s7
	s_cbranch_execnz .LBB713_40
.LBB713_142:
	s_or_b32 exec_lo, exec_lo, s0
                                        ; implicit-def: $vgpr46_vgpr47
	s_and_saveexec_b32 s0, s8
	s_cbranch_execz .LBB713_41
.LBB713_143:
	flat_load_b64 v[46:47], v0, s[14:15] offset:18432 scale_offset
	s_wait_xcnt 0x0
	s_or_b32 exec_lo, exec_lo, s0
                                        ; implicit-def: $vgpr48_vgpr49
	s_and_saveexec_b32 s0, s9
	s_cbranch_execnz .LBB713_42
.LBB713_144:
	s_or_b32 exec_lo, exec_lo, s0
                                        ; implicit-def: $vgpr50_vgpr51
	s_and_saveexec_b32 s0, s10
	s_cbranch_execz .LBB713_43
.LBB713_145:
	flat_load_b64 v[50:51], v0, s[14:15] offset:22528 scale_offset
	s_wait_xcnt 0x0
	s_or_b32 exec_lo, exec_lo, s0
                                        ; implicit-def: $vgpr52_vgpr53
	s_and_saveexec_b32 s0, s11
	s_cbranch_execz .LBB713_45
	s_branch .LBB713_44
.LBB713_146:
                                        ; implicit-def: $vgpr60_vgpr61
                                        ; implicit-def: $vgpr26_vgpr27
                                        ; implicit-def: $vgpr24_vgpr25
                                        ; implicit-def: $vgpr20_vgpr21
                                        ; implicit-def: $vgpr16_vgpr17
                                        ; implicit-def: $vgpr8_vgpr9
                                        ; implicit-def: $vgpr12_vgpr13
                                        ; implicit-def: $vgpr4_vgpr5
	s_cbranch_execnz .LBB713_152
	s_branch .LBB713_171
.LBB713_147:
	s_and_saveexec_b32 s14, s13
	s_cbranch_execz .LBB713_149
; %bb.148:
	v_and_b32_e32 v6, 0xff, v13
	s_add_co_i32 s18, s46, 32
	s_mov_b32 s19, 0
	v_mov_b32_e32 v11, s18
	v_bitop3_b16 v10, v13, 1, v25 bitop3:0xc8
	v_cmp_eq_u32_e32 vcc_lo, 0, v6
	s_lshl_b64 s[20:21], s[18:19], 4
	s_delay_alu instid0(SALU_CYCLE_1) | instskip(SKIP_1) | instid1(VALU_DEP_1)
	s_add_nc_u64 s[18:19], s[38:39], s[20:21]
	v_dual_cndmask_b32 v7, 0, v9 :: v_dual_cndmask_b32 v6, 0, v8
	v_add_nc_u64_e32 v[4:5], v[6:7], v[4:5]
	v_dual_mov_b32 v6, 0 :: v_dual_mov_b32 v7, 2
	s_clause 0x1
	global_store_b64 v6, v[4:5], s[18:19]
	global_store_b8 v6, v10, s[18:19] offset:8
	global_wb scope:SCOPE_DEV
	s_wait_storecnt_dscnt 0x0
	global_inv scope:SCOPE_DEV
	s_wait_xcnt 0x0
	global_store_b8 v11, v7, s[40:41] scope:SCOPE_DEV
.LBB713_149:
	s_wait_xcnt 0x0
	s_or_b32 exec_lo, exec_lo, s14
	s_delay_alu instid0(SALU_CYCLE_1)
	s_and_b32 exec_lo, exec_lo, s12
	s_cbranch_execz .LBB713_151
; %bb.150:
	v_mov_b32_e32 v4, 0
	ds_store_b64 v4, v[8:9]
	ds_store_b8 v4, v25 offset:8
.LBB713_151:
	s_or_b32 exec_lo, exec_lo, s16
	s_wait_dscnt 0x0
	v_and_b32_e32 v6, 0xff, v12
	s_wait_loadcnt 0x0
	s_wait_storecnt 0x0
	s_barrier_signal -1
	s_barrier_wait -1
	v_cmp_eq_u16_e32 vcc_lo, 0, v6
	v_mov_b32_e32 v4, 0
	ds_load_b64 v[4:5], v4
	s_wait_dscnt 0x0
	v_dual_cndmask_b32 v7, 0, v5 :: v_dual_cndmask_b32 v6, 0, v4
	s_delay_alu instid0(VALU_DEP_1) | instskip(SKIP_1) | instid1(VALU_DEP_1)
	v_add_nc_u64_e32 v[2:3], v[6:7], v[2:3]
	v_and_b32_e32 v6, 0xff, v1
	v_cmp_eq_u16_e32 vcc_lo, 0, v6
	s_delay_alu instid0(VALU_DEP_3) | instskip(NEXT) | instid1(VALU_DEP_1)
	v_dual_cndmask_b32 v3, v3, v5, s12 :: v_dual_cndmask_b32 v2, v2, v4, s12
	v_dual_cndmask_b32 v5, 0, v3 :: v_dual_cndmask_b32 v4, 0, v2
	s_delay_alu instid0(VALU_DEP_1) | instskip(NEXT) | instid1(VALU_DEP_1)
	v_add_nc_u64_e32 v[4:5], v[4:5], v[58:59]
	v_dual_cndmask_b32 v7, 0, v5, s0 :: v_dual_cndmask_b32 v6, 0, v4, s0
	s_delay_alu instid0(VALU_DEP_1) | instskip(NEXT) | instid1(VALU_DEP_1)
	v_add_nc_u64_e32 v[10:11], v[6:7], v[54:55]
	v_dual_cndmask_b32 v7, 0, v11, s1 :: v_dual_cndmask_b32 v6, 0, v10, s1
	;; [unrolled: 3-line block ×12, first 2 shown]
	s_branch .LBB713_171
.LBB713_152:
	s_cmp_eq_u64 s[44:45], 0
	v_mov_b64_e32 v[28:29], s[48:49]
	s_cselect_b32 s0, -1, 0
	s_cmp_eq_u64 s[30:31], 0
	s_cselect_b32 s1, -1, 0
	s_delay_alu instid0(SALU_CYCLE_1) | instskip(NEXT) | instid1(SALU_CYCLE_1)
	s_or_b32 s0, s0, s1
	s_and_b32 vcc_lo, exec_lo, s0
	s_cbranch_vccnz .LBB713_154
; %bb.153:
	v_mov_b32_e32 v2, 0
	global_load_b64 v[28:29], v2, s[30:31]
.LBB713_154:
	v_cmp_eq_u16_e32 vcc_lo, 0, v84
	v_cmp_eq_u16_e64 s0, 0, v83
	v_cmp_eq_u16_e64 s1, 0, v82
	;; [unrolled: 1-line block ×4, first 2 shown]
	s_wait_xcnt 0x0
	v_dual_cndmask_b32 v3, 0, v59 :: v_dual_cndmask_b32 v2, 0, v58
	v_cmp_eq_u16_e64 s4, 0, v79
	v_cmp_eq_u16_e64 s5, 0, v78
	;; [unrolled: 1-line block ×4, first 2 shown]
	v_add_nc_u64_e32 v[2:3], v[2:3], v[54:55]
	v_cmp_eq_u16_e64 s8, 0, v75
	v_cmp_eq_u16_e64 s9, 0, v74
	;; [unrolled: 1-line block ×3, first 2 shown]
	v_cmp_ne_u16_e64 s16, 0, v71
	v_cmp_eq_u32_e64 s17, 1, v63
	v_cmp_ne_u16_e64 s18, 0, v72
	v_dual_cndmask_b32 v3, 0, v3, s0 :: v_dual_cndmask_b32 v2, 0, v2, s0
	v_cmp_eq_u32_e64 s19, 1, v62
	v_cmp_eq_u32_e64 s20, 1, v68
	v_cmp_ne_u16_e64 s14, 0, v70
	v_cmp_eq_u32_e64 s15, 1, v64
	v_add_nc_u64_e32 v[2:3], v[2:3], v[52:53]
	s_or_b32 s17, s16, s17
	s_or_b32 s18, s18, s19
	v_cmp_eq_u16_e64 s16, 0, v57
	v_cmp_ne_u16_e64 s12, 0, v69
	v_cmp_eq_u32_e64 s13, 1, v66
	s_or_b32 s18, s20, s18
	v_dual_cndmask_b32 v3, 0, v3, s1 :: v_dual_cndmask_b32 v2, 0, v2, s1
	s_or_b32 s14, s14, s15
	s_or_b32 s15, s18, s17
	v_cmp_eq_u32_e64 s11, 1, v67
	s_or_b32 s12, s12, s13
	v_add_nc_u64_e32 v[2:3], v[2:3], v[50:51]
	s_or_b32 s13, s15, s14
	v_and_b32_e32 v4, 0x70, v65
	s_or_b32 s12, s13, s12
	s_mov_b32 s14, exec_lo
	s_or_b32 s11, s12, s11
	s_delay_alu instid0(VALU_DEP_2) | instskip(SKIP_2) | instid1(VALU_DEP_3)
	v_dual_cndmask_b32 v3, 0, v3, s2 :: v_dual_cndmask_b32 v2, 0, v2, s2
	v_lshl_add_u32 v4, v0, 4, v4
	v_cndmask_b32_e64 v9, 0, 1, s11
	v_add_nc_u64_e32 v[2:3], v[2:3], v[48:49]
	s_delay_alu instid0(VALU_DEP_1) | instskip(NEXT) | instid1(VALU_DEP_1)
	v_dual_cndmask_b32 v3, 0, v3, s3 :: v_dual_cndmask_b32 v2, 0, v2, s3
	v_add_nc_u64_e32 v[2:3], v[2:3], v[46:47]
	s_delay_alu instid0(VALU_DEP_1) | instskip(NEXT) | instid1(VALU_DEP_1)
	v_dual_cndmask_b32 v3, 0, v3, s4 :: v_dual_cndmask_b32 v2, 0, v2, s4
	v_add_nc_u64_e32 v[2:3], v[2:3], v[44:45]
	s_delay_alu instid0(VALU_DEP_1) | instskip(NEXT) | instid1(VALU_DEP_1)
	v_dual_cndmask_b32 v3, 0, v3, s5 :: v_dual_cndmask_b32 v2, 0, v2, s5
	v_add_nc_u64_e32 v[2:3], v[2:3], v[40:41]
	s_delay_alu instid0(VALU_DEP_1) | instskip(NEXT) | instid1(VALU_DEP_1)
	v_dual_cndmask_b32 v3, 0, v3, s6 :: v_dual_cndmask_b32 v2, 0, v2, s6
	v_add_nc_u64_e32 v[2:3], v[2:3], v[38:39]
	s_delay_alu instid0(VALU_DEP_1) | instskip(NEXT) | instid1(VALU_DEP_1)
	v_dual_cndmask_b32 v3, 0, v3, s7 :: v_dual_cndmask_b32 v2, 0, v2, s7
	v_add_nc_u64_e32 v[2:3], v[2:3], v[36:37]
	s_delay_alu instid0(VALU_DEP_1) | instskip(NEXT) | instid1(VALU_DEP_1)
	v_dual_cndmask_b32 v3, 0, v3, s8 :: v_dual_cndmask_b32 v2, 0, v2, s8
	v_add_nc_u64_e32 v[2:3], v[2:3], v[34:35]
	s_delay_alu instid0(VALU_DEP_1) | instskip(NEXT) | instid1(VALU_DEP_1)
	v_dual_cndmask_b32 v3, 0, v3, s9 :: v_dual_cndmask_b32 v2, 0, v2, s9
	v_add_nc_u64_e32 v[2:3], v[2:3], v[32:33]
	s_delay_alu instid0(VALU_DEP_1) | instskip(NEXT) | instid1(VALU_DEP_1)
	v_dual_cndmask_b32 v3, 0, v3, s10 :: v_dual_cndmask_b32 v2, 0, v2, s10
	v_add_nc_u64_e32 v[2:3], v[2:3], v[30:31]
	s_delay_alu instid0(VALU_DEP_1) | instskip(NEXT) | instid1(VALU_DEP_1)
	v_dual_cndmask_b32 v3, 0, v3, s16 :: v_dual_cndmask_b32 v2, 0, v2, s16
	v_add_nc_u64_e32 v[2:3], v[2:3], v[42:43]
	ds_store_b64 v4, v[2:3]
	ds_store_b8 v4, v9 offset:8
	s_wait_loadcnt_dscnt 0x0
	s_barrier_signal -1
	s_barrier_wait -1
	v_cmpx_gt_u32_e32 32, v0
	s_cbranch_execz .LBB713_166
; %bb.155:
	v_dual_lshlrev_b32 v4, 2, v0 :: v_dual_lshlrev_b32 v5, 7, v0
	s_delay_alu instid0(VALU_DEP_1) | instskip(NEXT) | instid1(VALU_DEP_1)
	v_and_b32_e32 v4, 0x3f0, v4
	v_add_nc_u32_e32 v8, v4, v5
	ds_load_u8 v11, v8 offset:24
	ds_load_b64 v[4:5], v8
	ds_load_2addr_b64 v[12:15], v8 offset0:2 offset1:4
	ds_load_u8 v20, v8 offset:40
	ds_load_b32 v10, v8 offset:8
	ds_load_u8 v21, v8 offset:56
	ds_load_u8 v22, v8 offset:72
	ds_load_u8 v23, v8 offset:88
	ds_load_u8 v24, v8 offset:104
	s_wait_dscnt 0x8
	v_cmp_eq_u16_e64 s11, 0, v11
	s_wait_dscnt 0x7
	s_delay_alu instid0(VALU_DEP_1)
	v_dual_cndmask_b32 v7, 0, v5, s11 :: v_dual_cndmask_b32 v6, 0, v4, s11
	s_wait_dscnt 0x5
	v_cmp_eq_u16_e64 s11, 0, v20
	ds_load_2addr_b64 v[16:19], v8 offset0:6 offset1:8
	s_wait_dscnt 0x4
	v_bitop3_b16 v11, v20, v21, v11 bitop3:0xfe
	v_add_nc_u64_e32 v[6:7], v[6:7], v[12:13]
	s_delay_alu instid0(VALU_DEP_1) | instskip(SKIP_1) | instid1(VALU_DEP_2)
	v_dual_cndmask_b32 v7, 0, v7, s11 :: v_dual_cndmask_b32 v6, 0, v6, s11
	v_cmp_eq_u16_e64 s11, 0, v21
	v_add_nc_u64_e32 v[6:7], v[6:7], v[14:15]
	ds_load_2addr_b64 v[12:15], v8 offset0:10 offset1:12
	ds_load_u8 v25, v8 offset:120
	v_dual_cndmask_b32 v7, 0, v7, s11 :: v_dual_cndmask_b32 v6, 0, v6, s11
	s_wait_dscnt 0x5
	v_cmp_eq_u16_e64 s11, 0, v22
	s_wait_dscnt 0x2
	s_delay_alu instid0(VALU_DEP_2) | instskip(SKIP_1) | instid1(VALU_DEP_2)
	v_add_nc_u64_e32 v[6:7], v[6:7], v[16:17]
	v_bitop3_b16 v16, v23, v24, v22 bitop3:0xfe
	v_dual_cndmask_b32 v7, 0, v7, s11 :: v_dual_cndmask_b32 v6, 0, v6, s11
	v_cmp_eq_u16_e64 s11, 0, v23
	s_wait_dscnt 0x0
	s_delay_alu instid0(VALU_DEP_3) | instskip(SKIP_3) | instid1(VALU_DEP_1)
	v_bitop3_b16 v11, v25, v11, v16 bitop3:0xfe
	ds_load_b64 v[16:17], v8 offset:112
	v_cmp_eq_u16_e64 s13, 0, v25
	v_add_nc_u64_e32 v[6:7], v[6:7], v[18:19]
	v_dual_cndmask_b32 v6, 0, v6, s11 :: v_dual_bitop2_b32 v11, 1, v11 bitop3:0x40
	s_delay_alu instid0(VALU_DEP_2) | instskip(SKIP_1) | instid1(VALU_DEP_3)
	v_cndmask_b32_e64 v7, 0, v7, s11
	v_cmp_eq_u16_e64 s11, 0, v24
	v_cmp_eq_u32_e64 s12, 1, v11
	v_and_b32_e32 v11, 0xffffff00, v10
	s_delay_alu instid0(VALU_DEP_4) | instskip(NEXT) | instid1(VALU_DEP_1)
	v_add_nc_u64_e32 v[6:7], v[6:7], v[12:13]
	v_dual_cndmask_b32 v7, 0, v7, s11 :: v_dual_bitop2_b32 v12, 1, v10 bitop3:0x40
	s_delay_alu instid0(VALU_DEP_2) | instskip(NEXT) | instid1(VALU_DEP_2)
	v_cndmask_b32_e64 v6, 0, v6, s11
	v_cmp_eq_u32_e64 s11, 1, v12
	v_mbcnt_lo_u32_b32 v12, -1, 0
	s_delay_alu instid0(VALU_DEP_3) | instskip(SKIP_1) | instid1(SALU_CYCLE_1)
	v_add_nc_u64_e32 v[6:7], v[6:7], v[14:15]
	s_or_b32 s12, s12, s11
	v_cndmask_b32_e64 v14, 0, 1, s12
	v_cndmask_b32_e64 v13, 0, 1, s12
	s_delay_alu instid0(VALU_DEP_3) | instskip(NEXT) | instid1(VALU_DEP_3)
	v_dual_cndmask_b32 v7, 0, v7, s13 :: v_dual_cndmask_b32 v6, 0, v6, s13
	v_or_b32_e32 v15, v11, v14
	v_and_b32_e32 v14, 15, v12
	s_mov_b32 s13, exec_lo
	s_wait_dscnt 0x0
	v_add_nc_u64_e32 v[6:7], v[6:7], v[16:17]
	v_mov_b32_dpp v17, v15 row_shr:1 row_mask:0xf bank_mask:0xf
	s_delay_alu instid0(VALU_DEP_2) | instskip(NEXT) | instid1(VALU_DEP_3)
	v_mov_b32_dpp v16, v6 row_shr:1 row_mask:0xf bank_mask:0xf
	v_mov_b32_dpp v18, v7 row_shr:1 row_mask:0xf bank_mask:0xf
	v_cmpx_ne_u32_e32 0, v14
; %bb.156:
	s_delay_alu instid0(VALU_DEP_4) | instskip(NEXT) | instid1(VALU_DEP_3)
	v_bitop3_b16 v13, v17, v13, 1 bitop3:0xec
	v_cndmask_b32_e64 v17, v18, 0, s12
	v_cndmask_b32_e64 v16, v16, 0, s12
	s_delay_alu instid0(VALU_DEP_3) | instskip(NEXT) | instid1(VALU_DEP_2)
	v_and_b32_e32 v15, 0xffff, v13
	v_add_nc_u64_e32 v[6:7], v[16:17], v[6:7]
	s_delay_alu instid0(VALU_DEP_2)
	v_or_b32_e32 v15, v11, v15
; %bb.157:
	s_or_b32 exec_lo, exec_lo, s13
	s_delay_alu instid0(VALU_DEP_2) | instskip(NEXT) | instid1(VALU_DEP_3)
	v_mov_b32_dpp v16, v6 row_shr:2 row_mask:0xf bank_mask:0xf
	v_mov_b32_dpp v17, v7 row_shr:2 row_mask:0xf bank_mask:0xf
	s_delay_alu instid0(VALU_DEP_3)
	v_mov_b32_dpp v18, v15 row_shr:2 row_mask:0xf bank_mask:0xf
	s_mov_b32 s15, exec_lo
	v_cmpx_lt_u32_e32 1, v14
	s_cbranch_execz .LBB713_159
; %bb.158:
	v_cmp_eq_u16_e64 s11, 0, v13
	v_and_b32_e32 v15, 1, v13
	s_delay_alu instid0(VALU_DEP_2) | instskip(SKIP_1) | instid1(VALU_DEP_3)
	v_dual_cndmask_b32 v17, 0, v17, s11 :: v_dual_bitop2_b32 v18, 1, v18 bitop3:0x40
	v_cndmask_b32_e64 v16, 0, v16, s11
	v_cmp_eq_u32_e64 s12, 1, v15
	s_delay_alu instid0(VALU_DEP_3) | instskip(NEXT) | instid1(VALU_DEP_3)
	v_cmp_eq_u32_e64 s13, 1, v18
	v_add_nc_u64_e32 v[6:7], v[16:17], v[6:7]
	s_or_b32 s11, s12, s13
	s_delay_alu instid0(SALU_CYCLE_1) | instskip(SKIP_1) | instid1(VALU_DEP_2)
	v_cndmask_b32_e64 v15, 0, 1, s11
	v_cndmask_b32_e64 v13, 0, 1, s11
	v_or_b32_e32 v15, v11, v15
.LBB713_159:
	s_or_b32 exec_lo, exec_lo, s15
	s_delay_alu instid0(VALU_DEP_4) | instskip(SKIP_1) | instid1(VALU_DEP_3)
	v_mov_b32_dpp v16, v6 row_shr:4 row_mask:0xf bank_mask:0xf
	v_mov_b32_dpp v17, v7 row_shr:4 row_mask:0xf bank_mask:0xf
	;; [unrolled: 1-line block ×3, first 2 shown]
	s_mov_b32 s15, exec_lo
	v_cmpx_lt_u32_e32 3, v14
	s_cbranch_execz .LBB713_161
; %bb.160:
	v_cmp_eq_u16_e64 s11, 0, v13
	v_and_b32_e32 v15, 1, v13
	s_delay_alu instid0(VALU_DEP_2) | instskip(SKIP_1) | instid1(VALU_DEP_3)
	v_dual_cndmask_b32 v17, 0, v17, s11 :: v_dual_bitop2_b32 v18, 1, v18 bitop3:0x40
	v_cndmask_b32_e64 v16, 0, v16, s11
	v_cmp_eq_u32_e64 s12, 1, v15
	s_delay_alu instid0(VALU_DEP_3) | instskip(NEXT) | instid1(VALU_DEP_3)
	v_cmp_eq_u32_e64 s13, 1, v18
	v_add_nc_u64_e32 v[6:7], v[16:17], v[6:7]
	s_or_b32 s11, s12, s13
	s_delay_alu instid0(SALU_CYCLE_1) | instskip(SKIP_1) | instid1(VALU_DEP_2)
	v_cndmask_b32_e64 v15, 0, 1, s11
	v_cndmask_b32_e64 v13, 0, 1, s11
	v_or_b32_e32 v15, v11, v15
.LBB713_161:
	s_or_b32 exec_lo, exec_lo, s15
	s_delay_alu instid0(VALU_DEP_4) | instskip(SKIP_1) | instid1(VALU_DEP_3)
	v_mov_b32_dpp v16, v6 row_shr:8 row_mask:0xf bank_mask:0xf
	v_mov_b32_dpp v17, v7 row_shr:8 row_mask:0xf bank_mask:0xf
	;; [unrolled: 1-line block ×3, first 2 shown]
	s_mov_b32 s15, exec_lo
	v_cmpx_lt_u32_e32 7, v14
	s_cbranch_execz .LBB713_163
; %bb.162:
	v_and_b32_e32 v14, 1, v13
	v_cmp_eq_u16_e64 s11, 0, v13
	v_and_b32_e32 v15, 1, v18
	s_delay_alu instid0(VALU_DEP_3) | instskip(NEXT) | instid1(VALU_DEP_3)
	v_cmp_eq_u32_e64 s12, 1, v14
	v_cndmask_b32_e64 v14, 0, v16, s11
	s_delay_alu instid0(VALU_DEP_3) | instskip(SKIP_2) | instid1(VALU_DEP_1)
	v_cmp_eq_u32_e64 s13, 1, v15
	v_cndmask_b32_e64 v15, 0, v17, s11
	s_or_b32 s11, s12, s13
	v_add_nc_u64_e32 v[6:7], v[14:15], v[6:7]
	v_cndmask_b32_e64 v16, 0, 1, s11
	v_cndmask_b32_e64 v13, 0, 1, s11
	s_delay_alu instid0(VALU_DEP_2)
	v_or_b32_e32 v15, v11, v16
.LBB713_163:
	s_or_b32 exec_lo, exec_lo, s15
	ds_swizzle_b32 v14, v6 offset:swizzle(BROADCAST,32,15)
	ds_swizzle_b32 v16, v7 offset:swizzle(BROADCAST,32,15)
	;; [unrolled: 1-line block ×3, first 2 shown]
	v_and_b32_e32 v17, 16, v12
	s_mov_b32 s13, exec_lo
	s_delay_alu instid0(VALU_DEP_1)
	v_cmpx_ne_u32_e32 0, v17
	s_cbranch_execz .LBB713_165
; %bb.164:
	v_cmp_eq_u16_e64 s11, 0, v13
	v_and_b32_e32 v13, 1, v13
	s_wait_dscnt 0x0
	s_delay_alu instid0(VALU_DEP_2) | instskip(SKIP_1) | instid1(VALU_DEP_3)
	v_dual_cndmask_b32 v14, 0, v14, s11 :: v_dual_bitop2_b32 v17, 1, v15 bitop3:0x40
	v_cndmask_b32_e64 v15, 0, v16, s11
	v_cmp_eq_u32_e64 s11, 1, v13
	s_delay_alu instid0(VALU_DEP_3) | instskip(NEXT) | instid1(VALU_DEP_3)
	v_cmp_eq_u32_e64 s12, 1, v17
	v_add_nc_u64_e32 v[6:7], v[14:15], v[6:7]
	s_or_b32 s11, s11, s12
	s_delay_alu instid0(SALU_CYCLE_1)
	v_cndmask_b32_e64 v13, 0, 1, s11
.LBB713_165:
	s_or_b32 exec_lo, exec_lo, s13
	s_wait_dscnt 0x2
	v_add_nc_u32_e32 v14, -1, v12
	s_delay_alu instid0(VALU_DEP_2) | instskip(NEXT) | instid1(VALU_DEP_2)
	v_and_b32_e32 v13, 0xffff, v13
	; wave barrier
	v_cmp_gt_i32_e64 s11, 0, v14
	s_delay_alu instid0(VALU_DEP_1) | instskip(NEXT) | instid1(VALU_DEP_1)
	v_dual_cndmask_b32 v12, v14, v12, s11 :: v_dual_bitop2_b32 v11, v11, v13 bitop3:0x54
	v_lshlrev_b32_e32 v12, 2, v12
	ds_bpermute_b32 v7, v12, v7
	ds_bpermute_b32 v6, v12, v6
	;; [unrolled: 1-line block ×3, first 2 shown]
	v_and_b32_e32 v12, 0xff, v10
	s_delay_alu instid0(VALU_DEP_1) | instskip(SKIP_1) | instid1(VALU_DEP_1)
	v_cmp_eq_u32_e64 s11, 0, v12
	s_wait_dscnt 0x1
	v_dual_cndmask_b32 v7, 0, v7, s11 :: v_dual_cndmask_b32 v6, 0, v6, s11
	v_cmp_eq_u32_e64 s11, 0, v0
	s_wait_dscnt 0x0
	v_or_b32_e32 v10, v11, v10
	s_delay_alu instid0(VALU_DEP_3) | instskip(NEXT) | instid1(VALU_DEP_1)
	v_add_nc_u64_e32 v[4:5], v[6:7], v[4:5]
	v_dual_cndmask_b32 v7, v5, v3, s11 :: v_dual_bitop2_b32 v6, 1, v10 bitop3:0x40
	s_delay_alu instid0(VALU_DEP_1)
	v_dual_cndmask_b32 v9, v6, v9, s11 :: v_dual_cndmask_b32 v6, v4, v2, s11
	ds_store_b64 v8, v[6:7]
	ds_store_b8 v8, v9 offset:8
	; wave barrier
	ds_load_u8 v20, v8 offset:24
	ds_load_2addr_b64 v[2:5], v8 offset0:2 offset1:4
	ds_load_u8 v21, v8 offset:40
	ds_load_u8 v22, v8 offset:56
	;; [unrolled: 1-line block ×5, first 2 shown]
	ds_load_b64 v[14:15], v8 offset:112
	ds_load_u8 v26, v8 offset:120
	s_wait_dscnt 0x8
	v_and_b32_e32 v10, 0xff, v20
	v_bitop3_b16 v42, v20, 1, v9 bitop3:0xc8
	s_wait_dscnt 0x5
	v_and_b32_e32 v18, 0xff, v22
	s_delay_alu instid0(VALU_DEP_3) | instskip(SKIP_3) | instid1(VALU_DEP_3)
	v_cmp_eq_u16_e64 s11, 0, v10
	v_and_b32_e32 v10, 0xff, v21
	s_wait_dscnt 0x3
	v_and_b32_e32 v27, 0xff, v24
	v_dual_cndmask_b32 v7, 0, v7, s11 :: v_dual_cndmask_b32 v6, 0, v6, s11
	s_delay_alu instid0(VALU_DEP_3) | instskip(SKIP_2) | instid1(VALU_DEP_1)
	v_cmp_eq_u16_e64 s11, 0, v10
	ds_load_2addr_b64 v[10:13], v8 offset0:6 offset1:8
	v_add_nc_u64_e32 v[6:7], v[6:7], v[2:3]
	v_dual_cndmask_b32 v3, 0, v7, s11 :: v_dual_cndmask_b32 v2, 0, v6, s11
	v_cmp_eq_u16_e64 s11, 0, v18
	s_delay_alu instid0(VALU_DEP_2) | instskip(SKIP_1) | instid1(VALU_DEP_2)
	v_add_nc_u64_e32 v[16:17], v[2:3], v[4:5]
	v_and_b32_e32 v4, 0xff, v23
	v_dual_cndmask_b32 v3, 0, v17, s11 :: v_dual_cndmask_b32 v2, 0, v16, s11
	s_delay_alu instid0(VALU_DEP_2) | instskip(SKIP_1) | instid1(VALU_DEP_2)
	v_cmp_eq_u16_e64 s11, 0, v4
	s_wait_dscnt 0x0
	v_add_nc_u64_e32 v[10:11], v[2:3], v[10:11]
	ds_load_2addr_b64 v[2:5], v8 offset0:10 offset1:12
	v_dual_cndmask_b32 v19, 0, v11, s11 :: v_dual_cndmask_b32 v18, 0, v10, s11
	v_cmp_eq_u16_e64 s11, 0, v27
	v_and_b32_e32 v27, 0xff, v25
	s_delay_alu instid0(VALU_DEP_3) | instskip(NEXT) | instid1(VALU_DEP_1)
	v_add_nc_u64_e32 v[12:13], v[18:19], v[12:13]
	v_dual_cndmask_b32 v19, 0, v13, s11 :: v_dual_cndmask_b32 v18, 0, v12, s11
	s_delay_alu instid0(VALU_DEP_3) | instskip(SKIP_4) | instid1(VALU_DEP_3)
	v_cmp_eq_u16_e64 s11, 0, v27
	v_or_b32_e32 v27, v20, v9
	v_bitop3_b16 v9, v21, v20, v9 bitop3:0xfe
	s_wait_dscnt 0x0
	v_add_nc_u64_e32 v[2:3], v[18:19], v[2:3]
	v_bitop3_b16 v20, v22, v21, v27 bitop3:0xfe
	v_bitop3_b16 v21, v21, 1, v27 bitop3:0xc8
	;; [unrolled: 1-line block ×4, first 2 shown]
	v_dual_cndmask_b32 v19, 0, v3, s11 :: v_dual_cndmask_b32 v18, 0, v2, s11
	v_cmp_eq_u16_e64 s11, 0, v26
	s_delay_alu instid0(VALU_DEP_3) | instskip(SKIP_1) | instid1(VALU_DEP_4)
	v_bitop3_b16 v22, v25, v24, v9 bitop3:0xfe
	v_bitop3_b16 v9, v24, 1, v9 bitop3:0xc8
	v_add_nc_u64_e32 v[4:5], v[18:19], v[4:5]
	v_bitop3_b16 v18, v24, v23, v20 bitop3:0xfe
	v_bitop3_b16 v20, v23, 1, v20 bitop3:0xc8
	ds_store_2addr_b64 v8, v[6:7], v[16:17] offset0:2 offset1:4
	ds_store_2addr_b64 v8, v[10:11], v[12:13] offset0:6 offset1:8
	;; [unrolled: 1-line block ×3, first 2 shown]
	v_bitop3_b16 v23, v25, 1, v18 bitop3:0xc8
	v_dual_cndmask_b32 v19, 0, v5, s11 :: v_dual_cndmask_b32 v18, 0, v4, s11
	v_bitop3_b16 v22, v26, 1, v22 bitop3:0xc8
	s_delay_alu instid0(VALU_DEP_2)
	v_add_nc_u64_e32 v[2:3], v[18:19], v[14:15]
	ds_store_b8 v8, v42 offset:24
	ds_store_b8 v8, v21 offset:40
	;; [unrolled: 1-line block ×6, first 2 shown]
	ds_store_b64 v8, v[2:3] offset:112
	ds_store_b8 v8, v22 offset:120
.LBB713_166:
	s_or_b32 exec_lo, exec_lo, s14
	v_mov_b64_e32 v[2:3], v[28:29]
	v_cmp_eq_u32_e64 s11, 0, v0
	s_mov_b32 s13, exec_lo
	s_wait_dscnt 0x0
	s_barrier_signal -1
	s_barrier_wait -1
	v_cmpx_ne_u32_e32 0, v0
	s_cbranch_execz .LBB713_168
; %bb.167:
	v_add_nc_u32_e32 v2, -1, v0
	s_delay_alu instid0(VALU_DEP_1) | instskip(NEXT) | instid1(VALU_DEP_1)
	v_lshrrev_b32_e32 v3, 1, v2
	v_and_b32_e32 v3, 0x7ffffff0, v3
	s_delay_alu instid0(VALU_DEP_1) | instskip(SKIP_4) | instid1(VALU_DEP_1)
	v_lshl_add_u32 v2, v2, 4, v3
	ds_load_u8 v4, v2 offset:8
	ds_load_b64 v[2:3], v2
	s_wait_dscnt 0x1
	v_cmp_eq_u16_e64 s12, 0, v4
	v_dual_cndmask_b32 v5, 0, v29, s12 :: v_dual_cndmask_b32 v4, 0, v28, s12
	s_wait_dscnt 0x0
	s_delay_alu instid0(VALU_DEP_1)
	v_add_nc_u64_e32 v[2:3], v[4:5], v[2:3]
.LBB713_168:
	s_or_b32 exec_lo, exec_lo, s13
	v_and_b32_e32 v1, 0xff, v1
	s_delay_alu instid0(VALU_DEP_1) | instskip(NEXT) | instid1(VALU_DEP_1)
	v_cmp_eq_u16_e64 s12, 0, v1
	v_dual_cndmask_b32 v5, 0, v3, s12 :: v_dual_cndmask_b32 v4, 0, v2, s12
	s_delay_alu instid0(VALU_DEP_1) | instskip(NEXT) | instid1(VALU_DEP_1)
	v_add_nc_u64_e32 v[4:5], v[4:5], v[58:59]
	v_dual_cndmask_b32 v7, 0, v5 :: v_dual_cndmask_b32 v6, 0, v4
	s_delay_alu instid0(VALU_DEP_1) | instskip(NEXT) | instid1(VALU_DEP_1)
	v_add_nc_u64_e32 v[10:11], v[6:7], v[54:55]
	v_dual_cndmask_b32 v7, 0, v11, s0 :: v_dual_cndmask_b32 v6, 0, v10, s0
	s_delay_alu instid0(VALU_DEP_1) | instskip(NEXT) | instid1(VALU_DEP_1)
	v_add_nc_u64_e32 v[12:13], v[6:7], v[52:53]
	v_dual_cndmask_b32 v7, 0, v13, s1 :: v_dual_cndmask_b32 v6, 0, v12, s1
	;; [unrolled: 3-line block ×11, first 2 shown]
	s_and_saveexec_b32 s0, s11
	s_cbranch_execz .LBB713_170
; %bb.169:
	v_mov_b32_e32 v1, 0
	ds_load_u8 v34, v1 offset:4200
	ds_load_b64 v[32:33], v1 offset:4192
	s_wait_dscnt 0x1
	v_and_b32_e32 v35, 0xffff, v34
	s_delay_alu instid0(VALU_DEP_1) | instskip(SKIP_2) | instid1(VALU_DEP_1)
	v_cmp_eq_u32_e32 vcc_lo, 0, v35
	v_dual_cndmask_b32 v29, 0, v29 :: v_dual_cndmask_b32 v28, 0, v28
	s_wait_dscnt 0x0
	v_add_nc_u64_e32 v[28:29], v[28:29], v[32:33]
	v_mov_b32_e32 v32, 2
	s_clause 0x1
	global_store_b64 v1, v[28:29], s[38:39] offset:512
	global_store_b8 v1, v34, s[38:39] offset:520
	global_wb scope:SCOPE_DEV
	s_wait_storecnt 0x0
	global_inv scope:SCOPE_DEV
	s_wait_xcnt 0x0
	global_store_b8 v1, v32, s[40:41] offset:32 scope:SCOPE_DEV
.LBB713_170:
	s_wait_xcnt 0x0
	s_or_b32 exec_lo, exec_lo, s0
.LBB713_171:
	s_delay_alu instid0(VALU_DEP_1)
	v_add_nc_u64_e32 v[28:29], v[60:61], v[30:31]
	s_add_nc_u64 s[0:1], s[26:27], s[34:35]
	s_and_b32 vcc_lo, exec_lo, s23
	s_add_nc_u64 s[0:1], s[0:1], s[24:25]
	s_cbranch_vccz .LBB713_219
; %bb.172:
	v_mul_u32_u24_e32 v1, 14, v0
	s_add_co_i32 s28, s28, s42
	s_mov_b32 s2, exec_lo
	s_delay_alu instid0(VALU_DEP_1)
	v_cmpx_gt_u32_e64 s28, v1
	s_cbranch_execz .LBB713_192
; %bb.173:
	v_or_b32_e32 v30, 1, v1
	s_mov_b32 s3, exec_lo
	s_delay_alu instid0(VALU_DEP_1)
	v_cmpx_gt_u32_e64 s28, v30
	s_cbranch_execz .LBB713_191
; %bb.174:
	v_add_nc_u32_e32 v30, 2, v1
	s_mov_b32 s4, exec_lo
	s_delay_alu instid0(VALU_DEP_1)
	v_cmpx_gt_u32_e64 s28, v30
	s_cbranch_execz .LBB713_190
; %bb.175:
	v_add_nc_u32_e32 v30, 3, v1
	;; [unrolled: 6-line block ×8, first 2 shown]
	s_mov_b32 s11, exec_lo
	s_delay_alu instid0(VALU_DEP_1)
	v_cmpx_gt_u32_e64 s28, v30
; %bb.182:
	v_add_nc_u32_e32 v30, 10, v1
	s_mov_b32 s12, exec_lo
	s_delay_alu instid0(VALU_DEP_1)
	v_cmpx_gt_u32_e64 s28, v30
	s_or_b32 exec_lo, exec_lo, s12
; %bb.183:
	s_delay_alu instid0(SALU_CYCLE_1)
	s_or_b32 exec_lo, exec_lo, s11
.LBB713_184:
	s_delay_alu instid0(SALU_CYCLE_1)
	s_or_b32 exec_lo, exec_lo, s10
.LBB713_185:
	s_delay_alu instid0(SALU_CYCLE_1)
	s_or_b32 exec_lo, exec_lo, s9
.LBB713_186:
	s_delay_alu instid0(SALU_CYCLE_1)
	s_or_b32 exec_lo, exec_lo, s8
.LBB713_187:
	s_delay_alu instid0(SALU_CYCLE_1)
	s_or_b32 exec_lo, exec_lo, s7
.LBB713_188:
	s_delay_alu instid0(SALU_CYCLE_1)
	s_or_b32 exec_lo, exec_lo, s6
.LBB713_189:
	s_delay_alu instid0(SALU_CYCLE_1)
	s_or_b32 exec_lo, exec_lo, s5
.LBB713_190:
	s_delay_alu instid0(SALU_CYCLE_1)
	s_or_b32 exec_lo, exec_lo, s4
.LBB713_191:
	s_delay_alu instid0(SALU_CYCLE_1)
	s_or_b32 exec_lo, exec_lo, s3
.LBB713_192:
	s_delay_alu instid0(SALU_CYCLE_1)
	s_or_b32 exec_lo, exec_lo, s2
	v_dual_lshlrev_b32 v1, 3, v1 :: v_dual_mov_b32 v57, 0
	s_wait_loadcnt 0x0
	s_wait_storecnt 0x0
	s_barrier_signal -1
	s_barrier_wait -1
	v_mad_i32_i24 v30, 0xffffff98, v0, v1
	ds_store_b128 v1, v[2:5]
	ds_store_b128 v1, v[10:13] offset:16
	ds_store_b128 v1, v[6:9] offset:32
	ds_store_b128 v1, v[14:17] offset:48
	ds_store_b128 v1, v[18:21] offset:64
	ds_store_b128 v1, v[22:25] offset:80
	ds_store_b128 v1, v[26:29] offset:96
	s_wait_dscnt 0x0
	s_barrier_signal -1
	s_barrier_wait -1
	ds_load_2addr_stride64_b64 v[52:55], v30 offset0:4 offset1:8
	ds_load_2addr_stride64_b64 v[48:51], v30 offset0:12 offset1:16
	;; [unrolled: 1-line block ×6, first 2 shown]
	ds_load_b64 v[30:31], v30 offset:26624
	v_add_nc_u64_e32 v[56:57], s[0:1], v[56:57]
	s_mov_b32 s2, exec_lo
	v_cmpx_gt_u32_e64 s28, v0
	s_cbranch_execz .LBB713_194
; %bb.193:
	v_mul_i32_i24_e32 v58, 0xffffff98, v0
	s_delay_alu instid0(VALU_DEP_1)
	v_add_nc_u32_e32 v1, v1, v58
	ds_load_b64 v[58:59], v1
	s_wait_dscnt 0x0
	flat_store_b64 v[56:57], v[58:59]
.LBB713_194:
	s_wait_xcnt 0x0
	s_or_b32 exec_lo, exec_lo, s2
	v_or_b32_e32 v1, 0x100, v0
	s_mov_b32 s2, exec_lo
	s_delay_alu instid0(VALU_DEP_1)
	v_cmpx_gt_u32_e64 s28, v1
	s_cbranch_execz .LBB713_196
; %bb.195:
	s_wait_dscnt 0x6
	flat_store_b64 v[56:57], v[52:53] offset:2048
.LBB713_196:
	s_wait_xcnt 0x0
	s_or_b32 exec_lo, exec_lo, s2
	v_or_b32_e32 v1, 0x200, v0
	s_mov_b32 s2, exec_lo
	s_delay_alu instid0(VALU_DEP_1)
	v_cmpx_gt_u32_e64 s28, v1
	s_cbranch_execz .LBB713_198
; %bb.197:
	s_wait_dscnt 0x6
	flat_store_b64 v[56:57], v[54:55] offset:4096
.LBB713_198:
	s_wait_xcnt 0x0
	s_or_b32 exec_lo, exec_lo, s2
	v_or_b32_e32 v1, 0x300, v0
	s_mov_b32 s2, exec_lo
	s_delay_alu instid0(VALU_DEP_1)
	v_cmpx_gt_u32_e64 s28, v1
	s_cbranch_execz .LBB713_200
; %bb.199:
	s_wait_dscnt 0x5
	flat_store_b64 v[56:57], v[48:49] offset:6144
.LBB713_200:
	s_wait_xcnt 0x0
	s_or_b32 exec_lo, exec_lo, s2
	v_or_b32_e32 v1, 0x400, v0
	s_mov_b32 s2, exec_lo
	s_delay_alu instid0(VALU_DEP_1)
	v_cmpx_gt_u32_e64 s28, v1
	s_cbranch_execz .LBB713_202
; %bb.201:
	s_wait_dscnt 0x5
	flat_store_b64 v[56:57], v[50:51] offset:8192
.LBB713_202:
	s_wait_xcnt 0x0
	s_or_b32 exec_lo, exec_lo, s2
	v_or_b32_e32 v1, 0x500, v0
	s_mov_b32 s2, exec_lo
	s_delay_alu instid0(VALU_DEP_1)
	v_cmpx_gt_u32_e64 s28, v1
	s_cbranch_execz .LBB713_204
; %bb.203:
	s_wait_dscnt 0x4
	flat_store_b64 v[56:57], v[44:45] offset:10240
.LBB713_204:
	s_wait_xcnt 0x0
	s_or_b32 exec_lo, exec_lo, s2
	v_or_b32_e32 v1, 0x600, v0
	s_mov_b32 s2, exec_lo
	s_delay_alu instid0(VALU_DEP_1)
	v_cmpx_gt_u32_e64 s28, v1
	s_cbranch_execz .LBB713_206
; %bb.205:
	s_wait_dscnt 0x4
	flat_store_b64 v[56:57], v[46:47] offset:12288
.LBB713_206:
	s_wait_xcnt 0x0
	s_or_b32 exec_lo, exec_lo, s2
	v_or_b32_e32 v1, 0x700, v0
	s_mov_b32 s2, exec_lo
	s_delay_alu instid0(VALU_DEP_1)
	v_cmpx_gt_u32_e64 s28, v1
	s_cbranch_execz .LBB713_208
; %bb.207:
	s_wait_dscnt 0x3
	flat_store_b64 v[56:57], v[40:41] offset:14336
.LBB713_208:
	s_wait_xcnt 0x0
	s_or_b32 exec_lo, exec_lo, s2
	v_or_b32_e32 v1, 0x800, v0
	s_mov_b32 s2, exec_lo
	s_delay_alu instid0(VALU_DEP_1)
	v_cmpx_gt_u32_e64 s28, v1
	s_cbranch_execz .LBB713_210
; %bb.209:
	s_wait_dscnt 0x3
	flat_store_b64 v[56:57], v[42:43] offset:16384
.LBB713_210:
	s_wait_xcnt 0x0
	s_or_b32 exec_lo, exec_lo, s2
	v_or_b32_e32 v1, 0x900, v0
	s_mov_b32 s2, exec_lo
	s_delay_alu instid0(VALU_DEP_1)
	v_cmpx_gt_u32_e64 s28, v1
	s_cbranch_execz .LBB713_212
; %bb.211:
	s_wait_dscnt 0x2
	flat_store_b64 v[56:57], v[36:37] offset:18432
.LBB713_212:
	s_wait_xcnt 0x0
	s_or_b32 exec_lo, exec_lo, s2
	v_or_b32_e32 v1, 0xa00, v0
	s_mov_b32 s2, exec_lo
	s_delay_alu instid0(VALU_DEP_1)
	v_cmpx_gt_u32_e64 s28, v1
	s_cbranch_execz .LBB713_214
; %bb.213:
	s_wait_dscnt 0x2
	flat_store_b64 v[56:57], v[38:39] offset:20480
.LBB713_214:
	s_wait_xcnt 0x0
	s_or_b32 exec_lo, exec_lo, s2
	v_or_b32_e32 v1, 0xb00, v0
	s_mov_b32 s2, exec_lo
	s_delay_alu instid0(VALU_DEP_1)
	v_cmpx_gt_u32_e64 s28, v1
	s_cbranch_execz .LBB713_216
; %bb.215:
	s_wait_dscnt 0x1
	flat_store_b64 v[56:57], v[32:33] offset:22528
.LBB713_216:
	s_wait_xcnt 0x0
	s_or_b32 exec_lo, exec_lo, s2
	v_or_b32_e32 v1, 0xc00, v0
	s_mov_b32 s2, exec_lo
	s_delay_alu instid0(VALU_DEP_1)
	v_cmpx_gt_u32_e64 s28, v1
	s_cbranch_execz .LBB713_218
; %bb.217:
	s_wait_dscnt 0x1
	flat_store_b64 v[56:57], v[34:35] offset:24576
.LBB713_218:
	s_wait_xcnt 0x0
	s_or_b32 exec_lo, exec_lo, s2
	v_or_b32_e32 v1, 0xd00, v0
	s_delay_alu instid0(VALU_DEP_1)
	v_cmp_gt_u32_e64 s2, s28, v1
	s_branch .LBB713_221
.LBB713_219:
	s_mov_b32 s2, 0
                                        ; implicit-def: $vgpr30_vgpr31
	s_cbranch_execz .LBB713_221
; %bb.220:
	v_mul_u32_u24_e32 v1, 0x70, v0
	s_wait_storecnt 0x0
	s_wait_loadcnt_dscnt 0x0
	s_barrier_signal -1
	s_barrier_wait -1
	ds_store_b128 v1, v[2:5]
	ds_store_b128 v1, v[10:13] offset:16
	v_mul_i32_i24_e32 v2, 0xffffff98, v0
	ds_store_b128 v1, v[6:9] offset:32
	ds_store_b128 v1, v[14:17] offset:48
	;; [unrolled: 1-line block ×5, first 2 shown]
	s_wait_dscnt 0x0
	s_barrier_signal -1
	s_barrier_wait -1
	v_mad_u32_u24 v1, 0x70, v0, v2
	s_or_b32 s2, s2, exec_lo
	ds_load_2addr_stride64_b64 v[2:5], v1 offset1:4
	ds_load_2addr_stride64_b64 v[6:9], v1 offset0:8 offset1:12
	ds_load_2addr_stride64_b64 v[10:13], v1 offset0:16 offset1:20
	;; [unrolled: 1-line block ×6, first 2 shown]
	s_wait_dscnt 0x6
	s_clause 0x1
	flat_store_b64 v0, v[2:3], s[0:1] scale_offset
	flat_store_b64 v0, v[4:5], s[0:1] offset:2048 scale_offset
	s_wait_dscnt 0x7
	s_clause 0x1
	flat_store_b64 v0, v[6:7], s[0:1] offset:4096 scale_offset
	flat_store_b64 v0, v[8:9], s[0:1] offset:6144 scale_offset
	s_wait_dscnt 0x8
	s_clause 0x1
	flat_store_b64 v0, v[10:11], s[0:1] offset:8192 scale_offset
	;; [unrolled: 4-line block ×5, first 2 shown]
	flat_store_b64 v0, v[24:25], s[0:1] offset:22528 scale_offset
	s_wait_dscnt 0xc
	flat_store_b64 v0, v[28:29], s[0:1] offset:24576 scale_offset
.LBB713_221:
	s_wait_xcnt 0x0
	s_delay_alu instid0(VALU_DEP_1)
	s_and_saveexec_b32 s3, s2
	s_cbranch_execz .LBB713_223
; %bb.222:
	s_wait_dscnt 0x0
	flat_store_b64 v0, v[30:31], s[0:1] offset:26624 scale_offset
	s_sendmsg sendmsg(MSG_DEALLOC_VGPRS)
	s_endpgm
.LBB713_223:
	s_sendmsg sendmsg(MSG_DEALLOC_VGPRS)
	s_endpgm
	.section	.rodata,"a",@progbits
	.p2align	6, 0x0
	.amdhsa_kernel _ZN7rocprim17ROCPRIM_400000_NS6detail17trampoline_kernelINS0_14default_configENS1_27scan_by_key_config_selectorIxxEEZZNS1_16scan_by_key_implILNS1_25lookback_scan_determinismE0ELb1ES3_N6thrust23THRUST_200600_302600_NS6detail15normal_iteratorINS9_10device_ptrIxEEEESE_SE_xNS9_4plusIxEE19head_flag_predicatexEE10hipError_tPvRmT2_T3_T4_T5_mT6_T7_P12ihipStream_tbENKUlT_T0_E_clISt17integral_constantIbLb0EESY_EEDaST_SU_EUlST_E_NS1_11comp_targetILNS1_3genE0ELNS1_11target_archE4294967295ELNS1_3gpuE0ELNS1_3repE0EEENS1_30default_config_static_selectorELNS0_4arch9wavefront6targetE0EEEvT1_
		.amdhsa_group_segment_fixed_size 32768
		.amdhsa_private_segment_fixed_size 0
		.amdhsa_kernarg_size 136
		.amdhsa_user_sgpr_count 2
		.amdhsa_user_sgpr_dispatch_ptr 0
		.amdhsa_user_sgpr_queue_ptr 0
		.amdhsa_user_sgpr_kernarg_segment_ptr 1
		.amdhsa_user_sgpr_dispatch_id 0
		.amdhsa_user_sgpr_kernarg_preload_length 0
		.amdhsa_user_sgpr_kernarg_preload_offset 0
		.amdhsa_user_sgpr_private_segment_size 0
		.amdhsa_wavefront_size32 1
		.amdhsa_uses_dynamic_stack 0
		.amdhsa_enable_private_segment 0
		.amdhsa_system_sgpr_workgroup_id_x 1
		.amdhsa_system_sgpr_workgroup_id_y 0
		.amdhsa_system_sgpr_workgroup_id_z 0
		.amdhsa_system_sgpr_workgroup_info 0
		.amdhsa_system_vgpr_workitem_id 0
		.amdhsa_next_free_vgpr 111
		.amdhsa_next_free_sgpr 57
		.amdhsa_named_barrier_count 0
		.amdhsa_reserve_vcc 1
		.amdhsa_float_round_mode_32 0
		.amdhsa_float_round_mode_16_64 0
		.amdhsa_float_denorm_mode_32 3
		.amdhsa_float_denorm_mode_16_64 3
		.amdhsa_fp16_overflow 0
		.amdhsa_memory_ordered 1
		.amdhsa_forward_progress 1
		.amdhsa_inst_pref_size 125
		.amdhsa_round_robin_scheduling 0
		.amdhsa_exception_fp_ieee_invalid_op 0
		.amdhsa_exception_fp_denorm_src 0
		.amdhsa_exception_fp_ieee_div_zero 0
		.amdhsa_exception_fp_ieee_overflow 0
		.amdhsa_exception_fp_ieee_underflow 0
		.amdhsa_exception_fp_ieee_inexact 0
		.amdhsa_exception_int_div_zero 0
	.end_amdhsa_kernel
	.section	.text._ZN7rocprim17ROCPRIM_400000_NS6detail17trampoline_kernelINS0_14default_configENS1_27scan_by_key_config_selectorIxxEEZZNS1_16scan_by_key_implILNS1_25lookback_scan_determinismE0ELb1ES3_N6thrust23THRUST_200600_302600_NS6detail15normal_iteratorINS9_10device_ptrIxEEEESE_SE_xNS9_4plusIxEE19head_flag_predicatexEE10hipError_tPvRmT2_T3_T4_T5_mT6_T7_P12ihipStream_tbENKUlT_T0_E_clISt17integral_constantIbLb0EESY_EEDaST_SU_EUlST_E_NS1_11comp_targetILNS1_3genE0ELNS1_11target_archE4294967295ELNS1_3gpuE0ELNS1_3repE0EEENS1_30default_config_static_selectorELNS0_4arch9wavefront6targetE0EEEvT1_,"axG",@progbits,_ZN7rocprim17ROCPRIM_400000_NS6detail17trampoline_kernelINS0_14default_configENS1_27scan_by_key_config_selectorIxxEEZZNS1_16scan_by_key_implILNS1_25lookback_scan_determinismE0ELb1ES3_N6thrust23THRUST_200600_302600_NS6detail15normal_iteratorINS9_10device_ptrIxEEEESE_SE_xNS9_4plusIxEE19head_flag_predicatexEE10hipError_tPvRmT2_T3_T4_T5_mT6_T7_P12ihipStream_tbENKUlT_T0_E_clISt17integral_constantIbLb0EESY_EEDaST_SU_EUlST_E_NS1_11comp_targetILNS1_3genE0ELNS1_11target_archE4294967295ELNS1_3gpuE0ELNS1_3repE0EEENS1_30default_config_static_selectorELNS0_4arch9wavefront6targetE0EEEvT1_,comdat
.Lfunc_end713:
	.size	_ZN7rocprim17ROCPRIM_400000_NS6detail17trampoline_kernelINS0_14default_configENS1_27scan_by_key_config_selectorIxxEEZZNS1_16scan_by_key_implILNS1_25lookback_scan_determinismE0ELb1ES3_N6thrust23THRUST_200600_302600_NS6detail15normal_iteratorINS9_10device_ptrIxEEEESE_SE_xNS9_4plusIxEE19head_flag_predicatexEE10hipError_tPvRmT2_T3_T4_T5_mT6_T7_P12ihipStream_tbENKUlT_T0_E_clISt17integral_constantIbLb0EESY_EEDaST_SU_EUlST_E_NS1_11comp_targetILNS1_3genE0ELNS1_11target_archE4294967295ELNS1_3gpuE0ELNS1_3repE0EEENS1_30default_config_static_selectorELNS0_4arch9wavefront6targetE0EEEvT1_, .Lfunc_end713-_ZN7rocprim17ROCPRIM_400000_NS6detail17trampoline_kernelINS0_14default_configENS1_27scan_by_key_config_selectorIxxEEZZNS1_16scan_by_key_implILNS1_25lookback_scan_determinismE0ELb1ES3_N6thrust23THRUST_200600_302600_NS6detail15normal_iteratorINS9_10device_ptrIxEEEESE_SE_xNS9_4plusIxEE19head_flag_predicatexEE10hipError_tPvRmT2_T3_T4_T5_mT6_T7_P12ihipStream_tbENKUlT_T0_E_clISt17integral_constantIbLb0EESY_EEDaST_SU_EUlST_E_NS1_11comp_targetILNS1_3genE0ELNS1_11target_archE4294967295ELNS1_3gpuE0ELNS1_3repE0EEENS1_30default_config_static_selectorELNS0_4arch9wavefront6targetE0EEEvT1_
                                        ; -- End function
	.set _ZN7rocprim17ROCPRIM_400000_NS6detail17trampoline_kernelINS0_14default_configENS1_27scan_by_key_config_selectorIxxEEZZNS1_16scan_by_key_implILNS1_25lookback_scan_determinismE0ELb1ES3_N6thrust23THRUST_200600_302600_NS6detail15normal_iteratorINS9_10device_ptrIxEEEESE_SE_xNS9_4plusIxEE19head_flag_predicatexEE10hipError_tPvRmT2_T3_T4_T5_mT6_T7_P12ihipStream_tbENKUlT_T0_E_clISt17integral_constantIbLb0EESY_EEDaST_SU_EUlST_E_NS1_11comp_targetILNS1_3genE0ELNS1_11target_archE4294967295ELNS1_3gpuE0ELNS1_3repE0EEENS1_30default_config_static_selectorELNS0_4arch9wavefront6targetE0EEEvT1_.num_vgpr, 111
	.set _ZN7rocprim17ROCPRIM_400000_NS6detail17trampoline_kernelINS0_14default_configENS1_27scan_by_key_config_selectorIxxEEZZNS1_16scan_by_key_implILNS1_25lookback_scan_determinismE0ELb1ES3_N6thrust23THRUST_200600_302600_NS6detail15normal_iteratorINS9_10device_ptrIxEEEESE_SE_xNS9_4plusIxEE19head_flag_predicatexEE10hipError_tPvRmT2_T3_T4_T5_mT6_T7_P12ihipStream_tbENKUlT_T0_E_clISt17integral_constantIbLb0EESY_EEDaST_SU_EUlST_E_NS1_11comp_targetILNS1_3genE0ELNS1_11target_archE4294967295ELNS1_3gpuE0ELNS1_3repE0EEENS1_30default_config_static_selectorELNS0_4arch9wavefront6targetE0EEEvT1_.num_agpr, 0
	.set _ZN7rocprim17ROCPRIM_400000_NS6detail17trampoline_kernelINS0_14default_configENS1_27scan_by_key_config_selectorIxxEEZZNS1_16scan_by_key_implILNS1_25lookback_scan_determinismE0ELb1ES3_N6thrust23THRUST_200600_302600_NS6detail15normal_iteratorINS9_10device_ptrIxEEEESE_SE_xNS9_4plusIxEE19head_flag_predicatexEE10hipError_tPvRmT2_T3_T4_T5_mT6_T7_P12ihipStream_tbENKUlT_T0_E_clISt17integral_constantIbLb0EESY_EEDaST_SU_EUlST_E_NS1_11comp_targetILNS1_3genE0ELNS1_11target_archE4294967295ELNS1_3gpuE0ELNS1_3repE0EEENS1_30default_config_static_selectorELNS0_4arch9wavefront6targetE0EEEvT1_.numbered_sgpr, 57
	.set _ZN7rocprim17ROCPRIM_400000_NS6detail17trampoline_kernelINS0_14default_configENS1_27scan_by_key_config_selectorIxxEEZZNS1_16scan_by_key_implILNS1_25lookback_scan_determinismE0ELb1ES3_N6thrust23THRUST_200600_302600_NS6detail15normal_iteratorINS9_10device_ptrIxEEEESE_SE_xNS9_4plusIxEE19head_flag_predicatexEE10hipError_tPvRmT2_T3_T4_T5_mT6_T7_P12ihipStream_tbENKUlT_T0_E_clISt17integral_constantIbLb0EESY_EEDaST_SU_EUlST_E_NS1_11comp_targetILNS1_3genE0ELNS1_11target_archE4294967295ELNS1_3gpuE0ELNS1_3repE0EEENS1_30default_config_static_selectorELNS0_4arch9wavefront6targetE0EEEvT1_.num_named_barrier, 0
	.set _ZN7rocprim17ROCPRIM_400000_NS6detail17trampoline_kernelINS0_14default_configENS1_27scan_by_key_config_selectorIxxEEZZNS1_16scan_by_key_implILNS1_25lookback_scan_determinismE0ELb1ES3_N6thrust23THRUST_200600_302600_NS6detail15normal_iteratorINS9_10device_ptrIxEEEESE_SE_xNS9_4plusIxEE19head_flag_predicatexEE10hipError_tPvRmT2_T3_T4_T5_mT6_T7_P12ihipStream_tbENKUlT_T0_E_clISt17integral_constantIbLb0EESY_EEDaST_SU_EUlST_E_NS1_11comp_targetILNS1_3genE0ELNS1_11target_archE4294967295ELNS1_3gpuE0ELNS1_3repE0EEENS1_30default_config_static_selectorELNS0_4arch9wavefront6targetE0EEEvT1_.private_seg_size, 0
	.set _ZN7rocprim17ROCPRIM_400000_NS6detail17trampoline_kernelINS0_14default_configENS1_27scan_by_key_config_selectorIxxEEZZNS1_16scan_by_key_implILNS1_25lookback_scan_determinismE0ELb1ES3_N6thrust23THRUST_200600_302600_NS6detail15normal_iteratorINS9_10device_ptrIxEEEESE_SE_xNS9_4plusIxEE19head_flag_predicatexEE10hipError_tPvRmT2_T3_T4_T5_mT6_T7_P12ihipStream_tbENKUlT_T0_E_clISt17integral_constantIbLb0EESY_EEDaST_SU_EUlST_E_NS1_11comp_targetILNS1_3genE0ELNS1_11target_archE4294967295ELNS1_3gpuE0ELNS1_3repE0EEENS1_30default_config_static_selectorELNS0_4arch9wavefront6targetE0EEEvT1_.uses_vcc, 1
	.set _ZN7rocprim17ROCPRIM_400000_NS6detail17trampoline_kernelINS0_14default_configENS1_27scan_by_key_config_selectorIxxEEZZNS1_16scan_by_key_implILNS1_25lookback_scan_determinismE0ELb1ES3_N6thrust23THRUST_200600_302600_NS6detail15normal_iteratorINS9_10device_ptrIxEEEESE_SE_xNS9_4plusIxEE19head_flag_predicatexEE10hipError_tPvRmT2_T3_T4_T5_mT6_T7_P12ihipStream_tbENKUlT_T0_E_clISt17integral_constantIbLb0EESY_EEDaST_SU_EUlST_E_NS1_11comp_targetILNS1_3genE0ELNS1_11target_archE4294967295ELNS1_3gpuE0ELNS1_3repE0EEENS1_30default_config_static_selectorELNS0_4arch9wavefront6targetE0EEEvT1_.uses_flat_scratch, 1
	.set _ZN7rocprim17ROCPRIM_400000_NS6detail17trampoline_kernelINS0_14default_configENS1_27scan_by_key_config_selectorIxxEEZZNS1_16scan_by_key_implILNS1_25lookback_scan_determinismE0ELb1ES3_N6thrust23THRUST_200600_302600_NS6detail15normal_iteratorINS9_10device_ptrIxEEEESE_SE_xNS9_4plusIxEE19head_flag_predicatexEE10hipError_tPvRmT2_T3_T4_T5_mT6_T7_P12ihipStream_tbENKUlT_T0_E_clISt17integral_constantIbLb0EESY_EEDaST_SU_EUlST_E_NS1_11comp_targetILNS1_3genE0ELNS1_11target_archE4294967295ELNS1_3gpuE0ELNS1_3repE0EEENS1_30default_config_static_selectorELNS0_4arch9wavefront6targetE0EEEvT1_.has_dyn_sized_stack, 0
	.set _ZN7rocprim17ROCPRIM_400000_NS6detail17trampoline_kernelINS0_14default_configENS1_27scan_by_key_config_selectorIxxEEZZNS1_16scan_by_key_implILNS1_25lookback_scan_determinismE0ELb1ES3_N6thrust23THRUST_200600_302600_NS6detail15normal_iteratorINS9_10device_ptrIxEEEESE_SE_xNS9_4plusIxEE19head_flag_predicatexEE10hipError_tPvRmT2_T3_T4_T5_mT6_T7_P12ihipStream_tbENKUlT_T0_E_clISt17integral_constantIbLb0EESY_EEDaST_SU_EUlST_E_NS1_11comp_targetILNS1_3genE0ELNS1_11target_archE4294967295ELNS1_3gpuE0ELNS1_3repE0EEENS1_30default_config_static_selectorELNS0_4arch9wavefront6targetE0EEEvT1_.has_recursion, 0
	.set _ZN7rocprim17ROCPRIM_400000_NS6detail17trampoline_kernelINS0_14default_configENS1_27scan_by_key_config_selectorIxxEEZZNS1_16scan_by_key_implILNS1_25lookback_scan_determinismE0ELb1ES3_N6thrust23THRUST_200600_302600_NS6detail15normal_iteratorINS9_10device_ptrIxEEEESE_SE_xNS9_4plusIxEE19head_flag_predicatexEE10hipError_tPvRmT2_T3_T4_T5_mT6_T7_P12ihipStream_tbENKUlT_T0_E_clISt17integral_constantIbLb0EESY_EEDaST_SU_EUlST_E_NS1_11comp_targetILNS1_3genE0ELNS1_11target_archE4294967295ELNS1_3gpuE0ELNS1_3repE0EEENS1_30default_config_static_selectorELNS0_4arch9wavefront6targetE0EEEvT1_.has_indirect_call, 0
	.section	.AMDGPU.csdata,"",@progbits
; Kernel info:
; codeLenInByte = 15980
; TotalNumSgprs: 59
; NumVgprs: 111
; ScratchSize: 0
; MemoryBound: 0
; FloatMode: 240
; IeeeMode: 1
; LDSByteSize: 32768 bytes/workgroup (compile time only)
; SGPRBlocks: 0
; VGPRBlocks: 6
; NumSGPRsForWavesPerEU: 59
; NumVGPRsForWavesPerEU: 111
; NamedBarCnt: 0
; Occupancy: 9
; WaveLimiterHint : 1
; COMPUTE_PGM_RSRC2:SCRATCH_EN: 0
; COMPUTE_PGM_RSRC2:USER_SGPR: 2
; COMPUTE_PGM_RSRC2:TRAP_HANDLER: 0
; COMPUTE_PGM_RSRC2:TGID_X_EN: 1
; COMPUTE_PGM_RSRC2:TGID_Y_EN: 0
; COMPUTE_PGM_RSRC2:TGID_Z_EN: 0
; COMPUTE_PGM_RSRC2:TIDIG_COMP_CNT: 0
	.section	.text._ZN7rocprim17ROCPRIM_400000_NS6detail17trampoline_kernelINS0_14default_configENS1_27scan_by_key_config_selectorIxxEEZZNS1_16scan_by_key_implILNS1_25lookback_scan_determinismE0ELb1ES3_N6thrust23THRUST_200600_302600_NS6detail15normal_iteratorINS9_10device_ptrIxEEEESE_SE_xNS9_4plusIxEE19head_flag_predicatexEE10hipError_tPvRmT2_T3_T4_T5_mT6_T7_P12ihipStream_tbENKUlT_T0_E_clISt17integral_constantIbLb0EESY_EEDaST_SU_EUlST_E_NS1_11comp_targetILNS1_3genE10ELNS1_11target_archE1201ELNS1_3gpuE5ELNS1_3repE0EEENS1_30default_config_static_selectorELNS0_4arch9wavefront6targetE0EEEvT1_,"axG",@progbits,_ZN7rocprim17ROCPRIM_400000_NS6detail17trampoline_kernelINS0_14default_configENS1_27scan_by_key_config_selectorIxxEEZZNS1_16scan_by_key_implILNS1_25lookback_scan_determinismE0ELb1ES3_N6thrust23THRUST_200600_302600_NS6detail15normal_iteratorINS9_10device_ptrIxEEEESE_SE_xNS9_4plusIxEE19head_flag_predicatexEE10hipError_tPvRmT2_T3_T4_T5_mT6_T7_P12ihipStream_tbENKUlT_T0_E_clISt17integral_constantIbLb0EESY_EEDaST_SU_EUlST_E_NS1_11comp_targetILNS1_3genE10ELNS1_11target_archE1201ELNS1_3gpuE5ELNS1_3repE0EEENS1_30default_config_static_selectorELNS0_4arch9wavefront6targetE0EEEvT1_,comdat
	.protected	_ZN7rocprim17ROCPRIM_400000_NS6detail17trampoline_kernelINS0_14default_configENS1_27scan_by_key_config_selectorIxxEEZZNS1_16scan_by_key_implILNS1_25lookback_scan_determinismE0ELb1ES3_N6thrust23THRUST_200600_302600_NS6detail15normal_iteratorINS9_10device_ptrIxEEEESE_SE_xNS9_4plusIxEE19head_flag_predicatexEE10hipError_tPvRmT2_T3_T4_T5_mT6_T7_P12ihipStream_tbENKUlT_T0_E_clISt17integral_constantIbLb0EESY_EEDaST_SU_EUlST_E_NS1_11comp_targetILNS1_3genE10ELNS1_11target_archE1201ELNS1_3gpuE5ELNS1_3repE0EEENS1_30default_config_static_selectorELNS0_4arch9wavefront6targetE0EEEvT1_ ; -- Begin function _ZN7rocprim17ROCPRIM_400000_NS6detail17trampoline_kernelINS0_14default_configENS1_27scan_by_key_config_selectorIxxEEZZNS1_16scan_by_key_implILNS1_25lookback_scan_determinismE0ELb1ES3_N6thrust23THRUST_200600_302600_NS6detail15normal_iteratorINS9_10device_ptrIxEEEESE_SE_xNS9_4plusIxEE19head_flag_predicatexEE10hipError_tPvRmT2_T3_T4_T5_mT6_T7_P12ihipStream_tbENKUlT_T0_E_clISt17integral_constantIbLb0EESY_EEDaST_SU_EUlST_E_NS1_11comp_targetILNS1_3genE10ELNS1_11target_archE1201ELNS1_3gpuE5ELNS1_3repE0EEENS1_30default_config_static_selectorELNS0_4arch9wavefront6targetE0EEEvT1_
	.globl	_ZN7rocprim17ROCPRIM_400000_NS6detail17trampoline_kernelINS0_14default_configENS1_27scan_by_key_config_selectorIxxEEZZNS1_16scan_by_key_implILNS1_25lookback_scan_determinismE0ELb1ES3_N6thrust23THRUST_200600_302600_NS6detail15normal_iteratorINS9_10device_ptrIxEEEESE_SE_xNS9_4plusIxEE19head_flag_predicatexEE10hipError_tPvRmT2_T3_T4_T5_mT6_T7_P12ihipStream_tbENKUlT_T0_E_clISt17integral_constantIbLb0EESY_EEDaST_SU_EUlST_E_NS1_11comp_targetILNS1_3genE10ELNS1_11target_archE1201ELNS1_3gpuE5ELNS1_3repE0EEENS1_30default_config_static_selectorELNS0_4arch9wavefront6targetE0EEEvT1_
	.p2align	8
	.type	_ZN7rocprim17ROCPRIM_400000_NS6detail17trampoline_kernelINS0_14default_configENS1_27scan_by_key_config_selectorIxxEEZZNS1_16scan_by_key_implILNS1_25lookback_scan_determinismE0ELb1ES3_N6thrust23THRUST_200600_302600_NS6detail15normal_iteratorINS9_10device_ptrIxEEEESE_SE_xNS9_4plusIxEE19head_flag_predicatexEE10hipError_tPvRmT2_T3_T4_T5_mT6_T7_P12ihipStream_tbENKUlT_T0_E_clISt17integral_constantIbLb0EESY_EEDaST_SU_EUlST_E_NS1_11comp_targetILNS1_3genE10ELNS1_11target_archE1201ELNS1_3gpuE5ELNS1_3repE0EEENS1_30default_config_static_selectorELNS0_4arch9wavefront6targetE0EEEvT1_,@function
_ZN7rocprim17ROCPRIM_400000_NS6detail17trampoline_kernelINS0_14default_configENS1_27scan_by_key_config_selectorIxxEEZZNS1_16scan_by_key_implILNS1_25lookback_scan_determinismE0ELb1ES3_N6thrust23THRUST_200600_302600_NS6detail15normal_iteratorINS9_10device_ptrIxEEEESE_SE_xNS9_4plusIxEE19head_flag_predicatexEE10hipError_tPvRmT2_T3_T4_T5_mT6_T7_P12ihipStream_tbENKUlT_T0_E_clISt17integral_constantIbLb0EESY_EEDaST_SU_EUlST_E_NS1_11comp_targetILNS1_3genE10ELNS1_11target_archE1201ELNS1_3gpuE5ELNS1_3repE0EEENS1_30default_config_static_selectorELNS0_4arch9wavefront6targetE0EEEvT1_: ; @_ZN7rocprim17ROCPRIM_400000_NS6detail17trampoline_kernelINS0_14default_configENS1_27scan_by_key_config_selectorIxxEEZZNS1_16scan_by_key_implILNS1_25lookback_scan_determinismE0ELb1ES3_N6thrust23THRUST_200600_302600_NS6detail15normal_iteratorINS9_10device_ptrIxEEEESE_SE_xNS9_4plusIxEE19head_flag_predicatexEE10hipError_tPvRmT2_T3_T4_T5_mT6_T7_P12ihipStream_tbENKUlT_T0_E_clISt17integral_constantIbLb0EESY_EEDaST_SU_EUlST_E_NS1_11comp_targetILNS1_3genE10ELNS1_11target_archE1201ELNS1_3gpuE5ELNS1_3repE0EEENS1_30default_config_static_selectorELNS0_4arch9wavefront6targetE0EEEvT1_
; %bb.0:
	.section	.rodata,"a",@progbits
	.p2align	6, 0x0
	.amdhsa_kernel _ZN7rocprim17ROCPRIM_400000_NS6detail17trampoline_kernelINS0_14default_configENS1_27scan_by_key_config_selectorIxxEEZZNS1_16scan_by_key_implILNS1_25lookback_scan_determinismE0ELb1ES3_N6thrust23THRUST_200600_302600_NS6detail15normal_iteratorINS9_10device_ptrIxEEEESE_SE_xNS9_4plusIxEE19head_flag_predicatexEE10hipError_tPvRmT2_T3_T4_T5_mT6_T7_P12ihipStream_tbENKUlT_T0_E_clISt17integral_constantIbLb0EESY_EEDaST_SU_EUlST_E_NS1_11comp_targetILNS1_3genE10ELNS1_11target_archE1201ELNS1_3gpuE5ELNS1_3repE0EEENS1_30default_config_static_selectorELNS0_4arch9wavefront6targetE0EEEvT1_
		.amdhsa_group_segment_fixed_size 0
		.amdhsa_private_segment_fixed_size 0
		.amdhsa_kernarg_size 136
		.amdhsa_user_sgpr_count 2
		.amdhsa_user_sgpr_dispatch_ptr 0
		.amdhsa_user_sgpr_queue_ptr 0
		.amdhsa_user_sgpr_kernarg_segment_ptr 1
		.amdhsa_user_sgpr_dispatch_id 0
		.amdhsa_user_sgpr_kernarg_preload_length 0
		.amdhsa_user_sgpr_kernarg_preload_offset 0
		.amdhsa_user_sgpr_private_segment_size 0
		.amdhsa_wavefront_size32 1
		.amdhsa_uses_dynamic_stack 0
		.amdhsa_enable_private_segment 0
		.amdhsa_system_sgpr_workgroup_id_x 1
		.amdhsa_system_sgpr_workgroup_id_y 0
		.amdhsa_system_sgpr_workgroup_id_z 0
		.amdhsa_system_sgpr_workgroup_info 0
		.amdhsa_system_vgpr_workitem_id 0
		.amdhsa_next_free_vgpr 1
		.amdhsa_next_free_sgpr 1
		.amdhsa_named_barrier_count 0
		.amdhsa_reserve_vcc 0
		.amdhsa_float_round_mode_32 0
		.amdhsa_float_round_mode_16_64 0
		.amdhsa_float_denorm_mode_32 3
		.amdhsa_float_denorm_mode_16_64 3
		.amdhsa_fp16_overflow 0
		.amdhsa_memory_ordered 1
		.amdhsa_forward_progress 1
		.amdhsa_inst_pref_size 0
		.amdhsa_round_robin_scheduling 0
		.amdhsa_exception_fp_ieee_invalid_op 0
		.amdhsa_exception_fp_denorm_src 0
		.amdhsa_exception_fp_ieee_div_zero 0
		.amdhsa_exception_fp_ieee_overflow 0
		.amdhsa_exception_fp_ieee_underflow 0
		.amdhsa_exception_fp_ieee_inexact 0
		.amdhsa_exception_int_div_zero 0
	.end_amdhsa_kernel
	.section	.text._ZN7rocprim17ROCPRIM_400000_NS6detail17trampoline_kernelINS0_14default_configENS1_27scan_by_key_config_selectorIxxEEZZNS1_16scan_by_key_implILNS1_25lookback_scan_determinismE0ELb1ES3_N6thrust23THRUST_200600_302600_NS6detail15normal_iteratorINS9_10device_ptrIxEEEESE_SE_xNS9_4plusIxEE19head_flag_predicatexEE10hipError_tPvRmT2_T3_T4_T5_mT6_T7_P12ihipStream_tbENKUlT_T0_E_clISt17integral_constantIbLb0EESY_EEDaST_SU_EUlST_E_NS1_11comp_targetILNS1_3genE10ELNS1_11target_archE1201ELNS1_3gpuE5ELNS1_3repE0EEENS1_30default_config_static_selectorELNS0_4arch9wavefront6targetE0EEEvT1_,"axG",@progbits,_ZN7rocprim17ROCPRIM_400000_NS6detail17trampoline_kernelINS0_14default_configENS1_27scan_by_key_config_selectorIxxEEZZNS1_16scan_by_key_implILNS1_25lookback_scan_determinismE0ELb1ES3_N6thrust23THRUST_200600_302600_NS6detail15normal_iteratorINS9_10device_ptrIxEEEESE_SE_xNS9_4plusIxEE19head_flag_predicatexEE10hipError_tPvRmT2_T3_T4_T5_mT6_T7_P12ihipStream_tbENKUlT_T0_E_clISt17integral_constantIbLb0EESY_EEDaST_SU_EUlST_E_NS1_11comp_targetILNS1_3genE10ELNS1_11target_archE1201ELNS1_3gpuE5ELNS1_3repE0EEENS1_30default_config_static_selectorELNS0_4arch9wavefront6targetE0EEEvT1_,comdat
.Lfunc_end714:
	.size	_ZN7rocprim17ROCPRIM_400000_NS6detail17trampoline_kernelINS0_14default_configENS1_27scan_by_key_config_selectorIxxEEZZNS1_16scan_by_key_implILNS1_25lookback_scan_determinismE0ELb1ES3_N6thrust23THRUST_200600_302600_NS6detail15normal_iteratorINS9_10device_ptrIxEEEESE_SE_xNS9_4plusIxEE19head_flag_predicatexEE10hipError_tPvRmT2_T3_T4_T5_mT6_T7_P12ihipStream_tbENKUlT_T0_E_clISt17integral_constantIbLb0EESY_EEDaST_SU_EUlST_E_NS1_11comp_targetILNS1_3genE10ELNS1_11target_archE1201ELNS1_3gpuE5ELNS1_3repE0EEENS1_30default_config_static_selectorELNS0_4arch9wavefront6targetE0EEEvT1_, .Lfunc_end714-_ZN7rocprim17ROCPRIM_400000_NS6detail17trampoline_kernelINS0_14default_configENS1_27scan_by_key_config_selectorIxxEEZZNS1_16scan_by_key_implILNS1_25lookback_scan_determinismE0ELb1ES3_N6thrust23THRUST_200600_302600_NS6detail15normal_iteratorINS9_10device_ptrIxEEEESE_SE_xNS9_4plusIxEE19head_flag_predicatexEE10hipError_tPvRmT2_T3_T4_T5_mT6_T7_P12ihipStream_tbENKUlT_T0_E_clISt17integral_constantIbLb0EESY_EEDaST_SU_EUlST_E_NS1_11comp_targetILNS1_3genE10ELNS1_11target_archE1201ELNS1_3gpuE5ELNS1_3repE0EEENS1_30default_config_static_selectorELNS0_4arch9wavefront6targetE0EEEvT1_
                                        ; -- End function
	.set _ZN7rocprim17ROCPRIM_400000_NS6detail17trampoline_kernelINS0_14default_configENS1_27scan_by_key_config_selectorIxxEEZZNS1_16scan_by_key_implILNS1_25lookback_scan_determinismE0ELb1ES3_N6thrust23THRUST_200600_302600_NS6detail15normal_iteratorINS9_10device_ptrIxEEEESE_SE_xNS9_4plusIxEE19head_flag_predicatexEE10hipError_tPvRmT2_T3_T4_T5_mT6_T7_P12ihipStream_tbENKUlT_T0_E_clISt17integral_constantIbLb0EESY_EEDaST_SU_EUlST_E_NS1_11comp_targetILNS1_3genE10ELNS1_11target_archE1201ELNS1_3gpuE5ELNS1_3repE0EEENS1_30default_config_static_selectorELNS0_4arch9wavefront6targetE0EEEvT1_.num_vgpr, 0
	.set _ZN7rocprim17ROCPRIM_400000_NS6detail17trampoline_kernelINS0_14default_configENS1_27scan_by_key_config_selectorIxxEEZZNS1_16scan_by_key_implILNS1_25lookback_scan_determinismE0ELb1ES3_N6thrust23THRUST_200600_302600_NS6detail15normal_iteratorINS9_10device_ptrIxEEEESE_SE_xNS9_4plusIxEE19head_flag_predicatexEE10hipError_tPvRmT2_T3_T4_T5_mT6_T7_P12ihipStream_tbENKUlT_T0_E_clISt17integral_constantIbLb0EESY_EEDaST_SU_EUlST_E_NS1_11comp_targetILNS1_3genE10ELNS1_11target_archE1201ELNS1_3gpuE5ELNS1_3repE0EEENS1_30default_config_static_selectorELNS0_4arch9wavefront6targetE0EEEvT1_.num_agpr, 0
	.set _ZN7rocprim17ROCPRIM_400000_NS6detail17trampoline_kernelINS0_14default_configENS1_27scan_by_key_config_selectorIxxEEZZNS1_16scan_by_key_implILNS1_25lookback_scan_determinismE0ELb1ES3_N6thrust23THRUST_200600_302600_NS6detail15normal_iteratorINS9_10device_ptrIxEEEESE_SE_xNS9_4plusIxEE19head_flag_predicatexEE10hipError_tPvRmT2_T3_T4_T5_mT6_T7_P12ihipStream_tbENKUlT_T0_E_clISt17integral_constantIbLb0EESY_EEDaST_SU_EUlST_E_NS1_11comp_targetILNS1_3genE10ELNS1_11target_archE1201ELNS1_3gpuE5ELNS1_3repE0EEENS1_30default_config_static_selectorELNS0_4arch9wavefront6targetE0EEEvT1_.numbered_sgpr, 0
	.set _ZN7rocprim17ROCPRIM_400000_NS6detail17trampoline_kernelINS0_14default_configENS1_27scan_by_key_config_selectorIxxEEZZNS1_16scan_by_key_implILNS1_25lookback_scan_determinismE0ELb1ES3_N6thrust23THRUST_200600_302600_NS6detail15normal_iteratorINS9_10device_ptrIxEEEESE_SE_xNS9_4plusIxEE19head_flag_predicatexEE10hipError_tPvRmT2_T3_T4_T5_mT6_T7_P12ihipStream_tbENKUlT_T0_E_clISt17integral_constantIbLb0EESY_EEDaST_SU_EUlST_E_NS1_11comp_targetILNS1_3genE10ELNS1_11target_archE1201ELNS1_3gpuE5ELNS1_3repE0EEENS1_30default_config_static_selectorELNS0_4arch9wavefront6targetE0EEEvT1_.num_named_barrier, 0
	.set _ZN7rocprim17ROCPRIM_400000_NS6detail17trampoline_kernelINS0_14default_configENS1_27scan_by_key_config_selectorIxxEEZZNS1_16scan_by_key_implILNS1_25lookback_scan_determinismE0ELb1ES3_N6thrust23THRUST_200600_302600_NS6detail15normal_iteratorINS9_10device_ptrIxEEEESE_SE_xNS9_4plusIxEE19head_flag_predicatexEE10hipError_tPvRmT2_T3_T4_T5_mT6_T7_P12ihipStream_tbENKUlT_T0_E_clISt17integral_constantIbLb0EESY_EEDaST_SU_EUlST_E_NS1_11comp_targetILNS1_3genE10ELNS1_11target_archE1201ELNS1_3gpuE5ELNS1_3repE0EEENS1_30default_config_static_selectorELNS0_4arch9wavefront6targetE0EEEvT1_.private_seg_size, 0
	.set _ZN7rocprim17ROCPRIM_400000_NS6detail17trampoline_kernelINS0_14default_configENS1_27scan_by_key_config_selectorIxxEEZZNS1_16scan_by_key_implILNS1_25lookback_scan_determinismE0ELb1ES3_N6thrust23THRUST_200600_302600_NS6detail15normal_iteratorINS9_10device_ptrIxEEEESE_SE_xNS9_4plusIxEE19head_flag_predicatexEE10hipError_tPvRmT2_T3_T4_T5_mT6_T7_P12ihipStream_tbENKUlT_T0_E_clISt17integral_constantIbLb0EESY_EEDaST_SU_EUlST_E_NS1_11comp_targetILNS1_3genE10ELNS1_11target_archE1201ELNS1_3gpuE5ELNS1_3repE0EEENS1_30default_config_static_selectorELNS0_4arch9wavefront6targetE0EEEvT1_.uses_vcc, 0
	.set _ZN7rocprim17ROCPRIM_400000_NS6detail17trampoline_kernelINS0_14default_configENS1_27scan_by_key_config_selectorIxxEEZZNS1_16scan_by_key_implILNS1_25lookback_scan_determinismE0ELb1ES3_N6thrust23THRUST_200600_302600_NS6detail15normal_iteratorINS9_10device_ptrIxEEEESE_SE_xNS9_4plusIxEE19head_flag_predicatexEE10hipError_tPvRmT2_T3_T4_T5_mT6_T7_P12ihipStream_tbENKUlT_T0_E_clISt17integral_constantIbLb0EESY_EEDaST_SU_EUlST_E_NS1_11comp_targetILNS1_3genE10ELNS1_11target_archE1201ELNS1_3gpuE5ELNS1_3repE0EEENS1_30default_config_static_selectorELNS0_4arch9wavefront6targetE0EEEvT1_.uses_flat_scratch, 0
	.set _ZN7rocprim17ROCPRIM_400000_NS6detail17trampoline_kernelINS0_14default_configENS1_27scan_by_key_config_selectorIxxEEZZNS1_16scan_by_key_implILNS1_25lookback_scan_determinismE0ELb1ES3_N6thrust23THRUST_200600_302600_NS6detail15normal_iteratorINS9_10device_ptrIxEEEESE_SE_xNS9_4plusIxEE19head_flag_predicatexEE10hipError_tPvRmT2_T3_T4_T5_mT6_T7_P12ihipStream_tbENKUlT_T0_E_clISt17integral_constantIbLb0EESY_EEDaST_SU_EUlST_E_NS1_11comp_targetILNS1_3genE10ELNS1_11target_archE1201ELNS1_3gpuE5ELNS1_3repE0EEENS1_30default_config_static_selectorELNS0_4arch9wavefront6targetE0EEEvT1_.has_dyn_sized_stack, 0
	.set _ZN7rocprim17ROCPRIM_400000_NS6detail17trampoline_kernelINS0_14default_configENS1_27scan_by_key_config_selectorIxxEEZZNS1_16scan_by_key_implILNS1_25lookback_scan_determinismE0ELb1ES3_N6thrust23THRUST_200600_302600_NS6detail15normal_iteratorINS9_10device_ptrIxEEEESE_SE_xNS9_4plusIxEE19head_flag_predicatexEE10hipError_tPvRmT2_T3_T4_T5_mT6_T7_P12ihipStream_tbENKUlT_T0_E_clISt17integral_constantIbLb0EESY_EEDaST_SU_EUlST_E_NS1_11comp_targetILNS1_3genE10ELNS1_11target_archE1201ELNS1_3gpuE5ELNS1_3repE0EEENS1_30default_config_static_selectorELNS0_4arch9wavefront6targetE0EEEvT1_.has_recursion, 0
	.set _ZN7rocprim17ROCPRIM_400000_NS6detail17trampoline_kernelINS0_14default_configENS1_27scan_by_key_config_selectorIxxEEZZNS1_16scan_by_key_implILNS1_25lookback_scan_determinismE0ELb1ES3_N6thrust23THRUST_200600_302600_NS6detail15normal_iteratorINS9_10device_ptrIxEEEESE_SE_xNS9_4plusIxEE19head_flag_predicatexEE10hipError_tPvRmT2_T3_T4_T5_mT6_T7_P12ihipStream_tbENKUlT_T0_E_clISt17integral_constantIbLb0EESY_EEDaST_SU_EUlST_E_NS1_11comp_targetILNS1_3genE10ELNS1_11target_archE1201ELNS1_3gpuE5ELNS1_3repE0EEENS1_30default_config_static_selectorELNS0_4arch9wavefront6targetE0EEEvT1_.has_indirect_call, 0
	.section	.AMDGPU.csdata,"",@progbits
; Kernel info:
; codeLenInByte = 0
; TotalNumSgprs: 0
; NumVgprs: 0
; ScratchSize: 0
; MemoryBound: 0
; FloatMode: 240
; IeeeMode: 1
; LDSByteSize: 0 bytes/workgroup (compile time only)
; SGPRBlocks: 0
; VGPRBlocks: 0
; NumSGPRsForWavesPerEU: 1
; NumVGPRsForWavesPerEU: 1
; NamedBarCnt: 0
; Occupancy: 16
; WaveLimiterHint : 0
; COMPUTE_PGM_RSRC2:SCRATCH_EN: 0
; COMPUTE_PGM_RSRC2:USER_SGPR: 2
; COMPUTE_PGM_RSRC2:TRAP_HANDLER: 0
; COMPUTE_PGM_RSRC2:TGID_X_EN: 1
; COMPUTE_PGM_RSRC2:TGID_Y_EN: 0
; COMPUTE_PGM_RSRC2:TGID_Z_EN: 0
; COMPUTE_PGM_RSRC2:TIDIG_COMP_CNT: 0
	.section	.text._ZN7rocprim17ROCPRIM_400000_NS6detail17trampoline_kernelINS0_14default_configENS1_27scan_by_key_config_selectorIxxEEZZNS1_16scan_by_key_implILNS1_25lookback_scan_determinismE0ELb1ES3_N6thrust23THRUST_200600_302600_NS6detail15normal_iteratorINS9_10device_ptrIxEEEESE_SE_xNS9_4plusIxEE19head_flag_predicatexEE10hipError_tPvRmT2_T3_T4_T5_mT6_T7_P12ihipStream_tbENKUlT_T0_E_clISt17integral_constantIbLb0EESY_EEDaST_SU_EUlST_E_NS1_11comp_targetILNS1_3genE5ELNS1_11target_archE942ELNS1_3gpuE9ELNS1_3repE0EEENS1_30default_config_static_selectorELNS0_4arch9wavefront6targetE0EEEvT1_,"axG",@progbits,_ZN7rocprim17ROCPRIM_400000_NS6detail17trampoline_kernelINS0_14default_configENS1_27scan_by_key_config_selectorIxxEEZZNS1_16scan_by_key_implILNS1_25lookback_scan_determinismE0ELb1ES3_N6thrust23THRUST_200600_302600_NS6detail15normal_iteratorINS9_10device_ptrIxEEEESE_SE_xNS9_4plusIxEE19head_flag_predicatexEE10hipError_tPvRmT2_T3_T4_T5_mT6_T7_P12ihipStream_tbENKUlT_T0_E_clISt17integral_constantIbLb0EESY_EEDaST_SU_EUlST_E_NS1_11comp_targetILNS1_3genE5ELNS1_11target_archE942ELNS1_3gpuE9ELNS1_3repE0EEENS1_30default_config_static_selectorELNS0_4arch9wavefront6targetE0EEEvT1_,comdat
	.protected	_ZN7rocprim17ROCPRIM_400000_NS6detail17trampoline_kernelINS0_14default_configENS1_27scan_by_key_config_selectorIxxEEZZNS1_16scan_by_key_implILNS1_25lookback_scan_determinismE0ELb1ES3_N6thrust23THRUST_200600_302600_NS6detail15normal_iteratorINS9_10device_ptrIxEEEESE_SE_xNS9_4plusIxEE19head_flag_predicatexEE10hipError_tPvRmT2_T3_T4_T5_mT6_T7_P12ihipStream_tbENKUlT_T0_E_clISt17integral_constantIbLb0EESY_EEDaST_SU_EUlST_E_NS1_11comp_targetILNS1_3genE5ELNS1_11target_archE942ELNS1_3gpuE9ELNS1_3repE0EEENS1_30default_config_static_selectorELNS0_4arch9wavefront6targetE0EEEvT1_ ; -- Begin function _ZN7rocprim17ROCPRIM_400000_NS6detail17trampoline_kernelINS0_14default_configENS1_27scan_by_key_config_selectorIxxEEZZNS1_16scan_by_key_implILNS1_25lookback_scan_determinismE0ELb1ES3_N6thrust23THRUST_200600_302600_NS6detail15normal_iteratorINS9_10device_ptrIxEEEESE_SE_xNS9_4plusIxEE19head_flag_predicatexEE10hipError_tPvRmT2_T3_T4_T5_mT6_T7_P12ihipStream_tbENKUlT_T0_E_clISt17integral_constantIbLb0EESY_EEDaST_SU_EUlST_E_NS1_11comp_targetILNS1_3genE5ELNS1_11target_archE942ELNS1_3gpuE9ELNS1_3repE0EEENS1_30default_config_static_selectorELNS0_4arch9wavefront6targetE0EEEvT1_
	.globl	_ZN7rocprim17ROCPRIM_400000_NS6detail17trampoline_kernelINS0_14default_configENS1_27scan_by_key_config_selectorIxxEEZZNS1_16scan_by_key_implILNS1_25lookback_scan_determinismE0ELb1ES3_N6thrust23THRUST_200600_302600_NS6detail15normal_iteratorINS9_10device_ptrIxEEEESE_SE_xNS9_4plusIxEE19head_flag_predicatexEE10hipError_tPvRmT2_T3_T4_T5_mT6_T7_P12ihipStream_tbENKUlT_T0_E_clISt17integral_constantIbLb0EESY_EEDaST_SU_EUlST_E_NS1_11comp_targetILNS1_3genE5ELNS1_11target_archE942ELNS1_3gpuE9ELNS1_3repE0EEENS1_30default_config_static_selectorELNS0_4arch9wavefront6targetE0EEEvT1_
	.p2align	8
	.type	_ZN7rocprim17ROCPRIM_400000_NS6detail17trampoline_kernelINS0_14default_configENS1_27scan_by_key_config_selectorIxxEEZZNS1_16scan_by_key_implILNS1_25lookback_scan_determinismE0ELb1ES3_N6thrust23THRUST_200600_302600_NS6detail15normal_iteratorINS9_10device_ptrIxEEEESE_SE_xNS9_4plusIxEE19head_flag_predicatexEE10hipError_tPvRmT2_T3_T4_T5_mT6_T7_P12ihipStream_tbENKUlT_T0_E_clISt17integral_constantIbLb0EESY_EEDaST_SU_EUlST_E_NS1_11comp_targetILNS1_3genE5ELNS1_11target_archE942ELNS1_3gpuE9ELNS1_3repE0EEENS1_30default_config_static_selectorELNS0_4arch9wavefront6targetE0EEEvT1_,@function
_ZN7rocprim17ROCPRIM_400000_NS6detail17trampoline_kernelINS0_14default_configENS1_27scan_by_key_config_selectorIxxEEZZNS1_16scan_by_key_implILNS1_25lookback_scan_determinismE0ELb1ES3_N6thrust23THRUST_200600_302600_NS6detail15normal_iteratorINS9_10device_ptrIxEEEESE_SE_xNS9_4plusIxEE19head_flag_predicatexEE10hipError_tPvRmT2_T3_T4_T5_mT6_T7_P12ihipStream_tbENKUlT_T0_E_clISt17integral_constantIbLb0EESY_EEDaST_SU_EUlST_E_NS1_11comp_targetILNS1_3genE5ELNS1_11target_archE942ELNS1_3gpuE9ELNS1_3repE0EEENS1_30default_config_static_selectorELNS0_4arch9wavefront6targetE0EEEvT1_: ; @_ZN7rocprim17ROCPRIM_400000_NS6detail17trampoline_kernelINS0_14default_configENS1_27scan_by_key_config_selectorIxxEEZZNS1_16scan_by_key_implILNS1_25lookback_scan_determinismE0ELb1ES3_N6thrust23THRUST_200600_302600_NS6detail15normal_iteratorINS9_10device_ptrIxEEEESE_SE_xNS9_4plusIxEE19head_flag_predicatexEE10hipError_tPvRmT2_T3_T4_T5_mT6_T7_P12ihipStream_tbENKUlT_T0_E_clISt17integral_constantIbLb0EESY_EEDaST_SU_EUlST_E_NS1_11comp_targetILNS1_3genE5ELNS1_11target_archE942ELNS1_3gpuE9ELNS1_3repE0EEENS1_30default_config_static_selectorELNS0_4arch9wavefront6targetE0EEEvT1_
; %bb.0:
	.section	.rodata,"a",@progbits
	.p2align	6, 0x0
	.amdhsa_kernel _ZN7rocprim17ROCPRIM_400000_NS6detail17trampoline_kernelINS0_14default_configENS1_27scan_by_key_config_selectorIxxEEZZNS1_16scan_by_key_implILNS1_25lookback_scan_determinismE0ELb1ES3_N6thrust23THRUST_200600_302600_NS6detail15normal_iteratorINS9_10device_ptrIxEEEESE_SE_xNS9_4plusIxEE19head_flag_predicatexEE10hipError_tPvRmT2_T3_T4_T5_mT6_T7_P12ihipStream_tbENKUlT_T0_E_clISt17integral_constantIbLb0EESY_EEDaST_SU_EUlST_E_NS1_11comp_targetILNS1_3genE5ELNS1_11target_archE942ELNS1_3gpuE9ELNS1_3repE0EEENS1_30default_config_static_selectorELNS0_4arch9wavefront6targetE0EEEvT1_
		.amdhsa_group_segment_fixed_size 0
		.amdhsa_private_segment_fixed_size 0
		.amdhsa_kernarg_size 136
		.amdhsa_user_sgpr_count 2
		.amdhsa_user_sgpr_dispatch_ptr 0
		.amdhsa_user_sgpr_queue_ptr 0
		.amdhsa_user_sgpr_kernarg_segment_ptr 1
		.amdhsa_user_sgpr_dispatch_id 0
		.amdhsa_user_sgpr_kernarg_preload_length 0
		.amdhsa_user_sgpr_kernarg_preload_offset 0
		.amdhsa_user_sgpr_private_segment_size 0
		.amdhsa_wavefront_size32 1
		.amdhsa_uses_dynamic_stack 0
		.amdhsa_enable_private_segment 0
		.amdhsa_system_sgpr_workgroup_id_x 1
		.amdhsa_system_sgpr_workgroup_id_y 0
		.amdhsa_system_sgpr_workgroup_id_z 0
		.amdhsa_system_sgpr_workgroup_info 0
		.amdhsa_system_vgpr_workitem_id 0
		.amdhsa_next_free_vgpr 1
		.amdhsa_next_free_sgpr 1
		.amdhsa_named_barrier_count 0
		.amdhsa_reserve_vcc 0
		.amdhsa_float_round_mode_32 0
		.amdhsa_float_round_mode_16_64 0
		.amdhsa_float_denorm_mode_32 3
		.amdhsa_float_denorm_mode_16_64 3
		.amdhsa_fp16_overflow 0
		.amdhsa_memory_ordered 1
		.amdhsa_forward_progress 1
		.amdhsa_inst_pref_size 0
		.amdhsa_round_robin_scheduling 0
		.amdhsa_exception_fp_ieee_invalid_op 0
		.amdhsa_exception_fp_denorm_src 0
		.amdhsa_exception_fp_ieee_div_zero 0
		.amdhsa_exception_fp_ieee_overflow 0
		.amdhsa_exception_fp_ieee_underflow 0
		.amdhsa_exception_fp_ieee_inexact 0
		.amdhsa_exception_int_div_zero 0
	.end_amdhsa_kernel
	.section	.text._ZN7rocprim17ROCPRIM_400000_NS6detail17trampoline_kernelINS0_14default_configENS1_27scan_by_key_config_selectorIxxEEZZNS1_16scan_by_key_implILNS1_25lookback_scan_determinismE0ELb1ES3_N6thrust23THRUST_200600_302600_NS6detail15normal_iteratorINS9_10device_ptrIxEEEESE_SE_xNS9_4plusIxEE19head_flag_predicatexEE10hipError_tPvRmT2_T3_T4_T5_mT6_T7_P12ihipStream_tbENKUlT_T0_E_clISt17integral_constantIbLb0EESY_EEDaST_SU_EUlST_E_NS1_11comp_targetILNS1_3genE5ELNS1_11target_archE942ELNS1_3gpuE9ELNS1_3repE0EEENS1_30default_config_static_selectorELNS0_4arch9wavefront6targetE0EEEvT1_,"axG",@progbits,_ZN7rocprim17ROCPRIM_400000_NS6detail17trampoline_kernelINS0_14default_configENS1_27scan_by_key_config_selectorIxxEEZZNS1_16scan_by_key_implILNS1_25lookback_scan_determinismE0ELb1ES3_N6thrust23THRUST_200600_302600_NS6detail15normal_iteratorINS9_10device_ptrIxEEEESE_SE_xNS9_4plusIxEE19head_flag_predicatexEE10hipError_tPvRmT2_T3_T4_T5_mT6_T7_P12ihipStream_tbENKUlT_T0_E_clISt17integral_constantIbLb0EESY_EEDaST_SU_EUlST_E_NS1_11comp_targetILNS1_3genE5ELNS1_11target_archE942ELNS1_3gpuE9ELNS1_3repE0EEENS1_30default_config_static_selectorELNS0_4arch9wavefront6targetE0EEEvT1_,comdat
.Lfunc_end715:
	.size	_ZN7rocprim17ROCPRIM_400000_NS6detail17trampoline_kernelINS0_14default_configENS1_27scan_by_key_config_selectorIxxEEZZNS1_16scan_by_key_implILNS1_25lookback_scan_determinismE0ELb1ES3_N6thrust23THRUST_200600_302600_NS6detail15normal_iteratorINS9_10device_ptrIxEEEESE_SE_xNS9_4plusIxEE19head_flag_predicatexEE10hipError_tPvRmT2_T3_T4_T5_mT6_T7_P12ihipStream_tbENKUlT_T0_E_clISt17integral_constantIbLb0EESY_EEDaST_SU_EUlST_E_NS1_11comp_targetILNS1_3genE5ELNS1_11target_archE942ELNS1_3gpuE9ELNS1_3repE0EEENS1_30default_config_static_selectorELNS0_4arch9wavefront6targetE0EEEvT1_, .Lfunc_end715-_ZN7rocprim17ROCPRIM_400000_NS6detail17trampoline_kernelINS0_14default_configENS1_27scan_by_key_config_selectorIxxEEZZNS1_16scan_by_key_implILNS1_25lookback_scan_determinismE0ELb1ES3_N6thrust23THRUST_200600_302600_NS6detail15normal_iteratorINS9_10device_ptrIxEEEESE_SE_xNS9_4plusIxEE19head_flag_predicatexEE10hipError_tPvRmT2_T3_T4_T5_mT6_T7_P12ihipStream_tbENKUlT_T0_E_clISt17integral_constantIbLb0EESY_EEDaST_SU_EUlST_E_NS1_11comp_targetILNS1_3genE5ELNS1_11target_archE942ELNS1_3gpuE9ELNS1_3repE0EEENS1_30default_config_static_selectorELNS0_4arch9wavefront6targetE0EEEvT1_
                                        ; -- End function
	.set _ZN7rocprim17ROCPRIM_400000_NS6detail17trampoline_kernelINS0_14default_configENS1_27scan_by_key_config_selectorIxxEEZZNS1_16scan_by_key_implILNS1_25lookback_scan_determinismE0ELb1ES3_N6thrust23THRUST_200600_302600_NS6detail15normal_iteratorINS9_10device_ptrIxEEEESE_SE_xNS9_4plusIxEE19head_flag_predicatexEE10hipError_tPvRmT2_T3_T4_T5_mT6_T7_P12ihipStream_tbENKUlT_T0_E_clISt17integral_constantIbLb0EESY_EEDaST_SU_EUlST_E_NS1_11comp_targetILNS1_3genE5ELNS1_11target_archE942ELNS1_3gpuE9ELNS1_3repE0EEENS1_30default_config_static_selectorELNS0_4arch9wavefront6targetE0EEEvT1_.num_vgpr, 0
	.set _ZN7rocprim17ROCPRIM_400000_NS6detail17trampoline_kernelINS0_14default_configENS1_27scan_by_key_config_selectorIxxEEZZNS1_16scan_by_key_implILNS1_25lookback_scan_determinismE0ELb1ES3_N6thrust23THRUST_200600_302600_NS6detail15normal_iteratorINS9_10device_ptrIxEEEESE_SE_xNS9_4plusIxEE19head_flag_predicatexEE10hipError_tPvRmT2_T3_T4_T5_mT6_T7_P12ihipStream_tbENKUlT_T0_E_clISt17integral_constantIbLb0EESY_EEDaST_SU_EUlST_E_NS1_11comp_targetILNS1_3genE5ELNS1_11target_archE942ELNS1_3gpuE9ELNS1_3repE0EEENS1_30default_config_static_selectorELNS0_4arch9wavefront6targetE0EEEvT1_.num_agpr, 0
	.set _ZN7rocprim17ROCPRIM_400000_NS6detail17trampoline_kernelINS0_14default_configENS1_27scan_by_key_config_selectorIxxEEZZNS1_16scan_by_key_implILNS1_25lookback_scan_determinismE0ELb1ES3_N6thrust23THRUST_200600_302600_NS6detail15normal_iteratorINS9_10device_ptrIxEEEESE_SE_xNS9_4plusIxEE19head_flag_predicatexEE10hipError_tPvRmT2_T3_T4_T5_mT6_T7_P12ihipStream_tbENKUlT_T0_E_clISt17integral_constantIbLb0EESY_EEDaST_SU_EUlST_E_NS1_11comp_targetILNS1_3genE5ELNS1_11target_archE942ELNS1_3gpuE9ELNS1_3repE0EEENS1_30default_config_static_selectorELNS0_4arch9wavefront6targetE0EEEvT1_.numbered_sgpr, 0
	.set _ZN7rocprim17ROCPRIM_400000_NS6detail17trampoline_kernelINS0_14default_configENS1_27scan_by_key_config_selectorIxxEEZZNS1_16scan_by_key_implILNS1_25lookback_scan_determinismE0ELb1ES3_N6thrust23THRUST_200600_302600_NS6detail15normal_iteratorINS9_10device_ptrIxEEEESE_SE_xNS9_4plusIxEE19head_flag_predicatexEE10hipError_tPvRmT2_T3_T4_T5_mT6_T7_P12ihipStream_tbENKUlT_T0_E_clISt17integral_constantIbLb0EESY_EEDaST_SU_EUlST_E_NS1_11comp_targetILNS1_3genE5ELNS1_11target_archE942ELNS1_3gpuE9ELNS1_3repE0EEENS1_30default_config_static_selectorELNS0_4arch9wavefront6targetE0EEEvT1_.num_named_barrier, 0
	.set _ZN7rocprim17ROCPRIM_400000_NS6detail17trampoline_kernelINS0_14default_configENS1_27scan_by_key_config_selectorIxxEEZZNS1_16scan_by_key_implILNS1_25lookback_scan_determinismE0ELb1ES3_N6thrust23THRUST_200600_302600_NS6detail15normal_iteratorINS9_10device_ptrIxEEEESE_SE_xNS9_4plusIxEE19head_flag_predicatexEE10hipError_tPvRmT2_T3_T4_T5_mT6_T7_P12ihipStream_tbENKUlT_T0_E_clISt17integral_constantIbLb0EESY_EEDaST_SU_EUlST_E_NS1_11comp_targetILNS1_3genE5ELNS1_11target_archE942ELNS1_3gpuE9ELNS1_3repE0EEENS1_30default_config_static_selectorELNS0_4arch9wavefront6targetE0EEEvT1_.private_seg_size, 0
	.set _ZN7rocprim17ROCPRIM_400000_NS6detail17trampoline_kernelINS0_14default_configENS1_27scan_by_key_config_selectorIxxEEZZNS1_16scan_by_key_implILNS1_25lookback_scan_determinismE0ELb1ES3_N6thrust23THRUST_200600_302600_NS6detail15normal_iteratorINS9_10device_ptrIxEEEESE_SE_xNS9_4plusIxEE19head_flag_predicatexEE10hipError_tPvRmT2_T3_T4_T5_mT6_T7_P12ihipStream_tbENKUlT_T0_E_clISt17integral_constantIbLb0EESY_EEDaST_SU_EUlST_E_NS1_11comp_targetILNS1_3genE5ELNS1_11target_archE942ELNS1_3gpuE9ELNS1_3repE0EEENS1_30default_config_static_selectorELNS0_4arch9wavefront6targetE0EEEvT1_.uses_vcc, 0
	.set _ZN7rocprim17ROCPRIM_400000_NS6detail17trampoline_kernelINS0_14default_configENS1_27scan_by_key_config_selectorIxxEEZZNS1_16scan_by_key_implILNS1_25lookback_scan_determinismE0ELb1ES3_N6thrust23THRUST_200600_302600_NS6detail15normal_iteratorINS9_10device_ptrIxEEEESE_SE_xNS9_4plusIxEE19head_flag_predicatexEE10hipError_tPvRmT2_T3_T4_T5_mT6_T7_P12ihipStream_tbENKUlT_T0_E_clISt17integral_constantIbLb0EESY_EEDaST_SU_EUlST_E_NS1_11comp_targetILNS1_3genE5ELNS1_11target_archE942ELNS1_3gpuE9ELNS1_3repE0EEENS1_30default_config_static_selectorELNS0_4arch9wavefront6targetE0EEEvT1_.uses_flat_scratch, 0
	.set _ZN7rocprim17ROCPRIM_400000_NS6detail17trampoline_kernelINS0_14default_configENS1_27scan_by_key_config_selectorIxxEEZZNS1_16scan_by_key_implILNS1_25lookback_scan_determinismE0ELb1ES3_N6thrust23THRUST_200600_302600_NS6detail15normal_iteratorINS9_10device_ptrIxEEEESE_SE_xNS9_4plusIxEE19head_flag_predicatexEE10hipError_tPvRmT2_T3_T4_T5_mT6_T7_P12ihipStream_tbENKUlT_T0_E_clISt17integral_constantIbLb0EESY_EEDaST_SU_EUlST_E_NS1_11comp_targetILNS1_3genE5ELNS1_11target_archE942ELNS1_3gpuE9ELNS1_3repE0EEENS1_30default_config_static_selectorELNS0_4arch9wavefront6targetE0EEEvT1_.has_dyn_sized_stack, 0
	.set _ZN7rocprim17ROCPRIM_400000_NS6detail17trampoline_kernelINS0_14default_configENS1_27scan_by_key_config_selectorIxxEEZZNS1_16scan_by_key_implILNS1_25lookback_scan_determinismE0ELb1ES3_N6thrust23THRUST_200600_302600_NS6detail15normal_iteratorINS9_10device_ptrIxEEEESE_SE_xNS9_4plusIxEE19head_flag_predicatexEE10hipError_tPvRmT2_T3_T4_T5_mT6_T7_P12ihipStream_tbENKUlT_T0_E_clISt17integral_constantIbLb0EESY_EEDaST_SU_EUlST_E_NS1_11comp_targetILNS1_3genE5ELNS1_11target_archE942ELNS1_3gpuE9ELNS1_3repE0EEENS1_30default_config_static_selectorELNS0_4arch9wavefront6targetE0EEEvT1_.has_recursion, 0
	.set _ZN7rocprim17ROCPRIM_400000_NS6detail17trampoline_kernelINS0_14default_configENS1_27scan_by_key_config_selectorIxxEEZZNS1_16scan_by_key_implILNS1_25lookback_scan_determinismE0ELb1ES3_N6thrust23THRUST_200600_302600_NS6detail15normal_iteratorINS9_10device_ptrIxEEEESE_SE_xNS9_4plusIxEE19head_flag_predicatexEE10hipError_tPvRmT2_T3_T4_T5_mT6_T7_P12ihipStream_tbENKUlT_T0_E_clISt17integral_constantIbLb0EESY_EEDaST_SU_EUlST_E_NS1_11comp_targetILNS1_3genE5ELNS1_11target_archE942ELNS1_3gpuE9ELNS1_3repE0EEENS1_30default_config_static_selectorELNS0_4arch9wavefront6targetE0EEEvT1_.has_indirect_call, 0
	.section	.AMDGPU.csdata,"",@progbits
; Kernel info:
; codeLenInByte = 0
; TotalNumSgprs: 0
; NumVgprs: 0
; ScratchSize: 0
; MemoryBound: 0
; FloatMode: 240
; IeeeMode: 1
; LDSByteSize: 0 bytes/workgroup (compile time only)
; SGPRBlocks: 0
; VGPRBlocks: 0
; NumSGPRsForWavesPerEU: 1
; NumVGPRsForWavesPerEU: 1
; NamedBarCnt: 0
; Occupancy: 16
; WaveLimiterHint : 0
; COMPUTE_PGM_RSRC2:SCRATCH_EN: 0
; COMPUTE_PGM_RSRC2:USER_SGPR: 2
; COMPUTE_PGM_RSRC2:TRAP_HANDLER: 0
; COMPUTE_PGM_RSRC2:TGID_X_EN: 1
; COMPUTE_PGM_RSRC2:TGID_Y_EN: 0
; COMPUTE_PGM_RSRC2:TGID_Z_EN: 0
; COMPUTE_PGM_RSRC2:TIDIG_COMP_CNT: 0
	.section	.text._ZN7rocprim17ROCPRIM_400000_NS6detail17trampoline_kernelINS0_14default_configENS1_27scan_by_key_config_selectorIxxEEZZNS1_16scan_by_key_implILNS1_25lookback_scan_determinismE0ELb1ES3_N6thrust23THRUST_200600_302600_NS6detail15normal_iteratorINS9_10device_ptrIxEEEESE_SE_xNS9_4plusIxEE19head_flag_predicatexEE10hipError_tPvRmT2_T3_T4_T5_mT6_T7_P12ihipStream_tbENKUlT_T0_E_clISt17integral_constantIbLb0EESY_EEDaST_SU_EUlST_E_NS1_11comp_targetILNS1_3genE4ELNS1_11target_archE910ELNS1_3gpuE8ELNS1_3repE0EEENS1_30default_config_static_selectorELNS0_4arch9wavefront6targetE0EEEvT1_,"axG",@progbits,_ZN7rocprim17ROCPRIM_400000_NS6detail17trampoline_kernelINS0_14default_configENS1_27scan_by_key_config_selectorIxxEEZZNS1_16scan_by_key_implILNS1_25lookback_scan_determinismE0ELb1ES3_N6thrust23THRUST_200600_302600_NS6detail15normal_iteratorINS9_10device_ptrIxEEEESE_SE_xNS9_4plusIxEE19head_flag_predicatexEE10hipError_tPvRmT2_T3_T4_T5_mT6_T7_P12ihipStream_tbENKUlT_T0_E_clISt17integral_constantIbLb0EESY_EEDaST_SU_EUlST_E_NS1_11comp_targetILNS1_3genE4ELNS1_11target_archE910ELNS1_3gpuE8ELNS1_3repE0EEENS1_30default_config_static_selectorELNS0_4arch9wavefront6targetE0EEEvT1_,comdat
	.protected	_ZN7rocprim17ROCPRIM_400000_NS6detail17trampoline_kernelINS0_14default_configENS1_27scan_by_key_config_selectorIxxEEZZNS1_16scan_by_key_implILNS1_25lookback_scan_determinismE0ELb1ES3_N6thrust23THRUST_200600_302600_NS6detail15normal_iteratorINS9_10device_ptrIxEEEESE_SE_xNS9_4plusIxEE19head_flag_predicatexEE10hipError_tPvRmT2_T3_T4_T5_mT6_T7_P12ihipStream_tbENKUlT_T0_E_clISt17integral_constantIbLb0EESY_EEDaST_SU_EUlST_E_NS1_11comp_targetILNS1_3genE4ELNS1_11target_archE910ELNS1_3gpuE8ELNS1_3repE0EEENS1_30default_config_static_selectorELNS0_4arch9wavefront6targetE0EEEvT1_ ; -- Begin function _ZN7rocprim17ROCPRIM_400000_NS6detail17trampoline_kernelINS0_14default_configENS1_27scan_by_key_config_selectorIxxEEZZNS1_16scan_by_key_implILNS1_25lookback_scan_determinismE0ELb1ES3_N6thrust23THRUST_200600_302600_NS6detail15normal_iteratorINS9_10device_ptrIxEEEESE_SE_xNS9_4plusIxEE19head_flag_predicatexEE10hipError_tPvRmT2_T3_T4_T5_mT6_T7_P12ihipStream_tbENKUlT_T0_E_clISt17integral_constantIbLb0EESY_EEDaST_SU_EUlST_E_NS1_11comp_targetILNS1_3genE4ELNS1_11target_archE910ELNS1_3gpuE8ELNS1_3repE0EEENS1_30default_config_static_selectorELNS0_4arch9wavefront6targetE0EEEvT1_
	.globl	_ZN7rocprim17ROCPRIM_400000_NS6detail17trampoline_kernelINS0_14default_configENS1_27scan_by_key_config_selectorIxxEEZZNS1_16scan_by_key_implILNS1_25lookback_scan_determinismE0ELb1ES3_N6thrust23THRUST_200600_302600_NS6detail15normal_iteratorINS9_10device_ptrIxEEEESE_SE_xNS9_4plusIxEE19head_flag_predicatexEE10hipError_tPvRmT2_T3_T4_T5_mT6_T7_P12ihipStream_tbENKUlT_T0_E_clISt17integral_constantIbLb0EESY_EEDaST_SU_EUlST_E_NS1_11comp_targetILNS1_3genE4ELNS1_11target_archE910ELNS1_3gpuE8ELNS1_3repE0EEENS1_30default_config_static_selectorELNS0_4arch9wavefront6targetE0EEEvT1_
	.p2align	8
	.type	_ZN7rocprim17ROCPRIM_400000_NS6detail17trampoline_kernelINS0_14default_configENS1_27scan_by_key_config_selectorIxxEEZZNS1_16scan_by_key_implILNS1_25lookback_scan_determinismE0ELb1ES3_N6thrust23THRUST_200600_302600_NS6detail15normal_iteratorINS9_10device_ptrIxEEEESE_SE_xNS9_4plusIxEE19head_flag_predicatexEE10hipError_tPvRmT2_T3_T4_T5_mT6_T7_P12ihipStream_tbENKUlT_T0_E_clISt17integral_constantIbLb0EESY_EEDaST_SU_EUlST_E_NS1_11comp_targetILNS1_3genE4ELNS1_11target_archE910ELNS1_3gpuE8ELNS1_3repE0EEENS1_30default_config_static_selectorELNS0_4arch9wavefront6targetE0EEEvT1_,@function
_ZN7rocprim17ROCPRIM_400000_NS6detail17trampoline_kernelINS0_14default_configENS1_27scan_by_key_config_selectorIxxEEZZNS1_16scan_by_key_implILNS1_25lookback_scan_determinismE0ELb1ES3_N6thrust23THRUST_200600_302600_NS6detail15normal_iteratorINS9_10device_ptrIxEEEESE_SE_xNS9_4plusIxEE19head_flag_predicatexEE10hipError_tPvRmT2_T3_T4_T5_mT6_T7_P12ihipStream_tbENKUlT_T0_E_clISt17integral_constantIbLb0EESY_EEDaST_SU_EUlST_E_NS1_11comp_targetILNS1_3genE4ELNS1_11target_archE910ELNS1_3gpuE8ELNS1_3repE0EEENS1_30default_config_static_selectorELNS0_4arch9wavefront6targetE0EEEvT1_: ; @_ZN7rocprim17ROCPRIM_400000_NS6detail17trampoline_kernelINS0_14default_configENS1_27scan_by_key_config_selectorIxxEEZZNS1_16scan_by_key_implILNS1_25lookback_scan_determinismE0ELb1ES3_N6thrust23THRUST_200600_302600_NS6detail15normal_iteratorINS9_10device_ptrIxEEEESE_SE_xNS9_4plusIxEE19head_flag_predicatexEE10hipError_tPvRmT2_T3_T4_T5_mT6_T7_P12ihipStream_tbENKUlT_T0_E_clISt17integral_constantIbLb0EESY_EEDaST_SU_EUlST_E_NS1_11comp_targetILNS1_3genE4ELNS1_11target_archE910ELNS1_3gpuE8ELNS1_3repE0EEENS1_30default_config_static_selectorELNS0_4arch9wavefront6targetE0EEEvT1_
; %bb.0:
	.section	.rodata,"a",@progbits
	.p2align	6, 0x0
	.amdhsa_kernel _ZN7rocprim17ROCPRIM_400000_NS6detail17trampoline_kernelINS0_14default_configENS1_27scan_by_key_config_selectorIxxEEZZNS1_16scan_by_key_implILNS1_25lookback_scan_determinismE0ELb1ES3_N6thrust23THRUST_200600_302600_NS6detail15normal_iteratorINS9_10device_ptrIxEEEESE_SE_xNS9_4plusIxEE19head_flag_predicatexEE10hipError_tPvRmT2_T3_T4_T5_mT6_T7_P12ihipStream_tbENKUlT_T0_E_clISt17integral_constantIbLb0EESY_EEDaST_SU_EUlST_E_NS1_11comp_targetILNS1_3genE4ELNS1_11target_archE910ELNS1_3gpuE8ELNS1_3repE0EEENS1_30default_config_static_selectorELNS0_4arch9wavefront6targetE0EEEvT1_
		.amdhsa_group_segment_fixed_size 0
		.amdhsa_private_segment_fixed_size 0
		.amdhsa_kernarg_size 136
		.amdhsa_user_sgpr_count 2
		.amdhsa_user_sgpr_dispatch_ptr 0
		.amdhsa_user_sgpr_queue_ptr 0
		.amdhsa_user_sgpr_kernarg_segment_ptr 1
		.amdhsa_user_sgpr_dispatch_id 0
		.amdhsa_user_sgpr_kernarg_preload_length 0
		.amdhsa_user_sgpr_kernarg_preload_offset 0
		.amdhsa_user_sgpr_private_segment_size 0
		.amdhsa_wavefront_size32 1
		.amdhsa_uses_dynamic_stack 0
		.amdhsa_enable_private_segment 0
		.amdhsa_system_sgpr_workgroup_id_x 1
		.amdhsa_system_sgpr_workgroup_id_y 0
		.amdhsa_system_sgpr_workgroup_id_z 0
		.amdhsa_system_sgpr_workgroup_info 0
		.amdhsa_system_vgpr_workitem_id 0
		.amdhsa_next_free_vgpr 1
		.amdhsa_next_free_sgpr 1
		.amdhsa_named_barrier_count 0
		.amdhsa_reserve_vcc 0
		.amdhsa_float_round_mode_32 0
		.amdhsa_float_round_mode_16_64 0
		.amdhsa_float_denorm_mode_32 3
		.amdhsa_float_denorm_mode_16_64 3
		.amdhsa_fp16_overflow 0
		.amdhsa_memory_ordered 1
		.amdhsa_forward_progress 1
		.amdhsa_inst_pref_size 0
		.amdhsa_round_robin_scheduling 0
		.amdhsa_exception_fp_ieee_invalid_op 0
		.amdhsa_exception_fp_denorm_src 0
		.amdhsa_exception_fp_ieee_div_zero 0
		.amdhsa_exception_fp_ieee_overflow 0
		.amdhsa_exception_fp_ieee_underflow 0
		.amdhsa_exception_fp_ieee_inexact 0
		.amdhsa_exception_int_div_zero 0
	.end_amdhsa_kernel
	.section	.text._ZN7rocprim17ROCPRIM_400000_NS6detail17trampoline_kernelINS0_14default_configENS1_27scan_by_key_config_selectorIxxEEZZNS1_16scan_by_key_implILNS1_25lookback_scan_determinismE0ELb1ES3_N6thrust23THRUST_200600_302600_NS6detail15normal_iteratorINS9_10device_ptrIxEEEESE_SE_xNS9_4plusIxEE19head_flag_predicatexEE10hipError_tPvRmT2_T3_T4_T5_mT6_T7_P12ihipStream_tbENKUlT_T0_E_clISt17integral_constantIbLb0EESY_EEDaST_SU_EUlST_E_NS1_11comp_targetILNS1_3genE4ELNS1_11target_archE910ELNS1_3gpuE8ELNS1_3repE0EEENS1_30default_config_static_selectorELNS0_4arch9wavefront6targetE0EEEvT1_,"axG",@progbits,_ZN7rocprim17ROCPRIM_400000_NS6detail17trampoline_kernelINS0_14default_configENS1_27scan_by_key_config_selectorIxxEEZZNS1_16scan_by_key_implILNS1_25lookback_scan_determinismE0ELb1ES3_N6thrust23THRUST_200600_302600_NS6detail15normal_iteratorINS9_10device_ptrIxEEEESE_SE_xNS9_4plusIxEE19head_flag_predicatexEE10hipError_tPvRmT2_T3_T4_T5_mT6_T7_P12ihipStream_tbENKUlT_T0_E_clISt17integral_constantIbLb0EESY_EEDaST_SU_EUlST_E_NS1_11comp_targetILNS1_3genE4ELNS1_11target_archE910ELNS1_3gpuE8ELNS1_3repE0EEENS1_30default_config_static_selectorELNS0_4arch9wavefront6targetE0EEEvT1_,comdat
.Lfunc_end716:
	.size	_ZN7rocprim17ROCPRIM_400000_NS6detail17trampoline_kernelINS0_14default_configENS1_27scan_by_key_config_selectorIxxEEZZNS1_16scan_by_key_implILNS1_25lookback_scan_determinismE0ELb1ES3_N6thrust23THRUST_200600_302600_NS6detail15normal_iteratorINS9_10device_ptrIxEEEESE_SE_xNS9_4plusIxEE19head_flag_predicatexEE10hipError_tPvRmT2_T3_T4_T5_mT6_T7_P12ihipStream_tbENKUlT_T0_E_clISt17integral_constantIbLb0EESY_EEDaST_SU_EUlST_E_NS1_11comp_targetILNS1_3genE4ELNS1_11target_archE910ELNS1_3gpuE8ELNS1_3repE0EEENS1_30default_config_static_selectorELNS0_4arch9wavefront6targetE0EEEvT1_, .Lfunc_end716-_ZN7rocprim17ROCPRIM_400000_NS6detail17trampoline_kernelINS0_14default_configENS1_27scan_by_key_config_selectorIxxEEZZNS1_16scan_by_key_implILNS1_25lookback_scan_determinismE0ELb1ES3_N6thrust23THRUST_200600_302600_NS6detail15normal_iteratorINS9_10device_ptrIxEEEESE_SE_xNS9_4plusIxEE19head_flag_predicatexEE10hipError_tPvRmT2_T3_T4_T5_mT6_T7_P12ihipStream_tbENKUlT_T0_E_clISt17integral_constantIbLb0EESY_EEDaST_SU_EUlST_E_NS1_11comp_targetILNS1_3genE4ELNS1_11target_archE910ELNS1_3gpuE8ELNS1_3repE0EEENS1_30default_config_static_selectorELNS0_4arch9wavefront6targetE0EEEvT1_
                                        ; -- End function
	.set _ZN7rocprim17ROCPRIM_400000_NS6detail17trampoline_kernelINS0_14default_configENS1_27scan_by_key_config_selectorIxxEEZZNS1_16scan_by_key_implILNS1_25lookback_scan_determinismE0ELb1ES3_N6thrust23THRUST_200600_302600_NS6detail15normal_iteratorINS9_10device_ptrIxEEEESE_SE_xNS9_4plusIxEE19head_flag_predicatexEE10hipError_tPvRmT2_T3_T4_T5_mT6_T7_P12ihipStream_tbENKUlT_T0_E_clISt17integral_constantIbLb0EESY_EEDaST_SU_EUlST_E_NS1_11comp_targetILNS1_3genE4ELNS1_11target_archE910ELNS1_3gpuE8ELNS1_3repE0EEENS1_30default_config_static_selectorELNS0_4arch9wavefront6targetE0EEEvT1_.num_vgpr, 0
	.set _ZN7rocprim17ROCPRIM_400000_NS6detail17trampoline_kernelINS0_14default_configENS1_27scan_by_key_config_selectorIxxEEZZNS1_16scan_by_key_implILNS1_25lookback_scan_determinismE0ELb1ES3_N6thrust23THRUST_200600_302600_NS6detail15normal_iteratorINS9_10device_ptrIxEEEESE_SE_xNS9_4plusIxEE19head_flag_predicatexEE10hipError_tPvRmT2_T3_T4_T5_mT6_T7_P12ihipStream_tbENKUlT_T0_E_clISt17integral_constantIbLb0EESY_EEDaST_SU_EUlST_E_NS1_11comp_targetILNS1_3genE4ELNS1_11target_archE910ELNS1_3gpuE8ELNS1_3repE0EEENS1_30default_config_static_selectorELNS0_4arch9wavefront6targetE0EEEvT1_.num_agpr, 0
	.set _ZN7rocprim17ROCPRIM_400000_NS6detail17trampoline_kernelINS0_14default_configENS1_27scan_by_key_config_selectorIxxEEZZNS1_16scan_by_key_implILNS1_25lookback_scan_determinismE0ELb1ES3_N6thrust23THRUST_200600_302600_NS6detail15normal_iteratorINS9_10device_ptrIxEEEESE_SE_xNS9_4plusIxEE19head_flag_predicatexEE10hipError_tPvRmT2_T3_T4_T5_mT6_T7_P12ihipStream_tbENKUlT_T0_E_clISt17integral_constantIbLb0EESY_EEDaST_SU_EUlST_E_NS1_11comp_targetILNS1_3genE4ELNS1_11target_archE910ELNS1_3gpuE8ELNS1_3repE0EEENS1_30default_config_static_selectorELNS0_4arch9wavefront6targetE0EEEvT1_.numbered_sgpr, 0
	.set _ZN7rocprim17ROCPRIM_400000_NS6detail17trampoline_kernelINS0_14default_configENS1_27scan_by_key_config_selectorIxxEEZZNS1_16scan_by_key_implILNS1_25lookback_scan_determinismE0ELb1ES3_N6thrust23THRUST_200600_302600_NS6detail15normal_iteratorINS9_10device_ptrIxEEEESE_SE_xNS9_4plusIxEE19head_flag_predicatexEE10hipError_tPvRmT2_T3_T4_T5_mT6_T7_P12ihipStream_tbENKUlT_T0_E_clISt17integral_constantIbLb0EESY_EEDaST_SU_EUlST_E_NS1_11comp_targetILNS1_3genE4ELNS1_11target_archE910ELNS1_3gpuE8ELNS1_3repE0EEENS1_30default_config_static_selectorELNS0_4arch9wavefront6targetE0EEEvT1_.num_named_barrier, 0
	.set _ZN7rocprim17ROCPRIM_400000_NS6detail17trampoline_kernelINS0_14default_configENS1_27scan_by_key_config_selectorIxxEEZZNS1_16scan_by_key_implILNS1_25lookback_scan_determinismE0ELb1ES3_N6thrust23THRUST_200600_302600_NS6detail15normal_iteratorINS9_10device_ptrIxEEEESE_SE_xNS9_4plusIxEE19head_flag_predicatexEE10hipError_tPvRmT2_T3_T4_T5_mT6_T7_P12ihipStream_tbENKUlT_T0_E_clISt17integral_constantIbLb0EESY_EEDaST_SU_EUlST_E_NS1_11comp_targetILNS1_3genE4ELNS1_11target_archE910ELNS1_3gpuE8ELNS1_3repE0EEENS1_30default_config_static_selectorELNS0_4arch9wavefront6targetE0EEEvT1_.private_seg_size, 0
	.set _ZN7rocprim17ROCPRIM_400000_NS6detail17trampoline_kernelINS0_14default_configENS1_27scan_by_key_config_selectorIxxEEZZNS1_16scan_by_key_implILNS1_25lookback_scan_determinismE0ELb1ES3_N6thrust23THRUST_200600_302600_NS6detail15normal_iteratorINS9_10device_ptrIxEEEESE_SE_xNS9_4plusIxEE19head_flag_predicatexEE10hipError_tPvRmT2_T3_T4_T5_mT6_T7_P12ihipStream_tbENKUlT_T0_E_clISt17integral_constantIbLb0EESY_EEDaST_SU_EUlST_E_NS1_11comp_targetILNS1_3genE4ELNS1_11target_archE910ELNS1_3gpuE8ELNS1_3repE0EEENS1_30default_config_static_selectorELNS0_4arch9wavefront6targetE0EEEvT1_.uses_vcc, 0
	.set _ZN7rocprim17ROCPRIM_400000_NS6detail17trampoline_kernelINS0_14default_configENS1_27scan_by_key_config_selectorIxxEEZZNS1_16scan_by_key_implILNS1_25lookback_scan_determinismE0ELb1ES3_N6thrust23THRUST_200600_302600_NS6detail15normal_iteratorINS9_10device_ptrIxEEEESE_SE_xNS9_4plusIxEE19head_flag_predicatexEE10hipError_tPvRmT2_T3_T4_T5_mT6_T7_P12ihipStream_tbENKUlT_T0_E_clISt17integral_constantIbLb0EESY_EEDaST_SU_EUlST_E_NS1_11comp_targetILNS1_3genE4ELNS1_11target_archE910ELNS1_3gpuE8ELNS1_3repE0EEENS1_30default_config_static_selectorELNS0_4arch9wavefront6targetE0EEEvT1_.uses_flat_scratch, 0
	.set _ZN7rocprim17ROCPRIM_400000_NS6detail17trampoline_kernelINS0_14default_configENS1_27scan_by_key_config_selectorIxxEEZZNS1_16scan_by_key_implILNS1_25lookback_scan_determinismE0ELb1ES3_N6thrust23THRUST_200600_302600_NS6detail15normal_iteratorINS9_10device_ptrIxEEEESE_SE_xNS9_4plusIxEE19head_flag_predicatexEE10hipError_tPvRmT2_T3_T4_T5_mT6_T7_P12ihipStream_tbENKUlT_T0_E_clISt17integral_constantIbLb0EESY_EEDaST_SU_EUlST_E_NS1_11comp_targetILNS1_3genE4ELNS1_11target_archE910ELNS1_3gpuE8ELNS1_3repE0EEENS1_30default_config_static_selectorELNS0_4arch9wavefront6targetE0EEEvT1_.has_dyn_sized_stack, 0
	.set _ZN7rocprim17ROCPRIM_400000_NS6detail17trampoline_kernelINS0_14default_configENS1_27scan_by_key_config_selectorIxxEEZZNS1_16scan_by_key_implILNS1_25lookback_scan_determinismE0ELb1ES3_N6thrust23THRUST_200600_302600_NS6detail15normal_iteratorINS9_10device_ptrIxEEEESE_SE_xNS9_4plusIxEE19head_flag_predicatexEE10hipError_tPvRmT2_T3_T4_T5_mT6_T7_P12ihipStream_tbENKUlT_T0_E_clISt17integral_constantIbLb0EESY_EEDaST_SU_EUlST_E_NS1_11comp_targetILNS1_3genE4ELNS1_11target_archE910ELNS1_3gpuE8ELNS1_3repE0EEENS1_30default_config_static_selectorELNS0_4arch9wavefront6targetE0EEEvT1_.has_recursion, 0
	.set _ZN7rocprim17ROCPRIM_400000_NS6detail17trampoline_kernelINS0_14default_configENS1_27scan_by_key_config_selectorIxxEEZZNS1_16scan_by_key_implILNS1_25lookback_scan_determinismE0ELb1ES3_N6thrust23THRUST_200600_302600_NS6detail15normal_iteratorINS9_10device_ptrIxEEEESE_SE_xNS9_4plusIxEE19head_flag_predicatexEE10hipError_tPvRmT2_T3_T4_T5_mT6_T7_P12ihipStream_tbENKUlT_T0_E_clISt17integral_constantIbLb0EESY_EEDaST_SU_EUlST_E_NS1_11comp_targetILNS1_3genE4ELNS1_11target_archE910ELNS1_3gpuE8ELNS1_3repE0EEENS1_30default_config_static_selectorELNS0_4arch9wavefront6targetE0EEEvT1_.has_indirect_call, 0
	.section	.AMDGPU.csdata,"",@progbits
; Kernel info:
; codeLenInByte = 0
; TotalNumSgprs: 0
; NumVgprs: 0
; ScratchSize: 0
; MemoryBound: 0
; FloatMode: 240
; IeeeMode: 1
; LDSByteSize: 0 bytes/workgroup (compile time only)
; SGPRBlocks: 0
; VGPRBlocks: 0
; NumSGPRsForWavesPerEU: 1
; NumVGPRsForWavesPerEU: 1
; NamedBarCnt: 0
; Occupancy: 16
; WaveLimiterHint : 0
; COMPUTE_PGM_RSRC2:SCRATCH_EN: 0
; COMPUTE_PGM_RSRC2:USER_SGPR: 2
; COMPUTE_PGM_RSRC2:TRAP_HANDLER: 0
; COMPUTE_PGM_RSRC2:TGID_X_EN: 1
; COMPUTE_PGM_RSRC2:TGID_Y_EN: 0
; COMPUTE_PGM_RSRC2:TGID_Z_EN: 0
; COMPUTE_PGM_RSRC2:TIDIG_COMP_CNT: 0
	.section	.text._ZN7rocprim17ROCPRIM_400000_NS6detail17trampoline_kernelINS0_14default_configENS1_27scan_by_key_config_selectorIxxEEZZNS1_16scan_by_key_implILNS1_25lookback_scan_determinismE0ELb1ES3_N6thrust23THRUST_200600_302600_NS6detail15normal_iteratorINS9_10device_ptrIxEEEESE_SE_xNS9_4plusIxEE19head_flag_predicatexEE10hipError_tPvRmT2_T3_T4_T5_mT6_T7_P12ihipStream_tbENKUlT_T0_E_clISt17integral_constantIbLb0EESY_EEDaST_SU_EUlST_E_NS1_11comp_targetILNS1_3genE3ELNS1_11target_archE908ELNS1_3gpuE7ELNS1_3repE0EEENS1_30default_config_static_selectorELNS0_4arch9wavefront6targetE0EEEvT1_,"axG",@progbits,_ZN7rocprim17ROCPRIM_400000_NS6detail17trampoline_kernelINS0_14default_configENS1_27scan_by_key_config_selectorIxxEEZZNS1_16scan_by_key_implILNS1_25lookback_scan_determinismE0ELb1ES3_N6thrust23THRUST_200600_302600_NS6detail15normal_iteratorINS9_10device_ptrIxEEEESE_SE_xNS9_4plusIxEE19head_flag_predicatexEE10hipError_tPvRmT2_T3_T4_T5_mT6_T7_P12ihipStream_tbENKUlT_T0_E_clISt17integral_constantIbLb0EESY_EEDaST_SU_EUlST_E_NS1_11comp_targetILNS1_3genE3ELNS1_11target_archE908ELNS1_3gpuE7ELNS1_3repE0EEENS1_30default_config_static_selectorELNS0_4arch9wavefront6targetE0EEEvT1_,comdat
	.protected	_ZN7rocprim17ROCPRIM_400000_NS6detail17trampoline_kernelINS0_14default_configENS1_27scan_by_key_config_selectorIxxEEZZNS1_16scan_by_key_implILNS1_25lookback_scan_determinismE0ELb1ES3_N6thrust23THRUST_200600_302600_NS6detail15normal_iteratorINS9_10device_ptrIxEEEESE_SE_xNS9_4plusIxEE19head_flag_predicatexEE10hipError_tPvRmT2_T3_T4_T5_mT6_T7_P12ihipStream_tbENKUlT_T0_E_clISt17integral_constantIbLb0EESY_EEDaST_SU_EUlST_E_NS1_11comp_targetILNS1_3genE3ELNS1_11target_archE908ELNS1_3gpuE7ELNS1_3repE0EEENS1_30default_config_static_selectorELNS0_4arch9wavefront6targetE0EEEvT1_ ; -- Begin function _ZN7rocprim17ROCPRIM_400000_NS6detail17trampoline_kernelINS0_14default_configENS1_27scan_by_key_config_selectorIxxEEZZNS1_16scan_by_key_implILNS1_25lookback_scan_determinismE0ELb1ES3_N6thrust23THRUST_200600_302600_NS6detail15normal_iteratorINS9_10device_ptrIxEEEESE_SE_xNS9_4plusIxEE19head_flag_predicatexEE10hipError_tPvRmT2_T3_T4_T5_mT6_T7_P12ihipStream_tbENKUlT_T0_E_clISt17integral_constantIbLb0EESY_EEDaST_SU_EUlST_E_NS1_11comp_targetILNS1_3genE3ELNS1_11target_archE908ELNS1_3gpuE7ELNS1_3repE0EEENS1_30default_config_static_selectorELNS0_4arch9wavefront6targetE0EEEvT1_
	.globl	_ZN7rocprim17ROCPRIM_400000_NS6detail17trampoline_kernelINS0_14default_configENS1_27scan_by_key_config_selectorIxxEEZZNS1_16scan_by_key_implILNS1_25lookback_scan_determinismE0ELb1ES3_N6thrust23THRUST_200600_302600_NS6detail15normal_iteratorINS9_10device_ptrIxEEEESE_SE_xNS9_4plusIxEE19head_flag_predicatexEE10hipError_tPvRmT2_T3_T4_T5_mT6_T7_P12ihipStream_tbENKUlT_T0_E_clISt17integral_constantIbLb0EESY_EEDaST_SU_EUlST_E_NS1_11comp_targetILNS1_3genE3ELNS1_11target_archE908ELNS1_3gpuE7ELNS1_3repE0EEENS1_30default_config_static_selectorELNS0_4arch9wavefront6targetE0EEEvT1_
	.p2align	8
	.type	_ZN7rocprim17ROCPRIM_400000_NS6detail17trampoline_kernelINS0_14default_configENS1_27scan_by_key_config_selectorIxxEEZZNS1_16scan_by_key_implILNS1_25lookback_scan_determinismE0ELb1ES3_N6thrust23THRUST_200600_302600_NS6detail15normal_iteratorINS9_10device_ptrIxEEEESE_SE_xNS9_4plusIxEE19head_flag_predicatexEE10hipError_tPvRmT2_T3_T4_T5_mT6_T7_P12ihipStream_tbENKUlT_T0_E_clISt17integral_constantIbLb0EESY_EEDaST_SU_EUlST_E_NS1_11comp_targetILNS1_3genE3ELNS1_11target_archE908ELNS1_3gpuE7ELNS1_3repE0EEENS1_30default_config_static_selectorELNS0_4arch9wavefront6targetE0EEEvT1_,@function
_ZN7rocprim17ROCPRIM_400000_NS6detail17trampoline_kernelINS0_14default_configENS1_27scan_by_key_config_selectorIxxEEZZNS1_16scan_by_key_implILNS1_25lookback_scan_determinismE0ELb1ES3_N6thrust23THRUST_200600_302600_NS6detail15normal_iteratorINS9_10device_ptrIxEEEESE_SE_xNS9_4plusIxEE19head_flag_predicatexEE10hipError_tPvRmT2_T3_T4_T5_mT6_T7_P12ihipStream_tbENKUlT_T0_E_clISt17integral_constantIbLb0EESY_EEDaST_SU_EUlST_E_NS1_11comp_targetILNS1_3genE3ELNS1_11target_archE908ELNS1_3gpuE7ELNS1_3repE0EEENS1_30default_config_static_selectorELNS0_4arch9wavefront6targetE0EEEvT1_: ; @_ZN7rocprim17ROCPRIM_400000_NS6detail17trampoline_kernelINS0_14default_configENS1_27scan_by_key_config_selectorIxxEEZZNS1_16scan_by_key_implILNS1_25lookback_scan_determinismE0ELb1ES3_N6thrust23THRUST_200600_302600_NS6detail15normal_iteratorINS9_10device_ptrIxEEEESE_SE_xNS9_4plusIxEE19head_flag_predicatexEE10hipError_tPvRmT2_T3_T4_T5_mT6_T7_P12ihipStream_tbENKUlT_T0_E_clISt17integral_constantIbLb0EESY_EEDaST_SU_EUlST_E_NS1_11comp_targetILNS1_3genE3ELNS1_11target_archE908ELNS1_3gpuE7ELNS1_3repE0EEENS1_30default_config_static_selectorELNS0_4arch9wavefront6targetE0EEEvT1_
; %bb.0:
	.section	.rodata,"a",@progbits
	.p2align	6, 0x0
	.amdhsa_kernel _ZN7rocprim17ROCPRIM_400000_NS6detail17trampoline_kernelINS0_14default_configENS1_27scan_by_key_config_selectorIxxEEZZNS1_16scan_by_key_implILNS1_25lookback_scan_determinismE0ELb1ES3_N6thrust23THRUST_200600_302600_NS6detail15normal_iteratorINS9_10device_ptrIxEEEESE_SE_xNS9_4plusIxEE19head_flag_predicatexEE10hipError_tPvRmT2_T3_T4_T5_mT6_T7_P12ihipStream_tbENKUlT_T0_E_clISt17integral_constantIbLb0EESY_EEDaST_SU_EUlST_E_NS1_11comp_targetILNS1_3genE3ELNS1_11target_archE908ELNS1_3gpuE7ELNS1_3repE0EEENS1_30default_config_static_selectorELNS0_4arch9wavefront6targetE0EEEvT1_
		.amdhsa_group_segment_fixed_size 0
		.amdhsa_private_segment_fixed_size 0
		.amdhsa_kernarg_size 136
		.amdhsa_user_sgpr_count 2
		.amdhsa_user_sgpr_dispatch_ptr 0
		.amdhsa_user_sgpr_queue_ptr 0
		.amdhsa_user_sgpr_kernarg_segment_ptr 1
		.amdhsa_user_sgpr_dispatch_id 0
		.amdhsa_user_sgpr_kernarg_preload_length 0
		.amdhsa_user_sgpr_kernarg_preload_offset 0
		.amdhsa_user_sgpr_private_segment_size 0
		.amdhsa_wavefront_size32 1
		.amdhsa_uses_dynamic_stack 0
		.amdhsa_enable_private_segment 0
		.amdhsa_system_sgpr_workgroup_id_x 1
		.amdhsa_system_sgpr_workgroup_id_y 0
		.amdhsa_system_sgpr_workgroup_id_z 0
		.amdhsa_system_sgpr_workgroup_info 0
		.amdhsa_system_vgpr_workitem_id 0
		.amdhsa_next_free_vgpr 1
		.amdhsa_next_free_sgpr 1
		.amdhsa_named_barrier_count 0
		.amdhsa_reserve_vcc 0
		.amdhsa_float_round_mode_32 0
		.amdhsa_float_round_mode_16_64 0
		.amdhsa_float_denorm_mode_32 3
		.amdhsa_float_denorm_mode_16_64 3
		.amdhsa_fp16_overflow 0
		.amdhsa_memory_ordered 1
		.amdhsa_forward_progress 1
		.amdhsa_inst_pref_size 0
		.amdhsa_round_robin_scheduling 0
		.amdhsa_exception_fp_ieee_invalid_op 0
		.amdhsa_exception_fp_denorm_src 0
		.amdhsa_exception_fp_ieee_div_zero 0
		.amdhsa_exception_fp_ieee_overflow 0
		.amdhsa_exception_fp_ieee_underflow 0
		.amdhsa_exception_fp_ieee_inexact 0
		.amdhsa_exception_int_div_zero 0
	.end_amdhsa_kernel
	.section	.text._ZN7rocprim17ROCPRIM_400000_NS6detail17trampoline_kernelINS0_14default_configENS1_27scan_by_key_config_selectorIxxEEZZNS1_16scan_by_key_implILNS1_25lookback_scan_determinismE0ELb1ES3_N6thrust23THRUST_200600_302600_NS6detail15normal_iteratorINS9_10device_ptrIxEEEESE_SE_xNS9_4plusIxEE19head_flag_predicatexEE10hipError_tPvRmT2_T3_T4_T5_mT6_T7_P12ihipStream_tbENKUlT_T0_E_clISt17integral_constantIbLb0EESY_EEDaST_SU_EUlST_E_NS1_11comp_targetILNS1_3genE3ELNS1_11target_archE908ELNS1_3gpuE7ELNS1_3repE0EEENS1_30default_config_static_selectorELNS0_4arch9wavefront6targetE0EEEvT1_,"axG",@progbits,_ZN7rocprim17ROCPRIM_400000_NS6detail17trampoline_kernelINS0_14default_configENS1_27scan_by_key_config_selectorIxxEEZZNS1_16scan_by_key_implILNS1_25lookback_scan_determinismE0ELb1ES3_N6thrust23THRUST_200600_302600_NS6detail15normal_iteratorINS9_10device_ptrIxEEEESE_SE_xNS9_4plusIxEE19head_flag_predicatexEE10hipError_tPvRmT2_T3_T4_T5_mT6_T7_P12ihipStream_tbENKUlT_T0_E_clISt17integral_constantIbLb0EESY_EEDaST_SU_EUlST_E_NS1_11comp_targetILNS1_3genE3ELNS1_11target_archE908ELNS1_3gpuE7ELNS1_3repE0EEENS1_30default_config_static_selectorELNS0_4arch9wavefront6targetE0EEEvT1_,comdat
.Lfunc_end717:
	.size	_ZN7rocprim17ROCPRIM_400000_NS6detail17trampoline_kernelINS0_14default_configENS1_27scan_by_key_config_selectorIxxEEZZNS1_16scan_by_key_implILNS1_25lookback_scan_determinismE0ELb1ES3_N6thrust23THRUST_200600_302600_NS6detail15normal_iteratorINS9_10device_ptrIxEEEESE_SE_xNS9_4plusIxEE19head_flag_predicatexEE10hipError_tPvRmT2_T3_T4_T5_mT6_T7_P12ihipStream_tbENKUlT_T0_E_clISt17integral_constantIbLb0EESY_EEDaST_SU_EUlST_E_NS1_11comp_targetILNS1_3genE3ELNS1_11target_archE908ELNS1_3gpuE7ELNS1_3repE0EEENS1_30default_config_static_selectorELNS0_4arch9wavefront6targetE0EEEvT1_, .Lfunc_end717-_ZN7rocprim17ROCPRIM_400000_NS6detail17trampoline_kernelINS0_14default_configENS1_27scan_by_key_config_selectorIxxEEZZNS1_16scan_by_key_implILNS1_25lookback_scan_determinismE0ELb1ES3_N6thrust23THRUST_200600_302600_NS6detail15normal_iteratorINS9_10device_ptrIxEEEESE_SE_xNS9_4plusIxEE19head_flag_predicatexEE10hipError_tPvRmT2_T3_T4_T5_mT6_T7_P12ihipStream_tbENKUlT_T0_E_clISt17integral_constantIbLb0EESY_EEDaST_SU_EUlST_E_NS1_11comp_targetILNS1_3genE3ELNS1_11target_archE908ELNS1_3gpuE7ELNS1_3repE0EEENS1_30default_config_static_selectorELNS0_4arch9wavefront6targetE0EEEvT1_
                                        ; -- End function
	.set _ZN7rocprim17ROCPRIM_400000_NS6detail17trampoline_kernelINS0_14default_configENS1_27scan_by_key_config_selectorIxxEEZZNS1_16scan_by_key_implILNS1_25lookback_scan_determinismE0ELb1ES3_N6thrust23THRUST_200600_302600_NS6detail15normal_iteratorINS9_10device_ptrIxEEEESE_SE_xNS9_4plusIxEE19head_flag_predicatexEE10hipError_tPvRmT2_T3_T4_T5_mT6_T7_P12ihipStream_tbENKUlT_T0_E_clISt17integral_constantIbLb0EESY_EEDaST_SU_EUlST_E_NS1_11comp_targetILNS1_3genE3ELNS1_11target_archE908ELNS1_3gpuE7ELNS1_3repE0EEENS1_30default_config_static_selectorELNS0_4arch9wavefront6targetE0EEEvT1_.num_vgpr, 0
	.set _ZN7rocprim17ROCPRIM_400000_NS6detail17trampoline_kernelINS0_14default_configENS1_27scan_by_key_config_selectorIxxEEZZNS1_16scan_by_key_implILNS1_25lookback_scan_determinismE0ELb1ES3_N6thrust23THRUST_200600_302600_NS6detail15normal_iteratorINS9_10device_ptrIxEEEESE_SE_xNS9_4plusIxEE19head_flag_predicatexEE10hipError_tPvRmT2_T3_T4_T5_mT6_T7_P12ihipStream_tbENKUlT_T0_E_clISt17integral_constantIbLb0EESY_EEDaST_SU_EUlST_E_NS1_11comp_targetILNS1_3genE3ELNS1_11target_archE908ELNS1_3gpuE7ELNS1_3repE0EEENS1_30default_config_static_selectorELNS0_4arch9wavefront6targetE0EEEvT1_.num_agpr, 0
	.set _ZN7rocprim17ROCPRIM_400000_NS6detail17trampoline_kernelINS0_14default_configENS1_27scan_by_key_config_selectorIxxEEZZNS1_16scan_by_key_implILNS1_25lookback_scan_determinismE0ELb1ES3_N6thrust23THRUST_200600_302600_NS6detail15normal_iteratorINS9_10device_ptrIxEEEESE_SE_xNS9_4plusIxEE19head_flag_predicatexEE10hipError_tPvRmT2_T3_T4_T5_mT6_T7_P12ihipStream_tbENKUlT_T0_E_clISt17integral_constantIbLb0EESY_EEDaST_SU_EUlST_E_NS1_11comp_targetILNS1_3genE3ELNS1_11target_archE908ELNS1_3gpuE7ELNS1_3repE0EEENS1_30default_config_static_selectorELNS0_4arch9wavefront6targetE0EEEvT1_.numbered_sgpr, 0
	.set _ZN7rocprim17ROCPRIM_400000_NS6detail17trampoline_kernelINS0_14default_configENS1_27scan_by_key_config_selectorIxxEEZZNS1_16scan_by_key_implILNS1_25lookback_scan_determinismE0ELb1ES3_N6thrust23THRUST_200600_302600_NS6detail15normal_iteratorINS9_10device_ptrIxEEEESE_SE_xNS9_4plusIxEE19head_flag_predicatexEE10hipError_tPvRmT2_T3_T4_T5_mT6_T7_P12ihipStream_tbENKUlT_T0_E_clISt17integral_constantIbLb0EESY_EEDaST_SU_EUlST_E_NS1_11comp_targetILNS1_3genE3ELNS1_11target_archE908ELNS1_3gpuE7ELNS1_3repE0EEENS1_30default_config_static_selectorELNS0_4arch9wavefront6targetE0EEEvT1_.num_named_barrier, 0
	.set _ZN7rocprim17ROCPRIM_400000_NS6detail17trampoline_kernelINS0_14default_configENS1_27scan_by_key_config_selectorIxxEEZZNS1_16scan_by_key_implILNS1_25lookback_scan_determinismE0ELb1ES3_N6thrust23THRUST_200600_302600_NS6detail15normal_iteratorINS9_10device_ptrIxEEEESE_SE_xNS9_4plusIxEE19head_flag_predicatexEE10hipError_tPvRmT2_T3_T4_T5_mT6_T7_P12ihipStream_tbENKUlT_T0_E_clISt17integral_constantIbLb0EESY_EEDaST_SU_EUlST_E_NS1_11comp_targetILNS1_3genE3ELNS1_11target_archE908ELNS1_3gpuE7ELNS1_3repE0EEENS1_30default_config_static_selectorELNS0_4arch9wavefront6targetE0EEEvT1_.private_seg_size, 0
	.set _ZN7rocprim17ROCPRIM_400000_NS6detail17trampoline_kernelINS0_14default_configENS1_27scan_by_key_config_selectorIxxEEZZNS1_16scan_by_key_implILNS1_25lookback_scan_determinismE0ELb1ES3_N6thrust23THRUST_200600_302600_NS6detail15normal_iteratorINS9_10device_ptrIxEEEESE_SE_xNS9_4plusIxEE19head_flag_predicatexEE10hipError_tPvRmT2_T3_T4_T5_mT6_T7_P12ihipStream_tbENKUlT_T0_E_clISt17integral_constantIbLb0EESY_EEDaST_SU_EUlST_E_NS1_11comp_targetILNS1_3genE3ELNS1_11target_archE908ELNS1_3gpuE7ELNS1_3repE0EEENS1_30default_config_static_selectorELNS0_4arch9wavefront6targetE0EEEvT1_.uses_vcc, 0
	.set _ZN7rocprim17ROCPRIM_400000_NS6detail17trampoline_kernelINS0_14default_configENS1_27scan_by_key_config_selectorIxxEEZZNS1_16scan_by_key_implILNS1_25lookback_scan_determinismE0ELb1ES3_N6thrust23THRUST_200600_302600_NS6detail15normal_iteratorINS9_10device_ptrIxEEEESE_SE_xNS9_4plusIxEE19head_flag_predicatexEE10hipError_tPvRmT2_T3_T4_T5_mT6_T7_P12ihipStream_tbENKUlT_T0_E_clISt17integral_constantIbLb0EESY_EEDaST_SU_EUlST_E_NS1_11comp_targetILNS1_3genE3ELNS1_11target_archE908ELNS1_3gpuE7ELNS1_3repE0EEENS1_30default_config_static_selectorELNS0_4arch9wavefront6targetE0EEEvT1_.uses_flat_scratch, 0
	.set _ZN7rocprim17ROCPRIM_400000_NS6detail17trampoline_kernelINS0_14default_configENS1_27scan_by_key_config_selectorIxxEEZZNS1_16scan_by_key_implILNS1_25lookback_scan_determinismE0ELb1ES3_N6thrust23THRUST_200600_302600_NS6detail15normal_iteratorINS9_10device_ptrIxEEEESE_SE_xNS9_4plusIxEE19head_flag_predicatexEE10hipError_tPvRmT2_T3_T4_T5_mT6_T7_P12ihipStream_tbENKUlT_T0_E_clISt17integral_constantIbLb0EESY_EEDaST_SU_EUlST_E_NS1_11comp_targetILNS1_3genE3ELNS1_11target_archE908ELNS1_3gpuE7ELNS1_3repE0EEENS1_30default_config_static_selectorELNS0_4arch9wavefront6targetE0EEEvT1_.has_dyn_sized_stack, 0
	.set _ZN7rocprim17ROCPRIM_400000_NS6detail17trampoline_kernelINS0_14default_configENS1_27scan_by_key_config_selectorIxxEEZZNS1_16scan_by_key_implILNS1_25lookback_scan_determinismE0ELb1ES3_N6thrust23THRUST_200600_302600_NS6detail15normal_iteratorINS9_10device_ptrIxEEEESE_SE_xNS9_4plusIxEE19head_flag_predicatexEE10hipError_tPvRmT2_T3_T4_T5_mT6_T7_P12ihipStream_tbENKUlT_T0_E_clISt17integral_constantIbLb0EESY_EEDaST_SU_EUlST_E_NS1_11comp_targetILNS1_3genE3ELNS1_11target_archE908ELNS1_3gpuE7ELNS1_3repE0EEENS1_30default_config_static_selectorELNS0_4arch9wavefront6targetE0EEEvT1_.has_recursion, 0
	.set _ZN7rocprim17ROCPRIM_400000_NS6detail17trampoline_kernelINS0_14default_configENS1_27scan_by_key_config_selectorIxxEEZZNS1_16scan_by_key_implILNS1_25lookback_scan_determinismE0ELb1ES3_N6thrust23THRUST_200600_302600_NS6detail15normal_iteratorINS9_10device_ptrIxEEEESE_SE_xNS9_4plusIxEE19head_flag_predicatexEE10hipError_tPvRmT2_T3_T4_T5_mT6_T7_P12ihipStream_tbENKUlT_T0_E_clISt17integral_constantIbLb0EESY_EEDaST_SU_EUlST_E_NS1_11comp_targetILNS1_3genE3ELNS1_11target_archE908ELNS1_3gpuE7ELNS1_3repE0EEENS1_30default_config_static_selectorELNS0_4arch9wavefront6targetE0EEEvT1_.has_indirect_call, 0
	.section	.AMDGPU.csdata,"",@progbits
; Kernel info:
; codeLenInByte = 0
; TotalNumSgprs: 0
; NumVgprs: 0
; ScratchSize: 0
; MemoryBound: 0
; FloatMode: 240
; IeeeMode: 1
; LDSByteSize: 0 bytes/workgroup (compile time only)
; SGPRBlocks: 0
; VGPRBlocks: 0
; NumSGPRsForWavesPerEU: 1
; NumVGPRsForWavesPerEU: 1
; NamedBarCnt: 0
; Occupancy: 16
; WaveLimiterHint : 0
; COMPUTE_PGM_RSRC2:SCRATCH_EN: 0
; COMPUTE_PGM_RSRC2:USER_SGPR: 2
; COMPUTE_PGM_RSRC2:TRAP_HANDLER: 0
; COMPUTE_PGM_RSRC2:TGID_X_EN: 1
; COMPUTE_PGM_RSRC2:TGID_Y_EN: 0
; COMPUTE_PGM_RSRC2:TGID_Z_EN: 0
; COMPUTE_PGM_RSRC2:TIDIG_COMP_CNT: 0
	.section	.text._ZN7rocprim17ROCPRIM_400000_NS6detail17trampoline_kernelINS0_14default_configENS1_27scan_by_key_config_selectorIxxEEZZNS1_16scan_by_key_implILNS1_25lookback_scan_determinismE0ELb1ES3_N6thrust23THRUST_200600_302600_NS6detail15normal_iteratorINS9_10device_ptrIxEEEESE_SE_xNS9_4plusIxEE19head_flag_predicatexEE10hipError_tPvRmT2_T3_T4_T5_mT6_T7_P12ihipStream_tbENKUlT_T0_E_clISt17integral_constantIbLb0EESY_EEDaST_SU_EUlST_E_NS1_11comp_targetILNS1_3genE2ELNS1_11target_archE906ELNS1_3gpuE6ELNS1_3repE0EEENS1_30default_config_static_selectorELNS0_4arch9wavefront6targetE0EEEvT1_,"axG",@progbits,_ZN7rocprim17ROCPRIM_400000_NS6detail17trampoline_kernelINS0_14default_configENS1_27scan_by_key_config_selectorIxxEEZZNS1_16scan_by_key_implILNS1_25lookback_scan_determinismE0ELb1ES3_N6thrust23THRUST_200600_302600_NS6detail15normal_iteratorINS9_10device_ptrIxEEEESE_SE_xNS9_4plusIxEE19head_flag_predicatexEE10hipError_tPvRmT2_T3_T4_T5_mT6_T7_P12ihipStream_tbENKUlT_T0_E_clISt17integral_constantIbLb0EESY_EEDaST_SU_EUlST_E_NS1_11comp_targetILNS1_3genE2ELNS1_11target_archE906ELNS1_3gpuE6ELNS1_3repE0EEENS1_30default_config_static_selectorELNS0_4arch9wavefront6targetE0EEEvT1_,comdat
	.protected	_ZN7rocprim17ROCPRIM_400000_NS6detail17trampoline_kernelINS0_14default_configENS1_27scan_by_key_config_selectorIxxEEZZNS1_16scan_by_key_implILNS1_25lookback_scan_determinismE0ELb1ES3_N6thrust23THRUST_200600_302600_NS6detail15normal_iteratorINS9_10device_ptrIxEEEESE_SE_xNS9_4plusIxEE19head_flag_predicatexEE10hipError_tPvRmT2_T3_T4_T5_mT6_T7_P12ihipStream_tbENKUlT_T0_E_clISt17integral_constantIbLb0EESY_EEDaST_SU_EUlST_E_NS1_11comp_targetILNS1_3genE2ELNS1_11target_archE906ELNS1_3gpuE6ELNS1_3repE0EEENS1_30default_config_static_selectorELNS0_4arch9wavefront6targetE0EEEvT1_ ; -- Begin function _ZN7rocprim17ROCPRIM_400000_NS6detail17trampoline_kernelINS0_14default_configENS1_27scan_by_key_config_selectorIxxEEZZNS1_16scan_by_key_implILNS1_25lookback_scan_determinismE0ELb1ES3_N6thrust23THRUST_200600_302600_NS6detail15normal_iteratorINS9_10device_ptrIxEEEESE_SE_xNS9_4plusIxEE19head_flag_predicatexEE10hipError_tPvRmT2_T3_T4_T5_mT6_T7_P12ihipStream_tbENKUlT_T0_E_clISt17integral_constantIbLb0EESY_EEDaST_SU_EUlST_E_NS1_11comp_targetILNS1_3genE2ELNS1_11target_archE906ELNS1_3gpuE6ELNS1_3repE0EEENS1_30default_config_static_selectorELNS0_4arch9wavefront6targetE0EEEvT1_
	.globl	_ZN7rocprim17ROCPRIM_400000_NS6detail17trampoline_kernelINS0_14default_configENS1_27scan_by_key_config_selectorIxxEEZZNS1_16scan_by_key_implILNS1_25lookback_scan_determinismE0ELb1ES3_N6thrust23THRUST_200600_302600_NS6detail15normal_iteratorINS9_10device_ptrIxEEEESE_SE_xNS9_4plusIxEE19head_flag_predicatexEE10hipError_tPvRmT2_T3_T4_T5_mT6_T7_P12ihipStream_tbENKUlT_T0_E_clISt17integral_constantIbLb0EESY_EEDaST_SU_EUlST_E_NS1_11comp_targetILNS1_3genE2ELNS1_11target_archE906ELNS1_3gpuE6ELNS1_3repE0EEENS1_30default_config_static_selectorELNS0_4arch9wavefront6targetE0EEEvT1_
	.p2align	8
	.type	_ZN7rocprim17ROCPRIM_400000_NS6detail17trampoline_kernelINS0_14default_configENS1_27scan_by_key_config_selectorIxxEEZZNS1_16scan_by_key_implILNS1_25lookback_scan_determinismE0ELb1ES3_N6thrust23THRUST_200600_302600_NS6detail15normal_iteratorINS9_10device_ptrIxEEEESE_SE_xNS9_4plusIxEE19head_flag_predicatexEE10hipError_tPvRmT2_T3_T4_T5_mT6_T7_P12ihipStream_tbENKUlT_T0_E_clISt17integral_constantIbLb0EESY_EEDaST_SU_EUlST_E_NS1_11comp_targetILNS1_3genE2ELNS1_11target_archE906ELNS1_3gpuE6ELNS1_3repE0EEENS1_30default_config_static_selectorELNS0_4arch9wavefront6targetE0EEEvT1_,@function
_ZN7rocprim17ROCPRIM_400000_NS6detail17trampoline_kernelINS0_14default_configENS1_27scan_by_key_config_selectorIxxEEZZNS1_16scan_by_key_implILNS1_25lookback_scan_determinismE0ELb1ES3_N6thrust23THRUST_200600_302600_NS6detail15normal_iteratorINS9_10device_ptrIxEEEESE_SE_xNS9_4plusIxEE19head_flag_predicatexEE10hipError_tPvRmT2_T3_T4_T5_mT6_T7_P12ihipStream_tbENKUlT_T0_E_clISt17integral_constantIbLb0EESY_EEDaST_SU_EUlST_E_NS1_11comp_targetILNS1_3genE2ELNS1_11target_archE906ELNS1_3gpuE6ELNS1_3repE0EEENS1_30default_config_static_selectorELNS0_4arch9wavefront6targetE0EEEvT1_: ; @_ZN7rocprim17ROCPRIM_400000_NS6detail17trampoline_kernelINS0_14default_configENS1_27scan_by_key_config_selectorIxxEEZZNS1_16scan_by_key_implILNS1_25lookback_scan_determinismE0ELb1ES3_N6thrust23THRUST_200600_302600_NS6detail15normal_iteratorINS9_10device_ptrIxEEEESE_SE_xNS9_4plusIxEE19head_flag_predicatexEE10hipError_tPvRmT2_T3_T4_T5_mT6_T7_P12ihipStream_tbENKUlT_T0_E_clISt17integral_constantIbLb0EESY_EEDaST_SU_EUlST_E_NS1_11comp_targetILNS1_3genE2ELNS1_11target_archE906ELNS1_3gpuE6ELNS1_3repE0EEENS1_30default_config_static_selectorELNS0_4arch9wavefront6targetE0EEEvT1_
; %bb.0:
	.section	.rodata,"a",@progbits
	.p2align	6, 0x0
	.amdhsa_kernel _ZN7rocprim17ROCPRIM_400000_NS6detail17trampoline_kernelINS0_14default_configENS1_27scan_by_key_config_selectorIxxEEZZNS1_16scan_by_key_implILNS1_25lookback_scan_determinismE0ELb1ES3_N6thrust23THRUST_200600_302600_NS6detail15normal_iteratorINS9_10device_ptrIxEEEESE_SE_xNS9_4plusIxEE19head_flag_predicatexEE10hipError_tPvRmT2_T3_T4_T5_mT6_T7_P12ihipStream_tbENKUlT_T0_E_clISt17integral_constantIbLb0EESY_EEDaST_SU_EUlST_E_NS1_11comp_targetILNS1_3genE2ELNS1_11target_archE906ELNS1_3gpuE6ELNS1_3repE0EEENS1_30default_config_static_selectorELNS0_4arch9wavefront6targetE0EEEvT1_
		.amdhsa_group_segment_fixed_size 0
		.amdhsa_private_segment_fixed_size 0
		.amdhsa_kernarg_size 136
		.amdhsa_user_sgpr_count 2
		.amdhsa_user_sgpr_dispatch_ptr 0
		.amdhsa_user_sgpr_queue_ptr 0
		.amdhsa_user_sgpr_kernarg_segment_ptr 1
		.amdhsa_user_sgpr_dispatch_id 0
		.amdhsa_user_sgpr_kernarg_preload_length 0
		.amdhsa_user_sgpr_kernarg_preload_offset 0
		.amdhsa_user_sgpr_private_segment_size 0
		.amdhsa_wavefront_size32 1
		.amdhsa_uses_dynamic_stack 0
		.amdhsa_enable_private_segment 0
		.amdhsa_system_sgpr_workgroup_id_x 1
		.amdhsa_system_sgpr_workgroup_id_y 0
		.amdhsa_system_sgpr_workgroup_id_z 0
		.amdhsa_system_sgpr_workgroup_info 0
		.amdhsa_system_vgpr_workitem_id 0
		.amdhsa_next_free_vgpr 1
		.amdhsa_next_free_sgpr 1
		.amdhsa_named_barrier_count 0
		.amdhsa_reserve_vcc 0
		.amdhsa_float_round_mode_32 0
		.amdhsa_float_round_mode_16_64 0
		.amdhsa_float_denorm_mode_32 3
		.amdhsa_float_denorm_mode_16_64 3
		.amdhsa_fp16_overflow 0
		.amdhsa_memory_ordered 1
		.amdhsa_forward_progress 1
		.amdhsa_inst_pref_size 0
		.amdhsa_round_robin_scheduling 0
		.amdhsa_exception_fp_ieee_invalid_op 0
		.amdhsa_exception_fp_denorm_src 0
		.amdhsa_exception_fp_ieee_div_zero 0
		.amdhsa_exception_fp_ieee_overflow 0
		.amdhsa_exception_fp_ieee_underflow 0
		.amdhsa_exception_fp_ieee_inexact 0
		.amdhsa_exception_int_div_zero 0
	.end_amdhsa_kernel
	.section	.text._ZN7rocprim17ROCPRIM_400000_NS6detail17trampoline_kernelINS0_14default_configENS1_27scan_by_key_config_selectorIxxEEZZNS1_16scan_by_key_implILNS1_25lookback_scan_determinismE0ELb1ES3_N6thrust23THRUST_200600_302600_NS6detail15normal_iteratorINS9_10device_ptrIxEEEESE_SE_xNS9_4plusIxEE19head_flag_predicatexEE10hipError_tPvRmT2_T3_T4_T5_mT6_T7_P12ihipStream_tbENKUlT_T0_E_clISt17integral_constantIbLb0EESY_EEDaST_SU_EUlST_E_NS1_11comp_targetILNS1_3genE2ELNS1_11target_archE906ELNS1_3gpuE6ELNS1_3repE0EEENS1_30default_config_static_selectorELNS0_4arch9wavefront6targetE0EEEvT1_,"axG",@progbits,_ZN7rocprim17ROCPRIM_400000_NS6detail17trampoline_kernelINS0_14default_configENS1_27scan_by_key_config_selectorIxxEEZZNS1_16scan_by_key_implILNS1_25lookback_scan_determinismE0ELb1ES3_N6thrust23THRUST_200600_302600_NS6detail15normal_iteratorINS9_10device_ptrIxEEEESE_SE_xNS9_4plusIxEE19head_flag_predicatexEE10hipError_tPvRmT2_T3_T4_T5_mT6_T7_P12ihipStream_tbENKUlT_T0_E_clISt17integral_constantIbLb0EESY_EEDaST_SU_EUlST_E_NS1_11comp_targetILNS1_3genE2ELNS1_11target_archE906ELNS1_3gpuE6ELNS1_3repE0EEENS1_30default_config_static_selectorELNS0_4arch9wavefront6targetE0EEEvT1_,comdat
.Lfunc_end718:
	.size	_ZN7rocprim17ROCPRIM_400000_NS6detail17trampoline_kernelINS0_14default_configENS1_27scan_by_key_config_selectorIxxEEZZNS1_16scan_by_key_implILNS1_25lookback_scan_determinismE0ELb1ES3_N6thrust23THRUST_200600_302600_NS6detail15normal_iteratorINS9_10device_ptrIxEEEESE_SE_xNS9_4plusIxEE19head_flag_predicatexEE10hipError_tPvRmT2_T3_T4_T5_mT6_T7_P12ihipStream_tbENKUlT_T0_E_clISt17integral_constantIbLb0EESY_EEDaST_SU_EUlST_E_NS1_11comp_targetILNS1_3genE2ELNS1_11target_archE906ELNS1_3gpuE6ELNS1_3repE0EEENS1_30default_config_static_selectorELNS0_4arch9wavefront6targetE0EEEvT1_, .Lfunc_end718-_ZN7rocprim17ROCPRIM_400000_NS6detail17trampoline_kernelINS0_14default_configENS1_27scan_by_key_config_selectorIxxEEZZNS1_16scan_by_key_implILNS1_25lookback_scan_determinismE0ELb1ES3_N6thrust23THRUST_200600_302600_NS6detail15normal_iteratorINS9_10device_ptrIxEEEESE_SE_xNS9_4plusIxEE19head_flag_predicatexEE10hipError_tPvRmT2_T3_T4_T5_mT6_T7_P12ihipStream_tbENKUlT_T0_E_clISt17integral_constantIbLb0EESY_EEDaST_SU_EUlST_E_NS1_11comp_targetILNS1_3genE2ELNS1_11target_archE906ELNS1_3gpuE6ELNS1_3repE0EEENS1_30default_config_static_selectorELNS0_4arch9wavefront6targetE0EEEvT1_
                                        ; -- End function
	.set _ZN7rocprim17ROCPRIM_400000_NS6detail17trampoline_kernelINS0_14default_configENS1_27scan_by_key_config_selectorIxxEEZZNS1_16scan_by_key_implILNS1_25lookback_scan_determinismE0ELb1ES3_N6thrust23THRUST_200600_302600_NS6detail15normal_iteratorINS9_10device_ptrIxEEEESE_SE_xNS9_4plusIxEE19head_flag_predicatexEE10hipError_tPvRmT2_T3_T4_T5_mT6_T7_P12ihipStream_tbENKUlT_T0_E_clISt17integral_constantIbLb0EESY_EEDaST_SU_EUlST_E_NS1_11comp_targetILNS1_3genE2ELNS1_11target_archE906ELNS1_3gpuE6ELNS1_3repE0EEENS1_30default_config_static_selectorELNS0_4arch9wavefront6targetE0EEEvT1_.num_vgpr, 0
	.set _ZN7rocprim17ROCPRIM_400000_NS6detail17trampoline_kernelINS0_14default_configENS1_27scan_by_key_config_selectorIxxEEZZNS1_16scan_by_key_implILNS1_25lookback_scan_determinismE0ELb1ES3_N6thrust23THRUST_200600_302600_NS6detail15normal_iteratorINS9_10device_ptrIxEEEESE_SE_xNS9_4plusIxEE19head_flag_predicatexEE10hipError_tPvRmT2_T3_T4_T5_mT6_T7_P12ihipStream_tbENKUlT_T0_E_clISt17integral_constantIbLb0EESY_EEDaST_SU_EUlST_E_NS1_11comp_targetILNS1_3genE2ELNS1_11target_archE906ELNS1_3gpuE6ELNS1_3repE0EEENS1_30default_config_static_selectorELNS0_4arch9wavefront6targetE0EEEvT1_.num_agpr, 0
	.set _ZN7rocprim17ROCPRIM_400000_NS6detail17trampoline_kernelINS0_14default_configENS1_27scan_by_key_config_selectorIxxEEZZNS1_16scan_by_key_implILNS1_25lookback_scan_determinismE0ELb1ES3_N6thrust23THRUST_200600_302600_NS6detail15normal_iteratorINS9_10device_ptrIxEEEESE_SE_xNS9_4plusIxEE19head_flag_predicatexEE10hipError_tPvRmT2_T3_T4_T5_mT6_T7_P12ihipStream_tbENKUlT_T0_E_clISt17integral_constantIbLb0EESY_EEDaST_SU_EUlST_E_NS1_11comp_targetILNS1_3genE2ELNS1_11target_archE906ELNS1_3gpuE6ELNS1_3repE0EEENS1_30default_config_static_selectorELNS0_4arch9wavefront6targetE0EEEvT1_.numbered_sgpr, 0
	.set _ZN7rocprim17ROCPRIM_400000_NS6detail17trampoline_kernelINS0_14default_configENS1_27scan_by_key_config_selectorIxxEEZZNS1_16scan_by_key_implILNS1_25lookback_scan_determinismE0ELb1ES3_N6thrust23THRUST_200600_302600_NS6detail15normal_iteratorINS9_10device_ptrIxEEEESE_SE_xNS9_4plusIxEE19head_flag_predicatexEE10hipError_tPvRmT2_T3_T4_T5_mT6_T7_P12ihipStream_tbENKUlT_T0_E_clISt17integral_constantIbLb0EESY_EEDaST_SU_EUlST_E_NS1_11comp_targetILNS1_3genE2ELNS1_11target_archE906ELNS1_3gpuE6ELNS1_3repE0EEENS1_30default_config_static_selectorELNS0_4arch9wavefront6targetE0EEEvT1_.num_named_barrier, 0
	.set _ZN7rocprim17ROCPRIM_400000_NS6detail17trampoline_kernelINS0_14default_configENS1_27scan_by_key_config_selectorIxxEEZZNS1_16scan_by_key_implILNS1_25lookback_scan_determinismE0ELb1ES3_N6thrust23THRUST_200600_302600_NS6detail15normal_iteratorINS9_10device_ptrIxEEEESE_SE_xNS9_4plusIxEE19head_flag_predicatexEE10hipError_tPvRmT2_T3_T4_T5_mT6_T7_P12ihipStream_tbENKUlT_T0_E_clISt17integral_constantIbLb0EESY_EEDaST_SU_EUlST_E_NS1_11comp_targetILNS1_3genE2ELNS1_11target_archE906ELNS1_3gpuE6ELNS1_3repE0EEENS1_30default_config_static_selectorELNS0_4arch9wavefront6targetE0EEEvT1_.private_seg_size, 0
	.set _ZN7rocprim17ROCPRIM_400000_NS6detail17trampoline_kernelINS0_14default_configENS1_27scan_by_key_config_selectorIxxEEZZNS1_16scan_by_key_implILNS1_25lookback_scan_determinismE0ELb1ES3_N6thrust23THRUST_200600_302600_NS6detail15normal_iteratorINS9_10device_ptrIxEEEESE_SE_xNS9_4plusIxEE19head_flag_predicatexEE10hipError_tPvRmT2_T3_T4_T5_mT6_T7_P12ihipStream_tbENKUlT_T0_E_clISt17integral_constantIbLb0EESY_EEDaST_SU_EUlST_E_NS1_11comp_targetILNS1_3genE2ELNS1_11target_archE906ELNS1_3gpuE6ELNS1_3repE0EEENS1_30default_config_static_selectorELNS0_4arch9wavefront6targetE0EEEvT1_.uses_vcc, 0
	.set _ZN7rocprim17ROCPRIM_400000_NS6detail17trampoline_kernelINS0_14default_configENS1_27scan_by_key_config_selectorIxxEEZZNS1_16scan_by_key_implILNS1_25lookback_scan_determinismE0ELb1ES3_N6thrust23THRUST_200600_302600_NS6detail15normal_iteratorINS9_10device_ptrIxEEEESE_SE_xNS9_4plusIxEE19head_flag_predicatexEE10hipError_tPvRmT2_T3_T4_T5_mT6_T7_P12ihipStream_tbENKUlT_T0_E_clISt17integral_constantIbLb0EESY_EEDaST_SU_EUlST_E_NS1_11comp_targetILNS1_3genE2ELNS1_11target_archE906ELNS1_3gpuE6ELNS1_3repE0EEENS1_30default_config_static_selectorELNS0_4arch9wavefront6targetE0EEEvT1_.uses_flat_scratch, 0
	.set _ZN7rocprim17ROCPRIM_400000_NS6detail17trampoline_kernelINS0_14default_configENS1_27scan_by_key_config_selectorIxxEEZZNS1_16scan_by_key_implILNS1_25lookback_scan_determinismE0ELb1ES3_N6thrust23THRUST_200600_302600_NS6detail15normal_iteratorINS9_10device_ptrIxEEEESE_SE_xNS9_4plusIxEE19head_flag_predicatexEE10hipError_tPvRmT2_T3_T4_T5_mT6_T7_P12ihipStream_tbENKUlT_T0_E_clISt17integral_constantIbLb0EESY_EEDaST_SU_EUlST_E_NS1_11comp_targetILNS1_3genE2ELNS1_11target_archE906ELNS1_3gpuE6ELNS1_3repE0EEENS1_30default_config_static_selectorELNS0_4arch9wavefront6targetE0EEEvT1_.has_dyn_sized_stack, 0
	.set _ZN7rocprim17ROCPRIM_400000_NS6detail17trampoline_kernelINS0_14default_configENS1_27scan_by_key_config_selectorIxxEEZZNS1_16scan_by_key_implILNS1_25lookback_scan_determinismE0ELb1ES3_N6thrust23THRUST_200600_302600_NS6detail15normal_iteratorINS9_10device_ptrIxEEEESE_SE_xNS9_4plusIxEE19head_flag_predicatexEE10hipError_tPvRmT2_T3_T4_T5_mT6_T7_P12ihipStream_tbENKUlT_T0_E_clISt17integral_constantIbLb0EESY_EEDaST_SU_EUlST_E_NS1_11comp_targetILNS1_3genE2ELNS1_11target_archE906ELNS1_3gpuE6ELNS1_3repE0EEENS1_30default_config_static_selectorELNS0_4arch9wavefront6targetE0EEEvT1_.has_recursion, 0
	.set _ZN7rocprim17ROCPRIM_400000_NS6detail17trampoline_kernelINS0_14default_configENS1_27scan_by_key_config_selectorIxxEEZZNS1_16scan_by_key_implILNS1_25lookback_scan_determinismE0ELb1ES3_N6thrust23THRUST_200600_302600_NS6detail15normal_iteratorINS9_10device_ptrIxEEEESE_SE_xNS9_4plusIxEE19head_flag_predicatexEE10hipError_tPvRmT2_T3_T4_T5_mT6_T7_P12ihipStream_tbENKUlT_T0_E_clISt17integral_constantIbLb0EESY_EEDaST_SU_EUlST_E_NS1_11comp_targetILNS1_3genE2ELNS1_11target_archE906ELNS1_3gpuE6ELNS1_3repE0EEENS1_30default_config_static_selectorELNS0_4arch9wavefront6targetE0EEEvT1_.has_indirect_call, 0
	.section	.AMDGPU.csdata,"",@progbits
; Kernel info:
; codeLenInByte = 0
; TotalNumSgprs: 0
; NumVgprs: 0
; ScratchSize: 0
; MemoryBound: 0
; FloatMode: 240
; IeeeMode: 1
; LDSByteSize: 0 bytes/workgroup (compile time only)
; SGPRBlocks: 0
; VGPRBlocks: 0
; NumSGPRsForWavesPerEU: 1
; NumVGPRsForWavesPerEU: 1
; NamedBarCnt: 0
; Occupancy: 16
; WaveLimiterHint : 0
; COMPUTE_PGM_RSRC2:SCRATCH_EN: 0
; COMPUTE_PGM_RSRC2:USER_SGPR: 2
; COMPUTE_PGM_RSRC2:TRAP_HANDLER: 0
; COMPUTE_PGM_RSRC2:TGID_X_EN: 1
; COMPUTE_PGM_RSRC2:TGID_Y_EN: 0
; COMPUTE_PGM_RSRC2:TGID_Z_EN: 0
; COMPUTE_PGM_RSRC2:TIDIG_COMP_CNT: 0
	.section	.text._ZN7rocprim17ROCPRIM_400000_NS6detail17trampoline_kernelINS0_14default_configENS1_27scan_by_key_config_selectorIxxEEZZNS1_16scan_by_key_implILNS1_25lookback_scan_determinismE0ELb1ES3_N6thrust23THRUST_200600_302600_NS6detail15normal_iteratorINS9_10device_ptrIxEEEESE_SE_xNS9_4plusIxEE19head_flag_predicatexEE10hipError_tPvRmT2_T3_T4_T5_mT6_T7_P12ihipStream_tbENKUlT_T0_E_clISt17integral_constantIbLb0EESY_EEDaST_SU_EUlST_E_NS1_11comp_targetILNS1_3genE10ELNS1_11target_archE1200ELNS1_3gpuE4ELNS1_3repE0EEENS1_30default_config_static_selectorELNS0_4arch9wavefront6targetE0EEEvT1_,"axG",@progbits,_ZN7rocprim17ROCPRIM_400000_NS6detail17trampoline_kernelINS0_14default_configENS1_27scan_by_key_config_selectorIxxEEZZNS1_16scan_by_key_implILNS1_25lookback_scan_determinismE0ELb1ES3_N6thrust23THRUST_200600_302600_NS6detail15normal_iteratorINS9_10device_ptrIxEEEESE_SE_xNS9_4plusIxEE19head_flag_predicatexEE10hipError_tPvRmT2_T3_T4_T5_mT6_T7_P12ihipStream_tbENKUlT_T0_E_clISt17integral_constantIbLb0EESY_EEDaST_SU_EUlST_E_NS1_11comp_targetILNS1_3genE10ELNS1_11target_archE1200ELNS1_3gpuE4ELNS1_3repE0EEENS1_30default_config_static_selectorELNS0_4arch9wavefront6targetE0EEEvT1_,comdat
	.protected	_ZN7rocprim17ROCPRIM_400000_NS6detail17trampoline_kernelINS0_14default_configENS1_27scan_by_key_config_selectorIxxEEZZNS1_16scan_by_key_implILNS1_25lookback_scan_determinismE0ELb1ES3_N6thrust23THRUST_200600_302600_NS6detail15normal_iteratorINS9_10device_ptrIxEEEESE_SE_xNS9_4plusIxEE19head_flag_predicatexEE10hipError_tPvRmT2_T3_T4_T5_mT6_T7_P12ihipStream_tbENKUlT_T0_E_clISt17integral_constantIbLb0EESY_EEDaST_SU_EUlST_E_NS1_11comp_targetILNS1_3genE10ELNS1_11target_archE1200ELNS1_3gpuE4ELNS1_3repE0EEENS1_30default_config_static_selectorELNS0_4arch9wavefront6targetE0EEEvT1_ ; -- Begin function _ZN7rocprim17ROCPRIM_400000_NS6detail17trampoline_kernelINS0_14default_configENS1_27scan_by_key_config_selectorIxxEEZZNS1_16scan_by_key_implILNS1_25lookback_scan_determinismE0ELb1ES3_N6thrust23THRUST_200600_302600_NS6detail15normal_iteratorINS9_10device_ptrIxEEEESE_SE_xNS9_4plusIxEE19head_flag_predicatexEE10hipError_tPvRmT2_T3_T4_T5_mT6_T7_P12ihipStream_tbENKUlT_T0_E_clISt17integral_constantIbLb0EESY_EEDaST_SU_EUlST_E_NS1_11comp_targetILNS1_3genE10ELNS1_11target_archE1200ELNS1_3gpuE4ELNS1_3repE0EEENS1_30default_config_static_selectorELNS0_4arch9wavefront6targetE0EEEvT1_
	.globl	_ZN7rocprim17ROCPRIM_400000_NS6detail17trampoline_kernelINS0_14default_configENS1_27scan_by_key_config_selectorIxxEEZZNS1_16scan_by_key_implILNS1_25lookback_scan_determinismE0ELb1ES3_N6thrust23THRUST_200600_302600_NS6detail15normal_iteratorINS9_10device_ptrIxEEEESE_SE_xNS9_4plusIxEE19head_flag_predicatexEE10hipError_tPvRmT2_T3_T4_T5_mT6_T7_P12ihipStream_tbENKUlT_T0_E_clISt17integral_constantIbLb0EESY_EEDaST_SU_EUlST_E_NS1_11comp_targetILNS1_3genE10ELNS1_11target_archE1200ELNS1_3gpuE4ELNS1_3repE0EEENS1_30default_config_static_selectorELNS0_4arch9wavefront6targetE0EEEvT1_
	.p2align	8
	.type	_ZN7rocprim17ROCPRIM_400000_NS6detail17trampoline_kernelINS0_14default_configENS1_27scan_by_key_config_selectorIxxEEZZNS1_16scan_by_key_implILNS1_25lookback_scan_determinismE0ELb1ES3_N6thrust23THRUST_200600_302600_NS6detail15normal_iteratorINS9_10device_ptrIxEEEESE_SE_xNS9_4plusIxEE19head_flag_predicatexEE10hipError_tPvRmT2_T3_T4_T5_mT6_T7_P12ihipStream_tbENKUlT_T0_E_clISt17integral_constantIbLb0EESY_EEDaST_SU_EUlST_E_NS1_11comp_targetILNS1_3genE10ELNS1_11target_archE1200ELNS1_3gpuE4ELNS1_3repE0EEENS1_30default_config_static_selectorELNS0_4arch9wavefront6targetE0EEEvT1_,@function
_ZN7rocprim17ROCPRIM_400000_NS6detail17trampoline_kernelINS0_14default_configENS1_27scan_by_key_config_selectorIxxEEZZNS1_16scan_by_key_implILNS1_25lookback_scan_determinismE0ELb1ES3_N6thrust23THRUST_200600_302600_NS6detail15normal_iteratorINS9_10device_ptrIxEEEESE_SE_xNS9_4plusIxEE19head_flag_predicatexEE10hipError_tPvRmT2_T3_T4_T5_mT6_T7_P12ihipStream_tbENKUlT_T0_E_clISt17integral_constantIbLb0EESY_EEDaST_SU_EUlST_E_NS1_11comp_targetILNS1_3genE10ELNS1_11target_archE1200ELNS1_3gpuE4ELNS1_3repE0EEENS1_30default_config_static_selectorELNS0_4arch9wavefront6targetE0EEEvT1_: ; @_ZN7rocprim17ROCPRIM_400000_NS6detail17trampoline_kernelINS0_14default_configENS1_27scan_by_key_config_selectorIxxEEZZNS1_16scan_by_key_implILNS1_25lookback_scan_determinismE0ELb1ES3_N6thrust23THRUST_200600_302600_NS6detail15normal_iteratorINS9_10device_ptrIxEEEESE_SE_xNS9_4plusIxEE19head_flag_predicatexEE10hipError_tPvRmT2_T3_T4_T5_mT6_T7_P12ihipStream_tbENKUlT_T0_E_clISt17integral_constantIbLb0EESY_EEDaST_SU_EUlST_E_NS1_11comp_targetILNS1_3genE10ELNS1_11target_archE1200ELNS1_3gpuE4ELNS1_3repE0EEENS1_30default_config_static_selectorELNS0_4arch9wavefront6targetE0EEEvT1_
; %bb.0:
	.section	.rodata,"a",@progbits
	.p2align	6, 0x0
	.amdhsa_kernel _ZN7rocprim17ROCPRIM_400000_NS6detail17trampoline_kernelINS0_14default_configENS1_27scan_by_key_config_selectorIxxEEZZNS1_16scan_by_key_implILNS1_25lookback_scan_determinismE0ELb1ES3_N6thrust23THRUST_200600_302600_NS6detail15normal_iteratorINS9_10device_ptrIxEEEESE_SE_xNS9_4plusIxEE19head_flag_predicatexEE10hipError_tPvRmT2_T3_T4_T5_mT6_T7_P12ihipStream_tbENKUlT_T0_E_clISt17integral_constantIbLb0EESY_EEDaST_SU_EUlST_E_NS1_11comp_targetILNS1_3genE10ELNS1_11target_archE1200ELNS1_3gpuE4ELNS1_3repE0EEENS1_30default_config_static_selectorELNS0_4arch9wavefront6targetE0EEEvT1_
		.amdhsa_group_segment_fixed_size 0
		.amdhsa_private_segment_fixed_size 0
		.amdhsa_kernarg_size 136
		.amdhsa_user_sgpr_count 2
		.amdhsa_user_sgpr_dispatch_ptr 0
		.amdhsa_user_sgpr_queue_ptr 0
		.amdhsa_user_sgpr_kernarg_segment_ptr 1
		.amdhsa_user_sgpr_dispatch_id 0
		.amdhsa_user_sgpr_kernarg_preload_length 0
		.amdhsa_user_sgpr_kernarg_preload_offset 0
		.amdhsa_user_sgpr_private_segment_size 0
		.amdhsa_wavefront_size32 1
		.amdhsa_uses_dynamic_stack 0
		.amdhsa_enable_private_segment 0
		.amdhsa_system_sgpr_workgroup_id_x 1
		.amdhsa_system_sgpr_workgroup_id_y 0
		.amdhsa_system_sgpr_workgroup_id_z 0
		.amdhsa_system_sgpr_workgroup_info 0
		.amdhsa_system_vgpr_workitem_id 0
		.amdhsa_next_free_vgpr 1
		.amdhsa_next_free_sgpr 1
		.amdhsa_named_barrier_count 0
		.amdhsa_reserve_vcc 0
		.amdhsa_float_round_mode_32 0
		.amdhsa_float_round_mode_16_64 0
		.amdhsa_float_denorm_mode_32 3
		.amdhsa_float_denorm_mode_16_64 3
		.amdhsa_fp16_overflow 0
		.amdhsa_memory_ordered 1
		.amdhsa_forward_progress 1
		.amdhsa_inst_pref_size 0
		.amdhsa_round_robin_scheduling 0
		.amdhsa_exception_fp_ieee_invalid_op 0
		.amdhsa_exception_fp_denorm_src 0
		.amdhsa_exception_fp_ieee_div_zero 0
		.amdhsa_exception_fp_ieee_overflow 0
		.amdhsa_exception_fp_ieee_underflow 0
		.amdhsa_exception_fp_ieee_inexact 0
		.amdhsa_exception_int_div_zero 0
	.end_amdhsa_kernel
	.section	.text._ZN7rocprim17ROCPRIM_400000_NS6detail17trampoline_kernelINS0_14default_configENS1_27scan_by_key_config_selectorIxxEEZZNS1_16scan_by_key_implILNS1_25lookback_scan_determinismE0ELb1ES3_N6thrust23THRUST_200600_302600_NS6detail15normal_iteratorINS9_10device_ptrIxEEEESE_SE_xNS9_4plusIxEE19head_flag_predicatexEE10hipError_tPvRmT2_T3_T4_T5_mT6_T7_P12ihipStream_tbENKUlT_T0_E_clISt17integral_constantIbLb0EESY_EEDaST_SU_EUlST_E_NS1_11comp_targetILNS1_3genE10ELNS1_11target_archE1200ELNS1_3gpuE4ELNS1_3repE0EEENS1_30default_config_static_selectorELNS0_4arch9wavefront6targetE0EEEvT1_,"axG",@progbits,_ZN7rocprim17ROCPRIM_400000_NS6detail17trampoline_kernelINS0_14default_configENS1_27scan_by_key_config_selectorIxxEEZZNS1_16scan_by_key_implILNS1_25lookback_scan_determinismE0ELb1ES3_N6thrust23THRUST_200600_302600_NS6detail15normal_iteratorINS9_10device_ptrIxEEEESE_SE_xNS9_4plusIxEE19head_flag_predicatexEE10hipError_tPvRmT2_T3_T4_T5_mT6_T7_P12ihipStream_tbENKUlT_T0_E_clISt17integral_constantIbLb0EESY_EEDaST_SU_EUlST_E_NS1_11comp_targetILNS1_3genE10ELNS1_11target_archE1200ELNS1_3gpuE4ELNS1_3repE0EEENS1_30default_config_static_selectorELNS0_4arch9wavefront6targetE0EEEvT1_,comdat
.Lfunc_end719:
	.size	_ZN7rocprim17ROCPRIM_400000_NS6detail17trampoline_kernelINS0_14default_configENS1_27scan_by_key_config_selectorIxxEEZZNS1_16scan_by_key_implILNS1_25lookback_scan_determinismE0ELb1ES3_N6thrust23THRUST_200600_302600_NS6detail15normal_iteratorINS9_10device_ptrIxEEEESE_SE_xNS9_4plusIxEE19head_flag_predicatexEE10hipError_tPvRmT2_T3_T4_T5_mT6_T7_P12ihipStream_tbENKUlT_T0_E_clISt17integral_constantIbLb0EESY_EEDaST_SU_EUlST_E_NS1_11comp_targetILNS1_3genE10ELNS1_11target_archE1200ELNS1_3gpuE4ELNS1_3repE0EEENS1_30default_config_static_selectorELNS0_4arch9wavefront6targetE0EEEvT1_, .Lfunc_end719-_ZN7rocprim17ROCPRIM_400000_NS6detail17trampoline_kernelINS0_14default_configENS1_27scan_by_key_config_selectorIxxEEZZNS1_16scan_by_key_implILNS1_25lookback_scan_determinismE0ELb1ES3_N6thrust23THRUST_200600_302600_NS6detail15normal_iteratorINS9_10device_ptrIxEEEESE_SE_xNS9_4plusIxEE19head_flag_predicatexEE10hipError_tPvRmT2_T3_T4_T5_mT6_T7_P12ihipStream_tbENKUlT_T0_E_clISt17integral_constantIbLb0EESY_EEDaST_SU_EUlST_E_NS1_11comp_targetILNS1_3genE10ELNS1_11target_archE1200ELNS1_3gpuE4ELNS1_3repE0EEENS1_30default_config_static_selectorELNS0_4arch9wavefront6targetE0EEEvT1_
                                        ; -- End function
	.set _ZN7rocprim17ROCPRIM_400000_NS6detail17trampoline_kernelINS0_14default_configENS1_27scan_by_key_config_selectorIxxEEZZNS1_16scan_by_key_implILNS1_25lookback_scan_determinismE0ELb1ES3_N6thrust23THRUST_200600_302600_NS6detail15normal_iteratorINS9_10device_ptrIxEEEESE_SE_xNS9_4plusIxEE19head_flag_predicatexEE10hipError_tPvRmT2_T3_T4_T5_mT6_T7_P12ihipStream_tbENKUlT_T0_E_clISt17integral_constantIbLb0EESY_EEDaST_SU_EUlST_E_NS1_11comp_targetILNS1_3genE10ELNS1_11target_archE1200ELNS1_3gpuE4ELNS1_3repE0EEENS1_30default_config_static_selectorELNS0_4arch9wavefront6targetE0EEEvT1_.num_vgpr, 0
	.set _ZN7rocprim17ROCPRIM_400000_NS6detail17trampoline_kernelINS0_14default_configENS1_27scan_by_key_config_selectorIxxEEZZNS1_16scan_by_key_implILNS1_25lookback_scan_determinismE0ELb1ES3_N6thrust23THRUST_200600_302600_NS6detail15normal_iteratorINS9_10device_ptrIxEEEESE_SE_xNS9_4plusIxEE19head_flag_predicatexEE10hipError_tPvRmT2_T3_T4_T5_mT6_T7_P12ihipStream_tbENKUlT_T0_E_clISt17integral_constantIbLb0EESY_EEDaST_SU_EUlST_E_NS1_11comp_targetILNS1_3genE10ELNS1_11target_archE1200ELNS1_3gpuE4ELNS1_3repE0EEENS1_30default_config_static_selectorELNS0_4arch9wavefront6targetE0EEEvT1_.num_agpr, 0
	.set _ZN7rocprim17ROCPRIM_400000_NS6detail17trampoline_kernelINS0_14default_configENS1_27scan_by_key_config_selectorIxxEEZZNS1_16scan_by_key_implILNS1_25lookback_scan_determinismE0ELb1ES3_N6thrust23THRUST_200600_302600_NS6detail15normal_iteratorINS9_10device_ptrIxEEEESE_SE_xNS9_4plusIxEE19head_flag_predicatexEE10hipError_tPvRmT2_T3_T4_T5_mT6_T7_P12ihipStream_tbENKUlT_T0_E_clISt17integral_constantIbLb0EESY_EEDaST_SU_EUlST_E_NS1_11comp_targetILNS1_3genE10ELNS1_11target_archE1200ELNS1_3gpuE4ELNS1_3repE0EEENS1_30default_config_static_selectorELNS0_4arch9wavefront6targetE0EEEvT1_.numbered_sgpr, 0
	.set _ZN7rocprim17ROCPRIM_400000_NS6detail17trampoline_kernelINS0_14default_configENS1_27scan_by_key_config_selectorIxxEEZZNS1_16scan_by_key_implILNS1_25lookback_scan_determinismE0ELb1ES3_N6thrust23THRUST_200600_302600_NS6detail15normal_iteratorINS9_10device_ptrIxEEEESE_SE_xNS9_4plusIxEE19head_flag_predicatexEE10hipError_tPvRmT2_T3_T4_T5_mT6_T7_P12ihipStream_tbENKUlT_T0_E_clISt17integral_constantIbLb0EESY_EEDaST_SU_EUlST_E_NS1_11comp_targetILNS1_3genE10ELNS1_11target_archE1200ELNS1_3gpuE4ELNS1_3repE0EEENS1_30default_config_static_selectorELNS0_4arch9wavefront6targetE0EEEvT1_.num_named_barrier, 0
	.set _ZN7rocprim17ROCPRIM_400000_NS6detail17trampoline_kernelINS0_14default_configENS1_27scan_by_key_config_selectorIxxEEZZNS1_16scan_by_key_implILNS1_25lookback_scan_determinismE0ELb1ES3_N6thrust23THRUST_200600_302600_NS6detail15normal_iteratorINS9_10device_ptrIxEEEESE_SE_xNS9_4plusIxEE19head_flag_predicatexEE10hipError_tPvRmT2_T3_T4_T5_mT6_T7_P12ihipStream_tbENKUlT_T0_E_clISt17integral_constantIbLb0EESY_EEDaST_SU_EUlST_E_NS1_11comp_targetILNS1_3genE10ELNS1_11target_archE1200ELNS1_3gpuE4ELNS1_3repE0EEENS1_30default_config_static_selectorELNS0_4arch9wavefront6targetE0EEEvT1_.private_seg_size, 0
	.set _ZN7rocprim17ROCPRIM_400000_NS6detail17trampoline_kernelINS0_14default_configENS1_27scan_by_key_config_selectorIxxEEZZNS1_16scan_by_key_implILNS1_25lookback_scan_determinismE0ELb1ES3_N6thrust23THRUST_200600_302600_NS6detail15normal_iteratorINS9_10device_ptrIxEEEESE_SE_xNS9_4plusIxEE19head_flag_predicatexEE10hipError_tPvRmT2_T3_T4_T5_mT6_T7_P12ihipStream_tbENKUlT_T0_E_clISt17integral_constantIbLb0EESY_EEDaST_SU_EUlST_E_NS1_11comp_targetILNS1_3genE10ELNS1_11target_archE1200ELNS1_3gpuE4ELNS1_3repE0EEENS1_30default_config_static_selectorELNS0_4arch9wavefront6targetE0EEEvT1_.uses_vcc, 0
	.set _ZN7rocprim17ROCPRIM_400000_NS6detail17trampoline_kernelINS0_14default_configENS1_27scan_by_key_config_selectorIxxEEZZNS1_16scan_by_key_implILNS1_25lookback_scan_determinismE0ELb1ES3_N6thrust23THRUST_200600_302600_NS6detail15normal_iteratorINS9_10device_ptrIxEEEESE_SE_xNS9_4plusIxEE19head_flag_predicatexEE10hipError_tPvRmT2_T3_T4_T5_mT6_T7_P12ihipStream_tbENKUlT_T0_E_clISt17integral_constantIbLb0EESY_EEDaST_SU_EUlST_E_NS1_11comp_targetILNS1_3genE10ELNS1_11target_archE1200ELNS1_3gpuE4ELNS1_3repE0EEENS1_30default_config_static_selectorELNS0_4arch9wavefront6targetE0EEEvT1_.uses_flat_scratch, 0
	.set _ZN7rocprim17ROCPRIM_400000_NS6detail17trampoline_kernelINS0_14default_configENS1_27scan_by_key_config_selectorIxxEEZZNS1_16scan_by_key_implILNS1_25lookback_scan_determinismE0ELb1ES3_N6thrust23THRUST_200600_302600_NS6detail15normal_iteratorINS9_10device_ptrIxEEEESE_SE_xNS9_4plusIxEE19head_flag_predicatexEE10hipError_tPvRmT2_T3_T4_T5_mT6_T7_P12ihipStream_tbENKUlT_T0_E_clISt17integral_constantIbLb0EESY_EEDaST_SU_EUlST_E_NS1_11comp_targetILNS1_3genE10ELNS1_11target_archE1200ELNS1_3gpuE4ELNS1_3repE0EEENS1_30default_config_static_selectorELNS0_4arch9wavefront6targetE0EEEvT1_.has_dyn_sized_stack, 0
	.set _ZN7rocprim17ROCPRIM_400000_NS6detail17trampoline_kernelINS0_14default_configENS1_27scan_by_key_config_selectorIxxEEZZNS1_16scan_by_key_implILNS1_25lookback_scan_determinismE0ELb1ES3_N6thrust23THRUST_200600_302600_NS6detail15normal_iteratorINS9_10device_ptrIxEEEESE_SE_xNS9_4plusIxEE19head_flag_predicatexEE10hipError_tPvRmT2_T3_T4_T5_mT6_T7_P12ihipStream_tbENKUlT_T0_E_clISt17integral_constantIbLb0EESY_EEDaST_SU_EUlST_E_NS1_11comp_targetILNS1_3genE10ELNS1_11target_archE1200ELNS1_3gpuE4ELNS1_3repE0EEENS1_30default_config_static_selectorELNS0_4arch9wavefront6targetE0EEEvT1_.has_recursion, 0
	.set _ZN7rocprim17ROCPRIM_400000_NS6detail17trampoline_kernelINS0_14default_configENS1_27scan_by_key_config_selectorIxxEEZZNS1_16scan_by_key_implILNS1_25lookback_scan_determinismE0ELb1ES3_N6thrust23THRUST_200600_302600_NS6detail15normal_iteratorINS9_10device_ptrIxEEEESE_SE_xNS9_4plusIxEE19head_flag_predicatexEE10hipError_tPvRmT2_T3_T4_T5_mT6_T7_P12ihipStream_tbENKUlT_T0_E_clISt17integral_constantIbLb0EESY_EEDaST_SU_EUlST_E_NS1_11comp_targetILNS1_3genE10ELNS1_11target_archE1200ELNS1_3gpuE4ELNS1_3repE0EEENS1_30default_config_static_selectorELNS0_4arch9wavefront6targetE0EEEvT1_.has_indirect_call, 0
	.section	.AMDGPU.csdata,"",@progbits
; Kernel info:
; codeLenInByte = 0
; TotalNumSgprs: 0
; NumVgprs: 0
; ScratchSize: 0
; MemoryBound: 0
; FloatMode: 240
; IeeeMode: 1
; LDSByteSize: 0 bytes/workgroup (compile time only)
; SGPRBlocks: 0
; VGPRBlocks: 0
; NumSGPRsForWavesPerEU: 1
; NumVGPRsForWavesPerEU: 1
; NamedBarCnt: 0
; Occupancy: 16
; WaveLimiterHint : 0
; COMPUTE_PGM_RSRC2:SCRATCH_EN: 0
; COMPUTE_PGM_RSRC2:USER_SGPR: 2
; COMPUTE_PGM_RSRC2:TRAP_HANDLER: 0
; COMPUTE_PGM_RSRC2:TGID_X_EN: 1
; COMPUTE_PGM_RSRC2:TGID_Y_EN: 0
; COMPUTE_PGM_RSRC2:TGID_Z_EN: 0
; COMPUTE_PGM_RSRC2:TIDIG_COMP_CNT: 0
	.section	.text._ZN7rocprim17ROCPRIM_400000_NS6detail17trampoline_kernelINS0_14default_configENS1_27scan_by_key_config_selectorIxxEEZZNS1_16scan_by_key_implILNS1_25lookback_scan_determinismE0ELb1ES3_N6thrust23THRUST_200600_302600_NS6detail15normal_iteratorINS9_10device_ptrIxEEEESE_SE_xNS9_4plusIxEE19head_flag_predicatexEE10hipError_tPvRmT2_T3_T4_T5_mT6_T7_P12ihipStream_tbENKUlT_T0_E_clISt17integral_constantIbLb0EESY_EEDaST_SU_EUlST_E_NS1_11comp_targetILNS1_3genE9ELNS1_11target_archE1100ELNS1_3gpuE3ELNS1_3repE0EEENS1_30default_config_static_selectorELNS0_4arch9wavefront6targetE0EEEvT1_,"axG",@progbits,_ZN7rocprim17ROCPRIM_400000_NS6detail17trampoline_kernelINS0_14default_configENS1_27scan_by_key_config_selectorIxxEEZZNS1_16scan_by_key_implILNS1_25lookback_scan_determinismE0ELb1ES3_N6thrust23THRUST_200600_302600_NS6detail15normal_iteratorINS9_10device_ptrIxEEEESE_SE_xNS9_4plusIxEE19head_flag_predicatexEE10hipError_tPvRmT2_T3_T4_T5_mT6_T7_P12ihipStream_tbENKUlT_T0_E_clISt17integral_constantIbLb0EESY_EEDaST_SU_EUlST_E_NS1_11comp_targetILNS1_3genE9ELNS1_11target_archE1100ELNS1_3gpuE3ELNS1_3repE0EEENS1_30default_config_static_selectorELNS0_4arch9wavefront6targetE0EEEvT1_,comdat
	.protected	_ZN7rocprim17ROCPRIM_400000_NS6detail17trampoline_kernelINS0_14default_configENS1_27scan_by_key_config_selectorIxxEEZZNS1_16scan_by_key_implILNS1_25lookback_scan_determinismE0ELb1ES3_N6thrust23THRUST_200600_302600_NS6detail15normal_iteratorINS9_10device_ptrIxEEEESE_SE_xNS9_4plusIxEE19head_flag_predicatexEE10hipError_tPvRmT2_T3_T4_T5_mT6_T7_P12ihipStream_tbENKUlT_T0_E_clISt17integral_constantIbLb0EESY_EEDaST_SU_EUlST_E_NS1_11comp_targetILNS1_3genE9ELNS1_11target_archE1100ELNS1_3gpuE3ELNS1_3repE0EEENS1_30default_config_static_selectorELNS0_4arch9wavefront6targetE0EEEvT1_ ; -- Begin function _ZN7rocprim17ROCPRIM_400000_NS6detail17trampoline_kernelINS0_14default_configENS1_27scan_by_key_config_selectorIxxEEZZNS1_16scan_by_key_implILNS1_25lookback_scan_determinismE0ELb1ES3_N6thrust23THRUST_200600_302600_NS6detail15normal_iteratorINS9_10device_ptrIxEEEESE_SE_xNS9_4plusIxEE19head_flag_predicatexEE10hipError_tPvRmT2_T3_T4_T5_mT6_T7_P12ihipStream_tbENKUlT_T0_E_clISt17integral_constantIbLb0EESY_EEDaST_SU_EUlST_E_NS1_11comp_targetILNS1_3genE9ELNS1_11target_archE1100ELNS1_3gpuE3ELNS1_3repE0EEENS1_30default_config_static_selectorELNS0_4arch9wavefront6targetE0EEEvT1_
	.globl	_ZN7rocprim17ROCPRIM_400000_NS6detail17trampoline_kernelINS0_14default_configENS1_27scan_by_key_config_selectorIxxEEZZNS1_16scan_by_key_implILNS1_25lookback_scan_determinismE0ELb1ES3_N6thrust23THRUST_200600_302600_NS6detail15normal_iteratorINS9_10device_ptrIxEEEESE_SE_xNS9_4plusIxEE19head_flag_predicatexEE10hipError_tPvRmT2_T3_T4_T5_mT6_T7_P12ihipStream_tbENKUlT_T0_E_clISt17integral_constantIbLb0EESY_EEDaST_SU_EUlST_E_NS1_11comp_targetILNS1_3genE9ELNS1_11target_archE1100ELNS1_3gpuE3ELNS1_3repE0EEENS1_30default_config_static_selectorELNS0_4arch9wavefront6targetE0EEEvT1_
	.p2align	8
	.type	_ZN7rocprim17ROCPRIM_400000_NS6detail17trampoline_kernelINS0_14default_configENS1_27scan_by_key_config_selectorIxxEEZZNS1_16scan_by_key_implILNS1_25lookback_scan_determinismE0ELb1ES3_N6thrust23THRUST_200600_302600_NS6detail15normal_iteratorINS9_10device_ptrIxEEEESE_SE_xNS9_4plusIxEE19head_flag_predicatexEE10hipError_tPvRmT2_T3_T4_T5_mT6_T7_P12ihipStream_tbENKUlT_T0_E_clISt17integral_constantIbLb0EESY_EEDaST_SU_EUlST_E_NS1_11comp_targetILNS1_3genE9ELNS1_11target_archE1100ELNS1_3gpuE3ELNS1_3repE0EEENS1_30default_config_static_selectorELNS0_4arch9wavefront6targetE0EEEvT1_,@function
_ZN7rocprim17ROCPRIM_400000_NS6detail17trampoline_kernelINS0_14default_configENS1_27scan_by_key_config_selectorIxxEEZZNS1_16scan_by_key_implILNS1_25lookback_scan_determinismE0ELb1ES3_N6thrust23THRUST_200600_302600_NS6detail15normal_iteratorINS9_10device_ptrIxEEEESE_SE_xNS9_4plusIxEE19head_flag_predicatexEE10hipError_tPvRmT2_T3_T4_T5_mT6_T7_P12ihipStream_tbENKUlT_T0_E_clISt17integral_constantIbLb0EESY_EEDaST_SU_EUlST_E_NS1_11comp_targetILNS1_3genE9ELNS1_11target_archE1100ELNS1_3gpuE3ELNS1_3repE0EEENS1_30default_config_static_selectorELNS0_4arch9wavefront6targetE0EEEvT1_: ; @_ZN7rocprim17ROCPRIM_400000_NS6detail17trampoline_kernelINS0_14default_configENS1_27scan_by_key_config_selectorIxxEEZZNS1_16scan_by_key_implILNS1_25lookback_scan_determinismE0ELb1ES3_N6thrust23THRUST_200600_302600_NS6detail15normal_iteratorINS9_10device_ptrIxEEEESE_SE_xNS9_4plusIxEE19head_flag_predicatexEE10hipError_tPvRmT2_T3_T4_T5_mT6_T7_P12ihipStream_tbENKUlT_T0_E_clISt17integral_constantIbLb0EESY_EEDaST_SU_EUlST_E_NS1_11comp_targetILNS1_3genE9ELNS1_11target_archE1100ELNS1_3gpuE3ELNS1_3repE0EEENS1_30default_config_static_selectorELNS0_4arch9wavefront6targetE0EEEvT1_
; %bb.0:
	.section	.rodata,"a",@progbits
	.p2align	6, 0x0
	.amdhsa_kernel _ZN7rocprim17ROCPRIM_400000_NS6detail17trampoline_kernelINS0_14default_configENS1_27scan_by_key_config_selectorIxxEEZZNS1_16scan_by_key_implILNS1_25lookback_scan_determinismE0ELb1ES3_N6thrust23THRUST_200600_302600_NS6detail15normal_iteratorINS9_10device_ptrIxEEEESE_SE_xNS9_4plusIxEE19head_flag_predicatexEE10hipError_tPvRmT2_T3_T4_T5_mT6_T7_P12ihipStream_tbENKUlT_T0_E_clISt17integral_constantIbLb0EESY_EEDaST_SU_EUlST_E_NS1_11comp_targetILNS1_3genE9ELNS1_11target_archE1100ELNS1_3gpuE3ELNS1_3repE0EEENS1_30default_config_static_selectorELNS0_4arch9wavefront6targetE0EEEvT1_
		.amdhsa_group_segment_fixed_size 0
		.amdhsa_private_segment_fixed_size 0
		.amdhsa_kernarg_size 136
		.amdhsa_user_sgpr_count 2
		.amdhsa_user_sgpr_dispatch_ptr 0
		.amdhsa_user_sgpr_queue_ptr 0
		.amdhsa_user_sgpr_kernarg_segment_ptr 1
		.amdhsa_user_sgpr_dispatch_id 0
		.amdhsa_user_sgpr_kernarg_preload_length 0
		.amdhsa_user_sgpr_kernarg_preload_offset 0
		.amdhsa_user_sgpr_private_segment_size 0
		.amdhsa_wavefront_size32 1
		.amdhsa_uses_dynamic_stack 0
		.amdhsa_enable_private_segment 0
		.amdhsa_system_sgpr_workgroup_id_x 1
		.amdhsa_system_sgpr_workgroup_id_y 0
		.amdhsa_system_sgpr_workgroup_id_z 0
		.amdhsa_system_sgpr_workgroup_info 0
		.amdhsa_system_vgpr_workitem_id 0
		.amdhsa_next_free_vgpr 1
		.amdhsa_next_free_sgpr 1
		.amdhsa_named_barrier_count 0
		.amdhsa_reserve_vcc 0
		.amdhsa_float_round_mode_32 0
		.amdhsa_float_round_mode_16_64 0
		.amdhsa_float_denorm_mode_32 3
		.amdhsa_float_denorm_mode_16_64 3
		.amdhsa_fp16_overflow 0
		.amdhsa_memory_ordered 1
		.amdhsa_forward_progress 1
		.amdhsa_inst_pref_size 0
		.amdhsa_round_robin_scheduling 0
		.amdhsa_exception_fp_ieee_invalid_op 0
		.amdhsa_exception_fp_denorm_src 0
		.amdhsa_exception_fp_ieee_div_zero 0
		.amdhsa_exception_fp_ieee_overflow 0
		.amdhsa_exception_fp_ieee_underflow 0
		.amdhsa_exception_fp_ieee_inexact 0
		.amdhsa_exception_int_div_zero 0
	.end_amdhsa_kernel
	.section	.text._ZN7rocprim17ROCPRIM_400000_NS6detail17trampoline_kernelINS0_14default_configENS1_27scan_by_key_config_selectorIxxEEZZNS1_16scan_by_key_implILNS1_25lookback_scan_determinismE0ELb1ES3_N6thrust23THRUST_200600_302600_NS6detail15normal_iteratorINS9_10device_ptrIxEEEESE_SE_xNS9_4plusIxEE19head_flag_predicatexEE10hipError_tPvRmT2_T3_T4_T5_mT6_T7_P12ihipStream_tbENKUlT_T0_E_clISt17integral_constantIbLb0EESY_EEDaST_SU_EUlST_E_NS1_11comp_targetILNS1_3genE9ELNS1_11target_archE1100ELNS1_3gpuE3ELNS1_3repE0EEENS1_30default_config_static_selectorELNS0_4arch9wavefront6targetE0EEEvT1_,"axG",@progbits,_ZN7rocprim17ROCPRIM_400000_NS6detail17trampoline_kernelINS0_14default_configENS1_27scan_by_key_config_selectorIxxEEZZNS1_16scan_by_key_implILNS1_25lookback_scan_determinismE0ELb1ES3_N6thrust23THRUST_200600_302600_NS6detail15normal_iteratorINS9_10device_ptrIxEEEESE_SE_xNS9_4plusIxEE19head_flag_predicatexEE10hipError_tPvRmT2_T3_T4_T5_mT6_T7_P12ihipStream_tbENKUlT_T0_E_clISt17integral_constantIbLb0EESY_EEDaST_SU_EUlST_E_NS1_11comp_targetILNS1_3genE9ELNS1_11target_archE1100ELNS1_3gpuE3ELNS1_3repE0EEENS1_30default_config_static_selectorELNS0_4arch9wavefront6targetE0EEEvT1_,comdat
.Lfunc_end720:
	.size	_ZN7rocprim17ROCPRIM_400000_NS6detail17trampoline_kernelINS0_14default_configENS1_27scan_by_key_config_selectorIxxEEZZNS1_16scan_by_key_implILNS1_25lookback_scan_determinismE0ELb1ES3_N6thrust23THRUST_200600_302600_NS6detail15normal_iteratorINS9_10device_ptrIxEEEESE_SE_xNS9_4plusIxEE19head_flag_predicatexEE10hipError_tPvRmT2_T3_T4_T5_mT6_T7_P12ihipStream_tbENKUlT_T0_E_clISt17integral_constantIbLb0EESY_EEDaST_SU_EUlST_E_NS1_11comp_targetILNS1_3genE9ELNS1_11target_archE1100ELNS1_3gpuE3ELNS1_3repE0EEENS1_30default_config_static_selectorELNS0_4arch9wavefront6targetE0EEEvT1_, .Lfunc_end720-_ZN7rocprim17ROCPRIM_400000_NS6detail17trampoline_kernelINS0_14default_configENS1_27scan_by_key_config_selectorIxxEEZZNS1_16scan_by_key_implILNS1_25lookback_scan_determinismE0ELb1ES3_N6thrust23THRUST_200600_302600_NS6detail15normal_iteratorINS9_10device_ptrIxEEEESE_SE_xNS9_4plusIxEE19head_flag_predicatexEE10hipError_tPvRmT2_T3_T4_T5_mT6_T7_P12ihipStream_tbENKUlT_T0_E_clISt17integral_constantIbLb0EESY_EEDaST_SU_EUlST_E_NS1_11comp_targetILNS1_3genE9ELNS1_11target_archE1100ELNS1_3gpuE3ELNS1_3repE0EEENS1_30default_config_static_selectorELNS0_4arch9wavefront6targetE0EEEvT1_
                                        ; -- End function
	.set _ZN7rocprim17ROCPRIM_400000_NS6detail17trampoline_kernelINS0_14default_configENS1_27scan_by_key_config_selectorIxxEEZZNS1_16scan_by_key_implILNS1_25lookback_scan_determinismE0ELb1ES3_N6thrust23THRUST_200600_302600_NS6detail15normal_iteratorINS9_10device_ptrIxEEEESE_SE_xNS9_4plusIxEE19head_flag_predicatexEE10hipError_tPvRmT2_T3_T4_T5_mT6_T7_P12ihipStream_tbENKUlT_T0_E_clISt17integral_constantIbLb0EESY_EEDaST_SU_EUlST_E_NS1_11comp_targetILNS1_3genE9ELNS1_11target_archE1100ELNS1_3gpuE3ELNS1_3repE0EEENS1_30default_config_static_selectorELNS0_4arch9wavefront6targetE0EEEvT1_.num_vgpr, 0
	.set _ZN7rocprim17ROCPRIM_400000_NS6detail17trampoline_kernelINS0_14default_configENS1_27scan_by_key_config_selectorIxxEEZZNS1_16scan_by_key_implILNS1_25lookback_scan_determinismE0ELb1ES3_N6thrust23THRUST_200600_302600_NS6detail15normal_iteratorINS9_10device_ptrIxEEEESE_SE_xNS9_4plusIxEE19head_flag_predicatexEE10hipError_tPvRmT2_T3_T4_T5_mT6_T7_P12ihipStream_tbENKUlT_T0_E_clISt17integral_constantIbLb0EESY_EEDaST_SU_EUlST_E_NS1_11comp_targetILNS1_3genE9ELNS1_11target_archE1100ELNS1_3gpuE3ELNS1_3repE0EEENS1_30default_config_static_selectorELNS0_4arch9wavefront6targetE0EEEvT1_.num_agpr, 0
	.set _ZN7rocprim17ROCPRIM_400000_NS6detail17trampoline_kernelINS0_14default_configENS1_27scan_by_key_config_selectorIxxEEZZNS1_16scan_by_key_implILNS1_25lookback_scan_determinismE0ELb1ES3_N6thrust23THRUST_200600_302600_NS6detail15normal_iteratorINS9_10device_ptrIxEEEESE_SE_xNS9_4plusIxEE19head_flag_predicatexEE10hipError_tPvRmT2_T3_T4_T5_mT6_T7_P12ihipStream_tbENKUlT_T0_E_clISt17integral_constantIbLb0EESY_EEDaST_SU_EUlST_E_NS1_11comp_targetILNS1_3genE9ELNS1_11target_archE1100ELNS1_3gpuE3ELNS1_3repE0EEENS1_30default_config_static_selectorELNS0_4arch9wavefront6targetE0EEEvT1_.numbered_sgpr, 0
	.set _ZN7rocprim17ROCPRIM_400000_NS6detail17trampoline_kernelINS0_14default_configENS1_27scan_by_key_config_selectorIxxEEZZNS1_16scan_by_key_implILNS1_25lookback_scan_determinismE0ELb1ES3_N6thrust23THRUST_200600_302600_NS6detail15normal_iteratorINS9_10device_ptrIxEEEESE_SE_xNS9_4plusIxEE19head_flag_predicatexEE10hipError_tPvRmT2_T3_T4_T5_mT6_T7_P12ihipStream_tbENKUlT_T0_E_clISt17integral_constantIbLb0EESY_EEDaST_SU_EUlST_E_NS1_11comp_targetILNS1_3genE9ELNS1_11target_archE1100ELNS1_3gpuE3ELNS1_3repE0EEENS1_30default_config_static_selectorELNS0_4arch9wavefront6targetE0EEEvT1_.num_named_barrier, 0
	.set _ZN7rocprim17ROCPRIM_400000_NS6detail17trampoline_kernelINS0_14default_configENS1_27scan_by_key_config_selectorIxxEEZZNS1_16scan_by_key_implILNS1_25lookback_scan_determinismE0ELb1ES3_N6thrust23THRUST_200600_302600_NS6detail15normal_iteratorINS9_10device_ptrIxEEEESE_SE_xNS9_4plusIxEE19head_flag_predicatexEE10hipError_tPvRmT2_T3_T4_T5_mT6_T7_P12ihipStream_tbENKUlT_T0_E_clISt17integral_constantIbLb0EESY_EEDaST_SU_EUlST_E_NS1_11comp_targetILNS1_3genE9ELNS1_11target_archE1100ELNS1_3gpuE3ELNS1_3repE0EEENS1_30default_config_static_selectorELNS0_4arch9wavefront6targetE0EEEvT1_.private_seg_size, 0
	.set _ZN7rocprim17ROCPRIM_400000_NS6detail17trampoline_kernelINS0_14default_configENS1_27scan_by_key_config_selectorIxxEEZZNS1_16scan_by_key_implILNS1_25lookback_scan_determinismE0ELb1ES3_N6thrust23THRUST_200600_302600_NS6detail15normal_iteratorINS9_10device_ptrIxEEEESE_SE_xNS9_4plusIxEE19head_flag_predicatexEE10hipError_tPvRmT2_T3_T4_T5_mT6_T7_P12ihipStream_tbENKUlT_T0_E_clISt17integral_constantIbLb0EESY_EEDaST_SU_EUlST_E_NS1_11comp_targetILNS1_3genE9ELNS1_11target_archE1100ELNS1_3gpuE3ELNS1_3repE0EEENS1_30default_config_static_selectorELNS0_4arch9wavefront6targetE0EEEvT1_.uses_vcc, 0
	.set _ZN7rocprim17ROCPRIM_400000_NS6detail17trampoline_kernelINS0_14default_configENS1_27scan_by_key_config_selectorIxxEEZZNS1_16scan_by_key_implILNS1_25lookback_scan_determinismE0ELb1ES3_N6thrust23THRUST_200600_302600_NS6detail15normal_iteratorINS9_10device_ptrIxEEEESE_SE_xNS9_4plusIxEE19head_flag_predicatexEE10hipError_tPvRmT2_T3_T4_T5_mT6_T7_P12ihipStream_tbENKUlT_T0_E_clISt17integral_constantIbLb0EESY_EEDaST_SU_EUlST_E_NS1_11comp_targetILNS1_3genE9ELNS1_11target_archE1100ELNS1_3gpuE3ELNS1_3repE0EEENS1_30default_config_static_selectorELNS0_4arch9wavefront6targetE0EEEvT1_.uses_flat_scratch, 0
	.set _ZN7rocprim17ROCPRIM_400000_NS6detail17trampoline_kernelINS0_14default_configENS1_27scan_by_key_config_selectorIxxEEZZNS1_16scan_by_key_implILNS1_25lookback_scan_determinismE0ELb1ES3_N6thrust23THRUST_200600_302600_NS6detail15normal_iteratorINS9_10device_ptrIxEEEESE_SE_xNS9_4plusIxEE19head_flag_predicatexEE10hipError_tPvRmT2_T3_T4_T5_mT6_T7_P12ihipStream_tbENKUlT_T0_E_clISt17integral_constantIbLb0EESY_EEDaST_SU_EUlST_E_NS1_11comp_targetILNS1_3genE9ELNS1_11target_archE1100ELNS1_3gpuE3ELNS1_3repE0EEENS1_30default_config_static_selectorELNS0_4arch9wavefront6targetE0EEEvT1_.has_dyn_sized_stack, 0
	.set _ZN7rocprim17ROCPRIM_400000_NS6detail17trampoline_kernelINS0_14default_configENS1_27scan_by_key_config_selectorIxxEEZZNS1_16scan_by_key_implILNS1_25lookback_scan_determinismE0ELb1ES3_N6thrust23THRUST_200600_302600_NS6detail15normal_iteratorINS9_10device_ptrIxEEEESE_SE_xNS9_4plusIxEE19head_flag_predicatexEE10hipError_tPvRmT2_T3_T4_T5_mT6_T7_P12ihipStream_tbENKUlT_T0_E_clISt17integral_constantIbLb0EESY_EEDaST_SU_EUlST_E_NS1_11comp_targetILNS1_3genE9ELNS1_11target_archE1100ELNS1_3gpuE3ELNS1_3repE0EEENS1_30default_config_static_selectorELNS0_4arch9wavefront6targetE0EEEvT1_.has_recursion, 0
	.set _ZN7rocprim17ROCPRIM_400000_NS6detail17trampoline_kernelINS0_14default_configENS1_27scan_by_key_config_selectorIxxEEZZNS1_16scan_by_key_implILNS1_25lookback_scan_determinismE0ELb1ES3_N6thrust23THRUST_200600_302600_NS6detail15normal_iteratorINS9_10device_ptrIxEEEESE_SE_xNS9_4plusIxEE19head_flag_predicatexEE10hipError_tPvRmT2_T3_T4_T5_mT6_T7_P12ihipStream_tbENKUlT_T0_E_clISt17integral_constantIbLb0EESY_EEDaST_SU_EUlST_E_NS1_11comp_targetILNS1_3genE9ELNS1_11target_archE1100ELNS1_3gpuE3ELNS1_3repE0EEENS1_30default_config_static_selectorELNS0_4arch9wavefront6targetE0EEEvT1_.has_indirect_call, 0
	.section	.AMDGPU.csdata,"",@progbits
; Kernel info:
; codeLenInByte = 0
; TotalNumSgprs: 0
; NumVgprs: 0
; ScratchSize: 0
; MemoryBound: 0
; FloatMode: 240
; IeeeMode: 1
; LDSByteSize: 0 bytes/workgroup (compile time only)
; SGPRBlocks: 0
; VGPRBlocks: 0
; NumSGPRsForWavesPerEU: 1
; NumVGPRsForWavesPerEU: 1
; NamedBarCnt: 0
; Occupancy: 16
; WaveLimiterHint : 0
; COMPUTE_PGM_RSRC2:SCRATCH_EN: 0
; COMPUTE_PGM_RSRC2:USER_SGPR: 2
; COMPUTE_PGM_RSRC2:TRAP_HANDLER: 0
; COMPUTE_PGM_RSRC2:TGID_X_EN: 1
; COMPUTE_PGM_RSRC2:TGID_Y_EN: 0
; COMPUTE_PGM_RSRC2:TGID_Z_EN: 0
; COMPUTE_PGM_RSRC2:TIDIG_COMP_CNT: 0
	.section	.text._ZN7rocprim17ROCPRIM_400000_NS6detail17trampoline_kernelINS0_14default_configENS1_27scan_by_key_config_selectorIxxEEZZNS1_16scan_by_key_implILNS1_25lookback_scan_determinismE0ELb1ES3_N6thrust23THRUST_200600_302600_NS6detail15normal_iteratorINS9_10device_ptrIxEEEESE_SE_xNS9_4plusIxEE19head_flag_predicatexEE10hipError_tPvRmT2_T3_T4_T5_mT6_T7_P12ihipStream_tbENKUlT_T0_E_clISt17integral_constantIbLb0EESY_EEDaST_SU_EUlST_E_NS1_11comp_targetILNS1_3genE8ELNS1_11target_archE1030ELNS1_3gpuE2ELNS1_3repE0EEENS1_30default_config_static_selectorELNS0_4arch9wavefront6targetE0EEEvT1_,"axG",@progbits,_ZN7rocprim17ROCPRIM_400000_NS6detail17trampoline_kernelINS0_14default_configENS1_27scan_by_key_config_selectorIxxEEZZNS1_16scan_by_key_implILNS1_25lookback_scan_determinismE0ELb1ES3_N6thrust23THRUST_200600_302600_NS6detail15normal_iteratorINS9_10device_ptrIxEEEESE_SE_xNS9_4plusIxEE19head_flag_predicatexEE10hipError_tPvRmT2_T3_T4_T5_mT6_T7_P12ihipStream_tbENKUlT_T0_E_clISt17integral_constantIbLb0EESY_EEDaST_SU_EUlST_E_NS1_11comp_targetILNS1_3genE8ELNS1_11target_archE1030ELNS1_3gpuE2ELNS1_3repE0EEENS1_30default_config_static_selectorELNS0_4arch9wavefront6targetE0EEEvT1_,comdat
	.protected	_ZN7rocprim17ROCPRIM_400000_NS6detail17trampoline_kernelINS0_14default_configENS1_27scan_by_key_config_selectorIxxEEZZNS1_16scan_by_key_implILNS1_25lookback_scan_determinismE0ELb1ES3_N6thrust23THRUST_200600_302600_NS6detail15normal_iteratorINS9_10device_ptrIxEEEESE_SE_xNS9_4plusIxEE19head_flag_predicatexEE10hipError_tPvRmT2_T3_T4_T5_mT6_T7_P12ihipStream_tbENKUlT_T0_E_clISt17integral_constantIbLb0EESY_EEDaST_SU_EUlST_E_NS1_11comp_targetILNS1_3genE8ELNS1_11target_archE1030ELNS1_3gpuE2ELNS1_3repE0EEENS1_30default_config_static_selectorELNS0_4arch9wavefront6targetE0EEEvT1_ ; -- Begin function _ZN7rocprim17ROCPRIM_400000_NS6detail17trampoline_kernelINS0_14default_configENS1_27scan_by_key_config_selectorIxxEEZZNS1_16scan_by_key_implILNS1_25lookback_scan_determinismE0ELb1ES3_N6thrust23THRUST_200600_302600_NS6detail15normal_iteratorINS9_10device_ptrIxEEEESE_SE_xNS9_4plusIxEE19head_flag_predicatexEE10hipError_tPvRmT2_T3_T4_T5_mT6_T7_P12ihipStream_tbENKUlT_T0_E_clISt17integral_constantIbLb0EESY_EEDaST_SU_EUlST_E_NS1_11comp_targetILNS1_3genE8ELNS1_11target_archE1030ELNS1_3gpuE2ELNS1_3repE0EEENS1_30default_config_static_selectorELNS0_4arch9wavefront6targetE0EEEvT1_
	.globl	_ZN7rocprim17ROCPRIM_400000_NS6detail17trampoline_kernelINS0_14default_configENS1_27scan_by_key_config_selectorIxxEEZZNS1_16scan_by_key_implILNS1_25lookback_scan_determinismE0ELb1ES3_N6thrust23THRUST_200600_302600_NS6detail15normal_iteratorINS9_10device_ptrIxEEEESE_SE_xNS9_4plusIxEE19head_flag_predicatexEE10hipError_tPvRmT2_T3_T4_T5_mT6_T7_P12ihipStream_tbENKUlT_T0_E_clISt17integral_constantIbLb0EESY_EEDaST_SU_EUlST_E_NS1_11comp_targetILNS1_3genE8ELNS1_11target_archE1030ELNS1_3gpuE2ELNS1_3repE0EEENS1_30default_config_static_selectorELNS0_4arch9wavefront6targetE0EEEvT1_
	.p2align	8
	.type	_ZN7rocprim17ROCPRIM_400000_NS6detail17trampoline_kernelINS0_14default_configENS1_27scan_by_key_config_selectorIxxEEZZNS1_16scan_by_key_implILNS1_25lookback_scan_determinismE0ELb1ES3_N6thrust23THRUST_200600_302600_NS6detail15normal_iteratorINS9_10device_ptrIxEEEESE_SE_xNS9_4plusIxEE19head_flag_predicatexEE10hipError_tPvRmT2_T3_T4_T5_mT6_T7_P12ihipStream_tbENKUlT_T0_E_clISt17integral_constantIbLb0EESY_EEDaST_SU_EUlST_E_NS1_11comp_targetILNS1_3genE8ELNS1_11target_archE1030ELNS1_3gpuE2ELNS1_3repE0EEENS1_30default_config_static_selectorELNS0_4arch9wavefront6targetE0EEEvT1_,@function
_ZN7rocprim17ROCPRIM_400000_NS6detail17trampoline_kernelINS0_14default_configENS1_27scan_by_key_config_selectorIxxEEZZNS1_16scan_by_key_implILNS1_25lookback_scan_determinismE0ELb1ES3_N6thrust23THRUST_200600_302600_NS6detail15normal_iteratorINS9_10device_ptrIxEEEESE_SE_xNS9_4plusIxEE19head_flag_predicatexEE10hipError_tPvRmT2_T3_T4_T5_mT6_T7_P12ihipStream_tbENKUlT_T0_E_clISt17integral_constantIbLb0EESY_EEDaST_SU_EUlST_E_NS1_11comp_targetILNS1_3genE8ELNS1_11target_archE1030ELNS1_3gpuE2ELNS1_3repE0EEENS1_30default_config_static_selectorELNS0_4arch9wavefront6targetE0EEEvT1_: ; @_ZN7rocprim17ROCPRIM_400000_NS6detail17trampoline_kernelINS0_14default_configENS1_27scan_by_key_config_selectorIxxEEZZNS1_16scan_by_key_implILNS1_25lookback_scan_determinismE0ELb1ES3_N6thrust23THRUST_200600_302600_NS6detail15normal_iteratorINS9_10device_ptrIxEEEESE_SE_xNS9_4plusIxEE19head_flag_predicatexEE10hipError_tPvRmT2_T3_T4_T5_mT6_T7_P12ihipStream_tbENKUlT_T0_E_clISt17integral_constantIbLb0EESY_EEDaST_SU_EUlST_E_NS1_11comp_targetILNS1_3genE8ELNS1_11target_archE1030ELNS1_3gpuE2ELNS1_3repE0EEENS1_30default_config_static_selectorELNS0_4arch9wavefront6targetE0EEEvT1_
; %bb.0:
	.section	.rodata,"a",@progbits
	.p2align	6, 0x0
	.amdhsa_kernel _ZN7rocprim17ROCPRIM_400000_NS6detail17trampoline_kernelINS0_14default_configENS1_27scan_by_key_config_selectorIxxEEZZNS1_16scan_by_key_implILNS1_25lookback_scan_determinismE0ELb1ES3_N6thrust23THRUST_200600_302600_NS6detail15normal_iteratorINS9_10device_ptrIxEEEESE_SE_xNS9_4plusIxEE19head_flag_predicatexEE10hipError_tPvRmT2_T3_T4_T5_mT6_T7_P12ihipStream_tbENKUlT_T0_E_clISt17integral_constantIbLb0EESY_EEDaST_SU_EUlST_E_NS1_11comp_targetILNS1_3genE8ELNS1_11target_archE1030ELNS1_3gpuE2ELNS1_3repE0EEENS1_30default_config_static_selectorELNS0_4arch9wavefront6targetE0EEEvT1_
		.amdhsa_group_segment_fixed_size 0
		.amdhsa_private_segment_fixed_size 0
		.amdhsa_kernarg_size 136
		.amdhsa_user_sgpr_count 2
		.amdhsa_user_sgpr_dispatch_ptr 0
		.amdhsa_user_sgpr_queue_ptr 0
		.amdhsa_user_sgpr_kernarg_segment_ptr 1
		.amdhsa_user_sgpr_dispatch_id 0
		.amdhsa_user_sgpr_kernarg_preload_length 0
		.amdhsa_user_sgpr_kernarg_preload_offset 0
		.amdhsa_user_sgpr_private_segment_size 0
		.amdhsa_wavefront_size32 1
		.amdhsa_uses_dynamic_stack 0
		.amdhsa_enable_private_segment 0
		.amdhsa_system_sgpr_workgroup_id_x 1
		.amdhsa_system_sgpr_workgroup_id_y 0
		.amdhsa_system_sgpr_workgroup_id_z 0
		.amdhsa_system_sgpr_workgroup_info 0
		.amdhsa_system_vgpr_workitem_id 0
		.amdhsa_next_free_vgpr 1
		.amdhsa_next_free_sgpr 1
		.amdhsa_named_barrier_count 0
		.amdhsa_reserve_vcc 0
		.amdhsa_float_round_mode_32 0
		.amdhsa_float_round_mode_16_64 0
		.amdhsa_float_denorm_mode_32 3
		.amdhsa_float_denorm_mode_16_64 3
		.amdhsa_fp16_overflow 0
		.amdhsa_memory_ordered 1
		.amdhsa_forward_progress 1
		.amdhsa_inst_pref_size 0
		.amdhsa_round_robin_scheduling 0
		.amdhsa_exception_fp_ieee_invalid_op 0
		.amdhsa_exception_fp_denorm_src 0
		.amdhsa_exception_fp_ieee_div_zero 0
		.amdhsa_exception_fp_ieee_overflow 0
		.amdhsa_exception_fp_ieee_underflow 0
		.amdhsa_exception_fp_ieee_inexact 0
		.amdhsa_exception_int_div_zero 0
	.end_amdhsa_kernel
	.section	.text._ZN7rocprim17ROCPRIM_400000_NS6detail17trampoline_kernelINS0_14default_configENS1_27scan_by_key_config_selectorIxxEEZZNS1_16scan_by_key_implILNS1_25lookback_scan_determinismE0ELb1ES3_N6thrust23THRUST_200600_302600_NS6detail15normal_iteratorINS9_10device_ptrIxEEEESE_SE_xNS9_4plusIxEE19head_flag_predicatexEE10hipError_tPvRmT2_T3_T4_T5_mT6_T7_P12ihipStream_tbENKUlT_T0_E_clISt17integral_constantIbLb0EESY_EEDaST_SU_EUlST_E_NS1_11comp_targetILNS1_3genE8ELNS1_11target_archE1030ELNS1_3gpuE2ELNS1_3repE0EEENS1_30default_config_static_selectorELNS0_4arch9wavefront6targetE0EEEvT1_,"axG",@progbits,_ZN7rocprim17ROCPRIM_400000_NS6detail17trampoline_kernelINS0_14default_configENS1_27scan_by_key_config_selectorIxxEEZZNS1_16scan_by_key_implILNS1_25lookback_scan_determinismE0ELb1ES3_N6thrust23THRUST_200600_302600_NS6detail15normal_iteratorINS9_10device_ptrIxEEEESE_SE_xNS9_4plusIxEE19head_flag_predicatexEE10hipError_tPvRmT2_T3_T4_T5_mT6_T7_P12ihipStream_tbENKUlT_T0_E_clISt17integral_constantIbLb0EESY_EEDaST_SU_EUlST_E_NS1_11comp_targetILNS1_3genE8ELNS1_11target_archE1030ELNS1_3gpuE2ELNS1_3repE0EEENS1_30default_config_static_selectorELNS0_4arch9wavefront6targetE0EEEvT1_,comdat
.Lfunc_end721:
	.size	_ZN7rocprim17ROCPRIM_400000_NS6detail17trampoline_kernelINS0_14default_configENS1_27scan_by_key_config_selectorIxxEEZZNS1_16scan_by_key_implILNS1_25lookback_scan_determinismE0ELb1ES3_N6thrust23THRUST_200600_302600_NS6detail15normal_iteratorINS9_10device_ptrIxEEEESE_SE_xNS9_4plusIxEE19head_flag_predicatexEE10hipError_tPvRmT2_T3_T4_T5_mT6_T7_P12ihipStream_tbENKUlT_T0_E_clISt17integral_constantIbLb0EESY_EEDaST_SU_EUlST_E_NS1_11comp_targetILNS1_3genE8ELNS1_11target_archE1030ELNS1_3gpuE2ELNS1_3repE0EEENS1_30default_config_static_selectorELNS0_4arch9wavefront6targetE0EEEvT1_, .Lfunc_end721-_ZN7rocprim17ROCPRIM_400000_NS6detail17trampoline_kernelINS0_14default_configENS1_27scan_by_key_config_selectorIxxEEZZNS1_16scan_by_key_implILNS1_25lookback_scan_determinismE0ELb1ES3_N6thrust23THRUST_200600_302600_NS6detail15normal_iteratorINS9_10device_ptrIxEEEESE_SE_xNS9_4plusIxEE19head_flag_predicatexEE10hipError_tPvRmT2_T3_T4_T5_mT6_T7_P12ihipStream_tbENKUlT_T0_E_clISt17integral_constantIbLb0EESY_EEDaST_SU_EUlST_E_NS1_11comp_targetILNS1_3genE8ELNS1_11target_archE1030ELNS1_3gpuE2ELNS1_3repE0EEENS1_30default_config_static_selectorELNS0_4arch9wavefront6targetE0EEEvT1_
                                        ; -- End function
	.set _ZN7rocprim17ROCPRIM_400000_NS6detail17trampoline_kernelINS0_14default_configENS1_27scan_by_key_config_selectorIxxEEZZNS1_16scan_by_key_implILNS1_25lookback_scan_determinismE0ELb1ES3_N6thrust23THRUST_200600_302600_NS6detail15normal_iteratorINS9_10device_ptrIxEEEESE_SE_xNS9_4plusIxEE19head_flag_predicatexEE10hipError_tPvRmT2_T3_T4_T5_mT6_T7_P12ihipStream_tbENKUlT_T0_E_clISt17integral_constantIbLb0EESY_EEDaST_SU_EUlST_E_NS1_11comp_targetILNS1_3genE8ELNS1_11target_archE1030ELNS1_3gpuE2ELNS1_3repE0EEENS1_30default_config_static_selectorELNS0_4arch9wavefront6targetE0EEEvT1_.num_vgpr, 0
	.set _ZN7rocprim17ROCPRIM_400000_NS6detail17trampoline_kernelINS0_14default_configENS1_27scan_by_key_config_selectorIxxEEZZNS1_16scan_by_key_implILNS1_25lookback_scan_determinismE0ELb1ES3_N6thrust23THRUST_200600_302600_NS6detail15normal_iteratorINS9_10device_ptrIxEEEESE_SE_xNS9_4plusIxEE19head_flag_predicatexEE10hipError_tPvRmT2_T3_T4_T5_mT6_T7_P12ihipStream_tbENKUlT_T0_E_clISt17integral_constantIbLb0EESY_EEDaST_SU_EUlST_E_NS1_11comp_targetILNS1_3genE8ELNS1_11target_archE1030ELNS1_3gpuE2ELNS1_3repE0EEENS1_30default_config_static_selectorELNS0_4arch9wavefront6targetE0EEEvT1_.num_agpr, 0
	.set _ZN7rocprim17ROCPRIM_400000_NS6detail17trampoline_kernelINS0_14default_configENS1_27scan_by_key_config_selectorIxxEEZZNS1_16scan_by_key_implILNS1_25lookback_scan_determinismE0ELb1ES3_N6thrust23THRUST_200600_302600_NS6detail15normal_iteratorINS9_10device_ptrIxEEEESE_SE_xNS9_4plusIxEE19head_flag_predicatexEE10hipError_tPvRmT2_T3_T4_T5_mT6_T7_P12ihipStream_tbENKUlT_T0_E_clISt17integral_constantIbLb0EESY_EEDaST_SU_EUlST_E_NS1_11comp_targetILNS1_3genE8ELNS1_11target_archE1030ELNS1_3gpuE2ELNS1_3repE0EEENS1_30default_config_static_selectorELNS0_4arch9wavefront6targetE0EEEvT1_.numbered_sgpr, 0
	.set _ZN7rocprim17ROCPRIM_400000_NS6detail17trampoline_kernelINS0_14default_configENS1_27scan_by_key_config_selectorIxxEEZZNS1_16scan_by_key_implILNS1_25lookback_scan_determinismE0ELb1ES3_N6thrust23THRUST_200600_302600_NS6detail15normal_iteratorINS9_10device_ptrIxEEEESE_SE_xNS9_4plusIxEE19head_flag_predicatexEE10hipError_tPvRmT2_T3_T4_T5_mT6_T7_P12ihipStream_tbENKUlT_T0_E_clISt17integral_constantIbLb0EESY_EEDaST_SU_EUlST_E_NS1_11comp_targetILNS1_3genE8ELNS1_11target_archE1030ELNS1_3gpuE2ELNS1_3repE0EEENS1_30default_config_static_selectorELNS0_4arch9wavefront6targetE0EEEvT1_.num_named_barrier, 0
	.set _ZN7rocprim17ROCPRIM_400000_NS6detail17trampoline_kernelINS0_14default_configENS1_27scan_by_key_config_selectorIxxEEZZNS1_16scan_by_key_implILNS1_25lookback_scan_determinismE0ELb1ES3_N6thrust23THRUST_200600_302600_NS6detail15normal_iteratorINS9_10device_ptrIxEEEESE_SE_xNS9_4plusIxEE19head_flag_predicatexEE10hipError_tPvRmT2_T3_T4_T5_mT6_T7_P12ihipStream_tbENKUlT_T0_E_clISt17integral_constantIbLb0EESY_EEDaST_SU_EUlST_E_NS1_11comp_targetILNS1_3genE8ELNS1_11target_archE1030ELNS1_3gpuE2ELNS1_3repE0EEENS1_30default_config_static_selectorELNS0_4arch9wavefront6targetE0EEEvT1_.private_seg_size, 0
	.set _ZN7rocprim17ROCPRIM_400000_NS6detail17trampoline_kernelINS0_14default_configENS1_27scan_by_key_config_selectorIxxEEZZNS1_16scan_by_key_implILNS1_25lookback_scan_determinismE0ELb1ES3_N6thrust23THRUST_200600_302600_NS6detail15normal_iteratorINS9_10device_ptrIxEEEESE_SE_xNS9_4plusIxEE19head_flag_predicatexEE10hipError_tPvRmT2_T3_T4_T5_mT6_T7_P12ihipStream_tbENKUlT_T0_E_clISt17integral_constantIbLb0EESY_EEDaST_SU_EUlST_E_NS1_11comp_targetILNS1_3genE8ELNS1_11target_archE1030ELNS1_3gpuE2ELNS1_3repE0EEENS1_30default_config_static_selectorELNS0_4arch9wavefront6targetE0EEEvT1_.uses_vcc, 0
	.set _ZN7rocprim17ROCPRIM_400000_NS6detail17trampoline_kernelINS0_14default_configENS1_27scan_by_key_config_selectorIxxEEZZNS1_16scan_by_key_implILNS1_25lookback_scan_determinismE0ELb1ES3_N6thrust23THRUST_200600_302600_NS6detail15normal_iteratorINS9_10device_ptrIxEEEESE_SE_xNS9_4plusIxEE19head_flag_predicatexEE10hipError_tPvRmT2_T3_T4_T5_mT6_T7_P12ihipStream_tbENKUlT_T0_E_clISt17integral_constantIbLb0EESY_EEDaST_SU_EUlST_E_NS1_11comp_targetILNS1_3genE8ELNS1_11target_archE1030ELNS1_3gpuE2ELNS1_3repE0EEENS1_30default_config_static_selectorELNS0_4arch9wavefront6targetE0EEEvT1_.uses_flat_scratch, 0
	.set _ZN7rocprim17ROCPRIM_400000_NS6detail17trampoline_kernelINS0_14default_configENS1_27scan_by_key_config_selectorIxxEEZZNS1_16scan_by_key_implILNS1_25lookback_scan_determinismE0ELb1ES3_N6thrust23THRUST_200600_302600_NS6detail15normal_iteratorINS9_10device_ptrIxEEEESE_SE_xNS9_4plusIxEE19head_flag_predicatexEE10hipError_tPvRmT2_T3_T4_T5_mT6_T7_P12ihipStream_tbENKUlT_T0_E_clISt17integral_constantIbLb0EESY_EEDaST_SU_EUlST_E_NS1_11comp_targetILNS1_3genE8ELNS1_11target_archE1030ELNS1_3gpuE2ELNS1_3repE0EEENS1_30default_config_static_selectorELNS0_4arch9wavefront6targetE0EEEvT1_.has_dyn_sized_stack, 0
	.set _ZN7rocprim17ROCPRIM_400000_NS6detail17trampoline_kernelINS0_14default_configENS1_27scan_by_key_config_selectorIxxEEZZNS1_16scan_by_key_implILNS1_25lookback_scan_determinismE0ELb1ES3_N6thrust23THRUST_200600_302600_NS6detail15normal_iteratorINS9_10device_ptrIxEEEESE_SE_xNS9_4plusIxEE19head_flag_predicatexEE10hipError_tPvRmT2_T3_T4_T5_mT6_T7_P12ihipStream_tbENKUlT_T0_E_clISt17integral_constantIbLb0EESY_EEDaST_SU_EUlST_E_NS1_11comp_targetILNS1_3genE8ELNS1_11target_archE1030ELNS1_3gpuE2ELNS1_3repE0EEENS1_30default_config_static_selectorELNS0_4arch9wavefront6targetE0EEEvT1_.has_recursion, 0
	.set _ZN7rocprim17ROCPRIM_400000_NS6detail17trampoline_kernelINS0_14default_configENS1_27scan_by_key_config_selectorIxxEEZZNS1_16scan_by_key_implILNS1_25lookback_scan_determinismE0ELb1ES3_N6thrust23THRUST_200600_302600_NS6detail15normal_iteratorINS9_10device_ptrIxEEEESE_SE_xNS9_4plusIxEE19head_flag_predicatexEE10hipError_tPvRmT2_T3_T4_T5_mT6_T7_P12ihipStream_tbENKUlT_T0_E_clISt17integral_constantIbLb0EESY_EEDaST_SU_EUlST_E_NS1_11comp_targetILNS1_3genE8ELNS1_11target_archE1030ELNS1_3gpuE2ELNS1_3repE0EEENS1_30default_config_static_selectorELNS0_4arch9wavefront6targetE0EEEvT1_.has_indirect_call, 0
	.section	.AMDGPU.csdata,"",@progbits
; Kernel info:
; codeLenInByte = 0
; TotalNumSgprs: 0
; NumVgprs: 0
; ScratchSize: 0
; MemoryBound: 0
; FloatMode: 240
; IeeeMode: 1
; LDSByteSize: 0 bytes/workgroup (compile time only)
; SGPRBlocks: 0
; VGPRBlocks: 0
; NumSGPRsForWavesPerEU: 1
; NumVGPRsForWavesPerEU: 1
; NamedBarCnt: 0
; Occupancy: 16
; WaveLimiterHint : 0
; COMPUTE_PGM_RSRC2:SCRATCH_EN: 0
; COMPUTE_PGM_RSRC2:USER_SGPR: 2
; COMPUTE_PGM_RSRC2:TRAP_HANDLER: 0
; COMPUTE_PGM_RSRC2:TGID_X_EN: 1
; COMPUTE_PGM_RSRC2:TGID_Y_EN: 0
; COMPUTE_PGM_RSRC2:TGID_Z_EN: 0
; COMPUTE_PGM_RSRC2:TIDIG_COMP_CNT: 0
	.section	.text._ZN7rocprim17ROCPRIM_400000_NS6detail17trampoline_kernelINS0_14default_configENS1_27scan_by_key_config_selectorIxxEEZZNS1_16scan_by_key_implILNS1_25lookback_scan_determinismE0ELb1ES3_N6thrust23THRUST_200600_302600_NS6detail15normal_iteratorINS9_10device_ptrIxEEEESE_SE_xNS9_4plusIxEE19head_flag_predicatexEE10hipError_tPvRmT2_T3_T4_T5_mT6_T7_P12ihipStream_tbENKUlT_T0_E_clISt17integral_constantIbLb1EESY_EEDaST_SU_EUlST_E_NS1_11comp_targetILNS1_3genE0ELNS1_11target_archE4294967295ELNS1_3gpuE0ELNS1_3repE0EEENS1_30default_config_static_selectorELNS0_4arch9wavefront6targetE0EEEvT1_,"axG",@progbits,_ZN7rocprim17ROCPRIM_400000_NS6detail17trampoline_kernelINS0_14default_configENS1_27scan_by_key_config_selectorIxxEEZZNS1_16scan_by_key_implILNS1_25lookback_scan_determinismE0ELb1ES3_N6thrust23THRUST_200600_302600_NS6detail15normal_iteratorINS9_10device_ptrIxEEEESE_SE_xNS9_4plusIxEE19head_flag_predicatexEE10hipError_tPvRmT2_T3_T4_T5_mT6_T7_P12ihipStream_tbENKUlT_T0_E_clISt17integral_constantIbLb1EESY_EEDaST_SU_EUlST_E_NS1_11comp_targetILNS1_3genE0ELNS1_11target_archE4294967295ELNS1_3gpuE0ELNS1_3repE0EEENS1_30default_config_static_selectorELNS0_4arch9wavefront6targetE0EEEvT1_,comdat
	.protected	_ZN7rocprim17ROCPRIM_400000_NS6detail17trampoline_kernelINS0_14default_configENS1_27scan_by_key_config_selectorIxxEEZZNS1_16scan_by_key_implILNS1_25lookback_scan_determinismE0ELb1ES3_N6thrust23THRUST_200600_302600_NS6detail15normal_iteratorINS9_10device_ptrIxEEEESE_SE_xNS9_4plusIxEE19head_flag_predicatexEE10hipError_tPvRmT2_T3_T4_T5_mT6_T7_P12ihipStream_tbENKUlT_T0_E_clISt17integral_constantIbLb1EESY_EEDaST_SU_EUlST_E_NS1_11comp_targetILNS1_3genE0ELNS1_11target_archE4294967295ELNS1_3gpuE0ELNS1_3repE0EEENS1_30default_config_static_selectorELNS0_4arch9wavefront6targetE0EEEvT1_ ; -- Begin function _ZN7rocprim17ROCPRIM_400000_NS6detail17trampoline_kernelINS0_14default_configENS1_27scan_by_key_config_selectorIxxEEZZNS1_16scan_by_key_implILNS1_25lookback_scan_determinismE0ELb1ES3_N6thrust23THRUST_200600_302600_NS6detail15normal_iteratorINS9_10device_ptrIxEEEESE_SE_xNS9_4plusIxEE19head_flag_predicatexEE10hipError_tPvRmT2_T3_T4_T5_mT6_T7_P12ihipStream_tbENKUlT_T0_E_clISt17integral_constantIbLb1EESY_EEDaST_SU_EUlST_E_NS1_11comp_targetILNS1_3genE0ELNS1_11target_archE4294967295ELNS1_3gpuE0ELNS1_3repE0EEENS1_30default_config_static_selectorELNS0_4arch9wavefront6targetE0EEEvT1_
	.globl	_ZN7rocprim17ROCPRIM_400000_NS6detail17trampoline_kernelINS0_14default_configENS1_27scan_by_key_config_selectorIxxEEZZNS1_16scan_by_key_implILNS1_25lookback_scan_determinismE0ELb1ES3_N6thrust23THRUST_200600_302600_NS6detail15normal_iteratorINS9_10device_ptrIxEEEESE_SE_xNS9_4plusIxEE19head_flag_predicatexEE10hipError_tPvRmT2_T3_T4_T5_mT6_T7_P12ihipStream_tbENKUlT_T0_E_clISt17integral_constantIbLb1EESY_EEDaST_SU_EUlST_E_NS1_11comp_targetILNS1_3genE0ELNS1_11target_archE4294967295ELNS1_3gpuE0ELNS1_3repE0EEENS1_30default_config_static_selectorELNS0_4arch9wavefront6targetE0EEEvT1_
	.p2align	8
	.type	_ZN7rocprim17ROCPRIM_400000_NS6detail17trampoline_kernelINS0_14default_configENS1_27scan_by_key_config_selectorIxxEEZZNS1_16scan_by_key_implILNS1_25lookback_scan_determinismE0ELb1ES3_N6thrust23THRUST_200600_302600_NS6detail15normal_iteratorINS9_10device_ptrIxEEEESE_SE_xNS9_4plusIxEE19head_flag_predicatexEE10hipError_tPvRmT2_T3_T4_T5_mT6_T7_P12ihipStream_tbENKUlT_T0_E_clISt17integral_constantIbLb1EESY_EEDaST_SU_EUlST_E_NS1_11comp_targetILNS1_3genE0ELNS1_11target_archE4294967295ELNS1_3gpuE0ELNS1_3repE0EEENS1_30default_config_static_selectorELNS0_4arch9wavefront6targetE0EEEvT1_,@function
_ZN7rocprim17ROCPRIM_400000_NS6detail17trampoline_kernelINS0_14default_configENS1_27scan_by_key_config_selectorIxxEEZZNS1_16scan_by_key_implILNS1_25lookback_scan_determinismE0ELb1ES3_N6thrust23THRUST_200600_302600_NS6detail15normal_iteratorINS9_10device_ptrIxEEEESE_SE_xNS9_4plusIxEE19head_flag_predicatexEE10hipError_tPvRmT2_T3_T4_T5_mT6_T7_P12ihipStream_tbENKUlT_T0_E_clISt17integral_constantIbLb1EESY_EEDaST_SU_EUlST_E_NS1_11comp_targetILNS1_3genE0ELNS1_11target_archE4294967295ELNS1_3gpuE0ELNS1_3repE0EEENS1_30default_config_static_selectorELNS0_4arch9wavefront6targetE0EEEvT1_: ; @_ZN7rocprim17ROCPRIM_400000_NS6detail17trampoline_kernelINS0_14default_configENS1_27scan_by_key_config_selectorIxxEEZZNS1_16scan_by_key_implILNS1_25lookback_scan_determinismE0ELb1ES3_N6thrust23THRUST_200600_302600_NS6detail15normal_iteratorINS9_10device_ptrIxEEEESE_SE_xNS9_4plusIxEE19head_flag_predicatexEE10hipError_tPvRmT2_T3_T4_T5_mT6_T7_P12ihipStream_tbENKUlT_T0_E_clISt17integral_constantIbLb1EESY_EEDaST_SU_EUlST_E_NS1_11comp_targetILNS1_3genE0ELNS1_11target_archE4294967295ELNS1_3gpuE0ELNS1_3repE0EEENS1_30default_config_static_selectorELNS0_4arch9wavefront6targetE0EEEvT1_
; %bb.0:
	s_endpgm
	.section	.rodata,"a",@progbits
	.p2align	6, 0x0
	.amdhsa_kernel _ZN7rocprim17ROCPRIM_400000_NS6detail17trampoline_kernelINS0_14default_configENS1_27scan_by_key_config_selectorIxxEEZZNS1_16scan_by_key_implILNS1_25lookback_scan_determinismE0ELb1ES3_N6thrust23THRUST_200600_302600_NS6detail15normal_iteratorINS9_10device_ptrIxEEEESE_SE_xNS9_4plusIxEE19head_flag_predicatexEE10hipError_tPvRmT2_T3_T4_T5_mT6_T7_P12ihipStream_tbENKUlT_T0_E_clISt17integral_constantIbLb1EESY_EEDaST_SU_EUlST_E_NS1_11comp_targetILNS1_3genE0ELNS1_11target_archE4294967295ELNS1_3gpuE0ELNS1_3repE0EEENS1_30default_config_static_selectorELNS0_4arch9wavefront6targetE0EEEvT1_
		.amdhsa_group_segment_fixed_size 0
		.amdhsa_private_segment_fixed_size 0
		.amdhsa_kernarg_size 136
		.amdhsa_user_sgpr_count 2
		.amdhsa_user_sgpr_dispatch_ptr 0
		.amdhsa_user_sgpr_queue_ptr 0
		.amdhsa_user_sgpr_kernarg_segment_ptr 1
		.amdhsa_user_sgpr_dispatch_id 0
		.amdhsa_user_sgpr_kernarg_preload_length 0
		.amdhsa_user_sgpr_kernarg_preload_offset 0
		.amdhsa_user_sgpr_private_segment_size 0
		.amdhsa_wavefront_size32 1
		.amdhsa_uses_dynamic_stack 0
		.amdhsa_enable_private_segment 0
		.amdhsa_system_sgpr_workgroup_id_x 1
		.amdhsa_system_sgpr_workgroup_id_y 0
		.amdhsa_system_sgpr_workgroup_id_z 0
		.amdhsa_system_sgpr_workgroup_info 0
		.amdhsa_system_vgpr_workitem_id 0
		.amdhsa_next_free_vgpr 1
		.amdhsa_next_free_sgpr 1
		.amdhsa_named_barrier_count 0
		.amdhsa_reserve_vcc 0
		.amdhsa_float_round_mode_32 0
		.amdhsa_float_round_mode_16_64 0
		.amdhsa_float_denorm_mode_32 3
		.amdhsa_float_denorm_mode_16_64 3
		.amdhsa_fp16_overflow 0
		.amdhsa_memory_ordered 1
		.amdhsa_forward_progress 1
		.amdhsa_inst_pref_size 1
		.amdhsa_round_robin_scheduling 0
		.amdhsa_exception_fp_ieee_invalid_op 0
		.amdhsa_exception_fp_denorm_src 0
		.amdhsa_exception_fp_ieee_div_zero 0
		.amdhsa_exception_fp_ieee_overflow 0
		.amdhsa_exception_fp_ieee_underflow 0
		.amdhsa_exception_fp_ieee_inexact 0
		.amdhsa_exception_int_div_zero 0
	.end_amdhsa_kernel
	.section	.text._ZN7rocprim17ROCPRIM_400000_NS6detail17trampoline_kernelINS0_14default_configENS1_27scan_by_key_config_selectorIxxEEZZNS1_16scan_by_key_implILNS1_25lookback_scan_determinismE0ELb1ES3_N6thrust23THRUST_200600_302600_NS6detail15normal_iteratorINS9_10device_ptrIxEEEESE_SE_xNS9_4plusIxEE19head_flag_predicatexEE10hipError_tPvRmT2_T3_T4_T5_mT6_T7_P12ihipStream_tbENKUlT_T0_E_clISt17integral_constantIbLb1EESY_EEDaST_SU_EUlST_E_NS1_11comp_targetILNS1_3genE0ELNS1_11target_archE4294967295ELNS1_3gpuE0ELNS1_3repE0EEENS1_30default_config_static_selectorELNS0_4arch9wavefront6targetE0EEEvT1_,"axG",@progbits,_ZN7rocprim17ROCPRIM_400000_NS6detail17trampoline_kernelINS0_14default_configENS1_27scan_by_key_config_selectorIxxEEZZNS1_16scan_by_key_implILNS1_25lookback_scan_determinismE0ELb1ES3_N6thrust23THRUST_200600_302600_NS6detail15normal_iteratorINS9_10device_ptrIxEEEESE_SE_xNS9_4plusIxEE19head_flag_predicatexEE10hipError_tPvRmT2_T3_T4_T5_mT6_T7_P12ihipStream_tbENKUlT_T0_E_clISt17integral_constantIbLb1EESY_EEDaST_SU_EUlST_E_NS1_11comp_targetILNS1_3genE0ELNS1_11target_archE4294967295ELNS1_3gpuE0ELNS1_3repE0EEENS1_30default_config_static_selectorELNS0_4arch9wavefront6targetE0EEEvT1_,comdat
.Lfunc_end722:
	.size	_ZN7rocprim17ROCPRIM_400000_NS6detail17trampoline_kernelINS0_14default_configENS1_27scan_by_key_config_selectorIxxEEZZNS1_16scan_by_key_implILNS1_25lookback_scan_determinismE0ELb1ES3_N6thrust23THRUST_200600_302600_NS6detail15normal_iteratorINS9_10device_ptrIxEEEESE_SE_xNS9_4plusIxEE19head_flag_predicatexEE10hipError_tPvRmT2_T3_T4_T5_mT6_T7_P12ihipStream_tbENKUlT_T0_E_clISt17integral_constantIbLb1EESY_EEDaST_SU_EUlST_E_NS1_11comp_targetILNS1_3genE0ELNS1_11target_archE4294967295ELNS1_3gpuE0ELNS1_3repE0EEENS1_30default_config_static_selectorELNS0_4arch9wavefront6targetE0EEEvT1_, .Lfunc_end722-_ZN7rocprim17ROCPRIM_400000_NS6detail17trampoline_kernelINS0_14default_configENS1_27scan_by_key_config_selectorIxxEEZZNS1_16scan_by_key_implILNS1_25lookback_scan_determinismE0ELb1ES3_N6thrust23THRUST_200600_302600_NS6detail15normal_iteratorINS9_10device_ptrIxEEEESE_SE_xNS9_4plusIxEE19head_flag_predicatexEE10hipError_tPvRmT2_T3_T4_T5_mT6_T7_P12ihipStream_tbENKUlT_T0_E_clISt17integral_constantIbLb1EESY_EEDaST_SU_EUlST_E_NS1_11comp_targetILNS1_3genE0ELNS1_11target_archE4294967295ELNS1_3gpuE0ELNS1_3repE0EEENS1_30default_config_static_selectorELNS0_4arch9wavefront6targetE0EEEvT1_
                                        ; -- End function
	.set _ZN7rocprim17ROCPRIM_400000_NS6detail17trampoline_kernelINS0_14default_configENS1_27scan_by_key_config_selectorIxxEEZZNS1_16scan_by_key_implILNS1_25lookback_scan_determinismE0ELb1ES3_N6thrust23THRUST_200600_302600_NS6detail15normal_iteratorINS9_10device_ptrIxEEEESE_SE_xNS9_4plusIxEE19head_flag_predicatexEE10hipError_tPvRmT2_T3_T4_T5_mT6_T7_P12ihipStream_tbENKUlT_T0_E_clISt17integral_constantIbLb1EESY_EEDaST_SU_EUlST_E_NS1_11comp_targetILNS1_3genE0ELNS1_11target_archE4294967295ELNS1_3gpuE0ELNS1_3repE0EEENS1_30default_config_static_selectorELNS0_4arch9wavefront6targetE0EEEvT1_.num_vgpr, 0
	.set _ZN7rocprim17ROCPRIM_400000_NS6detail17trampoline_kernelINS0_14default_configENS1_27scan_by_key_config_selectorIxxEEZZNS1_16scan_by_key_implILNS1_25lookback_scan_determinismE0ELb1ES3_N6thrust23THRUST_200600_302600_NS6detail15normal_iteratorINS9_10device_ptrIxEEEESE_SE_xNS9_4plusIxEE19head_flag_predicatexEE10hipError_tPvRmT2_T3_T4_T5_mT6_T7_P12ihipStream_tbENKUlT_T0_E_clISt17integral_constantIbLb1EESY_EEDaST_SU_EUlST_E_NS1_11comp_targetILNS1_3genE0ELNS1_11target_archE4294967295ELNS1_3gpuE0ELNS1_3repE0EEENS1_30default_config_static_selectorELNS0_4arch9wavefront6targetE0EEEvT1_.num_agpr, 0
	.set _ZN7rocprim17ROCPRIM_400000_NS6detail17trampoline_kernelINS0_14default_configENS1_27scan_by_key_config_selectorIxxEEZZNS1_16scan_by_key_implILNS1_25lookback_scan_determinismE0ELb1ES3_N6thrust23THRUST_200600_302600_NS6detail15normal_iteratorINS9_10device_ptrIxEEEESE_SE_xNS9_4plusIxEE19head_flag_predicatexEE10hipError_tPvRmT2_T3_T4_T5_mT6_T7_P12ihipStream_tbENKUlT_T0_E_clISt17integral_constantIbLb1EESY_EEDaST_SU_EUlST_E_NS1_11comp_targetILNS1_3genE0ELNS1_11target_archE4294967295ELNS1_3gpuE0ELNS1_3repE0EEENS1_30default_config_static_selectorELNS0_4arch9wavefront6targetE0EEEvT1_.numbered_sgpr, 0
	.set _ZN7rocprim17ROCPRIM_400000_NS6detail17trampoline_kernelINS0_14default_configENS1_27scan_by_key_config_selectorIxxEEZZNS1_16scan_by_key_implILNS1_25lookback_scan_determinismE0ELb1ES3_N6thrust23THRUST_200600_302600_NS6detail15normal_iteratorINS9_10device_ptrIxEEEESE_SE_xNS9_4plusIxEE19head_flag_predicatexEE10hipError_tPvRmT2_T3_T4_T5_mT6_T7_P12ihipStream_tbENKUlT_T0_E_clISt17integral_constantIbLb1EESY_EEDaST_SU_EUlST_E_NS1_11comp_targetILNS1_3genE0ELNS1_11target_archE4294967295ELNS1_3gpuE0ELNS1_3repE0EEENS1_30default_config_static_selectorELNS0_4arch9wavefront6targetE0EEEvT1_.num_named_barrier, 0
	.set _ZN7rocprim17ROCPRIM_400000_NS6detail17trampoline_kernelINS0_14default_configENS1_27scan_by_key_config_selectorIxxEEZZNS1_16scan_by_key_implILNS1_25lookback_scan_determinismE0ELb1ES3_N6thrust23THRUST_200600_302600_NS6detail15normal_iteratorINS9_10device_ptrIxEEEESE_SE_xNS9_4plusIxEE19head_flag_predicatexEE10hipError_tPvRmT2_T3_T4_T5_mT6_T7_P12ihipStream_tbENKUlT_T0_E_clISt17integral_constantIbLb1EESY_EEDaST_SU_EUlST_E_NS1_11comp_targetILNS1_3genE0ELNS1_11target_archE4294967295ELNS1_3gpuE0ELNS1_3repE0EEENS1_30default_config_static_selectorELNS0_4arch9wavefront6targetE0EEEvT1_.private_seg_size, 0
	.set _ZN7rocprim17ROCPRIM_400000_NS6detail17trampoline_kernelINS0_14default_configENS1_27scan_by_key_config_selectorIxxEEZZNS1_16scan_by_key_implILNS1_25lookback_scan_determinismE0ELb1ES3_N6thrust23THRUST_200600_302600_NS6detail15normal_iteratorINS9_10device_ptrIxEEEESE_SE_xNS9_4plusIxEE19head_flag_predicatexEE10hipError_tPvRmT2_T3_T4_T5_mT6_T7_P12ihipStream_tbENKUlT_T0_E_clISt17integral_constantIbLb1EESY_EEDaST_SU_EUlST_E_NS1_11comp_targetILNS1_3genE0ELNS1_11target_archE4294967295ELNS1_3gpuE0ELNS1_3repE0EEENS1_30default_config_static_selectorELNS0_4arch9wavefront6targetE0EEEvT1_.uses_vcc, 0
	.set _ZN7rocprim17ROCPRIM_400000_NS6detail17trampoline_kernelINS0_14default_configENS1_27scan_by_key_config_selectorIxxEEZZNS1_16scan_by_key_implILNS1_25lookback_scan_determinismE0ELb1ES3_N6thrust23THRUST_200600_302600_NS6detail15normal_iteratorINS9_10device_ptrIxEEEESE_SE_xNS9_4plusIxEE19head_flag_predicatexEE10hipError_tPvRmT2_T3_T4_T5_mT6_T7_P12ihipStream_tbENKUlT_T0_E_clISt17integral_constantIbLb1EESY_EEDaST_SU_EUlST_E_NS1_11comp_targetILNS1_3genE0ELNS1_11target_archE4294967295ELNS1_3gpuE0ELNS1_3repE0EEENS1_30default_config_static_selectorELNS0_4arch9wavefront6targetE0EEEvT1_.uses_flat_scratch, 0
	.set _ZN7rocprim17ROCPRIM_400000_NS6detail17trampoline_kernelINS0_14default_configENS1_27scan_by_key_config_selectorIxxEEZZNS1_16scan_by_key_implILNS1_25lookback_scan_determinismE0ELb1ES3_N6thrust23THRUST_200600_302600_NS6detail15normal_iteratorINS9_10device_ptrIxEEEESE_SE_xNS9_4plusIxEE19head_flag_predicatexEE10hipError_tPvRmT2_T3_T4_T5_mT6_T7_P12ihipStream_tbENKUlT_T0_E_clISt17integral_constantIbLb1EESY_EEDaST_SU_EUlST_E_NS1_11comp_targetILNS1_3genE0ELNS1_11target_archE4294967295ELNS1_3gpuE0ELNS1_3repE0EEENS1_30default_config_static_selectorELNS0_4arch9wavefront6targetE0EEEvT1_.has_dyn_sized_stack, 0
	.set _ZN7rocprim17ROCPRIM_400000_NS6detail17trampoline_kernelINS0_14default_configENS1_27scan_by_key_config_selectorIxxEEZZNS1_16scan_by_key_implILNS1_25lookback_scan_determinismE0ELb1ES3_N6thrust23THRUST_200600_302600_NS6detail15normal_iteratorINS9_10device_ptrIxEEEESE_SE_xNS9_4plusIxEE19head_flag_predicatexEE10hipError_tPvRmT2_T3_T4_T5_mT6_T7_P12ihipStream_tbENKUlT_T0_E_clISt17integral_constantIbLb1EESY_EEDaST_SU_EUlST_E_NS1_11comp_targetILNS1_3genE0ELNS1_11target_archE4294967295ELNS1_3gpuE0ELNS1_3repE0EEENS1_30default_config_static_selectorELNS0_4arch9wavefront6targetE0EEEvT1_.has_recursion, 0
	.set _ZN7rocprim17ROCPRIM_400000_NS6detail17trampoline_kernelINS0_14default_configENS1_27scan_by_key_config_selectorIxxEEZZNS1_16scan_by_key_implILNS1_25lookback_scan_determinismE0ELb1ES3_N6thrust23THRUST_200600_302600_NS6detail15normal_iteratorINS9_10device_ptrIxEEEESE_SE_xNS9_4plusIxEE19head_flag_predicatexEE10hipError_tPvRmT2_T3_T4_T5_mT6_T7_P12ihipStream_tbENKUlT_T0_E_clISt17integral_constantIbLb1EESY_EEDaST_SU_EUlST_E_NS1_11comp_targetILNS1_3genE0ELNS1_11target_archE4294967295ELNS1_3gpuE0ELNS1_3repE0EEENS1_30default_config_static_selectorELNS0_4arch9wavefront6targetE0EEEvT1_.has_indirect_call, 0
	.section	.AMDGPU.csdata,"",@progbits
; Kernel info:
; codeLenInByte = 4
; TotalNumSgprs: 0
; NumVgprs: 0
; ScratchSize: 0
; MemoryBound: 0
; FloatMode: 240
; IeeeMode: 1
; LDSByteSize: 0 bytes/workgroup (compile time only)
; SGPRBlocks: 0
; VGPRBlocks: 0
; NumSGPRsForWavesPerEU: 1
; NumVGPRsForWavesPerEU: 1
; NamedBarCnt: 0
; Occupancy: 16
; WaveLimiterHint : 0
; COMPUTE_PGM_RSRC2:SCRATCH_EN: 0
; COMPUTE_PGM_RSRC2:USER_SGPR: 2
; COMPUTE_PGM_RSRC2:TRAP_HANDLER: 0
; COMPUTE_PGM_RSRC2:TGID_X_EN: 1
; COMPUTE_PGM_RSRC2:TGID_Y_EN: 0
; COMPUTE_PGM_RSRC2:TGID_Z_EN: 0
; COMPUTE_PGM_RSRC2:TIDIG_COMP_CNT: 0
	.section	.text._ZN7rocprim17ROCPRIM_400000_NS6detail17trampoline_kernelINS0_14default_configENS1_27scan_by_key_config_selectorIxxEEZZNS1_16scan_by_key_implILNS1_25lookback_scan_determinismE0ELb1ES3_N6thrust23THRUST_200600_302600_NS6detail15normal_iteratorINS9_10device_ptrIxEEEESE_SE_xNS9_4plusIxEE19head_flag_predicatexEE10hipError_tPvRmT2_T3_T4_T5_mT6_T7_P12ihipStream_tbENKUlT_T0_E_clISt17integral_constantIbLb1EESY_EEDaST_SU_EUlST_E_NS1_11comp_targetILNS1_3genE10ELNS1_11target_archE1201ELNS1_3gpuE5ELNS1_3repE0EEENS1_30default_config_static_selectorELNS0_4arch9wavefront6targetE0EEEvT1_,"axG",@progbits,_ZN7rocprim17ROCPRIM_400000_NS6detail17trampoline_kernelINS0_14default_configENS1_27scan_by_key_config_selectorIxxEEZZNS1_16scan_by_key_implILNS1_25lookback_scan_determinismE0ELb1ES3_N6thrust23THRUST_200600_302600_NS6detail15normal_iteratorINS9_10device_ptrIxEEEESE_SE_xNS9_4plusIxEE19head_flag_predicatexEE10hipError_tPvRmT2_T3_T4_T5_mT6_T7_P12ihipStream_tbENKUlT_T0_E_clISt17integral_constantIbLb1EESY_EEDaST_SU_EUlST_E_NS1_11comp_targetILNS1_3genE10ELNS1_11target_archE1201ELNS1_3gpuE5ELNS1_3repE0EEENS1_30default_config_static_selectorELNS0_4arch9wavefront6targetE0EEEvT1_,comdat
	.protected	_ZN7rocprim17ROCPRIM_400000_NS6detail17trampoline_kernelINS0_14default_configENS1_27scan_by_key_config_selectorIxxEEZZNS1_16scan_by_key_implILNS1_25lookback_scan_determinismE0ELb1ES3_N6thrust23THRUST_200600_302600_NS6detail15normal_iteratorINS9_10device_ptrIxEEEESE_SE_xNS9_4plusIxEE19head_flag_predicatexEE10hipError_tPvRmT2_T3_T4_T5_mT6_T7_P12ihipStream_tbENKUlT_T0_E_clISt17integral_constantIbLb1EESY_EEDaST_SU_EUlST_E_NS1_11comp_targetILNS1_3genE10ELNS1_11target_archE1201ELNS1_3gpuE5ELNS1_3repE0EEENS1_30default_config_static_selectorELNS0_4arch9wavefront6targetE0EEEvT1_ ; -- Begin function _ZN7rocprim17ROCPRIM_400000_NS6detail17trampoline_kernelINS0_14default_configENS1_27scan_by_key_config_selectorIxxEEZZNS1_16scan_by_key_implILNS1_25lookback_scan_determinismE0ELb1ES3_N6thrust23THRUST_200600_302600_NS6detail15normal_iteratorINS9_10device_ptrIxEEEESE_SE_xNS9_4plusIxEE19head_flag_predicatexEE10hipError_tPvRmT2_T3_T4_T5_mT6_T7_P12ihipStream_tbENKUlT_T0_E_clISt17integral_constantIbLb1EESY_EEDaST_SU_EUlST_E_NS1_11comp_targetILNS1_3genE10ELNS1_11target_archE1201ELNS1_3gpuE5ELNS1_3repE0EEENS1_30default_config_static_selectorELNS0_4arch9wavefront6targetE0EEEvT1_
	.globl	_ZN7rocprim17ROCPRIM_400000_NS6detail17trampoline_kernelINS0_14default_configENS1_27scan_by_key_config_selectorIxxEEZZNS1_16scan_by_key_implILNS1_25lookback_scan_determinismE0ELb1ES3_N6thrust23THRUST_200600_302600_NS6detail15normal_iteratorINS9_10device_ptrIxEEEESE_SE_xNS9_4plusIxEE19head_flag_predicatexEE10hipError_tPvRmT2_T3_T4_T5_mT6_T7_P12ihipStream_tbENKUlT_T0_E_clISt17integral_constantIbLb1EESY_EEDaST_SU_EUlST_E_NS1_11comp_targetILNS1_3genE10ELNS1_11target_archE1201ELNS1_3gpuE5ELNS1_3repE0EEENS1_30default_config_static_selectorELNS0_4arch9wavefront6targetE0EEEvT1_
	.p2align	8
	.type	_ZN7rocprim17ROCPRIM_400000_NS6detail17trampoline_kernelINS0_14default_configENS1_27scan_by_key_config_selectorIxxEEZZNS1_16scan_by_key_implILNS1_25lookback_scan_determinismE0ELb1ES3_N6thrust23THRUST_200600_302600_NS6detail15normal_iteratorINS9_10device_ptrIxEEEESE_SE_xNS9_4plusIxEE19head_flag_predicatexEE10hipError_tPvRmT2_T3_T4_T5_mT6_T7_P12ihipStream_tbENKUlT_T0_E_clISt17integral_constantIbLb1EESY_EEDaST_SU_EUlST_E_NS1_11comp_targetILNS1_3genE10ELNS1_11target_archE1201ELNS1_3gpuE5ELNS1_3repE0EEENS1_30default_config_static_selectorELNS0_4arch9wavefront6targetE0EEEvT1_,@function
_ZN7rocprim17ROCPRIM_400000_NS6detail17trampoline_kernelINS0_14default_configENS1_27scan_by_key_config_selectorIxxEEZZNS1_16scan_by_key_implILNS1_25lookback_scan_determinismE0ELb1ES3_N6thrust23THRUST_200600_302600_NS6detail15normal_iteratorINS9_10device_ptrIxEEEESE_SE_xNS9_4plusIxEE19head_flag_predicatexEE10hipError_tPvRmT2_T3_T4_T5_mT6_T7_P12ihipStream_tbENKUlT_T0_E_clISt17integral_constantIbLb1EESY_EEDaST_SU_EUlST_E_NS1_11comp_targetILNS1_3genE10ELNS1_11target_archE1201ELNS1_3gpuE5ELNS1_3repE0EEENS1_30default_config_static_selectorELNS0_4arch9wavefront6targetE0EEEvT1_: ; @_ZN7rocprim17ROCPRIM_400000_NS6detail17trampoline_kernelINS0_14default_configENS1_27scan_by_key_config_selectorIxxEEZZNS1_16scan_by_key_implILNS1_25lookback_scan_determinismE0ELb1ES3_N6thrust23THRUST_200600_302600_NS6detail15normal_iteratorINS9_10device_ptrIxEEEESE_SE_xNS9_4plusIxEE19head_flag_predicatexEE10hipError_tPvRmT2_T3_T4_T5_mT6_T7_P12ihipStream_tbENKUlT_T0_E_clISt17integral_constantIbLb1EESY_EEDaST_SU_EUlST_E_NS1_11comp_targetILNS1_3genE10ELNS1_11target_archE1201ELNS1_3gpuE5ELNS1_3repE0EEENS1_30default_config_static_selectorELNS0_4arch9wavefront6targetE0EEEvT1_
; %bb.0:
	.section	.rodata,"a",@progbits
	.p2align	6, 0x0
	.amdhsa_kernel _ZN7rocprim17ROCPRIM_400000_NS6detail17trampoline_kernelINS0_14default_configENS1_27scan_by_key_config_selectorIxxEEZZNS1_16scan_by_key_implILNS1_25lookback_scan_determinismE0ELb1ES3_N6thrust23THRUST_200600_302600_NS6detail15normal_iteratorINS9_10device_ptrIxEEEESE_SE_xNS9_4plusIxEE19head_flag_predicatexEE10hipError_tPvRmT2_T3_T4_T5_mT6_T7_P12ihipStream_tbENKUlT_T0_E_clISt17integral_constantIbLb1EESY_EEDaST_SU_EUlST_E_NS1_11comp_targetILNS1_3genE10ELNS1_11target_archE1201ELNS1_3gpuE5ELNS1_3repE0EEENS1_30default_config_static_selectorELNS0_4arch9wavefront6targetE0EEEvT1_
		.amdhsa_group_segment_fixed_size 0
		.amdhsa_private_segment_fixed_size 0
		.amdhsa_kernarg_size 136
		.amdhsa_user_sgpr_count 2
		.amdhsa_user_sgpr_dispatch_ptr 0
		.amdhsa_user_sgpr_queue_ptr 0
		.amdhsa_user_sgpr_kernarg_segment_ptr 1
		.amdhsa_user_sgpr_dispatch_id 0
		.amdhsa_user_sgpr_kernarg_preload_length 0
		.amdhsa_user_sgpr_kernarg_preload_offset 0
		.amdhsa_user_sgpr_private_segment_size 0
		.amdhsa_wavefront_size32 1
		.amdhsa_uses_dynamic_stack 0
		.amdhsa_enable_private_segment 0
		.amdhsa_system_sgpr_workgroup_id_x 1
		.amdhsa_system_sgpr_workgroup_id_y 0
		.amdhsa_system_sgpr_workgroup_id_z 0
		.amdhsa_system_sgpr_workgroup_info 0
		.amdhsa_system_vgpr_workitem_id 0
		.amdhsa_next_free_vgpr 1
		.amdhsa_next_free_sgpr 1
		.amdhsa_named_barrier_count 0
		.amdhsa_reserve_vcc 0
		.amdhsa_float_round_mode_32 0
		.amdhsa_float_round_mode_16_64 0
		.amdhsa_float_denorm_mode_32 3
		.amdhsa_float_denorm_mode_16_64 3
		.amdhsa_fp16_overflow 0
		.amdhsa_memory_ordered 1
		.amdhsa_forward_progress 1
		.amdhsa_inst_pref_size 0
		.amdhsa_round_robin_scheduling 0
		.amdhsa_exception_fp_ieee_invalid_op 0
		.amdhsa_exception_fp_denorm_src 0
		.amdhsa_exception_fp_ieee_div_zero 0
		.amdhsa_exception_fp_ieee_overflow 0
		.amdhsa_exception_fp_ieee_underflow 0
		.amdhsa_exception_fp_ieee_inexact 0
		.amdhsa_exception_int_div_zero 0
	.end_amdhsa_kernel
	.section	.text._ZN7rocprim17ROCPRIM_400000_NS6detail17trampoline_kernelINS0_14default_configENS1_27scan_by_key_config_selectorIxxEEZZNS1_16scan_by_key_implILNS1_25lookback_scan_determinismE0ELb1ES3_N6thrust23THRUST_200600_302600_NS6detail15normal_iteratorINS9_10device_ptrIxEEEESE_SE_xNS9_4plusIxEE19head_flag_predicatexEE10hipError_tPvRmT2_T3_T4_T5_mT6_T7_P12ihipStream_tbENKUlT_T0_E_clISt17integral_constantIbLb1EESY_EEDaST_SU_EUlST_E_NS1_11comp_targetILNS1_3genE10ELNS1_11target_archE1201ELNS1_3gpuE5ELNS1_3repE0EEENS1_30default_config_static_selectorELNS0_4arch9wavefront6targetE0EEEvT1_,"axG",@progbits,_ZN7rocprim17ROCPRIM_400000_NS6detail17trampoline_kernelINS0_14default_configENS1_27scan_by_key_config_selectorIxxEEZZNS1_16scan_by_key_implILNS1_25lookback_scan_determinismE0ELb1ES3_N6thrust23THRUST_200600_302600_NS6detail15normal_iteratorINS9_10device_ptrIxEEEESE_SE_xNS9_4plusIxEE19head_flag_predicatexEE10hipError_tPvRmT2_T3_T4_T5_mT6_T7_P12ihipStream_tbENKUlT_T0_E_clISt17integral_constantIbLb1EESY_EEDaST_SU_EUlST_E_NS1_11comp_targetILNS1_3genE10ELNS1_11target_archE1201ELNS1_3gpuE5ELNS1_3repE0EEENS1_30default_config_static_selectorELNS0_4arch9wavefront6targetE0EEEvT1_,comdat
.Lfunc_end723:
	.size	_ZN7rocprim17ROCPRIM_400000_NS6detail17trampoline_kernelINS0_14default_configENS1_27scan_by_key_config_selectorIxxEEZZNS1_16scan_by_key_implILNS1_25lookback_scan_determinismE0ELb1ES3_N6thrust23THRUST_200600_302600_NS6detail15normal_iteratorINS9_10device_ptrIxEEEESE_SE_xNS9_4plusIxEE19head_flag_predicatexEE10hipError_tPvRmT2_T3_T4_T5_mT6_T7_P12ihipStream_tbENKUlT_T0_E_clISt17integral_constantIbLb1EESY_EEDaST_SU_EUlST_E_NS1_11comp_targetILNS1_3genE10ELNS1_11target_archE1201ELNS1_3gpuE5ELNS1_3repE0EEENS1_30default_config_static_selectorELNS0_4arch9wavefront6targetE0EEEvT1_, .Lfunc_end723-_ZN7rocprim17ROCPRIM_400000_NS6detail17trampoline_kernelINS0_14default_configENS1_27scan_by_key_config_selectorIxxEEZZNS1_16scan_by_key_implILNS1_25lookback_scan_determinismE0ELb1ES3_N6thrust23THRUST_200600_302600_NS6detail15normal_iteratorINS9_10device_ptrIxEEEESE_SE_xNS9_4plusIxEE19head_flag_predicatexEE10hipError_tPvRmT2_T3_T4_T5_mT6_T7_P12ihipStream_tbENKUlT_T0_E_clISt17integral_constantIbLb1EESY_EEDaST_SU_EUlST_E_NS1_11comp_targetILNS1_3genE10ELNS1_11target_archE1201ELNS1_3gpuE5ELNS1_3repE0EEENS1_30default_config_static_selectorELNS0_4arch9wavefront6targetE0EEEvT1_
                                        ; -- End function
	.set _ZN7rocprim17ROCPRIM_400000_NS6detail17trampoline_kernelINS0_14default_configENS1_27scan_by_key_config_selectorIxxEEZZNS1_16scan_by_key_implILNS1_25lookback_scan_determinismE0ELb1ES3_N6thrust23THRUST_200600_302600_NS6detail15normal_iteratorINS9_10device_ptrIxEEEESE_SE_xNS9_4plusIxEE19head_flag_predicatexEE10hipError_tPvRmT2_T3_T4_T5_mT6_T7_P12ihipStream_tbENKUlT_T0_E_clISt17integral_constantIbLb1EESY_EEDaST_SU_EUlST_E_NS1_11comp_targetILNS1_3genE10ELNS1_11target_archE1201ELNS1_3gpuE5ELNS1_3repE0EEENS1_30default_config_static_selectorELNS0_4arch9wavefront6targetE0EEEvT1_.num_vgpr, 0
	.set _ZN7rocprim17ROCPRIM_400000_NS6detail17trampoline_kernelINS0_14default_configENS1_27scan_by_key_config_selectorIxxEEZZNS1_16scan_by_key_implILNS1_25lookback_scan_determinismE0ELb1ES3_N6thrust23THRUST_200600_302600_NS6detail15normal_iteratorINS9_10device_ptrIxEEEESE_SE_xNS9_4plusIxEE19head_flag_predicatexEE10hipError_tPvRmT2_T3_T4_T5_mT6_T7_P12ihipStream_tbENKUlT_T0_E_clISt17integral_constantIbLb1EESY_EEDaST_SU_EUlST_E_NS1_11comp_targetILNS1_3genE10ELNS1_11target_archE1201ELNS1_3gpuE5ELNS1_3repE0EEENS1_30default_config_static_selectorELNS0_4arch9wavefront6targetE0EEEvT1_.num_agpr, 0
	.set _ZN7rocprim17ROCPRIM_400000_NS6detail17trampoline_kernelINS0_14default_configENS1_27scan_by_key_config_selectorIxxEEZZNS1_16scan_by_key_implILNS1_25lookback_scan_determinismE0ELb1ES3_N6thrust23THRUST_200600_302600_NS6detail15normal_iteratorINS9_10device_ptrIxEEEESE_SE_xNS9_4plusIxEE19head_flag_predicatexEE10hipError_tPvRmT2_T3_T4_T5_mT6_T7_P12ihipStream_tbENKUlT_T0_E_clISt17integral_constantIbLb1EESY_EEDaST_SU_EUlST_E_NS1_11comp_targetILNS1_3genE10ELNS1_11target_archE1201ELNS1_3gpuE5ELNS1_3repE0EEENS1_30default_config_static_selectorELNS0_4arch9wavefront6targetE0EEEvT1_.numbered_sgpr, 0
	.set _ZN7rocprim17ROCPRIM_400000_NS6detail17trampoline_kernelINS0_14default_configENS1_27scan_by_key_config_selectorIxxEEZZNS1_16scan_by_key_implILNS1_25lookback_scan_determinismE0ELb1ES3_N6thrust23THRUST_200600_302600_NS6detail15normal_iteratorINS9_10device_ptrIxEEEESE_SE_xNS9_4plusIxEE19head_flag_predicatexEE10hipError_tPvRmT2_T3_T4_T5_mT6_T7_P12ihipStream_tbENKUlT_T0_E_clISt17integral_constantIbLb1EESY_EEDaST_SU_EUlST_E_NS1_11comp_targetILNS1_3genE10ELNS1_11target_archE1201ELNS1_3gpuE5ELNS1_3repE0EEENS1_30default_config_static_selectorELNS0_4arch9wavefront6targetE0EEEvT1_.num_named_barrier, 0
	.set _ZN7rocprim17ROCPRIM_400000_NS6detail17trampoline_kernelINS0_14default_configENS1_27scan_by_key_config_selectorIxxEEZZNS1_16scan_by_key_implILNS1_25lookback_scan_determinismE0ELb1ES3_N6thrust23THRUST_200600_302600_NS6detail15normal_iteratorINS9_10device_ptrIxEEEESE_SE_xNS9_4plusIxEE19head_flag_predicatexEE10hipError_tPvRmT2_T3_T4_T5_mT6_T7_P12ihipStream_tbENKUlT_T0_E_clISt17integral_constantIbLb1EESY_EEDaST_SU_EUlST_E_NS1_11comp_targetILNS1_3genE10ELNS1_11target_archE1201ELNS1_3gpuE5ELNS1_3repE0EEENS1_30default_config_static_selectorELNS0_4arch9wavefront6targetE0EEEvT1_.private_seg_size, 0
	.set _ZN7rocprim17ROCPRIM_400000_NS6detail17trampoline_kernelINS0_14default_configENS1_27scan_by_key_config_selectorIxxEEZZNS1_16scan_by_key_implILNS1_25lookback_scan_determinismE0ELb1ES3_N6thrust23THRUST_200600_302600_NS6detail15normal_iteratorINS9_10device_ptrIxEEEESE_SE_xNS9_4plusIxEE19head_flag_predicatexEE10hipError_tPvRmT2_T3_T4_T5_mT6_T7_P12ihipStream_tbENKUlT_T0_E_clISt17integral_constantIbLb1EESY_EEDaST_SU_EUlST_E_NS1_11comp_targetILNS1_3genE10ELNS1_11target_archE1201ELNS1_3gpuE5ELNS1_3repE0EEENS1_30default_config_static_selectorELNS0_4arch9wavefront6targetE0EEEvT1_.uses_vcc, 0
	.set _ZN7rocprim17ROCPRIM_400000_NS6detail17trampoline_kernelINS0_14default_configENS1_27scan_by_key_config_selectorIxxEEZZNS1_16scan_by_key_implILNS1_25lookback_scan_determinismE0ELb1ES3_N6thrust23THRUST_200600_302600_NS6detail15normal_iteratorINS9_10device_ptrIxEEEESE_SE_xNS9_4plusIxEE19head_flag_predicatexEE10hipError_tPvRmT2_T3_T4_T5_mT6_T7_P12ihipStream_tbENKUlT_T0_E_clISt17integral_constantIbLb1EESY_EEDaST_SU_EUlST_E_NS1_11comp_targetILNS1_3genE10ELNS1_11target_archE1201ELNS1_3gpuE5ELNS1_3repE0EEENS1_30default_config_static_selectorELNS0_4arch9wavefront6targetE0EEEvT1_.uses_flat_scratch, 0
	.set _ZN7rocprim17ROCPRIM_400000_NS6detail17trampoline_kernelINS0_14default_configENS1_27scan_by_key_config_selectorIxxEEZZNS1_16scan_by_key_implILNS1_25lookback_scan_determinismE0ELb1ES3_N6thrust23THRUST_200600_302600_NS6detail15normal_iteratorINS9_10device_ptrIxEEEESE_SE_xNS9_4plusIxEE19head_flag_predicatexEE10hipError_tPvRmT2_T3_T4_T5_mT6_T7_P12ihipStream_tbENKUlT_T0_E_clISt17integral_constantIbLb1EESY_EEDaST_SU_EUlST_E_NS1_11comp_targetILNS1_3genE10ELNS1_11target_archE1201ELNS1_3gpuE5ELNS1_3repE0EEENS1_30default_config_static_selectorELNS0_4arch9wavefront6targetE0EEEvT1_.has_dyn_sized_stack, 0
	.set _ZN7rocprim17ROCPRIM_400000_NS6detail17trampoline_kernelINS0_14default_configENS1_27scan_by_key_config_selectorIxxEEZZNS1_16scan_by_key_implILNS1_25lookback_scan_determinismE0ELb1ES3_N6thrust23THRUST_200600_302600_NS6detail15normal_iteratorINS9_10device_ptrIxEEEESE_SE_xNS9_4plusIxEE19head_flag_predicatexEE10hipError_tPvRmT2_T3_T4_T5_mT6_T7_P12ihipStream_tbENKUlT_T0_E_clISt17integral_constantIbLb1EESY_EEDaST_SU_EUlST_E_NS1_11comp_targetILNS1_3genE10ELNS1_11target_archE1201ELNS1_3gpuE5ELNS1_3repE0EEENS1_30default_config_static_selectorELNS0_4arch9wavefront6targetE0EEEvT1_.has_recursion, 0
	.set _ZN7rocprim17ROCPRIM_400000_NS6detail17trampoline_kernelINS0_14default_configENS1_27scan_by_key_config_selectorIxxEEZZNS1_16scan_by_key_implILNS1_25lookback_scan_determinismE0ELb1ES3_N6thrust23THRUST_200600_302600_NS6detail15normal_iteratorINS9_10device_ptrIxEEEESE_SE_xNS9_4plusIxEE19head_flag_predicatexEE10hipError_tPvRmT2_T3_T4_T5_mT6_T7_P12ihipStream_tbENKUlT_T0_E_clISt17integral_constantIbLb1EESY_EEDaST_SU_EUlST_E_NS1_11comp_targetILNS1_3genE10ELNS1_11target_archE1201ELNS1_3gpuE5ELNS1_3repE0EEENS1_30default_config_static_selectorELNS0_4arch9wavefront6targetE0EEEvT1_.has_indirect_call, 0
	.section	.AMDGPU.csdata,"",@progbits
; Kernel info:
; codeLenInByte = 0
; TotalNumSgprs: 0
; NumVgprs: 0
; ScratchSize: 0
; MemoryBound: 0
; FloatMode: 240
; IeeeMode: 1
; LDSByteSize: 0 bytes/workgroup (compile time only)
; SGPRBlocks: 0
; VGPRBlocks: 0
; NumSGPRsForWavesPerEU: 1
; NumVGPRsForWavesPerEU: 1
; NamedBarCnt: 0
; Occupancy: 16
; WaveLimiterHint : 0
; COMPUTE_PGM_RSRC2:SCRATCH_EN: 0
; COMPUTE_PGM_RSRC2:USER_SGPR: 2
; COMPUTE_PGM_RSRC2:TRAP_HANDLER: 0
; COMPUTE_PGM_RSRC2:TGID_X_EN: 1
; COMPUTE_PGM_RSRC2:TGID_Y_EN: 0
; COMPUTE_PGM_RSRC2:TGID_Z_EN: 0
; COMPUTE_PGM_RSRC2:TIDIG_COMP_CNT: 0
	.section	.text._ZN7rocprim17ROCPRIM_400000_NS6detail17trampoline_kernelINS0_14default_configENS1_27scan_by_key_config_selectorIxxEEZZNS1_16scan_by_key_implILNS1_25lookback_scan_determinismE0ELb1ES3_N6thrust23THRUST_200600_302600_NS6detail15normal_iteratorINS9_10device_ptrIxEEEESE_SE_xNS9_4plusIxEE19head_flag_predicatexEE10hipError_tPvRmT2_T3_T4_T5_mT6_T7_P12ihipStream_tbENKUlT_T0_E_clISt17integral_constantIbLb1EESY_EEDaST_SU_EUlST_E_NS1_11comp_targetILNS1_3genE5ELNS1_11target_archE942ELNS1_3gpuE9ELNS1_3repE0EEENS1_30default_config_static_selectorELNS0_4arch9wavefront6targetE0EEEvT1_,"axG",@progbits,_ZN7rocprim17ROCPRIM_400000_NS6detail17trampoline_kernelINS0_14default_configENS1_27scan_by_key_config_selectorIxxEEZZNS1_16scan_by_key_implILNS1_25lookback_scan_determinismE0ELb1ES3_N6thrust23THRUST_200600_302600_NS6detail15normal_iteratorINS9_10device_ptrIxEEEESE_SE_xNS9_4plusIxEE19head_flag_predicatexEE10hipError_tPvRmT2_T3_T4_T5_mT6_T7_P12ihipStream_tbENKUlT_T0_E_clISt17integral_constantIbLb1EESY_EEDaST_SU_EUlST_E_NS1_11comp_targetILNS1_3genE5ELNS1_11target_archE942ELNS1_3gpuE9ELNS1_3repE0EEENS1_30default_config_static_selectorELNS0_4arch9wavefront6targetE0EEEvT1_,comdat
	.protected	_ZN7rocprim17ROCPRIM_400000_NS6detail17trampoline_kernelINS0_14default_configENS1_27scan_by_key_config_selectorIxxEEZZNS1_16scan_by_key_implILNS1_25lookback_scan_determinismE0ELb1ES3_N6thrust23THRUST_200600_302600_NS6detail15normal_iteratorINS9_10device_ptrIxEEEESE_SE_xNS9_4plusIxEE19head_flag_predicatexEE10hipError_tPvRmT2_T3_T4_T5_mT6_T7_P12ihipStream_tbENKUlT_T0_E_clISt17integral_constantIbLb1EESY_EEDaST_SU_EUlST_E_NS1_11comp_targetILNS1_3genE5ELNS1_11target_archE942ELNS1_3gpuE9ELNS1_3repE0EEENS1_30default_config_static_selectorELNS0_4arch9wavefront6targetE0EEEvT1_ ; -- Begin function _ZN7rocprim17ROCPRIM_400000_NS6detail17trampoline_kernelINS0_14default_configENS1_27scan_by_key_config_selectorIxxEEZZNS1_16scan_by_key_implILNS1_25lookback_scan_determinismE0ELb1ES3_N6thrust23THRUST_200600_302600_NS6detail15normal_iteratorINS9_10device_ptrIxEEEESE_SE_xNS9_4plusIxEE19head_flag_predicatexEE10hipError_tPvRmT2_T3_T4_T5_mT6_T7_P12ihipStream_tbENKUlT_T0_E_clISt17integral_constantIbLb1EESY_EEDaST_SU_EUlST_E_NS1_11comp_targetILNS1_3genE5ELNS1_11target_archE942ELNS1_3gpuE9ELNS1_3repE0EEENS1_30default_config_static_selectorELNS0_4arch9wavefront6targetE0EEEvT1_
	.globl	_ZN7rocprim17ROCPRIM_400000_NS6detail17trampoline_kernelINS0_14default_configENS1_27scan_by_key_config_selectorIxxEEZZNS1_16scan_by_key_implILNS1_25lookback_scan_determinismE0ELb1ES3_N6thrust23THRUST_200600_302600_NS6detail15normal_iteratorINS9_10device_ptrIxEEEESE_SE_xNS9_4plusIxEE19head_flag_predicatexEE10hipError_tPvRmT2_T3_T4_T5_mT6_T7_P12ihipStream_tbENKUlT_T0_E_clISt17integral_constantIbLb1EESY_EEDaST_SU_EUlST_E_NS1_11comp_targetILNS1_3genE5ELNS1_11target_archE942ELNS1_3gpuE9ELNS1_3repE0EEENS1_30default_config_static_selectorELNS0_4arch9wavefront6targetE0EEEvT1_
	.p2align	8
	.type	_ZN7rocprim17ROCPRIM_400000_NS6detail17trampoline_kernelINS0_14default_configENS1_27scan_by_key_config_selectorIxxEEZZNS1_16scan_by_key_implILNS1_25lookback_scan_determinismE0ELb1ES3_N6thrust23THRUST_200600_302600_NS6detail15normal_iteratorINS9_10device_ptrIxEEEESE_SE_xNS9_4plusIxEE19head_flag_predicatexEE10hipError_tPvRmT2_T3_T4_T5_mT6_T7_P12ihipStream_tbENKUlT_T0_E_clISt17integral_constantIbLb1EESY_EEDaST_SU_EUlST_E_NS1_11comp_targetILNS1_3genE5ELNS1_11target_archE942ELNS1_3gpuE9ELNS1_3repE0EEENS1_30default_config_static_selectorELNS0_4arch9wavefront6targetE0EEEvT1_,@function
_ZN7rocprim17ROCPRIM_400000_NS6detail17trampoline_kernelINS0_14default_configENS1_27scan_by_key_config_selectorIxxEEZZNS1_16scan_by_key_implILNS1_25lookback_scan_determinismE0ELb1ES3_N6thrust23THRUST_200600_302600_NS6detail15normal_iteratorINS9_10device_ptrIxEEEESE_SE_xNS9_4plusIxEE19head_flag_predicatexEE10hipError_tPvRmT2_T3_T4_T5_mT6_T7_P12ihipStream_tbENKUlT_T0_E_clISt17integral_constantIbLb1EESY_EEDaST_SU_EUlST_E_NS1_11comp_targetILNS1_3genE5ELNS1_11target_archE942ELNS1_3gpuE9ELNS1_3repE0EEENS1_30default_config_static_selectorELNS0_4arch9wavefront6targetE0EEEvT1_: ; @_ZN7rocprim17ROCPRIM_400000_NS6detail17trampoline_kernelINS0_14default_configENS1_27scan_by_key_config_selectorIxxEEZZNS1_16scan_by_key_implILNS1_25lookback_scan_determinismE0ELb1ES3_N6thrust23THRUST_200600_302600_NS6detail15normal_iteratorINS9_10device_ptrIxEEEESE_SE_xNS9_4plusIxEE19head_flag_predicatexEE10hipError_tPvRmT2_T3_T4_T5_mT6_T7_P12ihipStream_tbENKUlT_T0_E_clISt17integral_constantIbLb1EESY_EEDaST_SU_EUlST_E_NS1_11comp_targetILNS1_3genE5ELNS1_11target_archE942ELNS1_3gpuE9ELNS1_3repE0EEENS1_30default_config_static_selectorELNS0_4arch9wavefront6targetE0EEEvT1_
; %bb.0:
	.section	.rodata,"a",@progbits
	.p2align	6, 0x0
	.amdhsa_kernel _ZN7rocprim17ROCPRIM_400000_NS6detail17trampoline_kernelINS0_14default_configENS1_27scan_by_key_config_selectorIxxEEZZNS1_16scan_by_key_implILNS1_25lookback_scan_determinismE0ELb1ES3_N6thrust23THRUST_200600_302600_NS6detail15normal_iteratorINS9_10device_ptrIxEEEESE_SE_xNS9_4plusIxEE19head_flag_predicatexEE10hipError_tPvRmT2_T3_T4_T5_mT6_T7_P12ihipStream_tbENKUlT_T0_E_clISt17integral_constantIbLb1EESY_EEDaST_SU_EUlST_E_NS1_11comp_targetILNS1_3genE5ELNS1_11target_archE942ELNS1_3gpuE9ELNS1_3repE0EEENS1_30default_config_static_selectorELNS0_4arch9wavefront6targetE0EEEvT1_
		.amdhsa_group_segment_fixed_size 0
		.amdhsa_private_segment_fixed_size 0
		.amdhsa_kernarg_size 136
		.amdhsa_user_sgpr_count 2
		.amdhsa_user_sgpr_dispatch_ptr 0
		.amdhsa_user_sgpr_queue_ptr 0
		.amdhsa_user_sgpr_kernarg_segment_ptr 1
		.amdhsa_user_sgpr_dispatch_id 0
		.amdhsa_user_sgpr_kernarg_preload_length 0
		.amdhsa_user_sgpr_kernarg_preload_offset 0
		.amdhsa_user_sgpr_private_segment_size 0
		.amdhsa_wavefront_size32 1
		.amdhsa_uses_dynamic_stack 0
		.amdhsa_enable_private_segment 0
		.amdhsa_system_sgpr_workgroup_id_x 1
		.amdhsa_system_sgpr_workgroup_id_y 0
		.amdhsa_system_sgpr_workgroup_id_z 0
		.amdhsa_system_sgpr_workgroup_info 0
		.amdhsa_system_vgpr_workitem_id 0
		.amdhsa_next_free_vgpr 1
		.amdhsa_next_free_sgpr 1
		.amdhsa_named_barrier_count 0
		.amdhsa_reserve_vcc 0
		.amdhsa_float_round_mode_32 0
		.amdhsa_float_round_mode_16_64 0
		.amdhsa_float_denorm_mode_32 3
		.amdhsa_float_denorm_mode_16_64 3
		.amdhsa_fp16_overflow 0
		.amdhsa_memory_ordered 1
		.amdhsa_forward_progress 1
		.amdhsa_inst_pref_size 0
		.amdhsa_round_robin_scheduling 0
		.amdhsa_exception_fp_ieee_invalid_op 0
		.amdhsa_exception_fp_denorm_src 0
		.amdhsa_exception_fp_ieee_div_zero 0
		.amdhsa_exception_fp_ieee_overflow 0
		.amdhsa_exception_fp_ieee_underflow 0
		.amdhsa_exception_fp_ieee_inexact 0
		.amdhsa_exception_int_div_zero 0
	.end_amdhsa_kernel
	.section	.text._ZN7rocprim17ROCPRIM_400000_NS6detail17trampoline_kernelINS0_14default_configENS1_27scan_by_key_config_selectorIxxEEZZNS1_16scan_by_key_implILNS1_25lookback_scan_determinismE0ELb1ES3_N6thrust23THRUST_200600_302600_NS6detail15normal_iteratorINS9_10device_ptrIxEEEESE_SE_xNS9_4plusIxEE19head_flag_predicatexEE10hipError_tPvRmT2_T3_T4_T5_mT6_T7_P12ihipStream_tbENKUlT_T0_E_clISt17integral_constantIbLb1EESY_EEDaST_SU_EUlST_E_NS1_11comp_targetILNS1_3genE5ELNS1_11target_archE942ELNS1_3gpuE9ELNS1_3repE0EEENS1_30default_config_static_selectorELNS0_4arch9wavefront6targetE0EEEvT1_,"axG",@progbits,_ZN7rocprim17ROCPRIM_400000_NS6detail17trampoline_kernelINS0_14default_configENS1_27scan_by_key_config_selectorIxxEEZZNS1_16scan_by_key_implILNS1_25lookback_scan_determinismE0ELb1ES3_N6thrust23THRUST_200600_302600_NS6detail15normal_iteratorINS9_10device_ptrIxEEEESE_SE_xNS9_4plusIxEE19head_flag_predicatexEE10hipError_tPvRmT2_T3_T4_T5_mT6_T7_P12ihipStream_tbENKUlT_T0_E_clISt17integral_constantIbLb1EESY_EEDaST_SU_EUlST_E_NS1_11comp_targetILNS1_3genE5ELNS1_11target_archE942ELNS1_3gpuE9ELNS1_3repE0EEENS1_30default_config_static_selectorELNS0_4arch9wavefront6targetE0EEEvT1_,comdat
.Lfunc_end724:
	.size	_ZN7rocprim17ROCPRIM_400000_NS6detail17trampoline_kernelINS0_14default_configENS1_27scan_by_key_config_selectorIxxEEZZNS1_16scan_by_key_implILNS1_25lookback_scan_determinismE0ELb1ES3_N6thrust23THRUST_200600_302600_NS6detail15normal_iteratorINS9_10device_ptrIxEEEESE_SE_xNS9_4plusIxEE19head_flag_predicatexEE10hipError_tPvRmT2_T3_T4_T5_mT6_T7_P12ihipStream_tbENKUlT_T0_E_clISt17integral_constantIbLb1EESY_EEDaST_SU_EUlST_E_NS1_11comp_targetILNS1_3genE5ELNS1_11target_archE942ELNS1_3gpuE9ELNS1_3repE0EEENS1_30default_config_static_selectorELNS0_4arch9wavefront6targetE0EEEvT1_, .Lfunc_end724-_ZN7rocprim17ROCPRIM_400000_NS6detail17trampoline_kernelINS0_14default_configENS1_27scan_by_key_config_selectorIxxEEZZNS1_16scan_by_key_implILNS1_25lookback_scan_determinismE0ELb1ES3_N6thrust23THRUST_200600_302600_NS6detail15normal_iteratorINS9_10device_ptrIxEEEESE_SE_xNS9_4plusIxEE19head_flag_predicatexEE10hipError_tPvRmT2_T3_T4_T5_mT6_T7_P12ihipStream_tbENKUlT_T0_E_clISt17integral_constantIbLb1EESY_EEDaST_SU_EUlST_E_NS1_11comp_targetILNS1_3genE5ELNS1_11target_archE942ELNS1_3gpuE9ELNS1_3repE0EEENS1_30default_config_static_selectorELNS0_4arch9wavefront6targetE0EEEvT1_
                                        ; -- End function
	.set _ZN7rocprim17ROCPRIM_400000_NS6detail17trampoline_kernelINS0_14default_configENS1_27scan_by_key_config_selectorIxxEEZZNS1_16scan_by_key_implILNS1_25lookback_scan_determinismE0ELb1ES3_N6thrust23THRUST_200600_302600_NS6detail15normal_iteratorINS9_10device_ptrIxEEEESE_SE_xNS9_4plusIxEE19head_flag_predicatexEE10hipError_tPvRmT2_T3_T4_T5_mT6_T7_P12ihipStream_tbENKUlT_T0_E_clISt17integral_constantIbLb1EESY_EEDaST_SU_EUlST_E_NS1_11comp_targetILNS1_3genE5ELNS1_11target_archE942ELNS1_3gpuE9ELNS1_3repE0EEENS1_30default_config_static_selectorELNS0_4arch9wavefront6targetE0EEEvT1_.num_vgpr, 0
	.set _ZN7rocprim17ROCPRIM_400000_NS6detail17trampoline_kernelINS0_14default_configENS1_27scan_by_key_config_selectorIxxEEZZNS1_16scan_by_key_implILNS1_25lookback_scan_determinismE0ELb1ES3_N6thrust23THRUST_200600_302600_NS6detail15normal_iteratorINS9_10device_ptrIxEEEESE_SE_xNS9_4plusIxEE19head_flag_predicatexEE10hipError_tPvRmT2_T3_T4_T5_mT6_T7_P12ihipStream_tbENKUlT_T0_E_clISt17integral_constantIbLb1EESY_EEDaST_SU_EUlST_E_NS1_11comp_targetILNS1_3genE5ELNS1_11target_archE942ELNS1_3gpuE9ELNS1_3repE0EEENS1_30default_config_static_selectorELNS0_4arch9wavefront6targetE0EEEvT1_.num_agpr, 0
	.set _ZN7rocprim17ROCPRIM_400000_NS6detail17trampoline_kernelINS0_14default_configENS1_27scan_by_key_config_selectorIxxEEZZNS1_16scan_by_key_implILNS1_25lookback_scan_determinismE0ELb1ES3_N6thrust23THRUST_200600_302600_NS6detail15normal_iteratorINS9_10device_ptrIxEEEESE_SE_xNS9_4plusIxEE19head_flag_predicatexEE10hipError_tPvRmT2_T3_T4_T5_mT6_T7_P12ihipStream_tbENKUlT_T0_E_clISt17integral_constantIbLb1EESY_EEDaST_SU_EUlST_E_NS1_11comp_targetILNS1_3genE5ELNS1_11target_archE942ELNS1_3gpuE9ELNS1_3repE0EEENS1_30default_config_static_selectorELNS0_4arch9wavefront6targetE0EEEvT1_.numbered_sgpr, 0
	.set _ZN7rocprim17ROCPRIM_400000_NS6detail17trampoline_kernelINS0_14default_configENS1_27scan_by_key_config_selectorIxxEEZZNS1_16scan_by_key_implILNS1_25lookback_scan_determinismE0ELb1ES3_N6thrust23THRUST_200600_302600_NS6detail15normal_iteratorINS9_10device_ptrIxEEEESE_SE_xNS9_4plusIxEE19head_flag_predicatexEE10hipError_tPvRmT2_T3_T4_T5_mT6_T7_P12ihipStream_tbENKUlT_T0_E_clISt17integral_constantIbLb1EESY_EEDaST_SU_EUlST_E_NS1_11comp_targetILNS1_3genE5ELNS1_11target_archE942ELNS1_3gpuE9ELNS1_3repE0EEENS1_30default_config_static_selectorELNS0_4arch9wavefront6targetE0EEEvT1_.num_named_barrier, 0
	.set _ZN7rocprim17ROCPRIM_400000_NS6detail17trampoline_kernelINS0_14default_configENS1_27scan_by_key_config_selectorIxxEEZZNS1_16scan_by_key_implILNS1_25lookback_scan_determinismE0ELb1ES3_N6thrust23THRUST_200600_302600_NS6detail15normal_iteratorINS9_10device_ptrIxEEEESE_SE_xNS9_4plusIxEE19head_flag_predicatexEE10hipError_tPvRmT2_T3_T4_T5_mT6_T7_P12ihipStream_tbENKUlT_T0_E_clISt17integral_constantIbLb1EESY_EEDaST_SU_EUlST_E_NS1_11comp_targetILNS1_3genE5ELNS1_11target_archE942ELNS1_3gpuE9ELNS1_3repE0EEENS1_30default_config_static_selectorELNS0_4arch9wavefront6targetE0EEEvT1_.private_seg_size, 0
	.set _ZN7rocprim17ROCPRIM_400000_NS6detail17trampoline_kernelINS0_14default_configENS1_27scan_by_key_config_selectorIxxEEZZNS1_16scan_by_key_implILNS1_25lookback_scan_determinismE0ELb1ES3_N6thrust23THRUST_200600_302600_NS6detail15normal_iteratorINS9_10device_ptrIxEEEESE_SE_xNS9_4plusIxEE19head_flag_predicatexEE10hipError_tPvRmT2_T3_T4_T5_mT6_T7_P12ihipStream_tbENKUlT_T0_E_clISt17integral_constantIbLb1EESY_EEDaST_SU_EUlST_E_NS1_11comp_targetILNS1_3genE5ELNS1_11target_archE942ELNS1_3gpuE9ELNS1_3repE0EEENS1_30default_config_static_selectorELNS0_4arch9wavefront6targetE0EEEvT1_.uses_vcc, 0
	.set _ZN7rocprim17ROCPRIM_400000_NS6detail17trampoline_kernelINS0_14default_configENS1_27scan_by_key_config_selectorIxxEEZZNS1_16scan_by_key_implILNS1_25lookback_scan_determinismE0ELb1ES3_N6thrust23THRUST_200600_302600_NS6detail15normal_iteratorINS9_10device_ptrIxEEEESE_SE_xNS9_4plusIxEE19head_flag_predicatexEE10hipError_tPvRmT2_T3_T4_T5_mT6_T7_P12ihipStream_tbENKUlT_T0_E_clISt17integral_constantIbLb1EESY_EEDaST_SU_EUlST_E_NS1_11comp_targetILNS1_3genE5ELNS1_11target_archE942ELNS1_3gpuE9ELNS1_3repE0EEENS1_30default_config_static_selectorELNS0_4arch9wavefront6targetE0EEEvT1_.uses_flat_scratch, 0
	.set _ZN7rocprim17ROCPRIM_400000_NS6detail17trampoline_kernelINS0_14default_configENS1_27scan_by_key_config_selectorIxxEEZZNS1_16scan_by_key_implILNS1_25lookback_scan_determinismE0ELb1ES3_N6thrust23THRUST_200600_302600_NS6detail15normal_iteratorINS9_10device_ptrIxEEEESE_SE_xNS9_4plusIxEE19head_flag_predicatexEE10hipError_tPvRmT2_T3_T4_T5_mT6_T7_P12ihipStream_tbENKUlT_T0_E_clISt17integral_constantIbLb1EESY_EEDaST_SU_EUlST_E_NS1_11comp_targetILNS1_3genE5ELNS1_11target_archE942ELNS1_3gpuE9ELNS1_3repE0EEENS1_30default_config_static_selectorELNS0_4arch9wavefront6targetE0EEEvT1_.has_dyn_sized_stack, 0
	.set _ZN7rocprim17ROCPRIM_400000_NS6detail17trampoline_kernelINS0_14default_configENS1_27scan_by_key_config_selectorIxxEEZZNS1_16scan_by_key_implILNS1_25lookback_scan_determinismE0ELb1ES3_N6thrust23THRUST_200600_302600_NS6detail15normal_iteratorINS9_10device_ptrIxEEEESE_SE_xNS9_4plusIxEE19head_flag_predicatexEE10hipError_tPvRmT2_T3_T4_T5_mT6_T7_P12ihipStream_tbENKUlT_T0_E_clISt17integral_constantIbLb1EESY_EEDaST_SU_EUlST_E_NS1_11comp_targetILNS1_3genE5ELNS1_11target_archE942ELNS1_3gpuE9ELNS1_3repE0EEENS1_30default_config_static_selectorELNS0_4arch9wavefront6targetE0EEEvT1_.has_recursion, 0
	.set _ZN7rocprim17ROCPRIM_400000_NS6detail17trampoline_kernelINS0_14default_configENS1_27scan_by_key_config_selectorIxxEEZZNS1_16scan_by_key_implILNS1_25lookback_scan_determinismE0ELb1ES3_N6thrust23THRUST_200600_302600_NS6detail15normal_iteratorINS9_10device_ptrIxEEEESE_SE_xNS9_4plusIxEE19head_flag_predicatexEE10hipError_tPvRmT2_T3_T4_T5_mT6_T7_P12ihipStream_tbENKUlT_T0_E_clISt17integral_constantIbLb1EESY_EEDaST_SU_EUlST_E_NS1_11comp_targetILNS1_3genE5ELNS1_11target_archE942ELNS1_3gpuE9ELNS1_3repE0EEENS1_30default_config_static_selectorELNS0_4arch9wavefront6targetE0EEEvT1_.has_indirect_call, 0
	.section	.AMDGPU.csdata,"",@progbits
; Kernel info:
; codeLenInByte = 0
; TotalNumSgprs: 0
; NumVgprs: 0
; ScratchSize: 0
; MemoryBound: 0
; FloatMode: 240
; IeeeMode: 1
; LDSByteSize: 0 bytes/workgroup (compile time only)
; SGPRBlocks: 0
; VGPRBlocks: 0
; NumSGPRsForWavesPerEU: 1
; NumVGPRsForWavesPerEU: 1
; NamedBarCnt: 0
; Occupancy: 16
; WaveLimiterHint : 0
; COMPUTE_PGM_RSRC2:SCRATCH_EN: 0
; COMPUTE_PGM_RSRC2:USER_SGPR: 2
; COMPUTE_PGM_RSRC2:TRAP_HANDLER: 0
; COMPUTE_PGM_RSRC2:TGID_X_EN: 1
; COMPUTE_PGM_RSRC2:TGID_Y_EN: 0
; COMPUTE_PGM_RSRC2:TGID_Z_EN: 0
; COMPUTE_PGM_RSRC2:TIDIG_COMP_CNT: 0
	.section	.text._ZN7rocprim17ROCPRIM_400000_NS6detail17trampoline_kernelINS0_14default_configENS1_27scan_by_key_config_selectorIxxEEZZNS1_16scan_by_key_implILNS1_25lookback_scan_determinismE0ELb1ES3_N6thrust23THRUST_200600_302600_NS6detail15normal_iteratorINS9_10device_ptrIxEEEESE_SE_xNS9_4plusIxEE19head_flag_predicatexEE10hipError_tPvRmT2_T3_T4_T5_mT6_T7_P12ihipStream_tbENKUlT_T0_E_clISt17integral_constantIbLb1EESY_EEDaST_SU_EUlST_E_NS1_11comp_targetILNS1_3genE4ELNS1_11target_archE910ELNS1_3gpuE8ELNS1_3repE0EEENS1_30default_config_static_selectorELNS0_4arch9wavefront6targetE0EEEvT1_,"axG",@progbits,_ZN7rocprim17ROCPRIM_400000_NS6detail17trampoline_kernelINS0_14default_configENS1_27scan_by_key_config_selectorIxxEEZZNS1_16scan_by_key_implILNS1_25lookback_scan_determinismE0ELb1ES3_N6thrust23THRUST_200600_302600_NS6detail15normal_iteratorINS9_10device_ptrIxEEEESE_SE_xNS9_4plusIxEE19head_flag_predicatexEE10hipError_tPvRmT2_T3_T4_T5_mT6_T7_P12ihipStream_tbENKUlT_T0_E_clISt17integral_constantIbLb1EESY_EEDaST_SU_EUlST_E_NS1_11comp_targetILNS1_3genE4ELNS1_11target_archE910ELNS1_3gpuE8ELNS1_3repE0EEENS1_30default_config_static_selectorELNS0_4arch9wavefront6targetE0EEEvT1_,comdat
	.protected	_ZN7rocprim17ROCPRIM_400000_NS6detail17trampoline_kernelINS0_14default_configENS1_27scan_by_key_config_selectorIxxEEZZNS1_16scan_by_key_implILNS1_25lookback_scan_determinismE0ELb1ES3_N6thrust23THRUST_200600_302600_NS6detail15normal_iteratorINS9_10device_ptrIxEEEESE_SE_xNS9_4plusIxEE19head_flag_predicatexEE10hipError_tPvRmT2_T3_T4_T5_mT6_T7_P12ihipStream_tbENKUlT_T0_E_clISt17integral_constantIbLb1EESY_EEDaST_SU_EUlST_E_NS1_11comp_targetILNS1_3genE4ELNS1_11target_archE910ELNS1_3gpuE8ELNS1_3repE0EEENS1_30default_config_static_selectorELNS0_4arch9wavefront6targetE0EEEvT1_ ; -- Begin function _ZN7rocprim17ROCPRIM_400000_NS6detail17trampoline_kernelINS0_14default_configENS1_27scan_by_key_config_selectorIxxEEZZNS1_16scan_by_key_implILNS1_25lookback_scan_determinismE0ELb1ES3_N6thrust23THRUST_200600_302600_NS6detail15normal_iteratorINS9_10device_ptrIxEEEESE_SE_xNS9_4plusIxEE19head_flag_predicatexEE10hipError_tPvRmT2_T3_T4_T5_mT6_T7_P12ihipStream_tbENKUlT_T0_E_clISt17integral_constantIbLb1EESY_EEDaST_SU_EUlST_E_NS1_11comp_targetILNS1_3genE4ELNS1_11target_archE910ELNS1_3gpuE8ELNS1_3repE0EEENS1_30default_config_static_selectorELNS0_4arch9wavefront6targetE0EEEvT1_
	.globl	_ZN7rocprim17ROCPRIM_400000_NS6detail17trampoline_kernelINS0_14default_configENS1_27scan_by_key_config_selectorIxxEEZZNS1_16scan_by_key_implILNS1_25lookback_scan_determinismE0ELb1ES3_N6thrust23THRUST_200600_302600_NS6detail15normal_iteratorINS9_10device_ptrIxEEEESE_SE_xNS9_4plusIxEE19head_flag_predicatexEE10hipError_tPvRmT2_T3_T4_T5_mT6_T7_P12ihipStream_tbENKUlT_T0_E_clISt17integral_constantIbLb1EESY_EEDaST_SU_EUlST_E_NS1_11comp_targetILNS1_3genE4ELNS1_11target_archE910ELNS1_3gpuE8ELNS1_3repE0EEENS1_30default_config_static_selectorELNS0_4arch9wavefront6targetE0EEEvT1_
	.p2align	8
	.type	_ZN7rocprim17ROCPRIM_400000_NS6detail17trampoline_kernelINS0_14default_configENS1_27scan_by_key_config_selectorIxxEEZZNS1_16scan_by_key_implILNS1_25lookback_scan_determinismE0ELb1ES3_N6thrust23THRUST_200600_302600_NS6detail15normal_iteratorINS9_10device_ptrIxEEEESE_SE_xNS9_4plusIxEE19head_flag_predicatexEE10hipError_tPvRmT2_T3_T4_T5_mT6_T7_P12ihipStream_tbENKUlT_T0_E_clISt17integral_constantIbLb1EESY_EEDaST_SU_EUlST_E_NS1_11comp_targetILNS1_3genE4ELNS1_11target_archE910ELNS1_3gpuE8ELNS1_3repE0EEENS1_30default_config_static_selectorELNS0_4arch9wavefront6targetE0EEEvT1_,@function
_ZN7rocprim17ROCPRIM_400000_NS6detail17trampoline_kernelINS0_14default_configENS1_27scan_by_key_config_selectorIxxEEZZNS1_16scan_by_key_implILNS1_25lookback_scan_determinismE0ELb1ES3_N6thrust23THRUST_200600_302600_NS6detail15normal_iteratorINS9_10device_ptrIxEEEESE_SE_xNS9_4plusIxEE19head_flag_predicatexEE10hipError_tPvRmT2_T3_T4_T5_mT6_T7_P12ihipStream_tbENKUlT_T0_E_clISt17integral_constantIbLb1EESY_EEDaST_SU_EUlST_E_NS1_11comp_targetILNS1_3genE4ELNS1_11target_archE910ELNS1_3gpuE8ELNS1_3repE0EEENS1_30default_config_static_selectorELNS0_4arch9wavefront6targetE0EEEvT1_: ; @_ZN7rocprim17ROCPRIM_400000_NS6detail17trampoline_kernelINS0_14default_configENS1_27scan_by_key_config_selectorIxxEEZZNS1_16scan_by_key_implILNS1_25lookback_scan_determinismE0ELb1ES3_N6thrust23THRUST_200600_302600_NS6detail15normal_iteratorINS9_10device_ptrIxEEEESE_SE_xNS9_4plusIxEE19head_flag_predicatexEE10hipError_tPvRmT2_T3_T4_T5_mT6_T7_P12ihipStream_tbENKUlT_T0_E_clISt17integral_constantIbLb1EESY_EEDaST_SU_EUlST_E_NS1_11comp_targetILNS1_3genE4ELNS1_11target_archE910ELNS1_3gpuE8ELNS1_3repE0EEENS1_30default_config_static_selectorELNS0_4arch9wavefront6targetE0EEEvT1_
; %bb.0:
	.section	.rodata,"a",@progbits
	.p2align	6, 0x0
	.amdhsa_kernel _ZN7rocprim17ROCPRIM_400000_NS6detail17trampoline_kernelINS0_14default_configENS1_27scan_by_key_config_selectorIxxEEZZNS1_16scan_by_key_implILNS1_25lookback_scan_determinismE0ELb1ES3_N6thrust23THRUST_200600_302600_NS6detail15normal_iteratorINS9_10device_ptrIxEEEESE_SE_xNS9_4plusIxEE19head_flag_predicatexEE10hipError_tPvRmT2_T3_T4_T5_mT6_T7_P12ihipStream_tbENKUlT_T0_E_clISt17integral_constantIbLb1EESY_EEDaST_SU_EUlST_E_NS1_11comp_targetILNS1_3genE4ELNS1_11target_archE910ELNS1_3gpuE8ELNS1_3repE0EEENS1_30default_config_static_selectorELNS0_4arch9wavefront6targetE0EEEvT1_
		.amdhsa_group_segment_fixed_size 0
		.amdhsa_private_segment_fixed_size 0
		.amdhsa_kernarg_size 136
		.amdhsa_user_sgpr_count 2
		.amdhsa_user_sgpr_dispatch_ptr 0
		.amdhsa_user_sgpr_queue_ptr 0
		.amdhsa_user_sgpr_kernarg_segment_ptr 1
		.amdhsa_user_sgpr_dispatch_id 0
		.amdhsa_user_sgpr_kernarg_preload_length 0
		.amdhsa_user_sgpr_kernarg_preload_offset 0
		.amdhsa_user_sgpr_private_segment_size 0
		.amdhsa_wavefront_size32 1
		.amdhsa_uses_dynamic_stack 0
		.amdhsa_enable_private_segment 0
		.amdhsa_system_sgpr_workgroup_id_x 1
		.amdhsa_system_sgpr_workgroup_id_y 0
		.amdhsa_system_sgpr_workgroup_id_z 0
		.amdhsa_system_sgpr_workgroup_info 0
		.amdhsa_system_vgpr_workitem_id 0
		.amdhsa_next_free_vgpr 1
		.amdhsa_next_free_sgpr 1
		.amdhsa_named_barrier_count 0
		.amdhsa_reserve_vcc 0
		.amdhsa_float_round_mode_32 0
		.amdhsa_float_round_mode_16_64 0
		.amdhsa_float_denorm_mode_32 3
		.amdhsa_float_denorm_mode_16_64 3
		.amdhsa_fp16_overflow 0
		.amdhsa_memory_ordered 1
		.amdhsa_forward_progress 1
		.amdhsa_inst_pref_size 0
		.amdhsa_round_robin_scheduling 0
		.amdhsa_exception_fp_ieee_invalid_op 0
		.amdhsa_exception_fp_denorm_src 0
		.amdhsa_exception_fp_ieee_div_zero 0
		.amdhsa_exception_fp_ieee_overflow 0
		.amdhsa_exception_fp_ieee_underflow 0
		.amdhsa_exception_fp_ieee_inexact 0
		.amdhsa_exception_int_div_zero 0
	.end_amdhsa_kernel
	.section	.text._ZN7rocprim17ROCPRIM_400000_NS6detail17trampoline_kernelINS0_14default_configENS1_27scan_by_key_config_selectorIxxEEZZNS1_16scan_by_key_implILNS1_25lookback_scan_determinismE0ELb1ES3_N6thrust23THRUST_200600_302600_NS6detail15normal_iteratorINS9_10device_ptrIxEEEESE_SE_xNS9_4plusIxEE19head_flag_predicatexEE10hipError_tPvRmT2_T3_T4_T5_mT6_T7_P12ihipStream_tbENKUlT_T0_E_clISt17integral_constantIbLb1EESY_EEDaST_SU_EUlST_E_NS1_11comp_targetILNS1_3genE4ELNS1_11target_archE910ELNS1_3gpuE8ELNS1_3repE0EEENS1_30default_config_static_selectorELNS0_4arch9wavefront6targetE0EEEvT1_,"axG",@progbits,_ZN7rocprim17ROCPRIM_400000_NS6detail17trampoline_kernelINS0_14default_configENS1_27scan_by_key_config_selectorIxxEEZZNS1_16scan_by_key_implILNS1_25lookback_scan_determinismE0ELb1ES3_N6thrust23THRUST_200600_302600_NS6detail15normal_iteratorINS9_10device_ptrIxEEEESE_SE_xNS9_4plusIxEE19head_flag_predicatexEE10hipError_tPvRmT2_T3_T4_T5_mT6_T7_P12ihipStream_tbENKUlT_T0_E_clISt17integral_constantIbLb1EESY_EEDaST_SU_EUlST_E_NS1_11comp_targetILNS1_3genE4ELNS1_11target_archE910ELNS1_3gpuE8ELNS1_3repE0EEENS1_30default_config_static_selectorELNS0_4arch9wavefront6targetE0EEEvT1_,comdat
.Lfunc_end725:
	.size	_ZN7rocprim17ROCPRIM_400000_NS6detail17trampoline_kernelINS0_14default_configENS1_27scan_by_key_config_selectorIxxEEZZNS1_16scan_by_key_implILNS1_25lookback_scan_determinismE0ELb1ES3_N6thrust23THRUST_200600_302600_NS6detail15normal_iteratorINS9_10device_ptrIxEEEESE_SE_xNS9_4plusIxEE19head_flag_predicatexEE10hipError_tPvRmT2_T3_T4_T5_mT6_T7_P12ihipStream_tbENKUlT_T0_E_clISt17integral_constantIbLb1EESY_EEDaST_SU_EUlST_E_NS1_11comp_targetILNS1_3genE4ELNS1_11target_archE910ELNS1_3gpuE8ELNS1_3repE0EEENS1_30default_config_static_selectorELNS0_4arch9wavefront6targetE0EEEvT1_, .Lfunc_end725-_ZN7rocprim17ROCPRIM_400000_NS6detail17trampoline_kernelINS0_14default_configENS1_27scan_by_key_config_selectorIxxEEZZNS1_16scan_by_key_implILNS1_25lookback_scan_determinismE0ELb1ES3_N6thrust23THRUST_200600_302600_NS6detail15normal_iteratorINS9_10device_ptrIxEEEESE_SE_xNS9_4plusIxEE19head_flag_predicatexEE10hipError_tPvRmT2_T3_T4_T5_mT6_T7_P12ihipStream_tbENKUlT_T0_E_clISt17integral_constantIbLb1EESY_EEDaST_SU_EUlST_E_NS1_11comp_targetILNS1_3genE4ELNS1_11target_archE910ELNS1_3gpuE8ELNS1_3repE0EEENS1_30default_config_static_selectorELNS0_4arch9wavefront6targetE0EEEvT1_
                                        ; -- End function
	.set _ZN7rocprim17ROCPRIM_400000_NS6detail17trampoline_kernelINS0_14default_configENS1_27scan_by_key_config_selectorIxxEEZZNS1_16scan_by_key_implILNS1_25lookback_scan_determinismE0ELb1ES3_N6thrust23THRUST_200600_302600_NS6detail15normal_iteratorINS9_10device_ptrIxEEEESE_SE_xNS9_4plusIxEE19head_flag_predicatexEE10hipError_tPvRmT2_T3_T4_T5_mT6_T7_P12ihipStream_tbENKUlT_T0_E_clISt17integral_constantIbLb1EESY_EEDaST_SU_EUlST_E_NS1_11comp_targetILNS1_3genE4ELNS1_11target_archE910ELNS1_3gpuE8ELNS1_3repE0EEENS1_30default_config_static_selectorELNS0_4arch9wavefront6targetE0EEEvT1_.num_vgpr, 0
	.set _ZN7rocprim17ROCPRIM_400000_NS6detail17trampoline_kernelINS0_14default_configENS1_27scan_by_key_config_selectorIxxEEZZNS1_16scan_by_key_implILNS1_25lookback_scan_determinismE0ELb1ES3_N6thrust23THRUST_200600_302600_NS6detail15normal_iteratorINS9_10device_ptrIxEEEESE_SE_xNS9_4plusIxEE19head_flag_predicatexEE10hipError_tPvRmT2_T3_T4_T5_mT6_T7_P12ihipStream_tbENKUlT_T0_E_clISt17integral_constantIbLb1EESY_EEDaST_SU_EUlST_E_NS1_11comp_targetILNS1_3genE4ELNS1_11target_archE910ELNS1_3gpuE8ELNS1_3repE0EEENS1_30default_config_static_selectorELNS0_4arch9wavefront6targetE0EEEvT1_.num_agpr, 0
	.set _ZN7rocprim17ROCPRIM_400000_NS6detail17trampoline_kernelINS0_14default_configENS1_27scan_by_key_config_selectorIxxEEZZNS1_16scan_by_key_implILNS1_25lookback_scan_determinismE0ELb1ES3_N6thrust23THRUST_200600_302600_NS6detail15normal_iteratorINS9_10device_ptrIxEEEESE_SE_xNS9_4plusIxEE19head_flag_predicatexEE10hipError_tPvRmT2_T3_T4_T5_mT6_T7_P12ihipStream_tbENKUlT_T0_E_clISt17integral_constantIbLb1EESY_EEDaST_SU_EUlST_E_NS1_11comp_targetILNS1_3genE4ELNS1_11target_archE910ELNS1_3gpuE8ELNS1_3repE0EEENS1_30default_config_static_selectorELNS0_4arch9wavefront6targetE0EEEvT1_.numbered_sgpr, 0
	.set _ZN7rocprim17ROCPRIM_400000_NS6detail17trampoline_kernelINS0_14default_configENS1_27scan_by_key_config_selectorIxxEEZZNS1_16scan_by_key_implILNS1_25lookback_scan_determinismE0ELb1ES3_N6thrust23THRUST_200600_302600_NS6detail15normal_iteratorINS9_10device_ptrIxEEEESE_SE_xNS9_4plusIxEE19head_flag_predicatexEE10hipError_tPvRmT2_T3_T4_T5_mT6_T7_P12ihipStream_tbENKUlT_T0_E_clISt17integral_constantIbLb1EESY_EEDaST_SU_EUlST_E_NS1_11comp_targetILNS1_3genE4ELNS1_11target_archE910ELNS1_3gpuE8ELNS1_3repE0EEENS1_30default_config_static_selectorELNS0_4arch9wavefront6targetE0EEEvT1_.num_named_barrier, 0
	.set _ZN7rocprim17ROCPRIM_400000_NS6detail17trampoline_kernelINS0_14default_configENS1_27scan_by_key_config_selectorIxxEEZZNS1_16scan_by_key_implILNS1_25lookback_scan_determinismE0ELb1ES3_N6thrust23THRUST_200600_302600_NS6detail15normal_iteratorINS9_10device_ptrIxEEEESE_SE_xNS9_4plusIxEE19head_flag_predicatexEE10hipError_tPvRmT2_T3_T4_T5_mT6_T7_P12ihipStream_tbENKUlT_T0_E_clISt17integral_constantIbLb1EESY_EEDaST_SU_EUlST_E_NS1_11comp_targetILNS1_3genE4ELNS1_11target_archE910ELNS1_3gpuE8ELNS1_3repE0EEENS1_30default_config_static_selectorELNS0_4arch9wavefront6targetE0EEEvT1_.private_seg_size, 0
	.set _ZN7rocprim17ROCPRIM_400000_NS6detail17trampoline_kernelINS0_14default_configENS1_27scan_by_key_config_selectorIxxEEZZNS1_16scan_by_key_implILNS1_25lookback_scan_determinismE0ELb1ES3_N6thrust23THRUST_200600_302600_NS6detail15normal_iteratorINS9_10device_ptrIxEEEESE_SE_xNS9_4plusIxEE19head_flag_predicatexEE10hipError_tPvRmT2_T3_T4_T5_mT6_T7_P12ihipStream_tbENKUlT_T0_E_clISt17integral_constantIbLb1EESY_EEDaST_SU_EUlST_E_NS1_11comp_targetILNS1_3genE4ELNS1_11target_archE910ELNS1_3gpuE8ELNS1_3repE0EEENS1_30default_config_static_selectorELNS0_4arch9wavefront6targetE0EEEvT1_.uses_vcc, 0
	.set _ZN7rocprim17ROCPRIM_400000_NS6detail17trampoline_kernelINS0_14default_configENS1_27scan_by_key_config_selectorIxxEEZZNS1_16scan_by_key_implILNS1_25lookback_scan_determinismE0ELb1ES3_N6thrust23THRUST_200600_302600_NS6detail15normal_iteratorINS9_10device_ptrIxEEEESE_SE_xNS9_4plusIxEE19head_flag_predicatexEE10hipError_tPvRmT2_T3_T4_T5_mT6_T7_P12ihipStream_tbENKUlT_T0_E_clISt17integral_constantIbLb1EESY_EEDaST_SU_EUlST_E_NS1_11comp_targetILNS1_3genE4ELNS1_11target_archE910ELNS1_3gpuE8ELNS1_3repE0EEENS1_30default_config_static_selectorELNS0_4arch9wavefront6targetE0EEEvT1_.uses_flat_scratch, 0
	.set _ZN7rocprim17ROCPRIM_400000_NS6detail17trampoline_kernelINS0_14default_configENS1_27scan_by_key_config_selectorIxxEEZZNS1_16scan_by_key_implILNS1_25lookback_scan_determinismE0ELb1ES3_N6thrust23THRUST_200600_302600_NS6detail15normal_iteratorINS9_10device_ptrIxEEEESE_SE_xNS9_4plusIxEE19head_flag_predicatexEE10hipError_tPvRmT2_T3_T4_T5_mT6_T7_P12ihipStream_tbENKUlT_T0_E_clISt17integral_constantIbLb1EESY_EEDaST_SU_EUlST_E_NS1_11comp_targetILNS1_3genE4ELNS1_11target_archE910ELNS1_3gpuE8ELNS1_3repE0EEENS1_30default_config_static_selectorELNS0_4arch9wavefront6targetE0EEEvT1_.has_dyn_sized_stack, 0
	.set _ZN7rocprim17ROCPRIM_400000_NS6detail17trampoline_kernelINS0_14default_configENS1_27scan_by_key_config_selectorIxxEEZZNS1_16scan_by_key_implILNS1_25lookback_scan_determinismE0ELb1ES3_N6thrust23THRUST_200600_302600_NS6detail15normal_iteratorINS9_10device_ptrIxEEEESE_SE_xNS9_4plusIxEE19head_flag_predicatexEE10hipError_tPvRmT2_T3_T4_T5_mT6_T7_P12ihipStream_tbENKUlT_T0_E_clISt17integral_constantIbLb1EESY_EEDaST_SU_EUlST_E_NS1_11comp_targetILNS1_3genE4ELNS1_11target_archE910ELNS1_3gpuE8ELNS1_3repE0EEENS1_30default_config_static_selectorELNS0_4arch9wavefront6targetE0EEEvT1_.has_recursion, 0
	.set _ZN7rocprim17ROCPRIM_400000_NS6detail17trampoline_kernelINS0_14default_configENS1_27scan_by_key_config_selectorIxxEEZZNS1_16scan_by_key_implILNS1_25lookback_scan_determinismE0ELb1ES3_N6thrust23THRUST_200600_302600_NS6detail15normal_iteratorINS9_10device_ptrIxEEEESE_SE_xNS9_4plusIxEE19head_flag_predicatexEE10hipError_tPvRmT2_T3_T4_T5_mT6_T7_P12ihipStream_tbENKUlT_T0_E_clISt17integral_constantIbLb1EESY_EEDaST_SU_EUlST_E_NS1_11comp_targetILNS1_3genE4ELNS1_11target_archE910ELNS1_3gpuE8ELNS1_3repE0EEENS1_30default_config_static_selectorELNS0_4arch9wavefront6targetE0EEEvT1_.has_indirect_call, 0
	.section	.AMDGPU.csdata,"",@progbits
; Kernel info:
; codeLenInByte = 0
; TotalNumSgprs: 0
; NumVgprs: 0
; ScratchSize: 0
; MemoryBound: 0
; FloatMode: 240
; IeeeMode: 1
; LDSByteSize: 0 bytes/workgroup (compile time only)
; SGPRBlocks: 0
; VGPRBlocks: 0
; NumSGPRsForWavesPerEU: 1
; NumVGPRsForWavesPerEU: 1
; NamedBarCnt: 0
; Occupancy: 16
; WaveLimiterHint : 0
; COMPUTE_PGM_RSRC2:SCRATCH_EN: 0
; COMPUTE_PGM_RSRC2:USER_SGPR: 2
; COMPUTE_PGM_RSRC2:TRAP_HANDLER: 0
; COMPUTE_PGM_RSRC2:TGID_X_EN: 1
; COMPUTE_PGM_RSRC2:TGID_Y_EN: 0
; COMPUTE_PGM_RSRC2:TGID_Z_EN: 0
; COMPUTE_PGM_RSRC2:TIDIG_COMP_CNT: 0
	.section	.text._ZN7rocprim17ROCPRIM_400000_NS6detail17trampoline_kernelINS0_14default_configENS1_27scan_by_key_config_selectorIxxEEZZNS1_16scan_by_key_implILNS1_25lookback_scan_determinismE0ELb1ES3_N6thrust23THRUST_200600_302600_NS6detail15normal_iteratorINS9_10device_ptrIxEEEESE_SE_xNS9_4plusIxEE19head_flag_predicatexEE10hipError_tPvRmT2_T3_T4_T5_mT6_T7_P12ihipStream_tbENKUlT_T0_E_clISt17integral_constantIbLb1EESY_EEDaST_SU_EUlST_E_NS1_11comp_targetILNS1_3genE3ELNS1_11target_archE908ELNS1_3gpuE7ELNS1_3repE0EEENS1_30default_config_static_selectorELNS0_4arch9wavefront6targetE0EEEvT1_,"axG",@progbits,_ZN7rocprim17ROCPRIM_400000_NS6detail17trampoline_kernelINS0_14default_configENS1_27scan_by_key_config_selectorIxxEEZZNS1_16scan_by_key_implILNS1_25lookback_scan_determinismE0ELb1ES3_N6thrust23THRUST_200600_302600_NS6detail15normal_iteratorINS9_10device_ptrIxEEEESE_SE_xNS9_4plusIxEE19head_flag_predicatexEE10hipError_tPvRmT2_T3_T4_T5_mT6_T7_P12ihipStream_tbENKUlT_T0_E_clISt17integral_constantIbLb1EESY_EEDaST_SU_EUlST_E_NS1_11comp_targetILNS1_3genE3ELNS1_11target_archE908ELNS1_3gpuE7ELNS1_3repE0EEENS1_30default_config_static_selectorELNS0_4arch9wavefront6targetE0EEEvT1_,comdat
	.protected	_ZN7rocprim17ROCPRIM_400000_NS6detail17trampoline_kernelINS0_14default_configENS1_27scan_by_key_config_selectorIxxEEZZNS1_16scan_by_key_implILNS1_25lookback_scan_determinismE0ELb1ES3_N6thrust23THRUST_200600_302600_NS6detail15normal_iteratorINS9_10device_ptrIxEEEESE_SE_xNS9_4plusIxEE19head_flag_predicatexEE10hipError_tPvRmT2_T3_T4_T5_mT6_T7_P12ihipStream_tbENKUlT_T0_E_clISt17integral_constantIbLb1EESY_EEDaST_SU_EUlST_E_NS1_11comp_targetILNS1_3genE3ELNS1_11target_archE908ELNS1_3gpuE7ELNS1_3repE0EEENS1_30default_config_static_selectorELNS0_4arch9wavefront6targetE0EEEvT1_ ; -- Begin function _ZN7rocprim17ROCPRIM_400000_NS6detail17trampoline_kernelINS0_14default_configENS1_27scan_by_key_config_selectorIxxEEZZNS1_16scan_by_key_implILNS1_25lookback_scan_determinismE0ELb1ES3_N6thrust23THRUST_200600_302600_NS6detail15normal_iteratorINS9_10device_ptrIxEEEESE_SE_xNS9_4plusIxEE19head_flag_predicatexEE10hipError_tPvRmT2_T3_T4_T5_mT6_T7_P12ihipStream_tbENKUlT_T0_E_clISt17integral_constantIbLb1EESY_EEDaST_SU_EUlST_E_NS1_11comp_targetILNS1_3genE3ELNS1_11target_archE908ELNS1_3gpuE7ELNS1_3repE0EEENS1_30default_config_static_selectorELNS0_4arch9wavefront6targetE0EEEvT1_
	.globl	_ZN7rocprim17ROCPRIM_400000_NS6detail17trampoline_kernelINS0_14default_configENS1_27scan_by_key_config_selectorIxxEEZZNS1_16scan_by_key_implILNS1_25lookback_scan_determinismE0ELb1ES3_N6thrust23THRUST_200600_302600_NS6detail15normal_iteratorINS9_10device_ptrIxEEEESE_SE_xNS9_4plusIxEE19head_flag_predicatexEE10hipError_tPvRmT2_T3_T4_T5_mT6_T7_P12ihipStream_tbENKUlT_T0_E_clISt17integral_constantIbLb1EESY_EEDaST_SU_EUlST_E_NS1_11comp_targetILNS1_3genE3ELNS1_11target_archE908ELNS1_3gpuE7ELNS1_3repE0EEENS1_30default_config_static_selectorELNS0_4arch9wavefront6targetE0EEEvT1_
	.p2align	8
	.type	_ZN7rocprim17ROCPRIM_400000_NS6detail17trampoline_kernelINS0_14default_configENS1_27scan_by_key_config_selectorIxxEEZZNS1_16scan_by_key_implILNS1_25lookback_scan_determinismE0ELb1ES3_N6thrust23THRUST_200600_302600_NS6detail15normal_iteratorINS9_10device_ptrIxEEEESE_SE_xNS9_4plusIxEE19head_flag_predicatexEE10hipError_tPvRmT2_T3_T4_T5_mT6_T7_P12ihipStream_tbENKUlT_T0_E_clISt17integral_constantIbLb1EESY_EEDaST_SU_EUlST_E_NS1_11comp_targetILNS1_3genE3ELNS1_11target_archE908ELNS1_3gpuE7ELNS1_3repE0EEENS1_30default_config_static_selectorELNS0_4arch9wavefront6targetE0EEEvT1_,@function
_ZN7rocprim17ROCPRIM_400000_NS6detail17trampoline_kernelINS0_14default_configENS1_27scan_by_key_config_selectorIxxEEZZNS1_16scan_by_key_implILNS1_25lookback_scan_determinismE0ELb1ES3_N6thrust23THRUST_200600_302600_NS6detail15normal_iteratorINS9_10device_ptrIxEEEESE_SE_xNS9_4plusIxEE19head_flag_predicatexEE10hipError_tPvRmT2_T3_T4_T5_mT6_T7_P12ihipStream_tbENKUlT_T0_E_clISt17integral_constantIbLb1EESY_EEDaST_SU_EUlST_E_NS1_11comp_targetILNS1_3genE3ELNS1_11target_archE908ELNS1_3gpuE7ELNS1_3repE0EEENS1_30default_config_static_selectorELNS0_4arch9wavefront6targetE0EEEvT1_: ; @_ZN7rocprim17ROCPRIM_400000_NS6detail17trampoline_kernelINS0_14default_configENS1_27scan_by_key_config_selectorIxxEEZZNS1_16scan_by_key_implILNS1_25lookback_scan_determinismE0ELb1ES3_N6thrust23THRUST_200600_302600_NS6detail15normal_iteratorINS9_10device_ptrIxEEEESE_SE_xNS9_4plusIxEE19head_flag_predicatexEE10hipError_tPvRmT2_T3_T4_T5_mT6_T7_P12ihipStream_tbENKUlT_T0_E_clISt17integral_constantIbLb1EESY_EEDaST_SU_EUlST_E_NS1_11comp_targetILNS1_3genE3ELNS1_11target_archE908ELNS1_3gpuE7ELNS1_3repE0EEENS1_30default_config_static_selectorELNS0_4arch9wavefront6targetE0EEEvT1_
; %bb.0:
	.section	.rodata,"a",@progbits
	.p2align	6, 0x0
	.amdhsa_kernel _ZN7rocprim17ROCPRIM_400000_NS6detail17trampoline_kernelINS0_14default_configENS1_27scan_by_key_config_selectorIxxEEZZNS1_16scan_by_key_implILNS1_25lookback_scan_determinismE0ELb1ES3_N6thrust23THRUST_200600_302600_NS6detail15normal_iteratorINS9_10device_ptrIxEEEESE_SE_xNS9_4plusIxEE19head_flag_predicatexEE10hipError_tPvRmT2_T3_T4_T5_mT6_T7_P12ihipStream_tbENKUlT_T0_E_clISt17integral_constantIbLb1EESY_EEDaST_SU_EUlST_E_NS1_11comp_targetILNS1_3genE3ELNS1_11target_archE908ELNS1_3gpuE7ELNS1_3repE0EEENS1_30default_config_static_selectorELNS0_4arch9wavefront6targetE0EEEvT1_
		.amdhsa_group_segment_fixed_size 0
		.amdhsa_private_segment_fixed_size 0
		.amdhsa_kernarg_size 136
		.amdhsa_user_sgpr_count 2
		.amdhsa_user_sgpr_dispatch_ptr 0
		.amdhsa_user_sgpr_queue_ptr 0
		.amdhsa_user_sgpr_kernarg_segment_ptr 1
		.amdhsa_user_sgpr_dispatch_id 0
		.amdhsa_user_sgpr_kernarg_preload_length 0
		.amdhsa_user_sgpr_kernarg_preload_offset 0
		.amdhsa_user_sgpr_private_segment_size 0
		.amdhsa_wavefront_size32 1
		.amdhsa_uses_dynamic_stack 0
		.amdhsa_enable_private_segment 0
		.amdhsa_system_sgpr_workgroup_id_x 1
		.amdhsa_system_sgpr_workgroup_id_y 0
		.amdhsa_system_sgpr_workgroup_id_z 0
		.amdhsa_system_sgpr_workgroup_info 0
		.amdhsa_system_vgpr_workitem_id 0
		.amdhsa_next_free_vgpr 1
		.amdhsa_next_free_sgpr 1
		.amdhsa_named_barrier_count 0
		.amdhsa_reserve_vcc 0
		.amdhsa_float_round_mode_32 0
		.amdhsa_float_round_mode_16_64 0
		.amdhsa_float_denorm_mode_32 3
		.amdhsa_float_denorm_mode_16_64 3
		.amdhsa_fp16_overflow 0
		.amdhsa_memory_ordered 1
		.amdhsa_forward_progress 1
		.amdhsa_inst_pref_size 0
		.amdhsa_round_robin_scheduling 0
		.amdhsa_exception_fp_ieee_invalid_op 0
		.amdhsa_exception_fp_denorm_src 0
		.amdhsa_exception_fp_ieee_div_zero 0
		.amdhsa_exception_fp_ieee_overflow 0
		.amdhsa_exception_fp_ieee_underflow 0
		.amdhsa_exception_fp_ieee_inexact 0
		.amdhsa_exception_int_div_zero 0
	.end_amdhsa_kernel
	.section	.text._ZN7rocprim17ROCPRIM_400000_NS6detail17trampoline_kernelINS0_14default_configENS1_27scan_by_key_config_selectorIxxEEZZNS1_16scan_by_key_implILNS1_25lookback_scan_determinismE0ELb1ES3_N6thrust23THRUST_200600_302600_NS6detail15normal_iteratorINS9_10device_ptrIxEEEESE_SE_xNS9_4plusIxEE19head_flag_predicatexEE10hipError_tPvRmT2_T3_T4_T5_mT6_T7_P12ihipStream_tbENKUlT_T0_E_clISt17integral_constantIbLb1EESY_EEDaST_SU_EUlST_E_NS1_11comp_targetILNS1_3genE3ELNS1_11target_archE908ELNS1_3gpuE7ELNS1_3repE0EEENS1_30default_config_static_selectorELNS0_4arch9wavefront6targetE0EEEvT1_,"axG",@progbits,_ZN7rocprim17ROCPRIM_400000_NS6detail17trampoline_kernelINS0_14default_configENS1_27scan_by_key_config_selectorIxxEEZZNS1_16scan_by_key_implILNS1_25lookback_scan_determinismE0ELb1ES3_N6thrust23THRUST_200600_302600_NS6detail15normal_iteratorINS9_10device_ptrIxEEEESE_SE_xNS9_4plusIxEE19head_flag_predicatexEE10hipError_tPvRmT2_T3_T4_T5_mT6_T7_P12ihipStream_tbENKUlT_T0_E_clISt17integral_constantIbLb1EESY_EEDaST_SU_EUlST_E_NS1_11comp_targetILNS1_3genE3ELNS1_11target_archE908ELNS1_3gpuE7ELNS1_3repE0EEENS1_30default_config_static_selectorELNS0_4arch9wavefront6targetE0EEEvT1_,comdat
.Lfunc_end726:
	.size	_ZN7rocprim17ROCPRIM_400000_NS6detail17trampoline_kernelINS0_14default_configENS1_27scan_by_key_config_selectorIxxEEZZNS1_16scan_by_key_implILNS1_25lookback_scan_determinismE0ELb1ES3_N6thrust23THRUST_200600_302600_NS6detail15normal_iteratorINS9_10device_ptrIxEEEESE_SE_xNS9_4plusIxEE19head_flag_predicatexEE10hipError_tPvRmT2_T3_T4_T5_mT6_T7_P12ihipStream_tbENKUlT_T0_E_clISt17integral_constantIbLb1EESY_EEDaST_SU_EUlST_E_NS1_11comp_targetILNS1_3genE3ELNS1_11target_archE908ELNS1_3gpuE7ELNS1_3repE0EEENS1_30default_config_static_selectorELNS0_4arch9wavefront6targetE0EEEvT1_, .Lfunc_end726-_ZN7rocprim17ROCPRIM_400000_NS6detail17trampoline_kernelINS0_14default_configENS1_27scan_by_key_config_selectorIxxEEZZNS1_16scan_by_key_implILNS1_25lookback_scan_determinismE0ELb1ES3_N6thrust23THRUST_200600_302600_NS6detail15normal_iteratorINS9_10device_ptrIxEEEESE_SE_xNS9_4plusIxEE19head_flag_predicatexEE10hipError_tPvRmT2_T3_T4_T5_mT6_T7_P12ihipStream_tbENKUlT_T0_E_clISt17integral_constantIbLb1EESY_EEDaST_SU_EUlST_E_NS1_11comp_targetILNS1_3genE3ELNS1_11target_archE908ELNS1_3gpuE7ELNS1_3repE0EEENS1_30default_config_static_selectorELNS0_4arch9wavefront6targetE0EEEvT1_
                                        ; -- End function
	.set _ZN7rocprim17ROCPRIM_400000_NS6detail17trampoline_kernelINS0_14default_configENS1_27scan_by_key_config_selectorIxxEEZZNS1_16scan_by_key_implILNS1_25lookback_scan_determinismE0ELb1ES3_N6thrust23THRUST_200600_302600_NS6detail15normal_iteratorINS9_10device_ptrIxEEEESE_SE_xNS9_4plusIxEE19head_flag_predicatexEE10hipError_tPvRmT2_T3_T4_T5_mT6_T7_P12ihipStream_tbENKUlT_T0_E_clISt17integral_constantIbLb1EESY_EEDaST_SU_EUlST_E_NS1_11comp_targetILNS1_3genE3ELNS1_11target_archE908ELNS1_3gpuE7ELNS1_3repE0EEENS1_30default_config_static_selectorELNS0_4arch9wavefront6targetE0EEEvT1_.num_vgpr, 0
	.set _ZN7rocprim17ROCPRIM_400000_NS6detail17trampoline_kernelINS0_14default_configENS1_27scan_by_key_config_selectorIxxEEZZNS1_16scan_by_key_implILNS1_25lookback_scan_determinismE0ELb1ES3_N6thrust23THRUST_200600_302600_NS6detail15normal_iteratorINS9_10device_ptrIxEEEESE_SE_xNS9_4plusIxEE19head_flag_predicatexEE10hipError_tPvRmT2_T3_T4_T5_mT6_T7_P12ihipStream_tbENKUlT_T0_E_clISt17integral_constantIbLb1EESY_EEDaST_SU_EUlST_E_NS1_11comp_targetILNS1_3genE3ELNS1_11target_archE908ELNS1_3gpuE7ELNS1_3repE0EEENS1_30default_config_static_selectorELNS0_4arch9wavefront6targetE0EEEvT1_.num_agpr, 0
	.set _ZN7rocprim17ROCPRIM_400000_NS6detail17trampoline_kernelINS0_14default_configENS1_27scan_by_key_config_selectorIxxEEZZNS1_16scan_by_key_implILNS1_25lookback_scan_determinismE0ELb1ES3_N6thrust23THRUST_200600_302600_NS6detail15normal_iteratorINS9_10device_ptrIxEEEESE_SE_xNS9_4plusIxEE19head_flag_predicatexEE10hipError_tPvRmT2_T3_T4_T5_mT6_T7_P12ihipStream_tbENKUlT_T0_E_clISt17integral_constantIbLb1EESY_EEDaST_SU_EUlST_E_NS1_11comp_targetILNS1_3genE3ELNS1_11target_archE908ELNS1_3gpuE7ELNS1_3repE0EEENS1_30default_config_static_selectorELNS0_4arch9wavefront6targetE0EEEvT1_.numbered_sgpr, 0
	.set _ZN7rocprim17ROCPRIM_400000_NS6detail17trampoline_kernelINS0_14default_configENS1_27scan_by_key_config_selectorIxxEEZZNS1_16scan_by_key_implILNS1_25lookback_scan_determinismE0ELb1ES3_N6thrust23THRUST_200600_302600_NS6detail15normal_iteratorINS9_10device_ptrIxEEEESE_SE_xNS9_4plusIxEE19head_flag_predicatexEE10hipError_tPvRmT2_T3_T4_T5_mT6_T7_P12ihipStream_tbENKUlT_T0_E_clISt17integral_constantIbLb1EESY_EEDaST_SU_EUlST_E_NS1_11comp_targetILNS1_3genE3ELNS1_11target_archE908ELNS1_3gpuE7ELNS1_3repE0EEENS1_30default_config_static_selectorELNS0_4arch9wavefront6targetE0EEEvT1_.num_named_barrier, 0
	.set _ZN7rocprim17ROCPRIM_400000_NS6detail17trampoline_kernelINS0_14default_configENS1_27scan_by_key_config_selectorIxxEEZZNS1_16scan_by_key_implILNS1_25lookback_scan_determinismE0ELb1ES3_N6thrust23THRUST_200600_302600_NS6detail15normal_iteratorINS9_10device_ptrIxEEEESE_SE_xNS9_4plusIxEE19head_flag_predicatexEE10hipError_tPvRmT2_T3_T4_T5_mT6_T7_P12ihipStream_tbENKUlT_T0_E_clISt17integral_constantIbLb1EESY_EEDaST_SU_EUlST_E_NS1_11comp_targetILNS1_3genE3ELNS1_11target_archE908ELNS1_3gpuE7ELNS1_3repE0EEENS1_30default_config_static_selectorELNS0_4arch9wavefront6targetE0EEEvT1_.private_seg_size, 0
	.set _ZN7rocprim17ROCPRIM_400000_NS6detail17trampoline_kernelINS0_14default_configENS1_27scan_by_key_config_selectorIxxEEZZNS1_16scan_by_key_implILNS1_25lookback_scan_determinismE0ELb1ES3_N6thrust23THRUST_200600_302600_NS6detail15normal_iteratorINS9_10device_ptrIxEEEESE_SE_xNS9_4plusIxEE19head_flag_predicatexEE10hipError_tPvRmT2_T3_T4_T5_mT6_T7_P12ihipStream_tbENKUlT_T0_E_clISt17integral_constantIbLb1EESY_EEDaST_SU_EUlST_E_NS1_11comp_targetILNS1_3genE3ELNS1_11target_archE908ELNS1_3gpuE7ELNS1_3repE0EEENS1_30default_config_static_selectorELNS0_4arch9wavefront6targetE0EEEvT1_.uses_vcc, 0
	.set _ZN7rocprim17ROCPRIM_400000_NS6detail17trampoline_kernelINS0_14default_configENS1_27scan_by_key_config_selectorIxxEEZZNS1_16scan_by_key_implILNS1_25lookback_scan_determinismE0ELb1ES3_N6thrust23THRUST_200600_302600_NS6detail15normal_iteratorINS9_10device_ptrIxEEEESE_SE_xNS9_4plusIxEE19head_flag_predicatexEE10hipError_tPvRmT2_T3_T4_T5_mT6_T7_P12ihipStream_tbENKUlT_T0_E_clISt17integral_constantIbLb1EESY_EEDaST_SU_EUlST_E_NS1_11comp_targetILNS1_3genE3ELNS1_11target_archE908ELNS1_3gpuE7ELNS1_3repE0EEENS1_30default_config_static_selectorELNS0_4arch9wavefront6targetE0EEEvT1_.uses_flat_scratch, 0
	.set _ZN7rocprim17ROCPRIM_400000_NS6detail17trampoline_kernelINS0_14default_configENS1_27scan_by_key_config_selectorIxxEEZZNS1_16scan_by_key_implILNS1_25lookback_scan_determinismE0ELb1ES3_N6thrust23THRUST_200600_302600_NS6detail15normal_iteratorINS9_10device_ptrIxEEEESE_SE_xNS9_4plusIxEE19head_flag_predicatexEE10hipError_tPvRmT2_T3_T4_T5_mT6_T7_P12ihipStream_tbENKUlT_T0_E_clISt17integral_constantIbLb1EESY_EEDaST_SU_EUlST_E_NS1_11comp_targetILNS1_3genE3ELNS1_11target_archE908ELNS1_3gpuE7ELNS1_3repE0EEENS1_30default_config_static_selectorELNS0_4arch9wavefront6targetE0EEEvT1_.has_dyn_sized_stack, 0
	.set _ZN7rocprim17ROCPRIM_400000_NS6detail17trampoline_kernelINS0_14default_configENS1_27scan_by_key_config_selectorIxxEEZZNS1_16scan_by_key_implILNS1_25lookback_scan_determinismE0ELb1ES3_N6thrust23THRUST_200600_302600_NS6detail15normal_iteratorINS9_10device_ptrIxEEEESE_SE_xNS9_4plusIxEE19head_flag_predicatexEE10hipError_tPvRmT2_T3_T4_T5_mT6_T7_P12ihipStream_tbENKUlT_T0_E_clISt17integral_constantIbLb1EESY_EEDaST_SU_EUlST_E_NS1_11comp_targetILNS1_3genE3ELNS1_11target_archE908ELNS1_3gpuE7ELNS1_3repE0EEENS1_30default_config_static_selectorELNS0_4arch9wavefront6targetE0EEEvT1_.has_recursion, 0
	.set _ZN7rocprim17ROCPRIM_400000_NS6detail17trampoline_kernelINS0_14default_configENS1_27scan_by_key_config_selectorIxxEEZZNS1_16scan_by_key_implILNS1_25lookback_scan_determinismE0ELb1ES3_N6thrust23THRUST_200600_302600_NS6detail15normal_iteratorINS9_10device_ptrIxEEEESE_SE_xNS9_4plusIxEE19head_flag_predicatexEE10hipError_tPvRmT2_T3_T4_T5_mT6_T7_P12ihipStream_tbENKUlT_T0_E_clISt17integral_constantIbLb1EESY_EEDaST_SU_EUlST_E_NS1_11comp_targetILNS1_3genE3ELNS1_11target_archE908ELNS1_3gpuE7ELNS1_3repE0EEENS1_30default_config_static_selectorELNS0_4arch9wavefront6targetE0EEEvT1_.has_indirect_call, 0
	.section	.AMDGPU.csdata,"",@progbits
; Kernel info:
; codeLenInByte = 0
; TotalNumSgprs: 0
; NumVgprs: 0
; ScratchSize: 0
; MemoryBound: 0
; FloatMode: 240
; IeeeMode: 1
; LDSByteSize: 0 bytes/workgroup (compile time only)
; SGPRBlocks: 0
; VGPRBlocks: 0
; NumSGPRsForWavesPerEU: 1
; NumVGPRsForWavesPerEU: 1
; NamedBarCnt: 0
; Occupancy: 16
; WaveLimiterHint : 0
; COMPUTE_PGM_RSRC2:SCRATCH_EN: 0
; COMPUTE_PGM_RSRC2:USER_SGPR: 2
; COMPUTE_PGM_RSRC2:TRAP_HANDLER: 0
; COMPUTE_PGM_RSRC2:TGID_X_EN: 1
; COMPUTE_PGM_RSRC2:TGID_Y_EN: 0
; COMPUTE_PGM_RSRC2:TGID_Z_EN: 0
; COMPUTE_PGM_RSRC2:TIDIG_COMP_CNT: 0
	.section	.text._ZN7rocprim17ROCPRIM_400000_NS6detail17trampoline_kernelINS0_14default_configENS1_27scan_by_key_config_selectorIxxEEZZNS1_16scan_by_key_implILNS1_25lookback_scan_determinismE0ELb1ES3_N6thrust23THRUST_200600_302600_NS6detail15normal_iteratorINS9_10device_ptrIxEEEESE_SE_xNS9_4plusIxEE19head_flag_predicatexEE10hipError_tPvRmT2_T3_T4_T5_mT6_T7_P12ihipStream_tbENKUlT_T0_E_clISt17integral_constantIbLb1EESY_EEDaST_SU_EUlST_E_NS1_11comp_targetILNS1_3genE2ELNS1_11target_archE906ELNS1_3gpuE6ELNS1_3repE0EEENS1_30default_config_static_selectorELNS0_4arch9wavefront6targetE0EEEvT1_,"axG",@progbits,_ZN7rocprim17ROCPRIM_400000_NS6detail17trampoline_kernelINS0_14default_configENS1_27scan_by_key_config_selectorIxxEEZZNS1_16scan_by_key_implILNS1_25lookback_scan_determinismE0ELb1ES3_N6thrust23THRUST_200600_302600_NS6detail15normal_iteratorINS9_10device_ptrIxEEEESE_SE_xNS9_4plusIxEE19head_flag_predicatexEE10hipError_tPvRmT2_T3_T4_T5_mT6_T7_P12ihipStream_tbENKUlT_T0_E_clISt17integral_constantIbLb1EESY_EEDaST_SU_EUlST_E_NS1_11comp_targetILNS1_3genE2ELNS1_11target_archE906ELNS1_3gpuE6ELNS1_3repE0EEENS1_30default_config_static_selectorELNS0_4arch9wavefront6targetE0EEEvT1_,comdat
	.protected	_ZN7rocprim17ROCPRIM_400000_NS6detail17trampoline_kernelINS0_14default_configENS1_27scan_by_key_config_selectorIxxEEZZNS1_16scan_by_key_implILNS1_25lookback_scan_determinismE0ELb1ES3_N6thrust23THRUST_200600_302600_NS6detail15normal_iteratorINS9_10device_ptrIxEEEESE_SE_xNS9_4plusIxEE19head_flag_predicatexEE10hipError_tPvRmT2_T3_T4_T5_mT6_T7_P12ihipStream_tbENKUlT_T0_E_clISt17integral_constantIbLb1EESY_EEDaST_SU_EUlST_E_NS1_11comp_targetILNS1_3genE2ELNS1_11target_archE906ELNS1_3gpuE6ELNS1_3repE0EEENS1_30default_config_static_selectorELNS0_4arch9wavefront6targetE0EEEvT1_ ; -- Begin function _ZN7rocprim17ROCPRIM_400000_NS6detail17trampoline_kernelINS0_14default_configENS1_27scan_by_key_config_selectorIxxEEZZNS1_16scan_by_key_implILNS1_25lookback_scan_determinismE0ELb1ES3_N6thrust23THRUST_200600_302600_NS6detail15normal_iteratorINS9_10device_ptrIxEEEESE_SE_xNS9_4plusIxEE19head_flag_predicatexEE10hipError_tPvRmT2_T3_T4_T5_mT6_T7_P12ihipStream_tbENKUlT_T0_E_clISt17integral_constantIbLb1EESY_EEDaST_SU_EUlST_E_NS1_11comp_targetILNS1_3genE2ELNS1_11target_archE906ELNS1_3gpuE6ELNS1_3repE0EEENS1_30default_config_static_selectorELNS0_4arch9wavefront6targetE0EEEvT1_
	.globl	_ZN7rocprim17ROCPRIM_400000_NS6detail17trampoline_kernelINS0_14default_configENS1_27scan_by_key_config_selectorIxxEEZZNS1_16scan_by_key_implILNS1_25lookback_scan_determinismE0ELb1ES3_N6thrust23THRUST_200600_302600_NS6detail15normal_iteratorINS9_10device_ptrIxEEEESE_SE_xNS9_4plusIxEE19head_flag_predicatexEE10hipError_tPvRmT2_T3_T4_T5_mT6_T7_P12ihipStream_tbENKUlT_T0_E_clISt17integral_constantIbLb1EESY_EEDaST_SU_EUlST_E_NS1_11comp_targetILNS1_3genE2ELNS1_11target_archE906ELNS1_3gpuE6ELNS1_3repE0EEENS1_30default_config_static_selectorELNS0_4arch9wavefront6targetE0EEEvT1_
	.p2align	8
	.type	_ZN7rocprim17ROCPRIM_400000_NS6detail17trampoline_kernelINS0_14default_configENS1_27scan_by_key_config_selectorIxxEEZZNS1_16scan_by_key_implILNS1_25lookback_scan_determinismE0ELb1ES3_N6thrust23THRUST_200600_302600_NS6detail15normal_iteratorINS9_10device_ptrIxEEEESE_SE_xNS9_4plusIxEE19head_flag_predicatexEE10hipError_tPvRmT2_T3_T4_T5_mT6_T7_P12ihipStream_tbENKUlT_T0_E_clISt17integral_constantIbLb1EESY_EEDaST_SU_EUlST_E_NS1_11comp_targetILNS1_3genE2ELNS1_11target_archE906ELNS1_3gpuE6ELNS1_3repE0EEENS1_30default_config_static_selectorELNS0_4arch9wavefront6targetE0EEEvT1_,@function
_ZN7rocprim17ROCPRIM_400000_NS6detail17trampoline_kernelINS0_14default_configENS1_27scan_by_key_config_selectorIxxEEZZNS1_16scan_by_key_implILNS1_25lookback_scan_determinismE0ELb1ES3_N6thrust23THRUST_200600_302600_NS6detail15normal_iteratorINS9_10device_ptrIxEEEESE_SE_xNS9_4plusIxEE19head_flag_predicatexEE10hipError_tPvRmT2_T3_T4_T5_mT6_T7_P12ihipStream_tbENKUlT_T0_E_clISt17integral_constantIbLb1EESY_EEDaST_SU_EUlST_E_NS1_11comp_targetILNS1_3genE2ELNS1_11target_archE906ELNS1_3gpuE6ELNS1_3repE0EEENS1_30default_config_static_selectorELNS0_4arch9wavefront6targetE0EEEvT1_: ; @_ZN7rocprim17ROCPRIM_400000_NS6detail17trampoline_kernelINS0_14default_configENS1_27scan_by_key_config_selectorIxxEEZZNS1_16scan_by_key_implILNS1_25lookback_scan_determinismE0ELb1ES3_N6thrust23THRUST_200600_302600_NS6detail15normal_iteratorINS9_10device_ptrIxEEEESE_SE_xNS9_4plusIxEE19head_flag_predicatexEE10hipError_tPvRmT2_T3_T4_T5_mT6_T7_P12ihipStream_tbENKUlT_T0_E_clISt17integral_constantIbLb1EESY_EEDaST_SU_EUlST_E_NS1_11comp_targetILNS1_3genE2ELNS1_11target_archE906ELNS1_3gpuE6ELNS1_3repE0EEENS1_30default_config_static_selectorELNS0_4arch9wavefront6targetE0EEEvT1_
; %bb.0:
	.section	.rodata,"a",@progbits
	.p2align	6, 0x0
	.amdhsa_kernel _ZN7rocprim17ROCPRIM_400000_NS6detail17trampoline_kernelINS0_14default_configENS1_27scan_by_key_config_selectorIxxEEZZNS1_16scan_by_key_implILNS1_25lookback_scan_determinismE0ELb1ES3_N6thrust23THRUST_200600_302600_NS6detail15normal_iteratorINS9_10device_ptrIxEEEESE_SE_xNS9_4plusIxEE19head_flag_predicatexEE10hipError_tPvRmT2_T3_T4_T5_mT6_T7_P12ihipStream_tbENKUlT_T0_E_clISt17integral_constantIbLb1EESY_EEDaST_SU_EUlST_E_NS1_11comp_targetILNS1_3genE2ELNS1_11target_archE906ELNS1_3gpuE6ELNS1_3repE0EEENS1_30default_config_static_selectorELNS0_4arch9wavefront6targetE0EEEvT1_
		.amdhsa_group_segment_fixed_size 0
		.amdhsa_private_segment_fixed_size 0
		.amdhsa_kernarg_size 136
		.amdhsa_user_sgpr_count 2
		.amdhsa_user_sgpr_dispatch_ptr 0
		.amdhsa_user_sgpr_queue_ptr 0
		.amdhsa_user_sgpr_kernarg_segment_ptr 1
		.amdhsa_user_sgpr_dispatch_id 0
		.amdhsa_user_sgpr_kernarg_preload_length 0
		.amdhsa_user_sgpr_kernarg_preload_offset 0
		.amdhsa_user_sgpr_private_segment_size 0
		.amdhsa_wavefront_size32 1
		.amdhsa_uses_dynamic_stack 0
		.amdhsa_enable_private_segment 0
		.amdhsa_system_sgpr_workgroup_id_x 1
		.amdhsa_system_sgpr_workgroup_id_y 0
		.amdhsa_system_sgpr_workgroup_id_z 0
		.amdhsa_system_sgpr_workgroup_info 0
		.amdhsa_system_vgpr_workitem_id 0
		.amdhsa_next_free_vgpr 1
		.amdhsa_next_free_sgpr 1
		.amdhsa_named_barrier_count 0
		.amdhsa_reserve_vcc 0
		.amdhsa_float_round_mode_32 0
		.amdhsa_float_round_mode_16_64 0
		.amdhsa_float_denorm_mode_32 3
		.amdhsa_float_denorm_mode_16_64 3
		.amdhsa_fp16_overflow 0
		.amdhsa_memory_ordered 1
		.amdhsa_forward_progress 1
		.amdhsa_inst_pref_size 0
		.amdhsa_round_robin_scheduling 0
		.amdhsa_exception_fp_ieee_invalid_op 0
		.amdhsa_exception_fp_denorm_src 0
		.amdhsa_exception_fp_ieee_div_zero 0
		.amdhsa_exception_fp_ieee_overflow 0
		.amdhsa_exception_fp_ieee_underflow 0
		.amdhsa_exception_fp_ieee_inexact 0
		.amdhsa_exception_int_div_zero 0
	.end_amdhsa_kernel
	.section	.text._ZN7rocprim17ROCPRIM_400000_NS6detail17trampoline_kernelINS0_14default_configENS1_27scan_by_key_config_selectorIxxEEZZNS1_16scan_by_key_implILNS1_25lookback_scan_determinismE0ELb1ES3_N6thrust23THRUST_200600_302600_NS6detail15normal_iteratorINS9_10device_ptrIxEEEESE_SE_xNS9_4plusIxEE19head_flag_predicatexEE10hipError_tPvRmT2_T3_T4_T5_mT6_T7_P12ihipStream_tbENKUlT_T0_E_clISt17integral_constantIbLb1EESY_EEDaST_SU_EUlST_E_NS1_11comp_targetILNS1_3genE2ELNS1_11target_archE906ELNS1_3gpuE6ELNS1_3repE0EEENS1_30default_config_static_selectorELNS0_4arch9wavefront6targetE0EEEvT1_,"axG",@progbits,_ZN7rocprim17ROCPRIM_400000_NS6detail17trampoline_kernelINS0_14default_configENS1_27scan_by_key_config_selectorIxxEEZZNS1_16scan_by_key_implILNS1_25lookback_scan_determinismE0ELb1ES3_N6thrust23THRUST_200600_302600_NS6detail15normal_iteratorINS9_10device_ptrIxEEEESE_SE_xNS9_4plusIxEE19head_flag_predicatexEE10hipError_tPvRmT2_T3_T4_T5_mT6_T7_P12ihipStream_tbENKUlT_T0_E_clISt17integral_constantIbLb1EESY_EEDaST_SU_EUlST_E_NS1_11comp_targetILNS1_3genE2ELNS1_11target_archE906ELNS1_3gpuE6ELNS1_3repE0EEENS1_30default_config_static_selectorELNS0_4arch9wavefront6targetE0EEEvT1_,comdat
.Lfunc_end727:
	.size	_ZN7rocprim17ROCPRIM_400000_NS6detail17trampoline_kernelINS0_14default_configENS1_27scan_by_key_config_selectorIxxEEZZNS1_16scan_by_key_implILNS1_25lookback_scan_determinismE0ELb1ES3_N6thrust23THRUST_200600_302600_NS6detail15normal_iteratorINS9_10device_ptrIxEEEESE_SE_xNS9_4plusIxEE19head_flag_predicatexEE10hipError_tPvRmT2_T3_T4_T5_mT6_T7_P12ihipStream_tbENKUlT_T0_E_clISt17integral_constantIbLb1EESY_EEDaST_SU_EUlST_E_NS1_11comp_targetILNS1_3genE2ELNS1_11target_archE906ELNS1_3gpuE6ELNS1_3repE0EEENS1_30default_config_static_selectorELNS0_4arch9wavefront6targetE0EEEvT1_, .Lfunc_end727-_ZN7rocprim17ROCPRIM_400000_NS6detail17trampoline_kernelINS0_14default_configENS1_27scan_by_key_config_selectorIxxEEZZNS1_16scan_by_key_implILNS1_25lookback_scan_determinismE0ELb1ES3_N6thrust23THRUST_200600_302600_NS6detail15normal_iteratorINS9_10device_ptrIxEEEESE_SE_xNS9_4plusIxEE19head_flag_predicatexEE10hipError_tPvRmT2_T3_T4_T5_mT6_T7_P12ihipStream_tbENKUlT_T0_E_clISt17integral_constantIbLb1EESY_EEDaST_SU_EUlST_E_NS1_11comp_targetILNS1_3genE2ELNS1_11target_archE906ELNS1_3gpuE6ELNS1_3repE0EEENS1_30default_config_static_selectorELNS0_4arch9wavefront6targetE0EEEvT1_
                                        ; -- End function
	.set _ZN7rocprim17ROCPRIM_400000_NS6detail17trampoline_kernelINS0_14default_configENS1_27scan_by_key_config_selectorIxxEEZZNS1_16scan_by_key_implILNS1_25lookback_scan_determinismE0ELb1ES3_N6thrust23THRUST_200600_302600_NS6detail15normal_iteratorINS9_10device_ptrIxEEEESE_SE_xNS9_4plusIxEE19head_flag_predicatexEE10hipError_tPvRmT2_T3_T4_T5_mT6_T7_P12ihipStream_tbENKUlT_T0_E_clISt17integral_constantIbLb1EESY_EEDaST_SU_EUlST_E_NS1_11comp_targetILNS1_3genE2ELNS1_11target_archE906ELNS1_3gpuE6ELNS1_3repE0EEENS1_30default_config_static_selectorELNS0_4arch9wavefront6targetE0EEEvT1_.num_vgpr, 0
	.set _ZN7rocprim17ROCPRIM_400000_NS6detail17trampoline_kernelINS0_14default_configENS1_27scan_by_key_config_selectorIxxEEZZNS1_16scan_by_key_implILNS1_25lookback_scan_determinismE0ELb1ES3_N6thrust23THRUST_200600_302600_NS6detail15normal_iteratorINS9_10device_ptrIxEEEESE_SE_xNS9_4plusIxEE19head_flag_predicatexEE10hipError_tPvRmT2_T3_T4_T5_mT6_T7_P12ihipStream_tbENKUlT_T0_E_clISt17integral_constantIbLb1EESY_EEDaST_SU_EUlST_E_NS1_11comp_targetILNS1_3genE2ELNS1_11target_archE906ELNS1_3gpuE6ELNS1_3repE0EEENS1_30default_config_static_selectorELNS0_4arch9wavefront6targetE0EEEvT1_.num_agpr, 0
	.set _ZN7rocprim17ROCPRIM_400000_NS6detail17trampoline_kernelINS0_14default_configENS1_27scan_by_key_config_selectorIxxEEZZNS1_16scan_by_key_implILNS1_25lookback_scan_determinismE0ELb1ES3_N6thrust23THRUST_200600_302600_NS6detail15normal_iteratorINS9_10device_ptrIxEEEESE_SE_xNS9_4plusIxEE19head_flag_predicatexEE10hipError_tPvRmT2_T3_T4_T5_mT6_T7_P12ihipStream_tbENKUlT_T0_E_clISt17integral_constantIbLb1EESY_EEDaST_SU_EUlST_E_NS1_11comp_targetILNS1_3genE2ELNS1_11target_archE906ELNS1_3gpuE6ELNS1_3repE0EEENS1_30default_config_static_selectorELNS0_4arch9wavefront6targetE0EEEvT1_.numbered_sgpr, 0
	.set _ZN7rocprim17ROCPRIM_400000_NS6detail17trampoline_kernelINS0_14default_configENS1_27scan_by_key_config_selectorIxxEEZZNS1_16scan_by_key_implILNS1_25lookback_scan_determinismE0ELb1ES3_N6thrust23THRUST_200600_302600_NS6detail15normal_iteratorINS9_10device_ptrIxEEEESE_SE_xNS9_4plusIxEE19head_flag_predicatexEE10hipError_tPvRmT2_T3_T4_T5_mT6_T7_P12ihipStream_tbENKUlT_T0_E_clISt17integral_constantIbLb1EESY_EEDaST_SU_EUlST_E_NS1_11comp_targetILNS1_3genE2ELNS1_11target_archE906ELNS1_3gpuE6ELNS1_3repE0EEENS1_30default_config_static_selectorELNS0_4arch9wavefront6targetE0EEEvT1_.num_named_barrier, 0
	.set _ZN7rocprim17ROCPRIM_400000_NS6detail17trampoline_kernelINS0_14default_configENS1_27scan_by_key_config_selectorIxxEEZZNS1_16scan_by_key_implILNS1_25lookback_scan_determinismE0ELb1ES3_N6thrust23THRUST_200600_302600_NS6detail15normal_iteratorINS9_10device_ptrIxEEEESE_SE_xNS9_4plusIxEE19head_flag_predicatexEE10hipError_tPvRmT2_T3_T4_T5_mT6_T7_P12ihipStream_tbENKUlT_T0_E_clISt17integral_constantIbLb1EESY_EEDaST_SU_EUlST_E_NS1_11comp_targetILNS1_3genE2ELNS1_11target_archE906ELNS1_3gpuE6ELNS1_3repE0EEENS1_30default_config_static_selectorELNS0_4arch9wavefront6targetE0EEEvT1_.private_seg_size, 0
	.set _ZN7rocprim17ROCPRIM_400000_NS6detail17trampoline_kernelINS0_14default_configENS1_27scan_by_key_config_selectorIxxEEZZNS1_16scan_by_key_implILNS1_25lookback_scan_determinismE0ELb1ES3_N6thrust23THRUST_200600_302600_NS6detail15normal_iteratorINS9_10device_ptrIxEEEESE_SE_xNS9_4plusIxEE19head_flag_predicatexEE10hipError_tPvRmT2_T3_T4_T5_mT6_T7_P12ihipStream_tbENKUlT_T0_E_clISt17integral_constantIbLb1EESY_EEDaST_SU_EUlST_E_NS1_11comp_targetILNS1_3genE2ELNS1_11target_archE906ELNS1_3gpuE6ELNS1_3repE0EEENS1_30default_config_static_selectorELNS0_4arch9wavefront6targetE0EEEvT1_.uses_vcc, 0
	.set _ZN7rocprim17ROCPRIM_400000_NS6detail17trampoline_kernelINS0_14default_configENS1_27scan_by_key_config_selectorIxxEEZZNS1_16scan_by_key_implILNS1_25lookback_scan_determinismE0ELb1ES3_N6thrust23THRUST_200600_302600_NS6detail15normal_iteratorINS9_10device_ptrIxEEEESE_SE_xNS9_4plusIxEE19head_flag_predicatexEE10hipError_tPvRmT2_T3_T4_T5_mT6_T7_P12ihipStream_tbENKUlT_T0_E_clISt17integral_constantIbLb1EESY_EEDaST_SU_EUlST_E_NS1_11comp_targetILNS1_3genE2ELNS1_11target_archE906ELNS1_3gpuE6ELNS1_3repE0EEENS1_30default_config_static_selectorELNS0_4arch9wavefront6targetE0EEEvT1_.uses_flat_scratch, 0
	.set _ZN7rocprim17ROCPRIM_400000_NS6detail17trampoline_kernelINS0_14default_configENS1_27scan_by_key_config_selectorIxxEEZZNS1_16scan_by_key_implILNS1_25lookback_scan_determinismE0ELb1ES3_N6thrust23THRUST_200600_302600_NS6detail15normal_iteratorINS9_10device_ptrIxEEEESE_SE_xNS9_4plusIxEE19head_flag_predicatexEE10hipError_tPvRmT2_T3_T4_T5_mT6_T7_P12ihipStream_tbENKUlT_T0_E_clISt17integral_constantIbLb1EESY_EEDaST_SU_EUlST_E_NS1_11comp_targetILNS1_3genE2ELNS1_11target_archE906ELNS1_3gpuE6ELNS1_3repE0EEENS1_30default_config_static_selectorELNS0_4arch9wavefront6targetE0EEEvT1_.has_dyn_sized_stack, 0
	.set _ZN7rocprim17ROCPRIM_400000_NS6detail17trampoline_kernelINS0_14default_configENS1_27scan_by_key_config_selectorIxxEEZZNS1_16scan_by_key_implILNS1_25lookback_scan_determinismE0ELb1ES3_N6thrust23THRUST_200600_302600_NS6detail15normal_iteratorINS9_10device_ptrIxEEEESE_SE_xNS9_4plusIxEE19head_flag_predicatexEE10hipError_tPvRmT2_T3_T4_T5_mT6_T7_P12ihipStream_tbENKUlT_T0_E_clISt17integral_constantIbLb1EESY_EEDaST_SU_EUlST_E_NS1_11comp_targetILNS1_3genE2ELNS1_11target_archE906ELNS1_3gpuE6ELNS1_3repE0EEENS1_30default_config_static_selectorELNS0_4arch9wavefront6targetE0EEEvT1_.has_recursion, 0
	.set _ZN7rocprim17ROCPRIM_400000_NS6detail17trampoline_kernelINS0_14default_configENS1_27scan_by_key_config_selectorIxxEEZZNS1_16scan_by_key_implILNS1_25lookback_scan_determinismE0ELb1ES3_N6thrust23THRUST_200600_302600_NS6detail15normal_iteratorINS9_10device_ptrIxEEEESE_SE_xNS9_4plusIxEE19head_flag_predicatexEE10hipError_tPvRmT2_T3_T4_T5_mT6_T7_P12ihipStream_tbENKUlT_T0_E_clISt17integral_constantIbLb1EESY_EEDaST_SU_EUlST_E_NS1_11comp_targetILNS1_3genE2ELNS1_11target_archE906ELNS1_3gpuE6ELNS1_3repE0EEENS1_30default_config_static_selectorELNS0_4arch9wavefront6targetE0EEEvT1_.has_indirect_call, 0
	.section	.AMDGPU.csdata,"",@progbits
; Kernel info:
; codeLenInByte = 0
; TotalNumSgprs: 0
; NumVgprs: 0
; ScratchSize: 0
; MemoryBound: 0
; FloatMode: 240
; IeeeMode: 1
; LDSByteSize: 0 bytes/workgroup (compile time only)
; SGPRBlocks: 0
; VGPRBlocks: 0
; NumSGPRsForWavesPerEU: 1
; NumVGPRsForWavesPerEU: 1
; NamedBarCnt: 0
; Occupancy: 16
; WaveLimiterHint : 0
; COMPUTE_PGM_RSRC2:SCRATCH_EN: 0
; COMPUTE_PGM_RSRC2:USER_SGPR: 2
; COMPUTE_PGM_RSRC2:TRAP_HANDLER: 0
; COMPUTE_PGM_RSRC2:TGID_X_EN: 1
; COMPUTE_PGM_RSRC2:TGID_Y_EN: 0
; COMPUTE_PGM_RSRC2:TGID_Z_EN: 0
; COMPUTE_PGM_RSRC2:TIDIG_COMP_CNT: 0
	.section	.text._ZN7rocprim17ROCPRIM_400000_NS6detail17trampoline_kernelINS0_14default_configENS1_27scan_by_key_config_selectorIxxEEZZNS1_16scan_by_key_implILNS1_25lookback_scan_determinismE0ELb1ES3_N6thrust23THRUST_200600_302600_NS6detail15normal_iteratorINS9_10device_ptrIxEEEESE_SE_xNS9_4plusIxEE19head_flag_predicatexEE10hipError_tPvRmT2_T3_T4_T5_mT6_T7_P12ihipStream_tbENKUlT_T0_E_clISt17integral_constantIbLb1EESY_EEDaST_SU_EUlST_E_NS1_11comp_targetILNS1_3genE10ELNS1_11target_archE1200ELNS1_3gpuE4ELNS1_3repE0EEENS1_30default_config_static_selectorELNS0_4arch9wavefront6targetE0EEEvT1_,"axG",@progbits,_ZN7rocprim17ROCPRIM_400000_NS6detail17trampoline_kernelINS0_14default_configENS1_27scan_by_key_config_selectorIxxEEZZNS1_16scan_by_key_implILNS1_25lookback_scan_determinismE0ELb1ES3_N6thrust23THRUST_200600_302600_NS6detail15normal_iteratorINS9_10device_ptrIxEEEESE_SE_xNS9_4plusIxEE19head_flag_predicatexEE10hipError_tPvRmT2_T3_T4_T5_mT6_T7_P12ihipStream_tbENKUlT_T0_E_clISt17integral_constantIbLb1EESY_EEDaST_SU_EUlST_E_NS1_11comp_targetILNS1_3genE10ELNS1_11target_archE1200ELNS1_3gpuE4ELNS1_3repE0EEENS1_30default_config_static_selectorELNS0_4arch9wavefront6targetE0EEEvT1_,comdat
	.protected	_ZN7rocprim17ROCPRIM_400000_NS6detail17trampoline_kernelINS0_14default_configENS1_27scan_by_key_config_selectorIxxEEZZNS1_16scan_by_key_implILNS1_25lookback_scan_determinismE0ELb1ES3_N6thrust23THRUST_200600_302600_NS6detail15normal_iteratorINS9_10device_ptrIxEEEESE_SE_xNS9_4plusIxEE19head_flag_predicatexEE10hipError_tPvRmT2_T3_T4_T5_mT6_T7_P12ihipStream_tbENKUlT_T0_E_clISt17integral_constantIbLb1EESY_EEDaST_SU_EUlST_E_NS1_11comp_targetILNS1_3genE10ELNS1_11target_archE1200ELNS1_3gpuE4ELNS1_3repE0EEENS1_30default_config_static_selectorELNS0_4arch9wavefront6targetE0EEEvT1_ ; -- Begin function _ZN7rocprim17ROCPRIM_400000_NS6detail17trampoline_kernelINS0_14default_configENS1_27scan_by_key_config_selectorIxxEEZZNS1_16scan_by_key_implILNS1_25lookback_scan_determinismE0ELb1ES3_N6thrust23THRUST_200600_302600_NS6detail15normal_iteratorINS9_10device_ptrIxEEEESE_SE_xNS9_4plusIxEE19head_flag_predicatexEE10hipError_tPvRmT2_T3_T4_T5_mT6_T7_P12ihipStream_tbENKUlT_T0_E_clISt17integral_constantIbLb1EESY_EEDaST_SU_EUlST_E_NS1_11comp_targetILNS1_3genE10ELNS1_11target_archE1200ELNS1_3gpuE4ELNS1_3repE0EEENS1_30default_config_static_selectorELNS0_4arch9wavefront6targetE0EEEvT1_
	.globl	_ZN7rocprim17ROCPRIM_400000_NS6detail17trampoline_kernelINS0_14default_configENS1_27scan_by_key_config_selectorIxxEEZZNS1_16scan_by_key_implILNS1_25lookback_scan_determinismE0ELb1ES3_N6thrust23THRUST_200600_302600_NS6detail15normal_iteratorINS9_10device_ptrIxEEEESE_SE_xNS9_4plusIxEE19head_flag_predicatexEE10hipError_tPvRmT2_T3_T4_T5_mT6_T7_P12ihipStream_tbENKUlT_T0_E_clISt17integral_constantIbLb1EESY_EEDaST_SU_EUlST_E_NS1_11comp_targetILNS1_3genE10ELNS1_11target_archE1200ELNS1_3gpuE4ELNS1_3repE0EEENS1_30default_config_static_selectorELNS0_4arch9wavefront6targetE0EEEvT1_
	.p2align	8
	.type	_ZN7rocprim17ROCPRIM_400000_NS6detail17trampoline_kernelINS0_14default_configENS1_27scan_by_key_config_selectorIxxEEZZNS1_16scan_by_key_implILNS1_25lookback_scan_determinismE0ELb1ES3_N6thrust23THRUST_200600_302600_NS6detail15normal_iteratorINS9_10device_ptrIxEEEESE_SE_xNS9_4plusIxEE19head_flag_predicatexEE10hipError_tPvRmT2_T3_T4_T5_mT6_T7_P12ihipStream_tbENKUlT_T0_E_clISt17integral_constantIbLb1EESY_EEDaST_SU_EUlST_E_NS1_11comp_targetILNS1_3genE10ELNS1_11target_archE1200ELNS1_3gpuE4ELNS1_3repE0EEENS1_30default_config_static_selectorELNS0_4arch9wavefront6targetE0EEEvT1_,@function
_ZN7rocprim17ROCPRIM_400000_NS6detail17trampoline_kernelINS0_14default_configENS1_27scan_by_key_config_selectorIxxEEZZNS1_16scan_by_key_implILNS1_25lookback_scan_determinismE0ELb1ES3_N6thrust23THRUST_200600_302600_NS6detail15normal_iteratorINS9_10device_ptrIxEEEESE_SE_xNS9_4plusIxEE19head_flag_predicatexEE10hipError_tPvRmT2_T3_T4_T5_mT6_T7_P12ihipStream_tbENKUlT_T0_E_clISt17integral_constantIbLb1EESY_EEDaST_SU_EUlST_E_NS1_11comp_targetILNS1_3genE10ELNS1_11target_archE1200ELNS1_3gpuE4ELNS1_3repE0EEENS1_30default_config_static_selectorELNS0_4arch9wavefront6targetE0EEEvT1_: ; @_ZN7rocprim17ROCPRIM_400000_NS6detail17trampoline_kernelINS0_14default_configENS1_27scan_by_key_config_selectorIxxEEZZNS1_16scan_by_key_implILNS1_25lookback_scan_determinismE0ELb1ES3_N6thrust23THRUST_200600_302600_NS6detail15normal_iteratorINS9_10device_ptrIxEEEESE_SE_xNS9_4plusIxEE19head_flag_predicatexEE10hipError_tPvRmT2_T3_T4_T5_mT6_T7_P12ihipStream_tbENKUlT_T0_E_clISt17integral_constantIbLb1EESY_EEDaST_SU_EUlST_E_NS1_11comp_targetILNS1_3genE10ELNS1_11target_archE1200ELNS1_3gpuE4ELNS1_3repE0EEENS1_30default_config_static_selectorELNS0_4arch9wavefront6targetE0EEEvT1_
; %bb.0:
	.section	.rodata,"a",@progbits
	.p2align	6, 0x0
	.amdhsa_kernel _ZN7rocprim17ROCPRIM_400000_NS6detail17trampoline_kernelINS0_14default_configENS1_27scan_by_key_config_selectorIxxEEZZNS1_16scan_by_key_implILNS1_25lookback_scan_determinismE0ELb1ES3_N6thrust23THRUST_200600_302600_NS6detail15normal_iteratorINS9_10device_ptrIxEEEESE_SE_xNS9_4plusIxEE19head_flag_predicatexEE10hipError_tPvRmT2_T3_T4_T5_mT6_T7_P12ihipStream_tbENKUlT_T0_E_clISt17integral_constantIbLb1EESY_EEDaST_SU_EUlST_E_NS1_11comp_targetILNS1_3genE10ELNS1_11target_archE1200ELNS1_3gpuE4ELNS1_3repE0EEENS1_30default_config_static_selectorELNS0_4arch9wavefront6targetE0EEEvT1_
		.amdhsa_group_segment_fixed_size 0
		.amdhsa_private_segment_fixed_size 0
		.amdhsa_kernarg_size 136
		.amdhsa_user_sgpr_count 2
		.amdhsa_user_sgpr_dispatch_ptr 0
		.amdhsa_user_sgpr_queue_ptr 0
		.amdhsa_user_sgpr_kernarg_segment_ptr 1
		.amdhsa_user_sgpr_dispatch_id 0
		.amdhsa_user_sgpr_kernarg_preload_length 0
		.amdhsa_user_sgpr_kernarg_preload_offset 0
		.amdhsa_user_sgpr_private_segment_size 0
		.amdhsa_wavefront_size32 1
		.amdhsa_uses_dynamic_stack 0
		.amdhsa_enable_private_segment 0
		.amdhsa_system_sgpr_workgroup_id_x 1
		.amdhsa_system_sgpr_workgroup_id_y 0
		.amdhsa_system_sgpr_workgroup_id_z 0
		.amdhsa_system_sgpr_workgroup_info 0
		.amdhsa_system_vgpr_workitem_id 0
		.amdhsa_next_free_vgpr 1
		.amdhsa_next_free_sgpr 1
		.amdhsa_named_barrier_count 0
		.amdhsa_reserve_vcc 0
		.amdhsa_float_round_mode_32 0
		.amdhsa_float_round_mode_16_64 0
		.amdhsa_float_denorm_mode_32 3
		.amdhsa_float_denorm_mode_16_64 3
		.amdhsa_fp16_overflow 0
		.amdhsa_memory_ordered 1
		.amdhsa_forward_progress 1
		.amdhsa_inst_pref_size 0
		.amdhsa_round_robin_scheduling 0
		.amdhsa_exception_fp_ieee_invalid_op 0
		.amdhsa_exception_fp_denorm_src 0
		.amdhsa_exception_fp_ieee_div_zero 0
		.amdhsa_exception_fp_ieee_overflow 0
		.amdhsa_exception_fp_ieee_underflow 0
		.amdhsa_exception_fp_ieee_inexact 0
		.amdhsa_exception_int_div_zero 0
	.end_amdhsa_kernel
	.section	.text._ZN7rocprim17ROCPRIM_400000_NS6detail17trampoline_kernelINS0_14default_configENS1_27scan_by_key_config_selectorIxxEEZZNS1_16scan_by_key_implILNS1_25lookback_scan_determinismE0ELb1ES3_N6thrust23THRUST_200600_302600_NS6detail15normal_iteratorINS9_10device_ptrIxEEEESE_SE_xNS9_4plusIxEE19head_flag_predicatexEE10hipError_tPvRmT2_T3_T4_T5_mT6_T7_P12ihipStream_tbENKUlT_T0_E_clISt17integral_constantIbLb1EESY_EEDaST_SU_EUlST_E_NS1_11comp_targetILNS1_3genE10ELNS1_11target_archE1200ELNS1_3gpuE4ELNS1_3repE0EEENS1_30default_config_static_selectorELNS0_4arch9wavefront6targetE0EEEvT1_,"axG",@progbits,_ZN7rocprim17ROCPRIM_400000_NS6detail17trampoline_kernelINS0_14default_configENS1_27scan_by_key_config_selectorIxxEEZZNS1_16scan_by_key_implILNS1_25lookback_scan_determinismE0ELb1ES3_N6thrust23THRUST_200600_302600_NS6detail15normal_iteratorINS9_10device_ptrIxEEEESE_SE_xNS9_4plusIxEE19head_flag_predicatexEE10hipError_tPvRmT2_T3_T4_T5_mT6_T7_P12ihipStream_tbENKUlT_T0_E_clISt17integral_constantIbLb1EESY_EEDaST_SU_EUlST_E_NS1_11comp_targetILNS1_3genE10ELNS1_11target_archE1200ELNS1_3gpuE4ELNS1_3repE0EEENS1_30default_config_static_selectorELNS0_4arch9wavefront6targetE0EEEvT1_,comdat
.Lfunc_end728:
	.size	_ZN7rocprim17ROCPRIM_400000_NS6detail17trampoline_kernelINS0_14default_configENS1_27scan_by_key_config_selectorIxxEEZZNS1_16scan_by_key_implILNS1_25lookback_scan_determinismE0ELb1ES3_N6thrust23THRUST_200600_302600_NS6detail15normal_iteratorINS9_10device_ptrIxEEEESE_SE_xNS9_4plusIxEE19head_flag_predicatexEE10hipError_tPvRmT2_T3_T4_T5_mT6_T7_P12ihipStream_tbENKUlT_T0_E_clISt17integral_constantIbLb1EESY_EEDaST_SU_EUlST_E_NS1_11comp_targetILNS1_3genE10ELNS1_11target_archE1200ELNS1_3gpuE4ELNS1_3repE0EEENS1_30default_config_static_selectorELNS0_4arch9wavefront6targetE0EEEvT1_, .Lfunc_end728-_ZN7rocprim17ROCPRIM_400000_NS6detail17trampoline_kernelINS0_14default_configENS1_27scan_by_key_config_selectorIxxEEZZNS1_16scan_by_key_implILNS1_25lookback_scan_determinismE0ELb1ES3_N6thrust23THRUST_200600_302600_NS6detail15normal_iteratorINS9_10device_ptrIxEEEESE_SE_xNS9_4plusIxEE19head_flag_predicatexEE10hipError_tPvRmT2_T3_T4_T5_mT6_T7_P12ihipStream_tbENKUlT_T0_E_clISt17integral_constantIbLb1EESY_EEDaST_SU_EUlST_E_NS1_11comp_targetILNS1_3genE10ELNS1_11target_archE1200ELNS1_3gpuE4ELNS1_3repE0EEENS1_30default_config_static_selectorELNS0_4arch9wavefront6targetE0EEEvT1_
                                        ; -- End function
	.set _ZN7rocprim17ROCPRIM_400000_NS6detail17trampoline_kernelINS0_14default_configENS1_27scan_by_key_config_selectorIxxEEZZNS1_16scan_by_key_implILNS1_25lookback_scan_determinismE0ELb1ES3_N6thrust23THRUST_200600_302600_NS6detail15normal_iteratorINS9_10device_ptrIxEEEESE_SE_xNS9_4plusIxEE19head_flag_predicatexEE10hipError_tPvRmT2_T3_T4_T5_mT6_T7_P12ihipStream_tbENKUlT_T0_E_clISt17integral_constantIbLb1EESY_EEDaST_SU_EUlST_E_NS1_11comp_targetILNS1_3genE10ELNS1_11target_archE1200ELNS1_3gpuE4ELNS1_3repE0EEENS1_30default_config_static_selectorELNS0_4arch9wavefront6targetE0EEEvT1_.num_vgpr, 0
	.set _ZN7rocprim17ROCPRIM_400000_NS6detail17trampoline_kernelINS0_14default_configENS1_27scan_by_key_config_selectorIxxEEZZNS1_16scan_by_key_implILNS1_25lookback_scan_determinismE0ELb1ES3_N6thrust23THRUST_200600_302600_NS6detail15normal_iteratorINS9_10device_ptrIxEEEESE_SE_xNS9_4plusIxEE19head_flag_predicatexEE10hipError_tPvRmT2_T3_T4_T5_mT6_T7_P12ihipStream_tbENKUlT_T0_E_clISt17integral_constantIbLb1EESY_EEDaST_SU_EUlST_E_NS1_11comp_targetILNS1_3genE10ELNS1_11target_archE1200ELNS1_3gpuE4ELNS1_3repE0EEENS1_30default_config_static_selectorELNS0_4arch9wavefront6targetE0EEEvT1_.num_agpr, 0
	.set _ZN7rocprim17ROCPRIM_400000_NS6detail17trampoline_kernelINS0_14default_configENS1_27scan_by_key_config_selectorIxxEEZZNS1_16scan_by_key_implILNS1_25lookback_scan_determinismE0ELb1ES3_N6thrust23THRUST_200600_302600_NS6detail15normal_iteratorINS9_10device_ptrIxEEEESE_SE_xNS9_4plusIxEE19head_flag_predicatexEE10hipError_tPvRmT2_T3_T4_T5_mT6_T7_P12ihipStream_tbENKUlT_T0_E_clISt17integral_constantIbLb1EESY_EEDaST_SU_EUlST_E_NS1_11comp_targetILNS1_3genE10ELNS1_11target_archE1200ELNS1_3gpuE4ELNS1_3repE0EEENS1_30default_config_static_selectorELNS0_4arch9wavefront6targetE0EEEvT1_.numbered_sgpr, 0
	.set _ZN7rocprim17ROCPRIM_400000_NS6detail17trampoline_kernelINS0_14default_configENS1_27scan_by_key_config_selectorIxxEEZZNS1_16scan_by_key_implILNS1_25lookback_scan_determinismE0ELb1ES3_N6thrust23THRUST_200600_302600_NS6detail15normal_iteratorINS9_10device_ptrIxEEEESE_SE_xNS9_4plusIxEE19head_flag_predicatexEE10hipError_tPvRmT2_T3_T4_T5_mT6_T7_P12ihipStream_tbENKUlT_T0_E_clISt17integral_constantIbLb1EESY_EEDaST_SU_EUlST_E_NS1_11comp_targetILNS1_3genE10ELNS1_11target_archE1200ELNS1_3gpuE4ELNS1_3repE0EEENS1_30default_config_static_selectorELNS0_4arch9wavefront6targetE0EEEvT1_.num_named_barrier, 0
	.set _ZN7rocprim17ROCPRIM_400000_NS6detail17trampoline_kernelINS0_14default_configENS1_27scan_by_key_config_selectorIxxEEZZNS1_16scan_by_key_implILNS1_25lookback_scan_determinismE0ELb1ES3_N6thrust23THRUST_200600_302600_NS6detail15normal_iteratorINS9_10device_ptrIxEEEESE_SE_xNS9_4plusIxEE19head_flag_predicatexEE10hipError_tPvRmT2_T3_T4_T5_mT6_T7_P12ihipStream_tbENKUlT_T0_E_clISt17integral_constantIbLb1EESY_EEDaST_SU_EUlST_E_NS1_11comp_targetILNS1_3genE10ELNS1_11target_archE1200ELNS1_3gpuE4ELNS1_3repE0EEENS1_30default_config_static_selectorELNS0_4arch9wavefront6targetE0EEEvT1_.private_seg_size, 0
	.set _ZN7rocprim17ROCPRIM_400000_NS6detail17trampoline_kernelINS0_14default_configENS1_27scan_by_key_config_selectorIxxEEZZNS1_16scan_by_key_implILNS1_25lookback_scan_determinismE0ELb1ES3_N6thrust23THRUST_200600_302600_NS6detail15normal_iteratorINS9_10device_ptrIxEEEESE_SE_xNS9_4plusIxEE19head_flag_predicatexEE10hipError_tPvRmT2_T3_T4_T5_mT6_T7_P12ihipStream_tbENKUlT_T0_E_clISt17integral_constantIbLb1EESY_EEDaST_SU_EUlST_E_NS1_11comp_targetILNS1_3genE10ELNS1_11target_archE1200ELNS1_3gpuE4ELNS1_3repE0EEENS1_30default_config_static_selectorELNS0_4arch9wavefront6targetE0EEEvT1_.uses_vcc, 0
	.set _ZN7rocprim17ROCPRIM_400000_NS6detail17trampoline_kernelINS0_14default_configENS1_27scan_by_key_config_selectorIxxEEZZNS1_16scan_by_key_implILNS1_25lookback_scan_determinismE0ELb1ES3_N6thrust23THRUST_200600_302600_NS6detail15normal_iteratorINS9_10device_ptrIxEEEESE_SE_xNS9_4plusIxEE19head_flag_predicatexEE10hipError_tPvRmT2_T3_T4_T5_mT6_T7_P12ihipStream_tbENKUlT_T0_E_clISt17integral_constantIbLb1EESY_EEDaST_SU_EUlST_E_NS1_11comp_targetILNS1_3genE10ELNS1_11target_archE1200ELNS1_3gpuE4ELNS1_3repE0EEENS1_30default_config_static_selectorELNS0_4arch9wavefront6targetE0EEEvT1_.uses_flat_scratch, 0
	.set _ZN7rocprim17ROCPRIM_400000_NS6detail17trampoline_kernelINS0_14default_configENS1_27scan_by_key_config_selectorIxxEEZZNS1_16scan_by_key_implILNS1_25lookback_scan_determinismE0ELb1ES3_N6thrust23THRUST_200600_302600_NS6detail15normal_iteratorINS9_10device_ptrIxEEEESE_SE_xNS9_4plusIxEE19head_flag_predicatexEE10hipError_tPvRmT2_T3_T4_T5_mT6_T7_P12ihipStream_tbENKUlT_T0_E_clISt17integral_constantIbLb1EESY_EEDaST_SU_EUlST_E_NS1_11comp_targetILNS1_3genE10ELNS1_11target_archE1200ELNS1_3gpuE4ELNS1_3repE0EEENS1_30default_config_static_selectorELNS0_4arch9wavefront6targetE0EEEvT1_.has_dyn_sized_stack, 0
	.set _ZN7rocprim17ROCPRIM_400000_NS6detail17trampoline_kernelINS0_14default_configENS1_27scan_by_key_config_selectorIxxEEZZNS1_16scan_by_key_implILNS1_25lookback_scan_determinismE0ELb1ES3_N6thrust23THRUST_200600_302600_NS6detail15normal_iteratorINS9_10device_ptrIxEEEESE_SE_xNS9_4plusIxEE19head_flag_predicatexEE10hipError_tPvRmT2_T3_T4_T5_mT6_T7_P12ihipStream_tbENKUlT_T0_E_clISt17integral_constantIbLb1EESY_EEDaST_SU_EUlST_E_NS1_11comp_targetILNS1_3genE10ELNS1_11target_archE1200ELNS1_3gpuE4ELNS1_3repE0EEENS1_30default_config_static_selectorELNS0_4arch9wavefront6targetE0EEEvT1_.has_recursion, 0
	.set _ZN7rocprim17ROCPRIM_400000_NS6detail17trampoline_kernelINS0_14default_configENS1_27scan_by_key_config_selectorIxxEEZZNS1_16scan_by_key_implILNS1_25lookback_scan_determinismE0ELb1ES3_N6thrust23THRUST_200600_302600_NS6detail15normal_iteratorINS9_10device_ptrIxEEEESE_SE_xNS9_4plusIxEE19head_flag_predicatexEE10hipError_tPvRmT2_T3_T4_T5_mT6_T7_P12ihipStream_tbENKUlT_T0_E_clISt17integral_constantIbLb1EESY_EEDaST_SU_EUlST_E_NS1_11comp_targetILNS1_3genE10ELNS1_11target_archE1200ELNS1_3gpuE4ELNS1_3repE0EEENS1_30default_config_static_selectorELNS0_4arch9wavefront6targetE0EEEvT1_.has_indirect_call, 0
	.section	.AMDGPU.csdata,"",@progbits
; Kernel info:
; codeLenInByte = 0
; TotalNumSgprs: 0
; NumVgprs: 0
; ScratchSize: 0
; MemoryBound: 0
; FloatMode: 240
; IeeeMode: 1
; LDSByteSize: 0 bytes/workgroup (compile time only)
; SGPRBlocks: 0
; VGPRBlocks: 0
; NumSGPRsForWavesPerEU: 1
; NumVGPRsForWavesPerEU: 1
; NamedBarCnt: 0
; Occupancy: 16
; WaveLimiterHint : 0
; COMPUTE_PGM_RSRC2:SCRATCH_EN: 0
; COMPUTE_PGM_RSRC2:USER_SGPR: 2
; COMPUTE_PGM_RSRC2:TRAP_HANDLER: 0
; COMPUTE_PGM_RSRC2:TGID_X_EN: 1
; COMPUTE_PGM_RSRC2:TGID_Y_EN: 0
; COMPUTE_PGM_RSRC2:TGID_Z_EN: 0
; COMPUTE_PGM_RSRC2:TIDIG_COMP_CNT: 0
	.section	.text._ZN7rocprim17ROCPRIM_400000_NS6detail17trampoline_kernelINS0_14default_configENS1_27scan_by_key_config_selectorIxxEEZZNS1_16scan_by_key_implILNS1_25lookback_scan_determinismE0ELb1ES3_N6thrust23THRUST_200600_302600_NS6detail15normal_iteratorINS9_10device_ptrIxEEEESE_SE_xNS9_4plusIxEE19head_flag_predicatexEE10hipError_tPvRmT2_T3_T4_T5_mT6_T7_P12ihipStream_tbENKUlT_T0_E_clISt17integral_constantIbLb1EESY_EEDaST_SU_EUlST_E_NS1_11comp_targetILNS1_3genE9ELNS1_11target_archE1100ELNS1_3gpuE3ELNS1_3repE0EEENS1_30default_config_static_selectorELNS0_4arch9wavefront6targetE0EEEvT1_,"axG",@progbits,_ZN7rocprim17ROCPRIM_400000_NS6detail17trampoline_kernelINS0_14default_configENS1_27scan_by_key_config_selectorIxxEEZZNS1_16scan_by_key_implILNS1_25lookback_scan_determinismE0ELb1ES3_N6thrust23THRUST_200600_302600_NS6detail15normal_iteratorINS9_10device_ptrIxEEEESE_SE_xNS9_4plusIxEE19head_flag_predicatexEE10hipError_tPvRmT2_T3_T4_T5_mT6_T7_P12ihipStream_tbENKUlT_T0_E_clISt17integral_constantIbLb1EESY_EEDaST_SU_EUlST_E_NS1_11comp_targetILNS1_3genE9ELNS1_11target_archE1100ELNS1_3gpuE3ELNS1_3repE0EEENS1_30default_config_static_selectorELNS0_4arch9wavefront6targetE0EEEvT1_,comdat
	.protected	_ZN7rocprim17ROCPRIM_400000_NS6detail17trampoline_kernelINS0_14default_configENS1_27scan_by_key_config_selectorIxxEEZZNS1_16scan_by_key_implILNS1_25lookback_scan_determinismE0ELb1ES3_N6thrust23THRUST_200600_302600_NS6detail15normal_iteratorINS9_10device_ptrIxEEEESE_SE_xNS9_4plusIxEE19head_flag_predicatexEE10hipError_tPvRmT2_T3_T4_T5_mT6_T7_P12ihipStream_tbENKUlT_T0_E_clISt17integral_constantIbLb1EESY_EEDaST_SU_EUlST_E_NS1_11comp_targetILNS1_3genE9ELNS1_11target_archE1100ELNS1_3gpuE3ELNS1_3repE0EEENS1_30default_config_static_selectorELNS0_4arch9wavefront6targetE0EEEvT1_ ; -- Begin function _ZN7rocprim17ROCPRIM_400000_NS6detail17trampoline_kernelINS0_14default_configENS1_27scan_by_key_config_selectorIxxEEZZNS1_16scan_by_key_implILNS1_25lookback_scan_determinismE0ELb1ES3_N6thrust23THRUST_200600_302600_NS6detail15normal_iteratorINS9_10device_ptrIxEEEESE_SE_xNS9_4plusIxEE19head_flag_predicatexEE10hipError_tPvRmT2_T3_T4_T5_mT6_T7_P12ihipStream_tbENKUlT_T0_E_clISt17integral_constantIbLb1EESY_EEDaST_SU_EUlST_E_NS1_11comp_targetILNS1_3genE9ELNS1_11target_archE1100ELNS1_3gpuE3ELNS1_3repE0EEENS1_30default_config_static_selectorELNS0_4arch9wavefront6targetE0EEEvT1_
	.globl	_ZN7rocprim17ROCPRIM_400000_NS6detail17trampoline_kernelINS0_14default_configENS1_27scan_by_key_config_selectorIxxEEZZNS1_16scan_by_key_implILNS1_25lookback_scan_determinismE0ELb1ES3_N6thrust23THRUST_200600_302600_NS6detail15normal_iteratorINS9_10device_ptrIxEEEESE_SE_xNS9_4plusIxEE19head_flag_predicatexEE10hipError_tPvRmT2_T3_T4_T5_mT6_T7_P12ihipStream_tbENKUlT_T0_E_clISt17integral_constantIbLb1EESY_EEDaST_SU_EUlST_E_NS1_11comp_targetILNS1_3genE9ELNS1_11target_archE1100ELNS1_3gpuE3ELNS1_3repE0EEENS1_30default_config_static_selectorELNS0_4arch9wavefront6targetE0EEEvT1_
	.p2align	8
	.type	_ZN7rocprim17ROCPRIM_400000_NS6detail17trampoline_kernelINS0_14default_configENS1_27scan_by_key_config_selectorIxxEEZZNS1_16scan_by_key_implILNS1_25lookback_scan_determinismE0ELb1ES3_N6thrust23THRUST_200600_302600_NS6detail15normal_iteratorINS9_10device_ptrIxEEEESE_SE_xNS9_4plusIxEE19head_flag_predicatexEE10hipError_tPvRmT2_T3_T4_T5_mT6_T7_P12ihipStream_tbENKUlT_T0_E_clISt17integral_constantIbLb1EESY_EEDaST_SU_EUlST_E_NS1_11comp_targetILNS1_3genE9ELNS1_11target_archE1100ELNS1_3gpuE3ELNS1_3repE0EEENS1_30default_config_static_selectorELNS0_4arch9wavefront6targetE0EEEvT1_,@function
_ZN7rocprim17ROCPRIM_400000_NS6detail17trampoline_kernelINS0_14default_configENS1_27scan_by_key_config_selectorIxxEEZZNS1_16scan_by_key_implILNS1_25lookback_scan_determinismE0ELb1ES3_N6thrust23THRUST_200600_302600_NS6detail15normal_iteratorINS9_10device_ptrIxEEEESE_SE_xNS9_4plusIxEE19head_flag_predicatexEE10hipError_tPvRmT2_T3_T4_T5_mT6_T7_P12ihipStream_tbENKUlT_T0_E_clISt17integral_constantIbLb1EESY_EEDaST_SU_EUlST_E_NS1_11comp_targetILNS1_3genE9ELNS1_11target_archE1100ELNS1_3gpuE3ELNS1_3repE0EEENS1_30default_config_static_selectorELNS0_4arch9wavefront6targetE0EEEvT1_: ; @_ZN7rocprim17ROCPRIM_400000_NS6detail17trampoline_kernelINS0_14default_configENS1_27scan_by_key_config_selectorIxxEEZZNS1_16scan_by_key_implILNS1_25lookback_scan_determinismE0ELb1ES3_N6thrust23THRUST_200600_302600_NS6detail15normal_iteratorINS9_10device_ptrIxEEEESE_SE_xNS9_4plusIxEE19head_flag_predicatexEE10hipError_tPvRmT2_T3_T4_T5_mT6_T7_P12ihipStream_tbENKUlT_T0_E_clISt17integral_constantIbLb1EESY_EEDaST_SU_EUlST_E_NS1_11comp_targetILNS1_3genE9ELNS1_11target_archE1100ELNS1_3gpuE3ELNS1_3repE0EEENS1_30default_config_static_selectorELNS0_4arch9wavefront6targetE0EEEvT1_
; %bb.0:
	.section	.rodata,"a",@progbits
	.p2align	6, 0x0
	.amdhsa_kernel _ZN7rocprim17ROCPRIM_400000_NS6detail17trampoline_kernelINS0_14default_configENS1_27scan_by_key_config_selectorIxxEEZZNS1_16scan_by_key_implILNS1_25lookback_scan_determinismE0ELb1ES3_N6thrust23THRUST_200600_302600_NS6detail15normal_iteratorINS9_10device_ptrIxEEEESE_SE_xNS9_4plusIxEE19head_flag_predicatexEE10hipError_tPvRmT2_T3_T4_T5_mT6_T7_P12ihipStream_tbENKUlT_T0_E_clISt17integral_constantIbLb1EESY_EEDaST_SU_EUlST_E_NS1_11comp_targetILNS1_3genE9ELNS1_11target_archE1100ELNS1_3gpuE3ELNS1_3repE0EEENS1_30default_config_static_selectorELNS0_4arch9wavefront6targetE0EEEvT1_
		.amdhsa_group_segment_fixed_size 0
		.amdhsa_private_segment_fixed_size 0
		.amdhsa_kernarg_size 136
		.amdhsa_user_sgpr_count 2
		.amdhsa_user_sgpr_dispatch_ptr 0
		.amdhsa_user_sgpr_queue_ptr 0
		.amdhsa_user_sgpr_kernarg_segment_ptr 1
		.amdhsa_user_sgpr_dispatch_id 0
		.amdhsa_user_sgpr_kernarg_preload_length 0
		.amdhsa_user_sgpr_kernarg_preload_offset 0
		.amdhsa_user_sgpr_private_segment_size 0
		.amdhsa_wavefront_size32 1
		.amdhsa_uses_dynamic_stack 0
		.amdhsa_enable_private_segment 0
		.amdhsa_system_sgpr_workgroup_id_x 1
		.amdhsa_system_sgpr_workgroup_id_y 0
		.amdhsa_system_sgpr_workgroup_id_z 0
		.amdhsa_system_sgpr_workgroup_info 0
		.amdhsa_system_vgpr_workitem_id 0
		.amdhsa_next_free_vgpr 1
		.amdhsa_next_free_sgpr 1
		.amdhsa_named_barrier_count 0
		.amdhsa_reserve_vcc 0
		.amdhsa_float_round_mode_32 0
		.amdhsa_float_round_mode_16_64 0
		.amdhsa_float_denorm_mode_32 3
		.amdhsa_float_denorm_mode_16_64 3
		.amdhsa_fp16_overflow 0
		.amdhsa_memory_ordered 1
		.amdhsa_forward_progress 1
		.amdhsa_inst_pref_size 0
		.amdhsa_round_robin_scheduling 0
		.amdhsa_exception_fp_ieee_invalid_op 0
		.amdhsa_exception_fp_denorm_src 0
		.amdhsa_exception_fp_ieee_div_zero 0
		.amdhsa_exception_fp_ieee_overflow 0
		.amdhsa_exception_fp_ieee_underflow 0
		.amdhsa_exception_fp_ieee_inexact 0
		.amdhsa_exception_int_div_zero 0
	.end_amdhsa_kernel
	.section	.text._ZN7rocprim17ROCPRIM_400000_NS6detail17trampoline_kernelINS0_14default_configENS1_27scan_by_key_config_selectorIxxEEZZNS1_16scan_by_key_implILNS1_25lookback_scan_determinismE0ELb1ES3_N6thrust23THRUST_200600_302600_NS6detail15normal_iteratorINS9_10device_ptrIxEEEESE_SE_xNS9_4plusIxEE19head_flag_predicatexEE10hipError_tPvRmT2_T3_T4_T5_mT6_T7_P12ihipStream_tbENKUlT_T0_E_clISt17integral_constantIbLb1EESY_EEDaST_SU_EUlST_E_NS1_11comp_targetILNS1_3genE9ELNS1_11target_archE1100ELNS1_3gpuE3ELNS1_3repE0EEENS1_30default_config_static_selectorELNS0_4arch9wavefront6targetE0EEEvT1_,"axG",@progbits,_ZN7rocprim17ROCPRIM_400000_NS6detail17trampoline_kernelINS0_14default_configENS1_27scan_by_key_config_selectorIxxEEZZNS1_16scan_by_key_implILNS1_25lookback_scan_determinismE0ELb1ES3_N6thrust23THRUST_200600_302600_NS6detail15normal_iteratorINS9_10device_ptrIxEEEESE_SE_xNS9_4plusIxEE19head_flag_predicatexEE10hipError_tPvRmT2_T3_T4_T5_mT6_T7_P12ihipStream_tbENKUlT_T0_E_clISt17integral_constantIbLb1EESY_EEDaST_SU_EUlST_E_NS1_11comp_targetILNS1_3genE9ELNS1_11target_archE1100ELNS1_3gpuE3ELNS1_3repE0EEENS1_30default_config_static_selectorELNS0_4arch9wavefront6targetE0EEEvT1_,comdat
.Lfunc_end729:
	.size	_ZN7rocprim17ROCPRIM_400000_NS6detail17trampoline_kernelINS0_14default_configENS1_27scan_by_key_config_selectorIxxEEZZNS1_16scan_by_key_implILNS1_25lookback_scan_determinismE0ELb1ES3_N6thrust23THRUST_200600_302600_NS6detail15normal_iteratorINS9_10device_ptrIxEEEESE_SE_xNS9_4plusIxEE19head_flag_predicatexEE10hipError_tPvRmT2_T3_T4_T5_mT6_T7_P12ihipStream_tbENKUlT_T0_E_clISt17integral_constantIbLb1EESY_EEDaST_SU_EUlST_E_NS1_11comp_targetILNS1_3genE9ELNS1_11target_archE1100ELNS1_3gpuE3ELNS1_3repE0EEENS1_30default_config_static_selectorELNS0_4arch9wavefront6targetE0EEEvT1_, .Lfunc_end729-_ZN7rocprim17ROCPRIM_400000_NS6detail17trampoline_kernelINS0_14default_configENS1_27scan_by_key_config_selectorIxxEEZZNS1_16scan_by_key_implILNS1_25lookback_scan_determinismE0ELb1ES3_N6thrust23THRUST_200600_302600_NS6detail15normal_iteratorINS9_10device_ptrIxEEEESE_SE_xNS9_4plusIxEE19head_flag_predicatexEE10hipError_tPvRmT2_T3_T4_T5_mT6_T7_P12ihipStream_tbENKUlT_T0_E_clISt17integral_constantIbLb1EESY_EEDaST_SU_EUlST_E_NS1_11comp_targetILNS1_3genE9ELNS1_11target_archE1100ELNS1_3gpuE3ELNS1_3repE0EEENS1_30default_config_static_selectorELNS0_4arch9wavefront6targetE0EEEvT1_
                                        ; -- End function
	.set _ZN7rocprim17ROCPRIM_400000_NS6detail17trampoline_kernelINS0_14default_configENS1_27scan_by_key_config_selectorIxxEEZZNS1_16scan_by_key_implILNS1_25lookback_scan_determinismE0ELb1ES3_N6thrust23THRUST_200600_302600_NS6detail15normal_iteratorINS9_10device_ptrIxEEEESE_SE_xNS9_4plusIxEE19head_flag_predicatexEE10hipError_tPvRmT2_T3_T4_T5_mT6_T7_P12ihipStream_tbENKUlT_T0_E_clISt17integral_constantIbLb1EESY_EEDaST_SU_EUlST_E_NS1_11comp_targetILNS1_3genE9ELNS1_11target_archE1100ELNS1_3gpuE3ELNS1_3repE0EEENS1_30default_config_static_selectorELNS0_4arch9wavefront6targetE0EEEvT1_.num_vgpr, 0
	.set _ZN7rocprim17ROCPRIM_400000_NS6detail17trampoline_kernelINS0_14default_configENS1_27scan_by_key_config_selectorIxxEEZZNS1_16scan_by_key_implILNS1_25lookback_scan_determinismE0ELb1ES3_N6thrust23THRUST_200600_302600_NS6detail15normal_iteratorINS9_10device_ptrIxEEEESE_SE_xNS9_4plusIxEE19head_flag_predicatexEE10hipError_tPvRmT2_T3_T4_T5_mT6_T7_P12ihipStream_tbENKUlT_T0_E_clISt17integral_constantIbLb1EESY_EEDaST_SU_EUlST_E_NS1_11comp_targetILNS1_3genE9ELNS1_11target_archE1100ELNS1_3gpuE3ELNS1_3repE0EEENS1_30default_config_static_selectorELNS0_4arch9wavefront6targetE0EEEvT1_.num_agpr, 0
	.set _ZN7rocprim17ROCPRIM_400000_NS6detail17trampoline_kernelINS0_14default_configENS1_27scan_by_key_config_selectorIxxEEZZNS1_16scan_by_key_implILNS1_25lookback_scan_determinismE0ELb1ES3_N6thrust23THRUST_200600_302600_NS6detail15normal_iteratorINS9_10device_ptrIxEEEESE_SE_xNS9_4plusIxEE19head_flag_predicatexEE10hipError_tPvRmT2_T3_T4_T5_mT6_T7_P12ihipStream_tbENKUlT_T0_E_clISt17integral_constantIbLb1EESY_EEDaST_SU_EUlST_E_NS1_11comp_targetILNS1_3genE9ELNS1_11target_archE1100ELNS1_3gpuE3ELNS1_3repE0EEENS1_30default_config_static_selectorELNS0_4arch9wavefront6targetE0EEEvT1_.numbered_sgpr, 0
	.set _ZN7rocprim17ROCPRIM_400000_NS6detail17trampoline_kernelINS0_14default_configENS1_27scan_by_key_config_selectorIxxEEZZNS1_16scan_by_key_implILNS1_25lookback_scan_determinismE0ELb1ES3_N6thrust23THRUST_200600_302600_NS6detail15normal_iteratorINS9_10device_ptrIxEEEESE_SE_xNS9_4plusIxEE19head_flag_predicatexEE10hipError_tPvRmT2_T3_T4_T5_mT6_T7_P12ihipStream_tbENKUlT_T0_E_clISt17integral_constantIbLb1EESY_EEDaST_SU_EUlST_E_NS1_11comp_targetILNS1_3genE9ELNS1_11target_archE1100ELNS1_3gpuE3ELNS1_3repE0EEENS1_30default_config_static_selectorELNS0_4arch9wavefront6targetE0EEEvT1_.num_named_barrier, 0
	.set _ZN7rocprim17ROCPRIM_400000_NS6detail17trampoline_kernelINS0_14default_configENS1_27scan_by_key_config_selectorIxxEEZZNS1_16scan_by_key_implILNS1_25lookback_scan_determinismE0ELb1ES3_N6thrust23THRUST_200600_302600_NS6detail15normal_iteratorINS9_10device_ptrIxEEEESE_SE_xNS9_4plusIxEE19head_flag_predicatexEE10hipError_tPvRmT2_T3_T4_T5_mT6_T7_P12ihipStream_tbENKUlT_T0_E_clISt17integral_constantIbLb1EESY_EEDaST_SU_EUlST_E_NS1_11comp_targetILNS1_3genE9ELNS1_11target_archE1100ELNS1_3gpuE3ELNS1_3repE0EEENS1_30default_config_static_selectorELNS0_4arch9wavefront6targetE0EEEvT1_.private_seg_size, 0
	.set _ZN7rocprim17ROCPRIM_400000_NS6detail17trampoline_kernelINS0_14default_configENS1_27scan_by_key_config_selectorIxxEEZZNS1_16scan_by_key_implILNS1_25lookback_scan_determinismE0ELb1ES3_N6thrust23THRUST_200600_302600_NS6detail15normal_iteratorINS9_10device_ptrIxEEEESE_SE_xNS9_4plusIxEE19head_flag_predicatexEE10hipError_tPvRmT2_T3_T4_T5_mT6_T7_P12ihipStream_tbENKUlT_T0_E_clISt17integral_constantIbLb1EESY_EEDaST_SU_EUlST_E_NS1_11comp_targetILNS1_3genE9ELNS1_11target_archE1100ELNS1_3gpuE3ELNS1_3repE0EEENS1_30default_config_static_selectorELNS0_4arch9wavefront6targetE0EEEvT1_.uses_vcc, 0
	.set _ZN7rocprim17ROCPRIM_400000_NS6detail17trampoline_kernelINS0_14default_configENS1_27scan_by_key_config_selectorIxxEEZZNS1_16scan_by_key_implILNS1_25lookback_scan_determinismE0ELb1ES3_N6thrust23THRUST_200600_302600_NS6detail15normal_iteratorINS9_10device_ptrIxEEEESE_SE_xNS9_4plusIxEE19head_flag_predicatexEE10hipError_tPvRmT2_T3_T4_T5_mT6_T7_P12ihipStream_tbENKUlT_T0_E_clISt17integral_constantIbLb1EESY_EEDaST_SU_EUlST_E_NS1_11comp_targetILNS1_3genE9ELNS1_11target_archE1100ELNS1_3gpuE3ELNS1_3repE0EEENS1_30default_config_static_selectorELNS0_4arch9wavefront6targetE0EEEvT1_.uses_flat_scratch, 0
	.set _ZN7rocprim17ROCPRIM_400000_NS6detail17trampoline_kernelINS0_14default_configENS1_27scan_by_key_config_selectorIxxEEZZNS1_16scan_by_key_implILNS1_25lookback_scan_determinismE0ELb1ES3_N6thrust23THRUST_200600_302600_NS6detail15normal_iteratorINS9_10device_ptrIxEEEESE_SE_xNS9_4plusIxEE19head_flag_predicatexEE10hipError_tPvRmT2_T3_T4_T5_mT6_T7_P12ihipStream_tbENKUlT_T0_E_clISt17integral_constantIbLb1EESY_EEDaST_SU_EUlST_E_NS1_11comp_targetILNS1_3genE9ELNS1_11target_archE1100ELNS1_3gpuE3ELNS1_3repE0EEENS1_30default_config_static_selectorELNS0_4arch9wavefront6targetE0EEEvT1_.has_dyn_sized_stack, 0
	.set _ZN7rocprim17ROCPRIM_400000_NS6detail17trampoline_kernelINS0_14default_configENS1_27scan_by_key_config_selectorIxxEEZZNS1_16scan_by_key_implILNS1_25lookback_scan_determinismE0ELb1ES3_N6thrust23THRUST_200600_302600_NS6detail15normal_iteratorINS9_10device_ptrIxEEEESE_SE_xNS9_4plusIxEE19head_flag_predicatexEE10hipError_tPvRmT2_T3_T4_T5_mT6_T7_P12ihipStream_tbENKUlT_T0_E_clISt17integral_constantIbLb1EESY_EEDaST_SU_EUlST_E_NS1_11comp_targetILNS1_3genE9ELNS1_11target_archE1100ELNS1_3gpuE3ELNS1_3repE0EEENS1_30default_config_static_selectorELNS0_4arch9wavefront6targetE0EEEvT1_.has_recursion, 0
	.set _ZN7rocprim17ROCPRIM_400000_NS6detail17trampoline_kernelINS0_14default_configENS1_27scan_by_key_config_selectorIxxEEZZNS1_16scan_by_key_implILNS1_25lookback_scan_determinismE0ELb1ES3_N6thrust23THRUST_200600_302600_NS6detail15normal_iteratorINS9_10device_ptrIxEEEESE_SE_xNS9_4plusIxEE19head_flag_predicatexEE10hipError_tPvRmT2_T3_T4_T5_mT6_T7_P12ihipStream_tbENKUlT_T0_E_clISt17integral_constantIbLb1EESY_EEDaST_SU_EUlST_E_NS1_11comp_targetILNS1_3genE9ELNS1_11target_archE1100ELNS1_3gpuE3ELNS1_3repE0EEENS1_30default_config_static_selectorELNS0_4arch9wavefront6targetE0EEEvT1_.has_indirect_call, 0
	.section	.AMDGPU.csdata,"",@progbits
; Kernel info:
; codeLenInByte = 0
; TotalNumSgprs: 0
; NumVgprs: 0
; ScratchSize: 0
; MemoryBound: 0
; FloatMode: 240
; IeeeMode: 1
; LDSByteSize: 0 bytes/workgroup (compile time only)
; SGPRBlocks: 0
; VGPRBlocks: 0
; NumSGPRsForWavesPerEU: 1
; NumVGPRsForWavesPerEU: 1
; NamedBarCnt: 0
; Occupancy: 16
; WaveLimiterHint : 0
; COMPUTE_PGM_RSRC2:SCRATCH_EN: 0
; COMPUTE_PGM_RSRC2:USER_SGPR: 2
; COMPUTE_PGM_RSRC2:TRAP_HANDLER: 0
; COMPUTE_PGM_RSRC2:TGID_X_EN: 1
; COMPUTE_PGM_RSRC2:TGID_Y_EN: 0
; COMPUTE_PGM_RSRC2:TGID_Z_EN: 0
; COMPUTE_PGM_RSRC2:TIDIG_COMP_CNT: 0
	.section	.text._ZN7rocprim17ROCPRIM_400000_NS6detail17trampoline_kernelINS0_14default_configENS1_27scan_by_key_config_selectorIxxEEZZNS1_16scan_by_key_implILNS1_25lookback_scan_determinismE0ELb1ES3_N6thrust23THRUST_200600_302600_NS6detail15normal_iteratorINS9_10device_ptrIxEEEESE_SE_xNS9_4plusIxEE19head_flag_predicatexEE10hipError_tPvRmT2_T3_T4_T5_mT6_T7_P12ihipStream_tbENKUlT_T0_E_clISt17integral_constantIbLb1EESY_EEDaST_SU_EUlST_E_NS1_11comp_targetILNS1_3genE8ELNS1_11target_archE1030ELNS1_3gpuE2ELNS1_3repE0EEENS1_30default_config_static_selectorELNS0_4arch9wavefront6targetE0EEEvT1_,"axG",@progbits,_ZN7rocprim17ROCPRIM_400000_NS6detail17trampoline_kernelINS0_14default_configENS1_27scan_by_key_config_selectorIxxEEZZNS1_16scan_by_key_implILNS1_25lookback_scan_determinismE0ELb1ES3_N6thrust23THRUST_200600_302600_NS6detail15normal_iteratorINS9_10device_ptrIxEEEESE_SE_xNS9_4plusIxEE19head_flag_predicatexEE10hipError_tPvRmT2_T3_T4_T5_mT6_T7_P12ihipStream_tbENKUlT_T0_E_clISt17integral_constantIbLb1EESY_EEDaST_SU_EUlST_E_NS1_11comp_targetILNS1_3genE8ELNS1_11target_archE1030ELNS1_3gpuE2ELNS1_3repE0EEENS1_30default_config_static_selectorELNS0_4arch9wavefront6targetE0EEEvT1_,comdat
	.protected	_ZN7rocprim17ROCPRIM_400000_NS6detail17trampoline_kernelINS0_14default_configENS1_27scan_by_key_config_selectorIxxEEZZNS1_16scan_by_key_implILNS1_25lookback_scan_determinismE0ELb1ES3_N6thrust23THRUST_200600_302600_NS6detail15normal_iteratorINS9_10device_ptrIxEEEESE_SE_xNS9_4plusIxEE19head_flag_predicatexEE10hipError_tPvRmT2_T3_T4_T5_mT6_T7_P12ihipStream_tbENKUlT_T0_E_clISt17integral_constantIbLb1EESY_EEDaST_SU_EUlST_E_NS1_11comp_targetILNS1_3genE8ELNS1_11target_archE1030ELNS1_3gpuE2ELNS1_3repE0EEENS1_30default_config_static_selectorELNS0_4arch9wavefront6targetE0EEEvT1_ ; -- Begin function _ZN7rocprim17ROCPRIM_400000_NS6detail17trampoline_kernelINS0_14default_configENS1_27scan_by_key_config_selectorIxxEEZZNS1_16scan_by_key_implILNS1_25lookback_scan_determinismE0ELb1ES3_N6thrust23THRUST_200600_302600_NS6detail15normal_iteratorINS9_10device_ptrIxEEEESE_SE_xNS9_4plusIxEE19head_flag_predicatexEE10hipError_tPvRmT2_T3_T4_T5_mT6_T7_P12ihipStream_tbENKUlT_T0_E_clISt17integral_constantIbLb1EESY_EEDaST_SU_EUlST_E_NS1_11comp_targetILNS1_3genE8ELNS1_11target_archE1030ELNS1_3gpuE2ELNS1_3repE0EEENS1_30default_config_static_selectorELNS0_4arch9wavefront6targetE0EEEvT1_
	.globl	_ZN7rocprim17ROCPRIM_400000_NS6detail17trampoline_kernelINS0_14default_configENS1_27scan_by_key_config_selectorIxxEEZZNS1_16scan_by_key_implILNS1_25lookback_scan_determinismE0ELb1ES3_N6thrust23THRUST_200600_302600_NS6detail15normal_iteratorINS9_10device_ptrIxEEEESE_SE_xNS9_4plusIxEE19head_flag_predicatexEE10hipError_tPvRmT2_T3_T4_T5_mT6_T7_P12ihipStream_tbENKUlT_T0_E_clISt17integral_constantIbLb1EESY_EEDaST_SU_EUlST_E_NS1_11comp_targetILNS1_3genE8ELNS1_11target_archE1030ELNS1_3gpuE2ELNS1_3repE0EEENS1_30default_config_static_selectorELNS0_4arch9wavefront6targetE0EEEvT1_
	.p2align	8
	.type	_ZN7rocprim17ROCPRIM_400000_NS6detail17trampoline_kernelINS0_14default_configENS1_27scan_by_key_config_selectorIxxEEZZNS1_16scan_by_key_implILNS1_25lookback_scan_determinismE0ELb1ES3_N6thrust23THRUST_200600_302600_NS6detail15normal_iteratorINS9_10device_ptrIxEEEESE_SE_xNS9_4plusIxEE19head_flag_predicatexEE10hipError_tPvRmT2_T3_T4_T5_mT6_T7_P12ihipStream_tbENKUlT_T0_E_clISt17integral_constantIbLb1EESY_EEDaST_SU_EUlST_E_NS1_11comp_targetILNS1_3genE8ELNS1_11target_archE1030ELNS1_3gpuE2ELNS1_3repE0EEENS1_30default_config_static_selectorELNS0_4arch9wavefront6targetE0EEEvT1_,@function
_ZN7rocprim17ROCPRIM_400000_NS6detail17trampoline_kernelINS0_14default_configENS1_27scan_by_key_config_selectorIxxEEZZNS1_16scan_by_key_implILNS1_25lookback_scan_determinismE0ELb1ES3_N6thrust23THRUST_200600_302600_NS6detail15normal_iteratorINS9_10device_ptrIxEEEESE_SE_xNS9_4plusIxEE19head_flag_predicatexEE10hipError_tPvRmT2_T3_T4_T5_mT6_T7_P12ihipStream_tbENKUlT_T0_E_clISt17integral_constantIbLb1EESY_EEDaST_SU_EUlST_E_NS1_11comp_targetILNS1_3genE8ELNS1_11target_archE1030ELNS1_3gpuE2ELNS1_3repE0EEENS1_30default_config_static_selectorELNS0_4arch9wavefront6targetE0EEEvT1_: ; @_ZN7rocprim17ROCPRIM_400000_NS6detail17trampoline_kernelINS0_14default_configENS1_27scan_by_key_config_selectorIxxEEZZNS1_16scan_by_key_implILNS1_25lookback_scan_determinismE0ELb1ES3_N6thrust23THRUST_200600_302600_NS6detail15normal_iteratorINS9_10device_ptrIxEEEESE_SE_xNS9_4plusIxEE19head_flag_predicatexEE10hipError_tPvRmT2_T3_T4_T5_mT6_T7_P12ihipStream_tbENKUlT_T0_E_clISt17integral_constantIbLb1EESY_EEDaST_SU_EUlST_E_NS1_11comp_targetILNS1_3genE8ELNS1_11target_archE1030ELNS1_3gpuE2ELNS1_3repE0EEENS1_30default_config_static_selectorELNS0_4arch9wavefront6targetE0EEEvT1_
; %bb.0:
	.section	.rodata,"a",@progbits
	.p2align	6, 0x0
	.amdhsa_kernel _ZN7rocprim17ROCPRIM_400000_NS6detail17trampoline_kernelINS0_14default_configENS1_27scan_by_key_config_selectorIxxEEZZNS1_16scan_by_key_implILNS1_25lookback_scan_determinismE0ELb1ES3_N6thrust23THRUST_200600_302600_NS6detail15normal_iteratorINS9_10device_ptrIxEEEESE_SE_xNS9_4plusIxEE19head_flag_predicatexEE10hipError_tPvRmT2_T3_T4_T5_mT6_T7_P12ihipStream_tbENKUlT_T0_E_clISt17integral_constantIbLb1EESY_EEDaST_SU_EUlST_E_NS1_11comp_targetILNS1_3genE8ELNS1_11target_archE1030ELNS1_3gpuE2ELNS1_3repE0EEENS1_30default_config_static_selectorELNS0_4arch9wavefront6targetE0EEEvT1_
		.amdhsa_group_segment_fixed_size 0
		.amdhsa_private_segment_fixed_size 0
		.amdhsa_kernarg_size 136
		.amdhsa_user_sgpr_count 2
		.amdhsa_user_sgpr_dispatch_ptr 0
		.amdhsa_user_sgpr_queue_ptr 0
		.amdhsa_user_sgpr_kernarg_segment_ptr 1
		.amdhsa_user_sgpr_dispatch_id 0
		.amdhsa_user_sgpr_kernarg_preload_length 0
		.amdhsa_user_sgpr_kernarg_preload_offset 0
		.amdhsa_user_sgpr_private_segment_size 0
		.amdhsa_wavefront_size32 1
		.amdhsa_uses_dynamic_stack 0
		.amdhsa_enable_private_segment 0
		.amdhsa_system_sgpr_workgroup_id_x 1
		.amdhsa_system_sgpr_workgroup_id_y 0
		.amdhsa_system_sgpr_workgroup_id_z 0
		.amdhsa_system_sgpr_workgroup_info 0
		.amdhsa_system_vgpr_workitem_id 0
		.amdhsa_next_free_vgpr 1
		.amdhsa_next_free_sgpr 1
		.amdhsa_named_barrier_count 0
		.amdhsa_reserve_vcc 0
		.amdhsa_float_round_mode_32 0
		.amdhsa_float_round_mode_16_64 0
		.amdhsa_float_denorm_mode_32 3
		.amdhsa_float_denorm_mode_16_64 3
		.amdhsa_fp16_overflow 0
		.amdhsa_memory_ordered 1
		.amdhsa_forward_progress 1
		.amdhsa_inst_pref_size 0
		.amdhsa_round_robin_scheduling 0
		.amdhsa_exception_fp_ieee_invalid_op 0
		.amdhsa_exception_fp_denorm_src 0
		.amdhsa_exception_fp_ieee_div_zero 0
		.amdhsa_exception_fp_ieee_overflow 0
		.amdhsa_exception_fp_ieee_underflow 0
		.amdhsa_exception_fp_ieee_inexact 0
		.amdhsa_exception_int_div_zero 0
	.end_amdhsa_kernel
	.section	.text._ZN7rocprim17ROCPRIM_400000_NS6detail17trampoline_kernelINS0_14default_configENS1_27scan_by_key_config_selectorIxxEEZZNS1_16scan_by_key_implILNS1_25lookback_scan_determinismE0ELb1ES3_N6thrust23THRUST_200600_302600_NS6detail15normal_iteratorINS9_10device_ptrIxEEEESE_SE_xNS9_4plusIxEE19head_flag_predicatexEE10hipError_tPvRmT2_T3_T4_T5_mT6_T7_P12ihipStream_tbENKUlT_T0_E_clISt17integral_constantIbLb1EESY_EEDaST_SU_EUlST_E_NS1_11comp_targetILNS1_3genE8ELNS1_11target_archE1030ELNS1_3gpuE2ELNS1_3repE0EEENS1_30default_config_static_selectorELNS0_4arch9wavefront6targetE0EEEvT1_,"axG",@progbits,_ZN7rocprim17ROCPRIM_400000_NS6detail17trampoline_kernelINS0_14default_configENS1_27scan_by_key_config_selectorIxxEEZZNS1_16scan_by_key_implILNS1_25lookback_scan_determinismE0ELb1ES3_N6thrust23THRUST_200600_302600_NS6detail15normal_iteratorINS9_10device_ptrIxEEEESE_SE_xNS9_4plusIxEE19head_flag_predicatexEE10hipError_tPvRmT2_T3_T4_T5_mT6_T7_P12ihipStream_tbENKUlT_T0_E_clISt17integral_constantIbLb1EESY_EEDaST_SU_EUlST_E_NS1_11comp_targetILNS1_3genE8ELNS1_11target_archE1030ELNS1_3gpuE2ELNS1_3repE0EEENS1_30default_config_static_selectorELNS0_4arch9wavefront6targetE0EEEvT1_,comdat
.Lfunc_end730:
	.size	_ZN7rocprim17ROCPRIM_400000_NS6detail17trampoline_kernelINS0_14default_configENS1_27scan_by_key_config_selectorIxxEEZZNS1_16scan_by_key_implILNS1_25lookback_scan_determinismE0ELb1ES3_N6thrust23THRUST_200600_302600_NS6detail15normal_iteratorINS9_10device_ptrIxEEEESE_SE_xNS9_4plusIxEE19head_flag_predicatexEE10hipError_tPvRmT2_T3_T4_T5_mT6_T7_P12ihipStream_tbENKUlT_T0_E_clISt17integral_constantIbLb1EESY_EEDaST_SU_EUlST_E_NS1_11comp_targetILNS1_3genE8ELNS1_11target_archE1030ELNS1_3gpuE2ELNS1_3repE0EEENS1_30default_config_static_selectorELNS0_4arch9wavefront6targetE0EEEvT1_, .Lfunc_end730-_ZN7rocprim17ROCPRIM_400000_NS6detail17trampoline_kernelINS0_14default_configENS1_27scan_by_key_config_selectorIxxEEZZNS1_16scan_by_key_implILNS1_25lookback_scan_determinismE0ELb1ES3_N6thrust23THRUST_200600_302600_NS6detail15normal_iteratorINS9_10device_ptrIxEEEESE_SE_xNS9_4plusIxEE19head_flag_predicatexEE10hipError_tPvRmT2_T3_T4_T5_mT6_T7_P12ihipStream_tbENKUlT_T0_E_clISt17integral_constantIbLb1EESY_EEDaST_SU_EUlST_E_NS1_11comp_targetILNS1_3genE8ELNS1_11target_archE1030ELNS1_3gpuE2ELNS1_3repE0EEENS1_30default_config_static_selectorELNS0_4arch9wavefront6targetE0EEEvT1_
                                        ; -- End function
	.set _ZN7rocprim17ROCPRIM_400000_NS6detail17trampoline_kernelINS0_14default_configENS1_27scan_by_key_config_selectorIxxEEZZNS1_16scan_by_key_implILNS1_25lookback_scan_determinismE0ELb1ES3_N6thrust23THRUST_200600_302600_NS6detail15normal_iteratorINS9_10device_ptrIxEEEESE_SE_xNS9_4plusIxEE19head_flag_predicatexEE10hipError_tPvRmT2_T3_T4_T5_mT6_T7_P12ihipStream_tbENKUlT_T0_E_clISt17integral_constantIbLb1EESY_EEDaST_SU_EUlST_E_NS1_11comp_targetILNS1_3genE8ELNS1_11target_archE1030ELNS1_3gpuE2ELNS1_3repE0EEENS1_30default_config_static_selectorELNS0_4arch9wavefront6targetE0EEEvT1_.num_vgpr, 0
	.set _ZN7rocprim17ROCPRIM_400000_NS6detail17trampoline_kernelINS0_14default_configENS1_27scan_by_key_config_selectorIxxEEZZNS1_16scan_by_key_implILNS1_25lookback_scan_determinismE0ELb1ES3_N6thrust23THRUST_200600_302600_NS6detail15normal_iteratorINS9_10device_ptrIxEEEESE_SE_xNS9_4plusIxEE19head_flag_predicatexEE10hipError_tPvRmT2_T3_T4_T5_mT6_T7_P12ihipStream_tbENKUlT_T0_E_clISt17integral_constantIbLb1EESY_EEDaST_SU_EUlST_E_NS1_11comp_targetILNS1_3genE8ELNS1_11target_archE1030ELNS1_3gpuE2ELNS1_3repE0EEENS1_30default_config_static_selectorELNS0_4arch9wavefront6targetE0EEEvT1_.num_agpr, 0
	.set _ZN7rocprim17ROCPRIM_400000_NS6detail17trampoline_kernelINS0_14default_configENS1_27scan_by_key_config_selectorIxxEEZZNS1_16scan_by_key_implILNS1_25lookback_scan_determinismE0ELb1ES3_N6thrust23THRUST_200600_302600_NS6detail15normal_iteratorINS9_10device_ptrIxEEEESE_SE_xNS9_4plusIxEE19head_flag_predicatexEE10hipError_tPvRmT2_T3_T4_T5_mT6_T7_P12ihipStream_tbENKUlT_T0_E_clISt17integral_constantIbLb1EESY_EEDaST_SU_EUlST_E_NS1_11comp_targetILNS1_3genE8ELNS1_11target_archE1030ELNS1_3gpuE2ELNS1_3repE0EEENS1_30default_config_static_selectorELNS0_4arch9wavefront6targetE0EEEvT1_.numbered_sgpr, 0
	.set _ZN7rocprim17ROCPRIM_400000_NS6detail17trampoline_kernelINS0_14default_configENS1_27scan_by_key_config_selectorIxxEEZZNS1_16scan_by_key_implILNS1_25lookback_scan_determinismE0ELb1ES3_N6thrust23THRUST_200600_302600_NS6detail15normal_iteratorINS9_10device_ptrIxEEEESE_SE_xNS9_4plusIxEE19head_flag_predicatexEE10hipError_tPvRmT2_T3_T4_T5_mT6_T7_P12ihipStream_tbENKUlT_T0_E_clISt17integral_constantIbLb1EESY_EEDaST_SU_EUlST_E_NS1_11comp_targetILNS1_3genE8ELNS1_11target_archE1030ELNS1_3gpuE2ELNS1_3repE0EEENS1_30default_config_static_selectorELNS0_4arch9wavefront6targetE0EEEvT1_.num_named_barrier, 0
	.set _ZN7rocprim17ROCPRIM_400000_NS6detail17trampoline_kernelINS0_14default_configENS1_27scan_by_key_config_selectorIxxEEZZNS1_16scan_by_key_implILNS1_25lookback_scan_determinismE0ELb1ES3_N6thrust23THRUST_200600_302600_NS6detail15normal_iteratorINS9_10device_ptrIxEEEESE_SE_xNS9_4plusIxEE19head_flag_predicatexEE10hipError_tPvRmT2_T3_T4_T5_mT6_T7_P12ihipStream_tbENKUlT_T0_E_clISt17integral_constantIbLb1EESY_EEDaST_SU_EUlST_E_NS1_11comp_targetILNS1_3genE8ELNS1_11target_archE1030ELNS1_3gpuE2ELNS1_3repE0EEENS1_30default_config_static_selectorELNS0_4arch9wavefront6targetE0EEEvT1_.private_seg_size, 0
	.set _ZN7rocprim17ROCPRIM_400000_NS6detail17trampoline_kernelINS0_14default_configENS1_27scan_by_key_config_selectorIxxEEZZNS1_16scan_by_key_implILNS1_25lookback_scan_determinismE0ELb1ES3_N6thrust23THRUST_200600_302600_NS6detail15normal_iteratorINS9_10device_ptrIxEEEESE_SE_xNS9_4plusIxEE19head_flag_predicatexEE10hipError_tPvRmT2_T3_T4_T5_mT6_T7_P12ihipStream_tbENKUlT_T0_E_clISt17integral_constantIbLb1EESY_EEDaST_SU_EUlST_E_NS1_11comp_targetILNS1_3genE8ELNS1_11target_archE1030ELNS1_3gpuE2ELNS1_3repE0EEENS1_30default_config_static_selectorELNS0_4arch9wavefront6targetE0EEEvT1_.uses_vcc, 0
	.set _ZN7rocprim17ROCPRIM_400000_NS6detail17trampoline_kernelINS0_14default_configENS1_27scan_by_key_config_selectorIxxEEZZNS1_16scan_by_key_implILNS1_25lookback_scan_determinismE0ELb1ES3_N6thrust23THRUST_200600_302600_NS6detail15normal_iteratorINS9_10device_ptrIxEEEESE_SE_xNS9_4plusIxEE19head_flag_predicatexEE10hipError_tPvRmT2_T3_T4_T5_mT6_T7_P12ihipStream_tbENKUlT_T0_E_clISt17integral_constantIbLb1EESY_EEDaST_SU_EUlST_E_NS1_11comp_targetILNS1_3genE8ELNS1_11target_archE1030ELNS1_3gpuE2ELNS1_3repE0EEENS1_30default_config_static_selectorELNS0_4arch9wavefront6targetE0EEEvT1_.uses_flat_scratch, 0
	.set _ZN7rocprim17ROCPRIM_400000_NS6detail17trampoline_kernelINS0_14default_configENS1_27scan_by_key_config_selectorIxxEEZZNS1_16scan_by_key_implILNS1_25lookback_scan_determinismE0ELb1ES3_N6thrust23THRUST_200600_302600_NS6detail15normal_iteratorINS9_10device_ptrIxEEEESE_SE_xNS9_4plusIxEE19head_flag_predicatexEE10hipError_tPvRmT2_T3_T4_T5_mT6_T7_P12ihipStream_tbENKUlT_T0_E_clISt17integral_constantIbLb1EESY_EEDaST_SU_EUlST_E_NS1_11comp_targetILNS1_3genE8ELNS1_11target_archE1030ELNS1_3gpuE2ELNS1_3repE0EEENS1_30default_config_static_selectorELNS0_4arch9wavefront6targetE0EEEvT1_.has_dyn_sized_stack, 0
	.set _ZN7rocprim17ROCPRIM_400000_NS6detail17trampoline_kernelINS0_14default_configENS1_27scan_by_key_config_selectorIxxEEZZNS1_16scan_by_key_implILNS1_25lookback_scan_determinismE0ELb1ES3_N6thrust23THRUST_200600_302600_NS6detail15normal_iteratorINS9_10device_ptrIxEEEESE_SE_xNS9_4plusIxEE19head_flag_predicatexEE10hipError_tPvRmT2_T3_T4_T5_mT6_T7_P12ihipStream_tbENKUlT_T0_E_clISt17integral_constantIbLb1EESY_EEDaST_SU_EUlST_E_NS1_11comp_targetILNS1_3genE8ELNS1_11target_archE1030ELNS1_3gpuE2ELNS1_3repE0EEENS1_30default_config_static_selectorELNS0_4arch9wavefront6targetE0EEEvT1_.has_recursion, 0
	.set _ZN7rocprim17ROCPRIM_400000_NS6detail17trampoline_kernelINS0_14default_configENS1_27scan_by_key_config_selectorIxxEEZZNS1_16scan_by_key_implILNS1_25lookback_scan_determinismE0ELb1ES3_N6thrust23THRUST_200600_302600_NS6detail15normal_iteratorINS9_10device_ptrIxEEEESE_SE_xNS9_4plusIxEE19head_flag_predicatexEE10hipError_tPvRmT2_T3_T4_T5_mT6_T7_P12ihipStream_tbENKUlT_T0_E_clISt17integral_constantIbLb1EESY_EEDaST_SU_EUlST_E_NS1_11comp_targetILNS1_3genE8ELNS1_11target_archE1030ELNS1_3gpuE2ELNS1_3repE0EEENS1_30default_config_static_selectorELNS0_4arch9wavefront6targetE0EEEvT1_.has_indirect_call, 0
	.section	.AMDGPU.csdata,"",@progbits
; Kernel info:
; codeLenInByte = 0
; TotalNumSgprs: 0
; NumVgprs: 0
; ScratchSize: 0
; MemoryBound: 0
; FloatMode: 240
; IeeeMode: 1
; LDSByteSize: 0 bytes/workgroup (compile time only)
; SGPRBlocks: 0
; VGPRBlocks: 0
; NumSGPRsForWavesPerEU: 1
; NumVGPRsForWavesPerEU: 1
; NamedBarCnt: 0
; Occupancy: 16
; WaveLimiterHint : 0
; COMPUTE_PGM_RSRC2:SCRATCH_EN: 0
; COMPUTE_PGM_RSRC2:USER_SGPR: 2
; COMPUTE_PGM_RSRC2:TRAP_HANDLER: 0
; COMPUTE_PGM_RSRC2:TGID_X_EN: 1
; COMPUTE_PGM_RSRC2:TGID_Y_EN: 0
; COMPUTE_PGM_RSRC2:TGID_Z_EN: 0
; COMPUTE_PGM_RSRC2:TIDIG_COMP_CNT: 0
	.section	.text._ZN7rocprim17ROCPRIM_400000_NS6detail17trampoline_kernelINS0_14default_configENS1_27scan_by_key_config_selectorIxxEEZZNS1_16scan_by_key_implILNS1_25lookback_scan_determinismE0ELb1ES3_N6thrust23THRUST_200600_302600_NS6detail15normal_iteratorINS9_10device_ptrIxEEEESE_SE_xNS9_4plusIxEE19head_flag_predicatexEE10hipError_tPvRmT2_T3_T4_T5_mT6_T7_P12ihipStream_tbENKUlT_T0_E_clISt17integral_constantIbLb1EESX_IbLb0EEEEDaST_SU_EUlST_E_NS1_11comp_targetILNS1_3genE0ELNS1_11target_archE4294967295ELNS1_3gpuE0ELNS1_3repE0EEENS1_30default_config_static_selectorELNS0_4arch9wavefront6targetE0EEEvT1_,"axG",@progbits,_ZN7rocprim17ROCPRIM_400000_NS6detail17trampoline_kernelINS0_14default_configENS1_27scan_by_key_config_selectorIxxEEZZNS1_16scan_by_key_implILNS1_25lookback_scan_determinismE0ELb1ES3_N6thrust23THRUST_200600_302600_NS6detail15normal_iteratorINS9_10device_ptrIxEEEESE_SE_xNS9_4plusIxEE19head_flag_predicatexEE10hipError_tPvRmT2_T3_T4_T5_mT6_T7_P12ihipStream_tbENKUlT_T0_E_clISt17integral_constantIbLb1EESX_IbLb0EEEEDaST_SU_EUlST_E_NS1_11comp_targetILNS1_3genE0ELNS1_11target_archE4294967295ELNS1_3gpuE0ELNS1_3repE0EEENS1_30default_config_static_selectorELNS0_4arch9wavefront6targetE0EEEvT1_,comdat
	.protected	_ZN7rocprim17ROCPRIM_400000_NS6detail17trampoline_kernelINS0_14default_configENS1_27scan_by_key_config_selectorIxxEEZZNS1_16scan_by_key_implILNS1_25lookback_scan_determinismE0ELb1ES3_N6thrust23THRUST_200600_302600_NS6detail15normal_iteratorINS9_10device_ptrIxEEEESE_SE_xNS9_4plusIxEE19head_flag_predicatexEE10hipError_tPvRmT2_T3_T4_T5_mT6_T7_P12ihipStream_tbENKUlT_T0_E_clISt17integral_constantIbLb1EESX_IbLb0EEEEDaST_SU_EUlST_E_NS1_11comp_targetILNS1_3genE0ELNS1_11target_archE4294967295ELNS1_3gpuE0ELNS1_3repE0EEENS1_30default_config_static_selectorELNS0_4arch9wavefront6targetE0EEEvT1_ ; -- Begin function _ZN7rocprim17ROCPRIM_400000_NS6detail17trampoline_kernelINS0_14default_configENS1_27scan_by_key_config_selectorIxxEEZZNS1_16scan_by_key_implILNS1_25lookback_scan_determinismE0ELb1ES3_N6thrust23THRUST_200600_302600_NS6detail15normal_iteratorINS9_10device_ptrIxEEEESE_SE_xNS9_4plusIxEE19head_flag_predicatexEE10hipError_tPvRmT2_T3_T4_T5_mT6_T7_P12ihipStream_tbENKUlT_T0_E_clISt17integral_constantIbLb1EESX_IbLb0EEEEDaST_SU_EUlST_E_NS1_11comp_targetILNS1_3genE0ELNS1_11target_archE4294967295ELNS1_3gpuE0ELNS1_3repE0EEENS1_30default_config_static_selectorELNS0_4arch9wavefront6targetE0EEEvT1_
	.globl	_ZN7rocprim17ROCPRIM_400000_NS6detail17trampoline_kernelINS0_14default_configENS1_27scan_by_key_config_selectorIxxEEZZNS1_16scan_by_key_implILNS1_25lookback_scan_determinismE0ELb1ES3_N6thrust23THRUST_200600_302600_NS6detail15normal_iteratorINS9_10device_ptrIxEEEESE_SE_xNS9_4plusIxEE19head_flag_predicatexEE10hipError_tPvRmT2_T3_T4_T5_mT6_T7_P12ihipStream_tbENKUlT_T0_E_clISt17integral_constantIbLb1EESX_IbLb0EEEEDaST_SU_EUlST_E_NS1_11comp_targetILNS1_3genE0ELNS1_11target_archE4294967295ELNS1_3gpuE0ELNS1_3repE0EEENS1_30default_config_static_selectorELNS0_4arch9wavefront6targetE0EEEvT1_
	.p2align	8
	.type	_ZN7rocprim17ROCPRIM_400000_NS6detail17trampoline_kernelINS0_14default_configENS1_27scan_by_key_config_selectorIxxEEZZNS1_16scan_by_key_implILNS1_25lookback_scan_determinismE0ELb1ES3_N6thrust23THRUST_200600_302600_NS6detail15normal_iteratorINS9_10device_ptrIxEEEESE_SE_xNS9_4plusIxEE19head_flag_predicatexEE10hipError_tPvRmT2_T3_T4_T5_mT6_T7_P12ihipStream_tbENKUlT_T0_E_clISt17integral_constantIbLb1EESX_IbLb0EEEEDaST_SU_EUlST_E_NS1_11comp_targetILNS1_3genE0ELNS1_11target_archE4294967295ELNS1_3gpuE0ELNS1_3repE0EEENS1_30default_config_static_selectorELNS0_4arch9wavefront6targetE0EEEvT1_,@function
_ZN7rocprim17ROCPRIM_400000_NS6detail17trampoline_kernelINS0_14default_configENS1_27scan_by_key_config_selectorIxxEEZZNS1_16scan_by_key_implILNS1_25lookback_scan_determinismE0ELb1ES3_N6thrust23THRUST_200600_302600_NS6detail15normal_iteratorINS9_10device_ptrIxEEEESE_SE_xNS9_4plusIxEE19head_flag_predicatexEE10hipError_tPvRmT2_T3_T4_T5_mT6_T7_P12ihipStream_tbENKUlT_T0_E_clISt17integral_constantIbLb1EESX_IbLb0EEEEDaST_SU_EUlST_E_NS1_11comp_targetILNS1_3genE0ELNS1_11target_archE4294967295ELNS1_3gpuE0ELNS1_3repE0EEENS1_30default_config_static_selectorELNS0_4arch9wavefront6targetE0EEEvT1_: ; @_ZN7rocprim17ROCPRIM_400000_NS6detail17trampoline_kernelINS0_14default_configENS1_27scan_by_key_config_selectorIxxEEZZNS1_16scan_by_key_implILNS1_25lookback_scan_determinismE0ELb1ES3_N6thrust23THRUST_200600_302600_NS6detail15normal_iteratorINS9_10device_ptrIxEEEESE_SE_xNS9_4plusIxEE19head_flag_predicatexEE10hipError_tPvRmT2_T3_T4_T5_mT6_T7_P12ihipStream_tbENKUlT_T0_E_clISt17integral_constantIbLb1EESX_IbLb0EEEEDaST_SU_EUlST_E_NS1_11comp_targetILNS1_3genE0ELNS1_11target_archE4294967295ELNS1_3gpuE0ELNS1_3repE0EEENS1_30default_config_static_selectorELNS0_4arch9wavefront6targetE0EEEvT1_
; %bb.0:
	s_endpgm
	.section	.rodata,"a",@progbits
	.p2align	6, 0x0
	.amdhsa_kernel _ZN7rocprim17ROCPRIM_400000_NS6detail17trampoline_kernelINS0_14default_configENS1_27scan_by_key_config_selectorIxxEEZZNS1_16scan_by_key_implILNS1_25lookback_scan_determinismE0ELb1ES3_N6thrust23THRUST_200600_302600_NS6detail15normal_iteratorINS9_10device_ptrIxEEEESE_SE_xNS9_4plusIxEE19head_flag_predicatexEE10hipError_tPvRmT2_T3_T4_T5_mT6_T7_P12ihipStream_tbENKUlT_T0_E_clISt17integral_constantIbLb1EESX_IbLb0EEEEDaST_SU_EUlST_E_NS1_11comp_targetILNS1_3genE0ELNS1_11target_archE4294967295ELNS1_3gpuE0ELNS1_3repE0EEENS1_30default_config_static_selectorELNS0_4arch9wavefront6targetE0EEEvT1_
		.amdhsa_group_segment_fixed_size 0
		.amdhsa_private_segment_fixed_size 0
		.amdhsa_kernarg_size 136
		.amdhsa_user_sgpr_count 2
		.amdhsa_user_sgpr_dispatch_ptr 0
		.amdhsa_user_sgpr_queue_ptr 0
		.amdhsa_user_sgpr_kernarg_segment_ptr 1
		.amdhsa_user_sgpr_dispatch_id 0
		.amdhsa_user_sgpr_kernarg_preload_length 0
		.amdhsa_user_sgpr_kernarg_preload_offset 0
		.amdhsa_user_sgpr_private_segment_size 0
		.amdhsa_wavefront_size32 1
		.amdhsa_uses_dynamic_stack 0
		.amdhsa_enable_private_segment 0
		.amdhsa_system_sgpr_workgroup_id_x 1
		.amdhsa_system_sgpr_workgroup_id_y 0
		.amdhsa_system_sgpr_workgroup_id_z 0
		.amdhsa_system_sgpr_workgroup_info 0
		.amdhsa_system_vgpr_workitem_id 0
		.amdhsa_next_free_vgpr 1
		.amdhsa_next_free_sgpr 1
		.amdhsa_named_barrier_count 0
		.amdhsa_reserve_vcc 0
		.amdhsa_float_round_mode_32 0
		.amdhsa_float_round_mode_16_64 0
		.amdhsa_float_denorm_mode_32 3
		.amdhsa_float_denorm_mode_16_64 3
		.amdhsa_fp16_overflow 0
		.amdhsa_memory_ordered 1
		.amdhsa_forward_progress 1
		.amdhsa_inst_pref_size 1
		.amdhsa_round_robin_scheduling 0
		.amdhsa_exception_fp_ieee_invalid_op 0
		.amdhsa_exception_fp_denorm_src 0
		.amdhsa_exception_fp_ieee_div_zero 0
		.amdhsa_exception_fp_ieee_overflow 0
		.amdhsa_exception_fp_ieee_underflow 0
		.amdhsa_exception_fp_ieee_inexact 0
		.amdhsa_exception_int_div_zero 0
	.end_amdhsa_kernel
	.section	.text._ZN7rocprim17ROCPRIM_400000_NS6detail17trampoline_kernelINS0_14default_configENS1_27scan_by_key_config_selectorIxxEEZZNS1_16scan_by_key_implILNS1_25lookback_scan_determinismE0ELb1ES3_N6thrust23THRUST_200600_302600_NS6detail15normal_iteratorINS9_10device_ptrIxEEEESE_SE_xNS9_4plusIxEE19head_flag_predicatexEE10hipError_tPvRmT2_T3_T4_T5_mT6_T7_P12ihipStream_tbENKUlT_T0_E_clISt17integral_constantIbLb1EESX_IbLb0EEEEDaST_SU_EUlST_E_NS1_11comp_targetILNS1_3genE0ELNS1_11target_archE4294967295ELNS1_3gpuE0ELNS1_3repE0EEENS1_30default_config_static_selectorELNS0_4arch9wavefront6targetE0EEEvT1_,"axG",@progbits,_ZN7rocprim17ROCPRIM_400000_NS6detail17trampoline_kernelINS0_14default_configENS1_27scan_by_key_config_selectorIxxEEZZNS1_16scan_by_key_implILNS1_25lookback_scan_determinismE0ELb1ES3_N6thrust23THRUST_200600_302600_NS6detail15normal_iteratorINS9_10device_ptrIxEEEESE_SE_xNS9_4plusIxEE19head_flag_predicatexEE10hipError_tPvRmT2_T3_T4_T5_mT6_T7_P12ihipStream_tbENKUlT_T0_E_clISt17integral_constantIbLb1EESX_IbLb0EEEEDaST_SU_EUlST_E_NS1_11comp_targetILNS1_3genE0ELNS1_11target_archE4294967295ELNS1_3gpuE0ELNS1_3repE0EEENS1_30default_config_static_selectorELNS0_4arch9wavefront6targetE0EEEvT1_,comdat
.Lfunc_end731:
	.size	_ZN7rocprim17ROCPRIM_400000_NS6detail17trampoline_kernelINS0_14default_configENS1_27scan_by_key_config_selectorIxxEEZZNS1_16scan_by_key_implILNS1_25lookback_scan_determinismE0ELb1ES3_N6thrust23THRUST_200600_302600_NS6detail15normal_iteratorINS9_10device_ptrIxEEEESE_SE_xNS9_4plusIxEE19head_flag_predicatexEE10hipError_tPvRmT2_T3_T4_T5_mT6_T7_P12ihipStream_tbENKUlT_T0_E_clISt17integral_constantIbLb1EESX_IbLb0EEEEDaST_SU_EUlST_E_NS1_11comp_targetILNS1_3genE0ELNS1_11target_archE4294967295ELNS1_3gpuE0ELNS1_3repE0EEENS1_30default_config_static_selectorELNS0_4arch9wavefront6targetE0EEEvT1_, .Lfunc_end731-_ZN7rocprim17ROCPRIM_400000_NS6detail17trampoline_kernelINS0_14default_configENS1_27scan_by_key_config_selectorIxxEEZZNS1_16scan_by_key_implILNS1_25lookback_scan_determinismE0ELb1ES3_N6thrust23THRUST_200600_302600_NS6detail15normal_iteratorINS9_10device_ptrIxEEEESE_SE_xNS9_4plusIxEE19head_flag_predicatexEE10hipError_tPvRmT2_T3_T4_T5_mT6_T7_P12ihipStream_tbENKUlT_T0_E_clISt17integral_constantIbLb1EESX_IbLb0EEEEDaST_SU_EUlST_E_NS1_11comp_targetILNS1_3genE0ELNS1_11target_archE4294967295ELNS1_3gpuE0ELNS1_3repE0EEENS1_30default_config_static_selectorELNS0_4arch9wavefront6targetE0EEEvT1_
                                        ; -- End function
	.set _ZN7rocprim17ROCPRIM_400000_NS6detail17trampoline_kernelINS0_14default_configENS1_27scan_by_key_config_selectorIxxEEZZNS1_16scan_by_key_implILNS1_25lookback_scan_determinismE0ELb1ES3_N6thrust23THRUST_200600_302600_NS6detail15normal_iteratorINS9_10device_ptrIxEEEESE_SE_xNS9_4plusIxEE19head_flag_predicatexEE10hipError_tPvRmT2_T3_T4_T5_mT6_T7_P12ihipStream_tbENKUlT_T0_E_clISt17integral_constantIbLb1EESX_IbLb0EEEEDaST_SU_EUlST_E_NS1_11comp_targetILNS1_3genE0ELNS1_11target_archE4294967295ELNS1_3gpuE0ELNS1_3repE0EEENS1_30default_config_static_selectorELNS0_4arch9wavefront6targetE0EEEvT1_.num_vgpr, 0
	.set _ZN7rocprim17ROCPRIM_400000_NS6detail17trampoline_kernelINS0_14default_configENS1_27scan_by_key_config_selectorIxxEEZZNS1_16scan_by_key_implILNS1_25lookback_scan_determinismE0ELb1ES3_N6thrust23THRUST_200600_302600_NS6detail15normal_iteratorINS9_10device_ptrIxEEEESE_SE_xNS9_4plusIxEE19head_flag_predicatexEE10hipError_tPvRmT2_T3_T4_T5_mT6_T7_P12ihipStream_tbENKUlT_T0_E_clISt17integral_constantIbLb1EESX_IbLb0EEEEDaST_SU_EUlST_E_NS1_11comp_targetILNS1_3genE0ELNS1_11target_archE4294967295ELNS1_3gpuE0ELNS1_3repE0EEENS1_30default_config_static_selectorELNS0_4arch9wavefront6targetE0EEEvT1_.num_agpr, 0
	.set _ZN7rocprim17ROCPRIM_400000_NS6detail17trampoline_kernelINS0_14default_configENS1_27scan_by_key_config_selectorIxxEEZZNS1_16scan_by_key_implILNS1_25lookback_scan_determinismE0ELb1ES3_N6thrust23THRUST_200600_302600_NS6detail15normal_iteratorINS9_10device_ptrIxEEEESE_SE_xNS9_4plusIxEE19head_flag_predicatexEE10hipError_tPvRmT2_T3_T4_T5_mT6_T7_P12ihipStream_tbENKUlT_T0_E_clISt17integral_constantIbLb1EESX_IbLb0EEEEDaST_SU_EUlST_E_NS1_11comp_targetILNS1_3genE0ELNS1_11target_archE4294967295ELNS1_3gpuE0ELNS1_3repE0EEENS1_30default_config_static_selectorELNS0_4arch9wavefront6targetE0EEEvT1_.numbered_sgpr, 0
	.set _ZN7rocprim17ROCPRIM_400000_NS6detail17trampoline_kernelINS0_14default_configENS1_27scan_by_key_config_selectorIxxEEZZNS1_16scan_by_key_implILNS1_25lookback_scan_determinismE0ELb1ES3_N6thrust23THRUST_200600_302600_NS6detail15normal_iteratorINS9_10device_ptrIxEEEESE_SE_xNS9_4plusIxEE19head_flag_predicatexEE10hipError_tPvRmT2_T3_T4_T5_mT6_T7_P12ihipStream_tbENKUlT_T0_E_clISt17integral_constantIbLb1EESX_IbLb0EEEEDaST_SU_EUlST_E_NS1_11comp_targetILNS1_3genE0ELNS1_11target_archE4294967295ELNS1_3gpuE0ELNS1_3repE0EEENS1_30default_config_static_selectorELNS0_4arch9wavefront6targetE0EEEvT1_.num_named_barrier, 0
	.set _ZN7rocprim17ROCPRIM_400000_NS6detail17trampoline_kernelINS0_14default_configENS1_27scan_by_key_config_selectorIxxEEZZNS1_16scan_by_key_implILNS1_25lookback_scan_determinismE0ELb1ES3_N6thrust23THRUST_200600_302600_NS6detail15normal_iteratorINS9_10device_ptrIxEEEESE_SE_xNS9_4plusIxEE19head_flag_predicatexEE10hipError_tPvRmT2_T3_T4_T5_mT6_T7_P12ihipStream_tbENKUlT_T0_E_clISt17integral_constantIbLb1EESX_IbLb0EEEEDaST_SU_EUlST_E_NS1_11comp_targetILNS1_3genE0ELNS1_11target_archE4294967295ELNS1_3gpuE0ELNS1_3repE0EEENS1_30default_config_static_selectorELNS0_4arch9wavefront6targetE0EEEvT1_.private_seg_size, 0
	.set _ZN7rocprim17ROCPRIM_400000_NS6detail17trampoline_kernelINS0_14default_configENS1_27scan_by_key_config_selectorIxxEEZZNS1_16scan_by_key_implILNS1_25lookback_scan_determinismE0ELb1ES3_N6thrust23THRUST_200600_302600_NS6detail15normal_iteratorINS9_10device_ptrIxEEEESE_SE_xNS9_4plusIxEE19head_flag_predicatexEE10hipError_tPvRmT2_T3_T4_T5_mT6_T7_P12ihipStream_tbENKUlT_T0_E_clISt17integral_constantIbLb1EESX_IbLb0EEEEDaST_SU_EUlST_E_NS1_11comp_targetILNS1_3genE0ELNS1_11target_archE4294967295ELNS1_3gpuE0ELNS1_3repE0EEENS1_30default_config_static_selectorELNS0_4arch9wavefront6targetE0EEEvT1_.uses_vcc, 0
	.set _ZN7rocprim17ROCPRIM_400000_NS6detail17trampoline_kernelINS0_14default_configENS1_27scan_by_key_config_selectorIxxEEZZNS1_16scan_by_key_implILNS1_25lookback_scan_determinismE0ELb1ES3_N6thrust23THRUST_200600_302600_NS6detail15normal_iteratorINS9_10device_ptrIxEEEESE_SE_xNS9_4plusIxEE19head_flag_predicatexEE10hipError_tPvRmT2_T3_T4_T5_mT6_T7_P12ihipStream_tbENKUlT_T0_E_clISt17integral_constantIbLb1EESX_IbLb0EEEEDaST_SU_EUlST_E_NS1_11comp_targetILNS1_3genE0ELNS1_11target_archE4294967295ELNS1_3gpuE0ELNS1_3repE0EEENS1_30default_config_static_selectorELNS0_4arch9wavefront6targetE0EEEvT1_.uses_flat_scratch, 0
	.set _ZN7rocprim17ROCPRIM_400000_NS6detail17trampoline_kernelINS0_14default_configENS1_27scan_by_key_config_selectorIxxEEZZNS1_16scan_by_key_implILNS1_25lookback_scan_determinismE0ELb1ES3_N6thrust23THRUST_200600_302600_NS6detail15normal_iteratorINS9_10device_ptrIxEEEESE_SE_xNS9_4plusIxEE19head_flag_predicatexEE10hipError_tPvRmT2_T3_T4_T5_mT6_T7_P12ihipStream_tbENKUlT_T0_E_clISt17integral_constantIbLb1EESX_IbLb0EEEEDaST_SU_EUlST_E_NS1_11comp_targetILNS1_3genE0ELNS1_11target_archE4294967295ELNS1_3gpuE0ELNS1_3repE0EEENS1_30default_config_static_selectorELNS0_4arch9wavefront6targetE0EEEvT1_.has_dyn_sized_stack, 0
	.set _ZN7rocprim17ROCPRIM_400000_NS6detail17trampoline_kernelINS0_14default_configENS1_27scan_by_key_config_selectorIxxEEZZNS1_16scan_by_key_implILNS1_25lookback_scan_determinismE0ELb1ES3_N6thrust23THRUST_200600_302600_NS6detail15normal_iteratorINS9_10device_ptrIxEEEESE_SE_xNS9_4plusIxEE19head_flag_predicatexEE10hipError_tPvRmT2_T3_T4_T5_mT6_T7_P12ihipStream_tbENKUlT_T0_E_clISt17integral_constantIbLb1EESX_IbLb0EEEEDaST_SU_EUlST_E_NS1_11comp_targetILNS1_3genE0ELNS1_11target_archE4294967295ELNS1_3gpuE0ELNS1_3repE0EEENS1_30default_config_static_selectorELNS0_4arch9wavefront6targetE0EEEvT1_.has_recursion, 0
	.set _ZN7rocprim17ROCPRIM_400000_NS6detail17trampoline_kernelINS0_14default_configENS1_27scan_by_key_config_selectorIxxEEZZNS1_16scan_by_key_implILNS1_25lookback_scan_determinismE0ELb1ES3_N6thrust23THRUST_200600_302600_NS6detail15normal_iteratorINS9_10device_ptrIxEEEESE_SE_xNS9_4plusIxEE19head_flag_predicatexEE10hipError_tPvRmT2_T3_T4_T5_mT6_T7_P12ihipStream_tbENKUlT_T0_E_clISt17integral_constantIbLb1EESX_IbLb0EEEEDaST_SU_EUlST_E_NS1_11comp_targetILNS1_3genE0ELNS1_11target_archE4294967295ELNS1_3gpuE0ELNS1_3repE0EEENS1_30default_config_static_selectorELNS0_4arch9wavefront6targetE0EEEvT1_.has_indirect_call, 0
	.section	.AMDGPU.csdata,"",@progbits
; Kernel info:
; codeLenInByte = 4
; TotalNumSgprs: 0
; NumVgprs: 0
; ScratchSize: 0
; MemoryBound: 0
; FloatMode: 240
; IeeeMode: 1
; LDSByteSize: 0 bytes/workgroup (compile time only)
; SGPRBlocks: 0
; VGPRBlocks: 0
; NumSGPRsForWavesPerEU: 1
; NumVGPRsForWavesPerEU: 1
; NamedBarCnt: 0
; Occupancy: 16
; WaveLimiterHint : 0
; COMPUTE_PGM_RSRC2:SCRATCH_EN: 0
; COMPUTE_PGM_RSRC2:USER_SGPR: 2
; COMPUTE_PGM_RSRC2:TRAP_HANDLER: 0
; COMPUTE_PGM_RSRC2:TGID_X_EN: 1
; COMPUTE_PGM_RSRC2:TGID_Y_EN: 0
; COMPUTE_PGM_RSRC2:TGID_Z_EN: 0
; COMPUTE_PGM_RSRC2:TIDIG_COMP_CNT: 0
	.section	.text._ZN7rocprim17ROCPRIM_400000_NS6detail17trampoline_kernelINS0_14default_configENS1_27scan_by_key_config_selectorIxxEEZZNS1_16scan_by_key_implILNS1_25lookback_scan_determinismE0ELb1ES3_N6thrust23THRUST_200600_302600_NS6detail15normal_iteratorINS9_10device_ptrIxEEEESE_SE_xNS9_4plusIxEE19head_flag_predicatexEE10hipError_tPvRmT2_T3_T4_T5_mT6_T7_P12ihipStream_tbENKUlT_T0_E_clISt17integral_constantIbLb1EESX_IbLb0EEEEDaST_SU_EUlST_E_NS1_11comp_targetILNS1_3genE10ELNS1_11target_archE1201ELNS1_3gpuE5ELNS1_3repE0EEENS1_30default_config_static_selectorELNS0_4arch9wavefront6targetE0EEEvT1_,"axG",@progbits,_ZN7rocprim17ROCPRIM_400000_NS6detail17trampoline_kernelINS0_14default_configENS1_27scan_by_key_config_selectorIxxEEZZNS1_16scan_by_key_implILNS1_25lookback_scan_determinismE0ELb1ES3_N6thrust23THRUST_200600_302600_NS6detail15normal_iteratorINS9_10device_ptrIxEEEESE_SE_xNS9_4plusIxEE19head_flag_predicatexEE10hipError_tPvRmT2_T3_T4_T5_mT6_T7_P12ihipStream_tbENKUlT_T0_E_clISt17integral_constantIbLb1EESX_IbLb0EEEEDaST_SU_EUlST_E_NS1_11comp_targetILNS1_3genE10ELNS1_11target_archE1201ELNS1_3gpuE5ELNS1_3repE0EEENS1_30default_config_static_selectorELNS0_4arch9wavefront6targetE0EEEvT1_,comdat
	.protected	_ZN7rocprim17ROCPRIM_400000_NS6detail17trampoline_kernelINS0_14default_configENS1_27scan_by_key_config_selectorIxxEEZZNS1_16scan_by_key_implILNS1_25lookback_scan_determinismE0ELb1ES3_N6thrust23THRUST_200600_302600_NS6detail15normal_iteratorINS9_10device_ptrIxEEEESE_SE_xNS9_4plusIxEE19head_flag_predicatexEE10hipError_tPvRmT2_T3_T4_T5_mT6_T7_P12ihipStream_tbENKUlT_T0_E_clISt17integral_constantIbLb1EESX_IbLb0EEEEDaST_SU_EUlST_E_NS1_11comp_targetILNS1_3genE10ELNS1_11target_archE1201ELNS1_3gpuE5ELNS1_3repE0EEENS1_30default_config_static_selectorELNS0_4arch9wavefront6targetE0EEEvT1_ ; -- Begin function _ZN7rocprim17ROCPRIM_400000_NS6detail17trampoline_kernelINS0_14default_configENS1_27scan_by_key_config_selectorIxxEEZZNS1_16scan_by_key_implILNS1_25lookback_scan_determinismE0ELb1ES3_N6thrust23THRUST_200600_302600_NS6detail15normal_iteratorINS9_10device_ptrIxEEEESE_SE_xNS9_4plusIxEE19head_flag_predicatexEE10hipError_tPvRmT2_T3_T4_T5_mT6_T7_P12ihipStream_tbENKUlT_T0_E_clISt17integral_constantIbLb1EESX_IbLb0EEEEDaST_SU_EUlST_E_NS1_11comp_targetILNS1_3genE10ELNS1_11target_archE1201ELNS1_3gpuE5ELNS1_3repE0EEENS1_30default_config_static_selectorELNS0_4arch9wavefront6targetE0EEEvT1_
	.globl	_ZN7rocprim17ROCPRIM_400000_NS6detail17trampoline_kernelINS0_14default_configENS1_27scan_by_key_config_selectorIxxEEZZNS1_16scan_by_key_implILNS1_25lookback_scan_determinismE0ELb1ES3_N6thrust23THRUST_200600_302600_NS6detail15normal_iteratorINS9_10device_ptrIxEEEESE_SE_xNS9_4plusIxEE19head_flag_predicatexEE10hipError_tPvRmT2_T3_T4_T5_mT6_T7_P12ihipStream_tbENKUlT_T0_E_clISt17integral_constantIbLb1EESX_IbLb0EEEEDaST_SU_EUlST_E_NS1_11comp_targetILNS1_3genE10ELNS1_11target_archE1201ELNS1_3gpuE5ELNS1_3repE0EEENS1_30default_config_static_selectorELNS0_4arch9wavefront6targetE0EEEvT1_
	.p2align	8
	.type	_ZN7rocprim17ROCPRIM_400000_NS6detail17trampoline_kernelINS0_14default_configENS1_27scan_by_key_config_selectorIxxEEZZNS1_16scan_by_key_implILNS1_25lookback_scan_determinismE0ELb1ES3_N6thrust23THRUST_200600_302600_NS6detail15normal_iteratorINS9_10device_ptrIxEEEESE_SE_xNS9_4plusIxEE19head_flag_predicatexEE10hipError_tPvRmT2_T3_T4_T5_mT6_T7_P12ihipStream_tbENKUlT_T0_E_clISt17integral_constantIbLb1EESX_IbLb0EEEEDaST_SU_EUlST_E_NS1_11comp_targetILNS1_3genE10ELNS1_11target_archE1201ELNS1_3gpuE5ELNS1_3repE0EEENS1_30default_config_static_selectorELNS0_4arch9wavefront6targetE0EEEvT1_,@function
_ZN7rocprim17ROCPRIM_400000_NS6detail17trampoline_kernelINS0_14default_configENS1_27scan_by_key_config_selectorIxxEEZZNS1_16scan_by_key_implILNS1_25lookback_scan_determinismE0ELb1ES3_N6thrust23THRUST_200600_302600_NS6detail15normal_iteratorINS9_10device_ptrIxEEEESE_SE_xNS9_4plusIxEE19head_flag_predicatexEE10hipError_tPvRmT2_T3_T4_T5_mT6_T7_P12ihipStream_tbENKUlT_T0_E_clISt17integral_constantIbLb1EESX_IbLb0EEEEDaST_SU_EUlST_E_NS1_11comp_targetILNS1_3genE10ELNS1_11target_archE1201ELNS1_3gpuE5ELNS1_3repE0EEENS1_30default_config_static_selectorELNS0_4arch9wavefront6targetE0EEEvT1_: ; @_ZN7rocprim17ROCPRIM_400000_NS6detail17trampoline_kernelINS0_14default_configENS1_27scan_by_key_config_selectorIxxEEZZNS1_16scan_by_key_implILNS1_25lookback_scan_determinismE0ELb1ES3_N6thrust23THRUST_200600_302600_NS6detail15normal_iteratorINS9_10device_ptrIxEEEESE_SE_xNS9_4plusIxEE19head_flag_predicatexEE10hipError_tPvRmT2_T3_T4_T5_mT6_T7_P12ihipStream_tbENKUlT_T0_E_clISt17integral_constantIbLb1EESX_IbLb0EEEEDaST_SU_EUlST_E_NS1_11comp_targetILNS1_3genE10ELNS1_11target_archE1201ELNS1_3gpuE5ELNS1_3repE0EEENS1_30default_config_static_selectorELNS0_4arch9wavefront6targetE0EEEvT1_
; %bb.0:
	.section	.rodata,"a",@progbits
	.p2align	6, 0x0
	.amdhsa_kernel _ZN7rocprim17ROCPRIM_400000_NS6detail17trampoline_kernelINS0_14default_configENS1_27scan_by_key_config_selectorIxxEEZZNS1_16scan_by_key_implILNS1_25lookback_scan_determinismE0ELb1ES3_N6thrust23THRUST_200600_302600_NS6detail15normal_iteratorINS9_10device_ptrIxEEEESE_SE_xNS9_4plusIxEE19head_flag_predicatexEE10hipError_tPvRmT2_T3_T4_T5_mT6_T7_P12ihipStream_tbENKUlT_T0_E_clISt17integral_constantIbLb1EESX_IbLb0EEEEDaST_SU_EUlST_E_NS1_11comp_targetILNS1_3genE10ELNS1_11target_archE1201ELNS1_3gpuE5ELNS1_3repE0EEENS1_30default_config_static_selectorELNS0_4arch9wavefront6targetE0EEEvT1_
		.amdhsa_group_segment_fixed_size 0
		.amdhsa_private_segment_fixed_size 0
		.amdhsa_kernarg_size 136
		.amdhsa_user_sgpr_count 2
		.amdhsa_user_sgpr_dispatch_ptr 0
		.amdhsa_user_sgpr_queue_ptr 0
		.amdhsa_user_sgpr_kernarg_segment_ptr 1
		.amdhsa_user_sgpr_dispatch_id 0
		.amdhsa_user_sgpr_kernarg_preload_length 0
		.amdhsa_user_sgpr_kernarg_preload_offset 0
		.amdhsa_user_sgpr_private_segment_size 0
		.amdhsa_wavefront_size32 1
		.amdhsa_uses_dynamic_stack 0
		.amdhsa_enable_private_segment 0
		.amdhsa_system_sgpr_workgroup_id_x 1
		.amdhsa_system_sgpr_workgroup_id_y 0
		.amdhsa_system_sgpr_workgroup_id_z 0
		.amdhsa_system_sgpr_workgroup_info 0
		.amdhsa_system_vgpr_workitem_id 0
		.amdhsa_next_free_vgpr 1
		.amdhsa_next_free_sgpr 1
		.amdhsa_named_barrier_count 0
		.amdhsa_reserve_vcc 0
		.amdhsa_float_round_mode_32 0
		.amdhsa_float_round_mode_16_64 0
		.amdhsa_float_denorm_mode_32 3
		.amdhsa_float_denorm_mode_16_64 3
		.amdhsa_fp16_overflow 0
		.amdhsa_memory_ordered 1
		.amdhsa_forward_progress 1
		.amdhsa_inst_pref_size 0
		.amdhsa_round_robin_scheduling 0
		.amdhsa_exception_fp_ieee_invalid_op 0
		.amdhsa_exception_fp_denorm_src 0
		.amdhsa_exception_fp_ieee_div_zero 0
		.amdhsa_exception_fp_ieee_overflow 0
		.amdhsa_exception_fp_ieee_underflow 0
		.amdhsa_exception_fp_ieee_inexact 0
		.amdhsa_exception_int_div_zero 0
	.end_amdhsa_kernel
	.section	.text._ZN7rocprim17ROCPRIM_400000_NS6detail17trampoline_kernelINS0_14default_configENS1_27scan_by_key_config_selectorIxxEEZZNS1_16scan_by_key_implILNS1_25lookback_scan_determinismE0ELb1ES3_N6thrust23THRUST_200600_302600_NS6detail15normal_iteratorINS9_10device_ptrIxEEEESE_SE_xNS9_4plusIxEE19head_flag_predicatexEE10hipError_tPvRmT2_T3_T4_T5_mT6_T7_P12ihipStream_tbENKUlT_T0_E_clISt17integral_constantIbLb1EESX_IbLb0EEEEDaST_SU_EUlST_E_NS1_11comp_targetILNS1_3genE10ELNS1_11target_archE1201ELNS1_3gpuE5ELNS1_3repE0EEENS1_30default_config_static_selectorELNS0_4arch9wavefront6targetE0EEEvT1_,"axG",@progbits,_ZN7rocprim17ROCPRIM_400000_NS6detail17trampoline_kernelINS0_14default_configENS1_27scan_by_key_config_selectorIxxEEZZNS1_16scan_by_key_implILNS1_25lookback_scan_determinismE0ELb1ES3_N6thrust23THRUST_200600_302600_NS6detail15normal_iteratorINS9_10device_ptrIxEEEESE_SE_xNS9_4plusIxEE19head_flag_predicatexEE10hipError_tPvRmT2_T3_T4_T5_mT6_T7_P12ihipStream_tbENKUlT_T0_E_clISt17integral_constantIbLb1EESX_IbLb0EEEEDaST_SU_EUlST_E_NS1_11comp_targetILNS1_3genE10ELNS1_11target_archE1201ELNS1_3gpuE5ELNS1_3repE0EEENS1_30default_config_static_selectorELNS0_4arch9wavefront6targetE0EEEvT1_,comdat
.Lfunc_end732:
	.size	_ZN7rocprim17ROCPRIM_400000_NS6detail17trampoline_kernelINS0_14default_configENS1_27scan_by_key_config_selectorIxxEEZZNS1_16scan_by_key_implILNS1_25lookback_scan_determinismE0ELb1ES3_N6thrust23THRUST_200600_302600_NS6detail15normal_iteratorINS9_10device_ptrIxEEEESE_SE_xNS9_4plusIxEE19head_flag_predicatexEE10hipError_tPvRmT2_T3_T4_T5_mT6_T7_P12ihipStream_tbENKUlT_T0_E_clISt17integral_constantIbLb1EESX_IbLb0EEEEDaST_SU_EUlST_E_NS1_11comp_targetILNS1_3genE10ELNS1_11target_archE1201ELNS1_3gpuE5ELNS1_3repE0EEENS1_30default_config_static_selectorELNS0_4arch9wavefront6targetE0EEEvT1_, .Lfunc_end732-_ZN7rocprim17ROCPRIM_400000_NS6detail17trampoline_kernelINS0_14default_configENS1_27scan_by_key_config_selectorIxxEEZZNS1_16scan_by_key_implILNS1_25lookback_scan_determinismE0ELb1ES3_N6thrust23THRUST_200600_302600_NS6detail15normal_iteratorINS9_10device_ptrIxEEEESE_SE_xNS9_4plusIxEE19head_flag_predicatexEE10hipError_tPvRmT2_T3_T4_T5_mT6_T7_P12ihipStream_tbENKUlT_T0_E_clISt17integral_constantIbLb1EESX_IbLb0EEEEDaST_SU_EUlST_E_NS1_11comp_targetILNS1_3genE10ELNS1_11target_archE1201ELNS1_3gpuE5ELNS1_3repE0EEENS1_30default_config_static_selectorELNS0_4arch9wavefront6targetE0EEEvT1_
                                        ; -- End function
	.set _ZN7rocprim17ROCPRIM_400000_NS6detail17trampoline_kernelINS0_14default_configENS1_27scan_by_key_config_selectorIxxEEZZNS1_16scan_by_key_implILNS1_25lookback_scan_determinismE0ELb1ES3_N6thrust23THRUST_200600_302600_NS6detail15normal_iteratorINS9_10device_ptrIxEEEESE_SE_xNS9_4plusIxEE19head_flag_predicatexEE10hipError_tPvRmT2_T3_T4_T5_mT6_T7_P12ihipStream_tbENKUlT_T0_E_clISt17integral_constantIbLb1EESX_IbLb0EEEEDaST_SU_EUlST_E_NS1_11comp_targetILNS1_3genE10ELNS1_11target_archE1201ELNS1_3gpuE5ELNS1_3repE0EEENS1_30default_config_static_selectorELNS0_4arch9wavefront6targetE0EEEvT1_.num_vgpr, 0
	.set _ZN7rocprim17ROCPRIM_400000_NS6detail17trampoline_kernelINS0_14default_configENS1_27scan_by_key_config_selectorIxxEEZZNS1_16scan_by_key_implILNS1_25lookback_scan_determinismE0ELb1ES3_N6thrust23THRUST_200600_302600_NS6detail15normal_iteratorINS9_10device_ptrIxEEEESE_SE_xNS9_4plusIxEE19head_flag_predicatexEE10hipError_tPvRmT2_T3_T4_T5_mT6_T7_P12ihipStream_tbENKUlT_T0_E_clISt17integral_constantIbLb1EESX_IbLb0EEEEDaST_SU_EUlST_E_NS1_11comp_targetILNS1_3genE10ELNS1_11target_archE1201ELNS1_3gpuE5ELNS1_3repE0EEENS1_30default_config_static_selectorELNS0_4arch9wavefront6targetE0EEEvT1_.num_agpr, 0
	.set _ZN7rocprim17ROCPRIM_400000_NS6detail17trampoline_kernelINS0_14default_configENS1_27scan_by_key_config_selectorIxxEEZZNS1_16scan_by_key_implILNS1_25lookback_scan_determinismE0ELb1ES3_N6thrust23THRUST_200600_302600_NS6detail15normal_iteratorINS9_10device_ptrIxEEEESE_SE_xNS9_4plusIxEE19head_flag_predicatexEE10hipError_tPvRmT2_T3_T4_T5_mT6_T7_P12ihipStream_tbENKUlT_T0_E_clISt17integral_constantIbLb1EESX_IbLb0EEEEDaST_SU_EUlST_E_NS1_11comp_targetILNS1_3genE10ELNS1_11target_archE1201ELNS1_3gpuE5ELNS1_3repE0EEENS1_30default_config_static_selectorELNS0_4arch9wavefront6targetE0EEEvT1_.numbered_sgpr, 0
	.set _ZN7rocprim17ROCPRIM_400000_NS6detail17trampoline_kernelINS0_14default_configENS1_27scan_by_key_config_selectorIxxEEZZNS1_16scan_by_key_implILNS1_25lookback_scan_determinismE0ELb1ES3_N6thrust23THRUST_200600_302600_NS6detail15normal_iteratorINS9_10device_ptrIxEEEESE_SE_xNS9_4plusIxEE19head_flag_predicatexEE10hipError_tPvRmT2_T3_T4_T5_mT6_T7_P12ihipStream_tbENKUlT_T0_E_clISt17integral_constantIbLb1EESX_IbLb0EEEEDaST_SU_EUlST_E_NS1_11comp_targetILNS1_3genE10ELNS1_11target_archE1201ELNS1_3gpuE5ELNS1_3repE0EEENS1_30default_config_static_selectorELNS0_4arch9wavefront6targetE0EEEvT1_.num_named_barrier, 0
	.set _ZN7rocprim17ROCPRIM_400000_NS6detail17trampoline_kernelINS0_14default_configENS1_27scan_by_key_config_selectorIxxEEZZNS1_16scan_by_key_implILNS1_25lookback_scan_determinismE0ELb1ES3_N6thrust23THRUST_200600_302600_NS6detail15normal_iteratorINS9_10device_ptrIxEEEESE_SE_xNS9_4plusIxEE19head_flag_predicatexEE10hipError_tPvRmT2_T3_T4_T5_mT6_T7_P12ihipStream_tbENKUlT_T0_E_clISt17integral_constantIbLb1EESX_IbLb0EEEEDaST_SU_EUlST_E_NS1_11comp_targetILNS1_3genE10ELNS1_11target_archE1201ELNS1_3gpuE5ELNS1_3repE0EEENS1_30default_config_static_selectorELNS0_4arch9wavefront6targetE0EEEvT1_.private_seg_size, 0
	.set _ZN7rocprim17ROCPRIM_400000_NS6detail17trampoline_kernelINS0_14default_configENS1_27scan_by_key_config_selectorIxxEEZZNS1_16scan_by_key_implILNS1_25lookback_scan_determinismE0ELb1ES3_N6thrust23THRUST_200600_302600_NS6detail15normal_iteratorINS9_10device_ptrIxEEEESE_SE_xNS9_4plusIxEE19head_flag_predicatexEE10hipError_tPvRmT2_T3_T4_T5_mT6_T7_P12ihipStream_tbENKUlT_T0_E_clISt17integral_constantIbLb1EESX_IbLb0EEEEDaST_SU_EUlST_E_NS1_11comp_targetILNS1_3genE10ELNS1_11target_archE1201ELNS1_3gpuE5ELNS1_3repE0EEENS1_30default_config_static_selectorELNS0_4arch9wavefront6targetE0EEEvT1_.uses_vcc, 0
	.set _ZN7rocprim17ROCPRIM_400000_NS6detail17trampoline_kernelINS0_14default_configENS1_27scan_by_key_config_selectorIxxEEZZNS1_16scan_by_key_implILNS1_25lookback_scan_determinismE0ELb1ES3_N6thrust23THRUST_200600_302600_NS6detail15normal_iteratorINS9_10device_ptrIxEEEESE_SE_xNS9_4plusIxEE19head_flag_predicatexEE10hipError_tPvRmT2_T3_T4_T5_mT6_T7_P12ihipStream_tbENKUlT_T0_E_clISt17integral_constantIbLb1EESX_IbLb0EEEEDaST_SU_EUlST_E_NS1_11comp_targetILNS1_3genE10ELNS1_11target_archE1201ELNS1_3gpuE5ELNS1_3repE0EEENS1_30default_config_static_selectorELNS0_4arch9wavefront6targetE0EEEvT1_.uses_flat_scratch, 0
	.set _ZN7rocprim17ROCPRIM_400000_NS6detail17trampoline_kernelINS0_14default_configENS1_27scan_by_key_config_selectorIxxEEZZNS1_16scan_by_key_implILNS1_25lookback_scan_determinismE0ELb1ES3_N6thrust23THRUST_200600_302600_NS6detail15normal_iteratorINS9_10device_ptrIxEEEESE_SE_xNS9_4plusIxEE19head_flag_predicatexEE10hipError_tPvRmT2_T3_T4_T5_mT6_T7_P12ihipStream_tbENKUlT_T0_E_clISt17integral_constantIbLb1EESX_IbLb0EEEEDaST_SU_EUlST_E_NS1_11comp_targetILNS1_3genE10ELNS1_11target_archE1201ELNS1_3gpuE5ELNS1_3repE0EEENS1_30default_config_static_selectorELNS0_4arch9wavefront6targetE0EEEvT1_.has_dyn_sized_stack, 0
	.set _ZN7rocprim17ROCPRIM_400000_NS6detail17trampoline_kernelINS0_14default_configENS1_27scan_by_key_config_selectorIxxEEZZNS1_16scan_by_key_implILNS1_25lookback_scan_determinismE0ELb1ES3_N6thrust23THRUST_200600_302600_NS6detail15normal_iteratorINS9_10device_ptrIxEEEESE_SE_xNS9_4plusIxEE19head_flag_predicatexEE10hipError_tPvRmT2_T3_T4_T5_mT6_T7_P12ihipStream_tbENKUlT_T0_E_clISt17integral_constantIbLb1EESX_IbLb0EEEEDaST_SU_EUlST_E_NS1_11comp_targetILNS1_3genE10ELNS1_11target_archE1201ELNS1_3gpuE5ELNS1_3repE0EEENS1_30default_config_static_selectorELNS0_4arch9wavefront6targetE0EEEvT1_.has_recursion, 0
	.set _ZN7rocprim17ROCPRIM_400000_NS6detail17trampoline_kernelINS0_14default_configENS1_27scan_by_key_config_selectorIxxEEZZNS1_16scan_by_key_implILNS1_25lookback_scan_determinismE0ELb1ES3_N6thrust23THRUST_200600_302600_NS6detail15normal_iteratorINS9_10device_ptrIxEEEESE_SE_xNS9_4plusIxEE19head_flag_predicatexEE10hipError_tPvRmT2_T3_T4_T5_mT6_T7_P12ihipStream_tbENKUlT_T0_E_clISt17integral_constantIbLb1EESX_IbLb0EEEEDaST_SU_EUlST_E_NS1_11comp_targetILNS1_3genE10ELNS1_11target_archE1201ELNS1_3gpuE5ELNS1_3repE0EEENS1_30default_config_static_selectorELNS0_4arch9wavefront6targetE0EEEvT1_.has_indirect_call, 0
	.section	.AMDGPU.csdata,"",@progbits
; Kernel info:
; codeLenInByte = 0
; TotalNumSgprs: 0
; NumVgprs: 0
; ScratchSize: 0
; MemoryBound: 0
; FloatMode: 240
; IeeeMode: 1
; LDSByteSize: 0 bytes/workgroup (compile time only)
; SGPRBlocks: 0
; VGPRBlocks: 0
; NumSGPRsForWavesPerEU: 1
; NumVGPRsForWavesPerEU: 1
; NamedBarCnt: 0
; Occupancy: 16
; WaveLimiterHint : 0
; COMPUTE_PGM_RSRC2:SCRATCH_EN: 0
; COMPUTE_PGM_RSRC2:USER_SGPR: 2
; COMPUTE_PGM_RSRC2:TRAP_HANDLER: 0
; COMPUTE_PGM_RSRC2:TGID_X_EN: 1
; COMPUTE_PGM_RSRC2:TGID_Y_EN: 0
; COMPUTE_PGM_RSRC2:TGID_Z_EN: 0
; COMPUTE_PGM_RSRC2:TIDIG_COMP_CNT: 0
	.section	.text._ZN7rocprim17ROCPRIM_400000_NS6detail17trampoline_kernelINS0_14default_configENS1_27scan_by_key_config_selectorIxxEEZZNS1_16scan_by_key_implILNS1_25lookback_scan_determinismE0ELb1ES3_N6thrust23THRUST_200600_302600_NS6detail15normal_iteratorINS9_10device_ptrIxEEEESE_SE_xNS9_4plusIxEE19head_flag_predicatexEE10hipError_tPvRmT2_T3_T4_T5_mT6_T7_P12ihipStream_tbENKUlT_T0_E_clISt17integral_constantIbLb1EESX_IbLb0EEEEDaST_SU_EUlST_E_NS1_11comp_targetILNS1_3genE5ELNS1_11target_archE942ELNS1_3gpuE9ELNS1_3repE0EEENS1_30default_config_static_selectorELNS0_4arch9wavefront6targetE0EEEvT1_,"axG",@progbits,_ZN7rocprim17ROCPRIM_400000_NS6detail17trampoline_kernelINS0_14default_configENS1_27scan_by_key_config_selectorIxxEEZZNS1_16scan_by_key_implILNS1_25lookback_scan_determinismE0ELb1ES3_N6thrust23THRUST_200600_302600_NS6detail15normal_iteratorINS9_10device_ptrIxEEEESE_SE_xNS9_4plusIxEE19head_flag_predicatexEE10hipError_tPvRmT2_T3_T4_T5_mT6_T7_P12ihipStream_tbENKUlT_T0_E_clISt17integral_constantIbLb1EESX_IbLb0EEEEDaST_SU_EUlST_E_NS1_11comp_targetILNS1_3genE5ELNS1_11target_archE942ELNS1_3gpuE9ELNS1_3repE0EEENS1_30default_config_static_selectorELNS0_4arch9wavefront6targetE0EEEvT1_,comdat
	.protected	_ZN7rocprim17ROCPRIM_400000_NS6detail17trampoline_kernelINS0_14default_configENS1_27scan_by_key_config_selectorIxxEEZZNS1_16scan_by_key_implILNS1_25lookback_scan_determinismE0ELb1ES3_N6thrust23THRUST_200600_302600_NS6detail15normal_iteratorINS9_10device_ptrIxEEEESE_SE_xNS9_4plusIxEE19head_flag_predicatexEE10hipError_tPvRmT2_T3_T4_T5_mT6_T7_P12ihipStream_tbENKUlT_T0_E_clISt17integral_constantIbLb1EESX_IbLb0EEEEDaST_SU_EUlST_E_NS1_11comp_targetILNS1_3genE5ELNS1_11target_archE942ELNS1_3gpuE9ELNS1_3repE0EEENS1_30default_config_static_selectorELNS0_4arch9wavefront6targetE0EEEvT1_ ; -- Begin function _ZN7rocprim17ROCPRIM_400000_NS6detail17trampoline_kernelINS0_14default_configENS1_27scan_by_key_config_selectorIxxEEZZNS1_16scan_by_key_implILNS1_25lookback_scan_determinismE0ELb1ES3_N6thrust23THRUST_200600_302600_NS6detail15normal_iteratorINS9_10device_ptrIxEEEESE_SE_xNS9_4plusIxEE19head_flag_predicatexEE10hipError_tPvRmT2_T3_T4_T5_mT6_T7_P12ihipStream_tbENKUlT_T0_E_clISt17integral_constantIbLb1EESX_IbLb0EEEEDaST_SU_EUlST_E_NS1_11comp_targetILNS1_3genE5ELNS1_11target_archE942ELNS1_3gpuE9ELNS1_3repE0EEENS1_30default_config_static_selectorELNS0_4arch9wavefront6targetE0EEEvT1_
	.globl	_ZN7rocprim17ROCPRIM_400000_NS6detail17trampoline_kernelINS0_14default_configENS1_27scan_by_key_config_selectorIxxEEZZNS1_16scan_by_key_implILNS1_25lookback_scan_determinismE0ELb1ES3_N6thrust23THRUST_200600_302600_NS6detail15normal_iteratorINS9_10device_ptrIxEEEESE_SE_xNS9_4plusIxEE19head_flag_predicatexEE10hipError_tPvRmT2_T3_T4_T5_mT6_T7_P12ihipStream_tbENKUlT_T0_E_clISt17integral_constantIbLb1EESX_IbLb0EEEEDaST_SU_EUlST_E_NS1_11comp_targetILNS1_3genE5ELNS1_11target_archE942ELNS1_3gpuE9ELNS1_3repE0EEENS1_30default_config_static_selectorELNS0_4arch9wavefront6targetE0EEEvT1_
	.p2align	8
	.type	_ZN7rocprim17ROCPRIM_400000_NS6detail17trampoline_kernelINS0_14default_configENS1_27scan_by_key_config_selectorIxxEEZZNS1_16scan_by_key_implILNS1_25lookback_scan_determinismE0ELb1ES3_N6thrust23THRUST_200600_302600_NS6detail15normal_iteratorINS9_10device_ptrIxEEEESE_SE_xNS9_4plusIxEE19head_flag_predicatexEE10hipError_tPvRmT2_T3_T4_T5_mT6_T7_P12ihipStream_tbENKUlT_T0_E_clISt17integral_constantIbLb1EESX_IbLb0EEEEDaST_SU_EUlST_E_NS1_11comp_targetILNS1_3genE5ELNS1_11target_archE942ELNS1_3gpuE9ELNS1_3repE0EEENS1_30default_config_static_selectorELNS0_4arch9wavefront6targetE0EEEvT1_,@function
_ZN7rocprim17ROCPRIM_400000_NS6detail17trampoline_kernelINS0_14default_configENS1_27scan_by_key_config_selectorIxxEEZZNS1_16scan_by_key_implILNS1_25lookback_scan_determinismE0ELb1ES3_N6thrust23THRUST_200600_302600_NS6detail15normal_iteratorINS9_10device_ptrIxEEEESE_SE_xNS9_4plusIxEE19head_flag_predicatexEE10hipError_tPvRmT2_T3_T4_T5_mT6_T7_P12ihipStream_tbENKUlT_T0_E_clISt17integral_constantIbLb1EESX_IbLb0EEEEDaST_SU_EUlST_E_NS1_11comp_targetILNS1_3genE5ELNS1_11target_archE942ELNS1_3gpuE9ELNS1_3repE0EEENS1_30default_config_static_selectorELNS0_4arch9wavefront6targetE0EEEvT1_: ; @_ZN7rocprim17ROCPRIM_400000_NS6detail17trampoline_kernelINS0_14default_configENS1_27scan_by_key_config_selectorIxxEEZZNS1_16scan_by_key_implILNS1_25lookback_scan_determinismE0ELb1ES3_N6thrust23THRUST_200600_302600_NS6detail15normal_iteratorINS9_10device_ptrIxEEEESE_SE_xNS9_4plusIxEE19head_flag_predicatexEE10hipError_tPvRmT2_T3_T4_T5_mT6_T7_P12ihipStream_tbENKUlT_T0_E_clISt17integral_constantIbLb1EESX_IbLb0EEEEDaST_SU_EUlST_E_NS1_11comp_targetILNS1_3genE5ELNS1_11target_archE942ELNS1_3gpuE9ELNS1_3repE0EEENS1_30default_config_static_selectorELNS0_4arch9wavefront6targetE0EEEvT1_
; %bb.0:
	.section	.rodata,"a",@progbits
	.p2align	6, 0x0
	.amdhsa_kernel _ZN7rocprim17ROCPRIM_400000_NS6detail17trampoline_kernelINS0_14default_configENS1_27scan_by_key_config_selectorIxxEEZZNS1_16scan_by_key_implILNS1_25lookback_scan_determinismE0ELb1ES3_N6thrust23THRUST_200600_302600_NS6detail15normal_iteratorINS9_10device_ptrIxEEEESE_SE_xNS9_4plusIxEE19head_flag_predicatexEE10hipError_tPvRmT2_T3_T4_T5_mT6_T7_P12ihipStream_tbENKUlT_T0_E_clISt17integral_constantIbLb1EESX_IbLb0EEEEDaST_SU_EUlST_E_NS1_11comp_targetILNS1_3genE5ELNS1_11target_archE942ELNS1_3gpuE9ELNS1_3repE0EEENS1_30default_config_static_selectorELNS0_4arch9wavefront6targetE0EEEvT1_
		.amdhsa_group_segment_fixed_size 0
		.amdhsa_private_segment_fixed_size 0
		.amdhsa_kernarg_size 136
		.amdhsa_user_sgpr_count 2
		.amdhsa_user_sgpr_dispatch_ptr 0
		.amdhsa_user_sgpr_queue_ptr 0
		.amdhsa_user_sgpr_kernarg_segment_ptr 1
		.amdhsa_user_sgpr_dispatch_id 0
		.amdhsa_user_sgpr_kernarg_preload_length 0
		.amdhsa_user_sgpr_kernarg_preload_offset 0
		.amdhsa_user_sgpr_private_segment_size 0
		.amdhsa_wavefront_size32 1
		.amdhsa_uses_dynamic_stack 0
		.amdhsa_enable_private_segment 0
		.amdhsa_system_sgpr_workgroup_id_x 1
		.amdhsa_system_sgpr_workgroup_id_y 0
		.amdhsa_system_sgpr_workgroup_id_z 0
		.amdhsa_system_sgpr_workgroup_info 0
		.amdhsa_system_vgpr_workitem_id 0
		.amdhsa_next_free_vgpr 1
		.amdhsa_next_free_sgpr 1
		.amdhsa_named_barrier_count 0
		.amdhsa_reserve_vcc 0
		.amdhsa_float_round_mode_32 0
		.amdhsa_float_round_mode_16_64 0
		.amdhsa_float_denorm_mode_32 3
		.amdhsa_float_denorm_mode_16_64 3
		.amdhsa_fp16_overflow 0
		.amdhsa_memory_ordered 1
		.amdhsa_forward_progress 1
		.amdhsa_inst_pref_size 0
		.amdhsa_round_robin_scheduling 0
		.amdhsa_exception_fp_ieee_invalid_op 0
		.amdhsa_exception_fp_denorm_src 0
		.amdhsa_exception_fp_ieee_div_zero 0
		.amdhsa_exception_fp_ieee_overflow 0
		.amdhsa_exception_fp_ieee_underflow 0
		.amdhsa_exception_fp_ieee_inexact 0
		.amdhsa_exception_int_div_zero 0
	.end_amdhsa_kernel
	.section	.text._ZN7rocprim17ROCPRIM_400000_NS6detail17trampoline_kernelINS0_14default_configENS1_27scan_by_key_config_selectorIxxEEZZNS1_16scan_by_key_implILNS1_25lookback_scan_determinismE0ELb1ES3_N6thrust23THRUST_200600_302600_NS6detail15normal_iteratorINS9_10device_ptrIxEEEESE_SE_xNS9_4plusIxEE19head_flag_predicatexEE10hipError_tPvRmT2_T3_T4_T5_mT6_T7_P12ihipStream_tbENKUlT_T0_E_clISt17integral_constantIbLb1EESX_IbLb0EEEEDaST_SU_EUlST_E_NS1_11comp_targetILNS1_3genE5ELNS1_11target_archE942ELNS1_3gpuE9ELNS1_3repE0EEENS1_30default_config_static_selectorELNS0_4arch9wavefront6targetE0EEEvT1_,"axG",@progbits,_ZN7rocprim17ROCPRIM_400000_NS6detail17trampoline_kernelINS0_14default_configENS1_27scan_by_key_config_selectorIxxEEZZNS1_16scan_by_key_implILNS1_25lookback_scan_determinismE0ELb1ES3_N6thrust23THRUST_200600_302600_NS6detail15normal_iteratorINS9_10device_ptrIxEEEESE_SE_xNS9_4plusIxEE19head_flag_predicatexEE10hipError_tPvRmT2_T3_T4_T5_mT6_T7_P12ihipStream_tbENKUlT_T0_E_clISt17integral_constantIbLb1EESX_IbLb0EEEEDaST_SU_EUlST_E_NS1_11comp_targetILNS1_3genE5ELNS1_11target_archE942ELNS1_3gpuE9ELNS1_3repE0EEENS1_30default_config_static_selectorELNS0_4arch9wavefront6targetE0EEEvT1_,comdat
.Lfunc_end733:
	.size	_ZN7rocprim17ROCPRIM_400000_NS6detail17trampoline_kernelINS0_14default_configENS1_27scan_by_key_config_selectorIxxEEZZNS1_16scan_by_key_implILNS1_25lookback_scan_determinismE0ELb1ES3_N6thrust23THRUST_200600_302600_NS6detail15normal_iteratorINS9_10device_ptrIxEEEESE_SE_xNS9_4plusIxEE19head_flag_predicatexEE10hipError_tPvRmT2_T3_T4_T5_mT6_T7_P12ihipStream_tbENKUlT_T0_E_clISt17integral_constantIbLb1EESX_IbLb0EEEEDaST_SU_EUlST_E_NS1_11comp_targetILNS1_3genE5ELNS1_11target_archE942ELNS1_3gpuE9ELNS1_3repE0EEENS1_30default_config_static_selectorELNS0_4arch9wavefront6targetE0EEEvT1_, .Lfunc_end733-_ZN7rocprim17ROCPRIM_400000_NS6detail17trampoline_kernelINS0_14default_configENS1_27scan_by_key_config_selectorIxxEEZZNS1_16scan_by_key_implILNS1_25lookback_scan_determinismE0ELb1ES3_N6thrust23THRUST_200600_302600_NS6detail15normal_iteratorINS9_10device_ptrIxEEEESE_SE_xNS9_4plusIxEE19head_flag_predicatexEE10hipError_tPvRmT2_T3_T4_T5_mT6_T7_P12ihipStream_tbENKUlT_T0_E_clISt17integral_constantIbLb1EESX_IbLb0EEEEDaST_SU_EUlST_E_NS1_11comp_targetILNS1_3genE5ELNS1_11target_archE942ELNS1_3gpuE9ELNS1_3repE0EEENS1_30default_config_static_selectorELNS0_4arch9wavefront6targetE0EEEvT1_
                                        ; -- End function
	.set _ZN7rocprim17ROCPRIM_400000_NS6detail17trampoline_kernelINS0_14default_configENS1_27scan_by_key_config_selectorIxxEEZZNS1_16scan_by_key_implILNS1_25lookback_scan_determinismE0ELb1ES3_N6thrust23THRUST_200600_302600_NS6detail15normal_iteratorINS9_10device_ptrIxEEEESE_SE_xNS9_4plusIxEE19head_flag_predicatexEE10hipError_tPvRmT2_T3_T4_T5_mT6_T7_P12ihipStream_tbENKUlT_T0_E_clISt17integral_constantIbLb1EESX_IbLb0EEEEDaST_SU_EUlST_E_NS1_11comp_targetILNS1_3genE5ELNS1_11target_archE942ELNS1_3gpuE9ELNS1_3repE0EEENS1_30default_config_static_selectorELNS0_4arch9wavefront6targetE0EEEvT1_.num_vgpr, 0
	.set _ZN7rocprim17ROCPRIM_400000_NS6detail17trampoline_kernelINS0_14default_configENS1_27scan_by_key_config_selectorIxxEEZZNS1_16scan_by_key_implILNS1_25lookback_scan_determinismE0ELb1ES3_N6thrust23THRUST_200600_302600_NS6detail15normal_iteratorINS9_10device_ptrIxEEEESE_SE_xNS9_4plusIxEE19head_flag_predicatexEE10hipError_tPvRmT2_T3_T4_T5_mT6_T7_P12ihipStream_tbENKUlT_T0_E_clISt17integral_constantIbLb1EESX_IbLb0EEEEDaST_SU_EUlST_E_NS1_11comp_targetILNS1_3genE5ELNS1_11target_archE942ELNS1_3gpuE9ELNS1_3repE0EEENS1_30default_config_static_selectorELNS0_4arch9wavefront6targetE0EEEvT1_.num_agpr, 0
	.set _ZN7rocprim17ROCPRIM_400000_NS6detail17trampoline_kernelINS0_14default_configENS1_27scan_by_key_config_selectorIxxEEZZNS1_16scan_by_key_implILNS1_25lookback_scan_determinismE0ELb1ES3_N6thrust23THRUST_200600_302600_NS6detail15normal_iteratorINS9_10device_ptrIxEEEESE_SE_xNS9_4plusIxEE19head_flag_predicatexEE10hipError_tPvRmT2_T3_T4_T5_mT6_T7_P12ihipStream_tbENKUlT_T0_E_clISt17integral_constantIbLb1EESX_IbLb0EEEEDaST_SU_EUlST_E_NS1_11comp_targetILNS1_3genE5ELNS1_11target_archE942ELNS1_3gpuE9ELNS1_3repE0EEENS1_30default_config_static_selectorELNS0_4arch9wavefront6targetE0EEEvT1_.numbered_sgpr, 0
	.set _ZN7rocprim17ROCPRIM_400000_NS6detail17trampoline_kernelINS0_14default_configENS1_27scan_by_key_config_selectorIxxEEZZNS1_16scan_by_key_implILNS1_25lookback_scan_determinismE0ELb1ES3_N6thrust23THRUST_200600_302600_NS6detail15normal_iteratorINS9_10device_ptrIxEEEESE_SE_xNS9_4plusIxEE19head_flag_predicatexEE10hipError_tPvRmT2_T3_T4_T5_mT6_T7_P12ihipStream_tbENKUlT_T0_E_clISt17integral_constantIbLb1EESX_IbLb0EEEEDaST_SU_EUlST_E_NS1_11comp_targetILNS1_3genE5ELNS1_11target_archE942ELNS1_3gpuE9ELNS1_3repE0EEENS1_30default_config_static_selectorELNS0_4arch9wavefront6targetE0EEEvT1_.num_named_barrier, 0
	.set _ZN7rocprim17ROCPRIM_400000_NS6detail17trampoline_kernelINS0_14default_configENS1_27scan_by_key_config_selectorIxxEEZZNS1_16scan_by_key_implILNS1_25lookback_scan_determinismE0ELb1ES3_N6thrust23THRUST_200600_302600_NS6detail15normal_iteratorINS9_10device_ptrIxEEEESE_SE_xNS9_4plusIxEE19head_flag_predicatexEE10hipError_tPvRmT2_T3_T4_T5_mT6_T7_P12ihipStream_tbENKUlT_T0_E_clISt17integral_constantIbLb1EESX_IbLb0EEEEDaST_SU_EUlST_E_NS1_11comp_targetILNS1_3genE5ELNS1_11target_archE942ELNS1_3gpuE9ELNS1_3repE0EEENS1_30default_config_static_selectorELNS0_4arch9wavefront6targetE0EEEvT1_.private_seg_size, 0
	.set _ZN7rocprim17ROCPRIM_400000_NS6detail17trampoline_kernelINS0_14default_configENS1_27scan_by_key_config_selectorIxxEEZZNS1_16scan_by_key_implILNS1_25lookback_scan_determinismE0ELb1ES3_N6thrust23THRUST_200600_302600_NS6detail15normal_iteratorINS9_10device_ptrIxEEEESE_SE_xNS9_4plusIxEE19head_flag_predicatexEE10hipError_tPvRmT2_T3_T4_T5_mT6_T7_P12ihipStream_tbENKUlT_T0_E_clISt17integral_constantIbLb1EESX_IbLb0EEEEDaST_SU_EUlST_E_NS1_11comp_targetILNS1_3genE5ELNS1_11target_archE942ELNS1_3gpuE9ELNS1_3repE0EEENS1_30default_config_static_selectorELNS0_4arch9wavefront6targetE0EEEvT1_.uses_vcc, 0
	.set _ZN7rocprim17ROCPRIM_400000_NS6detail17trampoline_kernelINS0_14default_configENS1_27scan_by_key_config_selectorIxxEEZZNS1_16scan_by_key_implILNS1_25lookback_scan_determinismE0ELb1ES3_N6thrust23THRUST_200600_302600_NS6detail15normal_iteratorINS9_10device_ptrIxEEEESE_SE_xNS9_4plusIxEE19head_flag_predicatexEE10hipError_tPvRmT2_T3_T4_T5_mT6_T7_P12ihipStream_tbENKUlT_T0_E_clISt17integral_constantIbLb1EESX_IbLb0EEEEDaST_SU_EUlST_E_NS1_11comp_targetILNS1_3genE5ELNS1_11target_archE942ELNS1_3gpuE9ELNS1_3repE0EEENS1_30default_config_static_selectorELNS0_4arch9wavefront6targetE0EEEvT1_.uses_flat_scratch, 0
	.set _ZN7rocprim17ROCPRIM_400000_NS6detail17trampoline_kernelINS0_14default_configENS1_27scan_by_key_config_selectorIxxEEZZNS1_16scan_by_key_implILNS1_25lookback_scan_determinismE0ELb1ES3_N6thrust23THRUST_200600_302600_NS6detail15normal_iteratorINS9_10device_ptrIxEEEESE_SE_xNS9_4plusIxEE19head_flag_predicatexEE10hipError_tPvRmT2_T3_T4_T5_mT6_T7_P12ihipStream_tbENKUlT_T0_E_clISt17integral_constantIbLb1EESX_IbLb0EEEEDaST_SU_EUlST_E_NS1_11comp_targetILNS1_3genE5ELNS1_11target_archE942ELNS1_3gpuE9ELNS1_3repE0EEENS1_30default_config_static_selectorELNS0_4arch9wavefront6targetE0EEEvT1_.has_dyn_sized_stack, 0
	.set _ZN7rocprim17ROCPRIM_400000_NS6detail17trampoline_kernelINS0_14default_configENS1_27scan_by_key_config_selectorIxxEEZZNS1_16scan_by_key_implILNS1_25lookback_scan_determinismE0ELb1ES3_N6thrust23THRUST_200600_302600_NS6detail15normal_iteratorINS9_10device_ptrIxEEEESE_SE_xNS9_4plusIxEE19head_flag_predicatexEE10hipError_tPvRmT2_T3_T4_T5_mT6_T7_P12ihipStream_tbENKUlT_T0_E_clISt17integral_constantIbLb1EESX_IbLb0EEEEDaST_SU_EUlST_E_NS1_11comp_targetILNS1_3genE5ELNS1_11target_archE942ELNS1_3gpuE9ELNS1_3repE0EEENS1_30default_config_static_selectorELNS0_4arch9wavefront6targetE0EEEvT1_.has_recursion, 0
	.set _ZN7rocprim17ROCPRIM_400000_NS6detail17trampoline_kernelINS0_14default_configENS1_27scan_by_key_config_selectorIxxEEZZNS1_16scan_by_key_implILNS1_25lookback_scan_determinismE0ELb1ES3_N6thrust23THRUST_200600_302600_NS6detail15normal_iteratorINS9_10device_ptrIxEEEESE_SE_xNS9_4plusIxEE19head_flag_predicatexEE10hipError_tPvRmT2_T3_T4_T5_mT6_T7_P12ihipStream_tbENKUlT_T0_E_clISt17integral_constantIbLb1EESX_IbLb0EEEEDaST_SU_EUlST_E_NS1_11comp_targetILNS1_3genE5ELNS1_11target_archE942ELNS1_3gpuE9ELNS1_3repE0EEENS1_30default_config_static_selectorELNS0_4arch9wavefront6targetE0EEEvT1_.has_indirect_call, 0
	.section	.AMDGPU.csdata,"",@progbits
; Kernel info:
; codeLenInByte = 0
; TotalNumSgprs: 0
; NumVgprs: 0
; ScratchSize: 0
; MemoryBound: 0
; FloatMode: 240
; IeeeMode: 1
; LDSByteSize: 0 bytes/workgroup (compile time only)
; SGPRBlocks: 0
; VGPRBlocks: 0
; NumSGPRsForWavesPerEU: 1
; NumVGPRsForWavesPerEU: 1
; NamedBarCnt: 0
; Occupancy: 16
; WaveLimiterHint : 0
; COMPUTE_PGM_RSRC2:SCRATCH_EN: 0
; COMPUTE_PGM_RSRC2:USER_SGPR: 2
; COMPUTE_PGM_RSRC2:TRAP_HANDLER: 0
; COMPUTE_PGM_RSRC2:TGID_X_EN: 1
; COMPUTE_PGM_RSRC2:TGID_Y_EN: 0
; COMPUTE_PGM_RSRC2:TGID_Z_EN: 0
; COMPUTE_PGM_RSRC2:TIDIG_COMP_CNT: 0
	.section	.text._ZN7rocprim17ROCPRIM_400000_NS6detail17trampoline_kernelINS0_14default_configENS1_27scan_by_key_config_selectorIxxEEZZNS1_16scan_by_key_implILNS1_25lookback_scan_determinismE0ELb1ES3_N6thrust23THRUST_200600_302600_NS6detail15normal_iteratorINS9_10device_ptrIxEEEESE_SE_xNS9_4plusIxEE19head_flag_predicatexEE10hipError_tPvRmT2_T3_T4_T5_mT6_T7_P12ihipStream_tbENKUlT_T0_E_clISt17integral_constantIbLb1EESX_IbLb0EEEEDaST_SU_EUlST_E_NS1_11comp_targetILNS1_3genE4ELNS1_11target_archE910ELNS1_3gpuE8ELNS1_3repE0EEENS1_30default_config_static_selectorELNS0_4arch9wavefront6targetE0EEEvT1_,"axG",@progbits,_ZN7rocprim17ROCPRIM_400000_NS6detail17trampoline_kernelINS0_14default_configENS1_27scan_by_key_config_selectorIxxEEZZNS1_16scan_by_key_implILNS1_25lookback_scan_determinismE0ELb1ES3_N6thrust23THRUST_200600_302600_NS6detail15normal_iteratorINS9_10device_ptrIxEEEESE_SE_xNS9_4plusIxEE19head_flag_predicatexEE10hipError_tPvRmT2_T3_T4_T5_mT6_T7_P12ihipStream_tbENKUlT_T0_E_clISt17integral_constantIbLb1EESX_IbLb0EEEEDaST_SU_EUlST_E_NS1_11comp_targetILNS1_3genE4ELNS1_11target_archE910ELNS1_3gpuE8ELNS1_3repE0EEENS1_30default_config_static_selectorELNS0_4arch9wavefront6targetE0EEEvT1_,comdat
	.protected	_ZN7rocprim17ROCPRIM_400000_NS6detail17trampoline_kernelINS0_14default_configENS1_27scan_by_key_config_selectorIxxEEZZNS1_16scan_by_key_implILNS1_25lookback_scan_determinismE0ELb1ES3_N6thrust23THRUST_200600_302600_NS6detail15normal_iteratorINS9_10device_ptrIxEEEESE_SE_xNS9_4plusIxEE19head_flag_predicatexEE10hipError_tPvRmT2_T3_T4_T5_mT6_T7_P12ihipStream_tbENKUlT_T0_E_clISt17integral_constantIbLb1EESX_IbLb0EEEEDaST_SU_EUlST_E_NS1_11comp_targetILNS1_3genE4ELNS1_11target_archE910ELNS1_3gpuE8ELNS1_3repE0EEENS1_30default_config_static_selectorELNS0_4arch9wavefront6targetE0EEEvT1_ ; -- Begin function _ZN7rocprim17ROCPRIM_400000_NS6detail17trampoline_kernelINS0_14default_configENS1_27scan_by_key_config_selectorIxxEEZZNS1_16scan_by_key_implILNS1_25lookback_scan_determinismE0ELb1ES3_N6thrust23THRUST_200600_302600_NS6detail15normal_iteratorINS9_10device_ptrIxEEEESE_SE_xNS9_4plusIxEE19head_flag_predicatexEE10hipError_tPvRmT2_T3_T4_T5_mT6_T7_P12ihipStream_tbENKUlT_T0_E_clISt17integral_constantIbLb1EESX_IbLb0EEEEDaST_SU_EUlST_E_NS1_11comp_targetILNS1_3genE4ELNS1_11target_archE910ELNS1_3gpuE8ELNS1_3repE0EEENS1_30default_config_static_selectorELNS0_4arch9wavefront6targetE0EEEvT1_
	.globl	_ZN7rocprim17ROCPRIM_400000_NS6detail17trampoline_kernelINS0_14default_configENS1_27scan_by_key_config_selectorIxxEEZZNS1_16scan_by_key_implILNS1_25lookback_scan_determinismE0ELb1ES3_N6thrust23THRUST_200600_302600_NS6detail15normal_iteratorINS9_10device_ptrIxEEEESE_SE_xNS9_4plusIxEE19head_flag_predicatexEE10hipError_tPvRmT2_T3_T4_T5_mT6_T7_P12ihipStream_tbENKUlT_T0_E_clISt17integral_constantIbLb1EESX_IbLb0EEEEDaST_SU_EUlST_E_NS1_11comp_targetILNS1_3genE4ELNS1_11target_archE910ELNS1_3gpuE8ELNS1_3repE0EEENS1_30default_config_static_selectorELNS0_4arch9wavefront6targetE0EEEvT1_
	.p2align	8
	.type	_ZN7rocprim17ROCPRIM_400000_NS6detail17trampoline_kernelINS0_14default_configENS1_27scan_by_key_config_selectorIxxEEZZNS1_16scan_by_key_implILNS1_25lookback_scan_determinismE0ELb1ES3_N6thrust23THRUST_200600_302600_NS6detail15normal_iteratorINS9_10device_ptrIxEEEESE_SE_xNS9_4plusIxEE19head_flag_predicatexEE10hipError_tPvRmT2_T3_T4_T5_mT6_T7_P12ihipStream_tbENKUlT_T0_E_clISt17integral_constantIbLb1EESX_IbLb0EEEEDaST_SU_EUlST_E_NS1_11comp_targetILNS1_3genE4ELNS1_11target_archE910ELNS1_3gpuE8ELNS1_3repE0EEENS1_30default_config_static_selectorELNS0_4arch9wavefront6targetE0EEEvT1_,@function
_ZN7rocprim17ROCPRIM_400000_NS6detail17trampoline_kernelINS0_14default_configENS1_27scan_by_key_config_selectorIxxEEZZNS1_16scan_by_key_implILNS1_25lookback_scan_determinismE0ELb1ES3_N6thrust23THRUST_200600_302600_NS6detail15normal_iteratorINS9_10device_ptrIxEEEESE_SE_xNS9_4plusIxEE19head_flag_predicatexEE10hipError_tPvRmT2_T3_T4_T5_mT6_T7_P12ihipStream_tbENKUlT_T0_E_clISt17integral_constantIbLb1EESX_IbLb0EEEEDaST_SU_EUlST_E_NS1_11comp_targetILNS1_3genE4ELNS1_11target_archE910ELNS1_3gpuE8ELNS1_3repE0EEENS1_30default_config_static_selectorELNS0_4arch9wavefront6targetE0EEEvT1_: ; @_ZN7rocprim17ROCPRIM_400000_NS6detail17trampoline_kernelINS0_14default_configENS1_27scan_by_key_config_selectorIxxEEZZNS1_16scan_by_key_implILNS1_25lookback_scan_determinismE0ELb1ES3_N6thrust23THRUST_200600_302600_NS6detail15normal_iteratorINS9_10device_ptrIxEEEESE_SE_xNS9_4plusIxEE19head_flag_predicatexEE10hipError_tPvRmT2_T3_T4_T5_mT6_T7_P12ihipStream_tbENKUlT_T0_E_clISt17integral_constantIbLb1EESX_IbLb0EEEEDaST_SU_EUlST_E_NS1_11comp_targetILNS1_3genE4ELNS1_11target_archE910ELNS1_3gpuE8ELNS1_3repE0EEENS1_30default_config_static_selectorELNS0_4arch9wavefront6targetE0EEEvT1_
; %bb.0:
	.section	.rodata,"a",@progbits
	.p2align	6, 0x0
	.amdhsa_kernel _ZN7rocprim17ROCPRIM_400000_NS6detail17trampoline_kernelINS0_14default_configENS1_27scan_by_key_config_selectorIxxEEZZNS1_16scan_by_key_implILNS1_25lookback_scan_determinismE0ELb1ES3_N6thrust23THRUST_200600_302600_NS6detail15normal_iteratorINS9_10device_ptrIxEEEESE_SE_xNS9_4plusIxEE19head_flag_predicatexEE10hipError_tPvRmT2_T3_T4_T5_mT6_T7_P12ihipStream_tbENKUlT_T0_E_clISt17integral_constantIbLb1EESX_IbLb0EEEEDaST_SU_EUlST_E_NS1_11comp_targetILNS1_3genE4ELNS1_11target_archE910ELNS1_3gpuE8ELNS1_3repE0EEENS1_30default_config_static_selectorELNS0_4arch9wavefront6targetE0EEEvT1_
		.amdhsa_group_segment_fixed_size 0
		.amdhsa_private_segment_fixed_size 0
		.amdhsa_kernarg_size 136
		.amdhsa_user_sgpr_count 2
		.amdhsa_user_sgpr_dispatch_ptr 0
		.amdhsa_user_sgpr_queue_ptr 0
		.amdhsa_user_sgpr_kernarg_segment_ptr 1
		.amdhsa_user_sgpr_dispatch_id 0
		.amdhsa_user_sgpr_kernarg_preload_length 0
		.amdhsa_user_sgpr_kernarg_preload_offset 0
		.amdhsa_user_sgpr_private_segment_size 0
		.amdhsa_wavefront_size32 1
		.amdhsa_uses_dynamic_stack 0
		.amdhsa_enable_private_segment 0
		.amdhsa_system_sgpr_workgroup_id_x 1
		.amdhsa_system_sgpr_workgroup_id_y 0
		.amdhsa_system_sgpr_workgroup_id_z 0
		.amdhsa_system_sgpr_workgroup_info 0
		.amdhsa_system_vgpr_workitem_id 0
		.amdhsa_next_free_vgpr 1
		.amdhsa_next_free_sgpr 1
		.amdhsa_named_barrier_count 0
		.amdhsa_reserve_vcc 0
		.amdhsa_float_round_mode_32 0
		.amdhsa_float_round_mode_16_64 0
		.amdhsa_float_denorm_mode_32 3
		.amdhsa_float_denorm_mode_16_64 3
		.amdhsa_fp16_overflow 0
		.amdhsa_memory_ordered 1
		.amdhsa_forward_progress 1
		.amdhsa_inst_pref_size 0
		.amdhsa_round_robin_scheduling 0
		.amdhsa_exception_fp_ieee_invalid_op 0
		.amdhsa_exception_fp_denorm_src 0
		.amdhsa_exception_fp_ieee_div_zero 0
		.amdhsa_exception_fp_ieee_overflow 0
		.amdhsa_exception_fp_ieee_underflow 0
		.amdhsa_exception_fp_ieee_inexact 0
		.amdhsa_exception_int_div_zero 0
	.end_amdhsa_kernel
	.section	.text._ZN7rocprim17ROCPRIM_400000_NS6detail17trampoline_kernelINS0_14default_configENS1_27scan_by_key_config_selectorIxxEEZZNS1_16scan_by_key_implILNS1_25lookback_scan_determinismE0ELb1ES3_N6thrust23THRUST_200600_302600_NS6detail15normal_iteratorINS9_10device_ptrIxEEEESE_SE_xNS9_4plusIxEE19head_flag_predicatexEE10hipError_tPvRmT2_T3_T4_T5_mT6_T7_P12ihipStream_tbENKUlT_T0_E_clISt17integral_constantIbLb1EESX_IbLb0EEEEDaST_SU_EUlST_E_NS1_11comp_targetILNS1_3genE4ELNS1_11target_archE910ELNS1_3gpuE8ELNS1_3repE0EEENS1_30default_config_static_selectorELNS0_4arch9wavefront6targetE0EEEvT1_,"axG",@progbits,_ZN7rocprim17ROCPRIM_400000_NS6detail17trampoline_kernelINS0_14default_configENS1_27scan_by_key_config_selectorIxxEEZZNS1_16scan_by_key_implILNS1_25lookback_scan_determinismE0ELb1ES3_N6thrust23THRUST_200600_302600_NS6detail15normal_iteratorINS9_10device_ptrIxEEEESE_SE_xNS9_4plusIxEE19head_flag_predicatexEE10hipError_tPvRmT2_T3_T4_T5_mT6_T7_P12ihipStream_tbENKUlT_T0_E_clISt17integral_constantIbLb1EESX_IbLb0EEEEDaST_SU_EUlST_E_NS1_11comp_targetILNS1_3genE4ELNS1_11target_archE910ELNS1_3gpuE8ELNS1_3repE0EEENS1_30default_config_static_selectorELNS0_4arch9wavefront6targetE0EEEvT1_,comdat
.Lfunc_end734:
	.size	_ZN7rocprim17ROCPRIM_400000_NS6detail17trampoline_kernelINS0_14default_configENS1_27scan_by_key_config_selectorIxxEEZZNS1_16scan_by_key_implILNS1_25lookback_scan_determinismE0ELb1ES3_N6thrust23THRUST_200600_302600_NS6detail15normal_iteratorINS9_10device_ptrIxEEEESE_SE_xNS9_4plusIxEE19head_flag_predicatexEE10hipError_tPvRmT2_T3_T4_T5_mT6_T7_P12ihipStream_tbENKUlT_T0_E_clISt17integral_constantIbLb1EESX_IbLb0EEEEDaST_SU_EUlST_E_NS1_11comp_targetILNS1_3genE4ELNS1_11target_archE910ELNS1_3gpuE8ELNS1_3repE0EEENS1_30default_config_static_selectorELNS0_4arch9wavefront6targetE0EEEvT1_, .Lfunc_end734-_ZN7rocprim17ROCPRIM_400000_NS6detail17trampoline_kernelINS0_14default_configENS1_27scan_by_key_config_selectorIxxEEZZNS1_16scan_by_key_implILNS1_25lookback_scan_determinismE0ELb1ES3_N6thrust23THRUST_200600_302600_NS6detail15normal_iteratorINS9_10device_ptrIxEEEESE_SE_xNS9_4plusIxEE19head_flag_predicatexEE10hipError_tPvRmT2_T3_T4_T5_mT6_T7_P12ihipStream_tbENKUlT_T0_E_clISt17integral_constantIbLb1EESX_IbLb0EEEEDaST_SU_EUlST_E_NS1_11comp_targetILNS1_3genE4ELNS1_11target_archE910ELNS1_3gpuE8ELNS1_3repE0EEENS1_30default_config_static_selectorELNS0_4arch9wavefront6targetE0EEEvT1_
                                        ; -- End function
	.set _ZN7rocprim17ROCPRIM_400000_NS6detail17trampoline_kernelINS0_14default_configENS1_27scan_by_key_config_selectorIxxEEZZNS1_16scan_by_key_implILNS1_25lookback_scan_determinismE0ELb1ES3_N6thrust23THRUST_200600_302600_NS6detail15normal_iteratorINS9_10device_ptrIxEEEESE_SE_xNS9_4plusIxEE19head_flag_predicatexEE10hipError_tPvRmT2_T3_T4_T5_mT6_T7_P12ihipStream_tbENKUlT_T0_E_clISt17integral_constantIbLb1EESX_IbLb0EEEEDaST_SU_EUlST_E_NS1_11comp_targetILNS1_3genE4ELNS1_11target_archE910ELNS1_3gpuE8ELNS1_3repE0EEENS1_30default_config_static_selectorELNS0_4arch9wavefront6targetE0EEEvT1_.num_vgpr, 0
	.set _ZN7rocprim17ROCPRIM_400000_NS6detail17trampoline_kernelINS0_14default_configENS1_27scan_by_key_config_selectorIxxEEZZNS1_16scan_by_key_implILNS1_25lookback_scan_determinismE0ELb1ES3_N6thrust23THRUST_200600_302600_NS6detail15normal_iteratorINS9_10device_ptrIxEEEESE_SE_xNS9_4plusIxEE19head_flag_predicatexEE10hipError_tPvRmT2_T3_T4_T5_mT6_T7_P12ihipStream_tbENKUlT_T0_E_clISt17integral_constantIbLb1EESX_IbLb0EEEEDaST_SU_EUlST_E_NS1_11comp_targetILNS1_3genE4ELNS1_11target_archE910ELNS1_3gpuE8ELNS1_3repE0EEENS1_30default_config_static_selectorELNS0_4arch9wavefront6targetE0EEEvT1_.num_agpr, 0
	.set _ZN7rocprim17ROCPRIM_400000_NS6detail17trampoline_kernelINS0_14default_configENS1_27scan_by_key_config_selectorIxxEEZZNS1_16scan_by_key_implILNS1_25lookback_scan_determinismE0ELb1ES3_N6thrust23THRUST_200600_302600_NS6detail15normal_iteratorINS9_10device_ptrIxEEEESE_SE_xNS9_4plusIxEE19head_flag_predicatexEE10hipError_tPvRmT2_T3_T4_T5_mT6_T7_P12ihipStream_tbENKUlT_T0_E_clISt17integral_constantIbLb1EESX_IbLb0EEEEDaST_SU_EUlST_E_NS1_11comp_targetILNS1_3genE4ELNS1_11target_archE910ELNS1_3gpuE8ELNS1_3repE0EEENS1_30default_config_static_selectorELNS0_4arch9wavefront6targetE0EEEvT1_.numbered_sgpr, 0
	.set _ZN7rocprim17ROCPRIM_400000_NS6detail17trampoline_kernelINS0_14default_configENS1_27scan_by_key_config_selectorIxxEEZZNS1_16scan_by_key_implILNS1_25lookback_scan_determinismE0ELb1ES3_N6thrust23THRUST_200600_302600_NS6detail15normal_iteratorINS9_10device_ptrIxEEEESE_SE_xNS9_4plusIxEE19head_flag_predicatexEE10hipError_tPvRmT2_T3_T4_T5_mT6_T7_P12ihipStream_tbENKUlT_T0_E_clISt17integral_constantIbLb1EESX_IbLb0EEEEDaST_SU_EUlST_E_NS1_11comp_targetILNS1_3genE4ELNS1_11target_archE910ELNS1_3gpuE8ELNS1_3repE0EEENS1_30default_config_static_selectorELNS0_4arch9wavefront6targetE0EEEvT1_.num_named_barrier, 0
	.set _ZN7rocprim17ROCPRIM_400000_NS6detail17trampoline_kernelINS0_14default_configENS1_27scan_by_key_config_selectorIxxEEZZNS1_16scan_by_key_implILNS1_25lookback_scan_determinismE0ELb1ES3_N6thrust23THRUST_200600_302600_NS6detail15normal_iteratorINS9_10device_ptrIxEEEESE_SE_xNS9_4plusIxEE19head_flag_predicatexEE10hipError_tPvRmT2_T3_T4_T5_mT6_T7_P12ihipStream_tbENKUlT_T0_E_clISt17integral_constantIbLb1EESX_IbLb0EEEEDaST_SU_EUlST_E_NS1_11comp_targetILNS1_3genE4ELNS1_11target_archE910ELNS1_3gpuE8ELNS1_3repE0EEENS1_30default_config_static_selectorELNS0_4arch9wavefront6targetE0EEEvT1_.private_seg_size, 0
	.set _ZN7rocprim17ROCPRIM_400000_NS6detail17trampoline_kernelINS0_14default_configENS1_27scan_by_key_config_selectorIxxEEZZNS1_16scan_by_key_implILNS1_25lookback_scan_determinismE0ELb1ES3_N6thrust23THRUST_200600_302600_NS6detail15normal_iteratorINS9_10device_ptrIxEEEESE_SE_xNS9_4plusIxEE19head_flag_predicatexEE10hipError_tPvRmT2_T3_T4_T5_mT6_T7_P12ihipStream_tbENKUlT_T0_E_clISt17integral_constantIbLb1EESX_IbLb0EEEEDaST_SU_EUlST_E_NS1_11comp_targetILNS1_3genE4ELNS1_11target_archE910ELNS1_3gpuE8ELNS1_3repE0EEENS1_30default_config_static_selectorELNS0_4arch9wavefront6targetE0EEEvT1_.uses_vcc, 0
	.set _ZN7rocprim17ROCPRIM_400000_NS6detail17trampoline_kernelINS0_14default_configENS1_27scan_by_key_config_selectorIxxEEZZNS1_16scan_by_key_implILNS1_25lookback_scan_determinismE0ELb1ES3_N6thrust23THRUST_200600_302600_NS6detail15normal_iteratorINS9_10device_ptrIxEEEESE_SE_xNS9_4plusIxEE19head_flag_predicatexEE10hipError_tPvRmT2_T3_T4_T5_mT6_T7_P12ihipStream_tbENKUlT_T0_E_clISt17integral_constantIbLb1EESX_IbLb0EEEEDaST_SU_EUlST_E_NS1_11comp_targetILNS1_3genE4ELNS1_11target_archE910ELNS1_3gpuE8ELNS1_3repE0EEENS1_30default_config_static_selectorELNS0_4arch9wavefront6targetE0EEEvT1_.uses_flat_scratch, 0
	.set _ZN7rocprim17ROCPRIM_400000_NS6detail17trampoline_kernelINS0_14default_configENS1_27scan_by_key_config_selectorIxxEEZZNS1_16scan_by_key_implILNS1_25lookback_scan_determinismE0ELb1ES3_N6thrust23THRUST_200600_302600_NS6detail15normal_iteratorINS9_10device_ptrIxEEEESE_SE_xNS9_4plusIxEE19head_flag_predicatexEE10hipError_tPvRmT2_T3_T4_T5_mT6_T7_P12ihipStream_tbENKUlT_T0_E_clISt17integral_constantIbLb1EESX_IbLb0EEEEDaST_SU_EUlST_E_NS1_11comp_targetILNS1_3genE4ELNS1_11target_archE910ELNS1_3gpuE8ELNS1_3repE0EEENS1_30default_config_static_selectorELNS0_4arch9wavefront6targetE0EEEvT1_.has_dyn_sized_stack, 0
	.set _ZN7rocprim17ROCPRIM_400000_NS6detail17trampoline_kernelINS0_14default_configENS1_27scan_by_key_config_selectorIxxEEZZNS1_16scan_by_key_implILNS1_25lookback_scan_determinismE0ELb1ES3_N6thrust23THRUST_200600_302600_NS6detail15normal_iteratorINS9_10device_ptrIxEEEESE_SE_xNS9_4plusIxEE19head_flag_predicatexEE10hipError_tPvRmT2_T3_T4_T5_mT6_T7_P12ihipStream_tbENKUlT_T0_E_clISt17integral_constantIbLb1EESX_IbLb0EEEEDaST_SU_EUlST_E_NS1_11comp_targetILNS1_3genE4ELNS1_11target_archE910ELNS1_3gpuE8ELNS1_3repE0EEENS1_30default_config_static_selectorELNS0_4arch9wavefront6targetE0EEEvT1_.has_recursion, 0
	.set _ZN7rocprim17ROCPRIM_400000_NS6detail17trampoline_kernelINS0_14default_configENS1_27scan_by_key_config_selectorIxxEEZZNS1_16scan_by_key_implILNS1_25lookback_scan_determinismE0ELb1ES3_N6thrust23THRUST_200600_302600_NS6detail15normal_iteratorINS9_10device_ptrIxEEEESE_SE_xNS9_4plusIxEE19head_flag_predicatexEE10hipError_tPvRmT2_T3_T4_T5_mT6_T7_P12ihipStream_tbENKUlT_T0_E_clISt17integral_constantIbLb1EESX_IbLb0EEEEDaST_SU_EUlST_E_NS1_11comp_targetILNS1_3genE4ELNS1_11target_archE910ELNS1_3gpuE8ELNS1_3repE0EEENS1_30default_config_static_selectorELNS0_4arch9wavefront6targetE0EEEvT1_.has_indirect_call, 0
	.section	.AMDGPU.csdata,"",@progbits
; Kernel info:
; codeLenInByte = 0
; TotalNumSgprs: 0
; NumVgprs: 0
; ScratchSize: 0
; MemoryBound: 0
; FloatMode: 240
; IeeeMode: 1
; LDSByteSize: 0 bytes/workgroup (compile time only)
; SGPRBlocks: 0
; VGPRBlocks: 0
; NumSGPRsForWavesPerEU: 1
; NumVGPRsForWavesPerEU: 1
; NamedBarCnt: 0
; Occupancy: 16
; WaveLimiterHint : 0
; COMPUTE_PGM_RSRC2:SCRATCH_EN: 0
; COMPUTE_PGM_RSRC2:USER_SGPR: 2
; COMPUTE_PGM_RSRC2:TRAP_HANDLER: 0
; COMPUTE_PGM_RSRC2:TGID_X_EN: 1
; COMPUTE_PGM_RSRC2:TGID_Y_EN: 0
; COMPUTE_PGM_RSRC2:TGID_Z_EN: 0
; COMPUTE_PGM_RSRC2:TIDIG_COMP_CNT: 0
	.section	.text._ZN7rocprim17ROCPRIM_400000_NS6detail17trampoline_kernelINS0_14default_configENS1_27scan_by_key_config_selectorIxxEEZZNS1_16scan_by_key_implILNS1_25lookback_scan_determinismE0ELb1ES3_N6thrust23THRUST_200600_302600_NS6detail15normal_iteratorINS9_10device_ptrIxEEEESE_SE_xNS9_4plusIxEE19head_flag_predicatexEE10hipError_tPvRmT2_T3_T4_T5_mT6_T7_P12ihipStream_tbENKUlT_T0_E_clISt17integral_constantIbLb1EESX_IbLb0EEEEDaST_SU_EUlST_E_NS1_11comp_targetILNS1_3genE3ELNS1_11target_archE908ELNS1_3gpuE7ELNS1_3repE0EEENS1_30default_config_static_selectorELNS0_4arch9wavefront6targetE0EEEvT1_,"axG",@progbits,_ZN7rocprim17ROCPRIM_400000_NS6detail17trampoline_kernelINS0_14default_configENS1_27scan_by_key_config_selectorIxxEEZZNS1_16scan_by_key_implILNS1_25lookback_scan_determinismE0ELb1ES3_N6thrust23THRUST_200600_302600_NS6detail15normal_iteratorINS9_10device_ptrIxEEEESE_SE_xNS9_4plusIxEE19head_flag_predicatexEE10hipError_tPvRmT2_T3_T4_T5_mT6_T7_P12ihipStream_tbENKUlT_T0_E_clISt17integral_constantIbLb1EESX_IbLb0EEEEDaST_SU_EUlST_E_NS1_11comp_targetILNS1_3genE3ELNS1_11target_archE908ELNS1_3gpuE7ELNS1_3repE0EEENS1_30default_config_static_selectorELNS0_4arch9wavefront6targetE0EEEvT1_,comdat
	.protected	_ZN7rocprim17ROCPRIM_400000_NS6detail17trampoline_kernelINS0_14default_configENS1_27scan_by_key_config_selectorIxxEEZZNS1_16scan_by_key_implILNS1_25lookback_scan_determinismE0ELb1ES3_N6thrust23THRUST_200600_302600_NS6detail15normal_iteratorINS9_10device_ptrIxEEEESE_SE_xNS9_4plusIxEE19head_flag_predicatexEE10hipError_tPvRmT2_T3_T4_T5_mT6_T7_P12ihipStream_tbENKUlT_T0_E_clISt17integral_constantIbLb1EESX_IbLb0EEEEDaST_SU_EUlST_E_NS1_11comp_targetILNS1_3genE3ELNS1_11target_archE908ELNS1_3gpuE7ELNS1_3repE0EEENS1_30default_config_static_selectorELNS0_4arch9wavefront6targetE0EEEvT1_ ; -- Begin function _ZN7rocprim17ROCPRIM_400000_NS6detail17trampoline_kernelINS0_14default_configENS1_27scan_by_key_config_selectorIxxEEZZNS1_16scan_by_key_implILNS1_25lookback_scan_determinismE0ELb1ES3_N6thrust23THRUST_200600_302600_NS6detail15normal_iteratorINS9_10device_ptrIxEEEESE_SE_xNS9_4plusIxEE19head_flag_predicatexEE10hipError_tPvRmT2_T3_T4_T5_mT6_T7_P12ihipStream_tbENKUlT_T0_E_clISt17integral_constantIbLb1EESX_IbLb0EEEEDaST_SU_EUlST_E_NS1_11comp_targetILNS1_3genE3ELNS1_11target_archE908ELNS1_3gpuE7ELNS1_3repE0EEENS1_30default_config_static_selectorELNS0_4arch9wavefront6targetE0EEEvT1_
	.globl	_ZN7rocprim17ROCPRIM_400000_NS6detail17trampoline_kernelINS0_14default_configENS1_27scan_by_key_config_selectorIxxEEZZNS1_16scan_by_key_implILNS1_25lookback_scan_determinismE0ELb1ES3_N6thrust23THRUST_200600_302600_NS6detail15normal_iteratorINS9_10device_ptrIxEEEESE_SE_xNS9_4plusIxEE19head_flag_predicatexEE10hipError_tPvRmT2_T3_T4_T5_mT6_T7_P12ihipStream_tbENKUlT_T0_E_clISt17integral_constantIbLb1EESX_IbLb0EEEEDaST_SU_EUlST_E_NS1_11comp_targetILNS1_3genE3ELNS1_11target_archE908ELNS1_3gpuE7ELNS1_3repE0EEENS1_30default_config_static_selectorELNS0_4arch9wavefront6targetE0EEEvT1_
	.p2align	8
	.type	_ZN7rocprim17ROCPRIM_400000_NS6detail17trampoline_kernelINS0_14default_configENS1_27scan_by_key_config_selectorIxxEEZZNS1_16scan_by_key_implILNS1_25lookback_scan_determinismE0ELb1ES3_N6thrust23THRUST_200600_302600_NS6detail15normal_iteratorINS9_10device_ptrIxEEEESE_SE_xNS9_4plusIxEE19head_flag_predicatexEE10hipError_tPvRmT2_T3_T4_T5_mT6_T7_P12ihipStream_tbENKUlT_T0_E_clISt17integral_constantIbLb1EESX_IbLb0EEEEDaST_SU_EUlST_E_NS1_11comp_targetILNS1_3genE3ELNS1_11target_archE908ELNS1_3gpuE7ELNS1_3repE0EEENS1_30default_config_static_selectorELNS0_4arch9wavefront6targetE0EEEvT1_,@function
_ZN7rocprim17ROCPRIM_400000_NS6detail17trampoline_kernelINS0_14default_configENS1_27scan_by_key_config_selectorIxxEEZZNS1_16scan_by_key_implILNS1_25lookback_scan_determinismE0ELb1ES3_N6thrust23THRUST_200600_302600_NS6detail15normal_iteratorINS9_10device_ptrIxEEEESE_SE_xNS9_4plusIxEE19head_flag_predicatexEE10hipError_tPvRmT2_T3_T4_T5_mT6_T7_P12ihipStream_tbENKUlT_T0_E_clISt17integral_constantIbLb1EESX_IbLb0EEEEDaST_SU_EUlST_E_NS1_11comp_targetILNS1_3genE3ELNS1_11target_archE908ELNS1_3gpuE7ELNS1_3repE0EEENS1_30default_config_static_selectorELNS0_4arch9wavefront6targetE0EEEvT1_: ; @_ZN7rocprim17ROCPRIM_400000_NS6detail17trampoline_kernelINS0_14default_configENS1_27scan_by_key_config_selectorIxxEEZZNS1_16scan_by_key_implILNS1_25lookback_scan_determinismE0ELb1ES3_N6thrust23THRUST_200600_302600_NS6detail15normal_iteratorINS9_10device_ptrIxEEEESE_SE_xNS9_4plusIxEE19head_flag_predicatexEE10hipError_tPvRmT2_T3_T4_T5_mT6_T7_P12ihipStream_tbENKUlT_T0_E_clISt17integral_constantIbLb1EESX_IbLb0EEEEDaST_SU_EUlST_E_NS1_11comp_targetILNS1_3genE3ELNS1_11target_archE908ELNS1_3gpuE7ELNS1_3repE0EEENS1_30default_config_static_selectorELNS0_4arch9wavefront6targetE0EEEvT1_
; %bb.0:
	.section	.rodata,"a",@progbits
	.p2align	6, 0x0
	.amdhsa_kernel _ZN7rocprim17ROCPRIM_400000_NS6detail17trampoline_kernelINS0_14default_configENS1_27scan_by_key_config_selectorIxxEEZZNS1_16scan_by_key_implILNS1_25lookback_scan_determinismE0ELb1ES3_N6thrust23THRUST_200600_302600_NS6detail15normal_iteratorINS9_10device_ptrIxEEEESE_SE_xNS9_4plusIxEE19head_flag_predicatexEE10hipError_tPvRmT2_T3_T4_T5_mT6_T7_P12ihipStream_tbENKUlT_T0_E_clISt17integral_constantIbLb1EESX_IbLb0EEEEDaST_SU_EUlST_E_NS1_11comp_targetILNS1_3genE3ELNS1_11target_archE908ELNS1_3gpuE7ELNS1_3repE0EEENS1_30default_config_static_selectorELNS0_4arch9wavefront6targetE0EEEvT1_
		.amdhsa_group_segment_fixed_size 0
		.amdhsa_private_segment_fixed_size 0
		.amdhsa_kernarg_size 136
		.amdhsa_user_sgpr_count 2
		.amdhsa_user_sgpr_dispatch_ptr 0
		.amdhsa_user_sgpr_queue_ptr 0
		.amdhsa_user_sgpr_kernarg_segment_ptr 1
		.amdhsa_user_sgpr_dispatch_id 0
		.amdhsa_user_sgpr_kernarg_preload_length 0
		.amdhsa_user_sgpr_kernarg_preload_offset 0
		.amdhsa_user_sgpr_private_segment_size 0
		.amdhsa_wavefront_size32 1
		.amdhsa_uses_dynamic_stack 0
		.amdhsa_enable_private_segment 0
		.amdhsa_system_sgpr_workgroup_id_x 1
		.amdhsa_system_sgpr_workgroup_id_y 0
		.amdhsa_system_sgpr_workgroup_id_z 0
		.amdhsa_system_sgpr_workgroup_info 0
		.amdhsa_system_vgpr_workitem_id 0
		.amdhsa_next_free_vgpr 1
		.amdhsa_next_free_sgpr 1
		.amdhsa_named_barrier_count 0
		.amdhsa_reserve_vcc 0
		.amdhsa_float_round_mode_32 0
		.amdhsa_float_round_mode_16_64 0
		.amdhsa_float_denorm_mode_32 3
		.amdhsa_float_denorm_mode_16_64 3
		.amdhsa_fp16_overflow 0
		.amdhsa_memory_ordered 1
		.amdhsa_forward_progress 1
		.amdhsa_inst_pref_size 0
		.amdhsa_round_robin_scheduling 0
		.amdhsa_exception_fp_ieee_invalid_op 0
		.amdhsa_exception_fp_denorm_src 0
		.amdhsa_exception_fp_ieee_div_zero 0
		.amdhsa_exception_fp_ieee_overflow 0
		.amdhsa_exception_fp_ieee_underflow 0
		.amdhsa_exception_fp_ieee_inexact 0
		.amdhsa_exception_int_div_zero 0
	.end_amdhsa_kernel
	.section	.text._ZN7rocprim17ROCPRIM_400000_NS6detail17trampoline_kernelINS0_14default_configENS1_27scan_by_key_config_selectorIxxEEZZNS1_16scan_by_key_implILNS1_25lookback_scan_determinismE0ELb1ES3_N6thrust23THRUST_200600_302600_NS6detail15normal_iteratorINS9_10device_ptrIxEEEESE_SE_xNS9_4plusIxEE19head_flag_predicatexEE10hipError_tPvRmT2_T3_T4_T5_mT6_T7_P12ihipStream_tbENKUlT_T0_E_clISt17integral_constantIbLb1EESX_IbLb0EEEEDaST_SU_EUlST_E_NS1_11comp_targetILNS1_3genE3ELNS1_11target_archE908ELNS1_3gpuE7ELNS1_3repE0EEENS1_30default_config_static_selectorELNS0_4arch9wavefront6targetE0EEEvT1_,"axG",@progbits,_ZN7rocprim17ROCPRIM_400000_NS6detail17trampoline_kernelINS0_14default_configENS1_27scan_by_key_config_selectorIxxEEZZNS1_16scan_by_key_implILNS1_25lookback_scan_determinismE0ELb1ES3_N6thrust23THRUST_200600_302600_NS6detail15normal_iteratorINS9_10device_ptrIxEEEESE_SE_xNS9_4plusIxEE19head_flag_predicatexEE10hipError_tPvRmT2_T3_T4_T5_mT6_T7_P12ihipStream_tbENKUlT_T0_E_clISt17integral_constantIbLb1EESX_IbLb0EEEEDaST_SU_EUlST_E_NS1_11comp_targetILNS1_3genE3ELNS1_11target_archE908ELNS1_3gpuE7ELNS1_3repE0EEENS1_30default_config_static_selectorELNS0_4arch9wavefront6targetE0EEEvT1_,comdat
.Lfunc_end735:
	.size	_ZN7rocprim17ROCPRIM_400000_NS6detail17trampoline_kernelINS0_14default_configENS1_27scan_by_key_config_selectorIxxEEZZNS1_16scan_by_key_implILNS1_25lookback_scan_determinismE0ELb1ES3_N6thrust23THRUST_200600_302600_NS6detail15normal_iteratorINS9_10device_ptrIxEEEESE_SE_xNS9_4plusIxEE19head_flag_predicatexEE10hipError_tPvRmT2_T3_T4_T5_mT6_T7_P12ihipStream_tbENKUlT_T0_E_clISt17integral_constantIbLb1EESX_IbLb0EEEEDaST_SU_EUlST_E_NS1_11comp_targetILNS1_3genE3ELNS1_11target_archE908ELNS1_3gpuE7ELNS1_3repE0EEENS1_30default_config_static_selectorELNS0_4arch9wavefront6targetE0EEEvT1_, .Lfunc_end735-_ZN7rocprim17ROCPRIM_400000_NS6detail17trampoline_kernelINS0_14default_configENS1_27scan_by_key_config_selectorIxxEEZZNS1_16scan_by_key_implILNS1_25lookback_scan_determinismE0ELb1ES3_N6thrust23THRUST_200600_302600_NS6detail15normal_iteratorINS9_10device_ptrIxEEEESE_SE_xNS9_4plusIxEE19head_flag_predicatexEE10hipError_tPvRmT2_T3_T4_T5_mT6_T7_P12ihipStream_tbENKUlT_T0_E_clISt17integral_constantIbLb1EESX_IbLb0EEEEDaST_SU_EUlST_E_NS1_11comp_targetILNS1_3genE3ELNS1_11target_archE908ELNS1_3gpuE7ELNS1_3repE0EEENS1_30default_config_static_selectorELNS0_4arch9wavefront6targetE0EEEvT1_
                                        ; -- End function
	.set _ZN7rocprim17ROCPRIM_400000_NS6detail17trampoline_kernelINS0_14default_configENS1_27scan_by_key_config_selectorIxxEEZZNS1_16scan_by_key_implILNS1_25lookback_scan_determinismE0ELb1ES3_N6thrust23THRUST_200600_302600_NS6detail15normal_iteratorINS9_10device_ptrIxEEEESE_SE_xNS9_4plusIxEE19head_flag_predicatexEE10hipError_tPvRmT2_T3_T4_T5_mT6_T7_P12ihipStream_tbENKUlT_T0_E_clISt17integral_constantIbLb1EESX_IbLb0EEEEDaST_SU_EUlST_E_NS1_11comp_targetILNS1_3genE3ELNS1_11target_archE908ELNS1_3gpuE7ELNS1_3repE0EEENS1_30default_config_static_selectorELNS0_4arch9wavefront6targetE0EEEvT1_.num_vgpr, 0
	.set _ZN7rocprim17ROCPRIM_400000_NS6detail17trampoline_kernelINS0_14default_configENS1_27scan_by_key_config_selectorIxxEEZZNS1_16scan_by_key_implILNS1_25lookback_scan_determinismE0ELb1ES3_N6thrust23THRUST_200600_302600_NS6detail15normal_iteratorINS9_10device_ptrIxEEEESE_SE_xNS9_4plusIxEE19head_flag_predicatexEE10hipError_tPvRmT2_T3_T4_T5_mT6_T7_P12ihipStream_tbENKUlT_T0_E_clISt17integral_constantIbLb1EESX_IbLb0EEEEDaST_SU_EUlST_E_NS1_11comp_targetILNS1_3genE3ELNS1_11target_archE908ELNS1_3gpuE7ELNS1_3repE0EEENS1_30default_config_static_selectorELNS0_4arch9wavefront6targetE0EEEvT1_.num_agpr, 0
	.set _ZN7rocprim17ROCPRIM_400000_NS6detail17trampoline_kernelINS0_14default_configENS1_27scan_by_key_config_selectorIxxEEZZNS1_16scan_by_key_implILNS1_25lookback_scan_determinismE0ELb1ES3_N6thrust23THRUST_200600_302600_NS6detail15normal_iteratorINS9_10device_ptrIxEEEESE_SE_xNS9_4plusIxEE19head_flag_predicatexEE10hipError_tPvRmT2_T3_T4_T5_mT6_T7_P12ihipStream_tbENKUlT_T0_E_clISt17integral_constantIbLb1EESX_IbLb0EEEEDaST_SU_EUlST_E_NS1_11comp_targetILNS1_3genE3ELNS1_11target_archE908ELNS1_3gpuE7ELNS1_3repE0EEENS1_30default_config_static_selectorELNS0_4arch9wavefront6targetE0EEEvT1_.numbered_sgpr, 0
	.set _ZN7rocprim17ROCPRIM_400000_NS6detail17trampoline_kernelINS0_14default_configENS1_27scan_by_key_config_selectorIxxEEZZNS1_16scan_by_key_implILNS1_25lookback_scan_determinismE0ELb1ES3_N6thrust23THRUST_200600_302600_NS6detail15normal_iteratorINS9_10device_ptrIxEEEESE_SE_xNS9_4plusIxEE19head_flag_predicatexEE10hipError_tPvRmT2_T3_T4_T5_mT6_T7_P12ihipStream_tbENKUlT_T0_E_clISt17integral_constantIbLb1EESX_IbLb0EEEEDaST_SU_EUlST_E_NS1_11comp_targetILNS1_3genE3ELNS1_11target_archE908ELNS1_3gpuE7ELNS1_3repE0EEENS1_30default_config_static_selectorELNS0_4arch9wavefront6targetE0EEEvT1_.num_named_barrier, 0
	.set _ZN7rocprim17ROCPRIM_400000_NS6detail17trampoline_kernelINS0_14default_configENS1_27scan_by_key_config_selectorIxxEEZZNS1_16scan_by_key_implILNS1_25lookback_scan_determinismE0ELb1ES3_N6thrust23THRUST_200600_302600_NS6detail15normal_iteratorINS9_10device_ptrIxEEEESE_SE_xNS9_4plusIxEE19head_flag_predicatexEE10hipError_tPvRmT2_T3_T4_T5_mT6_T7_P12ihipStream_tbENKUlT_T0_E_clISt17integral_constantIbLb1EESX_IbLb0EEEEDaST_SU_EUlST_E_NS1_11comp_targetILNS1_3genE3ELNS1_11target_archE908ELNS1_3gpuE7ELNS1_3repE0EEENS1_30default_config_static_selectorELNS0_4arch9wavefront6targetE0EEEvT1_.private_seg_size, 0
	.set _ZN7rocprim17ROCPRIM_400000_NS6detail17trampoline_kernelINS0_14default_configENS1_27scan_by_key_config_selectorIxxEEZZNS1_16scan_by_key_implILNS1_25lookback_scan_determinismE0ELb1ES3_N6thrust23THRUST_200600_302600_NS6detail15normal_iteratorINS9_10device_ptrIxEEEESE_SE_xNS9_4plusIxEE19head_flag_predicatexEE10hipError_tPvRmT2_T3_T4_T5_mT6_T7_P12ihipStream_tbENKUlT_T0_E_clISt17integral_constantIbLb1EESX_IbLb0EEEEDaST_SU_EUlST_E_NS1_11comp_targetILNS1_3genE3ELNS1_11target_archE908ELNS1_3gpuE7ELNS1_3repE0EEENS1_30default_config_static_selectorELNS0_4arch9wavefront6targetE0EEEvT1_.uses_vcc, 0
	.set _ZN7rocprim17ROCPRIM_400000_NS6detail17trampoline_kernelINS0_14default_configENS1_27scan_by_key_config_selectorIxxEEZZNS1_16scan_by_key_implILNS1_25lookback_scan_determinismE0ELb1ES3_N6thrust23THRUST_200600_302600_NS6detail15normal_iteratorINS9_10device_ptrIxEEEESE_SE_xNS9_4plusIxEE19head_flag_predicatexEE10hipError_tPvRmT2_T3_T4_T5_mT6_T7_P12ihipStream_tbENKUlT_T0_E_clISt17integral_constantIbLb1EESX_IbLb0EEEEDaST_SU_EUlST_E_NS1_11comp_targetILNS1_3genE3ELNS1_11target_archE908ELNS1_3gpuE7ELNS1_3repE0EEENS1_30default_config_static_selectorELNS0_4arch9wavefront6targetE0EEEvT1_.uses_flat_scratch, 0
	.set _ZN7rocprim17ROCPRIM_400000_NS6detail17trampoline_kernelINS0_14default_configENS1_27scan_by_key_config_selectorIxxEEZZNS1_16scan_by_key_implILNS1_25lookback_scan_determinismE0ELb1ES3_N6thrust23THRUST_200600_302600_NS6detail15normal_iteratorINS9_10device_ptrIxEEEESE_SE_xNS9_4plusIxEE19head_flag_predicatexEE10hipError_tPvRmT2_T3_T4_T5_mT6_T7_P12ihipStream_tbENKUlT_T0_E_clISt17integral_constantIbLb1EESX_IbLb0EEEEDaST_SU_EUlST_E_NS1_11comp_targetILNS1_3genE3ELNS1_11target_archE908ELNS1_3gpuE7ELNS1_3repE0EEENS1_30default_config_static_selectorELNS0_4arch9wavefront6targetE0EEEvT1_.has_dyn_sized_stack, 0
	.set _ZN7rocprim17ROCPRIM_400000_NS6detail17trampoline_kernelINS0_14default_configENS1_27scan_by_key_config_selectorIxxEEZZNS1_16scan_by_key_implILNS1_25lookback_scan_determinismE0ELb1ES3_N6thrust23THRUST_200600_302600_NS6detail15normal_iteratorINS9_10device_ptrIxEEEESE_SE_xNS9_4plusIxEE19head_flag_predicatexEE10hipError_tPvRmT2_T3_T4_T5_mT6_T7_P12ihipStream_tbENKUlT_T0_E_clISt17integral_constantIbLb1EESX_IbLb0EEEEDaST_SU_EUlST_E_NS1_11comp_targetILNS1_3genE3ELNS1_11target_archE908ELNS1_3gpuE7ELNS1_3repE0EEENS1_30default_config_static_selectorELNS0_4arch9wavefront6targetE0EEEvT1_.has_recursion, 0
	.set _ZN7rocprim17ROCPRIM_400000_NS6detail17trampoline_kernelINS0_14default_configENS1_27scan_by_key_config_selectorIxxEEZZNS1_16scan_by_key_implILNS1_25lookback_scan_determinismE0ELb1ES3_N6thrust23THRUST_200600_302600_NS6detail15normal_iteratorINS9_10device_ptrIxEEEESE_SE_xNS9_4plusIxEE19head_flag_predicatexEE10hipError_tPvRmT2_T3_T4_T5_mT6_T7_P12ihipStream_tbENKUlT_T0_E_clISt17integral_constantIbLb1EESX_IbLb0EEEEDaST_SU_EUlST_E_NS1_11comp_targetILNS1_3genE3ELNS1_11target_archE908ELNS1_3gpuE7ELNS1_3repE0EEENS1_30default_config_static_selectorELNS0_4arch9wavefront6targetE0EEEvT1_.has_indirect_call, 0
	.section	.AMDGPU.csdata,"",@progbits
; Kernel info:
; codeLenInByte = 0
; TotalNumSgprs: 0
; NumVgprs: 0
; ScratchSize: 0
; MemoryBound: 0
; FloatMode: 240
; IeeeMode: 1
; LDSByteSize: 0 bytes/workgroup (compile time only)
; SGPRBlocks: 0
; VGPRBlocks: 0
; NumSGPRsForWavesPerEU: 1
; NumVGPRsForWavesPerEU: 1
; NamedBarCnt: 0
; Occupancy: 16
; WaveLimiterHint : 0
; COMPUTE_PGM_RSRC2:SCRATCH_EN: 0
; COMPUTE_PGM_RSRC2:USER_SGPR: 2
; COMPUTE_PGM_RSRC2:TRAP_HANDLER: 0
; COMPUTE_PGM_RSRC2:TGID_X_EN: 1
; COMPUTE_PGM_RSRC2:TGID_Y_EN: 0
; COMPUTE_PGM_RSRC2:TGID_Z_EN: 0
; COMPUTE_PGM_RSRC2:TIDIG_COMP_CNT: 0
	.section	.text._ZN7rocprim17ROCPRIM_400000_NS6detail17trampoline_kernelINS0_14default_configENS1_27scan_by_key_config_selectorIxxEEZZNS1_16scan_by_key_implILNS1_25lookback_scan_determinismE0ELb1ES3_N6thrust23THRUST_200600_302600_NS6detail15normal_iteratorINS9_10device_ptrIxEEEESE_SE_xNS9_4plusIxEE19head_flag_predicatexEE10hipError_tPvRmT2_T3_T4_T5_mT6_T7_P12ihipStream_tbENKUlT_T0_E_clISt17integral_constantIbLb1EESX_IbLb0EEEEDaST_SU_EUlST_E_NS1_11comp_targetILNS1_3genE2ELNS1_11target_archE906ELNS1_3gpuE6ELNS1_3repE0EEENS1_30default_config_static_selectorELNS0_4arch9wavefront6targetE0EEEvT1_,"axG",@progbits,_ZN7rocprim17ROCPRIM_400000_NS6detail17trampoline_kernelINS0_14default_configENS1_27scan_by_key_config_selectorIxxEEZZNS1_16scan_by_key_implILNS1_25lookback_scan_determinismE0ELb1ES3_N6thrust23THRUST_200600_302600_NS6detail15normal_iteratorINS9_10device_ptrIxEEEESE_SE_xNS9_4plusIxEE19head_flag_predicatexEE10hipError_tPvRmT2_T3_T4_T5_mT6_T7_P12ihipStream_tbENKUlT_T0_E_clISt17integral_constantIbLb1EESX_IbLb0EEEEDaST_SU_EUlST_E_NS1_11comp_targetILNS1_3genE2ELNS1_11target_archE906ELNS1_3gpuE6ELNS1_3repE0EEENS1_30default_config_static_selectorELNS0_4arch9wavefront6targetE0EEEvT1_,comdat
	.protected	_ZN7rocprim17ROCPRIM_400000_NS6detail17trampoline_kernelINS0_14default_configENS1_27scan_by_key_config_selectorIxxEEZZNS1_16scan_by_key_implILNS1_25lookback_scan_determinismE0ELb1ES3_N6thrust23THRUST_200600_302600_NS6detail15normal_iteratorINS9_10device_ptrIxEEEESE_SE_xNS9_4plusIxEE19head_flag_predicatexEE10hipError_tPvRmT2_T3_T4_T5_mT6_T7_P12ihipStream_tbENKUlT_T0_E_clISt17integral_constantIbLb1EESX_IbLb0EEEEDaST_SU_EUlST_E_NS1_11comp_targetILNS1_3genE2ELNS1_11target_archE906ELNS1_3gpuE6ELNS1_3repE0EEENS1_30default_config_static_selectorELNS0_4arch9wavefront6targetE0EEEvT1_ ; -- Begin function _ZN7rocprim17ROCPRIM_400000_NS6detail17trampoline_kernelINS0_14default_configENS1_27scan_by_key_config_selectorIxxEEZZNS1_16scan_by_key_implILNS1_25lookback_scan_determinismE0ELb1ES3_N6thrust23THRUST_200600_302600_NS6detail15normal_iteratorINS9_10device_ptrIxEEEESE_SE_xNS9_4plusIxEE19head_flag_predicatexEE10hipError_tPvRmT2_T3_T4_T5_mT6_T7_P12ihipStream_tbENKUlT_T0_E_clISt17integral_constantIbLb1EESX_IbLb0EEEEDaST_SU_EUlST_E_NS1_11comp_targetILNS1_3genE2ELNS1_11target_archE906ELNS1_3gpuE6ELNS1_3repE0EEENS1_30default_config_static_selectorELNS0_4arch9wavefront6targetE0EEEvT1_
	.globl	_ZN7rocprim17ROCPRIM_400000_NS6detail17trampoline_kernelINS0_14default_configENS1_27scan_by_key_config_selectorIxxEEZZNS1_16scan_by_key_implILNS1_25lookback_scan_determinismE0ELb1ES3_N6thrust23THRUST_200600_302600_NS6detail15normal_iteratorINS9_10device_ptrIxEEEESE_SE_xNS9_4plusIxEE19head_flag_predicatexEE10hipError_tPvRmT2_T3_T4_T5_mT6_T7_P12ihipStream_tbENKUlT_T0_E_clISt17integral_constantIbLb1EESX_IbLb0EEEEDaST_SU_EUlST_E_NS1_11comp_targetILNS1_3genE2ELNS1_11target_archE906ELNS1_3gpuE6ELNS1_3repE0EEENS1_30default_config_static_selectorELNS0_4arch9wavefront6targetE0EEEvT1_
	.p2align	8
	.type	_ZN7rocprim17ROCPRIM_400000_NS6detail17trampoline_kernelINS0_14default_configENS1_27scan_by_key_config_selectorIxxEEZZNS1_16scan_by_key_implILNS1_25lookback_scan_determinismE0ELb1ES3_N6thrust23THRUST_200600_302600_NS6detail15normal_iteratorINS9_10device_ptrIxEEEESE_SE_xNS9_4plusIxEE19head_flag_predicatexEE10hipError_tPvRmT2_T3_T4_T5_mT6_T7_P12ihipStream_tbENKUlT_T0_E_clISt17integral_constantIbLb1EESX_IbLb0EEEEDaST_SU_EUlST_E_NS1_11comp_targetILNS1_3genE2ELNS1_11target_archE906ELNS1_3gpuE6ELNS1_3repE0EEENS1_30default_config_static_selectorELNS0_4arch9wavefront6targetE0EEEvT1_,@function
_ZN7rocprim17ROCPRIM_400000_NS6detail17trampoline_kernelINS0_14default_configENS1_27scan_by_key_config_selectorIxxEEZZNS1_16scan_by_key_implILNS1_25lookback_scan_determinismE0ELb1ES3_N6thrust23THRUST_200600_302600_NS6detail15normal_iteratorINS9_10device_ptrIxEEEESE_SE_xNS9_4plusIxEE19head_flag_predicatexEE10hipError_tPvRmT2_T3_T4_T5_mT6_T7_P12ihipStream_tbENKUlT_T0_E_clISt17integral_constantIbLb1EESX_IbLb0EEEEDaST_SU_EUlST_E_NS1_11comp_targetILNS1_3genE2ELNS1_11target_archE906ELNS1_3gpuE6ELNS1_3repE0EEENS1_30default_config_static_selectorELNS0_4arch9wavefront6targetE0EEEvT1_: ; @_ZN7rocprim17ROCPRIM_400000_NS6detail17trampoline_kernelINS0_14default_configENS1_27scan_by_key_config_selectorIxxEEZZNS1_16scan_by_key_implILNS1_25lookback_scan_determinismE0ELb1ES3_N6thrust23THRUST_200600_302600_NS6detail15normal_iteratorINS9_10device_ptrIxEEEESE_SE_xNS9_4plusIxEE19head_flag_predicatexEE10hipError_tPvRmT2_T3_T4_T5_mT6_T7_P12ihipStream_tbENKUlT_T0_E_clISt17integral_constantIbLb1EESX_IbLb0EEEEDaST_SU_EUlST_E_NS1_11comp_targetILNS1_3genE2ELNS1_11target_archE906ELNS1_3gpuE6ELNS1_3repE0EEENS1_30default_config_static_selectorELNS0_4arch9wavefront6targetE0EEEvT1_
; %bb.0:
	.section	.rodata,"a",@progbits
	.p2align	6, 0x0
	.amdhsa_kernel _ZN7rocprim17ROCPRIM_400000_NS6detail17trampoline_kernelINS0_14default_configENS1_27scan_by_key_config_selectorIxxEEZZNS1_16scan_by_key_implILNS1_25lookback_scan_determinismE0ELb1ES3_N6thrust23THRUST_200600_302600_NS6detail15normal_iteratorINS9_10device_ptrIxEEEESE_SE_xNS9_4plusIxEE19head_flag_predicatexEE10hipError_tPvRmT2_T3_T4_T5_mT6_T7_P12ihipStream_tbENKUlT_T0_E_clISt17integral_constantIbLb1EESX_IbLb0EEEEDaST_SU_EUlST_E_NS1_11comp_targetILNS1_3genE2ELNS1_11target_archE906ELNS1_3gpuE6ELNS1_3repE0EEENS1_30default_config_static_selectorELNS0_4arch9wavefront6targetE0EEEvT1_
		.amdhsa_group_segment_fixed_size 0
		.amdhsa_private_segment_fixed_size 0
		.amdhsa_kernarg_size 136
		.amdhsa_user_sgpr_count 2
		.amdhsa_user_sgpr_dispatch_ptr 0
		.amdhsa_user_sgpr_queue_ptr 0
		.amdhsa_user_sgpr_kernarg_segment_ptr 1
		.amdhsa_user_sgpr_dispatch_id 0
		.amdhsa_user_sgpr_kernarg_preload_length 0
		.amdhsa_user_sgpr_kernarg_preload_offset 0
		.amdhsa_user_sgpr_private_segment_size 0
		.amdhsa_wavefront_size32 1
		.amdhsa_uses_dynamic_stack 0
		.amdhsa_enable_private_segment 0
		.amdhsa_system_sgpr_workgroup_id_x 1
		.amdhsa_system_sgpr_workgroup_id_y 0
		.amdhsa_system_sgpr_workgroup_id_z 0
		.amdhsa_system_sgpr_workgroup_info 0
		.amdhsa_system_vgpr_workitem_id 0
		.amdhsa_next_free_vgpr 1
		.amdhsa_next_free_sgpr 1
		.amdhsa_named_barrier_count 0
		.amdhsa_reserve_vcc 0
		.amdhsa_float_round_mode_32 0
		.amdhsa_float_round_mode_16_64 0
		.amdhsa_float_denorm_mode_32 3
		.amdhsa_float_denorm_mode_16_64 3
		.amdhsa_fp16_overflow 0
		.amdhsa_memory_ordered 1
		.amdhsa_forward_progress 1
		.amdhsa_inst_pref_size 0
		.amdhsa_round_robin_scheduling 0
		.amdhsa_exception_fp_ieee_invalid_op 0
		.amdhsa_exception_fp_denorm_src 0
		.amdhsa_exception_fp_ieee_div_zero 0
		.amdhsa_exception_fp_ieee_overflow 0
		.amdhsa_exception_fp_ieee_underflow 0
		.amdhsa_exception_fp_ieee_inexact 0
		.amdhsa_exception_int_div_zero 0
	.end_amdhsa_kernel
	.section	.text._ZN7rocprim17ROCPRIM_400000_NS6detail17trampoline_kernelINS0_14default_configENS1_27scan_by_key_config_selectorIxxEEZZNS1_16scan_by_key_implILNS1_25lookback_scan_determinismE0ELb1ES3_N6thrust23THRUST_200600_302600_NS6detail15normal_iteratorINS9_10device_ptrIxEEEESE_SE_xNS9_4plusIxEE19head_flag_predicatexEE10hipError_tPvRmT2_T3_T4_T5_mT6_T7_P12ihipStream_tbENKUlT_T0_E_clISt17integral_constantIbLb1EESX_IbLb0EEEEDaST_SU_EUlST_E_NS1_11comp_targetILNS1_3genE2ELNS1_11target_archE906ELNS1_3gpuE6ELNS1_3repE0EEENS1_30default_config_static_selectorELNS0_4arch9wavefront6targetE0EEEvT1_,"axG",@progbits,_ZN7rocprim17ROCPRIM_400000_NS6detail17trampoline_kernelINS0_14default_configENS1_27scan_by_key_config_selectorIxxEEZZNS1_16scan_by_key_implILNS1_25lookback_scan_determinismE0ELb1ES3_N6thrust23THRUST_200600_302600_NS6detail15normal_iteratorINS9_10device_ptrIxEEEESE_SE_xNS9_4plusIxEE19head_flag_predicatexEE10hipError_tPvRmT2_T3_T4_T5_mT6_T7_P12ihipStream_tbENKUlT_T0_E_clISt17integral_constantIbLb1EESX_IbLb0EEEEDaST_SU_EUlST_E_NS1_11comp_targetILNS1_3genE2ELNS1_11target_archE906ELNS1_3gpuE6ELNS1_3repE0EEENS1_30default_config_static_selectorELNS0_4arch9wavefront6targetE0EEEvT1_,comdat
.Lfunc_end736:
	.size	_ZN7rocprim17ROCPRIM_400000_NS6detail17trampoline_kernelINS0_14default_configENS1_27scan_by_key_config_selectorIxxEEZZNS1_16scan_by_key_implILNS1_25lookback_scan_determinismE0ELb1ES3_N6thrust23THRUST_200600_302600_NS6detail15normal_iteratorINS9_10device_ptrIxEEEESE_SE_xNS9_4plusIxEE19head_flag_predicatexEE10hipError_tPvRmT2_T3_T4_T5_mT6_T7_P12ihipStream_tbENKUlT_T0_E_clISt17integral_constantIbLb1EESX_IbLb0EEEEDaST_SU_EUlST_E_NS1_11comp_targetILNS1_3genE2ELNS1_11target_archE906ELNS1_3gpuE6ELNS1_3repE0EEENS1_30default_config_static_selectorELNS0_4arch9wavefront6targetE0EEEvT1_, .Lfunc_end736-_ZN7rocprim17ROCPRIM_400000_NS6detail17trampoline_kernelINS0_14default_configENS1_27scan_by_key_config_selectorIxxEEZZNS1_16scan_by_key_implILNS1_25lookback_scan_determinismE0ELb1ES3_N6thrust23THRUST_200600_302600_NS6detail15normal_iteratorINS9_10device_ptrIxEEEESE_SE_xNS9_4plusIxEE19head_flag_predicatexEE10hipError_tPvRmT2_T3_T4_T5_mT6_T7_P12ihipStream_tbENKUlT_T0_E_clISt17integral_constantIbLb1EESX_IbLb0EEEEDaST_SU_EUlST_E_NS1_11comp_targetILNS1_3genE2ELNS1_11target_archE906ELNS1_3gpuE6ELNS1_3repE0EEENS1_30default_config_static_selectorELNS0_4arch9wavefront6targetE0EEEvT1_
                                        ; -- End function
	.set _ZN7rocprim17ROCPRIM_400000_NS6detail17trampoline_kernelINS0_14default_configENS1_27scan_by_key_config_selectorIxxEEZZNS1_16scan_by_key_implILNS1_25lookback_scan_determinismE0ELb1ES3_N6thrust23THRUST_200600_302600_NS6detail15normal_iteratorINS9_10device_ptrIxEEEESE_SE_xNS9_4plusIxEE19head_flag_predicatexEE10hipError_tPvRmT2_T3_T4_T5_mT6_T7_P12ihipStream_tbENKUlT_T0_E_clISt17integral_constantIbLb1EESX_IbLb0EEEEDaST_SU_EUlST_E_NS1_11comp_targetILNS1_3genE2ELNS1_11target_archE906ELNS1_3gpuE6ELNS1_3repE0EEENS1_30default_config_static_selectorELNS0_4arch9wavefront6targetE0EEEvT1_.num_vgpr, 0
	.set _ZN7rocprim17ROCPRIM_400000_NS6detail17trampoline_kernelINS0_14default_configENS1_27scan_by_key_config_selectorIxxEEZZNS1_16scan_by_key_implILNS1_25lookback_scan_determinismE0ELb1ES3_N6thrust23THRUST_200600_302600_NS6detail15normal_iteratorINS9_10device_ptrIxEEEESE_SE_xNS9_4plusIxEE19head_flag_predicatexEE10hipError_tPvRmT2_T3_T4_T5_mT6_T7_P12ihipStream_tbENKUlT_T0_E_clISt17integral_constantIbLb1EESX_IbLb0EEEEDaST_SU_EUlST_E_NS1_11comp_targetILNS1_3genE2ELNS1_11target_archE906ELNS1_3gpuE6ELNS1_3repE0EEENS1_30default_config_static_selectorELNS0_4arch9wavefront6targetE0EEEvT1_.num_agpr, 0
	.set _ZN7rocprim17ROCPRIM_400000_NS6detail17trampoline_kernelINS0_14default_configENS1_27scan_by_key_config_selectorIxxEEZZNS1_16scan_by_key_implILNS1_25lookback_scan_determinismE0ELb1ES3_N6thrust23THRUST_200600_302600_NS6detail15normal_iteratorINS9_10device_ptrIxEEEESE_SE_xNS9_4plusIxEE19head_flag_predicatexEE10hipError_tPvRmT2_T3_T4_T5_mT6_T7_P12ihipStream_tbENKUlT_T0_E_clISt17integral_constantIbLb1EESX_IbLb0EEEEDaST_SU_EUlST_E_NS1_11comp_targetILNS1_3genE2ELNS1_11target_archE906ELNS1_3gpuE6ELNS1_3repE0EEENS1_30default_config_static_selectorELNS0_4arch9wavefront6targetE0EEEvT1_.numbered_sgpr, 0
	.set _ZN7rocprim17ROCPRIM_400000_NS6detail17trampoline_kernelINS0_14default_configENS1_27scan_by_key_config_selectorIxxEEZZNS1_16scan_by_key_implILNS1_25lookback_scan_determinismE0ELb1ES3_N6thrust23THRUST_200600_302600_NS6detail15normal_iteratorINS9_10device_ptrIxEEEESE_SE_xNS9_4plusIxEE19head_flag_predicatexEE10hipError_tPvRmT2_T3_T4_T5_mT6_T7_P12ihipStream_tbENKUlT_T0_E_clISt17integral_constantIbLb1EESX_IbLb0EEEEDaST_SU_EUlST_E_NS1_11comp_targetILNS1_3genE2ELNS1_11target_archE906ELNS1_3gpuE6ELNS1_3repE0EEENS1_30default_config_static_selectorELNS0_4arch9wavefront6targetE0EEEvT1_.num_named_barrier, 0
	.set _ZN7rocprim17ROCPRIM_400000_NS6detail17trampoline_kernelINS0_14default_configENS1_27scan_by_key_config_selectorIxxEEZZNS1_16scan_by_key_implILNS1_25lookback_scan_determinismE0ELb1ES3_N6thrust23THRUST_200600_302600_NS6detail15normal_iteratorINS9_10device_ptrIxEEEESE_SE_xNS9_4plusIxEE19head_flag_predicatexEE10hipError_tPvRmT2_T3_T4_T5_mT6_T7_P12ihipStream_tbENKUlT_T0_E_clISt17integral_constantIbLb1EESX_IbLb0EEEEDaST_SU_EUlST_E_NS1_11comp_targetILNS1_3genE2ELNS1_11target_archE906ELNS1_3gpuE6ELNS1_3repE0EEENS1_30default_config_static_selectorELNS0_4arch9wavefront6targetE0EEEvT1_.private_seg_size, 0
	.set _ZN7rocprim17ROCPRIM_400000_NS6detail17trampoline_kernelINS0_14default_configENS1_27scan_by_key_config_selectorIxxEEZZNS1_16scan_by_key_implILNS1_25lookback_scan_determinismE0ELb1ES3_N6thrust23THRUST_200600_302600_NS6detail15normal_iteratorINS9_10device_ptrIxEEEESE_SE_xNS9_4plusIxEE19head_flag_predicatexEE10hipError_tPvRmT2_T3_T4_T5_mT6_T7_P12ihipStream_tbENKUlT_T0_E_clISt17integral_constantIbLb1EESX_IbLb0EEEEDaST_SU_EUlST_E_NS1_11comp_targetILNS1_3genE2ELNS1_11target_archE906ELNS1_3gpuE6ELNS1_3repE0EEENS1_30default_config_static_selectorELNS0_4arch9wavefront6targetE0EEEvT1_.uses_vcc, 0
	.set _ZN7rocprim17ROCPRIM_400000_NS6detail17trampoline_kernelINS0_14default_configENS1_27scan_by_key_config_selectorIxxEEZZNS1_16scan_by_key_implILNS1_25lookback_scan_determinismE0ELb1ES3_N6thrust23THRUST_200600_302600_NS6detail15normal_iteratorINS9_10device_ptrIxEEEESE_SE_xNS9_4plusIxEE19head_flag_predicatexEE10hipError_tPvRmT2_T3_T4_T5_mT6_T7_P12ihipStream_tbENKUlT_T0_E_clISt17integral_constantIbLb1EESX_IbLb0EEEEDaST_SU_EUlST_E_NS1_11comp_targetILNS1_3genE2ELNS1_11target_archE906ELNS1_3gpuE6ELNS1_3repE0EEENS1_30default_config_static_selectorELNS0_4arch9wavefront6targetE0EEEvT1_.uses_flat_scratch, 0
	.set _ZN7rocprim17ROCPRIM_400000_NS6detail17trampoline_kernelINS0_14default_configENS1_27scan_by_key_config_selectorIxxEEZZNS1_16scan_by_key_implILNS1_25lookback_scan_determinismE0ELb1ES3_N6thrust23THRUST_200600_302600_NS6detail15normal_iteratorINS9_10device_ptrIxEEEESE_SE_xNS9_4plusIxEE19head_flag_predicatexEE10hipError_tPvRmT2_T3_T4_T5_mT6_T7_P12ihipStream_tbENKUlT_T0_E_clISt17integral_constantIbLb1EESX_IbLb0EEEEDaST_SU_EUlST_E_NS1_11comp_targetILNS1_3genE2ELNS1_11target_archE906ELNS1_3gpuE6ELNS1_3repE0EEENS1_30default_config_static_selectorELNS0_4arch9wavefront6targetE0EEEvT1_.has_dyn_sized_stack, 0
	.set _ZN7rocprim17ROCPRIM_400000_NS6detail17trampoline_kernelINS0_14default_configENS1_27scan_by_key_config_selectorIxxEEZZNS1_16scan_by_key_implILNS1_25lookback_scan_determinismE0ELb1ES3_N6thrust23THRUST_200600_302600_NS6detail15normal_iteratorINS9_10device_ptrIxEEEESE_SE_xNS9_4plusIxEE19head_flag_predicatexEE10hipError_tPvRmT2_T3_T4_T5_mT6_T7_P12ihipStream_tbENKUlT_T0_E_clISt17integral_constantIbLb1EESX_IbLb0EEEEDaST_SU_EUlST_E_NS1_11comp_targetILNS1_3genE2ELNS1_11target_archE906ELNS1_3gpuE6ELNS1_3repE0EEENS1_30default_config_static_selectorELNS0_4arch9wavefront6targetE0EEEvT1_.has_recursion, 0
	.set _ZN7rocprim17ROCPRIM_400000_NS6detail17trampoline_kernelINS0_14default_configENS1_27scan_by_key_config_selectorIxxEEZZNS1_16scan_by_key_implILNS1_25lookback_scan_determinismE0ELb1ES3_N6thrust23THRUST_200600_302600_NS6detail15normal_iteratorINS9_10device_ptrIxEEEESE_SE_xNS9_4plusIxEE19head_flag_predicatexEE10hipError_tPvRmT2_T3_T4_T5_mT6_T7_P12ihipStream_tbENKUlT_T0_E_clISt17integral_constantIbLb1EESX_IbLb0EEEEDaST_SU_EUlST_E_NS1_11comp_targetILNS1_3genE2ELNS1_11target_archE906ELNS1_3gpuE6ELNS1_3repE0EEENS1_30default_config_static_selectorELNS0_4arch9wavefront6targetE0EEEvT1_.has_indirect_call, 0
	.section	.AMDGPU.csdata,"",@progbits
; Kernel info:
; codeLenInByte = 0
; TotalNumSgprs: 0
; NumVgprs: 0
; ScratchSize: 0
; MemoryBound: 0
; FloatMode: 240
; IeeeMode: 1
; LDSByteSize: 0 bytes/workgroup (compile time only)
; SGPRBlocks: 0
; VGPRBlocks: 0
; NumSGPRsForWavesPerEU: 1
; NumVGPRsForWavesPerEU: 1
; NamedBarCnt: 0
; Occupancy: 16
; WaveLimiterHint : 0
; COMPUTE_PGM_RSRC2:SCRATCH_EN: 0
; COMPUTE_PGM_RSRC2:USER_SGPR: 2
; COMPUTE_PGM_RSRC2:TRAP_HANDLER: 0
; COMPUTE_PGM_RSRC2:TGID_X_EN: 1
; COMPUTE_PGM_RSRC2:TGID_Y_EN: 0
; COMPUTE_PGM_RSRC2:TGID_Z_EN: 0
; COMPUTE_PGM_RSRC2:TIDIG_COMP_CNT: 0
	.section	.text._ZN7rocprim17ROCPRIM_400000_NS6detail17trampoline_kernelINS0_14default_configENS1_27scan_by_key_config_selectorIxxEEZZNS1_16scan_by_key_implILNS1_25lookback_scan_determinismE0ELb1ES3_N6thrust23THRUST_200600_302600_NS6detail15normal_iteratorINS9_10device_ptrIxEEEESE_SE_xNS9_4plusIxEE19head_flag_predicatexEE10hipError_tPvRmT2_T3_T4_T5_mT6_T7_P12ihipStream_tbENKUlT_T0_E_clISt17integral_constantIbLb1EESX_IbLb0EEEEDaST_SU_EUlST_E_NS1_11comp_targetILNS1_3genE10ELNS1_11target_archE1200ELNS1_3gpuE4ELNS1_3repE0EEENS1_30default_config_static_selectorELNS0_4arch9wavefront6targetE0EEEvT1_,"axG",@progbits,_ZN7rocprim17ROCPRIM_400000_NS6detail17trampoline_kernelINS0_14default_configENS1_27scan_by_key_config_selectorIxxEEZZNS1_16scan_by_key_implILNS1_25lookback_scan_determinismE0ELb1ES3_N6thrust23THRUST_200600_302600_NS6detail15normal_iteratorINS9_10device_ptrIxEEEESE_SE_xNS9_4plusIxEE19head_flag_predicatexEE10hipError_tPvRmT2_T3_T4_T5_mT6_T7_P12ihipStream_tbENKUlT_T0_E_clISt17integral_constantIbLb1EESX_IbLb0EEEEDaST_SU_EUlST_E_NS1_11comp_targetILNS1_3genE10ELNS1_11target_archE1200ELNS1_3gpuE4ELNS1_3repE0EEENS1_30default_config_static_selectorELNS0_4arch9wavefront6targetE0EEEvT1_,comdat
	.protected	_ZN7rocprim17ROCPRIM_400000_NS6detail17trampoline_kernelINS0_14default_configENS1_27scan_by_key_config_selectorIxxEEZZNS1_16scan_by_key_implILNS1_25lookback_scan_determinismE0ELb1ES3_N6thrust23THRUST_200600_302600_NS6detail15normal_iteratorINS9_10device_ptrIxEEEESE_SE_xNS9_4plusIxEE19head_flag_predicatexEE10hipError_tPvRmT2_T3_T4_T5_mT6_T7_P12ihipStream_tbENKUlT_T0_E_clISt17integral_constantIbLb1EESX_IbLb0EEEEDaST_SU_EUlST_E_NS1_11comp_targetILNS1_3genE10ELNS1_11target_archE1200ELNS1_3gpuE4ELNS1_3repE0EEENS1_30default_config_static_selectorELNS0_4arch9wavefront6targetE0EEEvT1_ ; -- Begin function _ZN7rocprim17ROCPRIM_400000_NS6detail17trampoline_kernelINS0_14default_configENS1_27scan_by_key_config_selectorIxxEEZZNS1_16scan_by_key_implILNS1_25lookback_scan_determinismE0ELb1ES3_N6thrust23THRUST_200600_302600_NS6detail15normal_iteratorINS9_10device_ptrIxEEEESE_SE_xNS9_4plusIxEE19head_flag_predicatexEE10hipError_tPvRmT2_T3_T4_T5_mT6_T7_P12ihipStream_tbENKUlT_T0_E_clISt17integral_constantIbLb1EESX_IbLb0EEEEDaST_SU_EUlST_E_NS1_11comp_targetILNS1_3genE10ELNS1_11target_archE1200ELNS1_3gpuE4ELNS1_3repE0EEENS1_30default_config_static_selectorELNS0_4arch9wavefront6targetE0EEEvT1_
	.globl	_ZN7rocprim17ROCPRIM_400000_NS6detail17trampoline_kernelINS0_14default_configENS1_27scan_by_key_config_selectorIxxEEZZNS1_16scan_by_key_implILNS1_25lookback_scan_determinismE0ELb1ES3_N6thrust23THRUST_200600_302600_NS6detail15normal_iteratorINS9_10device_ptrIxEEEESE_SE_xNS9_4plusIxEE19head_flag_predicatexEE10hipError_tPvRmT2_T3_T4_T5_mT6_T7_P12ihipStream_tbENKUlT_T0_E_clISt17integral_constantIbLb1EESX_IbLb0EEEEDaST_SU_EUlST_E_NS1_11comp_targetILNS1_3genE10ELNS1_11target_archE1200ELNS1_3gpuE4ELNS1_3repE0EEENS1_30default_config_static_selectorELNS0_4arch9wavefront6targetE0EEEvT1_
	.p2align	8
	.type	_ZN7rocprim17ROCPRIM_400000_NS6detail17trampoline_kernelINS0_14default_configENS1_27scan_by_key_config_selectorIxxEEZZNS1_16scan_by_key_implILNS1_25lookback_scan_determinismE0ELb1ES3_N6thrust23THRUST_200600_302600_NS6detail15normal_iteratorINS9_10device_ptrIxEEEESE_SE_xNS9_4plusIxEE19head_flag_predicatexEE10hipError_tPvRmT2_T3_T4_T5_mT6_T7_P12ihipStream_tbENKUlT_T0_E_clISt17integral_constantIbLb1EESX_IbLb0EEEEDaST_SU_EUlST_E_NS1_11comp_targetILNS1_3genE10ELNS1_11target_archE1200ELNS1_3gpuE4ELNS1_3repE0EEENS1_30default_config_static_selectorELNS0_4arch9wavefront6targetE0EEEvT1_,@function
_ZN7rocprim17ROCPRIM_400000_NS6detail17trampoline_kernelINS0_14default_configENS1_27scan_by_key_config_selectorIxxEEZZNS1_16scan_by_key_implILNS1_25lookback_scan_determinismE0ELb1ES3_N6thrust23THRUST_200600_302600_NS6detail15normal_iteratorINS9_10device_ptrIxEEEESE_SE_xNS9_4plusIxEE19head_flag_predicatexEE10hipError_tPvRmT2_T3_T4_T5_mT6_T7_P12ihipStream_tbENKUlT_T0_E_clISt17integral_constantIbLb1EESX_IbLb0EEEEDaST_SU_EUlST_E_NS1_11comp_targetILNS1_3genE10ELNS1_11target_archE1200ELNS1_3gpuE4ELNS1_3repE0EEENS1_30default_config_static_selectorELNS0_4arch9wavefront6targetE0EEEvT1_: ; @_ZN7rocprim17ROCPRIM_400000_NS6detail17trampoline_kernelINS0_14default_configENS1_27scan_by_key_config_selectorIxxEEZZNS1_16scan_by_key_implILNS1_25lookback_scan_determinismE0ELb1ES3_N6thrust23THRUST_200600_302600_NS6detail15normal_iteratorINS9_10device_ptrIxEEEESE_SE_xNS9_4plusIxEE19head_flag_predicatexEE10hipError_tPvRmT2_T3_T4_T5_mT6_T7_P12ihipStream_tbENKUlT_T0_E_clISt17integral_constantIbLb1EESX_IbLb0EEEEDaST_SU_EUlST_E_NS1_11comp_targetILNS1_3genE10ELNS1_11target_archE1200ELNS1_3gpuE4ELNS1_3repE0EEENS1_30default_config_static_selectorELNS0_4arch9wavefront6targetE0EEEvT1_
; %bb.0:
	.section	.rodata,"a",@progbits
	.p2align	6, 0x0
	.amdhsa_kernel _ZN7rocprim17ROCPRIM_400000_NS6detail17trampoline_kernelINS0_14default_configENS1_27scan_by_key_config_selectorIxxEEZZNS1_16scan_by_key_implILNS1_25lookback_scan_determinismE0ELb1ES3_N6thrust23THRUST_200600_302600_NS6detail15normal_iteratorINS9_10device_ptrIxEEEESE_SE_xNS9_4plusIxEE19head_flag_predicatexEE10hipError_tPvRmT2_T3_T4_T5_mT6_T7_P12ihipStream_tbENKUlT_T0_E_clISt17integral_constantIbLb1EESX_IbLb0EEEEDaST_SU_EUlST_E_NS1_11comp_targetILNS1_3genE10ELNS1_11target_archE1200ELNS1_3gpuE4ELNS1_3repE0EEENS1_30default_config_static_selectorELNS0_4arch9wavefront6targetE0EEEvT1_
		.amdhsa_group_segment_fixed_size 0
		.amdhsa_private_segment_fixed_size 0
		.amdhsa_kernarg_size 136
		.amdhsa_user_sgpr_count 2
		.amdhsa_user_sgpr_dispatch_ptr 0
		.amdhsa_user_sgpr_queue_ptr 0
		.amdhsa_user_sgpr_kernarg_segment_ptr 1
		.amdhsa_user_sgpr_dispatch_id 0
		.amdhsa_user_sgpr_kernarg_preload_length 0
		.amdhsa_user_sgpr_kernarg_preload_offset 0
		.amdhsa_user_sgpr_private_segment_size 0
		.amdhsa_wavefront_size32 1
		.amdhsa_uses_dynamic_stack 0
		.amdhsa_enable_private_segment 0
		.amdhsa_system_sgpr_workgroup_id_x 1
		.amdhsa_system_sgpr_workgroup_id_y 0
		.amdhsa_system_sgpr_workgroup_id_z 0
		.amdhsa_system_sgpr_workgroup_info 0
		.amdhsa_system_vgpr_workitem_id 0
		.amdhsa_next_free_vgpr 1
		.amdhsa_next_free_sgpr 1
		.amdhsa_named_barrier_count 0
		.amdhsa_reserve_vcc 0
		.amdhsa_float_round_mode_32 0
		.amdhsa_float_round_mode_16_64 0
		.amdhsa_float_denorm_mode_32 3
		.amdhsa_float_denorm_mode_16_64 3
		.amdhsa_fp16_overflow 0
		.amdhsa_memory_ordered 1
		.amdhsa_forward_progress 1
		.amdhsa_inst_pref_size 0
		.amdhsa_round_robin_scheduling 0
		.amdhsa_exception_fp_ieee_invalid_op 0
		.amdhsa_exception_fp_denorm_src 0
		.amdhsa_exception_fp_ieee_div_zero 0
		.amdhsa_exception_fp_ieee_overflow 0
		.amdhsa_exception_fp_ieee_underflow 0
		.amdhsa_exception_fp_ieee_inexact 0
		.amdhsa_exception_int_div_zero 0
	.end_amdhsa_kernel
	.section	.text._ZN7rocprim17ROCPRIM_400000_NS6detail17trampoline_kernelINS0_14default_configENS1_27scan_by_key_config_selectorIxxEEZZNS1_16scan_by_key_implILNS1_25lookback_scan_determinismE0ELb1ES3_N6thrust23THRUST_200600_302600_NS6detail15normal_iteratorINS9_10device_ptrIxEEEESE_SE_xNS9_4plusIxEE19head_flag_predicatexEE10hipError_tPvRmT2_T3_T4_T5_mT6_T7_P12ihipStream_tbENKUlT_T0_E_clISt17integral_constantIbLb1EESX_IbLb0EEEEDaST_SU_EUlST_E_NS1_11comp_targetILNS1_3genE10ELNS1_11target_archE1200ELNS1_3gpuE4ELNS1_3repE0EEENS1_30default_config_static_selectorELNS0_4arch9wavefront6targetE0EEEvT1_,"axG",@progbits,_ZN7rocprim17ROCPRIM_400000_NS6detail17trampoline_kernelINS0_14default_configENS1_27scan_by_key_config_selectorIxxEEZZNS1_16scan_by_key_implILNS1_25lookback_scan_determinismE0ELb1ES3_N6thrust23THRUST_200600_302600_NS6detail15normal_iteratorINS9_10device_ptrIxEEEESE_SE_xNS9_4plusIxEE19head_flag_predicatexEE10hipError_tPvRmT2_T3_T4_T5_mT6_T7_P12ihipStream_tbENKUlT_T0_E_clISt17integral_constantIbLb1EESX_IbLb0EEEEDaST_SU_EUlST_E_NS1_11comp_targetILNS1_3genE10ELNS1_11target_archE1200ELNS1_3gpuE4ELNS1_3repE0EEENS1_30default_config_static_selectorELNS0_4arch9wavefront6targetE0EEEvT1_,comdat
.Lfunc_end737:
	.size	_ZN7rocprim17ROCPRIM_400000_NS6detail17trampoline_kernelINS0_14default_configENS1_27scan_by_key_config_selectorIxxEEZZNS1_16scan_by_key_implILNS1_25lookback_scan_determinismE0ELb1ES3_N6thrust23THRUST_200600_302600_NS6detail15normal_iteratorINS9_10device_ptrIxEEEESE_SE_xNS9_4plusIxEE19head_flag_predicatexEE10hipError_tPvRmT2_T3_T4_T5_mT6_T7_P12ihipStream_tbENKUlT_T0_E_clISt17integral_constantIbLb1EESX_IbLb0EEEEDaST_SU_EUlST_E_NS1_11comp_targetILNS1_3genE10ELNS1_11target_archE1200ELNS1_3gpuE4ELNS1_3repE0EEENS1_30default_config_static_selectorELNS0_4arch9wavefront6targetE0EEEvT1_, .Lfunc_end737-_ZN7rocprim17ROCPRIM_400000_NS6detail17trampoline_kernelINS0_14default_configENS1_27scan_by_key_config_selectorIxxEEZZNS1_16scan_by_key_implILNS1_25lookback_scan_determinismE0ELb1ES3_N6thrust23THRUST_200600_302600_NS6detail15normal_iteratorINS9_10device_ptrIxEEEESE_SE_xNS9_4plusIxEE19head_flag_predicatexEE10hipError_tPvRmT2_T3_T4_T5_mT6_T7_P12ihipStream_tbENKUlT_T0_E_clISt17integral_constantIbLb1EESX_IbLb0EEEEDaST_SU_EUlST_E_NS1_11comp_targetILNS1_3genE10ELNS1_11target_archE1200ELNS1_3gpuE4ELNS1_3repE0EEENS1_30default_config_static_selectorELNS0_4arch9wavefront6targetE0EEEvT1_
                                        ; -- End function
	.set _ZN7rocprim17ROCPRIM_400000_NS6detail17trampoline_kernelINS0_14default_configENS1_27scan_by_key_config_selectorIxxEEZZNS1_16scan_by_key_implILNS1_25lookback_scan_determinismE0ELb1ES3_N6thrust23THRUST_200600_302600_NS6detail15normal_iteratorINS9_10device_ptrIxEEEESE_SE_xNS9_4plusIxEE19head_flag_predicatexEE10hipError_tPvRmT2_T3_T4_T5_mT6_T7_P12ihipStream_tbENKUlT_T0_E_clISt17integral_constantIbLb1EESX_IbLb0EEEEDaST_SU_EUlST_E_NS1_11comp_targetILNS1_3genE10ELNS1_11target_archE1200ELNS1_3gpuE4ELNS1_3repE0EEENS1_30default_config_static_selectorELNS0_4arch9wavefront6targetE0EEEvT1_.num_vgpr, 0
	.set _ZN7rocprim17ROCPRIM_400000_NS6detail17trampoline_kernelINS0_14default_configENS1_27scan_by_key_config_selectorIxxEEZZNS1_16scan_by_key_implILNS1_25lookback_scan_determinismE0ELb1ES3_N6thrust23THRUST_200600_302600_NS6detail15normal_iteratorINS9_10device_ptrIxEEEESE_SE_xNS9_4plusIxEE19head_flag_predicatexEE10hipError_tPvRmT2_T3_T4_T5_mT6_T7_P12ihipStream_tbENKUlT_T0_E_clISt17integral_constantIbLb1EESX_IbLb0EEEEDaST_SU_EUlST_E_NS1_11comp_targetILNS1_3genE10ELNS1_11target_archE1200ELNS1_3gpuE4ELNS1_3repE0EEENS1_30default_config_static_selectorELNS0_4arch9wavefront6targetE0EEEvT1_.num_agpr, 0
	.set _ZN7rocprim17ROCPRIM_400000_NS6detail17trampoline_kernelINS0_14default_configENS1_27scan_by_key_config_selectorIxxEEZZNS1_16scan_by_key_implILNS1_25lookback_scan_determinismE0ELb1ES3_N6thrust23THRUST_200600_302600_NS6detail15normal_iteratorINS9_10device_ptrIxEEEESE_SE_xNS9_4plusIxEE19head_flag_predicatexEE10hipError_tPvRmT2_T3_T4_T5_mT6_T7_P12ihipStream_tbENKUlT_T0_E_clISt17integral_constantIbLb1EESX_IbLb0EEEEDaST_SU_EUlST_E_NS1_11comp_targetILNS1_3genE10ELNS1_11target_archE1200ELNS1_3gpuE4ELNS1_3repE0EEENS1_30default_config_static_selectorELNS0_4arch9wavefront6targetE0EEEvT1_.numbered_sgpr, 0
	.set _ZN7rocprim17ROCPRIM_400000_NS6detail17trampoline_kernelINS0_14default_configENS1_27scan_by_key_config_selectorIxxEEZZNS1_16scan_by_key_implILNS1_25lookback_scan_determinismE0ELb1ES3_N6thrust23THRUST_200600_302600_NS6detail15normal_iteratorINS9_10device_ptrIxEEEESE_SE_xNS9_4plusIxEE19head_flag_predicatexEE10hipError_tPvRmT2_T3_T4_T5_mT6_T7_P12ihipStream_tbENKUlT_T0_E_clISt17integral_constantIbLb1EESX_IbLb0EEEEDaST_SU_EUlST_E_NS1_11comp_targetILNS1_3genE10ELNS1_11target_archE1200ELNS1_3gpuE4ELNS1_3repE0EEENS1_30default_config_static_selectorELNS0_4arch9wavefront6targetE0EEEvT1_.num_named_barrier, 0
	.set _ZN7rocprim17ROCPRIM_400000_NS6detail17trampoline_kernelINS0_14default_configENS1_27scan_by_key_config_selectorIxxEEZZNS1_16scan_by_key_implILNS1_25lookback_scan_determinismE0ELb1ES3_N6thrust23THRUST_200600_302600_NS6detail15normal_iteratorINS9_10device_ptrIxEEEESE_SE_xNS9_4plusIxEE19head_flag_predicatexEE10hipError_tPvRmT2_T3_T4_T5_mT6_T7_P12ihipStream_tbENKUlT_T0_E_clISt17integral_constantIbLb1EESX_IbLb0EEEEDaST_SU_EUlST_E_NS1_11comp_targetILNS1_3genE10ELNS1_11target_archE1200ELNS1_3gpuE4ELNS1_3repE0EEENS1_30default_config_static_selectorELNS0_4arch9wavefront6targetE0EEEvT1_.private_seg_size, 0
	.set _ZN7rocprim17ROCPRIM_400000_NS6detail17trampoline_kernelINS0_14default_configENS1_27scan_by_key_config_selectorIxxEEZZNS1_16scan_by_key_implILNS1_25lookback_scan_determinismE0ELb1ES3_N6thrust23THRUST_200600_302600_NS6detail15normal_iteratorINS9_10device_ptrIxEEEESE_SE_xNS9_4plusIxEE19head_flag_predicatexEE10hipError_tPvRmT2_T3_T4_T5_mT6_T7_P12ihipStream_tbENKUlT_T0_E_clISt17integral_constantIbLb1EESX_IbLb0EEEEDaST_SU_EUlST_E_NS1_11comp_targetILNS1_3genE10ELNS1_11target_archE1200ELNS1_3gpuE4ELNS1_3repE0EEENS1_30default_config_static_selectorELNS0_4arch9wavefront6targetE0EEEvT1_.uses_vcc, 0
	.set _ZN7rocprim17ROCPRIM_400000_NS6detail17trampoline_kernelINS0_14default_configENS1_27scan_by_key_config_selectorIxxEEZZNS1_16scan_by_key_implILNS1_25lookback_scan_determinismE0ELb1ES3_N6thrust23THRUST_200600_302600_NS6detail15normal_iteratorINS9_10device_ptrIxEEEESE_SE_xNS9_4plusIxEE19head_flag_predicatexEE10hipError_tPvRmT2_T3_T4_T5_mT6_T7_P12ihipStream_tbENKUlT_T0_E_clISt17integral_constantIbLb1EESX_IbLb0EEEEDaST_SU_EUlST_E_NS1_11comp_targetILNS1_3genE10ELNS1_11target_archE1200ELNS1_3gpuE4ELNS1_3repE0EEENS1_30default_config_static_selectorELNS0_4arch9wavefront6targetE0EEEvT1_.uses_flat_scratch, 0
	.set _ZN7rocprim17ROCPRIM_400000_NS6detail17trampoline_kernelINS0_14default_configENS1_27scan_by_key_config_selectorIxxEEZZNS1_16scan_by_key_implILNS1_25lookback_scan_determinismE0ELb1ES3_N6thrust23THRUST_200600_302600_NS6detail15normal_iteratorINS9_10device_ptrIxEEEESE_SE_xNS9_4plusIxEE19head_flag_predicatexEE10hipError_tPvRmT2_T3_T4_T5_mT6_T7_P12ihipStream_tbENKUlT_T0_E_clISt17integral_constantIbLb1EESX_IbLb0EEEEDaST_SU_EUlST_E_NS1_11comp_targetILNS1_3genE10ELNS1_11target_archE1200ELNS1_3gpuE4ELNS1_3repE0EEENS1_30default_config_static_selectorELNS0_4arch9wavefront6targetE0EEEvT1_.has_dyn_sized_stack, 0
	.set _ZN7rocprim17ROCPRIM_400000_NS6detail17trampoline_kernelINS0_14default_configENS1_27scan_by_key_config_selectorIxxEEZZNS1_16scan_by_key_implILNS1_25lookback_scan_determinismE0ELb1ES3_N6thrust23THRUST_200600_302600_NS6detail15normal_iteratorINS9_10device_ptrIxEEEESE_SE_xNS9_4plusIxEE19head_flag_predicatexEE10hipError_tPvRmT2_T3_T4_T5_mT6_T7_P12ihipStream_tbENKUlT_T0_E_clISt17integral_constantIbLb1EESX_IbLb0EEEEDaST_SU_EUlST_E_NS1_11comp_targetILNS1_3genE10ELNS1_11target_archE1200ELNS1_3gpuE4ELNS1_3repE0EEENS1_30default_config_static_selectorELNS0_4arch9wavefront6targetE0EEEvT1_.has_recursion, 0
	.set _ZN7rocprim17ROCPRIM_400000_NS6detail17trampoline_kernelINS0_14default_configENS1_27scan_by_key_config_selectorIxxEEZZNS1_16scan_by_key_implILNS1_25lookback_scan_determinismE0ELb1ES3_N6thrust23THRUST_200600_302600_NS6detail15normal_iteratorINS9_10device_ptrIxEEEESE_SE_xNS9_4plusIxEE19head_flag_predicatexEE10hipError_tPvRmT2_T3_T4_T5_mT6_T7_P12ihipStream_tbENKUlT_T0_E_clISt17integral_constantIbLb1EESX_IbLb0EEEEDaST_SU_EUlST_E_NS1_11comp_targetILNS1_3genE10ELNS1_11target_archE1200ELNS1_3gpuE4ELNS1_3repE0EEENS1_30default_config_static_selectorELNS0_4arch9wavefront6targetE0EEEvT1_.has_indirect_call, 0
	.section	.AMDGPU.csdata,"",@progbits
; Kernel info:
; codeLenInByte = 0
; TotalNumSgprs: 0
; NumVgprs: 0
; ScratchSize: 0
; MemoryBound: 0
; FloatMode: 240
; IeeeMode: 1
; LDSByteSize: 0 bytes/workgroup (compile time only)
; SGPRBlocks: 0
; VGPRBlocks: 0
; NumSGPRsForWavesPerEU: 1
; NumVGPRsForWavesPerEU: 1
; NamedBarCnt: 0
; Occupancy: 16
; WaveLimiterHint : 0
; COMPUTE_PGM_RSRC2:SCRATCH_EN: 0
; COMPUTE_PGM_RSRC2:USER_SGPR: 2
; COMPUTE_PGM_RSRC2:TRAP_HANDLER: 0
; COMPUTE_PGM_RSRC2:TGID_X_EN: 1
; COMPUTE_PGM_RSRC2:TGID_Y_EN: 0
; COMPUTE_PGM_RSRC2:TGID_Z_EN: 0
; COMPUTE_PGM_RSRC2:TIDIG_COMP_CNT: 0
	.section	.text._ZN7rocprim17ROCPRIM_400000_NS6detail17trampoline_kernelINS0_14default_configENS1_27scan_by_key_config_selectorIxxEEZZNS1_16scan_by_key_implILNS1_25lookback_scan_determinismE0ELb1ES3_N6thrust23THRUST_200600_302600_NS6detail15normal_iteratorINS9_10device_ptrIxEEEESE_SE_xNS9_4plusIxEE19head_flag_predicatexEE10hipError_tPvRmT2_T3_T4_T5_mT6_T7_P12ihipStream_tbENKUlT_T0_E_clISt17integral_constantIbLb1EESX_IbLb0EEEEDaST_SU_EUlST_E_NS1_11comp_targetILNS1_3genE9ELNS1_11target_archE1100ELNS1_3gpuE3ELNS1_3repE0EEENS1_30default_config_static_selectorELNS0_4arch9wavefront6targetE0EEEvT1_,"axG",@progbits,_ZN7rocprim17ROCPRIM_400000_NS6detail17trampoline_kernelINS0_14default_configENS1_27scan_by_key_config_selectorIxxEEZZNS1_16scan_by_key_implILNS1_25lookback_scan_determinismE0ELb1ES3_N6thrust23THRUST_200600_302600_NS6detail15normal_iteratorINS9_10device_ptrIxEEEESE_SE_xNS9_4plusIxEE19head_flag_predicatexEE10hipError_tPvRmT2_T3_T4_T5_mT6_T7_P12ihipStream_tbENKUlT_T0_E_clISt17integral_constantIbLb1EESX_IbLb0EEEEDaST_SU_EUlST_E_NS1_11comp_targetILNS1_3genE9ELNS1_11target_archE1100ELNS1_3gpuE3ELNS1_3repE0EEENS1_30default_config_static_selectorELNS0_4arch9wavefront6targetE0EEEvT1_,comdat
	.protected	_ZN7rocprim17ROCPRIM_400000_NS6detail17trampoline_kernelINS0_14default_configENS1_27scan_by_key_config_selectorIxxEEZZNS1_16scan_by_key_implILNS1_25lookback_scan_determinismE0ELb1ES3_N6thrust23THRUST_200600_302600_NS6detail15normal_iteratorINS9_10device_ptrIxEEEESE_SE_xNS9_4plusIxEE19head_flag_predicatexEE10hipError_tPvRmT2_T3_T4_T5_mT6_T7_P12ihipStream_tbENKUlT_T0_E_clISt17integral_constantIbLb1EESX_IbLb0EEEEDaST_SU_EUlST_E_NS1_11comp_targetILNS1_3genE9ELNS1_11target_archE1100ELNS1_3gpuE3ELNS1_3repE0EEENS1_30default_config_static_selectorELNS0_4arch9wavefront6targetE0EEEvT1_ ; -- Begin function _ZN7rocprim17ROCPRIM_400000_NS6detail17trampoline_kernelINS0_14default_configENS1_27scan_by_key_config_selectorIxxEEZZNS1_16scan_by_key_implILNS1_25lookback_scan_determinismE0ELb1ES3_N6thrust23THRUST_200600_302600_NS6detail15normal_iteratorINS9_10device_ptrIxEEEESE_SE_xNS9_4plusIxEE19head_flag_predicatexEE10hipError_tPvRmT2_T3_T4_T5_mT6_T7_P12ihipStream_tbENKUlT_T0_E_clISt17integral_constantIbLb1EESX_IbLb0EEEEDaST_SU_EUlST_E_NS1_11comp_targetILNS1_3genE9ELNS1_11target_archE1100ELNS1_3gpuE3ELNS1_3repE0EEENS1_30default_config_static_selectorELNS0_4arch9wavefront6targetE0EEEvT1_
	.globl	_ZN7rocprim17ROCPRIM_400000_NS6detail17trampoline_kernelINS0_14default_configENS1_27scan_by_key_config_selectorIxxEEZZNS1_16scan_by_key_implILNS1_25lookback_scan_determinismE0ELb1ES3_N6thrust23THRUST_200600_302600_NS6detail15normal_iteratorINS9_10device_ptrIxEEEESE_SE_xNS9_4plusIxEE19head_flag_predicatexEE10hipError_tPvRmT2_T3_T4_T5_mT6_T7_P12ihipStream_tbENKUlT_T0_E_clISt17integral_constantIbLb1EESX_IbLb0EEEEDaST_SU_EUlST_E_NS1_11comp_targetILNS1_3genE9ELNS1_11target_archE1100ELNS1_3gpuE3ELNS1_3repE0EEENS1_30default_config_static_selectorELNS0_4arch9wavefront6targetE0EEEvT1_
	.p2align	8
	.type	_ZN7rocprim17ROCPRIM_400000_NS6detail17trampoline_kernelINS0_14default_configENS1_27scan_by_key_config_selectorIxxEEZZNS1_16scan_by_key_implILNS1_25lookback_scan_determinismE0ELb1ES3_N6thrust23THRUST_200600_302600_NS6detail15normal_iteratorINS9_10device_ptrIxEEEESE_SE_xNS9_4plusIxEE19head_flag_predicatexEE10hipError_tPvRmT2_T3_T4_T5_mT6_T7_P12ihipStream_tbENKUlT_T0_E_clISt17integral_constantIbLb1EESX_IbLb0EEEEDaST_SU_EUlST_E_NS1_11comp_targetILNS1_3genE9ELNS1_11target_archE1100ELNS1_3gpuE3ELNS1_3repE0EEENS1_30default_config_static_selectorELNS0_4arch9wavefront6targetE0EEEvT1_,@function
_ZN7rocprim17ROCPRIM_400000_NS6detail17trampoline_kernelINS0_14default_configENS1_27scan_by_key_config_selectorIxxEEZZNS1_16scan_by_key_implILNS1_25lookback_scan_determinismE0ELb1ES3_N6thrust23THRUST_200600_302600_NS6detail15normal_iteratorINS9_10device_ptrIxEEEESE_SE_xNS9_4plusIxEE19head_flag_predicatexEE10hipError_tPvRmT2_T3_T4_T5_mT6_T7_P12ihipStream_tbENKUlT_T0_E_clISt17integral_constantIbLb1EESX_IbLb0EEEEDaST_SU_EUlST_E_NS1_11comp_targetILNS1_3genE9ELNS1_11target_archE1100ELNS1_3gpuE3ELNS1_3repE0EEENS1_30default_config_static_selectorELNS0_4arch9wavefront6targetE0EEEvT1_: ; @_ZN7rocprim17ROCPRIM_400000_NS6detail17trampoline_kernelINS0_14default_configENS1_27scan_by_key_config_selectorIxxEEZZNS1_16scan_by_key_implILNS1_25lookback_scan_determinismE0ELb1ES3_N6thrust23THRUST_200600_302600_NS6detail15normal_iteratorINS9_10device_ptrIxEEEESE_SE_xNS9_4plusIxEE19head_flag_predicatexEE10hipError_tPvRmT2_T3_T4_T5_mT6_T7_P12ihipStream_tbENKUlT_T0_E_clISt17integral_constantIbLb1EESX_IbLb0EEEEDaST_SU_EUlST_E_NS1_11comp_targetILNS1_3genE9ELNS1_11target_archE1100ELNS1_3gpuE3ELNS1_3repE0EEENS1_30default_config_static_selectorELNS0_4arch9wavefront6targetE0EEEvT1_
; %bb.0:
	.section	.rodata,"a",@progbits
	.p2align	6, 0x0
	.amdhsa_kernel _ZN7rocprim17ROCPRIM_400000_NS6detail17trampoline_kernelINS0_14default_configENS1_27scan_by_key_config_selectorIxxEEZZNS1_16scan_by_key_implILNS1_25lookback_scan_determinismE0ELb1ES3_N6thrust23THRUST_200600_302600_NS6detail15normal_iteratorINS9_10device_ptrIxEEEESE_SE_xNS9_4plusIxEE19head_flag_predicatexEE10hipError_tPvRmT2_T3_T4_T5_mT6_T7_P12ihipStream_tbENKUlT_T0_E_clISt17integral_constantIbLb1EESX_IbLb0EEEEDaST_SU_EUlST_E_NS1_11comp_targetILNS1_3genE9ELNS1_11target_archE1100ELNS1_3gpuE3ELNS1_3repE0EEENS1_30default_config_static_selectorELNS0_4arch9wavefront6targetE0EEEvT1_
		.amdhsa_group_segment_fixed_size 0
		.amdhsa_private_segment_fixed_size 0
		.amdhsa_kernarg_size 136
		.amdhsa_user_sgpr_count 2
		.amdhsa_user_sgpr_dispatch_ptr 0
		.amdhsa_user_sgpr_queue_ptr 0
		.amdhsa_user_sgpr_kernarg_segment_ptr 1
		.amdhsa_user_sgpr_dispatch_id 0
		.amdhsa_user_sgpr_kernarg_preload_length 0
		.amdhsa_user_sgpr_kernarg_preload_offset 0
		.amdhsa_user_sgpr_private_segment_size 0
		.amdhsa_wavefront_size32 1
		.amdhsa_uses_dynamic_stack 0
		.amdhsa_enable_private_segment 0
		.amdhsa_system_sgpr_workgroup_id_x 1
		.amdhsa_system_sgpr_workgroup_id_y 0
		.amdhsa_system_sgpr_workgroup_id_z 0
		.amdhsa_system_sgpr_workgroup_info 0
		.amdhsa_system_vgpr_workitem_id 0
		.amdhsa_next_free_vgpr 1
		.amdhsa_next_free_sgpr 1
		.amdhsa_named_barrier_count 0
		.amdhsa_reserve_vcc 0
		.amdhsa_float_round_mode_32 0
		.amdhsa_float_round_mode_16_64 0
		.amdhsa_float_denorm_mode_32 3
		.amdhsa_float_denorm_mode_16_64 3
		.amdhsa_fp16_overflow 0
		.amdhsa_memory_ordered 1
		.amdhsa_forward_progress 1
		.amdhsa_inst_pref_size 0
		.amdhsa_round_robin_scheduling 0
		.amdhsa_exception_fp_ieee_invalid_op 0
		.amdhsa_exception_fp_denorm_src 0
		.amdhsa_exception_fp_ieee_div_zero 0
		.amdhsa_exception_fp_ieee_overflow 0
		.amdhsa_exception_fp_ieee_underflow 0
		.amdhsa_exception_fp_ieee_inexact 0
		.amdhsa_exception_int_div_zero 0
	.end_amdhsa_kernel
	.section	.text._ZN7rocprim17ROCPRIM_400000_NS6detail17trampoline_kernelINS0_14default_configENS1_27scan_by_key_config_selectorIxxEEZZNS1_16scan_by_key_implILNS1_25lookback_scan_determinismE0ELb1ES3_N6thrust23THRUST_200600_302600_NS6detail15normal_iteratorINS9_10device_ptrIxEEEESE_SE_xNS9_4plusIxEE19head_flag_predicatexEE10hipError_tPvRmT2_T3_T4_T5_mT6_T7_P12ihipStream_tbENKUlT_T0_E_clISt17integral_constantIbLb1EESX_IbLb0EEEEDaST_SU_EUlST_E_NS1_11comp_targetILNS1_3genE9ELNS1_11target_archE1100ELNS1_3gpuE3ELNS1_3repE0EEENS1_30default_config_static_selectorELNS0_4arch9wavefront6targetE0EEEvT1_,"axG",@progbits,_ZN7rocprim17ROCPRIM_400000_NS6detail17trampoline_kernelINS0_14default_configENS1_27scan_by_key_config_selectorIxxEEZZNS1_16scan_by_key_implILNS1_25lookback_scan_determinismE0ELb1ES3_N6thrust23THRUST_200600_302600_NS6detail15normal_iteratorINS9_10device_ptrIxEEEESE_SE_xNS9_4plusIxEE19head_flag_predicatexEE10hipError_tPvRmT2_T3_T4_T5_mT6_T7_P12ihipStream_tbENKUlT_T0_E_clISt17integral_constantIbLb1EESX_IbLb0EEEEDaST_SU_EUlST_E_NS1_11comp_targetILNS1_3genE9ELNS1_11target_archE1100ELNS1_3gpuE3ELNS1_3repE0EEENS1_30default_config_static_selectorELNS0_4arch9wavefront6targetE0EEEvT1_,comdat
.Lfunc_end738:
	.size	_ZN7rocprim17ROCPRIM_400000_NS6detail17trampoline_kernelINS0_14default_configENS1_27scan_by_key_config_selectorIxxEEZZNS1_16scan_by_key_implILNS1_25lookback_scan_determinismE0ELb1ES3_N6thrust23THRUST_200600_302600_NS6detail15normal_iteratorINS9_10device_ptrIxEEEESE_SE_xNS9_4plusIxEE19head_flag_predicatexEE10hipError_tPvRmT2_T3_T4_T5_mT6_T7_P12ihipStream_tbENKUlT_T0_E_clISt17integral_constantIbLb1EESX_IbLb0EEEEDaST_SU_EUlST_E_NS1_11comp_targetILNS1_3genE9ELNS1_11target_archE1100ELNS1_3gpuE3ELNS1_3repE0EEENS1_30default_config_static_selectorELNS0_4arch9wavefront6targetE0EEEvT1_, .Lfunc_end738-_ZN7rocprim17ROCPRIM_400000_NS6detail17trampoline_kernelINS0_14default_configENS1_27scan_by_key_config_selectorIxxEEZZNS1_16scan_by_key_implILNS1_25lookback_scan_determinismE0ELb1ES3_N6thrust23THRUST_200600_302600_NS6detail15normal_iteratorINS9_10device_ptrIxEEEESE_SE_xNS9_4plusIxEE19head_flag_predicatexEE10hipError_tPvRmT2_T3_T4_T5_mT6_T7_P12ihipStream_tbENKUlT_T0_E_clISt17integral_constantIbLb1EESX_IbLb0EEEEDaST_SU_EUlST_E_NS1_11comp_targetILNS1_3genE9ELNS1_11target_archE1100ELNS1_3gpuE3ELNS1_3repE0EEENS1_30default_config_static_selectorELNS0_4arch9wavefront6targetE0EEEvT1_
                                        ; -- End function
	.set _ZN7rocprim17ROCPRIM_400000_NS6detail17trampoline_kernelINS0_14default_configENS1_27scan_by_key_config_selectorIxxEEZZNS1_16scan_by_key_implILNS1_25lookback_scan_determinismE0ELb1ES3_N6thrust23THRUST_200600_302600_NS6detail15normal_iteratorINS9_10device_ptrIxEEEESE_SE_xNS9_4plusIxEE19head_flag_predicatexEE10hipError_tPvRmT2_T3_T4_T5_mT6_T7_P12ihipStream_tbENKUlT_T0_E_clISt17integral_constantIbLb1EESX_IbLb0EEEEDaST_SU_EUlST_E_NS1_11comp_targetILNS1_3genE9ELNS1_11target_archE1100ELNS1_3gpuE3ELNS1_3repE0EEENS1_30default_config_static_selectorELNS0_4arch9wavefront6targetE0EEEvT1_.num_vgpr, 0
	.set _ZN7rocprim17ROCPRIM_400000_NS6detail17trampoline_kernelINS0_14default_configENS1_27scan_by_key_config_selectorIxxEEZZNS1_16scan_by_key_implILNS1_25lookback_scan_determinismE0ELb1ES3_N6thrust23THRUST_200600_302600_NS6detail15normal_iteratorINS9_10device_ptrIxEEEESE_SE_xNS9_4plusIxEE19head_flag_predicatexEE10hipError_tPvRmT2_T3_T4_T5_mT6_T7_P12ihipStream_tbENKUlT_T0_E_clISt17integral_constantIbLb1EESX_IbLb0EEEEDaST_SU_EUlST_E_NS1_11comp_targetILNS1_3genE9ELNS1_11target_archE1100ELNS1_3gpuE3ELNS1_3repE0EEENS1_30default_config_static_selectorELNS0_4arch9wavefront6targetE0EEEvT1_.num_agpr, 0
	.set _ZN7rocprim17ROCPRIM_400000_NS6detail17trampoline_kernelINS0_14default_configENS1_27scan_by_key_config_selectorIxxEEZZNS1_16scan_by_key_implILNS1_25lookback_scan_determinismE0ELb1ES3_N6thrust23THRUST_200600_302600_NS6detail15normal_iteratorINS9_10device_ptrIxEEEESE_SE_xNS9_4plusIxEE19head_flag_predicatexEE10hipError_tPvRmT2_T3_T4_T5_mT6_T7_P12ihipStream_tbENKUlT_T0_E_clISt17integral_constantIbLb1EESX_IbLb0EEEEDaST_SU_EUlST_E_NS1_11comp_targetILNS1_3genE9ELNS1_11target_archE1100ELNS1_3gpuE3ELNS1_3repE0EEENS1_30default_config_static_selectorELNS0_4arch9wavefront6targetE0EEEvT1_.numbered_sgpr, 0
	.set _ZN7rocprim17ROCPRIM_400000_NS6detail17trampoline_kernelINS0_14default_configENS1_27scan_by_key_config_selectorIxxEEZZNS1_16scan_by_key_implILNS1_25lookback_scan_determinismE0ELb1ES3_N6thrust23THRUST_200600_302600_NS6detail15normal_iteratorINS9_10device_ptrIxEEEESE_SE_xNS9_4plusIxEE19head_flag_predicatexEE10hipError_tPvRmT2_T3_T4_T5_mT6_T7_P12ihipStream_tbENKUlT_T0_E_clISt17integral_constantIbLb1EESX_IbLb0EEEEDaST_SU_EUlST_E_NS1_11comp_targetILNS1_3genE9ELNS1_11target_archE1100ELNS1_3gpuE3ELNS1_3repE0EEENS1_30default_config_static_selectorELNS0_4arch9wavefront6targetE0EEEvT1_.num_named_barrier, 0
	.set _ZN7rocprim17ROCPRIM_400000_NS6detail17trampoline_kernelINS0_14default_configENS1_27scan_by_key_config_selectorIxxEEZZNS1_16scan_by_key_implILNS1_25lookback_scan_determinismE0ELb1ES3_N6thrust23THRUST_200600_302600_NS6detail15normal_iteratorINS9_10device_ptrIxEEEESE_SE_xNS9_4plusIxEE19head_flag_predicatexEE10hipError_tPvRmT2_T3_T4_T5_mT6_T7_P12ihipStream_tbENKUlT_T0_E_clISt17integral_constantIbLb1EESX_IbLb0EEEEDaST_SU_EUlST_E_NS1_11comp_targetILNS1_3genE9ELNS1_11target_archE1100ELNS1_3gpuE3ELNS1_3repE0EEENS1_30default_config_static_selectorELNS0_4arch9wavefront6targetE0EEEvT1_.private_seg_size, 0
	.set _ZN7rocprim17ROCPRIM_400000_NS6detail17trampoline_kernelINS0_14default_configENS1_27scan_by_key_config_selectorIxxEEZZNS1_16scan_by_key_implILNS1_25lookback_scan_determinismE0ELb1ES3_N6thrust23THRUST_200600_302600_NS6detail15normal_iteratorINS9_10device_ptrIxEEEESE_SE_xNS9_4plusIxEE19head_flag_predicatexEE10hipError_tPvRmT2_T3_T4_T5_mT6_T7_P12ihipStream_tbENKUlT_T0_E_clISt17integral_constantIbLb1EESX_IbLb0EEEEDaST_SU_EUlST_E_NS1_11comp_targetILNS1_3genE9ELNS1_11target_archE1100ELNS1_3gpuE3ELNS1_3repE0EEENS1_30default_config_static_selectorELNS0_4arch9wavefront6targetE0EEEvT1_.uses_vcc, 0
	.set _ZN7rocprim17ROCPRIM_400000_NS6detail17trampoline_kernelINS0_14default_configENS1_27scan_by_key_config_selectorIxxEEZZNS1_16scan_by_key_implILNS1_25lookback_scan_determinismE0ELb1ES3_N6thrust23THRUST_200600_302600_NS6detail15normal_iteratorINS9_10device_ptrIxEEEESE_SE_xNS9_4plusIxEE19head_flag_predicatexEE10hipError_tPvRmT2_T3_T4_T5_mT6_T7_P12ihipStream_tbENKUlT_T0_E_clISt17integral_constantIbLb1EESX_IbLb0EEEEDaST_SU_EUlST_E_NS1_11comp_targetILNS1_3genE9ELNS1_11target_archE1100ELNS1_3gpuE3ELNS1_3repE0EEENS1_30default_config_static_selectorELNS0_4arch9wavefront6targetE0EEEvT1_.uses_flat_scratch, 0
	.set _ZN7rocprim17ROCPRIM_400000_NS6detail17trampoline_kernelINS0_14default_configENS1_27scan_by_key_config_selectorIxxEEZZNS1_16scan_by_key_implILNS1_25lookback_scan_determinismE0ELb1ES3_N6thrust23THRUST_200600_302600_NS6detail15normal_iteratorINS9_10device_ptrIxEEEESE_SE_xNS9_4plusIxEE19head_flag_predicatexEE10hipError_tPvRmT2_T3_T4_T5_mT6_T7_P12ihipStream_tbENKUlT_T0_E_clISt17integral_constantIbLb1EESX_IbLb0EEEEDaST_SU_EUlST_E_NS1_11comp_targetILNS1_3genE9ELNS1_11target_archE1100ELNS1_3gpuE3ELNS1_3repE0EEENS1_30default_config_static_selectorELNS0_4arch9wavefront6targetE0EEEvT1_.has_dyn_sized_stack, 0
	.set _ZN7rocprim17ROCPRIM_400000_NS6detail17trampoline_kernelINS0_14default_configENS1_27scan_by_key_config_selectorIxxEEZZNS1_16scan_by_key_implILNS1_25lookback_scan_determinismE0ELb1ES3_N6thrust23THRUST_200600_302600_NS6detail15normal_iteratorINS9_10device_ptrIxEEEESE_SE_xNS9_4plusIxEE19head_flag_predicatexEE10hipError_tPvRmT2_T3_T4_T5_mT6_T7_P12ihipStream_tbENKUlT_T0_E_clISt17integral_constantIbLb1EESX_IbLb0EEEEDaST_SU_EUlST_E_NS1_11comp_targetILNS1_3genE9ELNS1_11target_archE1100ELNS1_3gpuE3ELNS1_3repE0EEENS1_30default_config_static_selectorELNS0_4arch9wavefront6targetE0EEEvT1_.has_recursion, 0
	.set _ZN7rocprim17ROCPRIM_400000_NS6detail17trampoline_kernelINS0_14default_configENS1_27scan_by_key_config_selectorIxxEEZZNS1_16scan_by_key_implILNS1_25lookback_scan_determinismE0ELb1ES3_N6thrust23THRUST_200600_302600_NS6detail15normal_iteratorINS9_10device_ptrIxEEEESE_SE_xNS9_4plusIxEE19head_flag_predicatexEE10hipError_tPvRmT2_T3_T4_T5_mT6_T7_P12ihipStream_tbENKUlT_T0_E_clISt17integral_constantIbLb1EESX_IbLb0EEEEDaST_SU_EUlST_E_NS1_11comp_targetILNS1_3genE9ELNS1_11target_archE1100ELNS1_3gpuE3ELNS1_3repE0EEENS1_30default_config_static_selectorELNS0_4arch9wavefront6targetE0EEEvT1_.has_indirect_call, 0
	.section	.AMDGPU.csdata,"",@progbits
; Kernel info:
; codeLenInByte = 0
; TotalNumSgprs: 0
; NumVgprs: 0
; ScratchSize: 0
; MemoryBound: 0
; FloatMode: 240
; IeeeMode: 1
; LDSByteSize: 0 bytes/workgroup (compile time only)
; SGPRBlocks: 0
; VGPRBlocks: 0
; NumSGPRsForWavesPerEU: 1
; NumVGPRsForWavesPerEU: 1
; NamedBarCnt: 0
; Occupancy: 16
; WaveLimiterHint : 0
; COMPUTE_PGM_RSRC2:SCRATCH_EN: 0
; COMPUTE_PGM_RSRC2:USER_SGPR: 2
; COMPUTE_PGM_RSRC2:TRAP_HANDLER: 0
; COMPUTE_PGM_RSRC2:TGID_X_EN: 1
; COMPUTE_PGM_RSRC2:TGID_Y_EN: 0
; COMPUTE_PGM_RSRC2:TGID_Z_EN: 0
; COMPUTE_PGM_RSRC2:TIDIG_COMP_CNT: 0
	.section	.text._ZN7rocprim17ROCPRIM_400000_NS6detail17trampoline_kernelINS0_14default_configENS1_27scan_by_key_config_selectorIxxEEZZNS1_16scan_by_key_implILNS1_25lookback_scan_determinismE0ELb1ES3_N6thrust23THRUST_200600_302600_NS6detail15normal_iteratorINS9_10device_ptrIxEEEESE_SE_xNS9_4plusIxEE19head_flag_predicatexEE10hipError_tPvRmT2_T3_T4_T5_mT6_T7_P12ihipStream_tbENKUlT_T0_E_clISt17integral_constantIbLb1EESX_IbLb0EEEEDaST_SU_EUlST_E_NS1_11comp_targetILNS1_3genE8ELNS1_11target_archE1030ELNS1_3gpuE2ELNS1_3repE0EEENS1_30default_config_static_selectorELNS0_4arch9wavefront6targetE0EEEvT1_,"axG",@progbits,_ZN7rocprim17ROCPRIM_400000_NS6detail17trampoline_kernelINS0_14default_configENS1_27scan_by_key_config_selectorIxxEEZZNS1_16scan_by_key_implILNS1_25lookback_scan_determinismE0ELb1ES3_N6thrust23THRUST_200600_302600_NS6detail15normal_iteratorINS9_10device_ptrIxEEEESE_SE_xNS9_4plusIxEE19head_flag_predicatexEE10hipError_tPvRmT2_T3_T4_T5_mT6_T7_P12ihipStream_tbENKUlT_T0_E_clISt17integral_constantIbLb1EESX_IbLb0EEEEDaST_SU_EUlST_E_NS1_11comp_targetILNS1_3genE8ELNS1_11target_archE1030ELNS1_3gpuE2ELNS1_3repE0EEENS1_30default_config_static_selectorELNS0_4arch9wavefront6targetE0EEEvT1_,comdat
	.protected	_ZN7rocprim17ROCPRIM_400000_NS6detail17trampoline_kernelINS0_14default_configENS1_27scan_by_key_config_selectorIxxEEZZNS1_16scan_by_key_implILNS1_25lookback_scan_determinismE0ELb1ES3_N6thrust23THRUST_200600_302600_NS6detail15normal_iteratorINS9_10device_ptrIxEEEESE_SE_xNS9_4plusIxEE19head_flag_predicatexEE10hipError_tPvRmT2_T3_T4_T5_mT6_T7_P12ihipStream_tbENKUlT_T0_E_clISt17integral_constantIbLb1EESX_IbLb0EEEEDaST_SU_EUlST_E_NS1_11comp_targetILNS1_3genE8ELNS1_11target_archE1030ELNS1_3gpuE2ELNS1_3repE0EEENS1_30default_config_static_selectorELNS0_4arch9wavefront6targetE0EEEvT1_ ; -- Begin function _ZN7rocprim17ROCPRIM_400000_NS6detail17trampoline_kernelINS0_14default_configENS1_27scan_by_key_config_selectorIxxEEZZNS1_16scan_by_key_implILNS1_25lookback_scan_determinismE0ELb1ES3_N6thrust23THRUST_200600_302600_NS6detail15normal_iteratorINS9_10device_ptrIxEEEESE_SE_xNS9_4plusIxEE19head_flag_predicatexEE10hipError_tPvRmT2_T3_T4_T5_mT6_T7_P12ihipStream_tbENKUlT_T0_E_clISt17integral_constantIbLb1EESX_IbLb0EEEEDaST_SU_EUlST_E_NS1_11comp_targetILNS1_3genE8ELNS1_11target_archE1030ELNS1_3gpuE2ELNS1_3repE0EEENS1_30default_config_static_selectorELNS0_4arch9wavefront6targetE0EEEvT1_
	.globl	_ZN7rocprim17ROCPRIM_400000_NS6detail17trampoline_kernelINS0_14default_configENS1_27scan_by_key_config_selectorIxxEEZZNS1_16scan_by_key_implILNS1_25lookback_scan_determinismE0ELb1ES3_N6thrust23THRUST_200600_302600_NS6detail15normal_iteratorINS9_10device_ptrIxEEEESE_SE_xNS9_4plusIxEE19head_flag_predicatexEE10hipError_tPvRmT2_T3_T4_T5_mT6_T7_P12ihipStream_tbENKUlT_T0_E_clISt17integral_constantIbLb1EESX_IbLb0EEEEDaST_SU_EUlST_E_NS1_11comp_targetILNS1_3genE8ELNS1_11target_archE1030ELNS1_3gpuE2ELNS1_3repE0EEENS1_30default_config_static_selectorELNS0_4arch9wavefront6targetE0EEEvT1_
	.p2align	8
	.type	_ZN7rocprim17ROCPRIM_400000_NS6detail17trampoline_kernelINS0_14default_configENS1_27scan_by_key_config_selectorIxxEEZZNS1_16scan_by_key_implILNS1_25lookback_scan_determinismE0ELb1ES3_N6thrust23THRUST_200600_302600_NS6detail15normal_iteratorINS9_10device_ptrIxEEEESE_SE_xNS9_4plusIxEE19head_flag_predicatexEE10hipError_tPvRmT2_T3_T4_T5_mT6_T7_P12ihipStream_tbENKUlT_T0_E_clISt17integral_constantIbLb1EESX_IbLb0EEEEDaST_SU_EUlST_E_NS1_11comp_targetILNS1_3genE8ELNS1_11target_archE1030ELNS1_3gpuE2ELNS1_3repE0EEENS1_30default_config_static_selectorELNS0_4arch9wavefront6targetE0EEEvT1_,@function
_ZN7rocprim17ROCPRIM_400000_NS6detail17trampoline_kernelINS0_14default_configENS1_27scan_by_key_config_selectorIxxEEZZNS1_16scan_by_key_implILNS1_25lookback_scan_determinismE0ELb1ES3_N6thrust23THRUST_200600_302600_NS6detail15normal_iteratorINS9_10device_ptrIxEEEESE_SE_xNS9_4plusIxEE19head_flag_predicatexEE10hipError_tPvRmT2_T3_T4_T5_mT6_T7_P12ihipStream_tbENKUlT_T0_E_clISt17integral_constantIbLb1EESX_IbLb0EEEEDaST_SU_EUlST_E_NS1_11comp_targetILNS1_3genE8ELNS1_11target_archE1030ELNS1_3gpuE2ELNS1_3repE0EEENS1_30default_config_static_selectorELNS0_4arch9wavefront6targetE0EEEvT1_: ; @_ZN7rocprim17ROCPRIM_400000_NS6detail17trampoline_kernelINS0_14default_configENS1_27scan_by_key_config_selectorIxxEEZZNS1_16scan_by_key_implILNS1_25lookback_scan_determinismE0ELb1ES3_N6thrust23THRUST_200600_302600_NS6detail15normal_iteratorINS9_10device_ptrIxEEEESE_SE_xNS9_4plusIxEE19head_flag_predicatexEE10hipError_tPvRmT2_T3_T4_T5_mT6_T7_P12ihipStream_tbENKUlT_T0_E_clISt17integral_constantIbLb1EESX_IbLb0EEEEDaST_SU_EUlST_E_NS1_11comp_targetILNS1_3genE8ELNS1_11target_archE1030ELNS1_3gpuE2ELNS1_3repE0EEENS1_30default_config_static_selectorELNS0_4arch9wavefront6targetE0EEEvT1_
; %bb.0:
	.section	.rodata,"a",@progbits
	.p2align	6, 0x0
	.amdhsa_kernel _ZN7rocprim17ROCPRIM_400000_NS6detail17trampoline_kernelINS0_14default_configENS1_27scan_by_key_config_selectorIxxEEZZNS1_16scan_by_key_implILNS1_25lookback_scan_determinismE0ELb1ES3_N6thrust23THRUST_200600_302600_NS6detail15normal_iteratorINS9_10device_ptrIxEEEESE_SE_xNS9_4plusIxEE19head_flag_predicatexEE10hipError_tPvRmT2_T3_T4_T5_mT6_T7_P12ihipStream_tbENKUlT_T0_E_clISt17integral_constantIbLb1EESX_IbLb0EEEEDaST_SU_EUlST_E_NS1_11comp_targetILNS1_3genE8ELNS1_11target_archE1030ELNS1_3gpuE2ELNS1_3repE0EEENS1_30default_config_static_selectorELNS0_4arch9wavefront6targetE0EEEvT1_
		.amdhsa_group_segment_fixed_size 0
		.amdhsa_private_segment_fixed_size 0
		.amdhsa_kernarg_size 136
		.amdhsa_user_sgpr_count 2
		.amdhsa_user_sgpr_dispatch_ptr 0
		.amdhsa_user_sgpr_queue_ptr 0
		.amdhsa_user_sgpr_kernarg_segment_ptr 1
		.amdhsa_user_sgpr_dispatch_id 0
		.amdhsa_user_sgpr_kernarg_preload_length 0
		.amdhsa_user_sgpr_kernarg_preload_offset 0
		.amdhsa_user_sgpr_private_segment_size 0
		.amdhsa_wavefront_size32 1
		.amdhsa_uses_dynamic_stack 0
		.amdhsa_enable_private_segment 0
		.amdhsa_system_sgpr_workgroup_id_x 1
		.amdhsa_system_sgpr_workgroup_id_y 0
		.amdhsa_system_sgpr_workgroup_id_z 0
		.amdhsa_system_sgpr_workgroup_info 0
		.amdhsa_system_vgpr_workitem_id 0
		.amdhsa_next_free_vgpr 1
		.amdhsa_next_free_sgpr 1
		.amdhsa_named_barrier_count 0
		.amdhsa_reserve_vcc 0
		.amdhsa_float_round_mode_32 0
		.amdhsa_float_round_mode_16_64 0
		.amdhsa_float_denorm_mode_32 3
		.amdhsa_float_denorm_mode_16_64 3
		.amdhsa_fp16_overflow 0
		.amdhsa_memory_ordered 1
		.amdhsa_forward_progress 1
		.amdhsa_inst_pref_size 0
		.amdhsa_round_robin_scheduling 0
		.amdhsa_exception_fp_ieee_invalid_op 0
		.amdhsa_exception_fp_denorm_src 0
		.amdhsa_exception_fp_ieee_div_zero 0
		.amdhsa_exception_fp_ieee_overflow 0
		.amdhsa_exception_fp_ieee_underflow 0
		.amdhsa_exception_fp_ieee_inexact 0
		.amdhsa_exception_int_div_zero 0
	.end_amdhsa_kernel
	.section	.text._ZN7rocprim17ROCPRIM_400000_NS6detail17trampoline_kernelINS0_14default_configENS1_27scan_by_key_config_selectorIxxEEZZNS1_16scan_by_key_implILNS1_25lookback_scan_determinismE0ELb1ES3_N6thrust23THRUST_200600_302600_NS6detail15normal_iteratorINS9_10device_ptrIxEEEESE_SE_xNS9_4plusIxEE19head_flag_predicatexEE10hipError_tPvRmT2_T3_T4_T5_mT6_T7_P12ihipStream_tbENKUlT_T0_E_clISt17integral_constantIbLb1EESX_IbLb0EEEEDaST_SU_EUlST_E_NS1_11comp_targetILNS1_3genE8ELNS1_11target_archE1030ELNS1_3gpuE2ELNS1_3repE0EEENS1_30default_config_static_selectorELNS0_4arch9wavefront6targetE0EEEvT1_,"axG",@progbits,_ZN7rocprim17ROCPRIM_400000_NS6detail17trampoline_kernelINS0_14default_configENS1_27scan_by_key_config_selectorIxxEEZZNS1_16scan_by_key_implILNS1_25lookback_scan_determinismE0ELb1ES3_N6thrust23THRUST_200600_302600_NS6detail15normal_iteratorINS9_10device_ptrIxEEEESE_SE_xNS9_4plusIxEE19head_flag_predicatexEE10hipError_tPvRmT2_T3_T4_T5_mT6_T7_P12ihipStream_tbENKUlT_T0_E_clISt17integral_constantIbLb1EESX_IbLb0EEEEDaST_SU_EUlST_E_NS1_11comp_targetILNS1_3genE8ELNS1_11target_archE1030ELNS1_3gpuE2ELNS1_3repE0EEENS1_30default_config_static_selectorELNS0_4arch9wavefront6targetE0EEEvT1_,comdat
.Lfunc_end739:
	.size	_ZN7rocprim17ROCPRIM_400000_NS6detail17trampoline_kernelINS0_14default_configENS1_27scan_by_key_config_selectorIxxEEZZNS1_16scan_by_key_implILNS1_25lookback_scan_determinismE0ELb1ES3_N6thrust23THRUST_200600_302600_NS6detail15normal_iteratorINS9_10device_ptrIxEEEESE_SE_xNS9_4plusIxEE19head_flag_predicatexEE10hipError_tPvRmT2_T3_T4_T5_mT6_T7_P12ihipStream_tbENKUlT_T0_E_clISt17integral_constantIbLb1EESX_IbLb0EEEEDaST_SU_EUlST_E_NS1_11comp_targetILNS1_3genE8ELNS1_11target_archE1030ELNS1_3gpuE2ELNS1_3repE0EEENS1_30default_config_static_selectorELNS0_4arch9wavefront6targetE0EEEvT1_, .Lfunc_end739-_ZN7rocprim17ROCPRIM_400000_NS6detail17trampoline_kernelINS0_14default_configENS1_27scan_by_key_config_selectorIxxEEZZNS1_16scan_by_key_implILNS1_25lookback_scan_determinismE0ELb1ES3_N6thrust23THRUST_200600_302600_NS6detail15normal_iteratorINS9_10device_ptrIxEEEESE_SE_xNS9_4plusIxEE19head_flag_predicatexEE10hipError_tPvRmT2_T3_T4_T5_mT6_T7_P12ihipStream_tbENKUlT_T0_E_clISt17integral_constantIbLb1EESX_IbLb0EEEEDaST_SU_EUlST_E_NS1_11comp_targetILNS1_3genE8ELNS1_11target_archE1030ELNS1_3gpuE2ELNS1_3repE0EEENS1_30default_config_static_selectorELNS0_4arch9wavefront6targetE0EEEvT1_
                                        ; -- End function
	.set _ZN7rocprim17ROCPRIM_400000_NS6detail17trampoline_kernelINS0_14default_configENS1_27scan_by_key_config_selectorIxxEEZZNS1_16scan_by_key_implILNS1_25lookback_scan_determinismE0ELb1ES3_N6thrust23THRUST_200600_302600_NS6detail15normal_iteratorINS9_10device_ptrIxEEEESE_SE_xNS9_4plusIxEE19head_flag_predicatexEE10hipError_tPvRmT2_T3_T4_T5_mT6_T7_P12ihipStream_tbENKUlT_T0_E_clISt17integral_constantIbLb1EESX_IbLb0EEEEDaST_SU_EUlST_E_NS1_11comp_targetILNS1_3genE8ELNS1_11target_archE1030ELNS1_3gpuE2ELNS1_3repE0EEENS1_30default_config_static_selectorELNS0_4arch9wavefront6targetE0EEEvT1_.num_vgpr, 0
	.set _ZN7rocprim17ROCPRIM_400000_NS6detail17trampoline_kernelINS0_14default_configENS1_27scan_by_key_config_selectorIxxEEZZNS1_16scan_by_key_implILNS1_25lookback_scan_determinismE0ELb1ES3_N6thrust23THRUST_200600_302600_NS6detail15normal_iteratorINS9_10device_ptrIxEEEESE_SE_xNS9_4plusIxEE19head_flag_predicatexEE10hipError_tPvRmT2_T3_T4_T5_mT6_T7_P12ihipStream_tbENKUlT_T0_E_clISt17integral_constantIbLb1EESX_IbLb0EEEEDaST_SU_EUlST_E_NS1_11comp_targetILNS1_3genE8ELNS1_11target_archE1030ELNS1_3gpuE2ELNS1_3repE0EEENS1_30default_config_static_selectorELNS0_4arch9wavefront6targetE0EEEvT1_.num_agpr, 0
	.set _ZN7rocprim17ROCPRIM_400000_NS6detail17trampoline_kernelINS0_14default_configENS1_27scan_by_key_config_selectorIxxEEZZNS1_16scan_by_key_implILNS1_25lookback_scan_determinismE0ELb1ES3_N6thrust23THRUST_200600_302600_NS6detail15normal_iteratorINS9_10device_ptrIxEEEESE_SE_xNS9_4plusIxEE19head_flag_predicatexEE10hipError_tPvRmT2_T3_T4_T5_mT6_T7_P12ihipStream_tbENKUlT_T0_E_clISt17integral_constantIbLb1EESX_IbLb0EEEEDaST_SU_EUlST_E_NS1_11comp_targetILNS1_3genE8ELNS1_11target_archE1030ELNS1_3gpuE2ELNS1_3repE0EEENS1_30default_config_static_selectorELNS0_4arch9wavefront6targetE0EEEvT1_.numbered_sgpr, 0
	.set _ZN7rocprim17ROCPRIM_400000_NS6detail17trampoline_kernelINS0_14default_configENS1_27scan_by_key_config_selectorIxxEEZZNS1_16scan_by_key_implILNS1_25lookback_scan_determinismE0ELb1ES3_N6thrust23THRUST_200600_302600_NS6detail15normal_iteratorINS9_10device_ptrIxEEEESE_SE_xNS9_4plusIxEE19head_flag_predicatexEE10hipError_tPvRmT2_T3_T4_T5_mT6_T7_P12ihipStream_tbENKUlT_T0_E_clISt17integral_constantIbLb1EESX_IbLb0EEEEDaST_SU_EUlST_E_NS1_11comp_targetILNS1_3genE8ELNS1_11target_archE1030ELNS1_3gpuE2ELNS1_3repE0EEENS1_30default_config_static_selectorELNS0_4arch9wavefront6targetE0EEEvT1_.num_named_barrier, 0
	.set _ZN7rocprim17ROCPRIM_400000_NS6detail17trampoline_kernelINS0_14default_configENS1_27scan_by_key_config_selectorIxxEEZZNS1_16scan_by_key_implILNS1_25lookback_scan_determinismE0ELb1ES3_N6thrust23THRUST_200600_302600_NS6detail15normal_iteratorINS9_10device_ptrIxEEEESE_SE_xNS9_4plusIxEE19head_flag_predicatexEE10hipError_tPvRmT2_T3_T4_T5_mT6_T7_P12ihipStream_tbENKUlT_T0_E_clISt17integral_constantIbLb1EESX_IbLb0EEEEDaST_SU_EUlST_E_NS1_11comp_targetILNS1_3genE8ELNS1_11target_archE1030ELNS1_3gpuE2ELNS1_3repE0EEENS1_30default_config_static_selectorELNS0_4arch9wavefront6targetE0EEEvT1_.private_seg_size, 0
	.set _ZN7rocprim17ROCPRIM_400000_NS6detail17trampoline_kernelINS0_14default_configENS1_27scan_by_key_config_selectorIxxEEZZNS1_16scan_by_key_implILNS1_25lookback_scan_determinismE0ELb1ES3_N6thrust23THRUST_200600_302600_NS6detail15normal_iteratorINS9_10device_ptrIxEEEESE_SE_xNS9_4plusIxEE19head_flag_predicatexEE10hipError_tPvRmT2_T3_T4_T5_mT6_T7_P12ihipStream_tbENKUlT_T0_E_clISt17integral_constantIbLb1EESX_IbLb0EEEEDaST_SU_EUlST_E_NS1_11comp_targetILNS1_3genE8ELNS1_11target_archE1030ELNS1_3gpuE2ELNS1_3repE0EEENS1_30default_config_static_selectorELNS0_4arch9wavefront6targetE0EEEvT1_.uses_vcc, 0
	.set _ZN7rocprim17ROCPRIM_400000_NS6detail17trampoline_kernelINS0_14default_configENS1_27scan_by_key_config_selectorIxxEEZZNS1_16scan_by_key_implILNS1_25lookback_scan_determinismE0ELb1ES3_N6thrust23THRUST_200600_302600_NS6detail15normal_iteratorINS9_10device_ptrIxEEEESE_SE_xNS9_4plusIxEE19head_flag_predicatexEE10hipError_tPvRmT2_T3_T4_T5_mT6_T7_P12ihipStream_tbENKUlT_T0_E_clISt17integral_constantIbLb1EESX_IbLb0EEEEDaST_SU_EUlST_E_NS1_11comp_targetILNS1_3genE8ELNS1_11target_archE1030ELNS1_3gpuE2ELNS1_3repE0EEENS1_30default_config_static_selectorELNS0_4arch9wavefront6targetE0EEEvT1_.uses_flat_scratch, 0
	.set _ZN7rocprim17ROCPRIM_400000_NS6detail17trampoline_kernelINS0_14default_configENS1_27scan_by_key_config_selectorIxxEEZZNS1_16scan_by_key_implILNS1_25lookback_scan_determinismE0ELb1ES3_N6thrust23THRUST_200600_302600_NS6detail15normal_iteratorINS9_10device_ptrIxEEEESE_SE_xNS9_4plusIxEE19head_flag_predicatexEE10hipError_tPvRmT2_T3_T4_T5_mT6_T7_P12ihipStream_tbENKUlT_T0_E_clISt17integral_constantIbLb1EESX_IbLb0EEEEDaST_SU_EUlST_E_NS1_11comp_targetILNS1_3genE8ELNS1_11target_archE1030ELNS1_3gpuE2ELNS1_3repE0EEENS1_30default_config_static_selectorELNS0_4arch9wavefront6targetE0EEEvT1_.has_dyn_sized_stack, 0
	.set _ZN7rocprim17ROCPRIM_400000_NS6detail17trampoline_kernelINS0_14default_configENS1_27scan_by_key_config_selectorIxxEEZZNS1_16scan_by_key_implILNS1_25lookback_scan_determinismE0ELb1ES3_N6thrust23THRUST_200600_302600_NS6detail15normal_iteratorINS9_10device_ptrIxEEEESE_SE_xNS9_4plusIxEE19head_flag_predicatexEE10hipError_tPvRmT2_T3_T4_T5_mT6_T7_P12ihipStream_tbENKUlT_T0_E_clISt17integral_constantIbLb1EESX_IbLb0EEEEDaST_SU_EUlST_E_NS1_11comp_targetILNS1_3genE8ELNS1_11target_archE1030ELNS1_3gpuE2ELNS1_3repE0EEENS1_30default_config_static_selectorELNS0_4arch9wavefront6targetE0EEEvT1_.has_recursion, 0
	.set _ZN7rocprim17ROCPRIM_400000_NS6detail17trampoline_kernelINS0_14default_configENS1_27scan_by_key_config_selectorIxxEEZZNS1_16scan_by_key_implILNS1_25lookback_scan_determinismE0ELb1ES3_N6thrust23THRUST_200600_302600_NS6detail15normal_iteratorINS9_10device_ptrIxEEEESE_SE_xNS9_4plusIxEE19head_flag_predicatexEE10hipError_tPvRmT2_T3_T4_T5_mT6_T7_P12ihipStream_tbENKUlT_T0_E_clISt17integral_constantIbLb1EESX_IbLb0EEEEDaST_SU_EUlST_E_NS1_11comp_targetILNS1_3genE8ELNS1_11target_archE1030ELNS1_3gpuE2ELNS1_3repE0EEENS1_30default_config_static_selectorELNS0_4arch9wavefront6targetE0EEEvT1_.has_indirect_call, 0
	.section	.AMDGPU.csdata,"",@progbits
; Kernel info:
; codeLenInByte = 0
; TotalNumSgprs: 0
; NumVgprs: 0
; ScratchSize: 0
; MemoryBound: 0
; FloatMode: 240
; IeeeMode: 1
; LDSByteSize: 0 bytes/workgroup (compile time only)
; SGPRBlocks: 0
; VGPRBlocks: 0
; NumSGPRsForWavesPerEU: 1
; NumVGPRsForWavesPerEU: 1
; NamedBarCnt: 0
; Occupancy: 16
; WaveLimiterHint : 0
; COMPUTE_PGM_RSRC2:SCRATCH_EN: 0
; COMPUTE_PGM_RSRC2:USER_SGPR: 2
; COMPUTE_PGM_RSRC2:TRAP_HANDLER: 0
; COMPUTE_PGM_RSRC2:TGID_X_EN: 1
; COMPUTE_PGM_RSRC2:TGID_Y_EN: 0
; COMPUTE_PGM_RSRC2:TGID_Z_EN: 0
; COMPUTE_PGM_RSRC2:TIDIG_COMP_CNT: 0
	.section	.text._ZN7rocprim17ROCPRIM_400000_NS6detail17trampoline_kernelINS0_14default_configENS1_27scan_by_key_config_selectorIxxEEZZNS1_16scan_by_key_implILNS1_25lookback_scan_determinismE0ELb1ES3_N6thrust23THRUST_200600_302600_NS6detail15normal_iteratorINS9_10device_ptrIxEEEESE_SE_xNS9_4plusIxEE19head_flag_predicatexEE10hipError_tPvRmT2_T3_T4_T5_mT6_T7_P12ihipStream_tbENKUlT_T0_E_clISt17integral_constantIbLb0EESX_IbLb1EEEEDaST_SU_EUlST_E_NS1_11comp_targetILNS1_3genE0ELNS1_11target_archE4294967295ELNS1_3gpuE0ELNS1_3repE0EEENS1_30default_config_static_selectorELNS0_4arch9wavefront6targetE0EEEvT1_,"axG",@progbits,_ZN7rocprim17ROCPRIM_400000_NS6detail17trampoline_kernelINS0_14default_configENS1_27scan_by_key_config_selectorIxxEEZZNS1_16scan_by_key_implILNS1_25lookback_scan_determinismE0ELb1ES3_N6thrust23THRUST_200600_302600_NS6detail15normal_iteratorINS9_10device_ptrIxEEEESE_SE_xNS9_4plusIxEE19head_flag_predicatexEE10hipError_tPvRmT2_T3_T4_T5_mT6_T7_P12ihipStream_tbENKUlT_T0_E_clISt17integral_constantIbLb0EESX_IbLb1EEEEDaST_SU_EUlST_E_NS1_11comp_targetILNS1_3genE0ELNS1_11target_archE4294967295ELNS1_3gpuE0ELNS1_3repE0EEENS1_30default_config_static_selectorELNS0_4arch9wavefront6targetE0EEEvT1_,comdat
	.protected	_ZN7rocprim17ROCPRIM_400000_NS6detail17trampoline_kernelINS0_14default_configENS1_27scan_by_key_config_selectorIxxEEZZNS1_16scan_by_key_implILNS1_25lookback_scan_determinismE0ELb1ES3_N6thrust23THRUST_200600_302600_NS6detail15normal_iteratorINS9_10device_ptrIxEEEESE_SE_xNS9_4plusIxEE19head_flag_predicatexEE10hipError_tPvRmT2_T3_T4_T5_mT6_T7_P12ihipStream_tbENKUlT_T0_E_clISt17integral_constantIbLb0EESX_IbLb1EEEEDaST_SU_EUlST_E_NS1_11comp_targetILNS1_3genE0ELNS1_11target_archE4294967295ELNS1_3gpuE0ELNS1_3repE0EEENS1_30default_config_static_selectorELNS0_4arch9wavefront6targetE0EEEvT1_ ; -- Begin function _ZN7rocprim17ROCPRIM_400000_NS6detail17trampoline_kernelINS0_14default_configENS1_27scan_by_key_config_selectorIxxEEZZNS1_16scan_by_key_implILNS1_25lookback_scan_determinismE0ELb1ES3_N6thrust23THRUST_200600_302600_NS6detail15normal_iteratorINS9_10device_ptrIxEEEESE_SE_xNS9_4plusIxEE19head_flag_predicatexEE10hipError_tPvRmT2_T3_T4_T5_mT6_T7_P12ihipStream_tbENKUlT_T0_E_clISt17integral_constantIbLb0EESX_IbLb1EEEEDaST_SU_EUlST_E_NS1_11comp_targetILNS1_3genE0ELNS1_11target_archE4294967295ELNS1_3gpuE0ELNS1_3repE0EEENS1_30default_config_static_selectorELNS0_4arch9wavefront6targetE0EEEvT1_
	.globl	_ZN7rocprim17ROCPRIM_400000_NS6detail17trampoline_kernelINS0_14default_configENS1_27scan_by_key_config_selectorIxxEEZZNS1_16scan_by_key_implILNS1_25lookback_scan_determinismE0ELb1ES3_N6thrust23THRUST_200600_302600_NS6detail15normal_iteratorINS9_10device_ptrIxEEEESE_SE_xNS9_4plusIxEE19head_flag_predicatexEE10hipError_tPvRmT2_T3_T4_T5_mT6_T7_P12ihipStream_tbENKUlT_T0_E_clISt17integral_constantIbLb0EESX_IbLb1EEEEDaST_SU_EUlST_E_NS1_11comp_targetILNS1_3genE0ELNS1_11target_archE4294967295ELNS1_3gpuE0ELNS1_3repE0EEENS1_30default_config_static_selectorELNS0_4arch9wavefront6targetE0EEEvT1_
	.p2align	8
	.type	_ZN7rocprim17ROCPRIM_400000_NS6detail17trampoline_kernelINS0_14default_configENS1_27scan_by_key_config_selectorIxxEEZZNS1_16scan_by_key_implILNS1_25lookback_scan_determinismE0ELb1ES3_N6thrust23THRUST_200600_302600_NS6detail15normal_iteratorINS9_10device_ptrIxEEEESE_SE_xNS9_4plusIxEE19head_flag_predicatexEE10hipError_tPvRmT2_T3_T4_T5_mT6_T7_P12ihipStream_tbENKUlT_T0_E_clISt17integral_constantIbLb0EESX_IbLb1EEEEDaST_SU_EUlST_E_NS1_11comp_targetILNS1_3genE0ELNS1_11target_archE4294967295ELNS1_3gpuE0ELNS1_3repE0EEENS1_30default_config_static_selectorELNS0_4arch9wavefront6targetE0EEEvT1_,@function
_ZN7rocprim17ROCPRIM_400000_NS6detail17trampoline_kernelINS0_14default_configENS1_27scan_by_key_config_selectorIxxEEZZNS1_16scan_by_key_implILNS1_25lookback_scan_determinismE0ELb1ES3_N6thrust23THRUST_200600_302600_NS6detail15normal_iteratorINS9_10device_ptrIxEEEESE_SE_xNS9_4plusIxEE19head_flag_predicatexEE10hipError_tPvRmT2_T3_T4_T5_mT6_T7_P12ihipStream_tbENKUlT_T0_E_clISt17integral_constantIbLb0EESX_IbLb1EEEEDaST_SU_EUlST_E_NS1_11comp_targetILNS1_3genE0ELNS1_11target_archE4294967295ELNS1_3gpuE0ELNS1_3repE0EEENS1_30default_config_static_selectorELNS0_4arch9wavefront6targetE0EEEvT1_: ; @_ZN7rocprim17ROCPRIM_400000_NS6detail17trampoline_kernelINS0_14default_configENS1_27scan_by_key_config_selectorIxxEEZZNS1_16scan_by_key_implILNS1_25lookback_scan_determinismE0ELb1ES3_N6thrust23THRUST_200600_302600_NS6detail15normal_iteratorINS9_10device_ptrIxEEEESE_SE_xNS9_4plusIxEE19head_flag_predicatexEE10hipError_tPvRmT2_T3_T4_T5_mT6_T7_P12ihipStream_tbENKUlT_T0_E_clISt17integral_constantIbLb0EESX_IbLb1EEEEDaST_SU_EUlST_E_NS1_11comp_targetILNS1_3genE0ELNS1_11target_archE4294967295ELNS1_3gpuE0ELNS1_3repE0EEENS1_30default_config_static_selectorELNS0_4arch9wavefront6targetE0EEEvT1_
; %bb.0:
	s_clause 0x3
	s_load_b256 s[20:27], s[0:1], 0x0
	s_load_b64 s[44:45], s[0:1], 0x20
	s_load_b256 s[36:43], s[0:1], 0x30
	s_load_b64 s[46:47], s[0:1], 0x50
	v_cmp_ne_u32_e64 s3, 0, v0
	v_cmp_eq_u32_e64 s2, 0, v0
	s_and_saveexec_b32 s4, s2
	s_cbranch_execz .LBB740_4
; %bb.1:
	s_mov_b32 s6, exec_lo
	s_mov_b32 s5, exec_lo
	v_mbcnt_lo_u32_b32 v1, s6, 0
                                        ; implicit-def: $vgpr2
	s_delay_alu instid0(VALU_DEP_1)
	v_cmpx_eq_u32_e32 0, v1
	s_cbranch_execz .LBB740_3
; %bb.2:
	s_load_b64 s[8:9], s[0:1], 0x80
	s_bcnt1_i32_b32 s6, s6
	s_delay_alu instid0(SALU_CYCLE_1)
	v_dual_mov_b32 v2, 0 :: v_dual_mov_b32 v3, s6
	s_wait_xcnt 0x0
	s_wait_kmcnt 0x0
	global_atomic_add_u32 v2, v2, v3, s[8:9] th:TH_ATOMIC_RETURN scope:SCOPE_DEV
.LBB740_3:
	s_wait_xcnt 0x0
	s_or_b32 exec_lo, exec_lo, s5
	s_wait_loadcnt 0x0
	v_readfirstlane_b32 s5, v2
	s_delay_alu instid0(VALU_DEP_1)
	v_dual_mov_b32 v2, 0 :: v_dual_add_nc_u32 v1, s5, v1
	ds_store_b32 v2, v1
.LBB740_4:
	s_or_b32 exec_lo, exec_lo, s4
	v_mov_b32_e32 v3, 0
	s_clause 0x1
	s_load_b32 s4, s[0:1], 0x58
	s_load_b128 s[28:31], s[0:1], 0x60
	s_wait_dscnt 0x0
	s_barrier_signal -1
	s_barrier_wait -1
	ds_load_b32 v2, v3
	s_mov_b32 s5, 0
	s_wait_kmcnt 0x0
	s_lshl_b64 s[34:35], s[22:23], 3
	s_wait_dscnt 0x0
	s_add_nc_u64 s[6:7], s[20:21], s[34:35]
	s_add_nc_u64 s[8:9], s[24:25], s[34:35]
	s_barrier_signal -1
	s_barrier_wait -1
	s_barrier_signal -1
	s_barrier_wait -1
	s_mul_u64 s[0:1], s[46:47], s[4:5]
	s_add_nc_u64 s[10:11], s[28:29], -1
	s_delay_alu instid0(SALU_CYCLE_1)
	s_mul_i32 s33, s10, 0xfffff200
	v_add_nc_u64_e32 v[4:5], s[0:1], v[2:3]
	v_readfirstlane_b32 s43, v2
	s_mul_i32 s4, s43, 0xe00
	v_cmp_le_u64_e64 s0, s[10:11], v[4:5]
	s_lshl_b64 s[28:29], s[4:5], 3
	s_delay_alu instid0(SALU_CYCLE_1)
	s_add_nc_u64 s[20:21], s[6:7], s[28:29]
	s_add_nc_u64 s[18:19], s[8:9], s[28:29]
	s_and_b32 vcc_lo, exec_lo, s0
	s_cbranch_vccz .LBB740_80
; %bb.5:
	flat_load_b64 v[2:3], v3, s[20:21]
	s_add_co_i32 s24, s33, s42
	s_delay_alu instid0(SALU_CYCLE_1)
	v_cmp_gt_u32_e32 vcc_lo, s24, v0
	s_wait_loadcnt_dscnt 0x0
	v_mov_b64_e32 v[4:5], v[2:3]
	s_and_saveexec_b32 s1, vcc_lo
	s_cbranch_execz .LBB740_7
; %bb.6:
	flat_load_b64 v[4:5], v0, s[20:21] scale_offset
.LBB740_7:
	s_wait_xcnt 0x0
	s_or_b32 exec_lo, exec_lo, s1
	v_or_b32_e32 v1, 0x100, v0
	v_mov_b64_e32 v[6:7], v[2:3]
	s_delay_alu instid0(VALU_DEP_2)
	v_cmp_gt_u32_e64 s1, s24, v1
	s_and_saveexec_b32 s4, s1
	s_cbranch_execz .LBB740_9
; %bb.8:
	flat_load_b64 v[6:7], v0, s[20:21] offset:2048 scale_offset
.LBB740_9:
	s_wait_xcnt 0x0
	s_or_b32 exec_lo, exec_lo, s4
	v_or_b32_e32 v1, 0x200, v0
	v_mov_b64_e32 v[8:9], v[2:3]
	s_delay_alu instid0(VALU_DEP_2)
	v_cmp_gt_u32_e64 s4, s24, v1
	s_and_saveexec_b32 s5, s4
	s_cbranch_execz .LBB740_11
; %bb.10:
	flat_load_b64 v[8:9], v0, s[20:21] offset:4096 scale_offset
.LBB740_11:
	;; [unrolled: 11-line block ×12, first 2 shown]
	s_wait_xcnt 0x0
	s_or_b32 exec_lo, exec_lo, s15
	v_or_b32_e32 v1, 0xd00, v0
	s_delay_alu instid0(VALU_DEP_1) | instskip(SKIP_2) | instid1(SALU_CYCLE_1)
	v_cmp_gt_u32_e64 s15, s24, v1
	v_cmp_le_u32_e64 s16, s24, v1
	s_and_saveexec_b32 s17, s16
	s_xor_b32 s16, exec_lo, s17
	s_delay_alu instid0(SALU_CYCLE_1)
	s_and_not1_saveexec_b32 s16, s16
	s_cbranch_execz .LBB740_33
; %bb.32:
	flat_load_b64 v[2:3], v0, s[20:21] offset:26624 scale_offset
.LBB740_33:
	s_wait_xcnt 0x0
	s_or_b32 exec_lo, exec_lo, s16
	v_lshlrev_b32_e32 v1, 3, v0
	s_mov_b32 s17, exec_lo
	s_wait_loadcnt_dscnt 0x0
	ds_store_2addr_stride64_b64 v1, v[4:5], v[6:7] offset1:4
	ds_store_2addr_stride64_b64 v1, v[8:9], v[10:11] offset0:8 offset1:12
	ds_store_2addr_stride64_b64 v1, v[12:13], v[14:15] offset0:16 offset1:20
	;; [unrolled: 1-line block ×6, first 2 shown]
	v_mov_b32_e32 v2, 0
	s_wait_dscnt 0x0
	s_barrier_signal -1
	s_barrier_wait -1
	flat_load_b64 v[56:57], v2, s[20:21]
	v_mad_u32_u24 v102, 0x68, v0, v1
	ds_load_b128 v[26:29], v102
	ds_load_b128 v[22:25], v102 offset:16
	ds_load_b128 v[18:21], v102 offset:32
	;; [unrolled: 1-line block ×5, first 2 shown]
	s_wait_xcnt 0x0
	ds_load_b128 v[2:5], v102 offset:96
	v_mad_i32_i24 v30, 0xffffff98, v0, v102
	s_wait_dscnt 0x6
	ds_store_b64 v30, v[26:27] offset:30720
	s_wait_loadcnt_dscnt 0x0
	s_barrier_signal -1
	s_barrier_wait -1
	v_cmpx_ne_u32_e32 0xff, v0
; %bb.34:
	v_mul_i32_i24_e32 v26, 0xffffff98, v0
	s_delay_alu instid0(VALU_DEP_1)
	v_add_nc_u32_e32 v26, v102, v26
	ds_load_b64 v[56:57], v26 offset:30728
; %bb.35:
	s_or_b32 exec_lo, exec_lo, s17
	s_wait_dscnt 0x0
	s_barrier_signal -1
	s_barrier_wait -1
                                        ; implicit-def: $vgpr26_vgpr27
	s_and_saveexec_b32 s16, vcc_lo
	s_cbranch_execz .LBB740_138
; %bb.36:
	flat_load_b64 v[26:27], v0, s[18:19] scale_offset
	s_wait_xcnt 0x0
	s_or_b32 exec_lo, exec_lo, s16
                                        ; implicit-def: $vgpr30_vgpr31
	s_and_saveexec_b32 s16, s1
	s_cbranch_execnz .LBB740_139
.LBB740_37:
	s_or_b32 exec_lo, exec_lo, s16
                                        ; implicit-def: $vgpr32_vgpr33
	s_and_saveexec_b32 s1, s4
	s_cbranch_execz .LBB740_140
.LBB740_38:
	flat_load_b64 v[32:33], v0, s[18:19] offset:4096 scale_offset
	s_wait_xcnt 0x0
	s_or_b32 exec_lo, exec_lo, s1
                                        ; implicit-def: $vgpr34_vgpr35
	s_and_saveexec_b32 s1, s5
	s_cbranch_execnz .LBB740_141
.LBB740_39:
	s_or_b32 exec_lo, exec_lo, s1
                                        ; implicit-def: $vgpr36_vgpr37
	s_and_saveexec_b32 s1, s6
	s_cbranch_execz .LBB740_142
.LBB740_40:
	flat_load_b64 v[36:37], v0, s[18:19] offset:8192 scale_offset
	s_wait_xcnt 0x0
	s_or_b32 exec_lo, exec_lo, s1
                                        ; implicit-def: $vgpr38_vgpr39
	s_and_saveexec_b32 s1, s7
	s_cbranch_execnz .LBB740_143
.LBB740_41:
	s_or_b32 exec_lo, exec_lo, s1
                                        ; implicit-def: $vgpr40_vgpr41
	s_and_saveexec_b32 s1, s8
	s_cbranch_execz .LBB740_144
.LBB740_42:
	flat_load_b64 v[40:41], v0, s[18:19] offset:12288 scale_offset
	s_wait_xcnt 0x0
	s_or_b32 exec_lo, exec_lo, s1
                                        ; implicit-def: $vgpr42_vgpr43
	s_and_saveexec_b32 s1, s9
	s_cbranch_execnz .LBB740_145
.LBB740_43:
	s_or_b32 exec_lo, exec_lo, s1
                                        ; implicit-def: $vgpr44_vgpr45
	s_and_saveexec_b32 s1, s10
	s_cbranch_execz .LBB740_146
.LBB740_44:
	flat_load_b64 v[44:45], v0, s[18:19] offset:16384 scale_offset
	s_wait_xcnt 0x0
	s_or_b32 exec_lo, exec_lo, s1
                                        ; implicit-def: $vgpr46_vgpr47
	s_and_saveexec_b32 s1, s11
	s_cbranch_execnz .LBB740_147
.LBB740_45:
	s_or_b32 exec_lo, exec_lo, s1
                                        ; implicit-def: $vgpr48_vgpr49
	s_and_saveexec_b32 s1, s12
	s_cbranch_execz .LBB740_148
.LBB740_46:
	flat_load_b64 v[48:49], v0, s[18:19] offset:20480 scale_offset
	s_wait_xcnt 0x0
	s_or_b32 exec_lo, exec_lo, s1
                                        ; implicit-def: $vgpr50_vgpr51
	s_and_saveexec_b32 s1, s13
	s_cbranch_execnz .LBB740_149
.LBB740_47:
	s_or_b32 exec_lo, exec_lo, s1
                                        ; implicit-def: $vgpr52_vgpr53
	s_and_saveexec_b32 s1, s14
	s_cbranch_execz .LBB740_49
.LBB740_48:
	flat_load_b64 v[52:53], v0, s[18:19] offset:24576 scale_offset
.LBB740_49:
	s_wait_xcnt 0x0
	s_or_b32 exec_lo, exec_lo, s1
	v_mul_u32_u24_e32 v107, 14, v0
                                        ; implicit-def: $vgpr54_vgpr55
	s_and_saveexec_b32 s1, s15
	s_cbranch_execz .LBB740_51
; %bb.50:
	flat_load_b64 v[54:55], v0, s[18:19] offset:26624 scale_offset
.LBB740_51:
	s_wait_xcnt 0x0
	s_or_b32 exec_lo, exec_lo, s1
	s_wait_loadcnt_dscnt 0x0
	ds_store_2addr_stride64_b64 v1, v[26:27], v[30:31] offset1:4
	ds_store_2addr_stride64_b64 v1, v[32:33], v[34:35] offset0:8 offset1:12
	ds_store_2addr_stride64_b64 v1, v[36:37], v[38:39] offset0:16 offset1:20
	;; [unrolled: 1-line block ×6, first 2 shown]
	v_mov_b64_e32 v[62:63], 0
	v_mov_b64_e32 v[80:81], 0
	;; [unrolled: 1-line block ×27, first 2 shown]
	v_cmp_gt_u32_e32 vcc_lo, s24, v107
	v_dual_mov_b32 v84, 0 :: v_dual_mov_b32 v85, 0
	v_dual_mov_b32 v86, 0 :: v_dual_mov_b32 v87, 0
	;; [unrolled: 1-line block ×13, first 2 shown]
	s_mov_b32 s16, 0
	s_mov_b32 s5, 0
	s_wait_dscnt 0x0
	s_barrier_signal -1
	s_barrier_wait -1
                                        ; implicit-def: $sgpr22
	s_and_saveexec_b32 s17, vcc_lo
	s_cbranch_execz .LBB740_79
; %bb.52:
	ds_load_b64 v[26:27], v102
	v_cmp_ne_u64_e32 vcc_lo, 0, v[28:29]
	v_dual_mov_b32 v84, 0 :: v_dual_bitop2_b32 v1, 1, v107 bitop3:0x54
	v_mov_b64_e32 v[62:63], 0
	v_mov_b64_e32 v[80:81], 0
	;; [unrolled: 1-line block ×16, first 2 shown]
	s_wait_dscnt 0x0
	v_cndmask_b32_e64 v61, v27, s45, vcc_lo
	v_cndmask_b32_e64 v60, v26, s44, vcc_lo
	v_mov_b64_e32 v[26:27], 0
	v_mov_b64_e32 v[38:39], 0
	;; [unrolled: 1-line block ×9, first 2 shown]
	v_dual_mov_b32 v85, 0 :: v_dual_mov_b32 v86, 0
	v_dual_mov_b32 v87, 0 :: v_dual_mov_b32 v88, 0
	;; [unrolled: 1-line block ×4, first 2 shown]
	v_cmp_gt_u32_e64 s1, s24, v1
	v_dual_mov_b32 v100, 0 :: v_dual_mov_b32 v103, 0
	v_dual_mov_b32 v106, 0 :: v_dual_mov_b32 v90, 0
	;; [unrolled: 1-line block ×7, first 2 shown]
	v_mov_b32_e32 v110, 0
	s_mov_b32 s4, 0
                                        ; implicit-def: $sgpr22
	s_and_saveexec_b32 s23, s1
	s_cbranch_execz .LBB740_78
; %bb.53:
	ds_load_2addr_b64 v[26:29], v102 offset0:1 offset1:2
	v_cmp_ne_u64_e64 s1, 0, v[22:23]
	v_dual_mov_b32 v84, 0 :: v_dual_add_nc_u32 v1, 2, v107
	v_mov_b64_e32 v[62:63], 0
	v_mov_b64_e32 v[80:81], 0
	;; [unrolled: 1-line block ×23, first 2 shown]
	v_dual_mov_b32 v85, 0 :: v_dual_mov_b32 v86, 0
	v_dual_mov_b32 v87, 0 :: v_dual_mov_b32 v88, 0
	;; [unrolled: 1-line block ×4, first 2 shown]
	v_cmp_gt_u32_e64 s4, s24, v1
	s_wait_dscnt 0x0
	v_cndmask_b32_e64 v27, v27, s45, s1
	v_cndmask_b32_e64 v26, v26, s44, s1
	v_dual_mov_b32 v100, 0 :: v_dual_mov_b32 v103, 0
	v_dual_mov_b32 v90, 0 :: v_dual_mov_b32 v89, 0
	;; [unrolled: 1-line block ×6, first 2 shown]
	v_mov_b32_e32 v108, 0
                                        ; implicit-def: $sgpr22
	s_and_saveexec_b32 s25, s4
	s_cbranch_execz .LBB740_77
; %bb.54:
	v_cmp_ne_u64_e64 s4, 0, v[24:25]
	v_dual_mov_b32 v84, 0 :: v_dual_add_nc_u32 v1, 3, v107
	v_mov_b64_e32 v[62:63], 0
	v_mov_b64_e32 v[80:81], 0
	;; [unrolled: 1-line block ×21, first 2 shown]
	v_cndmask_b32_e64 v65, v29, s45, s4
	v_dual_mov_b32 v85, 0 :: v_dual_mov_b32 v86, 0
	v_cmp_gt_u32_e64 s5, s24, v1
	v_cndmask_b32_e64 v64, v28, s44, s4
	v_dual_mov_b32 v87, 0 :: v_dual_mov_b32 v88, 0
	v_dual_mov_b32 v91, 0 :: v_dual_mov_b32 v93, 0
	;; [unrolled: 1-line block ×8, first 2 shown]
	v_mov_b32_e32 v105, 0
	s_mov_b32 s6, 0
                                        ; implicit-def: $sgpr22
	s_and_saveexec_b32 s48, s5
	s_cbranch_execz .LBB740_76
; %bb.55:
	ds_load_2addr_b64 v[22:25], v102 offset0:3 offset1:4
	v_cmp_ne_u64_e64 s5, 0, v[18:19]
	v_dual_mov_b32 v84, 0 :: v_dual_add_nc_u32 v1, 4, v107
	v_mov_b64_e32 v[62:63], 0
	v_mov_b64_e32 v[80:81], 0
	;; [unrolled: 1-line block ×19, first 2 shown]
	v_dual_mov_b32 v85, 0 :: v_dual_mov_b32 v86, 0
	v_dual_mov_b32 v87, 0 :: v_dual_mov_b32 v88, 0
	v_dual_mov_b32 v91, 0 :: v_dual_mov_b32 v93, 0
	v_dual_mov_b32 v96, 0 :: v_dual_mov_b32 v98, 0
	v_cmp_gt_u32_e64 s6, s24, v1
	s_wait_dscnt 0x0
	v_cndmask_b32_e64 v67, v23, s45, s5
	v_cndmask_b32_e64 v66, v22, s44, s5
	v_dual_mov_b32 v90, 0 :: v_dual_mov_b32 v89, 0
	v_dual_mov_b32 v92, 0 :: v_dual_mov_b32 v94, 0
	v_dual_mov_b32 v95, 0 :: v_dual_mov_b32 v97, 0
	v_dual_mov_b32 v99, 0 :: v_dual_mov_b32 v101, 0
	v_mov_b32_e32 v104, 0
	s_mov_b32 s7, 0
                                        ; implicit-def: $sgpr22
	s_and_saveexec_b32 s49, s6
	s_cbranch_execz .LBB740_75
; %bb.56:
	v_cmp_ne_u64_e64 s6, 0, v[20:21]
	v_dual_mov_b32 v84, 0 :: v_dual_add_nc_u32 v1, 5, v107
	v_mov_b64_e32 v[62:63], 0
	v_mov_b64_e32 v[80:81], 0
	;; [unrolled: 1-line block ×17, first 2 shown]
	v_cndmask_b32_e64 v69, v25, s45, s6
	v_dual_mov_b32 v85, 0 :: v_dual_mov_b32 v86, 0
	v_cmp_gt_u32_e64 s7, s24, v1
	v_cndmask_b32_e64 v68, v24, s44, s6
	v_dual_mov_b32 v87, 0 :: v_dual_mov_b32 v88, 0
	v_dual_mov_b32 v91, 0 :: v_dual_mov_b32 v93, 0
	;; [unrolled: 1-line block ×6, first 2 shown]
	v_mov_b32_e32 v101, 0
	s_mov_b32 s8, 0
                                        ; implicit-def: $sgpr22
	s_and_saveexec_b32 s50, s7
	s_cbranch_execz .LBB740_74
; %bb.57:
	ds_load_2addr_b64 v[18:21], v102 offset0:5 offset1:6
	v_cmp_ne_u64_e64 s7, 0, v[14:15]
	v_mov_b64_e32 v[62:63], 0
	v_mov_b64_e32 v[80:81], 0
	;; [unrolled: 1-line block ×15, first 2 shown]
	v_dual_mov_b32 v84, 0 :: v_dual_add_nc_u32 v1, 6, v107
	v_dual_mov_b32 v85, 0 :: v_dual_mov_b32 v86, 0
	v_dual_mov_b32 v87, 0 :: v_dual_mov_b32 v88, 0
	;; [unrolled: 1-line block ×3, first 2 shown]
	s_wait_dscnt 0x0
	v_cndmask_b32_e64 v73, v19, s45, s7
	v_cndmask_b32_e64 v72, v18, s44, s7
	v_dual_mov_b32 v90, 0 :: v_dual_mov_b32 v89, 0
	v_dual_mov_b32 v92, 0 :: v_dual_mov_b32 v94, 0
	;; [unrolled: 1-line block ×3, first 2 shown]
	v_mov_b32_e32 v99, 0
	s_mov_b32 s9, 0
	s_mov_b32 s51, exec_lo
                                        ; implicit-def: $sgpr22
	v_cmpx_gt_u32_e64 s24, v1
	s_cbranch_execz .LBB740_73
; %bb.58:
	v_cmp_ne_u64_e64 s8, 0, v[16:17]
	v_dual_mov_b32 v84, 0 :: v_dual_add_nc_u32 v1, 7, v107
	v_mov_b64_e32 v[62:63], 0
	v_mov_b64_e32 v[80:81], 0
	;; [unrolled: 1-line block ×13, first 2 shown]
	v_cndmask_b32_e64 v71, v21, s45, s8
	v_dual_mov_b32 v85, 0 :: v_dual_mov_b32 v86, 0
	v_cmp_gt_u32_e64 s9, s24, v1
	v_cndmask_b32_e64 v70, v20, s44, s8
	v_dual_mov_b32 v87, 0 :: v_dual_mov_b32 v88, 0
	v_dual_mov_b32 v91, 0 :: v_dual_mov_b32 v90, 0
	v_dual_mov_b32 v89, 0 :: v_dual_mov_b32 v92, 0
	v_dual_mov_b32 v94, 0 :: v_dual_mov_b32 v95, 0
	v_mov_b32_e32 v97, 0
	s_mov_b32 s10, 0
                                        ; implicit-def: $sgpr22
	s_and_saveexec_b32 s52, s9
	s_cbranch_execz .LBB740_72
; %bb.59:
	ds_load_2addr_b64 v[14:17], v102 offset0:7 offset1:8
	v_cmp_ne_u64_e64 s9, 0, v[10:11]
	v_mov_b64_e32 v[62:63], 0
	v_mov_b64_e32 v[80:81], 0
	;; [unrolled: 1-line block ×11, first 2 shown]
	v_dual_mov_b32 v84, 0 :: v_dual_add_nc_u32 v1, 8, v107
	v_dual_mov_b32 v85, 0 :: v_dual_mov_b32 v86, 0
	v_dual_mov_b32 v87, 0 :: v_dual_mov_b32 v88, 0
	;; [unrolled: 1-line block ×3, first 2 shown]
	s_wait_dscnt 0x0
	v_cndmask_b32_e64 v79, v15, s45, s9
	v_cndmask_b32_e64 v78, v14, s44, s9
	v_dual_mov_b32 v92, 0 :: v_dual_mov_b32 v94, 0
	v_mov_b32_e32 v95, 0
	s_mov_b32 s11, 0
	s_mov_b32 s53, exec_lo
                                        ; implicit-def: $sgpr22
	v_cmpx_gt_u32_e64 s24, v1
	s_cbranch_execz .LBB740_71
; %bb.60:
	v_cmp_ne_u64_e64 s10, 0, v[12:13]
	v_mov_b64_e32 v[62:63], 0
	v_mov_b64_e32 v[80:81], 0
	;; [unrolled: 1-line block ×9, first 2 shown]
	v_dual_mov_b32 v84, 0 :: v_dual_add_nc_u32 v1, 9, v107
	v_cndmask_b32_e64 v75, v17, s45, s10
	v_dual_mov_b32 v85, 0 :: v_dual_mov_b32 v86, 0
	v_cndmask_b32_e64 v74, v16, s44, s10
	v_dual_mov_b32 v87, 0 :: v_dual_mov_b32 v90, 0
	v_dual_mov_b32 v89, 0 :: v_dual_mov_b32 v92, 0
	v_mov_b32_e32 v94, 0
	s_mov_b32 s12, 0
	s_mov_b32 s54, exec_lo
                                        ; implicit-def: $sgpr22
	v_cmpx_gt_u32_e64 s24, v1
	s_cbranch_execz .LBB740_70
; %bb.61:
	ds_load_2addr_b64 v[10:13], v102 offset0:9 offset1:10
	v_cmp_ne_u64_e64 s11, 0, v[6:7]
	v_mov_b64_e32 v[62:63], 0
	v_mov_b64_e32 v[80:81], 0
	;; [unrolled: 1-line block ×7, first 2 shown]
	v_dual_mov_b32 v84, 0 :: v_dual_add_nc_u32 v1, 10, v107
	v_dual_mov_b32 v85, 0 :: v_dual_mov_b32 v86, 0
	v_dual_mov_b32 v90, 0 :: v_dual_mov_b32 v89, 0
	v_mov_b32_e32 v92, 0
	s_mov_b32 s13, 0
	s_mov_b32 s55, exec_lo
                                        ; implicit-def: $sgpr22
	s_wait_dscnt 0x0
	v_cndmask_b32_e64 v83, v11, s45, s11
	v_cndmask_b32_e64 v82, v10, s44, s11
	v_cmpx_gt_u32_e64 s24, v1
	s_cbranch_execz .LBB740_69
; %bb.62:
	v_cmp_ne_u64_e64 s12, 0, v[8:9]
	v_mov_b64_e32 v[62:63], 0
	v_mov_b64_e32 v[80:81], 0
	;; [unrolled: 1-line block ×4, first 2 shown]
	v_dual_mov_b32 v84, 0 :: v_dual_add_nc_u32 v1, 11, v107
	v_cndmask_b32_e64 v77, v13, s45, s12
	v_cndmask_b32_e64 v76, v12, s44, s12
	v_dual_mov_b32 v85, 0 :: v_dual_mov_b32 v89, 0
	s_mov_b32 s14, 0
	s_mov_b32 s56, exec_lo
                                        ; implicit-def: $sgpr22
	v_cmpx_gt_u32_e64 s24, v1
	s_cbranch_execz .LBB740_68
; %bb.63:
	ds_load_2addr_b64 v[6:9], v102 offset0:11 offset1:12
	v_cmp_ne_u64_e64 s13, 0, v[2:3]
	v_mov_b64_e32 v[62:63], 0
	v_mov_b64_e32 v[42:43], 0
	v_dual_mov_b32 v84, 0 :: v_dual_add_nc_u32 v1, 12, v107
	s_mov_b32 s15, 0
	s_mov_b32 s57, exec_lo
                                        ; implicit-def: $sgpr22
	s_wait_dscnt 0x0
	v_cndmask_b32_e64 v81, v7, s45, s13
	v_cndmask_b32_e64 v80, v6, s44, s13
	v_cmpx_gt_u32_e64 s24, v1
	s_cbranch_execz .LBB740_67
; %bb.64:
	v_cmp_ne_u64_e64 s14, 0, v[4:5]
	v_add_nc_u32_e32 v1, 13, v107
	v_mov_b64_e32 v[42:43], 0
                                        ; implicit-def: $sgpr22
	s_delay_alu instid0(VALU_DEP_2) | instskip(NEXT) | instid1(VALU_DEP_4)
	v_cmp_gt_u32_e64 s15, s24, v1
	v_cndmask_b32_e64 v63, v9, s45, s14
	v_cndmask_b32_e64 v62, v8, s44, s14
	s_mov_b32 s24, 0
	s_and_saveexec_b32 s58, s15
	s_delay_alu instid0(SALU_CYCLE_1)
	s_xor_b32 s15, exec_lo, s58
	s_cbranch_execz .LBB740_66
; %bb.65:
	ds_load_b64 v[2:3], v102 offset:104
	v_cmp_ne_u64_e64 s22, 0, v[56:57]
	s_mov_b32 s24, exec_lo
	s_wait_dscnt 0x0
	v_cndmask_b32_e64 v43, v3, s45, s22
	v_cndmask_b32_e64 v42, v2, s44, s22
.LBB740_66:
	s_or_b32 exec_lo, exec_lo, s15
	v_cndmask_b32_e64 v84, 0, 1, s14
	s_and_b32 s15, s24, exec_lo
.LBB740_67:
	s_or_b32 exec_lo, exec_lo, s57
	v_cndmask_b32_e64 v85, 0, 1, s13
	v_mov_b64_e32 v[32:33], v[80:81]
	s_and_b32 s14, s15, exec_lo
	s_delay_alu instid0(VALU_DEP_2)
	v_mov_b32_e32 v89, v85
.LBB740_68:
	s_or_b32 exec_lo, exec_lo, s56
	v_cndmask_b32_e64 v86, 0, 1, s12
	v_mov_b64_e32 v[30:31], v[62:63]
	v_mov_b64_e32 v[34:35], v[76:77]
	v_mov_b32_e32 v90, v84
	s_and_b32 s13, s14, exec_lo
	v_mov_b32_e32 v92, v86
.LBB740_69:
	s_or_b32 exec_lo, exec_lo, s55
	v_cndmask_b32_e64 v87, 0, 1, s11
	v_mov_b64_e32 v[36:37], v[82:83]
	s_and_b32 s12, s13, exec_lo
	s_delay_alu instid0(VALU_DEP_2)
	v_mov_b32_e32 v94, v87
.LBB740_70:
	s_or_b32 exec_lo, exec_lo, s54
	v_cndmask_b32_e64 v88, 0, 1, s10
	v_mov_b64_e32 v[38:39], v[74:75]
	s_and_b32 s11, s12, exec_lo
	s_delay_alu instid0(VALU_DEP_2)
	v_mov_b32_e32 v95, v88
.LBB740_71:
	s_or_b32 exec_lo, exec_lo, s53
	v_cndmask_b32_e64 v91, 0, 1, s9
	v_mov_b64_e32 v[40:41], v[78:79]
	s_and_b32 s10, s11, exec_lo
	s_delay_alu instid0(VALU_DEP_2)
	v_mov_b32_e32 v97, v91
.LBB740_72:
	s_or_b32 exec_lo, exec_lo, s52
	v_cndmask_b32_e64 v93, 0, 1, s8
	v_mov_b64_e32 v[44:45], v[70:71]
	s_and_b32 s9, s10, exec_lo
	s_delay_alu instid0(VALU_DEP_2)
	v_mov_b32_e32 v99, v93
.LBB740_73:
	s_or_b32 exec_lo, exec_lo, s51
	v_cndmask_b32_e64 v96, 0, 1, s7
	v_mov_b64_e32 v[46:47], v[72:73]
	s_and_b32 s8, s9, exec_lo
	s_delay_alu instid0(VALU_DEP_2)
	v_mov_b32_e32 v101, v96
.LBB740_74:
	s_or_b32 exec_lo, exec_lo, s50
	v_cndmask_b32_e64 v98, 0, 1, s6
	v_mov_b64_e32 v[48:49], v[68:69]
	s_and_b32 s7, s8, exec_lo
	s_delay_alu instid0(VALU_DEP_2)
	v_mov_b32_e32 v104, v98
.LBB740_75:
	s_or_b32 exec_lo, exec_lo, s49
	v_cndmask_b32_e64 v100, 0, 1, s5
	v_mov_b64_e32 v[50:51], v[66:67]
	s_and_b32 s6, s7, exec_lo
	s_delay_alu instid0(VALU_DEP_2)
	v_mov_b32_e32 v105, v100
.LBB740_76:
	s_or_b32 exec_lo, exec_lo, s48
	v_cndmask_b32_e64 v103, 0, 1, s4
	v_mov_b64_e32 v[52:53], v[64:65]
	s_and_b32 s5, s6, exec_lo
	s_delay_alu instid0(VALU_DEP_2)
	v_mov_b32_e32 v108, v103
.LBB740_77:
	s_or_b32 exec_lo, exec_lo, s25
	v_cndmask_b32_e64 v106, 0, 1, s1
	v_mov_b64_e32 v[54:55], v[26:27]
	s_and_b32 s4, s5, exec_lo
	s_delay_alu instid0(VALU_DEP_2)
	v_mov_b32_e32 v110, v106
.LBB740_78:
	s_or_b32 exec_lo, exec_lo, s23
	v_cndmask_b32_e64 v109, 0, 1, vcc_lo
	v_mov_b64_e32 v[58:59], v[60:61]
	s_and_b32 s5, s4, exec_lo
	s_delay_alu instid0(VALU_DEP_2)
	v_mov_b32_e32 v1, v109
.LBB740_79:
	s_or_b32 exec_lo, exec_lo, s17
	v_lshlrev_b32_e32 v56, 3, v0
	s_and_b32 vcc_lo, exec_lo, s16
	s_cbranch_vccnz .LBB740_81
	s_branch .LBB740_86
.LBB740_80:
                                        ; implicit-def: $sgpr22
                                        ; implicit-def: $vgpr84
                                        ; implicit-def: $vgpr62_vgpr63
                                        ; implicit-def: $vgpr85
                                        ; implicit-def: $vgpr80_vgpr81
                                        ; implicit-def: $vgpr86
                                        ; implicit-def: $vgpr76_vgpr77
                                        ; implicit-def: $vgpr87
                                        ; implicit-def: $vgpr82_vgpr83
                                        ; implicit-def: $vgpr88
                                        ; implicit-def: $vgpr74_vgpr75
                                        ; implicit-def: $vgpr91
                                        ; implicit-def: $vgpr78_vgpr79
                                        ; implicit-def: $vgpr93
                                        ; implicit-def: $vgpr70_vgpr71
                                        ; implicit-def: $vgpr96
                                        ; implicit-def: $vgpr72_vgpr73
                                        ; implicit-def: $vgpr98
                                        ; implicit-def: $vgpr68_vgpr69
                                        ; implicit-def: $vgpr100
                                        ; implicit-def: $vgpr66_vgpr67
                                        ; implicit-def: $vgpr103
                                        ; implicit-def: $vgpr64_vgpr65
                                        ; implicit-def: $vgpr106
                                        ; implicit-def: $vgpr26_vgpr27
                                        ; implicit-def: $vgpr109
                                        ; implicit-def: $vgpr60_vgpr61
                                        ; implicit-def: $vgpr42_vgpr43
                                        ; implicit-def: $vgpr90
                                        ; implicit-def: $vgpr30_vgpr31
                                        ; implicit-def: $vgpr89
                                        ; implicit-def: $vgpr32_vgpr33
                                        ; implicit-def: $vgpr92
                                        ; implicit-def: $vgpr34_vgpr35
                                        ; implicit-def: $vgpr94
                                        ; implicit-def: $vgpr95
                                        ; implicit-def: $vgpr97
                                        ; implicit-def: $vgpr99
                                        ; implicit-def: $vgpr101
                                        ; implicit-def: $vgpr104
                                        ; implicit-def: $vgpr105
                                        ; implicit-def: $vgpr108
                                        ; implicit-def: $vgpr110
                                        ; implicit-def: $vgpr1
                                        ; implicit-def: $vgpr36_vgpr37
                                        ; implicit-def: $vgpr38_vgpr39
                                        ; implicit-def: $vgpr40_vgpr41
                                        ; implicit-def: $vgpr44_vgpr45
                                        ; implicit-def: $vgpr46_vgpr47
                                        ; implicit-def: $vgpr48_vgpr49
                                        ; implicit-def: $vgpr50_vgpr51
                                        ; implicit-def: $vgpr52_vgpr53
                                        ; implicit-def: $vgpr54_vgpr55
                                        ; implicit-def: $vgpr58_vgpr59
	v_lshlrev_b32_e32 v56, 3, v0
	s_cbranch_execz .LBB740_86
.LBB740_81:
	s_clause 0xd
	flat_load_b64 v[2:3], v0, s[20:21] scale_offset
	flat_load_b64 v[4:5], v0, s[20:21] offset:2048 scale_offset
	flat_load_b64 v[6:7], v0, s[20:21] offset:4096 scale_offset
	flat_load_b64 v[8:9], v0, s[20:21] offset:6144 scale_offset
	flat_load_b64 v[10:11], v0, s[20:21] offset:8192 scale_offset
	flat_load_b64 v[12:13], v0, s[20:21] offset:10240 scale_offset
	flat_load_b64 v[14:15], v0, s[20:21] offset:12288 scale_offset
	flat_load_b64 v[16:17], v0, s[20:21] offset:14336 scale_offset
	flat_load_b64 v[18:19], v0, s[20:21] offset:16384 scale_offset
	flat_load_b64 v[20:21], v0, s[20:21] offset:18432 scale_offset
	flat_load_b64 v[22:23], v0, s[20:21] offset:20480 scale_offset
	flat_load_b64 v[24:25], v0, s[20:21] offset:22528 scale_offset
	flat_load_b64 v[26:27], v0, s[20:21] offset:24576 scale_offset
	flat_load_b64 v[28:29], v0, s[20:21] offset:26624 scale_offset
	v_mov_b32_e32 v1, 0
	s_mov_b32 s1, exec_lo
	s_wait_loadcnt_dscnt 0xc0c
	ds_store_2addr_stride64_b64 v56, v[2:3], v[4:5] offset1:4
	s_wait_loadcnt_dscnt 0xa0b
	ds_store_2addr_stride64_b64 v56, v[6:7], v[8:9] offset0:8 offset1:12
	s_wait_loadcnt_dscnt 0x80a
	ds_store_2addr_stride64_b64 v56, v[10:11], v[12:13] offset0:16 offset1:20
	;; [unrolled: 2-line block ×6, first 2 shown]
	s_wait_dscnt 0x0
	s_barrier_signal -1
	s_barrier_wait -1
	flat_load_b64 v[54:55], v1, s[20:21] offset:28672
	s_wait_xcnt 0x0
	v_mad_u32_u24 v1, 0x68, v0, v56
	ds_load_b128 v[48:51], v1
	ds_load_b128 v[26:29], v1 offset:16
	ds_load_b128 v[22:25], v1 offset:32
	;; [unrolled: 1-line block ×6, first 2 shown]
	v_mad_i32_i24 v14, 0xffffff98, v0, v1
	s_wait_dscnt 0x6
	ds_store_b64 v14, v[48:49] offset:30720
	s_wait_loadcnt_dscnt 0x0
	s_barrier_signal -1
	s_barrier_wait -1
	v_cmpx_ne_u32_e32 0xff, v0
; %bb.82:
	v_mul_i32_i24_e32 v14, 0xffffff98, v0
	s_delay_alu instid0(VALU_DEP_1)
	v_add_nc_u32_e32 v14, v1, v14
	ds_load_b64 v[54:55], v14 offset:30728
; %bb.83:
	s_or_b32 exec_lo, exec_lo, s1
	s_wait_dscnt 0x0
	s_barrier_signal -1
	s_barrier_wait -1
	s_clause 0xd
	flat_load_b64 v[14:15], v0, s[18:19] scale_offset
	flat_load_b64 v[16:17], v0, s[18:19] offset:2048 scale_offset
	flat_load_b64 v[30:31], v0, s[18:19] offset:4096 scale_offset
	;; [unrolled: 1-line block ×13, first 2 shown]
	v_mov_b64_e32 v[60:61], s[44:45]
	s_mov_b32 s4, exec_lo
	v_cmp_ne_u64_e32 vcc_lo, 0, v[50:51]
	s_wait_loadcnt_dscnt 0xc0c
	ds_store_2addr_stride64_b64 v56, v[14:15], v[16:17] offset1:4
	s_wait_loadcnt_dscnt 0xa0b
	ds_store_2addr_stride64_b64 v56, v[30:31], v[32:33] offset0:8 offset1:12
	s_wait_loadcnt_dscnt 0x80a
	ds_store_2addr_stride64_b64 v56, v[34:35], v[36:37] offset0:16 offset1:20
	;; [unrolled: 2-line block ×6, first 2 shown]
	s_wait_dscnt 0x0
	s_barrier_signal -1
	s_barrier_wait -1
	ds_load_2addr_b64 v[46:49], v1 offset0:1 offset1:2
	ds_load_2addr_b64 v[42:45], v1 offset0:3 offset1:4
	ds_load_2addr_b64 v[38:41], v1 offset0:5 offset1:6
	ds_load_2addr_b64 v[34:37], v1 offset0:7 offset1:8
	ds_load_2addr_b64 v[30:33], v1 offset0:9 offset1:10
	ds_load_2addr_b64 v[14:17], v1 offset0:11 offset1:12
	ds_load_b64 v[52:53], v1 offset:104
	v_cmpx_eq_u64_e32 0, v[50:51]
; %bb.84:
	ds_load_b64 v[60:61], v1
; %bb.85:
	s_or_b32 exec_lo, exec_lo, s4
	v_cndmask_b32_e64 v109, 0, 1, vcc_lo
	v_cmp_ne_u64_e32 vcc_lo, 0, v[26:27]
	v_cmp_ne_u64_e64 s1, 0, v[28:29]
	v_cmp_ne_u64_e64 s4, 0, v[22:23]
	;; [unrolled: 1-line block ×12, first 2 shown]
	s_wait_dscnt 0x6
	v_cndmask_b32_e64 v27, v47, s45, vcc_lo
	v_cndmask_b32_e64 v26, v46, s44, vcc_lo
	v_cndmask_b32_e64 v65, v49, s45, s1
	v_cndmask_b32_e64 v64, v48, s44, s1
	s_wait_dscnt 0x5
	v_cndmask_b32_e64 v67, v43, s45, s4
	v_cndmask_b32_e64 v66, v42, s44, s4
	v_cndmask_b32_e64 v69, v45, s45, s5
	v_cndmask_b32_e64 v68, v44, s44, s5
	s_wait_dscnt 0x4
	v_cndmask_b32_e64 v73, v39, s45, s6
	v_cndmask_b32_e64 v72, v38, s44, s6
	;; [unrolled: 5-line block ×5, first 2 shown]
	v_cndmask_b32_e64 v62, v16, s44, s13
	v_cndmask_b32_e64 v80, v14, s44, s12
	v_cndmask_b32_e64 v106, 0, 1, vcc_lo
	v_cndmask_b32_e64 v103, 0, 1, s1
	v_cndmask_b32_e64 v100, 0, 1, s4
	v_cndmask_b32_e64 v98, 0, 1, s5
	v_cndmask_b32_e64 v96, 0, 1, s6
	v_cndmask_b32_e64 v93, 0, 1, s7
	v_cndmask_b32_e64 v91, 0, 1, s8
	v_cndmask_b32_e64 v88, 0, 1, s9
	v_cndmask_b32_e64 v87, 0, 1, s10
	v_cndmask_b32_e64 v86, 0, 1, s11
	v_cndmask_b32_e64 v85, 0, 1, s12
	v_cndmask_b32_e64 v84, 0, 1, s13
	s_wait_dscnt 0x0
	v_cndmask_b32_e64 v43, v53, s45, s22
	v_cndmask_b32_e64 v42, v52, s44, s22
	v_mov_b64_e32 v[30:31], v[62:63]
	v_mov_b64_e32 v[32:33], v[80:81]
	;; [unrolled: 1-line block ×13, first 2 shown]
	v_dual_mov_b32 v90, v84 :: v_dual_mov_b32 v89, v85
	v_dual_mov_b32 v92, v86 :: v_dual_mov_b32 v94, v87
	;; [unrolled: 1-line block ×6, first 2 shown]
	v_mov_b32_e32 v1, v109
	s_mov_b32 s5, -1
.LBB740_86:
	v_mov_b32_e32 v57, 0
	s_and_saveexec_b32 s1, s5
	s_cbranch_execz .LBB740_88
; %bb.87:
	v_mov_b64_e32 v[58:59], v[60:61]
	v_mov_b64_e32 v[54:55], v[26:27]
	;; [unrolled: 1-line block ×13, first 2 shown]
	v_cndmask_b32_e64 v57, 0, 1, s22
	v_dual_mov_b32 v1, v109 :: v_dual_mov_b32 v110, v106
	v_dual_mov_b32 v108, v103 :: v_dual_mov_b32 v105, v100
	;; [unrolled: 1-line block ×6, first 2 shown]
	v_mov_b32_e32 v90, v84
.LBB740_88:
	s_or_b32 exec_lo, exec_lo, s1
	v_dual_lshrrev_b32 v65, 1, v0 :: v_dual_bitop2_b32 v67, 1, v1 bitop3:0x40
	v_and_b32_e32 v66, 1, v105
	v_and_b32_e32 v64, 1, v99
	;; [unrolled: 1-line block ×4, first 2 shown]
	v_cmp_eq_u32_e64 s15, 1, v67
	v_and_b32_e32 v84, 0xff, v110
	v_and_b32_e32 v83, 0xff, v108
	v_bitop3_b16 v69, v108, 0xff, v110 bitop3:0xc8
	v_and_b32_e32 v82, 0xff, v105
	v_cmp_eq_u32_e64 s16, 1, v66
	v_and_b32_e32 v81, 0xff, v104
	v_and_b32_e32 v80, 0xff, v101
	v_bitop3_b16 v70, v101, 0xff, v104 bitop3:0xc8
	v_and_b32_e32 v79, 0xff, v99
	;; [unrolled: 5-line block ×4, first 2 shown]
	v_cmp_eq_u32_e64 s20, 1, v62
	v_cmp_eq_u16_e64 s19, 0, v57
	v_and_b32_e32 v68, 1, v57
	s_cmp_lg_u32 s43, 0
	v_cmp_gt_u32_e32 vcc_lo, 32, v0
	s_barrier_signal -1
	s_barrier_wait -1
	s_cbranch_scc0 .LBB740_150
; %bb.89:
	v_cmp_eq_u16_e64 s1, 0, v84
	v_cmp_eq_u16_e64 s4, 0, v83
	;; [unrolled: 1-line block ×5, first 2 shown]
	v_dual_cndmask_b32 v3, 0, v59, s1 :: v_dual_cndmask_b32 v2, 0, v58, s1
	v_cmp_eq_u16_e64 s8, 0, v79
	v_cmp_eq_u16_e64 s9, 0, v78
	;; [unrolled: 1-line block ×4, first 2 shown]
	v_add_nc_u64_e32 v[2:3], v[2:3], v[54:55]
	v_cmp_eq_u16_e64 s12, 0, v75
	v_cmp_eq_u16_e64 s13, 0, v74
	;; [unrolled: 1-line block ×3, first 2 shown]
	v_cmp_ne_u16_e64 s23, 0, v72
	v_cmp_ne_u16_e64 s24, 0, v71
	v_cmp_eq_u32_e64 s25, 1, v68
	v_dual_cndmask_b32 v3, 0, v3, s4 :: v_dual_cndmask_b32 v2, 0, v2, s4
	v_cmp_ne_u16_e64 s22, 0, v70
	s_or_b32 s20, s23, s20
	v_cmp_ne_u16_e64 s21, 0, v69
	s_or_b32 s18, s24, s18
	v_add_nc_u64_e32 v[2:3], v[2:3], v[52:53]
	s_or_b32 s20, s25, s20
	s_or_b32 s17, s22, s17
	;; [unrolled: 1-line block ×5, first 2 shown]
	v_and_b32_e32 v4, 0x70, v65
	v_dual_cndmask_b32 v3, 0, v3, s5 :: v_dual_cndmask_b32 v2, 0, v2, s5
	s_or_b32 s16, s17, s16
	s_delay_alu instid0(SALU_CYCLE_1) | instskip(NEXT) | instid1(VALU_DEP_2)
	s_or_b32 s15, s16, s15
	v_lshl_add_u32 v4, v0, 4, v4
	s_delay_alu instid0(VALU_DEP_2) | instskip(SKIP_1) | instid1(VALU_DEP_2)
	v_add_nc_u64_e32 v[2:3], v[2:3], v[50:51]
	v_cndmask_b32_e64 v12, 0, 1, s15
	v_dual_cndmask_b32 v3, 0, v3, s6 :: v_dual_cndmask_b32 v2, 0, v2, s6
	s_delay_alu instid0(VALU_DEP_1) | instskip(NEXT) | instid1(VALU_DEP_1)
	v_add_nc_u64_e32 v[2:3], v[2:3], v[48:49]
	v_dual_cndmask_b32 v3, 0, v3, s7 :: v_dual_cndmask_b32 v2, 0, v2, s7
	s_delay_alu instid0(VALU_DEP_1) | instskip(NEXT) | instid1(VALU_DEP_1)
	v_add_nc_u64_e32 v[2:3], v[2:3], v[46:47]
	;; [unrolled: 3-line block ×9, first 2 shown]
	v_dual_cndmask_b32 v3, 0, v3, s19 :: v_dual_cndmask_b32 v2, 0, v2, s19
	s_delay_alu instid0(VALU_DEP_1)
	v_add_nc_u64_e32 v[2:3], v[2:3], v[42:43]
	ds_store_b64 v4, v[2:3]
	ds_store_b8 v4, v12 offset:8
	s_wait_dscnt 0x0
	s_barrier_signal -1
	s_barrier_wait -1
	s_and_saveexec_b32 s18, vcc_lo
	s_cbranch_execz .LBB740_101
; %bb.90:
	v_dual_lshlrev_b32 v4, 2, v0 :: v_dual_lshlrev_b32 v5, 7, v0
	s_delay_alu instid0(VALU_DEP_1) | instskip(NEXT) | instid1(VALU_DEP_1)
	v_and_b32_e32 v4, 0x3f0, v4
	v_add_nc_u32_e32 v8, v4, v5
	ds_load_u8 v10, v8 offset:24
	ds_load_b64 v[4:5], v8
	ds_load_2addr_b64 v[14:17], v8 offset0:2 offset1:4
	ds_load_u8 v11, v8 offset:40
	ds_load_b32 v9, v8 offset:8
	ds_load_u8 v13, v8 offset:56
	ds_load_u8 v22, v8 offset:72
	;; [unrolled: 1-line block ×4, first 2 shown]
	s_wait_dscnt 0x8
	v_cmp_eq_u16_e64 s15, 0, v10
	s_wait_dscnt 0x7
	s_delay_alu instid0(VALU_DEP_1)
	v_dual_cndmask_b32 v7, 0, v5, s15 :: v_dual_cndmask_b32 v6, 0, v4, s15
	s_wait_dscnt 0x5
	v_cmp_eq_u16_e64 s15, 0, v11
	ds_load_2addr_b64 v[18:21], v8 offset0:6 offset1:8
	s_wait_dscnt 0x4
	v_bitop3_b16 v10, v11, v13, v10 bitop3:0xfe
	s_wait_dscnt 0x1
	v_bitop3_b16 v11, v23, v24, v22 bitop3:0xfe
	v_add_nc_u64_e32 v[6:7], v[6:7], v[14:15]
	s_delay_alu instid0(VALU_DEP_1) | instskip(SKIP_1) | instid1(VALU_DEP_2)
	v_dual_cndmask_b32 v7, 0, v7, s15 :: v_dual_cndmask_b32 v6, 0, v6, s15
	v_cmp_eq_u16_e64 s15, 0, v13
	v_add_nc_u64_e32 v[6:7], v[6:7], v[16:17]
	s_delay_alu instid0(VALU_DEP_1) | instskip(SKIP_2) | instid1(VALU_DEP_2)
	v_dual_cndmask_b32 v7, 0, v7, s15 :: v_dual_cndmask_b32 v6, 0, v6, s15
	v_cmp_eq_u16_e64 s15, 0, v22
	s_wait_dscnt 0x0
	v_add_nc_u64_e32 v[6:7], v[6:7], v[18:19]
	ds_load_2addr_b64 v[14:17], v8 offset0:10 offset1:12
	ds_load_u8 v18, v8 offset:120
	v_dual_cndmask_b32 v7, 0, v7, s15 :: v_dual_cndmask_b32 v6, 0, v6, s15
	v_cmp_eq_u16_e64 s15, 0, v23
	s_delay_alu instid0(VALU_DEP_2) | instskip(NEXT) | instid1(VALU_DEP_1)
	v_add_nc_u64_e32 v[6:7], v[6:7], v[20:21]
	v_dual_cndmask_b32 v7, 0, v7, s15 :: v_dual_cndmask_b32 v6, 0, v6, s15
	s_wait_dscnt 0x0
	v_bitop3_b16 v10, v18, v10, v11 bitop3:0xfe
	v_and_b32_e32 v11, 1, v9
	v_cmp_eq_u16_e64 s15, 0, v24
	v_cmp_eq_u16_e64 s17, 0, v18
	v_add_nc_u64_e32 v[6:7], v[6:7], v[14:15]
	ds_load_b64 v[14:15], v8 offset:112
	v_dual_cndmask_b32 v7, 0, v7, s15 :: v_dual_bitop2_b32 v10, 1, v10 bitop3:0x40
	v_cndmask_b32_e64 v6, 0, v6, s15
	v_cmp_eq_u32_e64 s15, 1, v11
	s_delay_alu instid0(VALU_DEP_3) | instskip(SKIP_4) | instid1(SALU_CYCLE_1)
	v_cmp_eq_u32_e64 s16, 1, v10
	v_and_b32_e32 v10, 0xffffff00, v9
	v_mbcnt_lo_u32_b32 v11, -1, 0
	v_add_nc_u64_e32 v[6:7], v[6:7], v[16:17]
	s_or_b32 s16, s16, s15
	v_cndmask_b32_e64 v16, 0, 1, s16
	v_cndmask_b32_e64 v13, 0, 1, s16
	s_delay_alu instid0(VALU_DEP_3) | instskip(SKIP_2) | instid1(VALU_DEP_1)
	v_dual_cndmask_b32 v7, 0, v7, s17 :: v_dual_cndmask_b32 v6, 0, v6, s17
	s_mov_b32 s17, exec_lo
	s_wait_dscnt 0x0
	v_add_nc_u64_e32 v[6:7], v[6:7], v[14:15]
	v_or_b32_e32 v15, v10, v16
	v_and_b32_e32 v14, 15, v11
	s_delay_alu instid0(VALU_DEP_2) | instskip(NEXT) | instid1(VALU_DEP_4)
	v_mov_b32_dpp v17, v15 row_shr:1 row_mask:0xf bank_mask:0xf
	v_mov_b32_dpp v16, v6 row_shr:1 row_mask:0xf bank_mask:0xf
	;; [unrolled: 1-line block ×3, first 2 shown]
	s_delay_alu instid0(VALU_DEP_4)
	v_cmpx_ne_u32_e32 0, v14
; %bb.91:
	s_delay_alu instid0(VALU_DEP_4) | instskip(NEXT) | instid1(VALU_DEP_3)
	v_bitop3_b16 v13, v17, v13, 1 bitop3:0xec
	v_cndmask_b32_e64 v17, v18, 0, s16
	v_cndmask_b32_e64 v16, v16, 0, s16
	s_delay_alu instid0(VALU_DEP_3) | instskip(NEXT) | instid1(VALU_DEP_2)
	v_and_b32_e32 v15, 0xffff, v13
	v_add_nc_u64_e32 v[6:7], v[16:17], v[6:7]
	s_delay_alu instid0(VALU_DEP_2)
	v_or_b32_e32 v15, v10, v15
; %bb.92:
	s_or_b32 exec_lo, exec_lo, s17
	s_delay_alu instid0(VALU_DEP_2) | instskip(NEXT) | instid1(VALU_DEP_3)
	v_mov_b32_dpp v16, v6 row_shr:2 row_mask:0xf bank_mask:0xf
	v_mov_b32_dpp v17, v7 row_shr:2 row_mask:0xf bank_mask:0xf
	s_delay_alu instid0(VALU_DEP_3)
	v_mov_b32_dpp v18, v15 row_shr:2 row_mask:0xf bank_mask:0xf
	s_mov_b32 s19, exec_lo
	v_cmpx_lt_u32_e32 1, v14
	s_cbranch_execz .LBB740_94
; %bb.93:
	v_cmp_eq_u16_e64 s15, 0, v13
	v_and_b32_e32 v15, 1, v13
	s_delay_alu instid0(VALU_DEP_2) | instskip(SKIP_1) | instid1(VALU_DEP_3)
	v_dual_cndmask_b32 v17, 0, v17, s15 :: v_dual_bitop2_b32 v18, 1, v18 bitop3:0x40
	v_cndmask_b32_e64 v16, 0, v16, s15
	v_cmp_eq_u32_e64 s16, 1, v15
	s_delay_alu instid0(VALU_DEP_3) | instskip(NEXT) | instid1(VALU_DEP_3)
	v_cmp_eq_u32_e64 s17, 1, v18
	v_add_nc_u64_e32 v[6:7], v[16:17], v[6:7]
	s_or_b32 s15, s16, s17
	s_delay_alu instid0(SALU_CYCLE_1) | instskip(SKIP_1) | instid1(VALU_DEP_2)
	v_cndmask_b32_e64 v15, 0, 1, s15
	v_cndmask_b32_e64 v13, 0, 1, s15
	v_or_b32_e32 v15, v10, v15
.LBB740_94:
	s_or_b32 exec_lo, exec_lo, s19
	s_delay_alu instid0(VALU_DEP_4) | instskip(SKIP_1) | instid1(VALU_DEP_3)
	v_mov_b32_dpp v16, v6 row_shr:4 row_mask:0xf bank_mask:0xf
	v_mov_b32_dpp v17, v7 row_shr:4 row_mask:0xf bank_mask:0xf
	;; [unrolled: 1-line block ×3, first 2 shown]
	s_mov_b32 s19, exec_lo
	v_cmpx_lt_u32_e32 3, v14
	s_cbranch_execz .LBB740_96
; %bb.95:
	v_cmp_eq_u16_e64 s15, 0, v13
	v_and_b32_e32 v15, 1, v13
	s_delay_alu instid0(VALU_DEP_2) | instskip(SKIP_1) | instid1(VALU_DEP_3)
	v_dual_cndmask_b32 v17, 0, v17, s15 :: v_dual_bitop2_b32 v18, 1, v18 bitop3:0x40
	v_cndmask_b32_e64 v16, 0, v16, s15
	v_cmp_eq_u32_e64 s16, 1, v15
	s_delay_alu instid0(VALU_DEP_3) | instskip(NEXT) | instid1(VALU_DEP_3)
	v_cmp_eq_u32_e64 s17, 1, v18
	v_add_nc_u64_e32 v[6:7], v[16:17], v[6:7]
	s_or_b32 s15, s16, s17
	s_delay_alu instid0(SALU_CYCLE_1) | instskip(SKIP_1) | instid1(VALU_DEP_2)
	v_cndmask_b32_e64 v15, 0, 1, s15
	v_cndmask_b32_e64 v13, 0, 1, s15
	v_or_b32_e32 v15, v10, v15
.LBB740_96:
	s_or_b32 exec_lo, exec_lo, s19
	s_delay_alu instid0(VALU_DEP_4) | instskip(SKIP_1) | instid1(VALU_DEP_3)
	v_mov_b32_dpp v16, v6 row_shr:8 row_mask:0xf bank_mask:0xf
	v_mov_b32_dpp v17, v7 row_shr:8 row_mask:0xf bank_mask:0xf
	;; [unrolled: 1-line block ×3, first 2 shown]
	s_mov_b32 s19, exec_lo
	v_cmpx_lt_u32_e32 7, v14
	s_cbranch_execz .LBB740_98
; %bb.97:
	v_and_b32_e32 v14, 1, v13
	v_cmp_eq_u16_e64 s15, 0, v13
	v_and_b32_e32 v15, 1, v18
	s_delay_alu instid0(VALU_DEP_3) | instskip(NEXT) | instid1(VALU_DEP_3)
	v_cmp_eq_u32_e64 s16, 1, v14
	v_cndmask_b32_e64 v14, 0, v16, s15
	s_delay_alu instid0(VALU_DEP_3) | instskip(SKIP_2) | instid1(VALU_DEP_1)
	v_cmp_eq_u32_e64 s17, 1, v15
	v_cndmask_b32_e64 v15, 0, v17, s15
	s_or_b32 s15, s16, s17
	v_add_nc_u64_e32 v[6:7], v[14:15], v[6:7]
	v_cndmask_b32_e64 v16, 0, 1, s15
	v_cndmask_b32_e64 v13, 0, 1, s15
	s_delay_alu instid0(VALU_DEP_2)
	v_or_b32_e32 v15, v10, v16
.LBB740_98:
	s_or_b32 exec_lo, exec_lo, s19
	ds_swizzle_b32 v14, v6 offset:swizzle(BROADCAST,32,15)
	ds_swizzle_b32 v16, v7 offset:swizzle(BROADCAST,32,15)
	;; [unrolled: 1-line block ×3, first 2 shown]
	v_and_b32_e32 v17, 16, v11
	s_mov_b32 s17, exec_lo
	s_delay_alu instid0(VALU_DEP_1)
	v_cmpx_ne_u32_e32 0, v17
	s_cbranch_execz .LBB740_100
; %bb.99:
	v_cmp_eq_u16_e64 s15, 0, v13
	v_and_b32_e32 v13, 1, v13
	s_wait_dscnt 0x0
	s_delay_alu instid0(VALU_DEP_2) | instskip(SKIP_1) | instid1(VALU_DEP_3)
	v_dual_cndmask_b32 v14, 0, v14, s15 :: v_dual_bitop2_b32 v17, 1, v15 bitop3:0x40
	v_cndmask_b32_e64 v15, 0, v16, s15
	v_cmp_eq_u32_e64 s15, 1, v13
	s_delay_alu instid0(VALU_DEP_3) | instskip(NEXT) | instid1(VALU_DEP_3)
	v_cmp_eq_u32_e64 s16, 1, v17
	v_add_nc_u64_e32 v[6:7], v[14:15], v[6:7]
	s_or_b32 s15, s15, s16
	s_delay_alu instid0(SALU_CYCLE_1)
	v_cndmask_b32_e64 v13, 0, 1, s15
.LBB740_100:
	s_or_b32 exec_lo, exec_lo, s17
	s_wait_dscnt 0x2
	v_add_nc_u32_e32 v14, -1, v11
	s_delay_alu instid0(VALU_DEP_2) | instskip(NEXT) | instid1(VALU_DEP_2)
	v_and_b32_e32 v13, 0xffff, v13
	; wave barrier
	v_cmp_gt_i32_e64 s15, 0, v14
	s_delay_alu instid0(VALU_DEP_1) | instskip(NEXT) | instid1(VALU_DEP_1)
	v_cndmask_b32_e64 v11, v14, v11, s15
	v_lshlrev_b32_e32 v11, 2, v11
	ds_bpermute_b32 v7, v11, v7
	ds_bpermute_b32 v6, v11, v6
	v_or_b32_e32 v10, v10, v13
	ds_bpermute_b32 v10, v11, v10
	v_and_b32_e32 v11, 0xff, v9
	s_delay_alu instid0(VALU_DEP_1) | instskip(SKIP_1) | instid1(VALU_DEP_1)
	v_cmp_eq_u32_e64 s15, 0, v11
	s_wait_dscnt 0x1
	v_dual_cndmask_b32 v7, 0, v7, s15 :: v_dual_cndmask_b32 v6, 0, v6, s15
	s_delay_alu instid0(VALU_DEP_1) | instskip(SKIP_1) | instid1(VALU_DEP_1)
	v_add_nc_u64_e32 v[4:5], v[6:7], v[4:5]
	s_wait_dscnt 0x0
	v_dual_cndmask_b32 v11, v5, v3, s2 :: v_dual_bitop2_b32 v9, v10, v9 bitop3:0x54
	s_delay_alu instid0(VALU_DEP_1) | instskip(NEXT) | instid1(VALU_DEP_1)
	v_dual_cndmask_b32 v10, v4, v2, s2 :: v_dual_bitop2_b32 v6, 1, v9 bitop3:0x40
	v_cndmask_b32_e64 v9, v6, v12, s2
	ds_store_b64 v8, v[10:11]
	ds_store_b8 v8, v9 offset:8
	; wave barrier
	ds_load_u8 v13, v8 offset:24
	ds_load_2addr_b64 v[4:7], v8 offset0:2 offset1:4
	ds_load_u8 v24, v8 offset:40
	ds_load_u8 v25, v8 offset:56
	;; [unrolled: 1-line block ×5, first 2 shown]
	ds_load_b64 v[18:19], v8 offset:112
	ds_load_u8 v29, v8 offset:120
	s_wait_dscnt 0x8
	v_and_b32_e32 v14, 0xff, v13
	s_wait_dscnt 0x5
	v_and_b32_e32 v22, 0xff, v25
	s_delay_alu instid0(VALU_DEP_2) | instskip(SKIP_3) | instid1(VALU_DEP_3)
	v_cmp_eq_u16_e64 s15, 0, v14
	v_and_b32_e32 v14, 0xff, v24
	s_wait_dscnt 0x3
	v_and_b32_e32 v60, 0xff, v27
	v_dual_cndmask_b32 v11, 0, v11, s15 :: v_dual_cndmask_b32 v10, 0, v10, s15
	s_delay_alu instid0(VALU_DEP_3) | instskip(SKIP_3) | instid1(VALU_DEP_1)
	v_cmp_eq_u16_e64 s15, 0, v14
	ds_load_2addr_b64 v[14:17], v8 offset0:6 offset1:8
	v_bitop3_b16 v61, v13, 1, v9 bitop3:0xc8
	v_add_nc_u64_e32 v[10:11], v[10:11], v[4:5]
	v_dual_cndmask_b32 v5, 0, v11, s15 :: v_dual_cndmask_b32 v4, 0, v10, s15
	v_cmp_eq_u16_e64 s15, 0, v22
	s_delay_alu instid0(VALU_DEP_2) | instskip(SKIP_1) | instid1(VALU_DEP_2)
	v_add_nc_u64_e32 v[20:21], v[4:5], v[6:7]
	v_and_b32_e32 v6, 0xff, v26
	v_dual_cndmask_b32 v5, 0, v21, s15 :: v_dual_cndmask_b32 v4, 0, v20, s15
	s_delay_alu instid0(VALU_DEP_2) | instskip(SKIP_1) | instid1(VALU_DEP_2)
	v_cmp_eq_u16_e64 s15, 0, v6
	s_wait_dscnt 0x0
	v_add_nc_u64_e32 v[14:15], v[4:5], v[14:15]
	ds_load_2addr_b64 v[4:7], v8 offset0:10 offset1:12
	v_dual_cndmask_b32 v23, 0, v15, s15 :: v_dual_cndmask_b32 v22, 0, v14, s15
	v_cmp_eq_u16_e64 s15, 0, v60
	v_and_b32_e32 v60, 0xff, v28
	s_delay_alu instid0(VALU_DEP_3) | instskip(NEXT) | instid1(VALU_DEP_1)
	v_add_nc_u64_e32 v[16:17], v[22:23], v[16:17]
	v_dual_cndmask_b32 v23, 0, v17, s15 :: v_dual_cndmask_b32 v22, 0, v16, s15
	s_delay_alu instid0(VALU_DEP_3) | instskip(SKIP_4) | instid1(VALU_DEP_3)
	v_cmp_eq_u16_e64 s15, 0, v60
	v_or_b32_e32 v60, v13, v9
	v_bitop3_b16 v9, v24, v13, v9 bitop3:0xfe
	s_wait_dscnt 0x0
	v_add_nc_u64_e32 v[4:5], v[22:23], v[4:5]
	v_bitop3_b16 v13, v25, v24, v60 bitop3:0xfe
	v_bitop3_b16 v24, v24, 1, v60 bitop3:0xc8
	;; [unrolled: 1-line block ×4, first 2 shown]
	v_dual_cndmask_b32 v23, 0, v5, s15 :: v_dual_cndmask_b32 v22, 0, v4, s15
	v_cmp_eq_u16_e64 s15, 0, v29
	s_delay_alu instid0(VALU_DEP_3) | instskip(SKIP_1) | instid1(VALU_DEP_4)
	v_bitop3_b16 v25, v28, v27, v9 bitop3:0xfe
	v_bitop3_b16 v9, v27, 1, v9 bitop3:0xc8
	v_add_nc_u64_e32 v[6:7], v[22:23], v[6:7]
	v_bitop3_b16 v22, v27, v26, v13 bitop3:0xfe
	v_bitop3_b16 v13, v26, 1, v13 bitop3:0xc8
	ds_store_2addr_b64 v8, v[10:11], v[20:21] offset0:2 offset1:4
	ds_store_2addr_b64 v8, v[14:15], v[16:17] offset0:6 offset1:8
	;; [unrolled: 1-line block ×3, first 2 shown]
	v_bitop3_b16 v26, v28, 1, v22 bitop3:0xc8
	v_dual_cndmask_b32 v23, 0, v7, s15 :: v_dual_cndmask_b32 v22, 0, v6, s15
	v_bitop3_b16 v25, v29, 1, v25 bitop3:0xc8
	s_delay_alu instid0(VALU_DEP_2)
	v_add_nc_u64_e32 v[4:5], v[22:23], v[18:19]
	ds_store_b8 v8, v61 offset:24
	ds_store_b8 v8, v24 offset:40
	;; [unrolled: 1-line block ×6, first 2 shown]
	ds_store_b64 v8, v[4:5] offset:112
	ds_store_b8 v8, v25 offset:120
.LBB740_101:
	s_or_b32 exec_lo, exec_lo, s18
	s_wait_dscnt 0x0
	s_barrier_signal -1
	s_barrier_wait -1
	s_and_saveexec_b32 s15, s3
	s_cbranch_execz .LBB740_103
; %bb.102:
	v_add_nc_u32_e32 v2, -1, v0
	s_delay_alu instid0(VALU_DEP_1) | instskip(NEXT) | instid1(VALU_DEP_1)
	v_lshrrev_b32_e32 v3, 1, v2
	v_and_b32_e32 v3, 0x7ffffff0, v3
	s_delay_alu instid0(VALU_DEP_1)
	v_lshl_add_u32 v4, v2, 4, v3
	ds_load_b64 v[2:3], v4
	ds_load_u8 v12, v4 offset:8
.LBB740_103:
	s_or_b32 exec_lo, exec_lo, s15
	s_and_saveexec_b32 s18, vcc_lo
	s_cbranch_execz .LBB740_155
; %bb.104:
	v_mov_b32_e32 v9, 0
	v_mbcnt_lo_u32_b32 v14, -1, 0
	s_mov_b32 s17, 0
	ds_load_b64 v[4:5], v9 offset:4192
	ds_load_u8 v13, v9 offset:4200
	v_cmp_eq_u32_e64 s15, 0, v14
	s_and_saveexec_b32 s19, s15
	s_cbranch_execz .LBB740_106
; %bb.105:
	s_add_co_i32 s16, s43, 32
	s_delay_alu instid0(SALU_CYCLE_1) | instskip(SKIP_1) | instid1(SALU_CYCLE_1)
	v_dual_mov_b32 v6, 1 :: v_dual_mov_b32 v7, s16
	s_lshl_b64 s[20:21], s[16:17], 4
	s_add_nc_u64 s[16:17], s[36:37], s[20:21]
	s_wait_dscnt 0x1
	global_store_b64 v9, v[4:5], s[16:17]
	s_wait_dscnt 0x0
	global_store_b8 v9, v13, s[16:17] offset:8
	global_wb scope:SCOPE_DEV
	s_wait_storecnt 0x0
	global_inv scope:SCOPE_DEV
	s_wait_xcnt 0x0
	global_store_b8 v7, v6, s[40:41] scope:SCOPE_DEV
.LBB740_106:
	s_wait_xcnt 0x0
	s_or_b32 exec_lo, exec_lo, s19
	v_xad_u32 v6, v14, -1, s43
	s_mov_b32 s16, exec_lo
	s_delay_alu instid0(VALU_DEP_1)
	v_add_nc_u32_e32 v8, 32, v6
	global_load_u8 v15, v8, s[40:41] scope:SCOPE_DEV
	s_wait_loadcnt 0x0
	v_cmpx_eq_u16_e32 0, v15
	s_cbranch_execz .LBB740_110
; %bb.107:
	v_add_nc_u64_e32 v[10:11], s[40:41], v[8:9]
	s_mov_b32 s17, 0
.LBB740_108:                            ; =>This Inner Loop Header: Depth=1
	global_load_u8 v15, v[10:11], off scope:SCOPE_DEV
	s_wait_loadcnt 0x0
	v_cmp_ne_u16_e32 vcc_lo, 0, v15
	s_or_b32 s17, vcc_lo, s17
	s_wait_xcnt 0x0
	s_and_not1_b32 exec_lo, exec_lo, s17
	s_cbranch_execnz .LBB740_108
; %bb.109:
	s_or_b32 exec_lo, exec_lo, s17
.LBB740_110:
	s_delay_alu instid0(SALU_CYCLE_1)
	s_or_b32 exec_lo, exec_lo, s16
	v_dual_mov_b32 v7, s37 :: v_dual_mov_b32 v10, s36
	v_cmp_eq_u16_e32 vcc_lo, 1, v15
	global_wb scope:SCOPE_DEV
	s_wait_storecnt_dscnt 0x0
	global_inv scope:SCOPE_DEV
	v_lshlrev_b32_e64 v17, v14, -1
	s_mov_b32 s16, exec_lo
	v_cndmask_b32_e32 v11, s39, v7, vcc_lo
	v_cndmask_b32_e32 v10, s38, v10, vcc_lo
	v_cmp_ne_u32_e32 vcc_lo, 31, v14
	v_add_co_ci_u32_e64 v7, null, 0, v14, vcc_lo
	v_cmp_eq_u16_e32 vcc_lo, 2, v15
	s_delay_alu instid0(VALU_DEP_2)
	v_lshlrev_b32_e32 v16, 2, v7
	v_lshl_add_u64 v[8:9], v[8:9], 4, v[10:11]
	s_clause 0x1
	global_load_u8 v27, v[8:9], off offset:8
	global_load_b64 v[10:11], v[8:9], off
	v_and_or_b32 v7, vcc_lo, v17, 0x80000000
	s_delay_alu instid0(VALU_DEP_1)
	v_ctz_i32_b32_e32 v7, v7
	s_wait_loadcnt 0x1
	s_wait_xcnt 0x0
	v_and_b32_e32 v8, 1, v27
	s_wait_loadcnt 0x0
	ds_bpermute_b32 v18, v16, v10
	ds_bpermute_b32 v19, v16, v11
	;; [unrolled: 1-line block ×3, first 2 shown]
	v_cmpx_lt_u32_e64 v14, v7
	s_cbranch_execz .LBB740_112
; %bb.111:
	v_and_b32_e32 v8, 0xff, v27
	s_wait_dscnt 0x0
	v_bitop3_b16 v27, v9, v27, 1 bitop3:0xec
	s_delay_alu instid0(VALU_DEP_2) | instskip(NEXT) | instid1(VALU_DEP_2)
	v_cmp_eq_u16_e32 vcc_lo, 0, v8
	v_and_b32_e32 v8, 0xff, v27
	v_dual_cndmask_b32 v19, 0, v19 :: v_dual_cndmask_b32 v18, 0, v18
	s_delay_alu instid0(VALU_DEP_1)
	v_add_nc_u64_e32 v[10:11], v[18:19], v[10:11]
.LBB740_112:
	s_or_b32 exec_lo, exec_lo, s16
	v_cmp_gt_u32_e32 vcc_lo, 30, v14
	s_wait_dscnt 0x1
	v_add_nc_u32_e32 v19, 2, v14
	s_mov_b32 s17, exec_lo
	s_wait_dscnt 0x0
	v_cndmask_b32_e64 v9, 0, 2, vcc_lo
	s_delay_alu instid0(VALU_DEP_1)
	v_add_lshl_u32 v18, v9, v14, 2
	ds_bpermute_b32 v9, v18, v10
	ds_bpermute_b32 v20, v18, v11
	ds_bpermute_b32 v21, v18, v8
	v_cmpx_le_u32_e64 v19, v7
	s_cbranch_execz .LBB740_114
; %bb.113:
	v_and_b32_e32 v8, 0xff, v27
	s_delay_alu instid0(VALU_DEP_1) | instskip(SKIP_3) | instid1(VALU_DEP_2)
	v_cmp_eq_u16_e32 vcc_lo, 0, v8
	v_and_b32_e32 v22, 1, v27
	s_wait_dscnt 0x0
	v_dual_cndmask_b32 v21, 0, v20, vcc_lo :: v_dual_bitop2_b32 v8, 1, v21 bitop3:0x40
	v_cmp_eq_u32_e64 s16, 1, v22
	v_cndmask_b32_e32 v20, 0, v9, vcc_lo
	s_delay_alu instid0(VALU_DEP_3) | instskip(NEXT) | instid1(VALU_DEP_2)
	v_cmp_eq_u32_e32 vcc_lo, 1, v8
	v_add_nc_u64_e32 v[10:11], v[20:21], v[10:11]
	s_or_b32 s16, s16, vcc_lo
	s_delay_alu instid0(SALU_CYCLE_1)
	v_cndmask_b32_e64 v27, 0, 1, s16
	v_cndmask_b32_e64 v8, 0, 1, s16
.LBB740_114:
	s_or_b32 exec_lo, exec_lo, s17
	v_cmp_gt_u32_e32 vcc_lo, 28, v14
	s_wait_dscnt 0x0
	v_add_nc_u32_e32 v21, 4, v14
	s_mov_b32 s17, exec_lo
	v_cndmask_b32_e64 v9, 0, 4, vcc_lo
	s_delay_alu instid0(VALU_DEP_1)
	v_add_lshl_u32 v20, v9, v14, 2
	ds_bpermute_b32 v9, v20, v10
	ds_bpermute_b32 v22, v20, v11
	;; [unrolled: 1-line block ×3, first 2 shown]
	v_cmpx_le_u32_e64 v21, v7
	s_cbranch_execz .LBB740_116
; %bb.115:
	v_and_b32_e32 v8, 0xff, v27
	s_delay_alu instid0(VALU_DEP_1) | instskip(SKIP_3) | instid1(VALU_DEP_2)
	v_cmp_eq_u16_e32 vcc_lo, 0, v8
	v_and_b32_e32 v24, 1, v27
	s_wait_dscnt 0x0
	v_dual_cndmask_b32 v23, 0, v22, vcc_lo :: v_dual_bitop2_b32 v8, 1, v23 bitop3:0x40
	v_cmp_eq_u32_e64 s16, 1, v24
	v_cndmask_b32_e32 v22, 0, v9, vcc_lo
	s_delay_alu instid0(VALU_DEP_3) | instskip(NEXT) | instid1(VALU_DEP_2)
	v_cmp_eq_u32_e32 vcc_lo, 1, v8
	v_add_nc_u64_e32 v[10:11], v[22:23], v[10:11]
	s_or_b32 s16, s16, vcc_lo
	s_delay_alu instid0(SALU_CYCLE_1)
	v_cndmask_b32_e64 v27, 0, 1, s16
	v_cndmask_b32_e64 v8, 0, 1, s16
.LBB740_116:
	s_or_b32 exec_lo, exec_lo, s17
	v_cmp_gt_u32_e32 vcc_lo, 24, v14
	s_wait_dscnt 0x0
	v_add_nc_u32_e32 v23, 8, v14
	s_mov_b32 s17, exec_lo
	v_cndmask_b32_e64 v9, 0, 8, vcc_lo
	s_delay_alu instid0(VALU_DEP_1)
	v_add_lshl_u32 v22, v9, v14, 2
	ds_bpermute_b32 v9, v22, v10
	ds_bpermute_b32 v24, v22, v11
	;; [unrolled: 1-line block ×3, first 2 shown]
	v_cmpx_le_u32_e64 v23, v7
	s_cbranch_execz .LBB740_118
; %bb.117:
	v_and_b32_e32 v8, 0xff, v27
	s_delay_alu instid0(VALU_DEP_1) | instskip(SKIP_3) | instid1(VALU_DEP_2)
	v_cmp_eq_u16_e32 vcc_lo, 0, v8
	v_and_b32_e32 v26, 1, v27
	s_wait_dscnt 0x0
	v_dual_cndmask_b32 v25, 0, v24, vcc_lo :: v_dual_bitop2_b32 v8, 1, v25 bitop3:0x40
	v_cmp_eq_u32_e64 s16, 1, v26
	v_cndmask_b32_e32 v24, 0, v9, vcc_lo
	s_delay_alu instid0(VALU_DEP_3) | instskip(NEXT) | instid1(VALU_DEP_2)
	v_cmp_eq_u32_e32 vcc_lo, 1, v8
	v_add_nc_u64_e32 v[10:11], v[24:25], v[10:11]
	s_or_b32 s16, s16, vcc_lo
	s_delay_alu instid0(SALU_CYCLE_1)
	v_cndmask_b32_e64 v27, 0, 1, s16
	v_cndmask_b32_e64 v8, 0, 1, s16
.LBB740_118:
	s_or_b32 exec_lo, exec_lo, s17
	s_wait_dscnt 0x1
	v_lshl_or_b32 v24, v14, 2, 64
	v_add_nc_u32_e32 v26, 16, v14
	s_mov_b32 s17, exec_lo
	ds_bpermute_b32 v9, v24, v10
	s_wait_dscnt 0x1
	ds_bpermute_b32 v25, v24, v11
	ds_bpermute_b32 v8, v24, v8
	v_cmpx_le_u32_e64 v26, v7
	s_cbranch_execz .LBB740_120
; %bb.119:
	v_and_b32_e32 v7, 0xff, v27
	s_delay_alu instid0(VALU_DEP_1) | instskip(SKIP_4) | instid1(VALU_DEP_3)
	v_cmp_eq_u16_e32 vcc_lo, 0, v7
	v_and_b32_e32 v7, 1, v27
	s_wait_dscnt 0x0
	v_dual_cndmask_b32 v28, 0, v9, vcc_lo :: v_dual_bitop2_b32 v8, 1, v8 bitop3:0x40
	v_cndmask_b32_e32 v29, 0, v25, vcc_lo
	v_cmp_eq_u32_e32 vcc_lo, 1, v7
	s_delay_alu instid0(VALU_DEP_3) | instskip(NEXT) | instid1(VALU_DEP_3)
	v_cmp_eq_u32_e64 s16, 1, v8
	v_add_nc_u64_e32 v[10:11], v[28:29], v[10:11]
	s_or_b32 s16, vcc_lo, s16
	s_delay_alu instid0(SALU_CYCLE_1)
	v_cndmask_b32_e64 v27, 0, 1, s16
.LBB740_120:
	s_or_b32 exec_lo, exec_lo, s17
	v_mov_b32_e32 v7, 0
	s_branch .LBB740_123
.LBB740_121:                            ;   in Loop: Header=BB740_123 Depth=1
	s_or_b32 exec_lo, exec_lo, s19
	v_and_b32_e32 v27, 0xff, v25
	v_subrev_nc_u32_e32 v6, 32, v6
	s_delay_alu instid0(VALU_DEP_2) | instskip(SKIP_2) | instid1(VALU_DEP_2)
	v_cmp_eq_u16_e32 vcc_lo, 0, v27
	v_dual_cndmask_b32 v11, 0, v11, vcc_lo :: v_dual_bitop2_b32 v27, 1, v25 bitop3:0x40
	v_cndmask_b32_e32 v10, 0, v10, vcc_lo
	v_cmp_eq_u32_e32 vcc_lo, 1, v27
	s_delay_alu instid0(VALU_DEP_2) | instskip(SKIP_1) | instid1(SALU_CYCLE_1)
	v_add_nc_u64_e32 v[10:11], v[10:11], v[8:9]
	s_or_b32 s16, vcc_lo, s17
	v_cndmask_b32_e64 v27, 0, 1, s16
	s_mov_b32 s16, 0
.LBB740_122:                            ;   in Loop: Header=BB740_123 Depth=1
	s_delay_alu instid0(SALU_CYCLE_1)
	s_and_b32 vcc_lo, exec_lo, s16
	s_cbranch_vccnz .LBB740_151
.LBB740_123:                            ; =>This Loop Header: Depth=1
                                        ;     Child Loop BB740_126 Depth 2
	s_wait_dscnt 0x0
	v_and_b32_e32 v8, 0xff, v15
	v_mov_b32_e32 v25, v27
	s_mov_b32 s16, -1
                                        ; implicit-def: $vgpr27
                                        ; implicit-def: $vgpr15
	s_delay_alu instid0(VALU_DEP_2)
	v_cmp_ne_u16_e32 vcc_lo, 2, v8
	v_mov_b64_e32 v[8:9], v[10:11]
                                        ; implicit-def: $vgpr10_vgpr11
	s_cmp_lg_u32 vcc_lo, exec_lo
	s_cbranch_scc1 .LBB740_122
; %bb.124:                              ;   in Loop: Header=BB740_123 Depth=1
	global_load_u8 v15, v6, s[40:41] scope:SCOPE_DEV
	s_mov_b32 s16, exec_lo
	s_wait_loadcnt 0x0
	v_cmpx_eq_u16_e32 0, v15
	s_cbranch_execz .LBB740_128
; %bb.125:                              ;   in Loop: Header=BB740_123 Depth=1
	v_add_nc_u64_e32 v[10:11], s[40:41], v[6:7]
	s_mov_b32 s17, 0
.LBB740_126:                            ;   Parent Loop BB740_123 Depth=1
                                        ; =>  This Inner Loop Header: Depth=2
	global_load_u8 v15, v[10:11], off scope:SCOPE_DEV
	s_wait_loadcnt 0x0
	v_cmp_ne_u16_e32 vcc_lo, 0, v15
	s_or_b32 s17, vcc_lo, s17
	s_delay_alu instid0(SALU_CYCLE_1)
	s_and_not1_b32 exec_lo, exec_lo, s17
	s_cbranch_execnz .LBB740_126
; %bb.127:                              ;   in Loop: Header=BB740_123 Depth=1
	s_or_b32 exec_lo, exec_lo, s17
.LBB740_128:                            ;   in Loop: Header=BB740_123 Depth=1
	s_delay_alu instid0(SALU_CYCLE_1)
	s_or_b32 exec_lo, exec_lo, s16
	v_dual_mov_b32 v10, s37 :: v_dual_mov_b32 v27, s36
	v_cmp_eq_u16_e32 vcc_lo, 1, v15
	global_wb scope:SCOPE_DEV
	s_wait_storecnt 0x0
	global_inv scope:SCOPE_DEV
	s_mov_b32 s16, exec_lo
	v_cndmask_b32_e32 v11, s39, v10, vcc_lo
	v_cndmask_b32_e32 v10, s38, v27, vcc_lo
	v_cmp_eq_u16_e32 vcc_lo, 2, v15
	s_delay_alu instid0(VALU_DEP_2)
	v_lshl_add_u64 v[60:61], v[6:7], 4, v[10:11]
	v_and_or_b32 v27, vcc_lo, v17, 0x80000000
	s_clause 0x1
	global_load_u8 v28, v[60:61], off offset:8
	global_load_b64 v[10:11], v[60:61], off
	v_ctz_i32_b32_e32 v27, v27
	s_wait_loadcnt 0x1
	v_and_b32_e32 v29, 1, v28
	s_wait_loadcnt 0x0
	ds_bpermute_b32 v61, v16, v10
	ds_bpermute_b32 v85, v16, v11
	;; [unrolled: 1-line block ×3, first 2 shown]
	v_cmpx_lt_u32_e64 v14, v27
	s_cbranch_execz .LBB740_130
; %bb.129:                              ;   in Loop: Header=BB740_123 Depth=1
	v_and_b32_e32 v29, 0xff, v28
	s_wait_dscnt 0x0
	v_bitop3_b16 v28, v60, v28, 1 bitop3:0xec
	s_delay_alu instid0(VALU_DEP_2) | instskip(NEXT) | instid1(VALU_DEP_2)
	v_cmp_eq_u16_e32 vcc_lo, 0, v29
	v_and_b32_e32 v29, 0xff, v28
	v_cndmask_b32_e32 v87, 0, v85, vcc_lo
	v_cndmask_b32_e32 v86, 0, v61, vcc_lo
	s_delay_alu instid0(VALU_DEP_1)
	v_add_nc_u64_e32 v[10:11], v[86:87], v[10:11]
.LBB740_130:                            ;   in Loop: Header=BB740_123 Depth=1
	s_or_b32 exec_lo, exec_lo, s16
	s_wait_dscnt 0x0
	ds_bpermute_b32 v60, v18, v10
	ds_bpermute_b32 v61, v18, v11
	;; [unrolled: 1-line block ×3, first 2 shown]
	v_and_b32_e32 v86, 1, v28
	s_mov_b32 s16, exec_lo
	s_delay_alu instid0(VALU_DEP_1)
	v_cmp_eq_u32_e64 s17, 1, v86
	v_cmpx_le_u32_e64 v19, v27
	s_cbranch_execz .LBB740_132
; %bb.131:                              ;   in Loop: Header=BB740_123 Depth=1
	v_and_b32_e32 v28, 0xff, v28
	s_delay_alu instid0(VALU_DEP_1) | instskip(SKIP_3) | instid1(VALU_DEP_2)
	v_cmp_eq_u16_e32 vcc_lo, 0, v28
	s_wait_dscnt 0x0
	v_dual_cndmask_b32 v28, 0, v60, vcc_lo :: v_dual_bitop2_b32 v85, 1, v85 bitop3:0x40
	v_cndmask_b32_e32 v29, 0, v61, vcc_lo
	v_cmp_eq_u32_e32 vcc_lo, 1, v85
	s_delay_alu instid0(VALU_DEP_2)
	v_add_nc_u64_e32 v[10:11], v[28:29], v[10:11]
	s_or_b32 s19, s17, vcc_lo
	s_and_not1_b32 s17, s17, exec_lo
	v_cndmask_b32_e64 v28, 0, 1, s19
	v_cndmask_b32_e64 v29, 0, 1, s19
	s_and_b32 s19, s19, exec_lo
	s_delay_alu instid0(SALU_CYCLE_1)
	s_or_b32 s17, s17, s19
.LBB740_132:                            ;   in Loop: Header=BB740_123 Depth=1
	s_or_b32 exec_lo, exec_lo, s16
	s_wait_dscnt 0x2
	ds_bpermute_b32 v60, v20, v10
	s_wait_dscnt 0x2
	ds_bpermute_b32 v61, v20, v11
	;; [unrolled: 2-line block ×3, first 2 shown]
	s_mov_b32 s19, exec_lo
	v_cmpx_le_u32_e64 v21, v27
	s_cbranch_execz .LBB740_134
; %bb.133:                              ;   in Loop: Header=BB740_123 Depth=1
	v_and_b32_e32 v29, 0xff, v28
	s_and_not1_b32 s17, s17, exec_lo
	s_delay_alu instid0(VALU_DEP_1) | instskip(SKIP_4) | instid1(VALU_DEP_3)
	v_cmp_eq_u16_e32 vcc_lo, 0, v29
	v_and_b32_e32 v28, 1, v28
	s_wait_dscnt 0x0
	v_and_b32_e32 v85, 1, v85
	v_cndmask_b32_e32 v29, 0, v61, vcc_lo
	v_cmp_eq_u32_e64 s16, 1, v28
	v_cndmask_b32_e32 v28, 0, v60, vcc_lo
	s_delay_alu instid0(VALU_DEP_4) | instskip(NEXT) | instid1(VALU_DEP_2)
	v_cmp_eq_u32_e32 vcc_lo, 1, v85
	v_add_nc_u64_e32 v[10:11], v[28:29], v[10:11]
	s_or_b32 s16, s16, vcc_lo
	s_delay_alu instid0(SALU_CYCLE_1) | instskip(SKIP_2) | instid1(SALU_CYCLE_1)
	v_cndmask_b32_e64 v28, 0, 1, s16
	v_cndmask_b32_e64 v29, 0, 1, s16
	s_and_b32 s16, s16, exec_lo
	s_or_b32 s17, s17, s16
.LBB740_134:                            ;   in Loop: Header=BB740_123 Depth=1
	s_or_b32 exec_lo, exec_lo, s19
	s_wait_dscnt 0x2
	ds_bpermute_b32 v60, v22, v10
	s_wait_dscnt 0x2
	ds_bpermute_b32 v61, v22, v11
	;; [unrolled: 2-line block ×3, first 2 shown]
	s_mov_b32 s19, exec_lo
	v_cmpx_le_u32_e64 v23, v27
	s_cbranch_execz .LBB740_136
; %bb.135:                              ;   in Loop: Header=BB740_123 Depth=1
	v_and_b32_e32 v29, 0xff, v28
	s_and_not1_b32 s17, s17, exec_lo
	s_delay_alu instid0(VALU_DEP_1) | instskip(SKIP_4) | instid1(VALU_DEP_3)
	v_cmp_eq_u16_e32 vcc_lo, 0, v29
	v_and_b32_e32 v28, 1, v28
	s_wait_dscnt 0x0
	v_and_b32_e32 v85, 1, v85
	v_cndmask_b32_e32 v29, 0, v61, vcc_lo
	v_cmp_eq_u32_e64 s16, 1, v28
	v_cndmask_b32_e32 v28, 0, v60, vcc_lo
	s_delay_alu instid0(VALU_DEP_4) | instskip(NEXT) | instid1(VALU_DEP_2)
	v_cmp_eq_u32_e32 vcc_lo, 1, v85
	v_add_nc_u64_e32 v[10:11], v[28:29], v[10:11]
	s_or_b32 s16, s16, vcc_lo
	s_delay_alu instid0(SALU_CYCLE_1) | instskip(SKIP_2) | instid1(SALU_CYCLE_1)
	v_cndmask_b32_e64 v28, 0, 1, s16
	v_cndmask_b32_e64 v29, 0, 1, s16
	s_and_b32 s16, s16, exec_lo
	s_or_b32 s17, s17, s16
.LBB740_136:                            ;   in Loop: Header=BB740_123 Depth=1
	s_or_b32 exec_lo, exec_lo, s19
	s_wait_dscnt 0x2
	ds_bpermute_b32 v60, v24, v10
	s_wait_dscnt 0x2
	ds_bpermute_b32 v61, v24, v11
	ds_bpermute_b32 v29, v24, v29
	s_mov_b32 s19, exec_lo
	v_cmpx_le_u32_e64 v26, v27
	s_cbranch_execz .LBB740_121
; %bb.137:                              ;   in Loop: Header=BB740_123 Depth=1
	v_and_b32_e32 v27, 0xff, v28
	s_and_not1_b32 s17, s17, exec_lo
	s_delay_alu instid0(VALU_DEP_1) | instskip(SKIP_4) | instid1(VALU_DEP_3)
	v_cmp_eq_u16_e32 vcc_lo, 0, v27
	v_and_b32_e32 v27, 1, v28
	s_wait_dscnt 0x0
	v_dual_cndmask_b32 v28, 0, v60, vcc_lo :: v_dual_bitop2_b32 v85, 1, v29 bitop3:0x40
	v_cndmask_b32_e32 v29, 0, v61, vcc_lo
	v_cmp_eq_u32_e32 vcc_lo, 1, v27
	s_delay_alu instid0(VALU_DEP_3) | instskip(NEXT) | instid1(VALU_DEP_3)
	v_cmp_eq_u32_e64 s16, 1, v85
	v_add_nc_u64_e32 v[10:11], v[28:29], v[10:11]
	s_or_b32 s16, vcc_lo, s16
	s_delay_alu instid0(SALU_CYCLE_1) | instskip(NEXT) | instid1(SALU_CYCLE_1)
	s_and_b32 s16, s16, exec_lo
	s_or_b32 s17, s17, s16
	s_branch .LBB740_121
.LBB740_138:
	s_or_b32 exec_lo, exec_lo, s16
                                        ; implicit-def: $vgpr30_vgpr31
	s_and_saveexec_b32 s16, s1
	s_cbranch_execz .LBB740_37
.LBB740_139:
	flat_load_b64 v[30:31], v0, s[18:19] offset:2048 scale_offset
	s_wait_xcnt 0x0
	s_or_b32 exec_lo, exec_lo, s16
                                        ; implicit-def: $vgpr32_vgpr33
	s_and_saveexec_b32 s1, s4
	s_cbranch_execnz .LBB740_38
.LBB740_140:
	s_or_b32 exec_lo, exec_lo, s1
                                        ; implicit-def: $vgpr34_vgpr35
	s_and_saveexec_b32 s1, s5
	s_cbranch_execz .LBB740_39
.LBB740_141:
	flat_load_b64 v[34:35], v0, s[18:19] offset:6144 scale_offset
	s_wait_xcnt 0x0
	s_or_b32 exec_lo, exec_lo, s1
                                        ; implicit-def: $vgpr36_vgpr37
	s_and_saveexec_b32 s1, s6
	s_cbranch_execnz .LBB740_40
.LBB740_142:
	s_or_b32 exec_lo, exec_lo, s1
                                        ; implicit-def: $vgpr38_vgpr39
	s_and_saveexec_b32 s1, s7
	s_cbranch_execz .LBB740_41
.LBB740_143:
	flat_load_b64 v[38:39], v0, s[18:19] offset:10240 scale_offset
	s_wait_xcnt 0x0
	s_or_b32 exec_lo, exec_lo, s1
                                        ; implicit-def: $vgpr40_vgpr41
	s_and_saveexec_b32 s1, s8
	s_cbranch_execnz .LBB740_42
.LBB740_144:
	s_or_b32 exec_lo, exec_lo, s1
                                        ; implicit-def: $vgpr42_vgpr43
	s_and_saveexec_b32 s1, s9
	s_cbranch_execz .LBB740_43
.LBB740_145:
	flat_load_b64 v[42:43], v0, s[18:19] offset:14336 scale_offset
	s_wait_xcnt 0x0
	s_or_b32 exec_lo, exec_lo, s1
                                        ; implicit-def: $vgpr44_vgpr45
	s_and_saveexec_b32 s1, s10
	s_cbranch_execnz .LBB740_44
.LBB740_146:
	s_or_b32 exec_lo, exec_lo, s1
                                        ; implicit-def: $vgpr46_vgpr47
	s_and_saveexec_b32 s1, s11
	s_cbranch_execz .LBB740_45
.LBB740_147:
	flat_load_b64 v[46:47], v0, s[18:19] offset:18432 scale_offset
	s_wait_xcnt 0x0
	s_or_b32 exec_lo, exec_lo, s1
                                        ; implicit-def: $vgpr48_vgpr49
	s_and_saveexec_b32 s1, s12
	s_cbranch_execnz .LBB740_46
.LBB740_148:
	s_or_b32 exec_lo, exec_lo, s1
                                        ; implicit-def: $vgpr50_vgpr51
	s_and_saveexec_b32 s1, s13
	s_cbranch_execz .LBB740_47
.LBB740_149:
	flat_load_b64 v[50:51], v0, s[18:19] offset:22528 scale_offset
	s_wait_xcnt 0x0
	s_or_b32 exec_lo, exec_lo, s1
                                        ; implicit-def: $vgpr52_vgpr53
	s_and_saveexec_b32 s1, s14
	s_cbranch_execz .LBB740_49
	s_branch .LBB740_48
.LBB740_150:
                                        ; implicit-def: $vgpr60_vgpr61
                                        ; implicit-def: $vgpr26_vgpr27
                                        ; implicit-def: $vgpr24_vgpr25
                                        ; implicit-def: $vgpr20_vgpr21
                                        ; implicit-def: $vgpr16_vgpr17
                                        ; implicit-def: $vgpr8_vgpr9
                                        ; implicit-def: $vgpr12_vgpr13
                                        ; implicit-def: $vgpr4_vgpr5
	s_cbranch_execnz .LBB740_156
	s_branch .LBB740_175
.LBB740_151:
	s_and_saveexec_b32 s16, s15
	s_cbranch_execz .LBB740_153
; %bb.152:
	v_and_b32_e32 v6, 0xff, v13
	s_add_co_i32 s20, s43, 32
	s_mov_b32 s21, 0
	v_mov_b32_e32 v11, s20
	v_bitop3_b16 v10, v13, 1, v25 bitop3:0xc8
	v_cmp_eq_u32_e32 vcc_lo, 0, v6
	s_lshl_b64 s[22:23], s[20:21], 4
	s_delay_alu instid0(SALU_CYCLE_1) | instskip(SKIP_1) | instid1(VALU_DEP_1)
	s_add_nc_u64 s[20:21], s[38:39], s[22:23]
	v_dual_cndmask_b32 v7, 0, v9 :: v_dual_cndmask_b32 v6, 0, v8
	v_add_nc_u64_e32 v[4:5], v[6:7], v[4:5]
	v_dual_mov_b32 v6, 0 :: v_dual_mov_b32 v7, 2
	s_clause 0x1
	global_store_b64 v6, v[4:5], s[20:21]
	global_store_b8 v6, v10, s[20:21] offset:8
	global_wb scope:SCOPE_DEV
	s_wait_storecnt_dscnt 0x0
	global_inv scope:SCOPE_DEV
	s_wait_xcnt 0x0
	global_store_b8 v11, v7, s[40:41] scope:SCOPE_DEV
.LBB740_153:
	s_wait_xcnt 0x0
	s_or_b32 exec_lo, exec_lo, s16
	s_delay_alu instid0(SALU_CYCLE_1)
	s_and_b32 exec_lo, exec_lo, s2
	s_cbranch_execz .LBB740_155
; %bb.154:
	v_mov_b32_e32 v4, 0
	ds_store_b64 v4, v[8:9]
	ds_store_b8 v4, v25 offset:8
.LBB740_155:
	s_or_b32 exec_lo, exec_lo, s18
	s_wait_dscnt 0x0
	v_and_b32_e32 v6, 0xff, v12
	s_wait_loadcnt 0x0
	s_wait_storecnt 0x0
	s_barrier_signal -1
	s_barrier_wait -1
	v_cmp_eq_u16_e32 vcc_lo, 0, v6
	v_mov_b32_e32 v4, 0
	ds_load_b64 v[4:5], v4
	s_wait_dscnt 0x0
	v_dual_cndmask_b32 v7, 0, v5 :: v_dual_cndmask_b32 v6, 0, v4
	s_delay_alu instid0(VALU_DEP_1) | instskip(SKIP_1) | instid1(VALU_DEP_1)
	v_add_nc_u64_e32 v[2:3], v[6:7], v[2:3]
	v_and_b32_e32 v6, 0xff, v1
	v_cmp_eq_u16_e32 vcc_lo, 0, v6
	s_delay_alu instid0(VALU_DEP_3) | instskip(NEXT) | instid1(VALU_DEP_1)
	v_dual_cndmask_b32 v3, v3, v5, s2 :: v_dual_cndmask_b32 v2, v2, v4, s2
	v_dual_cndmask_b32 v5, 0, v3 :: v_dual_cndmask_b32 v4, 0, v2
	s_delay_alu instid0(VALU_DEP_1) | instskip(NEXT) | instid1(VALU_DEP_1)
	v_add_nc_u64_e32 v[4:5], v[4:5], v[58:59]
	v_dual_cndmask_b32 v7, 0, v5, s1 :: v_dual_cndmask_b32 v6, 0, v4, s1
	s_delay_alu instid0(VALU_DEP_1) | instskip(NEXT) | instid1(VALU_DEP_1)
	v_add_nc_u64_e32 v[10:11], v[6:7], v[54:55]
	v_dual_cndmask_b32 v7, 0, v11, s4 :: v_dual_cndmask_b32 v6, 0, v10, s4
	;; [unrolled: 3-line block ×12, first 2 shown]
	s_branch .LBB740_175
.LBB740_156:
	s_cmp_eq_u64 s[46:47], 0
	v_mov_b64_e32 v[28:29], s[44:45]
	s_cselect_b32 s1, -1, 0
	s_cmp_eq_u64 s[30:31], 0
	s_cselect_b32 s4, -1, 0
	s_delay_alu instid0(SALU_CYCLE_1) | instskip(NEXT) | instid1(SALU_CYCLE_1)
	s_or_b32 s1, s1, s4
	s_and_b32 vcc_lo, exec_lo, s1
	s_cbranch_vccnz .LBB740_158
; %bb.157:
	v_mov_b32_e32 v2, 0
	global_load_b64 v[28:29], v2, s[30:31]
.LBB740_158:
	v_cmp_eq_u16_e32 vcc_lo, 0, v84
	v_cmp_eq_u16_e64 s1, 0, v83
	v_cmp_eq_u16_e64 s4, 0, v82
	;; [unrolled: 1-line block ×4, first 2 shown]
	s_wait_xcnt 0x0
	v_dual_cndmask_b32 v3, 0, v59 :: v_dual_cndmask_b32 v2, 0, v58
	v_cmp_eq_u16_e64 s7, 0, v79
	v_cmp_eq_u16_e64 s8, 0, v78
	;; [unrolled: 1-line block ×4, first 2 shown]
	v_add_nc_u64_e32 v[2:3], v[2:3], v[54:55]
	v_cmp_eq_u16_e64 s11, 0, v75
	v_cmp_eq_u16_e64 s12, 0, v74
	;; [unrolled: 1-line block ×3, first 2 shown]
	v_cmp_ne_u16_e64 s19, 0, v71
	v_cmp_eq_u32_e64 s20, 1, v63
	v_cmp_ne_u16_e64 s21, 0, v72
	v_dual_cndmask_b32 v3, 0, v3, s1 :: v_dual_cndmask_b32 v2, 0, v2, s1
	v_cmp_eq_u32_e64 s22, 1, v62
	v_cmp_eq_u32_e64 s23, 1, v68
	v_cmp_ne_u16_e64 s17, 0, v70
	v_cmp_eq_u32_e64 s18, 1, v64
	v_add_nc_u64_e32 v[2:3], v[2:3], v[52:53]
	s_or_b32 s20, s19, s20
	s_or_b32 s21, s21, s22
	v_cmp_eq_u16_e64 s19, 0, v57
	v_cmp_ne_u16_e64 s15, 0, v69
	v_cmp_eq_u32_e64 s16, 1, v66
	s_or_b32 s21, s23, s21
	v_dual_cndmask_b32 v3, 0, v3, s4 :: v_dual_cndmask_b32 v2, 0, v2, s4
	s_or_b32 s17, s17, s18
	s_or_b32 s18, s21, s20
	v_cmp_eq_u32_e64 s14, 1, v67
	s_or_b32 s15, s15, s16
	v_add_nc_u64_e32 v[2:3], v[2:3], v[50:51]
	s_or_b32 s16, s18, s17
	v_and_b32_e32 v4, 0x70, v65
	s_or_b32 s15, s16, s15
	s_mov_b32 s17, exec_lo
	s_or_b32 s14, s15, s14
	s_delay_alu instid0(VALU_DEP_2) | instskip(SKIP_2) | instid1(VALU_DEP_3)
	v_dual_cndmask_b32 v3, 0, v3, s5 :: v_dual_cndmask_b32 v2, 0, v2, s5
	v_lshl_add_u32 v4, v0, 4, v4
	v_cndmask_b32_e64 v9, 0, 1, s14
	v_add_nc_u64_e32 v[2:3], v[2:3], v[48:49]
	s_delay_alu instid0(VALU_DEP_1) | instskip(NEXT) | instid1(VALU_DEP_1)
	v_dual_cndmask_b32 v3, 0, v3, s6 :: v_dual_cndmask_b32 v2, 0, v2, s6
	v_add_nc_u64_e32 v[2:3], v[2:3], v[46:47]
	s_delay_alu instid0(VALU_DEP_1) | instskip(NEXT) | instid1(VALU_DEP_1)
	v_dual_cndmask_b32 v3, 0, v3, s7 :: v_dual_cndmask_b32 v2, 0, v2, s7
	;; [unrolled: 3-line block ×9, first 2 shown]
	v_add_nc_u64_e32 v[2:3], v[2:3], v[42:43]
	ds_store_b64 v4, v[2:3]
	ds_store_b8 v4, v9 offset:8
	s_wait_loadcnt_dscnt 0x0
	s_barrier_signal -1
	s_barrier_wait -1
	v_cmpx_gt_u32_e32 32, v0
	s_cbranch_execz .LBB740_170
; %bb.159:
	v_dual_lshlrev_b32 v4, 2, v0 :: v_dual_lshlrev_b32 v5, 7, v0
	s_delay_alu instid0(VALU_DEP_1) | instskip(NEXT) | instid1(VALU_DEP_1)
	v_and_b32_e32 v4, 0x3f0, v4
	v_add_nc_u32_e32 v8, v4, v5
	ds_load_u8 v11, v8 offset:24
	ds_load_b64 v[4:5], v8
	ds_load_2addr_b64 v[12:15], v8 offset0:2 offset1:4
	ds_load_u8 v20, v8 offset:40
	ds_load_b32 v10, v8 offset:8
	ds_load_u8 v21, v8 offset:56
	ds_load_u8 v22, v8 offset:72
	;; [unrolled: 1-line block ×4, first 2 shown]
	s_wait_dscnt 0x8
	v_cmp_eq_u16_e64 s14, 0, v11
	s_wait_dscnt 0x7
	s_delay_alu instid0(VALU_DEP_1)
	v_dual_cndmask_b32 v7, 0, v5, s14 :: v_dual_cndmask_b32 v6, 0, v4, s14
	s_wait_dscnt 0x5
	v_cmp_eq_u16_e64 s14, 0, v20
	ds_load_2addr_b64 v[16:19], v8 offset0:6 offset1:8
	s_wait_dscnt 0x4
	v_bitop3_b16 v11, v20, v21, v11 bitop3:0xfe
	v_add_nc_u64_e32 v[6:7], v[6:7], v[12:13]
	s_delay_alu instid0(VALU_DEP_1) | instskip(SKIP_1) | instid1(VALU_DEP_2)
	v_dual_cndmask_b32 v7, 0, v7, s14 :: v_dual_cndmask_b32 v6, 0, v6, s14
	v_cmp_eq_u16_e64 s14, 0, v21
	v_add_nc_u64_e32 v[6:7], v[6:7], v[14:15]
	ds_load_2addr_b64 v[12:15], v8 offset0:10 offset1:12
	ds_load_u8 v25, v8 offset:120
	v_dual_cndmask_b32 v7, 0, v7, s14 :: v_dual_cndmask_b32 v6, 0, v6, s14
	s_wait_dscnt 0x5
	v_cmp_eq_u16_e64 s14, 0, v22
	s_wait_dscnt 0x2
	s_delay_alu instid0(VALU_DEP_2) | instskip(SKIP_1) | instid1(VALU_DEP_2)
	v_add_nc_u64_e32 v[6:7], v[6:7], v[16:17]
	v_bitop3_b16 v16, v23, v24, v22 bitop3:0xfe
	v_dual_cndmask_b32 v7, 0, v7, s14 :: v_dual_cndmask_b32 v6, 0, v6, s14
	v_cmp_eq_u16_e64 s14, 0, v23
	s_wait_dscnt 0x0
	s_delay_alu instid0(VALU_DEP_3) | instskip(SKIP_3) | instid1(VALU_DEP_1)
	v_bitop3_b16 v11, v25, v11, v16 bitop3:0xfe
	ds_load_b64 v[16:17], v8 offset:112
	v_cmp_eq_u16_e64 s16, 0, v25
	v_add_nc_u64_e32 v[6:7], v[6:7], v[18:19]
	v_dual_cndmask_b32 v6, 0, v6, s14 :: v_dual_bitop2_b32 v11, 1, v11 bitop3:0x40
	s_delay_alu instid0(VALU_DEP_2) | instskip(SKIP_1) | instid1(VALU_DEP_3)
	v_cndmask_b32_e64 v7, 0, v7, s14
	v_cmp_eq_u16_e64 s14, 0, v24
	v_cmp_eq_u32_e64 s15, 1, v11
	v_and_b32_e32 v11, 0xffffff00, v10
	s_delay_alu instid0(VALU_DEP_4) | instskip(NEXT) | instid1(VALU_DEP_1)
	v_add_nc_u64_e32 v[6:7], v[6:7], v[12:13]
	v_dual_cndmask_b32 v7, 0, v7, s14 :: v_dual_bitop2_b32 v12, 1, v10 bitop3:0x40
	s_delay_alu instid0(VALU_DEP_2) | instskip(NEXT) | instid1(VALU_DEP_2)
	v_cndmask_b32_e64 v6, 0, v6, s14
	v_cmp_eq_u32_e64 s14, 1, v12
	v_mbcnt_lo_u32_b32 v12, -1, 0
	s_delay_alu instid0(VALU_DEP_3) | instskip(SKIP_1) | instid1(SALU_CYCLE_1)
	v_add_nc_u64_e32 v[6:7], v[6:7], v[14:15]
	s_or_b32 s15, s15, s14
	v_cndmask_b32_e64 v14, 0, 1, s15
	v_cndmask_b32_e64 v13, 0, 1, s15
	s_delay_alu instid0(VALU_DEP_3) | instskip(NEXT) | instid1(VALU_DEP_3)
	v_dual_cndmask_b32 v7, 0, v7, s16 :: v_dual_cndmask_b32 v6, 0, v6, s16
	v_or_b32_e32 v15, v11, v14
	v_and_b32_e32 v14, 15, v12
	s_mov_b32 s16, exec_lo
	s_wait_dscnt 0x0
	v_add_nc_u64_e32 v[6:7], v[6:7], v[16:17]
	v_mov_b32_dpp v17, v15 row_shr:1 row_mask:0xf bank_mask:0xf
	s_delay_alu instid0(VALU_DEP_2) | instskip(NEXT) | instid1(VALU_DEP_3)
	v_mov_b32_dpp v16, v6 row_shr:1 row_mask:0xf bank_mask:0xf
	v_mov_b32_dpp v18, v7 row_shr:1 row_mask:0xf bank_mask:0xf
	v_cmpx_ne_u32_e32 0, v14
; %bb.160:
	s_delay_alu instid0(VALU_DEP_4) | instskip(NEXT) | instid1(VALU_DEP_3)
	v_bitop3_b16 v13, v17, v13, 1 bitop3:0xec
	v_cndmask_b32_e64 v17, v18, 0, s15
	v_cndmask_b32_e64 v16, v16, 0, s15
	s_delay_alu instid0(VALU_DEP_3) | instskip(NEXT) | instid1(VALU_DEP_2)
	v_and_b32_e32 v15, 0xffff, v13
	v_add_nc_u64_e32 v[6:7], v[16:17], v[6:7]
	s_delay_alu instid0(VALU_DEP_2)
	v_or_b32_e32 v15, v11, v15
; %bb.161:
	s_or_b32 exec_lo, exec_lo, s16
	s_delay_alu instid0(VALU_DEP_2) | instskip(NEXT) | instid1(VALU_DEP_3)
	v_mov_b32_dpp v16, v6 row_shr:2 row_mask:0xf bank_mask:0xf
	v_mov_b32_dpp v17, v7 row_shr:2 row_mask:0xf bank_mask:0xf
	s_delay_alu instid0(VALU_DEP_3)
	v_mov_b32_dpp v18, v15 row_shr:2 row_mask:0xf bank_mask:0xf
	s_mov_b32 s18, exec_lo
	v_cmpx_lt_u32_e32 1, v14
	s_cbranch_execz .LBB740_163
; %bb.162:
	v_cmp_eq_u16_e64 s14, 0, v13
	v_and_b32_e32 v15, 1, v13
	s_delay_alu instid0(VALU_DEP_2) | instskip(SKIP_1) | instid1(VALU_DEP_3)
	v_dual_cndmask_b32 v17, 0, v17, s14 :: v_dual_bitop2_b32 v18, 1, v18 bitop3:0x40
	v_cndmask_b32_e64 v16, 0, v16, s14
	v_cmp_eq_u32_e64 s15, 1, v15
	s_delay_alu instid0(VALU_DEP_3) | instskip(NEXT) | instid1(VALU_DEP_3)
	v_cmp_eq_u32_e64 s16, 1, v18
	v_add_nc_u64_e32 v[6:7], v[16:17], v[6:7]
	s_or_b32 s14, s15, s16
	s_delay_alu instid0(SALU_CYCLE_1) | instskip(SKIP_1) | instid1(VALU_DEP_2)
	v_cndmask_b32_e64 v15, 0, 1, s14
	v_cndmask_b32_e64 v13, 0, 1, s14
	v_or_b32_e32 v15, v11, v15
.LBB740_163:
	s_or_b32 exec_lo, exec_lo, s18
	s_delay_alu instid0(VALU_DEP_4) | instskip(SKIP_1) | instid1(VALU_DEP_3)
	v_mov_b32_dpp v16, v6 row_shr:4 row_mask:0xf bank_mask:0xf
	v_mov_b32_dpp v17, v7 row_shr:4 row_mask:0xf bank_mask:0xf
	;; [unrolled: 1-line block ×3, first 2 shown]
	s_mov_b32 s18, exec_lo
	v_cmpx_lt_u32_e32 3, v14
	s_cbranch_execz .LBB740_165
; %bb.164:
	v_cmp_eq_u16_e64 s14, 0, v13
	v_and_b32_e32 v15, 1, v13
	s_delay_alu instid0(VALU_DEP_2) | instskip(SKIP_1) | instid1(VALU_DEP_3)
	v_dual_cndmask_b32 v17, 0, v17, s14 :: v_dual_bitop2_b32 v18, 1, v18 bitop3:0x40
	v_cndmask_b32_e64 v16, 0, v16, s14
	v_cmp_eq_u32_e64 s15, 1, v15
	s_delay_alu instid0(VALU_DEP_3) | instskip(NEXT) | instid1(VALU_DEP_3)
	v_cmp_eq_u32_e64 s16, 1, v18
	v_add_nc_u64_e32 v[6:7], v[16:17], v[6:7]
	s_or_b32 s14, s15, s16
	s_delay_alu instid0(SALU_CYCLE_1) | instskip(SKIP_1) | instid1(VALU_DEP_2)
	v_cndmask_b32_e64 v15, 0, 1, s14
	v_cndmask_b32_e64 v13, 0, 1, s14
	v_or_b32_e32 v15, v11, v15
.LBB740_165:
	s_or_b32 exec_lo, exec_lo, s18
	s_delay_alu instid0(VALU_DEP_4) | instskip(SKIP_1) | instid1(VALU_DEP_3)
	v_mov_b32_dpp v16, v6 row_shr:8 row_mask:0xf bank_mask:0xf
	v_mov_b32_dpp v17, v7 row_shr:8 row_mask:0xf bank_mask:0xf
	;; [unrolled: 1-line block ×3, first 2 shown]
	s_mov_b32 s18, exec_lo
	v_cmpx_lt_u32_e32 7, v14
	s_cbranch_execz .LBB740_167
; %bb.166:
	v_and_b32_e32 v14, 1, v13
	v_cmp_eq_u16_e64 s14, 0, v13
	v_and_b32_e32 v15, 1, v18
	s_delay_alu instid0(VALU_DEP_3) | instskip(NEXT) | instid1(VALU_DEP_3)
	v_cmp_eq_u32_e64 s15, 1, v14
	v_cndmask_b32_e64 v14, 0, v16, s14
	s_delay_alu instid0(VALU_DEP_3) | instskip(SKIP_2) | instid1(VALU_DEP_1)
	v_cmp_eq_u32_e64 s16, 1, v15
	v_cndmask_b32_e64 v15, 0, v17, s14
	s_or_b32 s14, s15, s16
	v_add_nc_u64_e32 v[6:7], v[14:15], v[6:7]
	v_cndmask_b32_e64 v16, 0, 1, s14
	v_cndmask_b32_e64 v13, 0, 1, s14
	s_delay_alu instid0(VALU_DEP_2)
	v_or_b32_e32 v15, v11, v16
.LBB740_167:
	s_or_b32 exec_lo, exec_lo, s18
	ds_swizzle_b32 v14, v6 offset:swizzle(BROADCAST,32,15)
	ds_swizzle_b32 v16, v7 offset:swizzle(BROADCAST,32,15)
	;; [unrolled: 1-line block ×3, first 2 shown]
	v_and_b32_e32 v17, 16, v12
	s_mov_b32 s16, exec_lo
	s_delay_alu instid0(VALU_DEP_1)
	v_cmpx_ne_u32_e32 0, v17
	s_cbranch_execz .LBB740_169
; %bb.168:
	v_cmp_eq_u16_e64 s14, 0, v13
	v_and_b32_e32 v13, 1, v13
	s_wait_dscnt 0x0
	s_delay_alu instid0(VALU_DEP_2) | instskip(SKIP_1) | instid1(VALU_DEP_3)
	v_dual_cndmask_b32 v14, 0, v14, s14 :: v_dual_bitop2_b32 v17, 1, v15 bitop3:0x40
	v_cndmask_b32_e64 v15, 0, v16, s14
	v_cmp_eq_u32_e64 s14, 1, v13
	s_delay_alu instid0(VALU_DEP_3) | instskip(NEXT) | instid1(VALU_DEP_3)
	v_cmp_eq_u32_e64 s15, 1, v17
	v_add_nc_u64_e32 v[6:7], v[14:15], v[6:7]
	s_or_b32 s14, s14, s15
	s_delay_alu instid0(SALU_CYCLE_1)
	v_cndmask_b32_e64 v13, 0, 1, s14
.LBB740_169:
	s_or_b32 exec_lo, exec_lo, s16
	s_wait_dscnt 0x2
	v_add_nc_u32_e32 v14, -1, v12
	s_delay_alu instid0(VALU_DEP_2) | instskip(NEXT) | instid1(VALU_DEP_2)
	v_and_b32_e32 v13, 0xffff, v13
	; wave barrier
	v_cmp_gt_i32_e64 s14, 0, v14
	s_delay_alu instid0(VALU_DEP_1) | instskip(NEXT) | instid1(VALU_DEP_1)
	v_dual_cndmask_b32 v12, v14, v12, s14 :: v_dual_bitop2_b32 v11, v11, v13 bitop3:0x54
	v_lshlrev_b32_e32 v12, 2, v12
	ds_bpermute_b32 v7, v12, v7
	ds_bpermute_b32 v6, v12, v6
	;; [unrolled: 1-line block ×3, first 2 shown]
	v_and_b32_e32 v12, 0xff, v10
	s_delay_alu instid0(VALU_DEP_1) | instskip(SKIP_1) | instid1(VALU_DEP_1)
	v_cmp_eq_u32_e64 s14, 0, v12
	s_wait_dscnt 0x1
	v_dual_cndmask_b32 v7, 0, v7, s14 :: v_dual_cndmask_b32 v6, 0, v6, s14
	s_delay_alu instid0(VALU_DEP_1) | instskip(SKIP_1) | instid1(VALU_DEP_1)
	v_add_nc_u64_e32 v[4:5], v[6:7], v[4:5]
	s_wait_dscnt 0x0
	v_dual_cndmask_b32 v7, v5, v3, s2 :: v_dual_bitop2_b32 v10, v11, v10 bitop3:0x54
	s_delay_alu instid0(VALU_DEP_1) | instskip(NEXT) | instid1(VALU_DEP_1)
	v_and_b32_e32 v10, 1, v10
	v_dual_cndmask_b32 v6, v4, v2, s2 :: v_dual_cndmask_b32 v9, v10, v9, s2
	ds_store_b64 v8, v[6:7]
	ds_store_b8 v8, v9 offset:8
	; wave barrier
	ds_load_u8 v20, v8 offset:24
	ds_load_2addr_b64 v[2:5], v8 offset0:2 offset1:4
	ds_load_u8 v21, v8 offset:40
	ds_load_u8 v22, v8 offset:56
	;; [unrolled: 1-line block ×5, first 2 shown]
	ds_load_b64 v[14:15], v8 offset:112
	ds_load_u8 v26, v8 offset:120
	s_wait_dscnt 0x8
	v_and_b32_e32 v10, 0xff, v20
	v_bitop3_b16 v42, v20, 1, v9 bitop3:0xc8
	s_wait_dscnt 0x5
	v_and_b32_e32 v18, 0xff, v22
	s_delay_alu instid0(VALU_DEP_3) | instskip(SKIP_3) | instid1(VALU_DEP_3)
	v_cmp_eq_u16_e64 s14, 0, v10
	v_and_b32_e32 v10, 0xff, v21
	s_wait_dscnt 0x3
	v_and_b32_e32 v27, 0xff, v24
	v_dual_cndmask_b32 v7, 0, v7, s14 :: v_dual_cndmask_b32 v6, 0, v6, s14
	s_delay_alu instid0(VALU_DEP_3) | instskip(SKIP_2) | instid1(VALU_DEP_1)
	v_cmp_eq_u16_e64 s14, 0, v10
	ds_load_2addr_b64 v[10:13], v8 offset0:6 offset1:8
	v_add_nc_u64_e32 v[6:7], v[6:7], v[2:3]
	v_dual_cndmask_b32 v3, 0, v7, s14 :: v_dual_cndmask_b32 v2, 0, v6, s14
	v_cmp_eq_u16_e64 s14, 0, v18
	s_delay_alu instid0(VALU_DEP_2) | instskip(SKIP_1) | instid1(VALU_DEP_2)
	v_add_nc_u64_e32 v[16:17], v[2:3], v[4:5]
	v_and_b32_e32 v4, 0xff, v23
	v_dual_cndmask_b32 v3, 0, v17, s14 :: v_dual_cndmask_b32 v2, 0, v16, s14
	s_delay_alu instid0(VALU_DEP_2) | instskip(SKIP_1) | instid1(VALU_DEP_2)
	v_cmp_eq_u16_e64 s14, 0, v4
	s_wait_dscnt 0x0
	v_add_nc_u64_e32 v[10:11], v[2:3], v[10:11]
	ds_load_2addr_b64 v[2:5], v8 offset0:10 offset1:12
	v_dual_cndmask_b32 v19, 0, v11, s14 :: v_dual_cndmask_b32 v18, 0, v10, s14
	v_cmp_eq_u16_e64 s14, 0, v27
	v_and_b32_e32 v27, 0xff, v25
	s_delay_alu instid0(VALU_DEP_3) | instskip(NEXT) | instid1(VALU_DEP_1)
	v_add_nc_u64_e32 v[12:13], v[18:19], v[12:13]
	v_dual_cndmask_b32 v19, 0, v13, s14 :: v_dual_cndmask_b32 v18, 0, v12, s14
	s_delay_alu instid0(VALU_DEP_3) | instskip(SKIP_4) | instid1(VALU_DEP_3)
	v_cmp_eq_u16_e64 s14, 0, v27
	v_or_b32_e32 v27, v20, v9
	v_bitop3_b16 v9, v21, v20, v9 bitop3:0xfe
	s_wait_dscnt 0x0
	v_add_nc_u64_e32 v[2:3], v[18:19], v[2:3]
	v_bitop3_b16 v20, v22, v21, v27 bitop3:0xfe
	v_bitop3_b16 v21, v21, 1, v27 bitop3:0xc8
	;; [unrolled: 1-line block ×4, first 2 shown]
	v_dual_cndmask_b32 v19, 0, v3, s14 :: v_dual_cndmask_b32 v18, 0, v2, s14
	v_cmp_eq_u16_e64 s14, 0, v26
	s_delay_alu instid0(VALU_DEP_3) | instskip(SKIP_1) | instid1(VALU_DEP_4)
	v_bitop3_b16 v22, v25, v24, v9 bitop3:0xfe
	v_bitop3_b16 v9, v24, 1, v9 bitop3:0xc8
	v_add_nc_u64_e32 v[4:5], v[18:19], v[4:5]
	v_bitop3_b16 v18, v24, v23, v20 bitop3:0xfe
	v_bitop3_b16 v20, v23, 1, v20 bitop3:0xc8
	ds_store_2addr_b64 v8, v[6:7], v[16:17] offset0:2 offset1:4
	ds_store_2addr_b64 v8, v[10:11], v[12:13] offset0:6 offset1:8
	;; [unrolled: 1-line block ×3, first 2 shown]
	v_bitop3_b16 v23, v25, 1, v18 bitop3:0xc8
	v_dual_cndmask_b32 v19, 0, v5, s14 :: v_dual_cndmask_b32 v18, 0, v4, s14
	v_bitop3_b16 v22, v26, 1, v22 bitop3:0xc8
	s_delay_alu instid0(VALU_DEP_2)
	v_add_nc_u64_e32 v[2:3], v[18:19], v[14:15]
	ds_store_b8 v8, v42 offset:24
	ds_store_b8 v8, v21 offset:40
	;; [unrolled: 1-line block ×6, first 2 shown]
	ds_store_b64 v8, v[2:3] offset:112
	ds_store_b8 v8, v22 offset:120
.LBB740_170:
	s_or_b32 exec_lo, exec_lo, s17
	v_mov_b64_e32 v[2:3], v[28:29]
	s_wait_dscnt 0x0
	s_barrier_signal -1
	s_barrier_wait -1
	s_and_saveexec_b32 s14, s3
	s_cbranch_execz .LBB740_172
; %bb.171:
	v_add_nc_u32_e32 v2, -1, v0
	s_delay_alu instid0(VALU_DEP_1) | instskip(NEXT) | instid1(VALU_DEP_1)
	v_lshrrev_b32_e32 v3, 1, v2
	v_and_b32_e32 v3, 0x7ffffff0, v3
	s_delay_alu instid0(VALU_DEP_1) | instskip(SKIP_4) | instid1(VALU_DEP_1)
	v_lshl_add_u32 v2, v2, 4, v3
	ds_load_u8 v4, v2 offset:8
	ds_load_b64 v[2:3], v2
	s_wait_dscnt 0x1
	v_cmp_eq_u16_e64 s3, 0, v4
	v_dual_cndmask_b32 v5, 0, v29, s3 :: v_dual_cndmask_b32 v4, 0, v28, s3
	s_wait_dscnt 0x0
	s_delay_alu instid0(VALU_DEP_1)
	v_add_nc_u64_e32 v[2:3], v[4:5], v[2:3]
.LBB740_172:
	s_or_b32 exec_lo, exec_lo, s14
	v_and_b32_e32 v1, 0xff, v1
	s_delay_alu instid0(VALU_DEP_1) | instskip(NEXT) | instid1(VALU_DEP_1)
	v_cmp_eq_u16_e64 s3, 0, v1
	v_dual_cndmask_b32 v5, 0, v3, s3 :: v_dual_cndmask_b32 v4, 0, v2, s3
	s_delay_alu instid0(VALU_DEP_1) | instskip(NEXT) | instid1(VALU_DEP_1)
	v_add_nc_u64_e32 v[4:5], v[4:5], v[58:59]
	v_dual_cndmask_b32 v7, 0, v5 :: v_dual_cndmask_b32 v6, 0, v4
	s_delay_alu instid0(VALU_DEP_1) | instskip(NEXT) | instid1(VALU_DEP_1)
	v_add_nc_u64_e32 v[10:11], v[6:7], v[54:55]
	v_dual_cndmask_b32 v7, 0, v11, s1 :: v_dual_cndmask_b32 v6, 0, v10, s1
	s_delay_alu instid0(VALU_DEP_1) | instskip(NEXT) | instid1(VALU_DEP_1)
	v_add_nc_u64_e32 v[12:13], v[6:7], v[52:53]
	v_dual_cndmask_b32 v7, 0, v13, s4 :: v_dual_cndmask_b32 v6, 0, v12, s4
	;; [unrolled: 3-line block ×11, first 2 shown]
	s_and_saveexec_b32 s1, s2
	s_cbranch_execz .LBB740_174
; %bb.173:
	v_mov_b32_e32 v1, 0
	ds_load_u8 v34, v1 offset:4200
	ds_load_b64 v[32:33], v1 offset:4192
	s_wait_dscnt 0x1
	v_and_b32_e32 v35, 0xffff, v34
	s_delay_alu instid0(VALU_DEP_1) | instskip(SKIP_2) | instid1(VALU_DEP_1)
	v_cmp_eq_u32_e32 vcc_lo, 0, v35
	v_dual_cndmask_b32 v29, 0, v29 :: v_dual_cndmask_b32 v28, 0, v28
	s_wait_dscnt 0x0
	v_add_nc_u64_e32 v[28:29], v[28:29], v[32:33]
	v_mov_b32_e32 v32, 2
	s_clause 0x1
	global_store_b64 v1, v[28:29], s[38:39] offset:512
	global_store_b8 v1, v34, s[38:39] offset:520
	global_wb scope:SCOPE_DEV
	s_wait_storecnt 0x0
	global_inv scope:SCOPE_DEV
	s_wait_xcnt 0x0
	global_store_b8 v1, v32, s[40:41] offset:32 scope:SCOPE_DEV
.LBB740_174:
	s_wait_xcnt 0x0
	s_or_b32 exec_lo, exec_lo, s1
.LBB740_175:
	s_delay_alu instid0(VALU_DEP_1)
	v_add_nc_u64_e32 v[28:29], v[60:61], v[30:31]
	s_add_nc_u64 s[2:3], s[26:27], s[34:35]
	s_and_b32 vcc_lo, exec_lo, s0
	s_add_nc_u64 s[0:1], s[2:3], s[28:29]
	s_cbranch_vccz .LBB740_223
; %bb.176:
	v_mul_u32_u24_e32 v1, 14, v0
	s_add_co_i32 s33, s33, s42
	s_mov_b32 s2, exec_lo
	s_delay_alu instid0(VALU_DEP_1)
	v_cmpx_gt_u32_e64 s33, v1
	s_cbranch_execz .LBB740_196
; %bb.177:
	v_or_b32_e32 v30, 1, v1
	s_mov_b32 s3, exec_lo
	s_delay_alu instid0(VALU_DEP_1)
	v_cmpx_gt_u32_e64 s33, v30
	s_cbranch_execz .LBB740_195
; %bb.178:
	v_add_nc_u32_e32 v30, 2, v1
	s_mov_b32 s4, exec_lo
	s_delay_alu instid0(VALU_DEP_1)
	v_cmpx_gt_u32_e64 s33, v30
	s_cbranch_execz .LBB740_194
; %bb.179:
	v_add_nc_u32_e32 v30, 3, v1
	;; [unrolled: 6-line block ×8, first 2 shown]
	s_mov_b32 s11, exec_lo
	s_delay_alu instid0(VALU_DEP_1)
	v_cmpx_gt_u32_e64 s33, v30
; %bb.186:
	v_add_nc_u32_e32 v30, 10, v1
	s_mov_b32 s12, exec_lo
	s_delay_alu instid0(VALU_DEP_1)
	v_cmpx_gt_u32_e64 s33, v30
	s_or_b32 exec_lo, exec_lo, s12
; %bb.187:
	s_delay_alu instid0(SALU_CYCLE_1)
	s_or_b32 exec_lo, exec_lo, s11
.LBB740_188:
	s_delay_alu instid0(SALU_CYCLE_1)
	s_or_b32 exec_lo, exec_lo, s10
.LBB740_189:
	s_delay_alu instid0(SALU_CYCLE_1)
	s_or_b32 exec_lo, exec_lo, s9
.LBB740_190:
	s_delay_alu instid0(SALU_CYCLE_1)
	s_or_b32 exec_lo, exec_lo, s8
.LBB740_191:
	s_delay_alu instid0(SALU_CYCLE_1)
	s_or_b32 exec_lo, exec_lo, s7
.LBB740_192:
	s_delay_alu instid0(SALU_CYCLE_1)
	s_or_b32 exec_lo, exec_lo, s6
.LBB740_193:
	s_delay_alu instid0(SALU_CYCLE_1)
	s_or_b32 exec_lo, exec_lo, s5
.LBB740_194:
	s_delay_alu instid0(SALU_CYCLE_1)
	s_or_b32 exec_lo, exec_lo, s4
.LBB740_195:
	s_delay_alu instid0(SALU_CYCLE_1)
	s_or_b32 exec_lo, exec_lo, s3
.LBB740_196:
	s_delay_alu instid0(SALU_CYCLE_1)
	s_or_b32 exec_lo, exec_lo, s2
	v_dual_lshlrev_b32 v1, 3, v1 :: v_dual_mov_b32 v57, 0
	s_wait_loadcnt 0x0
	s_wait_storecnt 0x0
	s_barrier_signal -1
	s_barrier_wait -1
	v_mad_i32_i24 v30, 0xffffff98, v0, v1
	ds_store_b128 v1, v[2:5]
	ds_store_b128 v1, v[10:13] offset:16
	ds_store_b128 v1, v[6:9] offset:32
	;; [unrolled: 1-line block ×6, first 2 shown]
	s_wait_dscnt 0x0
	s_barrier_signal -1
	s_barrier_wait -1
	ds_load_2addr_stride64_b64 v[52:55], v30 offset0:4 offset1:8
	ds_load_2addr_stride64_b64 v[48:51], v30 offset0:12 offset1:16
	;; [unrolled: 1-line block ×6, first 2 shown]
	ds_load_b64 v[30:31], v30 offset:26624
	v_add_nc_u64_e32 v[56:57], s[0:1], v[56:57]
	s_mov_b32 s2, exec_lo
	v_cmpx_gt_u32_e64 s33, v0
	s_cbranch_execz .LBB740_198
; %bb.197:
	v_mul_i32_i24_e32 v58, 0xffffff98, v0
	s_delay_alu instid0(VALU_DEP_1)
	v_add_nc_u32_e32 v1, v1, v58
	ds_load_b64 v[58:59], v1
	s_wait_dscnt 0x0
	flat_store_b64 v[56:57], v[58:59]
.LBB740_198:
	s_wait_xcnt 0x0
	s_or_b32 exec_lo, exec_lo, s2
	v_or_b32_e32 v1, 0x100, v0
	s_mov_b32 s2, exec_lo
	s_delay_alu instid0(VALU_DEP_1)
	v_cmpx_gt_u32_e64 s33, v1
	s_cbranch_execz .LBB740_200
; %bb.199:
	s_wait_dscnt 0x6
	flat_store_b64 v[56:57], v[52:53] offset:2048
.LBB740_200:
	s_wait_xcnt 0x0
	s_or_b32 exec_lo, exec_lo, s2
	v_or_b32_e32 v1, 0x200, v0
	s_mov_b32 s2, exec_lo
	s_delay_alu instid0(VALU_DEP_1)
	v_cmpx_gt_u32_e64 s33, v1
	s_cbranch_execz .LBB740_202
; %bb.201:
	s_wait_dscnt 0x6
	flat_store_b64 v[56:57], v[54:55] offset:4096
.LBB740_202:
	;; [unrolled: 11-line block ×12, first 2 shown]
	s_wait_xcnt 0x0
	s_or_b32 exec_lo, exec_lo, s2
	v_or_b32_e32 v1, 0xd00, v0
	s_delay_alu instid0(VALU_DEP_1)
	v_cmp_gt_u32_e64 s2, s33, v1
	s_branch .LBB740_225
.LBB740_223:
	s_mov_b32 s2, 0
                                        ; implicit-def: $vgpr30_vgpr31
	s_cbranch_execz .LBB740_225
; %bb.224:
	v_mul_u32_u24_e32 v1, 0x70, v0
	s_wait_storecnt 0x0
	s_wait_loadcnt_dscnt 0x0
	s_barrier_signal -1
	s_barrier_wait -1
	ds_store_b128 v1, v[2:5]
	ds_store_b128 v1, v[10:13] offset:16
	v_mul_i32_i24_e32 v2, 0xffffff98, v0
	ds_store_b128 v1, v[6:9] offset:32
	ds_store_b128 v1, v[14:17] offset:48
	;; [unrolled: 1-line block ×5, first 2 shown]
	s_wait_dscnt 0x0
	s_barrier_signal -1
	s_barrier_wait -1
	v_mad_u32_u24 v1, 0x70, v0, v2
	s_or_b32 s2, s2, exec_lo
	ds_load_2addr_stride64_b64 v[2:5], v1 offset1:4
	ds_load_2addr_stride64_b64 v[6:9], v1 offset0:8 offset1:12
	ds_load_2addr_stride64_b64 v[10:13], v1 offset0:16 offset1:20
	;; [unrolled: 1-line block ×6, first 2 shown]
	s_wait_dscnt 0x6
	s_clause 0x1
	flat_store_b64 v0, v[2:3], s[0:1] scale_offset
	flat_store_b64 v0, v[4:5], s[0:1] offset:2048 scale_offset
	s_wait_dscnt 0x7
	s_clause 0x1
	flat_store_b64 v0, v[6:7], s[0:1] offset:4096 scale_offset
	flat_store_b64 v0, v[8:9], s[0:1] offset:6144 scale_offset
	s_wait_dscnt 0x8
	s_clause 0x1
	flat_store_b64 v0, v[10:11], s[0:1] offset:8192 scale_offset
	;; [unrolled: 4-line block ×5, first 2 shown]
	flat_store_b64 v0, v[24:25], s[0:1] offset:22528 scale_offset
	s_wait_dscnt 0xc
	flat_store_b64 v0, v[28:29], s[0:1] offset:24576 scale_offset
.LBB740_225:
	s_wait_xcnt 0x0
	s_delay_alu instid0(VALU_DEP_1)
	s_and_saveexec_b32 s3, s2
	s_cbranch_execz .LBB740_227
; %bb.226:
	s_wait_dscnt 0x0
	flat_store_b64 v0, v[30:31], s[0:1] offset:26624 scale_offset
	s_sendmsg sendmsg(MSG_DEALLOC_VGPRS)
	s_endpgm
.LBB740_227:
	s_sendmsg sendmsg(MSG_DEALLOC_VGPRS)
	s_endpgm
	.section	.rodata,"a",@progbits
	.p2align	6, 0x0
	.amdhsa_kernel _ZN7rocprim17ROCPRIM_400000_NS6detail17trampoline_kernelINS0_14default_configENS1_27scan_by_key_config_selectorIxxEEZZNS1_16scan_by_key_implILNS1_25lookback_scan_determinismE0ELb1ES3_N6thrust23THRUST_200600_302600_NS6detail15normal_iteratorINS9_10device_ptrIxEEEESE_SE_xNS9_4plusIxEE19head_flag_predicatexEE10hipError_tPvRmT2_T3_T4_T5_mT6_T7_P12ihipStream_tbENKUlT_T0_E_clISt17integral_constantIbLb0EESX_IbLb1EEEEDaST_SU_EUlST_E_NS1_11comp_targetILNS1_3genE0ELNS1_11target_archE4294967295ELNS1_3gpuE0ELNS1_3repE0EEENS1_30default_config_static_selectorELNS0_4arch9wavefront6targetE0EEEvT1_
		.amdhsa_group_segment_fixed_size 32768
		.amdhsa_private_segment_fixed_size 0
		.amdhsa_kernarg_size 136
		.amdhsa_user_sgpr_count 2
		.amdhsa_user_sgpr_dispatch_ptr 0
		.amdhsa_user_sgpr_queue_ptr 0
		.amdhsa_user_sgpr_kernarg_segment_ptr 1
		.amdhsa_user_sgpr_dispatch_id 0
		.amdhsa_user_sgpr_kernarg_preload_length 0
		.amdhsa_user_sgpr_kernarg_preload_offset 0
		.amdhsa_user_sgpr_private_segment_size 0
		.amdhsa_wavefront_size32 1
		.amdhsa_uses_dynamic_stack 0
		.amdhsa_enable_private_segment 0
		.amdhsa_system_sgpr_workgroup_id_x 1
		.amdhsa_system_sgpr_workgroup_id_y 0
		.amdhsa_system_sgpr_workgroup_id_z 0
		.amdhsa_system_sgpr_workgroup_info 0
		.amdhsa_system_vgpr_workitem_id 0
		.amdhsa_next_free_vgpr 111
		.amdhsa_next_free_sgpr 59
		.amdhsa_named_barrier_count 0
		.amdhsa_reserve_vcc 1
		.amdhsa_float_round_mode_32 0
		.amdhsa_float_round_mode_16_64 0
		.amdhsa_float_denorm_mode_32 3
		.amdhsa_float_denorm_mode_16_64 3
		.amdhsa_fp16_overflow 0
		.amdhsa_memory_ordered 1
		.amdhsa_forward_progress 1
		.amdhsa_inst_pref_size 126
		.amdhsa_round_robin_scheduling 0
		.amdhsa_exception_fp_ieee_invalid_op 0
		.amdhsa_exception_fp_denorm_src 0
		.amdhsa_exception_fp_ieee_div_zero 0
		.amdhsa_exception_fp_ieee_overflow 0
		.amdhsa_exception_fp_ieee_underflow 0
		.amdhsa_exception_fp_ieee_inexact 0
		.amdhsa_exception_int_div_zero 0
	.end_amdhsa_kernel
	.section	.text._ZN7rocprim17ROCPRIM_400000_NS6detail17trampoline_kernelINS0_14default_configENS1_27scan_by_key_config_selectorIxxEEZZNS1_16scan_by_key_implILNS1_25lookback_scan_determinismE0ELb1ES3_N6thrust23THRUST_200600_302600_NS6detail15normal_iteratorINS9_10device_ptrIxEEEESE_SE_xNS9_4plusIxEE19head_flag_predicatexEE10hipError_tPvRmT2_T3_T4_T5_mT6_T7_P12ihipStream_tbENKUlT_T0_E_clISt17integral_constantIbLb0EESX_IbLb1EEEEDaST_SU_EUlST_E_NS1_11comp_targetILNS1_3genE0ELNS1_11target_archE4294967295ELNS1_3gpuE0ELNS1_3repE0EEENS1_30default_config_static_selectorELNS0_4arch9wavefront6targetE0EEEvT1_,"axG",@progbits,_ZN7rocprim17ROCPRIM_400000_NS6detail17trampoline_kernelINS0_14default_configENS1_27scan_by_key_config_selectorIxxEEZZNS1_16scan_by_key_implILNS1_25lookback_scan_determinismE0ELb1ES3_N6thrust23THRUST_200600_302600_NS6detail15normal_iteratorINS9_10device_ptrIxEEEESE_SE_xNS9_4plusIxEE19head_flag_predicatexEE10hipError_tPvRmT2_T3_T4_T5_mT6_T7_P12ihipStream_tbENKUlT_T0_E_clISt17integral_constantIbLb0EESX_IbLb1EEEEDaST_SU_EUlST_E_NS1_11comp_targetILNS1_3genE0ELNS1_11target_archE4294967295ELNS1_3gpuE0ELNS1_3repE0EEENS1_30default_config_static_selectorELNS0_4arch9wavefront6targetE0EEEvT1_,comdat
.Lfunc_end740:
	.size	_ZN7rocprim17ROCPRIM_400000_NS6detail17trampoline_kernelINS0_14default_configENS1_27scan_by_key_config_selectorIxxEEZZNS1_16scan_by_key_implILNS1_25lookback_scan_determinismE0ELb1ES3_N6thrust23THRUST_200600_302600_NS6detail15normal_iteratorINS9_10device_ptrIxEEEESE_SE_xNS9_4plusIxEE19head_flag_predicatexEE10hipError_tPvRmT2_T3_T4_T5_mT6_T7_P12ihipStream_tbENKUlT_T0_E_clISt17integral_constantIbLb0EESX_IbLb1EEEEDaST_SU_EUlST_E_NS1_11comp_targetILNS1_3genE0ELNS1_11target_archE4294967295ELNS1_3gpuE0ELNS1_3repE0EEENS1_30default_config_static_selectorELNS0_4arch9wavefront6targetE0EEEvT1_, .Lfunc_end740-_ZN7rocprim17ROCPRIM_400000_NS6detail17trampoline_kernelINS0_14default_configENS1_27scan_by_key_config_selectorIxxEEZZNS1_16scan_by_key_implILNS1_25lookback_scan_determinismE0ELb1ES3_N6thrust23THRUST_200600_302600_NS6detail15normal_iteratorINS9_10device_ptrIxEEEESE_SE_xNS9_4plusIxEE19head_flag_predicatexEE10hipError_tPvRmT2_T3_T4_T5_mT6_T7_P12ihipStream_tbENKUlT_T0_E_clISt17integral_constantIbLb0EESX_IbLb1EEEEDaST_SU_EUlST_E_NS1_11comp_targetILNS1_3genE0ELNS1_11target_archE4294967295ELNS1_3gpuE0ELNS1_3repE0EEENS1_30default_config_static_selectorELNS0_4arch9wavefront6targetE0EEEvT1_
                                        ; -- End function
	.set _ZN7rocprim17ROCPRIM_400000_NS6detail17trampoline_kernelINS0_14default_configENS1_27scan_by_key_config_selectorIxxEEZZNS1_16scan_by_key_implILNS1_25lookback_scan_determinismE0ELb1ES3_N6thrust23THRUST_200600_302600_NS6detail15normal_iteratorINS9_10device_ptrIxEEEESE_SE_xNS9_4plusIxEE19head_flag_predicatexEE10hipError_tPvRmT2_T3_T4_T5_mT6_T7_P12ihipStream_tbENKUlT_T0_E_clISt17integral_constantIbLb0EESX_IbLb1EEEEDaST_SU_EUlST_E_NS1_11comp_targetILNS1_3genE0ELNS1_11target_archE4294967295ELNS1_3gpuE0ELNS1_3repE0EEENS1_30default_config_static_selectorELNS0_4arch9wavefront6targetE0EEEvT1_.num_vgpr, 111
	.set _ZN7rocprim17ROCPRIM_400000_NS6detail17trampoline_kernelINS0_14default_configENS1_27scan_by_key_config_selectorIxxEEZZNS1_16scan_by_key_implILNS1_25lookback_scan_determinismE0ELb1ES3_N6thrust23THRUST_200600_302600_NS6detail15normal_iteratorINS9_10device_ptrIxEEEESE_SE_xNS9_4plusIxEE19head_flag_predicatexEE10hipError_tPvRmT2_T3_T4_T5_mT6_T7_P12ihipStream_tbENKUlT_T0_E_clISt17integral_constantIbLb0EESX_IbLb1EEEEDaST_SU_EUlST_E_NS1_11comp_targetILNS1_3genE0ELNS1_11target_archE4294967295ELNS1_3gpuE0ELNS1_3repE0EEENS1_30default_config_static_selectorELNS0_4arch9wavefront6targetE0EEEvT1_.num_agpr, 0
	.set _ZN7rocprim17ROCPRIM_400000_NS6detail17trampoline_kernelINS0_14default_configENS1_27scan_by_key_config_selectorIxxEEZZNS1_16scan_by_key_implILNS1_25lookback_scan_determinismE0ELb1ES3_N6thrust23THRUST_200600_302600_NS6detail15normal_iteratorINS9_10device_ptrIxEEEESE_SE_xNS9_4plusIxEE19head_flag_predicatexEE10hipError_tPvRmT2_T3_T4_T5_mT6_T7_P12ihipStream_tbENKUlT_T0_E_clISt17integral_constantIbLb0EESX_IbLb1EEEEDaST_SU_EUlST_E_NS1_11comp_targetILNS1_3genE0ELNS1_11target_archE4294967295ELNS1_3gpuE0ELNS1_3repE0EEENS1_30default_config_static_selectorELNS0_4arch9wavefront6targetE0EEEvT1_.numbered_sgpr, 59
	.set _ZN7rocprim17ROCPRIM_400000_NS6detail17trampoline_kernelINS0_14default_configENS1_27scan_by_key_config_selectorIxxEEZZNS1_16scan_by_key_implILNS1_25lookback_scan_determinismE0ELb1ES3_N6thrust23THRUST_200600_302600_NS6detail15normal_iteratorINS9_10device_ptrIxEEEESE_SE_xNS9_4plusIxEE19head_flag_predicatexEE10hipError_tPvRmT2_T3_T4_T5_mT6_T7_P12ihipStream_tbENKUlT_T0_E_clISt17integral_constantIbLb0EESX_IbLb1EEEEDaST_SU_EUlST_E_NS1_11comp_targetILNS1_3genE0ELNS1_11target_archE4294967295ELNS1_3gpuE0ELNS1_3repE0EEENS1_30default_config_static_selectorELNS0_4arch9wavefront6targetE0EEEvT1_.num_named_barrier, 0
	.set _ZN7rocprim17ROCPRIM_400000_NS6detail17trampoline_kernelINS0_14default_configENS1_27scan_by_key_config_selectorIxxEEZZNS1_16scan_by_key_implILNS1_25lookback_scan_determinismE0ELb1ES3_N6thrust23THRUST_200600_302600_NS6detail15normal_iteratorINS9_10device_ptrIxEEEESE_SE_xNS9_4plusIxEE19head_flag_predicatexEE10hipError_tPvRmT2_T3_T4_T5_mT6_T7_P12ihipStream_tbENKUlT_T0_E_clISt17integral_constantIbLb0EESX_IbLb1EEEEDaST_SU_EUlST_E_NS1_11comp_targetILNS1_3genE0ELNS1_11target_archE4294967295ELNS1_3gpuE0ELNS1_3repE0EEENS1_30default_config_static_selectorELNS0_4arch9wavefront6targetE0EEEvT1_.private_seg_size, 0
	.set _ZN7rocprim17ROCPRIM_400000_NS6detail17trampoline_kernelINS0_14default_configENS1_27scan_by_key_config_selectorIxxEEZZNS1_16scan_by_key_implILNS1_25lookback_scan_determinismE0ELb1ES3_N6thrust23THRUST_200600_302600_NS6detail15normal_iteratorINS9_10device_ptrIxEEEESE_SE_xNS9_4plusIxEE19head_flag_predicatexEE10hipError_tPvRmT2_T3_T4_T5_mT6_T7_P12ihipStream_tbENKUlT_T0_E_clISt17integral_constantIbLb0EESX_IbLb1EEEEDaST_SU_EUlST_E_NS1_11comp_targetILNS1_3genE0ELNS1_11target_archE4294967295ELNS1_3gpuE0ELNS1_3repE0EEENS1_30default_config_static_selectorELNS0_4arch9wavefront6targetE0EEEvT1_.uses_vcc, 1
	.set _ZN7rocprim17ROCPRIM_400000_NS6detail17trampoline_kernelINS0_14default_configENS1_27scan_by_key_config_selectorIxxEEZZNS1_16scan_by_key_implILNS1_25lookback_scan_determinismE0ELb1ES3_N6thrust23THRUST_200600_302600_NS6detail15normal_iteratorINS9_10device_ptrIxEEEESE_SE_xNS9_4plusIxEE19head_flag_predicatexEE10hipError_tPvRmT2_T3_T4_T5_mT6_T7_P12ihipStream_tbENKUlT_T0_E_clISt17integral_constantIbLb0EESX_IbLb1EEEEDaST_SU_EUlST_E_NS1_11comp_targetILNS1_3genE0ELNS1_11target_archE4294967295ELNS1_3gpuE0ELNS1_3repE0EEENS1_30default_config_static_selectorELNS0_4arch9wavefront6targetE0EEEvT1_.uses_flat_scratch, 1
	.set _ZN7rocprim17ROCPRIM_400000_NS6detail17trampoline_kernelINS0_14default_configENS1_27scan_by_key_config_selectorIxxEEZZNS1_16scan_by_key_implILNS1_25lookback_scan_determinismE0ELb1ES3_N6thrust23THRUST_200600_302600_NS6detail15normal_iteratorINS9_10device_ptrIxEEEESE_SE_xNS9_4plusIxEE19head_flag_predicatexEE10hipError_tPvRmT2_T3_T4_T5_mT6_T7_P12ihipStream_tbENKUlT_T0_E_clISt17integral_constantIbLb0EESX_IbLb1EEEEDaST_SU_EUlST_E_NS1_11comp_targetILNS1_3genE0ELNS1_11target_archE4294967295ELNS1_3gpuE0ELNS1_3repE0EEENS1_30default_config_static_selectorELNS0_4arch9wavefront6targetE0EEEvT1_.has_dyn_sized_stack, 0
	.set _ZN7rocprim17ROCPRIM_400000_NS6detail17trampoline_kernelINS0_14default_configENS1_27scan_by_key_config_selectorIxxEEZZNS1_16scan_by_key_implILNS1_25lookback_scan_determinismE0ELb1ES3_N6thrust23THRUST_200600_302600_NS6detail15normal_iteratorINS9_10device_ptrIxEEEESE_SE_xNS9_4plusIxEE19head_flag_predicatexEE10hipError_tPvRmT2_T3_T4_T5_mT6_T7_P12ihipStream_tbENKUlT_T0_E_clISt17integral_constantIbLb0EESX_IbLb1EEEEDaST_SU_EUlST_E_NS1_11comp_targetILNS1_3genE0ELNS1_11target_archE4294967295ELNS1_3gpuE0ELNS1_3repE0EEENS1_30default_config_static_selectorELNS0_4arch9wavefront6targetE0EEEvT1_.has_recursion, 0
	.set _ZN7rocprim17ROCPRIM_400000_NS6detail17trampoline_kernelINS0_14default_configENS1_27scan_by_key_config_selectorIxxEEZZNS1_16scan_by_key_implILNS1_25lookback_scan_determinismE0ELb1ES3_N6thrust23THRUST_200600_302600_NS6detail15normal_iteratorINS9_10device_ptrIxEEEESE_SE_xNS9_4plusIxEE19head_flag_predicatexEE10hipError_tPvRmT2_T3_T4_T5_mT6_T7_P12ihipStream_tbENKUlT_T0_E_clISt17integral_constantIbLb0EESX_IbLb1EEEEDaST_SU_EUlST_E_NS1_11comp_targetILNS1_3genE0ELNS1_11target_archE4294967295ELNS1_3gpuE0ELNS1_3repE0EEENS1_30default_config_static_selectorELNS0_4arch9wavefront6targetE0EEEvT1_.has_indirect_call, 0
	.section	.AMDGPU.csdata,"",@progbits
; Kernel info:
; codeLenInByte = 16080
; TotalNumSgprs: 61
; NumVgprs: 111
; ScratchSize: 0
; MemoryBound: 0
; FloatMode: 240
; IeeeMode: 1
; LDSByteSize: 32768 bytes/workgroup (compile time only)
; SGPRBlocks: 0
; VGPRBlocks: 6
; NumSGPRsForWavesPerEU: 61
; NumVGPRsForWavesPerEU: 111
; NamedBarCnt: 0
; Occupancy: 9
; WaveLimiterHint : 1
; COMPUTE_PGM_RSRC2:SCRATCH_EN: 0
; COMPUTE_PGM_RSRC2:USER_SGPR: 2
; COMPUTE_PGM_RSRC2:TRAP_HANDLER: 0
; COMPUTE_PGM_RSRC2:TGID_X_EN: 1
; COMPUTE_PGM_RSRC2:TGID_Y_EN: 0
; COMPUTE_PGM_RSRC2:TGID_Z_EN: 0
; COMPUTE_PGM_RSRC2:TIDIG_COMP_CNT: 0
	.section	.text._ZN7rocprim17ROCPRIM_400000_NS6detail17trampoline_kernelINS0_14default_configENS1_27scan_by_key_config_selectorIxxEEZZNS1_16scan_by_key_implILNS1_25lookback_scan_determinismE0ELb1ES3_N6thrust23THRUST_200600_302600_NS6detail15normal_iteratorINS9_10device_ptrIxEEEESE_SE_xNS9_4plusIxEE19head_flag_predicatexEE10hipError_tPvRmT2_T3_T4_T5_mT6_T7_P12ihipStream_tbENKUlT_T0_E_clISt17integral_constantIbLb0EESX_IbLb1EEEEDaST_SU_EUlST_E_NS1_11comp_targetILNS1_3genE10ELNS1_11target_archE1201ELNS1_3gpuE5ELNS1_3repE0EEENS1_30default_config_static_selectorELNS0_4arch9wavefront6targetE0EEEvT1_,"axG",@progbits,_ZN7rocprim17ROCPRIM_400000_NS6detail17trampoline_kernelINS0_14default_configENS1_27scan_by_key_config_selectorIxxEEZZNS1_16scan_by_key_implILNS1_25lookback_scan_determinismE0ELb1ES3_N6thrust23THRUST_200600_302600_NS6detail15normal_iteratorINS9_10device_ptrIxEEEESE_SE_xNS9_4plusIxEE19head_flag_predicatexEE10hipError_tPvRmT2_T3_T4_T5_mT6_T7_P12ihipStream_tbENKUlT_T0_E_clISt17integral_constantIbLb0EESX_IbLb1EEEEDaST_SU_EUlST_E_NS1_11comp_targetILNS1_3genE10ELNS1_11target_archE1201ELNS1_3gpuE5ELNS1_3repE0EEENS1_30default_config_static_selectorELNS0_4arch9wavefront6targetE0EEEvT1_,comdat
	.protected	_ZN7rocprim17ROCPRIM_400000_NS6detail17trampoline_kernelINS0_14default_configENS1_27scan_by_key_config_selectorIxxEEZZNS1_16scan_by_key_implILNS1_25lookback_scan_determinismE0ELb1ES3_N6thrust23THRUST_200600_302600_NS6detail15normal_iteratorINS9_10device_ptrIxEEEESE_SE_xNS9_4plusIxEE19head_flag_predicatexEE10hipError_tPvRmT2_T3_T4_T5_mT6_T7_P12ihipStream_tbENKUlT_T0_E_clISt17integral_constantIbLb0EESX_IbLb1EEEEDaST_SU_EUlST_E_NS1_11comp_targetILNS1_3genE10ELNS1_11target_archE1201ELNS1_3gpuE5ELNS1_3repE0EEENS1_30default_config_static_selectorELNS0_4arch9wavefront6targetE0EEEvT1_ ; -- Begin function _ZN7rocprim17ROCPRIM_400000_NS6detail17trampoline_kernelINS0_14default_configENS1_27scan_by_key_config_selectorIxxEEZZNS1_16scan_by_key_implILNS1_25lookback_scan_determinismE0ELb1ES3_N6thrust23THRUST_200600_302600_NS6detail15normal_iteratorINS9_10device_ptrIxEEEESE_SE_xNS9_4plusIxEE19head_flag_predicatexEE10hipError_tPvRmT2_T3_T4_T5_mT6_T7_P12ihipStream_tbENKUlT_T0_E_clISt17integral_constantIbLb0EESX_IbLb1EEEEDaST_SU_EUlST_E_NS1_11comp_targetILNS1_3genE10ELNS1_11target_archE1201ELNS1_3gpuE5ELNS1_3repE0EEENS1_30default_config_static_selectorELNS0_4arch9wavefront6targetE0EEEvT1_
	.globl	_ZN7rocprim17ROCPRIM_400000_NS6detail17trampoline_kernelINS0_14default_configENS1_27scan_by_key_config_selectorIxxEEZZNS1_16scan_by_key_implILNS1_25lookback_scan_determinismE0ELb1ES3_N6thrust23THRUST_200600_302600_NS6detail15normal_iteratorINS9_10device_ptrIxEEEESE_SE_xNS9_4plusIxEE19head_flag_predicatexEE10hipError_tPvRmT2_T3_T4_T5_mT6_T7_P12ihipStream_tbENKUlT_T0_E_clISt17integral_constantIbLb0EESX_IbLb1EEEEDaST_SU_EUlST_E_NS1_11comp_targetILNS1_3genE10ELNS1_11target_archE1201ELNS1_3gpuE5ELNS1_3repE0EEENS1_30default_config_static_selectorELNS0_4arch9wavefront6targetE0EEEvT1_
	.p2align	8
	.type	_ZN7rocprim17ROCPRIM_400000_NS6detail17trampoline_kernelINS0_14default_configENS1_27scan_by_key_config_selectorIxxEEZZNS1_16scan_by_key_implILNS1_25lookback_scan_determinismE0ELb1ES3_N6thrust23THRUST_200600_302600_NS6detail15normal_iteratorINS9_10device_ptrIxEEEESE_SE_xNS9_4plusIxEE19head_flag_predicatexEE10hipError_tPvRmT2_T3_T4_T5_mT6_T7_P12ihipStream_tbENKUlT_T0_E_clISt17integral_constantIbLb0EESX_IbLb1EEEEDaST_SU_EUlST_E_NS1_11comp_targetILNS1_3genE10ELNS1_11target_archE1201ELNS1_3gpuE5ELNS1_3repE0EEENS1_30default_config_static_selectorELNS0_4arch9wavefront6targetE0EEEvT1_,@function
_ZN7rocprim17ROCPRIM_400000_NS6detail17trampoline_kernelINS0_14default_configENS1_27scan_by_key_config_selectorIxxEEZZNS1_16scan_by_key_implILNS1_25lookback_scan_determinismE0ELb1ES3_N6thrust23THRUST_200600_302600_NS6detail15normal_iteratorINS9_10device_ptrIxEEEESE_SE_xNS9_4plusIxEE19head_flag_predicatexEE10hipError_tPvRmT2_T3_T4_T5_mT6_T7_P12ihipStream_tbENKUlT_T0_E_clISt17integral_constantIbLb0EESX_IbLb1EEEEDaST_SU_EUlST_E_NS1_11comp_targetILNS1_3genE10ELNS1_11target_archE1201ELNS1_3gpuE5ELNS1_3repE0EEENS1_30default_config_static_selectorELNS0_4arch9wavefront6targetE0EEEvT1_: ; @_ZN7rocprim17ROCPRIM_400000_NS6detail17trampoline_kernelINS0_14default_configENS1_27scan_by_key_config_selectorIxxEEZZNS1_16scan_by_key_implILNS1_25lookback_scan_determinismE0ELb1ES3_N6thrust23THRUST_200600_302600_NS6detail15normal_iteratorINS9_10device_ptrIxEEEESE_SE_xNS9_4plusIxEE19head_flag_predicatexEE10hipError_tPvRmT2_T3_T4_T5_mT6_T7_P12ihipStream_tbENKUlT_T0_E_clISt17integral_constantIbLb0EESX_IbLb1EEEEDaST_SU_EUlST_E_NS1_11comp_targetILNS1_3genE10ELNS1_11target_archE1201ELNS1_3gpuE5ELNS1_3repE0EEENS1_30default_config_static_selectorELNS0_4arch9wavefront6targetE0EEEvT1_
; %bb.0:
	.section	.rodata,"a",@progbits
	.p2align	6, 0x0
	.amdhsa_kernel _ZN7rocprim17ROCPRIM_400000_NS6detail17trampoline_kernelINS0_14default_configENS1_27scan_by_key_config_selectorIxxEEZZNS1_16scan_by_key_implILNS1_25lookback_scan_determinismE0ELb1ES3_N6thrust23THRUST_200600_302600_NS6detail15normal_iteratorINS9_10device_ptrIxEEEESE_SE_xNS9_4plusIxEE19head_flag_predicatexEE10hipError_tPvRmT2_T3_T4_T5_mT6_T7_P12ihipStream_tbENKUlT_T0_E_clISt17integral_constantIbLb0EESX_IbLb1EEEEDaST_SU_EUlST_E_NS1_11comp_targetILNS1_3genE10ELNS1_11target_archE1201ELNS1_3gpuE5ELNS1_3repE0EEENS1_30default_config_static_selectorELNS0_4arch9wavefront6targetE0EEEvT1_
		.amdhsa_group_segment_fixed_size 0
		.amdhsa_private_segment_fixed_size 0
		.amdhsa_kernarg_size 136
		.amdhsa_user_sgpr_count 2
		.amdhsa_user_sgpr_dispatch_ptr 0
		.amdhsa_user_sgpr_queue_ptr 0
		.amdhsa_user_sgpr_kernarg_segment_ptr 1
		.amdhsa_user_sgpr_dispatch_id 0
		.amdhsa_user_sgpr_kernarg_preload_length 0
		.amdhsa_user_sgpr_kernarg_preload_offset 0
		.amdhsa_user_sgpr_private_segment_size 0
		.amdhsa_wavefront_size32 1
		.amdhsa_uses_dynamic_stack 0
		.amdhsa_enable_private_segment 0
		.amdhsa_system_sgpr_workgroup_id_x 1
		.amdhsa_system_sgpr_workgroup_id_y 0
		.amdhsa_system_sgpr_workgroup_id_z 0
		.amdhsa_system_sgpr_workgroup_info 0
		.amdhsa_system_vgpr_workitem_id 0
		.amdhsa_next_free_vgpr 1
		.amdhsa_next_free_sgpr 1
		.amdhsa_named_barrier_count 0
		.amdhsa_reserve_vcc 0
		.amdhsa_float_round_mode_32 0
		.amdhsa_float_round_mode_16_64 0
		.amdhsa_float_denorm_mode_32 3
		.amdhsa_float_denorm_mode_16_64 3
		.amdhsa_fp16_overflow 0
		.amdhsa_memory_ordered 1
		.amdhsa_forward_progress 1
		.amdhsa_inst_pref_size 0
		.amdhsa_round_robin_scheduling 0
		.amdhsa_exception_fp_ieee_invalid_op 0
		.amdhsa_exception_fp_denorm_src 0
		.amdhsa_exception_fp_ieee_div_zero 0
		.amdhsa_exception_fp_ieee_overflow 0
		.amdhsa_exception_fp_ieee_underflow 0
		.amdhsa_exception_fp_ieee_inexact 0
		.amdhsa_exception_int_div_zero 0
	.end_amdhsa_kernel
	.section	.text._ZN7rocprim17ROCPRIM_400000_NS6detail17trampoline_kernelINS0_14default_configENS1_27scan_by_key_config_selectorIxxEEZZNS1_16scan_by_key_implILNS1_25lookback_scan_determinismE0ELb1ES3_N6thrust23THRUST_200600_302600_NS6detail15normal_iteratorINS9_10device_ptrIxEEEESE_SE_xNS9_4plusIxEE19head_flag_predicatexEE10hipError_tPvRmT2_T3_T4_T5_mT6_T7_P12ihipStream_tbENKUlT_T0_E_clISt17integral_constantIbLb0EESX_IbLb1EEEEDaST_SU_EUlST_E_NS1_11comp_targetILNS1_3genE10ELNS1_11target_archE1201ELNS1_3gpuE5ELNS1_3repE0EEENS1_30default_config_static_selectorELNS0_4arch9wavefront6targetE0EEEvT1_,"axG",@progbits,_ZN7rocprim17ROCPRIM_400000_NS6detail17trampoline_kernelINS0_14default_configENS1_27scan_by_key_config_selectorIxxEEZZNS1_16scan_by_key_implILNS1_25lookback_scan_determinismE0ELb1ES3_N6thrust23THRUST_200600_302600_NS6detail15normal_iteratorINS9_10device_ptrIxEEEESE_SE_xNS9_4plusIxEE19head_flag_predicatexEE10hipError_tPvRmT2_T3_T4_T5_mT6_T7_P12ihipStream_tbENKUlT_T0_E_clISt17integral_constantIbLb0EESX_IbLb1EEEEDaST_SU_EUlST_E_NS1_11comp_targetILNS1_3genE10ELNS1_11target_archE1201ELNS1_3gpuE5ELNS1_3repE0EEENS1_30default_config_static_selectorELNS0_4arch9wavefront6targetE0EEEvT1_,comdat
.Lfunc_end741:
	.size	_ZN7rocprim17ROCPRIM_400000_NS6detail17trampoline_kernelINS0_14default_configENS1_27scan_by_key_config_selectorIxxEEZZNS1_16scan_by_key_implILNS1_25lookback_scan_determinismE0ELb1ES3_N6thrust23THRUST_200600_302600_NS6detail15normal_iteratorINS9_10device_ptrIxEEEESE_SE_xNS9_4plusIxEE19head_flag_predicatexEE10hipError_tPvRmT2_T3_T4_T5_mT6_T7_P12ihipStream_tbENKUlT_T0_E_clISt17integral_constantIbLb0EESX_IbLb1EEEEDaST_SU_EUlST_E_NS1_11comp_targetILNS1_3genE10ELNS1_11target_archE1201ELNS1_3gpuE5ELNS1_3repE0EEENS1_30default_config_static_selectorELNS0_4arch9wavefront6targetE0EEEvT1_, .Lfunc_end741-_ZN7rocprim17ROCPRIM_400000_NS6detail17trampoline_kernelINS0_14default_configENS1_27scan_by_key_config_selectorIxxEEZZNS1_16scan_by_key_implILNS1_25lookback_scan_determinismE0ELb1ES3_N6thrust23THRUST_200600_302600_NS6detail15normal_iteratorINS9_10device_ptrIxEEEESE_SE_xNS9_4plusIxEE19head_flag_predicatexEE10hipError_tPvRmT2_T3_T4_T5_mT6_T7_P12ihipStream_tbENKUlT_T0_E_clISt17integral_constantIbLb0EESX_IbLb1EEEEDaST_SU_EUlST_E_NS1_11comp_targetILNS1_3genE10ELNS1_11target_archE1201ELNS1_3gpuE5ELNS1_3repE0EEENS1_30default_config_static_selectorELNS0_4arch9wavefront6targetE0EEEvT1_
                                        ; -- End function
	.set _ZN7rocprim17ROCPRIM_400000_NS6detail17trampoline_kernelINS0_14default_configENS1_27scan_by_key_config_selectorIxxEEZZNS1_16scan_by_key_implILNS1_25lookback_scan_determinismE0ELb1ES3_N6thrust23THRUST_200600_302600_NS6detail15normal_iteratorINS9_10device_ptrIxEEEESE_SE_xNS9_4plusIxEE19head_flag_predicatexEE10hipError_tPvRmT2_T3_T4_T5_mT6_T7_P12ihipStream_tbENKUlT_T0_E_clISt17integral_constantIbLb0EESX_IbLb1EEEEDaST_SU_EUlST_E_NS1_11comp_targetILNS1_3genE10ELNS1_11target_archE1201ELNS1_3gpuE5ELNS1_3repE0EEENS1_30default_config_static_selectorELNS0_4arch9wavefront6targetE0EEEvT1_.num_vgpr, 0
	.set _ZN7rocprim17ROCPRIM_400000_NS6detail17trampoline_kernelINS0_14default_configENS1_27scan_by_key_config_selectorIxxEEZZNS1_16scan_by_key_implILNS1_25lookback_scan_determinismE0ELb1ES3_N6thrust23THRUST_200600_302600_NS6detail15normal_iteratorINS9_10device_ptrIxEEEESE_SE_xNS9_4plusIxEE19head_flag_predicatexEE10hipError_tPvRmT2_T3_T4_T5_mT6_T7_P12ihipStream_tbENKUlT_T0_E_clISt17integral_constantIbLb0EESX_IbLb1EEEEDaST_SU_EUlST_E_NS1_11comp_targetILNS1_3genE10ELNS1_11target_archE1201ELNS1_3gpuE5ELNS1_3repE0EEENS1_30default_config_static_selectorELNS0_4arch9wavefront6targetE0EEEvT1_.num_agpr, 0
	.set _ZN7rocprim17ROCPRIM_400000_NS6detail17trampoline_kernelINS0_14default_configENS1_27scan_by_key_config_selectorIxxEEZZNS1_16scan_by_key_implILNS1_25lookback_scan_determinismE0ELb1ES3_N6thrust23THRUST_200600_302600_NS6detail15normal_iteratorINS9_10device_ptrIxEEEESE_SE_xNS9_4plusIxEE19head_flag_predicatexEE10hipError_tPvRmT2_T3_T4_T5_mT6_T7_P12ihipStream_tbENKUlT_T0_E_clISt17integral_constantIbLb0EESX_IbLb1EEEEDaST_SU_EUlST_E_NS1_11comp_targetILNS1_3genE10ELNS1_11target_archE1201ELNS1_3gpuE5ELNS1_3repE0EEENS1_30default_config_static_selectorELNS0_4arch9wavefront6targetE0EEEvT1_.numbered_sgpr, 0
	.set _ZN7rocprim17ROCPRIM_400000_NS6detail17trampoline_kernelINS0_14default_configENS1_27scan_by_key_config_selectorIxxEEZZNS1_16scan_by_key_implILNS1_25lookback_scan_determinismE0ELb1ES3_N6thrust23THRUST_200600_302600_NS6detail15normal_iteratorINS9_10device_ptrIxEEEESE_SE_xNS9_4plusIxEE19head_flag_predicatexEE10hipError_tPvRmT2_T3_T4_T5_mT6_T7_P12ihipStream_tbENKUlT_T0_E_clISt17integral_constantIbLb0EESX_IbLb1EEEEDaST_SU_EUlST_E_NS1_11comp_targetILNS1_3genE10ELNS1_11target_archE1201ELNS1_3gpuE5ELNS1_3repE0EEENS1_30default_config_static_selectorELNS0_4arch9wavefront6targetE0EEEvT1_.num_named_barrier, 0
	.set _ZN7rocprim17ROCPRIM_400000_NS6detail17trampoline_kernelINS0_14default_configENS1_27scan_by_key_config_selectorIxxEEZZNS1_16scan_by_key_implILNS1_25lookback_scan_determinismE0ELb1ES3_N6thrust23THRUST_200600_302600_NS6detail15normal_iteratorINS9_10device_ptrIxEEEESE_SE_xNS9_4plusIxEE19head_flag_predicatexEE10hipError_tPvRmT2_T3_T4_T5_mT6_T7_P12ihipStream_tbENKUlT_T0_E_clISt17integral_constantIbLb0EESX_IbLb1EEEEDaST_SU_EUlST_E_NS1_11comp_targetILNS1_3genE10ELNS1_11target_archE1201ELNS1_3gpuE5ELNS1_3repE0EEENS1_30default_config_static_selectorELNS0_4arch9wavefront6targetE0EEEvT1_.private_seg_size, 0
	.set _ZN7rocprim17ROCPRIM_400000_NS6detail17trampoline_kernelINS0_14default_configENS1_27scan_by_key_config_selectorIxxEEZZNS1_16scan_by_key_implILNS1_25lookback_scan_determinismE0ELb1ES3_N6thrust23THRUST_200600_302600_NS6detail15normal_iteratorINS9_10device_ptrIxEEEESE_SE_xNS9_4plusIxEE19head_flag_predicatexEE10hipError_tPvRmT2_T3_T4_T5_mT6_T7_P12ihipStream_tbENKUlT_T0_E_clISt17integral_constantIbLb0EESX_IbLb1EEEEDaST_SU_EUlST_E_NS1_11comp_targetILNS1_3genE10ELNS1_11target_archE1201ELNS1_3gpuE5ELNS1_3repE0EEENS1_30default_config_static_selectorELNS0_4arch9wavefront6targetE0EEEvT1_.uses_vcc, 0
	.set _ZN7rocprim17ROCPRIM_400000_NS6detail17trampoline_kernelINS0_14default_configENS1_27scan_by_key_config_selectorIxxEEZZNS1_16scan_by_key_implILNS1_25lookback_scan_determinismE0ELb1ES3_N6thrust23THRUST_200600_302600_NS6detail15normal_iteratorINS9_10device_ptrIxEEEESE_SE_xNS9_4plusIxEE19head_flag_predicatexEE10hipError_tPvRmT2_T3_T4_T5_mT6_T7_P12ihipStream_tbENKUlT_T0_E_clISt17integral_constantIbLb0EESX_IbLb1EEEEDaST_SU_EUlST_E_NS1_11comp_targetILNS1_3genE10ELNS1_11target_archE1201ELNS1_3gpuE5ELNS1_3repE0EEENS1_30default_config_static_selectorELNS0_4arch9wavefront6targetE0EEEvT1_.uses_flat_scratch, 0
	.set _ZN7rocprim17ROCPRIM_400000_NS6detail17trampoline_kernelINS0_14default_configENS1_27scan_by_key_config_selectorIxxEEZZNS1_16scan_by_key_implILNS1_25lookback_scan_determinismE0ELb1ES3_N6thrust23THRUST_200600_302600_NS6detail15normal_iteratorINS9_10device_ptrIxEEEESE_SE_xNS9_4plusIxEE19head_flag_predicatexEE10hipError_tPvRmT2_T3_T4_T5_mT6_T7_P12ihipStream_tbENKUlT_T0_E_clISt17integral_constantIbLb0EESX_IbLb1EEEEDaST_SU_EUlST_E_NS1_11comp_targetILNS1_3genE10ELNS1_11target_archE1201ELNS1_3gpuE5ELNS1_3repE0EEENS1_30default_config_static_selectorELNS0_4arch9wavefront6targetE0EEEvT1_.has_dyn_sized_stack, 0
	.set _ZN7rocprim17ROCPRIM_400000_NS6detail17trampoline_kernelINS0_14default_configENS1_27scan_by_key_config_selectorIxxEEZZNS1_16scan_by_key_implILNS1_25lookback_scan_determinismE0ELb1ES3_N6thrust23THRUST_200600_302600_NS6detail15normal_iteratorINS9_10device_ptrIxEEEESE_SE_xNS9_4plusIxEE19head_flag_predicatexEE10hipError_tPvRmT2_T3_T4_T5_mT6_T7_P12ihipStream_tbENKUlT_T0_E_clISt17integral_constantIbLb0EESX_IbLb1EEEEDaST_SU_EUlST_E_NS1_11comp_targetILNS1_3genE10ELNS1_11target_archE1201ELNS1_3gpuE5ELNS1_3repE0EEENS1_30default_config_static_selectorELNS0_4arch9wavefront6targetE0EEEvT1_.has_recursion, 0
	.set _ZN7rocprim17ROCPRIM_400000_NS6detail17trampoline_kernelINS0_14default_configENS1_27scan_by_key_config_selectorIxxEEZZNS1_16scan_by_key_implILNS1_25lookback_scan_determinismE0ELb1ES3_N6thrust23THRUST_200600_302600_NS6detail15normal_iteratorINS9_10device_ptrIxEEEESE_SE_xNS9_4plusIxEE19head_flag_predicatexEE10hipError_tPvRmT2_T3_T4_T5_mT6_T7_P12ihipStream_tbENKUlT_T0_E_clISt17integral_constantIbLb0EESX_IbLb1EEEEDaST_SU_EUlST_E_NS1_11comp_targetILNS1_3genE10ELNS1_11target_archE1201ELNS1_3gpuE5ELNS1_3repE0EEENS1_30default_config_static_selectorELNS0_4arch9wavefront6targetE0EEEvT1_.has_indirect_call, 0
	.section	.AMDGPU.csdata,"",@progbits
; Kernel info:
; codeLenInByte = 0
; TotalNumSgprs: 0
; NumVgprs: 0
; ScratchSize: 0
; MemoryBound: 0
; FloatMode: 240
; IeeeMode: 1
; LDSByteSize: 0 bytes/workgroup (compile time only)
; SGPRBlocks: 0
; VGPRBlocks: 0
; NumSGPRsForWavesPerEU: 1
; NumVGPRsForWavesPerEU: 1
; NamedBarCnt: 0
; Occupancy: 16
; WaveLimiterHint : 0
; COMPUTE_PGM_RSRC2:SCRATCH_EN: 0
; COMPUTE_PGM_RSRC2:USER_SGPR: 2
; COMPUTE_PGM_RSRC2:TRAP_HANDLER: 0
; COMPUTE_PGM_RSRC2:TGID_X_EN: 1
; COMPUTE_PGM_RSRC2:TGID_Y_EN: 0
; COMPUTE_PGM_RSRC2:TGID_Z_EN: 0
; COMPUTE_PGM_RSRC2:TIDIG_COMP_CNT: 0
	.section	.text._ZN7rocprim17ROCPRIM_400000_NS6detail17trampoline_kernelINS0_14default_configENS1_27scan_by_key_config_selectorIxxEEZZNS1_16scan_by_key_implILNS1_25lookback_scan_determinismE0ELb1ES3_N6thrust23THRUST_200600_302600_NS6detail15normal_iteratorINS9_10device_ptrIxEEEESE_SE_xNS9_4plusIxEE19head_flag_predicatexEE10hipError_tPvRmT2_T3_T4_T5_mT6_T7_P12ihipStream_tbENKUlT_T0_E_clISt17integral_constantIbLb0EESX_IbLb1EEEEDaST_SU_EUlST_E_NS1_11comp_targetILNS1_3genE5ELNS1_11target_archE942ELNS1_3gpuE9ELNS1_3repE0EEENS1_30default_config_static_selectorELNS0_4arch9wavefront6targetE0EEEvT1_,"axG",@progbits,_ZN7rocprim17ROCPRIM_400000_NS6detail17trampoline_kernelINS0_14default_configENS1_27scan_by_key_config_selectorIxxEEZZNS1_16scan_by_key_implILNS1_25lookback_scan_determinismE0ELb1ES3_N6thrust23THRUST_200600_302600_NS6detail15normal_iteratorINS9_10device_ptrIxEEEESE_SE_xNS9_4plusIxEE19head_flag_predicatexEE10hipError_tPvRmT2_T3_T4_T5_mT6_T7_P12ihipStream_tbENKUlT_T0_E_clISt17integral_constantIbLb0EESX_IbLb1EEEEDaST_SU_EUlST_E_NS1_11comp_targetILNS1_3genE5ELNS1_11target_archE942ELNS1_3gpuE9ELNS1_3repE0EEENS1_30default_config_static_selectorELNS0_4arch9wavefront6targetE0EEEvT1_,comdat
	.protected	_ZN7rocprim17ROCPRIM_400000_NS6detail17trampoline_kernelINS0_14default_configENS1_27scan_by_key_config_selectorIxxEEZZNS1_16scan_by_key_implILNS1_25lookback_scan_determinismE0ELb1ES3_N6thrust23THRUST_200600_302600_NS6detail15normal_iteratorINS9_10device_ptrIxEEEESE_SE_xNS9_4plusIxEE19head_flag_predicatexEE10hipError_tPvRmT2_T3_T4_T5_mT6_T7_P12ihipStream_tbENKUlT_T0_E_clISt17integral_constantIbLb0EESX_IbLb1EEEEDaST_SU_EUlST_E_NS1_11comp_targetILNS1_3genE5ELNS1_11target_archE942ELNS1_3gpuE9ELNS1_3repE0EEENS1_30default_config_static_selectorELNS0_4arch9wavefront6targetE0EEEvT1_ ; -- Begin function _ZN7rocprim17ROCPRIM_400000_NS6detail17trampoline_kernelINS0_14default_configENS1_27scan_by_key_config_selectorIxxEEZZNS1_16scan_by_key_implILNS1_25lookback_scan_determinismE0ELb1ES3_N6thrust23THRUST_200600_302600_NS6detail15normal_iteratorINS9_10device_ptrIxEEEESE_SE_xNS9_4plusIxEE19head_flag_predicatexEE10hipError_tPvRmT2_T3_T4_T5_mT6_T7_P12ihipStream_tbENKUlT_T0_E_clISt17integral_constantIbLb0EESX_IbLb1EEEEDaST_SU_EUlST_E_NS1_11comp_targetILNS1_3genE5ELNS1_11target_archE942ELNS1_3gpuE9ELNS1_3repE0EEENS1_30default_config_static_selectorELNS0_4arch9wavefront6targetE0EEEvT1_
	.globl	_ZN7rocprim17ROCPRIM_400000_NS6detail17trampoline_kernelINS0_14default_configENS1_27scan_by_key_config_selectorIxxEEZZNS1_16scan_by_key_implILNS1_25lookback_scan_determinismE0ELb1ES3_N6thrust23THRUST_200600_302600_NS6detail15normal_iteratorINS9_10device_ptrIxEEEESE_SE_xNS9_4plusIxEE19head_flag_predicatexEE10hipError_tPvRmT2_T3_T4_T5_mT6_T7_P12ihipStream_tbENKUlT_T0_E_clISt17integral_constantIbLb0EESX_IbLb1EEEEDaST_SU_EUlST_E_NS1_11comp_targetILNS1_3genE5ELNS1_11target_archE942ELNS1_3gpuE9ELNS1_3repE0EEENS1_30default_config_static_selectorELNS0_4arch9wavefront6targetE0EEEvT1_
	.p2align	8
	.type	_ZN7rocprim17ROCPRIM_400000_NS6detail17trampoline_kernelINS0_14default_configENS1_27scan_by_key_config_selectorIxxEEZZNS1_16scan_by_key_implILNS1_25lookback_scan_determinismE0ELb1ES3_N6thrust23THRUST_200600_302600_NS6detail15normal_iteratorINS9_10device_ptrIxEEEESE_SE_xNS9_4plusIxEE19head_flag_predicatexEE10hipError_tPvRmT2_T3_T4_T5_mT6_T7_P12ihipStream_tbENKUlT_T0_E_clISt17integral_constantIbLb0EESX_IbLb1EEEEDaST_SU_EUlST_E_NS1_11comp_targetILNS1_3genE5ELNS1_11target_archE942ELNS1_3gpuE9ELNS1_3repE0EEENS1_30default_config_static_selectorELNS0_4arch9wavefront6targetE0EEEvT1_,@function
_ZN7rocprim17ROCPRIM_400000_NS6detail17trampoline_kernelINS0_14default_configENS1_27scan_by_key_config_selectorIxxEEZZNS1_16scan_by_key_implILNS1_25lookback_scan_determinismE0ELb1ES3_N6thrust23THRUST_200600_302600_NS6detail15normal_iteratorINS9_10device_ptrIxEEEESE_SE_xNS9_4plusIxEE19head_flag_predicatexEE10hipError_tPvRmT2_T3_T4_T5_mT6_T7_P12ihipStream_tbENKUlT_T0_E_clISt17integral_constantIbLb0EESX_IbLb1EEEEDaST_SU_EUlST_E_NS1_11comp_targetILNS1_3genE5ELNS1_11target_archE942ELNS1_3gpuE9ELNS1_3repE0EEENS1_30default_config_static_selectorELNS0_4arch9wavefront6targetE0EEEvT1_: ; @_ZN7rocprim17ROCPRIM_400000_NS6detail17trampoline_kernelINS0_14default_configENS1_27scan_by_key_config_selectorIxxEEZZNS1_16scan_by_key_implILNS1_25lookback_scan_determinismE0ELb1ES3_N6thrust23THRUST_200600_302600_NS6detail15normal_iteratorINS9_10device_ptrIxEEEESE_SE_xNS9_4plusIxEE19head_flag_predicatexEE10hipError_tPvRmT2_T3_T4_T5_mT6_T7_P12ihipStream_tbENKUlT_T0_E_clISt17integral_constantIbLb0EESX_IbLb1EEEEDaST_SU_EUlST_E_NS1_11comp_targetILNS1_3genE5ELNS1_11target_archE942ELNS1_3gpuE9ELNS1_3repE0EEENS1_30default_config_static_selectorELNS0_4arch9wavefront6targetE0EEEvT1_
; %bb.0:
	.section	.rodata,"a",@progbits
	.p2align	6, 0x0
	.amdhsa_kernel _ZN7rocprim17ROCPRIM_400000_NS6detail17trampoline_kernelINS0_14default_configENS1_27scan_by_key_config_selectorIxxEEZZNS1_16scan_by_key_implILNS1_25lookback_scan_determinismE0ELb1ES3_N6thrust23THRUST_200600_302600_NS6detail15normal_iteratorINS9_10device_ptrIxEEEESE_SE_xNS9_4plusIxEE19head_flag_predicatexEE10hipError_tPvRmT2_T3_T4_T5_mT6_T7_P12ihipStream_tbENKUlT_T0_E_clISt17integral_constantIbLb0EESX_IbLb1EEEEDaST_SU_EUlST_E_NS1_11comp_targetILNS1_3genE5ELNS1_11target_archE942ELNS1_3gpuE9ELNS1_3repE0EEENS1_30default_config_static_selectorELNS0_4arch9wavefront6targetE0EEEvT1_
		.amdhsa_group_segment_fixed_size 0
		.amdhsa_private_segment_fixed_size 0
		.amdhsa_kernarg_size 136
		.amdhsa_user_sgpr_count 2
		.amdhsa_user_sgpr_dispatch_ptr 0
		.amdhsa_user_sgpr_queue_ptr 0
		.amdhsa_user_sgpr_kernarg_segment_ptr 1
		.amdhsa_user_sgpr_dispatch_id 0
		.amdhsa_user_sgpr_kernarg_preload_length 0
		.amdhsa_user_sgpr_kernarg_preload_offset 0
		.amdhsa_user_sgpr_private_segment_size 0
		.amdhsa_wavefront_size32 1
		.amdhsa_uses_dynamic_stack 0
		.amdhsa_enable_private_segment 0
		.amdhsa_system_sgpr_workgroup_id_x 1
		.amdhsa_system_sgpr_workgroup_id_y 0
		.amdhsa_system_sgpr_workgroup_id_z 0
		.amdhsa_system_sgpr_workgroup_info 0
		.amdhsa_system_vgpr_workitem_id 0
		.amdhsa_next_free_vgpr 1
		.amdhsa_next_free_sgpr 1
		.amdhsa_named_barrier_count 0
		.amdhsa_reserve_vcc 0
		.amdhsa_float_round_mode_32 0
		.amdhsa_float_round_mode_16_64 0
		.amdhsa_float_denorm_mode_32 3
		.amdhsa_float_denorm_mode_16_64 3
		.amdhsa_fp16_overflow 0
		.amdhsa_memory_ordered 1
		.amdhsa_forward_progress 1
		.amdhsa_inst_pref_size 0
		.amdhsa_round_robin_scheduling 0
		.amdhsa_exception_fp_ieee_invalid_op 0
		.amdhsa_exception_fp_denorm_src 0
		.amdhsa_exception_fp_ieee_div_zero 0
		.amdhsa_exception_fp_ieee_overflow 0
		.amdhsa_exception_fp_ieee_underflow 0
		.amdhsa_exception_fp_ieee_inexact 0
		.amdhsa_exception_int_div_zero 0
	.end_amdhsa_kernel
	.section	.text._ZN7rocprim17ROCPRIM_400000_NS6detail17trampoline_kernelINS0_14default_configENS1_27scan_by_key_config_selectorIxxEEZZNS1_16scan_by_key_implILNS1_25lookback_scan_determinismE0ELb1ES3_N6thrust23THRUST_200600_302600_NS6detail15normal_iteratorINS9_10device_ptrIxEEEESE_SE_xNS9_4plusIxEE19head_flag_predicatexEE10hipError_tPvRmT2_T3_T4_T5_mT6_T7_P12ihipStream_tbENKUlT_T0_E_clISt17integral_constantIbLb0EESX_IbLb1EEEEDaST_SU_EUlST_E_NS1_11comp_targetILNS1_3genE5ELNS1_11target_archE942ELNS1_3gpuE9ELNS1_3repE0EEENS1_30default_config_static_selectorELNS0_4arch9wavefront6targetE0EEEvT1_,"axG",@progbits,_ZN7rocprim17ROCPRIM_400000_NS6detail17trampoline_kernelINS0_14default_configENS1_27scan_by_key_config_selectorIxxEEZZNS1_16scan_by_key_implILNS1_25lookback_scan_determinismE0ELb1ES3_N6thrust23THRUST_200600_302600_NS6detail15normal_iteratorINS9_10device_ptrIxEEEESE_SE_xNS9_4plusIxEE19head_flag_predicatexEE10hipError_tPvRmT2_T3_T4_T5_mT6_T7_P12ihipStream_tbENKUlT_T0_E_clISt17integral_constantIbLb0EESX_IbLb1EEEEDaST_SU_EUlST_E_NS1_11comp_targetILNS1_3genE5ELNS1_11target_archE942ELNS1_3gpuE9ELNS1_3repE0EEENS1_30default_config_static_selectorELNS0_4arch9wavefront6targetE0EEEvT1_,comdat
.Lfunc_end742:
	.size	_ZN7rocprim17ROCPRIM_400000_NS6detail17trampoline_kernelINS0_14default_configENS1_27scan_by_key_config_selectorIxxEEZZNS1_16scan_by_key_implILNS1_25lookback_scan_determinismE0ELb1ES3_N6thrust23THRUST_200600_302600_NS6detail15normal_iteratorINS9_10device_ptrIxEEEESE_SE_xNS9_4plusIxEE19head_flag_predicatexEE10hipError_tPvRmT2_T3_T4_T5_mT6_T7_P12ihipStream_tbENKUlT_T0_E_clISt17integral_constantIbLb0EESX_IbLb1EEEEDaST_SU_EUlST_E_NS1_11comp_targetILNS1_3genE5ELNS1_11target_archE942ELNS1_3gpuE9ELNS1_3repE0EEENS1_30default_config_static_selectorELNS0_4arch9wavefront6targetE0EEEvT1_, .Lfunc_end742-_ZN7rocprim17ROCPRIM_400000_NS6detail17trampoline_kernelINS0_14default_configENS1_27scan_by_key_config_selectorIxxEEZZNS1_16scan_by_key_implILNS1_25lookback_scan_determinismE0ELb1ES3_N6thrust23THRUST_200600_302600_NS6detail15normal_iteratorINS9_10device_ptrIxEEEESE_SE_xNS9_4plusIxEE19head_flag_predicatexEE10hipError_tPvRmT2_T3_T4_T5_mT6_T7_P12ihipStream_tbENKUlT_T0_E_clISt17integral_constantIbLb0EESX_IbLb1EEEEDaST_SU_EUlST_E_NS1_11comp_targetILNS1_3genE5ELNS1_11target_archE942ELNS1_3gpuE9ELNS1_3repE0EEENS1_30default_config_static_selectorELNS0_4arch9wavefront6targetE0EEEvT1_
                                        ; -- End function
	.set _ZN7rocprim17ROCPRIM_400000_NS6detail17trampoline_kernelINS0_14default_configENS1_27scan_by_key_config_selectorIxxEEZZNS1_16scan_by_key_implILNS1_25lookback_scan_determinismE0ELb1ES3_N6thrust23THRUST_200600_302600_NS6detail15normal_iteratorINS9_10device_ptrIxEEEESE_SE_xNS9_4plusIxEE19head_flag_predicatexEE10hipError_tPvRmT2_T3_T4_T5_mT6_T7_P12ihipStream_tbENKUlT_T0_E_clISt17integral_constantIbLb0EESX_IbLb1EEEEDaST_SU_EUlST_E_NS1_11comp_targetILNS1_3genE5ELNS1_11target_archE942ELNS1_3gpuE9ELNS1_3repE0EEENS1_30default_config_static_selectorELNS0_4arch9wavefront6targetE0EEEvT1_.num_vgpr, 0
	.set _ZN7rocprim17ROCPRIM_400000_NS6detail17trampoline_kernelINS0_14default_configENS1_27scan_by_key_config_selectorIxxEEZZNS1_16scan_by_key_implILNS1_25lookback_scan_determinismE0ELb1ES3_N6thrust23THRUST_200600_302600_NS6detail15normal_iteratorINS9_10device_ptrIxEEEESE_SE_xNS9_4plusIxEE19head_flag_predicatexEE10hipError_tPvRmT2_T3_T4_T5_mT6_T7_P12ihipStream_tbENKUlT_T0_E_clISt17integral_constantIbLb0EESX_IbLb1EEEEDaST_SU_EUlST_E_NS1_11comp_targetILNS1_3genE5ELNS1_11target_archE942ELNS1_3gpuE9ELNS1_3repE0EEENS1_30default_config_static_selectorELNS0_4arch9wavefront6targetE0EEEvT1_.num_agpr, 0
	.set _ZN7rocprim17ROCPRIM_400000_NS6detail17trampoline_kernelINS0_14default_configENS1_27scan_by_key_config_selectorIxxEEZZNS1_16scan_by_key_implILNS1_25lookback_scan_determinismE0ELb1ES3_N6thrust23THRUST_200600_302600_NS6detail15normal_iteratorINS9_10device_ptrIxEEEESE_SE_xNS9_4plusIxEE19head_flag_predicatexEE10hipError_tPvRmT2_T3_T4_T5_mT6_T7_P12ihipStream_tbENKUlT_T0_E_clISt17integral_constantIbLb0EESX_IbLb1EEEEDaST_SU_EUlST_E_NS1_11comp_targetILNS1_3genE5ELNS1_11target_archE942ELNS1_3gpuE9ELNS1_3repE0EEENS1_30default_config_static_selectorELNS0_4arch9wavefront6targetE0EEEvT1_.numbered_sgpr, 0
	.set _ZN7rocprim17ROCPRIM_400000_NS6detail17trampoline_kernelINS0_14default_configENS1_27scan_by_key_config_selectorIxxEEZZNS1_16scan_by_key_implILNS1_25lookback_scan_determinismE0ELb1ES3_N6thrust23THRUST_200600_302600_NS6detail15normal_iteratorINS9_10device_ptrIxEEEESE_SE_xNS9_4plusIxEE19head_flag_predicatexEE10hipError_tPvRmT2_T3_T4_T5_mT6_T7_P12ihipStream_tbENKUlT_T0_E_clISt17integral_constantIbLb0EESX_IbLb1EEEEDaST_SU_EUlST_E_NS1_11comp_targetILNS1_3genE5ELNS1_11target_archE942ELNS1_3gpuE9ELNS1_3repE0EEENS1_30default_config_static_selectorELNS0_4arch9wavefront6targetE0EEEvT1_.num_named_barrier, 0
	.set _ZN7rocprim17ROCPRIM_400000_NS6detail17trampoline_kernelINS0_14default_configENS1_27scan_by_key_config_selectorIxxEEZZNS1_16scan_by_key_implILNS1_25lookback_scan_determinismE0ELb1ES3_N6thrust23THRUST_200600_302600_NS6detail15normal_iteratorINS9_10device_ptrIxEEEESE_SE_xNS9_4plusIxEE19head_flag_predicatexEE10hipError_tPvRmT2_T3_T4_T5_mT6_T7_P12ihipStream_tbENKUlT_T0_E_clISt17integral_constantIbLb0EESX_IbLb1EEEEDaST_SU_EUlST_E_NS1_11comp_targetILNS1_3genE5ELNS1_11target_archE942ELNS1_3gpuE9ELNS1_3repE0EEENS1_30default_config_static_selectorELNS0_4arch9wavefront6targetE0EEEvT1_.private_seg_size, 0
	.set _ZN7rocprim17ROCPRIM_400000_NS6detail17trampoline_kernelINS0_14default_configENS1_27scan_by_key_config_selectorIxxEEZZNS1_16scan_by_key_implILNS1_25lookback_scan_determinismE0ELb1ES3_N6thrust23THRUST_200600_302600_NS6detail15normal_iteratorINS9_10device_ptrIxEEEESE_SE_xNS9_4plusIxEE19head_flag_predicatexEE10hipError_tPvRmT2_T3_T4_T5_mT6_T7_P12ihipStream_tbENKUlT_T0_E_clISt17integral_constantIbLb0EESX_IbLb1EEEEDaST_SU_EUlST_E_NS1_11comp_targetILNS1_3genE5ELNS1_11target_archE942ELNS1_3gpuE9ELNS1_3repE0EEENS1_30default_config_static_selectorELNS0_4arch9wavefront6targetE0EEEvT1_.uses_vcc, 0
	.set _ZN7rocprim17ROCPRIM_400000_NS6detail17trampoline_kernelINS0_14default_configENS1_27scan_by_key_config_selectorIxxEEZZNS1_16scan_by_key_implILNS1_25lookback_scan_determinismE0ELb1ES3_N6thrust23THRUST_200600_302600_NS6detail15normal_iteratorINS9_10device_ptrIxEEEESE_SE_xNS9_4plusIxEE19head_flag_predicatexEE10hipError_tPvRmT2_T3_T4_T5_mT6_T7_P12ihipStream_tbENKUlT_T0_E_clISt17integral_constantIbLb0EESX_IbLb1EEEEDaST_SU_EUlST_E_NS1_11comp_targetILNS1_3genE5ELNS1_11target_archE942ELNS1_3gpuE9ELNS1_3repE0EEENS1_30default_config_static_selectorELNS0_4arch9wavefront6targetE0EEEvT1_.uses_flat_scratch, 0
	.set _ZN7rocprim17ROCPRIM_400000_NS6detail17trampoline_kernelINS0_14default_configENS1_27scan_by_key_config_selectorIxxEEZZNS1_16scan_by_key_implILNS1_25lookback_scan_determinismE0ELb1ES3_N6thrust23THRUST_200600_302600_NS6detail15normal_iteratorINS9_10device_ptrIxEEEESE_SE_xNS9_4plusIxEE19head_flag_predicatexEE10hipError_tPvRmT2_T3_T4_T5_mT6_T7_P12ihipStream_tbENKUlT_T0_E_clISt17integral_constantIbLb0EESX_IbLb1EEEEDaST_SU_EUlST_E_NS1_11comp_targetILNS1_3genE5ELNS1_11target_archE942ELNS1_3gpuE9ELNS1_3repE0EEENS1_30default_config_static_selectorELNS0_4arch9wavefront6targetE0EEEvT1_.has_dyn_sized_stack, 0
	.set _ZN7rocprim17ROCPRIM_400000_NS6detail17trampoline_kernelINS0_14default_configENS1_27scan_by_key_config_selectorIxxEEZZNS1_16scan_by_key_implILNS1_25lookback_scan_determinismE0ELb1ES3_N6thrust23THRUST_200600_302600_NS6detail15normal_iteratorINS9_10device_ptrIxEEEESE_SE_xNS9_4plusIxEE19head_flag_predicatexEE10hipError_tPvRmT2_T3_T4_T5_mT6_T7_P12ihipStream_tbENKUlT_T0_E_clISt17integral_constantIbLb0EESX_IbLb1EEEEDaST_SU_EUlST_E_NS1_11comp_targetILNS1_3genE5ELNS1_11target_archE942ELNS1_3gpuE9ELNS1_3repE0EEENS1_30default_config_static_selectorELNS0_4arch9wavefront6targetE0EEEvT1_.has_recursion, 0
	.set _ZN7rocprim17ROCPRIM_400000_NS6detail17trampoline_kernelINS0_14default_configENS1_27scan_by_key_config_selectorIxxEEZZNS1_16scan_by_key_implILNS1_25lookback_scan_determinismE0ELb1ES3_N6thrust23THRUST_200600_302600_NS6detail15normal_iteratorINS9_10device_ptrIxEEEESE_SE_xNS9_4plusIxEE19head_flag_predicatexEE10hipError_tPvRmT2_T3_T4_T5_mT6_T7_P12ihipStream_tbENKUlT_T0_E_clISt17integral_constantIbLb0EESX_IbLb1EEEEDaST_SU_EUlST_E_NS1_11comp_targetILNS1_3genE5ELNS1_11target_archE942ELNS1_3gpuE9ELNS1_3repE0EEENS1_30default_config_static_selectorELNS0_4arch9wavefront6targetE0EEEvT1_.has_indirect_call, 0
	.section	.AMDGPU.csdata,"",@progbits
; Kernel info:
; codeLenInByte = 0
; TotalNumSgprs: 0
; NumVgprs: 0
; ScratchSize: 0
; MemoryBound: 0
; FloatMode: 240
; IeeeMode: 1
; LDSByteSize: 0 bytes/workgroup (compile time only)
; SGPRBlocks: 0
; VGPRBlocks: 0
; NumSGPRsForWavesPerEU: 1
; NumVGPRsForWavesPerEU: 1
; NamedBarCnt: 0
; Occupancy: 16
; WaveLimiterHint : 0
; COMPUTE_PGM_RSRC2:SCRATCH_EN: 0
; COMPUTE_PGM_RSRC2:USER_SGPR: 2
; COMPUTE_PGM_RSRC2:TRAP_HANDLER: 0
; COMPUTE_PGM_RSRC2:TGID_X_EN: 1
; COMPUTE_PGM_RSRC2:TGID_Y_EN: 0
; COMPUTE_PGM_RSRC2:TGID_Z_EN: 0
; COMPUTE_PGM_RSRC2:TIDIG_COMP_CNT: 0
	.section	.text._ZN7rocprim17ROCPRIM_400000_NS6detail17trampoline_kernelINS0_14default_configENS1_27scan_by_key_config_selectorIxxEEZZNS1_16scan_by_key_implILNS1_25lookback_scan_determinismE0ELb1ES3_N6thrust23THRUST_200600_302600_NS6detail15normal_iteratorINS9_10device_ptrIxEEEESE_SE_xNS9_4plusIxEE19head_flag_predicatexEE10hipError_tPvRmT2_T3_T4_T5_mT6_T7_P12ihipStream_tbENKUlT_T0_E_clISt17integral_constantIbLb0EESX_IbLb1EEEEDaST_SU_EUlST_E_NS1_11comp_targetILNS1_3genE4ELNS1_11target_archE910ELNS1_3gpuE8ELNS1_3repE0EEENS1_30default_config_static_selectorELNS0_4arch9wavefront6targetE0EEEvT1_,"axG",@progbits,_ZN7rocprim17ROCPRIM_400000_NS6detail17trampoline_kernelINS0_14default_configENS1_27scan_by_key_config_selectorIxxEEZZNS1_16scan_by_key_implILNS1_25lookback_scan_determinismE0ELb1ES3_N6thrust23THRUST_200600_302600_NS6detail15normal_iteratorINS9_10device_ptrIxEEEESE_SE_xNS9_4plusIxEE19head_flag_predicatexEE10hipError_tPvRmT2_T3_T4_T5_mT6_T7_P12ihipStream_tbENKUlT_T0_E_clISt17integral_constantIbLb0EESX_IbLb1EEEEDaST_SU_EUlST_E_NS1_11comp_targetILNS1_3genE4ELNS1_11target_archE910ELNS1_3gpuE8ELNS1_3repE0EEENS1_30default_config_static_selectorELNS0_4arch9wavefront6targetE0EEEvT1_,comdat
	.protected	_ZN7rocprim17ROCPRIM_400000_NS6detail17trampoline_kernelINS0_14default_configENS1_27scan_by_key_config_selectorIxxEEZZNS1_16scan_by_key_implILNS1_25lookback_scan_determinismE0ELb1ES3_N6thrust23THRUST_200600_302600_NS6detail15normal_iteratorINS9_10device_ptrIxEEEESE_SE_xNS9_4plusIxEE19head_flag_predicatexEE10hipError_tPvRmT2_T3_T4_T5_mT6_T7_P12ihipStream_tbENKUlT_T0_E_clISt17integral_constantIbLb0EESX_IbLb1EEEEDaST_SU_EUlST_E_NS1_11comp_targetILNS1_3genE4ELNS1_11target_archE910ELNS1_3gpuE8ELNS1_3repE0EEENS1_30default_config_static_selectorELNS0_4arch9wavefront6targetE0EEEvT1_ ; -- Begin function _ZN7rocprim17ROCPRIM_400000_NS6detail17trampoline_kernelINS0_14default_configENS1_27scan_by_key_config_selectorIxxEEZZNS1_16scan_by_key_implILNS1_25lookback_scan_determinismE0ELb1ES3_N6thrust23THRUST_200600_302600_NS6detail15normal_iteratorINS9_10device_ptrIxEEEESE_SE_xNS9_4plusIxEE19head_flag_predicatexEE10hipError_tPvRmT2_T3_T4_T5_mT6_T7_P12ihipStream_tbENKUlT_T0_E_clISt17integral_constantIbLb0EESX_IbLb1EEEEDaST_SU_EUlST_E_NS1_11comp_targetILNS1_3genE4ELNS1_11target_archE910ELNS1_3gpuE8ELNS1_3repE0EEENS1_30default_config_static_selectorELNS0_4arch9wavefront6targetE0EEEvT1_
	.globl	_ZN7rocprim17ROCPRIM_400000_NS6detail17trampoline_kernelINS0_14default_configENS1_27scan_by_key_config_selectorIxxEEZZNS1_16scan_by_key_implILNS1_25lookback_scan_determinismE0ELb1ES3_N6thrust23THRUST_200600_302600_NS6detail15normal_iteratorINS9_10device_ptrIxEEEESE_SE_xNS9_4plusIxEE19head_flag_predicatexEE10hipError_tPvRmT2_T3_T4_T5_mT6_T7_P12ihipStream_tbENKUlT_T0_E_clISt17integral_constantIbLb0EESX_IbLb1EEEEDaST_SU_EUlST_E_NS1_11comp_targetILNS1_3genE4ELNS1_11target_archE910ELNS1_3gpuE8ELNS1_3repE0EEENS1_30default_config_static_selectorELNS0_4arch9wavefront6targetE0EEEvT1_
	.p2align	8
	.type	_ZN7rocprim17ROCPRIM_400000_NS6detail17trampoline_kernelINS0_14default_configENS1_27scan_by_key_config_selectorIxxEEZZNS1_16scan_by_key_implILNS1_25lookback_scan_determinismE0ELb1ES3_N6thrust23THRUST_200600_302600_NS6detail15normal_iteratorINS9_10device_ptrIxEEEESE_SE_xNS9_4plusIxEE19head_flag_predicatexEE10hipError_tPvRmT2_T3_T4_T5_mT6_T7_P12ihipStream_tbENKUlT_T0_E_clISt17integral_constantIbLb0EESX_IbLb1EEEEDaST_SU_EUlST_E_NS1_11comp_targetILNS1_3genE4ELNS1_11target_archE910ELNS1_3gpuE8ELNS1_3repE0EEENS1_30default_config_static_selectorELNS0_4arch9wavefront6targetE0EEEvT1_,@function
_ZN7rocprim17ROCPRIM_400000_NS6detail17trampoline_kernelINS0_14default_configENS1_27scan_by_key_config_selectorIxxEEZZNS1_16scan_by_key_implILNS1_25lookback_scan_determinismE0ELb1ES3_N6thrust23THRUST_200600_302600_NS6detail15normal_iteratorINS9_10device_ptrIxEEEESE_SE_xNS9_4plusIxEE19head_flag_predicatexEE10hipError_tPvRmT2_T3_T4_T5_mT6_T7_P12ihipStream_tbENKUlT_T0_E_clISt17integral_constantIbLb0EESX_IbLb1EEEEDaST_SU_EUlST_E_NS1_11comp_targetILNS1_3genE4ELNS1_11target_archE910ELNS1_3gpuE8ELNS1_3repE0EEENS1_30default_config_static_selectorELNS0_4arch9wavefront6targetE0EEEvT1_: ; @_ZN7rocprim17ROCPRIM_400000_NS6detail17trampoline_kernelINS0_14default_configENS1_27scan_by_key_config_selectorIxxEEZZNS1_16scan_by_key_implILNS1_25lookback_scan_determinismE0ELb1ES3_N6thrust23THRUST_200600_302600_NS6detail15normal_iteratorINS9_10device_ptrIxEEEESE_SE_xNS9_4plusIxEE19head_flag_predicatexEE10hipError_tPvRmT2_T3_T4_T5_mT6_T7_P12ihipStream_tbENKUlT_T0_E_clISt17integral_constantIbLb0EESX_IbLb1EEEEDaST_SU_EUlST_E_NS1_11comp_targetILNS1_3genE4ELNS1_11target_archE910ELNS1_3gpuE8ELNS1_3repE0EEENS1_30default_config_static_selectorELNS0_4arch9wavefront6targetE0EEEvT1_
; %bb.0:
	.section	.rodata,"a",@progbits
	.p2align	6, 0x0
	.amdhsa_kernel _ZN7rocprim17ROCPRIM_400000_NS6detail17trampoline_kernelINS0_14default_configENS1_27scan_by_key_config_selectorIxxEEZZNS1_16scan_by_key_implILNS1_25lookback_scan_determinismE0ELb1ES3_N6thrust23THRUST_200600_302600_NS6detail15normal_iteratorINS9_10device_ptrIxEEEESE_SE_xNS9_4plusIxEE19head_flag_predicatexEE10hipError_tPvRmT2_T3_T4_T5_mT6_T7_P12ihipStream_tbENKUlT_T0_E_clISt17integral_constantIbLb0EESX_IbLb1EEEEDaST_SU_EUlST_E_NS1_11comp_targetILNS1_3genE4ELNS1_11target_archE910ELNS1_3gpuE8ELNS1_3repE0EEENS1_30default_config_static_selectorELNS0_4arch9wavefront6targetE0EEEvT1_
		.amdhsa_group_segment_fixed_size 0
		.amdhsa_private_segment_fixed_size 0
		.amdhsa_kernarg_size 136
		.amdhsa_user_sgpr_count 2
		.amdhsa_user_sgpr_dispatch_ptr 0
		.amdhsa_user_sgpr_queue_ptr 0
		.amdhsa_user_sgpr_kernarg_segment_ptr 1
		.amdhsa_user_sgpr_dispatch_id 0
		.amdhsa_user_sgpr_kernarg_preload_length 0
		.amdhsa_user_sgpr_kernarg_preload_offset 0
		.amdhsa_user_sgpr_private_segment_size 0
		.amdhsa_wavefront_size32 1
		.amdhsa_uses_dynamic_stack 0
		.amdhsa_enable_private_segment 0
		.amdhsa_system_sgpr_workgroup_id_x 1
		.amdhsa_system_sgpr_workgroup_id_y 0
		.amdhsa_system_sgpr_workgroup_id_z 0
		.amdhsa_system_sgpr_workgroup_info 0
		.amdhsa_system_vgpr_workitem_id 0
		.amdhsa_next_free_vgpr 1
		.amdhsa_next_free_sgpr 1
		.amdhsa_named_barrier_count 0
		.amdhsa_reserve_vcc 0
		.amdhsa_float_round_mode_32 0
		.amdhsa_float_round_mode_16_64 0
		.amdhsa_float_denorm_mode_32 3
		.amdhsa_float_denorm_mode_16_64 3
		.amdhsa_fp16_overflow 0
		.amdhsa_memory_ordered 1
		.amdhsa_forward_progress 1
		.amdhsa_inst_pref_size 0
		.amdhsa_round_robin_scheduling 0
		.amdhsa_exception_fp_ieee_invalid_op 0
		.amdhsa_exception_fp_denorm_src 0
		.amdhsa_exception_fp_ieee_div_zero 0
		.amdhsa_exception_fp_ieee_overflow 0
		.amdhsa_exception_fp_ieee_underflow 0
		.amdhsa_exception_fp_ieee_inexact 0
		.amdhsa_exception_int_div_zero 0
	.end_amdhsa_kernel
	.section	.text._ZN7rocprim17ROCPRIM_400000_NS6detail17trampoline_kernelINS0_14default_configENS1_27scan_by_key_config_selectorIxxEEZZNS1_16scan_by_key_implILNS1_25lookback_scan_determinismE0ELb1ES3_N6thrust23THRUST_200600_302600_NS6detail15normal_iteratorINS9_10device_ptrIxEEEESE_SE_xNS9_4plusIxEE19head_flag_predicatexEE10hipError_tPvRmT2_T3_T4_T5_mT6_T7_P12ihipStream_tbENKUlT_T0_E_clISt17integral_constantIbLb0EESX_IbLb1EEEEDaST_SU_EUlST_E_NS1_11comp_targetILNS1_3genE4ELNS1_11target_archE910ELNS1_3gpuE8ELNS1_3repE0EEENS1_30default_config_static_selectorELNS0_4arch9wavefront6targetE0EEEvT1_,"axG",@progbits,_ZN7rocprim17ROCPRIM_400000_NS6detail17trampoline_kernelINS0_14default_configENS1_27scan_by_key_config_selectorIxxEEZZNS1_16scan_by_key_implILNS1_25lookback_scan_determinismE0ELb1ES3_N6thrust23THRUST_200600_302600_NS6detail15normal_iteratorINS9_10device_ptrIxEEEESE_SE_xNS9_4plusIxEE19head_flag_predicatexEE10hipError_tPvRmT2_T3_T4_T5_mT6_T7_P12ihipStream_tbENKUlT_T0_E_clISt17integral_constantIbLb0EESX_IbLb1EEEEDaST_SU_EUlST_E_NS1_11comp_targetILNS1_3genE4ELNS1_11target_archE910ELNS1_3gpuE8ELNS1_3repE0EEENS1_30default_config_static_selectorELNS0_4arch9wavefront6targetE0EEEvT1_,comdat
.Lfunc_end743:
	.size	_ZN7rocprim17ROCPRIM_400000_NS6detail17trampoline_kernelINS0_14default_configENS1_27scan_by_key_config_selectorIxxEEZZNS1_16scan_by_key_implILNS1_25lookback_scan_determinismE0ELb1ES3_N6thrust23THRUST_200600_302600_NS6detail15normal_iteratorINS9_10device_ptrIxEEEESE_SE_xNS9_4plusIxEE19head_flag_predicatexEE10hipError_tPvRmT2_T3_T4_T5_mT6_T7_P12ihipStream_tbENKUlT_T0_E_clISt17integral_constantIbLb0EESX_IbLb1EEEEDaST_SU_EUlST_E_NS1_11comp_targetILNS1_3genE4ELNS1_11target_archE910ELNS1_3gpuE8ELNS1_3repE0EEENS1_30default_config_static_selectorELNS0_4arch9wavefront6targetE0EEEvT1_, .Lfunc_end743-_ZN7rocprim17ROCPRIM_400000_NS6detail17trampoline_kernelINS0_14default_configENS1_27scan_by_key_config_selectorIxxEEZZNS1_16scan_by_key_implILNS1_25lookback_scan_determinismE0ELb1ES3_N6thrust23THRUST_200600_302600_NS6detail15normal_iteratorINS9_10device_ptrIxEEEESE_SE_xNS9_4plusIxEE19head_flag_predicatexEE10hipError_tPvRmT2_T3_T4_T5_mT6_T7_P12ihipStream_tbENKUlT_T0_E_clISt17integral_constantIbLb0EESX_IbLb1EEEEDaST_SU_EUlST_E_NS1_11comp_targetILNS1_3genE4ELNS1_11target_archE910ELNS1_3gpuE8ELNS1_3repE0EEENS1_30default_config_static_selectorELNS0_4arch9wavefront6targetE0EEEvT1_
                                        ; -- End function
	.set _ZN7rocprim17ROCPRIM_400000_NS6detail17trampoline_kernelINS0_14default_configENS1_27scan_by_key_config_selectorIxxEEZZNS1_16scan_by_key_implILNS1_25lookback_scan_determinismE0ELb1ES3_N6thrust23THRUST_200600_302600_NS6detail15normal_iteratorINS9_10device_ptrIxEEEESE_SE_xNS9_4plusIxEE19head_flag_predicatexEE10hipError_tPvRmT2_T3_T4_T5_mT6_T7_P12ihipStream_tbENKUlT_T0_E_clISt17integral_constantIbLb0EESX_IbLb1EEEEDaST_SU_EUlST_E_NS1_11comp_targetILNS1_3genE4ELNS1_11target_archE910ELNS1_3gpuE8ELNS1_3repE0EEENS1_30default_config_static_selectorELNS0_4arch9wavefront6targetE0EEEvT1_.num_vgpr, 0
	.set _ZN7rocprim17ROCPRIM_400000_NS6detail17trampoline_kernelINS0_14default_configENS1_27scan_by_key_config_selectorIxxEEZZNS1_16scan_by_key_implILNS1_25lookback_scan_determinismE0ELb1ES3_N6thrust23THRUST_200600_302600_NS6detail15normal_iteratorINS9_10device_ptrIxEEEESE_SE_xNS9_4plusIxEE19head_flag_predicatexEE10hipError_tPvRmT2_T3_T4_T5_mT6_T7_P12ihipStream_tbENKUlT_T0_E_clISt17integral_constantIbLb0EESX_IbLb1EEEEDaST_SU_EUlST_E_NS1_11comp_targetILNS1_3genE4ELNS1_11target_archE910ELNS1_3gpuE8ELNS1_3repE0EEENS1_30default_config_static_selectorELNS0_4arch9wavefront6targetE0EEEvT1_.num_agpr, 0
	.set _ZN7rocprim17ROCPRIM_400000_NS6detail17trampoline_kernelINS0_14default_configENS1_27scan_by_key_config_selectorIxxEEZZNS1_16scan_by_key_implILNS1_25lookback_scan_determinismE0ELb1ES3_N6thrust23THRUST_200600_302600_NS6detail15normal_iteratorINS9_10device_ptrIxEEEESE_SE_xNS9_4plusIxEE19head_flag_predicatexEE10hipError_tPvRmT2_T3_T4_T5_mT6_T7_P12ihipStream_tbENKUlT_T0_E_clISt17integral_constantIbLb0EESX_IbLb1EEEEDaST_SU_EUlST_E_NS1_11comp_targetILNS1_3genE4ELNS1_11target_archE910ELNS1_3gpuE8ELNS1_3repE0EEENS1_30default_config_static_selectorELNS0_4arch9wavefront6targetE0EEEvT1_.numbered_sgpr, 0
	.set _ZN7rocprim17ROCPRIM_400000_NS6detail17trampoline_kernelINS0_14default_configENS1_27scan_by_key_config_selectorIxxEEZZNS1_16scan_by_key_implILNS1_25lookback_scan_determinismE0ELb1ES3_N6thrust23THRUST_200600_302600_NS6detail15normal_iteratorINS9_10device_ptrIxEEEESE_SE_xNS9_4plusIxEE19head_flag_predicatexEE10hipError_tPvRmT2_T3_T4_T5_mT6_T7_P12ihipStream_tbENKUlT_T0_E_clISt17integral_constantIbLb0EESX_IbLb1EEEEDaST_SU_EUlST_E_NS1_11comp_targetILNS1_3genE4ELNS1_11target_archE910ELNS1_3gpuE8ELNS1_3repE0EEENS1_30default_config_static_selectorELNS0_4arch9wavefront6targetE0EEEvT1_.num_named_barrier, 0
	.set _ZN7rocprim17ROCPRIM_400000_NS6detail17trampoline_kernelINS0_14default_configENS1_27scan_by_key_config_selectorIxxEEZZNS1_16scan_by_key_implILNS1_25lookback_scan_determinismE0ELb1ES3_N6thrust23THRUST_200600_302600_NS6detail15normal_iteratorINS9_10device_ptrIxEEEESE_SE_xNS9_4plusIxEE19head_flag_predicatexEE10hipError_tPvRmT2_T3_T4_T5_mT6_T7_P12ihipStream_tbENKUlT_T0_E_clISt17integral_constantIbLb0EESX_IbLb1EEEEDaST_SU_EUlST_E_NS1_11comp_targetILNS1_3genE4ELNS1_11target_archE910ELNS1_3gpuE8ELNS1_3repE0EEENS1_30default_config_static_selectorELNS0_4arch9wavefront6targetE0EEEvT1_.private_seg_size, 0
	.set _ZN7rocprim17ROCPRIM_400000_NS6detail17trampoline_kernelINS0_14default_configENS1_27scan_by_key_config_selectorIxxEEZZNS1_16scan_by_key_implILNS1_25lookback_scan_determinismE0ELb1ES3_N6thrust23THRUST_200600_302600_NS6detail15normal_iteratorINS9_10device_ptrIxEEEESE_SE_xNS9_4plusIxEE19head_flag_predicatexEE10hipError_tPvRmT2_T3_T4_T5_mT6_T7_P12ihipStream_tbENKUlT_T0_E_clISt17integral_constantIbLb0EESX_IbLb1EEEEDaST_SU_EUlST_E_NS1_11comp_targetILNS1_3genE4ELNS1_11target_archE910ELNS1_3gpuE8ELNS1_3repE0EEENS1_30default_config_static_selectorELNS0_4arch9wavefront6targetE0EEEvT1_.uses_vcc, 0
	.set _ZN7rocprim17ROCPRIM_400000_NS6detail17trampoline_kernelINS0_14default_configENS1_27scan_by_key_config_selectorIxxEEZZNS1_16scan_by_key_implILNS1_25lookback_scan_determinismE0ELb1ES3_N6thrust23THRUST_200600_302600_NS6detail15normal_iteratorINS9_10device_ptrIxEEEESE_SE_xNS9_4plusIxEE19head_flag_predicatexEE10hipError_tPvRmT2_T3_T4_T5_mT6_T7_P12ihipStream_tbENKUlT_T0_E_clISt17integral_constantIbLb0EESX_IbLb1EEEEDaST_SU_EUlST_E_NS1_11comp_targetILNS1_3genE4ELNS1_11target_archE910ELNS1_3gpuE8ELNS1_3repE0EEENS1_30default_config_static_selectorELNS0_4arch9wavefront6targetE0EEEvT1_.uses_flat_scratch, 0
	.set _ZN7rocprim17ROCPRIM_400000_NS6detail17trampoline_kernelINS0_14default_configENS1_27scan_by_key_config_selectorIxxEEZZNS1_16scan_by_key_implILNS1_25lookback_scan_determinismE0ELb1ES3_N6thrust23THRUST_200600_302600_NS6detail15normal_iteratorINS9_10device_ptrIxEEEESE_SE_xNS9_4plusIxEE19head_flag_predicatexEE10hipError_tPvRmT2_T3_T4_T5_mT6_T7_P12ihipStream_tbENKUlT_T0_E_clISt17integral_constantIbLb0EESX_IbLb1EEEEDaST_SU_EUlST_E_NS1_11comp_targetILNS1_3genE4ELNS1_11target_archE910ELNS1_3gpuE8ELNS1_3repE0EEENS1_30default_config_static_selectorELNS0_4arch9wavefront6targetE0EEEvT1_.has_dyn_sized_stack, 0
	.set _ZN7rocprim17ROCPRIM_400000_NS6detail17trampoline_kernelINS0_14default_configENS1_27scan_by_key_config_selectorIxxEEZZNS1_16scan_by_key_implILNS1_25lookback_scan_determinismE0ELb1ES3_N6thrust23THRUST_200600_302600_NS6detail15normal_iteratorINS9_10device_ptrIxEEEESE_SE_xNS9_4plusIxEE19head_flag_predicatexEE10hipError_tPvRmT2_T3_T4_T5_mT6_T7_P12ihipStream_tbENKUlT_T0_E_clISt17integral_constantIbLb0EESX_IbLb1EEEEDaST_SU_EUlST_E_NS1_11comp_targetILNS1_3genE4ELNS1_11target_archE910ELNS1_3gpuE8ELNS1_3repE0EEENS1_30default_config_static_selectorELNS0_4arch9wavefront6targetE0EEEvT1_.has_recursion, 0
	.set _ZN7rocprim17ROCPRIM_400000_NS6detail17trampoline_kernelINS0_14default_configENS1_27scan_by_key_config_selectorIxxEEZZNS1_16scan_by_key_implILNS1_25lookback_scan_determinismE0ELb1ES3_N6thrust23THRUST_200600_302600_NS6detail15normal_iteratorINS9_10device_ptrIxEEEESE_SE_xNS9_4plusIxEE19head_flag_predicatexEE10hipError_tPvRmT2_T3_T4_T5_mT6_T7_P12ihipStream_tbENKUlT_T0_E_clISt17integral_constantIbLb0EESX_IbLb1EEEEDaST_SU_EUlST_E_NS1_11comp_targetILNS1_3genE4ELNS1_11target_archE910ELNS1_3gpuE8ELNS1_3repE0EEENS1_30default_config_static_selectorELNS0_4arch9wavefront6targetE0EEEvT1_.has_indirect_call, 0
	.section	.AMDGPU.csdata,"",@progbits
; Kernel info:
; codeLenInByte = 0
; TotalNumSgprs: 0
; NumVgprs: 0
; ScratchSize: 0
; MemoryBound: 0
; FloatMode: 240
; IeeeMode: 1
; LDSByteSize: 0 bytes/workgroup (compile time only)
; SGPRBlocks: 0
; VGPRBlocks: 0
; NumSGPRsForWavesPerEU: 1
; NumVGPRsForWavesPerEU: 1
; NamedBarCnt: 0
; Occupancy: 16
; WaveLimiterHint : 0
; COMPUTE_PGM_RSRC2:SCRATCH_EN: 0
; COMPUTE_PGM_RSRC2:USER_SGPR: 2
; COMPUTE_PGM_RSRC2:TRAP_HANDLER: 0
; COMPUTE_PGM_RSRC2:TGID_X_EN: 1
; COMPUTE_PGM_RSRC2:TGID_Y_EN: 0
; COMPUTE_PGM_RSRC2:TGID_Z_EN: 0
; COMPUTE_PGM_RSRC2:TIDIG_COMP_CNT: 0
	.section	.text._ZN7rocprim17ROCPRIM_400000_NS6detail17trampoline_kernelINS0_14default_configENS1_27scan_by_key_config_selectorIxxEEZZNS1_16scan_by_key_implILNS1_25lookback_scan_determinismE0ELb1ES3_N6thrust23THRUST_200600_302600_NS6detail15normal_iteratorINS9_10device_ptrIxEEEESE_SE_xNS9_4plusIxEE19head_flag_predicatexEE10hipError_tPvRmT2_T3_T4_T5_mT6_T7_P12ihipStream_tbENKUlT_T0_E_clISt17integral_constantIbLb0EESX_IbLb1EEEEDaST_SU_EUlST_E_NS1_11comp_targetILNS1_3genE3ELNS1_11target_archE908ELNS1_3gpuE7ELNS1_3repE0EEENS1_30default_config_static_selectorELNS0_4arch9wavefront6targetE0EEEvT1_,"axG",@progbits,_ZN7rocprim17ROCPRIM_400000_NS6detail17trampoline_kernelINS0_14default_configENS1_27scan_by_key_config_selectorIxxEEZZNS1_16scan_by_key_implILNS1_25lookback_scan_determinismE0ELb1ES3_N6thrust23THRUST_200600_302600_NS6detail15normal_iteratorINS9_10device_ptrIxEEEESE_SE_xNS9_4plusIxEE19head_flag_predicatexEE10hipError_tPvRmT2_T3_T4_T5_mT6_T7_P12ihipStream_tbENKUlT_T0_E_clISt17integral_constantIbLb0EESX_IbLb1EEEEDaST_SU_EUlST_E_NS1_11comp_targetILNS1_3genE3ELNS1_11target_archE908ELNS1_3gpuE7ELNS1_3repE0EEENS1_30default_config_static_selectorELNS0_4arch9wavefront6targetE0EEEvT1_,comdat
	.protected	_ZN7rocprim17ROCPRIM_400000_NS6detail17trampoline_kernelINS0_14default_configENS1_27scan_by_key_config_selectorIxxEEZZNS1_16scan_by_key_implILNS1_25lookback_scan_determinismE0ELb1ES3_N6thrust23THRUST_200600_302600_NS6detail15normal_iteratorINS9_10device_ptrIxEEEESE_SE_xNS9_4plusIxEE19head_flag_predicatexEE10hipError_tPvRmT2_T3_T4_T5_mT6_T7_P12ihipStream_tbENKUlT_T0_E_clISt17integral_constantIbLb0EESX_IbLb1EEEEDaST_SU_EUlST_E_NS1_11comp_targetILNS1_3genE3ELNS1_11target_archE908ELNS1_3gpuE7ELNS1_3repE0EEENS1_30default_config_static_selectorELNS0_4arch9wavefront6targetE0EEEvT1_ ; -- Begin function _ZN7rocprim17ROCPRIM_400000_NS6detail17trampoline_kernelINS0_14default_configENS1_27scan_by_key_config_selectorIxxEEZZNS1_16scan_by_key_implILNS1_25lookback_scan_determinismE0ELb1ES3_N6thrust23THRUST_200600_302600_NS6detail15normal_iteratorINS9_10device_ptrIxEEEESE_SE_xNS9_4plusIxEE19head_flag_predicatexEE10hipError_tPvRmT2_T3_T4_T5_mT6_T7_P12ihipStream_tbENKUlT_T0_E_clISt17integral_constantIbLb0EESX_IbLb1EEEEDaST_SU_EUlST_E_NS1_11comp_targetILNS1_3genE3ELNS1_11target_archE908ELNS1_3gpuE7ELNS1_3repE0EEENS1_30default_config_static_selectorELNS0_4arch9wavefront6targetE0EEEvT1_
	.globl	_ZN7rocprim17ROCPRIM_400000_NS6detail17trampoline_kernelINS0_14default_configENS1_27scan_by_key_config_selectorIxxEEZZNS1_16scan_by_key_implILNS1_25lookback_scan_determinismE0ELb1ES3_N6thrust23THRUST_200600_302600_NS6detail15normal_iteratorINS9_10device_ptrIxEEEESE_SE_xNS9_4plusIxEE19head_flag_predicatexEE10hipError_tPvRmT2_T3_T4_T5_mT6_T7_P12ihipStream_tbENKUlT_T0_E_clISt17integral_constantIbLb0EESX_IbLb1EEEEDaST_SU_EUlST_E_NS1_11comp_targetILNS1_3genE3ELNS1_11target_archE908ELNS1_3gpuE7ELNS1_3repE0EEENS1_30default_config_static_selectorELNS0_4arch9wavefront6targetE0EEEvT1_
	.p2align	8
	.type	_ZN7rocprim17ROCPRIM_400000_NS6detail17trampoline_kernelINS0_14default_configENS1_27scan_by_key_config_selectorIxxEEZZNS1_16scan_by_key_implILNS1_25lookback_scan_determinismE0ELb1ES3_N6thrust23THRUST_200600_302600_NS6detail15normal_iteratorINS9_10device_ptrIxEEEESE_SE_xNS9_4plusIxEE19head_flag_predicatexEE10hipError_tPvRmT2_T3_T4_T5_mT6_T7_P12ihipStream_tbENKUlT_T0_E_clISt17integral_constantIbLb0EESX_IbLb1EEEEDaST_SU_EUlST_E_NS1_11comp_targetILNS1_3genE3ELNS1_11target_archE908ELNS1_3gpuE7ELNS1_3repE0EEENS1_30default_config_static_selectorELNS0_4arch9wavefront6targetE0EEEvT1_,@function
_ZN7rocprim17ROCPRIM_400000_NS6detail17trampoline_kernelINS0_14default_configENS1_27scan_by_key_config_selectorIxxEEZZNS1_16scan_by_key_implILNS1_25lookback_scan_determinismE0ELb1ES3_N6thrust23THRUST_200600_302600_NS6detail15normal_iteratorINS9_10device_ptrIxEEEESE_SE_xNS9_4plusIxEE19head_flag_predicatexEE10hipError_tPvRmT2_T3_T4_T5_mT6_T7_P12ihipStream_tbENKUlT_T0_E_clISt17integral_constantIbLb0EESX_IbLb1EEEEDaST_SU_EUlST_E_NS1_11comp_targetILNS1_3genE3ELNS1_11target_archE908ELNS1_3gpuE7ELNS1_3repE0EEENS1_30default_config_static_selectorELNS0_4arch9wavefront6targetE0EEEvT1_: ; @_ZN7rocprim17ROCPRIM_400000_NS6detail17trampoline_kernelINS0_14default_configENS1_27scan_by_key_config_selectorIxxEEZZNS1_16scan_by_key_implILNS1_25lookback_scan_determinismE0ELb1ES3_N6thrust23THRUST_200600_302600_NS6detail15normal_iteratorINS9_10device_ptrIxEEEESE_SE_xNS9_4plusIxEE19head_flag_predicatexEE10hipError_tPvRmT2_T3_T4_T5_mT6_T7_P12ihipStream_tbENKUlT_T0_E_clISt17integral_constantIbLb0EESX_IbLb1EEEEDaST_SU_EUlST_E_NS1_11comp_targetILNS1_3genE3ELNS1_11target_archE908ELNS1_3gpuE7ELNS1_3repE0EEENS1_30default_config_static_selectorELNS0_4arch9wavefront6targetE0EEEvT1_
; %bb.0:
	.section	.rodata,"a",@progbits
	.p2align	6, 0x0
	.amdhsa_kernel _ZN7rocprim17ROCPRIM_400000_NS6detail17trampoline_kernelINS0_14default_configENS1_27scan_by_key_config_selectorIxxEEZZNS1_16scan_by_key_implILNS1_25lookback_scan_determinismE0ELb1ES3_N6thrust23THRUST_200600_302600_NS6detail15normal_iteratorINS9_10device_ptrIxEEEESE_SE_xNS9_4plusIxEE19head_flag_predicatexEE10hipError_tPvRmT2_T3_T4_T5_mT6_T7_P12ihipStream_tbENKUlT_T0_E_clISt17integral_constantIbLb0EESX_IbLb1EEEEDaST_SU_EUlST_E_NS1_11comp_targetILNS1_3genE3ELNS1_11target_archE908ELNS1_3gpuE7ELNS1_3repE0EEENS1_30default_config_static_selectorELNS0_4arch9wavefront6targetE0EEEvT1_
		.amdhsa_group_segment_fixed_size 0
		.amdhsa_private_segment_fixed_size 0
		.amdhsa_kernarg_size 136
		.amdhsa_user_sgpr_count 2
		.amdhsa_user_sgpr_dispatch_ptr 0
		.amdhsa_user_sgpr_queue_ptr 0
		.amdhsa_user_sgpr_kernarg_segment_ptr 1
		.amdhsa_user_sgpr_dispatch_id 0
		.amdhsa_user_sgpr_kernarg_preload_length 0
		.amdhsa_user_sgpr_kernarg_preload_offset 0
		.amdhsa_user_sgpr_private_segment_size 0
		.amdhsa_wavefront_size32 1
		.amdhsa_uses_dynamic_stack 0
		.amdhsa_enable_private_segment 0
		.amdhsa_system_sgpr_workgroup_id_x 1
		.amdhsa_system_sgpr_workgroup_id_y 0
		.amdhsa_system_sgpr_workgroup_id_z 0
		.amdhsa_system_sgpr_workgroup_info 0
		.amdhsa_system_vgpr_workitem_id 0
		.amdhsa_next_free_vgpr 1
		.amdhsa_next_free_sgpr 1
		.amdhsa_named_barrier_count 0
		.amdhsa_reserve_vcc 0
		.amdhsa_float_round_mode_32 0
		.amdhsa_float_round_mode_16_64 0
		.amdhsa_float_denorm_mode_32 3
		.amdhsa_float_denorm_mode_16_64 3
		.amdhsa_fp16_overflow 0
		.amdhsa_memory_ordered 1
		.amdhsa_forward_progress 1
		.amdhsa_inst_pref_size 0
		.amdhsa_round_robin_scheduling 0
		.amdhsa_exception_fp_ieee_invalid_op 0
		.amdhsa_exception_fp_denorm_src 0
		.amdhsa_exception_fp_ieee_div_zero 0
		.amdhsa_exception_fp_ieee_overflow 0
		.amdhsa_exception_fp_ieee_underflow 0
		.amdhsa_exception_fp_ieee_inexact 0
		.amdhsa_exception_int_div_zero 0
	.end_amdhsa_kernel
	.section	.text._ZN7rocprim17ROCPRIM_400000_NS6detail17trampoline_kernelINS0_14default_configENS1_27scan_by_key_config_selectorIxxEEZZNS1_16scan_by_key_implILNS1_25lookback_scan_determinismE0ELb1ES3_N6thrust23THRUST_200600_302600_NS6detail15normal_iteratorINS9_10device_ptrIxEEEESE_SE_xNS9_4plusIxEE19head_flag_predicatexEE10hipError_tPvRmT2_T3_T4_T5_mT6_T7_P12ihipStream_tbENKUlT_T0_E_clISt17integral_constantIbLb0EESX_IbLb1EEEEDaST_SU_EUlST_E_NS1_11comp_targetILNS1_3genE3ELNS1_11target_archE908ELNS1_3gpuE7ELNS1_3repE0EEENS1_30default_config_static_selectorELNS0_4arch9wavefront6targetE0EEEvT1_,"axG",@progbits,_ZN7rocprim17ROCPRIM_400000_NS6detail17trampoline_kernelINS0_14default_configENS1_27scan_by_key_config_selectorIxxEEZZNS1_16scan_by_key_implILNS1_25lookback_scan_determinismE0ELb1ES3_N6thrust23THRUST_200600_302600_NS6detail15normal_iteratorINS9_10device_ptrIxEEEESE_SE_xNS9_4plusIxEE19head_flag_predicatexEE10hipError_tPvRmT2_T3_T4_T5_mT6_T7_P12ihipStream_tbENKUlT_T0_E_clISt17integral_constantIbLb0EESX_IbLb1EEEEDaST_SU_EUlST_E_NS1_11comp_targetILNS1_3genE3ELNS1_11target_archE908ELNS1_3gpuE7ELNS1_3repE0EEENS1_30default_config_static_selectorELNS0_4arch9wavefront6targetE0EEEvT1_,comdat
.Lfunc_end744:
	.size	_ZN7rocprim17ROCPRIM_400000_NS6detail17trampoline_kernelINS0_14default_configENS1_27scan_by_key_config_selectorIxxEEZZNS1_16scan_by_key_implILNS1_25lookback_scan_determinismE0ELb1ES3_N6thrust23THRUST_200600_302600_NS6detail15normal_iteratorINS9_10device_ptrIxEEEESE_SE_xNS9_4plusIxEE19head_flag_predicatexEE10hipError_tPvRmT2_T3_T4_T5_mT6_T7_P12ihipStream_tbENKUlT_T0_E_clISt17integral_constantIbLb0EESX_IbLb1EEEEDaST_SU_EUlST_E_NS1_11comp_targetILNS1_3genE3ELNS1_11target_archE908ELNS1_3gpuE7ELNS1_3repE0EEENS1_30default_config_static_selectorELNS0_4arch9wavefront6targetE0EEEvT1_, .Lfunc_end744-_ZN7rocprim17ROCPRIM_400000_NS6detail17trampoline_kernelINS0_14default_configENS1_27scan_by_key_config_selectorIxxEEZZNS1_16scan_by_key_implILNS1_25lookback_scan_determinismE0ELb1ES3_N6thrust23THRUST_200600_302600_NS6detail15normal_iteratorINS9_10device_ptrIxEEEESE_SE_xNS9_4plusIxEE19head_flag_predicatexEE10hipError_tPvRmT2_T3_T4_T5_mT6_T7_P12ihipStream_tbENKUlT_T0_E_clISt17integral_constantIbLb0EESX_IbLb1EEEEDaST_SU_EUlST_E_NS1_11comp_targetILNS1_3genE3ELNS1_11target_archE908ELNS1_3gpuE7ELNS1_3repE0EEENS1_30default_config_static_selectorELNS0_4arch9wavefront6targetE0EEEvT1_
                                        ; -- End function
	.set _ZN7rocprim17ROCPRIM_400000_NS6detail17trampoline_kernelINS0_14default_configENS1_27scan_by_key_config_selectorIxxEEZZNS1_16scan_by_key_implILNS1_25lookback_scan_determinismE0ELb1ES3_N6thrust23THRUST_200600_302600_NS6detail15normal_iteratorINS9_10device_ptrIxEEEESE_SE_xNS9_4plusIxEE19head_flag_predicatexEE10hipError_tPvRmT2_T3_T4_T5_mT6_T7_P12ihipStream_tbENKUlT_T0_E_clISt17integral_constantIbLb0EESX_IbLb1EEEEDaST_SU_EUlST_E_NS1_11comp_targetILNS1_3genE3ELNS1_11target_archE908ELNS1_3gpuE7ELNS1_3repE0EEENS1_30default_config_static_selectorELNS0_4arch9wavefront6targetE0EEEvT1_.num_vgpr, 0
	.set _ZN7rocprim17ROCPRIM_400000_NS6detail17trampoline_kernelINS0_14default_configENS1_27scan_by_key_config_selectorIxxEEZZNS1_16scan_by_key_implILNS1_25lookback_scan_determinismE0ELb1ES3_N6thrust23THRUST_200600_302600_NS6detail15normal_iteratorINS9_10device_ptrIxEEEESE_SE_xNS9_4plusIxEE19head_flag_predicatexEE10hipError_tPvRmT2_T3_T4_T5_mT6_T7_P12ihipStream_tbENKUlT_T0_E_clISt17integral_constantIbLb0EESX_IbLb1EEEEDaST_SU_EUlST_E_NS1_11comp_targetILNS1_3genE3ELNS1_11target_archE908ELNS1_3gpuE7ELNS1_3repE0EEENS1_30default_config_static_selectorELNS0_4arch9wavefront6targetE0EEEvT1_.num_agpr, 0
	.set _ZN7rocprim17ROCPRIM_400000_NS6detail17trampoline_kernelINS0_14default_configENS1_27scan_by_key_config_selectorIxxEEZZNS1_16scan_by_key_implILNS1_25lookback_scan_determinismE0ELb1ES3_N6thrust23THRUST_200600_302600_NS6detail15normal_iteratorINS9_10device_ptrIxEEEESE_SE_xNS9_4plusIxEE19head_flag_predicatexEE10hipError_tPvRmT2_T3_T4_T5_mT6_T7_P12ihipStream_tbENKUlT_T0_E_clISt17integral_constantIbLb0EESX_IbLb1EEEEDaST_SU_EUlST_E_NS1_11comp_targetILNS1_3genE3ELNS1_11target_archE908ELNS1_3gpuE7ELNS1_3repE0EEENS1_30default_config_static_selectorELNS0_4arch9wavefront6targetE0EEEvT1_.numbered_sgpr, 0
	.set _ZN7rocprim17ROCPRIM_400000_NS6detail17trampoline_kernelINS0_14default_configENS1_27scan_by_key_config_selectorIxxEEZZNS1_16scan_by_key_implILNS1_25lookback_scan_determinismE0ELb1ES3_N6thrust23THRUST_200600_302600_NS6detail15normal_iteratorINS9_10device_ptrIxEEEESE_SE_xNS9_4plusIxEE19head_flag_predicatexEE10hipError_tPvRmT2_T3_T4_T5_mT6_T7_P12ihipStream_tbENKUlT_T0_E_clISt17integral_constantIbLb0EESX_IbLb1EEEEDaST_SU_EUlST_E_NS1_11comp_targetILNS1_3genE3ELNS1_11target_archE908ELNS1_3gpuE7ELNS1_3repE0EEENS1_30default_config_static_selectorELNS0_4arch9wavefront6targetE0EEEvT1_.num_named_barrier, 0
	.set _ZN7rocprim17ROCPRIM_400000_NS6detail17trampoline_kernelINS0_14default_configENS1_27scan_by_key_config_selectorIxxEEZZNS1_16scan_by_key_implILNS1_25lookback_scan_determinismE0ELb1ES3_N6thrust23THRUST_200600_302600_NS6detail15normal_iteratorINS9_10device_ptrIxEEEESE_SE_xNS9_4plusIxEE19head_flag_predicatexEE10hipError_tPvRmT2_T3_T4_T5_mT6_T7_P12ihipStream_tbENKUlT_T0_E_clISt17integral_constantIbLb0EESX_IbLb1EEEEDaST_SU_EUlST_E_NS1_11comp_targetILNS1_3genE3ELNS1_11target_archE908ELNS1_3gpuE7ELNS1_3repE0EEENS1_30default_config_static_selectorELNS0_4arch9wavefront6targetE0EEEvT1_.private_seg_size, 0
	.set _ZN7rocprim17ROCPRIM_400000_NS6detail17trampoline_kernelINS0_14default_configENS1_27scan_by_key_config_selectorIxxEEZZNS1_16scan_by_key_implILNS1_25lookback_scan_determinismE0ELb1ES3_N6thrust23THRUST_200600_302600_NS6detail15normal_iteratorINS9_10device_ptrIxEEEESE_SE_xNS9_4plusIxEE19head_flag_predicatexEE10hipError_tPvRmT2_T3_T4_T5_mT6_T7_P12ihipStream_tbENKUlT_T0_E_clISt17integral_constantIbLb0EESX_IbLb1EEEEDaST_SU_EUlST_E_NS1_11comp_targetILNS1_3genE3ELNS1_11target_archE908ELNS1_3gpuE7ELNS1_3repE0EEENS1_30default_config_static_selectorELNS0_4arch9wavefront6targetE0EEEvT1_.uses_vcc, 0
	.set _ZN7rocprim17ROCPRIM_400000_NS6detail17trampoline_kernelINS0_14default_configENS1_27scan_by_key_config_selectorIxxEEZZNS1_16scan_by_key_implILNS1_25lookback_scan_determinismE0ELb1ES3_N6thrust23THRUST_200600_302600_NS6detail15normal_iteratorINS9_10device_ptrIxEEEESE_SE_xNS9_4plusIxEE19head_flag_predicatexEE10hipError_tPvRmT2_T3_T4_T5_mT6_T7_P12ihipStream_tbENKUlT_T0_E_clISt17integral_constantIbLb0EESX_IbLb1EEEEDaST_SU_EUlST_E_NS1_11comp_targetILNS1_3genE3ELNS1_11target_archE908ELNS1_3gpuE7ELNS1_3repE0EEENS1_30default_config_static_selectorELNS0_4arch9wavefront6targetE0EEEvT1_.uses_flat_scratch, 0
	.set _ZN7rocprim17ROCPRIM_400000_NS6detail17trampoline_kernelINS0_14default_configENS1_27scan_by_key_config_selectorIxxEEZZNS1_16scan_by_key_implILNS1_25lookback_scan_determinismE0ELb1ES3_N6thrust23THRUST_200600_302600_NS6detail15normal_iteratorINS9_10device_ptrIxEEEESE_SE_xNS9_4plusIxEE19head_flag_predicatexEE10hipError_tPvRmT2_T3_T4_T5_mT6_T7_P12ihipStream_tbENKUlT_T0_E_clISt17integral_constantIbLb0EESX_IbLb1EEEEDaST_SU_EUlST_E_NS1_11comp_targetILNS1_3genE3ELNS1_11target_archE908ELNS1_3gpuE7ELNS1_3repE0EEENS1_30default_config_static_selectorELNS0_4arch9wavefront6targetE0EEEvT1_.has_dyn_sized_stack, 0
	.set _ZN7rocprim17ROCPRIM_400000_NS6detail17trampoline_kernelINS0_14default_configENS1_27scan_by_key_config_selectorIxxEEZZNS1_16scan_by_key_implILNS1_25lookback_scan_determinismE0ELb1ES3_N6thrust23THRUST_200600_302600_NS6detail15normal_iteratorINS9_10device_ptrIxEEEESE_SE_xNS9_4plusIxEE19head_flag_predicatexEE10hipError_tPvRmT2_T3_T4_T5_mT6_T7_P12ihipStream_tbENKUlT_T0_E_clISt17integral_constantIbLb0EESX_IbLb1EEEEDaST_SU_EUlST_E_NS1_11comp_targetILNS1_3genE3ELNS1_11target_archE908ELNS1_3gpuE7ELNS1_3repE0EEENS1_30default_config_static_selectorELNS0_4arch9wavefront6targetE0EEEvT1_.has_recursion, 0
	.set _ZN7rocprim17ROCPRIM_400000_NS6detail17trampoline_kernelINS0_14default_configENS1_27scan_by_key_config_selectorIxxEEZZNS1_16scan_by_key_implILNS1_25lookback_scan_determinismE0ELb1ES3_N6thrust23THRUST_200600_302600_NS6detail15normal_iteratorINS9_10device_ptrIxEEEESE_SE_xNS9_4plusIxEE19head_flag_predicatexEE10hipError_tPvRmT2_T3_T4_T5_mT6_T7_P12ihipStream_tbENKUlT_T0_E_clISt17integral_constantIbLb0EESX_IbLb1EEEEDaST_SU_EUlST_E_NS1_11comp_targetILNS1_3genE3ELNS1_11target_archE908ELNS1_3gpuE7ELNS1_3repE0EEENS1_30default_config_static_selectorELNS0_4arch9wavefront6targetE0EEEvT1_.has_indirect_call, 0
	.section	.AMDGPU.csdata,"",@progbits
; Kernel info:
; codeLenInByte = 0
; TotalNumSgprs: 0
; NumVgprs: 0
; ScratchSize: 0
; MemoryBound: 0
; FloatMode: 240
; IeeeMode: 1
; LDSByteSize: 0 bytes/workgroup (compile time only)
; SGPRBlocks: 0
; VGPRBlocks: 0
; NumSGPRsForWavesPerEU: 1
; NumVGPRsForWavesPerEU: 1
; NamedBarCnt: 0
; Occupancy: 16
; WaveLimiterHint : 0
; COMPUTE_PGM_RSRC2:SCRATCH_EN: 0
; COMPUTE_PGM_RSRC2:USER_SGPR: 2
; COMPUTE_PGM_RSRC2:TRAP_HANDLER: 0
; COMPUTE_PGM_RSRC2:TGID_X_EN: 1
; COMPUTE_PGM_RSRC2:TGID_Y_EN: 0
; COMPUTE_PGM_RSRC2:TGID_Z_EN: 0
; COMPUTE_PGM_RSRC2:TIDIG_COMP_CNT: 0
	.section	.text._ZN7rocprim17ROCPRIM_400000_NS6detail17trampoline_kernelINS0_14default_configENS1_27scan_by_key_config_selectorIxxEEZZNS1_16scan_by_key_implILNS1_25lookback_scan_determinismE0ELb1ES3_N6thrust23THRUST_200600_302600_NS6detail15normal_iteratorINS9_10device_ptrIxEEEESE_SE_xNS9_4plusIxEE19head_flag_predicatexEE10hipError_tPvRmT2_T3_T4_T5_mT6_T7_P12ihipStream_tbENKUlT_T0_E_clISt17integral_constantIbLb0EESX_IbLb1EEEEDaST_SU_EUlST_E_NS1_11comp_targetILNS1_3genE2ELNS1_11target_archE906ELNS1_3gpuE6ELNS1_3repE0EEENS1_30default_config_static_selectorELNS0_4arch9wavefront6targetE0EEEvT1_,"axG",@progbits,_ZN7rocprim17ROCPRIM_400000_NS6detail17trampoline_kernelINS0_14default_configENS1_27scan_by_key_config_selectorIxxEEZZNS1_16scan_by_key_implILNS1_25lookback_scan_determinismE0ELb1ES3_N6thrust23THRUST_200600_302600_NS6detail15normal_iteratorINS9_10device_ptrIxEEEESE_SE_xNS9_4plusIxEE19head_flag_predicatexEE10hipError_tPvRmT2_T3_T4_T5_mT6_T7_P12ihipStream_tbENKUlT_T0_E_clISt17integral_constantIbLb0EESX_IbLb1EEEEDaST_SU_EUlST_E_NS1_11comp_targetILNS1_3genE2ELNS1_11target_archE906ELNS1_3gpuE6ELNS1_3repE0EEENS1_30default_config_static_selectorELNS0_4arch9wavefront6targetE0EEEvT1_,comdat
	.protected	_ZN7rocprim17ROCPRIM_400000_NS6detail17trampoline_kernelINS0_14default_configENS1_27scan_by_key_config_selectorIxxEEZZNS1_16scan_by_key_implILNS1_25lookback_scan_determinismE0ELb1ES3_N6thrust23THRUST_200600_302600_NS6detail15normal_iteratorINS9_10device_ptrIxEEEESE_SE_xNS9_4plusIxEE19head_flag_predicatexEE10hipError_tPvRmT2_T3_T4_T5_mT6_T7_P12ihipStream_tbENKUlT_T0_E_clISt17integral_constantIbLb0EESX_IbLb1EEEEDaST_SU_EUlST_E_NS1_11comp_targetILNS1_3genE2ELNS1_11target_archE906ELNS1_3gpuE6ELNS1_3repE0EEENS1_30default_config_static_selectorELNS0_4arch9wavefront6targetE0EEEvT1_ ; -- Begin function _ZN7rocprim17ROCPRIM_400000_NS6detail17trampoline_kernelINS0_14default_configENS1_27scan_by_key_config_selectorIxxEEZZNS1_16scan_by_key_implILNS1_25lookback_scan_determinismE0ELb1ES3_N6thrust23THRUST_200600_302600_NS6detail15normal_iteratorINS9_10device_ptrIxEEEESE_SE_xNS9_4plusIxEE19head_flag_predicatexEE10hipError_tPvRmT2_T3_T4_T5_mT6_T7_P12ihipStream_tbENKUlT_T0_E_clISt17integral_constantIbLb0EESX_IbLb1EEEEDaST_SU_EUlST_E_NS1_11comp_targetILNS1_3genE2ELNS1_11target_archE906ELNS1_3gpuE6ELNS1_3repE0EEENS1_30default_config_static_selectorELNS0_4arch9wavefront6targetE0EEEvT1_
	.globl	_ZN7rocprim17ROCPRIM_400000_NS6detail17trampoline_kernelINS0_14default_configENS1_27scan_by_key_config_selectorIxxEEZZNS1_16scan_by_key_implILNS1_25lookback_scan_determinismE0ELb1ES3_N6thrust23THRUST_200600_302600_NS6detail15normal_iteratorINS9_10device_ptrIxEEEESE_SE_xNS9_4plusIxEE19head_flag_predicatexEE10hipError_tPvRmT2_T3_T4_T5_mT6_T7_P12ihipStream_tbENKUlT_T0_E_clISt17integral_constantIbLb0EESX_IbLb1EEEEDaST_SU_EUlST_E_NS1_11comp_targetILNS1_3genE2ELNS1_11target_archE906ELNS1_3gpuE6ELNS1_3repE0EEENS1_30default_config_static_selectorELNS0_4arch9wavefront6targetE0EEEvT1_
	.p2align	8
	.type	_ZN7rocprim17ROCPRIM_400000_NS6detail17trampoline_kernelINS0_14default_configENS1_27scan_by_key_config_selectorIxxEEZZNS1_16scan_by_key_implILNS1_25lookback_scan_determinismE0ELb1ES3_N6thrust23THRUST_200600_302600_NS6detail15normal_iteratorINS9_10device_ptrIxEEEESE_SE_xNS9_4plusIxEE19head_flag_predicatexEE10hipError_tPvRmT2_T3_T4_T5_mT6_T7_P12ihipStream_tbENKUlT_T0_E_clISt17integral_constantIbLb0EESX_IbLb1EEEEDaST_SU_EUlST_E_NS1_11comp_targetILNS1_3genE2ELNS1_11target_archE906ELNS1_3gpuE6ELNS1_3repE0EEENS1_30default_config_static_selectorELNS0_4arch9wavefront6targetE0EEEvT1_,@function
_ZN7rocprim17ROCPRIM_400000_NS6detail17trampoline_kernelINS0_14default_configENS1_27scan_by_key_config_selectorIxxEEZZNS1_16scan_by_key_implILNS1_25lookback_scan_determinismE0ELb1ES3_N6thrust23THRUST_200600_302600_NS6detail15normal_iteratorINS9_10device_ptrIxEEEESE_SE_xNS9_4plusIxEE19head_flag_predicatexEE10hipError_tPvRmT2_T3_T4_T5_mT6_T7_P12ihipStream_tbENKUlT_T0_E_clISt17integral_constantIbLb0EESX_IbLb1EEEEDaST_SU_EUlST_E_NS1_11comp_targetILNS1_3genE2ELNS1_11target_archE906ELNS1_3gpuE6ELNS1_3repE0EEENS1_30default_config_static_selectorELNS0_4arch9wavefront6targetE0EEEvT1_: ; @_ZN7rocprim17ROCPRIM_400000_NS6detail17trampoline_kernelINS0_14default_configENS1_27scan_by_key_config_selectorIxxEEZZNS1_16scan_by_key_implILNS1_25lookback_scan_determinismE0ELb1ES3_N6thrust23THRUST_200600_302600_NS6detail15normal_iteratorINS9_10device_ptrIxEEEESE_SE_xNS9_4plusIxEE19head_flag_predicatexEE10hipError_tPvRmT2_T3_T4_T5_mT6_T7_P12ihipStream_tbENKUlT_T0_E_clISt17integral_constantIbLb0EESX_IbLb1EEEEDaST_SU_EUlST_E_NS1_11comp_targetILNS1_3genE2ELNS1_11target_archE906ELNS1_3gpuE6ELNS1_3repE0EEENS1_30default_config_static_selectorELNS0_4arch9wavefront6targetE0EEEvT1_
; %bb.0:
	.section	.rodata,"a",@progbits
	.p2align	6, 0x0
	.amdhsa_kernel _ZN7rocprim17ROCPRIM_400000_NS6detail17trampoline_kernelINS0_14default_configENS1_27scan_by_key_config_selectorIxxEEZZNS1_16scan_by_key_implILNS1_25lookback_scan_determinismE0ELb1ES3_N6thrust23THRUST_200600_302600_NS6detail15normal_iteratorINS9_10device_ptrIxEEEESE_SE_xNS9_4plusIxEE19head_flag_predicatexEE10hipError_tPvRmT2_T3_T4_T5_mT6_T7_P12ihipStream_tbENKUlT_T0_E_clISt17integral_constantIbLb0EESX_IbLb1EEEEDaST_SU_EUlST_E_NS1_11comp_targetILNS1_3genE2ELNS1_11target_archE906ELNS1_3gpuE6ELNS1_3repE0EEENS1_30default_config_static_selectorELNS0_4arch9wavefront6targetE0EEEvT1_
		.amdhsa_group_segment_fixed_size 0
		.amdhsa_private_segment_fixed_size 0
		.amdhsa_kernarg_size 136
		.amdhsa_user_sgpr_count 2
		.amdhsa_user_sgpr_dispatch_ptr 0
		.amdhsa_user_sgpr_queue_ptr 0
		.amdhsa_user_sgpr_kernarg_segment_ptr 1
		.amdhsa_user_sgpr_dispatch_id 0
		.amdhsa_user_sgpr_kernarg_preload_length 0
		.amdhsa_user_sgpr_kernarg_preload_offset 0
		.amdhsa_user_sgpr_private_segment_size 0
		.amdhsa_wavefront_size32 1
		.amdhsa_uses_dynamic_stack 0
		.amdhsa_enable_private_segment 0
		.amdhsa_system_sgpr_workgroup_id_x 1
		.amdhsa_system_sgpr_workgroup_id_y 0
		.amdhsa_system_sgpr_workgroup_id_z 0
		.amdhsa_system_sgpr_workgroup_info 0
		.amdhsa_system_vgpr_workitem_id 0
		.amdhsa_next_free_vgpr 1
		.amdhsa_next_free_sgpr 1
		.amdhsa_named_barrier_count 0
		.amdhsa_reserve_vcc 0
		.amdhsa_float_round_mode_32 0
		.amdhsa_float_round_mode_16_64 0
		.amdhsa_float_denorm_mode_32 3
		.amdhsa_float_denorm_mode_16_64 3
		.amdhsa_fp16_overflow 0
		.amdhsa_memory_ordered 1
		.amdhsa_forward_progress 1
		.amdhsa_inst_pref_size 0
		.amdhsa_round_robin_scheduling 0
		.amdhsa_exception_fp_ieee_invalid_op 0
		.amdhsa_exception_fp_denorm_src 0
		.amdhsa_exception_fp_ieee_div_zero 0
		.amdhsa_exception_fp_ieee_overflow 0
		.amdhsa_exception_fp_ieee_underflow 0
		.amdhsa_exception_fp_ieee_inexact 0
		.amdhsa_exception_int_div_zero 0
	.end_amdhsa_kernel
	.section	.text._ZN7rocprim17ROCPRIM_400000_NS6detail17trampoline_kernelINS0_14default_configENS1_27scan_by_key_config_selectorIxxEEZZNS1_16scan_by_key_implILNS1_25lookback_scan_determinismE0ELb1ES3_N6thrust23THRUST_200600_302600_NS6detail15normal_iteratorINS9_10device_ptrIxEEEESE_SE_xNS9_4plusIxEE19head_flag_predicatexEE10hipError_tPvRmT2_T3_T4_T5_mT6_T7_P12ihipStream_tbENKUlT_T0_E_clISt17integral_constantIbLb0EESX_IbLb1EEEEDaST_SU_EUlST_E_NS1_11comp_targetILNS1_3genE2ELNS1_11target_archE906ELNS1_3gpuE6ELNS1_3repE0EEENS1_30default_config_static_selectorELNS0_4arch9wavefront6targetE0EEEvT1_,"axG",@progbits,_ZN7rocprim17ROCPRIM_400000_NS6detail17trampoline_kernelINS0_14default_configENS1_27scan_by_key_config_selectorIxxEEZZNS1_16scan_by_key_implILNS1_25lookback_scan_determinismE0ELb1ES3_N6thrust23THRUST_200600_302600_NS6detail15normal_iteratorINS9_10device_ptrIxEEEESE_SE_xNS9_4plusIxEE19head_flag_predicatexEE10hipError_tPvRmT2_T3_T4_T5_mT6_T7_P12ihipStream_tbENKUlT_T0_E_clISt17integral_constantIbLb0EESX_IbLb1EEEEDaST_SU_EUlST_E_NS1_11comp_targetILNS1_3genE2ELNS1_11target_archE906ELNS1_3gpuE6ELNS1_3repE0EEENS1_30default_config_static_selectorELNS0_4arch9wavefront6targetE0EEEvT1_,comdat
.Lfunc_end745:
	.size	_ZN7rocprim17ROCPRIM_400000_NS6detail17trampoline_kernelINS0_14default_configENS1_27scan_by_key_config_selectorIxxEEZZNS1_16scan_by_key_implILNS1_25lookback_scan_determinismE0ELb1ES3_N6thrust23THRUST_200600_302600_NS6detail15normal_iteratorINS9_10device_ptrIxEEEESE_SE_xNS9_4plusIxEE19head_flag_predicatexEE10hipError_tPvRmT2_T3_T4_T5_mT6_T7_P12ihipStream_tbENKUlT_T0_E_clISt17integral_constantIbLb0EESX_IbLb1EEEEDaST_SU_EUlST_E_NS1_11comp_targetILNS1_3genE2ELNS1_11target_archE906ELNS1_3gpuE6ELNS1_3repE0EEENS1_30default_config_static_selectorELNS0_4arch9wavefront6targetE0EEEvT1_, .Lfunc_end745-_ZN7rocprim17ROCPRIM_400000_NS6detail17trampoline_kernelINS0_14default_configENS1_27scan_by_key_config_selectorIxxEEZZNS1_16scan_by_key_implILNS1_25lookback_scan_determinismE0ELb1ES3_N6thrust23THRUST_200600_302600_NS6detail15normal_iteratorINS9_10device_ptrIxEEEESE_SE_xNS9_4plusIxEE19head_flag_predicatexEE10hipError_tPvRmT2_T3_T4_T5_mT6_T7_P12ihipStream_tbENKUlT_T0_E_clISt17integral_constantIbLb0EESX_IbLb1EEEEDaST_SU_EUlST_E_NS1_11comp_targetILNS1_3genE2ELNS1_11target_archE906ELNS1_3gpuE6ELNS1_3repE0EEENS1_30default_config_static_selectorELNS0_4arch9wavefront6targetE0EEEvT1_
                                        ; -- End function
	.set _ZN7rocprim17ROCPRIM_400000_NS6detail17trampoline_kernelINS0_14default_configENS1_27scan_by_key_config_selectorIxxEEZZNS1_16scan_by_key_implILNS1_25lookback_scan_determinismE0ELb1ES3_N6thrust23THRUST_200600_302600_NS6detail15normal_iteratorINS9_10device_ptrIxEEEESE_SE_xNS9_4plusIxEE19head_flag_predicatexEE10hipError_tPvRmT2_T3_T4_T5_mT6_T7_P12ihipStream_tbENKUlT_T0_E_clISt17integral_constantIbLb0EESX_IbLb1EEEEDaST_SU_EUlST_E_NS1_11comp_targetILNS1_3genE2ELNS1_11target_archE906ELNS1_3gpuE6ELNS1_3repE0EEENS1_30default_config_static_selectorELNS0_4arch9wavefront6targetE0EEEvT1_.num_vgpr, 0
	.set _ZN7rocprim17ROCPRIM_400000_NS6detail17trampoline_kernelINS0_14default_configENS1_27scan_by_key_config_selectorIxxEEZZNS1_16scan_by_key_implILNS1_25lookback_scan_determinismE0ELb1ES3_N6thrust23THRUST_200600_302600_NS6detail15normal_iteratorINS9_10device_ptrIxEEEESE_SE_xNS9_4plusIxEE19head_flag_predicatexEE10hipError_tPvRmT2_T3_T4_T5_mT6_T7_P12ihipStream_tbENKUlT_T0_E_clISt17integral_constantIbLb0EESX_IbLb1EEEEDaST_SU_EUlST_E_NS1_11comp_targetILNS1_3genE2ELNS1_11target_archE906ELNS1_3gpuE6ELNS1_3repE0EEENS1_30default_config_static_selectorELNS0_4arch9wavefront6targetE0EEEvT1_.num_agpr, 0
	.set _ZN7rocprim17ROCPRIM_400000_NS6detail17trampoline_kernelINS0_14default_configENS1_27scan_by_key_config_selectorIxxEEZZNS1_16scan_by_key_implILNS1_25lookback_scan_determinismE0ELb1ES3_N6thrust23THRUST_200600_302600_NS6detail15normal_iteratorINS9_10device_ptrIxEEEESE_SE_xNS9_4plusIxEE19head_flag_predicatexEE10hipError_tPvRmT2_T3_T4_T5_mT6_T7_P12ihipStream_tbENKUlT_T0_E_clISt17integral_constantIbLb0EESX_IbLb1EEEEDaST_SU_EUlST_E_NS1_11comp_targetILNS1_3genE2ELNS1_11target_archE906ELNS1_3gpuE6ELNS1_3repE0EEENS1_30default_config_static_selectorELNS0_4arch9wavefront6targetE0EEEvT1_.numbered_sgpr, 0
	.set _ZN7rocprim17ROCPRIM_400000_NS6detail17trampoline_kernelINS0_14default_configENS1_27scan_by_key_config_selectorIxxEEZZNS1_16scan_by_key_implILNS1_25lookback_scan_determinismE0ELb1ES3_N6thrust23THRUST_200600_302600_NS6detail15normal_iteratorINS9_10device_ptrIxEEEESE_SE_xNS9_4plusIxEE19head_flag_predicatexEE10hipError_tPvRmT2_T3_T4_T5_mT6_T7_P12ihipStream_tbENKUlT_T0_E_clISt17integral_constantIbLb0EESX_IbLb1EEEEDaST_SU_EUlST_E_NS1_11comp_targetILNS1_3genE2ELNS1_11target_archE906ELNS1_3gpuE6ELNS1_3repE0EEENS1_30default_config_static_selectorELNS0_4arch9wavefront6targetE0EEEvT1_.num_named_barrier, 0
	.set _ZN7rocprim17ROCPRIM_400000_NS6detail17trampoline_kernelINS0_14default_configENS1_27scan_by_key_config_selectorIxxEEZZNS1_16scan_by_key_implILNS1_25lookback_scan_determinismE0ELb1ES3_N6thrust23THRUST_200600_302600_NS6detail15normal_iteratorINS9_10device_ptrIxEEEESE_SE_xNS9_4plusIxEE19head_flag_predicatexEE10hipError_tPvRmT2_T3_T4_T5_mT6_T7_P12ihipStream_tbENKUlT_T0_E_clISt17integral_constantIbLb0EESX_IbLb1EEEEDaST_SU_EUlST_E_NS1_11comp_targetILNS1_3genE2ELNS1_11target_archE906ELNS1_3gpuE6ELNS1_3repE0EEENS1_30default_config_static_selectorELNS0_4arch9wavefront6targetE0EEEvT1_.private_seg_size, 0
	.set _ZN7rocprim17ROCPRIM_400000_NS6detail17trampoline_kernelINS0_14default_configENS1_27scan_by_key_config_selectorIxxEEZZNS1_16scan_by_key_implILNS1_25lookback_scan_determinismE0ELb1ES3_N6thrust23THRUST_200600_302600_NS6detail15normal_iteratorINS9_10device_ptrIxEEEESE_SE_xNS9_4plusIxEE19head_flag_predicatexEE10hipError_tPvRmT2_T3_T4_T5_mT6_T7_P12ihipStream_tbENKUlT_T0_E_clISt17integral_constantIbLb0EESX_IbLb1EEEEDaST_SU_EUlST_E_NS1_11comp_targetILNS1_3genE2ELNS1_11target_archE906ELNS1_3gpuE6ELNS1_3repE0EEENS1_30default_config_static_selectorELNS0_4arch9wavefront6targetE0EEEvT1_.uses_vcc, 0
	.set _ZN7rocprim17ROCPRIM_400000_NS6detail17trampoline_kernelINS0_14default_configENS1_27scan_by_key_config_selectorIxxEEZZNS1_16scan_by_key_implILNS1_25lookback_scan_determinismE0ELb1ES3_N6thrust23THRUST_200600_302600_NS6detail15normal_iteratorINS9_10device_ptrIxEEEESE_SE_xNS9_4plusIxEE19head_flag_predicatexEE10hipError_tPvRmT2_T3_T4_T5_mT6_T7_P12ihipStream_tbENKUlT_T0_E_clISt17integral_constantIbLb0EESX_IbLb1EEEEDaST_SU_EUlST_E_NS1_11comp_targetILNS1_3genE2ELNS1_11target_archE906ELNS1_3gpuE6ELNS1_3repE0EEENS1_30default_config_static_selectorELNS0_4arch9wavefront6targetE0EEEvT1_.uses_flat_scratch, 0
	.set _ZN7rocprim17ROCPRIM_400000_NS6detail17trampoline_kernelINS0_14default_configENS1_27scan_by_key_config_selectorIxxEEZZNS1_16scan_by_key_implILNS1_25lookback_scan_determinismE0ELb1ES3_N6thrust23THRUST_200600_302600_NS6detail15normal_iteratorINS9_10device_ptrIxEEEESE_SE_xNS9_4plusIxEE19head_flag_predicatexEE10hipError_tPvRmT2_T3_T4_T5_mT6_T7_P12ihipStream_tbENKUlT_T0_E_clISt17integral_constantIbLb0EESX_IbLb1EEEEDaST_SU_EUlST_E_NS1_11comp_targetILNS1_3genE2ELNS1_11target_archE906ELNS1_3gpuE6ELNS1_3repE0EEENS1_30default_config_static_selectorELNS0_4arch9wavefront6targetE0EEEvT1_.has_dyn_sized_stack, 0
	.set _ZN7rocprim17ROCPRIM_400000_NS6detail17trampoline_kernelINS0_14default_configENS1_27scan_by_key_config_selectorIxxEEZZNS1_16scan_by_key_implILNS1_25lookback_scan_determinismE0ELb1ES3_N6thrust23THRUST_200600_302600_NS6detail15normal_iteratorINS9_10device_ptrIxEEEESE_SE_xNS9_4plusIxEE19head_flag_predicatexEE10hipError_tPvRmT2_T3_T4_T5_mT6_T7_P12ihipStream_tbENKUlT_T0_E_clISt17integral_constantIbLb0EESX_IbLb1EEEEDaST_SU_EUlST_E_NS1_11comp_targetILNS1_3genE2ELNS1_11target_archE906ELNS1_3gpuE6ELNS1_3repE0EEENS1_30default_config_static_selectorELNS0_4arch9wavefront6targetE0EEEvT1_.has_recursion, 0
	.set _ZN7rocprim17ROCPRIM_400000_NS6detail17trampoline_kernelINS0_14default_configENS1_27scan_by_key_config_selectorIxxEEZZNS1_16scan_by_key_implILNS1_25lookback_scan_determinismE0ELb1ES3_N6thrust23THRUST_200600_302600_NS6detail15normal_iteratorINS9_10device_ptrIxEEEESE_SE_xNS9_4plusIxEE19head_flag_predicatexEE10hipError_tPvRmT2_T3_T4_T5_mT6_T7_P12ihipStream_tbENKUlT_T0_E_clISt17integral_constantIbLb0EESX_IbLb1EEEEDaST_SU_EUlST_E_NS1_11comp_targetILNS1_3genE2ELNS1_11target_archE906ELNS1_3gpuE6ELNS1_3repE0EEENS1_30default_config_static_selectorELNS0_4arch9wavefront6targetE0EEEvT1_.has_indirect_call, 0
	.section	.AMDGPU.csdata,"",@progbits
; Kernel info:
; codeLenInByte = 0
; TotalNumSgprs: 0
; NumVgprs: 0
; ScratchSize: 0
; MemoryBound: 0
; FloatMode: 240
; IeeeMode: 1
; LDSByteSize: 0 bytes/workgroup (compile time only)
; SGPRBlocks: 0
; VGPRBlocks: 0
; NumSGPRsForWavesPerEU: 1
; NumVGPRsForWavesPerEU: 1
; NamedBarCnt: 0
; Occupancy: 16
; WaveLimiterHint : 0
; COMPUTE_PGM_RSRC2:SCRATCH_EN: 0
; COMPUTE_PGM_RSRC2:USER_SGPR: 2
; COMPUTE_PGM_RSRC2:TRAP_HANDLER: 0
; COMPUTE_PGM_RSRC2:TGID_X_EN: 1
; COMPUTE_PGM_RSRC2:TGID_Y_EN: 0
; COMPUTE_PGM_RSRC2:TGID_Z_EN: 0
; COMPUTE_PGM_RSRC2:TIDIG_COMP_CNT: 0
	.section	.text._ZN7rocprim17ROCPRIM_400000_NS6detail17trampoline_kernelINS0_14default_configENS1_27scan_by_key_config_selectorIxxEEZZNS1_16scan_by_key_implILNS1_25lookback_scan_determinismE0ELb1ES3_N6thrust23THRUST_200600_302600_NS6detail15normal_iteratorINS9_10device_ptrIxEEEESE_SE_xNS9_4plusIxEE19head_flag_predicatexEE10hipError_tPvRmT2_T3_T4_T5_mT6_T7_P12ihipStream_tbENKUlT_T0_E_clISt17integral_constantIbLb0EESX_IbLb1EEEEDaST_SU_EUlST_E_NS1_11comp_targetILNS1_3genE10ELNS1_11target_archE1200ELNS1_3gpuE4ELNS1_3repE0EEENS1_30default_config_static_selectorELNS0_4arch9wavefront6targetE0EEEvT1_,"axG",@progbits,_ZN7rocprim17ROCPRIM_400000_NS6detail17trampoline_kernelINS0_14default_configENS1_27scan_by_key_config_selectorIxxEEZZNS1_16scan_by_key_implILNS1_25lookback_scan_determinismE0ELb1ES3_N6thrust23THRUST_200600_302600_NS6detail15normal_iteratorINS9_10device_ptrIxEEEESE_SE_xNS9_4plusIxEE19head_flag_predicatexEE10hipError_tPvRmT2_T3_T4_T5_mT6_T7_P12ihipStream_tbENKUlT_T0_E_clISt17integral_constantIbLb0EESX_IbLb1EEEEDaST_SU_EUlST_E_NS1_11comp_targetILNS1_3genE10ELNS1_11target_archE1200ELNS1_3gpuE4ELNS1_3repE0EEENS1_30default_config_static_selectorELNS0_4arch9wavefront6targetE0EEEvT1_,comdat
	.protected	_ZN7rocprim17ROCPRIM_400000_NS6detail17trampoline_kernelINS0_14default_configENS1_27scan_by_key_config_selectorIxxEEZZNS1_16scan_by_key_implILNS1_25lookback_scan_determinismE0ELb1ES3_N6thrust23THRUST_200600_302600_NS6detail15normal_iteratorINS9_10device_ptrIxEEEESE_SE_xNS9_4plusIxEE19head_flag_predicatexEE10hipError_tPvRmT2_T3_T4_T5_mT6_T7_P12ihipStream_tbENKUlT_T0_E_clISt17integral_constantIbLb0EESX_IbLb1EEEEDaST_SU_EUlST_E_NS1_11comp_targetILNS1_3genE10ELNS1_11target_archE1200ELNS1_3gpuE4ELNS1_3repE0EEENS1_30default_config_static_selectorELNS0_4arch9wavefront6targetE0EEEvT1_ ; -- Begin function _ZN7rocprim17ROCPRIM_400000_NS6detail17trampoline_kernelINS0_14default_configENS1_27scan_by_key_config_selectorIxxEEZZNS1_16scan_by_key_implILNS1_25lookback_scan_determinismE0ELb1ES3_N6thrust23THRUST_200600_302600_NS6detail15normal_iteratorINS9_10device_ptrIxEEEESE_SE_xNS9_4plusIxEE19head_flag_predicatexEE10hipError_tPvRmT2_T3_T4_T5_mT6_T7_P12ihipStream_tbENKUlT_T0_E_clISt17integral_constantIbLb0EESX_IbLb1EEEEDaST_SU_EUlST_E_NS1_11comp_targetILNS1_3genE10ELNS1_11target_archE1200ELNS1_3gpuE4ELNS1_3repE0EEENS1_30default_config_static_selectorELNS0_4arch9wavefront6targetE0EEEvT1_
	.globl	_ZN7rocprim17ROCPRIM_400000_NS6detail17trampoline_kernelINS0_14default_configENS1_27scan_by_key_config_selectorIxxEEZZNS1_16scan_by_key_implILNS1_25lookback_scan_determinismE0ELb1ES3_N6thrust23THRUST_200600_302600_NS6detail15normal_iteratorINS9_10device_ptrIxEEEESE_SE_xNS9_4plusIxEE19head_flag_predicatexEE10hipError_tPvRmT2_T3_T4_T5_mT6_T7_P12ihipStream_tbENKUlT_T0_E_clISt17integral_constantIbLb0EESX_IbLb1EEEEDaST_SU_EUlST_E_NS1_11comp_targetILNS1_3genE10ELNS1_11target_archE1200ELNS1_3gpuE4ELNS1_3repE0EEENS1_30default_config_static_selectorELNS0_4arch9wavefront6targetE0EEEvT1_
	.p2align	8
	.type	_ZN7rocprim17ROCPRIM_400000_NS6detail17trampoline_kernelINS0_14default_configENS1_27scan_by_key_config_selectorIxxEEZZNS1_16scan_by_key_implILNS1_25lookback_scan_determinismE0ELb1ES3_N6thrust23THRUST_200600_302600_NS6detail15normal_iteratorINS9_10device_ptrIxEEEESE_SE_xNS9_4plusIxEE19head_flag_predicatexEE10hipError_tPvRmT2_T3_T4_T5_mT6_T7_P12ihipStream_tbENKUlT_T0_E_clISt17integral_constantIbLb0EESX_IbLb1EEEEDaST_SU_EUlST_E_NS1_11comp_targetILNS1_3genE10ELNS1_11target_archE1200ELNS1_3gpuE4ELNS1_3repE0EEENS1_30default_config_static_selectorELNS0_4arch9wavefront6targetE0EEEvT1_,@function
_ZN7rocprim17ROCPRIM_400000_NS6detail17trampoline_kernelINS0_14default_configENS1_27scan_by_key_config_selectorIxxEEZZNS1_16scan_by_key_implILNS1_25lookback_scan_determinismE0ELb1ES3_N6thrust23THRUST_200600_302600_NS6detail15normal_iteratorINS9_10device_ptrIxEEEESE_SE_xNS9_4plusIxEE19head_flag_predicatexEE10hipError_tPvRmT2_T3_T4_T5_mT6_T7_P12ihipStream_tbENKUlT_T0_E_clISt17integral_constantIbLb0EESX_IbLb1EEEEDaST_SU_EUlST_E_NS1_11comp_targetILNS1_3genE10ELNS1_11target_archE1200ELNS1_3gpuE4ELNS1_3repE0EEENS1_30default_config_static_selectorELNS0_4arch9wavefront6targetE0EEEvT1_: ; @_ZN7rocprim17ROCPRIM_400000_NS6detail17trampoline_kernelINS0_14default_configENS1_27scan_by_key_config_selectorIxxEEZZNS1_16scan_by_key_implILNS1_25lookback_scan_determinismE0ELb1ES3_N6thrust23THRUST_200600_302600_NS6detail15normal_iteratorINS9_10device_ptrIxEEEESE_SE_xNS9_4plusIxEE19head_flag_predicatexEE10hipError_tPvRmT2_T3_T4_T5_mT6_T7_P12ihipStream_tbENKUlT_T0_E_clISt17integral_constantIbLb0EESX_IbLb1EEEEDaST_SU_EUlST_E_NS1_11comp_targetILNS1_3genE10ELNS1_11target_archE1200ELNS1_3gpuE4ELNS1_3repE0EEENS1_30default_config_static_selectorELNS0_4arch9wavefront6targetE0EEEvT1_
; %bb.0:
	.section	.rodata,"a",@progbits
	.p2align	6, 0x0
	.amdhsa_kernel _ZN7rocprim17ROCPRIM_400000_NS6detail17trampoline_kernelINS0_14default_configENS1_27scan_by_key_config_selectorIxxEEZZNS1_16scan_by_key_implILNS1_25lookback_scan_determinismE0ELb1ES3_N6thrust23THRUST_200600_302600_NS6detail15normal_iteratorINS9_10device_ptrIxEEEESE_SE_xNS9_4plusIxEE19head_flag_predicatexEE10hipError_tPvRmT2_T3_T4_T5_mT6_T7_P12ihipStream_tbENKUlT_T0_E_clISt17integral_constantIbLb0EESX_IbLb1EEEEDaST_SU_EUlST_E_NS1_11comp_targetILNS1_3genE10ELNS1_11target_archE1200ELNS1_3gpuE4ELNS1_3repE0EEENS1_30default_config_static_selectorELNS0_4arch9wavefront6targetE0EEEvT1_
		.amdhsa_group_segment_fixed_size 0
		.amdhsa_private_segment_fixed_size 0
		.amdhsa_kernarg_size 136
		.amdhsa_user_sgpr_count 2
		.amdhsa_user_sgpr_dispatch_ptr 0
		.amdhsa_user_sgpr_queue_ptr 0
		.amdhsa_user_sgpr_kernarg_segment_ptr 1
		.amdhsa_user_sgpr_dispatch_id 0
		.amdhsa_user_sgpr_kernarg_preload_length 0
		.amdhsa_user_sgpr_kernarg_preload_offset 0
		.amdhsa_user_sgpr_private_segment_size 0
		.amdhsa_wavefront_size32 1
		.amdhsa_uses_dynamic_stack 0
		.amdhsa_enable_private_segment 0
		.amdhsa_system_sgpr_workgroup_id_x 1
		.amdhsa_system_sgpr_workgroup_id_y 0
		.amdhsa_system_sgpr_workgroup_id_z 0
		.amdhsa_system_sgpr_workgroup_info 0
		.amdhsa_system_vgpr_workitem_id 0
		.amdhsa_next_free_vgpr 1
		.amdhsa_next_free_sgpr 1
		.amdhsa_named_barrier_count 0
		.amdhsa_reserve_vcc 0
		.amdhsa_float_round_mode_32 0
		.amdhsa_float_round_mode_16_64 0
		.amdhsa_float_denorm_mode_32 3
		.amdhsa_float_denorm_mode_16_64 3
		.amdhsa_fp16_overflow 0
		.amdhsa_memory_ordered 1
		.amdhsa_forward_progress 1
		.amdhsa_inst_pref_size 0
		.amdhsa_round_robin_scheduling 0
		.amdhsa_exception_fp_ieee_invalid_op 0
		.amdhsa_exception_fp_denorm_src 0
		.amdhsa_exception_fp_ieee_div_zero 0
		.amdhsa_exception_fp_ieee_overflow 0
		.amdhsa_exception_fp_ieee_underflow 0
		.amdhsa_exception_fp_ieee_inexact 0
		.amdhsa_exception_int_div_zero 0
	.end_amdhsa_kernel
	.section	.text._ZN7rocprim17ROCPRIM_400000_NS6detail17trampoline_kernelINS0_14default_configENS1_27scan_by_key_config_selectorIxxEEZZNS1_16scan_by_key_implILNS1_25lookback_scan_determinismE0ELb1ES3_N6thrust23THRUST_200600_302600_NS6detail15normal_iteratorINS9_10device_ptrIxEEEESE_SE_xNS9_4plusIxEE19head_flag_predicatexEE10hipError_tPvRmT2_T3_T4_T5_mT6_T7_P12ihipStream_tbENKUlT_T0_E_clISt17integral_constantIbLb0EESX_IbLb1EEEEDaST_SU_EUlST_E_NS1_11comp_targetILNS1_3genE10ELNS1_11target_archE1200ELNS1_3gpuE4ELNS1_3repE0EEENS1_30default_config_static_selectorELNS0_4arch9wavefront6targetE0EEEvT1_,"axG",@progbits,_ZN7rocprim17ROCPRIM_400000_NS6detail17trampoline_kernelINS0_14default_configENS1_27scan_by_key_config_selectorIxxEEZZNS1_16scan_by_key_implILNS1_25lookback_scan_determinismE0ELb1ES3_N6thrust23THRUST_200600_302600_NS6detail15normal_iteratorINS9_10device_ptrIxEEEESE_SE_xNS9_4plusIxEE19head_flag_predicatexEE10hipError_tPvRmT2_T3_T4_T5_mT6_T7_P12ihipStream_tbENKUlT_T0_E_clISt17integral_constantIbLb0EESX_IbLb1EEEEDaST_SU_EUlST_E_NS1_11comp_targetILNS1_3genE10ELNS1_11target_archE1200ELNS1_3gpuE4ELNS1_3repE0EEENS1_30default_config_static_selectorELNS0_4arch9wavefront6targetE0EEEvT1_,comdat
.Lfunc_end746:
	.size	_ZN7rocprim17ROCPRIM_400000_NS6detail17trampoline_kernelINS0_14default_configENS1_27scan_by_key_config_selectorIxxEEZZNS1_16scan_by_key_implILNS1_25lookback_scan_determinismE0ELb1ES3_N6thrust23THRUST_200600_302600_NS6detail15normal_iteratorINS9_10device_ptrIxEEEESE_SE_xNS9_4plusIxEE19head_flag_predicatexEE10hipError_tPvRmT2_T3_T4_T5_mT6_T7_P12ihipStream_tbENKUlT_T0_E_clISt17integral_constantIbLb0EESX_IbLb1EEEEDaST_SU_EUlST_E_NS1_11comp_targetILNS1_3genE10ELNS1_11target_archE1200ELNS1_3gpuE4ELNS1_3repE0EEENS1_30default_config_static_selectorELNS0_4arch9wavefront6targetE0EEEvT1_, .Lfunc_end746-_ZN7rocprim17ROCPRIM_400000_NS6detail17trampoline_kernelINS0_14default_configENS1_27scan_by_key_config_selectorIxxEEZZNS1_16scan_by_key_implILNS1_25lookback_scan_determinismE0ELb1ES3_N6thrust23THRUST_200600_302600_NS6detail15normal_iteratorINS9_10device_ptrIxEEEESE_SE_xNS9_4plusIxEE19head_flag_predicatexEE10hipError_tPvRmT2_T3_T4_T5_mT6_T7_P12ihipStream_tbENKUlT_T0_E_clISt17integral_constantIbLb0EESX_IbLb1EEEEDaST_SU_EUlST_E_NS1_11comp_targetILNS1_3genE10ELNS1_11target_archE1200ELNS1_3gpuE4ELNS1_3repE0EEENS1_30default_config_static_selectorELNS0_4arch9wavefront6targetE0EEEvT1_
                                        ; -- End function
	.set _ZN7rocprim17ROCPRIM_400000_NS6detail17trampoline_kernelINS0_14default_configENS1_27scan_by_key_config_selectorIxxEEZZNS1_16scan_by_key_implILNS1_25lookback_scan_determinismE0ELb1ES3_N6thrust23THRUST_200600_302600_NS6detail15normal_iteratorINS9_10device_ptrIxEEEESE_SE_xNS9_4plusIxEE19head_flag_predicatexEE10hipError_tPvRmT2_T3_T4_T5_mT6_T7_P12ihipStream_tbENKUlT_T0_E_clISt17integral_constantIbLb0EESX_IbLb1EEEEDaST_SU_EUlST_E_NS1_11comp_targetILNS1_3genE10ELNS1_11target_archE1200ELNS1_3gpuE4ELNS1_3repE0EEENS1_30default_config_static_selectorELNS0_4arch9wavefront6targetE0EEEvT1_.num_vgpr, 0
	.set _ZN7rocprim17ROCPRIM_400000_NS6detail17trampoline_kernelINS0_14default_configENS1_27scan_by_key_config_selectorIxxEEZZNS1_16scan_by_key_implILNS1_25lookback_scan_determinismE0ELb1ES3_N6thrust23THRUST_200600_302600_NS6detail15normal_iteratorINS9_10device_ptrIxEEEESE_SE_xNS9_4plusIxEE19head_flag_predicatexEE10hipError_tPvRmT2_T3_T4_T5_mT6_T7_P12ihipStream_tbENKUlT_T0_E_clISt17integral_constantIbLb0EESX_IbLb1EEEEDaST_SU_EUlST_E_NS1_11comp_targetILNS1_3genE10ELNS1_11target_archE1200ELNS1_3gpuE4ELNS1_3repE0EEENS1_30default_config_static_selectorELNS0_4arch9wavefront6targetE0EEEvT1_.num_agpr, 0
	.set _ZN7rocprim17ROCPRIM_400000_NS6detail17trampoline_kernelINS0_14default_configENS1_27scan_by_key_config_selectorIxxEEZZNS1_16scan_by_key_implILNS1_25lookback_scan_determinismE0ELb1ES3_N6thrust23THRUST_200600_302600_NS6detail15normal_iteratorINS9_10device_ptrIxEEEESE_SE_xNS9_4plusIxEE19head_flag_predicatexEE10hipError_tPvRmT2_T3_T4_T5_mT6_T7_P12ihipStream_tbENKUlT_T0_E_clISt17integral_constantIbLb0EESX_IbLb1EEEEDaST_SU_EUlST_E_NS1_11comp_targetILNS1_3genE10ELNS1_11target_archE1200ELNS1_3gpuE4ELNS1_3repE0EEENS1_30default_config_static_selectorELNS0_4arch9wavefront6targetE0EEEvT1_.numbered_sgpr, 0
	.set _ZN7rocprim17ROCPRIM_400000_NS6detail17trampoline_kernelINS0_14default_configENS1_27scan_by_key_config_selectorIxxEEZZNS1_16scan_by_key_implILNS1_25lookback_scan_determinismE0ELb1ES3_N6thrust23THRUST_200600_302600_NS6detail15normal_iteratorINS9_10device_ptrIxEEEESE_SE_xNS9_4plusIxEE19head_flag_predicatexEE10hipError_tPvRmT2_T3_T4_T5_mT6_T7_P12ihipStream_tbENKUlT_T0_E_clISt17integral_constantIbLb0EESX_IbLb1EEEEDaST_SU_EUlST_E_NS1_11comp_targetILNS1_3genE10ELNS1_11target_archE1200ELNS1_3gpuE4ELNS1_3repE0EEENS1_30default_config_static_selectorELNS0_4arch9wavefront6targetE0EEEvT1_.num_named_barrier, 0
	.set _ZN7rocprim17ROCPRIM_400000_NS6detail17trampoline_kernelINS0_14default_configENS1_27scan_by_key_config_selectorIxxEEZZNS1_16scan_by_key_implILNS1_25lookback_scan_determinismE0ELb1ES3_N6thrust23THRUST_200600_302600_NS6detail15normal_iteratorINS9_10device_ptrIxEEEESE_SE_xNS9_4plusIxEE19head_flag_predicatexEE10hipError_tPvRmT2_T3_T4_T5_mT6_T7_P12ihipStream_tbENKUlT_T0_E_clISt17integral_constantIbLb0EESX_IbLb1EEEEDaST_SU_EUlST_E_NS1_11comp_targetILNS1_3genE10ELNS1_11target_archE1200ELNS1_3gpuE4ELNS1_3repE0EEENS1_30default_config_static_selectorELNS0_4arch9wavefront6targetE0EEEvT1_.private_seg_size, 0
	.set _ZN7rocprim17ROCPRIM_400000_NS6detail17trampoline_kernelINS0_14default_configENS1_27scan_by_key_config_selectorIxxEEZZNS1_16scan_by_key_implILNS1_25lookback_scan_determinismE0ELb1ES3_N6thrust23THRUST_200600_302600_NS6detail15normal_iteratorINS9_10device_ptrIxEEEESE_SE_xNS9_4plusIxEE19head_flag_predicatexEE10hipError_tPvRmT2_T3_T4_T5_mT6_T7_P12ihipStream_tbENKUlT_T0_E_clISt17integral_constantIbLb0EESX_IbLb1EEEEDaST_SU_EUlST_E_NS1_11comp_targetILNS1_3genE10ELNS1_11target_archE1200ELNS1_3gpuE4ELNS1_3repE0EEENS1_30default_config_static_selectorELNS0_4arch9wavefront6targetE0EEEvT1_.uses_vcc, 0
	.set _ZN7rocprim17ROCPRIM_400000_NS6detail17trampoline_kernelINS0_14default_configENS1_27scan_by_key_config_selectorIxxEEZZNS1_16scan_by_key_implILNS1_25lookback_scan_determinismE0ELb1ES3_N6thrust23THRUST_200600_302600_NS6detail15normal_iteratorINS9_10device_ptrIxEEEESE_SE_xNS9_4plusIxEE19head_flag_predicatexEE10hipError_tPvRmT2_T3_T4_T5_mT6_T7_P12ihipStream_tbENKUlT_T0_E_clISt17integral_constantIbLb0EESX_IbLb1EEEEDaST_SU_EUlST_E_NS1_11comp_targetILNS1_3genE10ELNS1_11target_archE1200ELNS1_3gpuE4ELNS1_3repE0EEENS1_30default_config_static_selectorELNS0_4arch9wavefront6targetE0EEEvT1_.uses_flat_scratch, 0
	.set _ZN7rocprim17ROCPRIM_400000_NS6detail17trampoline_kernelINS0_14default_configENS1_27scan_by_key_config_selectorIxxEEZZNS1_16scan_by_key_implILNS1_25lookback_scan_determinismE0ELb1ES3_N6thrust23THRUST_200600_302600_NS6detail15normal_iteratorINS9_10device_ptrIxEEEESE_SE_xNS9_4plusIxEE19head_flag_predicatexEE10hipError_tPvRmT2_T3_T4_T5_mT6_T7_P12ihipStream_tbENKUlT_T0_E_clISt17integral_constantIbLb0EESX_IbLb1EEEEDaST_SU_EUlST_E_NS1_11comp_targetILNS1_3genE10ELNS1_11target_archE1200ELNS1_3gpuE4ELNS1_3repE0EEENS1_30default_config_static_selectorELNS0_4arch9wavefront6targetE0EEEvT1_.has_dyn_sized_stack, 0
	.set _ZN7rocprim17ROCPRIM_400000_NS6detail17trampoline_kernelINS0_14default_configENS1_27scan_by_key_config_selectorIxxEEZZNS1_16scan_by_key_implILNS1_25lookback_scan_determinismE0ELb1ES3_N6thrust23THRUST_200600_302600_NS6detail15normal_iteratorINS9_10device_ptrIxEEEESE_SE_xNS9_4plusIxEE19head_flag_predicatexEE10hipError_tPvRmT2_T3_T4_T5_mT6_T7_P12ihipStream_tbENKUlT_T0_E_clISt17integral_constantIbLb0EESX_IbLb1EEEEDaST_SU_EUlST_E_NS1_11comp_targetILNS1_3genE10ELNS1_11target_archE1200ELNS1_3gpuE4ELNS1_3repE0EEENS1_30default_config_static_selectorELNS0_4arch9wavefront6targetE0EEEvT1_.has_recursion, 0
	.set _ZN7rocprim17ROCPRIM_400000_NS6detail17trampoline_kernelINS0_14default_configENS1_27scan_by_key_config_selectorIxxEEZZNS1_16scan_by_key_implILNS1_25lookback_scan_determinismE0ELb1ES3_N6thrust23THRUST_200600_302600_NS6detail15normal_iteratorINS9_10device_ptrIxEEEESE_SE_xNS9_4plusIxEE19head_flag_predicatexEE10hipError_tPvRmT2_T3_T4_T5_mT6_T7_P12ihipStream_tbENKUlT_T0_E_clISt17integral_constantIbLb0EESX_IbLb1EEEEDaST_SU_EUlST_E_NS1_11comp_targetILNS1_3genE10ELNS1_11target_archE1200ELNS1_3gpuE4ELNS1_3repE0EEENS1_30default_config_static_selectorELNS0_4arch9wavefront6targetE0EEEvT1_.has_indirect_call, 0
	.section	.AMDGPU.csdata,"",@progbits
; Kernel info:
; codeLenInByte = 0
; TotalNumSgprs: 0
; NumVgprs: 0
; ScratchSize: 0
; MemoryBound: 0
; FloatMode: 240
; IeeeMode: 1
; LDSByteSize: 0 bytes/workgroup (compile time only)
; SGPRBlocks: 0
; VGPRBlocks: 0
; NumSGPRsForWavesPerEU: 1
; NumVGPRsForWavesPerEU: 1
; NamedBarCnt: 0
; Occupancy: 16
; WaveLimiterHint : 0
; COMPUTE_PGM_RSRC2:SCRATCH_EN: 0
; COMPUTE_PGM_RSRC2:USER_SGPR: 2
; COMPUTE_PGM_RSRC2:TRAP_HANDLER: 0
; COMPUTE_PGM_RSRC2:TGID_X_EN: 1
; COMPUTE_PGM_RSRC2:TGID_Y_EN: 0
; COMPUTE_PGM_RSRC2:TGID_Z_EN: 0
; COMPUTE_PGM_RSRC2:TIDIG_COMP_CNT: 0
	.section	.text._ZN7rocprim17ROCPRIM_400000_NS6detail17trampoline_kernelINS0_14default_configENS1_27scan_by_key_config_selectorIxxEEZZNS1_16scan_by_key_implILNS1_25lookback_scan_determinismE0ELb1ES3_N6thrust23THRUST_200600_302600_NS6detail15normal_iteratorINS9_10device_ptrIxEEEESE_SE_xNS9_4plusIxEE19head_flag_predicatexEE10hipError_tPvRmT2_T3_T4_T5_mT6_T7_P12ihipStream_tbENKUlT_T0_E_clISt17integral_constantIbLb0EESX_IbLb1EEEEDaST_SU_EUlST_E_NS1_11comp_targetILNS1_3genE9ELNS1_11target_archE1100ELNS1_3gpuE3ELNS1_3repE0EEENS1_30default_config_static_selectorELNS0_4arch9wavefront6targetE0EEEvT1_,"axG",@progbits,_ZN7rocprim17ROCPRIM_400000_NS6detail17trampoline_kernelINS0_14default_configENS1_27scan_by_key_config_selectorIxxEEZZNS1_16scan_by_key_implILNS1_25lookback_scan_determinismE0ELb1ES3_N6thrust23THRUST_200600_302600_NS6detail15normal_iteratorINS9_10device_ptrIxEEEESE_SE_xNS9_4plusIxEE19head_flag_predicatexEE10hipError_tPvRmT2_T3_T4_T5_mT6_T7_P12ihipStream_tbENKUlT_T0_E_clISt17integral_constantIbLb0EESX_IbLb1EEEEDaST_SU_EUlST_E_NS1_11comp_targetILNS1_3genE9ELNS1_11target_archE1100ELNS1_3gpuE3ELNS1_3repE0EEENS1_30default_config_static_selectorELNS0_4arch9wavefront6targetE0EEEvT1_,comdat
	.protected	_ZN7rocprim17ROCPRIM_400000_NS6detail17trampoline_kernelINS0_14default_configENS1_27scan_by_key_config_selectorIxxEEZZNS1_16scan_by_key_implILNS1_25lookback_scan_determinismE0ELb1ES3_N6thrust23THRUST_200600_302600_NS6detail15normal_iteratorINS9_10device_ptrIxEEEESE_SE_xNS9_4plusIxEE19head_flag_predicatexEE10hipError_tPvRmT2_T3_T4_T5_mT6_T7_P12ihipStream_tbENKUlT_T0_E_clISt17integral_constantIbLb0EESX_IbLb1EEEEDaST_SU_EUlST_E_NS1_11comp_targetILNS1_3genE9ELNS1_11target_archE1100ELNS1_3gpuE3ELNS1_3repE0EEENS1_30default_config_static_selectorELNS0_4arch9wavefront6targetE0EEEvT1_ ; -- Begin function _ZN7rocprim17ROCPRIM_400000_NS6detail17trampoline_kernelINS0_14default_configENS1_27scan_by_key_config_selectorIxxEEZZNS1_16scan_by_key_implILNS1_25lookback_scan_determinismE0ELb1ES3_N6thrust23THRUST_200600_302600_NS6detail15normal_iteratorINS9_10device_ptrIxEEEESE_SE_xNS9_4plusIxEE19head_flag_predicatexEE10hipError_tPvRmT2_T3_T4_T5_mT6_T7_P12ihipStream_tbENKUlT_T0_E_clISt17integral_constantIbLb0EESX_IbLb1EEEEDaST_SU_EUlST_E_NS1_11comp_targetILNS1_3genE9ELNS1_11target_archE1100ELNS1_3gpuE3ELNS1_3repE0EEENS1_30default_config_static_selectorELNS0_4arch9wavefront6targetE0EEEvT1_
	.globl	_ZN7rocprim17ROCPRIM_400000_NS6detail17trampoline_kernelINS0_14default_configENS1_27scan_by_key_config_selectorIxxEEZZNS1_16scan_by_key_implILNS1_25lookback_scan_determinismE0ELb1ES3_N6thrust23THRUST_200600_302600_NS6detail15normal_iteratorINS9_10device_ptrIxEEEESE_SE_xNS9_4plusIxEE19head_flag_predicatexEE10hipError_tPvRmT2_T3_T4_T5_mT6_T7_P12ihipStream_tbENKUlT_T0_E_clISt17integral_constantIbLb0EESX_IbLb1EEEEDaST_SU_EUlST_E_NS1_11comp_targetILNS1_3genE9ELNS1_11target_archE1100ELNS1_3gpuE3ELNS1_3repE0EEENS1_30default_config_static_selectorELNS0_4arch9wavefront6targetE0EEEvT1_
	.p2align	8
	.type	_ZN7rocprim17ROCPRIM_400000_NS6detail17trampoline_kernelINS0_14default_configENS1_27scan_by_key_config_selectorIxxEEZZNS1_16scan_by_key_implILNS1_25lookback_scan_determinismE0ELb1ES3_N6thrust23THRUST_200600_302600_NS6detail15normal_iteratorINS9_10device_ptrIxEEEESE_SE_xNS9_4plusIxEE19head_flag_predicatexEE10hipError_tPvRmT2_T3_T4_T5_mT6_T7_P12ihipStream_tbENKUlT_T0_E_clISt17integral_constantIbLb0EESX_IbLb1EEEEDaST_SU_EUlST_E_NS1_11comp_targetILNS1_3genE9ELNS1_11target_archE1100ELNS1_3gpuE3ELNS1_3repE0EEENS1_30default_config_static_selectorELNS0_4arch9wavefront6targetE0EEEvT1_,@function
_ZN7rocprim17ROCPRIM_400000_NS6detail17trampoline_kernelINS0_14default_configENS1_27scan_by_key_config_selectorIxxEEZZNS1_16scan_by_key_implILNS1_25lookback_scan_determinismE0ELb1ES3_N6thrust23THRUST_200600_302600_NS6detail15normal_iteratorINS9_10device_ptrIxEEEESE_SE_xNS9_4plusIxEE19head_flag_predicatexEE10hipError_tPvRmT2_T3_T4_T5_mT6_T7_P12ihipStream_tbENKUlT_T0_E_clISt17integral_constantIbLb0EESX_IbLb1EEEEDaST_SU_EUlST_E_NS1_11comp_targetILNS1_3genE9ELNS1_11target_archE1100ELNS1_3gpuE3ELNS1_3repE0EEENS1_30default_config_static_selectorELNS0_4arch9wavefront6targetE0EEEvT1_: ; @_ZN7rocprim17ROCPRIM_400000_NS6detail17trampoline_kernelINS0_14default_configENS1_27scan_by_key_config_selectorIxxEEZZNS1_16scan_by_key_implILNS1_25lookback_scan_determinismE0ELb1ES3_N6thrust23THRUST_200600_302600_NS6detail15normal_iteratorINS9_10device_ptrIxEEEESE_SE_xNS9_4plusIxEE19head_flag_predicatexEE10hipError_tPvRmT2_T3_T4_T5_mT6_T7_P12ihipStream_tbENKUlT_T0_E_clISt17integral_constantIbLb0EESX_IbLb1EEEEDaST_SU_EUlST_E_NS1_11comp_targetILNS1_3genE9ELNS1_11target_archE1100ELNS1_3gpuE3ELNS1_3repE0EEENS1_30default_config_static_selectorELNS0_4arch9wavefront6targetE0EEEvT1_
; %bb.0:
	.section	.rodata,"a",@progbits
	.p2align	6, 0x0
	.amdhsa_kernel _ZN7rocprim17ROCPRIM_400000_NS6detail17trampoline_kernelINS0_14default_configENS1_27scan_by_key_config_selectorIxxEEZZNS1_16scan_by_key_implILNS1_25lookback_scan_determinismE0ELb1ES3_N6thrust23THRUST_200600_302600_NS6detail15normal_iteratorINS9_10device_ptrIxEEEESE_SE_xNS9_4plusIxEE19head_flag_predicatexEE10hipError_tPvRmT2_T3_T4_T5_mT6_T7_P12ihipStream_tbENKUlT_T0_E_clISt17integral_constantIbLb0EESX_IbLb1EEEEDaST_SU_EUlST_E_NS1_11comp_targetILNS1_3genE9ELNS1_11target_archE1100ELNS1_3gpuE3ELNS1_3repE0EEENS1_30default_config_static_selectorELNS0_4arch9wavefront6targetE0EEEvT1_
		.amdhsa_group_segment_fixed_size 0
		.amdhsa_private_segment_fixed_size 0
		.amdhsa_kernarg_size 136
		.amdhsa_user_sgpr_count 2
		.amdhsa_user_sgpr_dispatch_ptr 0
		.amdhsa_user_sgpr_queue_ptr 0
		.amdhsa_user_sgpr_kernarg_segment_ptr 1
		.amdhsa_user_sgpr_dispatch_id 0
		.amdhsa_user_sgpr_kernarg_preload_length 0
		.amdhsa_user_sgpr_kernarg_preload_offset 0
		.amdhsa_user_sgpr_private_segment_size 0
		.amdhsa_wavefront_size32 1
		.amdhsa_uses_dynamic_stack 0
		.amdhsa_enable_private_segment 0
		.amdhsa_system_sgpr_workgroup_id_x 1
		.amdhsa_system_sgpr_workgroup_id_y 0
		.amdhsa_system_sgpr_workgroup_id_z 0
		.amdhsa_system_sgpr_workgroup_info 0
		.amdhsa_system_vgpr_workitem_id 0
		.amdhsa_next_free_vgpr 1
		.amdhsa_next_free_sgpr 1
		.amdhsa_named_barrier_count 0
		.amdhsa_reserve_vcc 0
		.amdhsa_float_round_mode_32 0
		.amdhsa_float_round_mode_16_64 0
		.amdhsa_float_denorm_mode_32 3
		.amdhsa_float_denorm_mode_16_64 3
		.amdhsa_fp16_overflow 0
		.amdhsa_memory_ordered 1
		.amdhsa_forward_progress 1
		.amdhsa_inst_pref_size 0
		.amdhsa_round_robin_scheduling 0
		.amdhsa_exception_fp_ieee_invalid_op 0
		.amdhsa_exception_fp_denorm_src 0
		.amdhsa_exception_fp_ieee_div_zero 0
		.amdhsa_exception_fp_ieee_overflow 0
		.amdhsa_exception_fp_ieee_underflow 0
		.amdhsa_exception_fp_ieee_inexact 0
		.amdhsa_exception_int_div_zero 0
	.end_amdhsa_kernel
	.section	.text._ZN7rocprim17ROCPRIM_400000_NS6detail17trampoline_kernelINS0_14default_configENS1_27scan_by_key_config_selectorIxxEEZZNS1_16scan_by_key_implILNS1_25lookback_scan_determinismE0ELb1ES3_N6thrust23THRUST_200600_302600_NS6detail15normal_iteratorINS9_10device_ptrIxEEEESE_SE_xNS9_4plusIxEE19head_flag_predicatexEE10hipError_tPvRmT2_T3_T4_T5_mT6_T7_P12ihipStream_tbENKUlT_T0_E_clISt17integral_constantIbLb0EESX_IbLb1EEEEDaST_SU_EUlST_E_NS1_11comp_targetILNS1_3genE9ELNS1_11target_archE1100ELNS1_3gpuE3ELNS1_3repE0EEENS1_30default_config_static_selectorELNS0_4arch9wavefront6targetE0EEEvT1_,"axG",@progbits,_ZN7rocprim17ROCPRIM_400000_NS6detail17trampoline_kernelINS0_14default_configENS1_27scan_by_key_config_selectorIxxEEZZNS1_16scan_by_key_implILNS1_25lookback_scan_determinismE0ELb1ES3_N6thrust23THRUST_200600_302600_NS6detail15normal_iteratorINS9_10device_ptrIxEEEESE_SE_xNS9_4plusIxEE19head_flag_predicatexEE10hipError_tPvRmT2_T3_T4_T5_mT6_T7_P12ihipStream_tbENKUlT_T0_E_clISt17integral_constantIbLb0EESX_IbLb1EEEEDaST_SU_EUlST_E_NS1_11comp_targetILNS1_3genE9ELNS1_11target_archE1100ELNS1_3gpuE3ELNS1_3repE0EEENS1_30default_config_static_selectorELNS0_4arch9wavefront6targetE0EEEvT1_,comdat
.Lfunc_end747:
	.size	_ZN7rocprim17ROCPRIM_400000_NS6detail17trampoline_kernelINS0_14default_configENS1_27scan_by_key_config_selectorIxxEEZZNS1_16scan_by_key_implILNS1_25lookback_scan_determinismE0ELb1ES3_N6thrust23THRUST_200600_302600_NS6detail15normal_iteratorINS9_10device_ptrIxEEEESE_SE_xNS9_4plusIxEE19head_flag_predicatexEE10hipError_tPvRmT2_T3_T4_T5_mT6_T7_P12ihipStream_tbENKUlT_T0_E_clISt17integral_constantIbLb0EESX_IbLb1EEEEDaST_SU_EUlST_E_NS1_11comp_targetILNS1_3genE9ELNS1_11target_archE1100ELNS1_3gpuE3ELNS1_3repE0EEENS1_30default_config_static_selectorELNS0_4arch9wavefront6targetE0EEEvT1_, .Lfunc_end747-_ZN7rocprim17ROCPRIM_400000_NS6detail17trampoline_kernelINS0_14default_configENS1_27scan_by_key_config_selectorIxxEEZZNS1_16scan_by_key_implILNS1_25lookback_scan_determinismE0ELb1ES3_N6thrust23THRUST_200600_302600_NS6detail15normal_iteratorINS9_10device_ptrIxEEEESE_SE_xNS9_4plusIxEE19head_flag_predicatexEE10hipError_tPvRmT2_T3_T4_T5_mT6_T7_P12ihipStream_tbENKUlT_T0_E_clISt17integral_constantIbLb0EESX_IbLb1EEEEDaST_SU_EUlST_E_NS1_11comp_targetILNS1_3genE9ELNS1_11target_archE1100ELNS1_3gpuE3ELNS1_3repE0EEENS1_30default_config_static_selectorELNS0_4arch9wavefront6targetE0EEEvT1_
                                        ; -- End function
	.set _ZN7rocprim17ROCPRIM_400000_NS6detail17trampoline_kernelINS0_14default_configENS1_27scan_by_key_config_selectorIxxEEZZNS1_16scan_by_key_implILNS1_25lookback_scan_determinismE0ELb1ES3_N6thrust23THRUST_200600_302600_NS6detail15normal_iteratorINS9_10device_ptrIxEEEESE_SE_xNS9_4plusIxEE19head_flag_predicatexEE10hipError_tPvRmT2_T3_T4_T5_mT6_T7_P12ihipStream_tbENKUlT_T0_E_clISt17integral_constantIbLb0EESX_IbLb1EEEEDaST_SU_EUlST_E_NS1_11comp_targetILNS1_3genE9ELNS1_11target_archE1100ELNS1_3gpuE3ELNS1_3repE0EEENS1_30default_config_static_selectorELNS0_4arch9wavefront6targetE0EEEvT1_.num_vgpr, 0
	.set _ZN7rocprim17ROCPRIM_400000_NS6detail17trampoline_kernelINS0_14default_configENS1_27scan_by_key_config_selectorIxxEEZZNS1_16scan_by_key_implILNS1_25lookback_scan_determinismE0ELb1ES3_N6thrust23THRUST_200600_302600_NS6detail15normal_iteratorINS9_10device_ptrIxEEEESE_SE_xNS9_4plusIxEE19head_flag_predicatexEE10hipError_tPvRmT2_T3_T4_T5_mT6_T7_P12ihipStream_tbENKUlT_T0_E_clISt17integral_constantIbLb0EESX_IbLb1EEEEDaST_SU_EUlST_E_NS1_11comp_targetILNS1_3genE9ELNS1_11target_archE1100ELNS1_3gpuE3ELNS1_3repE0EEENS1_30default_config_static_selectorELNS0_4arch9wavefront6targetE0EEEvT1_.num_agpr, 0
	.set _ZN7rocprim17ROCPRIM_400000_NS6detail17trampoline_kernelINS0_14default_configENS1_27scan_by_key_config_selectorIxxEEZZNS1_16scan_by_key_implILNS1_25lookback_scan_determinismE0ELb1ES3_N6thrust23THRUST_200600_302600_NS6detail15normal_iteratorINS9_10device_ptrIxEEEESE_SE_xNS9_4plusIxEE19head_flag_predicatexEE10hipError_tPvRmT2_T3_T4_T5_mT6_T7_P12ihipStream_tbENKUlT_T0_E_clISt17integral_constantIbLb0EESX_IbLb1EEEEDaST_SU_EUlST_E_NS1_11comp_targetILNS1_3genE9ELNS1_11target_archE1100ELNS1_3gpuE3ELNS1_3repE0EEENS1_30default_config_static_selectorELNS0_4arch9wavefront6targetE0EEEvT1_.numbered_sgpr, 0
	.set _ZN7rocprim17ROCPRIM_400000_NS6detail17trampoline_kernelINS0_14default_configENS1_27scan_by_key_config_selectorIxxEEZZNS1_16scan_by_key_implILNS1_25lookback_scan_determinismE0ELb1ES3_N6thrust23THRUST_200600_302600_NS6detail15normal_iteratorINS9_10device_ptrIxEEEESE_SE_xNS9_4plusIxEE19head_flag_predicatexEE10hipError_tPvRmT2_T3_T4_T5_mT6_T7_P12ihipStream_tbENKUlT_T0_E_clISt17integral_constantIbLb0EESX_IbLb1EEEEDaST_SU_EUlST_E_NS1_11comp_targetILNS1_3genE9ELNS1_11target_archE1100ELNS1_3gpuE3ELNS1_3repE0EEENS1_30default_config_static_selectorELNS0_4arch9wavefront6targetE0EEEvT1_.num_named_barrier, 0
	.set _ZN7rocprim17ROCPRIM_400000_NS6detail17trampoline_kernelINS0_14default_configENS1_27scan_by_key_config_selectorIxxEEZZNS1_16scan_by_key_implILNS1_25lookback_scan_determinismE0ELb1ES3_N6thrust23THRUST_200600_302600_NS6detail15normal_iteratorINS9_10device_ptrIxEEEESE_SE_xNS9_4plusIxEE19head_flag_predicatexEE10hipError_tPvRmT2_T3_T4_T5_mT6_T7_P12ihipStream_tbENKUlT_T0_E_clISt17integral_constantIbLb0EESX_IbLb1EEEEDaST_SU_EUlST_E_NS1_11comp_targetILNS1_3genE9ELNS1_11target_archE1100ELNS1_3gpuE3ELNS1_3repE0EEENS1_30default_config_static_selectorELNS0_4arch9wavefront6targetE0EEEvT1_.private_seg_size, 0
	.set _ZN7rocprim17ROCPRIM_400000_NS6detail17trampoline_kernelINS0_14default_configENS1_27scan_by_key_config_selectorIxxEEZZNS1_16scan_by_key_implILNS1_25lookback_scan_determinismE0ELb1ES3_N6thrust23THRUST_200600_302600_NS6detail15normal_iteratorINS9_10device_ptrIxEEEESE_SE_xNS9_4plusIxEE19head_flag_predicatexEE10hipError_tPvRmT2_T3_T4_T5_mT6_T7_P12ihipStream_tbENKUlT_T0_E_clISt17integral_constantIbLb0EESX_IbLb1EEEEDaST_SU_EUlST_E_NS1_11comp_targetILNS1_3genE9ELNS1_11target_archE1100ELNS1_3gpuE3ELNS1_3repE0EEENS1_30default_config_static_selectorELNS0_4arch9wavefront6targetE0EEEvT1_.uses_vcc, 0
	.set _ZN7rocprim17ROCPRIM_400000_NS6detail17trampoline_kernelINS0_14default_configENS1_27scan_by_key_config_selectorIxxEEZZNS1_16scan_by_key_implILNS1_25lookback_scan_determinismE0ELb1ES3_N6thrust23THRUST_200600_302600_NS6detail15normal_iteratorINS9_10device_ptrIxEEEESE_SE_xNS9_4plusIxEE19head_flag_predicatexEE10hipError_tPvRmT2_T3_T4_T5_mT6_T7_P12ihipStream_tbENKUlT_T0_E_clISt17integral_constantIbLb0EESX_IbLb1EEEEDaST_SU_EUlST_E_NS1_11comp_targetILNS1_3genE9ELNS1_11target_archE1100ELNS1_3gpuE3ELNS1_3repE0EEENS1_30default_config_static_selectorELNS0_4arch9wavefront6targetE0EEEvT1_.uses_flat_scratch, 0
	.set _ZN7rocprim17ROCPRIM_400000_NS6detail17trampoline_kernelINS0_14default_configENS1_27scan_by_key_config_selectorIxxEEZZNS1_16scan_by_key_implILNS1_25lookback_scan_determinismE0ELb1ES3_N6thrust23THRUST_200600_302600_NS6detail15normal_iteratorINS9_10device_ptrIxEEEESE_SE_xNS9_4plusIxEE19head_flag_predicatexEE10hipError_tPvRmT2_T3_T4_T5_mT6_T7_P12ihipStream_tbENKUlT_T0_E_clISt17integral_constantIbLb0EESX_IbLb1EEEEDaST_SU_EUlST_E_NS1_11comp_targetILNS1_3genE9ELNS1_11target_archE1100ELNS1_3gpuE3ELNS1_3repE0EEENS1_30default_config_static_selectorELNS0_4arch9wavefront6targetE0EEEvT1_.has_dyn_sized_stack, 0
	.set _ZN7rocprim17ROCPRIM_400000_NS6detail17trampoline_kernelINS0_14default_configENS1_27scan_by_key_config_selectorIxxEEZZNS1_16scan_by_key_implILNS1_25lookback_scan_determinismE0ELb1ES3_N6thrust23THRUST_200600_302600_NS6detail15normal_iteratorINS9_10device_ptrIxEEEESE_SE_xNS9_4plusIxEE19head_flag_predicatexEE10hipError_tPvRmT2_T3_T4_T5_mT6_T7_P12ihipStream_tbENKUlT_T0_E_clISt17integral_constantIbLb0EESX_IbLb1EEEEDaST_SU_EUlST_E_NS1_11comp_targetILNS1_3genE9ELNS1_11target_archE1100ELNS1_3gpuE3ELNS1_3repE0EEENS1_30default_config_static_selectorELNS0_4arch9wavefront6targetE0EEEvT1_.has_recursion, 0
	.set _ZN7rocprim17ROCPRIM_400000_NS6detail17trampoline_kernelINS0_14default_configENS1_27scan_by_key_config_selectorIxxEEZZNS1_16scan_by_key_implILNS1_25lookback_scan_determinismE0ELb1ES3_N6thrust23THRUST_200600_302600_NS6detail15normal_iteratorINS9_10device_ptrIxEEEESE_SE_xNS9_4plusIxEE19head_flag_predicatexEE10hipError_tPvRmT2_T3_T4_T5_mT6_T7_P12ihipStream_tbENKUlT_T0_E_clISt17integral_constantIbLb0EESX_IbLb1EEEEDaST_SU_EUlST_E_NS1_11comp_targetILNS1_3genE9ELNS1_11target_archE1100ELNS1_3gpuE3ELNS1_3repE0EEENS1_30default_config_static_selectorELNS0_4arch9wavefront6targetE0EEEvT1_.has_indirect_call, 0
	.section	.AMDGPU.csdata,"",@progbits
; Kernel info:
; codeLenInByte = 0
; TotalNumSgprs: 0
; NumVgprs: 0
; ScratchSize: 0
; MemoryBound: 0
; FloatMode: 240
; IeeeMode: 1
; LDSByteSize: 0 bytes/workgroup (compile time only)
; SGPRBlocks: 0
; VGPRBlocks: 0
; NumSGPRsForWavesPerEU: 1
; NumVGPRsForWavesPerEU: 1
; NamedBarCnt: 0
; Occupancy: 16
; WaveLimiterHint : 0
; COMPUTE_PGM_RSRC2:SCRATCH_EN: 0
; COMPUTE_PGM_RSRC2:USER_SGPR: 2
; COMPUTE_PGM_RSRC2:TRAP_HANDLER: 0
; COMPUTE_PGM_RSRC2:TGID_X_EN: 1
; COMPUTE_PGM_RSRC2:TGID_Y_EN: 0
; COMPUTE_PGM_RSRC2:TGID_Z_EN: 0
; COMPUTE_PGM_RSRC2:TIDIG_COMP_CNT: 0
	.section	.text._ZN7rocprim17ROCPRIM_400000_NS6detail17trampoline_kernelINS0_14default_configENS1_27scan_by_key_config_selectorIxxEEZZNS1_16scan_by_key_implILNS1_25lookback_scan_determinismE0ELb1ES3_N6thrust23THRUST_200600_302600_NS6detail15normal_iteratorINS9_10device_ptrIxEEEESE_SE_xNS9_4plusIxEE19head_flag_predicatexEE10hipError_tPvRmT2_T3_T4_T5_mT6_T7_P12ihipStream_tbENKUlT_T0_E_clISt17integral_constantIbLb0EESX_IbLb1EEEEDaST_SU_EUlST_E_NS1_11comp_targetILNS1_3genE8ELNS1_11target_archE1030ELNS1_3gpuE2ELNS1_3repE0EEENS1_30default_config_static_selectorELNS0_4arch9wavefront6targetE0EEEvT1_,"axG",@progbits,_ZN7rocprim17ROCPRIM_400000_NS6detail17trampoline_kernelINS0_14default_configENS1_27scan_by_key_config_selectorIxxEEZZNS1_16scan_by_key_implILNS1_25lookback_scan_determinismE0ELb1ES3_N6thrust23THRUST_200600_302600_NS6detail15normal_iteratorINS9_10device_ptrIxEEEESE_SE_xNS9_4plusIxEE19head_flag_predicatexEE10hipError_tPvRmT2_T3_T4_T5_mT6_T7_P12ihipStream_tbENKUlT_T0_E_clISt17integral_constantIbLb0EESX_IbLb1EEEEDaST_SU_EUlST_E_NS1_11comp_targetILNS1_3genE8ELNS1_11target_archE1030ELNS1_3gpuE2ELNS1_3repE0EEENS1_30default_config_static_selectorELNS0_4arch9wavefront6targetE0EEEvT1_,comdat
	.protected	_ZN7rocprim17ROCPRIM_400000_NS6detail17trampoline_kernelINS0_14default_configENS1_27scan_by_key_config_selectorIxxEEZZNS1_16scan_by_key_implILNS1_25lookback_scan_determinismE0ELb1ES3_N6thrust23THRUST_200600_302600_NS6detail15normal_iteratorINS9_10device_ptrIxEEEESE_SE_xNS9_4plusIxEE19head_flag_predicatexEE10hipError_tPvRmT2_T3_T4_T5_mT6_T7_P12ihipStream_tbENKUlT_T0_E_clISt17integral_constantIbLb0EESX_IbLb1EEEEDaST_SU_EUlST_E_NS1_11comp_targetILNS1_3genE8ELNS1_11target_archE1030ELNS1_3gpuE2ELNS1_3repE0EEENS1_30default_config_static_selectorELNS0_4arch9wavefront6targetE0EEEvT1_ ; -- Begin function _ZN7rocprim17ROCPRIM_400000_NS6detail17trampoline_kernelINS0_14default_configENS1_27scan_by_key_config_selectorIxxEEZZNS1_16scan_by_key_implILNS1_25lookback_scan_determinismE0ELb1ES3_N6thrust23THRUST_200600_302600_NS6detail15normal_iteratorINS9_10device_ptrIxEEEESE_SE_xNS9_4plusIxEE19head_flag_predicatexEE10hipError_tPvRmT2_T3_T4_T5_mT6_T7_P12ihipStream_tbENKUlT_T0_E_clISt17integral_constantIbLb0EESX_IbLb1EEEEDaST_SU_EUlST_E_NS1_11comp_targetILNS1_3genE8ELNS1_11target_archE1030ELNS1_3gpuE2ELNS1_3repE0EEENS1_30default_config_static_selectorELNS0_4arch9wavefront6targetE0EEEvT1_
	.globl	_ZN7rocprim17ROCPRIM_400000_NS6detail17trampoline_kernelINS0_14default_configENS1_27scan_by_key_config_selectorIxxEEZZNS1_16scan_by_key_implILNS1_25lookback_scan_determinismE0ELb1ES3_N6thrust23THRUST_200600_302600_NS6detail15normal_iteratorINS9_10device_ptrIxEEEESE_SE_xNS9_4plusIxEE19head_flag_predicatexEE10hipError_tPvRmT2_T3_T4_T5_mT6_T7_P12ihipStream_tbENKUlT_T0_E_clISt17integral_constantIbLb0EESX_IbLb1EEEEDaST_SU_EUlST_E_NS1_11comp_targetILNS1_3genE8ELNS1_11target_archE1030ELNS1_3gpuE2ELNS1_3repE0EEENS1_30default_config_static_selectorELNS0_4arch9wavefront6targetE0EEEvT1_
	.p2align	8
	.type	_ZN7rocprim17ROCPRIM_400000_NS6detail17trampoline_kernelINS0_14default_configENS1_27scan_by_key_config_selectorIxxEEZZNS1_16scan_by_key_implILNS1_25lookback_scan_determinismE0ELb1ES3_N6thrust23THRUST_200600_302600_NS6detail15normal_iteratorINS9_10device_ptrIxEEEESE_SE_xNS9_4plusIxEE19head_flag_predicatexEE10hipError_tPvRmT2_T3_T4_T5_mT6_T7_P12ihipStream_tbENKUlT_T0_E_clISt17integral_constantIbLb0EESX_IbLb1EEEEDaST_SU_EUlST_E_NS1_11comp_targetILNS1_3genE8ELNS1_11target_archE1030ELNS1_3gpuE2ELNS1_3repE0EEENS1_30default_config_static_selectorELNS0_4arch9wavefront6targetE0EEEvT1_,@function
_ZN7rocprim17ROCPRIM_400000_NS6detail17trampoline_kernelINS0_14default_configENS1_27scan_by_key_config_selectorIxxEEZZNS1_16scan_by_key_implILNS1_25lookback_scan_determinismE0ELb1ES3_N6thrust23THRUST_200600_302600_NS6detail15normal_iteratorINS9_10device_ptrIxEEEESE_SE_xNS9_4plusIxEE19head_flag_predicatexEE10hipError_tPvRmT2_T3_T4_T5_mT6_T7_P12ihipStream_tbENKUlT_T0_E_clISt17integral_constantIbLb0EESX_IbLb1EEEEDaST_SU_EUlST_E_NS1_11comp_targetILNS1_3genE8ELNS1_11target_archE1030ELNS1_3gpuE2ELNS1_3repE0EEENS1_30default_config_static_selectorELNS0_4arch9wavefront6targetE0EEEvT1_: ; @_ZN7rocprim17ROCPRIM_400000_NS6detail17trampoline_kernelINS0_14default_configENS1_27scan_by_key_config_selectorIxxEEZZNS1_16scan_by_key_implILNS1_25lookback_scan_determinismE0ELb1ES3_N6thrust23THRUST_200600_302600_NS6detail15normal_iteratorINS9_10device_ptrIxEEEESE_SE_xNS9_4plusIxEE19head_flag_predicatexEE10hipError_tPvRmT2_T3_T4_T5_mT6_T7_P12ihipStream_tbENKUlT_T0_E_clISt17integral_constantIbLb0EESX_IbLb1EEEEDaST_SU_EUlST_E_NS1_11comp_targetILNS1_3genE8ELNS1_11target_archE1030ELNS1_3gpuE2ELNS1_3repE0EEENS1_30default_config_static_selectorELNS0_4arch9wavefront6targetE0EEEvT1_
; %bb.0:
	.section	.rodata,"a",@progbits
	.p2align	6, 0x0
	.amdhsa_kernel _ZN7rocprim17ROCPRIM_400000_NS6detail17trampoline_kernelINS0_14default_configENS1_27scan_by_key_config_selectorIxxEEZZNS1_16scan_by_key_implILNS1_25lookback_scan_determinismE0ELb1ES3_N6thrust23THRUST_200600_302600_NS6detail15normal_iteratorINS9_10device_ptrIxEEEESE_SE_xNS9_4plusIxEE19head_flag_predicatexEE10hipError_tPvRmT2_T3_T4_T5_mT6_T7_P12ihipStream_tbENKUlT_T0_E_clISt17integral_constantIbLb0EESX_IbLb1EEEEDaST_SU_EUlST_E_NS1_11comp_targetILNS1_3genE8ELNS1_11target_archE1030ELNS1_3gpuE2ELNS1_3repE0EEENS1_30default_config_static_selectorELNS0_4arch9wavefront6targetE0EEEvT1_
		.amdhsa_group_segment_fixed_size 0
		.amdhsa_private_segment_fixed_size 0
		.amdhsa_kernarg_size 136
		.amdhsa_user_sgpr_count 2
		.amdhsa_user_sgpr_dispatch_ptr 0
		.amdhsa_user_sgpr_queue_ptr 0
		.amdhsa_user_sgpr_kernarg_segment_ptr 1
		.amdhsa_user_sgpr_dispatch_id 0
		.amdhsa_user_sgpr_kernarg_preload_length 0
		.amdhsa_user_sgpr_kernarg_preload_offset 0
		.amdhsa_user_sgpr_private_segment_size 0
		.amdhsa_wavefront_size32 1
		.amdhsa_uses_dynamic_stack 0
		.amdhsa_enable_private_segment 0
		.amdhsa_system_sgpr_workgroup_id_x 1
		.amdhsa_system_sgpr_workgroup_id_y 0
		.amdhsa_system_sgpr_workgroup_id_z 0
		.amdhsa_system_sgpr_workgroup_info 0
		.amdhsa_system_vgpr_workitem_id 0
		.amdhsa_next_free_vgpr 1
		.amdhsa_next_free_sgpr 1
		.amdhsa_named_barrier_count 0
		.amdhsa_reserve_vcc 0
		.amdhsa_float_round_mode_32 0
		.amdhsa_float_round_mode_16_64 0
		.amdhsa_float_denorm_mode_32 3
		.amdhsa_float_denorm_mode_16_64 3
		.amdhsa_fp16_overflow 0
		.amdhsa_memory_ordered 1
		.amdhsa_forward_progress 1
		.amdhsa_inst_pref_size 0
		.amdhsa_round_robin_scheduling 0
		.amdhsa_exception_fp_ieee_invalid_op 0
		.amdhsa_exception_fp_denorm_src 0
		.amdhsa_exception_fp_ieee_div_zero 0
		.amdhsa_exception_fp_ieee_overflow 0
		.amdhsa_exception_fp_ieee_underflow 0
		.amdhsa_exception_fp_ieee_inexact 0
		.amdhsa_exception_int_div_zero 0
	.end_amdhsa_kernel
	.section	.text._ZN7rocprim17ROCPRIM_400000_NS6detail17trampoline_kernelINS0_14default_configENS1_27scan_by_key_config_selectorIxxEEZZNS1_16scan_by_key_implILNS1_25lookback_scan_determinismE0ELb1ES3_N6thrust23THRUST_200600_302600_NS6detail15normal_iteratorINS9_10device_ptrIxEEEESE_SE_xNS9_4plusIxEE19head_flag_predicatexEE10hipError_tPvRmT2_T3_T4_T5_mT6_T7_P12ihipStream_tbENKUlT_T0_E_clISt17integral_constantIbLb0EESX_IbLb1EEEEDaST_SU_EUlST_E_NS1_11comp_targetILNS1_3genE8ELNS1_11target_archE1030ELNS1_3gpuE2ELNS1_3repE0EEENS1_30default_config_static_selectorELNS0_4arch9wavefront6targetE0EEEvT1_,"axG",@progbits,_ZN7rocprim17ROCPRIM_400000_NS6detail17trampoline_kernelINS0_14default_configENS1_27scan_by_key_config_selectorIxxEEZZNS1_16scan_by_key_implILNS1_25lookback_scan_determinismE0ELb1ES3_N6thrust23THRUST_200600_302600_NS6detail15normal_iteratorINS9_10device_ptrIxEEEESE_SE_xNS9_4plusIxEE19head_flag_predicatexEE10hipError_tPvRmT2_T3_T4_T5_mT6_T7_P12ihipStream_tbENKUlT_T0_E_clISt17integral_constantIbLb0EESX_IbLb1EEEEDaST_SU_EUlST_E_NS1_11comp_targetILNS1_3genE8ELNS1_11target_archE1030ELNS1_3gpuE2ELNS1_3repE0EEENS1_30default_config_static_selectorELNS0_4arch9wavefront6targetE0EEEvT1_,comdat
.Lfunc_end748:
	.size	_ZN7rocprim17ROCPRIM_400000_NS6detail17trampoline_kernelINS0_14default_configENS1_27scan_by_key_config_selectorIxxEEZZNS1_16scan_by_key_implILNS1_25lookback_scan_determinismE0ELb1ES3_N6thrust23THRUST_200600_302600_NS6detail15normal_iteratorINS9_10device_ptrIxEEEESE_SE_xNS9_4plusIxEE19head_flag_predicatexEE10hipError_tPvRmT2_T3_T4_T5_mT6_T7_P12ihipStream_tbENKUlT_T0_E_clISt17integral_constantIbLb0EESX_IbLb1EEEEDaST_SU_EUlST_E_NS1_11comp_targetILNS1_3genE8ELNS1_11target_archE1030ELNS1_3gpuE2ELNS1_3repE0EEENS1_30default_config_static_selectorELNS0_4arch9wavefront6targetE0EEEvT1_, .Lfunc_end748-_ZN7rocprim17ROCPRIM_400000_NS6detail17trampoline_kernelINS0_14default_configENS1_27scan_by_key_config_selectorIxxEEZZNS1_16scan_by_key_implILNS1_25lookback_scan_determinismE0ELb1ES3_N6thrust23THRUST_200600_302600_NS6detail15normal_iteratorINS9_10device_ptrIxEEEESE_SE_xNS9_4plusIxEE19head_flag_predicatexEE10hipError_tPvRmT2_T3_T4_T5_mT6_T7_P12ihipStream_tbENKUlT_T0_E_clISt17integral_constantIbLb0EESX_IbLb1EEEEDaST_SU_EUlST_E_NS1_11comp_targetILNS1_3genE8ELNS1_11target_archE1030ELNS1_3gpuE2ELNS1_3repE0EEENS1_30default_config_static_selectorELNS0_4arch9wavefront6targetE0EEEvT1_
                                        ; -- End function
	.set _ZN7rocprim17ROCPRIM_400000_NS6detail17trampoline_kernelINS0_14default_configENS1_27scan_by_key_config_selectorIxxEEZZNS1_16scan_by_key_implILNS1_25lookback_scan_determinismE0ELb1ES3_N6thrust23THRUST_200600_302600_NS6detail15normal_iteratorINS9_10device_ptrIxEEEESE_SE_xNS9_4plusIxEE19head_flag_predicatexEE10hipError_tPvRmT2_T3_T4_T5_mT6_T7_P12ihipStream_tbENKUlT_T0_E_clISt17integral_constantIbLb0EESX_IbLb1EEEEDaST_SU_EUlST_E_NS1_11comp_targetILNS1_3genE8ELNS1_11target_archE1030ELNS1_3gpuE2ELNS1_3repE0EEENS1_30default_config_static_selectorELNS0_4arch9wavefront6targetE0EEEvT1_.num_vgpr, 0
	.set _ZN7rocprim17ROCPRIM_400000_NS6detail17trampoline_kernelINS0_14default_configENS1_27scan_by_key_config_selectorIxxEEZZNS1_16scan_by_key_implILNS1_25lookback_scan_determinismE0ELb1ES3_N6thrust23THRUST_200600_302600_NS6detail15normal_iteratorINS9_10device_ptrIxEEEESE_SE_xNS9_4plusIxEE19head_flag_predicatexEE10hipError_tPvRmT2_T3_T4_T5_mT6_T7_P12ihipStream_tbENKUlT_T0_E_clISt17integral_constantIbLb0EESX_IbLb1EEEEDaST_SU_EUlST_E_NS1_11comp_targetILNS1_3genE8ELNS1_11target_archE1030ELNS1_3gpuE2ELNS1_3repE0EEENS1_30default_config_static_selectorELNS0_4arch9wavefront6targetE0EEEvT1_.num_agpr, 0
	.set _ZN7rocprim17ROCPRIM_400000_NS6detail17trampoline_kernelINS0_14default_configENS1_27scan_by_key_config_selectorIxxEEZZNS1_16scan_by_key_implILNS1_25lookback_scan_determinismE0ELb1ES3_N6thrust23THRUST_200600_302600_NS6detail15normal_iteratorINS9_10device_ptrIxEEEESE_SE_xNS9_4plusIxEE19head_flag_predicatexEE10hipError_tPvRmT2_T3_T4_T5_mT6_T7_P12ihipStream_tbENKUlT_T0_E_clISt17integral_constantIbLb0EESX_IbLb1EEEEDaST_SU_EUlST_E_NS1_11comp_targetILNS1_3genE8ELNS1_11target_archE1030ELNS1_3gpuE2ELNS1_3repE0EEENS1_30default_config_static_selectorELNS0_4arch9wavefront6targetE0EEEvT1_.numbered_sgpr, 0
	.set _ZN7rocprim17ROCPRIM_400000_NS6detail17trampoline_kernelINS0_14default_configENS1_27scan_by_key_config_selectorIxxEEZZNS1_16scan_by_key_implILNS1_25lookback_scan_determinismE0ELb1ES3_N6thrust23THRUST_200600_302600_NS6detail15normal_iteratorINS9_10device_ptrIxEEEESE_SE_xNS9_4plusIxEE19head_flag_predicatexEE10hipError_tPvRmT2_T3_T4_T5_mT6_T7_P12ihipStream_tbENKUlT_T0_E_clISt17integral_constantIbLb0EESX_IbLb1EEEEDaST_SU_EUlST_E_NS1_11comp_targetILNS1_3genE8ELNS1_11target_archE1030ELNS1_3gpuE2ELNS1_3repE0EEENS1_30default_config_static_selectorELNS0_4arch9wavefront6targetE0EEEvT1_.num_named_barrier, 0
	.set _ZN7rocprim17ROCPRIM_400000_NS6detail17trampoline_kernelINS0_14default_configENS1_27scan_by_key_config_selectorIxxEEZZNS1_16scan_by_key_implILNS1_25lookback_scan_determinismE0ELb1ES3_N6thrust23THRUST_200600_302600_NS6detail15normal_iteratorINS9_10device_ptrIxEEEESE_SE_xNS9_4plusIxEE19head_flag_predicatexEE10hipError_tPvRmT2_T3_T4_T5_mT6_T7_P12ihipStream_tbENKUlT_T0_E_clISt17integral_constantIbLb0EESX_IbLb1EEEEDaST_SU_EUlST_E_NS1_11comp_targetILNS1_3genE8ELNS1_11target_archE1030ELNS1_3gpuE2ELNS1_3repE0EEENS1_30default_config_static_selectorELNS0_4arch9wavefront6targetE0EEEvT1_.private_seg_size, 0
	.set _ZN7rocprim17ROCPRIM_400000_NS6detail17trampoline_kernelINS0_14default_configENS1_27scan_by_key_config_selectorIxxEEZZNS1_16scan_by_key_implILNS1_25lookback_scan_determinismE0ELb1ES3_N6thrust23THRUST_200600_302600_NS6detail15normal_iteratorINS9_10device_ptrIxEEEESE_SE_xNS9_4plusIxEE19head_flag_predicatexEE10hipError_tPvRmT2_T3_T4_T5_mT6_T7_P12ihipStream_tbENKUlT_T0_E_clISt17integral_constantIbLb0EESX_IbLb1EEEEDaST_SU_EUlST_E_NS1_11comp_targetILNS1_3genE8ELNS1_11target_archE1030ELNS1_3gpuE2ELNS1_3repE0EEENS1_30default_config_static_selectorELNS0_4arch9wavefront6targetE0EEEvT1_.uses_vcc, 0
	.set _ZN7rocprim17ROCPRIM_400000_NS6detail17trampoline_kernelINS0_14default_configENS1_27scan_by_key_config_selectorIxxEEZZNS1_16scan_by_key_implILNS1_25lookback_scan_determinismE0ELb1ES3_N6thrust23THRUST_200600_302600_NS6detail15normal_iteratorINS9_10device_ptrIxEEEESE_SE_xNS9_4plusIxEE19head_flag_predicatexEE10hipError_tPvRmT2_T3_T4_T5_mT6_T7_P12ihipStream_tbENKUlT_T0_E_clISt17integral_constantIbLb0EESX_IbLb1EEEEDaST_SU_EUlST_E_NS1_11comp_targetILNS1_3genE8ELNS1_11target_archE1030ELNS1_3gpuE2ELNS1_3repE0EEENS1_30default_config_static_selectorELNS0_4arch9wavefront6targetE0EEEvT1_.uses_flat_scratch, 0
	.set _ZN7rocprim17ROCPRIM_400000_NS6detail17trampoline_kernelINS0_14default_configENS1_27scan_by_key_config_selectorIxxEEZZNS1_16scan_by_key_implILNS1_25lookback_scan_determinismE0ELb1ES3_N6thrust23THRUST_200600_302600_NS6detail15normal_iteratorINS9_10device_ptrIxEEEESE_SE_xNS9_4plusIxEE19head_flag_predicatexEE10hipError_tPvRmT2_T3_T4_T5_mT6_T7_P12ihipStream_tbENKUlT_T0_E_clISt17integral_constantIbLb0EESX_IbLb1EEEEDaST_SU_EUlST_E_NS1_11comp_targetILNS1_3genE8ELNS1_11target_archE1030ELNS1_3gpuE2ELNS1_3repE0EEENS1_30default_config_static_selectorELNS0_4arch9wavefront6targetE0EEEvT1_.has_dyn_sized_stack, 0
	.set _ZN7rocprim17ROCPRIM_400000_NS6detail17trampoline_kernelINS0_14default_configENS1_27scan_by_key_config_selectorIxxEEZZNS1_16scan_by_key_implILNS1_25lookback_scan_determinismE0ELb1ES3_N6thrust23THRUST_200600_302600_NS6detail15normal_iteratorINS9_10device_ptrIxEEEESE_SE_xNS9_4plusIxEE19head_flag_predicatexEE10hipError_tPvRmT2_T3_T4_T5_mT6_T7_P12ihipStream_tbENKUlT_T0_E_clISt17integral_constantIbLb0EESX_IbLb1EEEEDaST_SU_EUlST_E_NS1_11comp_targetILNS1_3genE8ELNS1_11target_archE1030ELNS1_3gpuE2ELNS1_3repE0EEENS1_30default_config_static_selectorELNS0_4arch9wavefront6targetE0EEEvT1_.has_recursion, 0
	.set _ZN7rocprim17ROCPRIM_400000_NS6detail17trampoline_kernelINS0_14default_configENS1_27scan_by_key_config_selectorIxxEEZZNS1_16scan_by_key_implILNS1_25lookback_scan_determinismE0ELb1ES3_N6thrust23THRUST_200600_302600_NS6detail15normal_iteratorINS9_10device_ptrIxEEEESE_SE_xNS9_4plusIxEE19head_flag_predicatexEE10hipError_tPvRmT2_T3_T4_T5_mT6_T7_P12ihipStream_tbENKUlT_T0_E_clISt17integral_constantIbLb0EESX_IbLb1EEEEDaST_SU_EUlST_E_NS1_11comp_targetILNS1_3genE8ELNS1_11target_archE1030ELNS1_3gpuE2ELNS1_3repE0EEENS1_30default_config_static_selectorELNS0_4arch9wavefront6targetE0EEEvT1_.has_indirect_call, 0
	.section	.AMDGPU.csdata,"",@progbits
; Kernel info:
; codeLenInByte = 0
; TotalNumSgprs: 0
; NumVgprs: 0
; ScratchSize: 0
; MemoryBound: 0
; FloatMode: 240
; IeeeMode: 1
; LDSByteSize: 0 bytes/workgroup (compile time only)
; SGPRBlocks: 0
; VGPRBlocks: 0
; NumSGPRsForWavesPerEU: 1
; NumVGPRsForWavesPerEU: 1
; NamedBarCnt: 0
; Occupancy: 16
; WaveLimiterHint : 0
; COMPUTE_PGM_RSRC2:SCRATCH_EN: 0
; COMPUTE_PGM_RSRC2:USER_SGPR: 2
; COMPUTE_PGM_RSRC2:TRAP_HANDLER: 0
; COMPUTE_PGM_RSRC2:TGID_X_EN: 1
; COMPUTE_PGM_RSRC2:TGID_Y_EN: 0
; COMPUTE_PGM_RSRC2:TGID_Z_EN: 0
; COMPUTE_PGM_RSRC2:TIDIG_COMP_CNT: 0
	.section	.text._ZN7rocprim17ROCPRIM_400000_NS6detail17trampoline_kernelINS0_14default_configENS1_27scan_by_key_config_selectorIiiEEZZNS1_16scan_by_key_implILNS1_25lookback_scan_determinismE0ELb0ES3_N6thrust23THRUST_200600_302600_NS6detail15normal_iteratorINS9_10device_ptrIiEEEESE_SE_iNS9_4plusIiEE19head_flag_predicateiEE10hipError_tPvRmT2_T3_T4_T5_mT6_T7_P12ihipStream_tbENKUlT_T0_E_clISt17integral_constantIbLb0EESY_EEDaST_SU_EUlST_E_NS1_11comp_targetILNS1_3genE0ELNS1_11target_archE4294967295ELNS1_3gpuE0ELNS1_3repE0EEENS1_30default_config_static_selectorELNS0_4arch9wavefront6targetE0EEEvT1_,"axG",@progbits,_ZN7rocprim17ROCPRIM_400000_NS6detail17trampoline_kernelINS0_14default_configENS1_27scan_by_key_config_selectorIiiEEZZNS1_16scan_by_key_implILNS1_25lookback_scan_determinismE0ELb0ES3_N6thrust23THRUST_200600_302600_NS6detail15normal_iteratorINS9_10device_ptrIiEEEESE_SE_iNS9_4plusIiEE19head_flag_predicateiEE10hipError_tPvRmT2_T3_T4_T5_mT6_T7_P12ihipStream_tbENKUlT_T0_E_clISt17integral_constantIbLb0EESY_EEDaST_SU_EUlST_E_NS1_11comp_targetILNS1_3genE0ELNS1_11target_archE4294967295ELNS1_3gpuE0ELNS1_3repE0EEENS1_30default_config_static_selectorELNS0_4arch9wavefront6targetE0EEEvT1_,comdat
	.protected	_ZN7rocprim17ROCPRIM_400000_NS6detail17trampoline_kernelINS0_14default_configENS1_27scan_by_key_config_selectorIiiEEZZNS1_16scan_by_key_implILNS1_25lookback_scan_determinismE0ELb0ES3_N6thrust23THRUST_200600_302600_NS6detail15normal_iteratorINS9_10device_ptrIiEEEESE_SE_iNS9_4plusIiEE19head_flag_predicateiEE10hipError_tPvRmT2_T3_T4_T5_mT6_T7_P12ihipStream_tbENKUlT_T0_E_clISt17integral_constantIbLb0EESY_EEDaST_SU_EUlST_E_NS1_11comp_targetILNS1_3genE0ELNS1_11target_archE4294967295ELNS1_3gpuE0ELNS1_3repE0EEENS1_30default_config_static_selectorELNS0_4arch9wavefront6targetE0EEEvT1_ ; -- Begin function _ZN7rocprim17ROCPRIM_400000_NS6detail17trampoline_kernelINS0_14default_configENS1_27scan_by_key_config_selectorIiiEEZZNS1_16scan_by_key_implILNS1_25lookback_scan_determinismE0ELb0ES3_N6thrust23THRUST_200600_302600_NS6detail15normal_iteratorINS9_10device_ptrIiEEEESE_SE_iNS9_4plusIiEE19head_flag_predicateiEE10hipError_tPvRmT2_T3_T4_T5_mT6_T7_P12ihipStream_tbENKUlT_T0_E_clISt17integral_constantIbLb0EESY_EEDaST_SU_EUlST_E_NS1_11comp_targetILNS1_3genE0ELNS1_11target_archE4294967295ELNS1_3gpuE0ELNS1_3repE0EEENS1_30default_config_static_selectorELNS0_4arch9wavefront6targetE0EEEvT1_
	.globl	_ZN7rocprim17ROCPRIM_400000_NS6detail17trampoline_kernelINS0_14default_configENS1_27scan_by_key_config_selectorIiiEEZZNS1_16scan_by_key_implILNS1_25lookback_scan_determinismE0ELb0ES3_N6thrust23THRUST_200600_302600_NS6detail15normal_iteratorINS9_10device_ptrIiEEEESE_SE_iNS9_4plusIiEE19head_flag_predicateiEE10hipError_tPvRmT2_T3_T4_T5_mT6_T7_P12ihipStream_tbENKUlT_T0_E_clISt17integral_constantIbLb0EESY_EEDaST_SU_EUlST_E_NS1_11comp_targetILNS1_3genE0ELNS1_11target_archE4294967295ELNS1_3gpuE0ELNS1_3repE0EEENS1_30default_config_static_selectorELNS0_4arch9wavefront6targetE0EEEvT1_
	.p2align	8
	.type	_ZN7rocprim17ROCPRIM_400000_NS6detail17trampoline_kernelINS0_14default_configENS1_27scan_by_key_config_selectorIiiEEZZNS1_16scan_by_key_implILNS1_25lookback_scan_determinismE0ELb0ES3_N6thrust23THRUST_200600_302600_NS6detail15normal_iteratorINS9_10device_ptrIiEEEESE_SE_iNS9_4plusIiEE19head_flag_predicateiEE10hipError_tPvRmT2_T3_T4_T5_mT6_T7_P12ihipStream_tbENKUlT_T0_E_clISt17integral_constantIbLb0EESY_EEDaST_SU_EUlST_E_NS1_11comp_targetILNS1_3genE0ELNS1_11target_archE4294967295ELNS1_3gpuE0ELNS1_3repE0EEENS1_30default_config_static_selectorELNS0_4arch9wavefront6targetE0EEEvT1_,@function
_ZN7rocprim17ROCPRIM_400000_NS6detail17trampoline_kernelINS0_14default_configENS1_27scan_by_key_config_selectorIiiEEZZNS1_16scan_by_key_implILNS1_25lookback_scan_determinismE0ELb0ES3_N6thrust23THRUST_200600_302600_NS6detail15normal_iteratorINS9_10device_ptrIiEEEESE_SE_iNS9_4plusIiEE19head_flag_predicateiEE10hipError_tPvRmT2_T3_T4_T5_mT6_T7_P12ihipStream_tbENKUlT_T0_E_clISt17integral_constantIbLb0EESY_EEDaST_SU_EUlST_E_NS1_11comp_targetILNS1_3genE0ELNS1_11target_archE4294967295ELNS1_3gpuE0ELNS1_3repE0EEENS1_30default_config_static_selectorELNS0_4arch9wavefront6targetE0EEEvT1_: ; @_ZN7rocprim17ROCPRIM_400000_NS6detail17trampoline_kernelINS0_14default_configENS1_27scan_by_key_config_selectorIiiEEZZNS1_16scan_by_key_implILNS1_25lookback_scan_determinismE0ELb0ES3_N6thrust23THRUST_200600_302600_NS6detail15normal_iteratorINS9_10device_ptrIiEEEESE_SE_iNS9_4plusIiEE19head_flag_predicateiEE10hipError_tPvRmT2_T3_T4_T5_mT6_T7_P12ihipStream_tbENKUlT_T0_E_clISt17integral_constantIbLb0EESY_EEDaST_SU_EUlST_E_NS1_11comp_targetILNS1_3genE0ELNS1_11target_archE4294967295ELNS1_3gpuE0ELNS1_3repE0EEENS1_30default_config_static_selectorELNS0_4arch9wavefront6targetE0EEEvT1_
; %bb.0:
	s_clause 0x3
	s_load_b96 s[24:26], s[0:1], 0x38
	s_load_b256 s[8:15], s[0:1], 0x0
	s_load_b128 s[20:23], s[0:1], 0x48
	s_load_b128 s[16:19], s[0:1], 0x28
	s_wait_xcnt 0x0
	s_bfe_u32 s0, ttmp6, 0x4000c
	s_and_b32 s2, ttmp6, 15
	s_add_co_i32 s0, s0, 1
	s_getreg_b32 s3, hwreg(HW_REG_IB_STS2, 6, 4)
	s_mul_i32 s0, ttmp9, s0
	s_mov_b32 s1, 0
	s_add_co_i32 s6, s2, s0
	s_mov_b32 s29, s1
	s_barrier_signal -1
	s_barrier_wait -1
	s_wait_kmcnt 0x0
	s_mov_b32 s0, s26
	s_lshl_b64 s[26:27], s[10:11], 2
	s_cmp_eq_u32 s3, 0
	s_mul_u64 s[4:5], s[24:25], s[0:1]
	s_cselect_b32 s28, ttmp9, s6
	s_add_nc_u64 s[2:3], s[8:9], s[26:27]
	s_add_nc_u64 s[4:5], s[4:5], s[28:29]
	s_add_nc_u64 s[8:9], s[20:21], -1
	s_mul_i32 s0, s28, 0xc00
	v_cmp_ge_u64_e64 s19, s[4:5], s[8:9]
	s_add_nc_u64 s[6:7], s[12:13], s[26:27]
	s_lshl_b64 s[20:21], s[0:1], 2
	s_mul_i32 s29, s8, 0xfffff400
	s_add_nc_u64 s[30:31], s[2:3], s[20:21]
	s_add_nc_u64 s[12:13], s[6:7], s[20:21]
	s_and_b32 vcc_lo, exec_lo, s19
	s_cbranch_vccz .LBB749_62
; %bb.1:
	v_mov_b32_e32 v1, 0
	s_add_co_i32 s11, s29, s18
	s_delay_alu instid0(SALU_CYCLE_1)
	v_cmp_gt_u32_e32 vcc_lo, s11, v0
	flat_load_b32 v1, v1, s[30:31]
	s_wait_loadcnt_dscnt 0x0
	v_mov_b32_e32 v2, v1
	s_and_saveexec_b32 s0, vcc_lo
	s_cbranch_execz .LBB749_3
; %bb.2:
	flat_load_b32 v2, v0, s[30:31] scale_offset
.LBB749_3:
	s_wait_xcnt 0x0
	s_or_b32 exec_lo, exec_lo, s0
	v_or_b32_e32 v3, 0x100, v0
	s_delay_alu instid0(VALU_DEP_1)
	v_cmp_gt_u32_e64 s0, s11, v3
	v_mov_b32_e32 v3, v1
	s_and_saveexec_b32 s1, s0
	s_cbranch_execz .LBB749_5
; %bb.4:
	flat_load_b32 v3, v0, s[30:31] offset:1024 scale_offset
.LBB749_5:
	s_wait_xcnt 0x0
	s_or_b32 exec_lo, exec_lo, s1
	v_or_b32_e32 v4, 0x200, v0
	s_delay_alu instid0(VALU_DEP_1)
	v_cmp_gt_u32_e64 s1, s11, v4
	v_mov_b32_e32 v4, v1
	s_and_saveexec_b32 s2, s1
	s_cbranch_execz .LBB749_7
; %bb.6:
	flat_load_b32 v4, v0, s[30:31] offset:2048 scale_offset
.LBB749_7:
	;; [unrolled: 11-line block ×3, first 2 shown]
	s_wait_xcnt 0x0
	s_or_b32 exec_lo, exec_lo, s3
	v_or_b32_e32 v6, 0x400, v0
	v_mov_b32_e32 v7, v1
	s_delay_alu instid0(VALU_DEP_2)
	v_cmp_gt_u32_e64 s3, s11, v6
	s_and_saveexec_b32 s4, s3
	s_cbranch_execz .LBB749_11
; %bb.10:
	flat_load_b32 v7, v0, s[30:31] offset:4096 scale_offset
.LBB749_11:
	s_wait_xcnt 0x0
	s_or_b32 exec_lo, exec_lo, s4
	v_or_b32_e32 v6, 0x500, v0
	v_mov_b32_e32 v8, v1
	s_delay_alu instid0(VALU_DEP_2)
	v_cmp_gt_u32_e64 s4, s11, v6
	s_and_saveexec_b32 s5, s4
	s_cbranch_execz .LBB749_13
; %bb.12:
	flat_load_b32 v8, v0, s[30:31] offset:5120 scale_offset
.LBB749_13:
	;; [unrolled: 11-line block ×7, first 2 shown]
	s_wait_xcnt 0x0
	s_or_b32 exec_lo, exec_lo, s10
	v_or_b32_e32 v6, 0xb00, v0
	s_delay_alu instid0(VALU_DEP_1)
	v_cmp_gt_u32_e64 s10, s11, v6
	s_and_saveexec_b32 s33, s10
	s_cbranch_execz .LBB749_25
; %bb.24:
	flat_load_b32 v1, v0, s[30:31] offset:11264 scale_offset
.LBB749_25:
	s_wait_xcnt 0x0
	s_or_b32 exec_lo, exec_lo, s33
	v_lshlrev_b32_e32 v6, 2, v0
	s_wait_loadcnt_dscnt 0x0
	ds_store_2addr_stride64_b32 v6, v2, v3 offset1:4
	ds_store_2addr_stride64_b32 v6, v4, v5 offset0:8 offset1:12
	ds_store_2addr_stride64_b32 v6, v7, v8 offset0:16 offset1:20
	;; [unrolled: 1-line block ×5, first 2 shown]
	v_mad_u32_u24 v1, v0, 44, v6
	s_wait_dscnt 0x0
	s_barrier_signal -1
	s_barrier_wait -1
	ds_load_b128 v[2:5], v1 offset:32
	ds_load_b128 v[14:17], v1
	ds_load_b128 v[10:13], v1 offset:16
	v_mad_i32_i24 v7, 0xffffffd4, v0, v1
                                        ; implicit-def: $vgpr8
	s_wait_dscnt 0x2
	ds_store_b32 v7, v5 offset:12288
	s_wait_dscnt 0x0
	s_barrier_signal -1
	s_barrier_wait -1
	s_barrier_signal -1
	s_barrier_wait -1
	s_and_saveexec_b32 s33, vcc_lo
	s_cbranch_execz .LBB749_94
; %bb.26:
	flat_load_b32 v8, v0, s[12:13] scale_offset
	s_wait_xcnt 0x0
	s_or_b32 exec_lo, exec_lo, s33
                                        ; implicit-def: $vgpr9
	s_and_saveexec_b32 s33, s0
	s_cbranch_execnz .LBB749_95
.LBB749_27:
	s_or_b32 exec_lo, exec_lo, s33
                                        ; implicit-def: $vgpr18
	s_and_saveexec_b32 s0, s1
	s_cbranch_execz .LBB749_96
.LBB749_28:
	flat_load_b32 v18, v0, s[12:13] offset:2048 scale_offset
	s_wait_xcnt 0x0
	s_or_b32 exec_lo, exec_lo, s0
                                        ; implicit-def: $vgpr19
	s_and_saveexec_b32 s0, s2
	s_cbranch_execnz .LBB749_97
.LBB749_29:
	s_or_b32 exec_lo, exec_lo, s0
                                        ; implicit-def: $vgpr20
	s_and_saveexec_b32 s0, s3
	s_cbranch_execz .LBB749_98
.LBB749_30:
	flat_load_b32 v20, v0, s[12:13] offset:4096 scale_offset
	s_wait_xcnt 0x0
	s_or_b32 exec_lo, exec_lo, s0
                                        ; implicit-def: $vgpr21
	s_and_saveexec_b32 s0, s4
	s_cbranch_execnz .LBB749_99
.LBB749_31:
	s_or_b32 exec_lo, exec_lo, s0
                                        ; implicit-def: $vgpr22
	s_and_saveexec_b32 s0, s5
	s_cbranch_execz .LBB749_100
.LBB749_32:
	flat_load_b32 v22, v0, s[12:13] offset:6144 scale_offset
	s_wait_xcnt 0x0
	s_or_b32 exec_lo, exec_lo, s0
                                        ; implicit-def: $vgpr23
	s_and_saveexec_b32 s0, s6
	s_cbranch_execnz .LBB749_101
.LBB749_33:
	s_or_b32 exec_lo, exec_lo, s0
                                        ; implicit-def: $vgpr24
	s_and_saveexec_b32 s0, s7
	s_cbranch_execz .LBB749_102
.LBB749_34:
	flat_load_b32 v24, v0, s[12:13] offset:8192 scale_offset
	s_wait_xcnt 0x0
	s_or_b32 exec_lo, exec_lo, s0
                                        ; implicit-def: $vgpr25
	s_and_saveexec_b32 s0, s8
	s_cbranch_execnz .LBB749_103
.LBB749_35:
	s_or_b32 exec_lo, exec_lo, s0
                                        ; implicit-def: $vgpr26
	s_and_saveexec_b32 s0, s9
	s_cbranch_execz .LBB749_37
.LBB749_36:
	flat_load_b32 v26, v0, s[12:13] offset:10240 scale_offset
.LBB749_37:
	s_wait_xcnt 0x0
	s_or_b32 exec_lo, exec_lo, s0
	v_mul_u32_u24_e32 v7, 12, v0
                                        ; implicit-def: $vgpr27
	s_and_saveexec_b32 s0, s10
	s_cbranch_execz .LBB749_39
; %bb.38:
	flat_load_b32 v27, v0, s[12:13] offset:11264 scale_offset
.LBB749_39:
	s_wait_xcnt 0x0
	s_or_b32 exec_lo, exec_lo, s0
	s_wait_loadcnt_dscnt 0x0
	ds_store_2addr_stride64_b32 v6, v8, v9 offset1:4
	ds_store_2addr_stride64_b32 v6, v18, v19 offset0:8 offset1:12
	ds_store_2addr_stride64_b32 v6, v20, v21 offset0:16 offset1:20
	;; [unrolled: 1-line block ×5, first 2 shown]
	v_mov_b64_e32 v[56:57], 0
	v_mov_b64_e32 v[60:61], 0
	;; [unrolled: 1-line block ×21, first 2 shown]
	s_mov_b32 s2, 0
	s_mov_b32 s1, 0
	s_mov_b32 s3, exec_lo
	s_wait_dscnt 0x0
	s_barrier_signal -1
	s_barrier_wait -1
                                        ; implicit-def: $vgpr9
	v_cmpx_gt_u32_e64 s11, v7
	s_cbranch_execz .LBB749_61
; %bb.40:
	ds_load_b32 v42, v1
	v_cmp_ne_u32_e32 vcc_lo, 0, v14
	v_mov_b64_e32 v[56:57], 0
	v_mov_b64_e32 v[60:61], 0
	v_mov_b64_e32 v[52:53], 0
	v_mov_b64_e32 v[58:59], 0
	v_mov_b64_e32 v[50:51], 0
	v_mov_b64_e32 v[54:55], 0
	v_mov_b64_e32 v[46:47], 0
	v_mov_b64_e32 v[48:49], 0
	v_mov_b64_e32 v[44:45], 0
	v_mov_b64_e32 v[36:37], 0
	v_mov_b64_e32 v[34:35], 0
	v_mov_b64_e32 v[32:33], 0
	v_mov_b64_e32 v[30:31], 0
	v_mov_b64_e32 v[28:29], 0
	v_mov_b64_e32 v[26:27], 0
	v_mov_b64_e32 v[22:23], 0
	v_mov_b64_e32 v[20:21], 0
	v_mov_b64_e32 v[24:25], 0
	v_mov_b64_e32 v[18:19], 0
	v_or_b32_e32 v6, 1, v7
	v_cndmask_b32_e64 v43, 0, 1, vcc_lo
	s_mov_b32 s0, 0
	s_mov_b32 s1, exec_lo
                                        ; implicit-def: $vgpr9
	s_delay_alu instid0(VALU_DEP_2)
	v_cmpx_gt_u32_e64 s11, v6
	s_cbranch_execz .LBB749_60
; %bb.41:
	ds_load_2addr_b32 v[44:45], v1 offset0:1 offset1:2
	v_cmp_ne_u32_e32 vcc_lo, 0, v15
	v_mov_b64_e32 v[56:57], 0
	v_mov_b64_e32 v[60:61], 0
	;; [unrolled: 1-line block ×17, first 2 shown]
	v_or_b32_e32 v8, 2, v7
	v_cndmask_b32_e64 v6, 0, 1, vcc_lo
	s_mov_b32 s4, exec_lo
                                        ; implicit-def: $vgpr9
	s_delay_alu instid0(VALU_DEP_2)
	v_cmpx_gt_u32_e64 s11, v8
	s_cbranch_execz .LBB749_59
; %bb.42:
	v_cmp_ne_u32_e32 vcc_lo, 0, v16
	v_mov_b64_e32 v[56:57], 0
	v_mov_b64_e32 v[60:61], 0
	;; [unrolled: 1-line block ×15, first 2 shown]
	v_or_b32_e32 v8, 3, v7
	v_cndmask_b32_e64 v49, 0, 1, vcc_lo
	s_mov_b32 s5, exec_lo
                                        ; implicit-def: $vgpr9
	s_delay_alu instid0(VALU_DEP_2)
	v_cmpx_gt_u32_e64 s11, v8
	s_cbranch_execz .LBB749_58
; %bb.43:
	ds_load_2addr_b32 v[46:47], v1 offset0:3 offset1:4
	v_add_nc_u32_e32 v9, 4, v7
	v_cmp_ne_u32_e32 vcc_lo, 0, v17
	v_mov_b64_e32 v[56:57], 0
	v_mov_b64_e32 v[60:61], 0
	;; [unrolled: 1-line block ×13, first 2 shown]
	v_cndmask_b32_e64 v8, 0, 1, vcc_lo
	v_cmp_gt_u32_e32 vcc_lo, s11, v9
                                        ; implicit-def: $vgpr9
	s_and_saveexec_b32 s6, vcc_lo
	s_cbranch_execz .LBB749_57
; %bb.44:
	v_add_nc_u32_e32 v9, 5, v7
	v_cmp_ne_u32_e32 vcc_lo, 0, v10
	v_mov_b64_e32 v[56:57], 0
	v_mov_b64_e32 v[60:61], 0
	;; [unrolled: 1-line block ×11, first 2 shown]
	v_cndmask_b32_e64 v55, 0, 1, vcc_lo
	v_cmp_gt_u32_e32 vcc_lo, s11, v9
                                        ; implicit-def: $vgpr9
	s_and_saveexec_b32 s7, vcc_lo
	s_cbranch_execz .LBB749_56
; %bb.45:
	ds_load_2addr_b32 v[50:51], v1 offset0:5 offset1:6
	v_add_nc_u32_e32 v9, 6, v7
	v_cmp_ne_u32_e32 vcc_lo, 0, v11
	v_mov_b64_e32 v[56:57], 0
	v_mov_b64_e32 v[60:61], 0
	;; [unrolled: 1-line block ×9, first 2 shown]
	v_cndmask_b32_e64 v10, 0, 1, vcc_lo
	v_cmp_gt_u32_e32 vcc_lo, s11, v9
                                        ; implicit-def: $vgpr9
	s_and_saveexec_b32 s8, vcc_lo
	s_cbranch_execz .LBB749_55
; %bb.46:
	v_add_nc_u32_e32 v9, 7, v7
	v_cmp_ne_u32_e32 vcc_lo, 0, v12
	v_mov_b64_e32 v[56:57], 0
	v_mov_b64_e32 v[60:61], 0
	;; [unrolled: 1-line block ×7, first 2 shown]
	v_cndmask_b32_e64 v59, 0, 1, vcc_lo
	v_cmp_gt_u32_e32 vcc_lo, s11, v9
                                        ; implicit-def: $vgpr9
	s_and_saveexec_b32 s9, vcc_lo
	s_cbranch_execz .LBB749_54
; %bb.47:
	ds_load_2addr_b32 v[52:53], v1 offset0:7 offset1:8
	v_add_nc_u32_e32 v9, 8, v7
	v_cmp_ne_u32_e32 vcc_lo, 0, v13
	v_mov_b64_e32 v[56:57], 0
	v_mov_b64_e32 v[60:61], 0
	v_mov_b64_e32 v[20:21], 0
	v_mov_b64_e32 v[18:19], 0
	v_cndmask_b32_e64 v11, 0, 1, vcc_lo
	v_cmp_gt_u32_e32 vcc_lo, s11, v9
                                        ; implicit-def: $vgpr9
	s_and_saveexec_b32 s10, vcc_lo
	s_cbranch_execz .LBB749_53
; %bb.48:
	v_add_nc_u32_e32 v9, 9, v7
	v_cmp_ne_u32_e32 vcc_lo, 0, v2
	v_mov_b64_e32 v[56:57], 0
	v_mov_b64_e32 v[18:19], 0
	v_cndmask_b32_e64 v61, 0, 1, vcc_lo
	v_cmp_gt_u32_e32 vcc_lo, s11, v9
                                        ; implicit-def: $vgpr9
	s_and_saveexec_b32 s33, vcc_lo
	s_cbranch_execz .LBB749_52
; %bb.49:
	ds_load_2addr_b32 v[56:57], v1 offset0:9 offset1:10
	v_add_nc_u32_e32 v9, 10, v7
	v_cmp_ne_u32_e32 vcc_lo, 0, v3
	v_mov_b64_e32 v[18:19], 0
	v_cndmask_b32_e64 v2, 0, 1, vcc_lo
	s_delay_alu instid0(VALU_DEP_4) | instskip(SKIP_1) | instid1(SALU_CYCLE_1)
	v_cmp_gt_u32_e32 vcc_lo, s11, v9
                                        ; implicit-def: $vgpr9
	s_and_saveexec_b32 s34, vcc_lo
	s_xor_b32 s34, exec_lo, s34
	s_cbranch_execz .LBB749_51
; %bb.50:
	ds_load_b32 v9, v1 offset:44
	s_wait_dscnt 0x1
	v_dual_mov_b32 v18, v57 :: v_dual_add_nc_u32 v1, 11, v7
	v_cmp_ne_u32_e64 s0, 0, v4
	s_delay_alu instid0(VALU_DEP_2) | instskip(NEXT) | instid1(VALU_DEP_2)
	v_cmp_gt_u32_e32 vcc_lo, s11, v1
	v_cndmask_b32_e64 v19, 0, 1, s0
	s_and_b32 s0, vcc_lo, exec_lo
.LBB749_51:
	s_or_b32 exec_lo, exec_lo, s34
	s_wait_dscnt 0x0
	v_mov_b32_e32 v57, v2
	s_and_b32 s0, s0, exec_lo
.LBB749_52:
	s_or_b32 exec_lo, exec_lo, s33
	s_wait_dscnt 0x0
	v_mov_b32_e32 v60, v53
	s_and_b32 s0, s0, exec_lo
	s_delay_alu instid0(VALU_DEP_1)
	v_mov_b64_e32 v[20:21], v[60:61]
.LBB749_53:
	s_or_b32 exec_lo, exec_lo, s10
	s_wait_dscnt 0x0
	v_mov_b32_e32 v53, v11
	v_mov_b64_e32 v[24:25], v[56:57]
	s_and_b32 s0, s0, exec_lo
	s_delay_alu instid0(VALU_DEP_2)
	v_mov_b64_e32 v[22:23], v[52:53]
.LBB749_54:
	s_or_b32 exec_lo, exec_lo, s9
	s_wait_dscnt 0x0
	v_mov_b32_e32 v58, v51
	s_and_b32 s0, s0, exec_lo
	s_delay_alu instid0(VALU_DEP_1)
	v_mov_b64_e32 v[26:27], v[58:59]
.LBB749_55:
	s_or_b32 exec_lo, exec_lo, s8
	s_wait_dscnt 0x0
	v_mov_b32_e32 v51, v10
	s_and_b32 s0, s0, exec_lo
	s_delay_alu instid0(VALU_DEP_1)
	v_mov_b64_e32 v[28:29], v[50:51]
.LBB749_56:
	s_or_b32 exec_lo, exec_lo, s7
	s_wait_dscnt 0x0
	v_mov_b32_e32 v54, v47
	s_and_b32 s0, s0, exec_lo
	s_delay_alu instid0(VALU_DEP_1)
	v_mov_b64_e32 v[30:31], v[54:55]
.LBB749_57:
	s_or_b32 exec_lo, exec_lo, s6
	s_wait_dscnt 0x0
	v_mov_b32_e32 v47, v8
	s_and_b32 s0, s0, exec_lo
	s_delay_alu instid0(VALU_DEP_1)
	v_mov_b64_e32 v[32:33], v[46:47]
.LBB749_58:
	s_or_b32 exec_lo, exec_lo, s5
	s_wait_dscnt 0x0
	v_mov_b32_e32 v48, v45
	s_and_b32 s0, s0, exec_lo
	s_delay_alu instid0(VALU_DEP_1)
	v_mov_b64_e32 v[34:35], v[48:49]
.LBB749_59:
	s_or_b32 exec_lo, exec_lo, s4
	s_wait_dscnt 0x0
	v_mov_b32_e32 v45, v6
	s_and_b32 s0, s0, exec_lo
	s_delay_alu instid0(VALU_DEP_1)
	v_mov_b64_e32 v[36:37], v[44:45]
.LBB749_60:
	s_or_b32 exec_lo, exec_lo, s1
	s_wait_dscnt 0x0
	v_mov_b64_e32 v[38:39], v[42:43]
	s_and_b32 s1, s0, exec_lo
.LBB749_61:
	s_or_b32 exec_lo, exec_lo, s3
	v_lshlrev_b32_e32 v16, 2, v0
	s_and_b32 vcc_lo, exec_lo, s2
	s_cbranch_vccnz .LBB749_63
	s_branch .LBB749_64
.LBB749_62:
                                        ; implicit-def: $vgpr56_vgpr57
                                        ; implicit-def: $vgpr60_vgpr61
                                        ; implicit-def: $vgpr52_vgpr53
                                        ; implicit-def: $vgpr58_vgpr59
                                        ; implicit-def: $vgpr50_vgpr51
                                        ; implicit-def: $vgpr54_vgpr55
                                        ; implicit-def: $vgpr46_vgpr47
                                        ; implicit-def: $vgpr48_vgpr49
                                        ; implicit-def: $vgpr44_vgpr45
                                        ; implicit-def: $vgpr42_vgpr43
                                        ; implicit-def: $vgpr5
                                        ; implicit-def: $vgpr9
                                        ; implicit-def: $vgpr38_vgpr39
                                        ; implicit-def: $vgpr36_vgpr37
                                        ; implicit-def: $vgpr34_vgpr35
                                        ; implicit-def: $vgpr32_vgpr33
                                        ; implicit-def: $vgpr30_vgpr31
                                        ; implicit-def: $vgpr28_vgpr29
                                        ; implicit-def: $vgpr26_vgpr27
                                        ; implicit-def: $vgpr22_vgpr23
                                        ; implicit-def: $vgpr20_vgpr21
                                        ; implicit-def: $vgpr24_vgpr25
                                        ; implicit-def: $vgpr18_vgpr19
	v_lshlrev_b32_e32 v16, 2, v0
	s_cbranch_execz .LBB749_64
.LBB749_63:
	s_clause 0xb
	flat_load_b32 v1, v0, s[30:31] scale_offset
	flat_load_b32 v2, v0, s[30:31] offset:1024 scale_offset
	flat_load_b32 v3, v0, s[30:31] offset:2048 scale_offset
	;; [unrolled: 1-line block ×11, first 2 shown]
	v_mad_u32_u24 v14, v0, 44, v16
	s_or_b32 s1, s1, exec_lo
	s_wait_loadcnt_dscnt 0xa0a
	ds_store_2addr_stride64_b32 v16, v1, v2 offset1:4
	s_wait_loadcnt_dscnt 0x809
	ds_store_2addr_stride64_b32 v16, v3, v4 offset0:8 offset1:12
	s_wait_loadcnt_dscnt 0x608
	ds_store_2addr_stride64_b32 v16, v5, v6 offset0:16 offset1:20
	;; [unrolled: 2-line block ×5, first 2 shown]
	s_wait_dscnt 0x0
	s_barrier_signal -1
	s_barrier_wait -1
	ds_load_b128 v[2:5], v14 offset:32
	v_mad_i32_i24 v1, 0xffffffd4, v0, v14
	ds_load_b128 v[6:9], v14
	ds_load_b128 v[10:13], v14 offset:16
	s_wait_dscnt 0x2
	ds_store_b32 v1, v5 offset:12288
	s_wait_dscnt 0x0
	s_barrier_signal -1
	s_barrier_wait -1
	s_barrier_signal -1
	s_barrier_wait -1
	s_clause 0xb
	flat_load_b32 v1, v0, s[12:13] scale_offset
	flat_load_b32 v15, v0, s[12:13] offset:1024 scale_offset
	flat_load_b32 v17, v0, s[12:13] offset:2048 scale_offset
	;; [unrolled: 1-line block ×11, first 2 shown]
	v_cmp_ne_u32_e32 vcc_lo, 0, v7
	s_wait_loadcnt_dscnt 0xa0a
	ds_store_2addr_stride64_b32 v16, v1, v15 offset1:4
	s_wait_loadcnt_dscnt 0x809
	ds_store_2addr_stride64_b32 v16, v17, v18 offset0:8 offset1:12
	s_wait_loadcnt_dscnt 0x608
	ds_store_2addr_stride64_b32 v16, v19, v20 offset0:16 offset1:20
	;; [unrolled: 2-line block ×5, first 2 shown]
	v_cndmask_b32_e64 v45, 0, 1, vcc_lo
	v_cmp_ne_u32_e32 vcc_lo, 0, v6
	s_wait_dscnt 0x0
	s_barrier_signal -1
	s_barrier_wait -1
	v_cndmask_b32_e64 v43, 0, 1, vcc_lo
	v_cmp_ne_u32_e32 vcc_lo, 0, v9
	ds_load_b128 v[20:23], v14
	ds_load_b128 v[24:27], v14 offset:16
	v_cndmask_b32_e64 v47, 0, 1, vcc_lo
	v_cmp_ne_u32_e32 vcc_lo, 0, v8
	ds_load_b128 v[6:9], v14 offset:32
	v_cndmask_b32_e64 v49, 0, 1, vcc_lo
	v_cmp_ne_u32_e32 vcc_lo, 0, v11
	v_cndmask_b32_e64 v51, 0, 1, vcc_lo
	v_cmp_ne_u32_e32 vcc_lo, 0, v10
	s_wait_dscnt 0x2
	v_dual_mov_b32 v42, v20 :: v_dual_mov_b32 v44, v21
	v_cndmask_b32_e64 v55, 0, 1, vcc_lo
	v_cmp_ne_u32_e32 vcc_lo, 0, v13
	v_dual_mov_b32 v48, v22 :: v_dual_mov_b32 v46, v23
	s_wait_dscnt 0x1
	v_dual_mov_b32 v54, v24 :: v_dual_mov_b32 v50, v25
	v_cndmask_b32_e64 v53, 0, 1, vcc_lo
	v_cmp_ne_u32_e32 vcc_lo, 0, v12
	v_dual_mov_b32 v58, v26 :: v_dual_mov_b32 v52, v27
	s_wait_dscnt 0x0
	v_dual_mov_b32 v60, v6 :: v_dual_mov_b32 v56, v7
	v_cndmask_b32_e64 v59, 0, 1, vcc_lo
	v_cmp_ne_u32_e32 vcc_lo, 0, v3
	v_mov_b64_e32 v[38:39], v[42:43]
	v_mov_b64_e32 v[36:37], v[44:45]
	;; [unrolled: 1-line block ×4, first 2 shown]
	v_cndmask_b32_e64 v57, 0, 1, vcc_lo
	v_cmp_ne_u32_e32 vcc_lo, 0, v2
	v_mov_b64_e32 v[30:31], v[54:55]
	v_mov_b64_e32 v[28:29], v[50:51]
	;; [unrolled: 1-line block ×4, first 2 shown]
	v_cndmask_b32_e64 v61, 0, 1, vcc_lo
	v_cmp_ne_u32_e32 vcc_lo, 0, v4
	v_mov_b64_e32 v[24:25], v[56:57]
	v_mov_b32_e32 v18, v8
	s_delay_alu instid0(VALU_DEP_4)
	v_mov_b64_e32 v[20:21], v[60:61]
	v_cndmask_b32_e64 v19, 0, 1, vcc_lo
.LBB749_64:
	v_mov_b64_e32 v[40:41], 0
	s_and_saveexec_b32 s0, s1
	s_cbranch_execz .LBB749_66
; %bb.65:
	v_cmp_ne_u32_e32 vcc_lo, 0, v5
	v_mov_b64_e32 v[24:25], v[56:57]
	v_mov_b64_e32 v[20:21], v[60:61]
	;; [unrolled: 1-line block ×10, first 2 shown]
	v_cndmask_b32_e64 v41, 0, 1, vcc_lo
	v_mov_b32_e32 v40, v9
.LBB749_66:
	s_or_b32 exec_lo, exec_lo, s0
	s_delay_alu instid0(VALU_DEP_3)
	v_dual_lshrrev_b32 v1, 2, v0 :: v_dual_bitop2_b32 v42, v23, v21 bitop3:0x54
	v_or_b32_e32 v17, v25, v19
	s_cmp_lg_u32 s28, 0
	v_cmp_gt_u32_e32 vcc_lo, 32, v0
	s_barrier_signal -1
	s_barrier_wait -1
	s_cbranch_scc0 .LBB749_104
; %bb.67:
	s_mov_b64 s[10:11], 0x100000000
	v_or3_b32 v3, v42, v27, v29
	v_cmp_gt_u64_e64 s0, s[10:11], v[36:37]
	v_cmp_gt_u64_e64 s1, s[10:11], v[34:35]
	;; [unrolled: 1-line block ×7, first 2 shown]
	v_dual_cndmask_b32 v2, 0, v38, s0 :: v_dual_bitop2_b32 v5, 56, v1 bitop3:0x40
	v_cmp_gt_u64_e64 s7, s[10:11], v[20:21]
	v_cmp_gt_u64_e64 s8, s[10:11], v[24:25]
	v_cmp_gt_u64_e64 s9, s[10:11], v[18:19]
	s_delay_alu instid0(VALU_DEP_4) | instskip(SKIP_3) | instid1(VALU_DEP_4)
	v_add_nc_u32_e32 v2, v2, v36
	v_cmp_gt_u64_e64 s10, s[10:11], v[40:41]
	v_or3_b32 v3, v3, v31, v33
	v_lshl_add_u32 v5, v0, 3, v5
	v_cndmask_b32_e64 v2, 0, v2, s1
	s_delay_alu instid0(VALU_DEP_3) | instskip(NEXT) | instid1(VALU_DEP_2)
	v_or3_b32 v3, v3, v35, v37
	v_add_nc_u32_e32 v2, v2, v34
	s_delay_alu instid0(VALU_DEP_2) | instskip(NEXT) | instid1(VALU_DEP_2)
	v_or3_b32 v3, v41, v17, v3
	v_cndmask_b32_e64 v2, 0, v2, s2
	s_delay_alu instid0(VALU_DEP_2) | instskip(NEXT) | instid1(VALU_DEP_2)
	v_and_b32_e32 v3, 0xff, v3
	v_add_nc_u32_e32 v2, v2, v32
	s_delay_alu instid0(VALU_DEP_1) | instskip(NEXT) | instid1(VALU_DEP_1)
	v_cndmask_b32_e64 v2, 0, v2, s3
	v_add_nc_u32_e32 v2, v2, v30
	s_delay_alu instid0(VALU_DEP_1) | instskip(NEXT) | instid1(VALU_DEP_1)
	v_cndmask_b32_e64 v2, 0, v2, s4
	;; [unrolled: 3-line block ×7, first 2 shown]
	v_dual_add_nc_u32 v4, v2, v18 :: v_dual_mov_b32 v2, 0
	s_delay_alu instid0(VALU_DEP_1) | instskip(NEXT) | instid1(VALU_DEP_2)
	v_cndmask_b32_e64 v4, 0, v4, s10
	v_cmp_eq_u64_e64 s11, 0, v[2:3]
	s_delay_alu instid0(VALU_DEP_1)
	v_dual_add_nc_u32 v12, v4, v40 :: v_dual_cndmask_b32 v13, 1, v39, s11
	ds_store_b32 v5, v12
	ds_store_b8 v5, v13 offset:4
	s_wait_dscnt 0x0
	s_barrier_signal -1
	s_barrier_wait -1
	s_and_saveexec_b32 s12, vcc_lo
	s_cbranch_execz .LBB749_77
; %bb.68:
	v_dual_lshlrev_b32 v2, 1, v0 :: v_dual_lshlrev_b32 v3, 6, v0
	s_mov_b32 s13, exec_lo
	s_delay_alu instid0(VALU_DEP_1) | instskip(NEXT) | instid1(VALU_DEP_1)
	v_and_b32_e32 v2, 0x1f8, v2
	v_add_nc_u32_e32 v4, v2, v3
	ds_load_u8 v5, v4 offset:12
	ds_load_b64 v[2:3], v4
	ds_load_2addr_b32 v[6:7], v4 offset0:2 offset1:4
	ds_load_u8 v10, v4 offset:20
	ds_load_u8 v11, v4 offset:28
	ds_load_u8 v14, v4 offset:36
	ds_load_u8 v15, v4 offset:44
	ds_load_u8 v43, v4 offset:52
	ds_load_b32 v44, v4 offset:56
	s_wait_dscnt 0x8
	v_cmp_eq_u16_e64 s11, 0, v5
	s_wait_dscnt 0x5
	s_delay_alu instid0(VALU_DEP_1)
	v_dual_cndmask_b32 v45, 0, v2, s11 :: v_dual_bitop2_b32 v5, v10, v5 bitop3:0x54
	ds_load_2addr_b32 v[8:9], v4 offset0:6 offset1:8
	v_cmp_eq_u16_e64 s11, 0, v10
	s_wait_dscnt 0x4
	v_bitop3_b16 v5, v5, v14, v11 bitop3:0xfe
	v_add_nc_u32_e32 v6, v45, v6
	s_delay_alu instid0(VALU_DEP_1) | instskip(SKIP_1) | instid1(VALU_DEP_2)
	v_cndmask_b32_e64 v6, 0, v6, s11
	v_cmp_eq_u16_e64 s11, 0, v11
	v_add_nc_u32_e32 v6, v6, v7
	s_delay_alu instid0(VALU_DEP_1)
	v_cndmask_b32_e64 v45, 0, v6, s11
	ds_load_2addr_b32 v[6:7], v4 offset0:10 offset1:12
	v_cmp_eq_u16_e64 s11, 0, v14
	s_wait_dscnt 0x1
	v_add_nc_u32_e32 v8, v45, v8
	ds_load_u8 v45, v4 offset:60
	v_cndmask_b32_e64 v8, 0, v8, s11
	v_cmp_eq_u16_e64 s11, 0, v15
	s_delay_alu instid0(VALU_DEP_2) | instskip(SKIP_1) | instid1(VALU_DEP_2)
	v_add_nc_u32_e32 v8, v8, v9
	v_bitop3_b16 v9, v5, v43, v15 bitop3:0xfe
	v_dual_cndmask_b32 v8, 0, v8, s11 :: v_dual_bitop2_b32 v5, 1, v3 bitop3:0x40
	s_delay_alu instid0(VALU_DEP_2) | instskip(SKIP_1) | instid1(VALU_DEP_2)
	v_cmp_eq_u16_e64 s11, 0, v9
	s_wait_dscnt 0x0
	v_dual_add_nc_u32 v6, v8, v6 :: v_dual_bitop2_b32 v8, 1, v45 bitop3:0x40
	s_delay_alu instid0(VALU_DEP_2) | instskip(SKIP_1) | instid1(VALU_DEP_1)
	v_cndmask_b32_e64 v9, 1, v5, s11
	v_cmp_eq_u16_e64 s11, 0, v43
	v_cndmask_b32_e64 v6, 0, v6, s11
	s_delay_alu instid0(VALU_DEP_4) | instskip(SKIP_1) | instid1(VALU_DEP_2)
	v_cmp_eq_u32_e64 s11, 1, v8
	v_mbcnt_lo_u32_b32 v8, -1, 0
	v_cndmask_b32_e64 v9, v9, 1, s11
	v_cmp_eq_u16_e64 s11, 0, v45
	s_delay_alu instid0(VALU_DEP_2) | instskip(SKIP_2) | instid1(VALU_DEP_1)
	v_and_b32_e32 v10, 0xffff, v9
	v_add_nc_u32_e32 v7, v6, v7
	v_and_b32_e32 v6, 0xffffff00, v3
	v_dual_cndmask_b32 v7, 0, v7, s11 :: v_dual_bitop2_b32 v11, v6, v10 bitop3:0x54
	v_and_b32_e32 v10, 15, v8
	s_delay_alu instid0(VALU_DEP_2) | instskip(NEXT) | instid1(VALU_DEP_3)
	v_mov_b32_dpp v15, v11 row_shr:1 row_mask:0xf bank_mask:0xf
	v_add_nc_u32_e32 v7, v7, v44
	s_delay_alu instid0(VALU_DEP_1) | instskip(NEXT) | instid1(VALU_DEP_4)
	v_mov_b32_dpp v14, v7 row_shr:1 row_mask:0xf bank_mask:0xf
	v_cmpx_ne_u32_e32 0, v10
	s_cbranch_execz .LBB749_70
; %bb.69:
	v_and_b32_e32 v11, 1, v9
	v_and_b32_e32 v15, 1, v15
	s_delay_alu instid0(VALU_DEP_2) | instskip(NEXT) | instid1(VALU_DEP_1)
	v_cmp_eq_u32_e64 s11, 1, v11
	v_cndmask_b32_e64 v15, v15, 1, s11
	v_cmp_eq_u16_e64 s11, 0, v9
	s_delay_alu instid0(VALU_DEP_2) | instskip(NEXT) | instid1(VALU_DEP_1)
	v_and_b32_e32 v11, 0xffff, v15
	v_dual_cndmask_b32 v9, 0, v14, s11 :: v_dual_bitop2_b32 v11, v6, v11 bitop3:0x54
	s_delay_alu instid0(VALU_DEP_1)
	v_dual_add_nc_u32 v7, v9, v7 :: v_dual_mov_b32 v9, v15
.LBB749_70:
	s_or_b32 exec_lo, exec_lo, s13
	s_delay_alu instid0(VALU_DEP_1) | instskip(NEXT) | instid1(VALU_DEP_3)
	v_mov_b32_dpp v14, v7 row_shr:2 row_mask:0xf bank_mask:0xf
	v_mov_b32_dpp v15, v11 row_shr:2 row_mask:0xf bank_mask:0xf
	s_mov_b32 s13, exec_lo
	v_cmpx_lt_u32_e32 1, v10
	s_cbranch_execz .LBB749_72
; %bb.71:
	v_and_b32_e32 v11, 1, v9
	v_and_b32_e32 v15, 1, v15
	s_delay_alu instid0(VALU_DEP_2) | instskip(NEXT) | instid1(VALU_DEP_1)
	v_cmp_eq_u32_e64 s11, 1, v11
	v_cndmask_b32_e64 v15, v15, 1, s11
	v_cmp_eq_u16_e64 s11, 0, v9
	s_delay_alu instid0(VALU_DEP_2) | instskip(NEXT) | instid1(VALU_DEP_1)
	v_and_b32_e32 v11, 0xffff, v15
	v_dual_cndmask_b32 v9, 0, v14, s11 :: v_dual_bitop2_b32 v11, v6, v11 bitop3:0x54
	s_delay_alu instid0(VALU_DEP_1)
	v_dual_add_nc_u32 v7, v9, v7 :: v_dual_mov_b32 v9, v15
.LBB749_72:
	s_or_b32 exec_lo, exec_lo, s13
	s_delay_alu instid0(VALU_DEP_1) | instskip(NEXT) | instid1(VALU_DEP_3)
	v_mov_b32_dpp v14, v7 row_shr:4 row_mask:0xf bank_mask:0xf
	v_mov_b32_dpp v15, v11 row_shr:4 row_mask:0xf bank_mask:0xf
	s_mov_b32 s13, exec_lo
	v_cmpx_lt_u32_e32 3, v10
	;; [unrolled: 20-line block ×3, first 2 shown]
	s_cbranch_execz .LBB749_76
; %bb.75:
	v_and_b32_e32 v10, 1, v9
	v_and_b32_e32 v11, 1, v15
	s_delay_alu instid0(VALU_DEP_2) | instskip(NEXT) | instid1(VALU_DEP_1)
	v_cmp_eq_u32_e64 s11, 1, v10
	v_cndmask_b32_e64 v10, v11, 1, s11
	v_cmp_eq_u16_e64 s11, 0, v9
	s_delay_alu instid0(VALU_DEP_2) | instskip(NEXT) | instid1(VALU_DEP_1)
	v_and_b32_e32 v11, 0xffff, v10
	v_dual_cndmask_b32 v9, 0, v14, s11 :: v_dual_bitop2_b32 v11, v6, v11 bitop3:0x54
	s_delay_alu instid0(VALU_DEP_1)
	v_dual_add_nc_u32 v7, v9, v7 :: v_dual_mov_b32 v9, v10
.LBB749_76:
	s_or_b32 exec_lo, exec_lo, s13
	ds_swizzle_b32 v10, v11 offset:swizzle(BROADCAST,32,15)
	ds_swizzle_b32 v11, v7 offset:swizzle(BROADCAST,32,15)
	v_and_b32_e32 v14, 1, v9
	v_bfe_i32 v43, v8, 4, 1
	v_and_b32_e32 v3, 0xff, v3
	; wave barrier
	s_delay_alu instid0(VALU_DEP_3) | instskip(SKIP_2) | instid1(VALU_DEP_1)
	v_cmp_eq_u32_e64 s11, 1, v14
	s_wait_dscnt 0x1
	v_dual_add_nc_u32 v14, -1, v8 :: v_dual_bitop2_b32 v10, 1, v10 bitop3:0x40
	v_cndmask_b32_e64 v10, v10, 1, s11
	v_and_b32_e32 v15, 16, v8
	v_cmp_eq_u16_e64 s11, 0, v9
	s_wait_dscnt 0x0
	s_delay_alu instid0(VALU_DEP_1) | instskip(NEXT) | instid1(VALU_DEP_3)
	v_cndmask_b32_e64 v11, 0, v11, s11
	v_cmp_eq_u32_e64 s11, 0, v15
	s_delay_alu instid0(VALU_DEP_1) | instskip(SKIP_1) | instid1(VALU_DEP_4)
	v_cndmask_b32_e64 v9, v10, v9, s11
	v_cmp_gt_i32_e64 s11, 0, v14
	v_and_b32_e32 v10, v43, v11
	s_delay_alu instid0(VALU_DEP_3) | instskip(NEXT) | instid1(VALU_DEP_3)
	v_and_b32_e32 v9, 0xffff, v9
	v_cndmask_b32_e64 v8, v14, v8, s11
	s_delay_alu instid0(VALU_DEP_3) | instskip(SKIP_1) | instid1(VALU_DEP_3)
	v_add_nc_u32_e32 v7, v10, v7
	v_cmp_eq_u16_e64 s11, 0, v3
	v_lshlrev_b32_e32 v8, 2, v8
	ds_bpermute_b32 v7, v8, v7
	s_wait_dscnt 0x0
	v_dual_cndmask_b32 v3, 0, v7, s11 :: v_dual_bitop2_b32 v6, v6, v9 bitop3:0x54
	ds_bpermute_b32 v6, v8, v6
	v_cmp_eq_u32_e64 s11, 1, v5
	v_add_nc_u32_e32 v2, v3, v2
	s_wait_dscnt 0x0
	v_and_b32_e32 v6, 1, v6
	s_delay_alu instid0(VALU_DEP_1) | instskip(SKIP_1) | instid1(VALU_DEP_1)
	v_cndmask_b32_e64 v3, v6, 1, s11
	v_cmp_eq_u32_e64 s11, 0, v0
	v_dual_cndmask_b32 v8, v3, v13, s11 :: v_dual_cndmask_b32 v5, v2, v12, s11
	ds_store_b32 v4, v5
	ds_store_b8 v4, v8 offset:4
	; wave barrier
	ds_load_u8 v9, v4 offset:12
	ds_load_2addr_b32 v[2:3], v4 offset0:2 offset1:4
	ds_load_u8 v10, v4 offset:20
	ds_load_u8 v11, v4 offset:28
	ds_load_u8 v14, v4 offset:36
	ds_load_u8 v15, v4 offset:44
	ds_load_u8 v43, v4 offset:52
	ds_load_b32 v44, v4 offset:56
	ds_load_u8 v45, v4 offset:60
	ds_load_2addr_b32 v[6:7], v4 offset0:6 offset1:8
	s_wait_dscnt 0x9
	v_cmp_eq_u16_e64 s11, 0, v9
	v_and_b32_e32 v9, 1, v9
	s_delay_alu instid0(VALU_DEP_2) | instskip(SKIP_2) | instid1(VALU_DEP_2)
	v_cndmask_b32_e64 v5, 0, v5, s11
	s_wait_dscnt 0x7
	v_cmp_eq_u16_e64 s11, 0, v10
	v_add_nc_u32_e32 v5, v5, v2
	s_delay_alu instid0(VALU_DEP_1) | instskip(SKIP_2) | instid1(VALU_DEP_2)
	v_cndmask_b32_e64 v2, 0, v5, s11
	s_wait_dscnt 0x6
	v_cmp_eq_u16_e64 s11, 0, v11
	v_add_nc_u32_e32 v46, v2, v3
	ds_load_2addr_b32 v[2:3], v4 offset0:10 offset1:12
	v_cndmask_b32_e64 v47, 0, v46, s11
	s_wait_dscnt 0x6
	v_cmp_eq_u16_e64 s11, 0, v14
	ds_store_2addr_b32 v4, v5, v46 offset0:2 offset1:4
	s_wait_dscnt 0x2
	v_add_nc_u32_e32 v6, v47, v6
	s_delay_alu instid0(VALU_DEP_1) | instskip(SKIP_3) | instid1(VALU_DEP_4)
	v_cndmask_b32_e64 v47, 0, v6, s11
	v_and_b32_e32 v10, 1, v10
	v_cmp_eq_u32_e64 s11, 1, v9
	v_and_b32_e32 v9, 1, v11
	v_dual_add_nc_u32 v7, v47, v7 :: v_dual_bitop2_b32 v11, 1, v14 bitop3:0x40
	s_delay_alu instid0(VALU_DEP_3) | instskip(SKIP_1) | instid1(VALU_DEP_1)
	v_cndmask_b32_e64 v8, v8, 1, s11
	v_cmp_eq_u32_e64 s11, 1, v10
	v_cndmask_b32_e64 v10, v8, 1, s11
	v_cmp_eq_u16_e64 s11, 0, v15
	s_delay_alu instid0(VALU_DEP_1) | instskip(SKIP_2) | instid1(VALU_DEP_2)
	v_cndmask_b32_e64 v14, 0, v7, s11
	v_cmp_eq_u32_e64 s11, 1, v9
	s_wait_dscnt 0x1
	v_dual_add_nc_u32 v2, v14, v2 :: v_dual_bitop2_b32 v15, 1, v15 bitop3:0x40
	s_delay_alu instid0(VALU_DEP_2) | instskip(SKIP_1) | instid1(VALU_DEP_1)
	v_cndmask_b32_e64 v9, v10, 1, s11
	v_cmp_eq_u32_e64 s11, 1, v11
	v_cndmask_b32_e64 v11, v9, 1, s11
	v_cmp_eq_u16_e64 s11, 0, v43
	s_delay_alu instid0(VALU_DEP_1) | instskip(SKIP_1) | instid1(VALU_DEP_2)
	v_dual_cndmask_b32 v43, 0, v2, s11 :: v_dual_bitop2_b32 v14, 1, v43 bitop3:0x40
	v_cmp_eq_u32_e64 s11, 1, v15
	v_add_nc_u32_e32 v3, v43, v3
	s_delay_alu instid0(VALU_DEP_2) | instskip(NEXT) | instid1(VALU_DEP_4)
	v_cndmask_b32_e64 v15, v11, 1, s11
	v_cmp_eq_u32_e64 s11, 1, v14
	ds_store_2addr_b32 v4, v6, v7 offset0:6 offset1:8
	ds_store_2addr_b32 v4, v2, v3 offset0:10 offset1:12
	v_cndmask_b32_e64 v14, v15, 1, s11
	v_cmp_eq_u16_e64 s11, 0, v45
	s_delay_alu instid0(VALU_DEP_1) | instskip(NEXT) | instid1(VALU_DEP_1)
	v_dual_cndmask_b32 v5, 0, v3, s11 :: v_dual_bitop2_b32 v47, 1, v45 bitop3:0x40
	v_cmp_eq_u32_e64 s11, 1, v47
	s_delay_alu instid0(VALU_DEP_2) | instskip(NEXT) | instid1(VALU_DEP_2)
	v_add_nc_u32_e32 v2, v5, v44
	v_cndmask_b32_e64 v43, v14, 1, s11
	ds_store_b8 v4, v8 offset:12
	ds_store_b8 v4, v10 offset:20
	;; [unrolled: 1-line block ×6, first 2 shown]
	ds_store_b32 v4, v2 offset:56
	ds_store_b8 v4, v43 offset:60
.LBB749_77:
	s_or_b32 exec_lo, exec_lo, s12
	v_cmp_eq_u32_e64 s11, 0, v0
	s_mov_b32 s13, exec_lo
	s_wait_dscnt 0x0
	s_barrier_signal -1
	s_barrier_wait -1
	v_cmpx_ne_u32_e32 0, v0
	s_cbranch_execz .LBB749_79
; %bb.78:
	v_add_nc_u32_e32 v2, -1, v0
	s_delay_alu instid0(VALU_DEP_1) | instskip(NEXT) | instid1(VALU_DEP_1)
	v_lshrrev_b32_e32 v3, 2, v2
	v_and_b32_e32 v3, 0x3ffffff8, v3
	s_delay_alu instid0(VALU_DEP_1)
	v_lshl_add_u32 v2, v2, 3, v3
	ds_load_b32 v12, v2
	ds_load_u8 v13, v2 offset:4
.LBB749_79:
	s_or_b32 exec_lo, exec_lo, s13
	s_and_saveexec_b32 s33, vcc_lo
	s_cbranch_execz .LBB749_149
; %bb.80:
	v_mov_b32_e32 v5, 0
	v_mbcnt_lo_u32_b32 v14, -1, 0
	s_mov_b32 s31, 0
	ds_load_b64 v[2:3], v5 offset:2096
	v_cmp_eq_u32_e64 s12, 0, v14
	s_and_saveexec_b32 s13, s12
	s_cbranch_execz .LBB749_82
; %bb.81:
	s_add_co_i32 s30, s28, 32
	v_mov_b32_e32 v4, 1
	s_lshl_b64 s[30:31], s[30:31], 4
	s_delay_alu instid0(SALU_CYCLE_1) | instskip(NEXT) | instid1(SALU_CYCLE_1)
	s_add_nc_u64 s[30:31], s[16:17], s[30:31]
	v_mov_b64_e32 v[6:7], s[30:31]
	s_wait_dscnt 0x0
	;;#ASMSTART
	global_store_b128 v[6:7], v[2:5] off scope:SCOPE_DEV	
s_wait_storecnt 0x0
	;;#ASMEND
.LBB749_82:
	s_or_b32 exec_lo, exec_lo, s13
	v_xad_u32 v8, v14, -1, s28
	s_mov_b32 s13, exec_lo
	s_delay_alu instid0(VALU_DEP_1) | instskip(NEXT) | instid1(VALU_DEP_1)
	v_add_nc_u32_e32 v4, 32, v8
	v_lshl_add_u64 v[10:11], v[4:5], 4, s[16:17]
	;;#ASMSTART
	global_load_b128 v[4:7], v[10:11] off scope:SCOPE_DEV	
s_wait_loadcnt 0x0
	;;#ASMEND
	v_and_b32_e32 v7, 0xff, v6
	v_and_b32_e32 v5, 0xff, v5
	s_delay_alu instid0(VALU_DEP_2)
	v_cmpx_eq_u16_e32 0, v7
	s_cbranch_execz .LBB749_86
; %bb.83:
	s_mov_b32 s30, 0
.LBB749_84:                             ; =>This Inner Loop Header: Depth=1
	;;#ASMSTART
	global_load_b128 v[4:7], v[10:11] off scope:SCOPE_DEV	
s_wait_loadcnt 0x0
	;;#ASMEND
	v_and_b32_e32 v7, 0xff, v6
	s_delay_alu instid0(VALU_DEP_1) | instskip(SKIP_1) | instid1(SALU_CYCLE_1)
	v_cmp_ne_u16_e32 vcc_lo, 0, v7
	s_or_b32 s30, vcc_lo, s30
	s_and_not1_b32 exec_lo, exec_lo, s30
	s_cbranch_execnz .LBB749_84
; %bb.85:
	s_or_b32 exec_lo, exec_lo, s30
	v_and_b32_e32 v5, 0xff, v5
.LBB749_86:
	s_or_b32 exec_lo, exec_lo, s13
	v_cmp_ne_u32_e32 vcc_lo, 31, v14
	v_and_b32_e32 v9, 0xff, v6
	v_lshlrev_b32_e64 v43, v14, -1
	s_mov_b64 s[30:31], 0x100000000
	v_lshl_or_b32 v52, v14, 2, 64
	v_add_co_ci_u32_e64 v7, null, 0, v14, vcc_lo
	v_cmp_eq_u16_e32 vcc_lo, 2, v9
	v_cmp_gt_u64_e64 s13, s[30:31], v[4:5]
	s_delay_alu instid0(VALU_DEP_3) | instskip(SKIP_1) | instid1(VALU_DEP_2)
	v_dual_lshlrev_b32 v15, 2, v7 :: v_dual_bitop2_b32 v10, 1, v5 bitop3:0x40
	v_and_or_b32 v9, vcc_lo, v43, 0x80000000
	v_cmp_eq_u32_e32 vcc_lo, 1, v10
	ds_bpermute_b32 v7, v15, v5
	ds_bpermute_b32 v10, v15, v4
	v_ctz_i32_b32_e32 v9, v9
	s_wait_dscnt 0x1
	v_and_b32_e32 v7, 1, v7
	s_delay_alu instid0(VALU_DEP_1) | instskip(SKIP_1) | instid1(VALU_DEP_2)
	v_cndmask_b32_e64 v7, v7, 1, vcc_lo
	v_cmp_gt_u32_e32 vcc_lo, 30, v14
	v_and_b32_e32 v45, 0xffff, v7
	v_cndmask_b32_e64 v11, 0, 2, vcc_lo
	v_cmp_lt_u32_e32 vcc_lo, v14, v9
	s_delay_alu instid0(VALU_DEP_2) | instskip(NEXT) | instid1(VALU_DEP_4)
	v_add_lshl_u32 v44, v11, v14, 2
	v_dual_cndmask_b32 v11, v5, v45, vcc_lo :: v_dual_cndmask_b32 v7, v5, v7, vcc_lo
	s_and_b32 vcc_lo, vcc_lo, s13
	v_add_nc_u32_e32 v45, 2, v14
	s_wait_dscnt 0x0
	v_cndmask_b32_e32 v10, 0, v10, vcc_lo
	ds_bpermute_b32 v5, v44, v11
	v_and_b32_e32 v46, 1, v7
	v_and_b32_e32 v48, 0xff, v7
	v_add_nc_u32_e32 v4, v10, v4
	s_delay_alu instid0(VALU_DEP_3) | instskip(NEXT) | instid1(VALU_DEP_3)
	v_cmp_eq_u32_e32 vcc_lo, 1, v46
	v_cmp_eq_u16_e64 s13, 0, v48
	ds_bpermute_b32 v10, v44, v4
	s_wait_dscnt 0x1
	v_and_b32_e32 v5, 1, v5
	s_delay_alu instid0(VALU_DEP_1) | instskip(SKIP_3) | instid1(VALU_DEP_3)
	v_cndmask_b32_e64 v5, v5, 1, vcc_lo
	v_cmp_gt_u32_e32 vcc_lo, 28, v14
	s_wait_dscnt 0x0
	v_cndmask_b32_e64 v10, 0, v10, s13
	v_and_b32_e32 v47, 0xffff, v5
	v_cndmask_b32_e64 v46, 0, 4, vcc_lo
	v_cmp_gt_u32_e32 vcc_lo, v45, v9
	s_delay_alu instid0(VALU_DEP_2) | instskip(SKIP_3) | instid1(VALU_DEP_2)
	v_add_lshl_u32 v46, v46, v14, 2
	v_cndmask_b32_e32 v5, v5, v7, vcc_lo
	v_cndmask_b32_e64 v10, v10, 0, vcc_lo
	v_dual_cndmask_b32 v7, v47, v11, vcc_lo :: v_dual_add_nc_u32 v47, 4, v14
	v_dual_add_nc_u32 v4, v10, v4 :: v_dual_bitop2_b32 v48, 1, v5 bitop3:0x40
	ds_bpermute_b32 v11, v46, v7
	v_cmp_eq_u32_e32 vcc_lo, 1, v48
	ds_bpermute_b32 v10, v46, v4
	v_and_b32_e32 v48, 0xff, v5
	s_delay_alu instid0(VALU_DEP_1) | instskip(SKIP_1) | instid1(VALU_DEP_1)
	v_cmp_eq_u16_e64 s13, 0, v48
	s_wait_dscnt 0x0
	v_dual_cndmask_b32 v10, 0, v10, s13 :: v_dual_bitop2_b32 v11, 1, v11 bitop3:0x40
	s_delay_alu instid0(VALU_DEP_1) | instskip(SKIP_1) | instid1(VALU_DEP_2)
	v_cndmask_b32_e64 v11, v11, 1, vcc_lo
	v_cmp_gt_u32_e32 vcc_lo, 24, v14
	v_and_b32_e32 v50, 0xffff, v11
	v_cndmask_b32_e64 v49, 0, 8, vcc_lo
	v_cmp_gt_u32_e32 vcc_lo, v47, v9
	s_delay_alu instid0(VALU_DEP_2) | instskip(NEXT) | instid1(VALU_DEP_4)
	v_add_lshl_u32 v48, v49, v14, 2
	v_dual_cndmask_b32 v5, v11, v5, vcc_lo :: v_dual_cndmask_b32 v7, v50, v7, vcc_lo
	v_cndmask_b32_e64 v10, v10, 0, vcc_lo
	s_delay_alu instid0(VALU_DEP_2)
	v_dual_add_nc_u32 v49, 8, v14 :: v_dual_bitop2_b32 v50, 1, v5 bitop3:0x40
	ds_bpermute_b32 v11, v48, v7
	v_add_nc_u32_e32 v4, v10, v4
	v_and_b32_e32 v51, 0xff, v5
	v_cmp_eq_u32_e32 vcc_lo, 1, v50
	ds_bpermute_b32 v10, v48, v4
	s_wait_dscnt 0x1
	v_and_b32_e32 v11, 1, v11
	s_delay_alu instid0(VALU_DEP_1) | instskip(SKIP_1) | instid1(VALU_DEP_2)
	v_cndmask_b32_e64 v11, v11, 1, vcc_lo
	v_cmp_eq_u16_e32 vcc_lo, 0, v51
	v_and_b32_e32 v50, 0xffff, v11
	s_wait_dscnt 0x0
	v_cndmask_b32_e32 v10, 0, v10, vcc_lo
	v_cmp_gt_u32_e32 vcc_lo, v49, v9
	s_delay_alu instid0(VALU_DEP_3) | instskip(NEXT) | instid1(VALU_DEP_3)
	v_dual_cndmask_b32 v5, v11, v5, vcc_lo :: v_dual_cndmask_b32 v7, v50, v7, vcc_lo
	v_cndmask_b32_e64 v10, v10, 0, vcc_lo
	s_delay_alu instid0(VALU_DEP_2) | instskip(SKIP_3) | instid1(VALU_DEP_1)
	v_and_b32_e32 v50, 1, v5
	ds_bpermute_b32 v7, v52, v7
	v_add_nc_u32_e32 v4, v10, v4
	v_and_b32_e32 v11, 0xff, v5
	v_cmp_eq_u16_e32 vcc_lo, 0, v11
	s_wait_dscnt 0x0
	v_and_b32_e32 v7, 1, v7
	ds_bpermute_b32 v10, v52, v4
	s_wait_dscnt 0x0
	v_cndmask_b32_e32 v10, 0, v10, vcc_lo
	v_cmp_eq_u32_e32 vcc_lo, 1, v50
	v_cndmask_b32_e64 v7, v7, 1, vcc_lo
	v_add_nc_u32_e32 v53, 16, v14
	s_delay_alu instid0(VALU_DEP_1) | instskip(NEXT) | instid1(VALU_DEP_3)
	v_cmp_gt_u32_e32 vcc_lo, v53, v9
	v_dual_mov_b32 v9, 0 :: v_dual_cndmask_b32 v5, v7, v5, vcc_lo
	v_cndmask_b32_e64 v7, v10, 0, vcc_lo
	s_delay_alu instid0(VALU_DEP_1)
	v_add_nc_u32_e32 v4, v7, v4
	s_branch .LBB749_90
.LBB749_87:                             ;   in Loop: Header=BB749_90 Depth=1
	s_or_b32 exec_lo, exec_lo, s34
	v_and_b32_e32 v5, 0xff, v5
.LBB749_88:                             ;   in Loop: Header=BB749_90 Depth=1
	s_or_b32 exec_lo, exec_lo, s13
	ds_bpermute_b32 v7, v15, v5
	v_and_b32_e32 v10, 0xff, v6
	v_cmp_gt_u64_e64 s13, s[30:31], v[4:5]
	v_subrev_nc_u32_e32 v8, 32, v8
	s_delay_alu instid0(VALU_DEP_3) | instskip(SKIP_2) | instid1(VALU_DEP_2)
	v_cmp_eq_u16_e32 vcc_lo, 2, v10
	v_and_b32_e32 v10, 1, v5
	v_and_or_b32 v11, vcc_lo, v43, 0x80000000
	v_cmp_eq_u32_e32 vcc_lo, 1, v10
	s_delay_alu instid0(VALU_DEP_2) | instskip(SKIP_3) | instid1(VALU_DEP_1)
	v_ctz_i32_b32_e32 v10, v11
	ds_bpermute_b32 v11, v15, v4
	s_wait_dscnt 0x1
	v_and_b32_e32 v7, 1, v7
	v_cndmask_b32_e64 v7, v7, 1, vcc_lo
	v_cmp_lt_u32_e32 vcc_lo, v14, v10
	s_delay_alu instid0(VALU_DEP_2) | instskip(NEXT) | instid1(VALU_DEP_1)
	v_and_b32_e32 v54, 0xffff, v7
	v_dual_cndmask_b32 v7, v5, v7 :: v_dual_cndmask_b32 v54, v5, v54
	s_and_b32 vcc_lo, vcc_lo, s13
	s_delay_alu instid0(VALU_DEP_1)
	v_and_b32_e32 v56, 0xff, v7
	v_and_b32_e32 v55, 1, v7
	ds_bpermute_b32 v5, v44, v54
	s_wait_dscnt 0x1
	v_cndmask_b32_e32 v11, 0, v11, vcc_lo
	v_cmp_eq_u16_e64 s13, 0, v56
	v_cmp_eq_u32_e32 vcc_lo, 1, v55
	s_wait_dscnt 0x0
	s_delay_alu instid0(VALU_DEP_3) | instskip(NEXT) | instid1(VALU_DEP_1)
	v_dual_add_nc_u32 v4, v11, v4 :: v_dual_bitop2_b32 v5, 1, v5 bitop3:0x40
	v_cndmask_b32_e64 v5, v5, 1, vcc_lo
	ds_bpermute_b32 v11, v44, v4
	v_cmp_gt_u32_e32 vcc_lo, v45, v10
	v_and_b32_e32 v55, 0xffff, v5
	s_delay_alu instid0(VALU_DEP_1) | instskip(NEXT) | instid1(VALU_DEP_1)
	v_dual_cndmask_b32 v5, v5, v7, vcc_lo :: v_dual_cndmask_b32 v7, v55, v54, vcc_lo
	v_and_b32_e32 v55, 1, v5
	ds_bpermute_b32 v54, v46, v7
	s_wait_dscnt 0x1
	v_cndmask_b32_e64 v11, 0, v11, s13
	s_delay_alu instid0(VALU_DEP_1) | instskip(SKIP_2) | instid1(VALU_DEP_3)
	v_cndmask_b32_e64 v11, v11, 0, vcc_lo
	v_cmp_eq_u32_e32 vcc_lo, 1, v55
	v_and_b32_e32 v55, 0xff, v5
	v_add_nc_u32_e32 v4, v11, v4
	s_delay_alu instid0(VALU_DEP_2)
	v_cmp_eq_u16_e64 s13, 0, v55
	s_wait_dscnt 0x0
	v_and_b32_e32 v54, 1, v54
	ds_bpermute_b32 v11, v46, v4
	v_cndmask_b32_e64 v54, v54, 1, vcc_lo
	v_cmp_gt_u32_e32 vcc_lo, v47, v10
	s_delay_alu instid0(VALU_DEP_2) | instskip(SKIP_3) | instid1(VALU_DEP_1)
	v_and_b32_e32 v56, 0xffff, v54
	s_wait_dscnt 0x0
	v_dual_cndmask_b32 v5, v54, v5, vcc_lo :: v_dual_cndmask_b32 v11, 0, v11, s13
	s_mov_b32 s13, 0
	v_cndmask_b32_e64 v11, v11, 0, vcc_lo
	v_cndmask_b32_e32 v7, v56, v7, vcc_lo
	s_delay_alu instid0(VALU_DEP_3) | instskip(NEXT) | instid1(VALU_DEP_3)
	v_and_b32_e32 v56, 0xff, v5
	v_add_nc_u32_e32 v4, v11, v4
	ds_bpermute_b32 v54, v48, v7
	ds_bpermute_b32 v11, v48, v4
	v_and_b32_e32 v55, 1, v5
	s_delay_alu instid0(VALU_DEP_1) | instskip(SKIP_2) | instid1(VALU_DEP_1)
	v_cmp_eq_u32_e32 vcc_lo, 1, v55
	s_wait_dscnt 0x1
	v_and_b32_e32 v54, 1, v54
	v_cndmask_b32_e64 v54, v54, 1, vcc_lo
	v_cmp_eq_u16_e32 vcc_lo, 0, v56
	s_delay_alu instid0(VALU_DEP_2) | instskip(SKIP_3) | instid1(VALU_DEP_2)
	v_and_b32_e32 v55, 0xffff, v54
	s_wait_dscnt 0x0
	v_cndmask_b32_e32 v11, 0, v11, vcc_lo
	v_cmp_gt_u32_e32 vcc_lo, v49, v10
	v_cndmask_b32_e64 v11, v11, 0, vcc_lo
	v_dual_cndmask_b32 v7, v55, v7, vcc_lo :: v_dual_cndmask_b32 v5, v54, v5, vcc_lo
	s_delay_alu instid0(VALU_DEP_2) | instskip(SKIP_4) | instid1(VALU_DEP_1)
	v_add_nc_u32_e32 v4, v11, v4
	ds_bpermute_b32 v7, v52, v7
	v_and_b32_e32 v55, 0xff, v5
	ds_bpermute_b32 v11, v52, v4
	v_and_b32_e32 v54, 1, v5
	v_cmp_eq_u32_e32 vcc_lo, 1, v54
	s_wait_dscnt 0x1
	v_cndmask_b32_e64 v7, v7, 1, vcc_lo
	v_cmp_eq_u16_e32 vcc_lo, 0, v55
	s_wait_dscnt 0x0
	v_cndmask_b32_e32 v11, 0, v11, vcc_lo
	v_cmp_gt_u32_e32 vcc_lo, v53, v10
	v_and_b32_e32 v10, 0xff, v50
	v_cndmask_b32_e32 v5, v7, v5, vcc_lo
	s_delay_alu instid0(VALU_DEP_4) | instskip(NEXT) | instid1(VALU_DEP_3)
	v_cndmask_b32_e64 v7, v11, 0, vcc_lo
	v_cmp_eq_u16_e32 vcc_lo, 0, v10
	s_delay_alu instid0(VALU_DEP_2) | instskip(NEXT) | instid1(VALU_DEP_1)
	v_dual_add_nc_u32 v4, v7, v4 :: v_dual_bitop2_b32 v7, 1, v50 bitop3:0x40
	v_dual_cndmask_b32 v4, 0, v4, vcc_lo :: v_dual_bitop2_b32 v5, 1, v5 bitop3:0x40
	s_delay_alu instid0(VALU_DEP_2) | instskip(NEXT) | instid1(VALU_DEP_2)
	v_cmp_eq_u32_e32 vcc_lo, 1, v7
	v_add_nc_u32_e32 v4, v4, v51
	s_delay_alu instid0(VALU_DEP_3)
	v_cndmask_b32_e64 v5, v5, 1, vcc_lo
.LBB749_89:                             ;   in Loop: Header=BB749_90 Depth=1
	s_and_b32 vcc_lo, exec_lo, s13
	s_cbranch_vccnz .LBB749_145
.LBB749_90:                             ; =>This Loop Header: Depth=1
                                        ;     Child Loop BB749_93 Depth 2
	v_and_b32_e32 v6, 0xff, v6
	s_delay_alu instid0(VALU_DEP_2) | instskip(SKIP_1) | instid1(VALU_DEP_2)
	v_dual_mov_b32 v50, v5 :: v_dual_mov_b32 v51, v4
	s_mov_b32 s13, -1
                                        ; implicit-def: $vgpr5
                                        ; implicit-def: $vgpr4
	v_cmp_ne_u16_e32 vcc_lo, 2, v6
                                        ; implicit-def: $vgpr6
	s_cmp_lg_u32 vcc_lo, exec_lo
	s_cbranch_scc1 .LBB749_89
; %bb.91:                               ;   in Loop: Header=BB749_90 Depth=1
	v_lshl_add_u64 v[10:11], v[8:9], 4, s[16:17]
	;;#ASMSTART
	global_load_b128 v[4:7], v[10:11] off scope:SCOPE_DEV	
s_wait_loadcnt 0x0
	;;#ASMEND
	v_and_b32_e32 v7, 0xff, v6
	v_and_b32_e32 v5, 0xff, v5
	s_mov_b32 s13, exec_lo
	s_delay_alu instid0(VALU_DEP_2)
	v_cmpx_eq_u16_e32 0, v7
	s_cbranch_execz .LBB749_88
; %bb.92:                               ;   in Loop: Header=BB749_90 Depth=1
	s_mov_b32 s34, 0
.LBB749_93:                             ;   Parent Loop BB749_90 Depth=1
                                        ; =>  This Inner Loop Header: Depth=2
	;;#ASMSTART
	global_load_b128 v[4:7], v[10:11] off scope:SCOPE_DEV	
s_wait_loadcnt 0x0
	;;#ASMEND
	v_and_b32_e32 v7, 0xff, v6
	s_delay_alu instid0(VALU_DEP_1) | instskip(SKIP_1) | instid1(SALU_CYCLE_1)
	v_cmp_ne_u16_e32 vcc_lo, 0, v7
	s_or_b32 s34, vcc_lo, s34
	s_and_not1_b32 exec_lo, exec_lo, s34
	s_cbranch_execnz .LBB749_93
	s_branch .LBB749_87
.LBB749_94:
	s_or_b32 exec_lo, exec_lo, s33
                                        ; implicit-def: $vgpr9
	s_and_saveexec_b32 s33, s0
	s_cbranch_execz .LBB749_27
.LBB749_95:
	flat_load_b32 v9, v0, s[12:13] offset:1024 scale_offset
	s_wait_xcnt 0x0
	s_or_b32 exec_lo, exec_lo, s33
                                        ; implicit-def: $vgpr18
	s_and_saveexec_b32 s0, s1
	s_cbranch_execnz .LBB749_28
.LBB749_96:
	s_or_b32 exec_lo, exec_lo, s0
                                        ; implicit-def: $vgpr19
	s_and_saveexec_b32 s0, s2
	s_cbranch_execz .LBB749_29
.LBB749_97:
	flat_load_b32 v19, v0, s[12:13] offset:3072 scale_offset
	s_wait_xcnt 0x0
	s_or_b32 exec_lo, exec_lo, s0
                                        ; implicit-def: $vgpr20
	s_and_saveexec_b32 s0, s3
	s_cbranch_execnz .LBB749_30
.LBB749_98:
	s_or_b32 exec_lo, exec_lo, s0
                                        ; implicit-def: $vgpr21
	s_and_saveexec_b32 s0, s4
	s_cbranch_execz .LBB749_31
.LBB749_99:
	flat_load_b32 v21, v0, s[12:13] offset:5120 scale_offset
	s_wait_xcnt 0x0
	s_or_b32 exec_lo, exec_lo, s0
                                        ; implicit-def: $vgpr22
	s_and_saveexec_b32 s0, s5
	s_cbranch_execnz .LBB749_32
.LBB749_100:
	s_or_b32 exec_lo, exec_lo, s0
                                        ; implicit-def: $vgpr23
	s_and_saveexec_b32 s0, s6
	s_cbranch_execz .LBB749_33
.LBB749_101:
	flat_load_b32 v23, v0, s[12:13] offset:7168 scale_offset
	s_wait_xcnt 0x0
	s_or_b32 exec_lo, exec_lo, s0
                                        ; implicit-def: $vgpr24
	s_and_saveexec_b32 s0, s7
	s_cbranch_execnz .LBB749_34
.LBB749_102:
	s_or_b32 exec_lo, exec_lo, s0
                                        ; implicit-def: $vgpr25
	s_and_saveexec_b32 s0, s8
	s_cbranch_execz .LBB749_35
.LBB749_103:
	flat_load_b32 v25, v0, s[12:13] offset:9216 scale_offset
	s_wait_xcnt 0x0
	s_or_b32 exec_lo, exec_lo, s0
                                        ; implicit-def: $vgpr26
	s_and_saveexec_b32 s0, s9
	s_cbranch_execz .LBB749_37
	s_branch .LBB749_36
.LBB749_104:
                                        ; implicit-def: $vgpr13
                                        ; implicit-def: $vgpr5
                                        ; implicit-def: $vgpr9
                                        ; implicit-def: $vgpr14_vgpr15
	s_cbranch_execnz .LBB749_150
.LBB749_105:
	s_add_nc_u64 s[0:1], s[14:15], s[26:27]
	s_and_b32 vcc_lo, exec_lo, s19
	s_add_nc_u64 s[0:1], s[0:1], s[20:21]
	s_cbranch_vccz .LBB749_167
.LBB749_106:
	v_mul_u32_u24_e32 v1, 12, v0
	s_add_co_i32 s29, s29, s18
	s_mov_b32 s2, exec_lo
	s_delay_alu instid0(VALU_DEP_1)
	v_cmpx_gt_u32_e64 s29, v1
	s_cbranch_execz .LBB749_122
; %bb.107:
	v_or_b32_e32 v17, 1, v1
	s_mov_b32 s3, exec_lo
	s_delay_alu instid0(VALU_DEP_1)
	v_cmpx_gt_u32_e64 s29, v17
	s_cbranch_execz .LBB749_121
; %bb.108:
	v_or_b32_e32 v17, 2, v1
	;; [unrolled: 6-line block ×3, first 2 shown]
	s_mov_b32 s5, exec_lo
	s_delay_alu instid0(VALU_DEP_1)
	v_cmpx_gt_u32_e64 s29, v17
	s_cbranch_execz .LBB749_119
; %bb.110:
	v_add_nc_u32_e32 v17, 4, v1
	s_mov_b32 s6, exec_lo
	s_delay_alu instid0(VALU_DEP_1)
	v_cmpx_gt_u32_e64 s29, v17
	s_cbranch_execz .LBB749_118
; %bb.111:
	v_add_nc_u32_e32 v17, 5, v1
	;; [unrolled: 6-line block ×4, first 2 shown]
	s_mov_b32 s9, exec_lo
	s_delay_alu instid0(VALU_DEP_1)
	v_cmpx_gt_u32_e64 s29, v17
; %bb.114:
	v_add_nc_u32_e32 v17, 8, v1
	s_mov_b32 s10, exec_lo
	s_delay_alu instid0(VALU_DEP_1)
	v_cmpx_gt_u32_e64 s29, v17
	s_or_b32 exec_lo, exec_lo, s10
; %bb.115:
	s_delay_alu instid0(SALU_CYCLE_1)
	s_or_b32 exec_lo, exec_lo, s9
.LBB749_116:
	s_delay_alu instid0(SALU_CYCLE_1)
	s_or_b32 exec_lo, exec_lo, s8
.LBB749_117:
	s_delay_alu instid0(SALU_CYCLE_1)
	s_or_b32 exec_lo, exec_lo, s7
.LBB749_118:
	s_delay_alu instid0(SALU_CYCLE_1)
	s_or_b32 exec_lo, exec_lo, s6
.LBB749_119:
	s_delay_alu instid0(SALU_CYCLE_1)
	s_or_b32 exec_lo, exec_lo, s5
.LBB749_120:
	s_delay_alu instid0(SALU_CYCLE_1)
	s_or_b32 exec_lo, exec_lo, s4
.LBB749_121:
	s_delay_alu instid0(SALU_CYCLE_1)
	s_or_b32 exec_lo, exec_lo, s3
.LBB749_122:
	s_delay_alu instid0(SALU_CYCLE_1)
	s_or_b32 exec_lo, exec_lo, s2
	v_dual_lshlrev_b32 v1, 2, v1 :: v_dual_mov_b32 v17, 0
	s_barrier_signal -1
	s_barrier_wait -1
	ds_store_b128 v1, v[6:9]
	ds_store_b128 v1, v[2:5] offset:16
	ds_store_b128 v1, v[10:13] offset:32
	v_mad_i32_i24 v6, 0xffffffd4, v0, v1
	s_wait_dscnt 0x0
	s_barrier_signal -1
	s_barrier_wait -1
	ds_load_2addr_stride64_b32 v[26:27], v6 offset0:4 offset1:8
	ds_load_2addr_stride64_b32 v[24:25], v6 offset0:12 offset1:16
	ds_load_2addr_stride64_b32 v[22:23], v6 offset0:20 offset1:24
	ds_load_2addr_stride64_b32 v[20:21], v6 offset0:28 offset1:32
	ds_load_2addr_stride64_b32 v[18:19], v6 offset0:36 offset1:40
	ds_load_b32 v7, v6 offset:11264
	v_add_nc_u64_e32 v[16:17], s[0:1], v[16:17]
	s_mov_b32 s2, exec_lo
	v_cmpx_gt_u32_e64 s29, v0
	s_cbranch_execz .LBB749_124
; %bb.123:
	v_mul_i32_i24_e32 v6, 0xffffffd4, v0
	s_delay_alu instid0(VALU_DEP_1)
	v_add_nc_u32_e32 v1, v1, v6
	ds_load_b32 v1, v1
	s_wait_dscnt 0x0
	flat_store_b32 v[16:17], v1
.LBB749_124:
	s_wait_xcnt 0x0
	s_or_b32 exec_lo, exec_lo, s2
	v_or_b32_e32 v1, 0x100, v0
	s_mov_b32 s2, exec_lo
	s_delay_alu instid0(VALU_DEP_1)
	v_cmpx_gt_u32_e64 s29, v1
	s_cbranch_execz .LBB749_126
; %bb.125:
	s_wait_dscnt 0x5
	flat_store_b32 v[16:17], v26 offset:1024
.LBB749_126:
	s_wait_xcnt 0x0
	s_or_b32 exec_lo, exec_lo, s2
	v_or_b32_e32 v1, 0x200, v0
	s_mov_b32 s2, exec_lo
	s_delay_alu instid0(VALU_DEP_1)
	v_cmpx_gt_u32_e64 s29, v1
	s_cbranch_execz .LBB749_128
; %bb.127:
	s_wait_dscnt 0x5
	flat_store_b32 v[16:17], v27 offset:2048
.LBB749_128:
	;; [unrolled: 11-line block ×10, first 2 shown]
	s_wait_xcnt 0x0
	s_or_b32 exec_lo, exec_lo, s2
	v_or_b32_e32 v1, 0xb00, v0
	s_delay_alu instid0(VALU_DEP_1)
	v_cmp_gt_u32_e64 s2, s29, v1
	s_branch .LBB749_169
.LBB749_145:
	s_and_saveexec_b32 s13, s12
	s_cbranch_execz .LBB749_147
; %bb.146:
	v_and_b32_e32 v4, 0xff, v3
	s_mov_b32 s31, 0
	s_add_co_i32 s30, s28, 32
	v_and_b32_e32 v5, 1, v50
	s_lshl_b64 s[30:31], s[30:31], 4
	v_cmp_eq_u32_e32 vcc_lo, 0, v4
	s_add_nc_u64 s[30:31], s[16:17], s[30:31]
	s_delay_alu instid0(SALU_CYCLE_1) | instskip(SKIP_1) | instid1(VALU_DEP_1)
	v_mov_b64_e32 v[6:7], s[30:31]
	v_cndmask_b32_e32 v4, 0, v51, vcc_lo
	v_dual_add_nc_u32 v2, v4, v2 :: v_dual_bitop2_b32 v3, 1, v3 bitop3:0x40
	s_delay_alu instid0(VALU_DEP_1)
	v_cmp_eq_u32_e32 vcc_lo, 1, v3
	v_mov_b32_e32 v4, 2
	v_cndmask_b32_e64 v3, v5, 1, vcc_lo
	v_mov_b32_e32 v5, 0
	;;#ASMSTART
	global_store_b128 v[6:7], v[2:5] off scope:SCOPE_DEV	
s_wait_storecnt 0x0
	;;#ASMEND
.LBB749_147:
	s_or_b32 exec_lo, exec_lo, s13
	s_delay_alu instid0(SALU_CYCLE_1)
	s_and_b32 exec_lo, exec_lo, s11
	s_cbranch_execz .LBB749_149
; %bb.148:
	v_mov_b32_e32 v2, 0
	ds_store_b32 v2, v51
	ds_store_b8 v2, v50 offset:4
.LBB749_149:
	s_or_b32 exec_lo, exec_lo, s33
	v_dual_mov_b32 v2, 0 :: v_dual_bitop2_b32 v3, 1, v39 bitop3:0x40
	s_wait_dscnt 0x0
	s_barrier_signal -1
	s_barrier_wait -1
	s_delay_alu instid0(VALU_DEP_1) | instskip(SKIP_4) | instid1(VALU_DEP_2)
	v_cmp_eq_u32_e32 vcc_lo, 1, v3
	ds_load_b32 v2, v2
	s_mov_b64 s[12:13], 0x100000000
	v_cndmask_b32_e64 v3, v13, 1, vcc_lo
	v_cmp_gt_u64_e32 vcc_lo, s[12:13], v[38:39]
	v_dual_cndmask_b32 v3, v3, v39, s11 :: v_dual_cndmask_b32 v4, 0, v12, vcc_lo
	s_delay_alu instid0(VALU_DEP_1) | instskip(NEXT) | instid1(VALU_DEP_2)
	v_and_b32_e32 v3, 0xff, v3
	v_cndmask_b32_e64 v4, v4, 0, s11
	s_delay_alu instid0(VALU_DEP_2) | instskip(SKIP_2) | instid1(VALU_DEP_1)
	v_cmp_eq_u16_e32 vcc_lo, 0, v3
	s_wait_dscnt 0x0
	v_cndmask_b32_e32 v2, 0, v2, vcc_lo
	v_add3_u32 v6, v4, v38, v2
	s_delay_alu instid0(VALU_DEP_1) | instskip(NEXT) | instid1(VALU_DEP_1)
	v_cndmask_b32_e64 v2, 0, v6, s0
	v_add_nc_u32_e32 v7, v2, v36
	s_delay_alu instid0(VALU_DEP_1) | instskip(NEXT) | instid1(VALU_DEP_1)
	v_cndmask_b32_e64 v2, 0, v7, s1
	v_add_nc_u32_e32 v8, v2, v34
	v_mov_b64_e32 v[14:15], v[6:7]
	s_delay_alu instid0(VALU_DEP_2) | instskip(NEXT) | instid1(VALU_DEP_1)
	v_cndmask_b32_e64 v2, 0, v8, s2
	v_add_nc_u32_e32 v9, v2, v32
	s_delay_alu instid0(VALU_DEP_1) | instskip(NEXT) | instid1(VALU_DEP_1)
	v_cndmask_b32_e64 v2, 0, v9, s3
	v_add_nc_u32_e32 v2, v2, v30
	s_delay_alu instid0(VALU_DEP_1) | instskip(NEXT) | instid1(VALU_DEP_1)
	;; [unrolled: 3-line block ×8, first 2 shown]
	v_cndmask_b32_e64 v13, 0, v12, s10
	v_add_nc_u32_e32 v13, v13, v40
	s_branch .LBB749_105
.LBB749_150:
	s_cmp_lg_u64 s[24:25], 0
	v_cmp_eq_u32_e32 vcc_lo, 0, v0
	s_cselect_b32 s1, -1, 0
	s_cmp_lg_u64 s[22:23], 0
	v_cmp_ne_u32_e64 s0, 0, v0
	s_cselect_b32 s2, -1, 0
	s_delay_alu instid0(SALU_CYCLE_1) | instskip(NEXT) | instid1(SALU_CYCLE_1)
	s_and_b32 s1, s1, s2
	s_and_b32 s1, vcc_lo, s1
	s_delay_alu instid0(SALU_CYCLE_1)
	s_and_saveexec_b32 s2, s1
	s_cbranch_execz .LBB749_152
; %bb.151:
	s_mov_b64 s[4:5], 0x100000000
	s_delay_alu instid0(SALU_CYCLE_1)
	v_cmp_gt_u64_e64 s1, s[4:5], v[38:39]
	v_mov_b32_e32 v2, 0
	s_clause 0x1
	global_load_b32 v3, v2, s[22:23]
	global_load_u8 v4, v2, s[22:23] offset:4
	s_wait_loadcnt 0x1
	v_cndmask_b32_e64 v5, 0, v3, s1
	v_and_b32_e32 v3, 1, v39
	s_wait_loadcnt 0x0
	s_delay_alu instid0(VALU_DEP_2) | instskip(NEXT) | instid1(VALU_DEP_2)
	v_dual_add_nc_u32 v38, v5, v38 :: v_dual_bitop2_b32 v4, 1, v4 bitop3:0x40
	v_cmp_eq_u64_e64 s1, 0, v[2:3]
	s_delay_alu instid0(VALU_DEP_1)
	v_cndmask_b32_e64 v39, 1, v4, s1
.LBB749_152:
	s_or_b32 exec_lo, exec_lo, s2
	s_mov_b64 s[12:13], 0x100000000
	v_or3_b32 v12, v42, v27, v29
	v_cmp_gt_u64_e64 s1, s[12:13], v[36:37]
	v_cmp_gt_u64_e64 s2, s[12:13], v[34:35]
	;; [unrolled: 1-line block ×7, first 2 shown]
	v_cndmask_b32_e64 v2, 0, v38, s1
	v_cmp_gt_u64_e64 s8, s[12:13], v[20:21]
	v_cmp_gt_u64_e64 s9, s[12:13], v[24:25]
	;; [unrolled: 1-line block ×3, first 2 shown]
	v_dual_mov_b32 v14, 0 :: v_dual_bitop2_b32 v1, 56, v1 bitop3:0x40
	v_add_nc_u32_e32 v7, v2, v36
	v_cmp_gt_u64_e64 s11, s[12:13], v[40:41]
	s_mov_b32 s13, exec_lo
	v_lshl_add_u32 v1, v0, 3, v1
	v_cndmask_b32_e64 v2, 0, v7, s2
	s_delay_alu instid0(VALU_DEP_1) | instskip(NEXT) | instid1(VALU_DEP_1)
	v_add_nc_u32_e32 v8, v2, v34
	v_cndmask_b32_e64 v2, 0, v8, s3
	s_delay_alu instid0(VALU_DEP_1) | instskip(NEXT) | instid1(VALU_DEP_1)
	v_add_nc_u32_e32 v9, v2, v32
	;; [unrolled: 3-line block ×7, first 2 shown]
	v_cndmask_b32_e64 v6, 0, v10, s9
	s_delay_alu instid0(VALU_DEP_1) | instskip(SKIP_1) | instid1(VALU_DEP_2)
	v_add_nc_u32_e32 v11, v6, v24
	v_or3_b32 v6, v12, v31, v33
	v_cndmask_b32_e64 v12, 0, v11, s10
	s_delay_alu instid0(VALU_DEP_2) | instskip(NEXT) | instid1(VALU_DEP_2)
	v_or3_b32 v6, v6, v35, v37
	v_add_nc_u32_e32 v12, v12, v18
	s_delay_alu instid0(VALU_DEP_2) | instskip(NEXT) | instid1(VALU_DEP_1)
	v_or3_b32 v6, v41, v17, v6
	v_and_b32_e32 v15, 0xff, v6
	s_delay_alu instid0(VALU_DEP_1) | instskip(NEXT) | instid1(VALU_DEP_1)
	v_cmp_eq_u64_e64 s12, 0, v[14:15]
	v_dual_cndmask_b32 v13, 0, v12, s11 :: v_dual_cndmask_b32 v6, 1, v39, s12
	s_delay_alu instid0(VALU_DEP_1)
	v_add_nc_u32_e32 v13, v13, v40
	ds_store_b32 v1, v13
	ds_store_b8 v1, v6 offset:4
	s_wait_dscnt 0x0
	s_barrier_signal -1
	s_barrier_wait -1
	v_cmpx_gt_u32_e32 32, v0
	s_cbranch_execz .LBB749_162
; %bb.153:
	v_dual_lshlrev_b32 v1, 1, v0 :: v_dual_lshlrev_b32 v14, 6, v0
	s_mov_b32 s22, exec_lo
	s_delay_alu instid0(VALU_DEP_1) | instskip(NEXT) | instid1(VALU_DEP_1)
	v_and_b32_e32 v1, 0x1f8, v1
	v_add_nc_u32_e32 v1, v1, v14
	ds_load_u8 v17, v1 offset:12
	ds_load_b64 v[14:15], v1
	ds_load_2addr_b32 v[42:43], v1 offset0:2 offset1:4
	ds_load_u8 v19, v1 offset:20
	ds_load_u8 v21, v1 offset:28
	;; [unrolled: 1-line block ×5, first 2 shown]
	ds_load_b32 v31, v1 offset:56
	s_wait_dscnt 0x8
	v_cmp_eq_u16_e64 s12, 0, v17
	s_wait_dscnt 0x5
	s_delay_alu instid0(VALU_DEP_1)
	v_dual_cndmask_b32 v29, 0, v14, s12 :: v_dual_bitop2_b32 v17, v19, v17 bitop3:0x54
	ds_load_2addr_b32 v[44:45], v1 offset0:6 offset1:8
	v_cmp_eq_u16_e64 s12, 0, v19
	ds_load_u8 v33, v1 offset:60
	s_wait_dscnt 0x5
	v_bitop3_b16 v17, v17, v23, v21 bitop3:0xfe
	v_add_nc_u32_e32 v29, v29, v42
	s_delay_alu instid0(VALU_DEP_1)
	v_cndmask_b32_e64 v29, 0, v29, s12
	v_cmp_eq_u16_e64 s12, 0, v21
	s_wait_dscnt 0x3
	v_bitop3_b16 v21, v17, v27, v25 bitop3:0xfe
	v_and_b32_e32 v17, 1, v15
	v_add_nc_u32_e32 v29, v29, v43
	ds_load_2addr_b32 v[42:43], v1 offset0:10 offset1:12
	v_cndmask_b32_e64 v29, 0, v29, s12
	v_cmp_eq_u16_e64 s12, 0, v23
	s_wait_dscnt 0x1
	s_delay_alu instid0(VALU_DEP_2) | instskip(NEXT) | instid1(VALU_DEP_1)
	v_dual_add_nc_u32 v29, v29, v44 :: v_dual_bitop2_b32 v23, 1, v33 bitop3:0x40
	v_cndmask_b32_e64 v29, 0, v29, s12
	v_cmp_eq_u16_e64 s12, 0, v25
	s_delay_alu instid0(VALU_DEP_2) | instskip(NEXT) | instid1(VALU_DEP_1)
	v_add_nc_u32_e32 v19, v29, v45
	v_cndmask_b32_e64 v19, 0, v19, s12
	v_cmp_eq_u16_e64 s12, 0, v21
	s_wait_dscnt 0x0
	s_delay_alu instid0(VALU_DEP_1) | instskip(SKIP_1) | instid1(VALU_DEP_1)
	v_dual_add_nc_u32 v19, v19, v42 :: v_dual_cndmask_b32 v21, 1, v17, s12
	v_cmp_eq_u16_e64 s12, 0, v27
	v_cndmask_b32_e64 v19, 0, v19, s12
	v_cmp_eq_u32_e64 s12, 1, v23
	v_mbcnt_lo_u32_b32 v23, -1, 0
	s_delay_alu instid0(VALU_DEP_2) | instskip(NEXT) | instid1(VALU_DEP_4)
	v_cndmask_b32_e64 v25, v21, 1, s12
	v_add_nc_u32_e32 v21, v19, v43
	v_cmp_eq_u16_e64 s12, 0, v33
	v_and_b32_e32 v19, 0xffffff00, v15
	s_delay_alu instid0(VALU_DEP_4) | instskip(NEXT) | instid1(VALU_DEP_1)
	v_and_b32_e32 v27, 0xffff, v25
	v_dual_cndmask_b32 v21, 0, v21, s12 :: v_dual_bitop2_b32 v29, v19, v27 bitop3:0x54
	v_and_b32_e32 v27, 15, v23
	s_delay_alu instid0(VALU_DEP_2) | instskip(NEXT) | instid1(VALU_DEP_3)
	v_add_nc_u32_e32 v21, v21, v31
	v_mov_b32_dpp v33, v29 row_shr:1 row_mask:0xf bank_mask:0xf
	s_delay_alu instid0(VALU_DEP_2) | instskip(NEXT) | instid1(VALU_DEP_4)
	v_mov_b32_dpp v31, v21 row_shr:1 row_mask:0xf bank_mask:0xf
	v_cmpx_ne_u32_e32 0, v27
	s_cbranch_execz .LBB749_155
; %bb.154:
	v_and_b32_e32 v29, 1, v25
	v_and_b32_e32 v33, 1, v33
	s_delay_alu instid0(VALU_DEP_2) | instskip(NEXT) | instid1(VALU_DEP_1)
	v_cmp_eq_u32_e64 s12, 1, v29
	v_cndmask_b32_e64 v33, v33, 1, s12
	v_cmp_eq_u16_e64 s12, 0, v25
	s_delay_alu instid0(VALU_DEP_2) | instskip(NEXT) | instid1(VALU_DEP_1)
	v_and_b32_e32 v29, 0xffff, v33
	v_dual_cndmask_b32 v25, 0, v31, s12 :: v_dual_bitop2_b32 v29, v19, v29 bitop3:0x54
	s_delay_alu instid0(VALU_DEP_1)
	v_add_nc_u32_e32 v21, v25, v21
	v_mov_b32_e32 v25, v33
.LBB749_155:
	s_or_b32 exec_lo, exec_lo, s22
	s_delay_alu instid0(VALU_DEP_2)
	v_mov_b32_dpp v31, v21 row_shr:2 row_mask:0xf bank_mask:0xf
	v_mov_b32_dpp v33, v29 row_shr:2 row_mask:0xf bank_mask:0xf
	s_mov_b32 s22, exec_lo
	v_cmpx_lt_u32_e32 1, v27
	s_cbranch_execz .LBB749_157
; %bb.156:
	v_and_b32_e32 v29, 1, v25
	v_and_b32_e32 v33, 1, v33
	s_delay_alu instid0(VALU_DEP_2) | instskip(NEXT) | instid1(VALU_DEP_1)
	v_cmp_eq_u32_e64 s12, 1, v29
	v_cndmask_b32_e64 v33, v33, 1, s12
	v_cmp_eq_u16_e64 s12, 0, v25
	s_delay_alu instid0(VALU_DEP_2) | instskip(NEXT) | instid1(VALU_DEP_1)
	v_and_b32_e32 v29, 0xffff, v33
	v_dual_cndmask_b32 v25, 0, v31, s12 :: v_dual_bitop2_b32 v29, v19, v29 bitop3:0x54
	s_delay_alu instid0(VALU_DEP_1)
	v_add_nc_u32_e32 v21, v25, v21
	v_mov_b32_e32 v25, v33
.LBB749_157:
	s_or_b32 exec_lo, exec_lo, s22
	s_delay_alu instid0(VALU_DEP_2)
	v_mov_b32_dpp v31, v21 row_shr:4 row_mask:0xf bank_mask:0xf
	v_mov_b32_dpp v33, v29 row_shr:4 row_mask:0xf bank_mask:0xf
	s_mov_b32 s22, exec_lo
	v_cmpx_lt_u32_e32 3, v27
	;; [unrolled: 21-line block ×3, first 2 shown]
	s_cbranch_execz .LBB749_161
; %bb.160:
	v_and_b32_e32 v27, 1, v25
	v_and_b32_e32 v29, 1, v33
	s_delay_alu instid0(VALU_DEP_2) | instskip(NEXT) | instid1(VALU_DEP_1)
	v_cmp_eq_u32_e64 s12, 1, v27
	v_cndmask_b32_e64 v27, v29, 1, s12
	v_cmp_eq_u16_e64 s12, 0, v25
	s_delay_alu instid0(VALU_DEP_2) | instskip(NEXT) | instid1(VALU_DEP_1)
	v_and_b32_e32 v29, 0xffff, v27
	v_dual_cndmask_b32 v25, 0, v31, s12 :: v_dual_bitop2_b32 v29, v19, v29 bitop3:0x54
	s_delay_alu instid0(VALU_DEP_1)
	v_dual_add_nc_u32 v21, v25, v21 :: v_dual_mov_b32 v25, v27
.LBB749_161:
	s_or_b32 exec_lo, exec_lo, s22
	ds_swizzle_b32 v27, v29 offset:swizzle(BROADCAST,32,15)
	ds_swizzle_b32 v29, v21 offset:swizzle(BROADCAST,32,15)
	v_and_b32_e32 v31, 1, v25
	v_and_b32_e32 v33, 16, v23
	v_bfe_i32 v35, v23, 4, 1
	v_and_b32_e32 v15, 0xff, v15
	s_delay_alu instid0(VALU_DEP_4) | instskip(SKIP_3) | instid1(VALU_DEP_1)
	v_cmp_eq_u32_e64 s12, 1, v31
	v_add_nc_u32_e32 v31, -1, v23
	; wave barrier
	s_wait_dscnt 0x1
	v_and_b32_e32 v27, 1, v27
	v_cndmask_b32_e64 v27, v27, 1, s12
	v_cmp_eq_u16_e64 s12, 0, v25
	s_wait_dscnt 0x0
	s_delay_alu instid0(VALU_DEP_1) | instskip(SKIP_1) | instid1(VALU_DEP_1)
	v_cndmask_b32_e64 v29, 0, v29, s12
	v_cmp_eq_u32_e64 s12, 0, v33
	v_cndmask_b32_e64 v25, v27, v25, s12
	v_cmp_gt_i32_e64 s12, 0, v31
	s_delay_alu instid0(VALU_DEP_2) | instskip(NEXT) | instid1(VALU_DEP_2)
	v_and_b32_e32 v25, 0xffff, v25
	v_cndmask_b32_e64 v23, v31, v23, s12
	v_and_b32_e32 v27, v35, v29
	v_cmp_eq_u16_e64 s12, 0, v15
	s_delay_alu instid0(VALU_DEP_3)
	v_dual_lshlrev_b32 v23, 2, v23 :: v_dual_bitop2_b32 v19, v19, v25 bitop3:0x54
	ds_bpermute_b32 v19, v23, v19
	s_wait_dscnt 0x0
	v_dual_add_nc_u32 v21, v27, v21 :: v_dual_bitop2_b32 v19, 1, v19 bitop3:0x40
	ds_bpermute_b32 v21, v23, v21
	s_wait_dscnt 0x0
	v_cndmask_b32_e64 v15, 0, v21, s12
	v_cmp_eq_u32_e64 s12, 1, v17
	s_delay_alu instid0(VALU_DEP_2) | instskip(NEXT) | instid1(VALU_DEP_2)
	v_add_nc_u32_e32 v14, v15, v14
	v_cndmask_b32_e64 v15, v19, 1, s12
	s_delay_alu instid0(VALU_DEP_1)
	v_dual_cndmask_b32 v17, v14, v13 :: v_dual_cndmask_b32 v6, v15, v6
	ds_store_b32 v1, v17
	ds_store_b8 v1, v6 offset:4
	; wave barrier
	ds_load_u8 v19, v1 offset:12
	ds_load_2addr_b32 v[14:15], v1 offset0:2 offset1:4
	ds_load_u8 v21, v1 offset:20
	ds_load_u8 v23, v1 offset:28
	;; [unrolled: 1-line block ×5, first 2 shown]
	ds_load_b32 v31, v1 offset:56
	ds_load_u8 v33, v1 offset:60
	ds_load_2addr_b32 v[42:43], v1 offset0:6 offset1:8
	s_wait_dscnt 0x9
	v_cmp_eq_u16_e64 s12, 0, v19
	s_delay_alu instid0(VALU_DEP_1) | instskip(SKIP_2) | instid1(VALU_DEP_2)
	v_cndmask_b32_e64 v17, 0, v17, s12
	s_wait_dscnt 0x7
	v_cmp_eq_u16_e64 s12, 0, v21
	v_add_nc_u32_e32 v17, v17, v14
	s_delay_alu instid0(VALU_DEP_1) | instskip(SKIP_2) | instid1(VALU_DEP_2)
	v_cndmask_b32_e64 v14, 0, v17, s12
	s_wait_dscnt 0x6
	v_cmp_eq_u16_e64 s12, 0, v23
	v_add_nc_u32_e32 v35, v14, v15
	ds_load_2addr_b32 v[14:15], v1 offset0:10 offset1:12
	v_cndmask_b32_e64 v37, 0, v35, s12
	s_wait_dscnt 0x6
	v_cmp_eq_u16_e64 s12, 0, v25
	s_wait_dscnt 0x1
	s_delay_alu instid0(VALU_DEP_2)
	v_dual_add_nc_u32 v37, v37, v42 :: v_dual_bitop2_b32 v19, 1, v19 bitop3:0x40
	ds_store_2addr_b32 v1, v17, v35 offset0:2 offset1:4
	v_cndmask_b32_e64 v41, 0, v37, s12
	v_and_b32_e32 v21, 1, v21
	v_cmp_eq_u32_e64 s12, 1, v19
	v_and_b32_e32 v19, 1, v23
	s_delay_alu instid0(VALU_DEP_4) | instskip(NEXT) | instid1(VALU_DEP_3)
	v_add_nc_u32_e32 v23, v41, v43
	v_cndmask_b32_e64 v6, v6, 1, s12
	v_cmp_eq_u32_e64 s12, 1, v21
	s_delay_alu instid0(VALU_DEP_1) | instskip(SKIP_1) | instid1(VALU_DEP_1)
	v_cndmask_b32_e64 v21, v6, 1, s12
	v_cmp_eq_u16_e64 s12, 0, v27
	v_dual_cndmask_b32 v41, 0, v23, s12 :: v_dual_bitop2_b32 v25, 1, v25 bitop3:0x40
	v_cmp_eq_u32_e64 s12, 1, v19
	s_wait_dscnt 0x1
	s_delay_alu instid0(VALU_DEP_2) | instskip(NEXT) | instid1(VALU_DEP_2)
	v_dual_add_nc_u32 v14, v41, v14 :: v_dual_bitop2_b32 v41, 1, v29 bitop3:0x40
	v_cndmask_b32_e64 v19, v21, 1, s12
	v_cmp_eq_u32_e64 s12, 1, v25
	s_delay_alu instid0(VALU_DEP_1) | instskip(SKIP_1) | instid1(VALU_DEP_1)
	v_cndmask_b32_e64 v25, v19, 1, s12
	v_cmp_eq_u16_e64 s12, 0, v29
	v_dual_cndmask_b32 v29, 0, v14, s12 :: v_dual_bitop2_b32 v27, 1, v27 bitop3:0x40
	s_delay_alu instid0(VALU_DEP_1) | instskip(NEXT) | instid1(VALU_DEP_2)
	v_cmp_eq_u32_e64 s12, 1, v27
	v_add_nc_u32_e32 v15, v29, v15
	s_delay_alu instid0(VALU_DEP_2)
	v_cndmask_b32_e64 v27, v25, 1, s12
	v_cmp_eq_u32_e64 s12, 1, v41
	ds_store_2addr_b32 v1, v37, v23 offset0:6 offset1:8
	ds_store_2addr_b32 v1, v14, v15 offset0:10 offset1:12
	v_cndmask_b32_e64 v29, v27, 1, s12
	v_cmp_eq_u16_e64 s12, 0, v33
	s_delay_alu instid0(VALU_DEP_1) | instskip(NEXT) | instid1(VALU_DEP_1)
	v_dual_cndmask_b32 v17, 0, v15, s12 :: v_dual_bitop2_b32 v42, 1, v33 bitop3:0x40
	v_cmp_eq_u32_e64 s12, 1, v42
	s_delay_alu instid0(VALU_DEP_2) | instskip(NEXT) | instid1(VALU_DEP_2)
	v_add_nc_u32_e32 v14, v17, v31
	v_cndmask_b32_e64 v33, v29, 1, s12
	ds_store_b8 v1, v6 offset:12
	ds_store_b8 v1, v21 offset:20
	;; [unrolled: 1-line block ×6, first 2 shown]
	ds_store_b32 v1, v14 offset:56
	ds_store_b8 v1, v33 offset:60
.LBB749_162:
	s_or_b32 exec_lo, exec_lo, s13
	v_mov_b32_e32 v6, v38
	s_wait_dscnt 0x0
	s_barrier_signal -1
	s_barrier_wait -1
	s_delay_alu instid0(VALU_DEP_1)
	v_mov_b64_e32 v[14:15], v[6:7]
	s_and_saveexec_b32 s12, s0
	s_cbranch_execz .LBB749_164
; %bb.163:
	v_add_nc_u32_e32 v1, -1, v0
	v_and_b32_e32 v3, 0xff, v39
	s_delay_alu instid0(VALU_DEP_2) | instskip(NEXT) | instid1(VALU_DEP_1)
	v_lshrrev_b32_e32 v2, 2, v1
	v_and_b32_e32 v2, 0x3ffffff8, v2
	s_delay_alu instid0(VALU_DEP_1)
	v_lshl_add_u32 v1, v1, 3, v2
	v_mov_b32_e32 v2, 0
	ds_load_b32 v1, v1
	v_cmp_eq_u64_e64 s0, 0, v[2:3]
	;;#ASMSTART
	;;#ASMEND
	s_wait_dscnt 0x0
	s_delay_alu instid0(VALU_DEP_1) | instskip(NEXT) | instid1(VALU_DEP_1)
	v_cndmask_b32_e64 v1, 0, v1, s0
	v_add_nc_u32_e32 v14, v1, v38
	s_delay_alu instid0(VALU_DEP_1) | instskip(NEXT) | instid1(VALU_DEP_1)
	v_cndmask_b32_e64 v1, 0, v14, s1
	v_dual_mov_b32 v38, v14 :: v_dual_add_nc_u32 v15, v1, v36
	s_delay_alu instid0(VALU_DEP_1) | instskip(NEXT) | instid1(VALU_DEP_1)
	v_dual_cndmask_b32 v1, 0, v15, s2 :: v_dual_mov_b32 v7, v15
	v_add_nc_u32_e32 v8, v1, v34
	s_delay_alu instid0(VALU_DEP_1) | instskip(NEXT) | instid1(VALU_DEP_1)
	v_cndmask_b32_e64 v1, 0, v8, s3
	v_add_nc_u32_e32 v9, v1, v32
	s_delay_alu instid0(VALU_DEP_1) | instskip(NEXT) | instid1(VALU_DEP_1)
	v_cndmask_b32_e64 v1, 0, v9, s4
	;; [unrolled: 3-line block ×9, first 2 shown]
	v_add_nc_u32_e32 v13, v1, v40
.LBB749_164:
	s_or_b32 exec_lo, exec_lo, s12
	s_and_saveexec_b32 s0, vcc_lo
	s_cbranch_execz .LBB749_166
; %bb.165:
	v_dual_mov_b32 v21, 0 :: v_dual_mov_b32 v20, 2
	s_add_nc_u64 s[2:3], s[16:17], 0x200
	ds_load_b32 v18, v21 offset:2096
	ds_load_u8 v19, v21 offset:2100
	v_mov_b64_e32 v[22:23], s[2:3]
	s_wait_dscnt 0x0
	;;#ASMSTART
	global_store_b128 v[22:23], v[18:21] off scope:SCOPE_DEV	
s_wait_storecnt 0x0
	;;#ASMEND
.LBB749_166:
	s_or_b32 exec_lo, exec_lo, s0
	v_mov_b32_e32 v6, v38
	s_add_nc_u64 s[0:1], s[14:15], s[26:27]
	s_and_b32 vcc_lo, exec_lo, s19
	s_add_nc_u64 s[0:1], s[0:1], s[20:21]
	s_cbranch_vccnz .LBB749_106
.LBB749_167:
	s_mov_b32 s2, 0
                                        ; implicit-def: $vgpr7
	s_cbranch_execz .LBB749_169
; %bb.168:
	v_mul_u32_u24_e32 v1, 48, v0
	v_dual_mov_b32 v16, v8 :: v_dual_mov_b32 v17, v9
	v_mul_i32_i24_e32 v6, 0xffffffd4, v0
	s_wait_storecnt_dscnt 0x0
	s_barrier_signal -1
	s_barrier_wait -1
	ds_store_b128 v1, v[14:17]
	ds_store_b128 v1, v[2:5] offset:16
	ds_store_b128 v1, v[10:13] offset:32
	v_mad_u32_u24 v1, v0, 48, v6
	s_wait_dscnt 0x0
	s_barrier_signal -1
	s_barrier_wait -1
	ds_load_2addr_stride64_b32 v[2:3], v1 offset1:4
	ds_load_2addr_stride64_b32 v[4:5], v1 offset0:8 offset1:12
	ds_load_2addr_stride64_b32 v[8:9], v1 offset0:16 offset1:20
	;; [unrolled: 1-line block ×5, first 2 shown]
	s_or_b32 s2, s2, exec_lo
	s_wait_dscnt 0x5
	s_clause 0x1
	flat_store_b32 v0, v2, s[0:1] scale_offset
	flat_store_b32 v0, v3, s[0:1] offset:1024 scale_offset
	s_wait_dscnt 0x6
	s_clause 0x1
	flat_store_b32 v0, v4, s[0:1] offset:2048 scale_offset
	flat_store_b32 v0, v5, s[0:1] offset:3072 scale_offset
	s_wait_dscnt 0x7
	s_clause 0x1
	flat_store_b32 v0, v8, s[0:1] offset:4096 scale_offset
	flat_store_b32 v0, v9, s[0:1] offset:5120 scale_offset
	s_wait_dscnt 0x8
	s_clause 0x1
	flat_store_b32 v0, v10, s[0:1] offset:6144 scale_offset
	flat_store_b32 v0, v11, s[0:1] offset:7168 scale_offset
	s_wait_dscnt 0x9
	s_clause 0x1
	flat_store_b32 v0, v12, s[0:1] offset:8192 scale_offset
	flat_store_b32 v0, v13, s[0:1] offset:9216 scale_offset
	s_wait_dscnt 0xa
	flat_store_b32 v0, v6, s[0:1] offset:10240 scale_offset
.LBB749_169:
	s_wait_xcnt 0x0
	s_delay_alu instid0(VALU_DEP_1)
	s_and_saveexec_b32 s3, s2
	s_cbranch_execz .LBB749_171
; %bb.170:
	s_wait_dscnt 0x0
	flat_store_b32 v0, v7, s[0:1] offset:11264 scale_offset
	s_endpgm
.LBB749_171:
	s_endpgm
	.section	.rodata,"a",@progbits
	.p2align	6, 0x0
	.amdhsa_kernel _ZN7rocprim17ROCPRIM_400000_NS6detail17trampoline_kernelINS0_14default_configENS1_27scan_by_key_config_selectorIiiEEZZNS1_16scan_by_key_implILNS1_25lookback_scan_determinismE0ELb0ES3_N6thrust23THRUST_200600_302600_NS6detail15normal_iteratorINS9_10device_ptrIiEEEESE_SE_iNS9_4plusIiEE19head_flag_predicateiEE10hipError_tPvRmT2_T3_T4_T5_mT6_T7_P12ihipStream_tbENKUlT_T0_E_clISt17integral_constantIbLb0EESY_EEDaST_SU_EUlST_E_NS1_11comp_targetILNS1_3genE0ELNS1_11target_archE4294967295ELNS1_3gpuE0ELNS1_3repE0EEENS1_30default_config_static_selectorELNS0_4arch9wavefront6targetE0EEEvT1_
		.amdhsa_group_segment_fixed_size 14336
		.amdhsa_private_segment_fixed_size 0
		.amdhsa_kernarg_size 112
		.amdhsa_user_sgpr_count 2
		.amdhsa_user_sgpr_dispatch_ptr 0
		.amdhsa_user_sgpr_queue_ptr 0
		.amdhsa_user_sgpr_kernarg_segment_ptr 1
		.amdhsa_user_sgpr_dispatch_id 0
		.amdhsa_user_sgpr_kernarg_preload_length 0
		.amdhsa_user_sgpr_kernarg_preload_offset 0
		.amdhsa_user_sgpr_private_segment_size 0
		.amdhsa_wavefront_size32 1
		.amdhsa_uses_dynamic_stack 0
		.amdhsa_enable_private_segment 0
		.amdhsa_system_sgpr_workgroup_id_x 1
		.amdhsa_system_sgpr_workgroup_id_y 0
		.amdhsa_system_sgpr_workgroup_id_z 0
		.amdhsa_system_sgpr_workgroup_info 0
		.amdhsa_system_vgpr_workitem_id 0
		.amdhsa_next_free_vgpr 62
		.amdhsa_next_free_sgpr 35
		.amdhsa_named_barrier_count 0
		.amdhsa_reserve_vcc 1
		.amdhsa_float_round_mode_32 0
		.amdhsa_float_round_mode_16_64 0
		.amdhsa_float_denorm_mode_32 3
		.amdhsa_float_denorm_mode_16_64 3
		.amdhsa_fp16_overflow 0
		.amdhsa_memory_ordered 1
		.amdhsa_forward_progress 1
		.amdhsa_inst_pref_size 92
		.amdhsa_round_robin_scheduling 0
		.amdhsa_exception_fp_ieee_invalid_op 0
		.amdhsa_exception_fp_denorm_src 0
		.amdhsa_exception_fp_ieee_div_zero 0
		.amdhsa_exception_fp_ieee_overflow 0
		.amdhsa_exception_fp_ieee_underflow 0
		.amdhsa_exception_fp_ieee_inexact 0
		.amdhsa_exception_int_div_zero 0
	.end_amdhsa_kernel
	.section	.text._ZN7rocprim17ROCPRIM_400000_NS6detail17trampoline_kernelINS0_14default_configENS1_27scan_by_key_config_selectorIiiEEZZNS1_16scan_by_key_implILNS1_25lookback_scan_determinismE0ELb0ES3_N6thrust23THRUST_200600_302600_NS6detail15normal_iteratorINS9_10device_ptrIiEEEESE_SE_iNS9_4plusIiEE19head_flag_predicateiEE10hipError_tPvRmT2_T3_T4_T5_mT6_T7_P12ihipStream_tbENKUlT_T0_E_clISt17integral_constantIbLb0EESY_EEDaST_SU_EUlST_E_NS1_11comp_targetILNS1_3genE0ELNS1_11target_archE4294967295ELNS1_3gpuE0ELNS1_3repE0EEENS1_30default_config_static_selectorELNS0_4arch9wavefront6targetE0EEEvT1_,"axG",@progbits,_ZN7rocprim17ROCPRIM_400000_NS6detail17trampoline_kernelINS0_14default_configENS1_27scan_by_key_config_selectorIiiEEZZNS1_16scan_by_key_implILNS1_25lookback_scan_determinismE0ELb0ES3_N6thrust23THRUST_200600_302600_NS6detail15normal_iteratorINS9_10device_ptrIiEEEESE_SE_iNS9_4plusIiEE19head_flag_predicateiEE10hipError_tPvRmT2_T3_T4_T5_mT6_T7_P12ihipStream_tbENKUlT_T0_E_clISt17integral_constantIbLb0EESY_EEDaST_SU_EUlST_E_NS1_11comp_targetILNS1_3genE0ELNS1_11target_archE4294967295ELNS1_3gpuE0ELNS1_3repE0EEENS1_30default_config_static_selectorELNS0_4arch9wavefront6targetE0EEEvT1_,comdat
.Lfunc_end749:
	.size	_ZN7rocprim17ROCPRIM_400000_NS6detail17trampoline_kernelINS0_14default_configENS1_27scan_by_key_config_selectorIiiEEZZNS1_16scan_by_key_implILNS1_25lookback_scan_determinismE0ELb0ES3_N6thrust23THRUST_200600_302600_NS6detail15normal_iteratorINS9_10device_ptrIiEEEESE_SE_iNS9_4plusIiEE19head_flag_predicateiEE10hipError_tPvRmT2_T3_T4_T5_mT6_T7_P12ihipStream_tbENKUlT_T0_E_clISt17integral_constantIbLb0EESY_EEDaST_SU_EUlST_E_NS1_11comp_targetILNS1_3genE0ELNS1_11target_archE4294967295ELNS1_3gpuE0ELNS1_3repE0EEENS1_30default_config_static_selectorELNS0_4arch9wavefront6targetE0EEEvT1_, .Lfunc_end749-_ZN7rocprim17ROCPRIM_400000_NS6detail17trampoline_kernelINS0_14default_configENS1_27scan_by_key_config_selectorIiiEEZZNS1_16scan_by_key_implILNS1_25lookback_scan_determinismE0ELb0ES3_N6thrust23THRUST_200600_302600_NS6detail15normal_iteratorINS9_10device_ptrIiEEEESE_SE_iNS9_4plusIiEE19head_flag_predicateiEE10hipError_tPvRmT2_T3_T4_T5_mT6_T7_P12ihipStream_tbENKUlT_T0_E_clISt17integral_constantIbLb0EESY_EEDaST_SU_EUlST_E_NS1_11comp_targetILNS1_3genE0ELNS1_11target_archE4294967295ELNS1_3gpuE0ELNS1_3repE0EEENS1_30default_config_static_selectorELNS0_4arch9wavefront6targetE0EEEvT1_
                                        ; -- End function
	.set _ZN7rocprim17ROCPRIM_400000_NS6detail17trampoline_kernelINS0_14default_configENS1_27scan_by_key_config_selectorIiiEEZZNS1_16scan_by_key_implILNS1_25lookback_scan_determinismE0ELb0ES3_N6thrust23THRUST_200600_302600_NS6detail15normal_iteratorINS9_10device_ptrIiEEEESE_SE_iNS9_4plusIiEE19head_flag_predicateiEE10hipError_tPvRmT2_T3_T4_T5_mT6_T7_P12ihipStream_tbENKUlT_T0_E_clISt17integral_constantIbLb0EESY_EEDaST_SU_EUlST_E_NS1_11comp_targetILNS1_3genE0ELNS1_11target_archE4294967295ELNS1_3gpuE0ELNS1_3repE0EEENS1_30default_config_static_selectorELNS0_4arch9wavefront6targetE0EEEvT1_.num_vgpr, 62
	.set _ZN7rocprim17ROCPRIM_400000_NS6detail17trampoline_kernelINS0_14default_configENS1_27scan_by_key_config_selectorIiiEEZZNS1_16scan_by_key_implILNS1_25lookback_scan_determinismE0ELb0ES3_N6thrust23THRUST_200600_302600_NS6detail15normal_iteratorINS9_10device_ptrIiEEEESE_SE_iNS9_4plusIiEE19head_flag_predicateiEE10hipError_tPvRmT2_T3_T4_T5_mT6_T7_P12ihipStream_tbENKUlT_T0_E_clISt17integral_constantIbLb0EESY_EEDaST_SU_EUlST_E_NS1_11comp_targetILNS1_3genE0ELNS1_11target_archE4294967295ELNS1_3gpuE0ELNS1_3repE0EEENS1_30default_config_static_selectorELNS0_4arch9wavefront6targetE0EEEvT1_.num_agpr, 0
	.set _ZN7rocprim17ROCPRIM_400000_NS6detail17trampoline_kernelINS0_14default_configENS1_27scan_by_key_config_selectorIiiEEZZNS1_16scan_by_key_implILNS1_25lookback_scan_determinismE0ELb0ES3_N6thrust23THRUST_200600_302600_NS6detail15normal_iteratorINS9_10device_ptrIiEEEESE_SE_iNS9_4plusIiEE19head_flag_predicateiEE10hipError_tPvRmT2_T3_T4_T5_mT6_T7_P12ihipStream_tbENKUlT_T0_E_clISt17integral_constantIbLb0EESY_EEDaST_SU_EUlST_E_NS1_11comp_targetILNS1_3genE0ELNS1_11target_archE4294967295ELNS1_3gpuE0ELNS1_3repE0EEENS1_30default_config_static_selectorELNS0_4arch9wavefront6targetE0EEEvT1_.numbered_sgpr, 35
	.set _ZN7rocprim17ROCPRIM_400000_NS6detail17trampoline_kernelINS0_14default_configENS1_27scan_by_key_config_selectorIiiEEZZNS1_16scan_by_key_implILNS1_25lookback_scan_determinismE0ELb0ES3_N6thrust23THRUST_200600_302600_NS6detail15normal_iteratorINS9_10device_ptrIiEEEESE_SE_iNS9_4plusIiEE19head_flag_predicateiEE10hipError_tPvRmT2_T3_T4_T5_mT6_T7_P12ihipStream_tbENKUlT_T0_E_clISt17integral_constantIbLb0EESY_EEDaST_SU_EUlST_E_NS1_11comp_targetILNS1_3genE0ELNS1_11target_archE4294967295ELNS1_3gpuE0ELNS1_3repE0EEENS1_30default_config_static_selectorELNS0_4arch9wavefront6targetE0EEEvT1_.num_named_barrier, 0
	.set _ZN7rocprim17ROCPRIM_400000_NS6detail17trampoline_kernelINS0_14default_configENS1_27scan_by_key_config_selectorIiiEEZZNS1_16scan_by_key_implILNS1_25lookback_scan_determinismE0ELb0ES3_N6thrust23THRUST_200600_302600_NS6detail15normal_iteratorINS9_10device_ptrIiEEEESE_SE_iNS9_4plusIiEE19head_flag_predicateiEE10hipError_tPvRmT2_T3_T4_T5_mT6_T7_P12ihipStream_tbENKUlT_T0_E_clISt17integral_constantIbLb0EESY_EEDaST_SU_EUlST_E_NS1_11comp_targetILNS1_3genE0ELNS1_11target_archE4294967295ELNS1_3gpuE0ELNS1_3repE0EEENS1_30default_config_static_selectorELNS0_4arch9wavefront6targetE0EEEvT1_.private_seg_size, 0
	.set _ZN7rocprim17ROCPRIM_400000_NS6detail17trampoline_kernelINS0_14default_configENS1_27scan_by_key_config_selectorIiiEEZZNS1_16scan_by_key_implILNS1_25lookback_scan_determinismE0ELb0ES3_N6thrust23THRUST_200600_302600_NS6detail15normal_iteratorINS9_10device_ptrIiEEEESE_SE_iNS9_4plusIiEE19head_flag_predicateiEE10hipError_tPvRmT2_T3_T4_T5_mT6_T7_P12ihipStream_tbENKUlT_T0_E_clISt17integral_constantIbLb0EESY_EEDaST_SU_EUlST_E_NS1_11comp_targetILNS1_3genE0ELNS1_11target_archE4294967295ELNS1_3gpuE0ELNS1_3repE0EEENS1_30default_config_static_selectorELNS0_4arch9wavefront6targetE0EEEvT1_.uses_vcc, 1
	.set _ZN7rocprim17ROCPRIM_400000_NS6detail17trampoline_kernelINS0_14default_configENS1_27scan_by_key_config_selectorIiiEEZZNS1_16scan_by_key_implILNS1_25lookback_scan_determinismE0ELb0ES3_N6thrust23THRUST_200600_302600_NS6detail15normal_iteratorINS9_10device_ptrIiEEEESE_SE_iNS9_4plusIiEE19head_flag_predicateiEE10hipError_tPvRmT2_T3_T4_T5_mT6_T7_P12ihipStream_tbENKUlT_T0_E_clISt17integral_constantIbLb0EESY_EEDaST_SU_EUlST_E_NS1_11comp_targetILNS1_3genE0ELNS1_11target_archE4294967295ELNS1_3gpuE0ELNS1_3repE0EEENS1_30default_config_static_selectorELNS0_4arch9wavefront6targetE0EEEvT1_.uses_flat_scratch, 1
	.set _ZN7rocprim17ROCPRIM_400000_NS6detail17trampoline_kernelINS0_14default_configENS1_27scan_by_key_config_selectorIiiEEZZNS1_16scan_by_key_implILNS1_25lookback_scan_determinismE0ELb0ES3_N6thrust23THRUST_200600_302600_NS6detail15normal_iteratorINS9_10device_ptrIiEEEESE_SE_iNS9_4plusIiEE19head_flag_predicateiEE10hipError_tPvRmT2_T3_T4_T5_mT6_T7_P12ihipStream_tbENKUlT_T0_E_clISt17integral_constantIbLb0EESY_EEDaST_SU_EUlST_E_NS1_11comp_targetILNS1_3genE0ELNS1_11target_archE4294967295ELNS1_3gpuE0ELNS1_3repE0EEENS1_30default_config_static_selectorELNS0_4arch9wavefront6targetE0EEEvT1_.has_dyn_sized_stack, 0
	.set _ZN7rocprim17ROCPRIM_400000_NS6detail17trampoline_kernelINS0_14default_configENS1_27scan_by_key_config_selectorIiiEEZZNS1_16scan_by_key_implILNS1_25lookback_scan_determinismE0ELb0ES3_N6thrust23THRUST_200600_302600_NS6detail15normal_iteratorINS9_10device_ptrIiEEEESE_SE_iNS9_4plusIiEE19head_flag_predicateiEE10hipError_tPvRmT2_T3_T4_T5_mT6_T7_P12ihipStream_tbENKUlT_T0_E_clISt17integral_constantIbLb0EESY_EEDaST_SU_EUlST_E_NS1_11comp_targetILNS1_3genE0ELNS1_11target_archE4294967295ELNS1_3gpuE0ELNS1_3repE0EEENS1_30default_config_static_selectorELNS0_4arch9wavefront6targetE0EEEvT1_.has_recursion, 0
	.set _ZN7rocprim17ROCPRIM_400000_NS6detail17trampoline_kernelINS0_14default_configENS1_27scan_by_key_config_selectorIiiEEZZNS1_16scan_by_key_implILNS1_25lookback_scan_determinismE0ELb0ES3_N6thrust23THRUST_200600_302600_NS6detail15normal_iteratorINS9_10device_ptrIiEEEESE_SE_iNS9_4plusIiEE19head_flag_predicateiEE10hipError_tPvRmT2_T3_T4_T5_mT6_T7_P12ihipStream_tbENKUlT_T0_E_clISt17integral_constantIbLb0EESY_EEDaST_SU_EUlST_E_NS1_11comp_targetILNS1_3genE0ELNS1_11target_archE4294967295ELNS1_3gpuE0ELNS1_3repE0EEENS1_30default_config_static_selectorELNS0_4arch9wavefront6targetE0EEEvT1_.has_indirect_call, 0
	.section	.AMDGPU.csdata,"",@progbits
; Kernel info:
; codeLenInByte = 11752
; TotalNumSgprs: 37
; NumVgprs: 62
; ScratchSize: 0
; MemoryBound: 0
; FloatMode: 240
; IeeeMode: 1
; LDSByteSize: 14336 bytes/workgroup (compile time only)
; SGPRBlocks: 0
; VGPRBlocks: 3
; NumSGPRsForWavesPerEU: 37
; NumVGPRsForWavesPerEU: 62
; NamedBarCnt: 0
; Occupancy: 16
; WaveLimiterHint : 1
; COMPUTE_PGM_RSRC2:SCRATCH_EN: 0
; COMPUTE_PGM_RSRC2:USER_SGPR: 2
; COMPUTE_PGM_RSRC2:TRAP_HANDLER: 0
; COMPUTE_PGM_RSRC2:TGID_X_EN: 1
; COMPUTE_PGM_RSRC2:TGID_Y_EN: 0
; COMPUTE_PGM_RSRC2:TGID_Z_EN: 0
; COMPUTE_PGM_RSRC2:TIDIG_COMP_CNT: 0
	.section	.text._ZN7rocprim17ROCPRIM_400000_NS6detail17trampoline_kernelINS0_14default_configENS1_27scan_by_key_config_selectorIiiEEZZNS1_16scan_by_key_implILNS1_25lookback_scan_determinismE0ELb0ES3_N6thrust23THRUST_200600_302600_NS6detail15normal_iteratorINS9_10device_ptrIiEEEESE_SE_iNS9_4plusIiEE19head_flag_predicateiEE10hipError_tPvRmT2_T3_T4_T5_mT6_T7_P12ihipStream_tbENKUlT_T0_E_clISt17integral_constantIbLb0EESY_EEDaST_SU_EUlST_E_NS1_11comp_targetILNS1_3genE10ELNS1_11target_archE1201ELNS1_3gpuE5ELNS1_3repE0EEENS1_30default_config_static_selectorELNS0_4arch9wavefront6targetE0EEEvT1_,"axG",@progbits,_ZN7rocprim17ROCPRIM_400000_NS6detail17trampoline_kernelINS0_14default_configENS1_27scan_by_key_config_selectorIiiEEZZNS1_16scan_by_key_implILNS1_25lookback_scan_determinismE0ELb0ES3_N6thrust23THRUST_200600_302600_NS6detail15normal_iteratorINS9_10device_ptrIiEEEESE_SE_iNS9_4plusIiEE19head_flag_predicateiEE10hipError_tPvRmT2_T3_T4_T5_mT6_T7_P12ihipStream_tbENKUlT_T0_E_clISt17integral_constantIbLb0EESY_EEDaST_SU_EUlST_E_NS1_11comp_targetILNS1_3genE10ELNS1_11target_archE1201ELNS1_3gpuE5ELNS1_3repE0EEENS1_30default_config_static_selectorELNS0_4arch9wavefront6targetE0EEEvT1_,comdat
	.protected	_ZN7rocprim17ROCPRIM_400000_NS6detail17trampoline_kernelINS0_14default_configENS1_27scan_by_key_config_selectorIiiEEZZNS1_16scan_by_key_implILNS1_25lookback_scan_determinismE0ELb0ES3_N6thrust23THRUST_200600_302600_NS6detail15normal_iteratorINS9_10device_ptrIiEEEESE_SE_iNS9_4plusIiEE19head_flag_predicateiEE10hipError_tPvRmT2_T3_T4_T5_mT6_T7_P12ihipStream_tbENKUlT_T0_E_clISt17integral_constantIbLb0EESY_EEDaST_SU_EUlST_E_NS1_11comp_targetILNS1_3genE10ELNS1_11target_archE1201ELNS1_3gpuE5ELNS1_3repE0EEENS1_30default_config_static_selectorELNS0_4arch9wavefront6targetE0EEEvT1_ ; -- Begin function _ZN7rocprim17ROCPRIM_400000_NS6detail17trampoline_kernelINS0_14default_configENS1_27scan_by_key_config_selectorIiiEEZZNS1_16scan_by_key_implILNS1_25lookback_scan_determinismE0ELb0ES3_N6thrust23THRUST_200600_302600_NS6detail15normal_iteratorINS9_10device_ptrIiEEEESE_SE_iNS9_4plusIiEE19head_flag_predicateiEE10hipError_tPvRmT2_T3_T4_T5_mT6_T7_P12ihipStream_tbENKUlT_T0_E_clISt17integral_constantIbLb0EESY_EEDaST_SU_EUlST_E_NS1_11comp_targetILNS1_3genE10ELNS1_11target_archE1201ELNS1_3gpuE5ELNS1_3repE0EEENS1_30default_config_static_selectorELNS0_4arch9wavefront6targetE0EEEvT1_
	.globl	_ZN7rocprim17ROCPRIM_400000_NS6detail17trampoline_kernelINS0_14default_configENS1_27scan_by_key_config_selectorIiiEEZZNS1_16scan_by_key_implILNS1_25lookback_scan_determinismE0ELb0ES3_N6thrust23THRUST_200600_302600_NS6detail15normal_iteratorINS9_10device_ptrIiEEEESE_SE_iNS9_4plusIiEE19head_flag_predicateiEE10hipError_tPvRmT2_T3_T4_T5_mT6_T7_P12ihipStream_tbENKUlT_T0_E_clISt17integral_constantIbLb0EESY_EEDaST_SU_EUlST_E_NS1_11comp_targetILNS1_3genE10ELNS1_11target_archE1201ELNS1_3gpuE5ELNS1_3repE0EEENS1_30default_config_static_selectorELNS0_4arch9wavefront6targetE0EEEvT1_
	.p2align	8
	.type	_ZN7rocprim17ROCPRIM_400000_NS6detail17trampoline_kernelINS0_14default_configENS1_27scan_by_key_config_selectorIiiEEZZNS1_16scan_by_key_implILNS1_25lookback_scan_determinismE0ELb0ES3_N6thrust23THRUST_200600_302600_NS6detail15normal_iteratorINS9_10device_ptrIiEEEESE_SE_iNS9_4plusIiEE19head_flag_predicateiEE10hipError_tPvRmT2_T3_T4_T5_mT6_T7_P12ihipStream_tbENKUlT_T0_E_clISt17integral_constantIbLb0EESY_EEDaST_SU_EUlST_E_NS1_11comp_targetILNS1_3genE10ELNS1_11target_archE1201ELNS1_3gpuE5ELNS1_3repE0EEENS1_30default_config_static_selectorELNS0_4arch9wavefront6targetE0EEEvT1_,@function
_ZN7rocprim17ROCPRIM_400000_NS6detail17trampoline_kernelINS0_14default_configENS1_27scan_by_key_config_selectorIiiEEZZNS1_16scan_by_key_implILNS1_25lookback_scan_determinismE0ELb0ES3_N6thrust23THRUST_200600_302600_NS6detail15normal_iteratorINS9_10device_ptrIiEEEESE_SE_iNS9_4plusIiEE19head_flag_predicateiEE10hipError_tPvRmT2_T3_T4_T5_mT6_T7_P12ihipStream_tbENKUlT_T0_E_clISt17integral_constantIbLb0EESY_EEDaST_SU_EUlST_E_NS1_11comp_targetILNS1_3genE10ELNS1_11target_archE1201ELNS1_3gpuE5ELNS1_3repE0EEENS1_30default_config_static_selectorELNS0_4arch9wavefront6targetE0EEEvT1_: ; @_ZN7rocprim17ROCPRIM_400000_NS6detail17trampoline_kernelINS0_14default_configENS1_27scan_by_key_config_selectorIiiEEZZNS1_16scan_by_key_implILNS1_25lookback_scan_determinismE0ELb0ES3_N6thrust23THRUST_200600_302600_NS6detail15normal_iteratorINS9_10device_ptrIiEEEESE_SE_iNS9_4plusIiEE19head_flag_predicateiEE10hipError_tPvRmT2_T3_T4_T5_mT6_T7_P12ihipStream_tbENKUlT_T0_E_clISt17integral_constantIbLb0EESY_EEDaST_SU_EUlST_E_NS1_11comp_targetILNS1_3genE10ELNS1_11target_archE1201ELNS1_3gpuE5ELNS1_3repE0EEENS1_30default_config_static_selectorELNS0_4arch9wavefront6targetE0EEEvT1_
; %bb.0:
	.section	.rodata,"a",@progbits
	.p2align	6, 0x0
	.amdhsa_kernel _ZN7rocprim17ROCPRIM_400000_NS6detail17trampoline_kernelINS0_14default_configENS1_27scan_by_key_config_selectorIiiEEZZNS1_16scan_by_key_implILNS1_25lookback_scan_determinismE0ELb0ES3_N6thrust23THRUST_200600_302600_NS6detail15normal_iteratorINS9_10device_ptrIiEEEESE_SE_iNS9_4plusIiEE19head_flag_predicateiEE10hipError_tPvRmT2_T3_T4_T5_mT6_T7_P12ihipStream_tbENKUlT_T0_E_clISt17integral_constantIbLb0EESY_EEDaST_SU_EUlST_E_NS1_11comp_targetILNS1_3genE10ELNS1_11target_archE1201ELNS1_3gpuE5ELNS1_3repE0EEENS1_30default_config_static_selectorELNS0_4arch9wavefront6targetE0EEEvT1_
		.amdhsa_group_segment_fixed_size 0
		.amdhsa_private_segment_fixed_size 0
		.amdhsa_kernarg_size 112
		.amdhsa_user_sgpr_count 2
		.amdhsa_user_sgpr_dispatch_ptr 0
		.amdhsa_user_sgpr_queue_ptr 0
		.amdhsa_user_sgpr_kernarg_segment_ptr 1
		.amdhsa_user_sgpr_dispatch_id 0
		.amdhsa_user_sgpr_kernarg_preload_length 0
		.amdhsa_user_sgpr_kernarg_preload_offset 0
		.amdhsa_user_sgpr_private_segment_size 0
		.amdhsa_wavefront_size32 1
		.amdhsa_uses_dynamic_stack 0
		.amdhsa_enable_private_segment 0
		.amdhsa_system_sgpr_workgroup_id_x 1
		.amdhsa_system_sgpr_workgroup_id_y 0
		.amdhsa_system_sgpr_workgroup_id_z 0
		.amdhsa_system_sgpr_workgroup_info 0
		.amdhsa_system_vgpr_workitem_id 0
		.amdhsa_next_free_vgpr 1
		.amdhsa_next_free_sgpr 1
		.amdhsa_named_barrier_count 0
		.amdhsa_reserve_vcc 0
		.amdhsa_float_round_mode_32 0
		.amdhsa_float_round_mode_16_64 0
		.amdhsa_float_denorm_mode_32 3
		.amdhsa_float_denorm_mode_16_64 3
		.amdhsa_fp16_overflow 0
		.amdhsa_memory_ordered 1
		.amdhsa_forward_progress 1
		.amdhsa_inst_pref_size 0
		.amdhsa_round_robin_scheduling 0
		.amdhsa_exception_fp_ieee_invalid_op 0
		.amdhsa_exception_fp_denorm_src 0
		.amdhsa_exception_fp_ieee_div_zero 0
		.amdhsa_exception_fp_ieee_overflow 0
		.amdhsa_exception_fp_ieee_underflow 0
		.amdhsa_exception_fp_ieee_inexact 0
		.amdhsa_exception_int_div_zero 0
	.end_amdhsa_kernel
	.section	.text._ZN7rocprim17ROCPRIM_400000_NS6detail17trampoline_kernelINS0_14default_configENS1_27scan_by_key_config_selectorIiiEEZZNS1_16scan_by_key_implILNS1_25lookback_scan_determinismE0ELb0ES3_N6thrust23THRUST_200600_302600_NS6detail15normal_iteratorINS9_10device_ptrIiEEEESE_SE_iNS9_4plusIiEE19head_flag_predicateiEE10hipError_tPvRmT2_T3_T4_T5_mT6_T7_P12ihipStream_tbENKUlT_T0_E_clISt17integral_constantIbLb0EESY_EEDaST_SU_EUlST_E_NS1_11comp_targetILNS1_3genE10ELNS1_11target_archE1201ELNS1_3gpuE5ELNS1_3repE0EEENS1_30default_config_static_selectorELNS0_4arch9wavefront6targetE0EEEvT1_,"axG",@progbits,_ZN7rocprim17ROCPRIM_400000_NS6detail17trampoline_kernelINS0_14default_configENS1_27scan_by_key_config_selectorIiiEEZZNS1_16scan_by_key_implILNS1_25lookback_scan_determinismE0ELb0ES3_N6thrust23THRUST_200600_302600_NS6detail15normal_iteratorINS9_10device_ptrIiEEEESE_SE_iNS9_4plusIiEE19head_flag_predicateiEE10hipError_tPvRmT2_T3_T4_T5_mT6_T7_P12ihipStream_tbENKUlT_T0_E_clISt17integral_constantIbLb0EESY_EEDaST_SU_EUlST_E_NS1_11comp_targetILNS1_3genE10ELNS1_11target_archE1201ELNS1_3gpuE5ELNS1_3repE0EEENS1_30default_config_static_selectorELNS0_4arch9wavefront6targetE0EEEvT1_,comdat
.Lfunc_end750:
	.size	_ZN7rocprim17ROCPRIM_400000_NS6detail17trampoline_kernelINS0_14default_configENS1_27scan_by_key_config_selectorIiiEEZZNS1_16scan_by_key_implILNS1_25lookback_scan_determinismE0ELb0ES3_N6thrust23THRUST_200600_302600_NS6detail15normal_iteratorINS9_10device_ptrIiEEEESE_SE_iNS9_4plusIiEE19head_flag_predicateiEE10hipError_tPvRmT2_T3_T4_T5_mT6_T7_P12ihipStream_tbENKUlT_T0_E_clISt17integral_constantIbLb0EESY_EEDaST_SU_EUlST_E_NS1_11comp_targetILNS1_3genE10ELNS1_11target_archE1201ELNS1_3gpuE5ELNS1_3repE0EEENS1_30default_config_static_selectorELNS0_4arch9wavefront6targetE0EEEvT1_, .Lfunc_end750-_ZN7rocprim17ROCPRIM_400000_NS6detail17trampoline_kernelINS0_14default_configENS1_27scan_by_key_config_selectorIiiEEZZNS1_16scan_by_key_implILNS1_25lookback_scan_determinismE0ELb0ES3_N6thrust23THRUST_200600_302600_NS6detail15normal_iteratorINS9_10device_ptrIiEEEESE_SE_iNS9_4plusIiEE19head_flag_predicateiEE10hipError_tPvRmT2_T3_T4_T5_mT6_T7_P12ihipStream_tbENKUlT_T0_E_clISt17integral_constantIbLb0EESY_EEDaST_SU_EUlST_E_NS1_11comp_targetILNS1_3genE10ELNS1_11target_archE1201ELNS1_3gpuE5ELNS1_3repE0EEENS1_30default_config_static_selectorELNS0_4arch9wavefront6targetE0EEEvT1_
                                        ; -- End function
	.set _ZN7rocprim17ROCPRIM_400000_NS6detail17trampoline_kernelINS0_14default_configENS1_27scan_by_key_config_selectorIiiEEZZNS1_16scan_by_key_implILNS1_25lookback_scan_determinismE0ELb0ES3_N6thrust23THRUST_200600_302600_NS6detail15normal_iteratorINS9_10device_ptrIiEEEESE_SE_iNS9_4plusIiEE19head_flag_predicateiEE10hipError_tPvRmT2_T3_T4_T5_mT6_T7_P12ihipStream_tbENKUlT_T0_E_clISt17integral_constantIbLb0EESY_EEDaST_SU_EUlST_E_NS1_11comp_targetILNS1_3genE10ELNS1_11target_archE1201ELNS1_3gpuE5ELNS1_3repE0EEENS1_30default_config_static_selectorELNS0_4arch9wavefront6targetE0EEEvT1_.num_vgpr, 0
	.set _ZN7rocprim17ROCPRIM_400000_NS6detail17trampoline_kernelINS0_14default_configENS1_27scan_by_key_config_selectorIiiEEZZNS1_16scan_by_key_implILNS1_25lookback_scan_determinismE0ELb0ES3_N6thrust23THRUST_200600_302600_NS6detail15normal_iteratorINS9_10device_ptrIiEEEESE_SE_iNS9_4plusIiEE19head_flag_predicateiEE10hipError_tPvRmT2_T3_T4_T5_mT6_T7_P12ihipStream_tbENKUlT_T0_E_clISt17integral_constantIbLb0EESY_EEDaST_SU_EUlST_E_NS1_11comp_targetILNS1_3genE10ELNS1_11target_archE1201ELNS1_3gpuE5ELNS1_3repE0EEENS1_30default_config_static_selectorELNS0_4arch9wavefront6targetE0EEEvT1_.num_agpr, 0
	.set _ZN7rocprim17ROCPRIM_400000_NS6detail17trampoline_kernelINS0_14default_configENS1_27scan_by_key_config_selectorIiiEEZZNS1_16scan_by_key_implILNS1_25lookback_scan_determinismE0ELb0ES3_N6thrust23THRUST_200600_302600_NS6detail15normal_iteratorINS9_10device_ptrIiEEEESE_SE_iNS9_4plusIiEE19head_flag_predicateiEE10hipError_tPvRmT2_T3_T4_T5_mT6_T7_P12ihipStream_tbENKUlT_T0_E_clISt17integral_constantIbLb0EESY_EEDaST_SU_EUlST_E_NS1_11comp_targetILNS1_3genE10ELNS1_11target_archE1201ELNS1_3gpuE5ELNS1_3repE0EEENS1_30default_config_static_selectorELNS0_4arch9wavefront6targetE0EEEvT1_.numbered_sgpr, 0
	.set _ZN7rocprim17ROCPRIM_400000_NS6detail17trampoline_kernelINS0_14default_configENS1_27scan_by_key_config_selectorIiiEEZZNS1_16scan_by_key_implILNS1_25lookback_scan_determinismE0ELb0ES3_N6thrust23THRUST_200600_302600_NS6detail15normal_iteratorINS9_10device_ptrIiEEEESE_SE_iNS9_4plusIiEE19head_flag_predicateiEE10hipError_tPvRmT2_T3_T4_T5_mT6_T7_P12ihipStream_tbENKUlT_T0_E_clISt17integral_constantIbLb0EESY_EEDaST_SU_EUlST_E_NS1_11comp_targetILNS1_3genE10ELNS1_11target_archE1201ELNS1_3gpuE5ELNS1_3repE0EEENS1_30default_config_static_selectorELNS0_4arch9wavefront6targetE0EEEvT1_.num_named_barrier, 0
	.set _ZN7rocprim17ROCPRIM_400000_NS6detail17trampoline_kernelINS0_14default_configENS1_27scan_by_key_config_selectorIiiEEZZNS1_16scan_by_key_implILNS1_25lookback_scan_determinismE0ELb0ES3_N6thrust23THRUST_200600_302600_NS6detail15normal_iteratorINS9_10device_ptrIiEEEESE_SE_iNS9_4plusIiEE19head_flag_predicateiEE10hipError_tPvRmT2_T3_T4_T5_mT6_T7_P12ihipStream_tbENKUlT_T0_E_clISt17integral_constantIbLb0EESY_EEDaST_SU_EUlST_E_NS1_11comp_targetILNS1_3genE10ELNS1_11target_archE1201ELNS1_3gpuE5ELNS1_3repE0EEENS1_30default_config_static_selectorELNS0_4arch9wavefront6targetE0EEEvT1_.private_seg_size, 0
	.set _ZN7rocprim17ROCPRIM_400000_NS6detail17trampoline_kernelINS0_14default_configENS1_27scan_by_key_config_selectorIiiEEZZNS1_16scan_by_key_implILNS1_25lookback_scan_determinismE0ELb0ES3_N6thrust23THRUST_200600_302600_NS6detail15normal_iteratorINS9_10device_ptrIiEEEESE_SE_iNS9_4plusIiEE19head_flag_predicateiEE10hipError_tPvRmT2_T3_T4_T5_mT6_T7_P12ihipStream_tbENKUlT_T0_E_clISt17integral_constantIbLb0EESY_EEDaST_SU_EUlST_E_NS1_11comp_targetILNS1_3genE10ELNS1_11target_archE1201ELNS1_3gpuE5ELNS1_3repE0EEENS1_30default_config_static_selectorELNS0_4arch9wavefront6targetE0EEEvT1_.uses_vcc, 0
	.set _ZN7rocprim17ROCPRIM_400000_NS6detail17trampoline_kernelINS0_14default_configENS1_27scan_by_key_config_selectorIiiEEZZNS1_16scan_by_key_implILNS1_25lookback_scan_determinismE0ELb0ES3_N6thrust23THRUST_200600_302600_NS6detail15normal_iteratorINS9_10device_ptrIiEEEESE_SE_iNS9_4plusIiEE19head_flag_predicateiEE10hipError_tPvRmT2_T3_T4_T5_mT6_T7_P12ihipStream_tbENKUlT_T0_E_clISt17integral_constantIbLb0EESY_EEDaST_SU_EUlST_E_NS1_11comp_targetILNS1_3genE10ELNS1_11target_archE1201ELNS1_3gpuE5ELNS1_3repE0EEENS1_30default_config_static_selectorELNS0_4arch9wavefront6targetE0EEEvT1_.uses_flat_scratch, 0
	.set _ZN7rocprim17ROCPRIM_400000_NS6detail17trampoline_kernelINS0_14default_configENS1_27scan_by_key_config_selectorIiiEEZZNS1_16scan_by_key_implILNS1_25lookback_scan_determinismE0ELb0ES3_N6thrust23THRUST_200600_302600_NS6detail15normal_iteratorINS9_10device_ptrIiEEEESE_SE_iNS9_4plusIiEE19head_flag_predicateiEE10hipError_tPvRmT2_T3_T4_T5_mT6_T7_P12ihipStream_tbENKUlT_T0_E_clISt17integral_constantIbLb0EESY_EEDaST_SU_EUlST_E_NS1_11comp_targetILNS1_3genE10ELNS1_11target_archE1201ELNS1_3gpuE5ELNS1_3repE0EEENS1_30default_config_static_selectorELNS0_4arch9wavefront6targetE0EEEvT1_.has_dyn_sized_stack, 0
	.set _ZN7rocprim17ROCPRIM_400000_NS6detail17trampoline_kernelINS0_14default_configENS1_27scan_by_key_config_selectorIiiEEZZNS1_16scan_by_key_implILNS1_25lookback_scan_determinismE0ELb0ES3_N6thrust23THRUST_200600_302600_NS6detail15normal_iteratorINS9_10device_ptrIiEEEESE_SE_iNS9_4plusIiEE19head_flag_predicateiEE10hipError_tPvRmT2_T3_T4_T5_mT6_T7_P12ihipStream_tbENKUlT_T0_E_clISt17integral_constantIbLb0EESY_EEDaST_SU_EUlST_E_NS1_11comp_targetILNS1_3genE10ELNS1_11target_archE1201ELNS1_3gpuE5ELNS1_3repE0EEENS1_30default_config_static_selectorELNS0_4arch9wavefront6targetE0EEEvT1_.has_recursion, 0
	.set _ZN7rocprim17ROCPRIM_400000_NS6detail17trampoline_kernelINS0_14default_configENS1_27scan_by_key_config_selectorIiiEEZZNS1_16scan_by_key_implILNS1_25lookback_scan_determinismE0ELb0ES3_N6thrust23THRUST_200600_302600_NS6detail15normal_iteratorINS9_10device_ptrIiEEEESE_SE_iNS9_4plusIiEE19head_flag_predicateiEE10hipError_tPvRmT2_T3_T4_T5_mT6_T7_P12ihipStream_tbENKUlT_T0_E_clISt17integral_constantIbLb0EESY_EEDaST_SU_EUlST_E_NS1_11comp_targetILNS1_3genE10ELNS1_11target_archE1201ELNS1_3gpuE5ELNS1_3repE0EEENS1_30default_config_static_selectorELNS0_4arch9wavefront6targetE0EEEvT1_.has_indirect_call, 0
	.section	.AMDGPU.csdata,"",@progbits
; Kernel info:
; codeLenInByte = 0
; TotalNumSgprs: 0
; NumVgprs: 0
; ScratchSize: 0
; MemoryBound: 0
; FloatMode: 240
; IeeeMode: 1
; LDSByteSize: 0 bytes/workgroup (compile time only)
; SGPRBlocks: 0
; VGPRBlocks: 0
; NumSGPRsForWavesPerEU: 1
; NumVGPRsForWavesPerEU: 1
; NamedBarCnt: 0
; Occupancy: 16
; WaveLimiterHint : 0
; COMPUTE_PGM_RSRC2:SCRATCH_EN: 0
; COMPUTE_PGM_RSRC2:USER_SGPR: 2
; COMPUTE_PGM_RSRC2:TRAP_HANDLER: 0
; COMPUTE_PGM_RSRC2:TGID_X_EN: 1
; COMPUTE_PGM_RSRC2:TGID_Y_EN: 0
; COMPUTE_PGM_RSRC2:TGID_Z_EN: 0
; COMPUTE_PGM_RSRC2:TIDIG_COMP_CNT: 0
	.section	.text._ZN7rocprim17ROCPRIM_400000_NS6detail17trampoline_kernelINS0_14default_configENS1_27scan_by_key_config_selectorIiiEEZZNS1_16scan_by_key_implILNS1_25lookback_scan_determinismE0ELb0ES3_N6thrust23THRUST_200600_302600_NS6detail15normal_iteratorINS9_10device_ptrIiEEEESE_SE_iNS9_4plusIiEE19head_flag_predicateiEE10hipError_tPvRmT2_T3_T4_T5_mT6_T7_P12ihipStream_tbENKUlT_T0_E_clISt17integral_constantIbLb0EESY_EEDaST_SU_EUlST_E_NS1_11comp_targetILNS1_3genE5ELNS1_11target_archE942ELNS1_3gpuE9ELNS1_3repE0EEENS1_30default_config_static_selectorELNS0_4arch9wavefront6targetE0EEEvT1_,"axG",@progbits,_ZN7rocprim17ROCPRIM_400000_NS6detail17trampoline_kernelINS0_14default_configENS1_27scan_by_key_config_selectorIiiEEZZNS1_16scan_by_key_implILNS1_25lookback_scan_determinismE0ELb0ES3_N6thrust23THRUST_200600_302600_NS6detail15normal_iteratorINS9_10device_ptrIiEEEESE_SE_iNS9_4plusIiEE19head_flag_predicateiEE10hipError_tPvRmT2_T3_T4_T5_mT6_T7_P12ihipStream_tbENKUlT_T0_E_clISt17integral_constantIbLb0EESY_EEDaST_SU_EUlST_E_NS1_11comp_targetILNS1_3genE5ELNS1_11target_archE942ELNS1_3gpuE9ELNS1_3repE0EEENS1_30default_config_static_selectorELNS0_4arch9wavefront6targetE0EEEvT1_,comdat
	.protected	_ZN7rocprim17ROCPRIM_400000_NS6detail17trampoline_kernelINS0_14default_configENS1_27scan_by_key_config_selectorIiiEEZZNS1_16scan_by_key_implILNS1_25lookback_scan_determinismE0ELb0ES3_N6thrust23THRUST_200600_302600_NS6detail15normal_iteratorINS9_10device_ptrIiEEEESE_SE_iNS9_4plusIiEE19head_flag_predicateiEE10hipError_tPvRmT2_T3_T4_T5_mT6_T7_P12ihipStream_tbENKUlT_T0_E_clISt17integral_constantIbLb0EESY_EEDaST_SU_EUlST_E_NS1_11comp_targetILNS1_3genE5ELNS1_11target_archE942ELNS1_3gpuE9ELNS1_3repE0EEENS1_30default_config_static_selectorELNS0_4arch9wavefront6targetE0EEEvT1_ ; -- Begin function _ZN7rocprim17ROCPRIM_400000_NS6detail17trampoline_kernelINS0_14default_configENS1_27scan_by_key_config_selectorIiiEEZZNS1_16scan_by_key_implILNS1_25lookback_scan_determinismE0ELb0ES3_N6thrust23THRUST_200600_302600_NS6detail15normal_iteratorINS9_10device_ptrIiEEEESE_SE_iNS9_4plusIiEE19head_flag_predicateiEE10hipError_tPvRmT2_T3_T4_T5_mT6_T7_P12ihipStream_tbENKUlT_T0_E_clISt17integral_constantIbLb0EESY_EEDaST_SU_EUlST_E_NS1_11comp_targetILNS1_3genE5ELNS1_11target_archE942ELNS1_3gpuE9ELNS1_3repE0EEENS1_30default_config_static_selectorELNS0_4arch9wavefront6targetE0EEEvT1_
	.globl	_ZN7rocprim17ROCPRIM_400000_NS6detail17trampoline_kernelINS0_14default_configENS1_27scan_by_key_config_selectorIiiEEZZNS1_16scan_by_key_implILNS1_25lookback_scan_determinismE0ELb0ES3_N6thrust23THRUST_200600_302600_NS6detail15normal_iteratorINS9_10device_ptrIiEEEESE_SE_iNS9_4plusIiEE19head_flag_predicateiEE10hipError_tPvRmT2_T3_T4_T5_mT6_T7_P12ihipStream_tbENKUlT_T0_E_clISt17integral_constantIbLb0EESY_EEDaST_SU_EUlST_E_NS1_11comp_targetILNS1_3genE5ELNS1_11target_archE942ELNS1_3gpuE9ELNS1_3repE0EEENS1_30default_config_static_selectorELNS0_4arch9wavefront6targetE0EEEvT1_
	.p2align	8
	.type	_ZN7rocprim17ROCPRIM_400000_NS6detail17trampoline_kernelINS0_14default_configENS1_27scan_by_key_config_selectorIiiEEZZNS1_16scan_by_key_implILNS1_25lookback_scan_determinismE0ELb0ES3_N6thrust23THRUST_200600_302600_NS6detail15normal_iteratorINS9_10device_ptrIiEEEESE_SE_iNS9_4plusIiEE19head_flag_predicateiEE10hipError_tPvRmT2_T3_T4_T5_mT6_T7_P12ihipStream_tbENKUlT_T0_E_clISt17integral_constantIbLb0EESY_EEDaST_SU_EUlST_E_NS1_11comp_targetILNS1_3genE5ELNS1_11target_archE942ELNS1_3gpuE9ELNS1_3repE0EEENS1_30default_config_static_selectorELNS0_4arch9wavefront6targetE0EEEvT1_,@function
_ZN7rocprim17ROCPRIM_400000_NS6detail17trampoline_kernelINS0_14default_configENS1_27scan_by_key_config_selectorIiiEEZZNS1_16scan_by_key_implILNS1_25lookback_scan_determinismE0ELb0ES3_N6thrust23THRUST_200600_302600_NS6detail15normal_iteratorINS9_10device_ptrIiEEEESE_SE_iNS9_4plusIiEE19head_flag_predicateiEE10hipError_tPvRmT2_T3_T4_T5_mT6_T7_P12ihipStream_tbENKUlT_T0_E_clISt17integral_constantIbLb0EESY_EEDaST_SU_EUlST_E_NS1_11comp_targetILNS1_3genE5ELNS1_11target_archE942ELNS1_3gpuE9ELNS1_3repE0EEENS1_30default_config_static_selectorELNS0_4arch9wavefront6targetE0EEEvT1_: ; @_ZN7rocprim17ROCPRIM_400000_NS6detail17trampoline_kernelINS0_14default_configENS1_27scan_by_key_config_selectorIiiEEZZNS1_16scan_by_key_implILNS1_25lookback_scan_determinismE0ELb0ES3_N6thrust23THRUST_200600_302600_NS6detail15normal_iteratorINS9_10device_ptrIiEEEESE_SE_iNS9_4plusIiEE19head_flag_predicateiEE10hipError_tPvRmT2_T3_T4_T5_mT6_T7_P12ihipStream_tbENKUlT_T0_E_clISt17integral_constantIbLb0EESY_EEDaST_SU_EUlST_E_NS1_11comp_targetILNS1_3genE5ELNS1_11target_archE942ELNS1_3gpuE9ELNS1_3repE0EEENS1_30default_config_static_selectorELNS0_4arch9wavefront6targetE0EEEvT1_
; %bb.0:
	.section	.rodata,"a",@progbits
	.p2align	6, 0x0
	.amdhsa_kernel _ZN7rocprim17ROCPRIM_400000_NS6detail17trampoline_kernelINS0_14default_configENS1_27scan_by_key_config_selectorIiiEEZZNS1_16scan_by_key_implILNS1_25lookback_scan_determinismE0ELb0ES3_N6thrust23THRUST_200600_302600_NS6detail15normal_iteratorINS9_10device_ptrIiEEEESE_SE_iNS9_4plusIiEE19head_flag_predicateiEE10hipError_tPvRmT2_T3_T4_T5_mT6_T7_P12ihipStream_tbENKUlT_T0_E_clISt17integral_constantIbLb0EESY_EEDaST_SU_EUlST_E_NS1_11comp_targetILNS1_3genE5ELNS1_11target_archE942ELNS1_3gpuE9ELNS1_3repE0EEENS1_30default_config_static_selectorELNS0_4arch9wavefront6targetE0EEEvT1_
		.amdhsa_group_segment_fixed_size 0
		.amdhsa_private_segment_fixed_size 0
		.amdhsa_kernarg_size 112
		.amdhsa_user_sgpr_count 2
		.amdhsa_user_sgpr_dispatch_ptr 0
		.amdhsa_user_sgpr_queue_ptr 0
		.amdhsa_user_sgpr_kernarg_segment_ptr 1
		.amdhsa_user_sgpr_dispatch_id 0
		.amdhsa_user_sgpr_kernarg_preload_length 0
		.amdhsa_user_sgpr_kernarg_preload_offset 0
		.amdhsa_user_sgpr_private_segment_size 0
		.amdhsa_wavefront_size32 1
		.amdhsa_uses_dynamic_stack 0
		.amdhsa_enable_private_segment 0
		.amdhsa_system_sgpr_workgroup_id_x 1
		.amdhsa_system_sgpr_workgroup_id_y 0
		.amdhsa_system_sgpr_workgroup_id_z 0
		.amdhsa_system_sgpr_workgroup_info 0
		.amdhsa_system_vgpr_workitem_id 0
		.amdhsa_next_free_vgpr 1
		.amdhsa_next_free_sgpr 1
		.amdhsa_named_barrier_count 0
		.amdhsa_reserve_vcc 0
		.amdhsa_float_round_mode_32 0
		.amdhsa_float_round_mode_16_64 0
		.amdhsa_float_denorm_mode_32 3
		.amdhsa_float_denorm_mode_16_64 3
		.amdhsa_fp16_overflow 0
		.amdhsa_memory_ordered 1
		.amdhsa_forward_progress 1
		.amdhsa_inst_pref_size 0
		.amdhsa_round_robin_scheduling 0
		.amdhsa_exception_fp_ieee_invalid_op 0
		.amdhsa_exception_fp_denorm_src 0
		.amdhsa_exception_fp_ieee_div_zero 0
		.amdhsa_exception_fp_ieee_overflow 0
		.amdhsa_exception_fp_ieee_underflow 0
		.amdhsa_exception_fp_ieee_inexact 0
		.amdhsa_exception_int_div_zero 0
	.end_amdhsa_kernel
	.section	.text._ZN7rocprim17ROCPRIM_400000_NS6detail17trampoline_kernelINS0_14default_configENS1_27scan_by_key_config_selectorIiiEEZZNS1_16scan_by_key_implILNS1_25lookback_scan_determinismE0ELb0ES3_N6thrust23THRUST_200600_302600_NS6detail15normal_iteratorINS9_10device_ptrIiEEEESE_SE_iNS9_4plusIiEE19head_flag_predicateiEE10hipError_tPvRmT2_T3_T4_T5_mT6_T7_P12ihipStream_tbENKUlT_T0_E_clISt17integral_constantIbLb0EESY_EEDaST_SU_EUlST_E_NS1_11comp_targetILNS1_3genE5ELNS1_11target_archE942ELNS1_3gpuE9ELNS1_3repE0EEENS1_30default_config_static_selectorELNS0_4arch9wavefront6targetE0EEEvT1_,"axG",@progbits,_ZN7rocprim17ROCPRIM_400000_NS6detail17trampoline_kernelINS0_14default_configENS1_27scan_by_key_config_selectorIiiEEZZNS1_16scan_by_key_implILNS1_25lookback_scan_determinismE0ELb0ES3_N6thrust23THRUST_200600_302600_NS6detail15normal_iteratorINS9_10device_ptrIiEEEESE_SE_iNS9_4plusIiEE19head_flag_predicateiEE10hipError_tPvRmT2_T3_T4_T5_mT6_T7_P12ihipStream_tbENKUlT_T0_E_clISt17integral_constantIbLb0EESY_EEDaST_SU_EUlST_E_NS1_11comp_targetILNS1_3genE5ELNS1_11target_archE942ELNS1_3gpuE9ELNS1_3repE0EEENS1_30default_config_static_selectorELNS0_4arch9wavefront6targetE0EEEvT1_,comdat
.Lfunc_end751:
	.size	_ZN7rocprim17ROCPRIM_400000_NS6detail17trampoline_kernelINS0_14default_configENS1_27scan_by_key_config_selectorIiiEEZZNS1_16scan_by_key_implILNS1_25lookback_scan_determinismE0ELb0ES3_N6thrust23THRUST_200600_302600_NS6detail15normal_iteratorINS9_10device_ptrIiEEEESE_SE_iNS9_4plusIiEE19head_flag_predicateiEE10hipError_tPvRmT2_T3_T4_T5_mT6_T7_P12ihipStream_tbENKUlT_T0_E_clISt17integral_constantIbLb0EESY_EEDaST_SU_EUlST_E_NS1_11comp_targetILNS1_3genE5ELNS1_11target_archE942ELNS1_3gpuE9ELNS1_3repE0EEENS1_30default_config_static_selectorELNS0_4arch9wavefront6targetE0EEEvT1_, .Lfunc_end751-_ZN7rocprim17ROCPRIM_400000_NS6detail17trampoline_kernelINS0_14default_configENS1_27scan_by_key_config_selectorIiiEEZZNS1_16scan_by_key_implILNS1_25lookback_scan_determinismE0ELb0ES3_N6thrust23THRUST_200600_302600_NS6detail15normal_iteratorINS9_10device_ptrIiEEEESE_SE_iNS9_4plusIiEE19head_flag_predicateiEE10hipError_tPvRmT2_T3_T4_T5_mT6_T7_P12ihipStream_tbENKUlT_T0_E_clISt17integral_constantIbLb0EESY_EEDaST_SU_EUlST_E_NS1_11comp_targetILNS1_3genE5ELNS1_11target_archE942ELNS1_3gpuE9ELNS1_3repE0EEENS1_30default_config_static_selectorELNS0_4arch9wavefront6targetE0EEEvT1_
                                        ; -- End function
	.set _ZN7rocprim17ROCPRIM_400000_NS6detail17trampoline_kernelINS0_14default_configENS1_27scan_by_key_config_selectorIiiEEZZNS1_16scan_by_key_implILNS1_25lookback_scan_determinismE0ELb0ES3_N6thrust23THRUST_200600_302600_NS6detail15normal_iteratorINS9_10device_ptrIiEEEESE_SE_iNS9_4plusIiEE19head_flag_predicateiEE10hipError_tPvRmT2_T3_T4_T5_mT6_T7_P12ihipStream_tbENKUlT_T0_E_clISt17integral_constantIbLb0EESY_EEDaST_SU_EUlST_E_NS1_11comp_targetILNS1_3genE5ELNS1_11target_archE942ELNS1_3gpuE9ELNS1_3repE0EEENS1_30default_config_static_selectorELNS0_4arch9wavefront6targetE0EEEvT1_.num_vgpr, 0
	.set _ZN7rocprim17ROCPRIM_400000_NS6detail17trampoline_kernelINS0_14default_configENS1_27scan_by_key_config_selectorIiiEEZZNS1_16scan_by_key_implILNS1_25lookback_scan_determinismE0ELb0ES3_N6thrust23THRUST_200600_302600_NS6detail15normal_iteratorINS9_10device_ptrIiEEEESE_SE_iNS9_4plusIiEE19head_flag_predicateiEE10hipError_tPvRmT2_T3_T4_T5_mT6_T7_P12ihipStream_tbENKUlT_T0_E_clISt17integral_constantIbLb0EESY_EEDaST_SU_EUlST_E_NS1_11comp_targetILNS1_3genE5ELNS1_11target_archE942ELNS1_3gpuE9ELNS1_3repE0EEENS1_30default_config_static_selectorELNS0_4arch9wavefront6targetE0EEEvT1_.num_agpr, 0
	.set _ZN7rocprim17ROCPRIM_400000_NS6detail17trampoline_kernelINS0_14default_configENS1_27scan_by_key_config_selectorIiiEEZZNS1_16scan_by_key_implILNS1_25lookback_scan_determinismE0ELb0ES3_N6thrust23THRUST_200600_302600_NS6detail15normal_iteratorINS9_10device_ptrIiEEEESE_SE_iNS9_4plusIiEE19head_flag_predicateiEE10hipError_tPvRmT2_T3_T4_T5_mT6_T7_P12ihipStream_tbENKUlT_T0_E_clISt17integral_constantIbLb0EESY_EEDaST_SU_EUlST_E_NS1_11comp_targetILNS1_3genE5ELNS1_11target_archE942ELNS1_3gpuE9ELNS1_3repE0EEENS1_30default_config_static_selectorELNS0_4arch9wavefront6targetE0EEEvT1_.numbered_sgpr, 0
	.set _ZN7rocprim17ROCPRIM_400000_NS6detail17trampoline_kernelINS0_14default_configENS1_27scan_by_key_config_selectorIiiEEZZNS1_16scan_by_key_implILNS1_25lookback_scan_determinismE0ELb0ES3_N6thrust23THRUST_200600_302600_NS6detail15normal_iteratorINS9_10device_ptrIiEEEESE_SE_iNS9_4plusIiEE19head_flag_predicateiEE10hipError_tPvRmT2_T3_T4_T5_mT6_T7_P12ihipStream_tbENKUlT_T0_E_clISt17integral_constantIbLb0EESY_EEDaST_SU_EUlST_E_NS1_11comp_targetILNS1_3genE5ELNS1_11target_archE942ELNS1_3gpuE9ELNS1_3repE0EEENS1_30default_config_static_selectorELNS0_4arch9wavefront6targetE0EEEvT1_.num_named_barrier, 0
	.set _ZN7rocprim17ROCPRIM_400000_NS6detail17trampoline_kernelINS0_14default_configENS1_27scan_by_key_config_selectorIiiEEZZNS1_16scan_by_key_implILNS1_25lookback_scan_determinismE0ELb0ES3_N6thrust23THRUST_200600_302600_NS6detail15normal_iteratorINS9_10device_ptrIiEEEESE_SE_iNS9_4plusIiEE19head_flag_predicateiEE10hipError_tPvRmT2_T3_T4_T5_mT6_T7_P12ihipStream_tbENKUlT_T0_E_clISt17integral_constantIbLb0EESY_EEDaST_SU_EUlST_E_NS1_11comp_targetILNS1_3genE5ELNS1_11target_archE942ELNS1_3gpuE9ELNS1_3repE0EEENS1_30default_config_static_selectorELNS0_4arch9wavefront6targetE0EEEvT1_.private_seg_size, 0
	.set _ZN7rocprim17ROCPRIM_400000_NS6detail17trampoline_kernelINS0_14default_configENS1_27scan_by_key_config_selectorIiiEEZZNS1_16scan_by_key_implILNS1_25lookback_scan_determinismE0ELb0ES3_N6thrust23THRUST_200600_302600_NS6detail15normal_iteratorINS9_10device_ptrIiEEEESE_SE_iNS9_4plusIiEE19head_flag_predicateiEE10hipError_tPvRmT2_T3_T4_T5_mT6_T7_P12ihipStream_tbENKUlT_T0_E_clISt17integral_constantIbLb0EESY_EEDaST_SU_EUlST_E_NS1_11comp_targetILNS1_3genE5ELNS1_11target_archE942ELNS1_3gpuE9ELNS1_3repE0EEENS1_30default_config_static_selectorELNS0_4arch9wavefront6targetE0EEEvT1_.uses_vcc, 0
	.set _ZN7rocprim17ROCPRIM_400000_NS6detail17trampoline_kernelINS0_14default_configENS1_27scan_by_key_config_selectorIiiEEZZNS1_16scan_by_key_implILNS1_25lookback_scan_determinismE0ELb0ES3_N6thrust23THRUST_200600_302600_NS6detail15normal_iteratorINS9_10device_ptrIiEEEESE_SE_iNS9_4plusIiEE19head_flag_predicateiEE10hipError_tPvRmT2_T3_T4_T5_mT6_T7_P12ihipStream_tbENKUlT_T0_E_clISt17integral_constantIbLb0EESY_EEDaST_SU_EUlST_E_NS1_11comp_targetILNS1_3genE5ELNS1_11target_archE942ELNS1_3gpuE9ELNS1_3repE0EEENS1_30default_config_static_selectorELNS0_4arch9wavefront6targetE0EEEvT1_.uses_flat_scratch, 0
	.set _ZN7rocprim17ROCPRIM_400000_NS6detail17trampoline_kernelINS0_14default_configENS1_27scan_by_key_config_selectorIiiEEZZNS1_16scan_by_key_implILNS1_25lookback_scan_determinismE0ELb0ES3_N6thrust23THRUST_200600_302600_NS6detail15normal_iteratorINS9_10device_ptrIiEEEESE_SE_iNS9_4plusIiEE19head_flag_predicateiEE10hipError_tPvRmT2_T3_T4_T5_mT6_T7_P12ihipStream_tbENKUlT_T0_E_clISt17integral_constantIbLb0EESY_EEDaST_SU_EUlST_E_NS1_11comp_targetILNS1_3genE5ELNS1_11target_archE942ELNS1_3gpuE9ELNS1_3repE0EEENS1_30default_config_static_selectorELNS0_4arch9wavefront6targetE0EEEvT1_.has_dyn_sized_stack, 0
	.set _ZN7rocprim17ROCPRIM_400000_NS6detail17trampoline_kernelINS0_14default_configENS1_27scan_by_key_config_selectorIiiEEZZNS1_16scan_by_key_implILNS1_25lookback_scan_determinismE0ELb0ES3_N6thrust23THRUST_200600_302600_NS6detail15normal_iteratorINS9_10device_ptrIiEEEESE_SE_iNS9_4plusIiEE19head_flag_predicateiEE10hipError_tPvRmT2_T3_T4_T5_mT6_T7_P12ihipStream_tbENKUlT_T0_E_clISt17integral_constantIbLb0EESY_EEDaST_SU_EUlST_E_NS1_11comp_targetILNS1_3genE5ELNS1_11target_archE942ELNS1_3gpuE9ELNS1_3repE0EEENS1_30default_config_static_selectorELNS0_4arch9wavefront6targetE0EEEvT1_.has_recursion, 0
	.set _ZN7rocprim17ROCPRIM_400000_NS6detail17trampoline_kernelINS0_14default_configENS1_27scan_by_key_config_selectorIiiEEZZNS1_16scan_by_key_implILNS1_25lookback_scan_determinismE0ELb0ES3_N6thrust23THRUST_200600_302600_NS6detail15normal_iteratorINS9_10device_ptrIiEEEESE_SE_iNS9_4plusIiEE19head_flag_predicateiEE10hipError_tPvRmT2_T3_T4_T5_mT6_T7_P12ihipStream_tbENKUlT_T0_E_clISt17integral_constantIbLb0EESY_EEDaST_SU_EUlST_E_NS1_11comp_targetILNS1_3genE5ELNS1_11target_archE942ELNS1_3gpuE9ELNS1_3repE0EEENS1_30default_config_static_selectorELNS0_4arch9wavefront6targetE0EEEvT1_.has_indirect_call, 0
	.section	.AMDGPU.csdata,"",@progbits
; Kernel info:
; codeLenInByte = 0
; TotalNumSgprs: 0
; NumVgprs: 0
; ScratchSize: 0
; MemoryBound: 0
; FloatMode: 240
; IeeeMode: 1
; LDSByteSize: 0 bytes/workgroup (compile time only)
; SGPRBlocks: 0
; VGPRBlocks: 0
; NumSGPRsForWavesPerEU: 1
; NumVGPRsForWavesPerEU: 1
; NamedBarCnt: 0
; Occupancy: 16
; WaveLimiterHint : 0
; COMPUTE_PGM_RSRC2:SCRATCH_EN: 0
; COMPUTE_PGM_RSRC2:USER_SGPR: 2
; COMPUTE_PGM_RSRC2:TRAP_HANDLER: 0
; COMPUTE_PGM_RSRC2:TGID_X_EN: 1
; COMPUTE_PGM_RSRC2:TGID_Y_EN: 0
; COMPUTE_PGM_RSRC2:TGID_Z_EN: 0
; COMPUTE_PGM_RSRC2:TIDIG_COMP_CNT: 0
	.section	.text._ZN7rocprim17ROCPRIM_400000_NS6detail17trampoline_kernelINS0_14default_configENS1_27scan_by_key_config_selectorIiiEEZZNS1_16scan_by_key_implILNS1_25lookback_scan_determinismE0ELb0ES3_N6thrust23THRUST_200600_302600_NS6detail15normal_iteratorINS9_10device_ptrIiEEEESE_SE_iNS9_4plusIiEE19head_flag_predicateiEE10hipError_tPvRmT2_T3_T4_T5_mT6_T7_P12ihipStream_tbENKUlT_T0_E_clISt17integral_constantIbLb0EESY_EEDaST_SU_EUlST_E_NS1_11comp_targetILNS1_3genE4ELNS1_11target_archE910ELNS1_3gpuE8ELNS1_3repE0EEENS1_30default_config_static_selectorELNS0_4arch9wavefront6targetE0EEEvT1_,"axG",@progbits,_ZN7rocprim17ROCPRIM_400000_NS6detail17trampoline_kernelINS0_14default_configENS1_27scan_by_key_config_selectorIiiEEZZNS1_16scan_by_key_implILNS1_25lookback_scan_determinismE0ELb0ES3_N6thrust23THRUST_200600_302600_NS6detail15normal_iteratorINS9_10device_ptrIiEEEESE_SE_iNS9_4plusIiEE19head_flag_predicateiEE10hipError_tPvRmT2_T3_T4_T5_mT6_T7_P12ihipStream_tbENKUlT_T0_E_clISt17integral_constantIbLb0EESY_EEDaST_SU_EUlST_E_NS1_11comp_targetILNS1_3genE4ELNS1_11target_archE910ELNS1_3gpuE8ELNS1_3repE0EEENS1_30default_config_static_selectorELNS0_4arch9wavefront6targetE0EEEvT1_,comdat
	.protected	_ZN7rocprim17ROCPRIM_400000_NS6detail17trampoline_kernelINS0_14default_configENS1_27scan_by_key_config_selectorIiiEEZZNS1_16scan_by_key_implILNS1_25lookback_scan_determinismE0ELb0ES3_N6thrust23THRUST_200600_302600_NS6detail15normal_iteratorINS9_10device_ptrIiEEEESE_SE_iNS9_4plusIiEE19head_flag_predicateiEE10hipError_tPvRmT2_T3_T4_T5_mT6_T7_P12ihipStream_tbENKUlT_T0_E_clISt17integral_constantIbLb0EESY_EEDaST_SU_EUlST_E_NS1_11comp_targetILNS1_3genE4ELNS1_11target_archE910ELNS1_3gpuE8ELNS1_3repE0EEENS1_30default_config_static_selectorELNS0_4arch9wavefront6targetE0EEEvT1_ ; -- Begin function _ZN7rocprim17ROCPRIM_400000_NS6detail17trampoline_kernelINS0_14default_configENS1_27scan_by_key_config_selectorIiiEEZZNS1_16scan_by_key_implILNS1_25lookback_scan_determinismE0ELb0ES3_N6thrust23THRUST_200600_302600_NS6detail15normal_iteratorINS9_10device_ptrIiEEEESE_SE_iNS9_4plusIiEE19head_flag_predicateiEE10hipError_tPvRmT2_T3_T4_T5_mT6_T7_P12ihipStream_tbENKUlT_T0_E_clISt17integral_constantIbLb0EESY_EEDaST_SU_EUlST_E_NS1_11comp_targetILNS1_3genE4ELNS1_11target_archE910ELNS1_3gpuE8ELNS1_3repE0EEENS1_30default_config_static_selectorELNS0_4arch9wavefront6targetE0EEEvT1_
	.globl	_ZN7rocprim17ROCPRIM_400000_NS6detail17trampoline_kernelINS0_14default_configENS1_27scan_by_key_config_selectorIiiEEZZNS1_16scan_by_key_implILNS1_25lookback_scan_determinismE0ELb0ES3_N6thrust23THRUST_200600_302600_NS6detail15normal_iteratorINS9_10device_ptrIiEEEESE_SE_iNS9_4plusIiEE19head_flag_predicateiEE10hipError_tPvRmT2_T3_T4_T5_mT6_T7_P12ihipStream_tbENKUlT_T0_E_clISt17integral_constantIbLb0EESY_EEDaST_SU_EUlST_E_NS1_11comp_targetILNS1_3genE4ELNS1_11target_archE910ELNS1_3gpuE8ELNS1_3repE0EEENS1_30default_config_static_selectorELNS0_4arch9wavefront6targetE0EEEvT1_
	.p2align	8
	.type	_ZN7rocprim17ROCPRIM_400000_NS6detail17trampoline_kernelINS0_14default_configENS1_27scan_by_key_config_selectorIiiEEZZNS1_16scan_by_key_implILNS1_25lookback_scan_determinismE0ELb0ES3_N6thrust23THRUST_200600_302600_NS6detail15normal_iteratorINS9_10device_ptrIiEEEESE_SE_iNS9_4plusIiEE19head_flag_predicateiEE10hipError_tPvRmT2_T3_T4_T5_mT6_T7_P12ihipStream_tbENKUlT_T0_E_clISt17integral_constantIbLb0EESY_EEDaST_SU_EUlST_E_NS1_11comp_targetILNS1_3genE4ELNS1_11target_archE910ELNS1_3gpuE8ELNS1_3repE0EEENS1_30default_config_static_selectorELNS0_4arch9wavefront6targetE0EEEvT1_,@function
_ZN7rocprim17ROCPRIM_400000_NS6detail17trampoline_kernelINS0_14default_configENS1_27scan_by_key_config_selectorIiiEEZZNS1_16scan_by_key_implILNS1_25lookback_scan_determinismE0ELb0ES3_N6thrust23THRUST_200600_302600_NS6detail15normal_iteratorINS9_10device_ptrIiEEEESE_SE_iNS9_4plusIiEE19head_flag_predicateiEE10hipError_tPvRmT2_T3_T4_T5_mT6_T7_P12ihipStream_tbENKUlT_T0_E_clISt17integral_constantIbLb0EESY_EEDaST_SU_EUlST_E_NS1_11comp_targetILNS1_3genE4ELNS1_11target_archE910ELNS1_3gpuE8ELNS1_3repE0EEENS1_30default_config_static_selectorELNS0_4arch9wavefront6targetE0EEEvT1_: ; @_ZN7rocprim17ROCPRIM_400000_NS6detail17trampoline_kernelINS0_14default_configENS1_27scan_by_key_config_selectorIiiEEZZNS1_16scan_by_key_implILNS1_25lookback_scan_determinismE0ELb0ES3_N6thrust23THRUST_200600_302600_NS6detail15normal_iteratorINS9_10device_ptrIiEEEESE_SE_iNS9_4plusIiEE19head_flag_predicateiEE10hipError_tPvRmT2_T3_T4_T5_mT6_T7_P12ihipStream_tbENKUlT_T0_E_clISt17integral_constantIbLb0EESY_EEDaST_SU_EUlST_E_NS1_11comp_targetILNS1_3genE4ELNS1_11target_archE910ELNS1_3gpuE8ELNS1_3repE0EEENS1_30default_config_static_selectorELNS0_4arch9wavefront6targetE0EEEvT1_
; %bb.0:
	.section	.rodata,"a",@progbits
	.p2align	6, 0x0
	.amdhsa_kernel _ZN7rocprim17ROCPRIM_400000_NS6detail17trampoline_kernelINS0_14default_configENS1_27scan_by_key_config_selectorIiiEEZZNS1_16scan_by_key_implILNS1_25lookback_scan_determinismE0ELb0ES3_N6thrust23THRUST_200600_302600_NS6detail15normal_iteratorINS9_10device_ptrIiEEEESE_SE_iNS9_4plusIiEE19head_flag_predicateiEE10hipError_tPvRmT2_T3_T4_T5_mT6_T7_P12ihipStream_tbENKUlT_T0_E_clISt17integral_constantIbLb0EESY_EEDaST_SU_EUlST_E_NS1_11comp_targetILNS1_3genE4ELNS1_11target_archE910ELNS1_3gpuE8ELNS1_3repE0EEENS1_30default_config_static_selectorELNS0_4arch9wavefront6targetE0EEEvT1_
		.amdhsa_group_segment_fixed_size 0
		.amdhsa_private_segment_fixed_size 0
		.amdhsa_kernarg_size 112
		.amdhsa_user_sgpr_count 2
		.amdhsa_user_sgpr_dispatch_ptr 0
		.amdhsa_user_sgpr_queue_ptr 0
		.amdhsa_user_sgpr_kernarg_segment_ptr 1
		.amdhsa_user_sgpr_dispatch_id 0
		.amdhsa_user_sgpr_kernarg_preload_length 0
		.amdhsa_user_sgpr_kernarg_preload_offset 0
		.amdhsa_user_sgpr_private_segment_size 0
		.amdhsa_wavefront_size32 1
		.amdhsa_uses_dynamic_stack 0
		.amdhsa_enable_private_segment 0
		.amdhsa_system_sgpr_workgroup_id_x 1
		.amdhsa_system_sgpr_workgroup_id_y 0
		.amdhsa_system_sgpr_workgroup_id_z 0
		.amdhsa_system_sgpr_workgroup_info 0
		.amdhsa_system_vgpr_workitem_id 0
		.amdhsa_next_free_vgpr 1
		.amdhsa_next_free_sgpr 1
		.amdhsa_named_barrier_count 0
		.amdhsa_reserve_vcc 0
		.amdhsa_float_round_mode_32 0
		.amdhsa_float_round_mode_16_64 0
		.amdhsa_float_denorm_mode_32 3
		.amdhsa_float_denorm_mode_16_64 3
		.amdhsa_fp16_overflow 0
		.amdhsa_memory_ordered 1
		.amdhsa_forward_progress 1
		.amdhsa_inst_pref_size 0
		.amdhsa_round_robin_scheduling 0
		.amdhsa_exception_fp_ieee_invalid_op 0
		.amdhsa_exception_fp_denorm_src 0
		.amdhsa_exception_fp_ieee_div_zero 0
		.amdhsa_exception_fp_ieee_overflow 0
		.amdhsa_exception_fp_ieee_underflow 0
		.amdhsa_exception_fp_ieee_inexact 0
		.amdhsa_exception_int_div_zero 0
	.end_amdhsa_kernel
	.section	.text._ZN7rocprim17ROCPRIM_400000_NS6detail17trampoline_kernelINS0_14default_configENS1_27scan_by_key_config_selectorIiiEEZZNS1_16scan_by_key_implILNS1_25lookback_scan_determinismE0ELb0ES3_N6thrust23THRUST_200600_302600_NS6detail15normal_iteratorINS9_10device_ptrIiEEEESE_SE_iNS9_4plusIiEE19head_flag_predicateiEE10hipError_tPvRmT2_T3_T4_T5_mT6_T7_P12ihipStream_tbENKUlT_T0_E_clISt17integral_constantIbLb0EESY_EEDaST_SU_EUlST_E_NS1_11comp_targetILNS1_3genE4ELNS1_11target_archE910ELNS1_3gpuE8ELNS1_3repE0EEENS1_30default_config_static_selectorELNS0_4arch9wavefront6targetE0EEEvT1_,"axG",@progbits,_ZN7rocprim17ROCPRIM_400000_NS6detail17trampoline_kernelINS0_14default_configENS1_27scan_by_key_config_selectorIiiEEZZNS1_16scan_by_key_implILNS1_25lookback_scan_determinismE0ELb0ES3_N6thrust23THRUST_200600_302600_NS6detail15normal_iteratorINS9_10device_ptrIiEEEESE_SE_iNS9_4plusIiEE19head_flag_predicateiEE10hipError_tPvRmT2_T3_T4_T5_mT6_T7_P12ihipStream_tbENKUlT_T0_E_clISt17integral_constantIbLb0EESY_EEDaST_SU_EUlST_E_NS1_11comp_targetILNS1_3genE4ELNS1_11target_archE910ELNS1_3gpuE8ELNS1_3repE0EEENS1_30default_config_static_selectorELNS0_4arch9wavefront6targetE0EEEvT1_,comdat
.Lfunc_end752:
	.size	_ZN7rocprim17ROCPRIM_400000_NS6detail17trampoline_kernelINS0_14default_configENS1_27scan_by_key_config_selectorIiiEEZZNS1_16scan_by_key_implILNS1_25lookback_scan_determinismE0ELb0ES3_N6thrust23THRUST_200600_302600_NS6detail15normal_iteratorINS9_10device_ptrIiEEEESE_SE_iNS9_4plusIiEE19head_flag_predicateiEE10hipError_tPvRmT2_T3_T4_T5_mT6_T7_P12ihipStream_tbENKUlT_T0_E_clISt17integral_constantIbLb0EESY_EEDaST_SU_EUlST_E_NS1_11comp_targetILNS1_3genE4ELNS1_11target_archE910ELNS1_3gpuE8ELNS1_3repE0EEENS1_30default_config_static_selectorELNS0_4arch9wavefront6targetE0EEEvT1_, .Lfunc_end752-_ZN7rocprim17ROCPRIM_400000_NS6detail17trampoline_kernelINS0_14default_configENS1_27scan_by_key_config_selectorIiiEEZZNS1_16scan_by_key_implILNS1_25lookback_scan_determinismE0ELb0ES3_N6thrust23THRUST_200600_302600_NS6detail15normal_iteratorINS9_10device_ptrIiEEEESE_SE_iNS9_4plusIiEE19head_flag_predicateiEE10hipError_tPvRmT2_T3_T4_T5_mT6_T7_P12ihipStream_tbENKUlT_T0_E_clISt17integral_constantIbLb0EESY_EEDaST_SU_EUlST_E_NS1_11comp_targetILNS1_3genE4ELNS1_11target_archE910ELNS1_3gpuE8ELNS1_3repE0EEENS1_30default_config_static_selectorELNS0_4arch9wavefront6targetE0EEEvT1_
                                        ; -- End function
	.set _ZN7rocprim17ROCPRIM_400000_NS6detail17trampoline_kernelINS0_14default_configENS1_27scan_by_key_config_selectorIiiEEZZNS1_16scan_by_key_implILNS1_25lookback_scan_determinismE0ELb0ES3_N6thrust23THRUST_200600_302600_NS6detail15normal_iteratorINS9_10device_ptrIiEEEESE_SE_iNS9_4plusIiEE19head_flag_predicateiEE10hipError_tPvRmT2_T3_T4_T5_mT6_T7_P12ihipStream_tbENKUlT_T0_E_clISt17integral_constantIbLb0EESY_EEDaST_SU_EUlST_E_NS1_11comp_targetILNS1_3genE4ELNS1_11target_archE910ELNS1_3gpuE8ELNS1_3repE0EEENS1_30default_config_static_selectorELNS0_4arch9wavefront6targetE0EEEvT1_.num_vgpr, 0
	.set _ZN7rocprim17ROCPRIM_400000_NS6detail17trampoline_kernelINS0_14default_configENS1_27scan_by_key_config_selectorIiiEEZZNS1_16scan_by_key_implILNS1_25lookback_scan_determinismE0ELb0ES3_N6thrust23THRUST_200600_302600_NS6detail15normal_iteratorINS9_10device_ptrIiEEEESE_SE_iNS9_4plusIiEE19head_flag_predicateiEE10hipError_tPvRmT2_T3_T4_T5_mT6_T7_P12ihipStream_tbENKUlT_T0_E_clISt17integral_constantIbLb0EESY_EEDaST_SU_EUlST_E_NS1_11comp_targetILNS1_3genE4ELNS1_11target_archE910ELNS1_3gpuE8ELNS1_3repE0EEENS1_30default_config_static_selectorELNS0_4arch9wavefront6targetE0EEEvT1_.num_agpr, 0
	.set _ZN7rocprim17ROCPRIM_400000_NS6detail17trampoline_kernelINS0_14default_configENS1_27scan_by_key_config_selectorIiiEEZZNS1_16scan_by_key_implILNS1_25lookback_scan_determinismE0ELb0ES3_N6thrust23THRUST_200600_302600_NS6detail15normal_iteratorINS9_10device_ptrIiEEEESE_SE_iNS9_4plusIiEE19head_flag_predicateiEE10hipError_tPvRmT2_T3_T4_T5_mT6_T7_P12ihipStream_tbENKUlT_T0_E_clISt17integral_constantIbLb0EESY_EEDaST_SU_EUlST_E_NS1_11comp_targetILNS1_3genE4ELNS1_11target_archE910ELNS1_3gpuE8ELNS1_3repE0EEENS1_30default_config_static_selectorELNS0_4arch9wavefront6targetE0EEEvT1_.numbered_sgpr, 0
	.set _ZN7rocprim17ROCPRIM_400000_NS6detail17trampoline_kernelINS0_14default_configENS1_27scan_by_key_config_selectorIiiEEZZNS1_16scan_by_key_implILNS1_25lookback_scan_determinismE0ELb0ES3_N6thrust23THRUST_200600_302600_NS6detail15normal_iteratorINS9_10device_ptrIiEEEESE_SE_iNS9_4plusIiEE19head_flag_predicateiEE10hipError_tPvRmT2_T3_T4_T5_mT6_T7_P12ihipStream_tbENKUlT_T0_E_clISt17integral_constantIbLb0EESY_EEDaST_SU_EUlST_E_NS1_11comp_targetILNS1_3genE4ELNS1_11target_archE910ELNS1_3gpuE8ELNS1_3repE0EEENS1_30default_config_static_selectorELNS0_4arch9wavefront6targetE0EEEvT1_.num_named_barrier, 0
	.set _ZN7rocprim17ROCPRIM_400000_NS6detail17trampoline_kernelINS0_14default_configENS1_27scan_by_key_config_selectorIiiEEZZNS1_16scan_by_key_implILNS1_25lookback_scan_determinismE0ELb0ES3_N6thrust23THRUST_200600_302600_NS6detail15normal_iteratorINS9_10device_ptrIiEEEESE_SE_iNS9_4plusIiEE19head_flag_predicateiEE10hipError_tPvRmT2_T3_T4_T5_mT6_T7_P12ihipStream_tbENKUlT_T0_E_clISt17integral_constantIbLb0EESY_EEDaST_SU_EUlST_E_NS1_11comp_targetILNS1_3genE4ELNS1_11target_archE910ELNS1_3gpuE8ELNS1_3repE0EEENS1_30default_config_static_selectorELNS0_4arch9wavefront6targetE0EEEvT1_.private_seg_size, 0
	.set _ZN7rocprim17ROCPRIM_400000_NS6detail17trampoline_kernelINS0_14default_configENS1_27scan_by_key_config_selectorIiiEEZZNS1_16scan_by_key_implILNS1_25lookback_scan_determinismE0ELb0ES3_N6thrust23THRUST_200600_302600_NS6detail15normal_iteratorINS9_10device_ptrIiEEEESE_SE_iNS9_4plusIiEE19head_flag_predicateiEE10hipError_tPvRmT2_T3_T4_T5_mT6_T7_P12ihipStream_tbENKUlT_T0_E_clISt17integral_constantIbLb0EESY_EEDaST_SU_EUlST_E_NS1_11comp_targetILNS1_3genE4ELNS1_11target_archE910ELNS1_3gpuE8ELNS1_3repE0EEENS1_30default_config_static_selectorELNS0_4arch9wavefront6targetE0EEEvT1_.uses_vcc, 0
	.set _ZN7rocprim17ROCPRIM_400000_NS6detail17trampoline_kernelINS0_14default_configENS1_27scan_by_key_config_selectorIiiEEZZNS1_16scan_by_key_implILNS1_25lookback_scan_determinismE0ELb0ES3_N6thrust23THRUST_200600_302600_NS6detail15normal_iteratorINS9_10device_ptrIiEEEESE_SE_iNS9_4plusIiEE19head_flag_predicateiEE10hipError_tPvRmT2_T3_T4_T5_mT6_T7_P12ihipStream_tbENKUlT_T0_E_clISt17integral_constantIbLb0EESY_EEDaST_SU_EUlST_E_NS1_11comp_targetILNS1_3genE4ELNS1_11target_archE910ELNS1_3gpuE8ELNS1_3repE0EEENS1_30default_config_static_selectorELNS0_4arch9wavefront6targetE0EEEvT1_.uses_flat_scratch, 0
	.set _ZN7rocprim17ROCPRIM_400000_NS6detail17trampoline_kernelINS0_14default_configENS1_27scan_by_key_config_selectorIiiEEZZNS1_16scan_by_key_implILNS1_25lookback_scan_determinismE0ELb0ES3_N6thrust23THRUST_200600_302600_NS6detail15normal_iteratorINS9_10device_ptrIiEEEESE_SE_iNS9_4plusIiEE19head_flag_predicateiEE10hipError_tPvRmT2_T3_T4_T5_mT6_T7_P12ihipStream_tbENKUlT_T0_E_clISt17integral_constantIbLb0EESY_EEDaST_SU_EUlST_E_NS1_11comp_targetILNS1_3genE4ELNS1_11target_archE910ELNS1_3gpuE8ELNS1_3repE0EEENS1_30default_config_static_selectorELNS0_4arch9wavefront6targetE0EEEvT1_.has_dyn_sized_stack, 0
	.set _ZN7rocprim17ROCPRIM_400000_NS6detail17trampoline_kernelINS0_14default_configENS1_27scan_by_key_config_selectorIiiEEZZNS1_16scan_by_key_implILNS1_25lookback_scan_determinismE0ELb0ES3_N6thrust23THRUST_200600_302600_NS6detail15normal_iteratorINS9_10device_ptrIiEEEESE_SE_iNS9_4plusIiEE19head_flag_predicateiEE10hipError_tPvRmT2_T3_T4_T5_mT6_T7_P12ihipStream_tbENKUlT_T0_E_clISt17integral_constantIbLb0EESY_EEDaST_SU_EUlST_E_NS1_11comp_targetILNS1_3genE4ELNS1_11target_archE910ELNS1_3gpuE8ELNS1_3repE0EEENS1_30default_config_static_selectorELNS0_4arch9wavefront6targetE0EEEvT1_.has_recursion, 0
	.set _ZN7rocprim17ROCPRIM_400000_NS6detail17trampoline_kernelINS0_14default_configENS1_27scan_by_key_config_selectorIiiEEZZNS1_16scan_by_key_implILNS1_25lookback_scan_determinismE0ELb0ES3_N6thrust23THRUST_200600_302600_NS6detail15normal_iteratorINS9_10device_ptrIiEEEESE_SE_iNS9_4plusIiEE19head_flag_predicateiEE10hipError_tPvRmT2_T3_T4_T5_mT6_T7_P12ihipStream_tbENKUlT_T0_E_clISt17integral_constantIbLb0EESY_EEDaST_SU_EUlST_E_NS1_11comp_targetILNS1_3genE4ELNS1_11target_archE910ELNS1_3gpuE8ELNS1_3repE0EEENS1_30default_config_static_selectorELNS0_4arch9wavefront6targetE0EEEvT1_.has_indirect_call, 0
	.section	.AMDGPU.csdata,"",@progbits
; Kernel info:
; codeLenInByte = 0
; TotalNumSgprs: 0
; NumVgprs: 0
; ScratchSize: 0
; MemoryBound: 0
; FloatMode: 240
; IeeeMode: 1
; LDSByteSize: 0 bytes/workgroup (compile time only)
; SGPRBlocks: 0
; VGPRBlocks: 0
; NumSGPRsForWavesPerEU: 1
; NumVGPRsForWavesPerEU: 1
; NamedBarCnt: 0
; Occupancy: 16
; WaveLimiterHint : 0
; COMPUTE_PGM_RSRC2:SCRATCH_EN: 0
; COMPUTE_PGM_RSRC2:USER_SGPR: 2
; COMPUTE_PGM_RSRC2:TRAP_HANDLER: 0
; COMPUTE_PGM_RSRC2:TGID_X_EN: 1
; COMPUTE_PGM_RSRC2:TGID_Y_EN: 0
; COMPUTE_PGM_RSRC2:TGID_Z_EN: 0
; COMPUTE_PGM_RSRC2:TIDIG_COMP_CNT: 0
	.section	.text._ZN7rocprim17ROCPRIM_400000_NS6detail17trampoline_kernelINS0_14default_configENS1_27scan_by_key_config_selectorIiiEEZZNS1_16scan_by_key_implILNS1_25lookback_scan_determinismE0ELb0ES3_N6thrust23THRUST_200600_302600_NS6detail15normal_iteratorINS9_10device_ptrIiEEEESE_SE_iNS9_4plusIiEE19head_flag_predicateiEE10hipError_tPvRmT2_T3_T4_T5_mT6_T7_P12ihipStream_tbENKUlT_T0_E_clISt17integral_constantIbLb0EESY_EEDaST_SU_EUlST_E_NS1_11comp_targetILNS1_3genE3ELNS1_11target_archE908ELNS1_3gpuE7ELNS1_3repE0EEENS1_30default_config_static_selectorELNS0_4arch9wavefront6targetE0EEEvT1_,"axG",@progbits,_ZN7rocprim17ROCPRIM_400000_NS6detail17trampoline_kernelINS0_14default_configENS1_27scan_by_key_config_selectorIiiEEZZNS1_16scan_by_key_implILNS1_25lookback_scan_determinismE0ELb0ES3_N6thrust23THRUST_200600_302600_NS6detail15normal_iteratorINS9_10device_ptrIiEEEESE_SE_iNS9_4plusIiEE19head_flag_predicateiEE10hipError_tPvRmT2_T3_T4_T5_mT6_T7_P12ihipStream_tbENKUlT_T0_E_clISt17integral_constantIbLb0EESY_EEDaST_SU_EUlST_E_NS1_11comp_targetILNS1_3genE3ELNS1_11target_archE908ELNS1_3gpuE7ELNS1_3repE0EEENS1_30default_config_static_selectorELNS0_4arch9wavefront6targetE0EEEvT1_,comdat
	.protected	_ZN7rocprim17ROCPRIM_400000_NS6detail17trampoline_kernelINS0_14default_configENS1_27scan_by_key_config_selectorIiiEEZZNS1_16scan_by_key_implILNS1_25lookback_scan_determinismE0ELb0ES3_N6thrust23THRUST_200600_302600_NS6detail15normal_iteratorINS9_10device_ptrIiEEEESE_SE_iNS9_4plusIiEE19head_flag_predicateiEE10hipError_tPvRmT2_T3_T4_T5_mT6_T7_P12ihipStream_tbENKUlT_T0_E_clISt17integral_constantIbLb0EESY_EEDaST_SU_EUlST_E_NS1_11comp_targetILNS1_3genE3ELNS1_11target_archE908ELNS1_3gpuE7ELNS1_3repE0EEENS1_30default_config_static_selectorELNS0_4arch9wavefront6targetE0EEEvT1_ ; -- Begin function _ZN7rocprim17ROCPRIM_400000_NS6detail17trampoline_kernelINS0_14default_configENS1_27scan_by_key_config_selectorIiiEEZZNS1_16scan_by_key_implILNS1_25lookback_scan_determinismE0ELb0ES3_N6thrust23THRUST_200600_302600_NS6detail15normal_iteratorINS9_10device_ptrIiEEEESE_SE_iNS9_4plusIiEE19head_flag_predicateiEE10hipError_tPvRmT2_T3_T4_T5_mT6_T7_P12ihipStream_tbENKUlT_T0_E_clISt17integral_constantIbLb0EESY_EEDaST_SU_EUlST_E_NS1_11comp_targetILNS1_3genE3ELNS1_11target_archE908ELNS1_3gpuE7ELNS1_3repE0EEENS1_30default_config_static_selectorELNS0_4arch9wavefront6targetE0EEEvT1_
	.globl	_ZN7rocprim17ROCPRIM_400000_NS6detail17trampoline_kernelINS0_14default_configENS1_27scan_by_key_config_selectorIiiEEZZNS1_16scan_by_key_implILNS1_25lookback_scan_determinismE0ELb0ES3_N6thrust23THRUST_200600_302600_NS6detail15normal_iteratorINS9_10device_ptrIiEEEESE_SE_iNS9_4plusIiEE19head_flag_predicateiEE10hipError_tPvRmT2_T3_T4_T5_mT6_T7_P12ihipStream_tbENKUlT_T0_E_clISt17integral_constantIbLb0EESY_EEDaST_SU_EUlST_E_NS1_11comp_targetILNS1_3genE3ELNS1_11target_archE908ELNS1_3gpuE7ELNS1_3repE0EEENS1_30default_config_static_selectorELNS0_4arch9wavefront6targetE0EEEvT1_
	.p2align	8
	.type	_ZN7rocprim17ROCPRIM_400000_NS6detail17trampoline_kernelINS0_14default_configENS1_27scan_by_key_config_selectorIiiEEZZNS1_16scan_by_key_implILNS1_25lookback_scan_determinismE0ELb0ES3_N6thrust23THRUST_200600_302600_NS6detail15normal_iteratorINS9_10device_ptrIiEEEESE_SE_iNS9_4plusIiEE19head_flag_predicateiEE10hipError_tPvRmT2_T3_T4_T5_mT6_T7_P12ihipStream_tbENKUlT_T0_E_clISt17integral_constantIbLb0EESY_EEDaST_SU_EUlST_E_NS1_11comp_targetILNS1_3genE3ELNS1_11target_archE908ELNS1_3gpuE7ELNS1_3repE0EEENS1_30default_config_static_selectorELNS0_4arch9wavefront6targetE0EEEvT1_,@function
_ZN7rocprim17ROCPRIM_400000_NS6detail17trampoline_kernelINS0_14default_configENS1_27scan_by_key_config_selectorIiiEEZZNS1_16scan_by_key_implILNS1_25lookback_scan_determinismE0ELb0ES3_N6thrust23THRUST_200600_302600_NS6detail15normal_iteratorINS9_10device_ptrIiEEEESE_SE_iNS9_4plusIiEE19head_flag_predicateiEE10hipError_tPvRmT2_T3_T4_T5_mT6_T7_P12ihipStream_tbENKUlT_T0_E_clISt17integral_constantIbLb0EESY_EEDaST_SU_EUlST_E_NS1_11comp_targetILNS1_3genE3ELNS1_11target_archE908ELNS1_3gpuE7ELNS1_3repE0EEENS1_30default_config_static_selectorELNS0_4arch9wavefront6targetE0EEEvT1_: ; @_ZN7rocprim17ROCPRIM_400000_NS6detail17trampoline_kernelINS0_14default_configENS1_27scan_by_key_config_selectorIiiEEZZNS1_16scan_by_key_implILNS1_25lookback_scan_determinismE0ELb0ES3_N6thrust23THRUST_200600_302600_NS6detail15normal_iteratorINS9_10device_ptrIiEEEESE_SE_iNS9_4plusIiEE19head_flag_predicateiEE10hipError_tPvRmT2_T3_T4_T5_mT6_T7_P12ihipStream_tbENKUlT_T0_E_clISt17integral_constantIbLb0EESY_EEDaST_SU_EUlST_E_NS1_11comp_targetILNS1_3genE3ELNS1_11target_archE908ELNS1_3gpuE7ELNS1_3repE0EEENS1_30default_config_static_selectorELNS0_4arch9wavefront6targetE0EEEvT1_
; %bb.0:
	.section	.rodata,"a",@progbits
	.p2align	6, 0x0
	.amdhsa_kernel _ZN7rocprim17ROCPRIM_400000_NS6detail17trampoline_kernelINS0_14default_configENS1_27scan_by_key_config_selectorIiiEEZZNS1_16scan_by_key_implILNS1_25lookback_scan_determinismE0ELb0ES3_N6thrust23THRUST_200600_302600_NS6detail15normal_iteratorINS9_10device_ptrIiEEEESE_SE_iNS9_4plusIiEE19head_flag_predicateiEE10hipError_tPvRmT2_T3_T4_T5_mT6_T7_P12ihipStream_tbENKUlT_T0_E_clISt17integral_constantIbLb0EESY_EEDaST_SU_EUlST_E_NS1_11comp_targetILNS1_3genE3ELNS1_11target_archE908ELNS1_3gpuE7ELNS1_3repE0EEENS1_30default_config_static_selectorELNS0_4arch9wavefront6targetE0EEEvT1_
		.amdhsa_group_segment_fixed_size 0
		.amdhsa_private_segment_fixed_size 0
		.amdhsa_kernarg_size 112
		.amdhsa_user_sgpr_count 2
		.amdhsa_user_sgpr_dispatch_ptr 0
		.amdhsa_user_sgpr_queue_ptr 0
		.amdhsa_user_sgpr_kernarg_segment_ptr 1
		.amdhsa_user_sgpr_dispatch_id 0
		.amdhsa_user_sgpr_kernarg_preload_length 0
		.amdhsa_user_sgpr_kernarg_preload_offset 0
		.amdhsa_user_sgpr_private_segment_size 0
		.amdhsa_wavefront_size32 1
		.amdhsa_uses_dynamic_stack 0
		.amdhsa_enable_private_segment 0
		.amdhsa_system_sgpr_workgroup_id_x 1
		.amdhsa_system_sgpr_workgroup_id_y 0
		.amdhsa_system_sgpr_workgroup_id_z 0
		.amdhsa_system_sgpr_workgroup_info 0
		.amdhsa_system_vgpr_workitem_id 0
		.amdhsa_next_free_vgpr 1
		.amdhsa_next_free_sgpr 1
		.amdhsa_named_barrier_count 0
		.amdhsa_reserve_vcc 0
		.amdhsa_float_round_mode_32 0
		.amdhsa_float_round_mode_16_64 0
		.amdhsa_float_denorm_mode_32 3
		.amdhsa_float_denorm_mode_16_64 3
		.amdhsa_fp16_overflow 0
		.amdhsa_memory_ordered 1
		.amdhsa_forward_progress 1
		.amdhsa_inst_pref_size 0
		.amdhsa_round_robin_scheduling 0
		.amdhsa_exception_fp_ieee_invalid_op 0
		.amdhsa_exception_fp_denorm_src 0
		.amdhsa_exception_fp_ieee_div_zero 0
		.amdhsa_exception_fp_ieee_overflow 0
		.amdhsa_exception_fp_ieee_underflow 0
		.amdhsa_exception_fp_ieee_inexact 0
		.amdhsa_exception_int_div_zero 0
	.end_amdhsa_kernel
	.section	.text._ZN7rocprim17ROCPRIM_400000_NS6detail17trampoline_kernelINS0_14default_configENS1_27scan_by_key_config_selectorIiiEEZZNS1_16scan_by_key_implILNS1_25lookback_scan_determinismE0ELb0ES3_N6thrust23THRUST_200600_302600_NS6detail15normal_iteratorINS9_10device_ptrIiEEEESE_SE_iNS9_4plusIiEE19head_flag_predicateiEE10hipError_tPvRmT2_T3_T4_T5_mT6_T7_P12ihipStream_tbENKUlT_T0_E_clISt17integral_constantIbLb0EESY_EEDaST_SU_EUlST_E_NS1_11comp_targetILNS1_3genE3ELNS1_11target_archE908ELNS1_3gpuE7ELNS1_3repE0EEENS1_30default_config_static_selectorELNS0_4arch9wavefront6targetE0EEEvT1_,"axG",@progbits,_ZN7rocprim17ROCPRIM_400000_NS6detail17trampoline_kernelINS0_14default_configENS1_27scan_by_key_config_selectorIiiEEZZNS1_16scan_by_key_implILNS1_25lookback_scan_determinismE0ELb0ES3_N6thrust23THRUST_200600_302600_NS6detail15normal_iteratorINS9_10device_ptrIiEEEESE_SE_iNS9_4plusIiEE19head_flag_predicateiEE10hipError_tPvRmT2_T3_T4_T5_mT6_T7_P12ihipStream_tbENKUlT_T0_E_clISt17integral_constantIbLb0EESY_EEDaST_SU_EUlST_E_NS1_11comp_targetILNS1_3genE3ELNS1_11target_archE908ELNS1_3gpuE7ELNS1_3repE0EEENS1_30default_config_static_selectorELNS0_4arch9wavefront6targetE0EEEvT1_,comdat
.Lfunc_end753:
	.size	_ZN7rocprim17ROCPRIM_400000_NS6detail17trampoline_kernelINS0_14default_configENS1_27scan_by_key_config_selectorIiiEEZZNS1_16scan_by_key_implILNS1_25lookback_scan_determinismE0ELb0ES3_N6thrust23THRUST_200600_302600_NS6detail15normal_iteratorINS9_10device_ptrIiEEEESE_SE_iNS9_4plusIiEE19head_flag_predicateiEE10hipError_tPvRmT2_T3_T4_T5_mT6_T7_P12ihipStream_tbENKUlT_T0_E_clISt17integral_constantIbLb0EESY_EEDaST_SU_EUlST_E_NS1_11comp_targetILNS1_3genE3ELNS1_11target_archE908ELNS1_3gpuE7ELNS1_3repE0EEENS1_30default_config_static_selectorELNS0_4arch9wavefront6targetE0EEEvT1_, .Lfunc_end753-_ZN7rocprim17ROCPRIM_400000_NS6detail17trampoline_kernelINS0_14default_configENS1_27scan_by_key_config_selectorIiiEEZZNS1_16scan_by_key_implILNS1_25lookback_scan_determinismE0ELb0ES3_N6thrust23THRUST_200600_302600_NS6detail15normal_iteratorINS9_10device_ptrIiEEEESE_SE_iNS9_4plusIiEE19head_flag_predicateiEE10hipError_tPvRmT2_T3_T4_T5_mT6_T7_P12ihipStream_tbENKUlT_T0_E_clISt17integral_constantIbLb0EESY_EEDaST_SU_EUlST_E_NS1_11comp_targetILNS1_3genE3ELNS1_11target_archE908ELNS1_3gpuE7ELNS1_3repE0EEENS1_30default_config_static_selectorELNS0_4arch9wavefront6targetE0EEEvT1_
                                        ; -- End function
	.set _ZN7rocprim17ROCPRIM_400000_NS6detail17trampoline_kernelINS0_14default_configENS1_27scan_by_key_config_selectorIiiEEZZNS1_16scan_by_key_implILNS1_25lookback_scan_determinismE0ELb0ES3_N6thrust23THRUST_200600_302600_NS6detail15normal_iteratorINS9_10device_ptrIiEEEESE_SE_iNS9_4plusIiEE19head_flag_predicateiEE10hipError_tPvRmT2_T3_T4_T5_mT6_T7_P12ihipStream_tbENKUlT_T0_E_clISt17integral_constantIbLb0EESY_EEDaST_SU_EUlST_E_NS1_11comp_targetILNS1_3genE3ELNS1_11target_archE908ELNS1_3gpuE7ELNS1_3repE0EEENS1_30default_config_static_selectorELNS0_4arch9wavefront6targetE0EEEvT1_.num_vgpr, 0
	.set _ZN7rocprim17ROCPRIM_400000_NS6detail17trampoline_kernelINS0_14default_configENS1_27scan_by_key_config_selectorIiiEEZZNS1_16scan_by_key_implILNS1_25lookback_scan_determinismE0ELb0ES3_N6thrust23THRUST_200600_302600_NS6detail15normal_iteratorINS9_10device_ptrIiEEEESE_SE_iNS9_4plusIiEE19head_flag_predicateiEE10hipError_tPvRmT2_T3_T4_T5_mT6_T7_P12ihipStream_tbENKUlT_T0_E_clISt17integral_constantIbLb0EESY_EEDaST_SU_EUlST_E_NS1_11comp_targetILNS1_3genE3ELNS1_11target_archE908ELNS1_3gpuE7ELNS1_3repE0EEENS1_30default_config_static_selectorELNS0_4arch9wavefront6targetE0EEEvT1_.num_agpr, 0
	.set _ZN7rocprim17ROCPRIM_400000_NS6detail17trampoline_kernelINS0_14default_configENS1_27scan_by_key_config_selectorIiiEEZZNS1_16scan_by_key_implILNS1_25lookback_scan_determinismE0ELb0ES3_N6thrust23THRUST_200600_302600_NS6detail15normal_iteratorINS9_10device_ptrIiEEEESE_SE_iNS9_4plusIiEE19head_flag_predicateiEE10hipError_tPvRmT2_T3_T4_T5_mT6_T7_P12ihipStream_tbENKUlT_T0_E_clISt17integral_constantIbLb0EESY_EEDaST_SU_EUlST_E_NS1_11comp_targetILNS1_3genE3ELNS1_11target_archE908ELNS1_3gpuE7ELNS1_3repE0EEENS1_30default_config_static_selectorELNS0_4arch9wavefront6targetE0EEEvT1_.numbered_sgpr, 0
	.set _ZN7rocprim17ROCPRIM_400000_NS6detail17trampoline_kernelINS0_14default_configENS1_27scan_by_key_config_selectorIiiEEZZNS1_16scan_by_key_implILNS1_25lookback_scan_determinismE0ELb0ES3_N6thrust23THRUST_200600_302600_NS6detail15normal_iteratorINS9_10device_ptrIiEEEESE_SE_iNS9_4plusIiEE19head_flag_predicateiEE10hipError_tPvRmT2_T3_T4_T5_mT6_T7_P12ihipStream_tbENKUlT_T0_E_clISt17integral_constantIbLb0EESY_EEDaST_SU_EUlST_E_NS1_11comp_targetILNS1_3genE3ELNS1_11target_archE908ELNS1_3gpuE7ELNS1_3repE0EEENS1_30default_config_static_selectorELNS0_4arch9wavefront6targetE0EEEvT1_.num_named_barrier, 0
	.set _ZN7rocprim17ROCPRIM_400000_NS6detail17trampoline_kernelINS0_14default_configENS1_27scan_by_key_config_selectorIiiEEZZNS1_16scan_by_key_implILNS1_25lookback_scan_determinismE0ELb0ES3_N6thrust23THRUST_200600_302600_NS6detail15normal_iteratorINS9_10device_ptrIiEEEESE_SE_iNS9_4plusIiEE19head_flag_predicateiEE10hipError_tPvRmT2_T3_T4_T5_mT6_T7_P12ihipStream_tbENKUlT_T0_E_clISt17integral_constantIbLb0EESY_EEDaST_SU_EUlST_E_NS1_11comp_targetILNS1_3genE3ELNS1_11target_archE908ELNS1_3gpuE7ELNS1_3repE0EEENS1_30default_config_static_selectorELNS0_4arch9wavefront6targetE0EEEvT1_.private_seg_size, 0
	.set _ZN7rocprim17ROCPRIM_400000_NS6detail17trampoline_kernelINS0_14default_configENS1_27scan_by_key_config_selectorIiiEEZZNS1_16scan_by_key_implILNS1_25lookback_scan_determinismE0ELb0ES3_N6thrust23THRUST_200600_302600_NS6detail15normal_iteratorINS9_10device_ptrIiEEEESE_SE_iNS9_4plusIiEE19head_flag_predicateiEE10hipError_tPvRmT2_T3_T4_T5_mT6_T7_P12ihipStream_tbENKUlT_T0_E_clISt17integral_constantIbLb0EESY_EEDaST_SU_EUlST_E_NS1_11comp_targetILNS1_3genE3ELNS1_11target_archE908ELNS1_3gpuE7ELNS1_3repE0EEENS1_30default_config_static_selectorELNS0_4arch9wavefront6targetE0EEEvT1_.uses_vcc, 0
	.set _ZN7rocprim17ROCPRIM_400000_NS6detail17trampoline_kernelINS0_14default_configENS1_27scan_by_key_config_selectorIiiEEZZNS1_16scan_by_key_implILNS1_25lookback_scan_determinismE0ELb0ES3_N6thrust23THRUST_200600_302600_NS6detail15normal_iteratorINS9_10device_ptrIiEEEESE_SE_iNS9_4plusIiEE19head_flag_predicateiEE10hipError_tPvRmT2_T3_T4_T5_mT6_T7_P12ihipStream_tbENKUlT_T0_E_clISt17integral_constantIbLb0EESY_EEDaST_SU_EUlST_E_NS1_11comp_targetILNS1_3genE3ELNS1_11target_archE908ELNS1_3gpuE7ELNS1_3repE0EEENS1_30default_config_static_selectorELNS0_4arch9wavefront6targetE0EEEvT1_.uses_flat_scratch, 0
	.set _ZN7rocprim17ROCPRIM_400000_NS6detail17trampoline_kernelINS0_14default_configENS1_27scan_by_key_config_selectorIiiEEZZNS1_16scan_by_key_implILNS1_25lookback_scan_determinismE0ELb0ES3_N6thrust23THRUST_200600_302600_NS6detail15normal_iteratorINS9_10device_ptrIiEEEESE_SE_iNS9_4plusIiEE19head_flag_predicateiEE10hipError_tPvRmT2_T3_T4_T5_mT6_T7_P12ihipStream_tbENKUlT_T0_E_clISt17integral_constantIbLb0EESY_EEDaST_SU_EUlST_E_NS1_11comp_targetILNS1_3genE3ELNS1_11target_archE908ELNS1_3gpuE7ELNS1_3repE0EEENS1_30default_config_static_selectorELNS0_4arch9wavefront6targetE0EEEvT1_.has_dyn_sized_stack, 0
	.set _ZN7rocprim17ROCPRIM_400000_NS6detail17trampoline_kernelINS0_14default_configENS1_27scan_by_key_config_selectorIiiEEZZNS1_16scan_by_key_implILNS1_25lookback_scan_determinismE0ELb0ES3_N6thrust23THRUST_200600_302600_NS6detail15normal_iteratorINS9_10device_ptrIiEEEESE_SE_iNS9_4plusIiEE19head_flag_predicateiEE10hipError_tPvRmT2_T3_T4_T5_mT6_T7_P12ihipStream_tbENKUlT_T0_E_clISt17integral_constantIbLb0EESY_EEDaST_SU_EUlST_E_NS1_11comp_targetILNS1_3genE3ELNS1_11target_archE908ELNS1_3gpuE7ELNS1_3repE0EEENS1_30default_config_static_selectorELNS0_4arch9wavefront6targetE0EEEvT1_.has_recursion, 0
	.set _ZN7rocprim17ROCPRIM_400000_NS6detail17trampoline_kernelINS0_14default_configENS1_27scan_by_key_config_selectorIiiEEZZNS1_16scan_by_key_implILNS1_25lookback_scan_determinismE0ELb0ES3_N6thrust23THRUST_200600_302600_NS6detail15normal_iteratorINS9_10device_ptrIiEEEESE_SE_iNS9_4plusIiEE19head_flag_predicateiEE10hipError_tPvRmT2_T3_T4_T5_mT6_T7_P12ihipStream_tbENKUlT_T0_E_clISt17integral_constantIbLb0EESY_EEDaST_SU_EUlST_E_NS1_11comp_targetILNS1_3genE3ELNS1_11target_archE908ELNS1_3gpuE7ELNS1_3repE0EEENS1_30default_config_static_selectorELNS0_4arch9wavefront6targetE0EEEvT1_.has_indirect_call, 0
	.section	.AMDGPU.csdata,"",@progbits
; Kernel info:
; codeLenInByte = 0
; TotalNumSgprs: 0
; NumVgprs: 0
; ScratchSize: 0
; MemoryBound: 0
; FloatMode: 240
; IeeeMode: 1
; LDSByteSize: 0 bytes/workgroup (compile time only)
; SGPRBlocks: 0
; VGPRBlocks: 0
; NumSGPRsForWavesPerEU: 1
; NumVGPRsForWavesPerEU: 1
; NamedBarCnt: 0
; Occupancy: 16
; WaveLimiterHint : 0
; COMPUTE_PGM_RSRC2:SCRATCH_EN: 0
; COMPUTE_PGM_RSRC2:USER_SGPR: 2
; COMPUTE_PGM_RSRC2:TRAP_HANDLER: 0
; COMPUTE_PGM_RSRC2:TGID_X_EN: 1
; COMPUTE_PGM_RSRC2:TGID_Y_EN: 0
; COMPUTE_PGM_RSRC2:TGID_Z_EN: 0
; COMPUTE_PGM_RSRC2:TIDIG_COMP_CNT: 0
	.section	.text._ZN7rocprim17ROCPRIM_400000_NS6detail17trampoline_kernelINS0_14default_configENS1_27scan_by_key_config_selectorIiiEEZZNS1_16scan_by_key_implILNS1_25lookback_scan_determinismE0ELb0ES3_N6thrust23THRUST_200600_302600_NS6detail15normal_iteratorINS9_10device_ptrIiEEEESE_SE_iNS9_4plusIiEE19head_flag_predicateiEE10hipError_tPvRmT2_T3_T4_T5_mT6_T7_P12ihipStream_tbENKUlT_T0_E_clISt17integral_constantIbLb0EESY_EEDaST_SU_EUlST_E_NS1_11comp_targetILNS1_3genE2ELNS1_11target_archE906ELNS1_3gpuE6ELNS1_3repE0EEENS1_30default_config_static_selectorELNS0_4arch9wavefront6targetE0EEEvT1_,"axG",@progbits,_ZN7rocprim17ROCPRIM_400000_NS6detail17trampoline_kernelINS0_14default_configENS1_27scan_by_key_config_selectorIiiEEZZNS1_16scan_by_key_implILNS1_25lookback_scan_determinismE0ELb0ES3_N6thrust23THRUST_200600_302600_NS6detail15normal_iteratorINS9_10device_ptrIiEEEESE_SE_iNS9_4plusIiEE19head_flag_predicateiEE10hipError_tPvRmT2_T3_T4_T5_mT6_T7_P12ihipStream_tbENKUlT_T0_E_clISt17integral_constantIbLb0EESY_EEDaST_SU_EUlST_E_NS1_11comp_targetILNS1_3genE2ELNS1_11target_archE906ELNS1_3gpuE6ELNS1_3repE0EEENS1_30default_config_static_selectorELNS0_4arch9wavefront6targetE0EEEvT1_,comdat
	.protected	_ZN7rocprim17ROCPRIM_400000_NS6detail17trampoline_kernelINS0_14default_configENS1_27scan_by_key_config_selectorIiiEEZZNS1_16scan_by_key_implILNS1_25lookback_scan_determinismE0ELb0ES3_N6thrust23THRUST_200600_302600_NS6detail15normal_iteratorINS9_10device_ptrIiEEEESE_SE_iNS9_4plusIiEE19head_flag_predicateiEE10hipError_tPvRmT2_T3_T4_T5_mT6_T7_P12ihipStream_tbENKUlT_T0_E_clISt17integral_constantIbLb0EESY_EEDaST_SU_EUlST_E_NS1_11comp_targetILNS1_3genE2ELNS1_11target_archE906ELNS1_3gpuE6ELNS1_3repE0EEENS1_30default_config_static_selectorELNS0_4arch9wavefront6targetE0EEEvT1_ ; -- Begin function _ZN7rocprim17ROCPRIM_400000_NS6detail17trampoline_kernelINS0_14default_configENS1_27scan_by_key_config_selectorIiiEEZZNS1_16scan_by_key_implILNS1_25lookback_scan_determinismE0ELb0ES3_N6thrust23THRUST_200600_302600_NS6detail15normal_iteratorINS9_10device_ptrIiEEEESE_SE_iNS9_4plusIiEE19head_flag_predicateiEE10hipError_tPvRmT2_T3_T4_T5_mT6_T7_P12ihipStream_tbENKUlT_T0_E_clISt17integral_constantIbLb0EESY_EEDaST_SU_EUlST_E_NS1_11comp_targetILNS1_3genE2ELNS1_11target_archE906ELNS1_3gpuE6ELNS1_3repE0EEENS1_30default_config_static_selectorELNS0_4arch9wavefront6targetE0EEEvT1_
	.globl	_ZN7rocprim17ROCPRIM_400000_NS6detail17trampoline_kernelINS0_14default_configENS1_27scan_by_key_config_selectorIiiEEZZNS1_16scan_by_key_implILNS1_25lookback_scan_determinismE0ELb0ES3_N6thrust23THRUST_200600_302600_NS6detail15normal_iteratorINS9_10device_ptrIiEEEESE_SE_iNS9_4plusIiEE19head_flag_predicateiEE10hipError_tPvRmT2_T3_T4_T5_mT6_T7_P12ihipStream_tbENKUlT_T0_E_clISt17integral_constantIbLb0EESY_EEDaST_SU_EUlST_E_NS1_11comp_targetILNS1_3genE2ELNS1_11target_archE906ELNS1_3gpuE6ELNS1_3repE0EEENS1_30default_config_static_selectorELNS0_4arch9wavefront6targetE0EEEvT1_
	.p2align	8
	.type	_ZN7rocprim17ROCPRIM_400000_NS6detail17trampoline_kernelINS0_14default_configENS1_27scan_by_key_config_selectorIiiEEZZNS1_16scan_by_key_implILNS1_25lookback_scan_determinismE0ELb0ES3_N6thrust23THRUST_200600_302600_NS6detail15normal_iteratorINS9_10device_ptrIiEEEESE_SE_iNS9_4plusIiEE19head_flag_predicateiEE10hipError_tPvRmT2_T3_T4_T5_mT6_T7_P12ihipStream_tbENKUlT_T0_E_clISt17integral_constantIbLb0EESY_EEDaST_SU_EUlST_E_NS1_11comp_targetILNS1_3genE2ELNS1_11target_archE906ELNS1_3gpuE6ELNS1_3repE0EEENS1_30default_config_static_selectorELNS0_4arch9wavefront6targetE0EEEvT1_,@function
_ZN7rocprim17ROCPRIM_400000_NS6detail17trampoline_kernelINS0_14default_configENS1_27scan_by_key_config_selectorIiiEEZZNS1_16scan_by_key_implILNS1_25lookback_scan_determinismE0ELb0ES3_N6thrust23THRUST_200600_302600_NS6detail15normal_iteratorINS9_10device_ptrIiEEEESE_SE_iNS9_4plusIiEE19head_flag_predicateiEE10hipError_tPvRmT2_T3_T4_T5_mT6_T7_P12ihipStream_tbENKUlT_T0_E_clISt17integral_constantIbLb0EESY_EEDaST_SU_EUlST_E_NS1_11comp_targetILNS1_3genE2ELNS1_11target_archE906ELNS1_3gpuE6ELNS1_3repE0EEENS1_30default_config_static_selectorELNS0_4arch9wavefront6targetE0EEEvT1_: ; @_ZN7rocprim17ROCPRIM_400000_NS6detail17trampoline_kernelINS0_14default_configENS1_27scan_by_key_config_selectorIiiEEZZNS1_16scan_by_key_implILNS1_25lookback_scan_determinismE0ELb0ES3_N6thrust23THRUST_200600_302600_NS6detail15normal_iteratorINS9_10device_ptrIiEEEESE_SE_iNS9_4plusIiEE19head_flag_predicateiEE10hipError_tPvRmT2_T3_T4_T5_mT6_T7_P12ihipStream_tbENKUlT_T0_E_clISt17integral_constantIbLb0EESY_EEDaST_SU_EUlST_E_NS1_11comp_targetILNS1_3genE2ELNS1_11target_archE906ELNS1_3gpuE6ELNS1_3repE0EEENS1_30default_config_static_selectorELNS0_4arch9wavefront6targetE0EEEvT1_
; %bb.0:
	.section	.rodata,"a",@progbits
	.p2align	6, 0x0
	.amdhsa_kernel _ZN7rocprim17ROCPRIM_400000_NS6detail17trampoline_kernelINS0_14default_configENS1_27scan_by_key_config_selectorIiiEEZZNS1_16scan_by_key_implILNS1_25lookback_scan_determinismE0ELb0ES3_N6thrust23THRUST_200600_302600_NS6detail15normal_iteratorINS9_10device_ptrIiEEEESE_SE_iNS9_4plusIiEE19head_flag_predicateiEE10hipError_tPvRmT2_T3_T4_T5_mT6_T7_P12ihipStream_tbENKUlT_T0_E_clISt17integral_constantIbLb0EESY_EEDaST_SU_EUlST_E_NS1_11comp_targetILNS1_3genE2ELNS1_11target_archE906ELNS1_3gpuE6ELNS1_3repE0EEENS1_30default_config_static_selectorELNS0_4arch9wavefront6targetE0EEEvT1_
		.amdhsa_group_segment_fixed_size 0
		.amdhsa_private_segment_fixed_size 0
		.amdhsa_kernarg_size 112
		.amdhsa_user_sgpr_count 2
		.amdhsa_user_sgpr_dispatch_ptr 0
		.amdhsa_user_sgpr_queue_ptr 0
		.amdhsa_user_sgpr_kernarg_segment_ptr 1
		.amdhsa_user_sgpr_dispatch_id 0
		.amdhsa_user_sgpr_kernarg_preload_length 0
		.amdhsa_user_sgpr_kernarg_preload_offset 0
		.amdhsa_user_sgpr_private_segment_size 0
		.amdhsa_wavefront_size32 1
		.amdhsa_uses_dynamic_stack 0
		.amdhsa_enable_private_segment 0
		.amdhsa_system_sgpr_workgroup_id_x 1
		.amdhsa_system_sgpr_workgroup_id_y 0
		.amdhsa_system_sgpr_workgroup_id_z 0
		.amdhsa_system_sgpr_workgroup_info 0
		.amdhsa_system_vgpr_workitem_id 0
		.amdhsa_next_free_vgpr 1
		.amdhsa_next_free_sgpr 1
		.amdhsa_named_barrier_count 0
		.amdhsa_reserve_vcc 0
		.amdhsa_float_round_mode_32 0
		.amdhsa_float_round_mode_16_64 0
		.amdhsa_float_denorm_mode_32 3
		.amdhsa_float_denorm_mode_16_64 3
		.amdhsa_fp16_overflow 0
		.amdhsa_memory_ordered 1
		.amdhsa_forward_progress 1
		.amdhsa_inst_pref_size 0
		.amdhsa_round_robin_scheduling 0
		.amdhsa_exception_fp_ieee_invalid_op 0
		.amdhsa_exception_fp_denorm_src 0
		.amdhsa_exception_fp_ieee_div_zero 0
		.amdhsa_exception_fp_ieee_overflow 0
		.amdhsa_exception_fp_ieee_underflow 0
		.amdhsa_exception_fp_ieee_inexact 0
		.amdhsa_exception_int_div_zero 0
	.end_amdhsa_kernel
	.section	.text._ZN7rocprim17ROCPRIM_400000_NS6detail17trampoline_kernelINS0_14default_configENS1_27scan_by_key_config_selectorIiiEEZZNS1_16scan_by_key_implILNS1_25lookback_scan_determinismE0ELb0ES3_N6thrust23THRUST_200600_302600_NS6detail15normal_iteratorINS9_10device_ptrIiEEEESE_SE_iNS9_4plusIiEE19head_flag_predicateiEE10hipError_tPvRmT2_T3_T4_T5_mT6_T7_P12ihipStream_tbENKUlT_T0_E_clISt17integral_constantIbLb0EESY_EEDaST_SU_EUlST_E_NS1_11comp_targetILNS1_3genE2ELNS1_11target_archE906ELNS1_3gpuE6ELNS1_3repE0EEENS1_30default_config_static_selectorELNS0_4arch9wavefront6targetE0EEEvT1_,"axG",@progbits,_ZN7rocprim17ROCPRIM_400000_NS6detail17trampoline_kernelINS0_14default_configENS1_27scan_by_key_config_selectorIiiEEZZNS1_16scan_by_key_implILNS1_25lookback_scan_determinismE0ELb0ES3_N6thrust23THRUST_200600_302600_NS6detail15normal_iteratorINS9_10device_ptrIiEEEESE_SE_iNS9_4plusIiEE19head_flag_predicateiEE10hipError_tPvRmT2_T3_T4_T5_mT6_T7_P12ihipStream_tbENKUlT_T0_E_clISt17integral_constantIbLb0EESY_EEDaST_SU_EUlST_E_NS1_11comp_targetILNS1_3genE2ELNS1_11target_archE906ELNS1_3gpuE6ELNS1_3repE0EEENS1_30default_config_static_selectorELNS0_4arch9wavefront6targetE0EEEvT1_,comdat
.Lfunc_end754:
	.size	_ZN7rocprim17ROCPRIM_400000_NS6detail17trampoline_kernelINS0_14default_configENS1_27scan_by_key_config_selectorIiiEEZZNS1_16scan_by_key_implILNS1_25lookback_scan_determinismE0ELb0ES3_N6thrust23THRUST_200600_302600_NS6detail15normal_iteratorINS9_10device_ptrIiEEEESE_SE_iNS9_4plusIiEE19head_flag_predicateiEE10hipError_tPvRmT2_T3_T4_T5_mT6_T7_P12ihipStream_tbENKUlT_T0_E_clISt17integral_constantIbLb0EESY_EEDaST_SU_EUlST_E_NS1_11comp_targetILNS1_3genE2ELNS1_11target_archE906ELNS1_3gpuE6ELNS1_3repE0EEENS1_30default_config_static_selectorELNS0_4arch9wavefront6targetE0EEEvT1_, .Lfunc_end754-_ZN7rocprim17ROCPRIM_400000_NS6detail17trampoline_kernelINS0_14default_configENS1_27scan_by_key_config_selectorIiiEEZZNS1_16scan_by_key_implILNS1_25lookback_scan_determinismE0ELb0ES3_N6thrust23THRUST_200600_302600_NS6detail15normal_iteratorINS9_10device_ptrIiEEEESE_SE_iNS9_4plusIiEE19head_flag_predicateiEE10hipError_tPvRmT2_T3_T4_T5_mT6_T7_P12ihipStream_tbENKUlT_T0_E_clISt17integral_constantIbLb0EESY_EEDaST_SU_EUlST_E_NS1_11comp_targetILNS1_3genE2ELNS1_11target_archE906ELNS1_3gpuE6ELNS1_3repE0EEENS1_30default_config_static_selectorELNS0_4arch9wavefront6targetE0EEEvT1_
                                        ; -- End function
	.set _ZN7rocprim17ROCPRIM_400000_NS6detail17trampoline_kernelINS0_14default_configENS1_27scan_by_key_config_selectorIiiEEZZNS1_16scan_by_key_implILNS1_25lookback_scan_determinismE0ELb0ES3_N6thrust23THRUST_200600_302600_NS6detail15normal_iteratorINS9_10device_ptrIiEEEESE_SE_iNS9_4plusIiEE19head_flag_predicateiEE10hipError_tPvRmT2_T3_T4_T5_mT6_T7_P12ihipStream_tbENKUlT_T0_E_clISt17integral_constantIbLb0EESY_EEDaST_SU_EUlST_E_NS1_11comp_targetILNS1_3genE2ELNS1_11target_archE906ELNS1_3gpuE6ELNS1_3repE0EEENS1_30default_config_static_selectorELNS0_4arch9wavefront6targetE0EEEvT1_.num_vgpr, 0
	.set _ZN7rocprim17ROCPRIM_400000_NS6detail17trampoline_kernelINS0_14default_configENS1_27scan_by_key_config_selectorIiiEEZZNS1_16scan_by_key_implILNS1_25lookback_scan_determinismE0ELb0ES3_N6thrust23THRUST_200600_302600_NS6detail15normal_iteratorINS9_10device_ptrIiEEEESE_SE_iNS9_4plusIiEE19head_flag_predicateiEE10hipError_tPvRmT2_T3_T4_T5_mT6_T7_P12ihipStream_tbENKUlT_T0_E_clISt17integral_constantIbLb0EESY_EEDaST_SU_EUlST_E_NS1_11comp_targetILNS1_3genE2ELNS1_11target_archE906ELNS1_3gpuE6ELNS1_3repE0EEENS1_30default_config_static_selectorELNS0_4arch9wavefront6targetE0EEEvT1_.num_agpr, 0
	.set _ZN7rocprim17ROCPRIM_400000_NS6detail17trampoline_kernelINS0_14default_configENS1_27scan_by_key_config_selectorIiiEEZZNS1_16scan_by_key_implILNS1_25lookback_scan_determinismE0ELb0ES3_N6thrust23THRUST_200600_302600_NS6detail15normal_iteratorINS9_10device_ptrIiEEEESE_SE_iNS9_4plusIiEE19head_flag_predicateiEE10hipError_tPvRmT2_T3_T4_T5_mT6_T7_P12ihipStream_tbENKUlT_T0_E_clISt17integral_constantIbLb0EESY_EEDaST_SU_EUlST_E_NS1_11comp_targetILNS1_3genE2ELNS1_11target_archE906ELNS1_3gpuE6ELNS1_3repE0EEENS1_30default_config_static_selectorELNS0_4arch9wavefront6targetE0EEEvT1_.numbered_sgpr, 0
	.set _ZN7rocprim17ROCPRIM_400000_NS6detail17trampoline_kernelINS0_14default_configENS1_27scan_by_key_config_selectorIiiEEZZNS1_16scan_by_key_implILNS1_25lookback_scan_determinismE0ELb0ES3_N6thrust23THRUST_200600_302600_NS6detail15normal_iteratorINS9_10device_ptrIiEEEESE_SE_iNS9_4plusIiEE19head_flag_predicateiEE10hipError_tPvRmT2_T3_T4_T5_mT6_T7_P12ihipStream_tbENKUlT_T0_E_clISt17integral_constantIbLb0EESY_EEDaST_SU_EUlST_E_NS1_11comp_targetILNS1_3genE2ELNS1_11target_archE906ELNS1_3gpuE6ELNS1_3repE0EEENS1_30default_config_static_selectorELNS0_4arch9wavefront6targetE0EEEvT1_.num_named_barrier, 0
	.set _ZN7rocprim17ROCPRIM_400000_NS6detail17trampoline_kernelINS0_14default_configENS1_27scan_by_key_config_selectorIiiEEZZNS1_16scan_by_key_implILNS1_25lookback_scan_determinismE0ELb0ES3_N6thrust23THRUST_200600_302600_NS6detail15normal_iteratorINS9_10device_ptrIiEEEESE_SE_iNS9_4plusIiEE19head_flag_predicateiEE10hipError_tPvRmT2_T3_T4_T5_mT6_T7_P12ihipStream_tbENKUlT_T0_E_clISt17integral_constantIbLb0EESY_EEDaST_SU_EUlST_E_NS1_11comp_targetILNS1_3genE2ELNS1_11target_archE906ELNS1_3gpuE6ELNS1_3repE0EEENS1_30default_config_static_selectorELNS0_4arch9wavefront6targetE0EEEvT1_.private_seg_size, 0
	.set _ZN7rocprim17ROCPRIM_400000_NS6detail17trampoline_kernelINS0_14default_configENS1_27scan_by_key_config_selectorIiiEEZZNS1_16scan_by_key_implILNS1_25lookback_scan_determinismE0ELb0ES3_N6thrust23THRUST_200600_302600_NS6detail15normal_iteratorINS9_10device_ptrIiEEEESE_SE_iNS9_4plusIiEE19head_flag_predicateiEE10hipError_tPvRmT2_T3_T4_T5_mT6_T7_P12ihipStream_tbENKUlT_T0_E_clISt17integral_constantIbLb0EESY_EEDaST_SU_EUlST_E_NS1_11comp_targetILNS1_3genE2ELNS1_11target_archE906ELNS1_3gpuE6ELNS1_3repE0EEENS1_30default_config_static_selectorELNS0_4arch9wavefront6targetE0EEEvT1_.uses_vcc, 0
	.set _ZN7rocprim17ROCPRIM_400000_NS6detail17trampoline_kernelINS0_14default_configENS1_27scan_by_key_config_selectorIiiEEZZNS1_16scan_by_key_implILNS1_25lookback_scan_determinismE0ELb0ES3_N6thrust23THRUST_200600_302600_NS6detail15normal_iteratorINS9_10device_ptrIiEEEESE_SE_iNS9_4plusIiEE19head_flag_predicateiEE10hipError_tPvRmT2_T3_T4_T5_mT6_T7_P12ihipStream_tbENKUlT_T0_E_clISt17integral_constantIbLb0EESY_EEDaST_SU_EUlST_E_NS1_11comp_targetILNS1_3genE2ELNS1_11target_archE906ELNS1_3gpuE6ELNS1_3repE0EEENS1_30default_config_static_selectorELNS0_4arch9wavefront6targetE0EEEvT1_.uses_flat_scratch, 0
	.set _ZN7rocprim17ROCPRIM_400000_NS6detail17trampoline_kernelINS0_14default_configENS1_27scan_by_key_config_selectorIiiEEZZNS1_16scan_by_key_implILNS1_25lookback_scan_determinismE0ELb0ES3_N6thrust23THRUST_200600_302600_NS6detail15normal_iteratorINS9_10device_ptrIiEEEESE_SE_iNS9_4plusIiEE19head_flag_predicateiEE10hipError_tPvRmT2_T3_T4_T5_mT6_T7_P12ihipStream_tbENKUlT_T0_E_clISt17integral_constantIbLb0EESY_EEDaST_SU_EUlST_E_NS1_11comp_targetILNS1_3genE2ELNS1_11target_archE906ELNS1_3gpuE6ELNS1_3repE0EEENS1_30default_config_static_selectorELNS0_4arch9wavefront6targetE0EEEvT1_.has_dyn_sized_stack, 0
	.set _ZN7rocprim17ROCPRIM_400000_NS6detail17trampoline_kernelINS0_14default_configENS1_27scan_by_key_config_selectorIiiEEZZNS1_16scan_by_key_implILNS1_25lookback_scan_determinismE0ELb0ES3_N6thrust23THRUST_200600_302600_NS6detail15normal_iteratorINS9_10device_ptrIiEEEESE_SE_iNS9_4plusIiEE19head_flag_predicateiEE10hipError_tPvRmT2_T3_T4_T5_mT6_T7_P12ihipStream_tbENKUlT_T0_E_clISt17integral_constantIbLb0EESY_EEDaST_SU_EUlST_E_NS1_11comp_targetILNS1_3genE2ELNS1_11target_archE906ELNS1_3gpuE6ELNS1_3repE0EEENS1_30default_config_static_selectorELNS0_4arch9wavefront6targetE0EEEvT1_.has_recursion, 0
	.set _ZN7rocprim17ROCPRIM_400000_NS6detail17trampoline_kernelINS0_14default_configENS1_27scan_by_key_config_selectorIiiEEZZNS1_16scan_by_key_implILNS1_25lookback_scan_determinismE0ELb0ES3_N6thrust23THRUST_200600_302600_NS6detail15normal_iteratorINS9_10device_ptrIiEEEESE_SE_iNS9_4plusIiEE19head_flag_predicateiEE10hipError_tPvRmT2_T3_T4_T5_mT6_T7_P12ihipStream_tbENKUlT_T0_E_clISt17integral_constantIbLb0EESY_EEDaST_SU_EUlST_E_NS1_11comp_targetILNS1_3genE2ELNS1_11target_archE906ELNS1_3gpuE6ELNS1_3repE0EEENS1_30default_config_static_selectorELNS0_4arch9wavefront6targetE0EEEvT1_.has_indirect_call, 0
	.section	.AMDGPU.csdata,"",@progbits
; Kernel info:
; codeLenInByte = 0
; TotalNumSgprs: 0
; NumVgprs: 0
; ScratchSize: 0
; MemoryBound: 0
; FloatMode: 240
; IeeeMode: 1
; LDSByteSize: 0 bytes/workgroup (compile time only)
; SGPRBlocks: 0
; VGPRBlocks: 0
; NumSGPRsForWavesPerEU: 1
; NumVGPRsForWavesPerEU: 1
; NamedBarCnt: 0
; Occupancy: 16
; WaveLimiterHint : 0
; COMPUTE_PGM_RSRC2:SCRATCH_EN: 0
; COMPUTE_PGM_RSRC2:USER_SGPR: 2
; COMPUTE_PGM_RSRC2:TRAP_HANDLER: 0
; COMPUTE_PGM_RSRC2:TGID_X_EN: 1
; COMPUTE_PGM_RSRC2:TGID_Y_EN: 0
; COMPUTE_PGM_RSRC2:TGID_Z_EN: 0
; COMPUTE_PGM_RSRC2:TIDIG_COMP_CNT: 0
	.section	.text._ZN7rocprim17ROCPRIM_400000_NS6detail17trampoline_kernelINS0_14default_configENS1_27scan_by_key_config_selectorIiiEEZZNS1_16scan_by_key_implILNS1_25lookback_scan_determinismE0ELb0ES3_N6thrust23THRUST_200600_302600_NS6detail15normal_iteratorINS9_10device_ptrIiEEEESE_SE_iNS9_4plusIiEE19head_flag_predicateiEE10hipError_tPvRmT2_T3_T4_T5_mT6_T7_P12ihipStream_tbENKUlT_T0_E_clISt17integral_constantIbLb0EESY_EEDaST_SU_EUlST_E_NS1_11comp_targetILNS1_3genE10ELNS1_11target_archE1200ELNS1_3gpuE4ELNS1_3repE0EEENS1_30default_config_static_selectorELNS0_4arch9wavefront6targetE0EEEvT1_,"axG",@progbits,_ZN7rocprim17ROCPRIM_400000_NS6detail17trampoline_kernelINS0_14default_configENS1_27scan_by_key_config_selectorIiiEEZZNS1_16scan_by_key_implILNS1_25lookback_scan_determinismE0ELb0ES3_N6thrust23THRUST_200600_302600_NS6detail15normal_iteratorINS9_10device_ptrIiEEEESE_SE_iNS9_4plusIiEE19head_flag_predicateiEE10hipError_tPvRmT2_T3_T4_T5_mT6_T7_P12ihipStream_tbENKUlT_T0_E_clISt17integral_constantIbLb0EESY_EEDaST_SU_EUlST_E_NS1_11comp_targetILNS1_3genE10ELNS1_11target_archE1200ELNS1_3gpuE4ELNS1_3repE0EEENS1_30default_config_static_selectorELNS0_4arch9wavefront6targetE0EEEvT1_,comdat
	.protected	_ZN7rocprim17ROCPRIM_400000_NS6detail17trampoline_kernelINS0_14default_configENS1_27scan_by_key_config_selectorIiiEEZZNS1_16scan_by_key_implILNS1_25lookback_scan_determinismE0ELb0ES3_N6thrust23THRUST_200600_302600_NS6detail15normal_iteratorINS9_10device_ptrIiEEEESE_SE_iNS9_4plusIiEE19head_flag_predicateiEE10hipError_tPvRmT2_T3_T4_T5_mT6_T7_P12ihipStream_tbENKUlT_T0_E_clISt17integral_constantIbLb0EESY_EEDaST_SU_EUlST_E_NS1_11comp_targetILNS1_3genE10ELNS1_11target_archE1200ELNS1_3gpuE4ELNS1_3repE0EEENS1_30default_config_static_selectorELNS0_4arch9wavefront6targetE0EEEvT1_ ; -- Begin function _ZN7rocprim17ROCPRIM_400000_NS6detail17trampoline_kernelINS0_14default_configENS1_27scan_by_key_config_selectorIiiEEZZNS1_16scan_by_key_implILNS1_25lookback_scan_determinismE0ELb0ES3_N6thrust23THRUST_200600_302600_NS6detail15normal_iteratorINS9_10device_ptrIiEEEESE_SE_iNS9_4plusIiEE19head_flag_predicateiEE10hipError_tPvRmT2_T3_T4_T5_mT6_T7_P12ihipStream_tbENKUlT_T0_E_clISt17integral_constantIbLb0EESY_EEDaST_SU_EUlST_E_NS1_11comp_targetILNS1_3genE10ELNS1_11target_archE1200ELNS1_3gpuE4ELNS1_3repE0EEENS1_30default_config_static_selectorELNS0_4arch9wavefront6targetE0EEEvT1_
	.globl	_ZN7rocprim17ROCPRIM_400000_NS6detail17trampoline_kernelINS0_14default_configENS1_27scan_by_key_config_selectorIiiEEZZNS1_16scan_by_key_implILNS1_25lookback_scan_determinismE0ELb0ES3_N6thrust23THRUST_200600_302600_NS6detail15normal_iteratorINS9_10device_ptrIiEEEESE_SE_iNS9_4plusIiEE19head_flag_predicateiEE10hipError_tPvRmT2_T3_T4_T5_mT6_T7_P12ihipStream_tbENKUlT_T0_E_clISt17integral_constantIbLb0EESY_EEDaST_SU_EUlST_E_NS1_11comp_targetILNS1_3genE10ELNS1_11target_archE1200ELNS1_3gpuE4ELNS1_3repE0EEENS1_30default_config_static_selectorELNS0_4arch9wavefront6targetE0EEEvT1_
	.p2align	8
	.type	_ZN7rocprim17ROCPRIM_400000_NS6detail17trampoline_kernelINS0_14default_configENS1_27scan_by_key_config_selectorIiiEEZZNS1_16scan_by_key_implILNS1_25lookback_scan_determinismE0ELb0ES3_N6thrust23THRUST_200600_302600_NS6detail15normal_iteratorINS9_10device_ptrIiEEEESE_SE_iNS9_4plusIiEE19head_flag_predicateiEE10hipError_tPvRmT2_T3_T4_T5_mT6_T7_P12ihipStream_tbENKUlT_T0_E_clISt17integral_constantIbLb0EESY_EEDaST_SU_EUlST_E_NS1_11comp_targetILNS1_3genE10ELNS1_11target_archE1200ELNS1_3gpuE4ELNS1_3repE0EEENS1_30default_config_static_selectorELNS0_4arch9wavefront6targetE0EEEvT1_,@function
_ZN7rocprim17ROCPRIM_400000_NS6detail17trampoline_kernelINS0_14default_configENS1_27scan_by_key_config_selectorIiiEEZZNS1_16scan_by_key_implILNS1_25lookback_scan_determinismE0ELb0ES3_N6thrust23THRUST_200600_302600_NS6detail15normal_iteratorINS9_10device_ptrIiEEEESE_SE_iNS9_4plusIiEE19head_flag_predicateiEE10hipError_tPvRmT2_T3_T4_T5_mT6_T7_P12ihipStream_tbENKUlT_T0_E_clISt17integral_constantIbLb0EESY_EEDaST_SU_EUlST_E_NS1_11comp_targetILNS1_3genE10ELNS1_11target_archE1200ELNS1_3gpuE4ELNS1_3repE0EEENS1_30default_config_static_selectorELNS0_4arch9wavefront6targetE0EEEvT1_: ; @_ZN7rocprim17ROCPRIM_400000_NS6detail17trampoline_kernelINS0_14default_configENS1_27scan_by_key_config_selectorIiiEEZZNS1_16scan_by_key_implILNS1_25lookback_scan_determinismE0ELb0ES3_N6thrust23THRUST_200600_302600_NS6detail15normal_iteratorINS9_10device_ptrIiEEEESE_SE_iNS9_4plusIiEE19head_flag_predicateiEE10hipError_tPvRmT2_T3_T4_T5_mT6_T7_P12ihipStream_tbENKUlT_T0_E_clISt17integral_constantIbLb0EESY_EEDaST_SU_EUlST_E_NS1_11comp_targetILNS1_3genE10ELNS1_11target_archE1200ELNS1_3gpuE4ELNS1_3repE0EEENS1_30default_config_static_selectorELNS0_4arch9wavefront6targetE0EEEvT1_
; %bb.0:
	.section	.rodata,"a",@progbits
	.p2align	6, 0x0
	.amdhsa_kernel _ZN7rocprim17ROCPRIM_400000_NS6detail17trampoline_kernelINS0_14default_configENS1_27scan_by_key_config_selectorIiiEEZZNS1_16scan_by_key_implILNS1_25lookback_scan_determinismE0ELb0ES3_N6thrust23THRUST_200600_302600_NS6detail15normal_iteratorINS9_10device_ptrIiEEEESE_SE_iNS9_4plusIiEE19head_flag_predicateiEE10hipError_tPvRmT2_T3_T4_T5_mT6_T7_P12ihipStream_tbENKUlT_T0_E_clISt17integral_constantIbLb0EESY_EEDaST_SU_EUlST_E_NS1_11comp_targetILNS1_3genE10ELNS1_11target_archE1200ELNS1_3gpuE4ELNS1_3repE0EEENS1_30default_config_static_selectorELNS0_4arch9wavefront6targetE0EEEvT1_
		.amdhsa_group_segment_fixed_size 0
		.amdhsa_private_segment_fixed_size 0
		.amdhsa_kernarg_size 112
		.amdhsa_user_sgpr_count 2
		.amdhsa_user_sgpr_dispatch_ptr 0
		.amdhsa_user_sgpr_queue_ptr 0
		.amdhsa_user_sgpr_kernarg_segment_ptr 1
		.amdhsa_user_sgpr_dispatch_id 0
		.amdhsa_user_sgpr_kernarg_preload_length 0
		.amdhsa_user_sgpr_kernarg_preload_offset 0
		.amdhsa_user_sgpr_private_segment_size 0
		.amdhsa_wavefront_size32 1
		.amdhsa_uses_dynamic_stack 0
		.amdhsa_enable_private_segment 0
		.amdhsa_system_sgpr_workgroup_id_x 1
		.amdhsa_system_sgpr_workgroup_id_y 0
		.amdhsa_system_sgpr_workgroup_id_z 0
		.amdhsa_system_sgpr_workgroup_info 0
		.amdhsa_system_vgpr_workitem_id 0
		.amdhsa_next_free_vgpr 1
		.amdhsa_next_free_sgpr 1
		.amdhsa_named_barrier_count 0
		.amdhsa_reserve_vcc 0
		.amdhsa_float_round_mode_32 0
		.amdhsa_float_round_mode_16_64 0
		.amdhsa_float_denorm_mode_32 3
		.amdhsa_float_denorm_mode_16_64 3
		.amdhsa_fp16_overflow 0
		.amdhsa_memory_ordered 1
		.amdhsa_forward_progress 1
		.amdhsa_inst_pref_size 0
		.amdhsa_round_robin_scheduling 0
		.amdhsa_exception_fp_ieee_invalid_op 0
		.amdhsa_exception_fp_denorm_src 0
		.amdhsa_exception_fp_ieee_div_zero 0
		.amdhsa_exception_fp_ieee_overflow 0
		.amdhsa_exception_fp_ieee_underflow 0
		.amdhsa_exception_fp_ieee_inexact 0
		.amdhsa_exception_int_div_zero 0
	.end_amdhsa_kernel
	.section	.text._ZN7rocprim17ROCPRIM_400000_NS6detail17trampoline_kernelINS0_14default_configENS1_27scan_by_key_config_selectorIiiEEZZNS1_16scan_by_key_implILNS1_25lookback_scan_determinismE0ELb0ES3_N6thrust23THRUST_200600_302600_NS6detail15normal_iteratorINS9_10device_ptrIiEEEESE_SE_iNS9_4plusIiEE19head_flag_predicateiEE10hipError_tPvRmT2_T3_T4_T5_mT6_T7_P12ihipStream_tbENKUlT_T0_E_clISt17integral_constantIbLb0EESY_EEDaST_SU_EUlST_E_NS1_11comp_targetILNS1_3genE10ELNS1_11target_archE1200ELNS1_3gpuE4ELNS1_3repE0EEENS1_30default_config_static_selectorELNS0_4arch9wavefront6targetE0EEEvT1_,"axG",@progbits,_ZN7rocprim17ROCPRIM_400000_NS6detail17trampoline_kernelINS0_14default_configENS1_27scan_by_key_config_selectorIiiEEZZNS1_16scan_by_key_implILNS1_25lookback_scan_determinismE0ELb0ES3_N6thrust23THRUST_200600_302600_NS6detail15normal_iteratorINS9_10device_ptrIiEEEESE_SE_iNS9_4plusIiEE19head_flag_predicateiEE10hipError_tPvRmT2_T3_T4_T5_mT6_T7_P12ihipStream_tbENKUlT_T0_E_clISt17integral_constantIbLb0EESY_EEDaST_SU_EUlST_E_NS1_11comp_targetILNS1_3genE10ELNS1_11target_archE1200ELNS1_3gpuE4ELNS1_3repE0EEENS1_30default_config_static_selectorELNS0_4arch9wavefront6targetE0EEEvT1_,comdat
.Lfunc_end755:
	.size	_ZN7rocprim17ROCPRIM_400000_NS6detail17trampoline_kernelINS0_14default_configENS1_27scan_by_key_config_selectorIiiEEZZNS1_16scan_by_key_implILNS1_25lookback_scan_determinismE0ELb0ES3_N6thrust23THRUST_200600_302600_NS6detail15normal_iteratorINS9_10device_ptrIiEEEESE_SE_iNS9_4plusIiEE19head_flag_predicateiEE10hipError_tPvRmT2_T3_T4_T5_mT6_T7_P12ihipStream_tbENKUlT_T0_E_clISt17integral_constantIbLb0EESY_EEDaST_SU_EUlST_E_NS1_11comp_targetILNS1_3genE10ELNS1_11target_archE1200ELNS1_3gpuE4ELNS1_3repE0EEENS1_30default_config_static_selectorELNS0_4arch9wavefront6targetE0EEEvT1_, .Lfunc_end755-_ZN7rocprim17ROCPRIM_400000_NS6detail17trampoline_kernelINS0_14default_configENS1_27scan_by_key_config_selectorIiiEEZZNS1_16scan_by_key_implILNS1_25lookback_scan_determinismE0ELb0ES3_N6thrust23THRUST_200600_302600_NS6detail15normal_iteratorINS9_10device_ptrIiEEEESE_SE_iNS9_4plusIiEE19head_flag_predicateiEE10hipError_tPvRmT2_T3_T4_T5_mT6_T7_P12ihipStream_tbENKUlT_T0_E_clISt17integral_constantIbLb0EESY_EEDaST_SU_EUlST_E_NS1_11comp_targetILNS1_3genE10ELNS1_11target_archE1200ELNS1_3gpuE4ELNS1_3repE0EEENS1_30default_config_static_selectorELNS0_4arch9wavefront6targetE0EEEvT1_
                                        ; -- End function
	.set _ZN7rocprim17ROCPRIM_400000_NS6detail17trampoline_kernelINS0_14default_configENS1_27scan_by_key_config_selectorIiiEEZZNS1_16scan_by_key_implILNS1_25lookback_scan_determinismE0ELb0ES3_N6thrust23THRUST_200600_302600_NS6detail15normal_iteratorINS9_10device_ptrIiEEEESE_SE_iNS9_4plusIiEE19head_flag_predicateiEE10hipError_tPvRmT2_T3_T4_T5_mT6_T7_P12ihipStream_tbENKUlT_T0_E_clISt17integral_constantIbLb0EESY_EEDaST_SU_EUlST_E_NS1_11comp_targetILNS1_3genE10ELNS1_11target_archE1200ELNS1_3gpuE4ELNS1_3repE0EEENS1_30default_config_static_selectorELNS0_4arch9wavefront6targetE0EEEvT1_.num_vgpr, 0
	.set _ZN7rocprim17ROCPRIM_400000_NS6detail17trampoline_kernelINS0_14default_configENS1_27scan_by_key_config_selectorIiiEEZZNS1_16scan_by_key_implILNS1_25lookback_scan_determinismE0ELb0ES3_N6thrust23THRUST_200600_302600_NS6detail15normal_iteratorINS9_10device_ptrIiEEEESE_SE_iNS9_4plusIiEE19head_flag_predicateiEE10hipError_tPvRmT2_T3_T4_T5_mT6_T7_P12ihipStream_tbENKUlT_T0_E_clISt17integral_constantIbLb0EESY_EEDaST_SU_EUlST_E_NS1_11comp_targetILNS1_3genE10ELNS1_11target_archE1200ELNS1_3gpuE4ELNS1_3repE0EEENS1_30default_config_static_selectorELNS0_4arch9wavefront6targetE0EEEvT1_.num_agpr, 0
	.set _ZN7rocprim17ROCPRIM_400000_NS6detail17trampoline_kernelINS0_14default_configENS1_27scan_by_key_config_selectorIiiEEZZNS1_16scan_by_key_implILNS1_25lookback_scan_determinismE0ELb0ES3_N6thrust23THRUST_200600_302600_NS6detail15normal_iteratorINS9_10device_ptrIiEEEESE_SE_iNS9_4plusIiEE19head_flag_predicateiEE10hipError_tPvRmT2_T3_T4_T5_mT6_T7_P12ihipStream_tbENKUlT_T0_E_clISt17integral_constantIbLb0EESY_EEDaST_SU_EUlST_E_NS1_11comp_targetILNS1_3genE10ELNS1_11target_archE1200ELNS1_3gpuE4ELNS1_3repE0EEENS1_30default_config_static_selectorELNS0_4arch9wavefront6targetE0EEEvT1_.numbered_sgpr, 0
	.set _ZN7rocprim17ROCPRIM_400000_NS6detail17trampoline_kernelINS0_14default_configENS1_27scan_by_key_config_selectorIiiEEZZNS1_16scan_by_key_implILNS1_25lookback_scan_determinismE0ELb0ES3_N6thrust23THRUST_200600_302600_NS6detail15normal_iteratorINS9_10device_ptrIiEEEESE_SE_iNS9_4plusIiEE19head_flag_predicateiEE10hipError_tPvRmT2_T3_T4_T5_mT6_T7_P12ihipStream_tbENKUlT_T0_E_clISt17integral_constantIbLb0EESY_EEDaST_SU_EUlST_E_NS1_11comp_targetILNS1_3genE10ELNS1_11target_archE1200ELNS1_3gpuE4ELNS1_3repE0EEENS1_30default_config_static_selectorELNS0_4arch9wavefront6targetE0EEEvT1_.num_named_barrier, 0
	.set _ZN7rocprim17ROCPRIM_400000_NS6detail17trampoline_kernelINS0_14default_configENS1_27scan_by_key_config_selectorIiiEEZZNS1_16scan_by_key_implILNS1_25lookback_scan_determinismE0ELb0ES3_N6thrust23THRUST_200600_302600_NS6detail15normal_iteratorINS9_10device_ptrIiEEEESE_SE_iNS9_4plusIiEE19head_flag_predicateiEE10hipError_tPvRmT2_T3_T4_T5_mT6_T7_P12ihipStream_tbENKUlT_T0_E_clISt17integral_constantIbLb0EESY_EEDaST_SU_EUlST_E_NS1_11comp_targetILNS1_3genE10ELNS1_11target_archE1200ELNS1_3gpuE4ELNS1_3repE0EEENS1_30default_config_static_selectorELNS0_4arch9wavefront6targetE0EEEvT1_.private_seg_size, 0
	.set _ZN7rocprim17ROCPRIM_400000_NS6detail17trampoline_kernelINS0_14default_configENS1_27scan_by_key_config_selectorIiiEEZZNS1_16scan_by_key_implILNS1_25lookback_scan_determinismE0ELb0ES3_N6thrust23THRUST_200600_302600_NS6detail15normal_iteratorINS9_10device_ptrIiEEEESE_SE_iNS9_4plusIiEE19head_flag_predicateiEE10hipError_tPvRmT2_T3_T4_T5_mT6_T7_P12ihipStream_tbENKUlT_T0_E_clISt17integral_constantIbLb0EESY_EEDaST_SU_EUlST_E_NS1_11comp_targetILNS1_3genE10ELNS1_11target_archE1200ELNS1_3gpuE4ELNS1_3repE0EEENS1_30default_config_static_selectorELNS0_4arch9wavefront6targetE0EEEvT1_.uses_vcc, 0
	.set _ZN7rocprim17ROCPRIM_400000_NS6detail17trampoline_kernelINS0_14default_configENS1_27scan_by_key_config_selectorIiiEEZZNS1_16scan_by_key_implILNS1_25lookback_scan_determinismE0ELb0ES3_N6thrust23THRUST_200600_302600_NS6detail15normal_iteratorINS9_10device_ptrIiEEEESE_SE_iNS9_4plusIiEE19head_flag_predicateiEE10hipError_tPvRmT2_T3_T4_T5_mT6_T7_P12ihipStream_tbENKUlT_T0_E_clISt17integral_constantIbLb0EESY_EEDaST_SU_EUlST_E_NS1_11comp_targetILNS1_3genE10ELNS1_11target_archE1200ELNS1_3gpuE4ELNS1_3repE0EEENS1_30default_config_static_selectorELNS0_4arch9wavefront6targetE0EEEvT1_.uses_flat_scratch, 0
	.set _ZN7rocprim17ROCPRIM_400000_NS6detail17trampoline_kernelINS0_14default_configENS1_27scan_by_key_config_selectorIiiEEZZNS1_16scan_by_key_implILNS1_25lookback_scan_determinismE0ELb0ES3_N6thrust23THRUST_200600_302600_NS6detail15normal_iteratorINS9_10device_ptrIiEEEESE_SE_iNS9_4plusIiEE19head_flag_predicateiEE10hipError_tPvRmT2_T3_T4_T5_mT6_T7_P12ihipStream_tbENKUlT_T0_E_clISt17integral_constantIbLb0EESY_EEDaST_SU_EUlST_E_NS1_11comp_targetILNS1_3genE10ELNS1_11target_archE1200ELNS1_3gpuE4ELNS1_3repE0EEENS1_30default_config_static_selectorELNS0_4arch9wavefront6targetE0EEEvT1_.has_dyn_sized_stack, 0
	.set _ZN7rocprim17ROCPRIM_400000_NS6detail17trampoline_kernelINS0_14default_configENS1_27scan_by_key_config_selectorIiiEEZZNS1_16scan_by_key_implILNS1_25lookback_scan_determinismE0ELb0ES3_N6thrust23THRUST_200600_302600_NS6detail15normal_iteratorINS9_10device_ptrIiEEEESE_SE_iNS9_4plusIiEE19head_flag_predicateiEE10hipError_tPvRmT2_T3_T4_T5_mT6_T7_P12ihipStream_tbENKUlT_T0_E_clISt17integral_constantIbLb0EESY_EEDaST_SU_EUlST_E_NS1_11comp_targetILNS1_3genE10ELNS1_11target_archE1200ELNS1_3gpuE4ELNS1_3repE0EEENS1_30default_config_static_selectorELNS0_4arch9wavefront6targetE0EEEvT1_.has_recursion, 0
	.set _ZN7rocprim17ROCPRIM_400000_NS6detail17trampoline_kernelINS0_14default_configENS1_27scan_by_key_config_selectorIiiEEZZNS1_16scan_by_key_implILNS1_25lookback_scan_determinismE0ELb0ES3_N6thrust23THRUST_200600_302600_NS6detail15normal_iteratorINS9_10device_ptrIiEEEESE_SE_iNS9_4plusIiEE19head_flag_predicateiEE10hipError_tPvRmT2_T3_T4_T5_mT6_T7_P12ihipStream_tbENKUlT_T0_E_clISt17integral_constantIbLb0EESY_EEDaST_SU_EUlST_E_NS1_11comp_targetILNS1_3genE10ELNS1_11target_archE1200ELNS1_3gpuE4ELNS1_3repE0EEENS1_30default_config_static_selectorELNS0_4arch9wavefront6targetE0EEEvT1_.has_indirect_call, 0
	.section	.AMDGPU.csdata,"",@progbits
; Kernel info:
; codeLenInByte = 0
; TotalNumSgprs: 0
; NumVgprs: 0
; ScratchSize: 0
; MemoryBound: 0
; FloatMode: 240
; IeeeMode: 1
; LDSByteSize: 0 bytes/workgroup (compile time only)
; SGPRBlocks: 0
; VGPRBlocks: 0
; NumSGPRsForWavesPerEU: 1
; NumVGPRsForWavesPerEU: 1
; NamedBarCnt: 0
; Occupancy: 16
; WaveLimiterHint : 0
; COMPUTE_PGM_RSRC2:SCRATCH_EN: 0
; COMPUTE_PGM_RSRC2:USER_SGPR: 2
; COMPUTE_PGM_RSRC2:TRAP_HANDLER: 0
; COMPUTE_PGM_RSRC2:TGID_X_EN: 1
; COMPUTE_PGM_RSRC2:TGID_Y_EN: 0
; COMPUTE_PGM_RSRC2:TGID_Z_EN: 0
; COMPUTE_PGM_RSRC2:TIDIG_COMP_CNT: 0
	.section	.text._ZN7rocprim17ROCPRIM_400000_NS6detail17trampoline_kernelINS0_14default_configENS1_27scan_by_key_config_selectorIiiEEZZNS1_16scan_by_key_implILNS1_25lookback_scan_determinismE0ELb0ES3_N6thrust23THRUST_200600_302600_NS6detail15normal_iteratorINS9_10device_ptrIiEEEESE_SE_iNS9_4plusIiEE19head_flag_predicateiEE10hipError_tPvRmT2_T3_T4_T5_mT6_T7_P12ihipStream_tbENKUlT_T0_E_clISt17integral_constantIbLb0EESY_EEDaST_SU_EUlST_E_NS1_11comp_targetILNS1_3genE9ELNS1_11target_archE1100ELNS1_3gpuE3ELNS1_3repE0EEENS1_30default_config_static_selectorELNS0_4arch9wavefront6targetE0EEEvT1_,"axG",@progbits,_ZN7rocprim17ROCPRIM_400000_NS6detail17trampoline_kernelINS0_14default_configENS1_27scan_by_key_config_selectorIiiEEZZNS1_16scan_by_key_implILNS1_25lookback_scan_determinismE0ELb0ES3_N6thrust23THRUST_200600_302600_NS6detail15normal_iteratorINS9_10device_ptrIiEEEESE_SE_iNS9_4plusIiEE19head_flag_predicateiEE10hipError_tPvRmT2_T3_T4_T5_mT6_T7_P12ihipStream_tbENKUlT_T0_E_clISt17integral_constantIbLb0EESY_EEDaST_SU_EUlST_E_NS1_11comp_targetILNS1_3genE9ELNS1_11target_archE1100ELNS1_3gpuE3ELNS1_3repE0EEENS1_30default_config_static_selectorELNS0_4arch9wavefront6targetE0EEEvT1_,comdat
	.protected	_ZN7rocprim17ROCPRIM_400000_NS6detail17trampoline_kernelINS0_14default_configENS1_27scan_by_key_config_selectorIiiEEZZNS1_16scan_by_key_implILNS1_25lookback_scan_determinismE0ELb0ES3_N6thrust23THRUST_200600_302600_NS6detail15normal_iteratorINS9_10device_ptrIiEEEESE_SE_iNS9_4plusIiEE19head_flag_predicateiEE10hipError_tPvRmT2_T3_T4_T5_mT6_T7_P12ihipStream_tbENKUlT_T0_E_clISt17integral_constantIbLb0EESY_EEDaST_SU_EUlST_E_NS1_11comp_targetILNS1_3genE9ELNS1_11target_archE1100ELNS1_3gpuE3ELNS1_3repE0EEENS1_30default_config_static_selectorELNS0_4arch9wavefront6targetE0EEEvT1_ ; -- Begin function _ZN7rocprim17ROCPRIM_400000_NS6detail17trampoline_kernelINS0_14default_configENS1_27scan_by_key_config_selectorIiiEEZZNS1_16scan_by_key_implILNS1_25lookback_scan_determinismE0ELb0ES3_N6thrust23THRUST_200600_302600_NS6detail15normal_iteratorINS9_10device_ptrIiEEEESE_SE_iNS9_4plusIiEE19head_flag_predicateiEE10hipError_tPvRmT2_T3_T4_T5_mT6_T7_P12ihipStream_tbENKUlT_T0_E_clISt17integral_constantIbLb0EESY_EEDaST_SU_EUlST_E_NS1_11comp_targetILNS1_3genE9ELNS1_11target_archE1100ELNS1_3gpuE3ELNS1_3repE0EEENS1_30default_config_static_selectorELNS0_4arch9wavefront6targetE0EEEvT1_
	.globl	_ZN7rocprim17ROCPRIM_400000_NS6detail17trampoline_kernelINS0_14default_configENS1_27scan_by_key_config_selectorIiiEEZZNS1_16scan_by_key_implILNS1_25lookback_scan_determinismE0ELb0ES3_N6thrust23THRUST_200600_302600_NS6detail15normal_iteratorINS9_10device_ptrIiEEEESE_SE_iNS9_4plusIiEE19head_flag_predicateiEE10hipError_tPvRmT2_T3_T4_T5_mT6_T7_P12ihipStream_tbENKUlT_T0_E_clISt17integral_constantIbLb0EESY_EEDaST_SU_EUlST_E_NS1_11comp_targetILNS1_3genE9ELNS1_11target_archE1100ELNS1_3gpuE3ELNS1_3repE0EEENS1_30default_config_static_selectorELNS0_4arch9wavefront6targetE0EEEvT1_
	.p2align	8
	.type	_ZN7rocprim17ROCPRIM_400000_NS6detail17trampoline_kernelINS0_14default_configENS1_27scan_by_key_config_selectorIiiEEZZNS1_16scan_by_key_implILNS1_25lookback_scan_determinismE0ELb0ES3_N6thrust23THRUST_200600_302600_NS6detail15normal_iteratorINS9_10device_ptrIiEEEESE_SE_iNS9_4plusIiEE19head_flag_predicateiEE10hipError_tPvRmT2_T3_T4_T5_mT6_T7_P12ihipStream_tbENKUlT_T0_E_clISt17integral_constantIbLb0EESY_EEDaST_SU_EUlST_E_NS1_11comp_targetILNS1_3genE9ELNS1_11target_archE1100ELNS1_3gpuE3ELNS1_3repE0EEENS1_30default_config_static_selectorELNS0_4arch9wavefront6targetE0EEEvT1_,@function
_ZN7rocprim17ROCPRIM_400000_NS6detail17trampoline_kernelINS0_14default_configENS1_27scan_by_key_config_selectorIiiEEZZNS1_16scan_by_key_implILNS1_25lookback_scan_determinismE0ELb0ES3_N6thrust23THRUST_200600_302600_NS6detail15normal_iteratorINS9_10device_ptrIiEEEESE_SE_iNS9_4plusIiEE19head_flag_predicateiEE10hipError_tPvRmT2_T3_T4_T5_mT6_T7_P12ihipStream_tbENKUlT_T0_E_clISt17integral_constantIbLb0EESY_EEDaST_SU_EUlST_E_NS1_11comp_targetILNS1_3genE9ELNS1_11target_archE1100ELNS1_3gpuE3ELNS1_3repE0EEENS1_30default_config_static_selectorELNS0_4arch9wavefront6targetE0EEEvT1_: ; @_ZN7rocprim17ROCPRIM_400000_NS6detail17trampoline_kernelINS0_14default_configENS1_27scan_by_key_config_selectorIiiEEZZNS1_16scan_by_key_implILNS1_25lookback_scan_determinismE0ELb0ES3_N6thrust23THRUST_200600_302600_NS6detail15normal_iteratorINS9_10device_ptrIiEEEESE_SE_iNS9_4plusIiEE19head_flag_predicateiEE10hipError_tPvRmT2_T3_T4_T5_mT6_T7_P12ihipStream_tbENKUlT_T0_E_clISt17integral_constantIbLb0EESY_EEDaST_SU_EUlST_E_NS1_11comp_targetILNS1_3genE9ELNS1_11target_archE1100ELNS1_3gpuE3ELNS1_3repE0EEENS1_30default_config_static_selectorELNS0_4arch9wavefront6targetE0EEEvT1_
; %bb.0:
	.section	.rodata,"a",@progbits
	.p2align	6, 0x0
	.amdhsa_kernel _ZN7rocprim17ROCPRIM_400000_NS6detail17trampoline_kernelINS0_14default_configENS1_27scan_by_key_config_selectorIiiEEZZNS1_16scan_by_key_implILNS1_25lookback_scan_determinismE0ELb0ES3_N6thrust23THRUST_200600_302600_NS6detail15normal_iteratorINS9_10device_ptrIiEEEESE_SE_iNS9_4plusIiEE19head_flag_predicateiEE10hipError_tPvRmT2_T3_T4_T5_mT6_T7_P12ihipStream_tbENKUlT_T0_E_clISt17integral_constantIbLb0EESY_EEDaST_SU_EUlST_E_NS1_11comp_targetILNS1_3genE9ELNS1_11target_archE1100ELNS1_3gpuE3ELNS1_3repE0EEENS1_30default_config_static_selectorELNS0_4arch9wavefront6targetE0EEEvT1_
		.amdhsa_group_segment_fixed_size 0
		.amdhsa_private_segment_fixed_size 0
		.amdhsa_kernarg_size 112
		.amdhsa_user_sgpr_count 2
		.amdhsa_user_sgpr_dispatch_ptr 0
		.amdhsa_user_sgpr_queue_ptr 0
		.amdhsa_user_sgpr_kernarg_segment_ptr 1
		.amdhsa_user_sgpr_dispatch_id 0
		.amdhsa_user_sgpr_kernarg_preload_length 0
		.amdhsa_user_sgpr_kernarg_preload_offset 0
		.amdhsa_user_sgpr_private_segment_size 0
		.amdhsa_wavefront_size32 1
		.amdhsa_uses_dynamic_stack 0
		.amdhsa_enable_private_segment 0
		.amdhsa_system_sgpr_workgroup_id_x 1
		.amdhsa_system_sgpr_workgroup_id_y 0
		.amdhsa_system_sgpr_workgroup_id_z 0
		.amdhsa_system_sgpr_workgroup_info 0
		.amdhsa_system_vgpr_workitem_id 0
		.amdhsa_next_free_vgpr 1
		.amdhsa_next_free_sgpr 1
		.amdhsa_named_barrier_count 0
		.amdhsa_reserve_vcc 0
		.amdhsa_float_round_mode_32 0
		.amdhsa_float_round_mode_16_64 0
		.amdhsa_float_denorm_mode_32 3
		.amdhsa_float_denorm_mode_16_64 3
		.amdhsa_fp16_overflow 0
		.amdhsa_memory_ordered 1
		.amdhsa_forward_progress 1
		.amdhsa_inst_pref_size 0
		.amdhsa_round_robin_scheduling 0
		.amdhsa_exception_fp_ieee_invalid_op 0
		.amdhsa_exception_fp_denorm_src 0
		.amdhsa_exception_fp_ieee_div_zero 0
		.amdhsa_exception_fp_ieee_overflow 0
		.amdhsa_exception_fp_ieee_underflow 0
		.amdhsa_exception_fp_ieee_inexact 0
		.amdhsa_exception_int_div_zero 0
	.end_amdhsa_kernel
	.section	.text._ZN7rocprim17ROCPRIM_400000_NS6detail17trampoline_kernelINS0_14default_configENS1_27scan_by_key_config_selectorIiiEEZZNS1_16scan_by_key_implILNS1_25lookback_scan_determinismE0ELb0ES3_N6thrust23THRUST_200600_302600_NS6detail15normal_iteratorINS9_10device_ptrIiEEEESE_SE_iNS9_4plusIiEE19head_flag_predicateiEE10hipError_tPvRmT2_T3_T4_T5_mT6_T7_P12ihipStream_tbENKUlT_T0_E_clISt17integral_constantIbLb0EESY_EEDaST_SU_EUlST_E_NS1_11comp_targetILNS1_3genE9ELNS1_11target_archE1100ELNS1_3gpuE3ELNS1_3repE0EEENS1_30default_config_static_selectorELNS0_4arch9wavefront6targetE0EEEvT1_,"axG",@progbits,_ZN7rocprim17ROCPRIM_400000_NS6detail17trampoline_kernelINS0_14default_configENS1_27scan_by_key_config_selectorIiiEEZZNS1_16scan_by_key_implILNS1_25lookback_scan_determinismE0ELb0ES3_N6thrust23THRUST_200600_302600_NS6detail15normal_iteratorINS9_10device_ptrIiEEEESE_SE_iNS9_4plusIiEE19head_flag_predicateiEE10hipError_tPvRmT2_T3_T4_T5_mT6_T7_P12ihipStream_tbENKUlT_T0_E_clISt17integral_constantIbLb0EESY_EEDaST_SU_EUlST_E_NS1_11comp_targetILNS1_3genE9ELNS1_11target_archE1100ELNS1_3gpuE3ELNS1_3repE0EEENS1_30default_config_static_selectorELNS0_4arch9wavefront6targetE0EEEvT1_,comdat
.Lfunc_end756:
	.size	_ZN7rocprim17ROCPRIM_400000_NS6detail17trampoline_kernelINS0_14default_configENS1_27scan_by_key_config_selectorIiiEEZZNS1_16scan_by_key_implILNS1_25lookback_scan_determinismE0ELb0ES3_N6thrust23THRUST_200600_302600_NS6detail15normal_iteratorINS9_10device_ptrIiEEEESE_SE_iNS9_4plusIiEE19head_flag_predicateiEE10hipError_tPvRmT2_T3_T4_T5_mT6_T7_P12ihipStream_tbENKUlT_T0_E_clISt17integral_constantIbLb0EESY_EEDaST_SU_EUlST_E_NS1_11comp_targetILNS1_3genE9ELNS1_11target_archE1100ELNS1_3gpuE3ELNS1_3repE0EEENS1_30default_config_static_selectorELNS0_4arch9wavefront6targetE0EEEvT1_, .Lfunc_end756-_ZN7rocprim17ROCPRIM_400000_NS6detail17trampoline_kernelINS0_14default_configENS1_27scan_by_key_config_selectorIiiEEZZNS1_16scan_by_key_implILNS1_25lookback_scan_determinismE0ELb0ES3_N6thrust23THRUST_200600_302600_NS6detail15normal_iteratorINS9_10device_ptrIiEEEESE_SE_iNS9_4plusIiEE19head_flag_predicateiEE10hipError_tPvRmT2_T3_T4_T5_mT6_T7_P12ihipStream_tbENKUlT_T0_E_clISt17integral_constantIbLb0EESY_EEDaST_SU_EUlST_E_NS1_11comp_targetILNS1_3genE9ELNS1_11target_archE1100ELNS1_3gpuE3ELNS1_3repE0EEENS1_30default_config_static_selectorELNS0_4arch9wavefront6targetE0EEEvT1_
                                        ; -- End function
	.set _ZN7rocprim17ROCPRIM_400000_NS6detail17trampoline_kernelINS0_14default_configENS1_27scan_by_key_config_selectorIiiEEZZNS1_16scan_by_key_implILNS1_25lookback_scan_determinismE0ELb0ES3_N6thrust23THRUST_200600_302600_NS6detail15normal_iteratorINS9_10device_ptrIiEEEESE_SE_iNS9_4plusIiEE19head_flag_predicateiEE10hipError_tPvRmT2_T3_T4_T5_mT6_T7_P12ihipStream_tbENKUlT_T0_E_clISt17integral_constantIbLb0EESY_EEDaST_SU_EUlST_E_NS1_11comp_targetILNS1_3genE9ELNS1_11target_archE1100ELNS1_3gpuE3ELNS1_3repE0EEENS1_30default_config_static_selectorELNS0_4arch9wavefront6targetE0EEEvT1_.num_vgpr, 0
	.set _ZN7rocprim17ROCPRIM_400000_NS6detail17trampoline_kernelINS0_14default_configENS1_27scan_by_key_config_selectorIiiEEZZNS1_16scan_by_key_implILNS1_25lookback_scan_determinismE0ELb0ES3_N6thrust23THRUST_200600_302600_NS6detail15normal_iteratorINS9_10device_ptrIiEEEESE_SE_iNS9_4plusIiEE19head_flag_predicateiEE10hipError_tPvRmT2_T3_T4_T5_mT6_T7_P12ihipStream_tbENKUlT_T0_E_clISt17integral_constantIbLb0EESY_EEDaST_SU_EUlST_E_NS1_11comp_targetILNS1_3genE9ELNS1_11target_archE1100ELNS1_3gpuE3ELNS1_3repE0EEENS1_30default_config_static_selectorELNS0_4arch9wavefront6targetE0EEEvT1_.num_agpr, 0
	.set _ZN7rocprim17ROCPRIM_400000_NS6detail17trampoline_kernelINS0_14default_configENS1_27scan_by_key_config_selectorIiiEEZZNS1_16scan_by_key_implILNS1_25lookback_scan_determinismE0ELb0ES3_N6thrust23THRUST_200600_302600_NS6detail15normal_iteratorINS9_10device_ptrIiEEEESE_SE_iNS9_4plusIiEE19head_flag_predicateiEE10hipError_tPvRmT2_T3_T4_T5_mT6_T7_P12ihipStream_tbENKUlT_T0_E_clISt17integral_constantIbLb0EESY_EEDaST_SU_EUlST_E_NS1_11comp_targetILNS1_3genE9ELNS1_11target_archE1100ELNS1_3gpuE3ELNS1_3repE0EEENS1_30default_config_static_selectorELNS0_4arch9wavefront6targetE0EEEvT1_.numbered_sgpr, 0
	.set _ZN7rocprim17ROCPRIM_400000_NS6detail17trampoline_kernelINS0_14default_configENS1_27scan_by_key_config_selectorIiiEEZZNS1_16scan_by_key_implILNS1_25lookback_scan_determinismE0ELb0ES3_N6thrust23THRUST_200600_302600_NS6detail15normal_iteratorINS9_10device_ptrIiEEEESE_SE_iNS9_4plusIiEE19head_flag_predicateiEE10hipError_tPvRmT2_T3_T4_T5_mT6_T7_P12ihipStream_tbENKUlT_T0_E_clISt17integral_constantIbLb0EESY_EEDaST_SU_EUlST_E_NS1_11comp_targetILNS1_3genE9ELNS1_11target_archE1100ELNS1_3gpuE3ELNS1_3repE0EEENS1_30default_config_static_selectorELNS0_4arch9wavefront6targetE0EEEvT1_.num_named_barrier, 0
	.set _ZN7rocprim17ROCPRIM_400000_NS6detail17trampoline_kernelINS0_14default_configENS1_27scan_by_key_config_selectorIiiEEZZNS1_16scan_by_key_implILNS1_25lookback_scan_determinismE0ELb0ES3_N6thrust23THRUST_200600_302600_NS6detail15normal_iteratorINS9_10device_ptrIiEEEESE_SE_iNS9_4plusIiEE19head_flag_predicateiEE10hipError_tPvRmT2_T3_T4_T5_mT6_T7_P12ihipStream_tbENKUlT_T0_E_clISt17integral_constantIbLb0EESY_EEDaST_SU_EUlST_E_NS1_11comp_targetILNS1_3genE9ELNS1_11target_archE1100ELNS1_3gpuE3ELNS1_3repE0EEENS1_30default_config_static_selectorELNS0_4arch9wavefront6targetE0EEEvT1_.private_seg_size, 0
	.set _ZN7rocprim17ROCPRIM_400000_NS6detail17trampoline_kernelINS0_14default_configENS1_27scan_by_key_config_selectorIiiEEZZNS1_16scan_by_key_implILNS1_25lookback_scan_determinismE0ELb0ES3_N6thrust23THRUST_200600_302600_NS6detail15normal_iteratorINS9_10device_ptrIiEEEESE_SE_iNS9_4plusIiEE19head_flag_predicateiEE10hipError_tPvRmT2_T3_T4_T5_mT6_T7_P12ihipStream_tbENKUlT_T0_E_clISt17integral_constantIbLb0EESY_EEDaST_SU_EUlST_E_NS1_11comp_targetILNS1_3genE9ELNS1_11target_archE1100ELNS1_3gpuE3ELNS1_3repE0EEENS1_30default_config_static_selectorELNS0_4arch9wavefront6targetE0EEEvT1_.uses_vcc, 0
	.set _ZN7rocprim17ROCPRIM_400000_NS6detail17trampoline_kernelINS0_14default_configENS1_27scan_by_key_config_selectorIiiEEZZNS1_16scan_by_key_implILNS1_25lookback_scan_determinismE0ELb0ES3_N6thrust23THRUST_200600_302600_NS6detail15normal_iteratorINS9_10device_ptrIiEEEESE_SE_iNS9_4plusIiEE19head_flag_predicateiEE10hipError_tPvRmT2_T3_T4_T5_mT6_T7_P12ihipStream_tbENKUlT_T0_E_clISt17integral_constantIbLb0EESY_EEDaST_SU_EUlST_E_NS1_11comp_targetILNS1_3genE9ELNS1_11target_archE1100ELNS1_3gpuE3ELNS1_3repE0EEENS1_30default_config_static_selectorELNS0_4arch9wavefront6targetE0EEEvT1_.uses_flat_scratch, 0
	.set _ZN7rocprim17ROCPRIM_400000_NS6detail17trampoline_kernelINS0_14default_configENS1_27scan_by_key_config_selectorIiiEEZZNS1_16scan_by_key_implILNS1_25lookback_scan_determinismE0ELb0ES3_N6thrust23THRUST_200600_302600_NS6detail15normal_iteratorINS9_10device_ptrIiEEEESE_SE_iNS9_4plusIiEE19head_flag_predicateiEE10hipError_tPvRmT2_T3_T4_T5_mT6_T7_P12ihipStream_tbENKUlT_T0_E_clISt17integral_constantIbLb0EESY_EEDaST_SU_EUlST_E_NS1_11comp_targetILNS1_3genE9ELNS1_11target_archE1100ELNS1_3gpuE3ELNS1_3repE0EEENS1_30default_config_static_selectorELNS0_4arch9wavefront6targetE0EEEvT1_.has_dyn_sized_stack, 0
	.set _ZN7rocprim17ROCPRIM_400000_NS6detail17trampoline_kernelINS0_14default_configENS1_27scan_by_key_config_selectorIiiEEZZNS1_16scan_by_key_implILNS1_25lookback_scan_determinismE0ELb0ES3_N6thrust23THRUST_200600_302600_NS6detail15normal_iteratorINS9_10device_ptrIiEEEESE_SE_iNS9_4plusIiEE19head_flag_predicateiEE10hipError_tPvRmT2_T3_T4_T5_mT6_T7_P12ihipStream_tbENKUlT_T0_E_clISt17integral_constantIbLb0EESY_EEDaST_SU_EUlST_E_NS1_11comp_targetILNS1_3genE9ELNS1_11target_archE1100ELNS1_3gpuE3ELNS1_3repE0EEENS1_30default_config_static_selectorELNS0_4arch9wavefront6targetE0EEEvT1_.has_recursion, 0
	.set _ZN7rocprim17ROCPRIM_400000_NS6detail17trampoline_kernelINS0_14default_configENS1_27scan_by_key_config_selectorIiiEEZZNS1_16scan_by_key_implILNS1_25lookback_scan_determinismE0ELb0ES3_N6thrust23THRUST_200600_302600_NS6detail15normal_iteratorINS9_10device_ptrIiEEEESE_SE_iNS9_4plusIiEE19head_flag_predicateiEE10hipError_tPvRmT2_T3_T4_T5_mT6_T7_P12ihipStream_tbENKUlT_T0_E_clISt17integral_constantIbLb0EESY_EEDaST_SU_EUlST_E_NS1_11comp_targetILNS1_3genE9ELNS1_11target_archE1100ELNS1_3gpuE3ELNS1_3repE0EEENS1_30default_config_static_selectorELNS0_4arch9wavefront6targetE0EEEvT1_.has_indirect_call, 0
	.section	.AMDGPU.csdata,"",@progbits
; Kernel info:
; codeLenInByte = 0
; TotalNumSgprs: 0
; NumVgprs: 0
; ScratchSize: 0
; MemoryBound: 0
; FloatMode: 240
; IeeeMode: 1
; LDSByteSize: 0 bytes/workgroup (compile time only)
; SGPRBlocks: 0
; VGPRBlocks: 0
; NumSGPRsForWavesPerEU: 1
; NumVGPRsForWavesPerEU: 1
; NamedBarCnt: 0
; Occupancy: 16
; WaveLimiterHint : 0
; COMPUTE_PGM_RSRC2:SCRATCH_EN: 0
; COMPUTE_PGM_RSRC2:USER_SGPR: 2
; COMPUTE_PGM_RSRC2:TRAP_HANDLER: 0
; COMPUTE_PGM_RSRC2:TGID_X_EN: 1
; COMPUTE_PGM_RSRC2:TGID_Y_EN: 0
; COMPUTE_PGM_RSRC2:TGID_Z_EN: 0
; COMPUTE_PGM_RSRC2:TIDIG_COMP_CNT: 0
	.section	.text._ZN7rocprim17ROCPRIM_400000_NS6detail17trampoline_kernelINS0_14default_configENS1_27scan_by_key_config_selectorIiiEEZZNS1_16scan_by_key_implILNS1_25lookback_scan_determinismE0ELb0ES3_N6thrust23THRUST_200600_302600_NS6detail15normal_iteratorINS9_10device_ptrIiEEEESE_SE_iNS9_4plusIiEE19head_flag_predicateiEE10hipError_tPvRmT2_T3_T4_T5_mT6_T7_P12ihipStream_tbENKUlT_T0_E_clISt17integral_constantIbLb0EESY_EEDaST_SU_EUlST_E_NS1_11comp_targetILNS1_3genE8ELNS1_11target_archE1030ELNS1_3gpuE2ELNS1_3repE0EEENS1_30default_config_static_selectorELNS0_4arch9wavefront6targetE0EEEvT1_,"axG",@progbits,_ZN7rocprim17ROCPRIM_400000_NS6detail17trampoline_kernelINS0_14default_configENS1_27scan_by_key_config_selectorIiiEEZZNS1_16scan_by_key_implILNS1_25lookback_scan_determinismE0ELb0ES3_N6thrust23THRUST_200600_302600_NS6detail15normal_iteratorINS9_10device_ptrIiEEEESE_SE_iNS9_4plusIiEE19head_flag_predicateiEE10hipError_tPvRmT2_T3_T4_T5_mT6_T7_P12ihipStream_tbENKUlT_T0_E_clISt17integral_constantIbLb0EESY_EEDaST_SU_EUlST_E_NS1_11comp_targetILNS1_3genE8ELNS1_11target_archE1030ELNS1_3gpuE2ELNS1_3repE0EEENS1_30default_config_static_selectorELNS0_4arch9wavefront6targetE0EEEvT1_,comdat
	.protected	_ZN7rocprim17ROCPRIM_400000_NS6detail17trampoline_kernelINS0_14default_configENS1_27scan_by_key_config_selectorIiiEEZZNS1_16scan_by_key_implILNS1_25lookback_scan_determinismE0ELb0ES3_N6thrust23THRUST_200600_302600_NS6detail15normal_iteratorINS9_10device_ptrIiEEEESE_SE_iNS9_4plusIiEE19head_flag_predicateiEE10hipError_tPvRmT2_T3_T4_T5_mT6_T7_P12ihipStream_tbENKUlT_T0_E_clISt17integral_constantIbLb0EESY_EEDaST_SU_EUlST_E_NS1_11comp_targetILNS1_3genE8ELNS1_11target_archE1030ELNS1_3gpuE2ELNS1_3repE0EEENS1_30default_config_static_selectorELNS0_4arch9wavefront6targetE0EEEvT1_ ; -- Begin function _ZN7rocprim17ROCPRIM_400000_NS6detail17trampoline_kernelINS0_14default_configENS1_27scan_by_key_config_selectorIiiEEZZNS1_16scan_by_key_implILNS1_25lookback_scan_determinismE0ELb0ES3_N6thrust23THRUST_200600_302600_NS6detail15normal_iteratorINS9_10device_ptrIiEEEESE_SE_iNS9_4plusIiEE19head_flag_predicateiEE10hipError_tPvRmT2_T3_T4_T5_mT6_T7_P12ihipStream_tbENKUlT_T0_E_clISt17integral_constantIbLb0EESY_EEDaST_SU_EUlST_E_NS1_11comp_targetILNS1_3genE8ELNS1_11target_archE1030ELNS1_3gpuE2ELNS1_3repE0EEENS1_30default_config_static_selectorELNS0_4arch9wavefront6targetE0EEEvT1_
	.globl	_ZN7rocprim17ROCPRIM_400000_NS6detail17trampoline_kernelINS0_14default_configENS1_27scan_by_key_config_selectorIiiEEZZNS1_16scan_by_key_implILNS1_25lookback_scan_determinismE0ELb0ES3_N6thrust23THRUST_200600_302600_NS6detail15normal_iteratorINS9_10device_ptrIiEEEESE_SE_iNS9_4plusIiEE19head_flag_predicateiEE10hipError_tPvRmT2_T3_T4_T5_mT6_T7_P12ihipStream_tbENKUlT_T0_E_clISt17integral_constantIbLb0EESY_EEDaST_SU_EUlST_E_NS1_11comp_targetILNS1_3genE8ELNS1_11target_archE1030ELNS1_3gpuE2ELNS1_3repE0EEENS1_30default_config_static_selectorELNS0_4arch9wavefront6targetE0EEEvT1_
	.p2align	8
	.type	_ZN7rocprim17ROCPRIM_400000_NS6detail17trampoline_kernelINS0_14default_configENS1_27scan_by_key_config_selectorIiiEEZZNS1_16scan_by_key_implILNS1_25lookback_scan_determinismE0ELb0ES3_N6thrust23THRUST_200600_302600_NS6detail15normal_iteratorINS9_10device_ptrIiEEEESE_SE_iNS9_4plusIiEE19head_flag_predicateiEE10hipError_tPvRmT2_T3_T4_T5_mT6_T7_P12ihipStream_tbENKUlT_T0_E_clISt17integral_constantIbLb0EESY_EEDaST_SU_EUlST_E_NS1_11comp_targetILNS1_3genE8ELNS1_11target_archE1030ELNS1_3gpuE2ELNS1_3repE0EEENS1_30default_config_static_selectorELNS0_4arch9wavefront6targetE0EEEvT1_,@function
_ZN7rocprim17ROCPRIM_400000_NS6detail17trampoline_kernelINS0_14default_configENS1_27scan_by_key_config_selectorIiiEEZZNS1_16scan_by_key_implILNS1_25lookback_scan_determinismE0ELb0ES3_N6thrust23THRUST_200600_302600_NS6detail15normal_iteratorINS9_10device_ptrIiEEEESE_SE_iNS9_4plusIiEE19head_flag_predicateiEE10hipError_tPvRmT2_T3_T4_T5_mT6_T7_P12ihipStream_tbENKUlT_T0_E_clISt17integral_constantIbLb0EESY_EEDaST_SU_EUlST_E_NS1_11comp_targetILNS1_3genE8ELNS1_11target_archE1030ELNS1_3gpuE2ELNS1_3repE0EEENS1_30default_config_static_selectorELNS0_4arch9wavefront6targetE0EEEvT1_: ; @_ZN7rocprim17ROCPRIM_400000_NS6detail17trampoline_kernelINS0_14default_configENS1_27scan_by_key_config_selectorIiiEEZZNS1_16scan_by_key_implILNS1_25lookback_scan_determinismE0ELb0ES3_N6thrust23THRUST_200600_302600_NS6detail15normal_iteratorINS9_10device_ptrIiEEEESE_SE_iNS9_4plusIiEE19head_flag_predicateiEE10hipError_tPvRmT2_T3_T4_T5_mT6_T7_P12ihipStream_tbENKUlT_T0_E_clISt17integral_constantIbLb0EESY_EEDaST_SU_EUlST_E_NS1_11comp_targetILNS1_3genE8ELNS1_11target_archE1030ELNS1_3gpuE2ELNS1_3repE0EEENS1_30default_config_static_selectorELNS0_4arch9wavefront6targetE0EEEvT1_
; %bb.0:
	.section	.rodata,"a",@progbits
	.p2align	6, 0x0
	.amdhsa_kernel _ZN7rocprim17ROCPRIM_400000_NS6detail17trampoline_kernelINS0_14default_configENS1_27scan_by_key_config_selectorIiiEEZZNS1_16scan_by_key_implILNS1_25lookback_scan_determinismE0ELb0ES3_N6thrust23THRUST_200600_302600_NS6detail15normal_iteratorINS9_10device_ptrIiEEEESE_SE_iNS9_4plusIiEE19head_flag_predicateiEE10hipError_tPvRmT2_T3_T4_T5_mT6_T7_P12ihipStream_tbENKUlT_T0_E_clISt17integral_constantIbLb0EESY_EEDaST_SU_EUlST_E_NS1_11comp_targetILNS1_3genE8ELNS1_11target_archE1030ELNS1_3gpuE2ELNS1_3repE0EEENS1_30default_config_static_selectorELNS0_4arch9wavefront6targetE0EEEvT1_
		.amdhsa_group_segment_fixed_size 0
		.amdhsa_private_segment_fixed_size 0
		.amdhsa_kernarg_size 112
		.amdhsa_user_sgpr_count 2
		.amdhsa_user_sgpr_dispatch_ptr 0
		.amdhsa_user_sgpr_queue_ptr 0
		.amdhsa_user_sgpr_kernarg_segment_ptr 1
		.amdhsa_user_sgpr_dispatch_id 0
		.amdhsa_user_sgpr_kernarg_preload_length 0
		.amdhsa_user_sgpr_kernarg_preload_offset 0
		.amdhsa_user_sgpr_private_segment_size 0
		.amdhsa_wavefront_size32 1
		.amdhsa_uses_dynamic_stack 0
		.amdhsa_enable_private_segment 0
		.amdhsa_system_sgpr_workgroup_id_x 1
		.amdhsa_system_sgpr_workgroup_id_y 0
		.amdhsa_system_sgpr_workgroup_id_z 0
		.amdhsa_system_sgpr_workgroup_info 0
		.amdhsa_system_vgpr_workitem_id 0
		.amdhsa_next_free_vgpr 1
		.amdhsa_next_free_sgpr 1
		.amdhsa_named_barrier_count 0
		.amdhsa_reserve_vcc 0
		.amdhsa_float_round_mode_32 0
		.amdhsa_float_round_mode_16_64 0
		.amdhsa_float_denorm_mode_32 3
		.amdhsa_float_denorm_mode_16_64 3
		.amdhsa_fp16_overflow 0
		.amdhsa_memory_ordered 1
		.amdhsa_forward_progress 1
		.amdhsa_inst_pref_size 0
		.amdhsa_round_robin_scheduling 0
		.amdhsa_exception_fp_ieee_invalid_op 0
		.amdhsa_exception_fp_denorm_src 0
		.amdhsa_exception_fp_ieee_div_zero 0
		.amdhsa_exception_fp_ieee_overflow 0
		.amdhsa_exception_fp_ieee_underflow 0
		.amdhsa_exception_fp_ieee_inexact 0
		.amdhsa_exception_int_div_zero 0
	.end_amdhsa_kernel
	.section	.text._ZN7rocprim17ROCPRIM_400000_NS6detail17trampoline_kernelINS0_14default_configENS1_27scan_by_key_config_selectorIiiEEZZNS1_16scan_by_key_implILNS1_25lookback_scan_determinismE0ELb0ES3_N6thrust23THRUST_200600_302600_NS6detail15normal_iteratorINS9_10device_ptrIiEEEESE_SE_iNS9_4plusIiEE19head_flag_predicateiEE10hipError_tPvRmT2_T3_T4_T5_mT6_T7_P12ihipStream_tbENKUlT_T0_E_clISt17integral_constantIbLb0EESY_EEDaST_SU_EUlST_E_NS1_11comp_targetILNS1_3genE8ELNS1_11target_archE1030ELNS1_3gpuE2ELNS1_3repE0EEENS1_30default_config_static_selectorELNS0_4arch9wavefront6targetE0EEEvT1_,"axG",@progbits,_ZN7rocprim17ROCPRIM_400000_NS6detail17trampoline_kernelINS0_14default_configENS1_27scan_by_key_config_selectorIiiEEZZNS1_16scan_by_key_implILNS1_25lookback_scan_determinismE0ELb0ES3_N6thrust23THRUST_200600_302600_NS6detail15normal_iteratorINS9_10device_ptrIiEEEESE_SE_iNS9_4plusIiEE19head_flag_predicateiEE10hipError_tPvRmT2_T3_T4_T5_mT6_T7_P12ihipStream_tbENKUlT_T0_E_clISt17integral_constantIbLb0EESY_EEDaST_SU_EUlST_E_NS1_11comp_targetILNS1_3genE8ELNS1_11target_archE1030ELNS1_3gpuE2ELNS1_3repE0EEENS1_30default_config_static_selectorELNS0_4arch9wavefront6targetE0EEEvT1_,comdat
.Lfunc_end757:
	.size	_ZN7rocprim17ROCPRIM_400000_NS6detail17trampoline_kernelINS0_14default_configENS1_27scan_by_key_config_selectorIiiEEZZNS1_16scan_by_key_implILNS1_25lookback_scan_determinismE0ELb0ES3_N6thrust23THRUST_200600_302600_NS6detail15normal_iteratorINS9_10device_ptrIiEEEESE_SE_iNS9_4plusIiEE19head_flag_predicateiEE10hipError_tPvRmT2_T3_T4_T5_mT6_T7_P12ihipStream_tbENKUlT_T0_E_clISt17integral_constantIbLb0EESY_EEDaST_SU_EUlST_E_NS1_11comp_targetILNS1_3genE8ELNS1_11target_archE1030ELNS1_3gpuE2ELNS1_3repE0EEENS1_30default_config_static_selectorELNS0_4arch9wavefront6targetE0EEEvT1_, .Lfunc_end757-_ZN7rocprim17ROCPRIM_400000_NS6detail17trampoline_kernelINS0_14default_configENS1_27scan_by_key_config_selectorIiiEEZZNS1_16scan_by_key_implILNS1_25lookback_scan_determinismE0ELb0ES3_N6thrust23THRUST_200600_302600_NS6detail15normal_iteratorINS9_10device_ptrIiEEEESE_SE_iNS9_4plusIiEE19head_flag_predicateiEE10hipError_tPvRmT2_T3_T4_T5_mT6_T7_P12ihipStream_tbENKUlT_T0_E_clISt17integral_constantIbLb0EESY_EEDaST_SU_EUlST_E_NS1_11comp_targetILNS1_3genE8ELNS1_11target_archE1030ELNS1_3gpuE2ELNS1_3repE0EEENS1_30default_config_static_selectorELNS0_4arch9wavefront6targetE0EEEvT1_
                                        ; -- End function
	.set _ZN7rocprim17ROCPRIM_400000_NS6detail17trampoline_kernelINS0_14default_configENS1_27scan_by_key_config_selectorIiiEEZZNS1_16scan_by_key_implILNS1_25lookback_scan_determinismE0ELb0ES3_N6thrust23THRUST_200600_302600_NS6detail15normal_iteratorINS9_10device_ptrIiEEEESE_SE_iNS9_4plusIiEE19head_flag_predicateiEE10hipError_tPvRmT2_T3_T4_T5_mT6_T7_P12ihipStream_tbENKUlT_T0_E_clISt17integral_constantIbLb0EESY_EEDaST_SU_EUlST_E_NS1_11comp_targetILNS1_3genE8ELNS1_11target_archE1030ELNS1_3gpuE2ELNS1_3repE0EEENS1_30default_config_static_selectorELNS0_4arch9wavefront6targetE0EEEvT1_.num_vgpr, 0
	.set _ZN7rocprim17ROCPRIM_400000_NS6detail17trampoline_kernelINS0_14default_configENS1_27scan_by_key_config_selectorIiiEEZZNS1_16scan_by_key_implILNS1_25lookback_scan_determinismE0ELb0ES3_N6thrust23THRUST_200600_302600_NS6detail15normal_iteratorINS9_10device_ptrIiEEEESE_SE_iNS9_4plusIiEE19head_flag_predicateiEE10hipError_tPvRmT2_T3_T4_T5_mT6_T7_P12ihipStream_tbENKUlT_T0_E_clISt17integral_constantIbLb0EESY_EEDaST_SU_EUlST_E_NS1_11comp_targetILNS1_3genE8ELNS1_11target_archE1030ELNS1_3gpuE2ELNS1_3repE0EEENS1_30default_config_static_selectorELNS0_4arch9wavefront6targetE0EEEvT1_.num_agpr, 0
	.set _ZN7rocprim17ROCPRIM_400000_NS6detail17trampoline_kernelINS0_14default_configENS1_27scan_by_key_config_selectorIiiEEZZNS1_16scan_by_key_implILNS1_25lookback_scan_determinismE0ELb0ES3_N6thrust23THRUST_200600_302600_NS6detail15normal_iteratorINS9_10device_ptrIiEEEESE_SE_iNS9_4plusIiEE19head_flag_predicateiEE10hipError_tPvRmT2_T3_T4_T5_mT6_T7_P12ihipStream_tbENKUlT_T0_E_clISt17integral_constantIbLb0EESY_EEDaST_SU_EUlST_E_NS1_11comp_targetILNS1_3genE8ELNS1_11target_archE1030ELNS1_3gpuE2ELNS1_3repE0EEENS1_30default_config_static_selectorELNS0_4arch9wavefront6targetE0EEEvT1_.numbered_sgpr, 0
	.set _ZN7rocprim17ROCPRIM_400000_NS6detail17trampoline_kernelINS0_14default_configENS1_27scan_by_key_config_selectorIiiEEZZNS1_16scan_by_key_implILNS1_25lookback_scan_determinismE0ELb0ES3_N6thrust23THRUST_200600_302600_NS6detail15normal_iteratorINS9_10device_ptrIiEEEESE_SE_iNS9_4plusIiEE19head_flag_predicateiEE10hipError_tPvRmT2_T3_T4_T5_mT6_T7_P12ihipStream_tbENKUlT_T0_E_clISt17integral_constantIbLb0EESY_EEDaST_SU_EUlST_E_NS1_11comp_targetILNS1_3genE8ELNS1_11target_archE1030ELNS1_3gpuE2ELNS1_3repE0EEENS1_30default_config_static_selectorELNS0_4arch9wavefront6targetE0EEEvT1_.num_named_barrier, 0
	.set _ZN7rocprim17ROCPRIM_400000_NS6detail17trampoline_kernelINS0_14default_configENS1_27scan_by_key_config_selectorIiiEEZZNS1_16scan_by_key_implILNS1_25lookback_scan_determinismE0ELb0ES3_N6thrust23THRUST_200600_302600_NS6detail15normal_iteratorINS9_10device_ptrIiEEEESE_SE_iNS9_4plusIiEE19head_flag_predicateiEE10hipError_tPvRmT2_T3_T4_T5_mT6_T7_P12ihipStream_tbENKUlT_T0_E_clISt17integral_constantIbLb0EESY_EEDaST_SU_EUlST_E_NS1_11comp_targetILNS1_3genE8ELNS1_11target_archE1030ELNS1_3gpuE2ELNS1_3repE0EEENS1_30default_config_static_selectorELNS0_4arch9wavefront6targetE0EEEvT1_.private_seg_size, 0
	.set _ZN7rocprim17ROCPRIM_400000_NS6detail17trampoline_kernelINS0_14default_configENS1_27scan_by_key_config_selectorIiiEEZZNS1_16scan_by_key_implILNS1_25lookback_scan_determinismE0ELb0ES3_N6thrust23THRUST_200600_302600_NS6detail15normal_iteratorINS9_10device_ptrIiEEEESE_SE_iNS9_4plusIiEE19head_flag_predicateiEE10hipError_tPvRmT2_T3_T4_T5_mT6_T7_P12ihipStream_tbENKUlT_T0_E_clISt17integral_constantIbLb0EESY_EEDaST_SU_EUlST_E_NS1_11comp_targetILNS1_3genE8ELNS1_11target_archE1030ELNS1_3gpuE2ELNS1_3repE0EEENS1_30default_config_static_selectorELNS0_4arch9wavefront6targetE0EEEvT1_.uses_vcc, 0
	.set _ZN7rocprim17ROCPRIM_400000_NS6detail17trampoline_kernelINS0_14default_configENS1_27scan_by_key_config_selectorIiiEEZZNS1_16scan_by_key_implILNS1_25lookback_scan_determinismE0ELb0ES3_N6thrust23THRUST_200600_302600_NS6detail15normal_iteratorINS9_10device_ptrIiEEEESE_SE_iNS9_4plusIiEE19head_flag_predicateiEE10hipError_tPvRmT2_T3_T4_T5_mT6_T7_P12ihipStream_tbENKUlT_T0_E_clISt17integral_constantIbLb0EESY_EEDaST_SU_EUlST_E_NS1_11comp_targetILNS1_3genE8ELNS1_11target_archE1030ELNS1_3gpuE2ELNS1_3repE0EEENS1_30default_config_static_selectorELNS0_4arch9wavefront6targetE0EEEvT1_.uses_flat_scratch, 0
	.set _ZN7rocprim17ROCPRIM_400000_NS6detail17trampoline_kernelINS0_14default_configENS1_27scan_by_key_config_selectorIiiEEZZNS1_16scan_by_key_implILNS1_25lookback_scan_determinismE0ELb0ES3_N6thrust23THRUST_200600_302600_NS6detail15normal_iteratorINS9_10device_ptrIiEEEESE_SE_iNS9_4plusIiEE19head_flag_predicateiEE10hipError_tPvRmT2_T3_T4_T5_mT6_T7_P12ihipStream_tbENKUlT_T0_E_clISt17integral_constantIbLb0EESY_EEDaST_SU_EUlST_E_NS1_11comp_targetILNS1_3genE8ELNS1_11target_archE1030ELNS1_3gpuE2ELNS1_3repE0EEENS1_30default_config_static_selectorELNS0_4arch9wavefront6targetE0EEEvT1_.has_dyn_sized_stack, 0
	.set _ZN7rocprim17ROCPRIM_400000_NS6detail17trampoline_kernelINS0_14default_configENS1_27scan_by_key_config_selectorIiiEEZZNS1_16scan_by_key_implILNS1_25lookback_scan_determinismE0ELb0ES3_N6thrust23THRUST_200600_302600_NS6detail15normal_iteratorINS9_10device_ptrIiEEEESE_SE_iNS9_4plusIiEE19head_flag_predicateiEE10hipError_tPvRmT2_T3_T4_T5_mT6_T7_P12ihipStream_tbENKUlT_T0_E_clISt17integral_constantIbLb0EESY_EEDaST_SU_EUlST_E_NS1_11comp_targetILNS1_3genE8ELNS1_11target_archE1030ELNS1_3gpuE2ELNS1_3repE0EEENS1_30default_config_static_selectorELNS0_4arch9wavefront6targetE0EEEvT1_.has_recursion, 0
	.set _ZN7rocprim17ROCPRIM_400000_NS6detail17trampoline_kernelINS0_14default_configENS1_27scan_by_key_config_selectorIiiEEZZNS1_16scan_by_key_implILNS1_25lookback_scan_determinismE0ELb0ES3_N6thrust23THRUST_200600_302600_NS6detail15normal_iteratorINS9_10device_ptrIiEEEESE_SE_iNS9_4plusIiEE19head_flag_predicateiEE10hipError_tPvRmT2_T3_T4_T5_mT6_T7_P12ihipStream_tbENKUlT_T0_E_clISt17integral_constantIbLb0EESY_EEDaST_SU_EUlST_E_NS1_11comp_targetILNS1_3genE8ELNS1_11target_archE1030ELNS1_3gpuE2ELNS1_3repE0EEENS1_30default_config_static_selectorELNS0_4arch9wavefront6targetE0EEEvT1_.has_indirect_call, 0
	.section	.AMDGPU.csdata,"",@progbits
; Kernel info:
; codeLenInByte = 0
; TotalNumSgprs: 0
; NumVgprs: 0
; ScratchSize: 0
; MemoryBound: 0
; FloatMode: 240
; IeeeMode: 1
; LDSByteSize: 0 bytes/workgroup (compile time only)
; SGPRBlocks: 0
; VGPRBlocks: 0
; NumSGPRsForWavesPerEU: 1
; NumVGPRsForWavesPerEU: 1
; NamedBarCnt: 0
; Occupancy: 16
; WaveLimiterHint : 0
; COMPUTE_PGM_RSRC2:SCRATCH_EN: 0
; COMPUTE_PGM_RSRC2:USER_SGPR: 2
; COMPUTE_PGM_RSRC2:TRAP_HANDLER: 0
; COMPUTE_PGM_RSRC2:TGID_X_EN: 1
; COMPUTE_PGM_RSRC2:TGID_Y_EN: 0
; COMPUTE_PGM_RSRC2:TGID_Z_EN: 0
; COMPUTE_PGM_RSRC2:TIDIG_COMP_CNT: 0
	.section	.text._ZN7rocprim17ROCPRIM_400000_NS6detail17trampoline_kernelINS0_14default_configENS1_27scan_by_key_config_selectorIiiEEZZNS1_16scan_by_key_implILNS1_25lookback_scan_determinismE0ELb0ES3_N6thrust23THRUST_200600_302600_NS6detail15normal_iteratorINS9_10device_ptrIiEEEESE_SE_iNS9_4plusIiEE19head_flag_predicateiEE10hipError_tPvRmT2_T3_T4_T5_mT6_T7_P12ihipStream_tbENKUlT_T0_E_clISt17integral_constantIbLb1EESY_EEDaST_SU_EUlST_E_NS1_11comp_targetILNS1_3genE0ELNS1_11target_archE4294967295ELNS1_3gpuE0ELNS1_3repE0EEENS1_30default_config_static_selectorELNS0_4arch9wavefront6targetE0EEEvT1_,"axG",@progbits,_ZN7rocprim17ROCPRIM_400000_NS6detail17trampoline_kernelINS0_14default_configENS1_27scan_by_key_config_selectorIiiEEZZNS1_16scan_by_key_implILNS1_25lookback_scan_determinismE0ELb0ES3_N6thrust23THRUST_200600_302600_NS6detail15normal_iteratorINS9_10device_ptrIiEEEESE_SE_iNS9_4plusIiEE19head_flag_predicateiEE10hipError_tPvRmT2_T3_T4_T5_mT6_T7_P12ihipStream_tbENKUlT_T0_E_clISt17integral_constantIbLb1EESY_EEDaST_SU_EUlST_E_NS1_11comp_targetILNS1_3genE0ELNS1_11target_archE4294967295ELNS1_3gpuE0ELNS1_3repE0EEENS1_30default_config_static_selectorELNS0_4arch9wavefront6targetE0EEEvT1_,comdat
	.protected	_ZN7rocprim17ROCPRIM_400000_NS6detail17trampoline_kernelINS0_14default_configENS1_27scan_by_key_config_selectorIiiEEZZNS1_16scan_by_key_implILNS1_25lookback_scan_determinismE0ELb0ES3_N6thrust23THRUST_200600_302600_NS6detail15normal_iteratorINS9_10device_ptrIiEEEESE_SE_iNS9_4plusIiEE19head_flag_predicateiEE10hipError_tPvRmT2_T3_T4_T5_mT6_T7_P12ihipStream_tbENKUlT_T0_E_clISt17integral_constantIbLb1EESY_EEDaST_SU_EUlST_E_NS1_11comp_targetILNS1_3genE0ELNS1_11target_archE4294967295ELNS1_3gpuE0ELNS1_3repE0EEENS1_30default_config_static_selectorELNS0_4arch9wavefront6targetE0EEEvT1_ ; -- Begin function _ZN7rocprim17ROCPRIM_400000_NS6detail17trampoline_kernelINS0_14default_configENS1_27scan_by_key_config_selectorIiiEEZZNS1_16scan_by_key_implILNS1_25lookback_scan_determinismE0ELb0ES3_N6thrust23THRUST_200600_302600_NS6detail15normal_iteratorINS9_10device_ptrIiEEEESE_SE_iNS9_4plusIiEE19head_flag_predicateiEE10hipError_tPvRmT2_T3_T4_T5_mT6_T7_P12ihipStream_tbENKUlT_T0_E_clISt17integral_constantIbLb1EESY_EEDaST_SU_EUlST_E_NS1_11comp_targetILNS1_3genE0ELNS1_11target_archE4294967295ELNS1_3gpuE0ELNS1_3repE0EEENS1_30default_config_static_selectorELNS0_4arch9wavefront6targetE0EEEvT1_
	.globl	_ZN7rocprim17ROCPRIM_400000_NS6detail17trampoline_kernelINS0_14default_configENS1_27scan_by_key_config_selectorIiiEEZZNS1_16scan_by_key_implILNS1_25lookback_scan_determinismE0ELb0ES3_N6thrust23THRUST_200600_302600_NS6detail15normal_iteratorINS9_10device_ptrIiEEEESE_SE_iNS9_4plusIiEE19head_flag_predicateiEE10hipError_tPvRmT2_T3_T4_T5_mT6_T7_P12ihipStream_tbENKUlT_T0_E_clISt17integral_constantIbLb1EESY_EEDaST_SU_EUlST_E_NS1_11comp_targetILNS1_3genE0ELNS1_11target_archE4294967295ELNS1_3gpuE0ELNS1_3repE0EEENS1_30default_config_static_selectorELNS0_4arch9wavefront6targetE0EEEvT1_
	.p2align	8
	.type	_ZN7rocprim17ROCPRIM_400000_NS6detail17trampoline_kernelINS0_14default_configENS1_27scan_by_key_config_selectorIiiEEZZNS1_16scan_by_key_implILNS1_25lookback_scan_determinismE0ELb0ES3_N6thrust23THRUST_200600_302600_NS6detail15normal_iteratorINS9_10device_ptrIiEEEESE_SE_iNS9_4plusIiEE19head_flag_predicateiEE10hipError_tPvRmT2_T3_T4_T5_mT6_T7_P12ihipStream_tbENKUlT_T0_E_clISt17integral_constantIbLb1EESY_EEDaST_SU_EUlST_E_NS1_11comp_targetILNS1_3genE0ELNS1_11target_archE4294967295ELNS1_3gpuE0ELNS1_3repE0EEENS1_30default_config_static_selectorELNS0_4arch9wavefront6targetE0EEEvT1_,@function
_ZN7rocprim17ROCPRIM_400000_NS6detail17trampoline_kernelINS0_14default_configENS1_27scan_by_key_config_selectorIiiEEZZNS1_16scan_by_key_implILNS1_25lookback_scan_determinismE0ELb0ES3_N6thrust23THRUST_200600_302600_NS6detail15normal_iteratorINS9_10device_ptrIiEEEESE_SE_iNS9_4plusIiEE19head_flag_predicateiEE10hipError_tPvRmT2_T3_T4_T5_mT6_T7_P12ihipStream_tbENKUlT_T0_E_clISt17integral_constantIbLb1EESY_EEDaST_SU_EUlST_E_NS1_11comp_targetILNS1_3genE0ELNS1_11target_archE4294967295ELNS1_3gpuE0ELNS1_3repE0EEENS1_30default_config_static_selectorELNS0_4arch9wavefront6targetE0EEEvT1_: ; @_ZN7rocprim17ROCPRIM_400000_NS6detail17trampoline_kernelINS0_14default_configENS1_27scan_by_key_config_selectorIiiEEZZNS1_16scan_by_key_implILNS1_25lookback_scan_determinismE0ELb0ES3_N6thrust23THRUST_200600_302600_NS6detail15normal_iteratorINS9_10device_ptrIiEEEESE_SE_iNS9_4plusIiEE19head_flag_predicateiEE10hipError_tPvRmT2_T3_T4_T5_mT6_T7_P12ihipStream_tbENKUlT_T0_E_clISt17integral_constantIbLb1EESY_EEDaST_SU_EUlST_E_NS1_11comp_targetILNS1_3genE0ELNS1_11target_archE4294967295ELNS1_3gpuE0ELNS1_3repE0EEENS1_30default_config_static_selectorELNS0_4arch9wavefront6targetE0EEEvT1_
; %bb.0:
	s_endpgm
	.section	.rodata,"a",@progbits
	.p2align	6, 0x0
	.amdhsa_kernel _ZN7rocprim17ROCPRIM_400000_NS6detail17trampoline_kernelINS0_14default_configENS1_27scan_by_key_config_selectorIiiEEZZNS1_16scan_by_key_implILNS1_25lookback_scan_determinismE0ELb0ES3_N6thrust23THRUST_200600_302600_NS6detail15normal_iteratorINS9_10device_ptrIiEEEESE_SE_iNS9_4plusIiEE19head_flag_predicateiEE10hipError_tPvRmT2_T3_T4_T5_mT6_T7_P12ihipStream_tbENKUlT_T0_E_clISt17integral_constantIbLb1EESY_EEDaST_SU_EUlST_E_NS1_11comp_targetILNS1_3genE0ELNS1_11target_archE4294967295ELNS1_3gpuE0ELNS1_3repE0EEENS1_30default_config_static_selectorELNS0_4arch9wavefront6targetE0EEEvT1_
		.amdhsa_group_segment_fixed_size 0
		.amdhsa_private_segment_fixed_size 0
		.amdhsa_kernarg_size 112
		.amdhsa_user_sgpr_count 2
		.amdhsa_user_sgpr_dispatch_ptr 0
		.amdhsa_user_sgpr_queue_ptr 0
		.amdhsa_user_sgpr_kernarg_segment_ptr 1
		.amdhsa_user_sgpr_dispatch_id 0
		.amdhsa_user_sgpr_kernarg_preload_length 0
		.amdhsa_user_sgpr_kernarg_preload_offset 0
		.amdhsa_user_sgpr_private_segment_size 0
		.amdhsa_wavefront_size32 1
		.amdhsa_uses_dynamic_stack 0
		.amdhsa_enable_private_segment 0
		.amdhsa_system_sgpr_workgroup_id_x 1
		.amdhsa_system_sgpr_workgroup_id_y 0
		.amdhsa_system_sgpr_workgroup_id_z 0
		.amdhsa_system_sgpr_workgroup_info 0
		.amdhsa_system_vgpr_workitem_id 0
		.amdhsa_next_free_vgpr 1
		.amdhsa_next_free_sgpr 1
		.amdhsa_named_barrier_count 0
		.amdhsa_reserve_vcc 0
		.amdhsa_float_round_mode_32 0
		.amdhsa_float_round_mode_16_64 0
		.amdhsa_float_denorm_mode_32 3
		.amdhsa_float_denorm_mode_16_64 3
		.amdhsa_fp16_overflow 0
		.amdhsa_memory_ordered 1
		.amdhsa_forward_progress 1
		.amdhsa_inst_pref_size 1
		.amdhsa_round_robin_scheduling 0
		.amdhsa_exception_fp_ieee_invalid_op 0
		.amdhsa_exception_fp_denorm_src 0
		.amdhsa_exception_fp_ieee_div_zero 0
		.amdhsa_exception_fp_ieee_overflow 0
		.amdhsa_exception_fp_ieee_underflow 0
		.amdhsa_exception_fp_ieee_inexact 0
		.amdhsa_exception_int_div_zero 0
	.end_amdhsa_kernel
	.section	.text._ZN7rocprim17ROCPRIM_400000_NS6detail17trampoline_kernelINS0_14default_configENS1_27scan_by_key_config_selectorIiiEEZZNS1_16scan_by_key_implILNS1_25lookback_scan_determinismE0ELb0ES3_N6thrust23THRUST_200600_302600_NS6detail15normal_iteratorINS9_10device_ptrIiEEEESE_SE_iNS9_4plusIiEE19head_flag_predicateiEE10hipError_tPvRmT2_T3_T4_T5_mT6_T7_P12ihipStream_tbENKUlT_T0_E_clISt17integral_constantIbLb1EESY_EEDaST_SU_EUlST_E_NS1_11comp_targetILNS1_3genE0ELNS1_11target_archE4294967295ELNS1_3gpuE0ELNS1_3repE0EEENS1_30default_config_static_selectorELNS0_4arch9wavefront6targetE0EEEvT1_,"axG",@progbits,_ZN7rocprim17ROCPRIM_400000_NS6detail17trampoline_kernelINS0_14default_configENS1_27scan_by_key_config_selectorIiiEEZZNS1_16scan_by_key_implILNS1_25lookback_scan_determinismE0ELb0ES3_N6thrust23THRUST_200600_302600_NS6detail15normal_iteratorINS9_10device_ptrIiEEEESE_SE_iNS9_4plusIiEE19head_flag_predicateiEE10hipError_tPvRmT2_T3_T4_T5_mT6_T7_P12ihipStream_tbENKUlT_T0_E_clISt17integral_constantIbLb1EESY_EEDaST_SU_EUlST_E_NS1_11comp_targetILNS1_3genE0ELNS1_11target_archE4294967295ELNS1_3gpuE0ELNS1_3repE0EEENS1_30default_config_static_selectorELNS0_4arch9wavefront6targetE0EEEvT1_,comdat
.Lfunc_end758:
	.size	_ZN7rocprim17ROCPRIM_400000_NS6detail17trampoline_kernelINS0_14default_configENS1_27scan_by_key_config_selectorIiiEEZZNS1_16scan_by_key_implILNS1_25lookback_scan_determinismE0ELb0ES3_N6thrust23THRUST_200600_302600_NS6detail15normal_iteratorINS9_10device_ptrIiEEEESE_SE_iNS9_4plusIiEE19head_flag_predicateiEE10hipError_tPvRmT2_T3_T4_T5_mT6_T7_P12ihipStream_tbENKUlT_T0_E_clISt17integral_constantIbLb1EESY_EEDaST_SU_EUlST_E_NS1_11comp_targetILNS1_3genE0ELNS1_11target_archE4294967295ELNS1_3gpuE0ELNS1_3repE0EEENS1_30default_config_static_selectorELNS0_4arch9wavefront6targetE0EEEvT1_, .Lfunc_end758-_ZN7rocprim17ROCPRIM_400000_NS6detail17trampoline_kernelINS0_14default_configENS1_27scan_by_key_config_selectorIiiEEZZNS1_16scan_by_key_implILNS1_25lookback_scan_determinismE0ELb0ES3_N6thrust23THRUST_200600_302600_NS6detail15normal_iteratorINS9_10device_ptrIiEEEESE_SE_iNS9_4plusIiEE19head_flag_predicateiEE10hipError_tPvRmT2_T3_T4_T5_mT6_T7_P12ihipStream_tbENKUlT_T0_E_clISt17integral_constantIbLb1EESY_EEDaST_SU_EUlST_E_NS1_11comp_targetILNS1_3genE0ELNS1_11target_archE4294967295ELNS1_3gpuE0ELNS1_3repE0EEENS1_30default_config_static_selectorELNS0_4arch9wavefront6targetE0EEEvT1_
                                        ; -- End function
	.set _ZN7rocprim17ROCPRIM_400000_NS6detail17trampoline_kernelINS0_14default_configENS1_27scan_by_key_config_selectorIiiEEZZNS1_16scan_by_key_implILNS1_25lookback_scan_determinismE0ELb0ES3_N6thrust23THRUST_200600_302600_NS6detail15normal_iteratorINS9_10device_ptrIiEEEESE_SE_iNS9_4plusIiEE19head_flag_predicateiEE10hipError_tPvRmT2_T3_T4_T5_mT6_T7_P12ihipStream_tbENKUlT_T0_E_clISt17integral_constantIbLb1EESY_EEDaST_SU_EUlST_E_NS1_11comp_targetILNS1_3genE0ELNS1_11target_archE4294967295ELNS1_3gpuE0ELNS1_3repE0EEENS1_30default_config_static_selectorELNS0_4arch9wavefront6targetE0EEEvT1_.num_vgpr, 0
	.set _ZN7rocprim17ROCPRIM_400000_NS6detail17trampoline_kernelINS0_14default_configENS1_27scan_by_key_config_selectorIiiEEZZNS1_16scan_by_key_implILNS1_25lookback_scan_determinismE0ELb0ES3_N6thrust23THRUST_200600_302600_NS6detail15normal_iteratorINS9_10device_ptrIiEEEESE_SE_iNS9_4plusIiEE19head_flag_predicateiEE10hipError_tPvRmT2_T3_T4_T5_mT6_T7_P12ihipStream_tbENKUlT_T0_E_clISt17integral_constantIbLb1EESY_EEDaST_SU_EUlST_E_NS1_11comp_targetILNS1_3genE0ELNS1_11target_archE4294967295ELNS1_3gpuE0ELNS1_3repE0EEENS1_30default_config_static_selectorELNS0_4arch9wavefront6targetE0EEEvT1_.num_agpr, 0
	.set _ZN7rocprim17ROCPRIM_400000_NS6detail17trampoline_kernelINS0_14default_configENS1_27scan_by_key_config_selectorIiiEEZZNS1_16scan_by_key_implILNS1_25lookback_scan_determinismE0ELb0ES3_N6thrust23THRUST_200600_302600_NS6detail15normal_iteratorINS9_10device_ptrIiEEEESE_SE_iNS9_4plusIiEE19head_flag_predicateiEE10hipError_tPvRmT2_T3_T4_T5_mT6_T7_P12ihipStream_tbENKUlT_T0_E_clISt17integral_constantIbLb1EESY_EEDaST_SU_EUlST_E_NS1_11comp_targetILNS1_3genE0ELNS1_11target_archE4294967295ELNS1_3gpuE0ELNS1_3repE0EEENS1_30default_config_static_selectorELNS0_4arch9wavefront6targetE0EEEvT1_.numbered_sgpr, 0
	.set _ZN7rocprim17ROCPRIM_400000_NS6detail17trampoline_kernelINS0_14default_configENS1_27scan_by_key_config_selectorIiiEEZZNS1_16scan_by_key_implILNS1_25lookback_scan_determinismE0ELb0ES3_N6thrust23THRUST_200600_302600_NS6detail15normal_iteratorINS9_10device_ptrIiEEEESE_SE_iNS9_4plusIiEE19head_flag_predicateiEE10hipError_tPvRmT2_T3_T4_T5_mT6_T7_P12ihipStream_tbENKUlT_T0_E_clISt17integral_constantIbLb1EESY_EEDaST_SU_EUlST_E_NS1_11comp_targetILNS1_3genE0ELNS1_11target_archE4294967295ELNS1_3gpuE0ELNS1_3repE0EEENS1_30default_config_static_selectorELNS0_4arch9wavefront6targetE0EEEvT1_.num_named_barrier, 0
	.set _ZN7rocprim17ROCPRIM_400000_NS6detail17trampoline_kernelINS0_14default_configENS1_27scan_by_key_config_selectorIiiEEZZNS1_16scan_by_key_implILNS1_25lookback_scan_determinismE0ELb0ES3_N6thrust23THRUST_200600_302600_NS6detail15normal_iteratorINS9_10device_ptrIiEEEESE_SE_iNS9_4plusIiEE19head_flag_predicateiEE10hipError_tPvRmT2_T3_T4_T5_mT6_T7_P12ihipStream_tbENKUlT_T0_E_clISt17integral_constantIbLb1EESY_EEDaST_SU_EUlST_E_NS1_11comp_targetILNS1_3genE0ELNS1_11target_archE4294967295ELNS1_3gpuE0ELNS1_3repE0EEENS1_30default_config_static_selectorELNS0_4arch9wavefront6targetE0EEEvT1_.private_seg_size, 0
	.set _ZN7rocprim17ROCPRIM_400000_NS6detail17trampoline_kernelINS0_14default_configENS1_27scan_by_key_config_selectorIiiEEZZNS1_16scan_by_key_implILNS1_25lookback_scan_determinismE0ELb0ES3_N6thrust23THRUST_200600_302600_NS6detail15normal_iteratorINS9_10device_ptrIiEEEESE_SE_iNS9_4plusIiEE19head_flag_predicateiEE10hipError_tPvRmT2_T3_T4_T5_mT6_T7_P12ihipStream_tbENKUlT_T0_E_clISt17integral_constantIbLb1EESY_EEDaST_SU_EUlST_E_NS1_11comp_targetILNS1_3genE0ELNS1_11target_archE4294967295ELNS1_3gpuE0ELNS1_3repE0EEENS1_30default_config_static_selectorELNS0_4arch9wavefront6targetE0EEEvT1_.uses_vcc, 0
	.set _ZN7rocprim17ROCPRIM_400000_NS6detail17trampoline_kernelINS0_14default_configENS1_27scan_by_key_config_selectorIiiEEZZNS1_16scan_by_key_implILNS1_25lookback_scan_determinismE0ELb0ES3_N6thrust23THRUST_200600_302600_NS6detail15normal_iteratorINS9_10device_ptrIiEEEESE_SE_iNS9_4plusIiEE19head_flag_predicateiEE10hipError_tPvRmT2_T3_T4_T5_mT6_T7_P12ihipStream_tbENKUlT_T0_E_clISt17integral_constantIbLb1EESY_EEDaST_SU_EUlST_E_NS1_11comp_targetILNS1_3genE0ELNS1_11target_archE4294967295ELNS1_3gpuE0ELNS1_3repE0EEENS1_30default_config_static_selectorELNS0_4arch9wavefront6targetE0EEEvT1_.uses_flat_scratch, 0
	.set _ZN7rocprim17ROCPRIM_400000_NS6detail17trampoline_kernelINS0_14default_configENS1_27scan_by_key_config_selectorIiiEEZZNS1_16scan_by_key_implILNS1_25lookback_scan_determinismE0ELb0ES3_N6thrust23THRUST_200600_302600_NS6detail15normal_iteratorINS9_10device_ptrIiEEEESE_SE_iNS9_4plusIiEE19head_flag_predicateiEE10hipError_tPvRmT2_T3_T4_T5_mT6_T7_P12ihipStream_tbENKUlT_T0_E_clISt17integral_constantIbLb1EESY_EEDaST_SU_EUlST_E_NS1_11comp_targetILNS1_3genE0ELNS1_11target_archE4294967295ELNS1_3gpuE0ELNS1_3repE0EEENS1_30default_config_static_selectorELNS0_4arch9wavefront6targetE0EEEvT1_.has_dyn_sized_stack, 0
	.set _ZN7rocprim17ROCPRIM_400000_NS6detail17trampoline_kernelINS0_14default_configENS1_27scan_by_key_config_selectorIiiEEZZNS1_16scan_by_key_implILNS1_25lookback_scan_determinismE0ELb0ES3_N6thrust23THRUST_200600_302600_NS6detail15normal_iteratorINS9_10device_ptrIiEEEESE_SE_iNS9_4plusIiEE19head_flag_predicateiEE10hipError_tPvRmT2_T3_T4_T5_mT6_T7_P12ihipStream_tbENKUlT_T0_E_clISt17integral_constantIbLb1EESY_EEDaST_SU_EUlST_E_NS1_11comp_targetILNS1_3genE0ELNS1_11target_archE4294967295ELNS1_3gpuE0ELNS1_3repE0EEENS1_30default_config_static_selectorELNS0_4arch9wavefront6targetE0EEEvT1_.has_recursion, 0
	.set _ZN7rocprim17ROCPRIM_400000_NS6detail17trampoline_kernelINS0_14default_configENS1_27scan_by_key_config_selectorIiiEEZZNS1_16scan_by_key_implILNS1_25lookback_scan_determinismE0ELb0ES3_N6thrust23THRUST_200600_302600_NS6detail15normal_iteratorINS9_10device_ptrIiEEEESE_SE_iNS9_4plusIiEE19head_flag_predicateiEE10hipError_tPvRmT2_T3_T4_T5_mT6_T7_P12ihipStream_tbENKUlT_T0_E_clISt17integral_constantIbLb1EESY_EEDaST_SU_EUlST_E_NS1_11comp_targetILNS1_3genE0ELNS1_11target_archE4294967295ELNS1_3gpuE0ELNS1_3repE0EEENS1_30default_config_static_selectorELNS0_4arch9wavefront6targetE0EEEvT1_.has_indirect_call, 0
	.section	.AMDGPU.csdata,"",@progbits
; Kernel info:
; codeLenInByte = 4
; TotalNumSgprs: 0
; NumVgprs: 0
; ScratchSize: 0
; MemoryBound: 0
; FloatMode: 240
; IeeeMode: 1
; LDSByteSize: 0 bytes/workgroup (compile time only)
; SGPRBlocks: 0
; VGPRBlocks: 0
; NumSGPRsForWavesPerEU: 1
; NumVGPRsForWavesPerEU: 1
; NamedBarCnt: 0
; Occupancy: 16
; WaveLimiterHint : 0
; COMPUTE_PGM_RSRC2:SCRATCH_EN: 0
; COMPUTE_PGM_RSRC2:USER_SGPR: 2
; COMPUTE_PGM_RSRC2:TRAP_HANDLER: 0
; COMPUTE_PGM_RSRC2:TGID_X_EN: 1
; COMPUTE_PGM_RSRC2:TGID_Y_EN: 0
; COMPUTE_PGM_RSRC2:TGID_Z_EN: 0
; COMPUTE_PGM_RSRC2:TIDIG_COMP_CNT: 0
	.section	.text._ZN7rocprim17ROCPRIM_400000_NS6detail17trampoline_kernelINS0_14default_configENS1_27scan_by_key_config_selectorIiiEEZZNS1_16scan_by_key_implILNS1_25lookback_scan_determinismE0ELb0ES3_N6thrust23THRUST_200600_302600_NS6detail15normal_iteratorINS9_10device_ptrIiEEEESE_SE_iNS9_4plusIiEE19head_flag_predicateiEE10hipError_tPvRmT2_T3_T4_T5_mT6_T7_P12ihipStream_tbENKUlT_T0_E_clISt17integral_constantIbLb1EESY_EEDaST_SU_EUlST_E_NS1_11comp_targetILNS1_3genE10ELNS1_11target_archE1201ELNS1_3gpuE5ELNS1_3repE0EEENS1_30default_config_static_selectorELNS0_4arch9wavefront6targetE0EEEvT1_,"axG",@progbits,_ZN7rocprim17ROCPRIM_400000_NS6detail17trampoline_kernelINS0_14default_configENS1_27scan_by_key_config_selectorIiiEEZZNS1_16scan_by_key_implILNS1_25lookback_scan_determinismE0ELb0ES3_N6thrust23THRUST_200600_302600_NS6detail15normal_iteratorINS9_10device_ptrIiEEEESE_SE_iNS9_4plusIiEE19head_flag_predicateiEE10hipError_tPvRmT2_T3_T4_T5_mT6_T7_P12ihipStream_tbENKUlT_T0_E_clISt17integral_constantIbLb1EESY_EEDaST_SU_EUlST_E_NS1_11comp_targetILNS1_3genE10ELNS1_11target_archE1201ELNS1_3gpuE5ELNS1_3repE0EEENS1_30default_config_static_selectorELNS0_4arch9wavefront6targetE0EEEvT1_,comdat
	.protected	_ZN7rocprim17ROCPRIM_400000_NS6detail17trampoline_kernelINS0_14default_configENS1_27scan_by_key_config_selectorIiiEEZZNS1_16scan_by_key_implILNS1_25lookback_scan_determinismE0ELb0ES3_N6thrust23THRUST_200600_302600_NS6detail15normal_iteratorINS9_10device_ptrIiEEEESE_SE_iNS9_4plusIiEE19head_flag_predicateiEE10hipError_tPvRmT2_T3_T4_T5_mT6_T7_P12ihipStream_tbENKUlT_T0_E_clISt17integral_constantIbLb1EESY_EEDaST_SU_EUlST_E_NS1_11comp_targetILNS1_3genE10ELNS1_11target_archE1201ELNS1_3gpuE5ELNS1_3repE0EEENS1_30default_config_static_selectorELNS0_4arch9wavefront6targetE0EEEvT1_ ; -- Begin function _ZN7rocprim17ROCPRIM_400000_NS6detail17trampoline_kernelINS0_14default_configENS1_27scan_by_key_config_selectorIiiEEZZNS1_16scan_by_key_implILNS1_25lookback_scan_determinismE0ELb0ES3_N6thrust23THRUST_200600_302600_NS6detail15normal_iteratorINS9_10device_ptrIiEEEESE_SE_iNS9_4plusIiEE19head_flag_predicateiEE10hipError_tPvRmT2_T3_T4_T5_mT6_T7_P12ihipStream_tbENKUlT_T0_E_clISt17integral_constantIbLb1EESY_EEDaST_SU_EUlST_E_NS1_11comp_targetILNS1_3genE10ELNS1_11target_archE1201ELNS1_3gpuE5ELNS1_3repE0EEENS1_30default_config_static_selectorELNS0_4arch9wavefront6targetE0EEEvT1_
	.globl	_ZN7rocprim17ROCPRIM_400000_NS6detail17trampoline_kernelINS0_14default_configENS1_27scan_by_key_config_selectorIiiEEZZNS1_16scan_by_key_implILNS1_25lookback_scan_determinismE0ELb0ES3_N6thrust23THRUST_200600_302600_NS6detail15normal_iteratorINS9_10device_ptrIiEEEESE_SE_iNS9_4plusIiEE19head_flag_predicateiEE10hipError_tPvRmT2_T3_T4_T5_mT6_T7_P12ihipStream_tbENKUlT_T0_E_clISt17integral_constantIbLb1EESY_EEDaST_SU_EUlST_E_NS1_11comp_targetILNS1_3genE10ELNS1_11target_archE1201ELNS1_3gpuE5ELNS1_3repE0EEENS1_30default_config_static_selectorELNS0_4arch9wavefront6targetE0EEEvT1_
	.p2align	8
	.type	_ZN7rocprim17ROCPRIM_400000_NS6detail17trampoline_kernelINS0_14default_configENS1_27scan_by_key_config_selectorIiiEEZZNS1_16scan_by_key_implILNS1_25lookback_scan_determinismE0ELb0ES3_N6thrust23THRUST_200600_302600_NS6detail15normal_iteratorINS9_10device_ptrIiEEEESE_SE_iNS9_4plusIiEE19head_flag_predicateiEE10hipError_tPvRmT2_T3_T4_T5_mT6_T7_P12ihipStream_tbENKUlT_T0_E_clISt17integral_constantIbLb1EESY_EEDaST_SU_EUlST_E_NS1_11comp_targetILNS1_3genE10ELNS1_11target_archE1201ELNS1_3gpuE5ELNS1_3repE0EEENS1_30default_config_static_selectorELNS0_4arch9wavefront6targetE0EEEvT1_,@function
_ZN7rocprim17ROCPRIM_400000_NS6detail17trampoline_kernelINS0_14default_configENS1_27scan_by_key_config_selectorIiiEEZZNS1_16scan_by_key_implILNS1_25lookback_scan_determinismE0ELb0ES3_N6thrust23THRUST_200600_302600_NS6detail15normal_iteratorINS9_10device_ptrIiEEEESE_SE_iNS9_4plusIiEE19head_flag_predicateiEE10hipError_tPvRmT2_T3_T4_T5_mT6_T7_P12ihipStream_tbENKUlT_T0_E_clISt17integral_constantIbLb1EESY_EEDaST_SU_EUlST_E_NS1_11comp_targetILNS1_3genE10ELNS1_11target_archE1201ELNS1_3gpuE5ELNS1_3repE0EEENS1_30default_config_static_selectorELNS0_4arch9wavefront6targetE0EEEvT1_: ; @_ZN7rocprim17ROCPRIM_400000_NS6detail17trampoline_kernelINS0_14default_configENS1_27scan_by_key_config_selectorIiiEEZZNS1_16scan_by_key_implILNS1_25lookback_scan_determinismE0ELb0ES3_N6thrust23THRUST_200600_302600_NS6detail15normal_iteratorINS9_10device_ptrIiEEEESE_SE_iNS9_4plusIiEE19head_flag_predicateiEE10hipError_tPvRmT2_T3_T4_T5_mT6_T7_P12ihipStream_tbENKUlT_T0_E_clISt17integral_constantIbLb1EESY_EEDaST_SU_EUlST_E_NS1_11comp_targetILNS1_3genE10ELNS1_11target_archE1201ELNS1_3gpuE5ELNS1_3repE0EEENS1_30default_config_static_selectorELNS0_4arch9wavefront6targetE0EEEvT1_
; %bb.0:
	.section	.rodata,"a",@progbits
	.p2align	6, 0x0
	.amdhsa_kernel _ZN7rocprim17ROCPRIM_400000_NS6detail17trampoline_kernelINS0_14default_configENS1_27scan_by_key_config_selectorIiiEEZZNS1_16scan_by_key_implILNS1_25lookback_scan_determinismE0ELb0ES3_N6thrust23THRUST_200600_302600_NS6detail15normal_iteratorINS9_10device_ptrIiEEEESE_SE_iNS9_4plusIiEE19head_flag_predicateiEE10hipError_tPvRmT2_T3_T4_T5_mT6_T7_P12ihipStream_tbENKUlT_T0_E_clISt17integral_constantIbLb1EESY_EEDaST_SU_EUlST_E_NS1_11comp_targetILNS1_3genE10ELNS1_11target_archE1201ELNS1_3gpuE5ELNS1_3repE0EEENS1_30default_config_static_selectorELNS0_4arch9wavefront6targetE0EEEvT1_
		.amdhsa_group_segment_fixed_size 0
		.amdhsa_private_segment_fixed_size 0
		.amdhsa_kernarg_size 112
		.amdhsa_user_sgpr_count 2
		.amdhsa_user_sgpr_dispatch_ptr 0
		.amdhsa_user_sgpr_queue_ptr 0
		.amdhsa_user_sgpr_kernarg_segment_ptr 1
		.amdhsa_user_sgpr_dispatch_id 0
		.amdhsa_user_sgpr_kernarg_preload_length 0
		.amdhsa_user_sgpr_kernarg_preload_offset 0
		.amdhsa_user_sgpr_private_segment_size 0
		.amdhsa_wavefront_size32 1
		.amdhsa_uses_dynamic_stack 0
		.amdhsa_enable_private_segment 0
		.amdhsa_system_sgpr_workgroup_id_x 1
		.amdhsa_system_sgpr_workgroup_id_y 0
		.amdhsa_system_sgpr_workgroup_id_z 0
		.amdhsa_system_sgpr_workgroup_info 0
		.amdhsa_system_vgpr_workitem_id 0
		.amdhsa_next_free_vgpr 1
		.amdhsa_next_free_sgpr 1
		.amdhsa_named_barrier_count 0
		.amdhsa_reserve_vcc 0
		.amdhsa_float_round_mode_32 0
		.amdhsa_float_round_mode_16_64 0
		.amdhsa_float_denorm_mode_32 3
		.amdhsa_float_denorm_mode_16_64 3
		.amdhsa_fp16_overflow 0
		.amdhsa_memory_ordered 1
		.amdhsa_forward_progress 1
		.amdhsa_inst_pref_size 0
		.amdhsa_round_robin_scheduling 0
		.amdhsa_exception_fp_ieee_invalid_op 0
		.amdhsa_exception_fp_denorm_src 0
		.amdhsa_exception_fp_ieee_div_zero 0
		.amdhsa_exception_fp_ieee_overflow 0
		.amdhsa_exception_fp_ieee_underflow 0
		.amdhsa_exception_fp_ieee_inexact 0
		.amdhsa_exception_int_div_zero 0
	.end_amdhsa_kernel
	.section	.text._ZN7rocprim17ROCPRIM_400000_NS6detail17trampoline_kernelINS0_14default_configENS1_27scan_by_key_config_selectorIiiEEZZNS1_16scan_by_key_implILNS1_25lookback_scan_determinismE0ELb0ES3_N6thrust23THRUST_200600_302600_NS6detail15normal_iteratorINS9_10device_ptrIiEEEESE_SE_iNS9_4plusIiEE19head_flag_predicateiEE10hipError_tPvRmT2_T3_T4_T5_mT6_T7_P12ihipStream_tbENKUlT_T0_E_clISt17integral_constantIbLb1EESY_EEDaST_SU_EUlST_E_NS1_11comp_targetILNS1_3genE10ELNS1_11target_archE1201ELNS1_3gpuE5ELNS1_3repE0EEENS1_30default_config_static_selectorELNS0_4arch9wavefront6targetE0EEEvT1_,"axG",@progbits,_ZN7rocprim17ROCPRIM_400000_NS6detail17trampoline_kernelINS0_14default_configENS1_27scan_by_key_config_selectorIiiEEZZNS1_16scan_by_key_implILNS1_25lookback_scan_determinismE0ELb0ES3_N6thrust23THRUST_200600_302600_NS6detail15normal_iteratorINS9_10device_ptrIiEEEESE_SE_iNS9_4plusIiEE19head_flag_predicateiEE10hipError_tPvRmT2_T3_T4_T5_mT6_T7_P12ihipStream_tbENKUlT_T0_E_clISt17integral_constantIbLb1EESY_EEDaST_SU_EUlST_E_NS1_11comp_targetILNS1_3genE10ELNS1_11target_archE1201ELNS1_3gpuE5ELNS1_3repE0EEENS1_30default_config_static_selectorELNS0_4arch9wavefront6targetE0EEEvT1_,comdat
.Lfunc_end759:
	.size	_ZN7rocprim17ROCPRIM_400000_NS6detail17trampoline_kernelINS0_14default_configENS1_27scan_by_key_config_selectorIiiEEZZNS1_16scan_by_key_implILNS1_25lookback_scan_determinismE0ELb0ES3_N6thrust23THRUST_200600_302600_NS6detail15normal_iteratorINS9_10device_ptrIiEEEESE_SE_iNS9_4plusIiEE19head_flag_predicateiEE10hipError_tPvRmT2_T3_T4_T5_mT6_T7_P12ihipStream_tbENKUlT_T0_E_clISt17integral_constantIbLb1EESY_EEDaST_SU_EUlST_E_NS1_11comp_targetILNS1_3genE10ELNS1_11target_archE1201ELNS1_3gpuE5ELNS1_3repE0EEENS1_30default_config_static_selectorELNS0_4arch9wavefront6targetE0EEEvT1_, .Lfunc_end759-_ZN7rocprim17ROCPRIM_400000_NS6detail17trampoline_kernelINS0_14default_configENS1_27scan_by_key_config_selectorIiiEEZZNS1_16scan_by_key_implILNS1_25lookback_scan_determinismE0ELb0ES3_N6thrust23THRUST_200600_302600_NS6detail15normal_iteratorINS9_10device_ptrIiEEEESE_SE_iNS9_4plusIiEE19head_flag_predicateiEE10hipError_tPvRmT2_T3_T4_T5_mT6_T7_P12ihipStream_tbENKUlT_T0_E_clISt17integral_constantIbLb1EESY_EEDaST_SU_EUlST_E_NS1_11comp_targetILNS1_3genE10ELNS1_11target_archE1201ELNS1_3gpuE5ELNS1_3repE0EEENS1_30default_config_static_selectorELNS0_4arch9wavefront6targetE0EEEvT1_
                                        ; -- End function
	.set _ZN7rocprim17ROCPRIM_400000_NS6detail17trampoline_kernelINS0_14default_configENS1_27scan_by_key_config_selectorIiiEEZZNS1_16scan_by_key_implILNS1_25lookback_scan_determinismE0ELb0ES3_N6thrust23THRUST_200600_302600_NS6detail15normal_iteratorINS9_10device_ptrIiEEEESE_SE_iNS9_4plusIiEE19head_flag_predicateiEE10hipError_tPvRmT2_T3_T4_T5_mT6_T7_P12ihipStream_tbENKUlT_T0_E_clISt17integral_constantIbLb1EESY_EEDaST_SU_EUlST_E_NS1_11comp_targetILNS1_3genE10ELNS1_11target_archE1201ELNS1_3gpuE5ELNS1_3repE0EEENS1_30default_config_static_selectorELNS0_4arch9wavefront6targetE0EEEvT1_.num_vgpr, 0
	.set _ZN7rocprim17ROCPRIM_400000_NS6detail17trampoline_kernelINS0_14default_configENS1_27scan_by_key_config_selectorIiiEEZZNS1_16scan_by_key_implILNS1_25lookback_scan_determinismE0ELb0ES3_N6thrust23THRUST_200600_302600_NS6detail15normal_iteratorINS9_10device_ptrIiEEEESE_SE_iNS9_4plusIiEE19head_flag_predicateiEE10hipError_tPvRmT2_T3_T4_T5_mT6_T7_P12ihipStream_tbENKUlT_T0_E_clISt17integral_constantIbLb1EESY_EEDaST_SU_EUlST_E_NS1_11comp_targetILNS1_3genE10ELNS1_11target_archE1201ELNS1_3gpuE5ELNS1_3repE0EEENS1_30default_config_static_selectorELNS0_4arch9wavefront6targetE0EEEvT1_.num_agpr, 0
	.set _ZN7rocprim17ROCPRIM_400000_NS6detail17trampoline_kernelINS0_14default_configENS1_27scan_by_key_config_selectorIiiEEZZNS1_16scan_by_key_implILNS1_25lookback_scan_determinismE0ELb0ES3_N6thrust23THRUST_200600_302600_NS6detail15normal_iteratorINS9_10device_ptrIiEEEESE_SE_iNS9_4plusIiEE19head_flag_predicateiEE10hipError_tPvRmT2_T3_T4_T5_mT6_T7_P12ihipStream_tbENKUlT_T0_E_clISt17integral_constantIbLb1EESY_EEDaST_SU_EUlST_E_NS1_11comp_targetILNS1_3genE10ELNS1_11target_archE1201ELNS1_3gpuE5ELNS1_3repE0EEENS1_30default_config_static_selectorELNS0_4arch9wavefront6targetE0EEEvT1_.numbered_sgpr, 0
	.set _ZN7rocprim17ROCPRIM_400000_NS6detail17trampoline_kernelINS0_14default_configENS1_27scan_by_key_config_selectorIiiEEZZNS1_16scan_by_key_implILNS1_25lookback_scan_determinismE0ELb0ES3_N6thrust23THRUST_200600_302600_NS6detail15normal_iteratorINS9_10device_ptrIiEEEESE_SE_iNS9_4plusIiEE19head_flag_predicateiEE10hipError_tPvRmT2_T3_T4_T5_mT6_T7_P12ihipStream_tbENKUlT_T0_E_clISt17integral_constantIbLb1EESY_EEDaST_SU_EUlST_E_NS1_11comp_targetILNS1_3genE10ELNS1_11target_archE1201ELNS1_3gpuE5ELNS1_3repE0EEENS1_30default_config_static_selectorELNS0_4arch9wavefront6targetE0EEEvT1_.num_named_barrier, 0
	.set _ZN7rocprim17ROCPRIM_400000_NS6detail17trampoline_kernelINS0_14default_configENS1_27scan_by_key_config_selectorIiiEEZZNS1_16scan_by_key_implILNS1_25lookback_scan_determinismE0ELb0ES3_N6thrust23THRUST_200600_302600_NS6detail15normal_iteratorINS9_10device_ptrIiEEEESE_SE_iNS9_4plusIiEE19head_flag_predicateiEE10hipError_tPvRmT2_T3_T4_T5_mT6_T7_P12ihipStream_tbENKUlT_T0_E_clISt17integral_constantIbLb1EESY_EEDaST_SU_EUlST_E_NS1_11comp_targetILNS1_3genE10ELNS1_11target_archE1201ELNS1_3gpuE5ELNS1_3repE0EEENS1_30default_config_static_selectorELNS0_4arch9wavefront6targetE0EEEvT1_.private_seg_size, 0
	.set _ZN7rocprim17ROCPRIM_400000_NS6detail17trampoline_kernelINS0_14default_configENS1_27scan_by_key_config_selectorIiiEEZZNS1_16scan_by_key_implILNS1_25lookback_scan_determinismE0ELb0ES3_N6thrust23THRUST_200600_302600_NS6detail15normal_iteratorINS9_10device_ptrIiEEEESE_SE_iNS9_4plusIiEE19head_flag_predicateiEE10hipError_tPvRmT2_T3_T4_T5_mT6_T7_P12ihipStream_tbENKUlT_T0_E_clISt17integral_constantIbLb1EESY_EEDaST_SU_EUlST_E_NS1_11comp_targetILNS1_3genE10ELNS1_11target_archE1201ELNS1_3gpuE5ELNS1_3repE0EEENS1_30default_config_static_selectorELNS0_4arch9wavefront6targetE0EEEvT1_.uses_vcc, 0
	.set _ZN7rocprim17ROCPRIM_400000_NS6detail17trampoline_kernelINS0_14default_configENS1_27scan_by_key_config_selectorIiiEEZZNS1_16scan_by_key_implILNS1_25lookback_scan_determinismE0ELb0ES3_N6thrust23THRUST_200600_302600_NS6detail15normal_iteratorINS9_10device_ptrIiEEEESE_SE_iNS9_4plusIiEE19head_flag_predicateiEE10hipError_tPvRmT2_T3_T4_T5_mT6_T7_P12ihipStream_tbENKUlT_T0_E_clISt17integral_constantIbLb1EESY_EEDaST_SU_EUlST_E_NS1_11comp_targetILNS1_3genE10ELNS1_11target_archE1201ELNS1_3gpuE5ELNS1_3repE0EEENS1_30default_config_static_selectorELNS0_4arch9wavefront6targetE0EEEvT1_.uses_flat_scratch, 0
	.set _ZN7rocprim17ROCPRIM_400000_NS6detail17trampoline_kernelINS0_14default_configENS1_27scan_by_key_config_selectorIiiEEZZNS1_16scan_by_key_implILNS1_25lookback_scan_determinismE0ELb0ES3_N6thrust23THRUST_200600_302600_NS6detail15normal_iteratorINS9_10device_ptrIiEEEESE_SE_iNS9_4plusIiEE19head_flag_predicateiEE10hipError_tPvRmT2_T3_T4_T5_mT6_T7_P12ihipStream_tbENKUlT_T0_E_clISt17integral_constantIbLb1EESY_EEDaST_SU_EUlST_E_NS1_11comp_targetILNS1_3genE10ELNS1_11target_archE1201ELNS1_3gpuE5ELNS1_3repE0EEENS1_30default_config_static_selectorELNS0_4arch9wavefront6targetE0EEEvT1_.has_dyn_sized_stack, 0
	.set _ZN7rocprim17ROCPRIM_400000_NS6detail17trampoline_kernelINS0_14default_configENS1_27scan_by_key_config_selectorIiiEEZZNS1_16scan_by_key_implILNS1_25lookback_scan_determinismE0ELb0ES3_N6thrust23THRUST_200600_302600_NS6detail15normal_iteratorINS9_10device_ptrIiEEEESE_SE_iNS9_4plusIiEE19head_flag_predicateiEE10hipError_tPvRmT2_T3_T4_T5_mT6_T7_P12ihipStream_tbENKUlT_T0_E_clISt17integral_constantIbLb1EESY_EEDaST_SU_EUlST_E_NS1_11comp_targetILNS1_3genE10ELNS1_11target_archE1201ELNS1_3gpuE5ELNS1_3repE0EEENS1_30default_config_static_selectorELNS0_4arch9wavefront6targetE0EEEvT1_.has_recursion, 0
	.set _ZN7rocprim17ROCPRIM_400000_NS6detail17trampoline_kernelINS0_14default_configENS1_27scan_by_key_config_selectorIiiEEZZNS1_16scan_by_key_implILNS1_25lookback_scan_determinismE0ELb0ES3_N6thrust23THRUST_200600_302600_NS6detail15normal_iteratorINS9_10device_ptrIiEEEESE_SE_iNS9_4plusIiEE19head_flag_predicateiEE10hipError_tPvRmT2_T3_T4_T5_mT6_T7_P12ihipStream_tbENKUlT_T0_E_clISt17integral_constantIbLb1EESY_EEDaST_SU_EUlST_E_NS1_11comp_targetILNS1_3genE10ELNS1_11target_archE1201ELNS1_3gpuE5ELNS1_3repE0EEENS1_30default_config_static_selectorELNS0_4arch9wavefront6targetE0EEEvT1_.has_indirect_call, 0
	.section	.AMDGPU.csdata,"",@progbits
; Kernel info:
; codeLenInByte = 0
; TotalNumSgprs: 0
; NumVgprs: 0
; ScratchSize: 0
; MemoryBound: 0
; FloatMode: 240
; IeeeMode: 1
; LDSByteSize: 0 bytes/workgroup (compile time only)
; SGPRBlocks: 0
; VGPRBlocks: 0
; NumSGPRsForWavesPerEU: 1
; NumVGPRsForWavesPerEU: 1
; NamedBarCnt: 0
; Occupancy: 16
; WaveLimiterHint : 0
; COMPUTE_PGM_RSRC2:SCRATCH_EN: 0
; COMPUTE_PGM_RSRC2:USER_SGPR: 2
; COMPUTE_PGM_RSRC2:TRAP_HANDLER: 0
; COMPUTE_PGM_RSRC2:TGID_X_EN: 1
; COMPUTE_PGM_RSRC2:TGID_Y_EN: 0
; COMPUTE_PGM_RSRC2:TGID_Z_EN: 0
; COMPUTE_PGM_RSRC2:TIDIG_COMP_CNT: 0
	.section	.text._ZN7rocprim17ROCPRIM_400000_NS6detail17trampoline_kernelINS0_14default_configENS1_27scan_by_key_config_selectorIiiEEZZNS1_16scan_by_key_implILNS1_25lookback_scan_determinismE0ELb0ES3_N6thrust23THRUST_200600_302600_NS6detail15normal_iteratorINS9_10device_ptrIiEEEESE_SE_iNS9_4plusIiEE19head_flag_predicateiEE10hipError_tPvRmT2_T3_T4_T5_mT6_T7_P12ihipStream_tbENKUlT_T0_E_clISt17integral_constantIbLb1EESY_EEDaST_SU_EUlST_E_NS1_11comp_targetILNS1_3genE5ELNS1_11target_archE942ELNS1_3gpuE9ELNS1_3repE0EEENS1_30default_config_static_selectorELNS0_4arch9wavefront6targetE0EEEvT1_,"axG",@progbits,_ZN7rocprim17ROCPRIM_400000_NS6detail17trampoline_kernelINS0_14default_configENS1_27scan_by_key_config_selectorIiiEEZZNS1_16scan_by_key_implILNS1_25lookback_scan_determinismE0ELb0ES3_N6thrust23THRUST_200600_302600_NS6detail15normal_iteratorINS9_10device_ptrIiEEEESE_SE_iNS9_4plusIiEE19head_flag_predicateiEE10hipError_tPvRmT2_T3_T4_T5_mT6_T7_P12ihipStream_tbENKUlT_T0_E_clISt17integral_constantIbLb1EESY_EEDaST_SU_EUlST_E_NS1_11comp_targetILNS1_3genE5ELNS1_11target_archE942ELNS1_3gpuE9ELNS1_3repE0EEENS1_30default_config_static_selectorELNS0_4arch9wavefront6targetE0EEEvT1_,comdat
	.protected	_ZN7rocprim17ROCPRIM_400000_NS6detail17trampoline_kernelINS0_14default_configENS1_27scan_by_key_config_selectorIiiEEZZNS1_16scan_by_key_implILNS1_25lookback_scan_determinismE0ELb0ES3_N6thrust23THRUST_200600_302600_NS6detail15normal_iteratorINS9_10device_ptrIiEEEESE_SE_iNS9_4plusIiEE19head_flag_predicateiEE10hipError_tPvRmT2_T3_T4_T5_mT6_T7_P12ihipStream_tbENKUlT_T0_E_clISt17integral_constantIbLb1EESY_EEDaST_SU_EUlST_E_NS1_11comp_targetILNS1_3genE5ELNS1_11target_archE942ELNS1_3gpuE9ELNS1_3repE0EEENS1_30default_config_static_selectorELNS0_4arch9wavefront6targetE0EEEvT1_ ; -- Begin function _ZN7rocprim17ROCPRIM_400000_NS6detail17trampoline_kernelINS0_14default_configENS1_27scan_by_key_config_selectorIiiEEZZNS1_16scan_by_key_implILNS1_25lookback_scan_determinismE0ELb0ES3_N6thrust23THRUST_200600_302600_NS6detail15normal_iteratorINS9_10device_ptrIiEEEESE_SE_iNS9_4plusIiEE19head_flag_predicateiEE10hipError_tPvRmT2_T3_T4_T5_mT6_T7_P12ihipStream_tbENKUlT_T0_E_clISt17integral_constantIbLb1EESY_EEDaST_SU_EUlST_E_NS1_11comp_targetILNS1_3genE5ELNS1_11target_archE942ELNS1_3gpuE9ELNS1_3repE0EEENS1_30default_config_static_selectorELNS0_4arch9wavefront6targetE0EEEvT1_
	.globl	_ZN7rocprim17ROCPRIM_400000_NS6detail17trampoline_kernelINS0_14default_configENS1_27scan_by_key_config_selectorIiiEEZZNS1_16scan_by_key_implILNS1_25lookback_scan_determinismE0ELb0ES3_N6thrust23THRUST_200600_302600_NS6detail15normal_iteratorINS9_10device_ptrIiEEEESE_SE_iNS9_4plusIiEE19head_flag_predicateiEE10hipError_tPvRmT2_T3_T4_T5_mT6_T7_P12ihipStream_tbENKUlT_T0_E_clISt17integral_constantIbLb1EESY_EEDaST_SU_EUlST_E_NS1_11comp_targetILNS1_3genE5ELNS1_11target_archE942ELNS1_3gpuE9ELNS1_3repE0EEENS1_30default_config_static_selectorELNS0_4arch9wavefront6targetE0EEEvT1_
	.p2align	8
	.type	_ZN7rocprim17ROCPRIM_400000_NS6detail17trampoline_kernelINS0_14default_configENS1_27scan_by_key_config_selectorIiiEEZZNS1_16scan_by_key_implILNS1_25lookback_scan_determinismE0ELb0ES3_N6thrust23THRUST_200600_302600_NS6detail15normal_iteratorINS9_10device_ptrIiEEEESE_SE_iNS9_4plusIiEE19head_flag_predicateiEE10hipError_tPvRmT2_T3_T4_T5_mT6_T7_P12ihipStream_tbENKUlT_T0_E_clISt17integral_constantIbLb1EESY_EEDaST_SU_EUlST_E_NS1_11comp_targetILNS1_3genE5ELNS1_11target_archE942ELNS1_3gpuE9ELNS1_3repE0EEENS1_30default_config_static_selectorELNS0_4arch9wavefront6targetE0EEEvT1_,@function
_ZN7rocprim17ROCPRIM_400000_NS6detail17trampoline_kernelINS0_14default_configENS1_27scan_by_key_config_selectorIiiEEZZNS1_16scan_by_key_implILNS1_25lookback_scan_determinismE0ELb0ES3_N6thrust23THRUST_200600_302600_NS6detail15normal_iteratorINS9_10device_ptrIiEEEESE_SE_iNS9_4plusIiEE19head_flag_predicateiEE10hipError_tPvRmT2_T3_T4_T5_mT6_T7_P12ihipStream_tbENKUlT_T0_E_clISt17integral_constantIbLb1EESY_EEDaST_SU_EUlST_E_NS1_11comp_targetILNS1_3genE5ELNS1_11target_archE942ELNS1_3gpuE9ELNS1_3repE0EEENS1_30default_config_static_selectorELNS0_4arch9wavefront6targetE0EEEvT1_: ; @_ZN7rocprim17ROCPRIM_400000_NS6detail17trampoline_kernelINS0_14default_configENS1_27scan_by_key_config_selectorIiiEEZZNS1_16scan_by_key_implILNS1_25lookback_scan_determinismE0ELb0ES3_N6thrust23THRUST_200600_302600_NS6detail15normal_iteratorINS9_10device_ptrIiEEEESE_SE_iNS9_4plusIiEE19head_flag_predicateiEE10hipError_tPvRmT2_T3_T4_T5_mT6_T7_P12ihipStream_tbENKUlT_T0_E_clISt17integral_constantIbLb1EESY_EEDaST_SU_EUlST_E_NS1_11comp_targetILNS1_3genE5ELNS1_11target_archE942ELNS1_3gpuE9ELNS1_3repE0EEENS1_30default_config_static_selectorELNS0_4arch9wavefront6targetE0EEEvT1_
; %bb.0:
	.section	.rodata,"a",@progbits
	.p2align	6, 0x0
	.amdhsa_kernel _ZN7rocprim17ROCPRIM_400000_NS6detail17trampoline_kernelINS0_14default_configENS1_27scan_by_key_config_selectorIiiEEZZNS1_16scan_by_key_implILNS1_25lookback_scan_determinismE0ELb0ES3_N6thrust23THRUST_200600_302600_NS6detail15normal_iteratorINS9_10device_ptrIiEEEESE_SE_iNS9_4plusIiEE19head_flag_predicateiEE10hipError_tPvRmT2_T3_T4_T5_mT6_T7_P12ihipStream_tbENKUlT_T0_E_clISt17integral_constantIbLb1EESY_EEDaST_SU_EUlST_E_NS1_11comp_targetILNS1_3genE5ELNS1_11target_archE942ELNS1_3gpuE9ELNS1_3repE0EEENS1_30default_config_static_selectorELNS0_4arch9wavefront6targetE0EEEvT1_
		.amdhsa_group_segment_fixed_size 0
		.amdhsa_private_segment_fixed_size 0
		.amdhsa_kernarg_size 112
		.amdhsa_user_sgpr_count 2
		.amdhsa_user_sgpr_dispatch_ptr 0
		.amdhsa_user_sgpr_queue_ptr 0
		.amdhsa_user_sgpr_kernarg_segment_ptr 1
		.amdhsa_user_sgpr_dispatch_id 0
		.amdhsa_user_sgpr_kernarg_preload_length 0
		.amdhsa_user_sgpr_kernarg_preload_offset 0
		.amdhsa_user_sgpr_private_segment_size 0
		.amdhsa_wavefront_size32 1
		.amdhsa_uses_dynamic_stack 0
		.amdhsa_enable_private_segment 0
		.amdhsa_system_sgpr_workgroup_id_x 1
		.amdhsa_system_sgpr_workgroup_id_y 0
		.amdhsa_system_sgpr_workgroup_id_z 0
		.amdhsa_system_sgpr_workgroup_info 0
		.amdhsa_system_vgpr_workitem_id 0
		.amdhsa_next_free_vgpr 1
		.amdhsa_next_free_sgpr 1
		.amdhsa_named_barrier_count 0
		.amdhsa_reserve_vcc 0
		.amdhsa_float_round_mode_32 0
		.amdhsa_float_round_mode_16_64 0
		.amdhsa_float_denorm_mode_32 3
		.amdhsa_float_denorm_mode_16_64 3
		.amdhsa_fp16_overflow 0
		.amdhsa_memory_ordered 1
		.amdhsa_forward_progress 1
		.amdhsa_inst_pref_size 0
		.amdhsa_round_robin_scheduling 0
		.amdhsa_exception_fp_ieee_invalid_op 0
		.amdhsa_exception_fp_denorm_src 0
		.amdhsa_exception_fp_ieee_div_zero 0
		.amdhsa_exception_fp_ieee_overflow 0
		.amdhsa_exception_fp_ieee_underflow 0
		.amdhsa_exception_fp_ieee_inexact 0
		.amdhsa_exception_int_div_zero 0
	.end_amdhsa_kernel
	.section	.text._ZN7rocprim17ROCPRIM_400000_NS6detail17trampoline_kernelINS0_14default_configENS1_27scan_by_key_config_selectorIiiEEZZNS1_16scan_by_key_implILNS1_25lookback_scan_determinismE0ELb0ES3_N6thrust23THRUST_200600_302600_NS6detail15normal_iteratorINS9_10device_ptrIiEEEESE_SE_iNS9_4plusIiEE19head_flag_predicateiEE10hipError_tPvRmT2_T3_T4_T5_mT6_T7_P12ihipStream_tbENKUlT_T0_E_clISt17integral_constantIbLb1EESY_EEDaST_SU_EUlST_E_NS1_11comp_targetILNS1_3genE5ELNS1_11target_archE942ELNS1_3gpuE9ELNS1_3repE0EEENS1_30default_config_static_selectorELNS0_4arch9wavefront6targetE0EEEvT1_,"axG",@progbits,_ZN7rocprim17ROCPRIM_400000_NS6detail17trampoline_kernelINS0_14default_configENS1_27scan_by_key_config_selectorIiiEEZZNS1_16scan_by_key_implILNS1_25lookback_scan_determinismE0ELb0ES3_N6thrust23THRUST_200600_302600_NS6detail15normal_iteratorINS9_10device_ptrIiEEEESE_SE_iNS9_4plusIiEE19head_flag_predicateiEE10hipError_tPvRmT2_T3_T4_T5_mT6_T7_P12ihipStream_tbENKUlT_T0_E_clISt17integral_constantIbLb1EESY_EEDaST_SU_EUlST_E_NS1_11comp_targetILNS1_3genE5ELNS1_11target_archE942ELNS1_3gpuE9ELNS1_3repE0EEENS1_30default_config_static_selectorELNS0_4arch9wavefront6targetE0EEEvT1_,comdat
.Lfunc_end760:
	.size	_ZN7rocprim17ROCPRIM_400000_NS6detail17trampoline_kernelINS0_14default_configENS1_27scan_by_key_config_selectorIiiEEZZNS1_16scan_by_key_implILNS1_25lookback_scan_determinismE0ELb0ES3_N6thrust23THRUST_200600_302600_NS6detail15normal_iteratorINS9_10device_ptrIiEEEESE_SE_iNS9_4plusIiEE19head_flag_predicateiEE10hipError_tPvRmT2_T3_T4_T5_mT6_T7_P12ihipStream_tbENKUlT_T0_E_clISt17integral_constantIbLb1EESY_EEDaST_SU_EUlST_E_NS1_11comp_targetILNS1_3genE5ELNS1_11target_archE942ELNS1_3gpuE9ELNS1_3repE0EEENS1_30default_config_static_selectorELNS0_4arch9wavefront6targetE0EEEvT1_, .Lfunc_end760-_ZN7rocprim17ROCPRIM_400000_NS6detail17trampoline_kernelINS0_14default_configENS1_27scan_by_key_config_selectorIiiEEZZNS1_16scan_by_key_implILNS1_25lookback_scan_determinismE0ELb0ES3_N6thrust23THRUST_200600_302600_NS6detail15normal_iteratorINS9_10device_ptrIiEEEESE_SE_iNS9_4plusIiEE19head_flag_predicateiEE10hipError_tPvRmT2_T3_T4_T5_mT6_T7_P12ihipStream_tbENKUlT_T0_E_clISt17integral_constantIbLb1EESY_EEDaST_SU_EUlST_E_NS1_11comp_targetILNS1_3genE5ELNS1_11target_archE942ELNS1_3gpuE9ELNS1_3repE0EEENS1_30default_config_static_selectorELNS0_4arch9wavefront6targetE0EEEvT1_
                                        ; -- End function
	.set _ZN7rocprim17ROCPRIM_400000_NS6detail17trampoline_kernelINS0_14default_configENS1_27scan_by_key_config_selectorIiiEEZZNS1_16scan_by_key_implILNS1_25lookback_scan_determinismE0ELb0ES3_N6thrust23THRUST_200600_302600_NS6detail15normal_iteratorINS9_10device_ptrIiEEEESE_SE_iNS9_4plusIiEE19head_flag_predicateiEE10hipError_tPvRmT2_T3_T4_T5_mT6_T7_P12ihipStream_tbENKUlT_T0_E_clISt17integral_constantIbLb1EESY_EEDaST_SU_EUlST_E_NS1_11comp_targetILNS1_3genE5ELNS1_11target_archE942ELNS1_3gpuE9ELNS1_3repE0EEENS1_30default_config_static_selectorELNS0_4arch9wavefront6targetE0EEEvT1_.num_vgpr, 0
	.set _ZN7rocprim17ROCPRIM_400000_NS6detail17trampoline_kernelINS0_14default_configENS1_27scan_by_key_config_selectorIiiEEZZNS1_16scan_by_key_implILNS1_25lookback_scan_determinismE0ELb0ES3_N6thrust23THRUST_200600_302600_NS6detail15normal_iteratorINS9_10device_ptrIiEEEESE_SE_iNS9_4plusIiEE19head_flag_predicateiEE10hipError_tPvRmT2_T3_T4_T5_mT6_T7_P12ihipStream_tbENKUlT_T0_E_clISt17integral_constantIbLb1EESY_EEDaST_SU_EUlST_E_NS1_11comp_targetILNS1_3genE5ELNS1_11target_archE942ELNS1_3gpuE9ELNS1_3repE0EEENS1_30default_config_static_selectorELNS0_4arch9wavefront6targetE0EEEvT1_.num_agpr, 0
	.set _ZN7rocprim17ROCPRIM_400000_NS6detail17trampoline_kernelINS0_14default_configENS1_27scan_by_key_config_selectorIiiEEZZNS1_16scan_by_key_implILNS1_25lookback_scan_determinismE0ELb0ES3_N6thrust23THRUST_200600_302600_NS6detail15normal_iteratorINS9_10device_ptrIiEEEESE_SE_iNS9_4plusIiEE19head_flag_predicateiEE10hipError_tPvRmT2_T3_T4_T5_mT6_T7_P12ihipStream_tbENKUlT_T0_E_clISt17integral_constantIbLb1EESY_EEDaST_SU_EUlST_E_NS1_11comp_targetILNS1_3genE5ELNS1_11target_archE942ELNS1_3gpuE9ELNS1_3repE0EEENS1_30default_config_static_selectorELNS0_4arch9wavefront6targetE0EEEvT1_.numbered_sgpr, 0
	.set _ZN7rocprim17ROCPRIM_400000_NS6detail17trampoline_kernelINS0_14default_configENS1_27scan_by_key_config_selectorIiiEEZZNS1_16scan_by_key_implILNS1_25lookback_scan_determinismE0ELb0ES3_N6thrust23THRUST_200600_302600_NS6detail15normal_iteratorINS9_10device_ptrIiEEEESE_SE_iNS9_4plusIiEE19head_flag_predicateiEE10hipError_tPvRmT2_T3_T4_T5_mT6_T7_P12ihipStream_tbENKUlT_T0_E_clISt17integral_constantIbLb1EESY_EEDaST_SU_EUlST_E_NS1_11comp_targetILNS1_3genE5ELNS1_11target_archE942ELNS1_3gpuE9ELNS1_3repE0EEENS1_30default_config_static_selectorELNS0_4arch9wavefront6targetE0EEEvT1_.num_named_barrier, 0
	.set _ZN7rocprim17ROCPRIM_400000_NS6detail17trampoline_kernelINS0_14default_configENS1_27scan_by_key_config_selectorIiiEEZZNS1_16scan_by_key_implILNS1_25lookback_scan_determinismE0ELb0ES3_N6thrust23THRUST_200600_302600_NS6detail15normal_iteratorINS9_10device_ptrIiEEEESE_SE_iNS9_4plusIiEE19head_flag_predicateiEE10hipError_tPvRmT2_T3_T4_T5_mT6_T7_P12ihipStream_tbENKUlT_T0_E_clISt17integral_constantIbLb1EESY_EEDaST_SU_EUlST_E_NS1_11comp_targetILNS1_3genE5ELNS1_11target_archE942ELNS1_3gpuE9ELNS1_3repE0EEENS1_30default_config_static_selectorELNS0_4arch9wavefront6targetE0EEEvT1_.private_seg_size, 0
	.set _ZN7rocprim17ROCPRIM_400000_NS6detail17trampoline_kernelINS0_14default_configENS1_27scan_by_key_config_selectorIiiEEZZNS1_16scan_by_key_implILNS1_25lookback_scan_determinismE0ELb0ES3_N6thrust23THRUST_200600_302600_NS6detail15normal_iteratorINS9_10device_ptrIiEEEESE_SE_iNS9_4plusIiEE19head_flag_predicateiEE10hipError_tPvRmT2_T3_T4_T5_mT6_T7_P12ihipStream_tbENKUlT_T0_E_clISt17integral_constantIbLb1EESY_EEDaST_SU_EUlST_E_NS1_11comp_targetILNS1_3genE5ELNS1_11target_archE942ELNS1_3gpuE9ELNS1_3repE0EEENS1_30default_config_static_selectorELNS0_4arch9wavefront6targetE0EEEvT1_.uses_vcc, 0
	.set _ZN7rocprim17ROCPRIM_400000_NS6detail17trampoline_kernelINS0_14default_configENS1_27scan_by_key_config_selectorIiiEEZZNS1_16scan_by_key_implILNS1_25lookback_scan_determinismE0ELb0ES3_N6thrust23THRUST_200600_302600_NS6detail15normal_iteratorINS9_10device_ptrIiEEEESE_SE_iNS9_4plusIiEE19head_flag_predicateiEE10hipError_tPvRmT2_T3_T4_T5_mT6_T7_P12ihipStream_tbENKUlT_T0_E_clISt17integral_constantIbLb1EESY_EEDaST_SU_EUlST_E_NS1_11comp_targetILNS1_3genE5ELNS1_11target_archE942ELNS1_3gpuE9ELNS1_3repE0EEENS1_30default_config_static_selectorELNS0_4arch9wavefront6targetE0EEEvT1_.uses_flat_scratch, 0
	.set _ZN7rocprim17ROCPRIM_400000_NS6detail17trampoline_kernelINS0_14default_configENS1_27scan_by_key_config_selectorIiiEEZZNS1_16scan_by_key_implILNS1_25lookback_scan_determinismE0ELb0ES3_N6thrust23THRUST_200600_302600_NS6detail15normal_iteratorINS9_10device_ptrIiEEEESE_SE_iNS9_4plusIiEE19head_flag_predicateiEE10hipError_tPvRmT2_T3_T4_T5_mT6_T7_P12ihipStream_tbENKUlT_T0_E_clISt17integral_constantIbLb1EESY_EEDaST_SU_EUlST_E_NS1_11comp_targetILNS1_3genE5ELNS1_11target_archE942ELNS1_3gpuE9ELNS1_3repE0EEENS1_30default_config_static_selectorELNS0_4arch9wavefront6targetE0EEEvT1_.has_dyn_sized_stack, 0
	.set _ZN7rocprim17ROCPRIM_400000_NS6detail17trampoline_kernelINS0_14default_configENS1_27scan_by_key_config_selectorIiiEEZZNS1_16scan_by_key_implILNS1_25lookback_scan_determinismE0ELb0ES3_N6thrust23THRUST_200600_302600_NS6detail15normal_iteratorINS9_10device_ptrIiEEEESE_SE_iNS9_4plusIiEE19head_flag_predicateiEE10hipError_tPvRmT2_T3_T4_T5_mT6_T7_P12ihipStream_tbENKUlT_T0_E_clISt17integral_constantIbLb1EESY_EEDaST_SU_EUlST_E_NS1_11comp_targetILNS1_3genE5ELNS1_11target_archE942ELNS1_3gpuE9ELNS1_3repE0EEENS1_30default_config_static_selectorELNS0_4arch9wavefront6targetE0EEEvT1_.has_recursion, 0
	.set _ZN7rocprim17ROCPRIM_400000_NS6detail17trampoline_kernelINS0_14default_configENS1_27scan_by_key_config_selectorIiiEEZZNS1_16scan_by_key_implILNS1_25lookback_scan_determinismE0ELb0ES3_N6thrust23THRUST_200600_302600_NS6detail15normal_iteratorINS9_10device_ptrIiEEEESE_SE_iNS9_4plusIiEE19head_flag_predicateiEE10hipError_tPvRmT2_T3_T4_T5_mT6_T7_P12ihipStream_tbENKUlT_T0_E_clISt17integral_constantIbLb1EESY_EEDaST_SU_EUlST_E_NS1_11comp_targetILNS1_3genE5ELNS1_11target_archE942ELNS1_3gpuE9ELNS1_3repE0EEENS1_30default_config_static_selectorELNS0_4arch9wavefront6targetE0EEEvT1_.has_indirect_call, 0
	.section	.AMDGPU.csdata,"",@progbits
; Kernel info:
; codeLenInByte = 0
; TotalNumSgprs: 0
; NumVgprs: 0
; ScratchSize: 0
; MemoryBound: 0
; FloatMode: 240
; IeeeMode: 1
; LDSByteSize: 0 bytes/workgroup (compile time only)
; SGPRBlocks: 0
; VGPRBlocks: 0
; NumSGPRsForWavesPerEU: 1
; NumVGPRsForWavesPerEU: 1
; NamedBarCnt: 0
; Occupancy: 16
; WaveLimiterHint : 0
; COMPUTE_PGM_RSRC2:SCRATCH_EN: 0
; COMPUTE_PGM_RSRC2:USER_SGPR: 2
; COMPUTE_PGM_RSRC2:TRAP_HANDLER: 0
; COMPUTE_PGM_RSRC2:TGID_X_EN: 1
; COMPUTE_PGM_RSRC2:TGID_Y_EN: 0
; COMPUTE_PGM_RSRC2:TGID_Z_EN: 0
; COMPUTE_PGM_RSRC2:TIDIG_COMP_CNT: 0
	.section	.text._ZN7rocprim17ROCPRIM_400000_NS6detail17trampoline_kernelINS0_14default_configENS1_27scan_by_key_config_selectorIiiEEZZNS1_16scan_by_key_implILNS1_25lookback_scan_determinismE0ELb0ES3_N6thrust23THRUST_200600_302600_NS6detail15normal_iteratorINS9_10device_ptrIiEEEESE_SE_iNS9_4plusIiEE19head_flag_predicateiEE10hipError_tPvRmT2_T3_T4_T5_mT6_T7_P12ihipStream_tbENKUlT_T0_E_clISt17integral_constantIbLb1EESY_EEDaST_SU_EUlST_E_NS1_11comp_targetILNS1_3genE4ELNS1_11target_archE910ELNS1_3gpuE8ELNS1_3repE0EEENS1_30default_config_static_selectorELNS0_4arch9wavefront6targetE0EEEvT1_,"axG",@progbits,_ZN7rocprim17ROCPRIM_400000_NS6detail17trampoline_kernelINS0_14default_configENS1_27scan_by_key_config_selectorIiiEEZZNS1_16scan_by_key_implILNS1_25lookback_scan_determinismE0ELb0ES3_N6thrust23THRUST_200600_302600_NS6detail15normal_iteratorINS9_10device_ptrIiEEEESE_SE_iNS9_4plusIiEE19head_flag_predicateiEE10hipError_tPvRmT2_T3_T4_T5_mT6_T7_P12ihipStream_tbENKUlT_T0_E_clISt17integral_constantIbLb1EESY_EEDaST_SU_EUlST_E_NS1_11comp_targetILNS1_3genE4ELNS1_11target_archE910ELNS1_3gpuE8ELNS1_3repE0EEENS1_30default_config_static_selectorELNS0_4arch9wavefront6targetE0EEEvT1_,comdat
	.protected	_ZN7rocprim17ROCPRIM_400000_NS6detail17trampoline_kernelINS0_14default_configENS1_27scan_by_key_config_selectorIiiEEZZNS1_16scan_by_key_implILNS1_25lookback_scan_determinismE0ELb0ES3_N6thrust23THRUST_200600_302600_NS6detail15normal_iteratorINS9_10device_ptrIiEEEESE_SE_iNS9_4plusIiEE19head_flag_predicateiEE10hipError_tPvRmT2_T3_T4_T5_mT6_T7_P12ihipStream_tbENKUlT_T0_E_clISt17integral_constantIbLb1EESY_EEDaST_SU_EUlST_E_NS1_11comp_targetILNS1_3genE4ELNS1_11target_archE910ELNS1_3gpuE8ELNS1_3repE0EEENS1_30default_config_static_selectorELNS0_4arch9wavefront6targetE0EEEvT1_ ; -- Begin function _ZN7rocprim17ROCPRIM_400000_NS6detail17trampoline_kernelINS0_14default_configENS1_27scan_by_key_config_selectorIiiEEZZNS1_16scan_by_key_implILNS1_25lookback_scan_determinismE0ELb0ES3_N6thrust23THRUST_200600_302600_NS6detail15normal_iteratorINS9_10device_ptrIiEEEESE_SE_iNS9_4plusIiEE19head_flag_predicateiEE10hipError_tPvRmT2_T3_T4_T5_mT6_T7_P12ihipStream_tbENKUlT_T0_E_clISt17integral_constantIbLb1EESY_EEDaST_SU_EUlST_E_NS1_11comp_targetILNS1_3genE4ELNS1_11target_archE910ELNS1_3gpuE8ELNS1_3repE0EEENS1_30default_config_static_selectorELNS0_4arch9wavefront6targetE0EEEvT1_
	.globl	_ZN7rocprim17ROCPRIM_400000_NS6detail17trampoline_kernelINS0_14default_configENS1_27scan_by_key_config_selectorIiiEEZZNS1_16scan_by_key_implILNS1_25lookback_scan_determinismE0ELb0ES3_N6thrust23THRUST_200600_302600_NS6detail15normal_iteratorINS9_10device_ptrIiEEEESE_SE_iNS9_4plusIiEE19head_flag_predicateiEE10hipError_tPvRmT2_T3_T4_T5_mT6_T7_P12ihipStream_tbENKUlT_T0_E_clISt17integral_constantIbLb1EESY_EEDaST_SU_EUlST_E_NS1_11comp_targetILNS1_3genE4ELNS1_11target_archE910ELNS1_3gpuE8ELNS1_3repE0EEENS1_30default_config_static_selectorELNS0_4arch9wavefront6targetE0EEEvT1_
	.p2align	8
	.type	_ZN7rocprim17ROCPRIM_400000_NS6detail17trampoline_kernelINS0_14default_configENS1_27scan_by_key_config_selectorIiiEEZZNS1_16scan_by_key_implILNS1_25lookback_scan_determinismE0ELb0ES3_N6thrust23THRUST_200600_302600_NS6detail15normal_iteratorINS9_10device_ptrIiEEEESE_SE_iNS9_4plusIiEE19head_flag_predicateiEE10hipError_tPvRmT2_T3_T4_T5_mT6_T7_P12ihipStream_tbENKUlT_T0_E_clISt17integral_constantIbLb1EESY_EEDaST_SU_EUlST_E_NS1_11comp_targetILNS1_3genE4ELNS1_11target_archE910ELNS1_3gpuE8ELNS1_3repE0EEENS1_30default_config_static_selectorELNS0_4arch9wavefront6targetE0EEEvT1_,@function
_ZN7rocprim17ROCPRIM_400000_NS6detail17trampoline_kernelINS0_14default_configENS1_27scan_by_key_config_selectorIiiEEZZNS1_16scan_by_key_implILNS1_25lookback_scan_determinismE0ELb0ES3_N6thrust23THRUST_200600_302600_NS6detail15normal_iteratorINS9_10device_ptrIiEEEESE_SE_iNS9_4plusIiEE19head_flag_predicateiEE10hipError_tPvRmT2_T3_T4_T5_mT6_T7_P12ihipStream_tbENKUlT_T0_E_clISt17integral_constantIbLb1EESY_EEDaST_SU_EUlST_E_NS1_11comp_targetILNS1_3genE4ELNS1_11target_archE910ELNS1_3gpuE8ELNS1_3repE0EEENS1_30default_config_static_selectorELNS0_4arch9wavefront6targetE0EEEvT1_: ; @_ZN7rocprim17ROCPRIM_400000_NS6detail17trampoline_kernelINS0_14default_configENS1_27scan_by_key_config_selectorIiiEEZZNS1_16scan_by_key_implILNS1_25lookback_scan_determinismE0ELb0ES3_N6thrust23THRUST_200600_302600_NS6detail15normal_iteratorINS9_10device_ptrIiEEEESE_SE_iNS9_4plusIiEE19head_flag_predicateiEE10hipError_tPvRmT2_T3_T4_T5_mT6_T7_P12ihipStream_tbENKUlT_T0_E_clISt17integral_constantIbLb1EESY_EEDaST_SU_EUlST_E_NS1_11comp_targetILNS1_3genE4ELNS1_11target_archE910ELNS1_3gpuE8ELNS1_3repE0EEENS1_30default_config_static_selectorELNS0_4arch9wavefront6targetE0EEEvT1_
; %bb.0:
	.section	.rodata,"a",@progbits
	.p2align	6, 0x0
	.amdhsa_kernel _ZN7rocprim17ROCPRIM_400000_NS6detail17trampoline_kernelINS0_14default_configENS1_27scan_by_key_config_selectorIiiEEZZNS1_16scan_by_key_implILNS1_25lookback_scan_determinismE0ELb0ES3_N6thrust23THRUST_200600_302600_NS6detail15normal_iteratorINS9_10device_ptrIiEEEESE_SE_iNS9_4plusIiEE19head_flag_predicateiEE10hipError_tPvRmT2_T3_T4_T5_mT6_T7_P12ihipStream_tbENKUlT_T0_E_clISt17integral_constantIbLb1EESY_EEDaST_SU_EUlST_E_NS1_11comp_targetILNS1_3genE4ELNS1_11target_archE910ELNS1_3gpuE8ELNS1_3repE0EEENS1_30default_config_static_selectorELNS0_4arch9wavefront6targetE0EEEvT1_
		.amdhsa_group_segment_fixed_size 0
		.amdhsa_private_segment_fixed_size 0
		.amdhsa_kernarg_size 112
		.amdhsa_user_sgpr_count 2
		.amdhsa_user_sgpr_dispatch_ptr 0
		.amdhsa_user_sgpr_queue_ptr 0
		.amdhsa_user_sgpr_kernarg_segment_ptr 1
		.amdhsa_user_sgpr_dispatch_id 0
		.amdhsa_user_sgpr_kernarg_preload_length 0
		.amdhsa_user_sgpr_kernarg_preload_offset 0
		.amdhsa_user_sgpr_private_segment_size 0
		.amdhsa_wavefront_size32 1
		.amdhsa_uses_dynamic_stack 0
		.amdhsa_enable_private_segment 0
		.amdhsa_system_sgpr_workgroup_id_x 1
		.amdhsa_system_sgpr_workgroup_id_y 0
		.amdhsa_system_sgpr_workgroup_id_z 0
		.amdhsa_system_sgpr_workgroup_info 0
		.amdhsa_system_vgpr_workitem_id 0
		.amdhsa_next_free_vgpr 1
		.amdhsa_next_free_sgpr 1
		.amdhsa_named_barrier_count 0
		.amdhsa_reserve_vcc 0
		.amdhsa_float_round_mode_32 0
		.amdhsa_float_round_mode_16_64 0
		.amdhsa_float_denorm_mode_32 3
		.amdhsa_float_denorm_mode_16_64 3
		.amdhsa_fp16_overflow 0
		.amdhsa_memory_ordered 1
		.amdhsa_forward_progress 1
		.amdhsa_inst_pref_size 0
		.amdhsa_round_robin_scheduling 0
		.amdhsa_exception_fp_ieee_invalid_op 0
		.amdhsa_exception_fp_denorm_src 0
		.amdhsa_exception_fp_ieee_div_zero 0
		.amdhsa_exception_fp_ieee_overflow 0
		.amdhsa_exception_fp_ieee_underflow 0
		.amdhsa_exception_fp_ieee_inexact 0
		.amdhsa_exception_int_div_zero 0
	.end_amdhsa_kernel
	.section	.text._ZN7rocprim17ROCPRIM_400000_NS6detail17trampoline_kernelINS0_14default_configENS1_27scan_by_key_config_selectorIiiEEZZNS1_16scan_by_key_implILNS1_25lookback_scan_determinismE0ELb0ES3_N6thrust23THRUST_200600_302600_NS6detail15normal_iteratorINS9_10device_ptrIiEEEESE_SE_iNS9_4plusIiEE19head_flag_predicateiEE10hipError_tPvRmT2_T3_T4_T5_mT6_T7_P12ihipStream_tbENKUlT_T0_E_clISt17integral_constantIbLb1EESY_EEDaST_SU_EUlST_E_NS1_11comp_targetILNS1_3genE4ELNS1_11target_archE910ELNS1_3gpuE8ELNS1_3repE0EEENS1_30default_config_static_selectorELNS0_4arch9wavefront6targetE0EEEvT1_,"axG",@progbits,_ZN7rocprim17ROCPRIM_400000_NS6detail17trampoline_kernelINS0_14default_configENS1_27scan_by_key_config_selectorIiiEEZZNS1_16scan_by_key_implILNS1_25lookback_scan_determinismE0ELb0ES3_N6thrust23THRUST_200600_302600_NS6detail15normal_iteratorINS9_10device_ptrIiEEEESE_SE_iNS9_4plusIiEE19head_flag_predicateiEE10hipError_tPvRmT2_T3_T4_T5_mT6_T7_P12ihipStream_tbENKUlT_T0_E_clISt17integral_constantIbLb1EESY_EEDaST_SU_EUlST_E_NS1_11comp_targetILNS1_3genE4ELNS1_11target_archE910ELNS1_3gpuE8ELNS1_3repE0EEENS1_30default_config_static_selectorELNS0_4arch9wavefront6targetE0EEEvT1_,comdat
.Lfunc_end761:
	.size	_ZN7rocprim17ROCPRIM_400000_NS6detail17trampoline_kernelINS0_14default_configENS1_27scan_by_key_config_selectorIiiEEZZNS1_16scan_by_key_implILNS1_25lookback_scan_determinismE0ELb0ES3_N6thrust23THRUST_200600_302600_NS6detail15normal_iteratorINS9_10device_ptrIiEEEESE_SE_iNS9_4plusIiEE19head_flag_predicateiEE10hipError_tPvRmT2_T3_T4_T5_mT6_T7_P12ihipStream_tbENKUlT_T0_E_clISt17integral_constantIbLb1EESY_EEDaST_SU_EUlST_E_NS1_11comp_targetILNS1_3genE4ELNS1_11target_archE910ELNS1_3gpuE8ELNS1_3repE0EEENS1_30default_config_static_selectorELNS0_4arch9wavefront6targetE0EEEvT1_, .Lfunc_end761-_ZN7rocprim17ROCPRIM_400000_NS6detail17trampoline_kernelINS0_14default_configENS1_27scan_by_key_config_selectorIiiEEZZNS1_16scan_by_key_implILNS1_25lookback_scan_determinismE0ELb0ES3_N6thrust23THRUST_200600_302600_NS6detail15normal_iteratorINS9_10device_ptrIiEEEESE_SE_iNS9_4plusIiEE19head_flag_predicateiEE10hipError_tPvRmT2_T3_T4_T5_mT6_T7_P12ihipStream_tbENKUlT_T0_E_clISt17integral_constantIbLb1EESY_EEDaST_SU_EUlST_E_NS1_11comp_targetILNS1_3genE4ELNS1_11target_archE910ELNS1_3gpuE8ELNS1_3repE0EEENS1_30default_config_static_selectorELNS0_4arch9wavefront6targetE0EEEvT1_
                                        ; -- End function
	.set _ZN7rocprim17ROCPRIM_400000_NS6detail17trampoline_kernelINS0_14default_configENS1_27scan_by_key_config_selectorIiiEEZZNS1_16scan_by_key_implILNS1_25lookback_scan_determinismE0ELb0ES3_N6thrust23THRUST_200600_302600_NS6detail15normal_iteratorINS9_10device_ptrIiEEEESE_SE_iNS9_4plusIiEE19head_flag_predicateiEE10hipError_tPvRmT2_T3_T4_T5_mT6_T7_P12ihipStream_tbENKUlT_T0_E_clISt17integral_constantIbLb1EESY_EEDaST_SU_EUlST_E_NS1_11comp_targetILNS1_3genE4ELNS1_11target_archE910ELNS1_3gpuE8ELNS1_3repE0EEENS1_30default_config_static_selectorELNS0_4arch9wavefront6targetE0EEEvT1_.num_vgpr, 0
	.set _ZN7rocprim17ROCPRIM_400000_NS6detail17trampoline_kernelINS0_14default_configENS1_27scan_by_key_config_selectorIiiEEZZNS1_16scan_by_key_implILNS1_25lookback_scan_determinismE0ELb0ES3_N6thrust23THRUST_200600_302600_NS6detail15normal_iteratorINS9_10device_ptrIiEEEESE_SE_iNS9_4plusIiEE19head_flag_predicateiEE10hipError_tPvRmT2_T3_T4_T5_mT6_T7_P12ihipStream_tbENKUlT_T0_E_clISt17integral_constantIbLb1EESY_EEDaST_SU_EUlST_E_NS1_11comp_targetILNS1_3genE4ELNS1_11target_archE910ELNS1_3gpuE8ELNS1_3repE0EEENS1_30default_config_static_selectorELNS0_4arch9wavefront6targetE0EEEvT1_.num_agpr, 0
	.set _ZN7rocprim17ROCPRIM_400000_NS6detail17trampoline_kernelINS0_14default_configENS1_27scan_by_key_config_selectorIiiEEZZNS1_16scan_by_key_implILNS1_25lookback_scan_determinismE0ELb0ES3_N6thrust23THRUST_200600_302600_NS6detail15normal_iteratorINS9_10device_ptrIiEEEESE_SE_iNS9_4plusIiEE19head_flag_predicateiEE10hipError_tPvRmT2_T3_T4_T5_mT6_T7_P12ihipStream_tbENKUlT_T0_E_clISt17integral_constantIbLb1EESY_EEDaST_SU_EUlST_E_NS1_11comp_targetILNS1_3genE4ELNS1_11target_archE910ELNS1_3gpuE8ELNS1_3repE0EEENS1_30default_config_static_selectorELNS0_4arch9wavefront6targetE0EEEvT1_.numbered_sgpr, 0
	.set _ZN7rocprim17ROCPRIM_400000_NS6detail17trampoline_kernelINS0_14default_configENS1_27scan_by_key_config_selectorIiiEEZZNS1_16scan_by_key_implILNS1_25lookback_scan_determinismE0ELb0ES3_N6thrust23THRUST_200600_302600_NS6detail15normal_iteratorINS9_10device_ptrIiEEEESE_SE_iNS9_4plusIiEE19head_flag_predicateiEE10hipError_tPvRmT2_T3_T4_T5_mT6_T7_P12ihipStream_tbENKUlT_T0_E_clISt17integral_constantIbLb1EESY_EEDaST_SU_EUlST_E_NS1_11comp_targetILNS1_3genE4ELNS1_11target_archE910ELNS1_3gpuE8ELNS1_3repE0EEENS1_30default_config_static_selectorELNS0_4arch9wavefront6targetE0EEEvT1_.num_named_barrier, 0
	.set _ZN7rocprim17ROCPRIM_400000_NS6detail17trampoline_kernelINS0_14default_configENS1_27scan_by_key_config_selectorIiiEEZZNS1_16scan_by_key_implILNS1_25lookback_scan_determinismE0ELb0ES3_N6thrust23THRUST_200600_302600_NS6detail15normal_iteratorINS9_10device_ptrIiEEEESE_SE_iNS9_4plusIiEE19head_flag_predicateiEE10hipError_tPvRmT2_T3_T4_T5_mT6_T7_P12ihipStream_tbENKUlT_T0_E_clISt17integral_constantIbLb1EESY_EEDaST_SU_EUlST_E_NS1_11comp_targetILNS1_3genE4ELNS1_11target_archE910ELNS1_3gpuE8ELNS1_3repE0EEENS1_30default_config_static_selectorELNS0_4arch9wavefront6targetE0EEEvT1_.private_seg_size, 0
	.set _ZN7rocprim17ROCPRIM_400000_NS6detail17trampoline_kernelINS0_14default_configENS1_27scan_by_key_config_selectorIiiEEZZNS1_16scan_by_key_implILNS1_25lookback_scan_determinismE0ELb0ES3_N6thrust23THRUST_200600_302600_NS6detail15normal_iteratorINS9_10device_ptrIiEEEESE_SE_iNS9_4plusIiEE19head_flag_predicateiEE10hipError_tPvRmT2_T3_T4_T5_mT6_T7_P12ihipStream_tbENKUlT_T0_E_clISt17integral_constantIbLb1EESY_EEDaST_SU_EUlST_E_NS1_11comp_targetILNS1_3genE4ELNS1_11target_archE910ELNS1_3gpuE8ELNS1_3repE0EEENS1_30default_config_static_selectorELNS0_4arch9wavefront6targetE0EEEvT1_.uses_vcc, 0
	.set _ZN7rocprim17ROCPRIM_400000_NS6detail17trampoline_kernelINS0_14default_configENS1_27scan_by_key_config_selectorIiiEEZZNS1_16scan_by_key_implILNS1_25lookback_scan_determinismE0ELb0ES3_N6thrust23THRUST_200600_302600_NS6detail15normal_iteratorINS9_10device_ptrIiEEEESE_SE_iNS9_4plusIiEE19head_flag_predicateiEE10hipError_tPvRmT2_T3_T4_T5_mT6_T7_P12ihipStream_tbENKUlT_T0_E_clISt17integral_constantIbLb1EESY_EEDaST_SU_EUlST_E_NS1_11comp_targetILNS1_3genE4ELNS1_11target_archE910ELNS1_3gpuE8ELNS1_3repE0EEENS1_30default_config_static_selectorELNS0_4arch9wavefront6targetE0EEEvT1_.uses_flat_scratch, 0
	.set _ZN7rocprim17ROCPRIM_400000_NS6detail17trampoline_kernelINS0_14default_configENS1_27scan_by_key_config_selectorIiiEEZZNS1_16scan_by_key_implILNS1_25lookback_scan_determinismE0ELb0ES3_N6thrust23THRUST_200600_302600_NS6detail15normal_iteratorINS9_10device_ptrIiEEEESE_SE_iNS9_4plusIiEE19head_flag_predicateiEE10hipError_tPvRmT2_T3_T4_T5_mT6_T7_P12ihipStream_tbENKUlT_T0_E_clISt17integral_constantIbLb1EESY_EEDaST_SU_EUlST_E_NS1_11comp_targetILNS1_3genE4ELNS1_11target_archE910ELNS1_3gpuE8ELNS1_3repE0EEENS1_30default_config_static_selectorELNS0_4arch9wavefront6targetE0EEEvT1_.has_dyn_sized_stack, 0
	.set _ZN7rocprim17ROCPRIM_400000_NS6detail17trampoline_kernelINS0_14default_configENS1_27scan_by_key_config_selectorIiiEEZZNS1_16scan_by_key_implILNS1_25lookback_scan_determinismE0ELb0ES3_N6thrust23THRUST_200600_302600_NS6detail15normal_iteratorINS9_10device_ptrIiEEEESE_SE_iNS9_4plusIiEE19head_flag_predicateiEE10hipError_tPvRmT2_T3_T4_T5_mT6_T7_P12ihipStream_tbENKUlT_T0_E_clISt17integral_constantIbLb1EESY_EEDaST_SU_EUlST_E_NS1_11comp_targetILNS1_3genE4ELNS1_11target_archE910ELNS1_3gpuE8ELNS1_3repE0EEENS1_30default_config_static_selectorELNS0_4arch9wavefront6targetE0EEEvT1_.has_recursion, 0
	.set _ZN7rocprim17ROCPRIM_400000_NS6detail17trampoline_kernelINS0_14default_configENS1_27scan_by_key_config_selectorIiiEEZZNS1_16scan_by_key_implILNS1_25lookback_scan_determinismE0ELb0ES3_N6thrust23THRUST_200600_302600_NS6detail15normal_iteratorINS9_10device_ptrIiEEEESE_SE_iNS9_4plusIiEE19head_flag_predicateiEE10hipError_tPvRmT2_T3_T4_T5_mT6_T7_P12ihipStream_tbENKUlT_T0_E_clISt17integral_constantIbLb1EESY_EEDaST_SU_EUlST_E_NS1_11comp_targetILNS1_3genE4ELNS1_11target_archE910ELNS1_3gpuE8ELNS1_3repE0EEENS1_30default_config_static_selectorELNS0_4arch9wavefront6targetE0EEEvT1_.has_indirect_call, 0
	.section	.AMDGPU.csdata,"",@progbits
; Kernel info:
; codeLenInByte = 0
; TotalNumSgprs: 0
; NumVgprs: 0
; ScratchSize: 0
; MemoryBound: 0
; FloatMode: 240
; IeeeMode: 1
; LDSByteSize: 0 bytes/workgroup (compile time only)
; SGPRBlocks: 0
; VGPRBlocks: 0
; NumSGPRsForWavesPerEU: 1
; NumVGPRsForWavesPerEU: 1
; NamedBarCnt: 0
; Occupancy: 16
; WaveLimiterHint : 0
; COMPUTE_PGM_RSRC2:SCRATCH_EN: 0
; COMPUTE_PGM_RSRC2:USER_SGPR: 2
; COMPUTE_PGM_RSRC2:TRAP_HANDLER: 0
; COMPUTE_PGM_RSRC2:TGID_X_EN: 1
; COMPUTE_PGM_RSRC2:TGID_Y_EN: 0
; COMPUTE_PGM_RSRC2:TGID_Z_EN: 0
; COMPUTE_PGM_RSRC2:TIDIG_COMP_CNT: 0
	.section	.text._ZN7rocprim17ROCPRIM_400000_NS6detail17trampoline_kernelINS0_14default_configENS1_27scan_by_key_config_selectorIiiEEZZNS1_16scan_by_key_implILNS1_25lookback_scan_determinismE0ELb0ES3_N6thrust23THRUST_200600_302600_NS6detail15normal_iteratorINS9_10device_ptrIiEEEESE_SE_iNS9_4plusIiEE19head_flag_predicateiEE10hipError_tPvRmT2_T3_T4_T5_mT6_T7_P12ihipStream_tbENKUlT_T0_E_clISt17integral_constantIbLb1EESY_EEDaST_SU_EUlST_E_NS1_11comp_targetILNS1_3genE3ELNS1_11target_archE908ELNS1_3gpuE7ELNS1_3repE0EEENS1_30default_config_static_selectorELNS0_4arch9wavefront6targetE0EEEvT1_,"axG",@progbits,_ZN7rocprim17ROCPRIM_400000_NS6detail17trampoline_kernelINS0_14default_configENS1_27scan_by_key_config_selectorIiiEEZZNS1_16scan_by_key_implILNS1_25lookback_scan_determinismE0ELb0ES3_N6thrust23THRUST_200600_302600_NS6detail15normal_iteratorINS9_10device_ptrIiEEEESE_SE_iNS9_4plusIiEE19head_flag_predicateiEE10hipError_tPvRmT2_T3_T4_T5_mT6_T7_P12ihipStream_tbENKUlT_T0_E_clISt17integral_constantIbLb1EESY_EEDaST_SU_EUlST_E_NS1_11comp_targetILNS1_3genE3ELNS1_11target_archE908ELNS1_3gpuE7ELNS1_3repE0EEENS1_30default_config_static_selectorELNS0_4arch9wavefront6targetE0EEEvT1_,comdat
	.protected	_ZN7rocprim17ROCPRIM_400000_NS6detail17trampoline_kernelINS0_14default_configENS1_27scan_by_key_config_selectorIiiEEZZNS1_16scan_by_key_implILNS1_25lookback_scan_determinismE0ELb0ES3_N6thrust23THRUST_200600_302600_NS6detail15normal_iteratorINS9_10device_ptrIiEEEESE_SE_iNS9_4plusIiEE19head_flag_predicateiEE10hipError_tPvRmT2_T3_T4_T5_mT6_T7_P12ihipStream_tbENKUlT_T0_E_clISt17integral_constantIbLb1EESY_EEDaST_SU_EUlST_E_NS1_11comp_targetILNS1_3genE3ELNS1_11target_archE908ELNS1_3gpuE7ELNS1_3repE0EEENS1_30default_config_static_selectorELNS0_4arch9wavefront6targetE0EEEvT1_ ; -- Begin function _ZN7rocprim17ROCPRIM_400000_NS6detail17trampoline_kernelINS0_14default_configENS1_27scan_by_key_config_selectorIiiEEZZNS1_16scan_by_key_implILNS1_25lookback_scan_determinismE0ELb0ES3_N6thrust23THRUST_200600_302600_NS6detail15normal_iteratorINS9_10device_ptrIiEEEESE_SE_iNS9_4plusIiEE19head_flag_predicateiEE10hipError_tPvRmT2_T3_T4_T5_mT6_T7_P12ihipStream_tbENKUlT_T0_E_clISt17integral_constantIbLb1EESY_EEDaST_SU_EUlST_E_NS1_11comp_targetILNS1_3genE3ELNS1_11target_archE908ELNS1_3gpuE7ELNS1_3repE0EEENS1_30default_config_static_selectorELNS0_4arch9wavefront6targetE0EEEvT1_
	.globl	_ZN7rocprim17ROCPRIM_400000_NS6detail17trampoline_kernelINS0_14default_configENS1_27scan_by_key_config_selectorIiiEEZZNS1_16scan_by_key_implILNS1_25lookback_scan_determinismE0ELb0ES3_N6thrust23THRUST_200600_302600_NS6detail15normal_iteratorINS9_10device_ptrIiEEEESE_SE_iNS9_4plusIiEE19head_flag_predicateiEE10hipError_tPvRmT2_T3_T4_T5_mT6_T7_P12ihipStream_tbENKUlT_T0_E_clISt17integral_constantIbLb1EESY_EEDaST_SU_EUlST_E_NS1_11comp_targetILNS1_3genE3ELNS1_11target_archE908ELNS1_3gpuE7ELNS1_3repE0EEENS1_30default_config_static_selectorELNS0_4arch9wavefront6targetE0EEEvT1_
	.p2align	8
	.type	_ZN7rocprim17ROCPRIM_400000_NS6detail17trampoline_kernelINS0_14default_configENS1_27scan_by_key_config_selectorIiiEEZZNS1_16scan_by_key_implILNS1_25lookback_scan_determinismE0ELb0ES3_N6thrust23THRUST_200600_302600_NS6detail15normal_iteratorINS9_10device_ptrIiEEEESE_SE_iNS9_4plusIiEE19head_flag_predicateiEE10hipError_tPvRmT2_T3_T4_T5_mT6_T7_P12ihipStream_tbENKUlT_T0_E_clISt17integral_constantIbLb1EESY_EEDaST_SU_EUlST_E_NS1_11comp_targetILNS1_3genE3ELNS1_11target_archE908ELNS1_3gpuE7ELNS1_3repE0EEENS1_30default_config_static_selectorELNS0_4arch9wavefront6targetE0EEEvT1_,@function
_ZN7rocprim17ROCPRIM_400000_NS6detail17trampoline_kernelINS0_14default_configENS1_27scan_by_key_config_selectorIiiEEZZNS1_16scan_by_key_implILNS1_25lookback_scan_determinismE0ELb0ES3_N6thrust23THRUST_200600_302600_NS6detail15normal_iteratorINS9_10device_ptrIiEEEESE_SE_iNS9_4plusIiEE19head_flag_predicateiEE10hipError_tPvRmT2_T3_T4_T5_mT6_T7_P12ihipStream_tbENKUlT_T0_E_clISt17integral_constantIbLb1EESY_EEDaST_SU_EUlST_E_NS1_11comp_targetILNS1_3genE3ELNS1_11target_archE908ELNS1_3gpuE7ELNS1_3repE0EEENS1_30default_config_static_selectorELNS0_4arch9wavefront6targetE0EEEvT1_: ; @_ZN7rocprim17ROCPRIM_400000_NS6detail17trampoline_kernelINS0_14default_configENS1_27scan_by_key_config_selectorIiiEEZZNS1_16scan_by_key_implILNS1_25lookback_scan_determinismE0ELb0ES3_N6thrust23THRUST_200600_302600_NS6detail15normal_iteratorINS9_10device_ptrIiEEEESE_SE_iNS9_4plusIiEE19head_flag_predicateiEE10hipError_tPvRmT2_T3_T4_T5_mT6_T7_P12ihipStream_tbENKUlT_T0_E_clISt17integral_constantIbLb1EESY_EEDaST_SU_EUlST_E_NS1_11comp_targetILNS1_3genE3ELNS1_11target_archE908ELNS1_3gpuE7ELNS1_3repE0EEENS1_30default_config_static_selectorELNS0_4arch9wavefront6targetE0EEEvT1_
; %bb.0:
	.section	.rodata,"a",@progbits
	.p2align	6, 0x0
	.amdhsa_kernel _ZN7rocprim17ROCPRIM_400000_NS6detail17trampoline_kernelINS0_14default_configENS1_27scan_by_key_config_selectorIiiEEZZNS1_16scan_by_key_implILNS1_25lookback_scan_determinismE0ELb0ES3_N6thrust23THRUST_200600_302600_NS6detail15normal_iteratorINS9_10device_ptrIiEEEESE_SE_iNS9_4plusIiEE19head_flag_predicateiEE10hipError_tPvRmT2_T3_T4_T5_mT6_T7_P12ihipStream_tbENKUlT_T0_E_clISt17integral_constantIbLb1EESY_EEDaST_SU_EUlST_E_NS1_11comp_targetILNS1_3genE3ELNS1_11target_archE908ELNS1_3gpuE7ELNS1_3repE0EEENS1_30default_config_static_selectorELNS0_4arch9wavefront6targetE0EEEvT1_
		.amdhsa_group_segment_fixed_size 0
		.amdhsa_private_segment_fixed_size 0
		.amdhsa_kernarg_size 112
		.amdhsa_user_sgpr_count 2
		.amdhsa_user_sgpr_dispatch_ptr 0
		.amdhsa_user_sgpr_queue_ptr 0
		.amdhsa_user_sgpr_kernarg_segment_ptr 1
		.amdhsa_user_sgpr_dispatch_id 0
		.amdhsa_user_sgpr_kernarg_preload_length 0
		.amdhsa_user_sgpr_kernarg_preload_offset 0
		.amdhsa_user_sgpr_private_segment_size 0
		.amdhsa_wavefront_size32 1
		.amdhsa_uses_dynamic_stack 0
		.amdhsa_enable_private_segment 0
		.amdhsa_system_sgpr_workgroup_id_x 1
		.amdhsa_system_sgpr_workgroup_id_y 0
		.amdhsa_system_sgpr_workgroup_id_z 0
		.amdhsa_system_sgpr_workgroup_info 0
		.amdhsa_system_vgpr_workitem_id 0
		.amdhsa_next_free_vgpr 1
		.amdhsa_next_free_sgpr 1
		.amdhsa_named_barrier_count 0
		.amdhsa_reserve_vcc 0
		.amdhsa_float_round_mode_32 0
		.amdhsa_float_round_mode_16_64 0
		.amdhsa_float_denorm_mode_32 3
		.amdhsa_float_denorm_mode_16_64 3
		.amdhsa_fp16_overflow 0
		.amdhsa_memory_ordered 1
		.amdhsa_forward_progress 1
		.amdhsa_inst_pref_size 0
		.amdhsa_round_robin_scheduling 0
		.amdhsa_exception_fp_ieee_invalid_op 0
		.amdhsa_exception_fp_denorm_src 0
		.amdhsa_exception_fp_ieee_div_zero 0
		.amdhsa_exception_fp_ieee_overflow 0
		.amdhsa_exception_fp_ieee_underflow 0
		.amdhsa_exception_fp_ieee_inexact 0
		.amdhsa_exception_int_div_zero 0
	.end_amdhsa_kernel
	.section	.text._ZN7rocprim17ROCPRIM_400000_NS6detail17trampoline_kernelINS0_14default_configENS1_27scan_by_key_config_selectorIiiEEZZNS1_16scan_by_key_implILNS1_25lookback_scan_determinismE0ELb0ES3_N6thrust23THRUST_200600_302600_NS6detail15normal_iteratorINS9_10device_ptrIiEEEESE_SE_iNS9_4plusIiEE19head_flag_predicateiEE10hipError_tPvRmT2_T3_T4_T5_mT6_T7_P12ihipStream_tbENKUlT_T0_E_clISt17integral_constantIbLb1EESY_EEDaST_SU_EUlST_E_NS1_11comp_targetILNS1_3genE3ELNS1_11target_archE908ELNS1_3gpuE7ELNS1_3repE0EEENS1_30default_config_static_selectorELNS0_4arch9wavefront6targetE0EEEvT1_,"axG",@progbits,_ZN7rocprim17ROCPRIM_400000_NS6detail17trampoline_kernelINS0_14default_configENS1_27scan_by_key_config_selectorIiiEEZZNS1_16scan_by_key_implILNS1_25lookback_scan_determinismE0ELb0ES3_N6thrust23THRUST_200600_302600_NS6detail15normal_iteratorINS9_10device_ptrIiEEEESE_SE_iNS9_4plusIiEE19head_flag_predicateiEE10hipError_tPvRmT2_T3_T4_T5_mT6_T7_P12ihipStream_tbENKUlT_T0_E_clISt17integral_constantIbLb1EESY_EEDaST_SU_EUlST_E_NS1_11comp_targetILNS1_3genE3ELNS1_11target_archE908ELNS1_3gpuE7ELNS1_3repE0EEENS1_30default_config_static_selectorELNS0_4arch9wavefront6targetE0EEEvT1_,comdat
.Lfunc_end762:
	.size	_ZN7rocprim17ROCPRIM_400000_NS6detail17trampoline_kernelINS0_14default_configENS1_27scan_by_key_config_selectorIiiEEZZNS1_16scan_by_key_implILNS1_25lookback_scan_determinismE0ELb0ES3_N6thrust23THRUST_200600_302600_NS6detail15normal_iteratorINS9_10device_ptrIiEEEESE_SE_iNS9_4plusIiEE19head_flag_predicateiEE10hipError_tPvRmT2_T3_T4_T5_mT6_T7_P12ihipStream_tbENKUlT_T0_E_clISt17integral_constantIbLb1EESY_EEDaST_SU_EUlST_E_NS1_11comp_targetILNS1_3genE3ELNS1_11target_archE908ELNS1_3gpuE7ELNS1_3repE0EEENS1_30default_config_static_selectorELNS0_4arch9wavefront6targetE0EEEvT1_, .Lfunc_end762-_ZN7rocprim17ROCPRIM_400000_NS6detail17trampoline_kernelINS0_14default_configENS1_27scan_by_key_config_selectorIiiEEZZNS1_16scan_by_key_implILNS1_25lookback_scan_determinismE0ELb0ES3_N6thrust23THRUST_200600_302600_NS6detail15normal_iteratorINS9_10device_ptrIiEEEESE_SE_iNS9_4plusIiEE19head_flag_predicateiEE10hipError_tPvRmT2_T3_T4_T5_mT6_T7_P12ihipStream_tbENKUlT_T0_E_clISt17integral_constantIbLb1EESY_EEDaST_SU_EUlST_E_NS1_11comp_targetILNS1_3genE3ELNS1_11target_archE908ELNS1_3gpuE7ELNS1_3repE0EEENS1_30default_config_static_selectorELNS0_4arch9wavefront6targetE0EEEvT1_
                                        ; -- End function
	.set _ZN7rocprim17ROCPRIM_400000_NS6detail17trampoline_kernelINS0_14default_configENS1_27scan_by_key_config_selectorIiiEEZZNS1_16scan_by_key_implILNS1_25lookback_scan_determinismE0ELb0ES3_N6thrust23THRUST_200600_302600_NS6detail15normal_iteratorINS9_10device_ptrIiEEEESE_SE_iNS9_4plusIiEE19head_flag_predicateiEE10hipError_tPvRmT2_T3_T4_T5_mT6_T7_P12ihipStream_tbENKUlT_T0_E_clISt17integral_constantIbLb1EESY_EEDaST_SU_EUlST_E_NS1_11comp_targetILNS1_3genE3ELNS1_11target_archE908ELNS1_3gpuE7ELNS1_3repE0EEENS1_30default_config_static_selectorELNS0_4arch9wavefront6targetE0EEEvT1_.num_vgpr, 0
	.set _ZN7rocprim17ROCPRIM_400000_NS6detail17trampoline_kernelINS0_14default_configENS1_27scan_by_key_config_selectorIiiEEZZNS1_16scan_by_key_implILNS1_25lookback_scan_determinismE0ELb0ES3_N6thrust23THRUST_200600_302600_NS6detail15normal_iteratorINS9_10device_ptrIiEEEESE_SE_iNS9_4plusIiEE19head_flag_predicateiEE10hipError_tPvRmT2_T3_T4_T5_mT6_T7_P12ihipStream_tbENKUlT_T0_E_clISt17integral_constantIbLb1EESY_EEDaST_SU_EUlST_E_NS1_11comp_targetILNS1_3genE3ELNS1_11target_archE908ELNS1_3gpuE7ELNS1_3repE0EEENS1_30default_config_static_selectorELNS0_4arch9wavefront6targetE0EEEvT1_.num_agpr, 0
	.set _ZN7rocprim17ROCPRIM_400000_NS6detail17trampoline_kernelINS0_14default_configENS1_27scan_by_key_config_selectorIiiEEZZNS1_16scan_by_key_implILNS1_25lookback_scan_determinismE0ELb0ES3_N6thrust23THRUST_200600_302600_NS6detail15normal_iteratorINS9_10device_ptrIiEEEESE_SE_iNS9_4plusIiEE19head_flag_predicateiEE10hipError_tPvRmT2_T3_T4_T5_mT6_T7_P12ihipStream_tbENKUlT_T0_E_clISt17integral_constantIbLb1EESY_EEDaST_SU_EUlST_E_NS1_11comp_targetILNS1_3genE3ELNS1_11target_archE908ELNS1_3gpuE7ELNS1_3repE0EEENS1_30default_config_static_selectorELNS0_4arch9wavefront6targetE0EEEvT1_.numbered_sgpr, 0
	.set _ZN7rocprim17ROCPRIM_400000_NS6detail17trampoline_kernelINS0_14default_configENS1_27scan_by_key_config_selectorIiiEEZZNS1_16scan_by_key_implILNS1_25lookback_scan_determinismE0ELb0ES3_N6thrust23THRUST_200600_302600_NS6detail15normal_iteratorINS9_10device_ptrIiEEEESE_SE_iNS9_4plusIiEE19head_flag_predicateiEE10hipError_tPvRmT2_T3_T4_T5_mT6_T7_P12ihipStream_tbENKUlT_T0_E_clISt17integral_constantIbLb1EESY_EEDaST_SU_EUlST_E_NS1_11comp_targetILNS1_3genE3ELNS1_11target_archE908ELNS1_3gpuE7ELNS1_3repE0EEENS1_30default_config_static_selectorELNS0_4arch9wavefront6targetE0EEEvT1_.num_named_barrier, 0
	.set _ZN7rocprim17ROCPRIM_400000_NS6detail17trampoline_kernelINS0_14default_configENS1_27scan_by_key_config_selectorIiiEEZZNS1_16scan_by_key_implILNS1_25lookback_scan_determinismE0ELb0ES3_N6thrust23THRUST_200600_302600_NS6detail15normal_iteratorINS9_10device_ptrIiEEEESE_SE_iNS9_4plusIiEE19head_flag_predicateiEE10hipError_tPvRmT2_T3_T4_T5_mT6_T7_P12ihipStream_tbENKUlT_T0_E_clISt17integral_constantIbLb1EESY_EEDaST_SU_EUlST_E_NS1_11comp_targetILNS1_3genE3ELNS1_11target_archE908ELNS1_3gpuE7ELNS1_3repE0EEENS1_30default_config_static_selectorELNS0_4arch9wavefront6targetE0EEEvT1_.private_seg_size, 0
	.set _ZN7rocprim17ROCPRIM_400000_NS6detail17trampoline_kernelINS0_14default_configENS1_27scan_by_key_config_selectorIiiEEZZNS1_16scan_by_key_implILNS1_25lookback_scan_determinismE0ELb0ES3_N6thrust23THRUST_200600_302600_NS6detail15normal_iteratorINS9_10device_ptrIiEEEESE_SE_iNS9_4plusIiEE19head_flag_predicateiEE10hipError_tPvRmT2_T3_T4_T5_mT6_T7_P12ihipStream_tbENKUlT_T0_E_clISt17integral_constantIbLb1EESY_EEDaST_SU_EUlST_E_NS1_11comp_targetILNS1_3genE3ELNS1_11target_archE908ELNS1_3gpuE7ELNS1_3repE0EEENS1_30default_config_static_selectorELNS0_4arch9wavefront6targetE0EEEvT1_.uses_vcc, 0
	.set _ZN7rocprim17ROCPRIM_400000_NS6detail17trampoline_kernelINS0_14default_configENS1_27scan_by_key_config_selectorIiiEEZZNS1_16scan_by_key_implILNS1_25lookback_scan_determinismE0ELb0ES3_N6thrust23THRUST_200600_302600_NS6detail15normal_iteratorINS9_10device_ptrIiEEEESE_SE_iNS9_4plusIiEE19head_flag_predicateiEE10hipError_tPvRmT2_T3_T4_T5_mT6_T7_P12ihipStream_tbENKUlT_T0_E_clISt17integral_constantIbLb1EESY_EEDaST_SU_EUlST_E_NS1_11comp_targetILNS1_3genE3ELNS1_11target_archE908ELNS1_3gpuE7ELNS1_3repE0EEENS1_30default_config_static_selectorELNS0_4arch9wavefront6targetE0EEEvT1_.uses_flat_scratch, 0
	.set _ZN7rocprim17ROCPRIM_400000_NS6detail17trampoline_kernelINS0_14default_configENS1_27scan_by_key_config_selectorIiiEEZZNS1_16scan_by_key_implILNS1_25lookback_scan_determinismE0ELb0ES3_N6thrust23THRUST_200600_302600_NS6detail15normal_iteratorINS9_10device_ptrIiEEEESE_SE_iNS9_4plusIiEE19head_flag_predicateiEE10hipError_tPvRmT2_T3_T4_T5_mT6_T7_P12ihipStream_tbENKUlT_T0_E_clISt17integral_constantIbLb1EESY_EEDaST_SU_EUlST_E_NS1_11comp_targetILNS1_3genE3ELNS1_11target_archE908ELNS1_3gpuE7ELNS1_3repE0EEENS1_30default_config_static_selectorELNS0_4arch9wavefront6targetE0EEEvT1_.has_dyn_sized_stack, 0
	.set _ZN7rocprim17ROCPRIM_400000_NS6detail17trampoline_kernelINS0_14default_configENS1_27scan_by_key_config_selectorIiiEEZZNS1_16scan_by_key_implILNS1_25lookback_scan_determinismE0ELb0ES3_N6thrust23THRUST_200600_302600_NS6detail15normal_iteratorINS9_10device_ptrIiEEEESE_SE_iNS9_4plusIiEE19head_flag_predicateiEE10hipError_tPvRmT2_T3_T4_T5_mT6_T7_P12ihipStream_tbENKUlT_T0_E_clISt17integral_constantIbLb1EESY_EEDaST_SU_EUlST_E_NS1_11comp_targetILNS1_3genE3ELNS1_11target_archE908ELNS1_3gpuE7ELNS1_3repE0EEENS1_30default_config_static_selectorELNS0_4arch9wavefront6targetE0EEEvT1_.has_recursion, 0
	.set _ZN7rocprim17ROCPRIM_400000_NS6detail17trampoline_kernelINS0_14default_configENS1_27scan_by_key_config_selectorIiiEEZZNS1_16scan_by_key_implILNS1_25lookback_scan_determinismE0ELb0ES3_N6thrust23THRUST_200600_302600_NS6detail15normal_iteratorINS9_10device_ptrIiEEEESE_SE_iNS9_4plusIiEE19head_flag_predicateiEE10hipError_tPvRmT2_T3_T4_T5_mT6_T7_P12ihipStream_tbENKUlT_T0_E_clISt17integral_constantIbLb1EESY_EEDaST_SU_EUlST_E_NS1_11comp_targetILNS1_3genE3ELNS1_11target_archE908ELNS1_3gpuE7ELNS1_3repE0EEENS1_30default_config_static_selectorELNS0_4arch9wavefront6targetE0EEEvT1_.has_indirect_call, 0
	.section	.AMDGPU.csdata,"",@progbits
; Kernel info:
; codeLenInByte = 0
; TotalNumSgprs: 0
; NumVgprs: 0
; ScratchSize: 0
; MemoryBound: 0
; FloatMode: 240
; IeeeMode: 1
; LDSByteSize: 0 bytes/workgroup (compile time only)
; SGPRBlocks: 0
; VGPRBlocks: 0
; NumSGPRsForWavesPerEU: 1
; NumVGPRsForWavesPerEU: 1
; NamedBarCnt: 0
; Occupancy: 16
; WaveLimiterHint : 0
; COMPUTE_PGM_RSRC2:SCRATCH_EN: 0
; COMPUTE_PGM_RSRC2:USER_SGPR: 2
; COMPUTE_PGM_RSRC2:TRAP_HANDLER: 0
; COMPUTE_PGM_RSRC2:TGID_X_EN: 1
; COMPUTE_PGM_RSRC2:TGID_Y_EN: 0
; COMPUTE_PGM_RSRC2:TGID_Z_EN: 0
; COMPUTE_PGM_RSRC2:TIDIG_COMP_CNT: 0
	.section	.text._ZN7rocprim17ROCPRIM_400000_NS6detail17trampoline_kernelINS0_14default_configENS1_27scan_by_key_config_selectorIiiEEZZNS1_16scan_by_key_implILNS1_25lookback_scan_determinismE0ELb0ES3_N6thrust23THRUST_200600_302600_NS6detail15normal_iteratorINS9_10device_ptrIiEEEESE_SE_iNS9_4plusIiEE19head_flag_predicateiEE10hipError_tPvRmT2_T3_T4_T5_mT6_T7_P12ihipStream_tbENKUlT_T0_E_clISt17integral_constantIbLb1EESY_EEDaST_SU_EUlST_E_NS1_11comp_targetILNS1_3genE2ELNS1_11target_archE906ELNS1_3gpuE6ELNS1_3repE0EEENS1_30default_config_static_selectorELNS0_4arch9wavefront6targetE0EEEvT1_,"axG",@progbits,_ZN7rocprim17ROCPRIM_400000_NS6detail17trampoline_kernelINS0_14default_configENS1_27scan_by_key_config_selectorIiiEEZZNS1_16scan_by_key_implILNS1_25lookback_scan_determinismE0ELb0ES3_N6thrust23THRUST_200600_302600_NS6detail15normal_iteratorINS9_10device_ptrIiEEEESE_SE_iNS9_4plusIiEE19head_flag_predicateiEE10hipError_tPvRmT2_T3_T4_T5_mT6_T7_P12ihipStream_tbENKUlT_T0_E_clISt17integral_constantIbLb1EESY_EEDaST_SU_EUlST_E_NS1_11comp_targetILNS1_3genE2ELNS1_11target_archE906ELNS1_3gpuE6ELNS1_3repE0EEENS1_30default_config_static_selectorELNS0_4arch9wavefront6targetE0EEEvT1_,comdat
	.protected	_ZN7rocprim17ROCPRIM_400000_NS6detail17trampoline_kernelINS0_14default_configENS1_27scan_by_key_config_selectorIiiEEZZNS1_16scan_by_key_implILNS1_25lookback_scan_determinismE0ELb0ES3_N6thrust23THRUST_200600_302600_NS6detail15normal_iteratorINS9_10device_ptrIiEEEESE_SE_iNS9_4plusIiEE19head_flag_predicateiEE10hipError_tPvRmT2_T3_T4_T5_mT6_T7_P12ihipStream_tbENKUlT_T0_E_clISt17integral_constantIbLb1EESY_EEDaST_SU_EUlST_E_NS1_11comp_targetILNS1_3genE2ELNS1_11target_archE906ELNS1_3gpuE6ELNS1_3repE0EEENS1_30default_config_static_selectorELNS0_4arch9wavefront6targetE0EEEvT1_ ; -- Begin function _ZN7rocprim17ROCPRIM_400000_NS6detail17trampoline_kernelINS0_14default_configENS1_27scan_by_key_config_selectorIiiEEZZNS1_16scan_by_key_implILNS1_25lookback_scan_determinismE0ELb0ES3_N6thrust23THRUST_200600_302600_NS6detail15normal_iteratorINS9_10device_ptrIiEEEESE_SE_iNS9_4plusIiEE19head_flag_predicateiEE10hipError_tPvRmT2_T3_T4_T5_mT6_T7_P12ihipStream_tbENKUlT_T0_E_clISt17integral_constantIbLb1EESY_EEDaST_SU_EUlST_E_NS1_11comp_targetILNS1_3genE2ELNS1_11target_archE906ELNS1_3gpuE6ELNS1_3repE0EEENS1_30default_config_static_selectorELNS0_4arch9wavefront6targetE0EEEvT1_
	.globl	_ZN7rocprim17ROCPRIM_400000_NS6detail17trampoline_kernelINS0_14default_configENS1_27scan_by_key_config_selectorIiiEEZZNS1_16scan_by_key_implILNS1_25lookback_scan_determinismE0ELb0ES3_N6thrust23THRUST_200600_302600_NS6detail15normal_iteratorINS9_10device_ptrIiEEEESE_SE_iNS9_4plusIiEE19head_flag_predicateiEE10hipError_tPvRmT2_T3_T4_T5_mT6_T7_P12ihipStream_tbENKUlT_T0_E_clISt17integral_constantIbLb1EESY_EEDaST_SU_EUlST_E_NS1_11comp_targetILNS1_3genE2ELNS1_11target_archE906ELNS1_3gpuE6ELNS1_3repE0EEENS1_30default_config_static_selectorELNS0_4arch9wavefront6targetE0EEEvT1_
	.p2align	8
	.type	_ZN7rocprim17ROCPRIM_400000_NS6detail17trampoline_kernelINS0_14default_configENS1_27scan_by_key_config_selectorIiiEEZZNS1_16scan_by_key_implILNS1_25lookback_scan_determinismE0ELb0ES3_N6thrust23THRUST_200600_302600_NS6detail15normal_iteratorINS9_10device_ptrIiEEEESE_SE_iNS9_4plusIiEE19head_flag_predicateiEE10hipError_tPvRmT2_T3_T4_T5_mT6_T7_P12ihipStream_tbENKUlT_T0_E_clISt17integral_constantIbLb1EESY_EEDaST_SU_EUlST_E_NS1_11comp_targetILNS1_3genE2ELNS1_11target_archE906ELNS1_3gpuE6ELNS1_3repE0EEENS1_30default_config_static_selectorELNS0_4arch9wavefront6targetE0EEEvT1_,@function
_ZN7rocprim17ROCPRIM_400000_NS6detail17trampoline_kernelINS0_14default_configENS1_27scan_by_key_config_selectorIiiEEZZNS1_16scan_by_key_implILNS1_25lookback_scan_determinismE0ELb0ES3_N6thrust23THRUST_200600_302600_NS6detail15normal_iteratorINS9_10device_ptrIiEEEESE_SE_iNS9_4plusIiEE19head_flag_predicateiEE10hipError_tPvRmT2_T3_T4_T5_mT6_T7_P12ihipStream_tbENKUlT_T0_E_clISt17integral_constantIbLb1EESY_EEDaST_SU_EUlST_E_NS1_11comp_targetILNS1_3genE2ELNS1_11target_archE906ELNS1_3gpuE6ELNS1_3repE0EEENS1_30default_config_static_selectorELNS0_4arch9wavefront6targetE0EEEvT1_: ; @_ZN7rocprim17ROCPRIM_400000_NS6detail17trampoline_kernelINS0_14default_configENS1_27scan_by_key_config_selectorIiiEEZZNS1_16scan_by_key_implILNS1_25lookback_scan_determinismE0ELb0ES3_N6thrust23THRUST_200600_302600_NS6detail15normal_iteratorINS9_10device_ptrIiEEEESE_SE_iNS9_4plusIiEE19head_flag_predicateiEE10hipError_tPvRmT2_T3_T4_T5_mT6_T7_P12ihipStream_tbENKUlT_T0_E_clISt17integral_constantIbLb1EESY_EEDaST_SU_EUlST_E_NS1_11comp_targetILNS1_3genE2ELNS1_11target_archE906ELNS1_3gpuE6ELNS1_3repE0EEENS1_30default_config_static_selectorELNS0_4arch9wavefront6targetE0EEEvT1_
; %bb.0:
	.section	.rodata,"a",@progbits
	.p2align	6, 0x0
	.amdhsa_kernel _ZN7rocprim17ROCPRIM_400000_NS6detail17trampoline_kernelINS0_14default_configENS1_27scan_by_key_config_selectorIiiEEZZNS1_16scan_by_key_implILNS1_25lookback_scan_determinismE0ELb0ES3_N6thrust23THRUST_200600_302600_NS6detail15normal_iteratorINS9_10device_ptrIiEEEESE_SE_iNS9_4plusIiEE19head_flag_predicateiEE10hipError_tPvRmT2_T3_T4_T5_mT6_T7_P12ihipStream_tbENKUlT_T0_E_clISt17integral_constantIbLb1EESY_EEDaST_SU_EUlST_E_NS1_11comp_targetILNS1_3genE2ELNS1_11target_archE906ELNS1_3gpuE6ELNS1_3repE0EEENS1_30default_config_static_selectorELNS0_4arch9wavefront6targetE0EEEvT1_
		.amdhsa_group_segment_fixed_size 0
		.amdhsa_private_segment_fixed_size 0
		.amdhsa_kernarg_size 112
		.amdhsa_user_sgpr_count 2
		.amdhsa_user_sgpr_dispatch_ptr 0
		.amdhsa_user_sgpr_queue_ptr 0
		.amdhsa_user_sgpr_kernarg_segment_ptr 1
		.amdhsa_user_sgpr_dispatch_id 0
		.amdhsa_user_sgpr_kernarg_preload_length 0
		.amdhsa_user_sgpr_kernarg_preload_offset 0
		.amdhsa_user_sgpr_private_segment_size 0
		.amdhsa_wavefront_size32 1
		.amdhsa_uses_dynamic_stack 0
		.amdhsa_enable_private_segment 0
		.amdhsa_system_sgpr_workgroup_id_x 1
		.amdhsa_system_sgpr_workgroup_id_y 0
		.amdhsa_system_sgpr_workgroup_id_z 0
		.amdhsa_system_sgpr_workgroup_info 0
		.amdhsa_system_vgpr_workitem_id 0
		.amdhsa_next_free_vgpr 1
		.amdhsa_next_free_sgpr 1
		.amdhsa_named_barrier_count 0
		.amdhsa_reserve_vcc 0
		.amdhsa_float_round_mode_32 0
		.amdhsa_float_round_mode_16_64 0
		.amdhsa_float_denorm_mode_32 3
		.amdhsa_float_denorm_mode_16_64 3
		.amdhsa_fp16_overflow 0
		.amdhsa_memory_ordered 1
		.amdhsa_forward_progress 1
		.amdhsa_inst_pref_size 0
		.amdhsa_round_robin_scheduling 0
		.amdhsa_exception_fp_ieee_invalid_op 0
		.amdhsa_exception_fp_denorm_src 0
		.amdhsa_exception_fp_ieee_div_zero 0
		.amdhsa_exception_fp_ieee_overflow 0
		.amdhsa_exception_fp_ieee_underflow 0
		.amdhsa_exception_fp_ieee_inexact 0
		.amdhsa_exception_int_div_zero 0
	.end_amdhsa_kernel
	.section	.text._ZN7rocprim17ROCPRIM_400000_NS6detail17trampoline_kernelINS0_14default_configENS1_27scan_by_key_config_selectorIiiEEZZNS1_16scan_by_key_implILNS1_25lookback_scan_determinismE0ELb0ES3_N6thrust23THRUST_200600_302600_NS6detail15normal_iteratorINS9_10device_ptrIiEEEESE_SE_iNS9_4plusIiEE19head_flag_predicateiEE10hipError_tPvRmT2_T3_T4_T5_mT6_T7_P12ihipStream_tbENKUlT_T0_E_clISt17integral_constantIbLb1EESY_EEDaST_SU_EUlST_E_NS1_11comp_targetILNS1_3genE2ELNS1_11target_archE906ELNS1_3gpuE6ELNS1_3repE0EEENS1_30default_config_static_selectorELNS0_4arch9wavefront6targetE0EEEvT1_,"axG",@progbits,_ZN7rocprim17ROCPRIM_400000_NS6detail17trampoline_kernelINS0_14default_configENS1_27scan_by_key_config_selectorIiiEEZZNS1_16scan_by_key_implILNS1_25lookback_scan_determinismE0ELb0ES3_N6thrust23THRUST_200600_302600_NS6detail15normal_iteratorINS9_10device_ptrIiEEEESE_SE_iNS9_4plusIiEE19head_flag_predicateiEE10hipError_tPvRmT2_T3_T4_T5_mT6_T7_P12ihipStream_tbENKUlT_T0_E_clISt17integral_constantIbLb1EESY_EEDaST_SU_EUlST_E_NS1_11comp_targetILNS1_3genE2ELNS1_11target_archE906ELNS1_3gpuE6ELNS1_3repE0EEENS1_30default_config_static_selectorELNS0_4arch9wavefront6targetE0EEEvT1_,comdat
.Lfunc_end763:
	.size	_ZN7rocprim17ROCPRIM_400000_NS6detail17trampoline_kernelINS0_14default_configENS1_27scan_by_key_config_selectorIiiEEZZNS1_16scan_by_key_implILNS1_25lookback_scan_determinismE0ELb0ES3_N6thrust23THRUST_200600_302600_NS6detail15normal_iteratorINS9_10device_ptrIiEEEESE_SE_iNS9_4plusIiEE19head_flag_predicateiEE10hipError_tPvRmT2_T3_T4_T5_mT6_T7_P12ihipStream_tbENKUlT_T0_E_clISt17integral_constantIbLb1EESY_EEDaST_SU_EUlST_E_NS1_11comp_targetILNS1_3genE2ELNS1_11target_archE906ELNS1_3gpuE6ELNS1_3repE0EEENS1_30default_config_static_selectorELNS0_4arch9wavefront6targetE0EEEvT1_, .Lfunc_end763-_ZN7rocprim17ROCPRIM_400000_NS6detail17trampoline_kernelINS0_14default_configENS1_27scan_by_key_config_selectorIiiEEZZNS1_16scan_by_key_implILNS1_25lookback_scan_determinismE0ELb0ES3_N6thrust23THRUST_200600_302600_NS6detail15normal_iteratorINS9_10device_ptrIiEEEESE_SE_iNS9_4plusIiEE19head_flag_predicateiEE10hipError_tPvRmT2_T3_T4_T5_mT6_T7_P12ihipStream_tbENKUlT_T0_E_clISt17integral_constantIbLb1EESY_EEDaST_SU_EUlST_E_NS1_11comp_targetILNS1_3genE2ELNS1_11target_archE906ELNS1_3gpuE6ELNS1_3repE0EEENS1_30default_config_static_selectorELNS0_4arch9wavefront6targetE0EEEvT1_
                                        ; -- End function
	.set _ZN7rocprim17ROCPRIM_400000_NS6detail17trampoline_kernelINS0_14default_configENS1_27scan_by_key_config_selectorIiiEEZZNS1_16scan_by_key_implILNS1_25lookback_scan_determinismE0ELb0ES3_N6thrust23THRUST_200600_302600_NS6detail15normal_iteratorINS9_10device_ptrIiEEEESE_SE_iNS9_4plusIiEE19head_flag_predicateiEE10hipError_tPvRmT2_T3_T4_T5_mT6_T7_P12ihipStream_tbENKUlT_T0_E_clISt17integral_constantIbLb1EESY_EEDaST_SU_EUlST_E_NS1_11comp_targetILNS1_3genE2ELNS1_11target_archE906ELNS1_3gpuE6ELNS1_3repE0EEENS1_30default_config_static_selectorELNS0_4arch9wavefront6targetE0EEEvT1_.num_vgpr, 0
	.set _ZN7rocprim17ROCPRIM_400000_NS6detail17trampoline_kernelINS0_14default_configENS1_27scan_by_key_config_selectorIiiEEZZNS1_16scan_by_key_implILNS1_25lookback_scan_determinismE0ELb0ES3_N6thrust23THRUST_200600_302600_NS6detail15normal_iteratorINS9_10device_ptrIiEEEESE_SE_iNS9_4plusIiEE19head_flag_predicateiEE10hipError_tPvRmT2_T3_T4_T5_mT6_T7_P12ihipStream_tbENKUlT_T0_E_clISt17integral_constantIbLb1EESY_EEDaST_SU_EUlST_E_NS1_11comp_targetILNS1_3genE2ELNS1_11target_archE906ELNS1_3gpuE6ELNS1_3repE0EEENS1_30default_config_static_selectorELNS0_4arch9wavefront6targetE0EEEvT1_.num_agpr, 0
	.set _ZN7rocprim17ROCPRIM_400000_NS6detail17trampoline_kernelINS0_14default_configENS1_27scan_by_key_config_selectorIiiEEZZNS1_16scan_by_key_implILNS1_25lookback_scan_determinismE0ELb0ES3_N6thrust23THRUST_200600_302600_NS6detail15normal_iteratorINS9_10device_ptrIiEEEESE_SE_iNS9_4plusIiEE19head_flag_predicateiEE10hipError_tPvRmT2_T3_T4_T5_mT6_T7_P12ihipStream_tbENKUlT_T0_E_clISt17integral_constantIbLb1EESY_EEDaST_SU_EUlST_E_NS1_11comp_targetILNS1_3genE2ELNS1_11target_archE906ELNS1_3gpuE6ELNS1_3repE0EEENS1_30default_config_static_selectorELNS0_4arch9wavefront6targetE0EEEvT1_.numbered_sgpr, 0
	.set _ZN7rocprim17ROCPRIM_400000_NS6detail17trampoline_kernelINS0_14default_configENS1_27scan_by_key_config_selectorIiiEEZZNS1_16scan_by_key_implILNS1_25lookback_scan_determinismE0ELb0ES3_N6thrust23THRUST_200600_302600_NS6detail15normal_iteratorINS9_10device_ptrIiEEEESE_SE_iNS9_4plusIiEE19head_flag_predicateiEE10hipError_tPvRmT2_T3_T4_T5_mT6_T7_P12ihipStream_tbENKUlT_T0_E_clISt17integral_constantIbLb1EESY_EEDaST_SU_EUlST_E_NS1_11comp_targetILNS1_3genE2ELNS1_11target_archE906ELNS1_3gpuE6ELNS1_3repE0EEENS1_30default_config_static_selectorELNS0_4arch9wavefront6targetE0EEEvT1_.num_named_barrier, 0
	.set _ZN7rocprim17ROCPRIM_400000_NS6detail17trampoline_kernelINS0_14default_configENS1_27scan_by_key_config_selectorIiiEEZZNS1_16scan_by_key_implILNS1_25lookback_scan_determinismE0ELb0ES3_N6thrust23THRUST_200600_302600_NS6detail15normal_iteratorINS9_10device_ptrIiEEEESE_SE_iNS9_4plusIiEE19head_flag_predicateiEE10hipError_tPvRmT2_T3_T4_T5_mT6_T7_P12ihipStream_tbENKUlT_T0_E_clISt17integral_constantIbLb1EESY_EEDaST_SU_EUlST_E_NS1_11comp_targetILNS1_3genE2ELNS1_11target_archE906ELNS1_3gpuE6ELNS1_3repE0EEENS1_30default_config_static_selectorELNS0_4arch9wavefront6targetE0EEEvT1_.private_seg_size, 0
	.set _ZN7rocprim17ROCPRIM_400000_NS6detail17trampoline_kernelINS0_14default_configENS1_27scan_by_key_config_selectorIiiEEZZNS1_16scan_by_key_implILNS1_25lookback_scan_determinismE0ELb0ES3_N6thrust23THRUST_200600_302600_NS6detail15normal_iteratorINS9_10device_ptrIiEEEESE_SE_iNS9_4plusIiEE19head_flag_predicateiEE10hipError_tPvRmT2_T3_T4_T5_mT6_T7_P12ihipStream_tbENKUlT_T0_E_clISt17integral_constantIbLb1EESY_EEDaST_SU_EUlST_E_NS1_11comp_targetILNS1_3genE2ELNS1_11target_archE906ELNS1_3gpuE6ELNS1_3repE0EEENS1_30default_config_static_selectorELNS0_4arch9wavefront6targetE0EEEvT1_.uses_vcc, 0
	.set _ZN7rocprim17ROCPRIM_400000_NS6detail17trampoline_kernelINS0_14default_configENS1_27scan_by_key_config_selectorIiiEEZZNS1_16scan_by_key_implILNS1_25lookback_scan_determinismE0ELb0ES3_N6thrust23THRUST_200600_302600_NS6detail15normal_iteratorINS9_10device_ptrIiEEEESE_SE_iNS9_4plusIiEE19head_flag_predicateiEE10hipError_tPvRmT2_T3_T4_T5_mT6_T7_P12ihipStream_tbENKUlT_T0_E_clISt17integral_constantIbLb1EESY_EEDaST_SU_EUlST_E_NS1_11comp_targetILNS1_3genE2ELNS1_11target_archE906ELNS1_3gpuE6ELNS1_3repE0EEENS1_30default_config_static_selectorELNS0_4arch9wavefront6targetE0EEEvT1_.uses_flat_scratch, 0
	.set _ZN7rocprim17ROCPRIM_400000_NS6detail17trampoline_kernelINS0_14default_configENS1_27scan_by_key_config_selectorIiiEEZZNS1_16scan_by_key_implILNS1_25lookback_scan_determinismE0ELb0ES3_N6thrust23THRUST_200600_302600_NS6detail15normal_iteratorINS9_10device_ptrIiEEEESE_SE_iNS9_4plusIiEE19head_flag_predicateiEE10hipError_tPvRmT2_T3_T4_T5_mT6_T7_P12ihipStream_tbENKUlT_T0_E_clISt17integral_constantIbLb1EESY_EEDaST_SU_EUlST_E_NS1_11comp_targetILNS1_3genE2ELNS1_11target_archE906ELNS1_3gpuE6ELNS1_3repE0EEENS1_30default_config_static_selectorELNS0_4arch9wavefront6targetE0EEEvT1_.has_dyn_sized_stack, 0
	.set _ZN7rocprim17ROCPRIM_400000_NS6detail17trampoline_kernelINS0_14default_configENS1_27scan_by_key_config_selectorIiiEEZZNS1_16scan_by_key_implILNS1_25lookback_scan_determinismE0ELb0ES3_N6thrust23THRUST_200600_302600_NS6detail15normal_iteratorINS9_10device_ptrIiEEEESE_SE_iNS9_4plusIiEE19head_flag_predicateiEE10hipError_tPvRmT2_T3_T4_T5_mT6_T7_P12ihipStream_tbENKUlT_T0_E_clISt17integral_constantIbLb1EESY_EEDaST_SU_EUlST_E_NS1_11comp_targetILNS1_3genE2ELNS1_11target_archE906ELNS1_3gpuE6ELNS1_3repE0EEENS1_30default_config_static_selectorELNS0_4arch9wavefront6targetE0EEEvT1_.has_recursion, 0
	.set _ZN7rocprim17ROCPRIM_400000_NS6detail17trampoline_kernelINS0_14default_configENS1_27scan_by_key_config_selectorIiiEEZZNS1_16scan_by_key_implILNS1_25lookback_scan_determinismE0ELb0ES3_N6thrust23THRUST_200600_302600_NS6detail15normal_iteratorINS9_10device_ptrIiEEEESE_SE_iNS9_4plusIiEE19head_flag_predicateiEE10hipError_tPvRmT2_T3_T4_T5_mT6_T7_P12ihipStream_tbENKUlT_T0_E_clISt17integral_constantIbLb1EESY_EEDaST_SU_EUlST_E_NS1_11comp_targetILNS1_3genE2ELNS1_11target_archE906ELNS1_3gpuE6ELNS1_3repE0EEENS1_30default_config_static_selectorELNS0_4arch9wavefront6targetE0EEEvT1_.has_indirect_call, 0
	.section	.AMDGPU.csdata,"",@progbits
; Kernel info:
; codeLenInByte = 0
; TotalNumSgprs: 0
; NumVgprs: 0
; ScratchSize: 0
; MemoryBound: 0
; FloatMode: 240
; IeeeMode: 1
; LDSByteSize: 0 bytes/workgroup (compile time only)
; SGPRBlocks: 0
; VGPRBlocks: 0
; NumSGPRsForWavesPerEU: 1
; NumVGPRsForWavesPerEU: 1
; NamedBarCnt: 0
; Occupancy: 16
; WaveLimiterHint : 0
; COMPUTE_PGM_RSRC2:SCRATCH_EN: 0
; COMPUTE_PGM_RSRC2:USER_SGPR: 2
; COMPUTE_PGM_RSRC2:TRAP_HANDLER: 0
; COMPUTE_PGM_RSRC2:TGID_X_EN: 1
; COMPUTE_PGM_RSRC2:TGID_Y_EN: 0
; COMPUTE_PGM_RSRC2:TGID_Z_EN: 0
; COMPUTE_PGM_RSRC2:TIDIG_COMP_CNT: 0
	.section	.text._ZN7rocprim17ROCPRIM_400000_NS6detail17trampoline_kernelINS0_14default_configENS1_27scan_by_key_config_selectorIiiEEZZNS1_16scan_by_key_implILNS1_25lookback_scan_determinismE0ELb0ES3_N6thrust23THRUST_200600_302600_NS6detail15normal_iteratorINS9_10device_ptrIiEEEESE_SE_iNS9_4plusIiEE19head_flag_predicateiEE10hipError_tPvRmT2_T3_T4_T5_mT6_T7_P12ihipStream_tbENKUlT_T0_E_clISt17integral_constantIbLb1EESY_EEDaST_SU_EUlST_E_NS1_11comp_targetILNS1_3genE10ELNS1_11target_archE1200ELNS1_3gpuE4ELNS1_3repE0EEENS1_30default_config_static_selectorELNS0_4arch9wavefront6targetE0EEEvT1_,"axG",@progbits,_ZN7rocprim17ROCPRIM_400000_NS6detail17trampoline_kernelINS0_14default_configENS1_27scan_by_key_config_selectorIiiEEZZNS1_16scan_by_key_implILNS1_25lookback_scan_determinismE0ELb0ES3_N6thrust23THRUST_200600_302600_NS6detail15normal_iteratorINS9_10device_ptrIiEEEESE_SE_iNS9_4plusIiEE19head_flag_predicateiEE10hipError_tPvRmT2_T3_T4_T5_mT6_T7_P12ihipStream_tbENKUlT_T0_E_clISt17integral_constantIbLb1EESY_EEDaST_SU_EUlST_E_NS1_11comp_targetILNS1_3genE10ELNS1_11target_archE1200ELNS1_3gpuE4ELNS1_3repE0EEENS1_30default_config_static_selectorELNS0_4arch9wavefront6targetE0EEEvT1_,comdat
	.protected	_ZN7rocprim17ROCPRIM_400000_NS6detail17trampoline_kernelINS0_14default_configENS1_27scan_by_key_config_selectorIiiEEZZNS1_16scan_by_key_implILNS1_25lookback_scan_determinismE0ELb0ES3_N6thrust23THRUST_200600_302600_NS6detail15normal_iteratorINS9_10device_ptrIiEEEESE_SE_iNS9_4plusIiEE19head_flag_predicateiEE10hipError_tPvRmT2_T3_T4_T5_mT6_T7_P12ihipStream_tbENKUlT_T0_E_clISt17integral_constantIbLb1EESY_EEDaST_SU_EUlST_E_NS1_11comp_targetILNS1_3genE10ELNS1_11target_archE1200ELNS1_3gpuE4ELNS1_3repE0EEENS1_30default_config_static_selectorELNS0_4arch9wavefront6targetE0EEEvT1_ ; -- Begin function _ZN7rocprim17ROCPRIM_400000_NS6detail17trampoline_kernelINS0_14default_configENS1_27scan_by_key_config_selectorIiiEEZZNS1_16scan_by_key_implILNS1_25lookback_scan_determinismE0ELb0ES3_N6thrust23THRUST_200600_302600_NS6detail15normal_iteratorINS9_10device_ptrIiEEEESE_SE_iNS9_4plusIiEE19head_flag_predicateiEE10hipError_tPvRmT2_T3_T4_T5_mT6_T7_P12ihipStream_tbENKUlT_T0_E_clISt17integral_constantIbLb1EESY_EEDaST_SU_EUlST_E_NS1_11comp_targetILNS1_3genE10ELNS1_11target_archE1200ELNS1_3gpuE4ELNS1_3repE0EEENS1_30default_config_static_selectorELNS0_4arch9wavefront6targetE0EEEvT1_
	.globl	_ZN7rocprim17ROCPRIM_400000_NS6detail17trampoline_kernelINS0_14default_configENS1_27scan_by_key_config_selectorIiiEEZZNS1_16scan_by_key_implILNS1_25lookback_scan_determinismE0ELb0ES3_N6thrust23THRUST_200600_302600_NS6detail15normal_iteratorINS9_10device_ptrIiEEEESE_SE_iNS9_4plusIiEE19head_flag_predicateiEE10hipError_tPvRmT2_T3_T4_T5_mT6_T7_P12ihipStream_tbENKUlT_T0_E_clISt17integral_constantIbLb1EESY_EEDaST_SU_EUlST_E_NS1_11comp_targetILNS1_3genE10ELNS1_11target_archE1200ELNS1_3gpuE4ELNS1_3repE0EEENS1_30default_config_static_selectorELNS0_4arch9wavefront6targetE0EEEvT1_
	.p2align	8
	.type	_ZN7rocprim17ROCPRIM_400000_NS6detail17trampoline_kernelINS0_14default_configENS1_27scan_by_key_config_selectorIiiEEZZNS1_16scan_by_key_implILNS1_25lookback_scan_determinismE0ELb0ES3_N6thrust23THRUST_200600_302600_NS6detail15normal_iteratorINS9_10device_ptrIiEEEESE_SE_iNS9_4plusIiEE19head_flag_predicateiEE10hipError_tPvRmT2_T3_T4_T5_mT6_T7_P12ihipStream_tbENKUlT_T0_E_clISt17integral_constantIbLb1EESY_EEDaST_SU_EUlST_E_NS1_11comp_targetILNS1_3genE10ELNS1_11target_archE1200ELNS1_3gpuE4ELNS1_3repE0EEENS1_30default_config_static_selectorELNS0_4arch9wavefront6targetE0EEEvT1_,@function
_ZN7rocprim17ROCPRIM_400000_NS6detail17trampoline_kernelINS0_14default_configENS1_27scan_by_key_config_selectorIiiEEZZNS1_16scan_by_key_implILNS1_25lookback_scan_determinismE0ELb0ES3_N6thrust23THRUST_200600_302600_NS6detail15normal_iteratorINS9_10device_ptrIiEEEESE_SE_iNS9_4plusIiEE19head_flag_predicateiEE10hipError_tPvRmT2_T3_T4_T5_mT6_T7_P12ihipStream_tbENKUlT_T0_E_clISt17integral_constantIbLb1EESY_EEDaST_SU_EUlST_E_NS1_11comp_targetILNS1_3genE10ELNS1_11target_archE1200ELNS1_3gpuE4ELNS1_3repE0EEENS1_30default_config_static_selectorELNS0_4arch9wavefront6targetE0EEEvT1_: ; @_ZN7rocprim17ROCPRIM_400000_NS6detail17trampoline_kernelINS0_14default_configENS1_27scan_by_key_config_selectorIiiEEZZNS1_16scan_by_key_implILNS1_25lookback_scan_determinismE0ELb0ES3_N6thrust23THRUST_200600_302600_NS6detail15normal_iteratorINS9_10device_ptrIiEEEESE_SE_iNS9_4plusIiEE19head_flag_predicateiEE10hipError_tPvRmT2_T3_T4_T5_mT6_T7_P12ihipStream_tbENKUlT_T0_E_clISt17integral_constantIbLb1EESY_EEDaST_SU_EUlST_E_NS1_11comp_targetILNS1_3genE10ELNS1_11target_archE1200ELNS1_3gpuE4ELNS1_3repE0EEENS1_30default_config_static_selectorELNS0_4arch9wavefront6targetE0EEEvT1_
; %bb.0:
	.section	.rodata,"a",@progbits
	.p2align	6, 0x0
	.amdhsa_kernel _ZN7rocprim17ROCPRIM_400000_NS6detail17trampoline_kernelINS0_14default_configENS1_27scan_by_key_config_selectorIiiEEZZNS1_16scan_by_key_implILNS1_25lookback_scan_determinismE0ELb0ES3_N6thrust23THRUST_200600_302600_NS6detail15normal_iteratorINS9_10device_ptrIiEEEESE_SE_iNS9_4plusIiEE19head_flag_predicateiEE10hipError_tPvRmT2_T3_T4_T5_mT6_T7_P12ihipStream_tbENKUlT_T0_E_clISt17integral_constantIbLb1EESY_EEDaST_SU_EUlST_E_NS1_11comp_targetILNS1_3genE10ELNS1_11target_archE1200ELNS1_3gpuE4ELNS1_3repE0EEENS1_30default_config_static_selectorELNS0_4arch9wavefront6targetE0EEEvT1_
		.amdhsa_group_segment_fixed_size 0
		.amdhsa_private_segment_fixed_size 0
		.amdhsa_kernarg_size 112
		.amdhsa_user_sgpr_count 2
		.amdhsa_user_sgpr_dispatch_ptr 0
		.amdhsa_user_sgpr_queue_ptr 0
		.amdhsa_user_sgpr_kernarg_segment_ptr 1
		.amdhsa_user_sgpr_dispatch_id 0
		.amdhsa_user_sgpr_kernarg_preload_length 0
		.amdhsa_user_sgpr_kernarg_preload_offset 0
		.amdhsa_user_sgpr_private_segment_size 0
		.amdhsa_wavefront_size32 1
		.amdhsa_uses_dynamic_stack 0
		.amdhsa_enable_private_segment 0
		.amdhsa_system_sgpr_workgroup_id_x 1
		.amdhsa_system_sgpr_workgroup_id_y 0
		.amdhsa_system_sgpr_workgroup_id_z 0
		.amdhsa_system_sgpr_workgroup_info 0
		.amdhsa_system_vgpr_workitem_id 0
		.amdhsa_next_free_vgpr 1
		.amdhsa_next_free_sgpr 1
		.amdhsa_named_barrier_count 0
		.amdhsa_reserve_vcc 0
		.amdhsa_float_round_mode_32 0
		.amdhsa_float_round_mode_16_64 0
		.amdhsa_float_denorm_mode_32 3
		.amdhsa_float_denorm_mode_16_64 3
		.amdhsa_fp16_overflow 0
		.amdhsa_memory_ordered 1
		.amdhsa_forward_progress 1
		.amdhsa_inst_pref_size 0
		.amdhsa_round_robin_scheduling 0
		.amdhsa_exception_fp_ieee_invalid_op 0
		.amdhsa_exception_fp_denorm_src 0
		.amdhsa_exception_fp_ieee_div_zero 0
		.amdhsa_exception_fp_ieee_overflow 0
		.amdhsa_exception_fp_ieee_underflow 0
		.amdhsa_exception_fp_ieee_inexact 0
		.amdhsa_exception_int_div_zero 0
	.end_amdhsa_kernel
	.section	.text._ZN7rocprim17ROCPRIM_400000_NS6detail17trampoline_kernelINS0_14default_configENS1_27scan_by_key_config_selectorIiiEEZZNS1_16scan_by_key_implILNS1_25lookback_scan_determinismE0ELb0ES3_N6thrust23THRUST_200600_302600_NS6detail15normal_iteratorINS9_10device_ptrIiEEEESE_SE_iNS9_4plusIiEE19head_flag_predicateiEE10hipError_tPvRmT2_T3_T4_T5_mT6_T7_P12ihipStream_tbENKUlT_T0_E_clISt17integral_constantIbLb1EESY_EEDaST_SU_EUlST_E_NS1_11comp_targetILNS1_3genE10ELNS1_11target_archE1200ELNS1_3gpuE4ELNS1_3repE0EEENS1_30default_config_static_selectorELNS0_4arch9wavefront6targetE0EEEvT1_,"axG",@progbits,_ZN7rocprim17ROCPRIM_400000_NS6detail17trampoline_kernelINS0_14default_configENS1_27scan_by_key_config_selectorIiiEEZZNS1_16scan_by_key_implILNS1_25lookback_scan_determinismE0ELb0ES3_N6thrust23THRUST_200600_302600_NS6detail15normal_iteratorINS9_10device_ptrIiEEEESE_SE_iNS9_4plusIiEE19head_flag_predicateiEE10hipError_tPvRmT2_T3_T4_T5_mT6_T7_P12ihipStream_tbENKUlT_T0_E_clISt17integral_constantIbLb1EESY_EEDaST_SU_EUlST_E_NS1_11comp_targetILNS1_3genE10ELNS1_11target_archE1200ELNS1_3gpuE4ELNS1_3repE0EEENS1_30default_config_static_selectorELNS0_4arch9wavefront6targetE0EEEvT1_,comdat
.Lfunc_end764:
	.size	_ZN7rocprim17ROCPRIM_400000_NS6detail17trampoline_kernelINS0_14default_configENS1_27scan_by_key_config_selectorIiiEEZZNS1_16scan_by_key_implILNS1_25lookback_scan_determinismE0ELb0ES3_N6thrust23THRUST_200600_302600_NS6detail15normal_iteratorINS9_10device_ptrIiEEEESE_SE_iNS9_4plusIiEE19head_flag_predicateiEE10hipError_tPvRmT2_T3_T4_T5_mT6_T7_P12ihipStream_tbENKUlT_T0_E_clISt17integral_constantIbLb1EESY_EEDaST_SU_EUlST_E_NS1_11comp_targetILNS1_3genE10ELNS1_11target_archE1200ELNS1_3gpuE4ELNS1_3repE0EEENS1_30default_config_static_selectorELNS0_4arch9wavefront6targetE0EEEvT1_, .Lfunc_end764-_ZN7rocprim17ROCPRIM_400000_NS6detail17trampoline_kernelINS0_14default_configENS1_27scan_by_key_config_selectorIiiEEZZNS1_16scan_by_key_implILNS1_25lookback_scan_determinismE0ELb0ES3_N6thrust23THRUST_200600_302600_NS6detail15normal_iteratorINS9_10device_ptrIiEEEESE_SE_iNS9_4plusIiEE19head_flag_predicateiEE10hipError_tPvRmT2_T3_T4_T5_mT6_T7_P12ihipStream_tbENKUlT_T0_E_clISt17integral_constantIbLb1EESY_EEDaST_SU_EUlST_E_NS1_11comp_targetILNS1_3genE10ELNS1_11target_archE1200ELNS1_3gpuE4ELNS1_3repE0EEENS1_30default_config_static_selectorELNS0_4arch9wavefront6targetE0EEEvT1_
                                        ; -- End function
	.set _ZN7rocprim17ROCPRIM_400000_NS6detail17trampoline_kernelINS0_14default_configENS1_27scan_by_key_config_selectorIiiEEZZNS1_16scan_by_key_implILNS1_25lookback_scan_determinismE0ELb0ES3_N6thrust23THRUST_200600_302600_NS6detail15normal_iteratorINS9_10device_ptrIiEEEESE_SE_iNS9_4plusIiEE19head_flag_predicateiEE10hipError_tPvRmT2_T3_T4_T5_mT6_T7_P12ihipStream_tbENKUlT_T0_E_clISt17integral_constantIbLb1EESY_EEDaST_SU_EUlST_E_NS1_11comp_targetILNS1_3genE10ELNS1_11target_archE1200ELNS1_3gpuE4ELNS1_3repE0EEENS1_30default_config_static_selectorELNS0_4arch9wavefront6targetE0EEEvT1_.num_vgpr, 0
	.set _ZN7rocprim17ROCPRIM_400000_NS6detail17trampoline_kernelINS0_14default_configENS1_27scan_by_key_config_selectorIiiEEZZNS1_16scan_by_key_implILNS1_25lookback_scan_determinismE0ELb0ES3_N6thrust23THRUST_200600_302600_NS6detail15normal_iteratorINS9_10device_ptrIiEEEESE_SE_iNS9_4plusIiEE19head_flag_predicateiEE10hipError_tPvRmT2_T3_T4_T5_mT6_T7_P12ihipStream_tbENKUlT_T0_E_clISt17integral_constantIbLb1EESY_EEDaST_SU_EUlST_E_NS1_11comp_targetILNS1_3genE10ELNS1_11target_archE1200ELNS1_3gpuE4ELNS1_3repE0EEENS1_30default_config_static_selectorELNS0_4arch9wavefront6targetE0EEEvT1_.num_agpr, 0
	.set _ZN7rocprim17ROCPRIM_400000_NS6detail17trampoline_kernelINS0_14default_configENS1_27scan_by_key_config_selectorIiiEEZZNS1_16scan_by_key_implILNS1_25lookback_scan_determinismE0ELb0ES3_N6thrust23THRUST_200600_302600_NS6detail15normal_iteratorINS9_10device_ptrIiEEEESE_SE_iNS9_4plusIiEE19head_flag_predicateiEE10hipError_tPvRmT2_T3_T4_T5_mT6_T7_P12ihipStream_tbENKUlT_T0_E_clISt17integral_constantIbLb1EESY_EEDaST_SU_EUlST_E_NS1_11comp_targetILNS1_3genE10ELNS1_11target_archE1200ELNS1_3gpuE4ELNS1_3repE0EEENS1_30default_config_static_selectorELNS0_4arch9wavefront6targetE0EEEvT1_.numbered_sgpr, 0
	.set _ZN7rocprim17ROCPRIM_400000_NS6detail17trampoline_kernelINS0_14default_configENS1_27scan_by_key_config_selectorIiiEEZZNS1_16scan_by_key_implILNS1_25lookback_scan_determinismE0ELb0ES3_N6thrust23THRUST_200600_302600_NS6detail15normal_iteratorINS9_10device_ptrIiEEEESE_SE_iNS9_4plusIiEE19head_flag_predicateiEE10hipError_tPvRmT2_T3_T4_T5_mT6_T7_P12ihipStream_tbENKUlT_T0_E_clISt17integral_constantIbLb1EESY_EEDaST_SU_EUlST_E_NS1_11comp_targetILNS1_3genE10ELNS1_11target_archE1200ELNS1_3gpuE4ELNS1_3repE0EEENS1_30default_config_static_selectorELNS0_4arch9wavefront6targetE0EEEvT1_.num_named_barrier, 0
	.set _ZN7rocprim17ROCPRIM_400000_NS6detail17trampoline_kernelINS0_14default_configENS1_27scan_by_key_config_selectorIiiEEZZNS1_16scan_by_key_implILNS1_25lookback_scan_determinismE0ELb0ES3_N6thrust23THRUST_200600_302600_NS6detail15normal_iteratorINS9_10device_ptrIiEEEESE_SE_iNS9_4plusIiEE19head_flag_predicateiEE10hipError_tPvRmT2_T3_T4_T5_mT6_T7_P12ihipStream_tbENKUlT_T0_E_clISt17integral_constantIbLb1EESY_EEDaST_SU_EUlST_E_NS1_11comp_targetILNS1_3genE10ELNS1_11target_archE1200ELNS1_3gpuE4ELNS1_3repE0EEENS1_30default_config_static_selectorELNS0_4arch9wavefront6targetE0EEEvT1_.private_seg_size, 0
	.set _ZN7rocprim17ROCPRIM_400000_NS6detail17trampoline_kernelINS0_14default_configENS1_27scan_by_key_config_selectorIiiEEZZNS1_16scan_by_key_implILNS1_25lookback_scan_determinismE0ELb0ES3_N6thrust23THRUST_200600_302600_NS6detail15normal_iteratorINS9_10device_ptrIiEEEESE_SE_iNS9_4plusIiEE19head_flag_predicateiEE10hipError_tPvRmT2_T3_T4_T5_mT6_T7_P12ihipStream_tbENKUlT_T0_E_clISt17integral_constantIbLb1EESY_EEDaST_SU_EUlST_E_NS1_11comp_targetILNS1_3genE10ELNS1_11target_archE1200ELNS1_3gpuE4ELNS1_3repE0EEENS1_30default_config_static_selectorELNS0_4arch9wavefront6targetE0EEEvT1_.uses_vcc, 0
	.set _ZN7rocprim17ROCPRIM_400000_NS6detail17trampoline_kernelINS0_14default_configENS1_27scan_by_key_config_selectorIiiEEZZNS1_16scan_by_key_implILNS1_25lookback_scan_determinismE0ELb0ES3_N6thrust23THRUST_200600_302600_NS6detail15normal_iteratorINS9_10device_ptrIiEEEESE_SE_iNS9_4plusIiEE19head_flag_predicateiEE10hipError_tPvRmT2_T3_T4_T5_mT6_T7_P12ihipStream_tbENKUlT_T0_E_clISt17integral_constantIbLb1EESY_EEDaST_SU_EUlST_E_NS1_11comp_targetILNS1_3genE10ELNS1_11target_archE1200ELNS1_3gpuE4ELNS1_3repE0EEENS1_30default_config_static_selectorELNS0_4arch9wavefront6targetE0EEEvT1_.uses_flat_scratch, 0
	.set _ZN7rocprim17ROCPRIM_400000_NS6detail17trampoline_kernelINS0_14default_configENS1_27scan_by_key_config_selectorIiiEEZZNS1_16scan_by_key_implILNS1_25lookback_scan_determinismE0ELb0ES3_N6thrust23THRUST_200600_302600_NS6detail15normal_iteratorINS9_10device_ptrIiEEEESE_SE_iNS9_4plusIiEE19head_flag_predicateiEE10hipError_tPvRmT2_T3_T4_T5_mT6_T7_P12ihipStream_tbENKUlT_T0_E_clISt17integral_constantIbLb1EESY_EEDaST_SU_EUlST_E_NS1_11comp_targetILNS1_3genE10ELNS1_11target_archE1200ELNS1_3gpuE4ELNS1_3repE0EEENS1_30default_config_static_selectorELNS0_4arch9wavefront6targetE0EEEvT1_.has_dyn_sized_stack, 0
	.set _ZN7rocprim17ROCPRIM_400000_NS6detail17trampoline_kernelINS0_14default_configENS1_27scan_by_key_config_selectorIiiEEZZNS1_16scan_by_key_implILNS1_25lookback_scan_determinismE0ELb0ES3_N6thrust23THRUST_200600_302600_NS6detail15normal_iteratorINS9_10device_ptrIiEEEESE_SE_iNS9_4plusIiEE19head_flag_predicateiEE10hipError_tPvRmT2_T3_T4_T5_mT6_T7_P12ihipStream_tbENKUlT_T0_E_clISt17integral_constantIbLb1EESY_EEDaST_SU_EUlST_E_NS1_11comp_targetILNS1_3genE10ELNS1_11target_archE1200ELNS1_3gpuE4ELNS1_3repE0EEENS1_30default_config_static_selectorELNS0_4arch9wavefront6targetE0EEEvT1_.has_recursion, 0
	.set _ZN7rocprim17ROCPRIM_400000_NS6detail17trampoline_kernelINS0_14default_configENS1_27scan_by_key_config_selectorIiiEEZZNS1_16scan_by_key_implILNS1_25lookback_scan_determinismE0ELb0ES3_N6thrust23THRUST_200600_302600_NS6detail15normal_iteratorINS9_10device_ptrIiEEEESE_SE_iNS9_4plusIiEE19head_flag_predicateiEE10hipError_tPvRmT2_T3_T4_T5_mT6_T7_P12ihipStream_tbENKUlT_T0_E_clISt17integral_constantIbLb1EESY_EEDaST_SU_EUlST_E_NS1_11comp_targetILNS1_3genE10ELNS1_11target_archE1200ELNS1_3gpuE4ELNS1_3repE0EEENS1_30default_config_static_selectorELNS0_4arch9wavefront6targetE0EEEvT1_.has_indirect_call, 0
	.section	.AMDGPU.csdata,"",@progbits
; Kernel info:
; codeLenInByte = 0
; TotalNumSgprs: 0
; NumVgprs: 0
; ScratchSize: 0
; MemoryBound: 0
; FloatMode: 240
; IeeeMode: 1
; LDSByteSize: 0 bytes/workgroup (compile time only)
; SGPRBlocks: 0
; VGPRBlocks: 0
; NumSGPRsForWavesPerEU: 1
; NumVGPRsForWavesPerEU: 1
; NamedBarCnt: 0
; Occupancy: 16
; WaveLimiterHint : 0
; COMPUTE_PGM_RSRC2:SCRATCH_EN: 0
; COMPUTE_PGM_RSRC2:USER_SGPR: 2
; COMPUTE_PGM_RSRC2:TRAP_HANDLER: 0
; COMPUTE_PGM_RSRC2:TGID_X_EN: 1
; COMPUTE_PGM_RSRC2:TGID_Y_EN: 0
; COMPUTE_PGM_RSRC2:TGID_Z_EN: 0
; COMPUTE_PGM_RSRC2:TIDIG_COMP_CNT: 0
	.section	.text._ZN7rocprim17ROCPRIM_400000_NS6detail17trampoline_kernelINS0_14default_configENS1_27scan_by_key_config_selectorIiiEEZZNS1_16scan_by_key_implILNS1_25lookback_scan_determinismE0ELb0ES3_N6thrust23THRUST_200600_302600_NS6detail15normal_iteratorINS9_10device_ptrIiEEEESE_SE_iNS9_4plusIiEE19head_flag_predicateiEE10hipError_tPvRmT2_T3_T4_T5_mT6_T7_P12ihipStream_tbENKUlT_T0_E_clISt17integral_constantIbLb1EESY_EEDaST_SU_EUlST_E_NS1_11comp_targetILNS1_3genE9ELNS1_11target_archE1100ELNS1_3gpuE3ELNS1_3repE0EEENS1_30default_config_static_selectorELNS0_4arch9wavefront6targetE0EEEvT1_,"axG",@progbits,_ZN7rocprim17ROCPRIM_400000_NS6detail17trampoline_kernelINS0_14default_configENS1_27scan_by_key_config_selectorIiiEEZZNS1_16scan_by_key_implILNS1_25lookback_scan_determinismE0ELb0ES3_N6thrust23THRUST_200600_302600_NS6detail15normal_iteratorINS9_10device_ptrIiEEEESE_SE_iNS9_4plusIiEE19head_flag_predicateiEE10hipError_tPvRmT2_T3_T4_T5_mT6_T7_P12ihipStream_tbENKUlT_T0_E_clISt17integral_constantIbLb1EESY_EEDaST_SU_EUlST_E_NS1_11comp_targetILNS1_3genE9ELNS1_11target_archE1100ELNS1_3gpuE3ELNS1_3repE0EEENS1_30default_config_static_selectorELNS0_4arch9wavefront6targetE0EEEvT1_,comdat
	.protected	_ZN7rocprim17ROCPRIM_400000_NS6detail17trampoline_kernelINS0_14default_configENS1_27scan_by_key_config_selectorIiiEEZZNS1_16scan_by_key_implILNS1_25lookback_scan_determinismE0ELb0ES3_N6thrust23THRUST_200600_302600_NS6detail15normal_iteratorINS9_10device_ptrIiEEEESE_SE_iNS9_4plusIiEE19head_flag_predicateiEE10hipError_tPvRmT2_T3_T4_T5_mT6_T7_P12ihipStream_tbENKUlT_T0_E_clISt17integral_constantIbLb1EESY_EEDaST_SU_EUlST_E_NS1_11comp_targetILNS1_3genE9ELNS1_11target_archE1100ELNS1_3gpuE3ELNS1_3repE0EEENS1_30default_config_static_selectorELNS0_4arch9wavefront6targetE0EEEvT1_ ; -- Begin function _ZN7rocprim17ROCPRIM_400000_NS6detail17trampoline_kernelINS0_14default_configENS1_27scan_by_key_config_selectorIiiEEZZNS1_16scan_by_key_implILNS1_25lookback_scan_determinismE0ELb0ES3_N6thrust23THRUST_200600_302600_NS6detail15normal_iteratorINS9_10device_ptrIiEEEESE_SE_iNS9_4plusIiEE19head_flag_predicateiEE10hipError_tPvRmT2_T3_T4_T5_mT6_T7_P12ihipStream_tbENKUlT_T0_E_clISt17integral_constantIbLb1EESY_EEDaST_SU_EUlST_E_NS1_11comp_targetILNS1_3genE9ELNS1_11target_archE1100ELNS1_3gpuE3ELNS1_3repE0EEENS1_30default_config_static_selectorELNS0_4arch9wavefront6targetE0EEEvT1_
	.globl	_ZN7rocprim17ROCPRIM_400000_NS6detail17trampoline_kernelINS0_14default_configENS1_27scan_by_key_config_selectorIiiEEZZNS1_16scan_by_key_implILNS1_25lookback_scan_determinismE0ELb0ES3_N6thrust23THRUST_200600_302600_NS6detail15normal_iteratorINS9_10device_ptrIiEEEESE_SE_iNS9_4plusIiEE19head_flag_predicateiEE10hipError_tPvRmT2_T3_T4_T5_mT6_T7_P12ihipStream_tbENKUlT_T0_E_clISt17integral_constantIbLb1EESY_EEDaST_SU_EUlST_E_NS1_11comp_targetILNS1_3genE9ELNS1_11target_archE1100ELNS1_3gpuE3ELNS1_3repE0EEENS1_30default_config_static_selectorELNS0_4arch9wavefront6targetE0EEEvT1_
	.p2align	8
	.type	_ZN7rocprim17ROCPRIM_400000_NS6detail17trampoline_kernelINS0_14default_configENS1_27scan_by_key_config_selectorIiiEEZZNS1_16scan_by_key_implILNS1_25lookback_scan_determinismE0ELb0ES3_N6thrust23THRUST_200600_302600_NS6detail15normal_iteratorINS9_10device_ptrIiEEEESE_SE_iNS9_4plusIiEE19head_flag_predicateiEE10hipError_tPvRmT2_T3_T4_T5_mT6_T7_P12ihipStream_tbENKUlT_T0_E_clISt17integral_constantIbLb1EESY_EEDaST_SU_EUlST_E_NS1_11comp_targetILNS1_3genE9ELNS1_11target_archE1100ELNS1_3gpuE3ELNS1_3repE0EEENS1_30default_config_static_selectorELNS0_4arch9wavefront6targetE0EEEvT1_,@function
_ZN7rocprim17ROCPRIM_400000_NS6detail17trampoline_kernelINS0_14default_configENS1_27scan_by_key_config_selectorIiiEEZZNS1_16scan_by_key_implILNS1_25lookback_scan_determinismE0ELb0ES3_N6thrust23THRUST_200600_302600_NS6detail15normal_iteratorINS9_10device_ptrIiEEEESE_SE_iNS9_4plusIiEE19head_flag_predicateiEE10hipError_tPvRmT2_T3_T4_T5_mT6_T7_P12ihipStream_tbENKUlT_T0_E_clISt17integral_constantIbLb1EESY_EEDaST_SU_EUlST_E_NS1_11comp_targetILNS1_3genE9ELNS1_11target_archE1100ELNS1_3gpuE3ELNS1_3repE0EEENS1_30default_config_static_selectorELNS0_4arch9wavefront6targetE0EEEvT1_: ; @_ZN7rocprim17ROCPRIM_400000_NS6detail17trampoline_kernelINS0_14default_configENS1_27scan_by_key_config_selectorIiiEEZZNS1_16scan_by_key_implILNS1_25lookback_scan_determinismE0ELb0ES3_N6thrust23THRUST_200600_302600_NS6detail15normal_iteratorINS9_10device_ptrIiEEEESE_SE_iNS9_4plusIiEE19head_flag_predicateiEE10hipError_tPvRmT2_T3_T4_T5_mT6_T7_P12ihipStream_tbENKUlT_T0_E_clISt17integral_constantIbLb1EESY_EEDaST_SU_EUlST_E_NS1_11comp_targetILNS1_3genE9ELNS1_11target_archE1100ELNS1_3gpuE3ELNS1_3repE0EEENS1_30default_config_static_selectorELNS0_4arch9wavefront6targetE0EEEvT1_
; %bb.0:
	.section	.rodata,"a",@progbits
	.p2align	6, 0x0
	.amdhsa_kernel _ZN7rocprim17ROCPRIM_400000_NS6detail17trampoline_kernelINS0_14default_configENS1_27scan_by_key_config_selectorIiiEEZZNS1_16scan_by_key_implILNS1_25lookback_scan_determinismE0ELb0ES3_N6thrust23THRUST_200600_302600_NS6detail15normal_iteratorINS9_10device_ptrIiEEEESE_SE_iNS9_4plusIiEE19head_flag_predicateiEE10hipError_tPvRmT2_T3_T4_T5_mT6_T7_P12ihipStream_tbENKUlT_T0_E_clISt17integral_constantIbLb1EESY_EEDaST_SU_EUlST_E_NS1_11comp_targetILNS1_3genE9ELNS1_11target_archE1100ELNS1_3gpuE3ELNS1_3repE0EEENS1_30default_config_static_selectorELNS0_4arch9wavefront6targetE0EEEvT1_
		.amdhsa_group_segment_fixed_size 0
		.amdhsa_private_segment_fixed_size 0
		.amdhsa_kernarg_size 112
		.amdhsa_user_sgpr_count 2
		.amdhsa_user_sgpr_dispatch_ptr 0
		.amdhsa_user_sgpr_queue_ptr 0
		.amdhsa_user_sgpr_kernarg_segment_ptr 1
		.amdhsa_user_sgpr_dispatch_id 0
		.amdhsa_user_sgpr_kernarg_preload_length 0
		.amdhsa_user_sgpr_kernarg_preload_offset 0
		.amdhsa_user_sgpr_private_segment_size 0
		.amdhsa_wavefront_size32 1
		.amdhsa_uses_dynamic_stack 0
		.amdhsa_enable_private_segment 0
		.amdhsa_system_sgpr_workgroup_id_x 1
		.amdhsa_system_sgpr_workgroup_id_y 0
		.amdhsa_system_sgpr_workgroup_id_z 0
		.amdhsa_system_sgpr_workgroup_info 0
		.amdhsa_system_vgpr_workitem_id 0
		.amdhsa_next_free_vgpr 1
		.amdhsa_next_free_sgpr 1
		.amdhsa_named_barrier_count 0
		.amdhsa_reserve_vcc 0
		.amdhsa_float_round_mode_32 0
		.amdhsa_float_round_mode_16_64 0
		.amdhsa_float_denorm_mode_32 3
		.amdhsa_float_denorm_mode_16_64 3
		.amdhsa_fp16_overflow 0
		.amdhsa_memory_ordered 1
		.amdhsa_forward_progress 1
		.amdhsa_inst_pref_size 0
		.amdhsa_round_robin_scheduling 0
		.amdhsa_exception_fp_ieee_invalid_op 0
		.amdhsa_exception_fp_denorm_src 0
		.amdhsa_exception_fp_ieee_div_zero 0
		.amdhsa_exception_fp_ieee_overflow 0
		.amdhsa_exception_fp_ieee_underflow 0
		.amdhsa_exception_fp_ieee_inexact 0
		.amdhsa_exception_int_div_zero 0
	.end_amdhsa_kernel
	.section	.text._ZN7rocprim17ROCPRIM_400000_NS6detail17trampoline_kernelINS0_14default_configENS1_27scan_by_key_config_selectorIiiEEZZNS1_16scan_by_key_implILNS1_25lookback_scan_determinismE0ELb0ES3_N6thrust23THRUST_200600_302600_NS6detail15normal_iteratorINS9_10device_ptrIiEEEESE_SE_iNS9_4plusIiEE19head_flag_predicateiEE10hipError_tPvRmT2_T3_T4_T5_mT6_T7_P12ihipStream_tbENKUlT_T0_E_clISt17integral_constantIbLb1EESY_EEDaST_SU_EUlST_E_NS1_11comp_targetILNS1_3genE9ELNS1_11target_archE1100ELNS1_3gpuE3ELNS1_3repE0EEENS1_30default_config_static_selectorELNS0_4arch9wavefront6targetE0EEEvT1_,"axG",@progbits,_ZN7rocprim17ROCPRIM_400000_NS6detail17trampoline_kernelINS0_14default_configENS1_27scan_by_key_config_selectorIiiEEZZNS1_16scan_by_key_implILNS1_25lookback_scan_determinismE0ELb0ES3_N6thrust23THRUST_200600_302600_NS6detail15normal_iteratorINS9_10device_ptrIiEEEESE_SE_iNS9_4plusIiEE19head_flag_predicateiEE10hipError_tPvRmT2_T3_T4_T5_mT6_T7_P12ihipStream_tbENKUlT_T0_E_clISt17integral_constantIbLb1EESY_EEDaST_SU_EUlST_E_NS1_11comp_targetILNS1_3genE9ELNS1_11target_archE1100ELNS1_3gpuE3ELNS1_3repE0EEENS1_30default_config_static_selectorELNS0_4arch9wavefront6targetE0EEEvT1_,comdat
.Lfunc_end765:
	.size	_ZN7rocprim17ROCPRIM_400000_NS6detail17trampoline_kernelINS0_14default_configENS1_27scan_by_key_config_selectorIiiEEZZNS1_16scan_by_key_implILNS1_25lookback_scan_determinismE0ELb0ES3_N6thrust23THRUST_200600_302600_NS6detail15normal_iteratorINS9_10device_ptrIiEEEESE_SE_iNS9_4plusIiEE19head_flag_predicateiEE10hipError_tPvRmT2_T3_T4_T5_mT6_T7_P12ihipStream_tbENKUlT_T0_E_clISt17integral_constantIbLb1EESY_EEDaST_SU_EUlST_E_NS1_11comp_targetILNS1_3genE9ELNS1_11target_archE1100ELNS1_3gpuE3ELNS1_3repE0EEENS1_30default_config_static_selectorELNS0_4arch9wavefront6targetE0EEEvT1_, .Lfunc_end765-_ZN7rocprim17ROCPRIM_400000_NS6detail17trampoline_kernelINS0_14default_configENS1_27scan_by_key_config_selectorIiiEEZZNS1_16scan_by_key_implILNS1_25lookback_scan_determinismE0ELb0ES3_N6thrust23THRUST_200600_302600_NS6detail15normal_iteratorINS9_10device_ptrIiEEEESE_SE_iNS9_4plusIiEE19head_flag_predicateiEE10hipError_tPvRmT2_T3_T4_T5_mT6_T7_P12ihipStream_tbENKUlT_T0_E_clISt17integral_constantIbLb1EESY_EEDaST_SU_EUlST_E_NS1_11comp_targetILNS1_3genE9ELNS1_11target_archE1100ELNS1_3gpuE3ELNS1_3repE0EEENS1_30default_config_static_selectorELNS0_4arch9wavefront6targetE0EEEvT1_
                                        ; -- End function
	.set _ZN7rocprim17ROCPRIM_400000_NS6detail17trampoline_kernelINS0_14default_configENS1_27scan_by_key_config_selectorIiiEEZZNS1_16scan_by_key_implILNS1_25lookback_scan_determinismE0ELb0ES3_N6thrust23THRUST_200600_302600_NS6detail15normal_iteratorINS9_10device_ptrIiEEEESE_SE_iNS9_4plusIiEE19head_flag_predicateiEE10hipError_tPvRmT2_T3_T4_T5_mT6_T7_P12ihipStream_tbENKUlT_T0_E_clISt17integral_constantIbLb1EESY_EEDaST_SU_EUlST_E_NS1_11comp_targetILNS1_3genE9ELNS1_11target_archE1100ELNS1_3gpuE3ELNS1_3repE0EEENS1_30default_config_static_selectorELNS0_4arch9wavefront6targetE0EEEvT1_.num_vgpr, 0
	.set _ZN7rocprim17ROCPRIM_400000_NS6detail17trampoline_kernelINS0_14default_configENS1_27scan_by_key_config_selectorIiiEEZZNS1_16scan_by_key_implILNS1_25lookback_scan_determinismE0ELb0ES3_N6thrust23THRUST_200600_302600_NS6detail15normal_iteratorINS9_10device_ptrIiEEEESE_SE_iNS9_4plusIiEE19head_flag_predicateiEE10hipError_tPvRmT2_T3_T4_T5_mT6_T7_P12ihipStream_tbENKUlT_T0_E_clISt17integral_constantIbLb1EESY_EEDaST_SU_EUlST_E_NS1_11comp_targetILNS1_3genE9ELNS1_11target_archE1100ELNS1_3gpuE3ELNS1_3repE0EEENS1_30default_config_static_selectorELNS0_4arch9wavefront6targetE0EEEvT1_.num_agpr, 0
	.set _ZN7rocprim17ROCPRIM_400000_NS6detail17trampoline_kernelINS0_14default_configENS1_27scan_by_key_config_selectorIiiEEZZNS1_16scan_by_key_implILNS1_25lookback_scan_determinismE0ELb0ES3_N6thrust23THRUST_200600_302600_NS6detail15normal_iteratorINS9_10device_ptrIiEEEESE_SE_iNS9_4plusIiEE19head_flag_predicateiEE10hipError_tPvRmT2_T3_T4_T5_mT6_T7_P12ihipStream_tbENKUlT_T0_E_clISt17integral_constantIbLb1EESY_EEDaST_SU_EUlST_E_NS1_11comp_targetILNS1_3genE9ELNS1_11target_archE1100ELNS1_3gpuE3ELNS1_3repE0EEENS1_30default_config_static_selectorELNS0_4arch9wavefront6targetE0EEEvT1_.numbered_sgpr, 0
	.set _ZN7rocprim17ROCPRIM_400000_NS6detail17trampoline_kernelINS0_14default_configENS1_27scan_by_key_config_selectorIiiEEZZNS1_16scan_by_key_implILNS1_25lookback_scan_determinismE0ELb0ES3_N6thrust23THRUST_200600_302600_NS6detail15normal_iteratorINS9_10device_ptrIiEEEESE_SE_iNS9_4plusIiEE19head_flag_predicateiEE10hipError_tPvRmT2_T3_T4_T5_mT6_T7_P12ihipStream_tbENKUlT_T0_E_clISt17integral_constantIbLb1EESY_EEDaST_SU_EUlST_E_NS1_11comp_targetILNS1_3genE9ELNS1_11target_archE1100ELNS1_3gpuE3ELNS1_3repE0EEENS1_30default_config_static_selectorELNS0_4arch9wavefront6targetE0EEEvT1_.num_named_barrier, 0
	.set _ZN7rocprim17ROCPRIM_400000_NS6detail17trampoline_kernelINS0_14default_configENS1_27scan_by_key_config_selectorIiiEEZZNS1_16scan_by_key_implILNS1_25lookback_scan_determinismE0ELb0ES3_N6thrust23THRUST_200600_302600_NS6detail15normal_iteratorINS9_10device_ptrIiEEEESE_SE_iNS9_4plusIiEE19head_flag_predicateiEE10hipError_tPvRmT2_T3_T4_T5_mT6_T7_P12ihipStream_tbENKUlT_T0_E_clISt17integral_constantIbLb1EESY_EEDaST_SU_EUlST_E_NS1_11comp_targetILNS1_3genE9ELNS1_11target_archE1100ELNS1_3gpuE3ELNS1_3repE0EEENS1_30default_config_static_selectorELNS0_4arch9wavefront6targetE0EEEvT1_.private_seg_size, 0
	.set _ZN7rocprim17ROCPRIM_400000_NS6detail17trampoline_kernelINS0_14default_configENS1_27scan_by_key_config_selectorIiiEEZZNS1_16scan_by_key_implILNS1_25lookback_scan_determinismE0ELb0ES3_N6thrust23THRUST_200600_302600_NS6detail15normal_iteratorINS9_10device_ptrIiEEEESE_SE_iNS9_4plusIiEE19head_flag_predicateiEE10hipError_tPvRmT2_T3_T4_T5_mT6_T7_P12ihipStream_tbENKUlT_T0_E_clISt17integral_constantIbLb1EESY_EEDaST_SU_EUlST_E_NS1_11comp_targetILNS1_3genE9ELNS1_11target_archE1100ELNS1_3gpuE3ELNS1_3repE0EEENS1_30default_config_static_selectorELNS0_4arch9wavefront6targetE0EEEvT1_.uses_vcc, 0
	.set _ZN7rocprim17ROCPRIM_400000_NS6detail17trampoline_kernelINS0_14default_configENS1_27scan_by_key_config_selectorIiiEEZZNS1_16scan_by_key_implILNS1_25lookback_scan_determinismE0ELb0ES3_N6thrust23THRUST_200600_302600_NS6detail15normal_iteratorINS9_10device_ptrIiEEEESE_SE_iNS9_4plusIiEE19head_flag_predicateiEE10hipError_tPvRmT2_T3_T4_T5_mT6_T7_P12ihipStream_tbENKUlT_T0_E_clISt17integral_constantIbLb1EESY_EEDaST_SU_EUlST_E_NS1_11comp_targetILNS1_3genE9ELNS1_11target_archE1100ELNS1_3gpuE3ELNS1_3repE0EEENS1_30default_config_static_selectorELNS0_4arch9wavefront6targetE0EEEvT1_.uses_flat_scratch, 0
	.set _ZN7rocprim17ROCPRIM_400000_NS6detail17trampoline_kernelINS0_14default_configENS1_27scan_by_key_config_selectorIiiEEZZNS1_16scan_by_key_implILNS1_25lookback_scan_determinismE0ELb0ES3_N6thrust23THRUST_200600_302600_NS6detail15normal_iteratorINS9_10device_ptrIiEEEESE_SE_iNS9_4plusIiEE19head_flag_predicateiEE10hipError_tPvRmT2_T3_T4_T5_mT6_T7_P12ihipStream_tbENKUlT_T0_E_clISt17integral_constantIbLb1EESY_EEDaST_SU_EUlST_E_NS1_11comp_targetILNS1_3genE9ELNS1_11target_archE1100ELNS1_3gpuE3ELNS1_3repE0EEENS1_30default_config_static_selectorELNS0_4arch9wavefront6targetE0EEEvT1_.has_dyn_sized_stack, 0
	.set _ZN7rocprim17ROCPRIM_400000_NS6detail17trampoline_kernelINS0_14default_configENS1_27scan_by_key_config_selectorIiiEEZZNS1_16scan_by_key_implILNS1_25lookback_scan_determinismE0ELb0ES3_N6thrust23THRUST_200600_302600_NS6detail15normal_iteratorINS9_10device_ptrIiEEEESE_SE_iNS9_4plusIiEE19head_flag_predicateiEE10hipError_tPvRmT2_T3_T4_T5_mT6_T7_P12ihipStream_tbENKUlT_T0_E_clISt17integral_constantIbLb1EESY_EEDaST_SU_EUlST_E_NS1_11comp_targetILNS1_3genE9ELNS1_11target_archE1100ELNS1_3gpuE3ELNS1_3repE0EEENS1_30default_config_static_selectorELNS0_4arch9wavefront6targetE0EEEvT1_.has_recursion, 0
	.set _ZN7rocprim17ROCPRIM_400000_NS6detail17trampoline_kernelINS0_14default_configENS1_27scan_by_key_config_selectorIiiEEZZNS1_16scan_by_key_implILNS1_25lookback_scan_determinismE0ELb0ES3_N6thrust23THRUST_200600_302600_NS6detail15normal_iteratorINS9_10device_ptrIiEEEESE_SE_iNS9_4plusIiEE19head_flag_predicateiEE10hipError_tPvRmT2_T3_T4_T5_mT6_T7_P12ihipStream_tbENKUlT_T0_E_clISt17integral_constantIbLb1EESY_EEDaST_SU_EUlST_E_NS1_11comp_targetILNS1_3genE9ELNS1_11target_archE1100ELNS1_3gpuE3ELNS1_3repE0EEENS1_30default_config_static_selectorELNS0_4arch9wavefront6targetE0EEEvT1_.has_indirect_call, 0
	.section	.AMDGPU.csdata,"",@progbits
; Kernel info:
; codeLenInByte = 0
; TotalNumSgprs: 0
; NumVgprs: 0
; ScratchSize: 0
; MemoryBound: 0
; FloatMode: 240
; IeeeMode: 1
; LDSByteSize: 0 bytes/workgroup (compile time only)
; SGPRBlocks: 0
; VGPRBlocks: 0
; NumSGPRsForWavesPerEU: 1
; NumVGPRsForWavesPerEU: 1
; NamedBarCnt: 0
; Occupancy: 16
; WaveLimiterHint : 0
; COMPUTE_PGM_RSRC2:SCRATCH_EN: 0
; COMPUTE_PGM_RSRC2:USER_SGPR: 2
; COMPUTE_PGM_RSRC2:TRAP_HANDLER: 0
; COMPUTE_PGM_RSRC2:TGID_X_EN: 1
; COMPUTE_PGM_RSRC2:TGID_Y_EN: 0
; COMPUTE_PGM_RSRC2:TGID_Z_EN: 0
; COMPUTE_PGM_RSRC2:TIDIG_COMP_CNT: 0
	.section	.text._ZN7rocprim17ROCPRIM_400000_NS6detail17trampoline_kernelINS0_14default_configENS1_27scan_by_key_config_selectorIiiEEZZNS1_16scan_by_key_implILNS1_25lookback_scan_determinismE0ELb0ES3_N6thrust23THRUST_200600_302600_NS6detail15normal_iteratorINS9_10device_ptrIiEEEESE_SE_iNS9_4plusIiEE19head_flag_predicateiEE10hipError_tPvRmT2_T3_T4_T5_mT6_T7_P12ihipStream_tbENKUlT_T0_E_clISt17integral_constantIbLb1EESY_EEDaST_SU_EUlST_E_NS1_11comp_targetILNS1_3genE8ELNS1_11target_archE1030ELNS1_3gpuE2ELNS1_3repE0EEENS1_30default_config_static_selectorELNS0_4arch9wavefront6targetE0EEEvT1_,"axG",@progbits,_ZN7rocprim17ROCPRIM_400000_NS6detail17trampoline_kernelINS0_14default_configENS1_27scan_by_key_config_selectorIiiEEZZNS1_16scan_by_key_implILNS1_25lookback_scan_determinismE0ELb0ES3_N6thrust23THRUST_200600_302600_NS6detail15normal_iteratorINS9_10device_ptrIiEEEESE_SE_iNS9_4plusIiEE19head_flag_predicateiEE10hipError_tPvRmT2_T3_T4_T5_mT6_T7_P12ihipStream_tbENKUlT_T0_E_clISt17integral_constantIbLb1EESY_EEDaST_SU_EUlST_E_NS1_11comp_targetILNS1_3genE8ELNS1_11target_archE1030ELNS1_3gpuE2ELNS1_3repE0EEENS1_30default_config_static_selectorELNS0_4arch9wavefront6targetE0EEEvT1_,comdat
	.protected	_ZN7rocprim17ROCPRIM_400000_NS6detail17trampoline_kernelINS0_14default_configENS1_27scan_by_key_config_selectorIiiEEZZNS1_16scan_by_key_implILNS1_25lookback_scan_determinismE0ELb0ES3_N6thrust23THRUST_200600_302600_NS6detail15normal_iteratorINS9_10device_ptrIiEEEESE_SE_iNS9_4plusIiEE19head_flag_predicateiEE10hipError_tPvRmT2_T3_T4_T5_mT6_T7_P12ihipStream_tbENKUlT_T0_E_clISt17integral_constantIbLb1EESY_EEDaST_SU_EUlST_E_NS1_11comp_targetILNS1_3genE8ELNS1_11target_archE1030ELNS1_3gpuE2ELNS1_3repE0EEENS1_30default_config_static_selectorELNS0_4arch9wavefront6targetE0EEEvT1_ ; -- Begin function _ZN7rocprim17ROCPRIM_400000_NS6detail17trampoline_kernelINS0_14default_configENS1_27scan_by_key_config_selectorIiiEEZZNS1_16scan_by_key_implILNS1_25lookback_scan_determinismE0ELb0ES3_N6thrust23THRUST_200600_302600_NS6detail15normal_iteratorINS9_10device_ptrIiEEEESE_SE_iNS9_4plusIiEE19head_flag_predicateiEE10hipError_tPvRmT2_T3_T4_T5_mT6_T7_P12ihipStream_tbENKUlT_T0_E_clISt17integral_constantIbLb1EESY_EEDaST_SU_EUlST_E_NS1_11comp_targetILNS1_3genE8ELNS1_11target_archE1030ELNS1_3gpuE2ELNS1_3repE0EEENS1_30default_config_static_selectorELNS0_4arch9wavefront6targetE0EEEvT1_
	.globl	_ZN7rocprim17ROCPRIM_400000_NS6detail17trampoline_kernelINS0_14default_configENS1_27scan_by_key_config_selectorIiiEEZZNS1_16scan_by_key_implILNS1_25lookback_scan_determinismE0ELb0ES3_N6thrust23THRUST_200600_302600_NS6detail15normal_iteratorINS9_10device_ptrIiEEEESE_SE_iNS9_4plusIiEE19head_flag_predicateiEE10hipError_tPvRmT2_T3_T4_T5_mT6_T7_P12ihipStream_tbENKUlT_T0_E_clISt17integral_constantIbLb1EESY_EEDaST_SU_EUlST_E_NS1_11comp_targetILNS1_3genE8ELNS1_11target_archE1030ELNS1_3gpuE2ELNS1_3repE0EEENS1_30default_config_static_selectorELNS0_4arch9wavefront6targetE0EEEvT1_
	.p2align	8
	.type	_ZN7rocprim17ROCPRIM_400000_NS6detail17trampoline_kernelINS0_14default_configENS1_27scan_by_key_config_selectorIiiEEZZNS1_16scan_by_key_implILNS1_25lookback_scan_determinismE0ELb0ES3_N6thrust23THRUST_200600_302600_NS6detail15normal_iteratorINS9_10device_ptrIiEEEESE_SE_iNS9_4plusIiEE19head_flag_predicateiEE10hipError_tPvRmT2_T3_T4_T5_mT6_T7_P12ihipStream_tbENKUlT_T0_E_clISt17integral_constantIbLb1EESY_EEDaST_SU_EUlST_E_NS1_11comp_targetILNS1_3genE8ELNS1_11target_archE1030ELNS1_3gpuE2ELNS1_3repE0EEENS1_30default_config_static_selectorELNS0_4arch9wavefront6targetE0EEEvT1_,@function
_ZN7rocprim17ROCPRIM_400000_NS6detail17trampoline_kernelINS0_14default_configENS1_27scan_by_key_config_selectorIiiEEZZNS1_16scan_by_key_implILNS1_25lookback_scan_determinismE0ELb0ES3_N6thrust23THRUST_200600_302600_NS6detail15normal_iteratorINS9_10device_ptrIiEEEESE_SE_iNS9_4plusIiEE19head_flag_predicateiEE10hipError_tPvRmT2_T3_T4_T5_mT6_T7_P12ihipStream_tbENKUlT_T0_E_clISt17integral_constantIbLb1EESY_EEDaST_SU_EUlST_E_NS1_11comp_targetILNS1_3genE8ELNS1_11target_archE1030ELNS1_3gpuE2ELNS1_3repE0EEENS1_30default_config_static_selectorELNS0_4arch9wavefront6targetE0EEEvT1_: ; @_ZN7rocprim17ROCPRIM_400000_NS6detail17trampoline_kernelINS0_14default_configENS1_27scan_by_key_config_selectorIiiEEZZNS1_16scan_by_key_implILNS1_25lookback_scan_determinismE0ELb0ES3_N6thrust23THRUST_200600_302600_NS6detail15normal_iteratorINS9_10device_ptrIiEEEESE_SE_iNS9_4plusIiEE19head_flag_predicateiEE10hipError_tPvRmT2_T3_T4_T5_mT6_T7_P12ihipStream_tbENKUlT_T0_E_clISt17integral_constantIbLb1EESY_EEDaST_SU_EUlST_E_NS1_11comp_targetILNS1_3genE8ELNS1_11target_archE1030ELNS1_3gpuE2ELNS1_3repE0EEENS1_30default_config_static_selectorELNS0_4arch9wavefront6targetE0EEEvT1_
; %bb.0:
	.section	.rodata,"a",@progbits
	.p2align	6, 0x0
	.amdhsa_kernel _ZN7rocprim17ROCPRIM_400000_NS6detail17trampoline_kernelINS0_14default_configENS1_27scan_by_key_config_selectorIiiEEZZNS1_16scan_by_key_implILNS1_25lookback_scan_determinismE0ELb0ES3_N6thrust23THRUST_200600_302600_NS6detail15normal_iteratorINS9_10device_ptrIiEEEESE_SE_iNS9_4plusIiEE19head_flag_predicateiEE10hipError_tPvRmT2_T3_T4_T5_mT6_T7_P12ihipStream_tbENKUlT_T0_E_clISt17integral_constantIbLb1EESY_EEDaST_SU_EUlST_E_NS1_11comp_targetILNS1_3genE8ELNS1_11target_archE1030ELNS1_3gpuE2ELNS1_3repE0EEENS1_30default_config_static_selectorELNS0_4arch9wavefront6targetE0EEEvT1_
		.amdhsa_group_segment_fixed_size 0
		.amdhsa_private_segment_fixed_size 0
		.amdhsa_kernarg_size 112
		.amdhsa_user_sgpr_count 2
		.amdhsa_user_sgpr_dispatch_ptr 0
		.amdhsa_user_sgpr_queue_ptr 0
		.amdhsa_user_sgpr_kernarg_segment_ptr 1
		.amdhsa_user_sgpr_dispatch_id 0
		.amdhsa_user_sgpr_kernarg_preload_length 0
		.amdhsa_user_sgpr_kernarg_preload_offset 0
		.amdhsa_user_sgpr_private_segment_size 0
		.amdhsa_wavefront_size32 1
		.amdhsa_uses_dynamic_stack 0
		.amdhsa_enable_private_segment 0
		.amdhsa_system_sgpr_workgroup_id_x 1
		.amdhsa_system_sgpr_workgroup_id_y 0
		.amdhsa_system_sgpr_workgroup_id_z 0
		.amdhsa_system_sgpr_workgroup_info 0
		.amdhsa_system_vgpr_workitem_id 0
		.amdhsa_next_free_vgpr 1
		.amdhsa_next_free_sgpr 1
		.amdhsa_named_barrier_count 0
		.amdhsa_reserve_vcc 0
		.amdhsa_float_round_mode_32 0
		.amdhsa_float_round_mode_16_64 0
		.amdhsa_float_denorm_mode_32 3
		.amdhsa_float_denorm_mode_16_64 3
		.amdhsa_fp16_overflow 0
		.amdhsa_memory_ordered 1
		.amdhsa_forward_progress 1
		.amdhsa_inst_pref_size 0
		.amdhsa_round_robin_scheduling 0
		.amdhsa_exception_fp_ieee_invalid_op 0
		.amdhsa_exception_fp_denorm_src 0
		.amdhsa_exception_fp_ieee_div_zero 0
		.amdhsa_exception_fp_ieee_overflow 0
		.amdhsa_exception_fp_ieee_underflow 0
		.amdhsa_exception_fp_ieee_inexact 0
		.amdhsa_exception_int_div_zero 0
	.end_amdhsa_kernel
	.section	.text._ZN7rocprim17ROCPRIM_400000_NS6detail17trampoline_kernelINS0_14default_configENS1_27scan_by_key_config_selectorIiiEEZZNS1_16scan_by_key_implILNS1_25lookback_scan_determinismE0ELb0ES3_N6thrust23THRUST_200600_302600_NS6detail15normal_iteratorINS9_10device_ptrIiEEEESE_SE_iNS9_4plusIiEE19head_flag_predicateiEE10hipError_tPvRmT2_T3_T4_T5_mT6_T7_P12ihipStream_tbENKUlT_T0_E_clISt17integral_constantIbLb1EESY_EEDaST_SU_EUlST_E_NS1_11comp_targetILNS1_3genE8ELNS1_11target_archE1030ELNS1_3gpuE2ELNS1_3repE0EEENS1_30default_config_static_selectorELNS0_4arch9wavefront6targetE0EEEvT1_,"axG",@progbits,_ZN7rocprim17ROCPRIM_400000_NS6detail17trampoline_kernelINS0_14default_configENS1_27scan_by_key_config_selectorIiiEEZZNS1_16scan_by_key_implILNS1_25lookback_scan_determinismE0ELb0ES3_N6thrust23THRUST_200600_302600_NS6detail15normal_iteratorINS9_10device_ptrIiEEEESE_SE_iNS9_4plusIiEE19head_flag_predicateiEE10hipError_tPvRmT2_T3_T4_T5_mT6_T7_P12ihipStream_tbENKUlT_T0_E_clISt17integral_constantIbLb1EESY_EEDaST_SU_EUlST_E_NS1_11comp_targetILNS1_3genE8ELNS1_11target_archE1030ELNS1_3gpuE2ELNS1_3repE0EEENS1_30default_config_static_selectorELNS0_4arch9wavefront6targetE0EEEvT1_,comdat
.Lfunc_end766:
	.size	_ZN7rocprim17ROCPRIM_400000_NS6detail17trampoline_kernelINS0_14default_configENS1_27scan_by_key_config_selectorIiiEEZZNS1_16scan_by_key_implILNS1_25lookback_scan_determinismE0ELb0ES3_N6thrust23THRUST_200600_302600_NS6detail15normal_iteratorINS9_10device_ptrIiEEEESE_SE_iNS9_4plusIiEE19head_flag_predicateiEE10hipError_tPvRmT2_T3_T4_T5_mT6_T7_P12ihipStream_tbENKUlT_T0_E_clISt17integral_constantIbLb1EESY_EEDaST_SU_EUlST_E_NS1_11comp_targetILNS1_3genE8ELNS1_11target_archE1030ELNS1_3gpuE2ELNS1_3repE0EEENS1_30default_config_static_selectorELNS0_4arch9wavefront6targetE0EEEvT1_, .Lfunc_end766-_ZN7rocprim17ROCPRIM_400000_NS6detail17trampoline_kernelINS0_14default_configENS1_27scan_by_key_config_selectorIiiEEZZNS1_16scan_by_key_implILNS1_25lookback_scan_determinismE0ELb0ES3_N6thrust23THRUST_200600_302600_NS6detail15normal_iteratorINS9_10device_ptrIiEEEESE_SE_iNS9_4plusIiEE19head_flag_predicateiEE10hipError_tPvRmT2_T3_T4_T5_mT6_T7_P12ihipStream_tbENKUlT_T0_E_clISt17integral_constantIbLb1EESY_EEDaST_SU_EUlST_E_NS1_11comp_targetILNS1_3genE8ELNS1_11target_archE1030ELNS1_3gpuE2ELNS1_3repE0EEENS1_30default_config_static_selectorELNS0_4arch9wavefront6targetE0EEEvT1_
                                        ; -- End function
	.set _ZN7rocprim17ROCPRIM_400000_NS6detail17trampoline_kernelINS0_14default_configENS1_27scan_by_key_config_selectorIiiEEZZNS1_16scan_by_key_implILNS1_25lookback_scan_determinismE0ELb0ES3_N6thrust23THRUST_200600_302600_NS6detail15normal_iteratorINS9_10device_ptrIiEEEESE_SE_iNS9_4plusIiEE19head_flag_predicateiEE10hipError_tPvRmT2_T3_T4_T5_mT6_T7_P12ihipStream_tbENKUlT_T0_E_clISt17integral_constantIbLb1EESY_EEDaST_SU_EUlST_E_NS1_11comp_targetILNS1_3genE8ELNS1_11target_archE1030ELNS1_3gpuE2ELNS1_3repE0EEENS1_30default_config_static_selectorELNS0_4arch9wavefront6targetE0EEEvT1_.num_vgpr, 0
	.set _ZN7rocprim17ROCPRIM_400000_NS6detail17trampoline_kernelINS0_14default_configENS1_27scan_by_key_config_selectorIiiEEZZNS1_16scan_by_key_implILNS1_25lookback_scan_determinismE0ELb0ES3_N6thrust23THRUST_200600_302600_NS6detail15normal_iteratorINS9_10device_ptrIiEEEESE_SE_iNS9_4plusIiEE19head_flag_predicateiEE10hipError_tPvRmT2_T3_T4_T5_mT6_T7_P12ihipStream_tbENKUlT_T0_E_clISt17integral_constantIbLb1EESY_EEDaST_SU_EUlST_E_NS1_11comp_targetILNS1_3genE8ELNS1_11target_archE1030ELNS1_3gpuE2ELNS1_3repE0EEENS1_30default_config_static_selectorELNS0_4arch9wavefront6targetE0EEEvT1_.num_agpr, 0
	.set _ZN7rocprim17ROCPRIM_400000_NS6detail17trampoline_kernelINS0_14default_configENS1_27scan_by_key_config_selectorIiiEEZZNS1_16scan_by_key_implILNS1_25lookback_scan_determinismE0ELb0ES3_N6thrust23THRUST_200600_302600_NS6detail15normal_iteratorINS9_10device_ptrIiEEEESE_SE_iNS9_4plusIiEE19head_flag_predicateiEE10hipError_tPvRmT2_T3_T4_T5_mT6_T7_P12ihipStream_tbENKUlT_T0_E_clISt17integral_constantIbLb1EESY_EEDaST_SU_EUlST_E_NS1_11comp_targetILNS1_3genE8ELNS1_11target_archE1030ELNS1_3gpuE2ELNS1_3repE0EEENS1_30default_config_static_selectorELNS0_4arch9wavefront6targetE0EEEvT1_.numbered_sgpr, 0
	.set _ZN7rocprim17ROCPRIM_400000_NS6detail17trampoline_kernelINS0_14default_configENS1_27scan_by_key_config_selectorIiiEEZZNS1_16scan_by_key_implILNS1_25lookback_scan_determinismE0ELb0ES3_N6thrust23THRUST_200600_302600_NS6detail15normal_iteratorINS9_10device_ptrIiEEEESE_SE_iNS9_4plusIiEE19head_flag_predicateiEE10hipError_tPvRmT2_T3_T4_T5_mT6_T7_P12ihipStream_tbENKUlT_T0_E_clISt17integral_constantIbLb1EESY_EEDaST_SU_EUlST_E_NS1_11comp_targetILNS1_3genE8ELNS1_11target_archE1030ELNS1_3gpuE2ELNS1_3repE0EEENS1_30default_config_static_selectorELNS0_4arch9wavefront6targetE0EEEvT1_.num_named_barrier, 0
	.set _ZN7rocprim17ROCPRIM_400000_NS6detail17trampoline_kernelINS0_14default_configENS1_27scan_by_key_config_selectorIiiEEZZNS1_16scan_by_key_implILNS1_25lookback_scan_determinismE0ELb0ES3_N6thrust23THRUST_200600_302600_NS6detail15normal_iteratorINS9_10device_ptrIiEEEESE_SE_iNS9_4plusIiEE19head_flag_predicateiEE10hipError_tPvRmT2_T3_T4_T5_mT6_T7_P12ihipStream_tbENKUlT_T0_E_clISt17integral_constantIbLb1EESY_EEDaST_SU_EUlST_E_NS1_11comp_targetILNS1_3genE8ELNS1_11target_archE1030ELNS1_3gpuE2ELNS1_3repE0EEENS1_30default_config_static_selectorELNS0_4arch9wavefront6targetE0EEEvT1_.private_seg_size, 0
	.set _ZN7rocprim17ROCPRIM_400000_NS6detail17trampoline_kernelINS0_14default_configENS1_27scan_by_key_config_selectorIiiEEZZNS1_16scan_by_key_implILNS1_25lookback_scan_determinismE0ELb0ES3_N6thrust23THRUST_200600_302600_NS6detail15normal_iteratorINS9_10device_ptrIiEEEESE_SE_iNS9_4plusIiEE19head_flag_predicateiEE10hipError_tPvRmT2_T3_T4_T5_mT6_T7_P12ihipStream_tbENKUlT_T0_E_clISt17integral_constantIbLb1EESY_EEDaST_SU_EUlST_E_NS1_11comp_targetILNS1_3genE8ELNS1_11target_archE1030ELNS1_3gpuE2ELNS1_3repE0EEENS1_30default_config_static_selectorELNS0_4arch9wavefront6targetE0EEEvT1_.uses_vcc, 0
	.set _ZN7rocprim17ROCPRIM_400000_NS6detail17trampoline_kernelINS0_14default_configENS1_27scan_by_key_config_selectorIiiEEZZNS1_16scan_by_key_implILNS1_25lookback_scan_determinismE0ELb0ES3_N6thrust23THRUST_200600_302600_NS6detail15normal_iteratorINS9_10device_ptrIiEEEESE_SE_iNS9_4plusIiEE19head_flag_predicateiEE10hipError_tPvRmT2_T3_T4_T5_mT6_T7_P12ihipStream_tbENKUlT_T0_E_clISt17integral_constantIbLb1EESY_EEDaST_SU_EUlST_E_NS1_11comp_targetILNS1_3genE8ELNS1_11target_archE1030ELNS1_3gpuE2ELNS1_3repE0EEENS1_30default_config_static_selectorELNS0_4arch9wavefront6targetE0EEEvT1_.uses_flat_scratch, 0
	.set _ZN7rocprim17ROCPRIM_400000_NS6detail17trampoline_kernelINS0_14default_configENS1_27scan_by_key_config_selectorIiiEEZZNS1_16scan_by_key_implILNS1_25lookback_scan_determinismE0ELb0ES3_N6thrust23THRUST_200600_302600_NS6detail15normal_iteratorINS9_10device_ptrIiEEEESE_SE_iNS9_4plusIiEE19head_flag_predicateiEE10hipError_tPvRmT2_T3_T4_T5_mT6_T7_P12ihipStream_tbENKUlT_T0_E_clISt17integral_constantIbLb1EESY_EEDaST_SU_EUlST_E_NS1_11comp_targetILNS1_3genE8ELNS1_11target_archE1030ELNS1_3gpuE2ELNS1_3repE0EEENS1_30default_config_static_selectorELNS0_4arch9wavefront6targetE0EEEvT1_.has_dyn_sized_stack, 0
	.set _ZN7rocprim17ROCPRIM_400000_NS6detail17trampoline_kernelINS0_14default_configENS1_27scan_by_key_config_selectorIiiEEZZNS1_16scan_by_key_implILNS1_25lookback_scan_determinismE0ELb0ES3_N6thrust23THRUST_200600_302600_NS6detail15normal_iteratorINS9_10device_ptrIiEEEESE_SE_iNS9_4plusIiEE19head_flag_predicateiEE10hipError_tPvRmT2_T3_T4_T5_mT6_T7_P12ihipStream_tbENKUlT_T0_E_clISt17integral_constantIbLb1EESY_EEDaST_SU_EUlST_E_NS1_11comp_targetILNS1_3genE8ELNS1_11target_archE1030ELNS1_3gpuE2ELNS1_3repE0EEENS1_30default_config_static_selectorELNS0_4arch9wavefront6targetE0EEEvT1_.has_recursion, 0
	.set _ZN7rocprim17ROCPRIM_400000_NS6detail17trampoline_kernelINS0_14default_configENS1_27scan_by_key_config_selectorIiiEEZZNS1_16scan_by_key_implILNS1_25lookback_scan_determinismE0ELb0ES3_N6thrust23THRUST_200600_302600_NS6detail15normal_iteratorINS9_10device_ptrIiEEEESE_SE_iNS9_4plusIiEE19head_flag_predicateiEE10hipError_tPvRmT2_T3_T4_T5_mT6_T7_P12ihipStream_tbENKUlT_T0_E_clISt17integral_constantIbLb1EESY_EEDaST_SU_EUlST_E_NS1_11comp_targetILNS1_3genE8ELNS1_11target_archE1030ELNS1_3gpuE2ELNS1_3repE0EEENS1_30default_config_static_selectorELNS0_4arch9wavefront6targetE0EEEvT1_.has_indirect_call, 0
	.section	.AMDGPU.csdata,"",@progbits
; Kernel info:
; codeLenInByte = 0
; TotalNumSgprs: 0
; NumVgprs: 0
; ScratchSize: 0
; MemoryBound: 0
; FloatMode: 240
; IeeeMode: 1
; LDSByteSize: 0 bytes/workgroup (compile time only)
; SGPRBlocks: 0
; VGPRBlocks: 0
; NumSGPRsForWavesPerEU: 1
; NumVGPRsForWavesPerEU: 1
; NamedBarCnt: 0
; Occupancy: 16
; WaveLimiterHint : 0
; COMPUTE_PGM_RSRC2:SCRATCH_EN: 0
; COMPUTE_PGM_RSRC2:USER_SGPR: 2
; COMPUTE_PGM_RSRC2:TRAP_HANDLER: 0
; COMPUTE_PGM_RSRC2:TGID_X_EN: 1
; COMPUTE_PGM_RSRC2:TGID_Y_EN: 0
; COMPUTE_PGM_RSRC2:TGID_Z_EN: 0
; COMPUTE_PGM_RSRC2:TIDIG_COMP_CNT: 0
	.section	.text._ZN7rocprim17ROCPRIM_400000_NS6detail17trampoline_kernelINS0_14default_configENS1_27scan_by_key_config_selectorIiiEEZZNS1_16scan_by_key_implILNS1_25lookback_scan_determinismE0ELb0ES3_N6thrust23THRUST_200600_302600_NS6detail15normal_iteratorINS9_10device_ptrIiEEEESE_SE_iNS9_4plusIiEE19head_flag_predicateiEE10hipError_tPvRmT2_T3_T4_T5_mT6_T7_P12ihipStream_tbENKUlT_T0_E_clISt17integral_constantIbLb1EESX_IbLb0EEEEDaST_SU_EUlST_E_NS1_11comp_targetILNS1_3genE0ELNS1_11target_archE4294967295ELNS1_3gpuE0ELNS1_3repE0EEENS1_30default_config_static_selectorELNS0_4arch9wavefront6targetE0EEEvT1_,"axG",@progbits,_ZN7rocprim17ROCPRIM_400000_NS6detail17trampoline_kernelINS0_14default_configENS1_27scan_by_key_config_selectorIiiEEZZNS1_16scan_by_key_implILNS1_25lookback_scan_determinismE0ELb0ES3_N6thrust23THRUST_200600_302600_NS6detail15normal_iteratorINS9_10device_ptrIiEEEESE_SE_iNS9_4plusIiEE19head_flag_predicateiEE10hipError_tPvRmT2_T3_T4_T5_mT6_T7_P12ihipStream_tbENKUlT_T0_E_clISt17integral_constantIbLb1EESX_IbLb0EEEEDaST_SU_EUlST_E_NS1_11comp_targetILNS1_3genE0ELNS1_11target_archE4294967295ELNS1_3gpuE0ELNS1_3repE0EEENS1_30default_config_static_selectorELNS0_4arch9wavefront6targetE0EEEvT1_,comdat
	.protected	_ZN7rocprim17ROCPRIM_400000_NS6detail17trampoline_kernelINS0_14default_configENS1_27scan_by_key_config_selectorIiiEEZZNS1_16scan_by_key_implILNS1_25lookback_scan_determinismE0ELb0ES3_N6thrust23THRUST_200600_302600_NS6detail15normal_iteratorINS9_10device_ptrIiEEEESE_SE_iNS9_4plusIiEE19head_flag_predicateiEE10hipError_tPvRmT2_T3_T4_T5_mT6_T7_P12ihipStream_tbENKUlT_T0_E_clISt17integral_constantIbLb1EESX_IbLb0EEEEDaST_SU_EUlST_E_NS1_11comp_targetILNS1_3genE0ELNS1_11target_archE4294967295ELNS1_3gpuE0ELNS1_3repE0EEENS1_30default_config_static_selectorELNS0_4arch9wavefront6targetE0EEEvT1_ ; -- Begin function _ZN7rocprim17ROCPRIM_400000_NS6detail17trampoline_kernelINS0_14default_configENS1_27scan_by_key_config_selectorIiiEEZZNS1_16scan_by_key_implILNS1_25lookback_scan_determinismE0ELb0ES3_N6thrust23THRUST_200600_302600_NS6detail15normal_iteratorINS9_10device_ptrIiEEEESE_SE_iNS9_4plusIiEE19head_flag_predicateiEE10hipError_tPvRmT2_T3_T4_T5_mT6_T7_P12ihipStream_tbENKUlT_T0_E_clISt17integral_constantIbLb1EESX_IbLb0EEEEDaST_SU_EUlST_E_NS1_11comp_targetILNS1_3genE0ELNS1_11target_archE4294967295ELNS1_3gpuE0ELNS1_3repE0EEENS1_30default_config_static_selectorELNS0_4arch9wavefront6targetE0EEEvT1_
	.globl	_ZN7rocprim17ROCPRIM_400000_NS6detail17trampoline_kernelINS0_14default_configENS1_27scan_by_key_config_selectorIiiEEZZNS1_16scan_by_key_implILNS1_25lookback_scan_determinismE0ELb0ES3_N6thrust23THRUST_200600_302600_NS6detail15normal_iteratorINS9_10device_ptrIiEEEESE_SE_iNS9_4plusIiEE19head_flag_predicateiEE10hipError_tPvRmT2_T3_T4_T5_mT6_T7_P12ihipStream_tbENKUlT_T0_E_clISt17integral_constantIbLb1EESX_IbLb0EEEEDaST_SU_EUlST_E_NS1_11comp_targetILNS1_3genE0ELNS1_11target_archE4294967295ELNS1_3gpuE0ELNS1_3repE0EEENS1_30default_config_static_selectorELNS0_4arch9wavefront6targetE0EEEvT1_
	.p2align	8
	.type	_ZN7rocprim17ROCPRIM_400000_NS6detail17trampoline_kernelINS0_14default_configENS1_27scan_by_key_config_selectorIiiEEZZNS1_16scan_by_key_implILNS1_25lookback_scan_determinismE0ELb0ES3_N6thrust23THRUST_200600_302600_NS6detail15normal_iteratorINS9_10device_ptrIiEEEESE_SE_iNS9_4plusIiEE19head_flag_predicateiEE10hipError_tPvRmT2_T3_T4_T5_mT6_T7_P12ihipStream_tbENKUlT_T0_E_clISt17integral_constantIbLb1EESX_IbLb0EEEEDaST_SU_EUlST_E_NS1_11comp_targetILNS1_3genE0ELNS1_11target_archE4294967295ELNS1_3gpuE0ELNS1_3repE0EEENS1_30default_config_static_selectorELNS0_4arch9wavefront6targetE0EEEvT1_,@function
_ZN7rocprim17ROCPRIM_400000_NS6detail17trampoline_kernelINS0_14default_configENS1_27scan_by_key_config_selectorIiiEEZZNS1_16scan_by_key_implILNS1_25lookback_scan_determinismE0ELb0ES3_N6thrust23THRUST_200600_302600_NS6detail15normal_iteratorINS9_10device_ptrIiEEEESE_SE_iNS9_4plusIiEE19head_flag_predicateiEE10hipError_tPvRmT2_T3_T4_T5_mT6_T7_P12ihipStream_tbENKUlT_T0_E_clISt17integral_constantIbLb1EESX_IbLb0EEEEDaST_SU_EUlST_E_NS1_11comp_targetILNS1_3genE0ELNS1_11target_archE4294967295ELNS1_3gpuE0ELNS1_3repE0EEENS1_30default_config_static_selectorELNS0_4arch9wavefront6targetE0EEEvT1_: ; @_ZN7rocprim17ROCPRIM_400000_NS6detail17trampoline_kernelINS0_14default_configENS1_27scan_by_key_config_selectorIiiEEZZNS1_16scan_by_key_implILNS1_25lookback_scan_determinismE0ELb0ES3_N6thrust23THRUST_200600_302600_NS6detail15normal_iteratorINS9_10device_ptrIiEEEESE_SE_iNS9_4plusIiEE19head_flag_predicateiEE10hipError_tPvRmT2_T3_T4_T5_mT6_T7_P12ihipStream_tbENKUlT_T0_E_clISt17integral_constantIbLb1EESX_IbLb0EEEEDaST_SU_EUlST_E_NS1_11comp_targetILNS1_3genE0ELNS1_11target_archE4294967295ELNS1_3gpuE0ELNS1_3repE0EEENS1_30default_config_static_selectorELNS0_4arch9wavefront6targetE0EEEvT1_
; %bb.0:
	s_endpgm
	.section	.rodata,"a",@progbits
	.p2align	6, 0x0
	.amdhsa_kernel _ZN7rocprim17ROCPRIM_400000_NS6detail17trampoline_kernelINS0_14default_configENS1_27scan_by_key_config_selectorIiiEEZZNS1_16scan_by_key_implILNS1_25lookback_scan_determinismE0ELb0ES3_N6thrust23THRUST_200600_302600_NS6detail15normal_iteratorINS9_10device_ptrIiEEEESE_SE_iNS9_4plusIiEE19head_flag_predicateiEE10hipError_tPvRmT2_T3_T4_T5_mT6_T7_P12ihipStream_tbENKUlT_T0_E_clISt17integral_constantIbLb1EESX_IbLb0EEEEDaST_SU_EUlST_E_NS1_11comp_targetILNS1_3genE0ELNS1_11target_archE4294967295ELNS1_3gpuE0ELNS1_3repE0EEENS1_30default_config_static_selectorELNS0_4arch9wavefront6targetE0EEEvT1_
		.amdhsa_group_segment_fixed_size 0
		.amdhsa_private_segment_fixed_size 0
		.amdhsa_kernarg_size 112
		.amdhsa_user_sgpr_count 2
		.amdhsa_user_sgpr_dispatch_ptr 0
		.amdhsa_user_sgpr_queue_ptr 0
		.amdhsa_user_sgpr_kernarg_segment_ptr 1
		.amdhsa_user_sgpr_dispatch_id 0
		.amdhsa_user_sgpr_kernarg_preload_length 0
		.amdhsa_user_sgpr_kernarg_preload_offset 0
		.amdhsa_user_sgpr_private_segment_size 0
		.amdhsa_wavefront_size32 1
		.amdhsa_uses_dynamic_stack 0
		.amdhsa_enable_private_segment 0
		.amdhsa_system_sgpr_workgroup_id_x 1
		.amdhsa_system_sgpr_workgroup_id_y 0
		.amdhsa_system_sgpr_workgroup_id_z 0
		.amdhsa_system_sgpr_workgroup_info 0
		.amdhsa_system_vgpr_workitem_id 0
		.amdhsa_next_free_vgpr 1
		.amdhsa_next_free_sgpr 1
		.amdhsa_named_barrier_count 0
		.amdhsa_reserve_vcc 0
		.amdhsa_float_round_mode_32 0
		.amdhsa_float_round_mode_16_64 0
		.amdhsa_float_denorm_mode_32 3
		.amdhsa_float_denorm_mode_16_64 3
		.amdhsa_fp16_overflow 0
		.amdhsa_memory_ordered 1
		.amdhsa_forward_progress 1
		.amdhsa_inst_pref_size 1
		.amdhsa_round_robin_scheduling 0
		.amdhsa_exception_fp_ieee_invalid_op 0
		.amdhsa_exception_fp_denorm_src 0
		.amdhsa_exception_fp_ieee_div_zero 0
		.amdhsa_exception_fp_ieee_overflow 0
		.amdhsa_exception_fp_ieee_underflow 0
		.amdhsa_exception_fp_ieee_inexact 0
		.amdhsa_exception_int_div_zero 0
	.end_amdhsa_kernel
	.section	.text._ZN7rocprim17ROCPRIM_400000_NS6detail17trampoline_kernelINS0_14default_configENS1_27scan_by_key_config_selectorIiiEEZZNS1_16scan_by_key_implILNS1_25lookback_scan_determinismE0ELb0ES3_N6thrust23THRUST_200600_302600_NS6detail15normal_iteratorINS9_10device_ptrIiEEEESE_SE_iNS9_4plusIiEE19head_flag_predicateiEE10hipError_tPvRmT2_T3_T4_T5_mT6_T7_P12ihipStream_tbENKUlT_T0_E_clISt17integral_constantIbLb1EESX_IbLb0EEEEDaST_SU_EUlST_E_NS1_11comp_targetILNS1_3genE0ELNS1_11target_archE4294967295ELNS1_3gpuE0ELNS1_3repE0EEENS1_30default_config_static_selectorELNS0_4arch9wavefront6targetE0EEEvT1_,"axG",@progbits,_ZN7rocprim17ROCPRIM_400000_NS6detail17trampoline_kernelINS0_14default_configENS1_27scan_by_key_config_selectorIiiEEZZNS1_16scan_by_key_implILNS1_25lookback_scan_determinismE0ELb0ES3_N6thrust23THRUST_200600_302600_NS6detail15normal_iteratorINS9_10device_ptrIiEEEESE_SE_iNS9_4plusIiEE19head_flag_predicateiEE10hipError_tPvRmT2_T3_T4_T5_mT6_T7_P12ihipStream_tbENKUlT_T0_E_clISt17integral_constantIbLb1EESX_IbLb0EEEEDaST_SU_EUlST_E_NS1_11comp_targetILNS1_3genE0ELNS1_11target_archE4294967295ELNS1_3gpuE0ELNS1_3repE0EEENS1_30default_config_static_selectorELNS0_4arch9wavefront6targetE0EEEvT1_,comdat
.Lfunc_end767:
	.size	_ZN7rocprim17ROCPRIM_400000_NS6detail17trampoline_kernelINS0_14default_configENS1_27scan_by_key_config_selectorIiiEEZZNS1_16scan_by_key_implILNS1_25lookback_scan_determinismE0ELb0ES3_N6thrust23THRUST_200600_302600_NS6detail15normal_iteratorINS9_10device_ptrIiEEEESE_SE_iNS9_4plusIiEE19head_flag_predicateiEE10hipError_tPvRmT2_T3_T4_T5_mT6_T7_P12ihipStream_tbENKUlT_T0_E_clISt17integral_constantIbLb1EESX_IbLb0EEEEDaST_SU_EUlST_E_NS1_11comp_targetILNS1_3genE0ELNS1_11target_archE4294967295ELNS1_3gpuE0ELNS1_3repE0EEENS1_30default_config_static_selectorELNS0_4arch9wavefront6targetE0EEEvT1_, .Lfunc_end767-_ZN7rocprim17ROCPRIM_400000_NS6detail17trampoline_kernelINS0_14default_configENS1_27scan_by_key_config_selectorIiiEEZZNS1_16scan_by_key_implILNS1_25lookback_scan_determinismE0ELb0ES3_N6thrust23THRUST_200600_302600_NS6detail15normal_iteratorINS9_10device_ptrIiEEEESE_SE_iNS9_4plusIiEE19head_flag_predicateiEE10hipError_tPvRmT2_T3_T4_T5_mT6_T7_P12ihipStream_tbENKUlT_T0_E_clISt17integral_constantIbLb1EESX_IbLb0EEEEDaST_SU_EUlST_E_NS1_11comp_targetILNS1_3genE0ELNS1_11target_archE4294967295ELNS1_3gpuE0ELNS1_3repE0EEENS1_30default_config_static_selectorELNS0_4arch9wavefront6targetE0EEEvT1_
                                        ; -- End function
	.set _ZN7rocprim17ROCPRIM_400000_NS6detail17trampoline_kernelINS0_14default_configENS1_27scan_by_key_config_selectorIiiEEZZNS1_16scan_by_key_implILNS1_25lookback_scan_determinismE0ELb0ES3_N6thrust23THRUST_200600_302600_NS6detail15normal_iteratorINS9_10device_ptrIiEEEESE_SE_iNS9_4plusIiEE19head_flag_predicateiEE10hipError_tPvRmT2_T3_T4_T5_mT6_T7_P12ihipStream_tbENKUlT_T0_E_clISt17integral_constantIbLb1EESX_IbLb0EEEEDaST_SU_EUlST_E_NS1_11comp_targetILNS1_3genE0ELNS1_11target_archE4294967295ELNS1_3gpuE0ELNS1_3repE0EEENS1_30default_config_static_selectorELNS0_4arch9wavefront6targetE0EEEvT1_.num_vgpr, 0
	.set _ZN7rocprim17ROCPRIM_400000_NS6detail17trampoline_kernelINS0_14default_configENS1_27scan_by_key_config_selectorIiiEEZZNS1_16scan_by_key_implILNS1_25lookback_scan_determinismE0ELb0ES3_N6thrust23THRUST_200600_302600_NS6detail15normal_iteratorINS9_10device_ptrIiEEEESE_SE_iNS9_4plusIiEE19head_flag_predicateiEE10hipError_tPvRmT2_T3_T4_T5_mT6_T7_P12ihipStream_tbENKUlT_T0_E_clISt17integral_constantIbLb1EESX_IbLb0EEEEDaST_SU_EUlST_E_NS1_11comp_targetILNS1_3genE0ELNS1_11target_archE4294967295ELNS1_3gpuE0ELNS1_3repE0EEENS1_30default_config_static_selectorELNS0_4arch9wavefront6targetE0EEEvT1_.num_agpr, 0
	.set _ZN7rocprim17ROCPRIM_400000_NS6detail17trampoline_kernelINS0_14default_configENS1_27scan_by_key_config_selectorIiiEEZZNS1_16scan_by_key_implILNS1_25lookback_scan_determinismE0ELb0ES3_N6thrust23THRUST_200600_302600_NS6detail15normal_iteratorINS9_10device_ptrIiEEEESE_SE_iNS9_4plusIiEE19head_flag_predicateiEE10hipError_tPvRmT2_T3_T4_T5_mT6_T7_P12ihipStream_tbENKUlT_T0_E_clISt17integral_constantIbLb1EESX_IbLb0EEEEDaST_SU_EUlST_E_NS1_11comp_targetILNS1_3genE0ELNS1_11target_archE4294967295ELNS1_3gpuE0ELNS1_3repE0EEENS1_30default_config_static_selectorELNS0_4arch9wavefront6targetE0EEEvT1_.numbered_sgpr, 0
	.set _ZN7rocprim17ROCPRIM_400000_NS6detail17trampoline_kernelINS0_14default_configENS1_27scan_by_key_config_selectorIiiEEZZNS1_16scan_by_key_implILNS1_25lookback_scan_determinismE0ELb0ES3_N6thrust23THRUST_200600_302600_NS6detail15normal_iteratorINS9_10device_ptrIiEEEESE_SE_iNS9_4plusIiEE19head_flag_predicateiEE10hipError_tPvRmT2_T3_T4_T5_mT6_T7_P12ihipStream_tbENKUlT_T0_E_clISt17integral_constantIbLb1EESX_IbLb0EEEEDaST_SU_EUlST_E_NS1_11comp_targetILNS1_3genE0ELNS1_11target_archE4294967295ELNS1_3gpuE0ELNS1_3repE0EEENS1_30default_config_static_selectorELNS0_4arch9wavefront6targetE0EEEvT1_.num_named_barrier, 0
	.set _ZN7rocprim17ROCPRIM_400000_NS6detail17trampoline_kernelINS0_14default_configENS1_27scan_by_key_config_selectorIiiEEZZNS1_16scan_by_key_implILNS1_25lookback_scan_determinismE0ELb0ES3_N6thrust23THRUST_200600_302600_NS6detail15normal_iteratorINS9_10device_ptrIiEEEESE_SE_iNS9_4plusIiEE19head_flag_predicateiEE10hipError_tPvRmT2_T3_T4_T5_mT6_T7_P12ihipStream_tbENKUlT_T0_E_clISt17integral_constantIbLb1EESX_IbLb0EEEEDaST_SU_EUlST_E_NS1_11comp_targetILNS1_3genE0ELNS1_11target_archE4294967295ELNS1_3gpuE0ELNS1_3repE0EEENS1_30default_config_static_selectorELNS0_4arch9wavefront6targetE0EEEvT1_.private_seg_size, 0
	.set _ZN7rocprim17ROCPRIM_400000_NS6detail17trampoline_kernelINS0_14default_configENS1_27scan_by_key_config_selectorIiiEEZZNS1_16scan_by_key_implILNS1_25lookback_scan_determinismE0ELb0ES3_N6thrust23THRUST_200600_302600_NS6detail15normal_iteratorINS9_10device_ptrIiEEEESE_SE_iNS9_4plusIiEE19head_flag_predicateiEE10hipError_tPvRmT2_T3_T4_T5_mT6_T7_P12ihipStream_tbENKUlT_T0_E_clISt17integral_constantIbLb1EESX_IbLb0EEEEDaST_SU_EUlST_E_NS1_11comp_targetILNS1_3genE0ELNS1_11target_archE4294967295ELNS1_3gpuE0ELNS1_3repE0EEENS1_30default_config_static_selectorELNS0_4arch9wavefront6targetE0EEEvT1_.uses_vcc, 0
	.set _ZN7rocprim17ROCPRIM_400000_NS6detail17trampoline_kernelINS0_14default_configENS1_27scan_by_key_config_selectorIiiEEZZNS1_16scan_by_key_implILNS1_25lookback_scan_determinismE0ELb0ES3_N6thrust23THRUST_200600_302600_NS6detail15normal_iteratorINS9_10device_ptrIiEEEESE_SE_iNS9_4plusIiEE19head_flag_predicateiEE10hipError_tPvRmT2_T3_T4_T5_mT6_T7_P12ihipStream_tbENKUlT_T0_E_clISt17integral_constantIbLb1EESX_IbLb0EEEEDaST_SU_EUlST_E_NS1_11comp_targetILNS1_3genE0ELNS1_11target_archE4294967295ELNS1_3gpuE0ELNS1_3repE0EEENS1_30default_config_static_selectorELNS0_4arch9wavefront6targetE0EEEvT1_.uses_flat_scratch, 0
	.set _ZN7rocprim17ROCPRIM_400000_NS6detail17trampoline_kernelINS0_14default_configENS1_27scan_by_key_config_selectorIiiEEZZNS1_16scan_by_key_implILNS1_25lookback_scan_determinismE0ELb0ES3_N6thrust23THRUST_200600_302600_NS6detail15normal_iteratorINS9_10device_ptrIiEEEESE_SE_iNS9_4plusIiEE19head_flag_predicateiEE10hipError_tPvRmT2_T3_T4_T5_mT6_T7_P12ihipStream_tbENKUlT_T0_E_clISt17integral_constantIbLb1EESX_IbLb0EEEEDaST_SU_EUlST_E_NS1_11comp_targetILNS1_3genE0ELNS1_11target_archE4294967295ELNS1_3gpuE0ELNS1_3repE0EEENS1_30default_config_static_selectorELNS0_4arch9wavefront6targetE0EEEvT1_.has_dyn_sized_stack, 0
	.set _ZN7rocprim17ROCPRIM_400000_NS6detail17trampoline_kernelINS0_14default_configENS1_27scan_by_key_config_selectorIiiEEZZNS1_16scan_by_key_implILNS1_25lookback_scan_determinismE0ELb0ES3_N6thrust23THRUST_200600_302600_NS6detail15normal_iteratorINS9_10device_ptrIiEEEESE_SE_iNS9_4plusIiEE19head_flag_predicateiEE10hipError_tPvRmT2_T3_T4_T5_mT6_T7_P12ihipStream_tbENKUlT_T0_E_clISt17integral_constantIbLb1EESX_IbLb0EEEEDaST_SU_EUlST_E_NS1_11comp_targetILNS1_3genE0ELNS1_11target_archE4294967295ELNS1_3gpuE0ELNS1_3repE0EEENS1_30default_config_static_selectorELNS0_4arch9wavefront6targetE0EEEvT1_.has_recursion, 0
	.set _ZN7rocprim17ROCPRIM_400000_NS6detail17trampoline_kernelINS0_14default_configENS1_27scan_by_key_config_selectorIiiEEZZNS1_16scan_by_key_implILNS1_25lookback_scan_determinismE0ELb0ES3_N6thrust23THRUST_200600_302600_NS6detail15normal_iteratorINS9_10device_ptrIiEEEESE_SE_iNS9_4plusIiEE19head_flag_predicateiEE10hipError_tPvRmT2_T3_T4_T5_mT6_T7_P12ihipStream_tbENKUlT_T0_E_clISt17integral_constantIbLb1EESX_IbLb0EEEEDaST_SU_EUlST_E_NS1_11comp_targetILNS1_3genE0ELNS1_11target_archE4294967295ELNS1_3gpuE0ELNS1_3repE0EEENS1_30default_config_static_selectorELNS0_4arch9wavefront6targetE0EEEvT1_.has_indirect_call, 0
	.section	.AMDGPU.csdata,"",@progbits
; Kernel info:
; codeLenInByte = 4
; TotalNumSgprs: 0
; NumVgprs: 0
; ScratchSize: 0
; MemoryBound: 0
; FloatMode: 240
; IeeeMode: 1
; LDSByteSize: 0 bytes/workgroup (compile time only)
; SGPRBlocks: 0
; VGPRBlocks: 0
; NumSGPRsForWavesPerEU: 1
; NumVGPRsForWavesPerEU: 1
; NamedBarCnt: 0
; Occupancy: 16
; WaveLimiterHint : 0
; COMPUTE_PGM_RSRC2:SCRATCH_EN: 0
; COMPUTE_PGM_RSRC2:USER_SGPR: 2
; COMPUTE_PGM_RSRC2:TRAP_HANDLER: 0
; COMPUTE_PGM_RSRC2:TGID_X_EN: 1
; COMPUTE_PGM_RSRC2:TGID_Y_EN: 0
; COMPUTE_PGM_RSRC2:TGID_Z_EN: 0
; COMPUTE_PGM_RSRC2:TIDIG_COMP_CNT: 0
	.section	.text._ZN7rocprim17ROCPRIM_400000_NS6detail17trampoline_kernelINS0_14default_configENS1_27scan_by_key_config_selectorIiiEEZZNS1_16scan_by_key_implILNS1_25lookback_scan_determinismE0ELb0ES3_N6thrust23THRUST_200600_302600_NS6detail15normal_iteratorINS9_10device_ptrIiEEEESE_SE_iNS9_4plusIiEE19head_flag_predicateiEE10hipError_tPvRmT2_T3_T4_T5_mT6_T7_P12ihipStream_tbENKUlT_T0_E_clISt17integral_constantIbLb1EESX_IbLb0EEEEDaST_SU_EUlST_E_NS1_11comp_targetILNS1_3genE10ELNS1_11target_archE1201ELNS1_3gpuE5ELNS1_3repE0EEENS1_30default_config_static_selectorELNS0_4arch9wavefront6targetE0EEEvT1_,"axG",@progbits,_ZN7rocprim17ROCPRIM_400000_NS6detail17trampoline_kernelINS0_14default_configENS1_27scan_by_key_config_selectorIiiEEZZNS1_16scan_by_key_implILNS1_25lookback_scan_determinismE0ELb0ES3_N6thrust23THRUST_200600_302600_NS6detail15normal_iteratorINS9_10device_ptrIiEEEESE_SE_iNS9_4plusIiEE19head_flag_predicateiEE10hipError_tPvRmT2_T3_T4_T5_mT6_T7_P12ihipStream_tbENKUlT_T0_E_clISt17integral_constantIbLb1EESX_IbLb0EEEEDaST_SU_EUlST_E_NS1_11comp_targetILNS1_3genE10ELNS1_11target_archE1201ELNS1_3gpuE5ELNS1_3repE0EEENS1_30default_config_static_selectorELNS0_4arch9wavefront6targetE0EEEvT1_,comdat
	.protected	_ZN7rocprim17ROCPRIM_400000_NS6detail17trampoline_kernelINS0_14default_configENS1_27scan_by_key_config_selectorIiiEEZZNS1_16scan_by_key_implILNS1_25lookback_scan_determinismE0ELb0ES3_N6thrust23THRUST_200600_302600_NS6detail15normal_iteratorINS9_10device_ptrIiEEEESE_SE_iNS9_4plusIiEE19head_flag_predicateiEE10hipError_tPvRmT2_T3_T4_T5_mT6_T7_P12ihipStream_tbENKUlT_T0_E_clISt17integral_constantIbLb1EESX_IbLb0EEEEDaST_SU_EUlST_E_NS1_11comp_targetILNS1_3genE10ELNS1_11target_archE1201ELNS1_3gpuE5ELNS1_3repE0EEENS1_30default_config_static_selectorELNS0_4arch9wavefront6targetE0EEEvT1_ ; -- Begin function _ZN7rocprim17ROCPRIM_400000_NS6detail17trampoline_kernelINS0_14default_configENS1_27scan_by_key_config_selectorIiiEEZZNS1_16scan_by_key_implILNS1_25lookback_scan_determinismE0ELb0ES3_N6thrust23THRUST_200600_302600_NS6detail15normal_iteratorINS9_10device_ptrIiEEEESE_SE_iNS9_4plusIiEE19head_flag_predicateiEE10hipError_tPvRmT2_T3_T4_T5_mT6_T7_P12ihipStream_tbENKUlT_T0_E_clISt17integral_constantIbLb1EESX_IbLb0EEEEDaST_SU_EUlST_E_NS1_11comp_targetILNS1_3genE10ELNS1_11target_archE1201ELNS1_3gpuE5ELNS1_3repE0EEENS1_30default_config_static_selectorELNS0_4arch9wavefront6targetE0EEEvT1_
	.globl	_ZN7rocprim17ROCPRIM_400000_NS6detail17trampoline_kernelINS0_14default_configENS1_27scan_by_key_config_selectorIiiEEZZNS1_16scan_by_key_implILNS1_25lookback_scan_determinismE0ELb0ES3_N6thrust23THRUST_200600_302600_NS6detail15normal_iteratorINS9_10device_ptrIiEEEESE_SE_iNS9_4plusIiEE19head_flag_predicateiEE10hipError_tPvRmT2_T3_T4_T5_mT6_T7_P12ihipStream_tbENKUlT_T0_E_clISt17integral_constantIbLb1EESX_IbLb0EEEEDaST_SU_EUlST_E_NS1_11comp_targetILNS1_3genE10ELNS1_11target_archE1201ELNS1_3gpuE5ELNS1_3repE0EEENS1_30default_config_static_selectorELNS0_4arch9wavefront6targetE0EEEvT1_
	.p2align	8
	.type	_ZN7rocprim17ROCPRIM_400000_NS6detail17trampoline_kernelINS0_14default_configENS1_27scan_by_key_config_selectorIiiEEZZNS1_16scan_by_key_implILNS1_25lookback_scan_determinismE0ELb0ES3_N6thrust23THRUST_200600_302600_NS6detail15normal_iteratorINS9_10device_ptrIiEEEESE_SE_iNS9_4plusIiEE19head_flag_predicateiEE10hipError_tPvRmT2_T3_T4_T5_mT6_T7_P12ihipStream_tbENKUlT_T0_E_clISt17integral_constantIbLb1EESX_IbLb0EEEEDaST_SU_EUlST_E_NS1_11comp_targetILNS1_3genE10ELNS1_11target_archE1201ELNS1_3gpuE5ELNS1_3repE0EEENS1_30default_config_static_selectorELNS0_4arch9wavefront6targetE0EEEvT1_,@function
_ZN7rocprim17ROCPRIM_400000_NS6detail17trampoline_kernelINS0_14default_configENS1_27scan_by_key_config_selectorIiiEEZZNS1_16scan_by_key_implILNS1_25lookback_scan_determinismE0ELb0ES3_N6thrust23THRUST_200600_302600_NS6detail15normal_iteratorINS9_10device_ptrIiEEEESE_SE_iNS9_4plusIiEE19head_flag_predicateiEE10hipError_tPvRmT2_T3_T4_T5_mT6_T7_P12ihipStream_tbENKUlT_T0_E_clISt17integral_constantIbLb1EESX_IbLb0EEEEDaST_SU_EUlST_E_NS1_11comp_targetILNS1_3genE10ELNS1_11target_archE1201ELNS1_3gpuE5ELNS1_3repE0EEENS1_30default_config_static_selectorELNS0_4arch9wavefront6targetE0EEEvT1_: ; @_ZN7rocprim17ROCPRIM_400000_NS6detail17trampoline_kernelINS0_14default_configENS1_27scan_by_key_config_selectorIiiEEZZNS1_16scan_by_key_implILNS1_25lookback_scan_determinismE0ELb0ES3_N6thrust23THRUST_200600_302600_NS6detail15normal_iteratorINS9_10device_ptrIiEEEESE_SE_iNS9_4plusIiEE19head_flag_predicateiEE10hipError_tPvRmT2_T3_T4_T5_mT6_T7_P12ihipStream_tbENKUlT_T0_E_clISt17integral_constantIbLb1EESX_IbLb0EEEEDaST_SU_EUlST_E_NS1_11comp_targetILNS1_3genE10ELNS1_11target_archE1201ELNS1_3gpuE5ELNS1_3repE0EEENS1_30default_config_static_selectorELNS0_4arch9wavefront6targetE0EEEvT1_
; %bb.0:
	.section	.rodata,"a",@progbits
	.p2align	6, 0x0
	.amdhsa_kernel _ZN7rocprim17ROCPRIM_400000_NS6detail17trampoline_kernelINS0_14default_configENS1_27scan_by_key_config_selectorIiiEEZZNS1_16scan_by_key_implILNS1_25lookback_scan_determinismE0ELb0ES3_N6thrust23THRUST_200600_302600_NS6detail15normal_iteratorINS9_10device_ptrIiEEEESE_SE_iNS9_4plusIiEE19head_flag_predicateiEE10hipError_tPvRmT2_T3_T4_T5_mT6_T7_P12ihipStream_tbENKUlT_T0_E_clISt17integral_constantIbLb1EESX_IbLb0EEEEDaST_SU_EUlST_E_NS1_11comp_targetILNS1_3genE10ELNS1_11target_archE1201ELNS1_3gpuE5ELNS1_3repE0EEENS1_30default_config_static_selectorELNS0_4arch9wavefront6targetE0EEEvT1_
		.amdhsa_group_segment_fixed_size 0
		.amdhsa_private_segment_fixed_size 0
		.amdhsa_kernarg_size 112
		.amdhsa_user_sgpr_count 2
		.amdhsa_user_sgpr_dispatch_ptr 0
		.amdhsa_user_sgpr_queue_ptr 0
		.amdhsa_user_sgpr_kernarg_segment_ptr 1
		.amdhsa_user_sgpr_dispatch_id 0
		.amdhsa_user_sgpr_kernarg_preload_length 0
		.amdhsa_user_sgpr_kernarg_preload_offset 0
		.amdhsa_user_sgpr_private_segment_size 0
		.amdhsa_wavefront_size32 1
		.amdhsa_uses_dynamic_stack 0
		.amdhsa_enable_private_segment 0
		.amdhsa_system_sgpr_workgroup_id_x 1
		.amdhsa_system_sgpr_workgroup_id_y 0
		.amdhsa_system_sgpr_workgroup_id_z 0
		.amdhsa_system_sgpr_workgroup_info 0
		.amdhsa_system_vgpr_workitem_id 0
		.amdhsa_next_free_vgpr 1
		.amdhsa_next_free_sgpr 1
		.amdhsa_named_barrier_count 0
		.amdhsa_reserve_vcc 0
		.amdhsa_float_round_mode_32 0
		.amdhsa_float_round_mode_16_64 0
		.amdhsa_float_denorm_mode_32 3
		.amdhsa_float_denorm_mode_16_64 3
		.amdhsa_fp16_overflow 0
		.amdhsa_memory_ordered 1
		.amdhsa_forward_progress 1
		.amdhsa_inst_pref_size 0
		.amdhsa_round_robin_scheduling 0
		.amdhsa_exception_fp_ieee_invalid_op 0
		.amdhsa_exception_fp_denorm_src 0
		.amdhsa_exception_fp_ieee_div_zero 0
		.amdhsa_exception_fp_ieee_overflow 0
		.amdhsa_exception_fp_ieee_underflow 0
		.amdhsa_exception_fp_ieee_inexact 0
		.amdhsa_exception_int_div_zero 0
	.end_amdhsa_kernel
	.section	.text._ZN7rocprim17ROCPRIM_400000_NS6detail17trampoline_kernelINS0_14default_configENS1_27scan_by_key_config_selectorIiiEEZZNS1_16scan_by_key_implILNS1_25lookback_scan_determinismE0ELb0ES3_N6thrust23THRUST_200600_302600_NS6detail15normal_iteratorINS9_10device_ptrIiEEEESE_SE_iNS9_4plusIiEE19head_flag_predicateiEE10hipError_tPvRmT2_T3_T4_T5_mT6_T7_P12ihipStream_tbENKUlT_T0_E_clISt17integral_constantIbLb1EESX_IbLb0EEEEDaST_SU_EUlST_E_NS1_11comp_targetILNS1_3genE10ELNS1_11target_archE1201ELNS1_3gpuE5ELNS1_3repE0EEENS1_30default_config_static_selectorELNS0_4arch9wavefront6targetE0EEEvT1_,"axG",@progbits,_ZN7rocprim17ROCPRIM_400000_NS6detail17trampoline_kernelINS0_14default_configENS1_27scan_by_key_config_selectorIiiEEZZNS1_16scan_by_key_implILNS1_25lookback_scan_determinismE0ELb0ES3_N6thrust23THRUST_200600_302600_NS6detail15normal_iteratorINS9_10device_ptrIiEEEESE_SE_iNS9_4plusIiEE19head_flag_predicateiEE10hipError_tPvRmT2_T3_T4_T5_mT6_T7_P12ihipStream_tbENKUlT_T0_E_clISt17integral_constantIbLb1EESX_IbLb0EEEEDaST_SU_EUlST_E_NS1_11comp_targetILNS1_3genE10ELNS1_11target_archE1201ELNS1_3gpuE5ELNS1_3repE0EEENS1_30default_config_static_selectorELNS0_4arch9wavefront6targetE0EEEvT1_,comdat
.Lfunc_end768:
	.size	_ZN7rocprim17ROCPRIM_400000_NS6detail17trampoline_kernelINS0_14default_configENS1_27scan_by_key_config_selectorIiiEEZZNS1_16scan_by_key_implILNS1_25lookback_scan_determinismE0ELb0ES3_N6thrust23THRUST_200600_302600_NS6detail15normal_iteratorINS9_10device_ptrIiEEEESE_SE_iNS9_4plusIiEE19head_flag_predicateiEE10hipError_tPvRmT2_T3_T4_T5_mT6_T7_P12ihipStream_tbENKUlT_T0_E_clISt17integral_constantIbLb1EESX_IbLb0EEEEDaST_SU_EUlST_E_NS1_11comp_targetILNS1_3genE10ELNS1_11target_archE1201ELNS1_3gpuE5ELNS1_3repE0EEENS1_30default_config_static_selectorELNS0_4arch9wavefront6targetE0EEEvT1_, .Lfunc_end768-_ZN7rocprim17ROCPRIM_400000_NS6detail17trampoline_kernelINS0_14default_configENS1_27scan_by_key_config_selectorIiiEEZZNS1_16scan_by_key_implILNS1_25lookback_scan_determinismE0ELb0ES3_N6thrust23THRUST_200600_302600_NS6detail15normal_iteratorINS9_10device_ptrIiEEEESE_SE_iNS9_4plusIiEE19head_flag_predicateiEE10hipError_tPvRmT2_T3_T4_T5_mT6_T7_P12ihipStream_tbENKUlT_T0_E_clISt17integral_constantIbLb1EESX_IbLb0EEEEDaST_SU_EUlST_E_NS1_11comp_targetILNS1_3genE10ELNS1_11target_archE1201ELNS1_3gpuE5ELNS1_3repE0EEENS1_30default_config_static_selectorELNS0_4arch9wavefront6targetE0EEEvT1_
                                        ; -- End function
	.set _ZN7rocprim17ROCPRIM_400000_NS6detail17trampoline_kernelINS0_14default_configENS1_27scan_by_key_config_selectorIiiEEZZNS1_16scan_by_key_implILNS1_25lookback_scan_determinismE0ELb0ES3_N6thrust23THRUST_200600_302600_NS6detail15normal_iteratorINS9_10device_ptrIiEEEESE_SE_iNS9_4plusIiEE19head_flag_predicateiEE10hipError_tPvRmT2_T3_T4_T5_mT6_T7_P12ihipStream_tbENKUlT_T0_E_clISt17integral_constantIbLb1EESX_IbLb0EEEEDaST_SU_EUlST_E_NS1_11comp_targetILNS1_3genE10ELNS1_11target_archE1201ELNS1_3gpuE5ELNS1_3repE0EEENS1_30default_config_static_selectorELNS0_4arch9wavefront6targetE0EEEvT1_.num_vgpr, 0
	.set _ZN7rocprim17ROCPRIM_400000_NS6detail17trampoline_kernelINS0_14default_configENS1_27scan_by_key_config_selectorIiiEEZZNS1_16scan_by_key_implILNS1_25lookback_scan_determinismE0ELb0ES3_N6thrust23THRUST_200600_302600_NS6detail15normal_iteratorINS9_10device_ptrIiEEEESE_SE_iNS9_4plusIiEE19head_flag_predicateiEE10hipError_tPvRmT2_T3_T4_T5_mT6_T7_P12ihipStream_tbENKUlT_T0_E_clISt17integral_constantIbLb1EESX_IbLb0EEEEDaST_SU_EUlST_E_NS1_11comp_targetILNS1_3genE10ELNS1_11target_archE1201ELNS1_3gpuE5ELNS1_3repE0EEENS1_30default_config_static_selectorELNS0_4arch9wavefront6targetE0EEEvT1_.num_agpr, 0
	.set _ZN7rocprim17ROCPRIM_400000_NS6detail17trampoline_kernelINS0_14default_configENS1_27scan_by_key_config_selectorIiiEEZZNS1_16scan_by_key_implILNS1_25lookback_scan_determinismE0ELb0ES3_N6thrust23THRUST_200600_302600_NS6detail15normal_iteratorINS9_10device_ptrIiEEEESE_SE_iNS9_4plusIiEE19head_flag_predicateiEE10hipError_tPvRmT2_T3_T4_T5_mT6_T7_P12ihipStream_tbENKUlT_T0_E_clISt17integral_constantIbLb1EESX_IbLb0EEEEDaST_SU_EUlST_E_NS1_11comp_targetILNS1_3genE10ELNS1_11target_archE1201ELNS1_3gpuE5ELNS1_3repE0EEENS1_30default_config_static_selectorELNS0_4arch9wavefront6targetE0EEEvT1_.numbered_sgpr, 0
	.set _ZN7rocprim17ROCPRIM_400000_NS6detail17trampoline_kernelINS0_14default_configENS1_27scan_by_key_config_selectorIiiEEZZNS1_16scan_by_key_implILNS1_25lookback_scan_determinismE0ELb0ES3_N6thrust23THRUST_200600_302600_NS6detail15normal_iteratorINS9_10device_ptrIiEEEESE_SE_iNS9_4plusIiEE19head_flag_predicateiEE10hipError_tPvRmT2_T3_T4_T5_mT6_T7_P12ihipStream_tbENKUlT_T0_E_clISt17integral_constantIbLb1EESX_IbLb0EEEEDaST_SU_EUlST_E_NS1_11comp_targetILNS1_3genE10ELNS1_11target_archE1201ELNS1_3gpuE5ELNS1_3repE0EEENS1_30default_config_static_selectorELNS0_4arch9wavefront6targetE0EEEvT1_.num_named_barrier, 0
	.set _ZN7rocprim17ROCPRIM_400000_NS6detail17trampoline_kernelINS0_14default_configENS1_27scan_by_key_config_selectorIiiEEZZNS1_16scan_by_key_implILNS1_25lookback_scan_determinismE0ELb0ES3_N6thrust23THRUST_200600_302600_NS6detail15normal_iteratorINS9_10device_ptrIiEEEESE_SE_iNS9_4plusIiEE19head_flag_predicateiEE10hipError_tPvRmT2_T3_T4_T5_mT6_T7_P12ihipStream_tbENKUlT_T0_E_clISt17integral_constantIbLb1EESX_IbLb0EEEEDaST_SU_EUlST_E_NS1_11comp_targetILNS1_3genE10ELNS1_11target_archE1201ELNS1_3gpuE5ELNS1_3repE0EEENS1_30default_config_static_selectorELNS0_4arch9wavefront6targetE0EEEvT1_.private_seg_size, 0
	.set _ZN7rocprim17ROCPRIM_400000_NS6detail17trampoline_kernelINS0_14default_configENS1_27scan_by_key_config_selectorIiiEEZZNS1_16scan_by_key_implILNS1_25lookback_scan_determinismE0ELb0ES3_N6thrust23THRUST_200600_302600_NS6detail15normal_iteratorINS9_10device_ptrIiEEEESE_SE_iNS9_4plusIiEE19head_flag_predicateiEE10hipError_tPvRmT2_T3_T4_T5_mT6_T7_P12ihipStream_tbENKUlT_T0_E_clISt17integral_constantIbLb1EESX_IbLb0EEEEDaST_SU_EUlST_E_NS1_11comp_targetILNS1_3genE10ELNS1_11target_archE1201ELNS1_3gpuE5ELNS1_3repE0EEENS1_30default_config_static_selectorELNS0_4arch9wavefront6targetE0EEEvT1_.uses_vcc, 0
	.set _ZN7rocprim17ROCPRIM_400000_NS6detail17trampoline_kernelINS0_14default_configENS1_27scan_by_key_config_selectorIiiEEZZNS1_16scan_by_key_implILNS1_25lookback_scan_determinismE0ELb0ES3_N6thrust23THRUST_200600_302600_NS6detail15normal_iteratorINS9_10device_ptrIiEEEESE_SE_iNS9_4plusIiEE19head_flag_predicateiEE10hipError_tPvRmT2_T3_T4_T5_mT6_T7_P12ihipStream_tbENKUlT_T0_E_clISt17integral_constantIbLb1EESX_IbLb0EEEEDaST_SU_EUlST_E_NS1_11comp_targetILNS1_3genE10ELNS1_11target_archE1201ELNS1_3gpuE5ELNS1_3repE0EEENS1_30default_config_static_selectorELNS0_4arch9wavefront6targetE0EEEvT1_.uses_flat_scratch, 0
	.set _ZN7rocprim17ROCPRIM_400000_NS6detail17trampoline_kernelINS0_14default_configENS1_27scan_by_key_config_selectorIiiEEZZNS1_16scan_by_key_implILNS1_25lookback_scan_determinismE0ELb0ES3_N6thrust23THRUST_200600_302600_NS6detail15normal_iteratorINS9_10device_ptrIiEEEESE_SE_iNS9_4plusIiEE19head_flag_predicateiEE10hipError_tPvRmT2_T3_T4_T5_mT6_T7_P12ihipStream_tbENKUlT_T0_E_clISt17integral_constantIbLb1EESX_IbLb0EEEEDaST_SU_EUlST_E_NS1_11comp_targetILNS1_3genE10ELNS1_11target_archE1201ELNS1_3gpuE5ELNS1_3repE0EEENS1_30default_config_static_selectorELNS0_4arch9wavefront6targetE0EEEvT1_.has_dyn_sized_stack, 0
	.set _ZN7rocprim17ROCPRIM_400000_NS6detail17trampoline_kernelINS0_14default_configENS1_27scan_by_key_config_selectorIiiEEZZNS1_16scan_by_key_implILNS1_25lookback_scan_determinismE0ELb0ES3_N6thrust23THRUST_200600_302600_NS6detail15normal_iteratorINS9_10device_ptrIiEEEESE_SE_iNS9_4plusIiEE19head_flag_predicateiEE10hipError_tPvRmT2_T3_T4_T5_mT6_T7_P12ihipStream_tbENKUlT_T0_E_clISt17integral_constantIbLb1EESX_IbLb0EEEEDaST_SU_EUlST_E_NS1_11comp_targetILNS1_3genE10ELNS1_11target_archE1201ELNS1_3gpuE5ELNS1_3repE0EEENS1_30default_config_static_selectorELNS0_4arch9wavefront6targetE0EEEvT1_.has_recursion, 0
	.set _ZN7rocprim17ROCPRIM_400000_NS6detail17trampoline_kernelINS0_14default_configENS1_27scan_by_key_config_selectorIiiEEZZNS1_16scan_by_key_implILNS1_25lookback_scan_determinismE0ELb0ES3_N6thrust23THRUST_200600_302600_NS6detail15normal_iteratorINS9_10device_ptrIiEEEESE_SE_iNS9_4plusIiEE19head_flag_predicateiEE10hipError_tPvRmT2_T3_T4_T5_mT6_T7_P12ihipStream_tbENKUlT_T0_E_clISt17integral_constantIbLb1EESX_IbLb0EEEEDaST_SU_EUlST_E_NS1_11comp_targetILNS1_3genE10ELNS1_11target_archE1201ELNS1_3gpuE5ELNS1_3repE0EEENS1_30default_config_static_selectorELNS0_4arch9wavefront6targetE0EEEvT1_.has_indirect_call, 0
	.section	.AMDGPU.csdata,"",@progbits
; Kernel info:
; codeLenInByte = 0
; TotalNumSgprs: 0
; NumVgprs: 0
; ScratchSize: 0
; MemoryBound: 0
; FloatMode: 240
; IeeeMode: 1
; LDSByteSize: 0 bytes/workgroup (compile time only)
; SGPRBlocks: 0
; VGPRBlocks: 0
; NumSGPRsForWavesPerEU: 1
; NumVGPRsForWavesPerEU: 1
; NamedBarCnt: 0
; Occupancy: 16
; WaveLimiterHint : 0
; COMPUTE_PGM_RSRC2:SCRATCH_EN: 0
; COMPUTE_PGM_RSRC2:USER_SGPR: 2
; COMPUTE_PGM_RSRC2:TRAP_HANDLER: 0
; COMPUTE_PGM_RSRC2:TGID_X_EN: 1
; COMPUTE_PGM_RSRC2:TGID_Y_EN: 0
; COMPUTE_PGM_RSRC2:TGID_Z_EN: 0
; COMPUTE_PGM_RSRC2:TIDIG_COMP_CNT: 0
	.section	.text._ZN7rocprim17ROCPRIM_400000_NS6detail17trampoline_kernelINS0_14default_configENS1_27scan_by_key_config_selectorIiiEEZZNS1_16scan_by_key_implILNS1_25lookback_scan_determinismE0ELb0ES3_N6thrust23THRUST_200600_302600_NS6detail15normal_iteratorINS9_10device_ptrIiEEEESE_SE_iNS9_4plusIiEE19head_flag_predicateiEE10hipError_tPvRmT2_T3_T4_T5_mT6_T7_P12ihipStream_tbENKUlT_T0_E_clISt17integral_constantIbLb1EESX_IbLb0EEEEDaST_SU_EUlST_E_NS1_11comp_targetILNS1_3genE5ELNS1_11target_archE942ELNS1_3gpuE9ELNS1_3repE0EEENS1_30default_config_static_selectorELNS0_4arch9wavefront6targetE0EEEvT1_,"axG",@progbits,_ZN7rocprim17ROCPRIM_400000_NS6detail17trampoline_kernelINS0_14default_configENS1_27scan_by_key_config_selectorIiiEEZZNS1_16scan_by_key_implILNS1_25lookback_scan_determinismE0ELb0ES3_N6thrust23THRUST_200600_302600_NS6detail15normal_iteratorINS9_10device_ptrIiEEEESE_SE_iNS9_4plusIiEE19head_flag_predicateiEE10hipError_tPvRmT2_T3_T4_T5_mT6_T7_P12ihipStream_tbENKUlT_T0_E_clISt17integral_constantIbLb1EESX_IbLb0EEEEDaST_SU_EUlST_E_NS1_11comp_targetILNS1_3genE5ELNS1_11target_archE942ELNS1_3gpuE9ELNS1_3repE0EEENS1_30default_config_static_selectorELNS0_4arch9wavefront6targetE0EEEvT1_,comdat
	.protected	_ZN7rocprim17ROCPRIM_400000_NS6detail17trampoline_kernelINS0_14default_configENS1_27scan_by_key_config_selectorIiiEEZZNS1_16scan_by_key_implILNS1_25lookback_scan_determinismE0ELb0ES3_N6thrust23THRUST_200600_302600_NS6detail15normal_iteratorINS9_10device_ptrIiEEEESE_SE_iNS9_4plusIiEE19head_flag_predicateiEE10hipError_tPvRmT2_T3_T4_T5_mT6_T7_P12ihipStream_tbENKUlT_T0_E_clISt17integral_constantIbLb1EESX_IbLb0EEEEDaST_SU_EUlST_E_NS1_11comp_targetILNS1_3genE5ELNS1_11target_archE942ELNS1_3gpuE9ELNS1_3repE0EEENS1_30default_config_static_selectorELNS0_4arch9wavefront6targetE0EEEvT1_ ; -- Begin function _ZN7rocprim17ROCPRIM_400000_NS6detail17trampoline_kernelINS0_14default_configENS1_27scan_by_key_config_selectorIiiEEZZNS1_16scan_by_key_implILNS1_25lookback_scan_determinismE0ELb0ES3_N6thrust23THRUST_200600_302600_NS6detail15normal_iteratorINS9_10device_ptrIiEEEESE_SE_iNS9_4plusIiEE19head_flag_predicateiEE10hipError_tPvRmT2_T3_T4_T5_mT6_T7_P12ihipStream_tbENKUlT_T0_E_clISt17integral_constantIbLb1EESX_IbLb0EEEEDaST_SU_EUlST_E_NS1_11comp_targetILNS1_3genE5ELNS1_11target_archE942ELNS1_3gpuE9ELNS1_3repE0EEENS1_30default_config_static_selectorELNS0_4arch9wavefront6targetE0EEEvT1_
	.globl	_ZN7rocprim17ROCPRIM_400000_NS6detail17trampoline_kernelINS0_14default_configENS1_27scan_by_key_config_selectorIiiEEZZNS1_16scan_by_key_implILNS1_25lookback_scan_determinismE0ELb0ES3_N6thrust23THRUST_200600_302600_NS6detail15normal_iteratorINS9_10device_ptrIiEEEESE_SE_iNS9_4plusIiEE19head_flag_predicateiEE10hipError_tPvRmT2_T3_T4_T5_mT6_T7_P12ihipStream_tbENKUlT_T0_E_clISt17integral_constantIbLb1EESX_IbLb0EEEEDaST_SU_EUlST_E_NS1_11comp_targetILNS1_3genE5ELNS1_11target_archE942ELNS1_3gpuE9ELNS1_3repE0EEENS1_30default_config_static_selectorELNS0_4arch9wavefront6targetE0EEEvT1_
	.p2align	8
	.type	_ZN7rocprim17ROCPRIM_400000_NS6detail17trampoline_kernelINS0_14default_configENS1_27scan_by_key_config_selectorIiiEEZZNS1_16scan_by_key_implILNS1_25lookback_scan_determinismE0ELb0ES3_N6thrust23THRUST_200600_302600_NS6detail15normal_iteratorINS9_10device_ptrIiEEEESE_SE_iNS9_4plusIiEE19head_flag_predicateiEE10hipError_tPvRmT2_T3_T4_T5_mT6_T7_P12ihipStream_tbENKUlT_T0_E_clISt17integral_constantIbLb1EESX_IbLb0EEEEDaST_SU_EUlST_E_NS1_11comp_targetILNS1_3genE5ELNS1_11target_archE942ELNS1_3gpuE9ELNS1_3repE0EEENS1_30default_config_static_selectorELNS0_4arch9wavefront6targetE0EEEvT1_,@function
_ZN7rocprim17ROCPRIM_400000_NS6detail17trampoline_kernelINS0_14default_configENS1_27scan_by_key_config_selectorIiiEEZZNS1_16scan_by_key_implILNS1_25lookback_scan_determinismE0ELb0ES3_N6thrust23THRUST_200600_302600_NS6detail15normal_iteratorINS9_10device_ptrIiEEEESE_SE_iNS9_4plusIiEE19head_flag_predicateiEE10hipError_tPvRmT2_T3_T4_T5_mT6_T7_P12ihipStream_tbENKUlT_T0_E_clISt17integral_constantIbLb1EESX_IbLb0EEEEDaST_SU_EUlST_E_NS1_11comp_targetILNS1_3genE5ELNS1_11target_archE942ELNS1_3gpuE9ELNS1_3repE0EEENS1_30default_config_static_selectorELNS0_4arch9wavefront6targetE0EEEvT1_: ; @_ZN7rocprim17ROCPRIM_400000_NS6detail17trampoline_kernelINS0_14default_configENS1_27scan_by_key_config_selectorIiiEEZZNS1_16scan_by_key_implILNS1_25lookback_scan_determinismE0ELb0ES3_N6thrust23THRUST_200600_302600_NS6detail15normal_iteratorINS9_10device_ptrIiEEEESE_SE_iNS9_4plusIiEE19head_flag_predicateiEE10hipError_tPvRmT2_T3_T4_T5_mT6_T7_P12ihipStream_tbENKUlT_T0_E_clISt17integral_constantIbLb1EESX_IbLb0EEEEDaST_SU_EUlST_E_NS1_11comp_targetILNS1_3genE5ELNS1_11target_archE942ELNS1_3gpuE9ELNS1_3repE0EEENS1_30default_config_static_selectorELNS0_4arch9wavefront6targetE0EEEvT1_
; %bb.0:
	.section	.rodata,"a",@progbits
	.p2align	6, 0x0
	.amdhsa_kernel _ZN7rocprim17ROCPRIM_400000_NS6detail17trampoline_kernelINS0_14default_configENS1_27scan_by_key_config_selectorIiiEEZZNS1_16scan_by_key_implILNS1_25lookback_scan_determinismE0ELb0ES3_N6thrust23THRUST_200600_302600_NS6detail15normal_iteratorINS9_10device_ptrIiEEEESE_SE_iNS9_4plusIiEE19head_flag_predicateiEE10hipError_tPvRmT2_T3_T4_T5_mT6_T7_P12ihipStream_tbENKUlT_T0_E_clISt17integral_constantIbLb1EESX_IbLb0EEEEDaST_SU_EUlST_E_NS1_11comp_targetILNS1_3genE5ELNS1_11target_archE942ELNS1_3gpuE9ELNS1_3repE0EEENS1_30default_config_static_selectorELNS0_4arch9wavefront6targetE0EEEvT1_
		.amdhsa_group_segment_fixed_size 0
		.amdhsa_private_segment_fixed_size 0
		.amdhsa_kernarg_size 112
		.amdhsa_user_sgpr_count 2
		.amdhsa_user_sgpr_dispatch_ptr 0
		.amdhsa_user_sgpr_queue_ptr 0
		.amdhsa_user_sgpr_kernarg_segment_ptr 1
		.amdhsa_user_sgpr_dispatch_id 0
		.amdhsa_user_sgpr_kernarg_preload_length 0
		.amdhsa_user_sgpr_kernarg_preload_offset 0
		.amdhsa_user_sgpr_private_segment_size 0
		.amdhsa_wavefront_size32 1
		.amdhsa_uses_dynamic_stack 0
		.amdhsa_enable_private_segment 0
		.amdhsa_system_sgpr_workgroup_id_x 1
		.amdhsa_system_sgpr_workgroup_id_y 0
		.amdhsa_system_sgpr_workgroup_id_z 0
		.amdhsa_system_sgpr_workgroup_info 0
		.amdhsa_system_vgpr_workitem_id 0
		.amdhsa_next_free_vgpr 1
		.amdhsa_next_free_sgpr 1
		.amdhsa_named_barrier_count 0
		.amdhsa_reserve_vcc 0
		.amdhsa_float_round_mode_32 0
		.amdhsa_float_round_mode_16_64 0
		.amdhsa_float_denorm_mode_32 3
		.amdhsa_float_denorm_mode_16_64 3
		.amdhsa_fp16_overflow 0
		.amdhsa_memory_ordered 1
		.amdhsa_forward_progress 1
		.amdhsa_inst_pref_size 0
		.amdhsa_round_robin_scheduling 0
		.amdhsa_exception_fp_ieee_invalid_op 0
		.amdhsa_exception_fp_denorm_src 0
		.amdhsa_exception_fp_ieee_div_zero 0
		.amdhsa_exception_fp_ieee_overflow 0
		.amdhsa_exception_fp_ieee_underflow 0
		.amdhsa_exception_fp_ieee_inexact 0
		.amdhsa_exception_int_div_zero 0
	.end_amdhsa_kernel
	.section	.text._ZN7rocprim17ROCPRIM_400000_NS6detail17trampoline_kernelINS0_14default_configENS1_27scan_by_key_config_selectorIiiEEZZNS1_16scan_by_key_implILNS1_25lookback_scan_determinismE0ELb0ES3_N6thrust23THRUST_200600_302600_NS6detail15normal_iteratorINS9_10device_ptrIiEEEESE_SE_iNS9_4plusIiEE19head_flag_predicateiEE10hipError_tPvRmT2_T3_T4_T5_mT6_T7_P12ihipStream_tbENKUlT_T0_E_clISt17integral_constantIbLb1EESX_IbLb0EEEEDaST_SU_EUlST_E_NS1_11comp_targetILNS1_3genE5ELNS1_11target_archE942ELNS1_3gpuE9ELNS1_3repE0EEENS1_30default_config_static_selectorELNS0_4arch9wavefront6targetE0EEEvT1_,"axG",@progbits,_ZN7rocprim17ROCPRIM_400000_NS6detail17trampoline_kernelINS0_14default_configENS1_27scan_by_key_config_selectorIiiEEZZNS1_16scan_by_key_implILNS1_25lookback_scan_determinismE0ELb0ES3_N6thrust23THRUST_200600_302600_NS6detail15normal_iteratorINS9_10device_ptrIiEEEESE_SE_iNS9_4plusIiEE19head_flag_predicateiEE10hipError_tPvRmT2_T3_T4_T5_mT6_T7_P12ihipStream_tbENKUlT_T0_E_clISt17integral_constantIbLb1EESX_IbLb0EEEEDaST_SU_EUlST_E_NS1_11comp_targetILNS1_3genE5ELNS1_11target_archE942ELNS1_3gpuE9ELNS1_3repE0EEENS1_30default_config_static_selectorELNS0_4arch9wavefront6targetE0EEEvT1_,comdat
.Lfunc_end769:
	.size	_ZN7rocprim17ROCPRIM_400000_NS6detail17trampoline_kernelINS0_14default_configENS1_27scan_by_key_config_selectorIiiEEZZNS1_16scan_by_key_implILNS1_25lookback_scan_determinismE0ELb0ES3_N6thrust23THRUST_200600_302600_NS6detail15normal_iteratorINS9_10device_ptrIiEEEESE_SE_iNS9_4plusIiEE19head_flag_predicateiEE10hipError_tPvRmT2_T3_T4_T5_mT6_T7_P12ihipStream_tbENKUlT_T0_E_clISt17integral_constantIbLb1EESX_IbLb0EEEEDaST_SU_EUlST_E_NS1_11comp_targetILNS1_3genE5ELNS1_11target_archE942ELNS1_3gpuE9ELNS1_3repE0EEENS1_30default_config_static_selectorELNS0_4arch9wavefront6targetE0EEEvT1_, .Lfunc_end769-_ZN7rocprim17ROCPRIM_400000_NS6detail17trampoline_kernelINS0_14default_configENS1_27scan_by_key_config_selectorIiiEEZZNS1_16scan_by_key_implILNS1_25lookback_scan_determinismE0ELb0ES3_N6thrust23THRUST_200600_302600_NS6detail15normal_iteratorINS9_10device_ptrIiEEEESE_SE_iNS9_4plusIiEE19head_flag_predicateiEE10hipError_tPvRmT2_T3_T4_T5_mT6_T7_P12ihipStream_tbENKUlT_T0_E_clISt17integral_constantIbLb1EESX_IbLb0EEEEDaST_SU_EUlST_E_NS1_11comp_targetILNS1_3genE5ELNS1_11target_archE942ELNS1_3gpuE9ELNS1_3repE0EEENS1_30default_config_static_selectorELNS0_4arch9wavefront6targetE0EEEvT1_
                                        ; -- End function
	.set _ZN7rocprim17ROCPRIM_400000_NS6detail17trampoline_kernelINS0_14default_configENS1_27scan_by_key_config_selectorIiiEEZZNS1_16scan_by_key_implILNS1_25lookback_scan_determinismE0ELb0ES3_N6thrust23THRUST_200600_302600_NS6detail15normal_iteratorINS9_10device_ptrIiEEEESE_SE_iNS9_4plusIiEE19head_flag_predicateiEE10hipError_tPvRmT2_T3_T4_T5_mT6_T7_P12ihipStream_tbENKUlT_T0_E_clISt17integral_constantIbLb1EESX_IbLb0EEEEDaST_SU_EUlST_E_NS1_11comp_targetILNS1_3genE5ELNS1_11target_archE942ELNS1_3gpuE9ELNS1_3repE0EEENS1_30default_config_static_selectorELNS0_4arch9wavefront6targetE0EEEvT1_.num_vgpr, 0
	.set _ZN7rocprim17ROCPRIM_400000_NS6detail17trampoline_kernelINS0_14default_configENS1_27scan_by_key_config_selectorIiiEEZZNS1_16scan_by_key_implILNS1_25lookback_scan_determinismE0ELb0ES3_N6thrust23THRUST_200600_302600_NS6detail15normal_iteratorINS9_10device_ptrIiEEEESE_SE_iNS9_4plusIiEE19head_flag_predicateiEE10hipError_tPvRmT2_T3_T4_T5_mT6_T7_P12ihipStream_tbENKUlT_T0_E_clISt17integral_constantIbLb1EESX_IbLb0EEEEDaST_SU_EUlST_E_NS1_11comp_targetILNS1_3genE5ELNS1_11target_archE942ELNS1_3gpuE9ELNS1_3repE0EEENS1_30default_config_static_selectorELNS0_4arch9wavefront6targetE0EEEvT1_.num_agpr, 0
	.set _ZN7rocprim17ROCPRIM_400000_NS6detail17trampoline_kernelINS0_14default_configENS1_27scan_by_key_config_selectorIiiEEZZNS1_16scan_by_key_implILNS1_25lookback_scan_determinismE0ELb0ES3_N6thrust23THRUST_200600_302600_NS6detail15normal_iteratorINS9_10device_ptrIiEEEESE_SE_iNS9_4plusIiEE19head_flag_predicateiEE10hipError_tPvRmT2_T3_T4_T5_mT6_T7_P12ihipStream_tbENKUlT_T0_E_clISt17integral_constantIbLb1EESX_IbLb0EEEEDaST_SU_EUlST_E_NS1_11comp_targetILNS1_3genE5ELNS1_11target_archE942ELNS1_3gpuE9ELNS1_3repE0EEENS1_30default_config_static_selectorELNS0_4arch9wavefront6targetE0EEEvT1_.numbered_sgpr, 0
	.set _ZN7rocprim17ROCPRIM_400000_NS6detail17trampoline_kernelINS0_14default_configENS1_27scan_by_key_config_selectorIiiEEZZNS1_16scan_by_key_implILNS1_25lookback_scan_determinismE0ELb0ES3_N6thrust23THRUST_200600_302600_NS6detail15normal_iteratorINS9_10device_ptrIiEEEESE_SE_iNS9_4plusIiEE19head_flag_predicateiEE10hipError_tPvRmT2_T3_T4_T5_mT6_T7_P12ihipStream_tbENKUlT_T0_E_clISt17integral_constantIbLb1EESX_IbLb0EEEEDaST_SU_EUlST_E_NS1_11comp_targetILNS1_3genE5ELNS1_11target_archE942ELNS1_3gpuE9ELNS1_3repE0EEENS1_30default_config_static_selectorELNS0_4arch9wavefront6targetE0EEEvT1_.num_named_barrier, 0
	.set _ZN7rocprim17ROCPRIM_400000_NS6detail17trampoline_kernelINS0_14default_configENS1_27scan_by_key_config_selectorIiiEEZZNS1_16scan_by_key_implILNS1_25lookback_scan_determinismE0ELb0ES3_N6thrust23THRUST_200600_302600_NS6detail15normal_iteratorINS9_10device_ptrIiEEEESE_SE_iNS9_4plusIiEE19head_flag_predicateiEE10hipError_tPvRmT2_T3_T4_T5_mT6_T7_P12ihipStream_tbENKUlT_T0_E_clISt17integral_constantIbLb1EESX_IbLb0EEEEDaST_SU_EUlST_E_NS1_11comp_targetILNS1_3genE5ELNS1_11target_archE942ELNS1_3gpuE9ELNS1_3repE0EEENS1_30default_config_static_selectorELNS0_4arch9wavefront6targetE0EEEvT1_.private_seg_size, 0
	.set _ZN7rocprim17ROCPRIM_400000_NS6detail17trampoline_kernelINS0_14default_configENS1_27scan_by_key_config_selectorIiiEEZZNS1_16scan_by_key_implILNS1_25lookback_scan_determinismE0ELb0ES3_N6thrust23THRUST_200600_302600_NS6detail15normal_iteratorINS9_10device_ptrIiEEEESE_SE_iNS9_4plusIiEE19head_flag_predicateiEE10hipError_tPvRmT2_T3_T4_T5_mT6_T7_P12ihipStream_tbENKUlT_T0_E_clISt17integral_constantIbLb1EESX_IbLb0EEEEDaST_SU_EUlST_E_NS1_11comp_targetILNS1_3genE5ELNS1_11target_archE942ELNS1_3gpuE9ELNS1_3repE0EEENS1_30default_config_static_selectorELNS0_4arch9wavefront6targetE0EEEvT1_.uses_vcc, 0
	.set _ZN7rocprim17ROCPRIM_400000_NS6detail17trampoline_kernelINS0_14default_configENS1_27scan_by_key_config_selectorIiiEEZZNS1_16scan_by_key_implILNS1_25lookback_scan_determinismE0ELb0ES3_N6thrust23THRUST_200600_302600_NS6detail15normal_iteratorINS9_10device_ptrIiEEEESE_SE_iNS9_4plusIiEE19head_flag_predicateiEE10hipError_tPvRmT2_T3_T4_T5_mT6_T7_P12ihipStream_tbENKUlT_T0_E_clISt17integral_constantIbLb1EESX_IbLb0EEEEDaST_SU_EUlST_E_NS1_11comp_targetILNS1_3genE5ELNS1_11target_archE942ELNS1_3gpuE9ELNS1_3repE0EEENS1_30default_config_static_selectorELNS0_4arch9wavefront6targetE0EEEvT1_.uses_flat_scratch, 0
	.set _ZN7rocprim17ROCPRIM_400000_NS6detail17trampoline_kernelINS0_14default_configENS1_27scan_by_key_config_selectorIiiEEZZNS1_16scan_by_key_implILNS1_25lookback_scan_determinismE0ELb0ES3_N6thrust23THRUST_200600_302600_NS6detail15normal_iteratorINS9_10device_ptrIiEEEESE_SE_iNS9_4plusIiEE19head_flag_predicateiEE10hipError_tPvRmT2_T3_T4_T5_mT6_T7_P12ihipStream_tbENKUlT_T0_E_clISt17integral_constantIbLb1EESX_IbLb0EEEEDaST_SU_EUlST_E_NS1_11comp_targetILNS1_3genE5ELNS1_11target_archE942ELNS1_3gpuE9ELNS1_3repE0EEENS1_30default_config_static_selectorELNS0_4arch9wavefront6targetE0EEEvT1_.has_dyn_sized_stack, 0
	.set _ZN7rocprim17ROCPRIM_400000_NS6detail17trampoline_kernelINS0_14default_configENS1_27scan_by_key_config_selectorIiiEEZZNS1_16scan_by_key_implILNS1_25lookback_scan_determinismE0ELb0ES3_N6thrust23THRUST_200600_302600_NS6detail15normal_iteratorINS9_10device_ptrIiEEEESE_SE_iNS9_4plusIiEE19head_flag_predicateiEE10hipError_tPvRmT2_T3_T4_T5_mT6_T7_P12ihipStream_tbENKUlT_T0_E_clISt17integral_constantIbLb1EESX_IbLb0EEEEDaST_SU_EUlST_E_NS1_11comp_targetILNS1_3genE5ELNS1_11target_archE942ELNS1_3gpuE9ELNS1_3repE0EEENS1_30default_config_static_selectorELNS0_4arch9wavefront6targetE0EEEvT1_.has_recursion, 0
	.set _ZN7rocprim17ROCPRIM_400000_NS6detail17trampoline_kernelINS0_14default_configENS1_27scan_by_key_config_selectorIiiEEZZNS1_16scan_by_key_implILNS1_25lookback_scan_determinismE0ELb0ES3_N6thrust23THRUST_200600_302600_NS6detail15normal_iteratorINS9_10device_ptrIiEEEESE_SE_iNS9_4plusIiEE19head_flag_predicateiEE10hipError_tPvRmT2_T3_T4_T5_mT6_T7_P12ihipStream_tbENKUlT_T0_E_clISt17integral_constantIbLb1EESX_IbLb0EEEEDaST_SU_EUlST_E_NS1_11comp_targetILNS1_3genE5ELNS1_11target_archE942ELNS1_3gpuE9ELNS1_3repE0EEENS1_30default_config_static_selectorELNS0_4arch9wavefront6targetE0EEEvT1_.has_indirect_call, 0
	.section	.AMDGPU.csdata,"",@progbits
; Kernel info:
; codeLenInByte = 0
; TotalNumSgprs: 0
; NumVgprs: 0
; ScratchSize: 0
; MemoryBound: 0
; FloatMode: 240
; IeeeMode: 1
; LDSByteSize: 0 bytes/workgroup (compile time only)
; SGPRBlocks: 0
; VGPRBlocks: 0
; NumSGPRsForWavesPerEU: 1
; NumVGPRsForWavesPerEU: 1
; NamedBarCnt: 0
; Occupancy: 16
; WaveLimiterHint : 0
; COMPUTE_PGM_RSRC2:SCRATCH_EN: 0
; COMPUTE_PGM_RSRC2:USER_SGPR: 2
; COMPUTE_PGM_RSRC2:TRAP_HANDLER: 0
; COMPUTE_PGM_RSRC2:TGID_X_EN: 1
; COMPUTE_PGM_RSRC2:TGID_Y_EN: 0
; COMPUTE_PGM_RSRC2:TGID_Z_EN: 0
; COMPUTE_PGM_RSRC2:TIDIG_COMP_CNT: 0
	.section	.text._ZN7rocprim17ROCPRIM_400000_NS6detail17trampoline_kernelINS0_14default_configENS1_27scan_by_key_config_selectorIiiEEZZNS1_16scan_by_key_implILNS1_25lookback_scan_determinismE0ELb0ES3_N6thrust23THRUST_200600_302600_NS6detail15normal_iteratorINS9_10device_ptrIiEEEESE_SE_iNS9_4plusIiEE19head_flag_predicateiEE10hipError_tPvRmT2_T3_T4_T5_mT6_T7_P12ihipStream_tbENKUlT_T0_E_clISt17integral_constantIbLb1EESX_IbLb0EEEEDaST_SU_EUlST_E_NS1_11comp_targetILNS1_3genE4ELNS1_11target_archE910ELNS1_3gpuE8ELNS1_3repE0EEENS1_30default_config_static_selectorELNS0_4arch9wavefront6targetE0EEEvT1_,"axG",@progbits,_ZN7rocprim17ROCPRIM_400000_NS6detail17trampoline_kernelINS0_14default_configENS1_27scan_by_key_config_selectorIiiEEZZNS1_16scan_by_key_implILNS1_25lookback_scan_determinismE0ELb0ES3_N6thrust23THRUST_200600_302600_NS6detail15normal_iteratorINS9_10device_ptrIiEEEESE_SE_iNS9_4plusIiEE19head_flag_predicateiEE10hipError_tPvRmT2_T3_T4_T5_mT6_T7_P12ihipStream_tbENKUlT_T0_E_clISt17integral_constantIbLb1EESX_IbLb0EEEEDaST_SU_EUlST_E_NS1_11comp_targetILNS1_3genE4ELNS1_11target_archE910ELNS1_3gpuE8ELNS1_3repE0EEENS1_30default_config_static_selectorELNS0_4arch9wavefront6targetE0EEEvT1_,comdat
	.protected	_ZN7rocprim17ROCPRIM_400000_NS6detail17trampoline_kernelINS0_14default_configENS1_27scan_by_key_config_selectorIiiEEZZNS1_16scan_by_key_implILNS1_25lookback_scan_determinismE0ELb0ES3_N6thrust23THRUST_200600_302600_NS6detail15normal_iteratorINS9_10device_ptrIiEEEESE_SE_iNS9_4plusIiEE19head_flag_predicateiEE10hipError_tPvRmT2_T3_T4_T5_mT6_T7_P12ihipStream_tbENKUlT_T0_E_clISt17integral_constantIbLb1EESX_IbLb0EEEEDaST_SU_EUlST_E_NS1_11comp_targetILNS1_3genE4ELNS1_11target_archE910ELNS1_3gpuE8ELNS1_3repE0EEENS1_30default_config_static_selectorELNS0_4arch9wavefront6targetE0EEEvT1_ ; -- Begin function _ZN7rocprim17ROCPRIM_400000_NS6detail17trampoline_kernelINS0_14default_configENS1_27scan_by_key_config_selectorIiiEEZZNS1_16scan_by_key_implILNS1_25lookback_scan_determinismE0ELb0ES3_N6thrust23THRUST_200600_302600_NS6detail15normal_iteratorINS9_10device_ptrIiEEEESE_SE_iNS9_4plusIiEE19head_flag_predicateiEE10hipError_tPvRmT2_T3_T4_T5_mT6_T7_P12ihipStream_tbENKUlT_T0_E_clISt17integral_constantIbLb1EESX_IbLb0EEEEDaST_SU_EUlST_E_NS1_11comp_targetILNS1_3genE4ELNS1_11target_archE910ELNS1_3gpuE8ELNS1_3repE0EEENS1_30default_config_static_selectorELNS0_4arch9wavefront6targetE0EEEvT1_
	.globl	_ZN7rocprim17ROCPRIM_400000_NS6detail17trampoline_kernelINS0_14default_configENS1_27scan_by_key_config_selectorIiiEEZZNS1_16scan_by_key_implILNS1_25lookback_scan_determinismE0ELb0ES3_N6thrust23THRUST_200600_302600_NS6detail15normal_iteratorINS9_10device_ptrIiEEEESE_SE_iNS9_4plusIiEE19head_flag_predicateiEE10hipError_tPvRmT2_T3_T4_T5_mT6_T7_P12ihipStream_tbENKUlT_T0_E_clISt17integral_constantIbLb1EESX_IbLb0EEEEDaST_SU_EUlST_E_NS1_11comp_targetILNS1_3genE4ELNS1_11target_archE910ELNS1_3gpuE8ELNS1_3repE0EEENS1_30default_config_static_selectorELNS0_4arch9wavefront6targetE0EEEvT1_
	.p2align	8
	.type	_ZN7rocprim17ROCPRIM_400000_NS6detail17trampoline_kernelINS0_14default_configENS1_27scan_by_key_config_selectorIiiEEZZNS1_16scan_by_key_implILNS1_25lookback_scan_determinismE0ELb0ES3_N6thrust23THRUST_200600_302600_NS6detail15normal_iteratorINS9_10device_ptrIiEEEESE_SE_iNS9_4plusIiEE19head_flag_predicateiEE10hipError_tPvRmT2_T3_T4_T5_mT6_T7_P12ihipStream_tbENKUlT_T0_E_clISt17integral_constantIbLb1EESX_IbLb0EEEEDaST_SU_EUlST_E_NS1_11comp_targetILNS1_3genE4ELNS1_11target_archE910ELNS1_3gpuE8ELNS1_3repE0EEENS1_30default_config_static_selectorELNS0_4arch9wavefront6targetE0EEEvT1_,@function
_ZN7rocprim17ROCPRIM_400000_NS6detail17trampoline_kernelINS0_14default_configENS1_27scan_by_key_config_selectorIiiEEZZNS1_16scan_by_key_implILNS1_25lookback_scan_determinismE0ELb0ES3_N6thrust23THRUST_200600_302600_NS6detail15normal_iteratorINS9_10device_ptrIiEEEESE_SE_iNS9_4plusIiEE19head_flag_predicateiEE10hipError_tPvRmT2_T3_T4_T5_mT6_T7_P12ihipStream_tbENKUlT_T0_E_clISt17integral_constantIbLb1EESX_IbLb0EEEEDaST_SU_EUlST_E_NS1_11comp_targetILNS1_3genE4ELNS1_11target_archE910ELNS1_3gpuE8ELNS1_3repE0EEENS1_30default_config_static_selectorELNS0_4arch9wavefront6targetE0EEEvT1_: ; @_ZN7rocprim17ROCPRIM_400000_NS6detail17trampoline_kernelINS0_14default_configENS1_27scan_by_key_config_selectorIiiEEZZNS1_16scan_by_key_implILNS1_25lookback_scan_determinismE0ELb0ES3_N6thrust23THRUST_200600_302600_NS6detail15normal_iteratorINS9_10device_ptrIiEEEESE_SE_iNS9_4plusIiEE19head_flag_predicateiEE10hipError_tPvRmT2_T3_T4_T5_mT6_T7_P12ihipStream_tbENKUlT_T0_E_clISt17integral_constantIbLb1EESX_IbLb0EEEEDaST_SU_EUlST_E_NS1_11comp_targetILNS1_3genE4ELNS1_11target_archE910ELNS1_3gpuE8ELNS1_3repE0EEENS1_30default_config_static_selectorELNS0_4arch9wavefront6targetE0EEEvT1_
; %bb.0:
	.section	.rodata,"a",@progbits
	.p2align	6, 0x0
	.amdhsa_kernel _ZN7rocprim17ROCPRIM_400000_NS6detail17trampoline_kernelINS0_14default_configENS1_27scan_by_key_config_selectorIiiEEZZNS1_16scan_by_key_implILNS1_25lookback_scan_determinismE0ELb0ES3_N6thrust23THRUST_200600_302600_NS6detail15normal_iteratorINS9_10device_ptrIiEEEESE_SE_iNS9_4plusIiEE19head_flag_predicateiEE10hipError_tPvRmT2_T3_T4_T5_mT6_T7_P12ihipStream_tbENKUlT_T0_E_clISt17integral_constantIbLb1EESX_IbLb0EEEEDaST_SU_EUlST_E_NS1_11comp_targetILNS1_3genE4ELNS1_11target_archE910ELNS1_3gpuE8ELNS1_3repE0EEENS1_30default_config_static_selectorELNS0_4arch9wavefront6targetE0EEEvT1_
		.amdhsa_group_segment_fixed_size 0
		.amdhsa_private_segment_fixed_size 0
		.amdhsa_kernarg_size 112
		.amdhsa_user_sgpr_count 2
		.amdhsa_user_sgpr_dispatch_ptr 0
		.amdhsa_user_sgpr_queue_ptr 0
		.amdhsa_user_sgpr_kernarg_segment_ptr 1
		.amdhsa_user_sgpr_dispatch_id 0
		.amdhsa_user_sgpr_kernarg_preload_length 0
		.amdhsa_user_sgpr_kernarg_preload_offset 0
		.amdhsa_user_sgpr_private_segment_size 0
		.amdhsa_wavefront_size32 1
		.amdhsa_uses_dynamic_stack 0
		.amdhsa_enable_private_segment 0
		.amdhsa_system_sgpr_workgroup_id_x 1
		.amdhsa_system_sgpr_workgroup_id_y 0
		.amdhsa_system_sgpr_workgroup_id_z 0
		.amdhsa_system_sgpr_workgroup_info 0
		.amdhsa_system_vgpr_workitem_id 0
		.amdhsa_next_free_vgpr 1
		.amdhsa_next_free_sgpr 1
		.amdhsa_named_barrier_count 0
		.amdhsa_reserve_vcc 0
		.amdhsa_float_round_mode_32 0
		.amdhsa_float_round_mode_16_64 0
		.amdhsa_float_denorm_mode_32 3
		.amdhsa_float_denorm_mode_16_64 3
		.amdhsa_fp16_overflow 0
		.amdhsa_memory_ordered 1
		.amdhsa_forward_progress 1
		.amdhsa_inst_pref_size 0
		.amdhsa_round_robin_scheduling 0
		.amdhsa_exception_fp_ieee_invalid_op 0
		.amdhsa_exception_fp_denorm_src 0
		.amdhsa_exception_fp_ieee_div_zero 0
		.amdhsa_exception_fp_ieee_overflow 0
		.amdhsa_exception_fp_ieee_underflow 0
		.amdhsa_exception_fp_ieee_inexact 0
		.amdhsa_exception_int_div_zero 0
	.end_amdhsa_kernel
	.section	.text._ZN7rocprim17ROCPRIM_400000_NS6detail17trampoline_kernelINS0_14default_configENS1_27scan_by_key_config_selectorIiiEEZZNS1_16scan_by_key_implILNS1_25lookback_scan_determinismE0ELb0ES3_N6thrust23THRUST_200600_302600_NS6detail15normal_iteratorINS9_10device_ptrIiEEEESE_SE_iNS9_4plusIiEE19head_flag_predicateiEE10hipError_tPvRmT2_T3_T4_T5_mT6_T7_P12ihipStream_tbENKUlT_T0_E_clISt17integral_constantIbLb1EESX_IbLb0EEEEDaST_SU_EUlST_E_NS1_11comp_targetILNS1_3genE4ELNS1_11target_archE910ELNS1_3gpuE8ELNS1_3repE0EEENS1_30default_config_static_selectorELNS0_4arch9wavefront6targetE0EEEvT1_,"axG",@progbits,_ZN7rocprim17ROCPRIM_400000_NS6detail17trampoline_kernelINS0_14default_configENS1_27scan_by_key_config_selectorIiiEEZZNS1_16scan_by_key_implILNS1_25lookback_scan_determinismE0ELb0ES3_N6thrust23THRUST_200600_302600_NS6detail15normal_iteratorINS9_10device_ptrIiEEEESE_SE_iNS9_4plusIiEE19head_flag_predicateiEE10hipError_tPvRmT2_T3_T4_T5_mT6_T7_P12ihipStream_tbENKUlT_T0_E_clISt17integral_constantIbLb1EESX_IbLb0EEEEDaST_SU_EUlST_E_NS1_11comp_targetILNS1_3genE4ELNS1_11target_archE910ELNS1_3gpuE8ELNS1_3repE0EEENS1_30default_config_static_selectorELNS0_4arch9wavefront6targetE0EEEvT1_,comdat
.Lfunc_end770:
	.size	_ZN7rocprim17ROCPRIM_400000_NS6detail17trampoline_kernelINS0_14default_configENS1_27scan_by_key_config_selectorIiiEEZZNS1_16scan_by_key_implILNS1_25lookback_scan_determinismE0ELb0ES3_N6thrust23THRUST_200600_302600_NS6detail15normal_iteratorINS9_10device_ptrIiEEEESE_SE_iNS9_4plusIiEE19head_flag_predicateiEE10hipError_tPvRmT2_T3_T4_T5_mT6_T7_P12ihipStream_tbENKUlT_T0_E_clISt17integral_constantIbLb1EESX_IbLb0EEEEDaST_SU_EUlST_E_NS1_11comp_targetILNS1_3genE4ELNS1_11target_archE910ELNS1_3gpuE8ELNS1_3repE0EEENS1_30default_config_static_selectorELNS0_4arch9wavefront6targetE0EEEvT1_, .Lfunc_end770-_ZN7rocprim17ROCPRIM_400000_NS6detail17trampoline_kernelINS0_14default_configENS1_27scan_by_key_config_selectorIiiEEZZNS1_16scan_by_key_implILNS1_25lookback_scan_determinismE0ELb0ES3_N6thrust23THRUST_200600_302600_NS6detail15normal_iteratorINS9_10device_ptrIiEEEESE_SE_iNS9_4plusIiEE19head_flag_predicateiEE10hipError_tPvRmT2_T3_T4_T5_mT6_T7_P12ihipStream_tbENKUlT_T0_E_clISt17integral_constantIbLb1EESX_IbLb0EEEEDaST_SU_EUlST_E_NS1_11comp_targetILNS1_3genE4ELNS1_11target_archE910ELNS1_3gpuE8ELNS1_3repE0EEENS1_30default_config_static_selectorELNS0_4arch9wavefront6targetE0EEEvT1_
                                        ; -- End function
	.set _ZN7rocprim17ROCPRIM_400000_NS6detail17trampoline_kernelINS0_14default_configENS1_27scan_by_key_config_selectorIiiEEZZNS1_16scan_by_key_implILNS1_25lookback_scan_determinismE0ELb0ES3_N6thrust23THRUST_200600_302600_NS6detail15normal_iteratorINS9_10device_ptrIiEEEESE_SE_iNS9_4plusIiEE19head_flag_predicateiEE10hipError_tPvRmT2_T3_T4_T5_mT6_T7_P12ihipStream_tbENKUlT_T0_E_clISt17integral_constantIbLb1EESX_IbLb0EEEEDaST_SU_EUlST_E_NS1_11comp_targetILNS1_3genE4ELNS1_11target_archE910ELNS1_3gpuE8ELNS1_3repE0EEENS1_30default_config_static_selectorELNS0_4arch9wavefront6targetE0EEEvT1_.num_vgpr, 0
	.set _ZN7rocprim17ROCPRIM_400000_NS6detail17trampoline_kernelINS0_14default_configENS1_27scan_by_key_config_selectorIiiEEZZNS1_16scan_by_key_implILNS1_25lookback_scan_determinismE0ELb0ES3_N6thrust23THRUST_200600_302600_NS6detail15normal_iteratorINS9_10device_ptrIiEEEESE_SE_iNS9_4plusIiEE19head_flag_predicateiEE10hipError_tPvRmT2_T3_T4_T5_mT6_T7_P12ihipStream_tbENKUlT_T0_E_clISt17integral_constantIbLb1EESX_IbLb0EEEEDaST_SU_EUlST_E_NS1_11comp_targetILNS1_3genE4ELNS1_11target_archE910ELNS1_3gpuE8ELNS1_3repE0EEENS1_30default_config_static_selectorELNS0_4arch9wavefront6targetE0EEEvT1_.num_agpr, 0
	.set _ZN7rocprim17ROCPRIM_400000_NS6detail17trampoline_kernelINS0_14default_configENS1_27scan_by_key_config_selectorIiiEEZZNS1_16scan_by_key_implILNS1_25lookback_scan_determinismE0ELb0ES3_N6thrust23THRUST_200600_302600_NS6detail15normal_iteratorINS9_10device_ptrIiEEEESE_SE_iNS9_4plusIiEE19head_flag_predicateiEE10hipError_tPvRmT2_T3_T4_T5_mT6_T7_P12ihipStream_tbENKUlT_T0_E_clISt17integral_constantIbLb1EESX_IbLb0EEEEDaST_SU_EUlST_E_NS1_11comp_targetILNS1_3genE4ELNS1_11target_archE910ELNS1_3gpuE8ELNS1_3repE0EEENS1_30default_config_static_selectorELNS0_4arch9wavefront6targetE0EEEvT1_.numbered_sgpr, 0
	.set _ZN7rocprim17ROCPRIM_400000_NS6detail17trampoline_kernelINS0_14default_configENS1_27scan_by_key_config_selectorIiiEEZZNS1_16scan_by_key_implILNS1_25lookback_scan_determinismE0ELb0ES3_N6thrust23THRUST_200600_302600_NS6detail15normal_iteratorINS9_10device_ptrIiEEEESE_SE_iNS9_4plusIiEE19head_flag_predicateiEE10hipError_tPvRmT2_T3_T4_T5_mT6_T7_P12ihipStream_tbENKUlT_T0_E_clISt17integral_constantIbLb1EESX_IbLb0EEEEDaST_SU_EUlST_E_NS1_11comp_targetILNS1_3genE4ELNS1_11target_archE910ELNS1_3gpuE8ELNS1_3repE0EEENS1_30default_config_static_selectorELNS0_4arch9wavefront6targetE0EEEvT1_.num_named_barrier, 0
	.set _ZN7rocprim17ROCPRIM_400000_NS6detail17trampoline_kernelINS0_14default_configENS1_27scan_by_key_config_selectorIiiEEZZNS1_16scan_by_key_implILNS1_25lookback_scan_determinismE0ELb0ES3_N6thrust23THRUST_200600_302600_NS6detail15normal_iteratorINS9_10device_ptrIiEEEESE_SE_iNS9_4plusIiEE19head_flag_predicateiEE10hipError_tPvRmT2_T3_T4_T5_mT6_T7_P12ihipStream_tbENKUlT_T0_E_clISt17integral_constantIbLb1EESX_IbLb0EEEEDaST_SU_EUlST_E_NS1_11comp_targetILNS1_3genE4ELNS1_11target_archE910ELNS1_3gpuE8ELNS1_3repE0EEENS1_30default_config_static_selectorELNS0_4arch9wavefront6targetE0EEEvT1_.private_seg_size, 0
	.set _ZN7rocprim17ROCPRIM_400000_NS6detail17trampoline_kernelINS0_14default_configENS1_27scan_by_key_config_selectorIiiEEZZNS1_16scan_by_key_implILNS1_25lookback_scan_determinismE0ELb0ES3_N6thrust23THRUST_200600_302600_NS6detail15normal_iteratorINS9_10device_ptrIiEEEESE_SE_iNS9_4plusIiEE19head_flag_predicateiEE10hipError_tPvRmT2_T3_T4_T5_mT6_T7_P12ihipStream_tbENKUlT_T0_E_clISt17integral_constantIbLb1EESX_IbLb0EEEEDaST_SU_EUlST_E_NS1_11comp_targetILNS1_3genE4ELNS1_11target_archE910ELNS1_3gpuE8ELNS1_3repE0EEENS1_30default_config_static_selectorELNS0_4arch9wavefront6targetE0EEEvT1_.uses_vcc, 0
	.set _ZN7rocprim17ROCPRIM_400000_NS6detail17trampoline_kernelINS0_14default_configENS1_27scan_by_key_config_selectorIiiEEZZNS1_16scan_by_key_implILNS1_25lookback_scan_determinismE0ELb0ES3_N6thrust23THRUST_200600_302600_NS6detail15normal_iteratorINS9_10device_ptrIiEEEESE_SE_iNS9_4plusIiEE19head_flag_predicateiEE10hipError_tPvRmT2_T3_T4_T5_mT6_T7_P12ihipStream_tbENKUlT_T0_E_clISt17integral_constantIbLb1EESX_IbLb0EEEEDaST_SU_EUlST_E_NS1_11comp_targetILNS1_3genE4ELNS1_11target_archE910ELNS1_3gpuE8ELNS1_3repE0EEENS1_30default_config_static_selectorELNS0_4arch9wavefront6targetE0EEEvT1_.uses_flat_scratch, 0
	.set _ZN7rocprim17ROCPRIM_400000_NS6detail17trampoline_kernelINS0_14default_configENS1_27scan_by_key_config_selectorIiiEEZZNS1_16scan_by_key_implILNS1_25lookback_scan_determinismE0ELb0ES3_N6thrust23THRUST_200600_302600_NS6detail15normal_iteratorINS9_10device_ptrIiEEEESE_SE_iNS9_4plusIiEE19head_flag_predicateiEE10hipError_tPvRmT2_T3_T4_T5_mT6_T7_P12ihipStream_tbENKUlT_T0_E_clISt17integral_constantIbLb1EESX_IbLb0EEEEDaST_SU_EUlST_E_NS1_11comp_targetILNS1_3genE4ELNS1_11target_archE910ELNS1_3gpuE8ELNS1_3repE0EEENS1_30default_config_static_selectorELNS0_4arch9wavefront6targetE0EEEvT1_.has_dyn_sized_stack, 0
	.set _ZN7rocprim17ROCPRIM_400000_NS6detail17trampoline_kernelINS0_14default_configENS1_27scan_by_key_config_selectorIiiEEZZNS1_16scan_by_key_implILNS1_25lookback_scan_determinismE0ELb0ES3_N6thrust23THRUST_200600_302600_NS6detail15normal_iteratorINS9_10device_ptrIiEEEESE_SE_iNS9_4plusIiEE19head_flag_predicateiEE10hipError_tPvRmT2_T3_T4_T5_mT6_T7_P12ihipStream_tbENKUlT_T0_E_clISt17integral_constantIbLb1EESX_IbLb0EEEEDaST_SU_EUlST_E_NS1_11comp_targetILNS1_3genE4ELNS1_11target_archE910ELNS1_3gpuE8ELNS1_3repE0EEENS1_30default_config_static_selectorELNS0_4arch9wavefront6targetE0EEEvT1_.has_recursion, 0
	.set _ZN7rocprim17ROCPRIM_400000_NS6detail17trampoline_kernelINS0_14default_configENS1_27scan_by_key_config_selectorIiiEEZZNS1_16scan_by_key_implILNS1_25lookback_scan_determinismE0ELb0ES3_N6thrust23THRUST_200600_302600_NS6detail15normal_iteratorINS9_10device_ptrIiEEEESE_SE_iNS9_4plusIiEE19head_flag_predicateiEE10hipError_tPvRmT2_T3_T4_T5_mT6_T7_P12ihipStream_tbENKUlT_T0_E_clISt17integral_constantIbLb1EESX_IbLb0EEEEDaST_SU_EUlST_E_NS1_11comp_targetILNS1_3genE4ELNS1_11target_archE910ELNS1_3gpuE8ELNS1_3repE0EEENS1_30default_config_static_selectorELNS0_4arch9wavefront6targetE0EEEvT1_.has_indirect_call, 0
	.section	.AMDGPU.csdata,"",@progbits
; Kernel info:
; codeLenInByte = 0
; TotalNumSgprs: 0
; NumVgprs: 0
; ScratchSize: 0
; MemoryBound: 0
; FloatMode: 240
; IeeeMode: 1
; LDSByteSize: 0 bytes/workgroup (compile time only)
; SGPRBlocks: 0
; VGPRBlocks: 0
; NumSGPRsForWavesPerEU: 1
; NumVGPRsForWavesPerEU: 1
; NamedBarCnt: 0
; Occupancy: 16
; WaveLimiterHint : 0
; COMPUTE_PGM_RSRC2:SCRATCH_EN: 0
; COMPUTE_PGM_RSRC2:USER_SGPR: 2
; COMPUTE_PGM_RSRC2:TRAP_HANDLER: 0
; COMPUTE_PGM_RSRC2:TGID_X_EN: 1
; COMPUTE_PGM_RSRC2:TGID_Y_EN: 0
; COMPUTE_PGM_RSRC2:TGID_Z_EN: 0
; COMPUTE_PGM_RSRC2:TIDIG_COMP_CNT: 0
	.section	.text._ZN7rocprim17ROCPRIM_400000_NS6detail17trampoline_kernelINS0_14default_configENS1_27scan_by_key_config_selectorIiiEEZZNS1_16scan_by_key_implILNS1_25lookback_scan_determinismE0ELb0ES3_N6thrust23THRUST_200600_302600_NS6detail15normal_iteratorINS9_10device_ptrIiEEEESE_SE_iNS9_4plusIiEE19head_flag_predicateiEE10hipError_tPvRmT2_T3_T4_T5_mT6_T7_P12ihipStream_tbENKUlT_T0_E_clISt17integral_constantIbLb1EESX_IbLb0EEEEDaST_SU_EUlST_E_NS1_11comp_targetILNS1_3genE3ELNS1_11target_archE908ELNS1_3gpuE7ELNS1_3repE0EEENS1_30default_config_static_selectorELNS0_4arch9wavefront6targetE0EEEvT1_,"axG",@progbits,_ZN7rocprim17ROCPRIM_400000_NS6detail17trampoline_kernelINS0_14default_configENS1_27scan_by_key_config_selectorIiiEEZZNS1_16scan_by_key_implILNS1_25lookback_scan_determinismE0ELb0ES3_N6thrust23THRUST_200600_302600_NS6detail15normal_iteratorINS9_10device_ptrIiEEEESE_SE_iNS9_4plusIiEE19head_flag_predicateiEE10hipError_tPvRmT2_T3_T4_T5_mT6_T7_P12ihipStream_tbENKUlT_T0_E_clISt17integral_constantIbLb1EESX_IbLb0EEEEDaST_SU_EUlST_E_NS1_11comp_targetILNS1_3genE3ELNS1_11target_archE908ELNS1_3gpuE7ELNS1_3repE0EEENS1_30default_config_static_selectorELNS0_4arch9wavefront6targetE0EEEvT1_,comdat
	.protected	_ZN7rocprim17ROCPRIM_400000_NS6detail17trampoline_kernelINS0_14default_configENS1_27scan_by_key_config_selectorIiiEEZZNS1_16scan_by_key_implILNS1_25lookback_scan_determinismE0ELb0ES3_N6thrust23THRUST_200600_302600_NS6detail15normal_iteratorINS9_10device_ptrIiEEEESE_SE_iNS9_4plusIiEE19head_flag_predicateiEE10hipError_tPvRmT2_T3_T4_T5_mT6_T7_P12ihipStream_tbENKUlT_T0_E_clISt17integral_constantIbLb1EESX_IbLb0EEEEDaST_SU_EUlST_E_NS1_11comp_targetILNS1_3genE3ELNS1_11target_archE908ELNS1_3gpuE7ELNS1_3repE0EEENS1_30default_config_static_selectorELNS0_4arch9wavefront6targetE0EEEvT1_ ; -- Begin function _ZN7rocprim17ROCPRIM_400000_NS6detail17trampoline_kernelINS0_14default_configENS1_27scan_by_key_config_selectorIiiEEZZNS1_16scan_by_key_implILNS1_25lookback_scan_determinismE0ELb0ES3_N6thrust23THRUST_200600_302600_NS6detail15normal_iteratorINS9_10device_ptrIiEEEESE_SE_iNS9_4plusIiEE19head_flag_predicateiEE10hipError_tPvRmT2_T3_T4_T5_mT6_T7_P12ihipStream_tbENKUlT_T0_E_clISt17integral_constantIbLb1EESX_IbLb0EEEEDaST_SU_EUlST_E_NS1_11comp_targetILNS1_3genE3ELNS1_11target_archE908ELNS1_3gpuE7ELNS1_3repE0EEENS1_30default_config_static_selectorELNS0_4arch9wavefront6targetE0EEEvT1_
	.globl	_ZN7rocprim17ROCPRIM_400000_NS6detail17trampoline_kernelINS0_14default_configENS1_27scan_by_key_config_selectorIiiEEZZNS1_16scan_by_key_implILNS1_25lookback_scan_determinismE0ELb0ES3_N6thrust23THRUST_200600_302600_NS6detail15normal_iteratorINS9_10device_ptrIiEEEESE_SE_iNS9_4plusIiEE19head_flag_predicateiEE10hipError_tPvRmT2_T3_T4_T5_mT6_T7_P12ihipStream_tbENKUlT_T0_E_clISt17integral_constantIbLb1EESX_IbLb0EEEEDaST_SU_EUlST_E_NS1_11comp_targetILNS1_3genE3ELNS1_11target_archE908ELNS1_3gpuE7ELNS1_3repE0EEENS1_30default_config_static_selectorELNS0_4arch9wavefront6targetE0EEEvT1_
	.p2align	8
	.type	_ZN7rocprim17ROCPRIM_400000_NS6detail17trampoline_kernelINS0_14default_configENS1_27scan_by_key_config_selectorIiiEEZZNS1_16scan_by_key_implILNS1_25lookback_scan_determinismE0ELb0ES3_N6thrust23THRUST_200600_302600_NS6detail15normal_iteratorINS9_10device_ptrIiEEEESE_SE_iNS9_4plusIiEE19head_flag_predicateiEE10hipError_tPvRmT2_T3_T4_T5_mT6_T7_P12ihipStream_tbENKUlT_T0_E_clISt17integral_constantIbLb1EESX_IbLb0EEEEDaST_SU_EUlST_E_NS1_11comp_targetILNS1_3genE3ELNS1_11target_archE908ELNS1_3gpuE7ELNS1_3repE0EEENS1_30default_config_static_selectorELNS0_4arch9wavefront6targetE0EEEvT1_,@function
_ZN7rocprim17ROCPRIM_400000_NS6detail17trampoline_kernelINS0_14default_configENS1_27scan_by_key_config_selectorIiiEEZZNS1_16scan_by_key_implILNS1_25lookback_scan_determinismE0ELb0ES3_N6thrust23THRUST_200600_302600_NS6detail15normal_iteratorINS9_10device_ptrIiEEEESE_SE_iNS9_4plusIiEE19head_flag_predicateiEE10hipError_tPvRmT2_T3_T4_T5_mT6_T7_P12ihipStream_tbENKUlT_T0_E_clISt17integral_constantIbLb1EESX_IbLb0EEEEDaST_SU_EUlST_E_NS1_11comp_targetILNS1_3genE3ELNS1_11target_archE908ELNS1_3gpuE7ELNS1_3repE0EEENS1_30default_config_static_selectorELNS0_4arch9wavefront6targetE0EEEvT1_: ; @_ZN7rocprim17ROCPRIM_400000_NS6detail17trampoline_kernelINS0_14default_configENS1_27scan_by_key_config_selectorIiiEEZZNS1_16scan_by_key_implILNS1_25lookback_scan_determinismE0ELb0ES3_N6thrust23THRUST_200600_302600_NS6detail15normal_iteratorINS9_10device_ptrIiEEEESE_SE_iNS9_4plusIiEE19head_flag_predicateiEE10hipError_tPvRmT2_T3_T4_T5_mT6_T7_P12ihipStream_tbENKUlT_T0_E_clISt17integral_constantIbLb1EESX_IbLb0EEEEDaST_SU_EUlST_E_NS1_11comp_targetILNS1_3genE3ELNS1_11target_archE908ELNS1_3gpuE7ELNS1_3repE0EEENS1_30default_config_static_selectorELNS0_4arch9wavefront6targetE0EEEvT1_
; %bb.0:
	.section	.rodata,"a",@progbits
	.p2align	6, 0x0
	.amdhsa_kernel _ZN7rocprim17ROCPRIM_400000_NS6detail17trampoline_kernelINS0_14default_configENS1_27scan_by_key_config_selectorIiiEEZZNS1_16scan_by_key_implILNS1_25lookback_scan_determinismE0ELb0ES3_N6thrust23THRUST_200600_302600_NS6detail15normal_iteratorINS9_10device_ptrIiEEEESE_SE_iNS9_4plusIiEE19head_flag_predicateiEE10hipError_tPvRmT2_T3_T4_T5_mT6_T7_P12ihipStream_tbENKUlT_T0_E_clISt17integral_constantIbLb1EESX_IbLb0EEEEDaST_SU_EUlST_E_NS1_11comp_targetILNS1_3genE3ELNS1_11target_archE908ELNS1_3gpuE7ELNS1_3repE0EEENS1_30default_config_static_selectorELNS0_4arch9wavefront6targetE0EEEvT1_
		.amdhsa_group_segment_fixed_size 0
		.amdhsa_private_segment_fixed_size 0
		.amdhsa_kernarg_size 112
		.amdhsa_user_sgpr_count 2
		.amdhsa_user_sgpr_dispatch_ptr 0
		.amdhsa_user_sgpr_queue_ptr 0
		.amdhsa_user_sgpr_kernarg_segment_ptr 1
		.amdhsa_user_sgpr_dispatch_id 0
		.amdhsa_user_sgpr_kernarg_preload_length 0
		.amdhsa_user_sgpr_kernarg_preload_offset 0
		.amdhsa_user_sgpr_private_segment_size 0
		.amdhsa_wavefront_size32 1
		.amdhsa_uses_dynamic_stack 0
		.amdhsa_enable_private_segment 0
		.amdhsa_system_sgpr_workgroup_id_x 1
		.amdhsa_system_sgpr_workgroup_id_y 0
		.amdhsa_system_sgpr_workgroup_id_z 0
		.amdhsa_system_sgpr_workgroup_info 0
		.amdhsa_system_vgpr_workitem_id 0
		.amdhsa_next_free_vgpr 1
		.amdhsa_next_free_sgpr 1
		.amdhsa_named_barrier_count 0
		.amdhsa_reserve_vcc 0
		.amdhsa_float_round_mode_32 0
		.amdhsa_float_round_mode_16_64 0
		.amdhsa_float_denorm_mode_32 3
		.amdhsa_float_denorm_mode_16_64 3
		.amdhsa_fp16_overflow 0
		.amdhsa_memory_ordered 1
		.amdhsa_forward_progress 1
		.amdhsa_inst_pref_size 0
		.amdhsa_round_robin_scheduling 0
		.amdhsa_exception_fp_ieee_invalid_op 0
		.amdhsa_exception_fp_denorm_src 0
		.amdhsa_exception_fp_ieee_div_zero 0
		.amdhsa_exception_fp_ieee_overflow 0
		.amdhsa_exception_fp_ieee_underflow 0
		.amdhsa_exception_fp_ieee_inexact 0
		.amdhsa_exception_int_div_zero 0
	.end_amdhsa_kernel
	.section	.text._ZN7rocprim17ROCPRIM_400000_NS6detail17trampoline_kernelINS0_14default_configENS1_27scan_by_key_config_selectorIiiEEZZNS1_16scan_by_key_implILNS1_25lookback_scan_determinismE0ELb0ES3_N6thrust23THRUST_200600_302600_NS6detail15normal_iteratorINS9_10device_ptrIiEEEESE_SE_iNS9_4plusIiEE19head_flag_predicateiEE10hipError_tPvRmT2_T3_T4_T5_mT6_T7_P12ihipStream_tbENKUlT_T0_E_clISt17integral_constantIbLb1EESX_IbLb0EEEEDaST_SU_EUlST_E_NS1_11comp_targetILNS1_3genE3ELNS1_11target_archE908ELNS1_3gpuE7ELNS1_3repE0EEENS1_30default_config_static_selectorELNS0_4arch9wavefront6targetE0EEEvT1_,"axG",@progbits,_ZN7rocprim17ROCPRIM_400000_NS6detail17trampoline_kernelINS0_14default_configENS1_27scan_by_key_config_selectorIiiEEZZNS1_16scan_by_key_implILNS1_25lookback_scan_determinismE0ELb0ES3_N6thrust23THRUST_200600_302600_NS6detail15normal_iteratorINS9_10device_ptrIiEEEESE_SE_iNS9_4plusIiEE19head_flag_predicateiEE10hipError_tPvRmT2_T3_T4_T5_mT6_T7_P12ihipStream_tbENKUlT_T0_E_clISt17integral_constantIbLb1EESX_IbLb0EEEEDaST_SU_EUlST_E_NS1_11comp_targetILNS1_3genE3ELNS1_11target_archE908ELNS1_3gpuE7ELNS1_3repE0EEENS1_30default_config_static_selectorELNS0_4arch9wavefront6targetE0EEEvT1_,comdat
.Lfunc_end771:
	.size	_ZN7rocprim17ROCPRIM_400000_NS6detail17trampoline_kernelINS0_14default_configENS1_27scan_by_key_config_selectorIiiEEZZNS1_16scan_by_key_implILNS1_25lookback_scan_determinismE0ELb0ES3_N6thrust23THRUST_200600_302600_NS6detail15normal_iteratorINS9_10device_ptrIiEEEESE_SE_iNS9_4plusIiEE19head_flag_predicateiEE10hipError_tPvRmT2_T3_T4_T5_mT6_T7_P12ihipStream_tbENKUlT_T0_E_clISt17integral_constantIbLb1EESX_IbLb0EEEEDaST_SU_EUlST_E_NS1_11comp_targetILNS1_3genE3ELNS1_11target_archE908ELNS1_3gpuE7ELNS1_3repE0EEENS1_30default_config_static_selectorELNS0_4arch9wavefront6targetE0EEEvT1_, .Lfunc_end771-_ZN7rocprim17ROCPRIM_400000_NS6detail17trampoline_kernelINS0_14default_configENS1_27scan_by_key_config_selectorIiiEEZZNS1_16scan_by_key_implILNS1_25lookback_scan_determinismE0ELb0ES3_N6thrust23THRUST_200600_302600_NS6detail15normal_iteratorINS9_10device_ptrIiEEEESE_SE_iNS9_4plusIiEE19head_flag_predicateiEE10hipError_tPvRmT2_T3_T4_T5_mT6_T7_P12ihipStream_tbENKUlT_T0_E_clISt17integral_constantIbLb1EESX_IbLb0EEEEDaST_SU_EUlST_E_NS1_11comp_targetILNS1_3genE3ELNS1_11target_archE908ELNS1_3gpuE7ELNS1_3repE0EEENS1_30default_config_static_selectorELNS0_4arch9wavefront6targetE0EEEvT1_
                                        ; -- End function
	.set _ZN7rocprim17ROCPRIM_400000_NS6detail17trampoline_kernelINS0_14default_configENS1_27scan_by_key_config_selectorIiiEEZZNS1_16scan_by_key_implILNS1_25lookback_scan_determinismE0ELb0ES3_N6thrust23THRUST_200600_302600_NS6detail15normal_iteratorINS9_10device_ptrIiEEEESE_SE_iNS9_4plusIiEE19head_flag_predicateiEE10hipError_tPvRmT2_T3_T4_T5_mT6_T7_P12ihipStream_tbENKUlT_T0_E_clISt17integral_constantIbLb1EESX_IbLb0EEEEDaST_SU_EUlST_E_NS1_11comp_targetILNS1_3genE3ELNS1_11target_archE908ELNS1_3gpuE7ELNS1_3repE0EEENS1_30default_config_static_selectorELNS0_4arch9wavefront6targetE0EEEvT1_.num_vgpr, 0
	.set _ZN7rocprim17ROCPRIM_400000_NS6detail17trampoline_kernelINS0_14default_configENS1_27scan_by_key_config_selectorIiiEEZZNS1_16scan_by_key_implILNS1_25lookback_scan_determinismE0ELb0ES3_N6thrust23THRUST_200600_302600_NS6detail15normal_iteratorINS9_10device_ptrIiEEEESE_SE_iNS9_4plusIiEE19head_flag_predicateiEE10hipError_tPvRmT2_T3_T4_T5_mT6_T7_P12ihipStream_tbENKUlT_T0_E_clISt17integral_constantIbLb1EESX_IbLb0EEEEDaST_SU_EUlST_E_NS1_11comp_targetILNS1_3genE3ELNS1_11target_archE908ELNS1_3gpuE7ELNS1_3repE0EEENS1_30default_config_static_selectorELNS0_4arch9wavefront6targetE0EEEvT1_.num_agpr, 0
	.set _ZN7rocprim17ROCPRIM_400000_NS6detail17trampoline_kernelINS0_14default_configENS1_27scan_by_key_config_selectorIiiEEZZNS1_16scan_by_key_implILNS1_25lookback_scan_determinismE0ELb0ES3_N6thrust23THRUST_200600_302600_NS6detail15normal_iteratorINS9_10device_ptrIiEEEESE_SE_iNS9_4plusIiEE19head_flag_predicateiEE10hipError_tPvRmT2_T3_T4_T5_mT6_T7_P12ihipStream_tbENKUlT_T0_E_clISt17integral_constantIbLb1EESX_IbLb0EEEEDaST_SU_EUlST_E_NS1_11comp_targetILNS1_3genE3ELNS1_11target_archE908ELNS1_3gpuE7ELNS1_3repE0EEENS1_30default_config_static_selectorELNS0_4arch9wavefront6targetE0EEEvT1_.numbered_sgpr, 0
	.set _ZN7rocprim17ROCPRIM_400000_NS6detail17trampoline_kernelINS0_14default_configENS1_27scan_by_key_config_selectorIiiEEZZNS1_16scan_by_key_implILNS1_25lookback_scan_determinismE0ELb0ES3_N6thrust23THRUST_200600_302600_NS6detail15normal_iteratorINS9_10device_ptrIiEEEESE_SE_iNS9_4plusIiEE19head_flag_predicateiEE10hipError_tPvRmT2_T3_T4_T5_mT6_T7_P12ihipStream_tbENKUlT_T0_E_clISt17integral_constantIbLb1EESX_IbLb0EEEEDaST_SU_EUlST_E_NS1_11comp_targetILNS1_3genE3ELNS1_11target_archE908ELNS1_3gpuE7ELNS1_3repE0EEENS1_30default_config_static_selectorELNS0_4arch9wavefront6targetE0EEEvT1_.num_named_barrier, 0
	.set _ZN7rocprim17ROCPRIM_400000_NS6detail17trampoline_kernelINS0_14default_configENS1_27scan_by_key_config_selectorIiiEEZZNS1_16scan_by_key_implILNS1_25lookback_scan_determinismE0ELb0ES3_N6thrust23THRUST_200600_302600_NS6detail15normal_iteratorINS9_10device_ptrIiEEEESE_SE_iNS9_4plusIiEE19head_flag_predicateiEE10hipError_tPvRmT2_T3_T4_T5_mT6_T7_P12ihipStream_tbENKUlT_T0_E_clISt17integral_constantIbLb1EESX_IbLb0EEEEDaST_SU_EUlST_E_NS1_11comp_targetILNS1_3genE3ELNS1_11target_archE908ELNS1_3gpuE7ELNS1_3repE0EEENS1_30default_config_static_selectorELNS0_4arch9wavefront6targetE0EEEvT1_.private_seg_size, 0
	.set _ZN7rocprim17ROCPRIM_400000_NS6detail17trampoline_kernelINS0_14default_configENS1_27scan_by_key_config_selectorIiiEEZZNS1_16scan_by_key_implILNS1_25lookback_scan_determinismE0ELb0ES3_N6thrust23THRUST_200600_302600_NS6detail15normal_iteratorINS9_10device_ptrIiEEEESE_SE_iNS9_4plusIiEE19head_flag_predicateiEE10hipError_tPvRmT2_T3_T4_T5_mT6_T7_P12ihipStream_tbENKUlT_T0_E_clISt17integral_constantIbLb1EESX_IbLb0EEEEDaST_SU_EUlST_E_NS1_11comp_targetILNS1_3genE3ELNS1_11target_archE908ELNS1_3gpuE7ELNS1_3repE0EEENS1_30default_config_static_selectorELNS0_4arch9wavefront6targetE0EEEvT1_.uses_vcc, 0
	.set _ZN7rocprim17ROCPRIM_400000_NS6detail17trampoline_kernelINS0_14default_configENS1_27scan_by_key_config_selectorIiiEEZZNS1_16scan_by_key_implILNS1_25lookback_scan_determinismE0ELb0ES3_N6thrust23THRUST_200600_302600_NS6detail15normal_iteratorINS9_10device_ptrIiEEEESE_SE_iNS9_4plusIiEE19head_flag_predicateiEE10hipError_tPvRmT2_T3_T4_T5_mT6_T7_P12ihipStream_tbENKUlT_T0_E_clISt17integral_constantIbLb1EESX_IbLb0EEEEDaST_SU_EUlST_E_NS1_11comp_targetILNS1_3genE3ELNS1_11target_archE908ELNS1_3gpuE7ELNS1_3repE0EEENS1_30default_config_static_selectorELNS0_4arch9wavefront6targetE0EEEvT1_.uses_flat_scratch, 0
	.set _ZN7rocprim17ROCPRIM_400000_NS6detail17trampoline_kernelINS0_14default_configENS1_27scan_by_key_config_selectorIiiEEZZNS1_16scan_by_key_implILNS1_25lookback_scan_determinismE0ELb0ES3_N6thrust23THRUST_200600_302600_NS6detail15normal_iteratorINS9_10device_ptrIiEEEESE_SE_iNS9_4plusIiEE19head_flag_predicateiEE10hipError_tPvRmT2_T3_T4_T5_mT6_T7_P12ihipStream_tbENKUlT_T0_E_clISt17integral_constantIbLb1EESX_IbLb0EEEEDaST_SU_EUlST_E_NS1_11comp_targetILNS1_3genE3ELNS1_11target_archE908ELNS1_3gpuE7ELNS1_3repE0EEENS1_30default_config_static_selectorELNS0_4arch9wavefront6targetE0EEEvT1_.has_dyn_sized_stack, 0
	.set _ZN7rocprim17ROCPRIM_400000_NS6detail17trampoline_kernelINS0_14default_configENS1_27scan_by_key_config_selectorIiiEEZZNS1_16scan_by_key_implILNS1_25lookback_scan_determinismE0ELb0ES3_N6thrust23THRUST_200600_302600_NS6detail15normal_iteratorINS9_10device_ptrIiEEEESE_SE_iNS9_4plusIiEE19head_flag_predicateiEE10hipError_tPvRmT2_T3_T4_T5_mT6_T7_P12ihipStream_tbENKUlT_T0_E_clISt17integral_constantIbLb1EESX_IbLb0EEEEDaST_SU_EUlST_E_NS1_11comp_targetILNS1_3genE3ELNS1_11target_archE908ELNS1_3gpuE7ELNS1_3repE0EEENS1_30default_config_static_selectorELNS0_4arch9wavefront6targetE0EEEvT1_.has_recursion, 0
	.set _ZN7rocprim17ROCPRIM_400000_NS6detail17trampoline_kernelINS0_14default_configENS1_27scan_by_key_config_selectorIiiEEZZNS1_16scan_by_key_implILNS1_25lookback_scan_determinismE0ELb0ES3_N6thrust23THRUST_200600_302600_NS6detail15normal_iteratorINS9_10device_ptrIiEEEESE_SE_iNS9_4plusIiEE19head_flag_predicateiEE10hipError_tPvRmT2_T3_T4_T5_mT6_T7_P12ihipStream_tbENKUlT_T0_E_clISt17integral_constantIbLb1EESX_IbLb0EEEEDaST_SU_EUlST_E_NS1_11comp_targetILNS1_3genE3ELNS1_11target_archE908ELNS1_3gpuE7ELNS1_3repE0EEENS1_30default_config_static_selectorELNS0_4arch9wavefront6targetE0EEEvT1_.has_indirect_call, 0
	.section	.AMDGPU.csdata,"",@progbits
; Kernel info:
; codeLenInByte = 0
; TotalNumSgprs: 0
; NumVgprs: 0
; ScratchSize: 0
; MemoryBound: 0
; FloatMode: 240
; IeeeMode: 1
; LDSByteSize: 0 bytes/workgroup (compile time only)
; SGPRBlocks: 0
; VGPRBlocks: 0
; NumSGPRsForWavesPerEU: 1
; NumVGPRsForWavesPerEU: 1
; NamedBarCnt: 0
; Occupancy: 16
; WaveLimiterHint : 0
; COMPUTE_PGM_RSRC2:SCRATCH_EN: 0
; COMPUTE_PGM_RSRC2:USER_SGPR: 2
; COMPUTE_PGM_RSRC2:TRAP_HANDLER: 0
; COMPUTE_PGM_RSRC2:TGID_X_EN: 1
; COMPUTE_PGM_RSRC2:TGID_Y_EN: 0
; COMPUTE_PGM_RSRC2:TGID_Z_EN: 0
; COMPUTE_PGM_RSRC2:TIDIG_COMP_CNT: 0
	.section	.text._ZN7rocprim17ROCPRIM_400000_NS6detail17trampoline_kernelINS0_14default_configENS1_27scan_by_key_config_selectorIiiEEZZNS1_16scan_by_key_implILNS1_25lookback_scan_determinismE0ELb0ES3_N6thrust23THRUST_200600_302600_NS6detail15normal_iteratorINS9_10device_ptrIiEEEESE_SE_iNS9_4plusIiEE19head_flag_predicateiEE10hipError_tPvRmT2_T3_T4_T5_mT6_T7_P12ihipStream_tbENKUlT_T0_E_clISt17integral_constantIbLb1EESX_IbLb0EEEEDaST_SU_EUlST_E_NS1_11comp_targetILNS1_3genE2ELNS1_11target_archE906ELNS1_3gpuE6ELNS1_3repE0EEENS1_30default_config_static_selectorELNS0_4arch9wavefront6targetE0EEEvT1_,"axG",@progbits,_ZN7rocprim17ROCPRIM_400000_NS6detail17trampoline_kernelINS0_14default_configENS1_27scan_by_key_config_selectorIiiEEZZNS1_16scan_by_key_implILNS1_25lookback_scan_determinismE0ELb0ES3_N6thrust23THRUST_200600_302600_NS6detail15normal_iteratorINS9_10device_ptrIiEEEESE_SE_iNS9_4plusIiEE19head_flag_predicateiEE10hipError_tPvRmT2_T3_T4_T5_mT6_T7_P12ihipStream_tbENKUlT_T0_E_clISt17integral_constantIbLb1EESX_IbLb0EEEEDaST_SU_EUlST_E_NS1_11comp_targetILNS1_3genE2ELNS1_11target_archE906ELNS1_3gpuE6ELNS1_3repE0EEENS1_30default_config_static_selectorELNS0_4arch9wavefront6targetE0EEEvT1_,comdat
	.protected	_ZN7rocprim17ROCPRIM_400000_NS6detail17trampoline_kernelINS0_14default_configENS1_27scan_by_key_config_selectorIiiEEZZNS1_16scan_by_key_implILNS1_25lookback_scan_determinismE0ELb0ES3_N6thrust23THRUST_200600_302600_NS6detail15normal_iteratorINS9_10device_ptrIiEEEESE_SE_iNS9_4plusIiEE19head_flag_predicateiEE10hipError_tPvRmT2_T3_T4_T5_mT6_T7_P12ihipStream_tbENKUlT_T0_E_clISt17integral_constantIbLb1EESX_IbLb0EEEEDaST_SU_EUlST_E_NS1_11comp_targetILNS1_3genE2ELNS1_11target_archE906ELNS1_3gpuE6ELNS1_3repE0EEENS1_30default_config_static_selectorELNS0_4arch9wavefront6targetE0EEEvT1_ ; -- Begin function _ZN7rocprim17ROCPRIM_400000_NS6detail17trampoline_kernelINS0_14default_configENS1_27scan_by_key_config_selectorIiiEEZZNS1_16scan_by_key_implILNS1_25lookback_scan_determinismE0ELb0ES3_N6thrust23THRUST_200600_302600_NS6detail15normal_iteratorINS9_10device_ptrIiEEEESE_SE_iNS9_4plusIiEE19head_flag_predicateiEE10hipError_tPvRmT2_T3_T4_T5_mT6_T7_P12ihipStream_tbENKUlT_T0_E_clISt17integral_constantIbLb1EESX_IbLb0EEEEDaST_SU_EUlST_E_NS1_11comp_targetILNS1_3genE2ELNS1_11target_archE906ELNS1_3gpuE6ELNS1_3repE0EEENS1_30default_config_static_selectorELNS0_4arch9wavefront6targetE0EEEvT1_
	.globl	_ZN7rocprim17ROCPRIM_400000_NS6detail17trampoline_kernelINS0_14default_configENS1_27scan_by_key_config_selectorIiiEEZZNS1_16scan_by_key_implILNS1_25lookback_scan_determinismE0ELb0ES3_N6thrust23THRUST_200600_302600_NS6detail15normal_iteratorINS9_10device_ptrIiEEEESE_SE_iNS9_4plusIiEE19head_flag_predicateiEE10hipError_tPvRmT2_T3_T4_T5_mT6_T7_P12ihipStream_tbENKUlT_T0_E_clISt17integral_constantIbLb1EESX_IbLb0EEEEDaST_SU_EUlST_E_NS1_11comp_targetILNS1_3genE2ELNS1_11target_archE906ELNS1_3gpuE6ELNS1_3repE0EEENS1_30default_config_static_selectorELNS0_4arch9wavefront6targetE0EEEvT1_
	.p2align	8
	.type	_ZN7rocprim17ROCPRIM_400000_NS6detail17trampoline_kernelINS0_14default_configENS1_27scan_by_key_config_selectorIiiEEZZNS1_16scan_by_key_implILNS1_25lookback_scan_determinismE0ELb0ES3_N6thrust23THRUST_200600_302600_NS6detail15normal_iteratorINS9_10device_ptrIiEEEESE_SE_iNS9_4plusIiEE19head_flag_predicateiEE10hipError_tPvRmT2_T3_T4_T5_mT6_T7_P12ihipStream_tbENKUlT_T0_E_clISt17integral_constantIbLb1EESX_IbLb0EEEEDaST_SU_EUlST_E_NS1_11comp_targetILNS1_3genE2ELNS1_11target_archE906ELNS1_3gpuE6ELNS1_3repE0EEENS1_30default_config_static_selectorELNS0_4arch9wavefront6targetE0EEEvT1_,@function
_ZN7rocprim17ROCPRIM_400000_NS6detail17trampoline_kernelINS0_14default_configENS1_27scan_by_key_config_selectorIiiEEZZNS1_16scan_by_key_implILNS1_25lookback_scan_determinismE0ELb0ES3_N6thrust23THRUST_200600_302600_NS6detail15normal_iteratorINS9_10device_ptrIiEEEESE_SE_iNS9_4plusIiEE19head_flag_predicateiEE10hipError_tPvRmT2_T3_T4_T5_mT6_T7_P12ihipStream_tbENKUlT_T0_E_clISt17integral_constantIbLb1EESX_IbLb0EEEEDaST_SU_EUlST_E_NS1_11comp_targetILNS1_3genE2ELNS1_11target_archE906ELNS1_3gpuE6ELNS1_3repE0EEENS1_30default_config_static_selectorELNS0_4arch9wavefront6targetE0EEEvT1_: ; @_ZN7rocprim17ROCPRIM_400000_NS6detail17trampoline_kernelINS0_14default_configENS1_27scan_by_key_config_selectorIiiEEZZNS1_16scan_by_key_implILNS1_25lookback_scan_determinismE0ELb0ES3_N6thrust23THRUST_200600_302600_NS6detail15normal_iteratorINS9_10device_ptrIiEEEESE_SE_iNS9_4plusIiEE19head_flag_predicateiEE10hipError_tPvRmT2_T3_T4_T5_mT6_T7_P12ihipStream_tbENKUlT_T0_E_clISt17integral_constantIbLb1EESX_IbLb0EEEEDaST_SU_EUlST_E_NS1_11comp_targetILNS1_3genE2ELNS1_11target_archE906ELNS1_3gpuE6ELNS1_3repE0EEENS1_30default_config_static_selectorELNS0_4arch9wavefront6targetE0EEEvT1_
; %bb.0:
	.section	.rodata,"a",@progbits
	.p2align	6, 0x0
	.amdhsa_kernel _ZN7rocprim17ROCPRIM_400000_NS6detail17trampoline_kernelINS0_14default_configENS1_27scan_by_key_config_selectorIiiEEZZNS1_16scan_by_key_implILNS1_25lookback_scan_determinismE0ELb0ES3_N6thrust23THRUST_200600_302600_NS6detail15normal_iteratorINS9_10device_ptrIiEEEESE_SE_iNS9_4plusIiEE19head_flag_predicateiEE10hipError_tPvRmT2_T3_T4_T5_mT6_T7_P12ihipStream_tbENKUlT_T0_E_clISt17integral_constantIbLb1EESX_IbLb0EEEEDaST_SU_EUlST_E_NS1_11comp_targetILNS1_3genE2ELNS1_11target_archE906ELNS1_3gpuE6ELNS1_3repE0EEENS1_30default_config_static_selectorELNS0_4arch9wavefront6targetE0EEEvT1_
		.amdhsa_group_segment_fixed_size 0
		.amdhsa_private_segment_fixed_size 0
		.amdhsa_kernarg_size 112
		.amdhsa_user_sgpr_count 2
		.amdhsa_user_sgpr_dispatch_ptr 0
		.amdhsa_user_sgpr_queue_ptr 0
		.amdhsa_user_sgpr_kernarg_segment_ptr 1
		.amdhsa_user_sgpr_dispatch_id 0
		.amdhsa_user_sgpr_kernarg_preload_length 0
		.amdhsa_user_sgpr_kernarg_preload_offset 0
		.amdhsa_user_sgpr_private_segment_size 0
		.amdhsa_wavefront_size32 1
		.amdhsa_uses_dynamic_stack 0
		.amdhsa_enable_private_segment 0
		.amdhsa_system_sgpr_workgroup_id_x 1
		.amdhsa_system_sgpr_workgroup_id_y 0
		.amdhsa_system_sgpr_workgroup_id_z 0
		.amdhsa_system_sgpr_workgroup_info 0
		.amdhsa_system_vgpr_workitem_id 0
		.amdhsa_next_free_vgpr 1
		.amdhsa_next_free_sgpr 1
		.amdhsa_named_barrier_count 0
		.amdhsa_reserve_vcc 0
		.amdhsa_float_round_mode_32 0
		.amdhsa_float_round_mode_16_64 0
		.amdhsa_float_denorm_mode_32 3
		.amdhsa_float_denorm_mode_16_64 3
		.amdhsa_fp16_overflow 0
		.amdhsa_memory_ordered 1
		.amdhsa_forward_progress 1
		.amdhsa_inst_pref_size 0
		.amdhsa_round_robin_scheduling 0
		.amdhsa_exception_fp_ieee_invalid_op 0
		.amdhsa_exception_fp_denorm_src 0
		.amdhsa_exception_fp_ieee_div_zero 0
		.amdhsa_exception_fp_ieee_overflow 0
		.amdhsa_exception_fp_ieee_underflow 0
		.amdhsa_exception_fp_ieee_inexact 0
		.amdhsa_exception_int_div_zero 0
	.end_amdhsa_kernel
	.section	.text._ZN7rocprim17ROCPRIM_400000_NS6detail17trampoline_kernelINS0_14default_configENS1_27scan_by_key_config_selectorIiiEEZZNS1_16scan_by_key_implILNS1_25lookback_scan_determinismE0ELb0ES3_N6thrust23THRUST_200600_302600_NS6detail15normal_iteratorINS9_10device_ptrIiEEEESE_SE_iNS9_4plusIiEE19head_flag_predicateiEE10hipError_tPvRmT2_T3_T4_T5_mT6_T7_P12ihipStream_tbENKUlT_T0_E_clISt17integral_constantIbLb1EESX_IbLb0EEEEDaST_SU_EUlST_E_NS1_11comp_targetILNS1_3genE2ELNS1_11target_archE906ELNS1_3gpuE6ELNS1_3repE0EEENS1_30default_config_static_selectorELNS0_4arch9wavefront6targetE0EEEvT1_,"axG",@progbits,_ZN7rocprim17ROCPRIM_400000_NS6detail17trampoline_kernelINS0_14default_configENS1_27scan_by_key_config_selectorIiiEEZZNS1_16scan_by_key_implILNS1_25lookback_scan_determinismE0ELb0ES3_N6thrust23THRUST_200600_302600_NS6detail15normal_iteratorINS9_10device_ptrIiEEEESE_SE_iNS9_4plusIiEE19head_flag_predicateiEE10hipError_tPvRmT2_T3_T4_T5_mT6_T7_P12ihipStream_tbENKUlT_T0_E_clISt17integral_constantIbLb1EESX_IbLb0EEEEDaST_SU_EUlST_E_NS1_11comp_targetILNS1_3genE2ELNS1_11target_archE906ELNS1_3gpuE6ELNS1_3repE0EEENS1_30default_config_static_selectorELNS0_4arch9wavefront6targetE0EEEvT1_,comdat
.Lfunc_end772:
	.size	_ZN7rocprim17ROCPRIM_400000_NS6detail17trampoline_kernelINS0_14default_configENS1_27scan_by_key_config_selectorIiiEEZZNS1_16scan_by_key_implILNS1_25lookback_scan_determinismE0ELb0ES3_N6thrust23THRUST_200600_302600_NS6detail15normal_iteratorINS9_10device_ptrIiEEEESE_SE_iNS9_4plusIiEE19head_flag_predicateiEE10hipError_tPvRmT2_T3_T4_T5_mT6_T7_P12ihipStream_tbENKUlT_T0_E_clISt17integral_constantIbLb1EESX_IbLb0EEEEDaST_SU_EUlST_E_NS1_11comp_targetILNS1_3genE2ELNS1_11target_archE906ELNS1_3gpuE6ELNS1_3repE0EEENS1_30default_config_static_selectorELNS0_4arch9wavefront6targetE0EEEvT1_, .Lfunc_end772-_ZN7rocprim17ROCPRIM_400000_NS6detail17trampoline_kernelINS0_14default_configENS1_27scan_by_key_config_selectorIiiEEZZNS1_16scan_by_key_implILNS1_25lookback_scan_determinismE0ELb0ES3_N6thrust23THRUST_200600_302600_NS6detail15normal_iteratorINS9_10device_ptrIiEEEESE_SE_iNS9_4plusIiEE19head_flag_predicateiEE10hipError_tPvRmT2_T3_T4_T5_mT6_T7_P12ihipStream_tbENKUlT_T0_E_clISt17integral_constantIbLb1EESX_IbLb0EEEEDaST_SU_EUlST_E_NS1_11comp_targetILNS1_3genE2ELNS1_11target_archE906ELNS1_3gpuE6ELNS1_3repE0EEENS1_30default_config_static_selectorELNS0_4arch9wavefront6targetE0EEEvT1_
                                        ; -- End function
	.set _ZN7rocprim17ROCPRIM_400000_NS6detail17trampoline_kernelINS0_14default_configENS1_27scan_by_key_config_selectorIiiEEZZNS1_16scan_by_key_implILNS1_25lookback_scan_determinismE0ELb0ES3_N6thrust23THRUST_200600_302600_NS6detail15normal_iteratorINS9_10device_ptrIiEEEESE_SE_iNS9_4plusIiEE19head_flag_predicateiEE10hipError_tPvRmT2_T3_T4_T5_mT6_T7_P12ihipStream_tbENKUlT_T0_E_clISt17integral_constantIbLb1EESX_IbLb0EEEEDaST_SU_EUlST_E_NS1_11comp_targetILNS1_3genE2ELNS1_11target_archE906ELNS1_3gpuE6ELNS1_3repE0EEENS1_30default_config_static_selectorELNS0_4arch9wavefront6targetE0EEEvT1_.num_vgpr, 0
	.set _ZN7rocprim17ROCPRIM_400000_NS6detail17trampoline_kernelINS0_14default_configENS1_27scan_by_key_config_selectorIiiEEZZNS1_16scan_by_key_implILNS1_25lookback_scan_determinismE0ELb0ES3_N6thrust23THRUST_200600_302600_NS6detail15normal_iteratorINS9_10device_ptrIiEEEESE_SE_iNS9_4plusIiEE19head_flag_predicateiEE10hipError_tPvRmT2_T3_T4_T5_mT6_T7_P12ihipStream_tbENKUlT_T0_E_clISt17integral_constantIbLb1EESX_IbLb0EEEEDaST_SU_EUlST_E_NS1_11comp_targetILNS1_3genE2ELNS1_11target_archE906ELNS1_3gpuE6ELNS1_3repE0EEENS1_30default_config_static_selectorELNS0_4arch9wavefront6targetE0EEEvT1_.num_agpr, 0
	.set _ZN7rocprim17ROCPRIM_400000_NS6detail17trampoline_kernelINS0_14default_configENS1_27scan_by_key_config_selectorIiiEEZZNS1_16scan_by_key_implILNS1_25lookback_scan_determinismE0ELb0ES3_N6thrust23THRUST_200600_302600_NS6detail15normal_iteratorINS9_10device_ptrIiEEEESE_SE_iNS9_4plusIiEE19head_flag_predicateiEE10hipError_tPvRmT2_T3_T4_T5_mT6_T7_P12ihipStream_tbENKUlT_T0_E_clISt17integral_constantIbLb1EESX_IbLb0EEEEDaST_SU_EUlST_E_NS1_11comp_targetILNS1_3genE2ELNS1_11target_archE906ELNS1_3gpuE6ELNS1_3repE0EEENS1_30default_config_static_selectorELNS0_4arch9wavefront6targetE0EEEvT1_.numbered_sgpr, 0
	.set _ZN7rocprim17ROCPRIM_400000_NS6detail17trampoline_kernelINS0_14default_configENS1_27scan_by_key_config_selectorIiiEEZZNS1_16scan_by_key_implILNS1_25lookback_scan_determinismE0ELb0ES3_N6thrust23THRUST_200600_302600_NS6detail15normal_iteratorINS9_10device_ptrIiEEEESE_SE_iNS9_4plusIiEE19head_flag_predicateiEE10hipError_tPvRmT2_T3_T4_T5_mT6_T7_P12ihipStream_tbENKUlT_T0_E_clISt17integral_constantIbLb1EESX_IbLb0EEEEDaST_SU_EUlST_E_NS1_11comp_targetILNS1_3genE2ELNS1_11target_archE906ELNS1_3gpuE6ELNS1_3repE0EEENS1_30default_config_static_selectorELNS0_4arch9wavefront6targetE0EEEvT1_.num_named_barrier, 0
	.set _ZN7rocprim17ROCPRIM_400000_NS6detail17trampoline_kernelINS0_14default_configENS1_27scan_by_key_config_selectorIiiEEZZNS1_16scan_by_key_implILNS1_25lookback_scan_determinismE0ELb0ES3_N6thrust23THRUST_200600_302600_NS6detail15normal_iteratorINS9_10device_ptrIiEEEESE_SE_iNS9_4plusIiEE19head_flag_predicateiEE10hipError_tPvRmT2_T3_T4_T5_mT6_T7_P12ihipStream_tbENKUlT_T0_E_clISt17integral_constantIbLb1EESX_IbLb0EEEEDaST_SU_EUlST_E_NS1_11comp_targetILNS1_3genE2ELNS1_11target_archE906ELNS1_3gpuE6ELNS1_3repE0EEENS1_30default_config_static_selectorELNS0_4arch9wavefront6targetE0EEEvT1_.private_seg_size, 0
	.set _ZN7rocprim17ROCPRIM_400000_NS6detail17trampoline_kernelINS0_14default_configENS1_27scan_by_key_config_selectorIiiEEZZNS1_16scan_by_key_implILNS1_25lookback_scan_determinismE0ELb0ES3_N6thrust23THRUST_200600_302600_NS6detail15normal_iteratorINS9_10device_ptrIiEEEESE_SE_iNS9_4plusIiEE19head_flag_predicateiEE10hipError_tPvRmT2_T3_T4_T5_mT6_T7_P12ihipStream_tbENKUlT_T0_E_clISt17integral_constantIbLb1EESX_IbLb0EEEEDaST_SU_EUlST_E_NS1_11comp_targetILNS1_3genE2ELNS1_11target_archE906ELNS1_3gpuE6ELNS1_3repE0EEENS1_30default_config_static_selectorELNS0_4arch9wavefront6targetE0EEEvT1_.uses_vcc, 0
	.set _ZN7rocprim17ROCPRIM_400000_NS6detail17trampoline_kernelINS0_14default_configENS1_27scan_by_key_config_selectorIiiEEZZNS1_16scan_by_key_implILNS1_25lookback_scan_determinismE0ELb0ES3_N6thrust23THRUST_200600_302600_NS6detail15normal_iteratorINS9_10device_ptrIiEEEESE_SE_iNS9_4plusIiEE19head_flag_predicateiEE10hipError_tPvRmT2_T3_T4_T5_mT6_T7_P12ihipStream_tbENKUlT_T0_E_clISt17integral_constantIbLb1EESX_IbLb0EEEEDaST_SU_EUlST_E_NS1_11comp_targetILNS1_3genE2ELNS1_11target_archE906ELNS1_3gpuE6ELNS1_3repE0EEENS1_30default_config_static_selectorELNS0_4arch9wavefront6targetE0EEEvT1_.uses_flat_scratch, 0
	.set _ZN7rocprim17ROCPRIM_400000_NS6detail17trampoline_kernelINS0_14default_configENS1_27scan_by_key_config_selectorIiiEEZZNS1_16scan_by_key_implILNS1_25lookback_scan_determinismE0ELb0ES3_N6thrust23THRUST_200600_302600_NS6detail15normal_iteratorINS9_10device_ptrIiEEEESE_SE_iNS9_4plusIiEE19head_flag_predicateiEE10hipError_tPvRmT2_T3_T4_T5_mT6_T7_P12ihipStream_tbENKUlT_T0_E_clISt17integral_constantIbLb1EESX_IbLb0EEEEDaST_SU_EUlST_E_NS1_11comp_targetILNS1_3genE2ELNS1_11target_archE906ELNS1_3gpuE6ELNS1_3repE0EEENS1_30default_config_static_selectorELNS0_4arch9wavefront6targetE0EEEvT1_.has_dyn_sized_stack, 0
	.set _ZN7rocprim17ROCPRIM_400000_NS6detail17trampoline_kernelINS0_14default_configENS1_27scan_by_key_config_selectorIiiEEZZNS1_16scan_by_key_implILNS1_25lookback_scan_determinismE0ELb0ES3_N6thrust23THRUST_200600_302600_NS6detail15normal_iteratorINS9_10device_ptrIiEEEESE_SE_iNS9_4plusIiEE19head_flag_predicateiEE10hipError_tPvRmT2_T3_T4_T5_mT6_T7_P12ihipStream_tbENKUlT_T0_E_clISt17integral_constantIbLb1EESX_IbLb0EEEEDaST_SU_EUlST_E_NS1_11comp_targetILNS1_3genE2ELNS1_11target_archE906ELNS1_3gpuE6ELNS1_3repE0EEENS1_30default_config_static_selectorELNS0_4arch9wavefront6targetE0EEEvT1_.has_recursion, 0
	.set _ZN7rocprim17ROCPRIM_400000_NS6detail17trampoline_kernelINS0_14default_configENS1_27scan_by_key_config_selectorIiiEEZZNS1_16scan_by_key_implILNS1_25lookback_scan_determinismE0ELb0ES3_N6thrust23THRUST_200600_302600_NS6detail15normal_iteratorINS9_10device_ptrIiEEEESE_SE_iNS9_4plusIiEE19head_flag_predicateiEE10hipError_tPvRmT2_T3_T4_T5_mT6_T7_P12ihipStream_tbENKUlT_T0_E_clISt17integral_constantIbLb1EESX_IbLb0EEEEDaST_SU_EUlST_E_NS1_11comp_targetILNS1_3genE2ELNS1_11target_archE906ELNS1_3gpuE6ELNS1_3repE0EEENS1_30default_config_static_selectorELNS0_4arch9wavefront6targetE0EEEvT1_.has_indirect_call, 0
	.section	.AMDGPU.csdata,"",@progbits
; Kernel info:
; codeLenInByte = 0
; TotalNumSgprs: 0
; NumVgprs: 0
; ScratchSize: 0
; MemoryBound: 0
; FloatMode: 240
; IeeeMode: 1
; LDSByteSize: 0 bytes/workgroup (compile time only)
; SGPRBlocks: 0
; VGPRBlocks: 0
; NumSGPRsForWavesPerEU: 1
; NumVGPRsForWavesPerEU: 1
; NamedBarCnt: 0
; Occupancy: 16
; WaveLimiterHint : 0
; COMPUTE_PGM_RSRC2:SCRATCH_EN: 0
; COMPUTE_PGM_RSRC2:USER_SGPR: 2
; COMPUTE_PGM_RSRC2:TRAP_HANDLER: 0
; COMPUTE_PGM_RSRC2:TGID_X_EN: 1
; COMPUTE_PGM_RSRC2:TGID_Y_EN: 0
; COMPUTE_PGM_RSRC2:TGID_Z_EN: 0
; COMPUTE_PGM_RSRC2:TIDIG_COMP_CNT: 0
	.section	.text._ZN7rocprim17ROCPRIM_400000_NS6detail17trampoline_kernelINS0_14default_configENS1_27scan_by_key_config_selectorIiiEEZZNS1_16scan_by_key_implILNS1_25lookback_scan_determinismE0ELb0ES3_N6thrust23THRUST_200600_302600_NS6detail15normal_iteratorINS9_10device_ptrIiEEEESE_SE_iNS9_4plusIiEE19head_flag_predicateiEE10hipError_tPvRmT2_T3_T4_T5_mT6_T7_P12ihipStream_tbENKUlT_T0_E_clISt17integral_constantIbLb1EESX_IbLb0EEEEDaST_SU_EUlST_E_NS1_11comp_targetILNS1_3genE10ELNS1_11target_archE1200ELNS1_3gpuE4ELNS1_3repE0EEENS1_30default_config_static_selectorELNS0_4arch9wavefront6targetE0EEEvT1_,"axG",@progbits,_ZN7rocprim17ROCPRIM_400000_NS6detail17trampoline_kernelINS0_14default_configENS1_27scan_by_key_config_selectorIiiEEZZNS1_16scan_by_key_implILNS1_25lookback_scan_determinismE0ELb0ES3_N6thrust23THRUST_200600_302600_NS6detail15normal_iteratorINS9_10device_ptrIiEEEESE_SE_iNS9_4plusIiEE19head_flag_predicateiEE10hipError_tPvRmT2_T3_T4_T5_mT6_T7_P12ihipStream_tbENKUlT_T0_E_clISt17integral_constantIbLb1EESX_IbLb0EEEEDaST_SU_EUlST_E_NS1_11comp_targetILNS1_3genE10ELNS1_11target_archE1200ELNS1_3gpuE4ELNS1_3repE0EEENS1_30default_config_static_selectorELNS0_4arch9wavefront6targetE0EEEvT1_,comdat
	.protected	_ZN7rocprim17ROCPRIM_400000_NS6detail17trampoline_kernelINS0_14default_configENS1_27scan_by_key_config_selectorIiiEEZZNS1_16scan_by_key_implILNS1_25lookback_scan_determinismE0ELb0ES3_N6thrust23THRUST_200600_302600_NS6detail15normal_iteratorINS9_10device_ptrIiEEEESE_SE_iNS9_4plusIiEE19head_flag_predicateiEE10hipError_tPvRmT2_T3_T4_T5_mT6_T7_P12ihipStream_tbENKUlT_T0_E_clISt17integral_constantIbLb1EESX_IbLb0EEEEDaST_SU_EUlST_E_NS1_11comp_targetILNS1_3genE10ELNS1_11target_archE1200ELNS1_3gpuE4ELNS1_3repE0EEENS1_30default_config_static_selectorELNS0_4arch9wavefront6targetE0EEEvT1_ ; -- Begin function _ZN7rocprim17ROCPRIM_400000_NS6detail17trampoline_kernelINS0_14default_configENS1_27scan_by_key_config_selectorIiiEEZZNS1_16scan_by_key_implILNS1_25lookback_scan_determinismE0ELb0ES3_N6thrust23THRUST_200600_302600_NS6detail15normal_iteratorINS9_10device_ptrIiEEEESE_SE_iNS9_4plusIiEE19head_flag_predicateiEE10hipError_tPvRmT2_T3_T4_T5_mT6_T7_P12ihipStream_tbENKUlT_T0_E_clISt17integral_constantIbLb1EESX_IbLb0EEEEDaST_SU_EUlST_E_NS1_11comp_targetILNS1_3genE10ELNS1_11target_archE1200ELNS1_3gpuE4ELNS1_3repE0EEENS1_30default_config_static_selectorELNS0_4arch9wavefront6targetE0EEEvT1_
	.globl	_ZN7rocprim17ROCPRIM_400000_NS6detail17trampoline_kernelINS0_14default_configENS1_27scan_by_key_config_selectorIiiEEZZNS1_16scan_by_key_implILNS1_25lookback_scan_determinismE0ELb0ES3_N6thrust23THRUST_200600_302600_NS6detail15normal_iteratorINS9_10device_ptrIiEEEESE_SE_iNS9_4plusIiEE19head_flag_predicateiEE10hipError_tPvRmT2_T3_T4_T5_mT6_T7_P12ihipStream_tbENKUlT_T0_E_clISt17integral_constantIbLb1EESX_IbLb0EEEEDaST_SU_EUlST_E_NS1_11comp_targetILNS1_3genE10ELNS1_11target_archE1200ELNS1_3gpuE4ELNS1_3repE0EEENS1_30default_config_static_selectorELNS0_4arch9wavefront6targetE0EEEvT1_
	.p2align	8
	.type	_ZN7rocprim17ROCPRIM_400000_NS6detail17trampoline_kernelINS0_14default_configENS1_27scan_by_key_config_selectorIiiEEZZNS1_16scan_by_key_implILNS1_25lookback_scan_determinismE0ELb0ES3_N6thrust23THRUST_200600_302600_NS6detail15normal_iteratorINS9_10device_ptrIiEEEESE_SE_iNS9_4plusIiEE19head_flag_predicateiEE10hipError_tPvRmT2_T3_T4_T5_mT6_T7_P12ihipStream_tbENKUlT_T0_E_clISt17integral_constantIbLb1EESX_IbLb0EEEEDaST_SU_EUlST_E_NS1_11comp_targetILNS1_3genE10ELNS1_11target_archE1200ELNS1_3gpuE4ELNS1_3repE0EEENS1_30default_config_static_selectorELNS0_4arch9wavefront6targetE0EEEvT1_,@function
_ZN7rocprim17ROCPRIM_400000_NS6detail17trampoline_kernelINS0_14default_configENS1_27scan_by_key_config_selectorIiiEEZZNS1_16scan_by_key_implILNS1_25lookback_scan_determinismE0ELb0ES3_N6thrust23THRUST_200600_302600_NS6detail15normal_iteratorINS9_10device_ptrIiEEEESE_SE_iNS9_4plusIiEE19head_flag_predicateiEE10hipError_tPvRmT2_T3_T4_T5_mT6_T7_P12ihipStream_tbENKUlT_T0_E_clISt17integral_constantIbLb1EESX_IbLb0EEEEDaST_SU_EUlST_E_NS1_11comp_targetILNS1_3genE10ELNS1_11target_archE1200ELNS1_3gpuE4ELNS1_3repE0EEENS1_30default_config_static_selectorELNS0_4arch9wavefront6targetE0EEEvT1_: ; @_ZN7rocprim17ROCPRIM_400000_NS6detail17trampoline_kernelINS0_14default_configENS1_27scan_by_key_config_selectorIiiEEZZNS1_16scan_by_key_implILNS1_25lookback_scan_determinismE0ELb0ES3_N6thrust23THRUST_200600_302600_NS6detail15normal_iteratorINS9_10device_ptrIiEEEESE_SE_iNS9_4plusIiEE19head_flag_predicateiEE10hipError_tPvRmT2_T3_T4_T5_mT6_T7_P12ihipStream_tbENKUlT_T0_E_clISt17integral_constantIbLb1EESX_IbLb0EEEEDaST_SU_EUlST_E_NS1_11comp_targetILNS1_3genE10ELNS1_11target_archE1200ELNS1_3gpuE4ELNS1_3repE0EEENS1_30default_config_static_selectorELNS0_4arch9wavefront6targetE0EEEvT1_
; %bb.0:
	.section	.rodata,"a",@progbits
	.p2align	6, 0x0
	.amdhsa_kernel _ZN7rocprim17ROCPRIM_400000_NS6detail17trampoline_kernelINS0_14default_configENS1_27scan_by_key_config_selectorIiiEEZZNS1_16scan_by_key_implILNS1_25lookback_scan_determinismE0ELb0ES3_N6thrust23THRUST_200600_302600_NS6detail15normal_iteratorINS9_10device_ptrIiEEEESE_SE_iNS9_4plusIiEE19head_flag_predicateiEE10hipError_tPvRmT2_T3_T4_T5_mT6_T7_P12ihipStream_tbENKUlT_T0_E_clISt17integral_constantIbLb1EESX_IbLb0EEEEDaST_SU_EUlST_E_NS1_11comp_targetILNS1_3genE10ELNS1_11target_archE1200ELNS1_3gpuE4ELNS1_3repE0EEENS1_30default_config_static_selectorELNS0_4arch9wavefront6targetE0EEEvT1_
		.amdhsa_group_segment_fixed_size 0
		.amdhsa_private_segment_fixed_size 0
		.amdhsa_kernarg_size 112
		.amdhsa_user_sgpr_count 2
		.amdhsa_user_sgpr_dispatch_ptr 0
		.amdhsa_user_sgpr_queue_ptr 0
		.amdhsa_user_sgpr_kernarg_segment_ptr 1
		.amdhsa_user_sgpr_dispatch_id 0
		.amdhsa_user_sgpr_kernarg_preload_length 0
		.amdhsa_user_sgpr_kernarg_preload_offset 0
		.amdhsa_user_sgpr_private_segment_size 0
		.amdhsa_wavefront_size32 1
		.amdhsa_uses_dynamic_stack 0
		.amdhsa_enable_private_segment 0
		.amdhsa_system_sgpr_workgroup_id_x 1
		.amdhsa_system_sgpr_workgroup_id_y 0
		.amdhsa_system_sgpr_workgroup_id_z 0
		.amdhsa_system_sgpr_workgroup_info 0
		.amdhsa_system_vgpr_workitem_id 0
		.amdhsa_next_free_vgpr 1
		.amdhsa_next_free_sgpr 1
		.amdhsa_named_barrier_count 0
		.amdhsa_reserve_vcc 0
		.amdhsa_float_round_mode_32 0
		.amdhsa_float_round_mode_16_64 0
		.amdhsa_float_denorm_mode_32 3
		.amdhsa_float_denorm_mode_16_64 3
		.amdhsa_fp16_overflow 0
		.amdhsa_memory_ordered 1
		.amdhsa_forward_progress 1
		.amdhsa_inst_pref_size 0
		.amdhsa_round_robin_scheduling 0
		.amdhsa_exception_fp_ieee_invalid_op 0
		.amdhsa_exception_fp_denorm_src 0
		.amdhsa_exception_fp_ieee_div_zero 0
		.amdhsa_exception_fp_ieee_overflow 0
		.amdhsa_exception_fp_ieee_underflow 0
		.amdhsa_exception_fp_ieee_inexact 0
		.amdhsa_exception_int_div_zero 0
	.end_amdhsa_kernel
	.section	.text._ZN7rocprim17ROCPRIM_400000_NS6detail17trampoline_kernelINS0_14default_configENS1_27scan_by_key_config_selectorIiiEEZZNS1_16scan_by_key_implILNS1_25lookback_scan_determinismE0ELb0ES3_N6thrust23THRUST_200600_302600_NS6detail15normal_iteratorINS9_10device_ptrIiEEEESE_SE_iNS9_4plusIiEE19head_flag_predicateiEE10hipError_tPvRmT2_T3_T4_T5_mT6_T7_P12ihipStream_tbENKUlT_T0_E_clISt17integral_constantIbLb1EESX_IbLb0EEEEDaST_SU_EUlST_E_NS1_11comp_targetILNS1_3genE10ELNS1_11target_archE1200ELNS1_3gpuE4ELNS1_3repE0EEENS1_30default_config_static_selectorELNS0_4arch9wavefront6targetE0EEEvT1_,"axG",@progbits,_ZN7rocprim17ROCPRIM_400000_NS6detail17trampoline_kernelINS0_14default_configENS1_27scan_by_key_config_selectorIiiEEZZNS1_16scan_by_key_implILNS1_25lookback_scan_determinismE0ELb0ES3_N6thrust23THRUST_200600_302600_NS6detail15normal_iteratorINS9_10device_ptrIiEEEESE_SE_iNS9_4plusIiEE19head_flag_predicateiEE10hipError_tPvRmT2_T3_T4_T5_mT6_T7_P12ihipStream_tbENKUlT_T0_E_clISt17integral_constantIbLb1EESX_IbLb0EEEEDaST_SU_EUlST_E_NS1_11comp_targetILNS1_3genE10ELNS1_11target_archE1200ELNS1_3gpuE4ELNS1_3repE0EEENS1_30default_config_static_selectorELNS0_4arch9wavefront6targetE0EEEvT1_,comdat
.Lfunc_end773:
	.size	_ZN7rocprim17ROCPRIM_400000_NS6detail17trampoline_kernelINS0_14default_configENS1_27scan_by_key_config_selectorIiiEEZZNS1_16scan_by_key_implILNS1_25lookback_scan_determinismE0ELb0ES3_N6thrust23THRUST_200600_302600_NS6detail15normal_iteratorINS9_10device_ptrIiEEEESE_SE_iNS9_4plusIiEE19head_flag_predicateiEE10hipError_tPvRmT2_T3_T4_T5_mT6_T7_P12ihipStream_tbENKUlT_T0_E_clISt17integral_constantIbLb1EESX_IbLb0EEEEDaST_SU_EUlST_E_NS1_11comp_targetILNS1_3genE10ELNS1_11target_archE1200ELNS1_3gpuE4ELNS1_3repE0EEENS1_30default_config_static_selectorELNS0_4arch9wavefront6targetE0EEEvT1_, .Lfunc_end773-_ZN7rocprim17ROCPRIM_400000_NS6detail17trampoline_kernelINS0_14default_configENS1_27scan_by_key_config_selectorIiiEEZZNS1_16scan_by_key_implILNS1_25lookback_scan_determinismE0ELb0ES3_N6thrust23THRUST_200600_302600_NS6detail15normal_iteratorINS9_10device_ptrIiEEEESE_SE_iNS9_4plusIiEE19head_flag_predicateiEE10hipError_tPvRmT2_T3_T4_T5_mT6_T7_P12ihipStream_tbENKUlT_T0_E_clISt17integral_constantIbLb1EESX_IbLb0EEEEDaST_SU_EUlST_E_NS1_11comp_targetILNS1_3genE10ELNS1_11target_archE1200ELNS1_3gpuE4ELNS1_3repE0EEENS1_30default_config_static_selectorELNS0_4arch9wavefront6targetE0EEEvT1_
                                        ; -- End function
	.set _ZN7rocprim17ROCPRIM_400000_NS6detail17trampoline_kernelINS0_14default_configENS1_27scan_by_key_config_selectorIiiEEZZNS1_16scan_by_key_implILNS1_25lookback_scan_determinismE0ELb0ES3_N6thrust23THRUST_200600_302600_NS6detail15normal_iteratorINS9_10device_ptrIiEEEESE_SE_iNS9_4plusIiEE19head_flag_predicateiEE10hipError_tPvRmT2_T3_T4_T5_mT6_T7_P12ihipStream_tbENKUlT_T0_E_clISt17integral_constantIbLb1EESX_IbLb0EEEEDaST_SU_EUlST_E_NS1_11comp_targetILNS1_3genE10ELNS1_11target_archE1200ELNS1_3gpuE4ELNS1_3repE0EEENS1_30default_config_static_selectorELNS0_4arch9wavefront6targetE0EEEvT1_.num_vgpr, 0
	.set _ZN7rocprim17ROCPRIM_400000_NS6detail17trampoline_kernelINS0_14default_configENS1_27scan_by_key_config_selectorIiiEEZZNS1_16scan_by_key_implILNS1_25lookback_scan_determinismE0ELb0ES3_N6thrust23THRUST_200600_302600_NS6detail15normal_iteratorINS9_10device_ptrIiEEEESE_SE_iNS9_4plusIiEE19head_flag_predicateiEE10hipError_tPvRmT2_T3_T4_T5_mT6_T7_P12ihipStream_tbENKUlT_T0_E_clISt17integral_constantIbLb1EESX_IbLb0EEEEDaST_SU_EUlST_E_NS1_11comp_targetILNS1_3genE10ELNS1_11target_archE1200ELNS1_3gpuE4ELNS1_3repE0EEENS1_30default_config_static_selectorELNS0_4arch9wavefront6targetE0EEEvT1_.num_agpr, 0
	.set _ZN7rocprim17ROCPRIM_400000_NS6detail17trampoline_kernelINS0_14default_configENS1_27scan_by_key_config_selectorIiiEEZZNS1_16scan_by_key_implILNS1_25lookback_scan_determinismE0ELb0ES3_N6thrust23THRUST_200600_302600_NS6detail15normal_iteratorINS9_10device_ptrIiEEEESE_SE_iNS9_4plusIiEE19head_flag_predicateiEE10hipError_tPvRmT2_T3_T4_T5_mT6_T7_P12ihipStream_tbENKUlT_T0_E_clISt17integral_constantIbLb1EESX_IbLb0EEEEDaST_SU_EUlST_E_NS1_11comp_targetILNS1_3genE10ELNS1_11target_archE1200ELNS1_3gpuE4ELNS1_3repE0EEENS1_30default_config_static_selectorELNS0_4arch9wavefront6targetE0EEEvT1_.numbered_sgpr, 0
	.set _ZN7rocprim17ROCPRIM_400000_NS6detail17trampoline_kernelINS0_14default_configENS1_27scan_by_key_config_selectorIiiEEZZNS1_16scan_by_key_implILNS1_25lookback_scan_determinismE0ELb0ES3_N6thrust23THRUST_200600_302600_NS6detail15normal_iteratorINS9_10device_ptrIiEEEESE_SE_iNS9_4plusIiEE19head_flag_predicateiEE10hipError_tPvRmT2_T3_T4_T5_mT6_T7_P12ihipStream_tbENKUlT_T0_E_clISt17integral_constantIbLb1EESX_IbLb0EEEEDaST_SU_EUlST_E_NS1_11comp_targetILNS1_3genE10ELNS1_11target_archE1200ELNS1_3gpuE4ELNS1_3repE0EEENS1_30default_config_static_selectorELNS0_4arch9wavefront6targetE0EEEvT1_.num_named_barrier, 0
	.set _ZN7rocprim17ROCPRIM_400000_NS6detail17trampoline_kernelINS0_14default_configENS1_27scan_by_key_config_selectorIiiEEZZNS1_16scan_by_key_implILNS1_25lookback_scan_determinismE0ELb0ES3_N6thrust23THRUST_200600_302600_NS6detail15normal_iteratorINS9_10device_ptrIiEEEESE_SE_iNS9_4plusIiEE19head_flag_predicateiEE10hipError_tPvRmT2_T3_T4_T5_mT6_T7_P12ihipStream_tbENKUlT_T0_E_clISt17integral_constantIbLb1EESX_IbLb0EEEEDaST_SU_EUlST_E_NS1_11comp_targetILNS1_3genE10ELNS1_11target_archE1200ELNS1_3gpuE4ELNS1_3repE0EEENS1_30default_config_static_selectorELNS0_4arch9wavefront6targetE0EEEvT1_.private_seg_size, 0
	.set _ZN7rocprim17ROCPRIM_400000_NS6detail17trampoline_kernelINS0_14default_configENS1_27scan_by_key_config_selectorIiiEEZZNS1_16scan_by_key_implILNS1_25lookback_scan_determinismE0ELb0ES3_N6thrust23THRUST_200600_302600_NS6detail15normal_iteratorINS9_10device_ptrIiEEEESE_SE_iNS9_4plusIiEE19head_flag_predicateiEE10hipError_tPvRmT2_T3_T4_T5_mT6_T7_P12ihipStream_tbENKUlT_T0_E_clISt17integral_constantIbLb1EESX_IbLb0EEEEDaST_SU_EUlST_E_NS1_11comp_targetILNS1_3genE10ELNS1_11target_archE1200ELNS1_3gpuE4ELNS1_3repE0EEENS1_30default_config_static_selectorELNS0_4arch9wavefront6targetE0EEEvT1_.uses_vcc, 0
	.set _ZN7rocprim17ROCPRIM_400000_NS6detail17trampoline_kernelINS0_14default_configENS1_27scan_by_key_config_selectorIiiEEZZNS1_16scan_by_key_implILNS1_25lookback_scan_determinismE0ELb0ES3_N6thrust23THRUST_200600_302600_NS6detail15normal_iteratorINS9_10device_ptrIiEEEESE_SE_iNS9_4plusIiEE19head_flag_predicateiEE10hipError_tPvRmT2_T3_T4_T5_mT6_T7_P12ihipStream_tbENKUlT_T0_E_clISt17integral_constantIbLb1EESX_IbLb0EEEEDaST_SU_EUlST_E_NS1_11comp_targetILNS1_3genE10ELNS1_11target_archE1200ELNS1_3gpuE4ELNS1_3repE0EEENS1_30default_config_static_selectorELNS0_4arch9wavefront6targetE0EEEvT1_.uses_flat_scratch, 0
	.set _ZN7rocprim17ROCPRIM_400000_NS6detail17trampoline_kernelINS0_14default_configENS1_27scan_by_key_config_selectorIiiEEZZNS1_16scan_by_key_implILNS1_25lookback_scan_determinismE0ELb0ES3_N6thrust23THRUST_200600_302600_NS6detail15normal_iteratorINS9_10device_ptrIiEEEESE_SE_iNS9_4plusIiEE19head_flag_predicateiEE10hipError_tPvRmT2_T3_T4_T5_mT6_T7_P12ihipStream_tbENKUlT_T0_E_clISt17integral_constantIbLb1EESX_IbLb0EEEEDaST_SU_EUlST_E_NS1_11comp_targetILNS1_3genE10ELNS1_11target_archE1200ELNS1_3gpuE4ELNS1_3repE0EEENS1_30default_config_static_selectorELNS0_4arch9wavefront6targetE0EEEvT1_.has_dyn_sized_stack, 0
	.set _ZN7rocprim17ROCPRIM_400000_NS6detail17trampoline_kernelINS0_14default_configENS1_27scan_by_key_config_selectorIiiEEZZNS1_16scan_by_key_implILNS1_25lookback_scan_determinismE0ELb0ES3_N6thrust23THRUST_200600_302600_NS6detail15normal_iteratorINS9_10device_ptrIiEEEESE_SE_iNS9_4plusIiEE19head_flag_predicateiEE10hipError_tPvRmT2_T3_T4_T5_mT6_T7_P12ihipStream_tbENKUlT_T0_E_clISt17integral_constantIbLb1EESX_IbLb0EEEEDaST_SU_EUlST_E_NS1_11comp_targetILNS1_3genE10ELNS1_11target_archE1200ELNS1_3gpuE4ELNS1_3repE0EEENS1_30default_config_static_selectorELNS0_4arch9wavefront6targetE0EEEvT1_.has_recursion, 0
	.set _ZN7rocprim17ROCPRIM_400000_NS6detail17trampoline_kernelINS0_14default_configENS1_27scan_by_key_config_selectorIiiEEZZNS1_16scan_by_key_implILNS1_25lookback_scan_determinismE0ELb0ES3_N6thrust23THRUST_200600_302600_NS6detail15normal_iteratorINS9_10device_ptrIiEEEESE_SE_iNS9_4plusIiEE19head_flag_predicateiEE10hipError_tPvRmT2_T3_T4_T5_mT6_T7_P12ihipStream_tbENKUlT_T0_E_clISt17integral_constantIbLb1EESX_IbLb0EEEEDaST_SU_EUlST_E_NS1_11comp_targetILNS1_3genE10ELNS1_11target_archE1200ELNS1_3gpuE4ELNS1_3repE0EEENS1_30default_config_static_selectorELNS0_4arch9wavefront6targetE0EEEvT1_.has_indirect_call, 0
	.section	.AMDGPU.csdata,"",@progbits
; Kernel info:
; codeLenInByte = 0
; TotalNumSgprs: 0
; NumVgprs: 0
; ScratchSize: 0
; MemoryBound: 0
; FloatMode: 240
; IeeeMode: 1
; LDSByteSize: 0 bytes/workgroup (compile time only)
; SGPRBlocks: 0
; VGPRBlocks: 0
; NumSGPRsForWavesPerEU: 1
; NumVGPRsForWavesPerEU: 1
; NamedBarCnt: 0
; Occupancy: 16
; WaveLimiterHint : 0
; COMPUTE_PGM_RSRC2:SCRATCH_EN: 0
; COMPUTE_PGM_RSRC2:USER_SGPR: 2
; COMPUTE_PGM_RSRC2:TRAP_HANDLER: 0
; COMPUTE_PGM_RSRC2:TGID_X_EN: 1
; COMPUTE_PGM_RSRC2:TGID_Y_EN: 0
; COMPUTE_PGM_RSRC2:TGID_Z_EN: 0
; COMPUTE_PGM_RSRC2:TIDIG_COMP_CNT: 0
	.section	.text._ZN7rocprim17ROCPRIM_400000_NS6detail17trampoline_kernelINS0_14default_configENS1_27scan_by_key_config_selectorIiiEEZZNS1_16scan_by_key_implILNS1_25lookback_scan_determinismE0ELb0ES3_N6thrust23THRUST_200600_302600_NS6detail15normal_iteratorINS9_10device_ptrIiEEEESE_SE_iNS9_4plusIiEE19head_flag_predicateiEE10hipError_tPvRmT2_T3_T4_T5_mT6_T7_P12ihipStream_tbENKUlT_T0_E_clISt17integral_constantIbLb1EESX_IbLb0EEEEDaST_SU_EUlST_E_NS1_11comp_targetILNS1_3genE9ELNS1_11target_archE1100ELNS1_3gpuE3ELNS1_3repE0EEENS1_30default_config_static_selectorELNS0_4arch9wavefront6targetE0EEEvT1_,"axG",@progbits,_ZN7rocprim17ROCPRIM_400000_NS6detail17trampoline_kernelINS0_14default_configENS1_27scan_by_key_config_selectorIiiEEZZNS1_16scan_by_key_implILNS1_25lookback_scan_determinismE0ELb0ES3_N6thrust23THRUST_200600_302600_NS6detail15normal_iteratorINS9_10device_ptrIiEEEESE_SE_iNS9_4plusIiEE19head_flag_predicateiEE10hipError_tPvRmT2_T3_T4_T5_mT6_T7_P12ihipStream_tbENKUlT_T0_E_clISt17integral_constantIbLb1EESX_IbLb0EEEEDaST_SU_EUlST_E_NS1_11comp_targetILNS1_3genE9ELNS1_11target_archE1100ELNS1_3gpuE3ELNS1_3repE0EEENS1_30default_config_static_selectorELNS0_4arch9wavefront6targetE0EEEvT1_,comdat
	.protected	_ZN7rocprim17ROCPRIM_400000_NS6detail17trampoline_kernelINS0_14default_configENS1_27scan_by_key_config_selectorIiiEEZZNS1_16scan_by_key_implILNS1_25lookback_scan_determinismE0ELb0ES3_N6thrust23THRUST_200600_302600_NS6detail15normal_iteratorINS9_10device_ptrIiEEEESE_SE_iNS9_4plusIiEE19head_flag_predicateiEE10hipError_tPvRmT2_T3_T4_T5_mT6_T7_P12ihipStream_tbENKUlT_T0_E_clISt17integral_constantIbLb1EESX_IbLb0EEEEDaST_SU_EUlST_E_NS1_11comp_targetILNS1_3genE9ELNS1_11target_archE1100ELNS1_3gpuE3ELNS1_3repE0EEENS1_30default_config_static_selectorELNS0_4arch9wavefront6targetE0EEEvT1_ ; -- Begin function _ZN7rocprim17ROCPRIM_400000_NS6detail17trampoline_kernelINS0_14default_configENS1_27scan_by_key_config_selectorIiiEEZZNS1_16scan_by_key_implILNS1_25lookback_scan_determinismE0ELb0ES3_N6thrust23THRUST_200600_302600_NS6detail15normal_iteratorINS9_10device_ptrIiEEEESE_SE_iNS9_4plusIiEE19head_flag_predicateiEE10hipError_tPvRmT2_T3_T4_T5_mT6_T7_P12ihipStream_tbENKUlT_T0_E_clISt17integral_constantIbLb1EESX_IbLb0EEEEDaST_SU_EUlST_E_NS1_11comp_targetILNS1_3genE9ELNS1_11target_archE1100ELNS1_3gpuE3ELNS1_3repE0EEENS1_30default_config_static_selectorELNS0_4arch9wavefront6targetE0EEEvT1_
	.globl	_ZN7rocprim17ROCPRIM_400000_NS6detail17trampoline_kernelINS0_14default_configENS1_27scan_by_key_config_selectorIiiEEZZNS1_16scan_by_key_implILNS1_25lookback_scan_determinismE0ELb0ES3_N6thrust23THRUST_200600_302600_NS6detail15normal_iteratorINS9_10device_ptrIiEEEESE_SE_iNS9_4plusIiEE19head_flag_predicateiEE10hipError_tPvRmT2_T3_T4_T5_mT6_T7_P12ihipStream_tbENKUlT_T0_E_clISt17integral_constantIbLb1EESX_IbLb0EEEEDaST_SU_EUlST_E_NS1_11comp_targetILNS1_3genE9ELNS1_11target_archE1100ELNS1_3gpuE3ELNS1_3repE0EEENS1_30default_config_static_selectorELNS0_4arch9wavefront6targetE0EEEvT1_
	.p2align	8
	.type	_ZN7rocprim17ROCPRIM_400000_NS6detail17trampoline_kernelINS0_14default_configENS1_27scan_by_key_config_selectorIiiEEZZNS1_16scan_by_key_implILNS1_25lookback_scan_determinismE0ELb0ES3_N6thrust23THRUST_200600_302600_NS6detail15normal_iteratorINS9_10device_ptrIiEEEESE_SE_iNS9_4plusIiEE19head_flag_predicateiEE10hipError_tPvRmT2_T3_T4_T5_mT6_T7_P12ihipStream_tbENKUlT_T0_E_clISt17integral_constantIbLb1EESX_IbLb0EEEEDaST_SU_EUlST_E_NS1_11comp_targetILNS1_3genE9ELNS1_11target_archE1100ELNS1_3gpuE3ELNS1_3repE0EEENS1_30default_config_static_selectorELNS0_4arch9wavefront6targetE0EEEvT1_,@function
_ZN7rocprim17ROCPRIM_400000_NS6detail17trampoline_kernelINS0_14default_configENS1_27scan_by_key_config_selectorIiiEEZZNS1_16scan_by_key_implILNS1_25lookback_scan_determinismE0ELb0ES3_N6thrust23THRUST_200600_302600_NS6detail15normal_iteratorINS9_10device_ptrIiEEEESE_SE_iNS9_4plusIiEE19head_flag_predicateiEE10hipError_tPvRmT2_T3_T4_T5_mT6_T7_P12ihipStream_tbENKUlT_T0_E_clISt17integral_constantIbLb1EESX_IbLb0EEEEDaST_SU_EUlST_E_NS1_11comp_targetILNS1_3genE9ELNS1_11target_archE1100ELNS1_3gpuE3ELNS1_3repE0EEENS1_30default_config_static_selectorELNS0_4arch9wavefront6targetE0EEEvT1_: ; @_ZN7rocprim17ROCPRIM_400000_NS6detail17trampoline_kernelINS0_14default_configENS1_27scan_by_key_config_selectorIiiEEZZNS1_16scan_by_key_implILNS1_25lookback_scan_determinismE0ELb0ES3_N6thrust23THRUST_200600_302600_NS6detail15normal_iteratorINS9_10device_ptrIiEEEESE_SE_iNS9_4plusIiEE19head_flag_predicateiEE10hipError_tPvRmT2_T3_T4_T5_mT6_T7_P12ihipStream_tbENKUlT_T0_E_clISt17integral_constantIbLb1EESX_IbLb0EEEEDaST_SU_EUlST_E_NS1_11comp_targetILNS1_3genE9ELNS1_11target_archE1100ELNS1_3gpuE3ELNS1_3repE0EEENS1_30default_config_static_selectorELNS0_4arch9wavefront6targetE0EEEvT1_
; %bb.0:
	.section	.rodata,"a",@progbits
	.p2align	6, 0x0
	.amdhsa_kernel _ZN7rocprim17ROCPRIM_400000_NS6detail17trampoline_kernelINS0_14default_configENS1_27scan_by_key_config_selectorIiiEEZZNS1_16scan_by_key_implILNS1_25lookback_scan_determinismE0ELb0ES3_N6thrust23THRUST_200600_302600_NS6detail15normal_iteratorINS9_10device_ptrIiEEEESE_SE_iNS9_4plusIiEE19head_flag_predicateiEE10hipError_tPvRmT2_T3_T4_T5_mT6_T7_P12ihipStream_tbENKUlT_T0_E_clISt17integral_constantIbLb1EESX_IbLb0EEEEDaST_SU_EUlST_E_NS1_11comp_targetILNS1_3genE9ELNS1_11target_archE1100ELNS1_3gpuE3ELNS1_3repE0EEENS1_30default_config_static_selectorELNS0_4arch9wavefront6targetE0EEEvT1_
		.amdhsa_group_segment_fixed_size 0
		.amdhsa_private_segment_fixed_size 0
		.amdhsa_kernarg_size 112
		.amdhsa_user_sgpr_count 2
		.amdhsa_user_sgpr_dispatch_ptr 0
		.amdhsa_user_sgpr_queue_ptr 0
		.amdhsa_user_sgpr_kernarg_segment_ptr 1
		.amdhsa_user_sgpr_dispatch_id 0
		.amdhsa_user_sgpr_kernarg_preload_length 0
		.amdhsa_user_sgpr_kernarg_preload_offset 0
		.amdhsa_user_sgpr_private_segment_size 0
		.amdhsa_wavefront_size32 1
		.amdhsa_uses_dynamic_stack 0
		.amdhsa_enable_private_segment 0
		.amdhsa_system_sgpr_workgroup_id_x 1
		.amdhsa_system_sgpr_workgroup_id_y 0
		.amdhsa_system_sgpr_workgroup_id_z 0
		.amdhsa_system_sgpr_workgroup_info 0
		.amdhsa_system_vgpr_workitem_id 0
		.amdhsa_next_free_vgpr 1
		.amdhsa_next_free_sgpr 1
		.amdhsa_named_barrier_count 0
		.amdhsa_reserve_vcc 0
		.amdhsa_float_round_mode_32 0
		.amdhsa_float_round_mode_16_64 0
		.amdhsa_float_denorm_mode_32 3
		.amdhsa_float_denorm_mode_16_64 3
		.amdhsa_fp16_overflow 0
		.amdhsa_memory_ordered 1
		.amdhsa_forward_progress 1
		.amdhsa_inst_pref_size 0
		.amdhsa_round_robin_scheduling 0
		.amdhsa_exception_fp_ieee_invalid_op 0
		.amdhsa_exception_fp_denorm_src 0
		.amdhsa_exception_fp_ieee_div_zero 0
		.amdhsa_exception_fp_ieee_overflow 0
		.amdhsa_exception_fp_ieee_underflow 0
		.amdhsa_exception_fp_ieee_inexact 0
		.amdhsa_exception_int_div_zero 0
	.end_amdhsa_kernel
	.section	.text._ZN7rocprim17ROCPRIM_400000_NS6detail17trampoline_kernelINS0_14default_configENS1_27scan_by_key_config_selectorIiiEEZZNS1_16scan_by_key_implILNS1_25lookback_scan_determinismE0ELb0ES3_N6thrust23THRUST_200600_302600_NS6detail15normal_iteratorINS9_10device_ptrIiEEEESE_SE_iNS9_4plusIiEE19head_flag_predicateiEE10hipError_tPvRmT2_T3_T4_T5_mT6_T7_P12ihipStream_tbENKUlT_T0_E_clISt17integral_constantIbLb1EESX_IbLb0EEEEDaST_SU_EUlST_E_NS1_11comp_targetILNS1_3genE9ELNS1_11target_archE1100ELNS1_3gpuE3ELNS1_3repE0EEENS1_30default_config_static_selectorELNS0_4arch9wavefront6targetE0EEEvT1_,"axG",@progbits,_ZN7rocprim17ROCPRIM_400000_NS6detail17trampoline_kernelINS0_14default_configENS1_27scan_by_key_config_selectorIiiEEZZNS1_16scan_by_key_implILNS1_25lookback_scan_determinismE0ELb0ES3_N6thrust23THRUST_200600_302600_NS6detail15normal_iteratorINS9_10device_ptrIiEEEESE_SE_iNS9_4plusIiEE19head_flag_predicateiEE10hipError_tPvRmT2_T3_T4_T5_mT6_T7_P12ihipStream_tbENKUlT_T0_E_clISt17integral_constantIbLb1EESX_IbLb0EEEEDaST_SU_EUlST_E_NS1_11comp_targetILNS1_3genE9ELNS1_11target_archE1100ELNS1_3gpuE3ELNS1_3repE0EEENS1_30default_config_static_selectorELNS0_4arch9wavefront6targetE0EEEvT1_,comdat
.Lfunc_end774:
	.size	_ZN7rocprim17ROCPRIM_400000_NS6detail17trampoline_kernelINS0_14default_configENS1_27scan_by_key_config_selectorIiiEEZZNS1_16scan_by_key_implILNS1_25lookback_scan_determinismE0ELb0ES3_N6thrust23THRUST_200600_302600_NS6detail15normal_iteratorINS9_10device_ptrIiEEEESE_SE_iNS9_4plusIiEE19head_flag_predicateiEE10hipError_tPvRmT2_T3_T4_T5_mT6_T7_P12ihipStream_tbENKUlT_T0_E_clISt17integral_constantIbLb1EESX_IbLb0EEEEDaST_SU_EUlST_E_NS1_11comp_targetILNS1_3genE9ELNS1_11target_archE1100ELNS1_3gpuE3ELNS1_3repE0EEENS1_30default_config_static_selectorELNS0_4arch9wavefront6targetE0EEEvT1_, .Lfunc_end774-_ZN7rocprim17ROCPRIM_400000_NS6detail17trampoline_kernelINS0_14default_configENS1_27scan_by_key_config_selectorIiiEEZZNS1_16scan_by_key_implILNS1_25lookback_scan_determinismE0ELb0ES3_N6thrust23THRUST_200600_302600_NS6detail15normal_iteratorINS9_10device_ptrIiEEEESE_SE_iNS9_4plusIiEE19head_flag_predicateiEE10hipError_tPvRmT2_T3_T4_T5_mT6_T7_P12ihipStream_tbENKUlT_T0_E_clISt17integral_constantIbLb1EESX_IbLb0EEEEDaST_SU_EUlST_E_NS1_11comp_targetILNS1_3genE9ELNS1_11target_archE1100ELNS1_3gpuE3ELNS1_3repE0EEENS1_30default_config_static_selectorELNS0_4arch9wavefront6targetE0EEEvT1_
                                        ; -- End function
	.set _ZN7rocprim17ROCPRIM_400000_NS6detail17trampoline_kernelINS0_14default_configENS1_27scan_by_key_config_selectorIiiEEZZNS1_16scan_by_key_implILNS1_25lookback_scan_determinismE0ELb0ES3_N6thrust23THRUST_200600_302600_NS6detail15normal_iteratorINS9_10device_ptrIiEEEESE_SE_iNS9_4plusIiEE19head_flag_predicateiEE10hipError_tPvRmT2_T3_T4_T5_mT6_T7_P12ihipStream_tbENKUlT_T0_E_clISt17integral_constantIbLb1EESX_IbLb0EEEEDaST_SU_EUlST_E_NS1_11comp_targetILNS1_3genE9ELNS1_11target_archE1100ELNS1_3gpuE3ELNS1_3repE0EEENS1_30default_config_static_selectorELNS0_4arch9wavefront6targetE0EEEvT1_.num_vgpr, 0
	.set _ZN7rocprim17ROCPRIM_400000_NS6detail17trampoline_kernelINS0_14default_configENS1_27scan_by_key_config_selectorIiiEEZZNS1_16scan_by_key_implILNS1_25lookback_scan_determinismE0ELb0ES3_N6thrust23THRUST_200600_302600_NS6detail15normal_iteratorINS9_10device_ptrIiEEEESE_SE_iNS9_4plusIiEE19head_flag_predicateiEE10hipError_tPvRmT2_T3_T4_T5_mT6_T7_P12ihipStream_tbENKUlT_T0_E_clISt17integral_constantIbLb1EESX_IbLb0EEEEDaST_SU_EUlST_E_NS1_11comp_targetILNS1_3genE9ELNS1_11target_archE1100ELNS1_3gpuE3ELNS1_3repE0EEENS1_30default_config_static_selectorELNS0_4arch9wavefront6targetE0EEEvT1_.num_agpr, 0
	.set _ZN7rocprim17ROCPRIM_400000_NS6detail17trampoline_kernelINS0_14default_configENS1_27scan_by_key_config_selectorIiiEEZZNS1_16scan_by_key_implILNS1_25lookback_scan_determinismE0ELb0ES3_N6thrust23THRUST_200600_302600_NS6detail15normal_iteratorINS9_10device_ptrIiEEEESE_SE_iNS9_4plusIiEE19head_flag_predicateiEE10hipError_tPvRmT2_T3_T4_T5_mT6_T7_P12ihipStream_tbENKUlT_T0_E_clISt17integral_constantIbLb1EESX_IbLb0EEEEDaST_SU_EUlST_E_NS1_11comp_targetILNS1_3genE9ELNS1_11target_archE1100ELNS1_3gpuE3ELNS1_3repE0EEENS1_30default_config_static_selectorELNS0_4arch9wavefront6targetE0EEEvT1_.numbered_sgpr, 0
	.set _ZN7rocprim17ROCPRIM_400000_NS6detail17trampoline_kernelINS0_14default_configENS1_27scan_by_key_config_selectorIiiEEZZNS1_16scan_by_key_implILNS1_25lookback_scan_determinismE0ELb0ES3_N6thrust23THRUST_200600_302600_NS6detail15normal_iteratorINS9_10device_ptrIiEEEESE_SE_iNS9_4plusIiEE19head_flag_predicateiEE10hipError_tPvRmT2_T3_T4_T5_mT6_T7_P12ihipStream_tbENKUlT_T0_E_clISt17integral_constantIbLb1EESX_IbLb0EEEEDaST_SU_EUlST_E_NS1_11comp_targetILNS1_3genE9ELNS1_11target_archE1100ELNS1_3gpuE3ELNS1_3repE0EEENS1_30default_config_static_selectorELNS0_4arch9wavefront6targetE0EEEvT1_.num_named_barrier, 0
	.set _ZN7rocprim17ROCPRIM_400000_NS6detail17trampoline_kernelINS0_14default_configENS1_27scan_by_key_config_selectorIiiEEZZNS1_16scan_by_key_implILNS1_25lookback_scan_determinismE0ELb0ES3_N6thrust23THRUST_200600_302600_NS6detail15normal_iteratorINS9_10device_ptrIiEEEESE_SE_iNS9_4plusIiEE19head_flag_predicateiEE10hipError_tPvRmT2_T3_T4_T5_mT6_T7_P12ihipStream_tbENKUlT_T0_E_clISt17integral_constantIbLb1EESX_IbLb0EEEEDaST_SU_EUlST_E_NS1_11comp_targetILNS1_3genE9ELNS1_11target_archE1100ELNS1_3gpuE3ELNS1_3repE0EEENS1_30default_config_static_selectorELNS0_4arch9wavefront6targetE0EEEvT1_.private_seg_size, 0
	.set _ZN7rocprim17ROCPRIM_400000_NS6detail17trampoline_kernelINS0_14default_configENS1_27scan_by_key_config_selectorIiiEEZZNS1_16scan_by_key_implILNS1_25lookback_scan_determinismE0ELb0ES3_N6thrust23THRUST_200600_302600_NS6detail15normal_iteratorINS9_10device_ptrIiEEEESE_SE_iNS9_4plusIiEE19head_flag_predicateiEE10hipError_tPvRmT2_T3_T4_T5_mT6_T7_P12ihipStream_tbENKUlT_T0_E_clISt17integral_constantIbLb1EESX_IbLb0EEEEDaST_SU_EUlST_E_NS1_11comp_targetILNS1_3genE9ELNS1_11target_archE1100ELNS1_3gpuE3ELNS1_3repE0EEENS1_30default_config_static_selectorELNS0_4arch9wavefront6targetE0EEEvT1_.uses_vcc, 0
	.set _ZN7rocprim17ROCPRIM_400000_NS6detail17trampoline_kernelINS0_14default_configENS1_27scan_by_key_config_selectorIiiEEZZNS1_16scan_by_key_implILNS1_25lookback_scan_determinismE0ELb0ES3_N6thrust23THRUST_200600_302600_NS6detail15normal_iteratorINS9_10device_ptrIiEEEESE_SE_iNS9_4plusIiEE19head_flag_predicateiEE10hipError_tPvRmT2_T3_T4_T5_mT6_T7_P12ihipStream_tbENKUlT_T0_E_clISt17integral_constantIbLb1EESX_IbLb0EEEEDaST_SU_EUlST_E_NS1_11comp_targetILNS1_3genE9ELNS1_11target_archE1100ELNS1_3gpuE3ELNS1_3repE0EEENS1_30default_config_static_selectorELNS0_4arch9wavefront6targetE0EEEvT1_.uses_flat_scratch, 0
	.set _ZN7rocprim17ROCPRIM_400000_NS6detail17trampoline_kernelINS0_14default_configENS1_27scan_by_key_config_selectorIiiEEZZNS1_16scan_by_key_implILNS1_25lookback_scan_determinismE0ELb0ES3_N6thrust23THRUST_200600_302600_NS6detail15normal_iteratorINS9_10device_ptrIiEEEESE_SE_iNS9_4plusIiEE19head_flag_predicateiEE10hipError_tPvRmT2_T3_T4_T5_mT6_T7_P12ihipStream_tbENKUlT_T0_E_clISt17integral_constantIbLb1EESX_IbLb0EEEEDaST_SU_EUlST_E_NS1_11comp_targetILNS1_3genE9ELNS1_11target_archE1100ELNS1_3gpuE3ELNS1_3repE0EEENS1_30default_config_static_selectorELNS0_4arch9wavefront6targetE0EEEvT1_.has_dyn_sized_stack, 0
	.set _ZN7rocprim17ROCPRIM_400000_NS6detail17trampoline_kernelINS0_14default_configENS1_27scan_by_key_config_selectorIiiEEZZNS1_16scan_by_key_implILNS1_25lookback_scan_determinismE0ELb0ES3_N6thrust23THRUST_200600_302600_NS6detail15normal_iteratorINS9_10device_ptrIiEEEESE_SE_iNS9_4plusIiEE19head_flag_predicateiEE10hipError_tPvRmT2_T3_T4_T5_mT6_T7_P12ihipStream_tbENKUlT_T0_E_clISt17integral_constantIbLb1EESX_IbLb0EEEEDaST_SU_EUlST_E_NS1_11comp_targetILNS1_3genE9ELNS1_11target_archE1100ELNS1_3gpuE3ELNS1_3repE0EEENS1_30default_config_static_selectorELNS0_4arch9wavefront6targetE0EEEvT1_.has_recursion, 0
	.set _ZN7rocprim17ROCPRIM_400000_NS6detail17trampoline_kernelINS0_14default_configENS1_27scan_by_key_config_selectorIiiEEZZNS1_16scan_by_key_implILNS1_25lookback_scan_determinismE0ELb0ES3_N6thrust23THRUST_200600_302600_NS6detail15normal_iteratorINS9_10device_ptrIiEEEESE_SE_iNS9_4plusIiEE19head_flag_predicateiEE10hipError_tPvRmT2_T3_T4_T5_mT6_T7_P12ihipStream_tbENKUlT_T0_E_clISt17integral_constantIbLb1EESX_IbLb0EEEEDaST_SU_EUlST_E_NS1_11comp_targetILNS1_3genE9ELNS1_11target_archE1100ELNS1_3gpuE3ELNS1_3repE0EEENS1_30default_config_static_selectorELNS0_4arch9wavefront6targetE0EEEvT1_.has_indirect_call, 0
	.section	.AMDGPU.csdata,"",@progbits
; Kernel info:
; codeLenInByte = 0
; TotalNumSgprs: 0
; NumVgprs: 0
; ScratchSize: 0
; MemoryBound: 0
; FloatMode: 240
; IeeeMode: 1
; LDSByteSize: 0 bytes/workgroup (compile time only)
; SGPRBlocks: 0
; VGPRBlocks: 0
; NumSGPRsForWavesPerEU: 1
; NumVGPRsForWavesPerEU: 1
; NamedBarCnt: 0
; Occupancy: 16
; WaveLimiterHint : 0
; COMPUTE_PGM_RSRC2:SCRATCH_EN: 0
; COMPUTE_PGM_RSRC2:USER_SGPR: 2
; COMPUTE_PGM_RSRC2:TRAP_HANDLER: 0
; COMPUTE_PGM_RSRC2:TGID_X_EN: 1
; COMPUTE_PGM_RSRC2:TGID_Y_EN: 0
; COMPUTE_PGM_RSRC2:TGID_Z_EN: 0
; COMPUTE_PGM_RSRC2:TIDIG_COMP_CNT: 0
	.section	.text._ZN7rocprim17ROCPRIM_400000_NS6detail17trampoline_kernelINS0_14default_configENS1_27scan_by_key_config_selectorIiiEEZZNS1_16scan_by_key_implILNS1_25lookback_scan_determinismE0ELb0ES3_N6thrust23THRUST_200600_302600_NS6detail15normal_iteratorINS9_10device_ptrIiEEEESE_SE_iNS9_4plusIiEE19head_flag_predicateiEE10hipError_tPvRmT2_T3_T4_T5_mT6_T7_P12ihipStream_tbENKUlT_T0_E_clISt17integral_constantIbLb1EESX_IbLb0EEEEDaST_SU_EUlST_E_NS1_11comp_targetILNS1_3genE8ELNS1_11target_archE1030ELNS1_3gpuE2ELNS1_3repE0EEENS1_30default_config_static_selectorELNS0_4arch9wavefront6targetE0EEEvT1_,"axG",@progbits,_ZN7rocprim17ROCPRIM_400000_NS6detail17trampoline_kernelINS0_14default_configENS1_27scan_by_key_config_selectorIiiEEZZNS1_16scan_by_key_implILNS1_25lookback_scan_determinismE0ELb0ES3_N6thrust23THRUST_200600_302600_NS6detail15normal_iteratorINS9_10device_ptrIiEEEESE_SE_iNS9_4plusIiEE19head_flag_predicateiEE10hipError_tPvRmT2_T3_T4_T5_mT6_T7_P12ihipStream_tbENKUlT_T0_E_clISt17integral_constantIbLb1EESX_IbLb0EEEEDaST_SU_EUlST_E_NS1_11comp_targetILNS1_3genE8ELNS1_11target_archE1030ELNS1_3gpuE2ELNS1_3repE0EEENS1_30default_config_static_selectorELNS0_4arch9wavefront6targetE0EEEvT1_,comdat
	.protected	_ZN7rocprim17ROCPRIM_400000_NS6detail17trampoline_kernelINS0_14default_configENS1_27scan_by_key_config_selectorIiiEEZZNS1_16scan_by_key_implILNS1_25lookback_scan_determinismE0ELb0ES3_N6thrust23THRUST_200600_302600_NS6detail15normal_iteratorINS9_10device_ptrIiEEEESE_SE_iNS9_4plusIiEE19head_flag_predicateiEE10hipError_tPvRmT2_T3_T4_T5_mT6_T7_P12ihipStream_tbENKUlT_T0_E_clISt17integral_constantIbLb1EESX_IbLb0EEEEDaST_SU_EUlST_E_NS1_11comp_targetILNS1_3genE8ELNS1_11target_archE1030ELNS1_3gpuE2ELNS1_3repE0EEENS1_30default_config_static_selectorELNS0_4arch9wavefront6targetE0EEEvT1_ ; -- Begin function _ZN7rocprim17ROCPRIM_400000_NS6detail17trampoline_kernelINS0_14default_configENS1_27scan_by_key_config_selectorIiiEEZZNS1_16scan_by_key_implILNS1_25lookback_scan_determinismE0ELb0ES3_N6thrust23THRUST_200600_302600_NS6detail15normal_iteratorINS9_10device_ptrIiEEEESE_SE_iNS9_4plusIiEE19head_flag_predicateiEE10hipError_tPvRmT2_T3_T4_T5_mT6_T7_P12ihipStream_tbENKUlT_T0_E_clISt17integral_constantIbLb1EESX_IbLb0EEEEDaST_SU_EUlST_E_NS1_11comp_targetILNS1_3genE8ELNS1_11target_archE1030ELNS1_3gpuE2ELNS1_3repE0EEENS1_30default_config_static_selectorELNS0_4arch9wavefront6targetE0EEEvT1_
	.globl	_ZN7rocprim17ROCPRIM_400000_NS6detail17trampoline_kernelINS0_14default_configENS1_27scan_by_key_config_selectorIiiEEZZNS1_16scan_by_key_implILNS1_25lookback_scan_determinismE0ELb0ES3_N6thrust23THRUST_200600_302600_NS6detail15normal_iteratorINS9_10device_ptrIiEEEESE_SE_iNS9_4plusIiEE19head_flag_predicateiEE10hipError_tPvRmT2_T3_T4_T5_mT6_T7_P12ihipStream_tbENKUlT_T0_E_clISt17integral_constantIbLb1EESX_IbLb0EEEEDaST_SU_EUlST_E_NS1_11comp_targetILNS1_3genE8ELNS1_11target_archE1030ELNS1_3gpuE2ELNS1_3repE0EEENS1_30default_config_static_selectorELNS0_4arch9wavefront6targetE0EEEvT1_
	.p2align	8
	.type	_ZN7rocprim17ROCPRIM_400000_NS6detail17trampoline_kernelINS0_14default_configENS1_27scan_by_key_config_selectorIiiEEZZNS1_16scan_by_key_implILNS1_25lookback_scan_determinismE0ELb0ES3_N6thrust23THRUST_200600_302600_NS6detail15normal_iteratorINS9_10device_ptrIiEEEESE_SE_iNS9_4plusIiEE19head_flag_predicateiEE10hipError_tPvRmT2_T3_T4_T5_mT6_T7_P12ihipStream_tbENKUlT_T0_E_clISt17integral_constantIbLb1EESX_IbLb0EEEEDaST_SU_EUlST_E_NS1_11comp_targetILNS1_3genE8ELNS1_11target_archE1030ELNS1_3gpuE2ELNS1_3repE0EEENS1_30default_config_static_selectorELNS0_4arch9wavefront6targetE0EEEvT1_,@function
_ZN7rocprim17ROCPRIM_400000_NS6detail17trampoline_kernelINS0_14default_configENS1_27scan_by_key_config_selectorIiiEEZZNS1_16scan_by_key_implILNS1_25lookback_scan_determinismE0ELb0ES3_N6thrust23THRUST_200600_302600_NS6detail15normal_iteratorINS9_10device_ptrIiEEEESE_SE_iNS9_4plusIiEE19head_flag_predicateiEE10hipError_tPvRmT2_T3_T4_T5_mT6_T7_P12ihipStream_tbENKUlT_T0_E_clISt17integral_constantIbLb1EESX_IbLb0EEEEDaST_SU_EUlST_E_NS1_11comp_targetILNS1_3genE8ELNS1_11target_archE1030ELNS1_3gpuE2ELNS1_3repE0EEENS1_30default_config_static_selectorELNS0_4arch9wavefront6targetE0EEEvT1_: ; @_ZN7rocprim17ROCPRIM_400000_NS6detail17trampoline_kernelINS0_14default_configENS1_27scan_by_key_config_selectorIiiEEZZNS1_16scan_by_key_implILNS1_25lookback_scan_determinismE0ELb0ES3_N6thrust23THRUST_200600_302600_NS6detail15normal_iteratorINS9_10device_ptrIiEEEESE_SE_iNS9_4plusIiEE19head_flag_predicateiEE10hipError_tPvRmT2_T3_T4_T5_mT6_T7_P12ihipStream_tbENKUlT_T0_E_clISt17integral_constantIbLb1EESX_IbLb0EEEEDaST_SU_EUlST_E_NS1_11comp_targetILNS1_3genE8ELNS1_11target_archE1030ELNS1_3gpuE2ELNS1_3repE0EEENS1_30default_config_static_selectorELNS0_4arch9wavefront6targetE0EEEvT1_
; %bb.0:
	.section	.rodata,"a",@progbits
	.p2align	6, 0x0
	.amdhsa_kernel _ZN7rocprim17ROCPRIM_400000_NS6detail17trampoline_kernelINS0_14default_configENS1_27scan_by_key_config_selectorIiiEEZZNS1_16scan_by_key_implILNS1_25lookback_scan_determinismE0ELb0ES3_N6thrust23THRUST_200600_302600_NS6detail15normal_iteratorINS9_10device_ptrIiEEEESE_SE_iNS9_4plusIiEE19head_flag_predicateiEE10hipError_tPvRmT2_T3_T4_T5_mT6_T7_P12ihipStream_tbENKUlT_T0_E_clISt17integral_constantIbLb1EESX_IbLb0EEEEDaST_SU_EUlST_E_NS1_11comp_targetILNS1_3genE8ELNS1_11target_archE1030ELNS1_3gpuE2ELNS1_3repE0EEENS1_30default_config_static_selectorELNS0_4arch9wavefront6targetE0EEEvT1_
		.amdhsa_group_segment_fixed_size 0
		.amdhsa_private_segment_fixed_size 0
		.amdhsa_kernarg_size 112
		.amdhsa_user_sgpr_count 2
		.amdhsa_user_sgpr_dispatch_ptr 0
		.amdhsa_user_sgpr_queue_ptr 0
		.amdhsa_user_sgpr_kernarg_segment_ptr 1
		.amdhsa_user_sgpr_dispatch_id 0
		.amdhsa_user_sgpr_kernarg_preload_length 0
		.amdhsa_user_sgpr_kernarg_preload_offset 0
		.amdhsa_user_sgpr_private_segment_size 0
		.amdhsa_wavefront_size32 1
		.amdhsa_uses_dynamic_stack 0
		.amdhsa_enable_private_segment 0
		.amdhsa_system_sgpr_workgroup_id_x 1
		.amdhsa_system_sgpr_workgroup_id_y 0
		.amdhsa_system_sgpr_workgroup_id_z 0
		.amdhsa_system_sgpr_workgroup_info 0
		.amdhsa_system_vgpr_workitem_id 0
		.amdhsa_next_free_vgpr 1
		.amdhsa_next_free_sgpr 1
		.amdhsa_named_barrier_count 0
		.amdhsa_reserve_vcc 0
		.amdhsa_float_round_mode_32 0
		.amdhsa_float_round_mode_16_64 0
		.amdhsa_float_denorm_mode_32 3
		.amdhsa_float_denorm_mode_16_64 3
		.amdhsa_fp16_overflow 0
		.amdhsa_memory_ordered 1
		.amdhsa_forward_progress 1
		.amdhsa_inst_pref_size 0
		.amdhsa_round_robin_scheduling 0
		.amdhsa_exception_fp_ieee_invalid_op 0
		.amdhsa_exception_fp_denorm_src 0
		.amdhsa_exception_fp_ieee_div_zero 0
		.amdhsa_exception_fp_ieee_overflow 0
		.amdhsa_exception_fp_ieee_underflow 0
		.amdhsa_exception_fp_ieee_inexact 0
		.amdhsa_exception_int_div_zero 0
	.end_amdhsa_kernel
	.section	.text._ZN7rocprim17ROCPRIM_400000_NS6detail17trampoline_kernelINS0_14default_configENS1_27scan_by_key_config_selectorIiiEEZZNS1_16scan_by_key_implILNS1_25lookback_scan_determinismE0ELb0ES3_N6thrust23THRUST_200600_302600_NS6detail15normal_iteratorINS9_10device_ptrIiEEEESE_SE_iNS9_4plusIiEE19head_flag_predicateiEE10hipError_tPvRmT2_T3_T4_T5_mT6_T7_P12ihipStream_tbENKUlT_T0_E_clISt17integral_constantIbLb1EESX_IbLb0EEEEDaST_SU_EUlST_E_NS1_11comp_targetILNS1_3genE8ELNS1_11target_archE1030ELNS1_3gpuE2ELNS1_3repE0EEENS1_30default_config_static_selectorELNS0_4arch9wavefront6targetE0EEEvT1_,"axG",@progbits,_ZN7rocprim17ROCPRIM_400000_NS6detail17trampoline_kernelINS0_14default_configENS1_27scan_by_key_config_selectorIiiEEZZNS1_16scan_by_key_implILNS1_25lookback_scan_determinismE0ELb0ES3_N6thrust23THRUST_200600_302600_NS6detail15normal_iteratorINS9_10device_ptrIiEEEESE_SE_iNS9_4plusIiEE19head_flag_predicateiEE10hipError_tPvRmT2_T3_T4_T5_mT6_T7_P12ihipStream_tbENKUlT_T0_E_clISt17integral_constantIbLb1EESX_IbLb0EEEEDaST_SU_EUlST_E_NS1_11comp_targetILNS1_3genE8ELNS1_11target_archE1030ELNS1_3gpuE2ELNS1_3repE0EEENS1_30default_config_static_selectorELNS0_4arch9wavefront6targetE0EEEvT1_,comdat
.Lfunc_end775:
	.size	_ZN7rocprim17ROCPRIM_400000_NS6detail17trampoline_kernelINS0_14default_configENS1_27scan_by_key_config_selectorIiiEEZZNS1_16scan_by_key_implILNS1_25lookback_scan_determinismE0ELb0ES3_N6thrust23THRUST_200600_302600_NS6detail15normal_iteratorINS9_10device_ptrIiEEEESE_SE_iNS9_4plusIiEE19head_flag_predicateiEE10hipError_tPvRmT2_T3_T4_T5_mT6_T7_P12ihipStream_tbENKUlT_T0_E_clISt17integral_constantIbLb1EESX_IbLb0EEEEDaST_SU_EUlST_E_NS1_11comp_targetILNS1_3genE8ELNS1_11target_archE1030ELNS1_3gpuE2ELNS1_3repE0EEENS1_30default_config_static_selectorELNS0_4arch9wavefront6targetE0EEEvT1_, .Lfunc_end775-_ZN7rocprim17ROCPRIM_400000_NS6detail17trampoline_kernelINS0_14default_configENS1_27scan_by_key_config_selectorIiiEEZZNS1_16scan_by_key_implILNS1_25lookback_scan_determinismE0ELb0ES3_N6thrust23THRUST_200600_302600_NS6detail15normal_iteratorINS9_10device_ptrIiEEEESE_SE_iNS9_4plusIiEE19head_flag_predicateiEE10hipError_tPvRmT2_T3_T4_T5_mT6_T7_P12ihipStream_tbENKUlT_T0_E_clISt17integral_constantIbLb1EESX_IbLb0EEEEDaST_SU_EUlST_E_NS1_11comp_targetILNS1_3genE8ELNS1_11target_archE1030ELNS1_3gpuE2ELNS1_3repE0EEENS1_30default_config_static_selectorELNS0_4arch9wavefront6targetE0EEEvT1_
                                        ; -- End function
	.set _ZN7rocprim17ROCPRIM_400000_NS6detail17trampoline_kernelINS0_14default_configENS1_27scan_by_key_config_selectorIiiEEZZNS1_16scan_by_key_implILNS1_25lookback_scan_determinismE0ELb0ES3_N6thrust23THRUST_200600_302600_NS6detail15normal_iteratorINS9_10device_ptrIiEEEESE_SE_iNS9_4plusIiEE19head_flag_predicateiEE10hipError_tPvRmT2_T3_T4_T5_mT6_T7_P12ihipStream_tbENKUlT_T0_E_clISt17integral_constantIbLb1EESX_IbLb0EEEEDaST_SU_EUlST_E_NS1_11comp_targetILNS1_3genE8ELNS1_11target_archE1030ELNS1_3gpuE2ELNS1_3repE0EEENS1_30default_config_static_selectorELNS0_4arch9wavefront6targetE0EEEvT1_.num_vgpr, 0
	.set _ZN7rocprim17ROCPRIM_400000_NS6detail17trampoline_kernelINS0_14default_configENS1_27scan_by_key_config_selectorIiiEEZZNS1_16scan_by_key_implILNS1_25lookback_scan_determinismE0ELb0ES3_N6thrust23THRUST_200600_302600_NS6detail15normal_iteratorINS9_10device_ptrIiEEEESE_SE_iNS9_4plusIiEE19head_flag_predicateiEE10hipError_tPvRmT2_T3_T4_T5_mT6_T7_P12ihipStream_tbENKUlT_T0_E_clISt17integral_constantIbLb1EESX_IbLb0EEEEDaST_SU_EUlST_E_NS1_11comp_targetILNS1_3genE8ELNS1_11target_archE1030ELNS1_3gpuE2ELNS1_3repE0EEENS1_30default_config_static_selectorELNS0_4arch9wavefront6targetE0EEEvT1_.num_agpr, 0
	.set _ZN7rocprim17ROCPRIM_400000_NS6detail17trampoline_kernelINS0_14default_configENS1_27scan_by_key_config_selectorIiiEEZZNS1_16scan_by_key_implILNS1_25lookback_scan_determinismE0ELb0ES3_N6thrust23THRUST_200600_302600_NS6detail15normal_iteratorINS9_10device_ptrIiEEEESE_SE_iNS9_4plusIiEE19head_flag_predicateiEE10hipError_tPvRmT2_T3_T4_T5_mT6_T7_P12ihipStream_tbENKUlT_T0_E_clISt17integral_constantIbLb1EESX_IbLb0EEEEDaST_SU_EUlST_E_NS1_11comp_targetILNS1_3genE8ELNS1_11target_archE1030ELNS1_3gpuE2ELNS1_3repE0EEENS1_30default_config_static_selectorELNS0_4arch9wavefront6targetE0EEEvT1_.numbered_sgpr, 0
	.set _ZN7rocprim17ROCPRIM_400000_NS6detail17trampoline_kernelINS0_14default_configENS1_27scan_by_key_config_selectorIiiEEZZNS1_16scan_by_key_implILNS1_25lookback_scan_determinismE0ELb0ES3_N6thrust23THRUST_200600_302600_NS6detail15normal_iteratorINS9_10device_ptrIiEEEESE_SE_iNS9_4plusIiEE19head_flag_predicateiEE10hipError_tPvRmT2_T3_T4_T5_mT6_T7_P12ihipStream_tbENKUlT_T0_E_clISt17integral_constantIbLb1EESX_IbLb0EEEEDaST_SU_EUlST_E_NS1_11comp_targetILNS1_3genE8ELNS1_11target_archE1030ELNS1_3gpuE2ELNS1_3repE0EEENS1_30default_config_static_selectorELNS0_4arch9wavefront6targetE0EEEvT1_.num_named_barrier, 0
	.set _ZN7rocprim17ROCPRIM_400000_NS6detail17trampoline_kernelINS0_14default_configENS1_27scan_by_key_config_selectorIiiEEZZNS1_16scan_by_key_implILNS1_25lookback_scan_determinismE0ELb0ES3_N6thrust23THRUST_200600_302600_NS6detail15normal_iteratorINS9_10device_ptrIiEEEESE_SE_iNS9_4plusIiEE19head_flag_predicateiEE10hipError_tPvRmT2_T3_T4_T5_mT6_T7_P12ihipStream_tbENKUlT_T0_E_clISt17integral_constantIbLb1EESX_IbLb0EEEEDaST_SU_EUlST_E_NS1_11comp_targetILNS1_3genE8ELNS1_11target_archE1030ELNS1_3gpuE2ELNS1_3repE0EEENS1_30default_config_static_selectorELNS0_4arch9wavefront6targetE0EEEvT1_.private_seg_size, 0
	.set _ZN7rocprim17ROCPRIM_400000_NS6detail17trampoline_kernelINS0_14default_configENS1_27scan_by_key_config_selectorIiiEEZZNS1_16scan_by_key_implILNS1_25lookback_scan_determinismE0ELb0ES3_N6thrust23THRUST_200600_302600_NS6detail15normal_iteratorINS9_10device_ptrIiEEEESE_SE_iNS9_4plusIiEE19head_flag_predicateiEE10hipError_tPvRmT2_T3_T4_T5_mT6_T7_P12ihipStream_tbENKUlT_T0_E_clISt17integral_constantIbLb1EESX_IbLb0EEEEDaST_SU_EUlST_E_NS1_11comp_targetILNS1_3genE8ELNS1_11target_archE1030ELNS1_3gpuE2ELNS1_3repE0EEENS1_30default_config_static_selectorELNS0_4arch9wavefront6targetE0EEEvT1_.uses_vcc, 0
	.set _ZN7rocprim17ROCPRIM_400000_NS6detail17trampoline_kernelINS0_14default_configENS1_27scan_by_key_config_selectorIiiEEZZNS1_16scan_by_key_implILNS1_25lookback_scan_determinismE0ELb0ES3_N6thrust23THRUST_200600_302600_NS6detail15normal_iteratorINS9_10device_ptrIiEEEESE_SE_iNS9_4plusIiEE19head_flag_predicateiEE10hipError_tPvRmT2_T3_T4_T5_mT6_T7_P12ihipStream_tbENKUlT_T0_E_clISt17integral_constantIbLb1EESX_IbLb0EEEEDaST_SU_EUlST_E_NS1_11comp_targetILNS1_3genE8ELNS1_11target_archE1030ELNS1_3gpuE2ELNS1_3repE0EEENS1_30default_config_static_selectorELNS0_4arch9wavefront6targetE0EEEvT1_.uses_flat_scratch, 0
	.set _ZN7rocprim17ROCPRIM_400000_NS6detail17trampoline_kernelINS0_14default_configENS1_27scan_by_key_config_selectorIiiEEZZNS1_16scan_by_key_implILNS1_25lookback_scan_determinismE0ELb0ES3_N6thrust23THRUST_200600_302600_NS6detail15normal_iteratorINS9_10device_ptrIiEEEESE_SE_iNS9_4plusIiEE19head_flag_predicateiEE10hipError_tPvRmT2_T3_T4_T5_mT6_T7_P12ihipStream_tbENKUlT_T0_E_clISt17integral_constantIbLb1EESX_IbLb0EEEEDaST_SU_EUlST_E_NS1_11comp_targetILNS1_3genE8ELNS1_11target_archE1030ELNS1_3gpuE2ELNS1_3repE0EEENS1_30default_config_static_selectorELNS0_4arch9wavefront6targetE0EEEvT1_.has_dyn_sized_stack, 0
	.set _ZN7rocprim17ROCPRIM_400000_NS6detail17trampoline_kernelINS0_14default_configENS1_27scan_by_key_config_selectorIiiEEZZNS1_16scan_by_key_implILNS1_25lookback_scan_determinismE0ELb0ES3_N6thrust23THRUST_200600_302600_NS6detail15normal_iteratorINS9_10device_ptrIiEEEESE_SE_iNS9_4plusIiEE19head_flag_predicateiEE10hipError_tPvRmT2_T3_T4_T5_mT6_T7_P12ihipStream_tbENKUlT_T0_E_clISt17integral_constantIbLb1EESX_IbLb0EEEEDaST_SU_EUlST_E_NS1_11comp_targetILNS1_3genE8ELNS1_11target_archE1030ELNS1_3gpuE2ELNS1_3repE0EEENS1_30default_config_static_selectorELNS0_4arch9wavefront6targetE0EEEvT1_.has_recursion, 0
	.set _ZN7rocprim17ROCPRIM_400000_NS6detail17trampoline_kernelINS0_14default_configENS1_27scan_by_key_config_selectorIiiEEZZNS1_16scan_by_key_implILNS1_25lookback_scan_determinismE0ELb0ES3_N6thrust23THRUST_200600_302600_NS6detail15normal_iteratorINS9_10device_ptrIiEEEESE_SE_iNS9_4plusIiEE19head_flag_predicateiEE10hipError_tPvRmT2_T3_T4_T5_mT6_T7_P12ihipStream_tbENKUlT_T0_E_clISt17integral_constantIbLb1EESX_IbLb0EEEEDaST_SU_EUlST_E_NS1_11comp_targetILNS1_3genE8ELNS1_11target_archE1030ELNS1_3gpuE2ELNS1_3repE0EEENS1_30default_config_static_selectorELNS0_4arch9wavefront6targetE0EEEvT1_.has_indirect_call, 0
	.section	.AMDGPU.csdata,"",@progbits
; Kernel info:
; codeLenInByte = 0
; TotalNumSgprs: 0
; NumVgprs: 0
; ScratchSize: 0
; MemoryBound: 0
; FloatMode: 240
; IeeeMode: 1
; LDSByteSize: 0 bytes/workgroup (compile time only)
; SGPRBlocks: 0
; VGPRBlocks: 0
; NumSGPRsForWavesPerEU: 1
; NumVGPRsForWavesPerEU: 1
; NamedBarCnt: 0
; Occupancy: 16
; WaveLimiterHint : 0
; COMPUTE_PGM_RSRC2:SCRATCH_EN: 0
; COMPUTE_PGM_RSRC2:USER_SGPR: 2
; COMPUTE_PGM_RSRC2:TRAP_HANDLER: 0
; COMPUTE_PGM_RSRC2:TGID_X_EN: 1
; COMPUTE_PGM_RSRC2:TGID_Y_EN: 0
; COMPUTE_PGM_RSRC2:TGID_Z_EN: 0
; COMPUTE_PGM_RSRC2:TIDIG_COMP_CNT: 0
	.section	.text._ZN7rocprim17ROCPRIM_400000_NS6detail17trampoline_kernelINS0_14default_configENS1_27scan_by_key_config_selectorIiiEEZZNS1_16scan_by_key_implILNS1_25lookback_scan_determinismE0ELb0ES3_N6thrust23THRUST_200600_302600_NS6detail15normal_iteratorINS9_10device_ptrIiEEEESE_SE_iNS9_4plusIiEE19head_flag_predicateiEE10hipError_tPvRmT2_T3_T4_T5_mT6_T7_P12ihipStream_tbENKUlT_T0_E_clISt17integral_constantIbLb0EESX_IbLb1EEEEDaST_SU_EUlST_E_NS1_11comp_targetILNS1_3genE0ELNS1_11target_archE4294967295ELNS1_3gpuE0ELNS1_3repE0EEENS1_30default_config_static_selectorELNS0_4arch9wavefront6targetE0EEEvT1_,"axG",@progbits,_ZN7rocprim17ROCPRIM_400000_NS6detail17trampoline_kernelINS0_14default_configENS1_27scan_by_key_config_selectorIiiEEZZNS1_16scan_by_key_implILNS1_25lookback_scan_determinismE0ELb0ES3_N6thrust23THRUST_200600_302600_NS6detail15normal_iteratorINS9_10device_ptrIiEEEESE_SE_iNS9_4plusIiEE19head_flag_predicateiEE10hipError_tPvRmT2_T3_T4_T5_mT6_T7_P12ihipStream_tbENKUlT_T0_E_clISt17integral_constantIbLb0EESX_IbLb1EEEEDaST_SU_EUlST_E_NS1_11comp_targetILNS1_3genE0ELNS1_11target_archE4294967295ELNS1_3gpuE0ELNS1_3repE0EEENS1_30default_config_static_selectorELNS0_4arch9wavefront6targetE0EEEvT1_,comdat
	.protected	_ZN7rocprim17ROCPRIM_400000_NS6detail17trampoline_kernelINS0_14default_configENS1_27scan_by_key_config_selectorIiiEEZZNS1_16scan_by_key_implILNS1_25lookback_scan_determinismE0ELb0ES3_N6thrust23THRUST_200600_302600_NS6detail15normal_iteratorINS9_10device_ptrIiEEEESE_SE_iNS9_4plusIiEE19head_flag_predicateiEE10hipError_tPvRmT2_T3_T4_T5_mT6_T7_P12ihipStream_tbENKUlT_T0_E_clISt17integral_constantIbLb0EESX_IbLb1EEEEDaST_SU_EUlST_E_NS1_11comp_targetILNS1_3genE0ELNS1_11target_archE4294967295ELNS1_3gpuE0ELNS1_3repE0EEENS1_30default_config_static_selectorELNS0_4arch9wavefront6targetE0EEEvT1_ ; -- Begin function _ZN7rocprim17ROCPRIM_400000_NS6detail17trampoline_kernelINS0_14default_configENS1_27scan_by_key_config_selectorIiiEEZZNS1_16scan_by_key_implILNS1_25lookback_scan_determinismE0ELb0ES3_N6thrust23THRUST_200600_302600_NS6detail15normal_iteratorINS9_10device_ptrIiEEEESE_SE_iNS9_4plusIiEE19head_flag_predicateiEE10hipError_tPvRmT2_T3_T4_T5_mT6_T7_P12ihipStream_tbENKUlT_T0_E_clISt17integral_constantIbLb0EESX_IbLb1EEEEDaST_SU_EUlST_E_NS1_11comp_targetILNS1_3genE0ELNS1_11target_archE4294967295ELNS1_3gpuE0ELNS1_3repE0EEENS1_30default_config_static_selectorELNS0_4arch9wavefront6targetE0EEEvT1_
	.globl	_ZN7rocprim17ROCPRIM_400000_NS6detail17trampoline_kernelINS0_14default_configENS1_27scan_by_key_config_selectorIiiEEZZNS1_16scan_by_key_implILNS1_25lookback_scan_determinismE0ELb0ES3_N6thrust23THRUST_200600_302600_NS6detail15normal_iteratorINS9_10device_ptrIiEEEESE_SE_iNS9_4plusIiEE19head_flag_predicateiEE10hipError_tPvRmT2_T3_T4_T5_mT6_T7_P12ihipStream_tbENKUlT_T0_E_clISt17integral_constantIbLb0EESX_IbLb1EEEEDaST_SU_EUlST_E_NS1_11comp_targetILNS1_3genE0ELNS1_11target_archE4294967295ELNS1_3gpuE0ELNS1_3repE0EEENS1_30default_config_static_selectorELNS0_4arch9wavefront6targetE0EEEvT1_
	.p2align	8
	.type	_ZN7rocprim17ROCPRIM_400000_NS6detail17trampoline_kernelINS0_14default_configENS1_27scan_by_key_config_selectorIiiEEZZNS1_16scan_by_key_implILNS1_25lookback_scan_determinismE0ELb0ES3_N6thrust23THRUST_200600_302600_NS6detail15normal_iteratorINS9_10device_ptrIiEEEESE_SE_iNS9_4plusIiEE19head_flag_predicateiEE10hipError_tPvRmT2_T3_T4_T5_mT6_T7_P12ihipStream_tbENKUlT_T0_E_clISt17integral_constantIbLb0EESX_IbLb1EEEEDaST_SU_EUlST_E_NS1_11comp_targetILNS1_3genE0ELNS1_11target_archE4294967295ELNS1_3gpuE0ELNS1_3repE0EEENS1_30default_config_static_selectorELNS0_4arch9wavefront6targetE0EEEvT1_,@function
_ZN7rocprim17ROCPRIM_400000_NS6detail17trampoline_kernelINS0_14default_configENS1_27scan_by_key_config_selectorIiiEEZZNS1_16scan_by_key_implILNS1_25lookback_scan_determinismE0ELb0ES3_N6thrust23THRUST_200600_302600_NS6detail15normal_iteratorINS9_10device_ptrIiEEEESE_SE_iNS9_4plusIiEE19head_flag_predicateiEE10hipError_tPvRmT2_T3_T4_T5_mT6_T7_P12ihipStream_tbENKUlT_T0_E_clISt17integral_constantIbLb0EESX_IbLb1EEEEDaST_SU_EUlST_E_NS1_11comp_targetILNS1_3genE0ELNS1_11target_archE4294967295ELNS1_3gpuE0ELNS1_3repE0EEENS1_30default_config_static_selectorELNS0_4arch9wavefront6targetE0EEEvT1_: ; @_ZN7rocprim17ROCPRIM_400000_NS6detail17trampoline_kernelINS0_14default_configENS1_27scan_by_key_config_selectorIiiEEZZNS1_16scan_by_key_implILNS1_25lookback_scan_determinismE0ELb0ES3_N6thrust23THRUST_200600_302600_NS6detail15normal_iteratorINS9_10device_ptrIiEEEESE_SE_iNS9_4plusIiEE19head_flag_predicateiEE10hipError_tPvRmT2_T3_T4_T5_mT6_T7_P12ihipStream_tbENKUlT_T0_E_clISt17integral_constantIbLb0EESX_IbLb1EEEEDaST_SU_EUlST_E_NS1_11comp_targetILNS1_3genE0ELNS1_11target_archE4294967295ELNS1_3gpuE0ELNS1_3repE0EEENS1_30default_config_static_selectorELNS0_4arch9wavefront6targetE0EEEvT1_
; %bb.0:
	s_clause 0x1
	s_load_b128 s[20:23], s[0:1], 0x28
	s_load_b64 s[30:31], s[0:1], 0x38
	v_cmp_ne_u32_e64 s3, 0, v0
	v_cmp_eq_u32_e64 s2, 0, v0
	s_and_saveexec_b32 s4, s2
	s_cbranch_execz .LBB776_4
; %bb.1:
	s_mov_b32 s6, exec_lo
	s_mov_b32 s5, exec_lo
	v_mbcnt_lo_u32_b32 v1, s6, 0
                                        ; implicit-def: $vgpr2
	s_delay_alu instid0(VALU_DEP_1)
	v_cmpx_eq_u32_e32 0, v1
	s_cbranch_execz .LBB776_3
; %bb.2:
	s_load_b64 s[8:9], s[0:1], 0x68
	s_bcnt1_i32_b32 s6, s6
	s_delay_alu instid0(SALU_CYCLE_1)
	v_dual_mov_b32 v2, 0 :: v_dual_mov_b32 v3, s6
	s_wait_xcnt 0x0
	s_wait_kmcnt 0x0
	global_atomic_add_u32 v2, v2, v3, s[8:9] th:TH_ATOMIC_RETURN scope:SCOPE_DEV
.LBB776_3:
	s_wait_xcnt 0x0
	s_or_b32 exec_lo, exec_lo, s5
	s_wait_loadcnt 0x0
	v_readfirstlane_b32 s5, v2
	s_delay_alu instid0(VALU_DEP_1)
	v_dual_mov_b32 v2, 0 :: v_dual_add_nc_u32 v1, s5, v1
	ds_store_b32 v2, v1
.LBB776_4:
	s_or_b32 exec_lo, exec_lo, s4
	v_mov_b32_e32 v3, 0
	s_clause 0x2
	s_load_b256 s[12:19], s[0:1], 0x0
	s_load_b32 s4, s[0:1], 0x40
	s_load_b128 s[24:27], s[0:1], 0x48
	s_wait_dscnt 0x0
	s_barrier_signal -1
	s_barrier_wait -1
	ds_load_b32 v2, v3
	s_mov_b32 s5, 0
	s_wait_dscnt 0x0
	s_barrier_signal -1
	s_barrier_wait -1
	s_barrier_signal -1
	s_barrier_wait -1
	s_wait_kmcnt 0x0
	s_lshl_b64 s[28:29], s[14:15], 2
	s_mul_u64 s[0:1], s[30:31], s[4:5]
	s_add_nc_u64 s[10:11], s[24:25], -1
	s_add_nc_u64 s[6:7], s[12:13], s[28:29]
	s_add_nc_u64 s[8:9], s[16:17], s[28:29]
	s_mul_i32 s23, s10, 0xfffff400
	v_add_nc_u64_e32 v[4:5], s[0:1], v[2:3]
	v_readfirstlane_b32 s33, v2
	s_mul_i32 s4, s33, 0xc00
	v_cmp_le_u64_e64 s0, s[10:11], v[4:5]
	s_lshl_b64 s[16:17], s[4:5], 2
	s_delay_alu instid0(SALU_CYCLE_1)
	s_add_nc_u64 s[24:25], s[6:7], s[16:17]
	s_add_nc_u64 s[14:15], s[8:9], s[16:17]
	s_and_b32 vcc_lo, exec_lo, s0
	s_cbranch_vccz .LBB776_66
; %bb.5:
	flat_load_b32 v1, v3, s[24:25]
	s_add_co_i32 s34, s23, s22
	s_delay_alu instid0(SALU_CYCLE_1)
	v_cmp_gt_u32_e32 vcc_lo, s34, v0
	s_wait_loadcnt_dscnt 0x0
	v_mov_b32_e32 v2, v1
	s_and_saveexec_b32 s1, vcc_lo
	s_cbranch_execz .LBB776_7
; %bb.6:
	flat_load_b32 v2, v0, s[24:25] scale_offset
.LBB776_7:
	s_wait_xcnt 0x0
	s_or_b32 exec_lo, exec_lo, s1
	v_or_b32_e32 v3, 0x100, v0
	s_delay_alu instid0(VALU_DEP_1)
	v_cmp_gt_u32_e64 s1, s34, v3
	v_mov_b32_e32 v3, v1
	s_and_saveexec_b32 s4, s1
	s_cbranch_execz .LBB776_9
; %bb.8:
	flat_load_b32 v3, v0, s[24:25] offset:1024 scale_offset
.LBB776_9:
	s_wait_xcnt 0x0
	s_or_b32 exec_lo, exec_lo, s4
	v_or_b32_e32 v4, 0x200, v0
	s_delay_alu instid0(VALU_DEP_1)
	v_cmp_gt_u32_e64 s4, s34, v4
	v_mov_b32_e32 v4, v1
	s_and_saveexec_b32 s5, s4
	s_cbranch_execz .LBB776_11
; %bb.10:
	flat_load_b32 v4, v0, s[24:25] offset:2048 scale_offset
.LBB776_11:
	;; [unrolled: 11-line block ×3, first 2 shown]
	s_wait_xcnt 0x0
	s_or_b32 exec_lo, exec_lo, s6
	v_or_b32_e32 v6, 0x400, v0
	v_mov_b32_e32 v7, v1
	s_delay_alu instid0(VALU_DEP_2)
	v_cmp_gt_u32_e64 s6, s34, v6
	s_and_saveexec_b32 s7, s6
	s_cbranch_execz .LBB776_15
; %bb.14:
	flat_load_b32 v7, v0, s[24:25] offset:4096 scale_offset
.LBB776_15:
	s_wait_xcnt 0x0
	s_or_b32 exec_lo, exec_lo, s7
	v_or_b32_e32 v6, 0x500, v0
	v_mov_b32_e32 v8, v1
	s_delay_alu instid0(VALU_DEP_2)
	v_cmp_gt_u32_e64 s7, s34, v6
	s_and_saveexec_b32 s8, s7
	s_cbranch_execz .LBB776_17
; %bb.16:
	flat_load_b32 v8, v0, s[24:25] offset:5120 scale_offset
.LBB776_17:
	;; [unrolled: 11-line block ×7, first 2 shown]
	s_wait_xcnt 0x0
	s_or_b32 exec_lo, exec_lo, s13
	v_or_b32_e32 v6, 0xb00, v0
	s_delay_alu instid0(VALU_DEP_1)
	v_cmp_gt_u32_e64 s13, s34, v6
	s_and_saveexec_b32 s35, s13
	s_cbranch_execz .LBB776_29
; %bb.28:
	flat_load_b32 v1, v0, s[24:25] offset:11264 scale_offset
.LBB776_29:
	s_wait_xcnt 0x0
	s_or_b32 exec_lo, exec_lo, s35
	v_lshlrev_b32_e32 v6, 2, v0
	s_wait_loadcnt_dscnt 0x0
	ds_store_2addr_stride64_b32 v6, v2, v3 offset1:4
	ds_store_2addr_stride64_b32 v6, v4, v5 offset0:8 offset1:12
	ds_store_2addr_stride64_b32 v6, v7, v8 offset0:16 offset1:20
	;; [unrolled: 1-line block ×5, first 2 shown]
	v_mad_u32_u24 v1, v0, 44, v6
	s_wait_dscnt 0x0
	s_barrier_signal -1
	s_barrier_wait -1
	ds_load_b128 v[2:5], v1 offset:32
	ds_load_b128 v[14:17], v1
	ds_load_b128 v[10:13], v1 offset:16
	v_mad_i32_i24 v7, 0xffffffd4, v0, v1
                                        ; implicit-def: $vgpr8
	s_wait_dscnt 0x2
	ds_store_b32 v7, v5 offset:12288
	s_wait_dscnt 0x0
	s_barrier_signal -1
	s_barrier_wait -1
	s_barrier_signal -1
	s_barrier_wait -1
	s_and_saveexec_b32 s35, vcc_lo
	s_cbranch_execz .LBB776_98
; %bb.30:
	flat_load_b32 v8, v0, s[14:15] scale_offset
	s_wait_xcnt 0x0
	s_or_b32 exec_lo, exec_lo, s35
                                        ; implicit-def: $vgpr9
	s_and_saveexec_b32 s35, s1
	s_cbranch_execnz .LBB776_99
.LBB776_31:
	s_or_b32 exec_lo, exec_lo, s35
                                        ; implicit-def: $vgpr18
	s_and_saveexec_b32 s1, s4
	s_cbranch_execz .LBB776_100
.LBB776_32:
	flat_load_b32 v18, v0, s[14:15] offset:2048 scale_offset
	s_wait_xcnt 0x0
	s_or_b32 exec_lo, exec_lo, s1
                                        ; implicit-def: $vgpr19
	s_and_saveexec_b32 s1, s5
	s_cbranch_execnz .LBB776_101
.LBB776_33:
	s_or_b32 exec_lo, exec_lo, s1
                                        ; implicit-def: $vgpr20
	s_and_saveexec_b32 s1, s6
	s_cbranch_execz .LBB776_102
.LBB776_34:
	flat_load_b32 v20, v0, s[14:15] offset:4096 scale_offset
	s_wait_xcnt 0x0
	s_or_b32 exec_lo, exec_lo, s1
                                        ; implicit-def: $vgpr21
	s_and_saveexec_b32 s1, s7
	s_cbranch_execnz .LBB776_103
.LBB776_35:
	s_or_b32 exec_lo, exec_lo, s1
                                        ; implicit-def: $vgpr22
	s_and_saveexec_b32 s1, s8
	s_cbranch_execz .LBB776_104
.LBB776_36:
	flat_load_b32 v22, v0, s[14:15] offset:6144 scale_offset
	s_wait_xcnt 0x0
	s_or_b32 exec_lo, exec_lo, s1
                                        ; implicit-def: $vgpr23
	s_and_saveexec_b32 s1, s9
	s_cbranch_execnz .LBB776_105
.LBB776_37:
	s_or_b32 exec_lo, exec_lo, s1
                                        ; implicit-def: $vgpr24
	s_and_saveexec_b32 s1, s10
	s_cbranch_execz .LBB776_106
.LBB776_38:
	flat_load_b32 v24, v0, s[14:15] offset:8192 scale_offset
	s_wait_xcnt 0x0
	s_or_b32 exec_lo, exec_lo, s1
                                        ; implicit-def: $vgpr25
	s_and_saveexec_b32 s1, s11
	s_cbranch_execnz .LBB776_107
.LBB776_39:
	s_or_b32 exec_lo, exec_lo, s1
                                        ; implicit-def: $vgpr26
	s_and_saveexec_b32 s1, s12
	s_cbranch_execz .LBB776_41
.LBB776_40:
	flat_load_b32 v26, v0, s[14:15] offset:10240 scale_offset
.LBB776_41:
	s_wait_xcnt 0x0
	s_or_b32 exec_lo, exec_lo, s1
	v_mul_u32_u24_e32 v7, 12, v0
                                        ; implicit-def: $vgpr27
	s_and_saveexec_b32 s1, s13
	s_cbranch_execz .LBB776_43
; %bb.42:
	flat_load_b32 v27, v0, s[14:15] offset:11264 scale_offset
.LBB776_43:
	s_wait_xcnt 0x0
	s_or_b32 exec_lo, exec_lo, s1
	s_wait_loadcnt_dscnt 0x0
	ds_store_2addr_stride64_b32 v6, v8, v9 offset1:4
	ds_store_2addr_stride64_b32 v6, v18, v19 offset0:8 offset1:12
	ds_store_2addr_stride64_b32 v6, v20, v21 offset0:16 offset1:20
	;; [unrolled: 1-line block ×5, first 2 shown]
	v_mov_b64_e32 v[56:57], 0
	v_mov_b64_e32 v[60:61], 0
	;; [unrolled: 1-line block ×21, first 2 shown]
	s_mov_b32 s4, 0
	s_mov_b32 s5, 0
	s_mov_b32 s6, exec_lo
	s_wait_dscnt 0x0
	s_barrier_signal -1
	s_barrier_wait -1
                                        ; implicit-def: $vgpr9
	v_cmpx_gt_u32_e64 s34, v7
	s_cbranch_execz .LBB776_65
; %bb.44:
	ds_load_b32 v42, v1
	v_cmp_ne_u32_e32 vcc_lo, 0, v14
	v_mov_b64_e32 v[56:57], 0
	v_mov_b64_e32 v[60:61], 0
	;; [unrolled: 1-line block ×19, first 2 shown]
	v_or_b32_e32 v6, 1, v7
	v_cndmask_b32_e64 v43, 0, 1, vcc_lo
	s_mov_b32 s1, 0
	s_mov_b32 s5, exec_lo
                                        ; implicit-def: $vgpr9
	s_delay_alu instid0(VALU_DEP_2)
	v_cmpx_gt_u32_e64 s34, v6
	s_cbranch_execz .LBB776_64
; %bb.45:
	ds_load_2addr_b32 v[44:45], v1 offset0:1 offset1:2
	v_cmp_ne_u32_e32 vcc_lo, 0, v15
	v_mov_b64_e32 v[56:57], 0
	v_mov_b64_e32 v[60:61], 0
	;; [unrolled: 1-line block ×17, first 2 shown]
	v_or_b32_e32 v8, 2, v7
	v_cndmask_b32_e64 v6, 0, 1, vcc_lo
	s_mov_b32 s7, exec_lo
                                        ; implicit-def: $vgpr9
	s_delay_alu instid0(VALU_DEP_2)
	v_cmpx_gt_u32_e64 s34, v8
	s_cbranch_execz .LBB776_63
; %bb.46:
	v_cmp_ne_u32_e32 vcc_lo, 0, v16
	v_mov_b64_e32 v[56:57], 0
	v_mov_b64_e32 v[60:61], 0
	;; [unrolled: 1-line block ×15, first 2 shown]
	v_or_b32_e32 v8, 3, v7
	v_cndmask_b32_e64 v49, 0, 1, vcc_lo
	s_mov_b32 s8, exec_lo
                                        ; implicit-def: $vgpr9
	s_delay_alu instid0(VALU_DEP_2)
	v_cmpx_gt_u32_e64 s34, v8
	s_cbranch_execz .LBB776_62
; %bb.47:
	ds_load_2addr_b32 v[46:47], v1 offset0:3 offset1:4
	v_add_nc_u32_e32 v9, 4, v7
	v_cmp_ne_u32_e32 vcc_lo, 0, v17
	v_mov_b64_e32 v[56:57], 0
	v_mov_b64_e32 v[60:61], 0
	v_mov_b64_e32 v[52:53], 0
	v_mov_b64_e32 v[58:59], 0
	v_mov_b64_e32 v[50:51], 0
	v_mov_b64_e32 v[54:55], 0
	v_mov_b64_e32 v[30:31], 0
	v_mov_b64_e32 v[28:29], 0
	v_mov_b64_e32 v[26:27], 0
	v_mov_b64_e32 v[22:23], 0
	v_mov_b64_e32 v[20:21], 0
	v_mov_b64_e32 v[24:25], 0
	v_mov_b64_e32 v[18:19], 0
	v_cndmask_b32_e64 v8, 0, 1, vcc_lo
	v_cmp_gt_u32_e32 vcc_lo, s34, v9
                                        ; implicit-def: $vgpr9
	s_and_saveexec_b32 s9, vcc_lo
	s_cbranch_execz .LBB776_61
; %bb.48:
	v_add_nc_u32_e32 v9, 5, v7
	v_cmp_ne_u32_e32 vcc_lo, 0, v10
	v_mov_b64_e32 v[56:57], 0
	v_mov_b64_e32 v[60:61], 0
	;; [unrolled: 1-line block ×11, first 2 shown]
	v_cndmask_b32_e64 v55, 0, 1, vcc_lo
	v_cmp_gt_u32_e32 vcc_lo, s34, v9
                                        ; implicit-def: $vgpr9
	s_and_saveexec_b32 s10, vcc_lo
	s_cbranch_execz .LBB776_60
; %bb.49:
	ds_load_2addr_b32 v[50:51], v1 offset0:5 offset1:6
	v_add_nc_u32_e32 v9, 6, v7
	v_cmp_ne_u32_e32 vcc_lo, 0, v11
	v_mov_b64_e32 v[56:57], 0
	v_mov_b64_e32 v[60:61], 0
	;; [unrolled: 1-line block ×9, first 2 shown]
	v_cndmask_b32_e64 v10, 0, 1, vcc_lo
	v_cmp_gt_u32_e32 vcc_lo, s34, v9
                                        ; implicit-def: $vgpr9
	s_and_saveexec_b32 s11, vcc_lo
	s_cbranch_execz .LBB776_59
; %bb.50:
	v_add_nc_u32_e32 v9, 7, v7
	v_cmp_ne_u32_e32 vcc_lo, 0, v12
	v_mov_b64_e32 v[56:57], 0
	v_mov_b64_e32 v[60:61], 0
	;; [unrolled: 1-line block ×7, first 2 shown]
	v_cndmask_b32_e64 v59, 0, 1, vcc_lo
	v_cmp_gt_u32_e32 vcc_lo, s34, v9
                                        ; implicit-def: $vgpr9
	s_and_saveexec_b32 s12, vcc_lo
	s_cbranch_execz .LBB776_58
; %bb.51:
	ds_load_2addr_b32 v[52:53], v1 offset0:7 offset1:8
	v_add_nc_u32_e32 v9, 8, v7
	v_cmp_ne_u32_e32 vcc_lo, 0, v13
	v_mov_b64_e32 v[56:57], 0
	v_mov_b64_e32 v[60:61], 0
	;; [unrolled: 1-line block ×4, first 2 shown]
	v_cndmask_b32_e64 v11, 0, 1, vcc_lo
	v_cmp_gt_u32_e32 vcc_lo, s34, v9
                                        ; implicit-def: $vgpr9
	s_and_saveexec_b32 s13, vcc_lo
	s_cbranch_execz .LBB776_57
; %bb.52:
	v_add_nc_u32_e32 v9, 9, v7
	v_cmp_ne_u32_e32 vcc_lo, 0, v2
	v_mov_b64_e32 v[56:57], 0
	v_mov_b64_e32 v[18:19], 0
	v_cndmask_b32_e64 v61, 0, 1, vcc_lo
	v_cmp_gt_u32_e32 vcc_lo, s34, v9
                                        ; implicit-def: $vgpr9
	s_and_saveexec_b32 s35, vcc_lo
	s_cbranch_execz .LBB776_56
; %bb.53:
	ds_load_2addr_b32 v[56:57], v1 offset0:9 offset1:10
	v_add_nc_u32_e32 v9, 10, v7
	v_cmp_ne_u32_e32 vcc_lo, 0, v3
	v_mov_b64_e32 v[18:19], 0
	v_cndmask_b32_e64 v2, 0, 1, vcc_lo
	s_delay_alu instid0(VALU_DEP_4) | instskip(SKIP_1) | instid1(SALU_CYCLE_1)
	v_cmp_gt_u32_e32 vcc_lo, s34, v9
                                        ; implicit-def: $vgpr9
	s_and_saveexec_b32 s36, vcc_lo
	s_xor_b32 s36, exec_lo, s36
	s_cbranch_execz .LBB776_55
; %bb.54:
	ds_load_b32 v9, v1 offset:44
	s_wait_dscnt 0x1
	v_dual_mov_b32 v18, v57 :: v_dual_add_nc_u32 v1, 11, v7
	v_cmp_ne_u32_e64 s1, 0, v4
	s_delay_alu instid0(VALU_DEP_2) | instskip(NEXT) | instid1(VALU_DEP_2)
	v_cmp_gt_u32_e32 vcc_lo, s34, v1
	v_cndmask_b32_e64 v19, 0, 1, s1
	s_and_b32 s1, vcc_lo, exec_lo
.LBB776_55:
	s_or_b32 exec_lo, exec_lo, s36
	s_wait_dscnt 0x0
	v_mov_b32_e32 v57, v2
	s_and_b32 s1, s1, exec_lo
.LBB776_56:
	s_or_b32 exec_lo, exec_lo, s35
	s_wait_dscnt 0x0
	v_mov_b32_e32 v60, v53
	s_and_b32 s1, s1, exec_lo
	s_delay_alu instid0(VALU_DEP_1)
	v_mov_b64_e32 v[20:21], v[60:61]
.LBB776_57:
	s_or_b32 exec_lo, exec_lo, s13
	s_wait_dscnt 0x0
	v_mov_b32_e32 v53, v11
	v_mov_b64_e32 v[24:25], v[56:57]
	s_and_b32 s1, s1, exec_lo
	s_delay_alu instid0(VALU_DEP_2)
	v_mov_b64_e32 v[22:23], v[52:53]
.LBB776_58:
	s_or_b32 exec_lo, exec_lo, s12
	s_wait_dscnt 0x0
	v_mov_b32_e32 v58, v51
	s_and_b32 s1, s1, exec_lo
	s_delay_alu instid0(VALU_DEP_1)
	v_mov_b64_e32 v[26:27], v[58:59]
.LBB776_59:
	s_or_b32 exec_lo, exec_lo, s11
	s_wait_dscnt 0x0
	v_mov_b32_e32 v51, v10
	s_and_b32 s1, s1, exec_lo
	s_delay_alu instid0(VALU_DEP_1)
	v_mov_b64_e32 v[28:29], v[50:51]
.LBB776_60:
	s_or_b32 exec_lo, exec_lo, s10
	s_wait_dscnt 0x0
	v_mov_b32_e32 v54, v47
	s_and_b32 s1, s1, exec_lo
	s_delay_alu instid0(VALU_DEP_1)
	v_mov_b64_e32 v[30:31], v[54:55]
.LBB776_61:
	s_or_b32 exec_lo, exec_lo, s9
	s_wait_dscnt 0x0
	v_mov_b32_e32 v47, v8
	s_and_b32 s1, s1, exec_lo
	s_delay_alu instid0(VALU_DEP_1)
	v_mov_b64_e32 v[32:33], v[46:47]
.LBB776_62:
	s_or_b32 exec_lo, exec_lo, s8
	s_wait_dscnt 0x0
	v_mov_b32_e32 v48, v45
	s_and_b32 s1, s1, exec_lo
	s_delay_alu instid0(VALU_DEP_1)
	v_mov_b64_e32 v[34:35], v[48:49]
.LBB776_63:
	s_or_b32 exec_lo, exec_lo, s7
	s_wait_dscnt 0x0
	v_mov_b32_e32 v45, v6
	s_and_b32 s1, s1, exec_lo
	s_delay_alu instid0(VALU_DEP_1)
	v_mov_b64_e32 v[36:37], v[44:45]
.LBB776_64:
	s_or_b32 exec_lo, exec_lo, s5
	s_wait_dscnt 0x0
	v_mov_b64_e32 v[38:39], v[42:43]
	s_and_b32 s5, s1, exec_lo
.LBB776_65:
	s_or_b32 exec_lo, exec_lo, s6
	v_lshlrev_b32_e32 v16, 2, v0
	s_and_b32 vcc_lo, exec_lo, s4
	s_cbranch_vccnz .LBB776_67
	s_branch .LBB776_68
.LBB776_66:
                                        ; implicit-def: $vgpr56_vgpr57
                                        ; implicit-def: $vgpr60_vgpr61
                                        ; implicit-def: $vgpr52_vgpr53
                                        ; implicit-def: $vgpr58_vgpr59
                                        ; implicit-def: $vgpr50_vgpr51
                                        ; implicit-def: $vgpr54_vgpr55
                                        ; implicit-def: $vgpr46_vgpr47
                                        ; implicit-def: $vgpr48_vgpr49
                                        ; implicit-def: $vgpr44_vgpr45
                                        ; implicit-def: $vgpr42_vgpr43
                                        ; implicit-def: $vgpr5
                                        ; implicit-def: $vgpr9
                                        ; implicit-def: $vgpr38_vgpr39
                                        ; implicit-def: $vgpr36_vgpr37
                                        ; implicit-def: $vgpr34_vgpr35
                                        ; implicit-def: $vgpr32_vgpr33
                                        ; implicit-def: $vgpr30_vgpr31
                                        ; implicit-def: $vgpr28_vgpr29
                                        ; implicit-def: $vgpr26_vgpr27
                                        ; implicit-def: $vgpr22_vgpr23
                                        ; implicit-def: $vgpr20_vgpr21
                                        ; implicit-def: $vgpr24_vgpr25
                                        ; implicit-def: $vgpr18_vgpr19
	v_lshlrev_b32_e32 v16, 2, v0
	s_cbranch_execz .LBB776_68
.LBB776_67:
	s_clause 0xb
	flat_load_b32 v1, v0, s[24:25] scale_offset
	flat_load_b32 v2, v0, s[24:25] offset:1024 scale_offset
	flat_load_b32 v3, v0, s[24:25] offset:2048 scale_offset
	;; [unrolled: 1-line block ×11, first 2 shown]
	v_mad_u32_u24 v14, v0, 44, v16
	s_or_b32 s5, s5, exec_lo
	s_wait_loadcnt_dscnt 0xa0a
	ds_store_2addr_stride64_b32 v16, v1, v2 offset1:4
	s_wait_loadcnt_dscnt 0x809
	ds_store_2addr_stride64_b32 v16, v3, v4 offset0:8 offset1:12
	s_wait_loadcnt_dscnt 0x608
	ds_store_2addr_stride64_b32 v16, v5, v6 offset0:16 offset1:20
	;; [unrolled: 2-line block ×5, first 2 shown]
	s_wait_dscnt 0x0
	s_barrier_signal -1
	s_barrier_wait -1
	ds_load_b128 v[2:5], v14 offset:32
	v_mad_i32_i24 v1, 0xffffffd4, v0, v14
	ds_load_b128 v[6:9], v14
	ds_load_b128 v[10:13], v14 offset:16
	s_wait_dscnt 0x2
	ds_store_b32 v1, v5 offset:12288
	s_wait_dscnt 0x0
	s_barrier_signal -1
	s_barrier_wait -1
	s_barrier_signal -1
	s_barrier_wait -1
	s_clause 0xb
	flat_load_b32 v1, v0, s[14:15] scale_offset
	flat_load_b32 v15, v0, s[14:15] offset:1024 scale_offset
	flat_load_b32 v17, v0, s[14:15] offset:2048 scale_offset
	flat_load_b32 v18, v0, s[14:15] offset:3072 scale_offset
	flat_load_b32 v19, v0, s[14:15] offset:4096 scale_offset
	flat_load_b32 v20, v0, s[14:15] offset:5120 scale_offset
	flat_load_b32 v21, v0, s[14:15] offset:6144 scale_offset
	flat_load_b32 v22, v0, s[14:15] offset:7168 scale_offset
	flat_load_b32 v23, v0, s[14:15] offset:8192 scale_offset
	flat_load_b32 v24, v0, s[14:15] offset:9216 scale_offset
	flat_load_b32 v25, v0, s[14:15] offset:10240 scale_offset
	flat_load_b32 v26, v0, s[14:15] offset:11264 scale_offset
	v_cmp_ne_u32_e32 vcc_lo, 0, v7
	s_wait_loadcnt_dscnt 0xa0a
	ds_store_2addr_stride64_b32 v16, v1, v15 offset1:4
	s_wait_loadcnt_dscnt 0x809
	ds_store_2addr_stride64_b32 v16, v17, v18 offset0:8 offset1:12
	s_wait_loadcnt_dscnt 0x608
	ds_store_2addr_stride64_b32 v16, v19, v20 offset0:16 offset1:20
	;; [unrolled: 2-line block ×5, first 2 shown]
	v_cndmask_b32_e64 v45, 0, 1, vcc_lo
	v_cmp_ne_u32_e32 vcc_lo, 0, v6
	s_wait_dscnt 0x0
	s_barrier_signal -1
	s_barrier_wait -1
	v_cndmask_b32_e64 v43, 0, 1, vcc_lo
	v_cmp_ne_u32_e32 vcc_lo, 0, v9
	ds_load_b128 v[20:23], v14
	ds_load_b128 v[24:27], v14 offset:16
	v_cndmask_b32_e64 v47, 0, 1, vcc_lo
	v_cmp_ne_u32_e32 vcc_lo, 0, v8
	ds_load_b128 v[6:9], v14 offset:32
	v_cndmask_b32_e64 v49, 0, 1, vcc_lo
	v_cmp_ne_u32_e32 vcc_lo, 0, v11
	v_cndmask_b32_e64 v51, 0, 1, vcc_lo
	v_cmp_ne_u32_e32 vcc_lo, 0, v10
	s_wait_dscnt 0x2
	v_dual_mov_b32 v42, v20 :: v_dual_mov_b32 v44, v21
	v_cndmask_b32_e64 v55, 0, 1, vcc_lo
	v_cmp_ne_u32_e32 vcc_lo, 0, v13
	v_dual_mov_b32 v48, v22 :: v_dual_mov_b32 v46, v23
	s_wait_dscnt 0x1
	v_dual_mov_b32 v54, v24 :: v_dual_mov_b32 v50, v25
	v_cndmask_b32_e64 v53, 0, 1, vcc_lo
	v_cmp_ne_u32_e32 vcc_lo, 0, v12
	v_dual_mov_b32 v58, v26 :: v_dual_mov_b32 v52, v27
	s_wait_dscnt 0x0
	v_dual_mov_b32 v60, v6 :: v_dual_mov_b32 v56, v7
	v_cndmask_b32_e64 v59, 0, 1, vcc_lo
	v_cmp_ne_u32_e32 vcc_lo, 0, v3
	v_mov_b64_e32 v[38:39], v[42:43]
	v_mov_b64_e32 v[36:37], v[44:45]
	;; [unrolled: 1-line block ×4, first 2 shown]
	v_cndmask_b32_e64 v57, 0, 1, vcc_lo
	v_cmp_ne_u32_e32 vcc_lo, 0, v2
	v_mov_b64_e32 v[30:31], v[54:55]
	v_mov_b64_e32 v[28:29], v[50:51]
	;; [unrolled: 1-line block ×4, first 2 shown]
	v_cndmask_b32_e64 v61, 0, 1, vcc_lo
	v_cmp_ne_u32_e32 vcc_lo, 0, v4
	v_mov_b64_e32 v[24:25], v[56:57]
	v_mov_b32_e32 v18, v8
	s_delay_alu instid0(VALU_DEP_4)
	v_mov_b64_e32 v[20:21], v[60:61]
	v_cndmask_b32_e64 v19, 0, 1, vcc_lo
.LBB776_68:
	v_mov_b64_e32 v[40:41], 0
	s_and_saveexec_b32 s1, s5
	s_cbranch_execz .LBB776_70
; %bb.69:
	v_cmp_ne_u32_e32 vcc_lo, 0, v5
	v_mov_b64_e32 v[24:25], v[56:57]
	v_mov_b64_e32 v[20:21], v[60:61]
	;; [unrolled: 1-line block ×10, first 2 shown]
	v_cndmask_b32_e64 v41, 0, 1, vcc_lo
	v_mov_b32_e32 v40, v9
.LBB776_70:
	s_or_b32 exec_lo, exec_lo, s1
	s_delay_alu instid0(VALU_DEP_3)
	v_dual_lshrrev_b32 v1, 2, v0 :: v_dual_bitop2_b32 v42, v23, v21 bitop3:0x54
	v_or_b32_e32 v17, v25, v19
	s_cmp_lg_u32 s33, 0
	v_cmp_gt_u32_e32 vcc_lo, 32, v0
	s_barrier_signal -1
	s_barrier_wait -1
	s_cbranch_scc0 .LBB776_108
; %bb.71:
	s_mov_b64 s[14:15], 0x100000000
	v_or3_b32 v3, v42, v27, v29
	v_cmp_gt_u64_e64 s1, s[14:15], v[36:37]
	v_cmp_gt_u64_e64 s4, s[14:15], v[34:35]
	;; [unrolled: 1-line block ×7, first 2 shown]
	v_dual_cndmask_b32 v2, 0, v38, s1 :: v_dual_bitop2_b32 v5, 56, v1 bitop3:0x40
	v_cmp_gt_u64_e64 s9, s[14:15], v[22:23]
	v_cmp_gt_u64_e64 s10, s[14:15], v[20:21]
	;; [unrolled: 1-line block ×3, first 2 shown]
	s_delay_alu instid0(VALU_DEP_4) | instskip(SKIP_3) | instid1(VALU_DEP_4)
	v_add_nc_u32_e32 v2, v2, v36
	v_or3_b32 v3, v3, v31, v33
	v_cmp_gt_u64_e64 s12, s[14:15], v[18:19]
	v_lshl_add_u32 v5, v0, 3, v5
	v_cndmask_b32_e64 v2, 0, v2, s4
	s_delay_alu instid0(VALU_DEP_4) | instskip(NEXT) | instid1(VALU_DEP_2)
	v_or3_b32 v3, v3, v35, v37
	v_add_nc_u32_e32 v2, v2, v34
	s_delay_alu instid0(VALU_DEP_2) | instskip(NEXT) | instid1(VALU_DEP_2)
	v_or3_b32 v3, v41, v17, v3
	v_cndmask_b32_e64 v2, 0, v2, s5
	s_delay_alu instid0(VALU_DEP_2) | instskip(NEXT) | instid1(VALU_DEP_2)
	v_and_b32_e32 v3, 0xff, v3
	v_add_nc_u32_e32 v2, v2, v32
	s_delay_alu instid0(VALU_DEP_1) | instskip(NEXT) | instid1(VALU_DEP_1)
	v_cndmask_b32_e64 v2, 0, v2, s6
	v_add_nc_u32_e32 v2, v2, v30
	s_delay_alu instid0(VALU_DEP_1) | instskip(NEXT) | instid1(VALU_DEP_1)
	v_cndmask_b32_e64 v2, 0, v2, s7
	;; [unrolled: 3-line block ×7, first 2 shown]
	v_dual_add_nc_u32 v4, v2, v18 :: v_dual_mov_b32 v2, 0
	s_delay_alu instid0(VALU_DEP_1) | instskip(NEXT) | instid1(VALU_DEP_2)
	v_cndmask_b32_e64 v4, 0, v4, s13
	v_cmp_eq_u64_e64 s14, 0, v[2:3]
	s_delay_alu instid0(VALU_DEP_1)
	v_dual_add_nc_u32 v12, v4, v40 :: v_dual_cndmask_b32 v13, 1, v39, s14
	ds_store_b32 v5, v12
	ds_store_b8 v5, v13 offset:4
	s_wait_dscnt 0x0
	s_barrier_signal -1
	s_barrier_wait -1
	s_and_saveexec_b32 s15, vcc_lo
	s_cbranch_execz .LBB776_81
; %bb.72:
	v_dual_lshlrev_b32 v2, 1, v0 :: v_dual_lshlrev_b32 v3, 6, v0
	s_mov_b32 s24, exec_lo
	s_delay_alu instid0(VALU_DEP_1) | instskip(NEXT) | instid1(VALU_DEP_1)
	v_and_b32_e32 v2, 0x1f8, v2
	v_add_nc_u32_e32 v4, v2, v3
	ds_load_u8 v5, v4 offset:12
	ds_load_b64 v[2:3], v4
	ds_load_2addr_b32 v[6:7], v4 offset0:2 offset1:4
	ds_load_u8 v10, v4 offset:20
	ds_load_u8 v11, v4 offset:28
	;; [unrolled: 1-line block ×5, first 2 shown]
	ds_load_b32 v44, v4 offset:56
	s_wait_dscnt 0x8
	v_cmp_eq_u16_e64 s14, 0, v5
	s_wait_dscnt 0x5
	s_delay_alu instid0(VALU_DEP_1)
	v_dual_cndmask_b32 v45, 0, v2, s14 :: v_dual_bitop2_b32 v5, v10, v5 bitop3:0x54
	ds_load_2addr_b32 v[8:9], v4 offset0:6 offset1:8
	v_cmp_eq_u16_e64 s14, 0, v10
	s_wait_dscnt 0x4
	v_bitop3_b16 v5, v5, v14, v11 bitop3:0xfe
	v_add_nc_u32_e32 v6, v45, v6
	s_delay_alu instid0(VALU_DEP_1) | instskip(SKIP_1) | instid1(VALU_DEP_2)
	v_cndmask_b32_e64 v6, 0, v6, s14
	v_cmp_eq_u16_e64 s14, 0, v11
	v_add_nc_u32_e32 v6, v6, v7
	s_delay_alu instid0(VALU_DEP_1)
	v_cndmask_b32_e64 v45, 0, v6, s14
	ds_load_2addr_b32 v[6:7], v4 offset0:10 offset1:12
	v_cmp_eq_u16_e64 s14, 0, v14
	s_wait_dscnt 0x1
	v_add_nc_u32_e32 v8, v45, v8
	ds_load_u8 v45, v4 offset:60
	v_cndmask_b32_e64 v8, 0, v8, s14
	v_cmp_eq_u16_e64 s14, 0, v15
	s_delay_alu instid0(VALU_DEP_2) | instskip(SKIP_1) | instid1(VALU_DEP_2)
	v_add_nc_u32_e32 v8, v8, v9
	v_bitop3_b16 v9, v5, v43, v15 bitop3:0xfe
	v_dual_cndmask_b32 v8, 0, v8, s14 :: v_dual_bitop2_b32 v5, 1, v3 bitop3:0x40
	s_delay_alu instid0(VALU_DEP_2) | instskip(SKIP_1) | instid1(VALU_DEP_2)
	v_cmp_eq_u16_e64 s14, 0, v9
	s_wait_dscnt 0x0
	v_dual_add_nc_u32 v6, v8, v6 :: v_dual_bitop2_b32 v8, 1, v45 bitop3:0x40
	s_delay_alu instid0(VALU_DEP_2) | instskip(SKIP_1) | instid1(VALU_DEP_1)
	v_cndmask_b32_e64 v9, 1, v5, s14
	v_cmp_eq_u16_e64 s14, 0, v43
	v_cndmask_b32_e64 v6, 0, v6, s14
	s_delay_alu instid0(VALU_DEP_4) | instskip(SKIP_1) | instid1(VALU_DEP_2)
	v_cmp_eq_u32_e64 s14, 1, v8
	v_mbcnt_lo_u32_b32 v8, -1, 0
	v_cndmask_b32_e64 v9, v9, 1, s14
	v_cmp_eq_u16_e64 s14, 0, v45
	s_delay_alu instid0(VALU_DEP_2) | instskip(SKIP_2) | instid1(VALU_DEP_1)
	v_and_b32_e32 v10, 0xffff, v9
	v_add_nc_u32_e32 v7, v6, v7
	v_and_b32_e32 v6, 0xffffff00, v3
	v_dual_cndmask_b32 v7, 0, v7, s14 :: v_dual_bitop2_b32 v11, v6, v10 bitop3:0x54
	v_and_b32_e32 v10, 15, v8
	s_delay_alu instid0(VALU_DEP_2) | instskip(NEXT) | instid1(VALU_DEP_3)
	v_mov_b32_dpp v15, v11 row_shr:1 row_mask:0xf bank_mask:0xf
	v_add_nc_u32_e32 v7, v7, v44
	s_delay_alu instid0(VALU_DEP_1) | instskip(NEXT) | instid1(VALU_DEP_4)
	v_mov_b32_dpp v14, v7 row_shr:1 row_mask:0xf bank_mask:0xf
	v_cmpx_ne_u32_e32 0, v10
	s_cbranch_execz .LBB776_74
; %bb.73:
	v_and_b32_e32 v11, 1, v9
	v_and_b32_e32 v15, 1, v15
	s_delay_alu instid0(VALU_DEP_2) | instskip(NEXT) | instid1(VALU_DEP_1)
	v_cmp_eq_u32_e64 s14, 1, v11
	v_cndmask_b32_e64 v15, v15, 1, s14
	v_cmp_eq_u16_e64 s14, 0, v9
	s_delay_alu instid0(VALU_DEP_2) | instskip(NEXT) | instid1(VALU_DEP_1)
	v_and_b32_e32 v11, 0xffff, v15
	v_dual_cndmask_b32 v9, 0, v14, s14 :: v_dual_bitop2_b32 v11, v6, v11 bitop3:0x54
	s_delay_alu instid0(VALU_DEP_1)
	v_dual_add_nc_u32 v7, v9, v7 :: v_dual_mov_b32 v9, v15
.LBB776_74:
	s_or_b32 exec_lo, exec_lo, s24
	s_delay_alu instid0(VALU_DEP_1) | instskip(NEXT) | instid1(VALU_DEP_3)
	v_mov_b32_dpp v14, v7 row_shr:2 row_mask:0xf bank_mask:0xf
	v_mov_b32_dpp v15, v11 row_shr:2 row_mask:0xf bank_mask:0xf
	s_mov_b32 s24, exec_lo
	v_cmpx_lt_u32_e32 1, v10
	s_cbranch_execz .LBB776_76
; %bb.75:
	v_and_b32_e32 v11, 1, v9
	v_and_b32_e32 v15, 1, v15
	s_delay_alu instid0(VALU_DEP_2) | instskip(NEXT) | instid1(VALU_DEP_1)
	v_cmp_eq_u32_e64 s14, 1, v11
	v_cndmask_b32_e64 v15, v15, 1, s14
	v_cmp_eq_u16_e64 s14, 0, v9
	s_delay_alu instid0(VALU_DEP_2) | instskip(NEXT) | instid1(VALU_DEP_1)
	v_and_b32_e32 v11, 0xffff, v15
	v_dual_cndmask_b32 v9, 0, v14, s14 :: v_dual_bitop2_b32 v11, v6, v11 bitop3:0x54
	s_delay_alu instid0(VALU_DEP_1)
	v_dual_add_nc_u32 v7, v9, v7 :: v_dual_mov_b32 v9, v15
.LBB776_76:
	s_or_b32 exec_lo, exec_lo, s24
	s_delay_alu instid0(VALU_DEP_1) | instskip(NEXT) | instid1(VALU_DEP_3)
	v_mov_b32_dpp v14, v7 row_shr:4 row_mask:0xf bank_mask:0xf
	v_mov_b32_dpp v15, v11 row_shr:4 row_mask:0xf bank_mask:0xf
	s_mov_b32 s24, exec_lo
	v_cmpx_lt_u32_e32 3, v10
	;; [unrolled: 20-line block ×3, first 2 shown]
	s_cbranch_execz .LBB776_80
; %bb.79:
	v_and_b32_e32 v10, 1, v9
	v_and_b32_e32 v11, 1, v15
	s_delay_alu instid0(VALU_DEP_2) | instskip(NEXT) | instid1(VALU_DEP_1)
	v_cmp_eq_u32_e64 s14, 1, v10
	v_cndmask_b32_e64 v10, v11, 1, s14
	v_cmp_eq_u16_e64 s14, 0, v9
	s_delay_alu instid0(VALU_DEP_2) | instskip(NEXT) | instid1(VALU_DEP_1)
	v_and_b32_e32 v11, 0xffff, v10
	v_dual_cndmask_b32 v9, 0, v14, s14 :: v_dual_bitop2_b32 v11, v6, v11 bitop3:0x54
	s_delay_alu instid0(VALU_DEP_1)
	v_dual_add_nc_u32 v7, v9, v7 :: v_dual_mov_b32 v9, v10
.LBB776_80:
	s_or_b32 exec_lo, exec_lo, s24
	ds_swizzle_b32 v10, v11 offset:swizzle(BROADCAST,32,15)
	ds_swizzle_b32 v11, v7 offset:swizzle(BROADCAST,32,15)
	v_and_b32_e32 v14, 1, v9
	v_bfe_i32 v43, v8, 4, 1
	v_and_b32_e32 v3, 0xff, v3
	; wave barrier
	s_delay_alu instid0(VALU_DEP_3) | instskip(SKIP_2) | instid1(VALU_DEP_1)
	v_cmp_eq_u32_e64 s14, 1, v14
	s_wait_dscnt 0x1
	v_dual_add_nc_u32 v14, -1, v8 :: v_dual_bitop2_b32 v10, 1, v10 bitop3:0x40
	v_cndmask_b32_e64 v10, v10, 1, s14
	v_and_b32_e32 v15, 16, v8
	v_cmp_eq_u16_e64 s14, 0, v9
	s_wait_dscnt 0x0
	s_delay_alu instid0(VALU_DEP_1) | instskip(NEXT) | instid1(VALU_DEP_3)
	v_cndmask_b32_e64 v11, 0, v11, s14
	v_cmp_eq_u32_e64 s14, 0, v15
	s_delay_alu instid0(VALU_DEP_1) | instskip(SKIP_1) | instid1(VALU_DEP_4)
	v_cndmask_b32_e64 v9, v10, v9, s14
	v_cmp_gt_i32_e64 s14, 0, v14
	v_and_b32_e32 v10, v43, v11
	s_delay_alu instid0(VALU_DEP_3) | instskip(NEXT) | instid1(VALU_DEP_3)
	v_and_b32_e32 v9, 0xffff, v9
	v_cndmask_b32_e64 v8, v14, v8, s14
	s_delay_alu instid0(VALU_DEP_3) | instskip(SKIP_1) | instid1(VALU_DEP_3)
	v_add_nc_u32_e32 v7, v10, v7
	v_cmp_eq_u16_e64 s14, 0, v3
	v_lshlrev_b32_e32 v8, 2, v8
	ds_bpermute_b32 v7, v8, v7
	s_wait_dscnt 0x0
	v_dual_cndmask_b32 v3, 0, v7, s14 :: v_dual_bitop2_b32 v6, v6, v9 bitop3:0x54
	ds_bpermute_b32 v6, v8, v6
	v_cmp_eq_u32_e64 s14, 1, v5
	v_add_nc_u32_e32 v2, v3, v2
	s_wait_dscnt 0x0
	s_delay_alu instid0(VALU_DEP_1) | instskip(NEXT) | instid1(VALU_DEP_1)
	v_dual_cndmask_b32 v5, v2, v12, s2 :: v_dual_bitop2_b32 v6, 1, v6 bitop3:0x40
	v_cndmask_b32_e64 v3, v6, 1, s14
	s_delay_alu instid0(VALU_DEP_1)
	v_cndmask_b32_e64 v8, v3, v13, s2
	ds_store_b32 v4, v5
	ds_store_b8 v4, v8 offset:4
	; wave barrier
	ds_load_u8 v9, v4 offset:12
	ds_load_2addr_b32 v[2:3], v4 offset0:2 offset1:4
	ds_load_u8 v10, v4 offset:20
	ds_load_u8 v11, v4 offset:28
	;; [unrolled: 1-line block ×5, first 2 shown]
	ds_load_b32 v44, v4 offset:56
	ds_load_u8 v45, v4 offset:60
	ds_load_2addr_b32 v[6:7], v4 offset0:6 offset1:8
	s_wait_dscnt 0x9
	v_cmp_eq_u16_e64 s14, 0, v9
	v_and_b32_e32 v9, 1, v9
	s_delay_alu instid0(VALU_DEP_2) | instskip(SKIP_2) | instid1(VALU_DEP_2)
	v_cndmask_b32_e64 v5, 0, v5, s14
	s_wait_dscnt 0x7
	v_cmp_eq_u16_e64 s14, 0, v10
	v_add_nc_u32_e32 v5, v5, v2
	s_delay_alu instid0(VALU_DEP_1) | instskip(SKIP_2) | instid1(VALU_DEP_2)
	v_cndmask_b32_e64 v2, 0, v5, s14
	s_wait_dscnt 0x6
	v_cmp_eq_u16_e64 s14, 0, v11
	v_add_nc_u32_e32 v46, v2, v3
	ds_load_2addr_b32 v[2:3], v4 offset0:10 offset1:12
	v_cndmask_b32_e64 v47, 0, v46, s14
	s_wait_dscnt 0x6
	v_cmp_eq_u16_e64 s14, 0, v14
	ds_store_2addr_b32 v4, v5, v46 offset0:2 offset1:4
	s_wait_dscnt 0x2
	v_add_nc_u32_e32 v6, v47, v6
	s_delay_alu instid0(VALU_DEP_1) | instskip(SKIP_3) | instid1(VALU_DEP_4)
	v_cndmask_b32_e64 v47, 0, v6, s14
	v_and_b32_e32 v10, 1, v10
	v_cmp_eq_u32_e64 s14, 1, v9
	v_and_b32_e32 v9, 1, v11
	v_dual_add_nc_u32 v7, v47, v7 :: v_dual_bitop2_b32 v11, 1, v14 bitop3:0x40
	s_delay_alu instid0(VALU_DEP_3) | instskip(SKIP_1) | instid1(VALU_DEP_1)
	v_cndmask_b32_e64 v8, v8, 1, s14
	v_cmp_eq_u32_e64 s14, 1, v10
	v_cndmask_b32_e64 v10, v8, 1, s14
	v_cmp_eq_u16_e64 s14, 0, v15
	s_delay_alu instid0(VALU_DEP_1) | instskip(SKIP_2) | instid1(VALU_DEP_2)
	v_cndmask_b32_e64 v14, 0, v7, s14
	v_cmp_eq_u32_e64 s14, 1, v9
	s_wait_dscnt 0x1
	v_dual_add_nc_u32 v2, v14, v2 :: v_dual_bitop2_b32 v15, 1, v15 bitop3:0x40
	s_delay_alu instid0(VALU_DEP_2) | instskip(SKIP_1) | instid1(VALU_DEP_1)
	v_cndmask_b32_e64 v9, v10, 1, s14
	v_cmp_eq_u32_e64 s14, 1, v11
	v_cndmask_b32_e64 v11, v9, 1, s14
	v_cmp_eq_u16_e64 s14, 0, v43
	s_delay_alu instid0(VALU_DEP_1) | instskip(SKIP_1) | instid1(VALU_DEP_2)
	v_dual_cndmask_b32 v43, 0, v2, s14 :: v_dual_bitop2_b32 v14, 1, v43 bitop3:0x40
	v_cmp_eq_u32_e64 s14, 1, v15
	v_add_nc_u32_e32 v3, v43, v3
	s_delay_alu instid0(VALU_DEP_2) | instskip(NEXT) | instid1(VALU_DEP_4)
	v_cndmask_b32_e64 v15, v11, 1, s14
	v_cmp_eq_u32_e64 s14, 1, v14
	ds_store_2addr_b32 v4, v6, v7 offset0:6 offset1:8
	ds_store_2addr_b32 v4, v2, v3 offset0:10 offset1:12
	v_cndmask_b32_e64 v14, v15, 1, s14
	v_cmp_eq_u16_e64 s14, 0, v45
	s_delay_alu instid0(VALU_DEP_1) | instskip(NEXT) | instid1(VALU_DEP_1)
	v_dual_cndmask_b32 v5, 0, v3, s14 :: v_dual_bitop2_b32 v47, 1, v45 bitop3:0x40
	v_cmp_eq_u32_e64 s14, 1, v47
	s_delay_alu instid0(VALU_DEP_2) | instskip(NEXT) | instid1(VALU_DEP_2)
	v_add_nc_u32_e32 v2, v5, v44
	v_cndmask_b32_e64 v43, v14, 1, s14
	ds_store_b8 v4, v8 offset:12
	ds_store_b8 v4, v10 offset:20
	;; [unrolled: 1-line block ×6, first 2 shown]
	ds_store_b32 v4, v2 offset:56
	ds_store_b8 v4, v43 offset:60
.LBB776_81:
	s_or_b32 exec_lo, exec_lo, s15
	s_wait_dscnt 0x0
	s_barrier_signal -1
	s_barrier_wait -1
	s_and_saveexec_b32 s14, s3
	s_cbranch_execz .LBB776_83
; %bb.82:
	v_add_nc_u32_e32 v2, -1, v0
	s_delay_alu instid0(VALU_DEP_1) | instskip(NEXT) | instid1(VALU_DEP_1)
	v_lshrrev_b32_e32 v3, 2, v2
	v_and_b32_e32 v3, 0x3ffffff8, v3
	s_delay_alu instid0(VALU_DEP_1)
	v_lshl_add_u32 v2, v2, 3, v3
	ds_load_b32 v12, v2
	ds_load_u8 v13, v2 offset:4
.LBB776_83:
	s_or_b32 exec_lo, exec_lo, s14
	s_and_saveexec_b32 s34, vcc_lo
	s_cbranch_execz .LBB776_153
; %bb.84:
	v_mov_b32_e32 v5, 0
	v_mbcnt_lo_u32_b32 v14, -1, 0
	s_mov_b32 s25, 0
	ds_load_b64 v[2:3], v5 offset:2096
	v_cmp_eq_u32_e64 s14, 0, v14
	s_and_saveexec_b32 s15, s14
	s_cbranch_execz .LBB776_86
; %bb.85:
	s_add_co_i32 s24, s33, 32
	v_mov_b32_e32 v4, 1
	s_lshl_b64 s[24:25], s[24:25], 4
	s_delay_alu instid0(SALU_CYCLE_1) | instskip(NEXT) | instid1(SALU_CYCLE_1)
	s_add_nc_u64 s[24:25], s[20:21], s[24:25]
	v_mov_b64_e32 v[6:7], s[24:25]
	s_wait_dscnt 0x0
	;;#ASMSTART
	global_store_b128 v[6:7], v[2:5] off scope:SCOPE_DEV	
s_wait_storecnt 0x0
	;;#ASMEND
.LBB776_86:
	s_or_b32 exec_lo, exec_lo, s15
	v_xad_u32 v8, v14, -1, s33
	s_mov_b32 s15, exec_lo
	s_delay_alu instid0(VALU_DEP_1) | instskip(NEXT) | instid1(VALU_DEP_1)
	v_add_nc_u32_e32 v4, 32, v8
	v_lshl_add_u64 v[10:11], v[4:5], 4, s[20:21]
	;;#ASMSTART
	global_load_b128 v[4:7], v[10:11] off scope:SCOPE_DEV	
s_wait_loadcnt 0x0
	;;#ASMEND
	v_and_b32_e32 v7, 0xff, v6
	v_and_b32_e32 v5, 0xff, v5
	s_delay_alu instid0(VALU_DEP_2)
	v_cmpx_eq_u16_e32 0, v7
	s_cbranch_execz .LBB776_90
; %bb.87:
	s_mov_b32 s24, 0
.LBB776_88:                             ; =>This Inner Loop Header: Depth=1
	;;#ASMSTART
	global_load_b128 v[4:7], v[10:11] off scope:SCOPE_DEV	
s_wait_loadcnt 0x0
	;;#ASMEND
	v_and_b32_e32 v7, 0xff, v6
	s_delay_alu instid0(VALU_DEP_1) | instskip(SKIP_1) | instid1(SALU_CYCLE_1)
	v_cmp_ne_u16_e32 vcc_lo, 0, v7
	s_or_b32 s24, vcc_lo, s24
	s_and_not1_b32 exec_lo, exec_lo, s24
	s_cbranch_execnz .LBB776_88
; %bb.89:
	s_or_b32 exec_lo, exec_lo, s24
	v_and_b32_e32 v5, 0xff, v5
.LBB776_90:
	s_or_b32 exec_lo, exec_lo, s15
	v_cmp_ne_u32_e32 vcc_lo, 31, v14
	v_and_b32_e32 v9, 0xff, v6
	v_lshlrev_b32_e64 v43, v14, -1
	s_mov_b64 s[24:25], 0x100000000
	v_lshl_or_b32 v52, v14, 2, 64
	v_add_co_ci_u32_e64 v7, null, 0, v14, vcc_lo
	v_cmp_eq_u16_e32 vcc_lo, 2, v9
	v_cmp_gt_u64_e64 s15, s[24:25], v[4:5]
	s_delay_alu instid0(VALU_DEP_3) | instskip(SKIP_1) | instid1(VALU_DEP_2)
	v_dual_lshlrev_b32 v15, 2, v7 :: v_dual_bitop2_b32 v10, 1, v5 bitop3:0x40
	v_and_or_b32 v9, vcc_lo, v43, 0x80000000
	v_cmp_eq_u32_e32 vcc_lo, 1, v10
	ds_bpermute_b32 v7, v15, v5
	ds_bpermute_b32 v10, v15, v4
	v_ctz_i32_b32_e32 v9, v9
	s_wait_dscnt 0x1
	v_and_b32_e32 v7, 1, v7
	s_delay_alu instid0(VALU_DEP_1) | instskip(SKIP_1) | instid1(VALU_DEP_2)
	v_cndmask_b32_e64 v7, v7, 1, vcc_lo
	v_cmp_gt_u32_e32 vcc_lo, 30, v14
	v_and_b32_e32 v45, 0xffff, v7
	v_cndmask_b32_e64 v11, 0, 2, vcc_lo
	v_cmp_lt_u32_e32 vcc_lo, v14, v9
	s_delay_alu instid0(VALU_DEP_2) | instskip(NEXT) | instid1(VALU_DEP_4)
	v_add_lshl_u32 v44, v11, v14, 2
	v_dual_cndmask_b32 v11, v5, v45, vcc_lo :: v_dual_cndmask_b32 v7, v5, v7, vcc_lo
	s_and_b32 vcc_lo, vcc_lo, s15
	v_add_nc_u32_e32 v45, 2, v14
	s_wait_dscnt 0x0
	v_cndmask_b32_e32 v10, 0, v10, vcc_lo
	ds_bpermute_b32 v5, v44, v11
	v_and_b32_e32 v46, 1, v7
	v_and_b32_e32 v48, 0xff, v7
	v_add_nc_u32_e32 v4, v10, v4
	s_delay_alu instid0(VALU_DEP_3) | instskip(NEXT) | instid1(VALU_DEP_3)
	v_cmp_eq_u32_e32 vcc_lo, 1, v46
	v_cmp_eq_u16_e64 s15, 0, v48
	ds_bpermute_b32 v10, v44, v4
	s_wait_dscnt 0x1
	v_and_b32_e32 v5, 1, v5
	s_delay_alu instid0(VALU_DEP_1) | instskip(SKIP_3) | instid1(VALU_DEP_3)
	v_cndmask_b32_e64 v5, v5, 1, vcc_lo
	v_cmp_gt_u32_e32 vcc_lo, 28, v14
	s_wait_dscnt 0x0
	v_cndmask_b32_e64 v10, 0, v10, s15
	v_and_b32_e32 v47, 0xffff, v5
	v_cndmask_b32_e64 v46, 0, 4, vcc_lo
	v_cmp_gt_u32_e32 vcc_lo, v45, v9
	s_delay_alu instid0(VALU_DEP_2) | instskip(SKIP_3) | instid1(VALU_DEP_2)
	v_add_lshl_u32 v46, v46, v14, 2
	v_cndmask_b32_e32 v5, v5, v7, vcc_lo
	v_cndmask_b32_e64 v10, v10, 0, vcc_lo
	v_dual_cndmask_b32 v7, v47, v11, vcc_lo :: v_dual_add_nc_u32 v47, 4, v14
	v_dual_add_nc_u32 v4, v10, v4 :: v_dual_bitop2_b32 v48, 1, v5 bitop3:0x40
	ds_bpermute_b32 v11, v46, v7
	v_cmp_eq_u32_e32 vcc_lo, 1, v48
	ds_bpermute_b32 v10, v46, v4
	v_and_b32_e32 v48, 0xff, v5
	s_delay_alu instid0(VALU_DEP_1) | instskip(SKIP_1) | instid1(VALU_DEP_1)
	v_cmp_eq_u16_e64 s15, 0, v48
	s_wait_dscnt 0x0
	v_dual_cndmask_b32 v10, 0, v10, s15 :: v_dual_bitop2_b32 v11, 1, v11 bitop3:0x40
	s_delay_alu instid0(VALU_DEP_1) | instskip(SKIP_1) | instid1(VALU_DEP_2)
	v_cndmask_b32_e64 v11, v11, 1, vcc_lo
	v_cmp_gt_u32_e32 vcc_lo, 24, v14
	v_and_b32_e32 v50, 0xffff, v11
	v_cndmask_b32_e64 v49, 0, 8, vcc_lo
	v_cmp_gt_u32_e32 vcc_lo, v47, v9
	s_delay_alu instid0(VALU_DEP_2) | instskip(NEXT) | instid1(VALU_DEP_4)
	v_add_lshl_u32 v48, v49, v14, 2
	v_dual_cndmask_b32 v5, v11, v5, vcc_lo :: v_dual_cndmask_b32 v7, v50, v7, vcc_lo
	v_cndmask_b32_e64 v10, v10, 0, vcc_lo
	s_delay_alu instid0(VALU_DEP_2)
	v_dual_add_nc_u32 v49, 8, v14 :: v_dual_bitop2_b32 v50, 1, v5 bitop3:0x40
	ds_bpermute_b32 v11, v48, v7
	v_add_nc_u32_e32 v4, v10, v4
	v_and_b32_e32 v51, 0xff, v5
	v_cmp_eq_u32_e32 vcc_lo, 1, v50
	ds_bpermute_b32 v10, v48, v4
	s_wait_dscnt 0x1
	v_and_b32_e32 v11, 1, v11
	s_delay_alu instid0(VALU_DEP_1) | instskip(SKIP_1) | instid1(VALU_DEP_2)
	v_cndmask_b32_e64 v11, v11, 1, vcc_lo
	v_cmp_eq_u16_e32 vcc_lo, 0, v51
	v_and_b32_e32 v50, 0xffff, v11
	s_wait_dscnt 0x0
	v_cndmask_b32_e32 v10, 0, v10, vcc_lo
	v_cmp_gt_u32_e32 vcc_lo, v49, v9
	s_delay_alu instid0(VALU_DEP_3) | instskip(NEXT) | instid1(VALU_DEP_3)
	v_dual_cndmask_b32 v5, v11, v5, vcc_lo :: v_dual_cndmask_b32 v7, v50, v7, vcc_lo
	v_cndmask_b32_e64 v10, v10, 0, vcc_lo
	s_delay_alu instid0(VALU_DEP_2) | instskip(SKIP_3) | instid1(VALU_DEP_1)
	v_and_b32_e32 v50, 1, v5
	ds_bpermute_b32 v7, v52, v7
	v_add_nc_u32_e32 v4, v10, v4
	v_and_b32_e32 v11, 0xff, v5
	v_cmp_eq_u16_e32 vcc_lo, 0, v11
	s_wait_dscnt 0x0
	v_and_b32_e32 v7, 1, v7
	ds_bpermute_b32 v10, v52, v4
	s_wait_dscnt 0x0
	v_cndmask_b32_e32 v10, 0, v10, vcc_lo
	v_cmp_eq_u32_e32 vcc_lo, 1, v50
	v_cndmask_b32_e64 v7, v7, 1, vcc_lo
	v_add_nc_u32_e32 v53, 16, v14
	s_delay_alu instid0(VALU_DEP_1) | instskip(NEXT) | instid1(VALU_DEP_3)
	v_cmp_gt_u32_e32 vcc_lo, v53, v9
	v_dual_mov_b32 v9, 0 :: v_dual_cndmask_b32 v5, v7, v5, vcc_lo
	v_cndmask_b32_e64 v7, v10, 0, vcc_lo
	s_delay_alu instid0(VALU_DEP_1)
	v_add_nc_u32_e32 v4, v7, v4
	s_branch .LBB776_94
.LBB776_91:                             ;   in Loop: Header=BB776_94 Depth=1
	s_or_b32 exec_lo, exec_lo, s35
	v_and_b32_e32 v5, 0xff, v5
.LBB776_92:                             ;   in Loop: Header=BB776_94 Depth=1
	s_or_b32 exec_lo, exec_lo, s15
	ds_bpermute_b32 v7, v15, v5
	v_and_b32_e32 v10, 0xff, v6
	v_cmp_gt_u64_e64 s15, s[24:25], v[4:5]
	v_subrev_nc_u32_e32 v8, 32, v8
	s_delay_alu instid0(VALU_DEP_3) | instskip(SKIP_2) | instid1(VALU_DEP_2)
	v_cmp_eq_u16_e32 vcc_lo, 2, v10
	v_and_b32_e32 v10, 1, v5
	v_and_or_b32 v11, vcc_lo, v43, 0x80000000
	v_cmp_eq_u32_e32 vcc_lo, 1, v10
	s_delay_alu instid0(VALU_DEP_2) | instskip(SKIP_3) | instid1(VALU_DEP_1)
	v_ctz_i32_b32_e32 v10, v11
	ds_bpermute_b32 v11, v15, v4
	s_wait_dscnt 0x1
	v_and_b32_e32 v7, 1, v7
	v_cndmask_b32_e64 v7, v7, 1, vcc_lo
	v_cmp_lt_u32_e32 vcc_lo, v14, v10
	s_delay_alu instid0(VALU_DEP_2) | instskip(NEXT) | instid1(VALU_DEP_1)
	v_and_b32_e32 v54, 0xffff, v7
	v_dual_cndmask_b32 v7, v5, v7 :: v_dual_cndmask_b32 v54, v5, v54
	s_and_b32 vcc_lo, vcc_lo, s15
	s_delay_alu instid0(VALU_DEP_1)
	v_and_b32_e32 v56, 0xff, v7
	v_and_b32_e32 v55, 1, v7
	ds_bpermute_b32 v5, v44, v54
	s_wait_dscnt 0x1
	v_cndmask_b32_e32 v11, 0, v11, vcc_lo
	v_cmp_eq_u16_e64 s15, 0, v56
	v_cmp_eq_u32_e32 vcc_lo, 1, v55
	s_wait_dscnt 0x0
	s_delay_alu instid0(VALU_DEP_3) | instskip(NEXT) | instid1(VALU_DEP_1)
	v_dual_add_nc_u32 v4, v11, v4 :: v_dual_bitop2_b32 v5, 1, v5 bitop3:0x40
	v_cndmask_b32_e64 v5, v5, 1, vcc_lo
	ds_bpermute_b32 v11, v44, v4
	v_cmp_gt_u32_e32 vcc_lo, v45, v10
	v_and_b32_e32 v55, 0xffff, v5
	s_delay_alu instid0(VALU_DEP_1) | instskip(NEXT) | instid1(VALU_DEP_1)
	v_dual_cndmask_b32 v5, v5, v7, vcc_lo :: v_dual_cndmask_b32 v7, v55, v54, vcc_lo
	v_and_b32_e32 v55, 1, v5
	ds_bpermute_b32 v54, v46, v7
	s_wait_dscnt 0x1
	v_cndmask_b32_e64 v11, 0, v11, s15
	s_delay_alu instid0(VALU_DEP_1) | instskip(SKIP_2) | instid1(VALU_DEP_3)
	v_cndmask_b32_e64 v11, v11, 0, vcc_lo
	v_cmp_eq_u32_e32 vcc_lo, 1, v55
	v_and_b32_e32 v55, 0xff, v5
	v_add_nc_u32_e32 v4, v11, v4
	s_delay_alu instid0(VALU_DEP_2)
	v_cmp_eq_u16_e64 s15, 0, v55
	s_wait_dscnt 0x0
	v_and_b32_e32 v54, 1, v54
	ds_bpermute_b32 v11, v46, v4
	v_cndmask_b32_e64 v54, v54, 1, vcc_lo
	v_cmp_gt_u32_e32 vcc_lo, v47, v10
	s_delay_alu instid0(VALU_DEP_2) | instskip(SKIP_3) | instid1(VALU_DEP_1)
	v_and_b32_e32 v56, 0xffff, v54
	s_wait_dscnt 0x0
	v_dual_cndmask_b32 v5, v54, v5, vcc_lo :: v_dual_cndmask_b32 v11, 0, v11, s15
	s_mov_b32 s15, 0
	v_cndmask_b32_e64 v11, v11, 0, vcc_lo
	v_cndmask_b32_e32 v7, v56, v7, vcc_lo
	s_delay_alu instid0(VALU_DEP_3) | instskip(NEXT) | instid1(VALU_DEP_3)
	v_and_b32_e32 v56, 0xff, v5
	v_add_nc_u32_e32 v4, v11, v4
	ds_bpermute_b32 v54, v48, v7
	ds_bpermute_b32 v11, v48, v4
	v_and_b32_e32 v55, 1, v5
	s_delay_alu instid0(VALU_DEP_1) | instskip(SKIP_2) | instid1(VALU_DEP_1)
	v_cmp_eq_u32_e32 vcc_lo, 1, v55
	s_wait_dscnt 0x1
	v_and_b32_e32 v54, 1, v54
	v_cndmask_b32_e64 v54, v54, 1, vcc_lo
	v_cmp_eq_u16_e32 vcc_lo, 0, v56
	s_delay_alu instid0(VALU_DEP_2) | instskip(SKIP_3) | instid1(VALU_DEP_2)
	v_and_b32_e32 v55, 0xffff, v54
	s_wait_dscnt 0x0
	v_cndmask_b32_e32 v11, 0, v11, vcc_lo
	v_cmp_gt_u32_e32 vcc_lo, v49, v10
	v_cndmask_b32_e64 v11, v11, 0, vcc_lo
	v_dual_cndmask_b32 v7, v55, v7, vcc_lo :: v_dual_cndmask_b32 v5, v54, v5, vcc_lo
	s_delay_alu instid0(VALU_DEP_2) | instskip(SKIP_4) | instid1(VALU_DEP_1)
	v_add_nc_u32_e32 v4, v11, v4
	ds_bpermute_b32 v7, v52, v7
	v_and_b32_e32 v55, 0xff, v5
	ds_bpermute_b32 v11, v52, v4
	v_and_b32_e32 v54, 1, v5
	v_cmp_eq_u32_e32 vcc_lo, 1, v54
	s_wait_dscnt 0x1
	v_cndmask_b32_e64 v7, v7, 1, vcc_lo
	v_cmp_eq_u16_e32 vcc_lo, 0, v55
	s_wait_dscnt 0x0
	v_cndmask_b32_e32 v11, 0, v11, vcc_lo
	v_cmp_gt_u32_e32 vcc_lo, v53, v10
	v_and_b32_e32 v10, 0xff, v50
	v_cndmask_b32_e32 v5, v7, v5, vcc_lo
	s_delay_alu instid0(VALU_DEP_4) | instskip(NEXT) | instid1(VALU_DEP_3)
	v_cndmask_b32_e64 v7, v11, 0, vcc_lo
	v_cmp_eq_u16_e32 vcc_lo, 0, v10
	s_delay_alu instid0(VALU_DEP_2) | instskip(NEXT) | instid1(VALU_DEP_1)
	v_dual_add_nc_u32 v4, v7, v4 :: v_dual_bitop2_b32 v7, 1, v50 bitop3:0x40
	v_dual_cndmask_b32 v4, 0, v4, vcc_lo :: v_dual_bitop2_b32 v5, 1, v5 bitop3:0x40
	s_delay_alu instid0(VALU_DEP_2) | instskip(NEXT) | instid1(VALU_DEP_2)
	v_cmp_eq_u32_e32 vcc_lo, 1, v7
	v_add_nc_u32_e32 v4, v4, v51
	s_delay_alu instid0(VALU_DEP_3)
	v_cndmask_b32_e64 v5, v5, 1, vcc_lo
.LBB776_93:                             ;   in Loop: Header=BB776_94 Depth=1
	s_and_b32 vcc_lo, exec_lo, s15
	s_cbranch_vccnz .LBB776_149
.LBB776_94:                             ; =>This Loop Header: Depth=1
                                        ;     Child Loop BB776_97 Depth 2
	v_and_b32_e32 v6, 0xff, v6
	s_delay_alu instid0(VALU_DEP_2) | instskip(SKIP_1) | instid1(VALU_DEP_2)
	v_dual_mov_b32 v50, v5 :: v_dual_mov_b32 v51, v4
	s_mov_b32 s15, -1
                                        ; implicit-def: $vgpr5
                                        ; implicit-def: $vgpr4
	v_cmp_ne_u16_e32 vcc_lo, 2, v6
                                        ; implicit-def: $vgpr6
	s_cmp_lg_u32 vcc_lo, exec_lo
	s_cbranch_scc1 .LBB776_93
; %bb.95:                               ;   in Loop: Header=BB776_94 Depth=1
	v_lshl_add_u64 v[10:11], v[8:9], 4, s[20:21]
	;;#ASMSTART
	global_load_b128 v[4:7], v[10:11] off scope:SCOPE_DEV	
s_wait_loadcnt 0x0
	;;#ASMEND
	v_and_b32_e32 v7, 0xff, v6
	v_and_b32_e32 v5, 0xff, v5
	s_mov_b32 s15, exec_lo
	s_delay_alu instid0(VALU_DEP_2)
	v_cmpx_eq_u16_e32 0, v7
	s_cbranch_execz .LBB776_92
; %bb.96:                               ;   in Loop: Header=BB776_94 Depth=1
	s_mov_b32 s35, 0
.LBB776_97:                             ;   Parent Loop BB776_94 Depth=1
                                        ; =>  This Inner Loop Header: Depth=2
	;;#ASMSTART
	global_load_b128 v[4:7], v[10:11] off scope:SCOPE_DEV	
s_wait_loadcnt 0x0
	;;#ASMEND
	v_and_b32_e32 v7, 0xff, v6
	s_delay_alu instid0(VALU_DEP_1) | instskip(SKIP_1) | instid1(SALU_CYCLE_1)
	v_cmp_ne_u16_e32 vcc_lo, 0, v7
	s_or_b32 s35, vcc_lo, s35
	s_and_not1_b32 exec_lo, exec_lo, s35
	s_cbranch_execnz .LBB776_97
	s_branch .LBB776_91
.LBB776_98:
	s_or_b32 exec_lo, exec_lo, s35
                                        ; implicit-def: $vgpr9
	s_and_saveexec_b32 s35, s1
	s_cbranch_execz .LBB776_31
.LBB776_99:
	flat_load_b32 v9, v0, s[14:15] offset:1024 scale_offset
	s_wait_xcnt 0x0
	s_or_b32 exec_lo, exec_lo, s35
                                        ; implicit-def: $vgpr18
	s_and_saveexec_b32 s1, s4
	s_cbranch_execnz .LBB776_32
.LBB776_100:
	s_or_b32 exec_lo, exec_lo, s1
                                        ; implicit-def: $vgpr19
	s_and_saveexec_b32 s1, s5
	s_cbranch_execz .LBB776_33
.LBB776_101:
	flat_load_b32 v19, v0, s[14:15] offset:3072 scale_offset
	s_wait_xcnt 0x0
	s_or_b32 exec_lo, exec_lo, s1
                                        ; implicit-def: $vgpr20
	s_and_saveexec_b32 s1, s6
	s_cbranch_execnz .LBB776_34
.LBB776_102:
	s_or_b32 exec_lo, exec_lo, s1
                                        ; implicit-def: $vgpr21
	s_and_saveexec_b32 s1, s7
	s_cbranch_execz .LBB776_35
.LBB776_103:
	flat_load_b32 v21, v0, s[14:15] offset:5120 scale_offset
	s_wait_xcnt 0x0
	s_or_b32 exec_lo, exec_lo, s1
                                        ; implicit-def: $vgpr22
	s_and_saveexec_b32 s1, s8
	s_cbranch_execnz .LBB776_36
.LBB776_104:
	s_or_b32 exec_lo, exec_lo, s1
                                        ; implicit-def: $vgpr23
	s_and_saveexec_b32 s1, s9
	s_cbranch_execz .LBB776_37
.LBB776_105:
	flat_load_b32 v23, v0, s[14:15] offset:7168 scale_offset
	s_wait_xcnt 0x0
	s_or_b32 exec_lo, exec_lo, s1
                                        ; implicit-def: $vgpr24
	s_and_saveexec_b32 s1, s10
	s_cbranch_execnz .LBB776_38
.LBB776_106:
	s_or_b32 exec_lo, exec_lo, s1
                                        ; implicit-def: $vgpr25
	s_and_saveexec_b32 s1, s11
	s_cbranch_execz .LBB776_39
.LBB776_107:
	flat_load_b32 v25, v0, s[14:15] offset:9216 scale_offset
	s_wait_xcnt 0x0
	s_or_b32 exec_lo, exec_lo, s1
                                        ; implicit-def: $vgpr26
	s_and_saveexec_b32 s1, s12
	s_cbranch_execz .LBB776_41
	s_branch .LBB776_40
.LBB776_108:
                                        ; implicit-def: $vgpr13
                                        ; implicit-def: $vgpr5
                                        ; implicit-def: $vgpr9
                                        ; implicit-def: $vgpr14_vgpr15
	s_cbranch_execnz .LBB776_154
.LBB776_109:
	s_add_nc_u64 s[2:3], s[18:19], s[28:29]
	s_and_b32 vcc_lo, exec_lo, s0
	s_add_nc_u64 s[0:1], s[2:3], s[16:17]
	s_cbranch_vccz .LBB776_171
.LBB776_110:
	v_mul_u32_u24_e32 v1, 12, v0
	s_add_co_i32 s23, s23, s22
	s_mov_b32 s2, exec_lo
	s_delay_alu instid0(VALU_DEP_1)
	v_cmpx_gt_u32_e64 s23, v1
	s_cbranch_execz .LBB776_126
; %bb.111:
	v_or_b32_e32 v17, 1, v1
	s_mov_b32 s3, exec_lo
	s_delay_alu instid0(VALU_DEP_1)
	v_cmpx_gt_u32_e64 s23, v17
	s_cbranch_execz .LBB776_125
; %bb.112:
	v_or_b32_e32 v17, 2, v1
	;; [unrolled: 6-line block ×3, first 2 shown]
	s_mov_b32 s5, exec_lo
	s_delay_alu instid0(VALU_DEP_1)
	v_cmpx_gt_u32_e64 s23, v17
	s_cbranch_execz .LBB776_123
; %bb.114:
	v_add_nc_u32_e32 v17, 4, v1
	s_mov_b32 s6, exec_lo
	s_delay_alu instid0(VALU_DEP_1)
	v_cmpx_gt_u32_e64 s23, v17
	s_cbranch_execz .LBB776_122
; %bb.115:
	v_add_nc_u32_e32 v17, 5, v1
	;; [unrolled: 6-line block ×4, first 2 shown]
	s_mov_b32 s9, exec_lo
	s_delay_alu instid0(VALU_DEP_1)
	v_cmpx_gt_u32_e64 s23, v17
; %bb.118:
	v_add_nc_u32_e32 v17, 8, v1
	s_mov_b32 s10, exec_lo
	s_delay_alu instid0(VALU_DEP_1)
	v_cmpx_gt_u32_e64 s23, v17
	s_or_b32 exec_lo, exec_lo, s10
; %bb.119:
	s_delay_alu instid0(SALU_CYCLE_1)
	s_or_b32 exec_lo, exec_lo, s9
.LBB776_120:
	s_delay_alu instid0(SALU_CYCLE_1)
	s_or_b32 exec_lo, exec_lo, s8
.LBB776_121:
	s_delay_alu instid0(SALU_CYCLE_1)
	s_or_b32 exec_lo, exec_lo, s7
.LBB776_122:
	s_delay_alu instid0(SALU_CYCLE_1)
	s_or_b32 exec_lo, exec_lo, s6
.LBB776_123:
	s_delay_alu instid0(SALU_CYCLE_1)
	s_or_b32 exec_lo, exec_lo, s5
.LBB776_124:
	s_delay_alu instid0(SALU_CYCLE_1)
	s_or_b32 exec_lo, exec_lo, s4
.LBB776_125:
	s_delay_alu instid0(SALU_CYCLE_1)
	s_or_b32 exec_lo, exec_lo, s3
.LBB776_126:
	s_delay_alu instid0(SALU_CYCLE_1)
	s_or_b32 exec_lo, exec_lo, s2
	v_dual_lshlrev_b32 v1, 2, v1 :: v_dual_mov_b32 v17, 0
	s_barrier_signal -1
	s_barrier_wait -1
	ds_store_b128 v1, v[6:9]
	ds_store_b128 v1, v[2:5] offset:16
	ds_store_b128 v1, v[10:13] offset:32
	v_mad_i32_i24 v6, 0xffffffd4, v0, v1
	s_wait_dscnt 0x0
	s_barrier_signal -1
	s_barrier_wait -1
	ds_load_2addr_stride64_b32 v[26:27], v6 offset0:4 offset1:8
	ds_load_2addr_stride64_b32 v[24:25], v6 offset0:12 offset1:16
	;; [unrolled: 1-line block ×5, first 2 shown]
	ds_load_b32 v7, v6 offset:11264
	v_add_nc_u64_e32 v[16:17], s[0:1], v[16:17]
	s_mov_b32 s2, exec_lo
	v_cmpx_gt_u32_e64 s23, v0
	s_cbranch_execz .LBB776_128
; %bb.127:
	v_mul_i32_i24_e32 v6, 0xffffffd4, v0
	s_delay_alu instid0(VALU_DEP_1)
	v_add_nc_u32_e32 v1, v1, v6
	ds_load_b32 v1, v1
	s_wait_dscnt 0x0
	flat_store_b32 v[16:17], v1
.LBB776_128:
	s_wait_xcnt 0x0
	s_or_b32 exec_lo, exec_lo, s2
	v_or_b32_e32 v1, 0x100, v0
	s_mov_b32 s2, exec_lo
	s_delay_alu instid0(VALU_DEP_1)
	v_cmpx_gt_u32_e64 s23, v1
	s_cbranch_execz .LBB776_130
; %bb.129:
	s_wait_dscnt 0x5
	flat_store_b32 v[16:17], v26 offset:1024
.LBB776_130:
	s_wait_xcnt 0x0
	s_or_b32 exec_lo, exec_lo, s2
	v_or_b32_e32 v1, 0x200, v0
	s_mov_b32 s2, exec_lo
	s_delay_alu instid0(VALU_DEP_1)
	v_cmpx_gt_u32_e64 s23, v1
	s_cbranch_execz .LBB776_132
; %bb.131:
	s_wait_dscnt 0x5
	flat_store_b32 v[16:17], v27 offset:2048
.LBB776_132:
	;; [unrolled: 11-line block ×10, first 2 shown]
	s_wait_xcnt 0x0
	s_or_b32 exec_lo, exec_lo, s2
	v_or_b32_e32 v1, 0xb00, v0
	s_delay_alu instid0(VALU_DEP_1)
	v_cmp_gt_u32_e64 s2, s23, v1
	s_branch .LBB776_173
.LBB776_149:
	s_and_saveexec_b32 s15, s14
	s_cbranch_execz .LBB776_151
; %bb.150:
	v_and_b32_e32 v4, 0xff, v3
	s_mov_b32 s25, 0
	s_add_co_i32 s24, s33, 32
	v_and_b32_e32 v5, 1, v50
	s_lshl_b64 s[24:25], s[24:25], 4
	v_cmp_eq_u32_e32 vcc_lo, 0, v4
	s_add_nc_u64 s[24:25], s[20:21], s[24:25]
	s_delay_alu instid0(SALU_CYCLE_1) | instskip(SKIP_1) | instid1(VALU_DEP_1)
	v_mov_b64_e32 v[6:7], s[24:25]
	v_cndmask_b32_e32 v4, 0, v51, vcc_lo
	v_dual_add_nc_u32 v2, v4, v2 :: v_dual_bitop2_b32 v3, 1, v3 bitop3:0x40
	s_delay_alu instid0(VALU_DEP_1)
	v_cmp_eq_u32_e32 vcc_lo, 1, v3
	v_mov_b32_e32 v4, 2
	v_cndmask_b32_e64 v3, v5, 1, vcc_lo
	v_mov_b32_e32 v5, 0
	;;#ASMSTART
	global_store_b128 v[6:7], v[2:5] off scope:SCOPE_DEV	
s_wait_storecnt 0x0
	;;#ASMEND
.LBB776_151:
	s_or_b32 exec_lo, exec_lo, s15
	s_delay_alu instid0(SALU_CYCLE_1)
	s_and_b32 exec_lo, exec_lo, s2
	s_cbranch_execz .LBB776_153
; %bb.152:
	v_mov_b32_e32 v2, 0
	ds_store_b32 v2, v51
	ds_store_b8 v2, v50 offset:4
.LBB776_153:
	s_or_b32 exec_lo, exec_lo, s34
	v_dual_mov_b32 v2, 0 :: v_dual_bitop2_b32 v3, 1, v39 bitop3:0x40
	s_wait_dscnt 0x0
	s_barrier_signal -1
	s_barrier_wait -1
	s_delay_alu instid0(VALU_DEP_1) | instskip(SKIP_4) | instid1(VALU_DEP_2)
	v_cmp_eq_u32_e32 vcc_lo, 1, v3
	ds_load_b32 v2, v2
	s_mov_b64 s[14:15], 0x100000000
	v_cndmask_b32_e64 v3, v13, 1, vcc_lo
	v_cmp_gt_u64_e32 vcc_lo, s[14:15], v[38:39]
	v_dual_cndmask_b32 v3, v3, v39, s2 :: v_dual_cndmask_b32 v4, 0, v12, vcc_lo
	s_delay_alu instid0(VALU_DEP_1) | instskip(NEXT) | instid1(VALU_DEP_2)
	v_and_b32_e32 v3, 0xff, v3
	v_cndmask_b32_e64 v4, v4, 0, s2
	s_delay_alu instid0(VALU_DEP_2) | instskip(SKIP_2) | instid1(VALU_DEP_1)
	v_cmp_eq_u16_e32 vcc_lo, 0, v3
	s_wait_dscnt 0x0
	v_cndmask_b32_e32 v2, 0, v2, vcc_lo
	v_add3_u32 v6, v4, v38, v2
	s_delay_alu instid0(VALU_DEP_1) | instskip(NEXT) | instid1(VALU_DEP_1)
	v_cndmask_b32_e64 v2, 0, v6, s1
	v_add_nc_u32_e32 v7, v2, v36
	s_delay_alu instid0(VALU_DEP_1) | instskip(NEXT) | instid1(VALU_DEP_1)
	v_cndmask_b32_e64 v2, 0, v7, s4
	v_add_nc_u32_e32 v8, v2, v34
	v_mov_b64_e32 v[14:15], v[6:7]
	s_delay_alu instid0(VALU_DEP_2) | instskip(NEXT) | instid1(VALU_DEP_1)
	v_cndmask_b32_e64 v2, 0, v8, s5
	v_add_nc_u32_e32 v9, v2, v32
	s_delay_alu instid0(VALU_DEP_1) | instskip(NEXT) | instid1(VALU_DEP_1)
	v_cndmask_b32_e64 v2, 0, v9, s6
	v_add_nc_u32_e32 v2, v2, v30
	s_delay_alu instid0(VALU_DEP_1) | instskip(NEXT) | instid1(VALU_DEP_1)
	;; [unrolled: 3-line block ×8, first 2 shown]
	v_cndmask_b32_e64 v13, 0, v12, s13
	v_add_nc_u32_e32 v13, v13, v40
	s_branch .LBB776_109
.LBB776_154:
	s_cmp_lg_u64 s[30:31], 0
	s_cselect_b32 s1, -1, 0
	s_cmp_lg_u64 s[26:27], 0
	s_cselect_b32 s4, -1, 0
	s_delay_alu instid0(SALU_CYCLE_1) | instskip(NEXT) | instid1(SALU_CYCLE_1)
	s_and_b32 s1, s1, s4
	s_and_b32 s4, s2, s1
	s_delay_alu instid0(SALU_CYCLE_1)
	s_and_saveexec_b32 s1, s4
	s_cbranch_execz .LBB776_156
; %bb.155:
	s_mov_b64 s[4:5], 0x100000000
	s_delay_alu instid0(SALU_CYCLE_1)
	v_cmp_gt_u64_e32 vcc_lo, s[4:5], v[38:39]
	v_mov_b32_e32 v2, 0
	s_clause 0x1
	global_load_b32 v3, v2, s[26:27]
	global_load_u8 v4, v2, s[26:27] offset:4
	s_wait_loadcnt 0x1
	v_cndmask_b32_e32 v5, 0, v3, vcc_lo
	v_and_b32_e32 v3, 1, v39
	s_wait_loadcnt 0x0
	s_delay_alu instid0(VALU_DEP_2) | instskip(NEXT) | instid1(VALU_DEP_2)
	v_dual_add_nc_u32 v38, v5, v38 :: v_dual_bitop2_b32 v4, 1, v4 bitop3:0x40
	v_cmp_eq_u64_e32 vcc_lo, 0, v[2:3]
	s_delay_alu instid0(VALU_DEP_2)
	v_cndmask_b32_e32 v39, 1, v4, vcc_lo
.LBB776_156:
	s_or_b32 exec_lo, exec_lo, s1
	s_mov_b64 s[12:13], 0x100000000
	v_or3_b32 v12, v42, v27, v29
	v_cmp_gt_u64_e32 vcc_lo, s[12:13], v[36:37]
	v_cmp_gt_u64_e64 s1, s[12:13], v[34:35]
	v_cmp_gt_u64_e64 s4, s[12:13], v[32:33]
	;; [unrolled: 1-line block ×6, first 2 shown]
	v_cndmask_b32_e32 v2, 0, v38, vcc_lo
	v_cmp_gt_u64_e64 s9, s[12:13], v[20:21]
	v_cmp_gt_u64_e64 s10, s[12:13], v[24:25]
	;; [unrolled: 1-line block ×3, first 2 shown]
	v_dual_mov_b32 v14, 0 :: v_dual_bitop2_b32 v1, 56, v1 bitop3:0x40
	v_add_nc_u32_e32 v7, v2, v36
	v_cmp_gt_u64_e64 s12, s[12:13], v[40:41]
	s_mov_b32 s14, exec_lo
	v_lshl_add_u32 v1, v0, 3, v1
	v_cndmask_b32_e64 v2, 0, v7, s1
	s_delay_alu instid0(VALU_DEP_1) | instskip(NEXT) | instid1(VALU_DEP_1)
	v_add_nc_u32_e32 v8, v2, v34
	v_cndmask_b32_e64 v2, 0, v8, s4
	s_delay_alu instid0(VALU_DEP_1) | instskip(NEXT) | instid1(VALU_DEP_1)
	v_add_nc_u32_e32 v9, v2, v32
	;; [unrolled: 3-line block ×7, first 2 shown]
	v_cndmask_b32_e64 v6, 0, v10, s10
	s_delay_alu instid0(VALU_DEP_1) | instskip(SKIP_1) | instid1(VALU_DEP_2)
	v_add_nc_u32_e32 v11, v6, v24
	v_or3_b32 v6, v12, v31, v33
	v_cndmask_b32_e64 v12, 0, v11, s11
	s_delay_alu instid0(VALU_DEP_2) | instskip(NEXT) | instid1(VALU_DEP_2)
	v_or3_b32 v6, v6, v35, v37
	v_add_nc_u32_e32 v12, v12, v18
	s_delay_alu instid0(VALU_DEP_2) | instskip(NEXT) | instid1(VALU_DEP_1)
	v_or3_b32 v6, v41, v17, v6
	v_and_b32_e32 v15, 0xff, v6
	s_delay_alu instid0(VALU_DEP_1) | instskip(NEXT) | instid1(VALU_DEP_1)
	v_cmp_eq_u64_e64 s13, 0, v[14:15]
	v_dual_cndmask_b32 v13, 0, v12, s12 :: v_dual_cndmask_b32 v6, 1, v39, s13
	s_delay_alu instid0(VALU_DEP_1)
	v_add_nc_u32_e32 v13, v13, v40
	ds_store_b32 v1, v13
	ds_store_b8 v1, v6 offset:4
	s_wait_dscnt 0x0
	s_barrier_signal -1
	s_barrier_wait -1
	v_cmpx_gt_u32_e32 32, v0
	s_cbranch_execz .LBB776_166
; %bb.157:
	v_dual_lshlrev_b32 v1, 1, v0 :: v_dual_lshlrev_b32 v14, 6, v0
	s_mov_b32 s15, exec_lo
	s_delay_alu instid0(VALU_DEP_1) | instskip(NEXT) | instid1(VALU_DEP_1)
	v_and_b32_e32 v1, 0x1f8, v1
	v_add_nc_u32_e32 v1, v1, v14
	ds_load_u8 v17, v1 offset:12
	ds_load_b64 v[14:15], v1
	ds_load_2addr_b32 v[42:43], v1 offset0:2 offset1:4
	ds_load_u8 v19, v1 offset:20
	ds_load_u8 v21, v1 offset:28
	;; [unrolled: 1-line block ×5, first 2 shown]
	ds_load_b32 v31, v1 offset:56
	s_wait_dscnt 0x8
	v_cmp_eq_u16_e64 s13, 0, v17
	s_wait_dscnt 0x5
	s_delay_alu instid0(VALU_DEP_1)
	v_dual_cndmask_b32 v29, 0, v14, s13 :: v_dual_bitop2_b32 v17, v19, v17 bitop3:0x54
	ds_load_2addr_b32 v[44:45], v1 offset0:6 offset1:8
	v_cmp_eq_u16_e64 s13, 0, v19
	ds_load_u8 v33, v1 offset:60
	s_wait_dscnt 0x5
	v_bitop3_b16 v17, v17, v23, v21 bitop3:0xfe
	v_add_nc_u32_e32 v29, v29, v42
	s_delay_alu instid0(VALU_DEP_1)
	v_cndmask_b32_e64 v29, 0, v29, s13
	v_cmp_eq_u16_e64 s13, 0, v21
	s_wait_dscnt 0x3
	v_bitop3_b16 v21, v17, v27, v25 bitop3:0xfe
	v_and_b32_e32 v17, 1, v15
	v_add_nc_u32_e32 v29, v29, v43
	ds_load_2addr_b32 v[42:43], v1 offset0:10 offset1:12
	v_cndmask_b32_e64 v29, 0, v29, s13
	v_cmp_eq_u16_e64 s13, 0, v23
	s_wait_dscnt 0x1
	s_delay_alu instid0(VALU_DEP_2) | instskip(NEXT) | instid1(VALU_DEP_1)
	v_dual_add_nc_u32 v29, v29, v44 :: v_dual_bitop2_b32 v23, 1, v33 bitop3:0x40
	v_cndmask_b32_e64 v29, 0, v29, s13
	v_cmp_eq_u16_e64 s13, 0, v25
	s_delay_alu instid0(VALU_DEP_2) | instskip(NEXT) | instid1(VALU_DEP_1)
	v_add_nc_u32_e32 v19, v29, v45
	v_cndmask_b32_e64 v19, 0, v19, s13
	v_cmp_eq_u16_e64 s13, 0, v21
	s_wait_dscnt 0x0
	s_delay_alu instid0(VALU_DEP_1) | instskip(SKIP_1) | instid1(VALU_DEP_1)
	v_dual_add_nc_u32 v19, v19, v42 :: v_dual_cndmask_b32 v21, 1, v17, s13
	v_cmp_eq_u16_e64 s13, 0, v27
	v_cndmask_b32_e64 v19, 0, v19, s13
	v_cmp_eq_u32_e64 s13, 1, v23
	v_mbcnt_lo_u32_b32 v23, -1, 0
	s_delay_alu instid0(VALU_DEP_2) | instskip(NEXT) | instid1(VALU_DEP_4)
	v_cndmask_b32_e64 v25, v21, 1, s13
	v_add_nc_u32_e32 v21, v19, v43
	v_cmp_eq_u16_e64 s13, 0, v33
	v_and_b32_e32 v19, 0xffffff00, v15
	s_delay_alu instid0(VALU_DEP_4) | instskip(NEXT) | instid1(VALU_DEP_1)
	v_and_b32_e32 v27, 0xffff, v25
	v_dual_cndmask_b32 v21, 0, v21, s13 :: v_dual_bitop2_b32 v29, v19, v27 bitop3:0x54
	v_and_b32_e32 v27, 15, v23
	s_delay_alu instid0(VALU_DEP_2) | instskip(NEXT) | instid1(VALU_DEP_3)
	v_add_nc_u32_e32 v21, v21, v31
	v_mov_b32_dpp v33, v29 row_shr:1 row_mask:0xf bank_mask:0xf
	s_delay_alu instid0(VALU_DEP_2) | instskip(NEXT) | instid1(VALU_DEP_4)
	v_mov_b32_dpp v31, v21 row_shr:1 row_mask:0xf bank_mask:0xf
	v_cmpx_ne_u32_e32 0, v27
	s_cbranch_execz .LBB776_159
; %bb.158:
	v_and_b32_e32 v29, 1, v25
	v_and_b32_e32 v33, 1, v33
	s_delay_alu instid0(VALU_DEP_2) | instskip(NEXT) | instid1(VALU_DEP_1)
	v_cmp_eq_u32_e64 s13, 1, v29
	v_cndmask_b32_e64 v33, v33, 1, s13
	v_cmp_eq_u16_e64 s13, 0, v25
	s_delay_alu instid0(VALU_DEP_2) | instskip(NEXT) | instid1(VALU_DEP_1)
	v_and_b32_e32 v29, 0xffff, v33
	v_dual_cndmask_b32 v25, 0, v31, s13 :: v_dual_bitop2_b32 v29, v19, v29 bitop3:0x54
	s_delay_alu instid0(VALU_DEP_1)
	v_add_nc_u32_e32 v21, v25, v21
	v_mov_b32_e32 v25, v33
.LBB776_159:
	s_or_b32 exec_lo, exec_lo, s15
	s_delay_alu instid0(VALU_DEP_2)
	v_mov_b32_dpp v31, v21 row_shr:2 row_mask:0xf bank_mask:0xf
	v_mov_b32_dpp v33, v29 row_shr:2 row_mask:0xf bank_mask:0xf
	s_mov_b32 s15, exec_lo
	v_cmpx_lt_u32_e32 1, v27
	s_cbranch_execz .LBB776_161
; %bb.160:
	v_and_b32_e32 v29, 1, v25
	v_and_b32_e32 v33, 1, v33
	s_delay_alu instid0(VALU_DEP_2) | instskip(NEXT) | instid1(VALU_DEP_1)
	v_cmp_eq_u32_e64 s13, 1, v29
	v_cndmask_b32_e64 v33, v33, 1, s13
	v_cmp_eq_u16_e64 s13, 0, v25
	s_delay_alu instid0(VALU_DEP_2) | instskip(NEXT) | instid1(VALU_DEP_1)
	v_and_b32_e32 v29, 0xffff, v33
	v_dual_cndmask_b32 v25, 0, v31, s13 :: v_dual_bitop2_b32 v29, v19, v29 bitop3:0x54
	s_delay_alu instid0(VALU_DEP_1)
	v_add_nc_u32_e32 v21, v25, v21
	v_mov_b32_e32 v25, v33
.LBB776_161:
	s_or_b32 exec_lo, exec_lo, s15
	s_delay_alu instid0(VALU_DEP_2)
	v_mov_b32_dpp v31, v21 row_shr:4 row_mask:0xf bank_mask:0xf
	v_mov_b32_dpp v33, v29 row_shr:4 row_mask:0xf bank_mask:0xf
	s_mov_b32 s15, exec_lo
	v_cmpx_lt_u32_e32 3, v27
	;; [unrolled: 21-line block ×3, first 2 shown]
	s_cbranch_execz .LBB776_165
; %bb.164:
	v_and_b32_e32 v27, 1, v25
	v_and_b32_e32 v29, 1, v33
	s_delay_alu instid0(VALU_DEP_2) | instskip(NEXT) | instid1(VALU_DEP_1)
	v_cmp_eq_u32_e64 s13, 1, v27
	v_cndmask_b32_e64 v27, v29, 1, s13
	v_cmp_eq_u16_e64 s13, 0, v25
	s_delay_alu instid0(VALU_DEP_2) | instskip(NEXT) | instid1(VALU_DEP_1)
	v_and_b32_e32 v29, 0xffff, v27
	v_dual_cndmask_b32 v25, 0, v31, s13 :: v_dual_bitop2_b32 v29, v19, v29 bitop3:0x54
	s_delay_alu instid0(VALU_DEP_1)
	v_dual_add_nc_u32 v21, v25, v21 :: v_dual_mov_b32 v25, v27
.LBB776_165:
	s_or_b32 exec_lo, exec_lo, s15
	ds_swizzle_b32 v27, v29 offset:swizzle(BROADCAST,32,15)
	ds_swizzle_b32 v29, v21 offset:swizzle(BROADCAST,32,15)
	v_and_b32_e32 v31, 1, v25
	v_and_b32_e32 v33, 16, v23
	v_bfe_i32 v35, v23, 4, 1
	v_and_b32_e32 v15, 0xff, v15
	s_delay_alu instid0(VALU_DEP_4) | instskip(SKIP_3) | instid1(VALU_DEP_1)
	v_cmp_eq_u32_e64 s13, 1, v31
	v_add_nc_u32_e32 v31, -1, v23
	; wave barrier
	s_wait_dscnt 0x1
	v_and_b32_e32 v27, 1, v27
	v_cndmask_b32_e64 v27, v27, 1, s13
	v_cmp_eq_u16_e64 s13, 0, v25
	s_wait_dscnt 0x0
	s_delay_alu instid0(VALU_DEP_1) | instskip(SKIP_1) | instid1(VALU_DEP_1)
	v_cndmask_b32_e64 v29, 0, v29, s13
	v_cmp_eq_u32_e64 s13, 0, v33
	v_cndmask_b32_e64 v25, v27, v25, s13
	v_cmp_gt_i32_e64 s13, 0, v31
	s_delay_alu instid0(VALU_DEP_2) | instskip(NEXT) | instid1(VALU_DEP_2)
	v_and_b32_e32 v25, 0xffff, v25
	v_cndmask_b32_e64 v23, v31, v23, s13
	v_and_b32_e32 v27, v35, v29
	v_cmp_eq_u16_e64 s13, 0, v15
	s_delay_alu instid0(VALU_DEP_3)
	v_dual_lshlrev_b32 v23, 2, v23 :: v_dual_bitop2_b32 v19, v19, v25 bitop3:0x54
	ds_bpermute_b32 v19, v23, v19
	s_wait_dscnt 0x0
	v_dual_add_nc_u32 v21, v27, v21 :: v_dual_bitop2_b32 v19, 1, v19 bitop3:0x40
	ds_bpermute_b32 v21, v23, v21
	s_wait_dscnt 0x0
	v_cndmask_b32_e64 v15, 0, v21, s13
	v_cmp_eq_u32_e64 s13, 1, v17
	s_delay_alu instid0(VALU_DEP_2) | instskip(NEXT) | instid1(VALU_DEP_2)
	v_add_nc_u32_e32 v14, v15, v14
	v_cndmask_b32_e64 v15, v19, 1, s13
	s_delay_alu instid0(VALU_DEP_1)
	v_dual_cndmask_b32 v17, v14, v13, s2 :: v_dual_cndmask_b32 v6, v15, v6, s2
	ds_store_b32 v1, v17
	ds_store_b8 v1, v6 offset:4
	; wave barrier
	ds_load_u8 v19, v1 offset:12
	ds_load_2addr_b32 v[14:15], v1 offset0:2 offset1:4
	ds_load_u8 v21, v1 offset:20
	ds_load_u8 v23, v1 offset:28
	;; [unrolled: 1-line block ×5, first 2 shown]
	ds_load_b32 v31, v1 offset:56
	ds_load_u8 v33, v1 offset:60
	ds_load_2addr_b32 v[42:43], v1 offset0:6 offset1:8
	s_wait_dscnt 0x9
	v_cmp_eq_u16_e64 s13, 0, v19
	s_delay_alu instid0(VALU_DEP_1) | instskip(SKIP_2) | instid1(VALU_DEP_2)
	v_cndmask_b32_e64 v17, 0, v17, s13
	s_wait_dscnt 0x7
	v_cmp_eq_u16_e64 s13, 0, v21
	v_add_nc_u32_e32 v17, v17, v14
	s_delay_alu instid0(VALU_DEP_1) | instskip(SKIP_2) | instid1(VALU_DEP_2)
	v_cndmask_b32_e64 v14, 0, v17, s13
	s_wait_dscnt 0x6
	v_cmp_eq_u16_e64 s13, 0, v23
	v_add_nc_u32_e32 v35, v14, v15
	ds_load_2addr_b32 v[14:15], v1 offset0:10 offset1:12
	v_cndmask_b32_e64 v37, 0, v35, s13
	s_wait_dscnt 0x6
	v_cmp_eq_u16_e64 s13, 0, v25
	s_wait_dscnt 0x1
	s_delay_alu instid0(VALU_DEP_2)
	v_dual_add_nc_u32 v37, v37, v42 :: v_dual_bitop2_b32 v19, 1, v19 bitop3:0x40
	ds_store_2addr_b32 v1, v17, v35 offset0:2 offset1:4
	v_cndmask_b32_e64 v41, 0, v37, s13
	v_and_b32_e32 v21, 1, v21
	v_cmp_eq_u32_e64 s13, 1, v19
	v_and_b32_e32 v19, 1, v23
	s_delay_alu instid0(VALU_DEP_4) | instskip(NEXT) | instid1(VALU_DEP_3)
	v_add_nc_u32_e32 v23, v41, v43
	v_cndmask_b32_e64 v6, v6, 1, s13
	v_cmp_eq_u32_e64 s13, 1, v21
	s_delay_alu instid0(VALU_DEP_1) | instskip(SKIP_1) | instid1(VALU_DEP_1)
	v_cndmask_b32_e64 v21, v6, 1, s13
	v_cmp_eq_u16_e64 s13, 0, v27
	v_dual_cndmask_b32 v41, 0, v23, s13 :: v_dual_bitop2_b32 v25, 1, v25 bitop3:0x40
	v_cmp_eq_u32_e64 s13, 1, v19
	s_wait_dscnt 0x1
	s_delay_alu instid0(VALU_DEP_2) | instskip(NEXT) | instid1(VALU_DEP_2)
	v_dual_add_nc_u32 v14, v41, v14 :: v_dual_bitop2_b32 v41, 1, v29 bitop3:0x40
	v_cndmask_b32_e64 v19, v21, 1, s13
	v_cmp_eq_u32_e64 s13, 1, v25
	s_delay_alu instid0(VALU_DEP_1) | instskip(SKIP_1) | instid1(VALU_DEP_1)
	v_cndmask_b32_e64 v25, v19, 1, s13
	v_cmp_eq_u16_e64 s13, 0, v29
	v_dual_cndmask_b32 v29, 0, v14, s13 :: v_dual_bitop2_b32 v27, 1, v27 bitop3:0x40
	s_delay_alu instid0(VALU_DEP_1) | instskip(NEXT) | instid1(VALU_DEP_2)
	v_cmp_eq_u32_e64 s13, 1, v27
	v_add_nc_u32_e32 v15, v29, v15
	s_delay_alu instid0(VALU_DEP_2)
	v_cndmask_b32_e64 v27, v25, 1, s13
	v_cmp_eq_u32_e64 s13, 1, v41
	ds_store_2addr_b32 v1, v37, v23 offset0:6 offset1:8
	ds_store_2addr_b32 v1, v14, v15 offset0:10 offset1:12
	v_cndmask_b32_e64 v29, v27, 1, s13
	v_cmp_eq_u16_e64 s13, 0, v33
	s_delay_alu instid0(VALU_DEP_1) | instskip(NEXT) | instid1(VALU_DEP_1)
	v_dual_cndmask_b32 v17, 0, v15, s13 :: v_dual_bitop2_b32 v42, 1, v33 bitop3:0x40
	v_cmp_eq_u32_e64 s13, 1, v42
	s_delay_alu instid0(VALU_DEP_2) | instskip(NEXT) | instid1(VALU_DEP_2)
	v_add_nc_u32_e32 v14, v17, v31
	v_cndmask_b32_e64 v33, v29, 1, s13
	ds_store_b8 v1, v6 offset:12
	ds_store_b8 v1, v21 offset:20
	;; [unrolled: 1-line block ×6, first 2 shown]
	ds_store_b32 v1, v14 offset:56
	ds_store_b8 v1, v33 offset:60
.LBB776_166:
	s_or_b32 exec_lo, exec_lo, s14
	v_mov_b32_e32 v6, v38
	s_wait_dscnt 0x0
	s_barrier_signal -1
	s_barrier_wait -1
	s_delay_alu instid0(VALU_DEP_1)
	v_mov_b64_e32 v[14:15], v[6:7]
	s_and_saveexec_b32 s13, s3
	s_cbranch_execz .LBB776_168
; %bb.167:
	v_add_nc_u32_e32 v1, -1, v0
	v_and_b32_e32 v3, 0xff, v39
	s_delay_alu instid0(VALU_DEP_2) | instskip(NEXT) | instid1(VALU_DEP_1)
	v_lshrrev_b32_e32 v2, 2, v1
	v_and_b32_e32 v2, 0x3ffffff8, v2
	s_delay_alu instid0(VALU_DEP_1)
	v_lshl_add_u32 v1, v1, 3, v2
	v_mov_b32_e32 v2, 0
	ds_load_b32 v1, v1
	v_cmp_eq_u64_e64 s3, 0, v[2:3]
	;;#ASMSTART
	;;#ASMEND
	s_wait_dscnt 0x0
	s_delay_alu instid0(VALU_DEP_1) | instskip(NEXT) | instid1(VALU_DEP_1)
	v_cndmask_b32_e64 v1, 0, v1, s3
	v_add_nc_u32_e32 v14, v1, v38
	s_delay_alu instid0(VALU_DEP_1) | instskip(NEXT) | instid1(VALU_DEP_1)
	v_cndmask_b32_e32 v1, 0, v14, vcc_lo
	v_dual_mov_b32 v38, v14 :: v_dual_add_nc_u32 v15, v1, v36
	s_delay_alu instid0(VALU_DEP_1) | instskip(NEXT) | instid1(VALU_DEP_1)
	v_dual_cndmask_b32 v1, 0, v15, s1 :: v_dual_mov_b32 v7, v15
	v_add_nc_u32_e32 v8, v1, v34
	s_delay_alu instid0(VALU_DEP_1) | instskip(NEXT) | instid1(VALU_DEP_1)
	v_cndmask_b32_e64 v1, 0, v8, s4
	v_add_nc_u32_e32 v9, v1, v32
	s_delay_alu instid0(VALU_DEP_1) | instskip(NEXT) | instid1(VALU_DEP_1)
	v_cndmask_b32_e64 v1, 0, v9, s5
	;; [unrolled: 3-line block ×9, first 2 shown]
	v_add_nc_u32_e32 v13, v1, v40
.LBB776_168:
	s_or_b32 exec_lo, exec_lo, s13
	s_and_saveexec_b32 s1, s2
	s_cbranch_execz .LBB776_170
; %bb.169:
	v_dual_mov_b32 v21, 0 :: v_dual_mov_b32 v20, 2
	s_add_nc_u64 s[2:3], s[20:21], 0x200
	ds_load_b32 v18, v21 offset:2096
	ds_load_u8 v19, v21 offset:2100
	v_mov_b64_e32 v[22:23], s[2:3]
	s_wait_dscnt 0x0
	;;#ASMSTART
	global_store_b128 v[22:23], v[18:21] off scope:SCOPE_DEV	
s_wait_storecnt 0x0
	;;#ASMEND
.LBB776_170:
	s_or_b32 exec_lo, exec_lo, s1
	v_mov_b32_e32 v6, v38
	s_add_nc_u64 s[2:3], s[18:19], s[28:29]
	s_and_b32 vcc_lo, exec_lo, s0
	s_add_nc_u64 s[0:1], s[2:3], s[16:17]
	s_cbranch_vccnz .LBB776_110
.LBB776_171:
	s_mov_b32 s2, 0
                                        ; implicit-def: $vgpr7
	s_cbranch_execz .LBB776_173
; %bb.172:
	v_mul_u32_u24_e32 v1, 48, v0
	v_dual_mov_b32 v16, v8 :: v_dual_mov_b32 v17, v9
	v_mul_i32_i24_e32 v6, 0xffffffd4, v0
	s_wait_storecnt_dscnt 0x0
	s_barrier_signal -1
	s_barrier_wait -1
	ds_store_b128 v1, v[14:17]
	ds_store_b128 v1, v[2:5] offset:16
	ds_store_b128 v1, v[10:13] offset:32
	v_mad_u32_u24 v1, v0, 48, v6
	s_wait_dscnt 0x0
	s_barrier_signal -1
	s_barrier_wait -1
	ds_load_2addr_stride64_b32 v[2:3], v1 offset1:4
	ds_load_2addr_stride64_b32 v[4:5], v1 offset0:8 offset1:12
	ds_load_2addr_stride64_b32 v[8:9], v1 offset0:16 offset1:20
	;; [unrolled: 1-line block ×5, first 2 shown]
	s_or_b32 s2, s2, exec_lo
	s_wait_dscnt 0x5
	s_clause 0x1
	flat_store_b32 v0, v2, s[0:1] scale_offset
	flat_store_b32 v0, v3, s[0:1] offset:1024 scale_offset
	s_wait_dscnt 0x6
	s_clause 0x1
	flat_store_b32 v0, v4, s[0:1] offset:2048 scale_offset
	flat_store_b32 v0, v5, s[0:1] offset:3072 scale_offset
	s_wait_dscnt 0x7
	s_clause 0x1
	flat_store_b32 v0, v8, s[0:1] offset:4096 scale_offset
	flat_store_b32 v0, v9, s[0:1] offset:5120 scale_offset
	s_wait_dscnt 0x8
	s_clause 0x1
	flat_store_b32 v0, v10, s[0:1] offset:6144 scale_offset
	flat_store_b32 v0, v11, s[0:1] offset:7168 scale_offset
	s_wait_dscnt 0x9
	s_clause 0x1
	flat_store_b32 v0, v12, s[0:1] offset:8192 scale_offset
	flat_store_b32 v0, v13, s[0:1] offset:9216 scale_offset
	s_wait_dscnt 0xa
	flat_store_b32 v0, v6, s[0:1] offset:10240 scale_offset
.LBB776_173:
	s_wait_xcnt 0x0
	s_delay_alu instid0(VALU_DEP_1)
	s_and_saveexec_b32 s3, s2
	s_cbranch_execz .LBB776_175
; %bb.174:
	s_wait_dscnt 0x0
	flat_store_b32 v0, v7, s[0:1] offset:11264 scale_offset
	s_endpgm
.LBB776_175:
	s_endpgm
	.section	.rodata,"a",@progbits
	.p2align	6, 0x0
	.amdhsa_kernel _ZN7rocprim17ROCPRIM_400000_NS6detail17trampoline_kernelINS0_14default_configENS1_27scan_by_key_config_selectorIiiEEZZNS1_16scan_by_key_implILNS1_25lookback_scan_determinismE0ELb0ES3_N6thrust23THRUST_200600_302600_NS6detail15normal_iteratorINS9_10device_ptrIiEEEESE_SE_iNS9_4plusIiEE19head_flag_predicateiEE10hipError_tPvRmT2_T3_T4_T5_mT6_T7_P12ihipStream_tbENKUlT_T0_E_clISt17integral_constantIbLb0EESX_IbLb1EEEEDaST_SU_EUlST_E_NS1_11comp_targetILNS1_3genE0ELNS1_11target_archE4294967295ELNS1_3gpuE0ELNS1_3repE0EEENS1_30default_config_static_selectorELNS0_4arch9wavefront6targetE0EEEvT1_
		.amdhsa_group_segment_fixed_size 14336
		.amdhsa_private_segment_fixed_size 0
		.amdhsa_kernarg_size 112
		.amdhsa_user_sgpr_count 2
		.amdhsa_user_sgpr_dispatch_ptr 0
		.amdhsa_user_sgpr_queue_ptr 0
		.amdhsa_user_sgpr_kernarg_segment_ptr 1
		.amdhsa_user_sgpr_dispatch_id 0
		.amdhsa_user_sgpr_kernarg_preload_length 0
		.amdhsa_user_sgpr_kernarg_preload_offset 0
		.amdhsa_user_sgpr_private_segment_size 0
		.amdhsa_wavefront_size32 1
		.amdhsa_uses_dynamic_stack 0
		.amdhsa_enable_private_segment 0
		.amdhsa_system_sgpr_workgroup_id_x 1
		.amdhsa_system_sgpr_workgroup_id_y 0
		.amdhsa_system_sgpr_workgroup_id_z 0
		.amdhsa_system_sgpr_workgroup_info 0
		.amdhsa_system_vgpr_workitem_id 0
		.amdhsa_next_free_vgpr 62
		.amdhsa_next_free_sgpr 37
		.amdhsa_named_barrier_count 0
		.amdhsa_reserve_vcc 1
		.amdhsa_float_round_mode_32 0
		.amdhsa_float_round_mode_16_64 0
		.amdhsa_float_denorm_mode_32 3
		.amdhsa_float_denorm_mode_16_64 3
		.amdhsa_fp16_overflow 0
		.amdhsa_memory_ordered 1
		.amdhsa_forward_progress 1
		.amdhsa_inst_pref_size 93
		.amdhsa_round_robin_scheduling 0
		.amdhsa_exception_fp_ieee_invalid_op 0
		.amdhsa_exception_fp_denorm_src 0
		.amdhsa_exception_fp_ieee_div_zero 0
		.amdhsa_exception_fp_ieee_overflow 0
		.amdhsa_exception_fp_ieee_underflow 0
		.amdhsa_exception_fp_ieee_inexact 0
		.amdhsa_exception_int_div_zero 0
	.end_amdhsa_kernel
	.section	.text._ZN7rocprim17ROCPRIM_400000_NS6detail17trampoline_kernelINS0_14default_configENS1_27scan_by_key_config_selectorIiiEEZZNS1_16scan_by_key_implILNS1_25lookback_scan_determinismE0ELb0ES3_N6thrust23THRUST_200600_302600_NS6detail15normal_iteratorINS9_10device_ptrIiEEEESE_SE_iNS9_4plusIiEE19head_flag_predicateiEE10hipError_tPvRmT2_T3_T4_T5_mT6_T7_P12ihipStream_tbENKUlT_T0_E_clISt17integral_constantIbLb0EESX_IbLb1EEEEDaST_SU_EUlST_E_NS1_11comp_targetILNS1_3genE0ELNS1_11target_archE4294967295ELNS1_3gpuE0ELNS1_3repE0EEENS1_30default_config_static_selectorELNS0_4arch9wavefront6targetE0EEEvT1_,"axG",@progbits,_ZN7rocprim17ROCPRIM_400000_NS6detail17trampoline_kernelINS0_14default_configENS1_27scan_by_key_config_selectorIiiEEZZNS1_16scan_by_key_implILNS1_25lookback_scan_determinismE0ELb0ES3_N6thrust23THRUST_200600_302600_NS6detail15normal_iteratorINS9_10device_ptrIiEEEESE_SE_iNS9_4plusIiEE19head_flag_predicateiEE10hipError_tPvRmT2_T3_T4_T5_mT6_T7_P12ihipStream_tbENKUlT_T0_E_clISt17integral_constantIbLb0EESX_IbLb1EEEEDaST_SU_EUlST_E_NS1_11comp_targetILNS1_3genE0ELNS1_11target_archE4294967295ELNS1_3gpuE0ELNS1_3repE0EEENS1_30default_config_static_selectorELNS0_4arch9wavefront6targetE0EEEvT1_,comdat
.Lfunc_end776:
	.size	_ZN7rocprim17ROCPRIM_400000_NS6detail17trampoline_kernelINS0_14default_configENS1_27scan_by_key_config_selectorIiiEEZZNS1_16scan_by_key_implILNS1_25lookback_scan_determinismE0ELb0ES3_N6thrust23THRUST_200600_302600_NS6detail15normal_iteratorINS9_10device_ptrIiEEEESE_SE_iNS9_4plusIiEE19head_flag_predicateiEE10hipError_tPvRmT2_T3_T4_T5_mT6_T7_P12ihipStream_tbENKUlT_T0_E_clISt17integral_constantIbLb0EESX_IbLb1EEEEDaST_SU_EUlST_E_NS1_11comp_targetILNS1_3genE0ELNS1_11target_archE4294967295ELNS1_3gpuE0ELNS1_3repE0EEENS1_30default_config_static_selectorELNS0_4arch9wavefront6targetE0EEEvT1_, .Lfunc_end776-_ZN7rocprim17ROCPRIM_400000_NS6detail17trampoline_kernelINS0_14default_configENS1_27scan_by_key_config_selectorIiiEEZZNS1_16scan_by_key_implILNS1_25lookback_scan_determinismE0ELb0ES3_N6thrust23THRUST_200600_302600_NS6detail15normal_iteratorINS9_10device_ptrIiEEEESE_SE_iNS9_4plusIiEE19head_flag_predicateiEE10hipError_tPvRmT2_T3_T4_T5_mT6_T7_P12ihipStream_tbENKUlT_T0_E_clISt17integral_constantIbLb0EESX_IbLb1EEEEDaST_SU_EUlST_E_NS1_11comp_targetILNS1_3genE0ELNS1_11target_archE4294967295ELNS1_3gpuE0ELNS1_3repE0EEENS1_30default_config_static_selectorELNS0_4arch9wavefront6targetE0EEEvT1_
                                        ; -- End function
	.set _ZN7rocprim17ROCPRIM_400000_NS6detail17trampoline_kernelINS0_14default_configENS1_27scan_by_key_config_selectorIiiEEZZNS1_16scan_by_key_implILNS1_25lookback_scan_determinismE0ELb0ES3_N6thrust23THRUST_200600_302600_NS6detail15normal_iteratorINS9_10device_ptrIiEEEESE_SE_iNS9_4plusIiEE19head_flag_predicateiEE10hipError_tPvRmT2_T3_T4_T5_mT6_T7_P12ihipStream_tbENKUlT_T0_E_clISt17integral_constantIbLb0EESX_IbLb1EEEEDaST_SU_EUlST_E_NS1_11comp_targetILNS1_3genE0ELNS1_11target_archE4294967295ELNS1_3gpuE0ELNS1_3repE0EEENS1_30default_config_static_selectorELNS0_4arch9wavefront6targetE0EEEvT1_.num_vgpr, 62
	.set _ZN7rocprim17ROCPRIM_400000_NS6detail17trampoline_kernelINS0_14default_configENS1_27scan_by_key_config_selectorIiiEEZZNS1_16scan_by_key_implILNS1_25lookback_scan_determinismE0ELb0ES3_N6thrust23THRUST_200600_302600_NS6detail15normal_iteratorINS9_10device_ptrIiEEEESE_SE_iNS9_4plusIiEE19head_flag_predicateiEE10hipError_tPvRmT2_T3_T4_T5_mT6_T7_P12ihipStream_tbENKUlT_T0_E_clISt17integral_constantIbLb0EESX_IbLb1EEEEDaST_SU_EUlST_E_NS1_11comp_targetILNS1_3genE0ELNS1_11target_archE4294967295ELNS1_3gpuE0ELNS1_3repE0EEENS1_30default_config_static_selectorELNS0_4arch9wavefront6targetE0EEEvT1_.num_agpr, 0
	.set _ZN7rocprim17ROCPRIM_400000_NS6detail17trampoline_kernelINS0_14default_configENS1_27scan_by_key_config_selectorIiiEEZZNS1_16scan_by_key_implILNS1_25lookback_scan_determinismE0ELb0ES3_N6thrust23THRUST_200600_302600_NS6detail15normal_iteratorINS9_10device_ptrIiEEEESE_SE_iNS9_4plusIiEE19head_flag_predicateiEE10hipError_tPvRmT2_T3_T4_T5_mT6_T7_P12ihipStream_tbENKUlT_T0_E_clISt17integral_constantIbLb0EESX_IbLb1EEEEDaST_SU_EUlST_E_NS1_11comp_targetILNS1_3genE0ELNS1_11target_archE4294967295ELNS1_3gpuE0ELNS1_3repE0EEENS1_30default_config_static_selectorELNS0_4arch9wavefront6targetE0EEEvT1_.numbered_sgpr, 37
	.set _ZN7rocprim17ROCPRIM_400000_NS6detail17trampoline_kernelINS0_14default_configENS1_27scan_by_key_config_selectorIiiEEZZNS1_16scan_by_key_implILNS1_25lookback_scan_determinismE0ELb0ES3_N6thrust23THRUST_200600_302600_NS6detail15normal_iteratorINS9_10device_ptrIiEEEESE_SE_iNS9_4plusIiEE19head_flag_predicateiEE10hipError_tPvRmT2_T3_T4_T5_mT6_T7_P12ihipStream_tbENKUlT_T0_E_clISt17integral_constantIbLb0EESX_IbLb1EEEEDaST_SU_EUlST_E_NS1_11comp_targetILNS1_3genE0ELNS1_11target_archE4294967295ELNS1_3gpuE0ELNS1_3repE0EEENS1_30default_config_static_selectorELNS0_4arch9wavefront6targetE0EEEvT1_.num_named_barrier, 0
	.set _ZN7rocprim17ROCPRIM_400000_NS6detail17trampoline_kernelINS0_14default_configENS1_27scan_by_key_config_selectorIiiEEZZNS1_16scan_by_key_implILNS1_25lookback_scan_determinismE0ELb0ES3_N6thrust23THRUST_200600_302600_NS6detail15normal_iteratorINS9_10device_ptrIiEEEESE_SE_iNS9_4plusIiEE19head_flag_predicateiEE10hipError_tPvRmT2_T3_T4_T5_mT6_T7_P12ihipStream_tbENKUlT_T0_E_clISt17integral_constantIbLb0EESX_IbLb1EEEEDaST_SU_EUlST_E_NS1_11comp_targetILNS1_3genE0ELNS1_11target_archE4294967295ELNS1_3gpuE0ELNS1_3repE0EEENS1_30default_config_static_selectorELNS0_4arch9wavefront6targetE0EEEvT1_.private_seg_size, 0
	.set _ZN7rocprim17ROCPRIM_400000_NS6detail17trampoline_kernelINS0_14default_configENS1_27scan_by_key_config_selectorIiiEEZZNS1_16scan_by_key_implILNS1_25lookback_scan_determinismE0ELb0ES3_N6thrust23THRUST_200600_302600_NS6detail15normal_iteratorINS9_10device_ptrIiEEEESE_SE_iNS9_4plusIiEE19head_flag_predicateiEE10hipError_tPvRmT2_T3_T4_T5_mT6_T7_P12ihipStream_tbENKUlT_T0_E_clISt17integral_constantIbLb0EESX_IbLb1EEEEDaST_SU_EUlST_E_NS1_11comp_targetILNS1_3genE0ELNS1_11target_archE4294967295ELNS1_3gpuE0ELNS1_3repE0EEENS1_30default_config_static_selectorELNS0_4arch9wavefront6targetE0EEEvT1_.uses_vcc, 1
	.set _ZN7rocprim17ROCPRIM_400000_NS6detail17trampoline_kernelINS0_14default_configENS1_27scan_by_key_config_selectorIiiEEZZNS1_16scan_by_key_implILNS1_25lookback_scan_determinismE0ELb0ES3_N6thrust23THRUST_200600_302600_NS6detail15normal_iteratorINS9_10device_ptrIiEEEESE_SE_iNS9_4plusIiEE19head_flag_predicateiEE10hipError_tPvRmT2_T3_T4_T5_mT6_T7_P12ihipStream_tbENKUlT_T0_E_clISt17integral_constantIbLb0EESX_IbLb1EEEEDaST_SU_EUlST_E_NS1_11comp_targetILNS1_3genE0ELNS1_11target_archE4294967295ELNS1_3gpuE0ELNS1_3repE0EEENS1_30default_config_static_selectorELNS0_4arch9wavefront6targetE0EEEvT1_.uses_flat_scratch, 1
	.set _ZN7rocprim17ROCPRIM_400000_NS6detail17trampoline_kernelINS0_14default_configENS1_27scan_by_key_config_selectorIiiEEZZNS1_16scan_by_key_implILNS1_25lookback_scan_determinismE0ELb0ES3_N6thrust23THRUST_200600_302600_NS6detail15normal_iteratorINS9_10device_ptrIiEEEESE_SE_iNS9_4plusIiEE19head_flag_predicateiEE10hipError_tPvRmT2_T3_T4_T5_mT6_T7_P12ihipStream_tbENKUlT_T0_E_clISt17integral_constantIbLb0EESX_IbLb1EEEEDaST_SU_EUlST_E_NS1_11comp_targetILNS1_3genE0ELNS1_11target_archE4294967295ELNS1_3gpuE0ELNS1_3repE0EEENS1_30default_config_static_selectorELNS0_4arch9wavefront6targetE0EEEvT1_.has_dyn_sized_stack, 0
	.set _ZN7rocprim17ROCPRIM_400000_NS6detail17trampoline_kernelINS0_14default_configENS1_27scan_by_key_config_selectorIiiEEZZNS1_16scan_by_key_implILNS1_25lookback_scan_determinismE0ELb0ES3_N6thrust23THRUST_200600_302600_NS6detail15normal_iteratorINS9_10device_ptrIiEEEESE_SE_iNS9_4plusIiEE19head_flag_predicateiEE10hipError_tPvRmT2_T3_T4_T5_mT6_T7_P12ihipStream_tbENKUlT_T0_E_clISt17integral_constantIbLb0EESX_IbLb1EEEEDaST_SU_EUlST_E_NS1_11comp_targetILNS1_3genE0ELNS1_11target_archE4294967295ELNS1_3gpuE0ELNS1_3repE0EEENS1_30default_config_static_selectorELNS0_4arch9wavefront6targetE0EEEvT1_.has_recursion, 0
	.set _ZN7rocprim17ROCPRIM_400000_NS6detail17trampoline_kernelINS0_14default_configENS1_27scan_by_key_config_selectorIiiEEZZNS1_16scan_by_key_implILNS1_25lookback_scan_determinismE0ELb0ES3_N6thrust23THRUST_200600_302600_NS6detail15normal_iteratorINS9_10device_ptrIiEEEESE_SE_iNS9_4plusIiEE19head_flag_predicateiEE10hipError_tPvRmT2_T3_T4_T5_mT6_T7_P12ihipStream_tbENKUlT_T0_E_clISt17integral_constantIbLb0EESX_IbLb1EEEEDaST_SU_EUlST_E_NS1_11comp_targetILNS1_3genE0ELNS1_11target_archE4294967295ELNS1_3gpuE0ELNS1_3repE0EEENS1_30default_config_static_selectorELNS0_4arch9wavefront6targetE0EEEvT1_.has_indirect_call, 0
	.section	.AMDGPU.csdata,"",@progbits
; Kernel info:
; codeLenInByte = 11844
; TotalNumSgprs: 39
; NumVgprs: 62
; ScratchSize: 0
; MemoryBound: 0
; FloatMode: 240
; IeeeMode: 1
; LDSByteSize: 14336 bytes/workgroup (compile time only)
; SGPRBlocks: 0
; VGPRBlocks: 3
; NumSGPRsForWavesPerEU: 39
; NumVGPRsForWavesPerEU: 62
; NamedBarCnt: 0
; Occupancy: 16
; WaveLimiterHint : 1
; COMPUTE_PGM_RSRC2:SCRATCH_EN: 0
; COMPUTE_PGM_RSRC2:USER_SGPR: 2
; COMPUTE_PGM_RSRC2:TRAP_HANDLER: 0
; COMPUTE_PGM_RSRC2:TGID_X_EN: 1
; COMPUTE_PGM_RSRC2:TGID_Y_EN: 0
; COMPUTE_PGM_RSRC2:TGID_Z_EN: 0
; COMPUTE_PGM_RSRC2:TIDIG_COMP_CNT: 0
	.section	.text._ZN7rocprim17ROCPRIM_400000_NS6detail17trampoline_kernelINS0_14default_configENS1_27scan_by_key_config_selectorIiiEEZZNS1_16scan_by_key_implILNS1_25lookback_scan_determinismE0ELb0ES3_N6thrust23THRUST_200600_302600_NS6detail15normal_iteratorINS9_10device_ptrIiEEEESE_SE_iNS9_4plusIiEE19head_flag_predicateiEE10hipError_tPvRmT2_T3_T4_T5_mT6_T7_P12ihipStream_tbENKUlT_T0_E_clISt17integral_constantIbLb0EESX_IbLb1EEEEDaST_SU_EUlST_E_NS1_11comp_targetILNS1_3genE10ELNS1_11target_archE1201ELNS1_3gpuE5ELNS1_3repE0EEENS1_30default_config_static_selectorELNS0_4arch9wavefront6targetE0EEEvT1_,"axG",@progbits,_ZN7rocprim17ROCPRIM_400000_NS6detail17trampoline_kernelINS0_14default_configENS1_27scan_by_key_config_selectorIiiEEZZNS1_16scan_by_key_implILNS1_25lookback_scan_determinismE0ELb0ES3_N6thrust23THRUST_200600_302600_NS6detail15normal_iteratorINS9_10device_ptrIiEEEESE_SE_iNS9_4plusIiEE19head_flag_predicateiEE10hipError_tPvRmT2_T3_T4_T5_mT6_T7_P12ihipStream_tbENKUlT_T0_E_clISt17integral_constantIbLb0EESX_IbLb1EEEEDaST_SU_EUlST_E_NS1_11comp_targetILNS1_3genE10ELNS1_11target_archE1201ELNS1_3gpuE5ELNS1_3repE0EEENS1_30default_config_static_selectorELNS0_4arch9wavefront6targetE0EEEvT1_,comdat
	.protected	_ZN7rocprim17ROCPRIM_400000_NS6detail17trampoline_kernelINS0_14default_configENS1_27scan_by_key_config_selectorIiiEEZZNS1_16scan_by_key_implILNS1_25lookback_scan_determinismE0ELb0ES3_N6thrust23THRUST_200600_302600_NS6detail15normal_iteratorINS9_10device_ptrIiEEEESE_SE_iNS9_4plusIiEE19head_flag_predicateiEE10hipError_tPvRmT2_T3_T4_T5_mT6_T7_P12ihipStream_tbENKUlT_T0_E_clISt17integral_constantIbLb0EESX_IbLb1EEEEDaST_SU_EUlST_E_NS1_11comp_targetILNS1_3genE10ELNS1_11target_archE1201ELNS1_3gpuE5ELNS1_3repE0EEENS1_30default_config_static_selectorELNS0_4arch9wavefront6targetE0EEEvT1_ ; -- Begin function _ZN7rocprim17ROCPRIM_400000_NS6detail17trampoline_kernelINS0_14default_configENS1_27scan_by_key_config_selectorIiiEEZZNS1_16scan_by_key_implILNS1_25lookback_scan_determinismE0ELb0ES3_N6thrust23THRUST_200600_302600_NS6detail15normal_iteratorINS9_10device_ptrIiEEEESE_SE_iNS9_4plusIiEE19head_flag_predicateiEE10hipError_tPvRmT2_T3_T4_T5_mT6_T7_P12ihipStream_tbENKUlT_T0_E_clISt17integral_constantIbLb0EESX_IbLb1EEEEDaST_SU_EUlST_E_NS1_11comp_targetILNS1_3genE10ELNS1_11target_archE1201ELNS1_3gpuE5ELNS1_3repE0EEENS1_30default_config_static_selectorELNS0_4arch9wavefront6targetE0EEEvT1_
	.globl	_ZN7rocprim17ROCPRIM_400000_NS6detail17trampoline_kernelINS0_14default_configENS1_27scan_by_key_config_selectorIiiEEZZNS1_16scan_by_key_implILNS1_25lookback_scan_determinismE0ELb0ES3_N6thrust23THRUST_200600_302600_NS6detail15normal_iteratorINS9_10device_ptrIiEEEESE_SE_iNS9_4plusIiEE19head_flag_predicateiEE10hipError_tPvRmT2_T3_T4_T5_mT6_T7_P12ihipStream_tbENKUlT_T0_E_clISt17integral_constantIbLb0EESX_IbLb1EEEEDaST_SU_EUlST_E_NS1_11comp_targetILNS1_3genE10ELNS1_11target_archE1201ELNS1_3gpuE5ELNS1_3repE0EEENS1_30default_config_static_selectorELNS0_4arch9wavefront6targetE0EEEvT1_
	.p2align	8
	.type	_ZN7rocprim17ROCPRIM_400000_NS6detail17trampoline_kernelINS0_14default_configENS1_27scan_by_key_config_selectorIiiEEZZNS1_16scan_by_key_implILNS1_25lookback_scan_determinismE0ELb0ES3_N6thrust23THRUST_200600_302600_NS6detail15normal_iteratorINS9_10device_ptrIiEEEESE_SE_iNS9_4plusIiEE19head_flag_predicateiEE10hipError_tPvRmT2_T3_T4_T5_mT6_T7_P12ihipStream_tbENKUlT_T0_E_clISt17integral_constantIbLb0EESX_IbLb1EEEEDaST_SU_EUlST_E_NS1_11comp_targetILNS1_3genE10ELNS1_11target_archE1201ELNS1_3gpuE5ELNS1_3repE0EEENS1_30default_config_static_selectorELNS0_4arch9wavefront6targetE0EEEvT1_,@function
_ZN7rocprim17ROCPRIM_400000_NS6detail17trampoline_kernelINS0_14default_configENS1_27scan_by_key_config_selectorIiiEEZZNS1_16scan_by_key_implILNS1_25lookback_scan_determinismE0ELb0ES3_N6thrust23THRUST_200600_302600_NS6detail15normal_iteratorINS9_10device_ptrIiEEEESE_SE_iNS9_4plusIiEE19head_flag_predicateiEE10hipError_tPvRmT2_T3_T4_T5_mT6_T7_P12ihipStream_tbENKUlT_T0_E_clISt17integral_constantIbLb0EESX_IbLb1EEEEDaST_SU_EUlST_E_NS1_11comp_targetILNS1_3genE10ELNS1_11target_archE1201ELNS1_3gpuE5ELNS1_3repE0EEENS1_30default_config_static_selectorELNS0_4arch9wavefront6targetE0EEEvT1_: ; @_ZN7rocprim17ROCPRIM_400000_NS6detail17trampoline_kernelINS0_14default_configENS1_27scan_by_key_config_selectorIiiEEZZNS1_16scan_by_key_implILNS1_25lookback_scan_determinismE0ELb0ES3_N6thrust23THRUST_200600_302600_NS6detail15normal_iteratorINS9_10device_ptrIiEEEESE_SE_iNS9_4plusIiEE19head_flag_predicateiEE10hipError_tPvRmT2_T3_T4_T5_mT6_T7_P12ihipStream_tbENKUlT_T0_E_clISt17integral_constantIbLb0EESX_IbLb1EEEEDaST_SU_EUlST_E_NS1_11comp_targetILNS1_3genE10ELNS1_11target_archE1201ELNS1_3gpuE5ELNS1_3repE0EEENS1_30default_config_static_selectorELNS0_4arch9wavefront6targetE0EEEvT1_
; %bb.0:
	.section	.rodata,"a",@progbits
	.p2align	6, 0x0
	.amdhsa_kernel _ZN7rocprim17ROCPRIM_400000_NS6detail17trampoline_kernelINS0_14default_configENS1_27scan_by_key_config_selectorIiiEEZZNS1_16scan_by_key_implILNS1_25lookback_scan_determinismE0ELb0ES3_N6thrust23THRUST_200600_302600_NS6detail15normal_iteratorINS9_10device_ptrIiEEEESE_SE_iNS9_4plusIiEE19head_flag_predicateiEE10hipError_tPvRmT2_T3_T4_T5_mT6_T7_P12ihipStream_tbENKUlT_T0_E_clISt17integral_constantIbLb0EESX_IbLb1EEEEDaST_SU_EUlST_E_NS1_11comp_targetILNS1_3genE10ELNS1_11target_archE1201ELNS1_3gpuE5ELNS1_3repE0EEENS1_30default_config_static_selectorELNS0_4arch9wavefront6targetE0EEEvT1_
		.amdhsa_group_segment_fixed_size 0
		.amdhsa_private_segment_fixed_size 0
		.amdhsa_kernarg_size 112
		.amdhsa_user_sgpr_count 2
		.amdhsa_user_sgpr_dispatch_ptr 0
		.amdhsa_user_sgpr_queue_ptr 0
		.amdhsa_user_sgpr_kernarg_segment_ptr 1
		.amdhsa_user_sgpr_dispatch_id 0
		.amdhsa_user_sgpr_kernarg_preload_length 0
		.amdhsa_user_sgpr_kernarg_preload_offset 0
		.amdhsa_user_sgpr_private_segment_size 0
		.amdhsa_wavefront_size32 1
		.amdhsa_uses_dynamic_stack 0
		.amdhsa_enable_private_segment 0
		.amdhsa_system_sgpr_workgroup_id_x 1
		.amdhsa_system_sgpr_workgroup_id_y 0
		.amdhsa_system_sgpr_workgroup_id_z 0
		.amdhsa_system_sgpr_workgroup_info 0
		.amdhsa_system_vgpr_workitem_id 0
		.amdhsa_next_free_vgpr 1
		.amdhsa_next_free_sgpr 1
		.amdhsa_named_barrier_count 0
		.amdhsa_reserve_vcc 0
		.amdhsa_float_round_mode_32 0
		.amdhsa_float_round_mode_16_64 0
		.amdhsa_float_denorm_mode_32 3
		.amdhsa_float_denorm_mode_16_64 3
		.amdhsa_fp16_overflow 0
		.amdhsa_memory_ordered 1
		.amdhsa_forward_progress 1
		.amdhsa_inst_pref_size 0
		.amdhsa_round_robin_scheduling 0
		.amdhsa_exception_fp_ieee_invalid_op 0
		.amdhsa_exception_fp_denorm_src 0
		.amdhsa_exception_fp_ieee_div_zero 0
		.amdhsa_exception_fp_ieee_overflow 0
		.amdhsa_exception_fp_ieee_underflow 0
		.amdhsa_exception_fp_ieee_inexact 0
		.amdhsa_exception_int_div_zero 0
	.end_amdhsa_kernel
	.section	.text._ZN7rocprim17ROCPRIM_400000_NS6detail17trampoline_kernelINS0_14default_configENS1_27scan_by_key_config_selectorIiiEEZZNS1_16scan_by_key_implILNS1_25lookback_scan_determinismE0ELb0ES3_N6thrust23THRUST_200600_302600_NS6detail15normal_iteratorINS9_10device_ptrIiEEEESE_SE_iNS9_4plusIiEE19head_flag_predicateiEE10hipError_tPvRmT2_T3_T4_T5_mT6_T7_P12ihipStream_tbENKUlT_T0_E_clISt17integral_constantIbLb0EESX_IbLb1EEEEDaST_SU_EUlST_E_NS1_11comp_targetILNS1_3genE10ELNS1_11target_archE1201ELNS1_3gpuE5ELNS1_3repE0EEENS1_30default_config_static_selectorELNS0_4arch9wavefront6targetE0EEEvT1_,"axG",@progbits,_ZN7rocprim17ROCPRIM_400000_NS6detail17trampoline_kernelINS0_14default_configENS1_27scan_by_key_config_selectorIiiEEZZNS1_16scan_by_key_implILNS1_25lookback_scan_determinismE0ELb0ES3_N6thrust23THRUST_200600_302600_NS6detail15normal_iteratorINS9_10device_ptrIiEEEESE_SE_iNS9_4plusIiEE19head_flag_predicateiEE10hipError_tPvRmT2_T3_T4_T5_mT6_T7_P12ihipStream_tbENKUlT_T0_E_clISt17integral_constantIbLb0EESX_IbLb1EEEEDaST_SU_EUlST_E_NS1_11comp_targetILNS1_3genE10ELNS1_11target_archE1201ELNS1_3gpuE5ELNS1_3repE0EEENS1_30default_config_static_selectorELNS0_4arch9wavefront6targetE0EEEvT1_,comdat
.Lfunc_end777:
	.size	_ZN7rocprim17ROCPRIM_400000_NS6detail17trampoline_kernelINS0_14default_configENS1_27scan_by_key_config_selectorIiiEEZZNS1_16scan_by_key_implILNS1_25lookback_scan_determinismE0ELb0ES3_N6thrust23THRUST_200600_302600_NS6detail15normal_iteratorINS9_10device_ptrIiEEEESE_SE_iNS9_4plusIiEE19head_flag_predicateiEE10hipError_tPvRmT2_T3_T4_T5_mT6_T7_P12ihipStream_tbENKUlT_T0_E_clISt17integral_constantIbLb0EESX_IbLb1EEEEDaST_SU_EUlST_E_NS1_11comp_targetILNS1_3genE10ELNS1_11target_archE1201ELNS1_3gpuE5ELNS1_3repE0EEENS1_30default_config_static_selectorELNS0_4arch9wavefront6targetE0EEEvT1_, .Lfunc_end777-_ZN7rocprim17ROCPRIM_400000_NS6detail17trampoline_kernelINS0_14default_configENS1_27scan_by_key_config_selectorIiiEEZZNS1_16scan_by_key_implILNS1_25lookback_scan_determinismE0ELb0ES3_N6thrust23THRUST_200600_302600_NS6detail15normal_iteratorINS9_10device_ptrIiEEEESE_SE_iNS9_4plusIiEE19head_flag_predicateiEE10hipError_tPvRmT2_T3_T4_T5_mT6_T7_P12ihipStream_tbENKUlT_T0_E_clISt17integral_constantIbLb0EESX_IbLb1EEEEDaST_SU_EUlST_E_NS1_11comp_targetILNS1_3genE10ELNS1_11target_archE1201ELNS1_3gpuE5ELNS1_3repE0EEENS1_30default_config_static_selectorELNS0_4arch9wavefront6targetE0EEEvT1_
                                        ; -- End function
	.set _ZN7rocprim17ROCPRIM_400000_NS6detail17trampoline_kernelINS0_14default_configENS1_27scan_by_key_config_selectorIiiEEZZNS1_16scan_by_key_implILNS1_25lookback_scan_determinismE0ELb0ES3_N6thrust23THRUST_200600_302600_NS6detail15normal_iteratorINS9_10device_ptrIiEEEESE_SE_iNS9_4plusIiEE19head_flag_predicateiEE10hipError_tPvRmT2_T3_T4_T5_mT6_T7_P12ihipStream_tbENKUlT_T0_E_clISt17integral_constantIbLb0EESX_IbLb1EEEEDaST_SU_EUlST_E_NS1_11comp_targetILNS1_3genE10ELNS1_11target_archE1201ELNS1_3gpuE5ELNS1_3repE0EEENS1_30default_config_static_selectorELNS0_4arch9wavefront6targetE0EEEvT1_.num_vgpr, 0
	.set _ZN7rocprim17ROCPRIM_400000_NS6detail17trampoline_kernelINS0_14default_configENS1_27scan_by_key_config_selectorIiiEEZZNS1_16scan_by_key_implILNS1_25lookback_scan_determinismE0ELb0ES3_N6thrust23THRUST_200600_302600_NS6detail15normal_iteratorINS9_10device_ptrIiEEEESE_SE_iNS9_4plusIiEE19head_flag_predicateiEE10hipError_tPvRmT2_T3_T4_T5_mT6_T7_P12ihipStream_tbENKUlT_T0_E_clISt17integral_constantIbLb0EESX_IbLb1EEEEDaST_SU_EUlST_E_NS1_11comp_targetILNS1_3genE10ELNS1_11target_archE1201ELNS1_3gpuE5ELNS1_3repE0EEENS1_30default_config_static_selectorELNS0_4arch9wavefront6targetE0EEEvT1_.num_agpr, 0
	.set _ZN7rocprim17ROCPRIM_400000_NS6detail17trampoline_kernelINS0_14default_configENS1_27scan_by_key_config_selectorIiiEEZZNS1_16scan_by_key_implILNS1_25lookback_scan_determinismE0ELb0ES3_N6thrust23THRUST_200600_302600_NS6detail15normal_iteratorINS9_10device_ptrIiEEEESE_SE_iNS9_4plusIiEE19head_flag_predicateiEE10hipError_tPvRmT2_T3_T4_T5_mT6_T7_P12ihipStream_tbENKUlT_T0_E_clISt17integral_constantIbLb0EESX_IbLb1EEEEDaST_SU_EUlST_E_NS1_11comp_targetILNS1_3genE10ELNS1_11target_archE1201ELNS1_3gpuE5ELNS1_3repE0EEENS1_30default_config_static_selectorELNS0_4arch9wavefront6targetE0EEEvT1_.numbered_sgpr, 0
	.set _ZN7rocprim17ROCPRIM_400000_NS6detail17trampoline_kernelINS0_14default_configENS1_27scan_by_key_config_selectorIiiEEZZNS1_16scan_by_key_implILNS1_25lookback_scan_determinismE0ELb0ES3_N6thrust23THRUST_200600_302600_NS6detail15normal_iteratorINS9_10device_ptrIiEEEESE_SE_iNS9_4plusIiEE19head_flag_predicateiEE10hipError_tPvRmT2_T3_T4_T5_mT6_T7_P12ihipStream_tbENKUlT_T0_E_clISt17integral_constantIbLb0EESX_IbLb1EEEEDaST_SU_EUlST_E_NS1_11comp_targetILNS1_3genE10ELNS1_11target_archE1201ELNS1_3gpuE5ELNS1_3repE0EEENS1_30default_config_static_selectorELNS0_4arch9wavefront6targetE0EEEvT1_.num_named_barrier, 0
	.set _ZN7rocprim17ROCPRIM_400000_NS6detail17trampoline_kernelINS0_14default_configENS1_27scan_by_key_config_selectorIiiEEZZNS1_16scan_by_key_implILNS1_25lookback_scan_determinismE0ELb0ES3_N6thrust23THRUST_200600_302600_NS6detail15normal_iteratorINS9_10device_ptrIiEEEESE_SE_iNS9_4plusIiEE19head_flag_predicateiEE10hipError_tPvRmT2_T3_T4_T5_mT6_T7_P12ihipStream_tbENKUlT_T0_E_clISt17integral_constantIbLb0EESX_IbLb1EEEEDaST_SU_EUlST_E_NS1_11comp_targetILNS1_3genE10ELNS1_11target_archE1201ELNS1_3gpuE5ELNS1_3repE0EEENS1_30default_config_static_selectorELNS0_4arch9wavefront6targetE0EEEvT1_.private_seg_size, 0
	.set _ZN7rocprim17ROCPRIM_400000_NS6detail17trampoline_kernelINS0_14default_configENS1_27scan_by_key_config_selectorIiiEEZZNS1_16scan_by_key_implILNS1_25lookback_scan_determinismE0ELb0ES3_N6thrust23THRUST_200600_302600_NS6detail15normal_iteratorINS9_10device_ptrIiEEEESE_SE_iNS9_4plusIiEE19head_flag_predicateiEE10hipError_tPvRmT2_T3_T4_T5_mT6_T7_P12ihipStream_tbENKUlT_T0_E_clISt17integral_constantIbLb0EESX_IbLb1EEEEDaST_SU_EUlST_E_NS1_11comp_targetILNS1_3genE10ELNS1_11target_archE1201ELNS1_3gpuE5ELNS1_3repE0EEENS1_30default_config_static_selectorELNS0_4arch9wavefront6targetE0EEEvT1_.uses_vcc, 0
	.set _ZN7rocprim17ROCPRIM_400000_NS6detail17trampoline_kernelINS0_14default_configENS1_27scan_by_key_config_selectorIiiEEZZNS1_16scan_by_key_implILNS1_25lookback_scan_determinismE0ELb0ES3_N6thrust23THRUST_200600_302600_NS6detail15normal_iteratorINS9_10device_ptrIiEEEESE_SE_iNS9_4plusIiEE19head_flag_predicateiEE10hipError_tPvRmT2_T3_T4_T5_mT6_T7_P12ihipStream_tbENKUlT_T0_E_clISt17integral_constantIbLb0EESX_IbLb1EEEEDaST_SU_EUlST_E_NS1_11comp_targetILNS1_3genE10ELNS1_11target_archE1201ELNS1_3gpuE5ELNS1_3repE0EEENS1_30default_config_static_selectorELNS0_4arch9wavefront6targetE0EEEvT1_.uses_flat_scratch, 0
	.set _ZN7rocprim17ROCPRIM_400000_NS6detail17trampoline_kernelINS0_14default_configENS1_27scan_by_key_config_selectorIiiEEZZNS1_16scan_by_key_implILNS1_25lookback_scan_determinismE0ELb0ES3_N6thrust23THRUST_200600_302600_NS6detail15normal_iteratorINS9_10device_ptrIiEEEESE_SE_iNS9_4plusIiEE19head_flag_predicateiEE10hipError_tPvRmT2_T3_T4_T5_mT6_T7_P12ihipStream_tbENKUlT_T0_E_clISt17integral_constantIbLb0EESX_IbLb1EEEEDaST_SU_EUlST_E_NS1_11comp_targetILNS1_3genE10ELNS1_11target_archE1201ELNS1_3gpuE5ELNS1_3repE0EEENS1_30default_config_static_selectorELNS0_4arch9wavefront6targetE0EEEvT1_.has_dyn_sized_stack, 0
	.set _ZN7rocprim17ROCPRIM_400000_NS6detail17trampoline_kernelINS0_14default_configENS1_27scan_by_key_config_selectorIiiEEZZNS1_16scan_by_key_implILNS1_25lookback_scan_determinismE0ELb0ES3_N6thrust23THRUST_200600_302600_NS6detail15normal_iteratorINS9_10device_ptrIiEEEESE_SE_iNS9_4plusIiEE19head_flag_predicateiEE10hipError_tPvRmT2_T3_T4_T5_mT6_T7_P12ihipStream_tbENKUlT_T0_E_clISt17integral_constantIbLb0EESX_IbLb1EEEEDaST_SU_EUlST_E_NS1_11comp_targetILNS1_3genE10ELNS1_11target_archE1201ELNS1_3gpuE5ELNS1_3repE0EEENS1_30default_config_static_selectorELNS0_4arch9wavefront6targetE0EEEvT1_.has_recursion, 0
	.set _ZN7rocprim17ROCPRIM_400000_NS6detail17trampoline_kernelINS0_14default_configENS1_27scan_by_key_config_selectorIiiEEZZNS1_16scan_by_key_implILNS1_25lookback_scan_determinismE0ELb0ES3_N6thrust23THRUST_200600_302600_NS6detail15normal_iteratorINS9_10device_ptrIiEEEESE_SE_iNS9_4plusIiEE19head_flag_predicateiEE10hipError_tPvRmT2_T3_T4_T5_mT6_T7_P12ihipStream_tbENKUlT_T0_E_clISt17integral_constantIbLb0EESX_IbLb1EEEEDaST_SU_EUlST_E_NS1_11comp_targetILNS1_3genE10ELNS1_11target_archE1201ELNS1_3gpuE5ELNS1_3repE0EEENS1_30default_config_static_selectorELNS0_4arch9wavefront6targetE0EEEvT1_.has_indirect_call, 0
	.section	.AMDGPU.csdata,"",@progbits
; Kernel info:
; codeLenInByte = 0
; TotalNumSgprs: 0
; NumVgprs: 0
; ScratchSize: 0
; MemoryBound: 0
; FloatMode: 240
; IeeeMode: 1
; LDSByteSize: 0 bytes/workgroup (compile time only)
; SGPRBlocks: 0
; VGPRBlocks: 0
; NumSGPRsForWavesPerEU: 1
; NumVGPRsForWavesPerEU: 1
; NamedBarCnt: 0
; Occupancy: 16
; WaveLimiterHint : 0
; COMPUTE_PGM_RSRC2:SCRATCH_EN: 0
; COMPUTE_PGM_RSRC2:USER_SGPR: 2
; COMPUTE_PGM_RSRC2:TRAP_HANDLER: 0
; COMPUTE_PGM_RSRC2:TGID_X_EN: 1
; COMPUTE_PGM_RSRC2:TGID_Y_EN: 0
; COMPUTE_PGM_RSRC2:TGID_Z_EN: 0
; COMPUTE_PGM_RSRC2:TIDIG_COMP_CNT: 0
	.section	.text._ZN7rocprim17ROCPRIM_400000_NS6detail17trampoline_kernelINS0_14default_configENS1_27scan_by_key_config_selectorIiiEEZZNS1_16scan_by_key_implILNS1_25lookback_scan_determinismE0ELb0ES3_N6thrust23THRUST_200600_302600_NS6detail15normal_iteratorINS9_10device_ptrIiEEEESE_SE_iNS9_4plusIiEE19head_flag_predicateiEE10hipError_tPvRmT2_T3_T4_T5_mT6_T7_P12ihipStream_tbENKUlT_T0_E_clISt17integral_constantIbLb0EESX_IbLb1EEEEDaST_SU_EUlST_E_NS1_11comp_targetILNS1_3genE5ELNS1_11target_archE942ELNS1_3gpuE9ELNS1_3repE0EEENS1_30default_config_static_selectorELNS0_4arch9wavefront6targetE0EEEvT1_,"axG",@progbits,_ZN7rocprim17ROCPRIM_400000_NS6detail17trampoline_kernelINS0_14default_configENS1_27scan_by_key_config_selectorIiiEEZZNS1_16scan_by_key_implILNS1_25lookback_scan_determinismE0ELb0ES3_N6thrust23THRUST_200600_302600_NS6detail15normal_iteratorINS9_10device_ptrIiEEEESE_SE_iNS9_4plusIiEE19head_flag_predicateiEE10hipError_tPvRmT2_T3_T4_T5_mT6_T7_P12ihipStream_tbENKUlT_T0_E_clISt17integral_constantIbLb0EESX_IbLb1EEEEDaST_SU_EUlST_E_NS1_11comp_targetILNS1_3genE5ELNS1_11target_archE942ELNS1_3gpuE9ELNS1_3repE0EEENS1_30default_config_static_selectorELNS0_4arch9wavefront6targetE0EEEvT1_,comdat
	.protected	_ZN7rocprim17ROCPRIM_400000_NS6detail17trampoline_kernelINS0_14default_configENS1_27scan_by_key_config_selectorIiiEEZZNS1_16scan_by_key_implILNS1_25lookback_scan_determinismE0ELb0ES3_N6thrust23THRUST_200600_302600_NS6detail15normal_iteratorINS9_10device_ptrIiEEEESE_SE_iNS9_4plusIiEE19head_flag_predicateiEE10hipError_tPvRmT2_T3_T4_T5_mT6_T7_P12ihipStream_tbENKUlT_T0_E_clISt17integral_constantIbLb0EESX_IbLb1EEEEDaST_SU_EUlST_E_NS1_11comp_targetILNS1_3genE5ELNS1_11target_archE942ELNS1_3gpuE9ELNS1_3repE0EEENS1_30default_config_static_selectorELNS0_4arch9wavefront6targetE0EEEvT1_ ; -- Begin function _ZN7rocprim17ROCPRIM_400000_NS6detail17trampoline_kernelINS0_14default_configENS1_27scan_by_key_config_selectorIiiEEZZNS1_16scan_by_key_implILNS1_25lookback_scan_determinismE0ELb0ES3_N6thrust23THRUST_200600_302600_NS6detail15normal_iteratorINS9_10device_ptrIiEEEESE_SE_iNS9_4plusIiEE19head_flag_predicateiEE10hipError_tPvRmT2_T3_T4_T5_mT6_T7_P12ihipStream_tbENKUlT_T0_E_clISt17integral_constantIbLb0EESX_IbLb1EEEEDaST_SU_EUlST_E_NS1_11comp_targetILNS1_3genE5ELNS1_11target_archE942ELNS1_3gpuE9ELNS1_3repE0EEENS1_30default_config_static_selectorELNS0_4arch9wavefront6targetE0EEEvT1_
	.globl	_ZN7rocprim17ROCPRIM_400000_NS6detail17trampoline_kernelINS0_14default_configENS1_27scan_by_key_config_selectorIiiEEZZNS1_16scan_by_key_implILNS1_25lookback_scan_determinismE0ELb0ES3_N6thrust23THRUST_200600_302600_NS6detail15normal_iteratorINS9_10device_ptrIiEEEESE_SE_iNS9_4plusIiEE19head_flag_predicateiEE10hipError_tPvRmT2_T3_T4_T5_mT6_T7_P12ihipStream_tbENKUlT_T0_E_clISt17integral_constantIbLb0EESX_IbLb1EEEEDaST_SU_EUlST_E_NS1_11comp_targetILNS1_3genE5ELNS1_11target_archE942ELNS1_3gpuE9ELNS1_3repE0EEENS1_30default_config_static_selectorELNS0_4arch9wavefront6targetE0EEEvT1_
	.p2align	8
	.type	_ZN7rocprim17ROCPRIM_400000_NS6detail17trampoline_kernelINS0_14default_configENS1_27scan_by_key_config_selectorIiiEEZZNS1_16scan_by_key_implILNS1_25lookback_scan_determinismE0ELb0ES3_N6thrust23THRUST_200600_302600_NS6detail15normal_iteratorINS9_10device_ptrIiEEEESE_SE_iNS9_4plusIiEE19head_flag_predicateiEE10hipError_tPvRmT2_T3_T4_T5_mT6_T7_P12ihipStream_tbENKUlT_T0_E_clISt17integral_constantIbLb0EESX_IbLb1EEEEDaST_SU_EUlST_E_NS1_11comp_targetILNS1_3genE5ELNS1_11target_archE942ELNS1_3gpuE9ELNS1_3repE0EEENS1_30default_config_static_selectorELNS0_4arch9wavefront6targetE0EEEvT1_,@function
_ZN7rocprim17ROCPRIM_400000_NS6detail17trampoline_kernelINS0_14default_configENS1_27scan_by_key_config_selectorIiiEEZZNS1_16scan_by_key_implILNS1_25lookback_scan_determinismE0ELb0ES3_N6thrust23THRUST_200600_302600_NS6detail15normal_iteratorINS9_10device_ptrIiEEEESE_SE_iNS9_4plusIiEE19head_flag_predicateiEE10hipError_tPvRmT2_T3_T4_T5_mT6_T7_P12ihipStream_tbENKUlT_T0_E_clISt17integral_constantIbLb0EESX_IbLb1EEEEDaST_SU_EUlST_E_NS1_11comp_targetILNS1_3genE5ELNS1_11target_archE942ELNS1_3gpuE9ELNS1_3repE0EEENS1_30default_config_static_selectorELNS0_4arch9wavefront6targetE0EEEvT1_: ; @_ZN7rocprim17ROCPRIM_400000_NS6detail17trampoline_kernelINS0_14default_configENS1_27scan_by_key_config_selectorIiiEEZZNS1_16scan_by_key_implILNS1_25lookback_scan_determinismE0ELb0ES3_N6thrust23THRUST_200600_302600_NS6detail15normal_iteratorINS9_10device_ptrIiEEEESE_SE_iNS9_4plusIiEE19head_flag_predicateiEE10hipError_tPvRmT2_T3_T4_T5_mT6_T7_P12ihipStream_tbENKUlT_T0_E_clISt17integral_constantIbLb0EESX_IbLb1EEEEDaST_SU_EUlST_E_NS1_11comp_targetILNS1_3genE5ELNS1_11target_archE942ELNS1_3gpuE9ELNS1_3repE0EEENS1_30default_config_static_selectorELNS0_4arch9wavefront6targetE0EEEvT1_
; %bb.0:
	.section	.rodata,"a",@progbits
	.p2align	6, 0x0
	.amdhsa_kernel _ZN7rocprim17ROCPRIM_400000_NS6detail17trampoline_kernelINS0_14default_configENS1_27scan_by_key_config_selectorIiiEEZZNS1_16scan_by_key_implILNS1_25lookback_scan_determinismE0ELb0ES3_N6thrust23THRUST_200600_302600_NS6detail15normal_iteratorINS9_10device_ptrIiEEEESE_SE_iNS9_4plusIiEE19head_flag_predicateiEE10hipError_tPvRmT2_T3_T4_T5_mT6_T7_P12ihipStream_tbENKUlT_T0_E_clISt17integral_constantIbLb0EESX_IbLb1EEEEDaST_SU_EUlST_E_NS1_11comp_targetILNS1_3genE5ELNS1_11target_archE942ELNS1_3gpuE9ELNS1_3repE0EEENS1_30default_config_static_selectorELNS0_4arch9wavefront6targetE0EEEvT1_
		.amdhsa_group_segment_fixed_size 0
		.amdhsa_private_segment_fixed_size 0
		.amdhsa_kernarg_size 112
		.amdhsa_user_sgpr_count 2
		.amdhsa_user_sgpr_dispatch_ptr 0
		.amdhsa_user_sgpr_queue_ptr 0
		.amdhsa_user_sgpr_kernarg_segment_ptr 1
		.amdhsa_user_sgpr_dispatch_id 0
		.amdhsa_user_sgpr_kernarg_preload_length 0
		.amdhsa_user_sgpr_kernarg_preload_offset 0
		.amdhsa_user_sgpr_private_segment_size 0
		.amdhsa_wavefront_size32 1
		.amdhsa_uses_dynamic_stack 0
		.amdhsa_enable_private_segment 0
		.amdhsa_system_sgpr_workgroup_id_x 1
		.amdhsa_system_sgpr_workgroup_id_y 0
		.amdhsa_system_sgpr_workgroup_id_z 0
		.amdhsa_system_sgpr_workgroup_info 0
		.amdhsa_system_vgpr_workitem_id 0
		.amdhsa_next_free_vgpr 1
		.amdhsa_next_free_sgpr 1
		.amdhsa_named_barrier_count 0
		.amdhsa_reserve_vcc 0
		.amdhsa_float_round_mode_32 0
		.amdhsa_float_round_mode_16_64 0
		.amdhsa_float_denorm_mode_32 3
		.amdhsa_float_denorm_mode_16_64 3
		.amdhsa_fp16_overflow 0
		.amdhsa_memory_ordered 1
		.amdhsa_forward_progress 1
		.amdhsa_inst_pref_size 0
		.amdhsa_round_robin_scheduling 0
		.amdhsa_exception_fp_ieee_invalid_op 0
		.amdhsa_exception_fp_denorm_src 0
		.amdhsa_exception_fp_ieee_div_zero 0
		.amdhsa_exception_fp_ieee_overflow 0
		.amdhsa_exception_fp_ieee_underflow 0
		.amdhsa_exception_fp_ieee_inexact 0
		.amdhsa_exception_int_div_zero 0
	.end_amdhsa_kernel
	.section	.text._ZN7rocprim17ROCPRIM_400000_NS6detail17trampoline_kernelINS0_14default_configENS1_27scan_by_key_config_selectorIiiEEZZNS1_16scan_by_key_implILNS1_25lookback_scan_determinismE0ELb0ES3_N6thrust23THRUST_200600_302600_NS6detail15normal_iteratorINS9_10device_ptrIiEEEESE_SE_iNS9_4plusIiEE19head_flag_predicateiEE10hipError_tPvRmT2_T3_T4_T5_mT6_T7_P12ihipStream_tbENKUlT_T0_E_clISt17integral_constantIbLb0EESX_IbLb1EEEEDaST_SU_EUlST_E_NS1_11comp_targetILNS1_3genE5ELNS1_11target_archE942ELNS1_3gpuE9ELNS1_3repE0EEENS1_30default_config_static_selectorELNS0_4arch9wavefront6targetE0EEEvT1_,"axG",@progbits,_ZN7rocprim17ROCPRIM_400000_NS6detail17trampoline_kernelINS0_14default_configENS1_27scan_by_key_config_selectorIiiEEZZNS1_16scan_by_key_implILNS1_25lookback_scan_determinismE0ELb0ES3_N6thrust23THRUST_200600_302600_NS6detail15normal_iteratorINS9_10device_ptrIiEEEESE_SE_iNS9_4plusIiEE19head_flag_predicateiEE10hipError_tPvRmT2_T3_T4_T5_mT6_T7_P12ihipStream_tbENKUlT_T0_E_clISt17integral_constantIbLb0EESX_IbLb1EEEEDaST_SU_EUlST_E_NS1_11comp_targetILNS1_3genE5ELNS1_11target_archE942ELNS1_3gpuE9ELNS1_3repE0EEENS1_30default_config_static_selectorELNS0_4arch9wavefront6targetE0EEEvT1_,comdat
.Lfunc_end778:
	.size	_ZN7rocprim17ROCPRIM_400000_NS6detail17trampoline_kernelINS0_14default_configENS1_27scan_by_key_config_selectorIiiEEZZNS1_16scan_by_key_implILNS1_25lookback_scan_determinismE0ELb0ES3_N6thrust23THRUST_200600_302600_NS6detail15normal_iteratorINS9_10device_ptrIiEEEESE_SE_iNS9_4plusIiEE19head_flag_predicateiEE10hipError_tPvRmT2_T3_T4_T5_mT6_T7_P12ihipStream_tbENKUlT_T0_E_clISt17integral_constantIbLb0EESX_IbLb1EEEEDaST_SU_EUlST_E_NS1_11comp_targetILNS1_3genE5ELNS1_11target_archE942ELNS1_3gpuE9ELNS1_3repE0EEENS1_30default_config_static_selectorELNS0_4arch9wavefront6targetE0EEEvT1_, .Lfunc_end778-_ZN7rocprim17ROCPRIM_400000_NS6detail17trampoline_kernelINS0_14default_configENS1_27scan_by_key_config_selectorIiiEEZZNS1_16scan_by_key_implILNS1_25lookback_scan_determinismE0ELb0ES3_N6thrust23THRUST_200600_302600_NS6detail15normal_iteratorINS9_10device_ptrIiEEEESE_SE_iNS9_4plusIiEE19head_flag_predicateiEE10hipError_tPvRmT2_T3_T4_T5_mT6_T7_P12ihipStream_tbENKUlT_T0_E_clISt17integral_constantIbLb0EESX_IbLb1EEEEDaST_SU_EUlST_E_NS1_11comp_targetILNS1_3genE5ELNS1_11target_archE942ELNS1_3gpuE9ELNS1_3repE0EEENS1_30default_config_static_selectorELNS0_4arch9wavefront6targetE0EEEvT1_
                                        ; -- End function
	.set _ZN7rocprim17ROCPRIM_400000_NS6detail17trampoline_kernelINS0_14default_configENS1_27scan_by_key_config_selectorIiiEEZZNS1_16scan_by_key_implILNS1_25lookback_scan_determinismE0ELb0ES3_N6thrust23THRUST_200600_302600_NS6detail15normal_iteratorINS9_10device_ptrIiEEEESE_SE_iNS9_4plusIiEE19head_flag_predicateiEE10hipError_tPvRmT2_T3_T4_T5_mT6_T7_P12ihipStream_tbENKUlT_T0_E_clISt17integral_constantIbLb0EESX_IbLb1EEEEDaST_SU_EUlST_E_NS1_11comp_targetILNS1_3genE5ELNS1_11target_archE942ELNS1_3gpuE9ELNS1_3repE0EEENS1_30default_config_static_selectorELNS0_4arch9wavefront6targetE0EEEvT1_.num_vgpr, 0
	.set _ZN7rocprim17ROCPRIM_400000_NS6detail17trampoline_kernelINS0_14default_configENS1_27scan_by_key_config_selectorIiiEEZZNS1_16scan_by_key_implILNS1_25lookback_scan_determinismE0ELb0ES3_N6thrust23THRUST_200600_302600_NS6detail15normal_iteratorINS9_10device_ptrIiEEEESE_SE_iNS9_4plusIiEE19head_flag_predicateiEE10hipError_tPvRmT2_T3_T4_T5_mT6_T7_P12ihipStream_tbENKUlT_T0_E_clISt17integral_constantIbLb0EESX_IbLb1EEEEDaST_SU_EUlST_E_NS1_11comp_targetILNS1_3genE5ELNS1_11target_archE942ELNS1_3gpuE9ELNS1_3repE0EEENS1_30default_config_static_selectorELNS0_4arch9wavefront6targetE0EEEvT1_.num_agpr, 0
	.set _ZN7rocprim17ROCPRIM_400000_NS6detail17trampoline_kernelINS0_14default_configENS1_27scan_by_key_config_selectorIiiEEZZNS1_16scan_by_key_implILNS1_25lookback_scan_determinismE0ELb0ES3_N6thrust23THRUST_200600_302600_NS6detail15normal_iteratorINS9_10device_ptrIiEEEESE_SE_iNS9_4plusIiEE19head_flag_predicateiEE10hipError_tPvRmT2_T3_T4_T5_mT6_T7_P12ihipStream_tbENKUlT_T0_E_clISt17integral_constantIbLb0EESX_IbLb1EEEEDaST_SU_EUlST_E_NS1_11comp_targetILNS1_3genE5ELNS1_11target_archE942ELNS1_3gpuE9ELNS1_3repE0EEENS1_30default_config_static_selectorELNS0_4arch9wavefront6targetE0EEEvT1_.numbered_sgpr, 0
	.set _ZN7rocprim17ROCPRIM_400000_NS6detail17trampoline_kernelINS0_14default_configENS1_27scan_by_key_config_selectorIiiEEZZNS1_16scan_by_key_implILNS1_25lookback_scan_determinismE0ELb0ES3_N6thrust23THRUST_200600_302600_NS6detail15normal_iteratorINS9_10device_ptrIiEEEESE_SE_iNS9_4plusIiEE19head_flag_predicateiEE10hipError_tPvRmT2_T3_T4_T5_mT6_T7_P12ihipStream_tbENKUlT_T0_E_clISt17integral_constantIbLb0EESX_IbLb1EEEEDaST_SU_EUlST_E_NS1_11comp_targetILNS1_3genE5ELNS1_11target_archE942ELNS1_3gpuE9ELNS1_3repE0EEENS1_30default_config_static_selectorELNS0_4arch9wavefront6targetE0EEEvT1_.num_named_barrier, 0
	.set _ZN7rocprim17ROCPRIM_400000_NS6detail17trampoline_kernelINS0_14default_configENS1_27scan_by_key_config_selectorIiiEEZZNS1_16scan_by_key_implILNS1_25lookback_scan_determinismE0ELb0ES3_N6thrust23THRUST_200600_302600_NS6detail15normal_iteratorINS9_10device_ptrIiEEEESE_SE_iNS9_4plusIiEE19head_flag_predicateiEE10hipError_tPvRmT2_T3_T4_T5_mT6_T7_P12ihipStream_tbENKUlT_T0_E_clISt17integral_constantIbLb0EESX_IbLb1EEEEDaST_SU_EUlST_E_NS1_11comp_targetILNS1_3genE5ELNS1_11target_archE942ELNS1_3gpuE9ELNS1_3repE0EEENS1_30default_config_static_selectorELNS0_4arch9wavefront6targetE0EEEvT1_.private_seg_size, 0
	.set _ZN7rocprim17ROCPRIM_400000_NS6detail17trampoline_kernelINS0_14default_configENS1_27scan_by_key_config_selectorIiiEEZZNS1_16scan_by_key_implILNS1_25lookback_scan_determinismE0ELb0ES3_N6thrust23THRUST_200600_302600_NS6detail15normal_iteratorINS9_10device_ptrIiEEEESE_SE_iNS9_4plusIiEE19head_flag_predicateiEE10hipError_tPvRmT2_T3_T4_T5_mT6_T7_P12ihipStream_tbENKUlT_T0_E_clISt17integral_constantIbLb0EESX_IbLb1EEEEDaST_SU_EUlST_E_NS1_11comp_targetILNS1_3genE5ELNS1_11target_archE942ELNS1_3gpuE9ELNS1_3repE0EEENS1_30default_config_static_selectorELNS0_4arch9wavefront6targetE0EEEvT1_.uses_vcc, 0
	.set _ZN7rocprim17ROCPRIM_400000_NS6detail17trampoline_kernelINS0_14default_configENS1_27scan_by_key_config_selectorIiiEEZZNS1_16scan_by_key_implILNS1_25lookback_scan_determinismE0ELb0ES3_N6thrust23THRUST_200600_302600_NS6detail15normal_iteratorINS9_10device_ptrIiEEEESE_SE_iNS9_4plusIiEE19head_flag_predicateiEE10hipError_tPvRmT2_T3_T4_T5_mT6_T7_P12ihipStream_tbENKUlT_T0_E_clISt17integral_constantIbLb0EESX_IbLb1EEEEDaST_SU_EUlST_E_NS1_11comp_targetILNS1_3genE5ELNS1_11target_archE942ELNS1_3gpuE9ELNS1_3repE0EEENS1_30default_config_static_selectorELNS0_4arch9wavefront6targetE0EEEvT1_.uses_flat_scratch, 0
	.set _ZN7rocprim17ROCPRIM_400000_NS6detail17trampoline_kernelINS0_14default_configENS1_27scan_by_key_config_selectorIiiEEZZNS1_16scan_by_key_implILNS1_25lookback_scan_determinismE0ELb0ES3_N6thrust23THRUST_200600_302600_NS6detail15normal_iteratorINS9_10device_ptrIiEEEESE_SE_iNS9_4plusIiEE19head_flag_predicateiEE10hipError_tPvRmT2_T3_T4_T5_mT6_T7_P12ihipStream_tbENKUlT_T0_E_clISt17integral_constantIbLb0EESX_IbLb1EEEEDaST_SU_EUlST_E_NS1_11comp_targetILNS1_3genE5ELNS1_11target_archE942ELNS1_3gpuE9ELNS1_3repE0EEENS1_30default_config_static_selectorELNS0_4arch9wavefront6targetE0EEEvT1_.has_dyn_sized_stack, 0
	.set _ZN7rocprim17ROCPRIM_400000_NS6detail17trampoline_kernelINS0_14default_configENS1_27scan_by_key_config_selectorIiiEEZZNS1_16scan_by_key_implILNS1_25lookback_scan_determinismE0ELb0ES3_N6thrust23THRUST_200600_302600_NS6detail15normal_iteratorINS9_10device_ptrIiEEEESE_SE_iNS9_4plusIiEE19head_flag_predicateiEE10hipError_tPvRmT2_T3_T4_T5_mT6_T7_P12ihipStream_tbENKUlT_T0_E_clISt17integral_constantIbLb0EESX_IbLb1EEEEDaST_SU_EUlST_E_NS1_11comp_targetILNS1_3genE5ELNS1_11target_archE942ELNS1_3gpuE9ELNS1_3repE0EEENS1_30default_config_static_selectorELNS0_4arch9wavefront6targetE0EEEvT1_.has_recursion, 0
	.set _ZN7rocprim17ROCPRIM_400000_NS6detail17trampoline_kernelINS0_14default_configENS1_27scan_by_key_config_selectorIiiEEZZNS1_16scan_by_key_implILNS1_25lookback_scan_determinismE0ELb0ES3_N6thrust23THRUST_200600_302600_NS6detail15normal_iteratorINS9_10device_ptrIiEEEESE_SE_iNS9_4plusIiEE19head_flag_predicateiEE10hipError_tPvRmT2_T3_T4_T5_mT6_T7_P12ihipStream_tbENKUlT_T0_E_clISt17integral_constantIbLb0EESX_IbLb1EEEEDaST_SU_EUlST_E_NS1_11comp_targetILNS1_3genE5ELNS1_11target_archE942ELNS1_3gpuE9ELNS1_3repE0EEENS1_30default_config_static_selectorELNS0_4arch9wavefront6targetE0EEEvT1_.has_indirect_call, 0
	.section	.AMDGPU.csdata,"",@progbits
; Kernel info:
; codeLenInByte = 0
; TotalNumSgprs: 0
; NumVgprs: 0
; ScratchSize: 0
; MemoryBound: 0
; FloatMode: 240
; IeeeMode: 1
; LDSByteSize: 0 bytes/workgroup (compile time only)
; SGPRBlocks: 0
; VGPRBlocks: 0
; NumSGPRsForWavesPerEU: 1
; NumVGPRsForWavesPerEU: 1
; NamedBarCnt: 0
; Occupancy: 16
; WaveLimiterHint : 0
; COMPUTE_PGM_RSRC2:SCRATCH_EN: 0
; COMPUTE_PGM_RSRC2:USER_SGPR: 2
; COMPUTE_PGM_RSRC2:TRAP_HANDLER: 0
; COMPUTE_PGM_RSRC2:TGID_X_EN: 1
; COMPUTE_PGM_RSRC2:TGID_Y_EN: 0
; COMPUTE_PGM_RSRC2:TGID_Z_EN: 0
; COMPUTE_PGM_RSRC2:TIDIG_COMP_CNT: 0
	.section	.text._ZN7rocprim17ROCPRIM_400000_NS6detail17trampoline_kernelINS0_14default_configENS1_27scan_by_key_config_selectorIiiEEZZNS1_16scan_by_key_implILNS1_25lookback_scan_determinismE0ELb0ES3_N6thrust23THRUST_200600_302600_NS6detail15normal_iteratorINS9_10device_ptrIiEEEESE_SE_iNS9_4plusIiEE19head_flag_predicateiEE10hipError_tPvRmT2_T3_T4_T5_mT6_T7_P12ihipStream_tbENKUlT_T0_E_clISt17integral_constantIbLb0EESX_IbLb1EEEEDaST_SU_EUlST_E_NS1_11comp_targetILNS1_3genE4ELNS1_11target_archE910ELNS1_3gpuE8ELNS1_3repE0EEENS1_30default_config_static_selectorELNS0_4arch9wavefront6targetE0EEEvT1_,"axG",@progbits,_ZN7rocprim17ROCPRIM_400000_NS6detail17trampoline_kernelINS0_14default_configENS1_27scan_by_key_config_selectorIiiEEZZNS1_16scan_by_key_implILNS1_25lookback_scan_determinismE0ELb0ES3_N6thrust23THRUST_200600_302600_NS6detail15normal_iteratorINS9_10device_ptrIiEEEESE_SE_iNS9_4plusIiEE19head_flag_predicateiEE10hipError_tPvRmT2_T3_T4_T5_mT6_T7_P12ihipStream_tbENKUlT_T0_E_clISt17integral_constantIbLb0EESX_IbLb1EEEEDaST_SU_EUlST_E_NS1_11comp_targetILNS1_3genE4ELNS1_11target_archE910ELNS1_3gpuE8ELNS1_3repE0EEENS1_30default_config_static_selectorELNS0_4arch9wavefront6targetE0EEEvT1_,comdat
	.protected	_ZN7rocprim17ROCPRIM_400000_NS6detail17trampoline_kernelINS0_14default_configENS1_27scan_by_key_config_selectorIiiEEZZNS1_16scan_by_key_implILNS1_25lookback_scan_determinismE0ELb0ES3_N6thrust23THRUST_200600_302600_NS6detail15normal_iteratorINS9_10device_ptrIiEEEESE_SE_iNS9_4plusIiEE19head_flag_predicateiEE10hipError_tPvRmT2_T3_T4_T5_mT6_T7_P12ihipStream_tbENKUlT_T0_E_clISt17integral_constantIbLb0EESX_IbLb1EEEEDaST_SU_EUlST_E_NS1_11comp_targetILNS1_3genE4ELNS1_11target_archE910ELNS1_3gpuE8ELNS1_3repE0EEENS1_30default_config_static_selectorELNS0_4arch9wavefront6targetE0EEEvT1_ ; -- Begin function _ZN7rocprim17ROCPRIM_400000_NS6detail17trampoline_kernelINS0_14default_configENS1_27scan_by_key_config_selectorIiiEEZZNS1_16scan_by_key_implILNS1_25lookback_scan_determinismE0ELb0ES3_N6thrust23THRUST_200600_302600_NS6detail15normal_iteratorINS9_10device_ptrIiEEEESE_SE_iNS9_4plusIiEE19head_flag_predicateiEE10hipError_tPvRmT2_T3_T4_T5_mT6_T7_P12ihipStream_tbENKUlT_T0_E_clISt17integral_constantIbLb0EESX_IbLb1EEEEDaST_SU_EUlST_E_NS1_11comp_targetILNS1_3genE4ELNS1_11target_archE910ELNS1_3gpuE8ELNS1_3repE0EEENS1_30default_config_static_selectorELNS0_4arch9wavefront6targetE0EEEvT1_
	.globl	_ZN7rocprim17ROCPRIM_400000_NS6detail17trampoline_kernelINS0_14default_configENS1_27scan_by_key_config_selectorIiiEEZZNS1_16scan_by_key_implILNS1_25lookback_scan_determinismE0ELb0ES3_N6thrust23THRUST_200600_302600_NS6detail15normal_iteratorINS9_10device_ptrIiEEEESE_SE_iNS9_4plusIiEE19head_flag_predicateiEE10hipError_tPvRmT2_T3_T4_T5_mT6_T7_P12ihipStream_tbENKUlT_T0_E_clISt17integral_constantIbLb0EESX_IbLb1EEEEDaST_SU_EUlST_E_NS1_11comp_targetILNS1_3genE4ELNS1_11target_archE910ELNS1_3gpuE8ELNS1_3repE0EEENS1_30default_config_static_selectorELNS0_4arch9wavefront6targetE0EEEvT1_
	.p2align	8
	.type	_ZN7rocprim17ROCPRIM_400000_NS6detail17trampoline_kernelINS0_14default_configENS1_27scan_by_key_config_selectorIiiEEZZNS1_16scan_by_key_implILNS1_25lookback_scan_determinismE0ELb0ES3_N6thrust23THRUST_200600_302600_NS6detail15normal_iteratorINS9_10device_ptrIiEEEESE_SE_iNS9_4plusIiEE19head_flag_predicateiEE10hipError_tPvRmT2_T3_T4_T5_mT6_T7_P12ihipStream_tbENKUlT_T0_E_clISt17integral_constantIbLb0EESX_IbLb1EEEEDaST_SU_EUlST_E_NS1_11comp_targetILNS1_3genE4ELNS1_11target_archE910ELNS1_3gpuE8ELNS1_3repE0EEENS1_30default_config_static_selectorELNS0_4arch9wavefront6targetE0EEEvT1_,@function
_ZN7rocprim17ROCPRIM_400000_NS6detail17trampoline_kernelINS0_14default_configENS1_27scan_by_key_config_selectorIiiEEZZNS1_16scan_by_key_implILNS1_25lookback_scan_determinismE0ELb0ES3_N6thrust23THRUST_200600_302600_NS6detail15normal_iteratorINS9_10device_ptrIiEEEESE_SE_iNS9_4plusIiEE19head_flag_predicateiEE10hipError_tPvRmT2_T3_T4_T5_mT6_T7_P12ihipStream_tbENKUlT_T0_E_clISt17integral_constantIbLb0EESX_IbLb1EEEEDaST_SU_EUlST_E_NS1_11comp_targetILNS1_3genE4ELNS1_11target_archE910ELNS1_3gpuE8ELNS1_3repE0EEENS1_30default_config_static_selectorELNS0_4arch9wavefront6targetE0EEEvT1_: ; @_ZN7rocprim17ROCPRIM_400000_NS6detail17trampoline_kernelINS0_14default_configENS1_27scan_by_key_config_selectorIiiEEZZNS1_16scan_by_key_implILNS1_25lookback_scan_determinismE0ELb0ES3_N6thrust23THRUST_200600_302600_NS6detail15normal_iteratorINS9_10device_ptrIiEEEESE_SE_iNS9_4plusIiEE19head_flag_predicateiEE10hipError_tPvRmT2_T3_T4_T5_mT6_T7_P12ihipStream_tbENKUlT_T0_E_clISt17integral_constantIbLb0EESX_IbLb1EEEEDaST_SU_EUlST_E_NS1_11comp_targetILNS1_3genE4ELNS1_11target_archE910ELNS1_3gpuE8ELNS1_3repE0EEENS1_30default_config_static_selectorELNS0_4arch9wavefront6targetE0EEEvT1_
; %bb.0:
	.section	.rodata,"a",@progbits
	.p2align	6, 0x0
	.amdhsa_kernel _ZN7rocprim17ROCPRIM_400000_NS6detail17trampoline_kernelINS0_14default_configENS1_27scan_by_key_config_selectorIiiEEZZNS1_16scan_by_key_implILNS1_25lookback_scan_determinismE0ELb0ES3_N6thrust23THRUST_200600_302600_NS6detail15normal_iteratorINS9_10device_ptrIiEEEESE_SE_iNS9_4plusIiEE19head_flag_predicateiEE10hipError_tPvRmT2_T3_T4_T5_mT6_T7_P12ihipStream_tbENKUlT_T0_E_clISt17integral_constantIbLb0EESX_IbLb1EEEEDaST_SU_EUlST_E_NS1_11comp_targetILNS1_3genE4ELNS1_11target_archE910ELNS1_3gpuE8ELNS1_3repE0EEENS1_30default_config_static_selectorELNS0_4arch9wavefront6targetE0EEEvT1_
		.amdhsa_group_segment_fixed_size 0
		.amdhsa_private_segment_fixed_size 0
		.amdhsa_kernarg_size 112
		.amdhsa_user_sgpr_count 2
		.amdhsa_user_sgpr_dispatch_ptr 0
		.amdhsa_user_sgpr_queue_ptr 0
		.amdhsa_user_sgpr_kernarg_segment_ptr 1
		.amdhsa_user_sgpr_dispatch_id 0
		.amdhsa_user_sgpr_kernarg_preload_length 0
		.amdhsa_user_sgpr_kernarg_preload_offset 0
		.amdhsa_user_sgpr_private_segment_size 0
		.amdhsa_wavefront_size32 1
		.amdhsa_uses_dynamic_stack 0
		.amdhsa_enable_private_segment 0
		.amdhsa_system_sgpr_workgroup_id_x 1
		.amdhsa_system_sgpr_workgroup_id_y 0
		.amdhsa_system_sgpr_workgroup_id_z 0
		.amdhsa_system_sgpr_workgroup_info 0
		.amdhsa_system_vgpr_workitem_id 0
		.amdhsa_next_free_vgpr 1
		.amdhsa_next_free_sgpr 1
		.amdhsa_named_barrier_count 0
		.amdhsa_reserve_vcc 0
		.amdhsa_float_round_mode_32 0
		.amdhsa_float_round_mode_16_64 0
		.amdhsa_float_denorm_mode_32 3
		.amdhsa_float_denorm_mode_16_64 3
		.amdhsa_fp16_overflow 0
		.amdhsa_memory_ordered 1
		.amdhsa_forward_progress 1
		.amdhsa_inst_pref_size 0
		.amdhsa_round_robin_scheduling 0
		.amdhsa_exception_fp_ieee_invalid_op 0
		.amdhsa_exception_fp_denorm_src 0
		.amdhsa_exception_fp_ieee_div_zero 0
		.amdhsa_exception_fp_ieee_overflow 0
		.amdhsa_exception_fp_ieee_underflow 0
		.amdhsa_exception_fp_ieee_inexact 0
		.amdhsa_exception_int_div_zero 0
	.end_amdhsa_kernel
	.section	.text._ZN7rocprim17ROCPRIM_400000_NS6detail17trampoline_kernelINS0_14default_configENS1_27scan_by_key_config_selectorIiiEEZZNS1_16scan_by_key_implILNS1_25lookback_scan_determinismE0ELb0ES3_N6thrust23THRUST_200600_302600_NS6detail15normal_iteratorINS9_10device_ptrIiEEEESE_SE_iNS9_4plusIiEE19head_flag_predicateiEE10hipError_tPvRmT2_T3_T4_T5_mT6_T7_P12ihipStream_tbENKUlT_T0_E_clISt17integral_constantIbLb0EESX_IbLb1EEEEDaST_SU_EUlST_E_NS1_11comp_targetILNS1_3genE4ELNS1_11target_archE910ELNS1_3gpuE8ELNS1_3repE0EEENS1_30default_config_static_selectorELNS0_4arch9wavefront6targetE0EEEvT1_,"axG",@progbits,_ZN7rocprim17ROCPRIM_400000_NS6detail17trampoline_kernelINS0_14default_configENS1_27scan_by_key_config_selectorIiiEEZZNS1_16scan_by_key_implILNS1_25lookback_scan_determinismE0ELb0ES3_N6thrust23THRUST_200600_302600_NS6detail15normal_iteratorINS9_10device_ptrIiEEEESE_SE_iNS9_4plusIiEE19head_flag_predicateiEE10hipError_tPvRmT2_T3_T4_T5_mT6_T7_P12ihipStream_tbENKUlT_T0_E_clISt17integral_constantIbLb0EESX_IbLb1EEEEDaST_SU_EUlST_E_NS1_11comp_targetILNS1_3genE4ELNS1_11target_archE910ELNS1_3gpuE8ELNS1_3repE0EEENS1_30default_config_static_selectorELNS0_4arch9wavefront6targetE0EEEvT1_,comdat
.Lfunc_end779:
	.size	_ZN7rocprim17ROCPRIM_400000_NS6detail17trampoline_kernelINS0_14default_configENS1_27scan_by_key_config_selectorIiiEEZZNS1_16scan_by_key_implILNS1_25lookback_scan_determinismE0ELb0ES3_N6thrust23THRUST_200600_302600_NS6detail15normal_iteratorINS9_10device_ptrIiEEEESE_SE_iNS9_4plusIiEE19head_flag_predicateiEE10hipError_tPvRmT2_T3_T4_T5_mT6_T7_P12ihipStream_tbENKUlT_T0_E_clISt17integral_constantIbLb0EESX_IbLb1EEEEDaST_SU_EUlST_E_NS1_11comp_targetILNS1_3genE4ELNS1_11target_archE910ELNS1_3gpuE8ELNS1_3repE0EEENS1_30default_config_static_selectorELNS0_4arch9wavefront6targetE0EEEvT1_, .Lfunc_end779-_ZN7rocprim17ROCPRIM_400000_NS6detail17trampoline_kernelINS0_14default_configENS1_27scan_by_key_config_selectorIiiEEZZNS1_16scan_by_key_implILNS1_25lookback_scan_determinismE0ELb0ES3_N6thrust23THRUST_200600_302600_NS6detail15normal_iteratorINS9_10device_ptrIiEEEESE_SE_iNS9_4plusIiEE19head_flag_predicateiEE10hipError_tPvRmT2_T3_T4_T5_mT6_T7_P12ihipStream_tbENKUlT_T0_E_clISt17integral_constantIbLb0EESX_IbLb1EEEEDaST_SU_EUlST_E_NS1_11comp_targetILNS1_3genE4ELNS1_11target_archE910ELNS1_3gpuE8ELNS1_3repE0EEENS1_30default_config_static_selectorELNS0_4arch9wavefront6targetE0EEEvT1_
                                        ; -- End function
	.set _ZN7rocprim17ROCPRIM_400000_NS6detail17trampoline_kernelINS0_14default_configENS1_27scan_by_key_config_selectorIiiEEZZNS1_16scan_by_key_implILNS1_25lookback_scan_determinismE0ELb0ES3_N6thrust23THRUST_200600_302600_NS6detail15normal_iteratorINS9_10device_ptrIiEEEESE_SE_iNS9_4plusIiEE19head_flag_predicateiEE10hipError_tPvRmT2_T3_T4_T5_mT6_T7_P12ihipStream_tbENKUlT_T0_E_clISt17integral_constantIbLb0EESX_IbLb1EEEEDaST_SU_EUlST_E_NS1_11comp_targetILNS1_3genE4ELNS1_11target_archE910ELNS1_3gpuE8ELNS1_3repE0EEENS1_30default_config_static_selectorELNS0_4arch9wavefront6targetE0EEEvT1_.num_vgpr, 0
	.set _ZN7rocprim17ROCPRIM_400000_NS6detail17trampoline_kernelINS0_14default_configENS1_27scan_by_key_config_selectorIiiEEZZNS1_16scan_by_key_implILNS1_25lookback_scan_determinismE0ELb0ES3_N6thrust23THRUST_200600_302600_NS6detail15normal_iteratorINS9_10device_ptrIiEEEESE_SE_iNS9_4plusIiEE19head_flag_predicateiEE10hipError_tPvRmT2_T3_T4_T5_mT6_T7_P12ihipStream_tbENKUlT_T0_E_clISt17integral_constantIbLb0EESX_IbLb1EEEEDaST_SU_EUlST_E_NS1_11comp_targetILNS1_3genE4ELNS1_11target_archE910ELNS1_3gpuE8ELNS1_3repE0EEENS1_30default_config_static_selectorELNS0_4arch9wavefront6targetE0EEEvT1_.num_agpr, 0
	.set _ZN7rocprim17ROCPRIM_400000_NS6detail17trampoline_kernelINS0_14default_configENS1_27scan_by_key_config_selectorIiiEEZZNS1_16scan_by_key_implILNS1_25lookback_scan_determinismE0ELb0ES3_N6thrust23THRUST_200600_302600_NS6detail15normal_iteratorINS9_10device_ptrIiEEEESE_SE_iNS9_4plusIiEE19head_flag_predicateiEE10hipError_tPvRmT2_T3_T4_T5_mT6_T7_P12ihipStream_tbENKUlT_T0_E_clISt17integral_constantIbLb0EESX_IbLb1EEEEDaST_SU_EUlST_E_NS1_11comp_targetILNS1_3genE4ELNS1_11target_archE910ELNS1_3gpuE8ELNS1_3repE0EEENS1_30default_config_static_selectorELNS0_4arch9wavefront6targetE0EEEvT1_.numbered_sgpr, 0
	.set _ZN7rocprim17ROCPRIM_400000_NS6detail17trampoline_kernelINS0_14default_configENS1_27scan_by_key_config_selectorIiiEEZZNS1_16scan_by_key_implILNS1_25lookback_scan_determinismE0ELb0ES3_N6thrust23THRUST_200600_302600_NS6detail15normal_iteratorINS9_10device_ptrIiEEEESE_SE_iNS9_4plusIiEE19head_flag_predicateiEE10hipError_tPvRmT2_T3_T4_T5_mT6_T7_P12ihipStream_tbENKUlT_T0_E_clISt17integral_constantIbLb0EESX_IbLb1EEEEDaST_SU_EUlST_E_NS1_11comp_targetILNS1_3genE4ELNS1_11target_archE910ELNS1_3gpuE8ELNS1_3repE0EEENS1_30default_config_static_selectorELNS0_4arch9wavefront6targetE0EEEvT1_.num_named_barrier, 0
	.set _ZN7rocprim17ROCPRIM_400000_NS6detail17trampoline_kernelINS0_14default_configENS1_27scan_by_key_config_selectorIiiEEZZNS1_16scan_by_key_implILNS1_25lookback_scan_determinismE0ELb0ES3_N6thrust23THRUST_200600_302600_NS6detail15normal_iteratorINS9_10device_ptrIiEEEESE_SE_iNS9_4plusIiEE19head_flag_predicateiEE10hipError_tPvRmT2_T3_T4_T5_mT6_T7_P12ihipStream_tbENKUlT_T0_E_clISt17integral_constantIbLb0EESX_IbLb1EEEEDaST_SU_EUlST_E_NS1_11comp_targetILNS1_3genE4ELNS1_11target_archE910ELNS1_3gpuE8ELNS1_3repE0EEENS1_30default_config_static_selectorELNS0_4arch9wavefront6targetE0EEEvT1_.private_seg_size, 0
	.set _ZN7rocprim17ROCPRIM_400000_NS6detail17trampoline_kernelINS0_14default_configENS1_27scan_by_key_config_selectorIiiEEZZNS1_16scan_by_key_implILNS1_25lookback_scan_determinismE0ELb0ES3_N6thrust23THRUST_200600_302600_NS6detail15normal_iteratorINS9_10device_ptrIiEEEESE_SE_iNS9_4plusIiEE19head_flag_predicateiEE10hipError_tPvRmT2_T3_T4_T5_mT6_T7_P12ihipStream_tbENKUlT_T0_E_clISt17integral_constantIbLb0EESX_IbLb1EEEEDaST_SU_EUlST_E_NS1_11comp_targetILNS1_3genE4ELNS1_11target_archE910ELNS1_3gpuE8ELNS1_3repE0EEENS1_30default_config_static_selectorELNS0_4arch9wavefront6targetE0EEEvT1_.uses_vcc, 0
	.set _ZN7rocprim17ROCPRIM_400000_NS6detail17trampoline_kernelINS0_14default_configENS1_27scan_by_key_config_selectorIiiEEZZNS1_16scan_by_key_implILNS1_25lookback_scan_determinismE0ELb0ES3_N6thrust23THRUST_200600_302600_NS6detail15normal_iteratorINS9_10device_ptrIiEEEESE_SE_iNS9_4plusIiEE19head_flag_predicateiEE10hipError_tPvRmT2_T3_T4_T5_mT6_T7_P12ihipStream_tbENKUlT_T0_E_clISt17integral_constantIbLb0EESX_IbLb1EEEEDaST_SU_EUlST_E_NS1_11comp_targetILNS1_3genE4ELNS1_11target_archE910ELNS1_3gpuE8ELNS1_3repE0EEENS1_30default_config_static_selectorELNS0_4arch9wavefront6targetE0EEEvT1_.uses_flat_scratch, 0
	.set _ZN7rocprim17ROCPRIM_400000_NS6detail17trampoline_kernelINS0_14default_configENS1_27scan_by_key_config_selectorIiiEEZZNS1_16scan_by_key_implILNS1_25lookback_scan_determinismE0ELb0ES3_N6thrust23THRUST_200600_302600_NS6detail15normal_iteratorINS9_10device_ptrIiEEEESE_SE_iNS9_4plusIiEE19head_flag_predicateiEE10hipError_tPvRmT2_T3_T4_T5_mT6_T7_P12ihipStream_tbENKUlT_T0_E_clISt17integral_constantIbLb0EESX_IbLb1EEEEDaST_SU_EUlST_E_NS1_11comp_targetILNS1_3genE4ELNS1_11target_archE910ELNS1_3gpuE8ELNS1_3repE0EEENS1_30default_config_static_selectorELNS0_4arch9wavefront6targetE0EEEvT1_.has_dyn_sized_stack, 0
	.set _ZN7rocprim17ROCPRIM_400000_NS6detail17trampoline_kernelINS0_14default_configENS1_27scan_by_key_config_selectorIiiEEZZNS1_16scan_by_key_implILNS1_25lookback_scan_determinismE0ELb0ES3_N6thrust23THRUST_200600_302600_NS6detail15normal_iteratorINS9_10device_ptrIiEEEESE_SE_iNS9_4plusIiEE19head_flag_predicateiEE10hipError_tPvRmT2_T3_T4_T5_mT6_T7_P12ihipStream_tbENKUlT_T0_E_clISt17integral_constantIbLb0EESX_IbLb1EEEEDaST_SU_EUlST_E_NS1_11comp_targetILNS1_3genE4ELNS1_11target_archE910ELNS1_3gpuE8ELNS1_3repE0EEENS1_30default_config_static_selectorELNS0_4arch9wavefront6targetE0EEEvT1_.has_recursion, 0
	.set _ZN7rocprim17ROCPRIM_400000_NS6detail17trampoline_kernelINS0_14default_configENS1_27scan_by_key_config_selectorIiiEEZZNS1_16scan_by_key_implILNS1_25lookback_scan_determinismE0ELb0ES3_N6thrust23THRUST_200600_302600_NS6detail15normal_iteratorINS9_10device_ptrIiEEEESE_SE_iNS9_4plusIiEE19head_flag_predicateiEE10hipError_tPvRmT2_T3_T4_T5_mT6_T7_P12ihipStream_tbENKUlT_T0_E_clISt17integral_constantIbLb0EESX_IbLb1EEEEDaST_SU_EUlST_E_NS1_11comp_targetILNS1_3genE4ELNS1_11target_archE910ELNS1_3gpuE8ELNS1_3repE0EEENS1_30default_config_static_selectorELNS0_4arch9wavefront6targetE0EEEvT1_.has_indirect_call, 0
	.section	.AMDGPU.csdata,"",@progbits
; Kernel info:
; codeLenInByte = 0
; TotalNumSgprs: 0
; NumVgprs: 0
; ScratchSize: 0
; MemoryBound: 0
; FloatMode: 240
; IeeeMode: 1
; LDSByteSize: 0 bytes/workgroup (compile time only)
; SGPRBlocks: 0
; VGPRBlocks: 0
; NumSGPRsForWavesPerEU: 1
; NumVGPRsForWavesPerEU: 1
; NamedBarCnt: 0
; Occupancy: 16
; WaveLimiterHint : 0
; COMPUTE_PGM_RSRC2:SCRATCH_EN: 0
; COMPUTE_PGM_RSRC2:USER_SGPR: 2
; COMPUTE_PGM_RSRC2:TRAP_HANDLER: 0
; COMPUTE_PGM_RSRC2:TGID_X_EN: 1
; COMPUTE_PGM_RSRC2:TGID_Y_EN: 0
; COMPUTE_PGM_RSRC2:TGID_Z_EN: 0
; COMPUTE_PGM_RSRC2:TIDIG_COMP_CNT: 0
	.section	.text._ZN7rocprim17ROCPRIM_400000_NS6detail17trampoline_kernelINS0_14default_configENS1_27scan_by_key_config_selectorIiiEEZZNS1_16scan_by_key_implILNS1_25lookback_scan_determinismE0ELb0ES3_N6thrust23THRUST_200600_302600_NS6detail15normal_iteratorINS9_10device_ptrIiEEEESE_SE_iNS9_4plusIiEE19head_flag_predicateiEE10hipError_tPvRmT2_T3_T4_T5_mT6_T7_P12ihipStream_tbENKUlT_T0_E_clISt17integral_constantIbLb0EESX_IbLb1EEEEDaST_SU_EUlST_E_NS1_11comp_targetILNS1_3genE3ELNS1_11target_archE908ELNS1_3gpuE7ELNS1_3repE0EEENS1_30default_config_static_selectorELNS0_4arch9wavefront6targetE0EEEvT1_,"axG",@progbits,_ZN7rocprim17ROCPRIM_400000_NS6detail17trampoline_kernelINS0_14default_configENS1_27scan_by_key_config_selectorIiiEEZZNS1_16scan_by_key_implILNS1_25lookback_scan_determinismE0ELb0ES3_N6thrust23THRUST_200600_302600_NS6detail15normal_iteratorINS9_10device_ptrIiEEEESE_SE_iNS9_4plusIiEE19head_flag_predicateiEE10hipError_tPvRmT2_T3_T4_T5_mT6_T7_P12ihipStream_tbENKUlT_T0_E_clISt17integral_constantIbLb0EESX_IbLb1EEEEDaST_SU_EUlST_E_NS1_11comp_targetILNS1_3genE3ELNS1_11target_archE908ELNS1_3gpuE7ELNS1_3repE0EEENS1_30default_config_static_selectorELNS0_4arch9wavefront6targetE0EEEvT1_,comdat
	.protected	_ZN7rocprim17ROCPRIM_400000_NS6detail17trampoline_kernelINS0_14default_configENS1_27scan_by_key_config_selectorIiiEEZZNS1_16scan_by_key_implILNS1_25lookback_scan_determinismE0ELb0ES3_N6thrust23THRUST_200600_302600_NS6detail15normal_iteratorINS9_10device_ptrIiEEEESE_SE_iNS9_4plusIiEE19head_flag_predicateiEE10hipError_tPvRmT2_T3_T4_T5_mT6_T7_P12ihipStream_tbENKUlT_T0_E_clISt17integral_constantIbLb0EESX_IbLb1EEEEDaST_SU_EUlST_E_NS1_11comp_targetILNS1_3genE3ELNS1_11target_archE908ELNS1_3gpuE7ELNS1_3repE0EEENS1_30default_config_static_selectorELNS0_4arch9wavefront6targetE0EEEvT1_ ; -- Begin function _ZN7rocprim17ROCPRIM_400000_NS6detail17trampoline_kernelINS0_14default_configENS1_27scan_by_key_config_selectorIiiEEZZNS1_16scan_by_key_implILNS1_25lookback_scan_determinismE0ELb0ES3_N6thrust23THRUST_200600_302600_NS6detail15normal_iteratorINS9_10device_ptrIiEEEESE_SE_iNS9_4plusIiEE19head_flag_predicateiEE10hipError_tPvRmT2_T3_T4_T5_mT6_T7_P12ihipStream_tbENKUlT_T0_E_clISt17integral_constantIbLb0EESX_IbLb1EEEEDaST_SU_EUlST_E_NS1_11comp_targetILNS1_3genE3ELNS1_11target_archE908ELNS1_3gpuE7ELNS1_3repE0EEENS1_30default_config_static_selectorELNS0_4arch9wavefront6targetE0EEEvT1_
	.globl	_ZN7rocprim17ROCPRIM_400000_NS6detail17trampoline_kernelINS0_14default_configENS1_27scan_by_key_config_selectorIiiEEZZNS1_16scan_by_key_implILNS1_25lookback_scan_determinismE0ELb0ES3_N6thrust23THRUST_200600_302600_NS6detail15normal_iteratorINS9_10device_ptrIiEEEESE_SE_iNS9_4plusIiEE19head_flag_predicateiEE10hipError_tPvRmT2_T3_T4_T5_mT6_T7_P12ihipStream_tbENKUlT_T0_E_clISt17integral_constantIbLb0EESX_IbLb1EEEEDaST_SU_EUlST_E_NS1_11comp_targetILNS1_3genE3ELNS1_11target_archE908ELNS1_3gpuE7ELNS1_3repE0EEENS1_30default_config_static_selectorELNS0_4arch9wavefront6targetE0EEEvT1_
	.p2align	8
	.type	_ZN7rocprim17ROCPRIM_400000_NS6detail17trampoline_kernelINS0_14default_configENS1_27scan_by_key_config_selectorIiiEEZZNS1_16scan_by_key_implILNS1_25lookback_scan_determinismE0ELb0ES3_N6thrust23THRUST_200600_302600_NS6detail15normal_iteratorINS9_10device_ptrIiEEEESE_SE_iNS9_4plusIiEE19head_flag_predicateiEE10hipError_tPvRmT2_T3_T4_T5_mT6_T7_P12ihipStream_tbENKUlT_T0_E_clISt17integral_constantIbLb0EESX_IbLb1EEEEDaST_SU_EUlST_E_NS1_11comp_targetILNS1_3genE3ELNS1_11target_archE908ELNS1_3gpuE7ELNS1_3repE0EEENS1_30default_config_static_selectorELNS0_4arch9wavefront6targetE0EEEvT1_,@function
_ZN7rocprim17ROCPRIM_400000_NS6detail17trampoline_kernelINS0_14default_configENS1_27scan_by_key_config_selectorIiiEEZZNS1_16scan_by_key_implILNS1_25lookback_scan_determinismE0ELb0ES3_N6thrust23THRUST_200600_302600_NS6detail15normal_iteratorINS9_10device_ptrIiEEEESE_SE_iNS9_4plusIiEE19head_flag_predicateiEE10hipError_tPvRmT2_T3_T4_T5_mT6_T7_P12ihipStream_tbENKUlT_T0_E_clISt17integral_constantIbLb0EESX_IbLb1EEEEDaST_SU_EUlST_E_NS1_11comp_targetILNS1_3genE3ELNS1_11target_archE908ELNS1_3gpuE7ELNS1_3repE0EEENS1_30default_config_static_selectorELNS0_4arch9wavefront6targetE0EEEvT1_: ; @_ZN7rocprim17ROCPRIM_400000_NS6detail17trampoline_kernelINS0_14default_configENS1_27scan_by_key_config_selectorIiiEEZZNS1_16scan_by_key_implILNS1_25lookback_scan_determinismE0ELb0ES3_N6thrust23THRUST_200600_302600_NS6detail15normal_iteratorINS9_10device_ptrIiEEEESE_SE_iNS9_4plusIiEE19head_flag_predicateiEE10hipError_tPvRmT2_T3_T4_T5_mT6_T7_P12ihipStream_tbENKUlT_T0_E_clISt17integral_constantIbLb0EESX_IbLb1EEEEDaST_SU_EUlST_E_NS1_11comp_targetILNS1_3genE3ELNS1_11target_archE908ELNS1_3gpuE7ELNS1_3repE0EEENS1_30default_config_static_selectorELNS0_4arch9wavefront6targetE0EEEvT1_
; %bb.0:
	.section	.rodata,"a",@progbits
	.p2align	6, 0x0
	.amdhsa_kernel _ZN7rocprim17ROCPRIM_400000_NS6detail17trampoline_kernelINS0_14default_configENS1_27scan_by_key_config_selectorIiiEEZZNS1_16scan_by_key_implILNS1_25lookback_scan_determinismE0ELb0ES3_N6thrust23THRUST_200600_302600_NS6detail15normal_iteratorINS9_10device_ptrIiEEEESE_SE_iNS9_4plusIiEE19head_flag_predicateiEE10hipError_tPvRmT2_T3_T4_T5_mT6_T7_P12ihipStream_tbENKUlT_T0_E_clISt17integral_constantIbLb0EESX_IbLb1EEEEDaST_SU_EUlST_E_NS1_11comp_targetILNS1_3genE3ELNS1_11target_archE908ELNS1_3gpuE7ELNS1_3repE0EEENS1_30default_config_static_selectorELNS0_4arch9wavefront6targetE0EEEvT1_
		.amdhsa_group_segment_fixed_size 0
		.amdhsa_private_segment_fixed_size 0
		.amdhsa_kernarg_size 112
		.amdhsa_user_sgpr_count 2
		.amdhsa_user_sgpr_dispatch_ptr 0
		.amdhsa_user_sgpr_queue_ptr 0
		.amdhsa_user_sgpr_kernarg_segment_ptr 1
		.amdhsa_user_sgpr_dispatch_id 0
		.amdhsa_user_sgpr_kernarg_preload_length 0
		.amdhsa_user_sgpr_kernarg_preload_offset 0
		.amdhsa_user_sgpr_private_segment_size 0
		.amdhsa_wavefront_size32 1
		.amdhsa_uses_dynamic_stack 0
		.amdhsa_enable_private_segment 0
		.amdhsa_system_sgpr_workgroup_id_x 1
		.amdhsa_system_sgpr_workgroup_id_y 0
		.amdhsa_system_sgpr_workgroup_id_z 0
		.amdhsa_system_sgpr_workgroup_info 0
		.amdhsa_system_vgpr_workitem_id 0
		.amdhsa_next_free_vgpr 1
		.amdhsa_next_free_sgpr 1
		.amdhsa_named_barrier_count 0
		.amdhsa_reserve_vcc 0
		.amdhsa_float_round_mode_32 0
		.amdhsa_float_round_mode_16_64 0
		.amdhsa_float_denorm_mode_32 3
		.amdhsa_float_denorm_mode_16_64 3
		.amdhsa_fp16_overflow 0
		.amdhsa_memory_ordered 1
		.amdhsa_forward_progress 1
		.amdhsa_inst_pref_size 0
		.amdhsa_round_robin_scheduling 0
		.amdhsa_exception_fp_ieee_invalid_op 0
		.amdhsa_exception_fp_denorm_src 0
		.amdhsa_exception_fp_ieee_div_zero 0
		.amdhsa_exception_fp_ieee_overflow 0
		.amdhsa_exception_fp_ieee_underflow 0
		.amdhsa_exception_fp_ieee_inexact 0
		.amdhsa_exception_int_div_zero 0
	.end_amdhsa_kernel
	.section	.text._ZN7rocprim17ROCPRIM_400000_NS6detail17trampoline_kernelINS0_14default_configENS1_27scan_by_key_config_selectorIiiEEZZNS1_16scan_by_key_implILNS1_25lookback_scan_determinismE0ELb0ES3_N6thrust23THRUST_200600_302600_NS6detail15normal_iteratorINS9_10device_ptrIiEEEESE_SE_iNS9_4plusIiEE19head_flag_predicateiEE10hipError_tPvRmT2_T3_T4_T5_mT6_T7_P12ihipStream_tbENKUlT_T0_E_clISt17integral_constantIbLb0EESX_IbLb1EEEEDaST_SU_EUlST_E_NS1_11comp_targetILNS1_3genE3ELNS1_11target_archE908ELNS1_3gpuE7ELNS1_3repE0EEENS1_30default_config_static_selectorELNS0_4arch9wavefront6targetE0EEEvT1_,"axG",@progbits,_ZN7rocprim17ROCPRIM_400000_NS6detail17trampoline_kernelINS0_14default_configENS1_27scan_by_key_config_selectorIiiEEZZNS1_16scan_by_key_implILNS1_25lookback_scan_determinismE0ELb0ES3_N6thrust23THRUST_200600_302600_NS6detail15normal_iteratorINS9_10device_ptrIiEEEESE_SE_iNS9_4plusIiEE19head_flag_predicateiEE10hipError_tPvRmT2_T3_T4_T5_mT6_T7_P12ihipStream_tbENKUlT_T0_E_clISt17integral_constantIbLb0EESX_IbLb1EEEEDaST_SU_EUlST_E_NS1_11comp_targetILNS1_3genE3ELNS1_11target_archE908ELNS1_3gpuE7ELNS1_3repE0EEENS1_30default_config_static_selectorELNS0_4arch9wavefront6targetE0EEEvT1_,comdat
.Lfunc_end780:
	.size	_ZN7rocprim17ROCPRIM_400000_NS6detail17trampoline_kernelINS0_14default_configENS1_27scan_by_key_config_selectorIiiEEZZNS1_16scan_by_key_implILNS1_25lookback_scan_determinismE0ELb0ES3_N6thrust23THRUST_200600_302600_NS6detail15normal_iteratorINS9_10device_ptrIiEEEESE_SE_iNS9_4plusIiEE19head_flag_predicateiEE10hipError_tPvRmT2_T3_T4_T5_mT6_T7_P12ihipStream_tbENKUlT_T0_E_clISt17integral_constantIbLb0EESX_IbLb1EEEEDaST_SU_EUlST_E_NS1_11comp_targetILNS1_3genE3ELNS1_11target_archE908ELNS1_3gpuE7ELNS1_3repE0EEENS1_30default_config_static_selectorELNS0_4arch9wavefront6targetE0EEEvT1_, .Lfunc_end780-_ZN7rocprim17ROCPRIM_400000_NS6detail17trampoline_kernelINS0_14default_configENS1_27scan_by_key_config_selectorIiiEEZZNS1_16scan_by_key_implILNS1_25lookback_scan_determinismE0ELb0ES3_N6thrust23THRUST_200600_302600_NS6detail15normal_iteratorINS9_10device_ptrIiEEEESE_SE_iNS9_4plusIiEE19head_flag_predicateiEE10hipError_tPvRmT2_T3_T4_T5_mT6_T7_P12ihipStream_tbENKUlT_T0_E_clISt17integral_constantIbLb0EESX_IbLb1EEEEDaST_SU_EUlST_E_NS1_11comp_targetILNS1_3genE3ELNS1_11target_archE908ELNS1_3gpuE7ELNS1_3repE0EEENS1_30default_config_static_selectorELNS0_4arch9wavefront6targetE0EEEvT1_
                                        ; -- End function
	.set _ZN7rocprim17ROCPRIM_400000_NS6detail17trampoline_kernelINS0_14default_configENS1_27scan_by_key_config_selectorIiiEEZZNS1_16scan_by_key_implILNS1_25lookback_scan_determinismE0ELb0ES3_N6thrust23THRUST_200600_302600_NS6detail15normal_iteratorINS9_10device_ptrIiEEEESE_SE_iNS9_4plusIiEE19head_flag_predicateiEE10hipError_tPvRmT2_T3_T4_T5_mT6_T7_P12ihipStream_tbENKUlT_T0_E_clISt17integral_constantIbLb0EESX_IbLb1EEEEDaST_SU_EUlST_E_NS1_11comp_targetILNS1_3genE3ELNS1_11target_archE908ELNS1_3gpuE7ELNS1_3repE0EEENS1_30default_config_static_selectorELNS0_4arch9wavefront6targetE0EEEvT1_.num_vgpr, 0
	.set _ZN7rocprim17ROCPRIM_400000_NS6detail17trampoline_kernelINS0_14default_configENS1_27scan_by_key_config_selectorIiiEEZZNS1_16scan_by_key_implILNS1_25lookback_scan_determinismE0ELb0ES3_N6thrust23THRUST_200600_302600_NS6detail15normal_iteratorINS9_10device_ptrIiEEEESE_SE_iNS9_4plusIiEE19head_flag_predicateiEE10hipError_tPvRmT2_T3_T4_T5_mT6_T7_P12ihipStream_tbENKUlT_T0_E_clISt17integral_constantIbLb0EESX_IbLb1EEEEDaST_SU_EUlST_E_NS1_11comp_targetILNS1_3genE3ELNS1_11target_archE908ELNS1_3gpuE7ELNS1_3repE0EEENS1_30default_config_static_selectorELNS0_4arch9wavefront6targetE0EEEvT1_.num_agpr, 0
	.set _ZN7rocprim17ROCPRIM_400000_NS6detail17trampoline_kernelINS0_14default_configENS1_27scan_by_key_config_selectorIiiEEZZNS1_16scan_by_key_implILNS1_25lookback_scan_determinismE0ELb0ES3_N6thrust23THRUST_200600_302600_NS6detail15normal_iteratorINS9_10device_ptrIiEEEESE_SE_iNS9_4plusIiEE19head_flag_predicateiEE10hipError_tPvRmT2_T3_T4_T5_mT6_T7_P12ihipStream_tbENKUlT_T0_E_clISt17integral_constantIbLb0EESX_IbLb1EEEEDaST_SU_EUlST_E_NS1_11comp_targetILNS1_3genE3ELNS1_11target_archE908ELNS1_3gpuE7ELNS1_3repE0EEENS1_30default_config_static_selectorELNS0_4arch9wavefront6targetE0EEEvT1_.numbered_sgpr, 0
	.set _ZN7rocprim17ROCPRIM_400000_NS6detail17trampoline_kernelINS0_14default_configENS1_27scan_by_key_config_selectorIiiEEZZNS1_16scan_by_key_implILNS1_25lookback_scan_determinismE0ELb0ES3_N6thrust23THRUST_200600_302600_NS6detail15normal_iteratorINS9_10device_ptrIiEEEESE_SE_iNS9_4plusIiEE19head_flag_predicateiEE10hipError_tPvRmT2_T3_T4_T5_mT6_T7_P12ihipStream_tbENKUlT_T0_E_clISt17integral_constantIbLb0EESX_IbLb1EEEEDaST_SU_EUlST_E_NS1_11comp_targetILNS1_3genE3ELNS1_11target_archE908ELNS1_3gpuE7ELNS1_3repE0EEENS1_30default_config_static_selectorELNS0_4arch9wavefront6targetE0EEEvT1_.num_named_barrier, 0
	.set _ZN7rocprim17ROCPRIM_400000_NS6detail17trampoline_kernelINS0_14default_configENS1_27scan_by_key_config_selectorIiiEEZZNS1_16scan_by_key_implILNS1_25lookback_scan_determinismE0ELb0ES3_N6thrust23THRUST_200600_302600_NS6detail15normal_iteratorINS9_10device_ptrIiEEEESE_SE_iNS9_4plusIiEE19head_flag_predicateiEE10hipError_tPvRmT2_T3_T4_T5_mT6_T7_P12ihipStream_tbENKUlT_T0_E_clISt17integral_constantIbLb0EESX_IbLb1EEEEDaST_SU_EUlST_E_NS1_11comp_targetILNS1_3genE3ELNS1_11target_archE908ELNS1_3gpuE7ELNS1_3repE0EEENS1_30default_config_static_selectorELNS0_4arch9wavefront6targetE0EEEvT1_.private_seg_size, 0
	.set _ZN7rocprim17ROCPRIM_400000_NS6detail17trampoline_kernelINS0_14default_configENS1_27scan_by_key_config_selectorIiiEEZZNS1_16scan_by_key_implILNS1_25lookback_scan_determinismE0ELb0ES3_N6thrust23THRUST_200600_302600_NS6detail15normal_iteratorINS9_10device_ptrIiEEEESE_SE_iNS9_4plusIiEE19head_flag_predicateiEE10hipError_tPvRmT2_T3_T4_T5_mT6_T7_P12ihipStream_tbENKUlT_T0_E_clISt17integral_constantIbLb0EESX_IbLb1EEEEDaST_SU_EUlST_E_NS1_11comp_targetILNS1_3genE3ELNS1_11target_archE908ELNS1_3gpuE7ELNS1_3repE0EEENS1_30default_config_static_selectorELNS0_4arch9wavefront6targetE0EEEvT1_.uses_vcc, 0
	.set _ZN7rocprim17ROCPRIM_400000_NS6detail17trampoline_kernelINS0_14default_configENS1_27scan_by_key_config_selectorIiiEEZZNS1_16scan_by_key_implILNS1_25lookback_scan_determinismE0ELb0ES3_N6thrust23THRUST_200600_302600_NS6detail15normal_iteratorINS9_10device_ptrIiEEEESE_SE_iNS9_4plusIiEE19head_flag_predicateiEE10hipError_tPvRmT2_T3_T4_T5_mT6_T7_P12ihipStream_tbENKUlT_T0_E_clISt17integral_constantIbLb0EESX_IbLb1EEEEDaST_SU_EUlST_E_NS1_11comp_targetILNS1_3genE3ELNS1_11target_archE908ELNS1_3gpuE7ELNS1_3repE0EEENS1_30default_config_static_selectorELNS0_4arch9wavefront6targetE0EEEvT1_.uses_flat_scratch, 0
	.set _ZN7rocprim17ROCPRIM_400000_NS6detail17trampoline_kernelINS0_14default_configENS1_27scan_by_key_config_selectorIiiEEZZNS1_16scan_by_key_implILNS1_25lookback_scan_determinismE0ELb0ES3_N6thrust23THRUST_200600_302600_NS6detail15normal_iteratorINS9_10device_ptrIiEEEESE_SE_iNS9_4plusIiEE19head_flag_predicateiEE10hipError_tPvRmT2_T3_T4_T5_mT6_T7_P12ihipStream_tbENKUlT_T0_E_clISt17integral_constantIbLb0EESX_IbLb1EEEEDaST_SU_EUlST_E_NS1_11comp_targetILNS1_3genE3ELNS1_11target_archE908ELNS1_3gpuE7ELNS1_3repE0EEENS1_30default_config_static_selectorELNS0_4arch9wavefront6targetE0EEEvT1_.has_dyn_sized_stack, 0
	.set _ZN7rocprim17ROCPRIM_400000_NS6detail17trampoline_kernelINS0_14default_configENS1_27scan_by_key_config_selectorIiiEEZZNS1_16scan_by_key_implILNS1_25lookback_scan_determinismE0ELb0ES3_N6thrust23THRUST_200600_302600_NS6detail15normal_iteratorINS9_10device_ptrIiEEEESE_SE_iNS9_4plusIiEE19head_flag_predicateiEE10hipError_tPvRmT2_T3_T4_T5_mT6_T7_P12ihipStream_tbENKUlT_T0_E_clISt17integral_constantIbLb0EESX_IbLb1EEEEDaST_SU_EUlST_E_NS1_11comp_targetILNS1_3genE3ELNS1_11target_archE908ELNS1_3gpuE7ELNS1_3repE0EEENS1_30default_config_static_selectorELNS0_4arch9wavefront6targetE0EEEvT1_.has_recursion, 0
	.set _ZN7rocprim17ROCPRIM_400000_NS6detail17trampoline_kernelINS0_14default_configENS1_27scan_by_key_config_selectorIiiEEZZNS1_16scan_by_key_implILNS1_25lookback_scan_determinismE0ELb0ES3_N6thrust23THRUST_200600_302600_NS6detail15normal_iteratorINS9_10device_ptrIiEEEESE_SE_iNS9_4plusIiEE19head_flag_predicateiEE10hipError_tPvRmT2_T3_T4_T5_mT6_T7_P12ihipStream_tbENKUlT_T0_E_clISt17integral_constantIbLb0EESX_IbLb1EEEEDaST_SU_EUlST_E_NS1_11comp_targetILNS1_3genE3ELNS1_11target_archE908ELNS1_3gpuE7ELNS1_3repE0EEENS1_30default_config_static_selectorELNS0_4arch9wavefront6targetE0EEEvT1_.has_indirect_call, 0
	.section	.AMDGPU.csdata,"",@progbits
; Kernel info:
; codeLenInByte = 0
; TotalNumSgprs: 0
; NumVgprs: 0
; ScratchSize: 0
; MemoryBound: 0
; FloatMode: 240
; IeeeMode: 1
; LDSByteSize: 0 bytes/workgroup (compile time only)
; SGPRBlocks: 0
; VGPRBlocks: 0
; NumSGPRsForWavesPerEU: 1
; NumVGPRsForWavesPerEU: 1
; NamedBarCnt: 0
; Occupancy: 16
; WaveLimiterHint : 0
; COMPUTE_PGM_RSRC2:SCRATCH_EN: 0
; COMPUTE_PGM_RSRC2:USER_SGPR: 2
; COMPUTE_PGM_RSRC2:TRAP_HANDLER: 0
; COMPUTE_PGM_RSRC2:TGID_X_EN: 1
; COMPUTE_PGM_RSRC2:TGID_Y_EN: 0
; COMPUTE_PGM_RSRC2:TGID_Z_EN: 0
; COMPUTE_PGM_RSRC2:TIDIG_COMP_CNT: 0
	.section	.text._ZN7rocprim17ROCPRIM_400000_NS6detail17trampoline_kernelINS0_14default_configENS1_27scan_by_key_config_selectorIiiEEZZNS1_16scan_by_key_implILNS1_25lookback_scan_determinismE0ELb0ES3_N6thrust23THRUST_200600_302600_NS6detail15normal_iteratorINS9_10device_ptrIiEEEESE_SE_iNS9_4plusIiEE19head_flag_predicateiEE10hipError_tPvRmT2_T3_T4_T5_mT6_T7_P12ihipStream_tbENKUlT_T0_E_clISt17integral_constantIbLb0EESX_IbLb1EEEEDaST_SU_EUlST_E_NS1_11comp_targetILNS1_3genE2ELNS1_11target_archE906ELNS1_3gpuE6ELNS1_3repE0EEENS1_30default_config_static_selectorELNS0_4arch9wavefront6targetE0EEEvT1_,"axG",@progbits,_ZN7rocprim17ROCPRIM_400000_NS6detail17trampoline_kernelINS0_14default_configENS1_27scan_by_key_config_selectorIiiEEZZNS1_16scan_by_key_implILNS1_25lookback_scan_determinismE0ELb0ES3_N6thrust23THRUST_200600_302600_NS6detail15normal_iteratorINS9_10device_ptrIiEEEESE_SE_iNS9_4plusIiEE19head_flag_predicateiEE10hipError_tPvRmT2_T3_T4_T5_mT6_T7_P12ihipStream_tbENKUlT_T0_E_clISt17integral_constantIbLb0EESX_IbLb1EEEEDaST_SU_EUlST_E_NS1_11comp_targetILNS1_3genE2ELNS1_11target_archE906ELNS1_3gpuE6ELNS1_3repE0EEENS1_30default_config_static_selectorELNS0_4arch9wavefront6targetE0EEEvT1_,comdat
	.protected	_ZN7rocprim17ROCPRIM_400000_NS6detail17trampoline_kernelINS0_14default_configENS1_27scan_by_key_config_selectorIiiEEZZNS1_16scan_by_key_implILNS1_25lookback_scan_determinismE0ELb0ES3_N6thrust23THRUST_200600_302600_NS6detail15normal_iteratorINS9_10device_ptrIiEEEESE_SE_iNS9_4plusIiEE19head_flag_predicateiEE10hipError_tPvRmT2_T3_T4_T5_mT6_T7_P12ihipStream_tbENKUlT_T0_E_clISt17integral_constantIbLb0EESX_IbLb1EEEEDaST_SU_EUlST_E_NS1_11comp_targetILNS1_3genE2ELNS1_11target_archE906ELNS1_3gpuE6ELNS1_3repE0EEENS1_30default_config_static_selectorELNS0_4arch9wavefront6targetE0EEEvT1_ ; -- Begin function _ZN7rocprim17ROCPRIM_400000_NS6detail17trampoline_kernelINS0_14default_configENS1_27scan_by_key_config_selectorIiiEEZZNS1_16scan_by_key_implILNS1_25lookback_scan_determinismE0ELb0ES3_N6thrust23THRUST_200600_302600_NS6detail15normal_iteratorINS9_10device_ptrIiEEEESE_SE_iNS9_4plusIiEE19head_flag_predicateiEE10hipError_tPvRmT2_T3_T4_T5_mT6_T7_P12ihipStream_tbENKUlT_T0_E_clISt17integral_constantIbLb0EESX_IbLb1EEEEDaST_SU_EUlST_E_NS1_11comp_targetILNS1_3genE2ELNS1_11target_archE906ELNS1_3gpuE6ELNS1_3repE0EEENS1_30default_config_static_selectorELNS0_4arch9wavefront6targetE0EEEvT1_
	.globl	_ZN7rocprim17ROCPRIM_400000_NS6detail17trampoline_kernelINS0_14default_configENS1_27scan_by_key_config_selectorIiiEEZZNS1_16scan_by_key_implILNS1_25lookback_scan_determinismE0ELb0ES3_N6thrust23THRUST_200600_302600_NS6detail15normal_iteratorINS9_10device_ptrIiEEEESE_SE_iNS9_4plusIiEE19head_flag_predicateiEE10hipError_tPvRmT2_T3_T4_T5_mT6_T7_P12ihipStream_tbENKUlT_T0_E_clISt17integral_constantIbLb0EESX_IbLb1EEEEDaST_SU_EUlST_E_NS1_11comp_targetILNS1_3genE2ELNS1_11target_archE906ELNS1_3gpuE6ELNS1_3repE0EEENS1_30default_config_static_selectorELNS0_4arch9wavefront6targetE0EEEvT1_
	.p2align	8
	.type	_ZN7rocprim17ROCPRIM_400000_NS6detail17trampoline_kernelINS0_14default_configENS1_27scan_by_key_config_selectorIiiEEZZNS1_16scan_by_key_implILNS1_25lookback_scan_determinismE0ELb0ES3_N6thrust23THRUST_200600_302600_NS6detail15normal_iteratorINS9_10device_ptrIiEEEESE_SE_iNS9_4plusIiEE19head_flag_predicateiEE10hipError_tPvRmT2_T3_T4_T5_mT6_T7_P12ihipStream_tbENKUlT_T0_E_clISt17integral_constantIbLb0EESX_IbLb1EEEEDaST_SU_EUlST_E_NS1_11comp_targetILNS1_3genE2ELNS1_11target_archE906ELNS1_3gpuE6ELNS1_3repE0EEENS1_30default_config_static_selectorELNS0_4arch9wavefront6targetE0EEEvT1_,@function
_ZN7rocprim17ROCPRIM_400000_NS6detail17trampoline_kernelINS0_14default_configENS1_27scan_by_key_config_selectorIiiEEZZNS1_16scan_by_key_implILNS1_25lookback_scan_determinismE0ELb0ES3_N6thrust23THRUST_200600_302600_NS6detail15normal_iteratorINS9_10device_ptrIiEEEESE_SE_iNS9_4plusIiEE19head_flag_predicateiEE10hipError_tPvRmT2_T3_T4_T5_mT6_T7_P12ihipStream_tbENKUlT_T0_E_clISt17integral_constantIbLb0EESX_IbLb1EEEEDaST_SU_EUlST_E_NS1_11comp_targetILNS1_3genE2ELNS1_11target_archE906ELNS1_3gpuE6ELNS1_3repE0EEENS1_30default_config_static_selectorELNS0_4arch9wavefront6targetE0EEEvT1_: ; @_ZN7rocprim17ROCPRIM_400000_NS6detail17trampoline_kernelINS0_14default_configENS1_27scan_by_key_config_selectorIiiEEZZNS1_16scan_by_key_implILNS1_25lookback_scan_determinismE0ELb0ES3_N6thrust23THRUST_200600_302600_NS6detail15normal_iteratorINS9_10device_ptrIiEEEESE_SE_iNS9_4plusIiEE19head_flag_predicateiEE10hipError_tPvRmT2_T3_T4_T5_mT6_T7_P12ihipStream_tbENKUlT_T0_E_clISt17integral_constantIbLb0EESX_IbLb1EEEEDaST_SU_EUlST_E_NS1_11comp_targetILNS1_3genE2ELNS1_11target_archE906ELNS1_3gpuE6ELNS1_3repE0EEENS1_30default_config_static_selectorELNS0_4arch9wavefront6targetE0EEEvT1_
; %bb.0:
	.section	.rodata,"a",@progbits
	.p2align	6, 0x0
	.amdhsa_kernel _ZN7rocprim17ROCPRIM_400000_NS6detail17trampoline_kernelINS0_14default_configENS1_27scan_by_key_config_selectorIiiEEZZNS1_16scan_by_key_implILNS1_25lookback_scan_determinismE0ELb0ES3_N6thrust23THRUST_200600_302600_NS6detail15normal_iteratorINS9_10device_ptrIiEEEESE_SE_iNS9_4plusIiEE19head_flag_predicateiEE10hipError_tPvRmT2_T3_T4_T5_mT6_T7_P12ihipStream_tbENKUlT_T0_E_clISt17integral_constantIbLb0EESX_IbLb1EEEEDaST_SU_EUlST_E_NS1_11comp_targetILNS1_3genE2ELNS1_11target_archE906ELNS1_3gpuE6ELNS1_3repE0EEENS1_30default_config_static_selectorELNS0_4arch9wavefront6targetE0EEEvT1_
		.amdhsa_group_segment_fixed_size 0
		.amdhsa_private_segment_fixed_size 0
		.amdhsa_kernarg_size 112
		.amdhsa_user_sgpr_count 2
		.amdhsa_user_sgpr_dispatch_ptr 0
		.amdhsa_user_sgpr_queue_ptr 0
		.amdhsa_user_sgpr_kernarg_segment_ptr 1
		.amdhsa_user_sgpr_dispatch_id 0
		.amdhsa_user_sgpr_kernarg_preload_length 0
		.amdhsa_user_sgpr_kernarg_preload_offset 0
		.amdhsa_user_sgpr_private_segment_size 0
		.amdhsa_wavefront_size32 1
		.amdhsa_uses_dynamic_stack 0
		.amdhsa_enable_private_segment 0
		.amdhsa_system_sgpr_workgroup_id_x 1
		.amdhsa_system_sgpr_workgroup_id_y 0
		.amdhsa_system_sgpr_workgroup_id_z 0
		.amdhsa_system_sgpr_workgroup_info 0
		.amdhsa_system_vgpr_workitem_id 0
		.amdhsa_next_free_vgpr 1
		.amdhsa_next_free_sgpr 1
		.amdhsa_named_barrier_count 0
		.amdhsa_reserve_vcc 0
		.amdhsa_float_round_mode_32 0
		.amdhsa_float_round_mode_16_64 0
		.amdhsa_float_denorm_mode_32 3
		.amdhsa_float_denorm_mode_16_64 3
		.amdhsa_fp16_overflow 0
		.amdhsa_memory_ordered 1
		.amdhsa_forward_progress 1
		.amdhsa_inst_pref_size 0
		.amdhsa_round_robin_scheduling 0
		.amdhsa_exception_fp_ieee_invalid_op 0
		.amdhsa_exception_fp_denorm_src 0
		.amdhsa_exception_fp_ieee_div_zero 0
		.amdhsa_exception_fp_ieee_overflow 0
		.amdhsa_exception_fp_ieee_underflow 0
		.amdhsa_exception_fp_ieee_inexact 0
		.amdhsa_exception_int_div_zero 0
	.end_amdhsa_kernel
	.section	.text._ZN7rocprim17ROCPRIM_400000_NS6detail17trampoline_kernelINS0_14default_configENS1_27scan_by_key_config_selectorIiiEEZZNS1_16scan_by_key_implILNS1_25lookback_scan_determinismE0ELb0ES3_N6thrust23THRUST_200600_302600_NS6detail15normal_iteratorINS9_10device_ptrIiEEEESE_SE_iNS9_4plusIiEE19head_flag_predicateiEE10hipError_tPvRmT2_T3_T4_T5_mT6_T7_P12ihipStream_tbENKUlT_T0_E_clISt17integral_constantIbLb0EESX_IbLb1EEEEDaST_SU_EUlST_E_NS1_11comp_targetILNS1_3genE2ELNS1_11target_archE906ELNS1_3gpuE6ELNS1_3repE0EEENS1_30default_config_static_selectorELNS0_4arch9wavefront6targetE0EEEvT1_,"axG",@progbits,_ZN7rocprim17ROCPRIM_400000_NS6detail17trampoline_kernelINS0_14default_configENS1_27scan_by_key_config_selectorIiiEEZZNS1_16scan_by_key_implILNS1_25lookback_scan_determinismE0ELb0ES3_N6thrust23THRUST_200600_302600_NS6detail15normal_iteratorINS9_10device_ptrIiEEEESE_SE_iNS9_4plusIiEE19head_flag_predicateiEE10hipError_tPvRmT2_T3_T4_T5_mT6_T7_P12ihipStream_tbENKUlT_T0_E_clISt17integral_constantIbLb0EESX_IbLb1EEEEDaST_SU_EUlST_E_NS1_11comp_targetILNS1_3genE2ELNS1_11target_archE906ELNS1_3gpuE6ELNS1_3repE0EEENS1_30default_config_static_selectorELNS0_4arch9wavefront6targetE0EEEvT1_,comdat
.Lfunc_end781:
	.size	_ZN7rocprim17ROCPRIM_400000_NS6detail17trampoline_kernelINS0_14default_configENS1_27scan_by_key_config_selectorIiiEEZZNS1_16scan_by_key_implILNS1_25lookback_scan_determinismE0ELb0ES3_N6thrust23THRUST_200600_302600_NS6detail15normal_iteratorINS9_10device_ptrIiEEEESE_SE_iNS9_4plusIiEE19head_flag_predicateiEE10hipError_tPvRmT2_T3_T4_T5_mT6_T7_P12ihipStream_tbENKUlT_T0_E_clISt17integral_constantIbLb0EESX_IbLb1EEEEDaST_SU_EUlST_E_NS1_11comp_targetILNS1_3genE2ELNS1_11target_archE906ELNS1_3gpuE6ELNS1_3repE0EEENS1_30default_config_static_selectorELNS0_4arch9wavefront6targetE0EEEvT1_, .Lfunc_end781-_ZN7rocprim17ROCPRIM_400000_NS6detail17trampoline_kernelINS0_14default_configENS1_27scan_by_key_config_selectorIiiEEZZNS1_16scan_by_key_implILNS1_25lookback_scan_determinismE0ELb0ES3_N6thrust23THRUST_200600_302600_NS6detail15normal_iteratorINS9_10device_ptrIiEEEESE_SE_iNS9_4plusIiEE19head_flag_predicateiEE10hipError_tPvRmT2_T3_T4_T5_mT6_T7_P12ihipStream_tbENKUlT_T0_E_clISt17integral_constantIbLb0EESX_IbLb1EEEEDaST_SU_EUlST_E_NS1_11comp_targetILNS1_3genE2ELNS1_11target_archE906ELNS1_3gpuE6ELNS1_3repE0EEENS1_30default_config_static_selectorELNS0_4arch9wavefront6targetE0EEEvT1_
                                        ; -- End function
	.set _ZN7rocprim17ROCPRIM_400000_NS6detail17trampoline_kernelINS0_14default_configENS1_27scan_by_key_config_selectorIiiEEZZNS1_16scan_by_key_implILNS1_25lookback_scan_determinismE0ELb0ES3_N6thrust23THRUST_200600_302600_NS6detail15normal_iteratorINS9_10device_ptrIiEEEESE_SE_iNS9_4plusIiEE19head_flag_predicateiEE10hipError_tPvRmT2_T3_T4_T5_mT6_T7_P12ihipStream_tbENKUlT_T0_E_clISt17integral_constantIbLb0EESX_IbLb1EEEEDaST_SU_EUlST_E_NS1_11comp_targetILNS1_3genE2ELNS1_11target_archE906ELNS1_3gpuE6ELNS1_3repE0EEENS1_30default_config_static_selectorELNS0_4arch9wavefront6targetE0EEEvT1_.num_vgpr, 0
	.set _ZN7rocprim17ROCPRIM_400000_NS6detail17trampoline_kernelINS0_14default_configENS1_27scan_by_key_config_selectorIiiEEZZNS1_16scan_by_key_implILNS1_25lookback_scan_determinismE0ELb0ES3_N6thrust23THRUST_200600_302600_NS6detail15normal_iteratorINS9_10device_ptrIiEEEESE_SE_iNS9_4plusIiEE19head_flag_predicateiEE10hipError_tPvRmT2_T3_T4_T5_mT6_T7_P12ihipStream_tbENKUlT_T0_E_clISt17integral_constantIbLb0EESX_IbLb1EEEEDaST_SU_EUlST_E_NS1_11comp_targetILNS1_3genE2ELNS1_11target_archE906ELNS1_3gpuE6ELNS1_3repE0EEENS1_30default_config_static_selectorELNS0_4arch9wavefront6targetE0EEEvT1_.num_agpr, 0
	.set _ZN7rocprim17ROCPRIM_400000_NS6detail17trampoline_kernelINS0_14default_configENS1_27scan_by_key_config_selectorIiiEEZZNS1_16scan_by_key_implILNS1_25lookback_scan_determinismE0ELb0ES3_N6thrust23THRUST_200600_302600_NS6detail15normal_iteratorINS9_10device_ptrIiEEEESE_SE_iNS9_4plusIiEE19head_flag_predicateiEE10hipError_tPvRmT2_T3_T4_T5_mT6_T7_P12ihipStream_tbENKUlT_T0_E_clISt17integral_constantIbLb0EESX_IbLb1EEEEDaST_SU_EUlST_E_NS1_11comp_targetILNS1_3genE2ELNS1_11target_archE906ELNS1_3gpuE6ELNS1_3repE0EEENS1_30default_config_static_selectorELNS0_4arch9wavefront6targetE0EEEvT1_.numbered_sgpr, 0
	.set _ZN7rocprim17ROCPRIM_400000_NS6detail17trampoline_kernelINS0_14default_configENS1_27scan_by_key_config_selectorIiiEEZZNS1_16scan_by_key_implILNS1_25lookback_scan_determinismE0ELb0ES3_N6thrust23THRUST_200600_302600_NS6detail15normal_iteratorINS9_10device_ptrIiEEEESE_SE_iNS9_4plusIiEE19head_flag_predicateiEE10hipError_tPvRmT2_T3_T4_T5_mT6_T7_P12ihipStream_tbENKUlT_T0_E_clISt17integral_constantIbLb0EESX_IbLb1EEEEDaST_SU_EUlST_E_NS1_11comp_targetILNS1_3genE2ELNS1_11target_archE906ELNS1_3gpuE6ELNS1_3repE0EEENS1_30default_config_static_selectorELNS0_4arch9wavefront6targetE0EEEvT1_.num_named_barrier, 0
	.set _ZN7rocprim17ROCPRIM_400000_NS6detail17trampoline_kernelINS0_14default_configENS1_27scan_by_key_config_selectorIiiEEZZNS1_16scan_by_key_implILNS1_25lookback_scan_determinismE0ELb0ES3_N6thrust23THRUST_200600_302600_NS6detail15normal_iteratorINS9_10device_ptrIiEEEESE_SE_iNS9_4plusIiEE19head_flag_predicateiEE10hipError_tPvRmT2_T3_T4_T5_mT6_T7_P12ihipStream_tbENKUlT_T0_E_clISt17integral_constantIbLb0EESX_IbLb1EEEEDaST_SU_EUlST_E_NS1_11comp_targetILNS1_3genE2ELNS1_11target_archE906ELNS1_3gpuE6ELNS1_3repE0EEENS1_30default_config_static_selectorELNS0_4arch9wavefront6targetE0EEEvT1_.private_seg_size, 0
	.set _ZN7rocprim17ROCPRIM_400000_NS6detail17trampoline_kernelINS0_14default_configENS1_27scan_by_key_config_selectorIiiEEZZNS1_16scan_by_key_implILNS1_25lookback_scan_determinismE0ELb0ES3_N6thrust23THRUST_200600_302600_NS6detail15normal_iteratorINS9_10device_ptrIiEEEESE_SE_iNS9_4plusIiEE19head_flag_predicateiEE10hipError_tPvRmT2_T3_T4_T5_mT6_T7_P12ihipStream_tbENKUlT_T0_E_clISt17integral_constantIbLb0EESX_IbLb1EEEEDaST_SU_EUlST_E_NS1_11comp_targetILNS1_3genE2ELNS1_11target_archE906ELNS1_3gpuE6ELNS1_3repE0EEENS1_30default_config_static_selectorELNS0_4arch9wavefront6targetE0EEEvT1_.uses_vcc, 0
	.set _ZN7rocprim17ROCPRIM_400000_NS6detail17trampoline_kernelINS0_14default_configENS1_27scan_by_key_config_selectorIiiEEZZNS1_16scan_by_key_implILNS1_25lookback_scan_determinismE0ELb0ES3_N6thrust23THRUST_200600_302600_NS6detail15normal_iteratorINS9_10device_ptrIiEEEESE_SE_iNS9_4plusIiEE19head_flag_predicateiEE10hipError_tPvRmT2_T3_T4_T5_mT6_T7_P12ihipStream_tbENKUlT_T0_E_clISt17integral_constantIbLb0EESX_IbLb1EEEEDaST_SU_EUlST_E_NS1_11comp_targetILNS1_3genE2ELNS1_11target_archE906ELNS1_3gpuE6ELNS1_3repE0EEENS1_30default_config_static_selectorELNS0_4arch9wavefront6targetE0EEEvT1_.uses_flat_scratch, 0
	.set _ZN7rocprim17ROCPRIM_400000_NS6detail17trampoline_kernelINS0_14default_configENS1_27scan_by_key_config_selectorIiiEEZZNS1_16scan_by_key_implILNS1_25lookback_scan_determinismE0ELb0ES3_N6thrust23THRUST_200600_302600_NS6detail15normal_iteratorINS9_10device_ptrIiEEEESE_SE_iNS9_4plusIiEE19head_flag_predicateiEE10hipError_tPvRmT2_T3_T4_T5_mT6_T7_P12ihipStream_tbENKUlT_T0_E_clISt17integral_constantIbLb0EESX_IbLb1EEEEDaST_SU_EUlST_E_NS1_11comp_targetILNS1_3genE2ELNS1_11target_archE906ELNS1_3gpuE6ELNS1_3repE0EEENS1_30default_config_static_selectorELNS0_4arch9wavefront6targetE0EEEvT1_.has_dyn_sized_stack, 0
	.set _ZN7rocprim17ROCPRIM_400000_NS6detail17trampoline_kernelINS0_14default_configENS1_27scan_by_key_config_selectorIiiEEZZNS1_16scan_by_key_implILNS1_25lookback_scan_determinismE0ELb0ES3_N6thrust23THRUST_200600_302600_NS6detail15normal_iteratorINS9_10device_ptrIiEEEESE_SE_iNS9_4plusIiEE19head_flag_predicateiEE10hipError_tPvRmT2_T3_T4_T5_mT6_T7_P12ihipStream_tbENKUlT_T0_E_clISt17integral_constantIbLb0EESX_IbLb1EEEEDaST_SU_EUlST_E_NS1_11comp_targetILNS1_3genE2ELNS1_11target_archE906ELNS1_3gpuE6ELNS1_3repE0EEENS1_30default_config_static_selectorELNS0_4arch9wavefront6targetE0EEEvT1_.has_recursion, 0
	.set _ZN7rocprim17ROCPRIM_400000_NS6detail17trampoline_kernelINS0_14default_configENS1_27scan_by_key_config_selectorIiiEEZZNS1_16scan_by_key_implILNS1_25lookback_scan_determinismE0ELb0ES3_N6thrust23THRUST_200600_302600_NS6detail15normal_iteratorINS9_10device_ptrIiEEEESE_SE_iNS9_4plusIiEE19head_flag_predicateiEE10hipError_tPvRmT2_T3_T4_T5_mT6_T7_P12ihipStream_tbENKUlT_T0_E_clISt17integral_constantIbLb0EESX_IbLb1EEEEDaST_SU_EUlST_E_NS1_11comp_targetILNS1_3genE2ELNS1_11target_archE906ELNS1_3gpuE6ELNS1_3repE0EEENS1_30default_config_static_selectorELNS0_4arch9wavefront6targetE0EEEvT1_.has_indirect_call, 0
	.section	.AMDGPU.csdata,"",@progbits
; Kernel info:
; codeLenInByte = 0
; TotalNumSgprs: 0
; NumVgprs: 0
; ScratchSize: 0
; MemoryBound: 0
; FloatMode: 240
; IeeeMode: 1
; LDSByteSize: 0 bytes/workgroup (compile time only)
; SGPRBlocks: 0
; VGPRBlocks: 0
; NumSGPRsForWavesPerEU: 1
; NumVGPRsForWavesPerEU: 1
; NamedBarCnt: 0
; Occupancy: 16
; WaveLimiterHint : 0
; COMPUTE_PGM_RSRC2:SCRATCH_EN: 0
; COMPUTE_PGM_RSRC2:USER_SGPR: 2
; COMPUTE_PGM_RSRC2:TRAP_HANDLER: 0
; COMPUTE_PGM_RSRC2:TGID_X_EN: 1
; COMPUTE_PGM_RSRC2:TGID_Y_EN: 0
; COMPUTE_PGM_RSRC2:TGID_Z_EN: 0
; COMPUTE_PGM_RSRC2:TIDIG_COMP_CNT: 0
	.section	.text._ZN7rocprim17ROCPRIM_400000_NS6detail17trampoline_kernelINS0_14default_configENS1_27scan_by_key_config_selectorIiiEEZZNS1_16scan_by_key_implILNS1_25lookback_scan_determinismE0ELb0ES3_N6thrust23THRUST_200600_302600_NS6detail15normal_iteratorINS9_10device_ptrIiEEEESE_SE_iNS9_4plusIiEE19head_flag_predicateiEE10hipError_tPvRmT2_T3_T4_T5_mT6_T7_P12ihipStream_tbENKUlT_T0_E_clISt17integral_constantIbLb0EESX_IbLb1EEEEDaST_SU_EUlST_E_NS1_11comp_targetILNS1_3genE10ELNS1_11target_archE1200ELNS1_3gpuE4ELNS1_3repE0EEENS1_30default_config_static_selectorELNS0_4arch9wavefront6targetE0EEEvT1_,"axG",@progbits,_ZN7rocprim17ROCPRIM_400000_NS6detail17trampoline_kernelINS0_14default_configENS1_27scan_by_key_config_selectorIiiEEZZNS1_16scan_by_key_implILNS1_25lookback_scan_determinismE0ELb0ES3_N6thrust23THRUST_200600_302600_NS6detail15normal_iteratorINS9_10device_ptrIiEEEESE_SE_iNS9_4plusIiEE19head_flag_predicateiEE10hipError_tPvRmT2_T3_T4_T5_mT6_T7_P12ihipStream_tbENKUlT_T0_E_clISt17integral_constantIbLb0EESX_IbLb1EEEEDaST_SU_EUlST_E_NS1_11comp_targetILNS1_3genE10ELNS1_11target_archE1200ELNS1_3gpuE4ELNS1_3repE0EEENS1_30default_config_static_selectorELNS0_4arch9wavefront6targetE0EEEvT1_,comdat
	.protected	_ZN7rocprim17ROCPRIM_400000_NS6detail17trampoline_kernelINS0_14default_configENS1_27scan_by_key_config_selectorIiiEEZZNS1_16scan_by_key_implILNS1_25lookback_scan_determinismE0ELb0ES3_N6thrust23THRUST_200600_302600_NS6detail15normal_iteratorINS9_10device_ptrIiEEEESE_SE_iNS9_4plusIiEE19head_flag_predicateiEE10hipError_tPvRmT2_T3_T4_T5_mT6_T7_P12ihipStream_tbENKUlT_T0_E_clISt17integral_constantIbLb0EESX_IbLb1EEEEDaST_SU_EUlST_E_NS1_11comp_targetILNS1_3genE10ELNS1_11target_archE1200ELNS1_3gpuE4ELNS1_3repE0EEENS1_30default_config_static_selectorELNS0_4arch9wavefront6targetE0EEEvT1_ ; -- Begin function _ZN7rocprim17ROCPRIM_400000_NS6detail17trampoline_kernelINS0_14default_configENS1_27scan_by_key_config_selectorIiiEEZZNS1_16scan_by_key_implILNS1_25lookback_scan_determinismE0ELb0ES3_N6thrust23THRUST_200600_302600_NS6detail15normal_iteratorINS9_10device_ptrIiEEEESE_SE_iNS9_4plusIiEE19head_flag_predicateiEE10hipError_tPvRmT2_T3_T4_T5_mT6_T7_P12ihipStream_tbENKUlT_T0_E_clISt17integral_constantIbLb0EESX_IbLb1EEEEDaST_SU_EUlST_E_NS1_11comp_targetILNS1_3genE10ELNS1_11target_archE1200ELNS1_3gpuE4ELNS1_3repE0EEENS1_30default_config_static_selectorELNS0_4arch9wavefront6targetE0EEEvT1_
	.globl	_ZN7rocprim17ROCPRIM_400000_NS6detail17trampoline_kernelINS0_14default_configENS1_27scan_by_key_config_selectorIiiEEZZNS1_16scan_by_key_implILNS1_25lookback_scan_determinismE0ELb0ES3_N6thrust23THRUST_200600_302600_NS6detail15normal_iteratorINS9_10device_ptrIiEEEESE_SE_iNS9_4plusIiEE19head_flag_predicateiEE10hipError_tPvRmT2_T3_T4_T5_mT6_T7_P12ihipStream_tbENKUlT_T0_E_clISt17integral_constantIbLb0EESX_IbLb1EEEEDaST_SU_EUlST_E_NS1_11comp_targetILNS1_3genE10ELNS1_11target_archE1200ELNS1_3gpuE4ELNS1_3repE0EEENS1_30default_config_static_selectorELNS0_4arch9wavefront6targetE0EEEvT1_
	.p2align	8
	.type	_ZN7rocprim17ROCPRIM_400000_NS6detail17trampoline_kernelINS0_14default_configENS1_27scan_by_key_config_selectorIiiEEZZNS1_16scan_by_key_implILNS1_25lookback_scan_determinismE0ELb0ES3_N6thrust23THRUST_200600_302600_NS6detail15normal_iteratorINS9_10device_ptrIiEEEESE_SE_iNS9_4plusIiEE19head_flag_predicateiEE10hipError_tPvRmT2_T3_T4_T5_mT6_T7_P12ihipStream_tbENKUlT_T0_E_clISt17integral_constantIbLb0EESX_IbLb1EEEEDaST_SU_EUlST_E_NS1_11comp_targetILNS1_3genE10ELNS1_11target_archE1200ELNS1_3gpuE4ELNS1_3repE0EEENS1_30default_config_static_selectorELNS0_4arch9wavefront6targetE0EEEvT1_,@function
_ZN7rocprim17ROCPRIM_400000_NS6detail17trampoline_kernelINS0_14default_configENS1_27scan_by_key_config_selectorIiiEEZZNS1_16scan_by_key_implILNS1_25lookback_scan_determinismE0ELb0ES3_N6thrust23THRUST_200600_302600_NS6detail15normal_iteratorINS9_10device_ptrIiEEEESE_SE_iNS9_4plusIiEE19head_flag_predicateiEE10hipError_tPvRmT2_T3_T4_T5_mT6_T7_P12ihipStream_tbENKUlT_T0_E_clISt17integral_constantIbLb0EESX_IbLb1EEEEDaST_SU_EUlST_E_NS1_11comp_targetILNS1_3genE10ELNS1_11target_archE1200ELNS1_3gpuE4ELNS1_3repE0EEENS1_30default_config_static_selectorELNS0_4arch9wavefront6targetE0EEEvT1_: ; @_ZN7rocprim17ROCPRIM_400000_NS6detail17trampoline_kernelINS0_14default_configENS1_27scan_by_key_config_selectorIiiEEZZNS1_16scan_by_key_implILNS1_25lookback_scan_determinismE0ELb0ES3_N6thrust23THRUST_200600_302600_NS6detail15normal_iteratorINS9_10device_ptrIiEEEESE_SE_iNS9_4plusIiEE19head_flag_predicateiEE10hipError_tPvRmT2_T3_T4_T5_mT6_T7_P12ihipStream_tbENKUlT_T0_E_clISt17integral_constantIbLb0EESX_IbLb1EEEEDaST_SU_EUlST_E_NS1_11comp_targetILNS1_3genE10ELNS1_11target_archE1200ELNS1_3gpuE4ELNS1_3repE0EEENS1_30default_config_static_selectorELNS0_4arch9wavefront6targetE0EEEvT1_
; %bb.0:
	.section	.rodata,"a",@progbits
	.p2align	6, 0x0
	.amdhsa_kernel _ZN7rocprim17ROCPRIM_400000_NS6detail17trampoline_kernelINS0_14default_configENS1_27scan_by_key_config_selectorIiiEEZZNS1_16scan_by_key_implILNS1_25lookback_scan_determinismE0ELb0ES3_N6thrust23THRUST_200600_302600_NS6detail15normal_iteratorINS9_10device_ptrIiEEEESE_SE_iNS9_4plusIiEE19head_flag_predicateiEE10hipError_tPvRmT2_T3_T4_T5_mT6_T7_P12ihipStream_tbENKUlT_T0_E_clISt17integral_constantIbLb0EESX_IbLb1EEEEDaST_SU_EUlST_E_NS1_11comp_targetILNS1_3genE10ELNS1_11target_archE1200ELNS1_3gpuE4ELNS1_3repE0EEENS1_30default_config_static_selectorELNS0_4arch9wavefront6targetE0EEEvT1_
		.amdhsa_group_segment_fixed_size 0
		.amdhsa_private_segment_fixed_size 0
		.amdhsa_kernarg_size 112
		.amdhsa_user_sgpr_count 2
		.amdhsa_user_sgpr_dispatch_ptr 0
		.amdhsa_user_sgpr_queue_ptr 0
		.amdhsa_user_sgpr_kernarg_segment_ptr 1
		.amdhsa_user_sgpr_dispatch_id 0
		.amdhsa_user_sgpr_kernarg_preload_length 0
		.amdhsa_user_sgpr_kernarg_preload_offset 0
		.amdhsa_user_sgpr_private_segment_size 0
		.amdhsa_wavefront_size32 1
		.amdhsa_uses_dynamic_stack 0
		.amdhsa_enable_private_segment 0
		.amdhsa_system_sgpr_workgroup_id_x 1
		.amdhsa_system_sgpr_workgroup_id_y 0
		.amdhsa_system_sgpr_workgroup_id_z 0
		.amdhsa_system_sgpr_workgroup_info 0
		.amdhsa_system_vgpr_workitem_id 0
		.amdhsa_next_free_vgpr 1
		.amdhsa_next_free_sgpr 1
		.amdhsa_named_barrier_count 0
		.amdhsa_reserve_vcc 0
		.amdhsa_float_round_mode_32 0
		.amdhsa_float_round_mode_16_64 0
		.amdhsa_float_denorm_mode_32 3
		.amdhsa_float_denorm_mode_16_64 3
		.amdhsa_fp16_overflow 0
		.amdhsa_memory_ordered 1
		.amdhsa_forward_progress 1
		.amdhsa_inst_pref_size 0
		.amdhsa_round_robin_scheduling 0
		.amdhsa_exception_fp_ieee_invalid_op 0
		.amdhsa_exception_fp_denorm_src 0
		.amdhsa_exception_fp_ieee_div_zero 0
		.amdhsa_exception_fp_ieee_overflow 0
		.amdhsa_exception_fp_ieee_underflow 0
		.amdhsa_exception_fp_ieee_inexact 0
		.amdhsa_exception_int_div_zero 0
	.end_amdhsa_kernel
	.section	.text._ZN7rocprim17ROCPRIM_400000_NS6detail17trampoline_kernelINS0_14default_configENS1_27scan_by_key_config_selectorIiiEEZZNS1_16scan_by_key_implILNS1_25lookback_scan_determinismE0ELb0ES3_N6thrust23THRUST_200600_302600_NS6detail15normal_iteratorINS9_10device_ptrIiEEEESE_SE_iNS9_4plusIiEE19head_flag_predicateiEE10hipError_tPvRmT2_T3_T4_T5_mT6_T7_P12ihipStream_tbENKUlT_T0_E_clISt17integral_constantIbLb0EESX_IbLb1EEEEDaST_SU_EUlST_E_NS1_11comp_targetILNS1_3genE10ELNS1_11target_archE1200ELNS1_3gpuE4ELNS1_3repE0EEENS1_30default_config_static_selectorELNS0_4arch9wavefront6targetE0EEEvT1_,"axG",@progbits,_ZN7rocprim17ROCPRIM_400000_NS6detail17trampoline_kernelINS0_14default_configENS1_27scan_by_key_config_selectorIiiEEZZNS1_16scan_by_key_implILNS1_25lookback_scan_determinismE0ELb0ES3_N6thrust23THRUST_200600_302600_NS6detail15normal_iteratorINS9_10device_ptrIiEEEESE_SE_iNS9_4plusIiEE19head_flag_predicateiEE10hipError_tPvRmT2_T3_T4_T5_mT6_T7_P12ihipStream_tbENKUlT_T0_E_clISt17integral_constantIbLb0EESX_IbLb1EEEEDaST_SU_EUlST_E_NS1_11comp_targetILNS1_3genE10ELNS1_11target_archE1200ELNS1_3gpuE4ELNS1_3repE0EEENS1_30default_config_static_selectorELNS0_4arch9wavefront6targetE0EEEvT1_,comdat
.Lfunc_end782:
	.size	_ZN7rocprim17ROCPRIM_400000_NS6detail17trampoline_kernelINS0_14default_configENS1_27scan_by_key_config_selectorIiiEEZZNS1_16scan_by_key_implILNS1_25lookback_scan_determinismE0ELb0ES3_N6thrust23THRUST_200600_302600_NS6detail15normal_iteratorINS9_10device_ptrIiEEEESE_SE_iNS9_4plusIiEE19head_flag_predicateiEE10hipError_tPvRmT2_T3_T4_T5_mT6_T7_P12ihipStream_tbENKUlT_T0_E_clISt17integral_constantIbLb0EESX_IbLb1EEEEDaST_SU_EUlST_E_NS1_11comp_targetILNS1_3genE10ELNS1_11target_archE1200ELNS1_3gpuE4ELNS1_3repE0EEENS1_30default_config_static_selectorELNS0_4arch9wavefront6targetE0EEEvT1_, .Lfunc_end782-_ZN7rocprim17ROCPRIM_400000_NS6detail17trampoline_kernelINS0_14default_configENS1_27scan_by_key_config_selectorIiiEEZZNS1_16scan_by_key_implILNS1_25lookback_scan_determinismE0ELb0ES3_N6thrust23THRUST_200600_302600_NS6detail15normal_iteratorINS9_10device_ptrIiEEEESE_SE_iNS9_4plusIiEE19head_flag_predicateiEE10hipError_tPvRmT2_T3_T4_T5_mT6_T7_P12ihipStream_tbENKUlT_T0_E_clISt17integral_constantIbLb0EESX_IbLb1EEEEDaST_SU_EUlST_E_NS1_11comp_targetILNS1_3genE10ELNS1_11target_archE1200ELNS1_3gpuE4ELNS1_3repE0EEENS1_30default_config_static_selectorELNS0_4arch9wavefront6targetE0EEEvT1_
                                        ; -- End function
	.set _ZN7rocprim17ROCPRIM_400000_NS6detail17trampoline_kernelINS0_14default_configENS1_27scan_by_key_config_selectorIiiEEZZNS1_16scan_by_key_implILNS1_25lookback_scan_determinismE0ELb0ES3_N6thrust23THRUST_200600_302600_NS6detail15normal_iteratorINS9_10device_ptrIiEEEESE_SE_iNS9_4plusIiEE19head_flag_predicateiEE10hipError_tPvRmT2_T3_T4_T5_mT6_T7_P12ihipStream_tbENKUlT_T0_E_clISt17integral_constantIbLb0EESX_IbLb1EEEEDaST_SU_EUlST_E_NS1_11comp_targetILNS1_3genE10ELNS1_11target_archE1200ELNS1_3gpuE4ELNS1_3repE0EEENS1_30default_config_static_selectorELNS0_4arch9wavefront6targetE0EEEvT1_.num_vgpr, 0
	.set _ZN7rocprim17ROCPRIM_400000_NS6detail17trampoline_kernelINS0_14default_configENS1_27scan_by_key_config_selectorIiiEEZZNS1_16scan_by_key_implILNS1_25lookback_scan_determinismE0ELb0ES3_N6thrust23THRUST_200600_302600_NS6detail15normal_iteratorINS9_10device_ptrIiEEEESE_SE_iNS9_4plusIiEE19head_flag_predicateiEE10hipError_tPvRmT2_T3_T4_T5_mT6_T7_P12ihipStream_tbENKUlT_T0_E_clISt17integral_constantIbLb0EESX_IbLb1EEEEDaST_SU_EUlST_E_NS1_11comp_targetILNS1_3genE10ELNS1_11target_archE1200ELNS1_3gpuE4ELNS1_3repE0EEENS1_30default_config_static_selectorELNS0_4arch9wavefront6targetE0EEEvT1_.num_agpr, 0
	.set _ZN7rocprim17ROCPRIM_400000_NS6detail17trampoline_kernelINS0_14default_configENS1_27scan_by_key_config_selectorIiiEEZZNS1_16scan_by_key_implILNS1_25lookback_scan_determinismE0ELb0ES3_N6thrust23THRUST_200600_302600_NS6detail15normal_iteratorINS9_10device_ptrIiEEEESE_SE_iNS9_4plusIiEE19head_flag_predicateiEE10hipError_tPvRmT2_T3_T4_T5_mT6_T7_P12ihipStream_tbENKUlT_T0_E_clISt17integral_constantIbLb0EESX_IbLb1EEEEDaST_SU_EUlST_E_NS1_11comp_targetILNS1_3genE10ELNS1_11target_archE1200ELNS1_3gpuE4ELNS1_3repE0EEENS1_30default_config_static_selectorELNS0_4arch9wavefront6targetE0EEEvT1_.numbered_sgpr, 0
	.set _ZN7rocprim17ROCPRIM_400000_NS6detail17trampoline_kernelINS0_14default_configENS1_27scan_by_key_config_selectorIiiEEZZNS1_16scan_by_key_implILNS1_25lookback_scan_determinismE0ELb0ES3_N6thrust23THRUST_200600_302600_NS6detail15normal_iteratorINS9_10device_ptrIiEEEESE_SE_iNS9_4plusIiEE19head_flag_predicateiEE10hipError_tPvRmT2_T3_T4_T5_mT6_T7_P12ihipStream_tbENKUlT_T0_E_clISt17integral_constantIbLb0EESX_IbLb1EEEEDaST_SU_EUlST_E_NS1_11comp_targetILNS1_3genE10ELNS1_11target_archE1200ELNS1_3gpuE4ELNS1_3repE0EEENS1_30default_config_static_selectorELNS0_4arch9wavefront6targetE0EEEvT1_.num_named_barrier, 0
	.set _ZN7rocprim17ROCPRIM_400000_NS6detail17trampoline_kernelINS0_14default_configENS1_27scan_by_key_config_selectorIiiEEZZNS1_16scan_by_key_implILNS1_25lookback_scan_determinismE0ELb0ES3_N6thrust23THRUST_200600_302600_NS6detail15normal_iteratorINS9_10device_ptrIiEEEESE_SE_iNS9_4plusIiEE19head_flag_predicateiEE10hipError_tPvRmT2_T3_T4_T5_mT6_T7_P12ihipStream_tbENKUlT_T0_E_clISt17integral_constantIbLb0EESX_IbLb1EEEEDaST_SU_EUlST_E_NS1_11comp_targetILNS1_3genE10ELNS1_11target_archE1200ELNS1_3gpuE4ELNS1_3repE0EEENS1_30default_config_static_selectorELNS0_4arch9wavefront6targetE0EEEvT1_.private_seg_size, 0
	.set _ZN7rocprim17ROCPRIM_400000_NS6detail17trampoline_kernelINS0_14default_configENS1_27scan_by_key_config_selectorIiiEEZZNS1_16scan_by_key_implILNS1_25lookback_scan_determinismE0ELb0ES3_N6thrust23THRUST_200600_302600_NS6detail15normal_iteratorINS9_10device_ptrIiEEEESE_SE_iNS9_4plusIiEE19head_flag_predicateiEE10hipError_tPvRmT2_T3_T4_T5_mT6_T7_P12ihipStream_tbENKUlT_T0_E_clISt17integral_constantIbLb0EESX_IbLb1EEEEDaST_SU_EUlST_E_NS1_11comp_targetILNS1_3genE10ELNS1_11target_archE1200ELNS1_3gpuE4ELNS1_3repE0EEENS1_30default_config_static_selectorELNS0_4arch9wavefront6targetE0EEEvT1_.uses_vcc, 0
	.set _ZN7rocprim17ROCPRIM_400000_NS6detail17trampoline_kernelINS0_14default_configENS1_27scan_by_key_config_selectorIiiEEZZNS1_16scan_by_key_implILNS1_25lookback_scan_determinismE0ELb0ES3_N6thrust23THRUST_200600_302600_NS6detail15normal_iteratorINS9_10device_ptrIiEEEESE_SE_iNS9_4plusIiEE19head_flag_predicateiEE10hipError_tPvRmT2_T3_T4_T5_mT6_T7_P12ihipStream_tbENKUlT_T0_E_clISt17integral_constantIbLb0EESX_IbLb1EEEEDaST_SU_EUlST_E_NS1_11comp_targetILNS1_3genE10ELNS1_11target_archE1200ELNS1_3gpuE4ELNS1_3repE0EEENS1_30default_config_static_selectorELNS0_4arch9wavefront6targetE0EEEvT1_.uses_flat_scratch, 0
	.set _ZN7rocprim17ROCPRIM_400000_NS6detail17trampoline_kernelINS0_14default_configENS1_27scan_by_key_config_selectorIiiEEZZNS1_16scan_by_key_implILNS1_25lookback_scan_determinismE0ELb0ES3_N6thrust23THRUST_200600_302600_NS6detail15normal_iteratorINS9_10device_ptrIiEEEESE_SE_iNS9_4plusIiEE19head_flag_predicateiEE10hipError_tPvRmT2_T3_T4_T5_mT6_T7_P12ihipStream_tbENKUlT_T0_E_clISt17integral_constantIbLb0EESX_IbLb1EEEEDaST_SU_EUlST_E_NS1_11comp_targetILNS1_3genE10ELNS1_11target_archE1200ELNS1_3gpuE4ELNS1_3repE0EEENS1_30default_config_static_selectorELNS0_4arch9wavefront6targetE0EEEvT1_.has_dyn_sized_stack, 0
	.set _ZN7rocprim17ROCPRIM_400000_NS6detail17trampoline_kernelINS0_14default_configENS1_27scan_by_key_config_selectorIiiEEZZNS1_16scan_by_key_implILNS1_25lookback_scan_determinismE0ELb0ES3_N6thrust23THRUST_200600_302600_NS6detail15normal_iteratorINS9_10device_ptrIiEEEESE_SE_iNS9_4plusIiEE19head_flag_predicateiEE10hipError_tPvRmT2_T3_T4_T5_mT6_T7_P12ihipStream_tbENKUlT_T0_E_clISt17integral_constantIbLb0EESX_IbLb1EEEEDaST_SU_EUlST_E_NS1_11comp_targetILNS1_3genE10ELNS1_11target_archE1200ELNS1_3gpuE4ELNS1_3repE0EEENS1_30default_config_static_selectorELNS0_4arch9wavefront6targetE0EEEvT1_.has_recursion, 0
	.set _ZN7rocprim17ROCPRIM_400000_NS6detail17trampoline_kernelINS0_14default_configENS1_27scan_by_key_config_selectorIiiEEZZNS1_16scan_by_key_implILNS1_25lookback_scan_determinismE0ELb0ES3_N6thrust23THRUST_200600_302600_NS6detail15normal_iteratorINS9_10device_ptrIiEEEESE_SE_iNS9_4plusIiEE19head_flag_predicateiEE10hipError_tPvRmT2_T3_T4_T5_mT6_T7_P12ihipStream_tbENKUlT_T0_E_clISt17integral_constantIbLb0EESX_IbLb1EEEEDaST_SU_EUlST_E_NS1_11comp_targetILNS1_3genE10ELNS1_11target_archE1200ELNS1_3gpuE4ELNS1_3repE0EEENS1_30default_config_static_selectorELNS0_4arch9wavefront6targetE0EEEvT1_.has_indirect_call, 0
	.section	.AMDGPU.csdata,"",@progbits
; Kernel info:
; codeLenInByte = 0
; TotalNumSgprs: 0
; NumVgprs: 0
; ScratchSize: 0
; MemoryBound: 0
; FloatMode: 240
; IeeeMode: 1
; LDSByteSize: 0 bytes/workgroup (compile time only)
; SGPRBlocks: 0
; VGPRBlocks: 0
; NumSGPRsForWavesPerEU: 1
; NumVGPRsForWavesPerEU: 1
; NamedBarCnt: 0
; Occupancy: 16
; WaveLimiterHint : 0
; COMPUTE_PGM_RSRC2:SCRATCH_EN: 0
; COMPUTE_PGM_RSRC2:USER_SGPR: 2
; COMPUTE_PGM_RSRC2:TRAP_HANDLER: 0
; COMPUTE_PGM_RSRC2:TGID_X_EN: 1
; COMPUTE_PGM_RSRC2:TGID_Y_EN: 0
; COMPUTE_PGM_RSRC2:TGID_Z_EN: 0
; COMPUTE_PGM_RSRC2:TIDIG_COMP_CNT: 0
	.section	.text._ZN7rocprim17ROCPRIM_400000_NS6detail17trampoline_kernelINS0_14default_configENS1_27scan_by_key_config_selectorIiiEEZZNS1_16scan_by_key_implILNS1_25lookback_scan_determinismE0ELb0ES3_N6thrust23THRUST_200600_302600_NS6detail15normal_iteratorINS9_10device_ptrIiEEEESE_SE_iNS9_4plusIiEE19head_flag_predicateiEE10hipError_tPvRmT2_T3_T4_T5_mT6_T7_P12ihipStream_tbENKUlT_T0_E_clISt17integral_constantIbLb0EESX_IbLb1EEEEDaST_SU_EUlST_E_NS1_11comp_targetILNS1_3genE9ELNS1_11target_archE1100ELNS1_3gpuE3ELNS1_3repE0EEENS1_30default_config_static_selectorELNS0_4arch9wavefront6targetE0EEEvT1_,"axG",@progbits,_ZN7rocprim17ROCPRIM_400000_NS6detail17trampoline_kernelINS0_14default_configENS1_27scan_by_key_config_selectorIiiEEZZNS1_16scan_by_key_implILNS1_25lookback_scan_determinismE0ELb0ES3_N6thrust23THRUST_200600_302600_NS6detail15normal_iteratorINS9_10device_ptrIiEEEESE_SE_iNS9_4plusIiEE19head_flag_predicateiEE10hipError_tPvRmT2_T3_T4_T5_mT6_T7_P12ihipStream_tbENKUlT_T0_E_clISt17integral_constantIbLb0EESX_IbLb1EEEEDaST_SU_EUlST_E_NS1_11comp_targetILNS1_3genE9ELNS1_11target_archE1100ELNS1_3gpuE3ELNS1_3repE0EEENS1_30default_config_static_selectorELNS0_4arch9wavefront6targetE0EEEvT1_,comdat
	.protected	_ZN7rocprim17ROCPRIM_400000_NS6detail17trampoline_kernelINS0_14default_configENS1_27scan_by_key_config_selectorIiiEEZZNS1_16scan_by_key_implILNS1_25lookback_scan_determinismE0ELb0ES3_N6thrust23THRUST_200600_302600_NS6detail15normal_iteratorINS9_10device_ptrIiEEEESE_SE_iNS9_4plusIiEE19head_flag_predicateiEE10hipError_tPvRmT2_T3_T4_T5_mT6_T7_P12ihipStream_tbENKUlT_T0_E_clISt17integral_constantIbLb0EESX_IbLb1EEEEDaST_SU_EUlST_E_NS1_11comp_targetILNS1_3genE9ELNS1_11target_archE1100ELNS1_3gpuE3ELNS1_3repE0EEENS1_30default_config_static_selectorELNS0_4arch9wavefront6targetE0EEEvT1_ ; -- Begin function _ZN7rocprim17ROCPRIM_400000_NS6detail17trampoline_kernelINS0_14default_configENS1_27scan_by_key_config_selectorIiiEEZZNS1_16scan_by_key_implILNS1_25lookback_scan_determinismE0ELb0ES3_N6thrust23THRUST_200600_302600_NS6detail15normal_iteratorINS9_10device_ptrIiEEEESE_SE_iNS9_4plusIiEE19head_flag_predicateiEE10hipError_tPvRmT2_T3_T4_T5_mT6_T7_P12ihipStream_tbENKUlT_T0_E_clISt17integral_constantIbLb0EESX_IbLb1EEEEDaST_SU_EUlST_E_NS1_11comp_targetILNS1_3genE9ELNS1_11target_archE1100ELNS1_3gpuE3ELNS1_3repE0EEENS1_30default_config_static_selectorELNS0_4arch9wavefront6targetE0EEEvT1_
	.globl	_ZN7rocprim17ROCPRIM_400000_NS6detail17trampoline_kernelINS0_14default_configENS1_27scan_by_key_config_selectorIiiEEZZNS1_16scan_by_key_implILNS1_25lookback_scan_determinismE0ELb0ES3_N6thrust23THRUST_200600_302600_NS6detail15normal_iteratorINS9_10device_ptrIiEEEESE_SE_iNS9_4plusIiEE19head_flag_predicateiEE10hipError_tPvRmT2_T3_T4_T5_mT6_T7_P12ihipStream_tbENKUlT_T0_E_clISt17integral_constantIbLb0EESX_IbLb1EEEEDaST_SU_EUlST_E_NS1_11comp_targetILNS1_3genE9ELNS1_11target_archE1100ELNS1_3gpuE3ELNS1_3repE0EEENS1_30default_config_static_selectorELNS0_4arch9wavefront6targetE0EEEvT1_
	.p2align	8
	.type	_ZN7rocprim17ROCPRIM_400000_NS6detail17trampoline_kernelINS0_14default_configENS1_27scan_by_key_config_selectorIiiEEZZNS1_16scan_by_key_implILNS1_25lookback_scan_determinismE0ELb0ES3_N6thrust23THRUST_200600_302600_NS6detail15normal_iteratorINS9_10device_ptrIiEEEESE_SE_iNS9_4plusIiEE19head_flag_predicateiEE10hipError_tPvRmT2_T3_T4_T5_mT6_T7_P12ihipStream_tbENKUlT_T0_E_clISt17integral_constantIbLb0EESX_IbLb1EEEEDaST_SU_EUlST_E_NS1_11comp_targetILNS1_3genE9ELNS1_11target_archE1100ELNS1_3gpuE3ELNS1_3repE0EEENS1_30default_config_static_selectorELNS0_4arch9wavefront6targetE0EEEvT1_,@function
_ZN7rocprim17ROCPRIM_400000_NS6detail17trampoline_kernelINS0_14default_configENS1_27scan_by_key_config_selectorIiiEEZZNS1_16scan_by_key_implILNS1_25lookback_scan_determinismE0ELb0ES3_N6thrust23THRUST_200600_302600_NS6detail15normal_iteratorINS9_10device_ptrIiEEEESE_SE_iNS9_4plusIiEE19head_flag_predicateiEE10hipError_tPvRmT2_T3_T4_T5_mT6_T7_P12ihipStream_tbENKUlT_T0_E_clISt17integral_constantIbLb0EESX_IbLb1EEEEDaST_SU_EUlST_E_NS1_11comp_targetILNS1_3genE9ELNS1_11target_archE1100ELNS1_3gpuE3ELNS1_3repE0EEENS1_30default_config_static_selectorELNS0_4arch9wavefront6targetE0EEEvT1_: ; @_ZN7rocprim17ROCPRIM_400000_NS6detail17trampoline_kernelINS0_14default_configENS1_27scan_by_key_config_selectorIiiEEZZNS1_16scan_by_key_implILNS1_25lookback_scan_determinismE0ELb0ES3_N6thrust23THRUST_200600_302600_NS6detail15normal_iteratorINS9_10device_ptrIiEEEESE_SE_iNS9_4plusIiEE19head_flag_predicateiEE10hipError_tPvRmT2_T3_T4_T5_mT6_T7_P12ihipStream_tbENKUlT_T0_E_clISt17integral_constantIbLb0EESX_IbLb1EEEEDaST_SU_EUlST_E_NS1_11comp_targetILNS1_3genE9ELNS1_11target_archE1100ELNS1_3gpuE3ELNS1_3repE0EEENS1_30default_config_static_selectorELNS0_4arch9wavefront6targetE0EEEvT1_
; %bb.0:
	.section	.rodata,"a",@progbits
	.p2align	6, 0x0
	.amdhsa_kernel _ZN7rocprim17ROCPRIM_400000_NS6detail17trampoline_kernelINS0_14default_configENS1_27scan_by_key_config_selectorIiiEEZZNS1_16scan_by_key_implILNS1_25lookback_scan_determinismE0ELb0ES3_N6thrust23THRUST_200600_302600_NS6detail15normal_iteratorINS9_10device_ptrIiEEEESE_SE_iNS9_4plusIiEE19head_flag_predicateiEE10hipError_tPvRmT2_T3_T4_T5_mT6_T7_P12ihipStream_tbENKUlT_T0_E_clISt17integral_constantIbLb0EESX_IbLb1EEEEDaST_SU_EUlST_E_NS1_11comp_targetILNS1_3genE9ELNS1_11target_archE1100ELNS1_3gpuE3ELNS1_3repE0EEENS1_30default_config_static_selectorELNS0_4arch9wavefront6targetE0EEEvT1_
		.amdhsa_group_segment_fixed_size 0
		.amdhsa_private_segment_fixed_size 0
		.amdhsa_kernarg_size 112
		.amdhsa_user_sgpr_count 2
		.amdhsa_user_sgpr_dispatch_ptr 0
		.amdhsa_user_sgpr_queue_ptr 0
		.amdhsa_user_sgpr_kernarg_segment_ptr 1
		.amdhsa_user_sgpr_dispatch_id 0
		.amdhsa_user_sgpr_kernarg_preload_length 0
		.amdhsa_user_sgpr_kernarg_preload_offset 0
		.amdhsa_user_sgpr_private_segment_size 0
		.amdhsa_wavefront_size32 1
		.amdhsa_uses_dynamic_stack 0
		.amdhsa_enable_private_segment 0
		.amdhsa_system_sgpr_workgroup_id_x 1
		.amdhsa_system_sgpr_workgroup_id_y 0
		.amdhsa_system_sgpr_workgroup_id_z 0
		.amdhsa_system_sgpr_workgroup_info 0
		.amdhsa_system_vgpr_workitem_id 0
		.amdhsa_next_free_vgpr 1
		.amdhsa_next_free_sgpr 1
		.amdhsa_named_barrier_count 0
		.amdhsa_reserve_vcc 0
		.amdhsa_float_round_mode_32 0
		.amdhsa_float_round_mode_16_64 0
		.amdhsa_float_denorm_mode_32 3
		.amdhsa_float_denorm_mode_16_64 3
		.amdhsa_fp16_overflow 0
		.amdhsa_memory_ordered 1
		.amdhsa_forward_progress 1
		.amdhsa_inst_pref_size 0
		.amdhsa_round_robin_scheduling 0
		.amdhsa_exception_fp_ieee_invalid_op 0
		.amdhsa_exception_fp_denorm_src 0
		.amdhsa_exception_fp_ieee_div_zero 0
		.amdhsa_exception_fp_ieee_overflow 0
		.amdhsa_exception_fp_ieee_underflow 0
		.amdhsa_exception_fp_ieee_inexact 0
		.amdhsa_exception_int_div_zero 0
	.end_amdhsa_kernel
	.section	.text._ZN7rocprim17ROCPRIM_400000_NS6detail17trampoline_kernelINS0_14default_configENS1_27scan_by_key_config_selectorIiiEEZZNS1_16scan_by_key_implILNS1_25lookback_scan_determinismE0ELb0ES3_N6thrust23THRUST_200600_302600_NS6detail15normal_iteratorINS9_10device_ptrIiEEEESE_SE_iNS9_4plusIiEE19head_flag_predicateiEE10hipError_tPvRmT2_T3_T4_T5_mT6_T7_P12ihipStream_tbENKUlT_T0_E_clISt17integral_constantIbLb0EESX_IbLb1EEEEDaST_SU_EUlST_E_NS1_11comp_targetILNS1_3genE9ELNS1_11target_archE1100ELNS1_3gpuE3ELNS1_3repE0EEENS1_30default_config_static_selectorELNS0_4arch9wavefront6targetE0EEEvT1_,"axG",@progbits,_ZN7rocprim17ROCPRIM_400000_NS6detail17trampoline_kernelINS0_14default_configENS1_27scan_by_key_config_selectorIiiEEZZNS1_16scan_by_key_implILNS1_25lookback_scan_determinismE0ELb0ES3_N6thrust23THRUST_200600_302600_NS6detail15normal_iteratorINS9_10device_ptrIiEEEESE_SE_iNS9_4plusIiEE19head_flag_predicateiEE10hipError_tPvRmT2_T3_T4_T5_mT6_T7_P12ihipStream_tbENKUlT_T0_E_clISt17integral_constantIbLb0EESX_IbLb1EEEEDaST_SU_EUlST_E_NS1_11comp_targetILNS1_3genE9ELNS1_11target_archE1100ELNS1_3gpuE3ELNS1_3repE0EEENS1_30default_config_static_selectorELNS0_4arch9wavefront6targetE0EEEvT1_,comdat
.Lfunc_end783:
	.size	_ZN7rocprim17ROCPRIM_400000_NS6detail17trampoline_kernelINS0_14default_configENS1_27scan_by_key_config_selectorIiiEEZZNS1_16scan_by_key_implILNS1_25lookback_scan_determinismE0ELb0ES3_N6thrust23THRUST_200600_302600_NS6detail15normal_iteratorINS9_10device_ptrIiEEEESE_SE_iNS9_4plusIiEE19head_flag_predicateiEE10hipError_tPvRmT2_T3_T4_T5_mT6_T7_P12ihipStream_tbENKUlT_T0_E_clISt17integral_constantIbLb0EESX_IbLb1EEEEDaST_SU_EUlST_E_NS1_11comp_targetILNS1_3genE9ELNS1_11target_archE1100ELNS1_3gpuE3ELNS1_3repE0EEENS1_30default_config_static_selectorELNS0_4arch9wavefront6targetE0EEEvT1_, .Lfunc_end783-_ZN7rocprim17ROCPRIM_400000_NS6detail17trampoline_kernelINS0_14default_configENS1_27scan_by_key_config_selectorIiiEEZZNS1_16scan_by_key_implILNS1_25lookback_scan_determinismE0ELb0ES3_N6thrust23THRUST_200600_302600_NS6detail15normal_iteratorINS9_10device_ptrIiEEEESE_SE_iNS9_4plusIiEE19head_flag_predicateiEE10hipError_tPvRmT2_T3_T4_T5_mT6_T7_P12ihipStream_tbENKUlT_T0_E_clISt17integral_constantIbLb0EESX_IbLb1EEEEDaST_SU_EUlST_E_NS1_11comp_targetILNS1_3genE9ELNS1_11target_archE1100ELNS1_3gpuE3ELNS1_3repE0EEENS1_30default_config_static_selectorELNS0_4arch9wavefront6targetE0EEEvT1_
                                        ; -- End function
	.set _ZN7rocprim17ROCPRIM_400000_NS6detail17trampoline_kernelINS0_14default_configENS1_27scan_by_key_config_selectorIiiEEZZNS1_16scan_by_key_implILNS1_25lookback_scan_determinismE0ELb0ES3_N6thrust23THRUST_200600_302600_NS6detail15normal_iteratorINS9_10device_ptrIiEEEESE_SE_iNS9_4plusIiEE19head_flag_predicateiEE10hipError_tPvRmT2_T3_T4_T5_mT6_T7_P12ihipStream_tbENKUlT_T0_E_clISt17integral_constantIbLb0EESX_IbLb1EEEEDaST_SU_EUlST_E_NS1_11comp_targetILNS1_3genE9ELNS1_11target_archE1100ELNS1_3gpuE3ELNS1_3repE0EEENS1_30default_config_static_selectorELNS0_4arch9wavefront6targetE0EEEvT1_.num_vgpr, 0
	.set _ZN7rocprim17ROCPRIM_400000_NS6detail17trampoline_kernelINS0_14default_configENS1_27scan_by_key_config_selectorIiiEEZZNS1_16scan_by_key_implILNS1_25lookback_scan_determinismE0ELb0ES3_N6thrust23THRUST_200600_302600_NS6detail15normal_iteratorINS9_10device_ptrIiEEEESE_SE_iNS9_4plusIiEE19head_flag_predicateiEE10hipError_tPvRmT2_T3_T4_T5_mT6_T7_P12ihipStream_tbENKUlT_T0_E_clISt17integral_constantIbLb0EESX_IbLb1EEEEDaST_SU_EUlST_E_NS1_11comp_targetILNS1_3genE9ELNS1_11target_archE1100ELNS1_3gpuE3ELNS1_3repE0EEENS1_30default_config_static_selectorELNS0_4arch9wavefront6targetE0EEEvT1_.num_agpr, 0
	.set _ZN7rocprim17ROCPRIM_400000_NS6detail17trampoline_kernelINS0_14default_configENS1_27scan_by_key_config_selectorIiiEEZZNS1_16scan_by_key_implILNS1_25lookback_scan_determinismE0ELb0ES3_N6thrust23THRUST_200600_302600_NS6detail15normal_iteratorINS9_10device_ptrIiEEEESE_SE_iNS9_4plusIiEE19head_flag_predicateiEE10hipError_tPvRmT2_T3_T4_T5_mT6_T7_P12ihipStream_tbENKUlT_T0_E_clISt17integral_constantIbLb0EESX_IbLb1EEEEDaST_SU_EUlST_E_NS1_11comp_targetILNS1_3genE9ELNS1_11target_archE1100ELNS1_3gpuE3ELNS1_3repE0EEENS1_30default_config_static_selectorELNS0_4arch9wavefront6targetE0EEEvT1_.numbered_sgpr, 0
	.set _ZN7rocprim17ROCPRIM_400000_NS6detail17trampoline_kernelINS0_14default_configENS1_27scan_by_key_config_selectorIiiEEZZNS1_16scan_by_key_implILNS1_25lookback_scan_determinismE0ELb0ES3_N6thrust23THRUST_200600_302600_NS6detail15normal_iteratorINS9_10device_ptrIiEEEESE_SE_iNS9_4plusIiEE19head_flag_predicateiEE10hipError_tPvRmT2_T3_T4_T5_mT6_T7_P12ihipStream_tbENKUlT_T0_E_clISt17integral_constantIbLb0EESX_IbLb1EEEEDaST_SU_EUlST_E_NS1_11comp_targetILNS1_3genE9ELNS1_11target_archE1100ELNS1_3gpuE3ELNS1_3repE0EEENS1_30default_config_static_selectorELNS0_4arch9wavefront6targetE0EEEvT1_.num_named_barrier, 0
	.set _ZN7rocprim17ROCPRIM_400000_NS6detail17trampoline_kernelINS0_14default_configENS1_27scan_by_key_config_selectorIiiEEZZNS1_16scan_by_key_implILNS1_25lookback_scan_determinismE0ELb0ES3_N6thrust23THRUST_200600_302600_NS6detail15normal_iteratorINS9_10device_ptrIiEEEESE_SE_iNS9_4plusIiEE19head_flag_predicateiEE10hipError_tPvRmT2_T3_T4_T5_mT6_T7_P12ihipStream_tbENKUlT_T0_E_clISt17integral_constantIbLb0EESX_IbLb1EEEEDaST_SU_EUlST_E_NS1_11comp_targetILNS1_3genE9ELNS1_11target_archE1100ELNS1_3gpuE3ELNS1_3repE0EEENS1_30default_config_static_selectorELNS0_4arch9wavefront6targetE0EEEvT1_.private_seg_size, 0
	.set _ZN7rocprim17ROCPRIM_400000_NS6detail17trampoline_kernelINS0_14default_configENS1_27scan_by_key_config_selectorIiiEEZZNS1_16scan_by_key_implILNS1_25lookback_scan_determinismE0ELb0ES3_N6thrust23THRUST_200600_302600_NS6detail15normal_iteratorINS9_10device_ptrIiEEEESE_SE_iNS9_4plusIiEE19head_flag_predicateiEE10hipError_tPvRmT2_T3_T4_T5_mT6_T7_P12ihipStream_tbENKUlT_T0_E_clISt17integral_constantIbLb0EESX_IbLb1EEEEDaST_SU_EUlST_E_NS1_11comp_targetILNS1_3genE9ELNS1_11target_archE1100ELNS1_3gpuE3ELNS1_3repE0EEENS1_30default_config_static_selectorELNS0_4arch9wavefront6targetE0EEEvT1_.uses_vcc, 0
	.set _ZN7rocprim17ROCPRIM_400000_NS6detail17trampoline_kernelINS0_14default_configENS1_27scan_by_key_config_selectorIiiEEZZNS1_16scan_by_key_implILNS1_25lookback_scan_determinismE0ELb0ES3_N6thrust23THRUST_200600_302600_NS6detail15normal_iteratorINS9_10device_ptrIiEEEESE_SE_iNS9_4plusIiEE19head_flag_predicateiEE10hipError_tPvRmT2_T3_T4_T5_mT6_T7_P12ihipStream_tbENKUlT_T0_E_clISt17integral_constantIbLb0EESX_IbLb1EEEEDaST_SU_EUlST_E_NS1_11comp_targetILNS1_3genE9ELNS1_11target_archE1100ELNS1_3gpuE3ELNS1_3repE0EEENS1_30default_config_static_selectorELNS0_4arch9wavefront6targetE0EEEvT1_.uses_flat_scratch, 0
	.set _ZN7rocprim17ROCPRIM_400000_NS6detail17trampoline_kernelINS0_14default_configENS1_27scan_by_key_config_selectorIiiEEZZNS1_16scan_by_key_implILNS1_25lookback_scan_determinismE0ELb0ES3_N6thrust23THRUST_200600_302600_NS6detail15normal_iteratorINS9_10device_ptrIiEEEESE_SE_iNS9_4plusIiEE19head_flag_predicateiEE10hipError_tPvRmT2_T3_T4_T5_mT6_T7_P12ihipStream_tbENKUlT_T0_E_clISt17integral_constantIbLb0EESX_IbLb1EEEEDaST_SU_EUlST_E_NS1_11comp_targetILNS1_3genE9ELNS1_11target_archE1100ELNS1_3gpuE3ELNS1_3repE0EEENS1_30default_config_static_selectorELNS0_4arch9wavefront6targetE0EEEvT1_.has_dyn_sized_stack, 0
	.set _ZN7rocprim17ROCPRIM_400000_NS6detail17trampoline_kernelINS0_14default_configENS1_27scan_by_key_config_selectorIiiEEZZNS1_16scan_by_key_implILNS1_25lookback_scan_determinismE0ELb0ES3_N6thrust23THRUST_200600_302600_NS6detail15normal_iteratorINS9_10device_ptrIiEEEESE_SE_iNS9_4plusIiEE19head_flag_predicateiEE10hipError_tPvRmT2_T3_T4_T5_mT6_T7_P12ihipStream_tbENKUlT_T0_E_clISt17integral_constantIbLb0EESX_IbLb1EEEEDaST_SU_EUlST_E_NS1_11comp_targetILNS1_3genE9ELNS1_11target_archE1100ELNS1_3gpuE3ELNS1_3repE0EEENS1_30default_config_static_selectorELNS0_4arch9wavefront6targetE0EEEvT1_.has_recursion, 0
	.set _ZN7rocprim17ROCPRIM_400000_NS6detail17trampoline_kernelINS0_14default_configENS1_27scan_by_key_config_selectorIiiEEZZNS1_16scan_by_key_implILNS1_25lookback_scan_determinismE0ELb0ES3_N6thrust23THRUST_200600_302600_NS6detail15normal_iteratorINS9_10device_ptrIiEEEESE_SE_iNS9_4plusIiEE19head_flag_predicateiEE10hipError_tPvRmT2_T3_T4_T5_mT6_T7_P12ihipStream_tbENKUlT_T0_E_clISt17integral_constantIbLb0EESX_IbLb1EEEEDaST_SU_EUlST_E_NS1_11comp_targetILNS1_3genE9ELNS1_11target_archE1100ELNS1_3gpuE3ELNS1_3repE0EEENS1_30default_config_static_selectorELNS0_4arch9wavefront6targetE0EEEvT1_.has_indirect_call, 0
	.section	.AMDGPU.csdata,"",@progbits
; Kernel info:
; codeLenInByte = 0
; TotalNumSgprs: 0
; NumVgprs: 0
; ScratchSize: 0
; MemoryBound: 0
; FloatMode: 240
; IeeeMode: 1
; LDSByteSize: 0 bytes/workgroup (compile time only)
; SGPRBlocks: 0
; VGPRBlocks: 0
; NumSGPRsForWavesPerEU: 1
; NumVGPRsForWavesPerEU: 1
; NamedBarCnt: 0
; Occupancy: 16
; WaveLimiterHint : 0
; COMPUTE_PGM_RSRC2:SCRATCH_EN: 0
; COMPUTE_PGM_RSRC2:USER_SGPR: 2
; COMPUTE_PGM_RSRC2:TRAP_HANDLER: 0
; COMPUTE_PGM_RSRC2:TGID_X_EN: 1
; COMPUTE_PGM_RSRC2:TGID_Y_EN: 0
; COMPUTE_PGM_RSRC2:TGID_Z_EN: 0
; COMPUTE_PGM_RSRC2:TIDIG_COMP_CNT: 0
	.section	.text._ZN7rocprim17ROCPRIM_400000_NS6detail17trampoline_kernelINS0_14default_configENS1_27scan_by_key_config_selectorIiiEEZZNS1_16scan_by_key_implILNS1_25lookback_scan_determinismE0ELb0ES3_N6thrust23THRUST_200600_302600_NS6detail15normal_iteratorINS9_10device_ptrIiEEEESE_SE_iNS9_4plusIiEE19head_flag_predicateiEE10hipError_tPvRmT2_T3_T4_T5_mT6_T7_P12ihipStream_tbENKUlT_T0_E_clISt17integral_constantIbLb0EESX_IbLb1EEEEDaST_SU_EUlST_E_NS1_11comp_targetILNS1_3genE8ELNS1_11target_archE1030ELNS1_3gpuE2ELNS1_3repE0EEENS1_30default_config_static_selectorELNS0_4arch9wavefront6targetE0EEEvT1_,"axG",@progbits,_ZN7rocprim17ROCPRIM_400000_NS6detail17trampoline_kernelINS0_14default_configENS1_27scan_by_key_config_selectorIiiEEZZNS1_16scan_by_key_implILNS1_25lookback_scan_determinismE0ELb0ES3_N6thrust23THRUST_200600_302600_NS6detail15normal_iteratorINS9_10device_ptrIiEEEESE_SE_iNS9_4plusIiEE19head_flag_predicateiEE10hipError_tPvRmT2_T3_T4_T5_mT6_T7_P12ihipStream_tbENKUlT_T0_E_clISt17integral_constantIbLb0EESX_IbLb1EEEEDaST_SU_EUlST_E_NS1_11comp_targetILNS1_3genE8ELNS1_11target_archE1030ELNS1_3gpuE2ELNS1_3repE0EEENS1_30default_config_static_selectorELNS0_4arch9wavefront6targetE0EEEvT1_,comdat
	.protected	_ZN7rocprim17ROCPRIM_400000_NS6detail17trampoline_kernelINS0_14default_configENS1_27scan_by_key_config_selectorIiiEEZZNS1_16scan_by_key_implILNS1_25lookback_scan_determinismE0ELb0ES3_N6thrust23THRUST_200600_302600_NS6detail15normal_iteratorINS9_10device_ptrIiEEEESE_SE_iNS9_4plusIiEE19head_flag_predicateiEE10hipError_tPvRmT2_T3_T4_T5_mT6_T7_P12ihipStream_tbENKUlT_T0_E_clISt17integral_constantIbLb0EESX_IbLb1EEEEDaST_SU_EUlST_E_NS1_11comp_targetILNS1_3genE8ELNS1_11target_archE1030ELNS1_3gpuE2ELNS1_3repE0EEENS1_30default_config_static_selectorELNS0_4arch9wavefront6targetE0EEEvT1_ ; -- Begin function _ZN7rocprim17ROCPRIM_400000_NS6detail17trampoline_kernelINS0_14default_configENS1_27scan_by_key_config_selectorIiiEEZZNS1_16scan_by_key_implILNS1_25lookback_scan_determinismE0ELb0ES3_N6thrust23THRUST_200600_302600_NS6detail15normal_iteratorINS9_10device_ptrIiEEEESE_SE_iNS9_4plusIiEE19head_flag_predicateiEE10hipError_tPvRmT2_T3_T4_T5_mT6_T7_P12ihipStream_tbENKUlT_T0_E_clISt17integral_constantIbLb0EESX_IbLb1EEEEDaST_SU_EUlST_E_NS1_11comp_targetILNS1_3genE8ELNS1_11target_archE1030ELNS1_3gpuE2ELNS1_3repE0EEENS1_30default_config_static_selectorELNS0_4arch9wavefront6targetE0EEEvT1_
	.globl	_ZN7rocprim17ROCPRIM_400000_NS6detail17trampoline_kernelINS0_14default_configENS1_27scan_by_key_config_selectorIiiEEZZNS1_16scan_by_key_implILNS1_25lookback_scan_determinismE0ELb0ES3_N6thrust23THRUST_200600_302600_NS6detail15normal_iteratorINS9_10device_ptrIiEEEESE_SE_iNS9_4plusIiEE19head_flag_predicateiEE10hipError_tPvRmT2_T3_T4_T5_mT6_T7_P12ihipStream_tbENKUlT_T0_E_clISt17integral_constantIbLb0EESX_IbLb1EEEEDaST_SU_EUlST_E_NS1_11comp_targetILNS1_3genE8ELNS1_11target_archE1030ELNS1_3gpuE2ELNS1_3repE0EEENS1_30default_config_static_selectorELNS0_4arch9wavefront6targetE0EEEvT1_
	.p2align	8
	.type	_ZN7rocprim17ROCPRIM_400000_NS6detail17trampoline_kernelINS0_14default_configENS1_27scan_by_key_config_selectorIiiEEZZNS1_16scan_by_key_implILNS1_25lookback_scan_determinismE0ELb0ES3_N6thrust23THRUST_200600_302600_NS6detail15normal_iteratorINS9_10device_ptrIiEEEESE_SE_iNS9_4plusIiEE19head_flag_predicateiEE10hipError_tPvRmT2_T3_T4_T5_mT6_T7_P12ihipStream_tbENKUlT_T0_E_clISt17integral_constantIbLb0EESX_IbLb1EEEEDaST_SU_EUlST_E_NS1_11comp_targetILNS1_3genE8ELNS1_11target_archE1030ELNS1_3gpuE2ELNS1_3repE0EEENS1_30default_config_static_selectorELNS0_4arch9wavefront6targetE0EEEvT1_,@function
_ZN7rocprim17ROCPRIM_400000_NS6detail17trampoline_kernelINS0_14default_configENS1_27scan_by_key_config_selectorIiiEEZZNS1_16scan_by_key_implILNS1_25lookback_scan_determinismE0ELb0ES3_N6thrust23THRUST_200600_302600_NS6detail15normal_iteratorINS9_10device_ptrIiEEEESE_SE_iNS9_4plusIiEE19head_flag_predicateiEE10hipError_tPvRmT2_T3_T4_T5_mT6_T7_P12ihipStream_tbENKUlT_T0_E_clISt17integral_constantIbLb0EESX_IbLb1EEEEDaST_SU_EUlST_E_NS1_11comp_targetILNS1_3genE8ELNS1_11target_archE1030ELNS1_3gpuE2ELNS1_3repE0EEENS1_30default_config_static_selectorELNS0_4arch9wavefront6targetE0EEEvT1_: ; @_ZN7rocprim17ROCPRIM_400000_NS6detail17trampoline_kernelINS0_14default_configENS1_27scan_by_key_config_selectorIiiEEZZNS1_16scan_by_key_implILNS1_25lookback_scan_determinismE0ELb0ES3_N6thrust23THRUST_200600_302600_NS6detail15normal_iteratorINS9_10device_ptrIiEEEESE_SE_iNS9_4plusIiEE19head_flag_predicateiEE10hipError_tPvRmT2_T3_T4_T5_mT6_T7_P12ihipStream_tbENKUlT_T0_E_clISt17integral_constantIbLb0EESX_IbLb1EEEEDaST_SU_EUlST_E_NS1_11comp_targetILNS1_3genE8ELNS1_11target_archE1030ELNS1_3gpuE2ELNS1_3repE0EEENS1_30default_config_static_selectorELNS0_4arch9wavefront6targetE0EEEvT1_
; %bb.0:
	.section	.rodata,"a",@progbits
	.p2align	6, 0x0
	.amdhsa_kernel _ZN7rocprim17ROCPRIM_400000_NS6detail17trampoline_kernelINS0_14default_configENS1_27scan_by_key_config_selectorIiiEEZZNS1_16scan_by_key_implILNS1_25lookback_scan_determinismE0ELb0ES3_N6thrust23THRUST_200600_302600_NS6detail15normal_iteratorINS9_10device_ptrIiEEEESE_SE_iNS9_4plusIiEE19head_flag_predicateiEE10hipError_tPvRmT2_T3_T4_T5_mT6_T7_P12ihipStream_tbENKUlT_T0_E_clISt17integral_constantIbLb0EESX_IbLb1EEEEDaST_SU_EUlST_E_NS1_11comp_targetILNS1_3genE8ELNS1_11target_archE1030ELNS1_3gpuE2ELNS1_3repE0EEENS1_30default_config_static_selectorELNS0_4arch9wavefront6targetE0EEEvT1_
		.amdhsa_group_segment_fixed_size 0
		.amdhsa_private_segment_fixed_size 0
		.amdhsa_kernarg_size 112
		.amdhsa_user_sgpr_count 2
		.amdhsa_user_sgpr_dispatch_ptr 0
		.amdhsa_user_sgpr_queue_ptr 0
		.amdhsa_user_sgpr_kernarg_segment_ptr 1
		.amdhsa_user_sgpr_dispatch_id 0
		.amdhsa_user_sgpr_kernarg_preload_length 0
		.amdhsa_user_sgpr_kernarg_preload_offset 0
		.amdhsa_user_sgpr_private_segment_size 0
		.amdhsa_wavefront_size32 1
		.amdhsa_uses_dynamic_stack 0
		.amdhsa_enable_private_segment 0
		.amdhsa_system_sgpr_workgroup_id_x 1
		.amdhsa_system_sgpr_workgroup_id_y 0
		.amdhsa_system_sgpr_workgroup_id_z 0
		.amdhsa_system_sgpr_workgroup_info 0
		.amdhsa_system_vgpr_workitem_id 0
		.amdhsa_next_free_vgpr 1
		.amdhsa_next_free_sgpr 1
		.amdhsa_named_barrier_count 0
		.amdhsa_reserve_vcc 0
		.amdhsa_float_round_mode_32 0
		.amdhsa_float_round_mode_16_64 0
		.amdhsa_float_denorm_mode_32 3
		.amdhsa_float_denorm_mode_16_64 3
		.amdhsa_fp16_overflow 0
		.amdhsa_memory_ordered 1
		.amdhsa_forward_progress 1
		.amdhsa_inst_pref_size 0
		.amdhsa_round_robin_scheduling 0
		.amdhsa_exception_fp_ieee_invalid_op 0
		.amdhsa_exception_fp_denorm_src 0
		.amdhsa_exception_fp_ieee_div_zero 0
		.amdhsa_exception_fp_ieee_overflow 0
		.amdhsa_exception_fp_ieee_underflow 0
		.amdhsa_exception_fp_ieee_inexact 0
		.amdhsa_exception_int_div_zero 0
	.end_amdhsa_kernel
	.section	.text._ZN7rocprim17ROCPRIM_400000_NS6detail17trampoline_kernelINS0_14default_configENS1_27scan_by_key_config_selectorIiiEEZZNS1_16scan_by_key_implILNS1_25lookback_scan_determinismE0ELb0ES3_N6thrust23THRUST_200600_302600_NS6detail15normal_iteratorINS9_10device_ptrIiEEEESE_SE_iNS9_4plusIiEE19head_flag_predicateiEE10hipError_tPvRmT2_T3_T4_T5_mT6_T7_P12ihipStream_tbENKUlT_T0_E_clISt17integral_constantIbLb0EESX_IbLb1EEEEDaST_SU_EUlST_E_NS1_11comp_targetILNS1_3genE8ELNS1_11target_archE1030ELNS1_3gpuE2ELNS1_3repE0EEENS1_30default_config_static_selectorELNS0_4arch9wavefront6targetE0EEEvT1_,"axG",@progbits,_ZN7rocprim17ROCPRIM_400000_NS6detail17trampoline_kernelINS0_14default_configENS1_27scan_by_key_config_selectorIiiEEZZNS1_16scan_by_key_implILNS1_25lookback_scan_determinismE0ELb0ES3_N6thrust23THRUST_200600_302600_NS6detail15normal_iteratorINS9_10device_ptrIiEEEESE_SE_iNS9_4plusIiEE19head_flag_predicateiEE10hipError_tPvRmT2_T3_T4_T5_mT6_T7_P12ihipStream_tbENKUlT_T0_E_clISt17integral_constantIbLb0EESX_IbLb1EEEEDaST_SU_EUlST_E_NS1_11comp_targetILNS1_3genE8ELNS1_11target_archE1030ELNS1_3gpuE2ELNS1_3repE0EEENS1_30default_config_static_selectorELNS0_4arch9wavefront6targetE0EEEvT1_,comdat
.Lfunc_end784:
	.size	_ZN7rocprim17ROCPRIM_400000_NS6detail17trampoline_kernelINS0_14default_configENS1_27scan_by_key_config_selectorIiiEEZZNS1_16scan_by_key_implILNS1_25lookback_scan_determinismE0ELb0ES3_N6thrust23THRUST_200600_302600_NS6detail15normal_iteratorINS9_10device_ptrIiEEEESE_SE_iNS9_4plusIiEE19head_flag_predicateiEE10hipError_tPvRmT2_T3_T4_T5_mT6_T7_P12ihipStream_tbENKUlT_T0_E_clISt17integral_constantIbLb0EESX_IbLb1EEEEDaST_SU_EUlST_E_NS1_11comp_targetILNS1_3genE8ELNS1_11target_archE1030ELNS1_3gpuE2ELNS1_3repE0EEENS1_30default_config_static_selectorELNS0_4arch9wavefront6targetE0EEEvT1_, .Lfunc_end784-_ZN7rocprim17ROCPRIM_400000_NS6detail17trampoline_kernelINS0_14default_configENS1_27scan_by_key_config_selectorIiiEEZZNS1_16scan_by_key_implILNS1_25lookback_scan_determinismE0ELb0ES3_N6thrust23THRUST_200600_302600_NS6detail15normal_iteratorINS9_10device_ptrIiEEEESE_SE_iNS9_4plusIiEE19head_flag_predicateiEE10hipError_tPvRmT2_T3_T4_T5_mT6_T7_P12ihipStream_tbENKUlT_T0_E_clISt17integral_constantIbLb0EESX_IbLb1EEEEDaST_SU_EUlST_E_NS1_11comp_targetILNS1_3genE8ELNS1_11target_archE1030ELNS1_3gpuE2ELNS1_3repE0EEENS1_30default_config_static_selectorELNS0_4arch9wavefront6targetE0EEEvT1_
                                        ; -- End function
	.set _ZN7rocprim17ROCPRIM_400000_NS6detail17trampoline_kernelINS0_14default_configENS1_27scan_by_key_config_selectorIiiEEZZNS1_16scan_by_key_implILNS1_25lookback_scan_determinismE0ELb0ES3_N6thrust23THRUST_200600_302600_NS6detail15normal_iteratorINS9_10device_ptrIiEEEESE_SE_iNS9_4plusIiEE19head_flag_predicateiEE10hipError_tPvRmT2_T3_T4_T5_mT6_T7_P12ihipStream_tbENKUlT_T0_E_clISt17integral_constantIbLb0EESX_IbLb1EEEEDaST_SU_EUlST_E_NS1_11comp_targetILNS1_3genE8ELNS1_11target_archE1030ELNS1_3gpuE2ELNS1_3repE0EEENS1_30default_config_static_selectorELNS0_4arch9wavefront6targetE0EEEvT1_.num_vgpr, 0
	.set _ZN7rocprim17ROCPRIM_400000_NS6detail17trampoline_kernelINS0_14default_configENS1_27scan_by_key_config_selectorIiiEEZZNS1_16scan_by_key_implILNS1_25lookback_scan_determinismE0ELb0ES3_N6thrust23THRUST_200600_302600_NS6detail15normal_iteratorINS9_10device_ptrIiEEEESE_SE_iNS9_4plusIiEE19head_flag_predicateiEE10hipError_tPvRmT2_T3_T4_T5_mT6_T7_P12ihipStream_tbENKUlT_T0_E_clISt17integral_constantIbLb0EESX_IbLb1EEEEDaST_SU_EUlST_E_NS1_11comp_targetILNS1_3genE8ELNS1_11target_archE1030ELNS1_3gpuE2ELNS1_3repE0EEENS1_30default_config_static_selectorELNS0_4arch9wavefront6targetE0EEEvT1_.num_agpr, 0
	.set _ZN7rocprim17ROCPRIM_400000_NS6detail17trampoline_kernelINS0_14default_configENS1_27scan_by_key_config_selectorIiiEEZZNS1_16scan_by_key_implILNS1_25lookback_scan_determinismE0ELb0ES3_N6thrust23THRUST_200600_302600_NS6detail15normal_iteratorINS9_10device_ptrIiEEEESE_SE_iNS9_4plusIiEE19head_flag_predicateiEE10hipError_tPvRmT2_T3_T4_T5_mT6_T7_P12ihipStream_tbENKUlT_T0_E_clISt17integral_constantIbLb0EESX_IbLb1EEEEDaST_SU_EUlST_E_NS1_11comp_targetILNS1_3genE8ELNS1_11target_archE1030ELNS1_3gpuE2ELNS1_3repE0EEENS1_30default_config_static_selectorELNS0_4arch9wavefront6targetE0EEEvT1_.numbered_sgpr, 0
	.set _ZN7rocprim17ROCPRIM_400000_NS6detail17trampoline_kernelINS0_14default_configENS1_27scan_by_key_config_selectorIiiEEZZNS1_16scan_by_key_implILNS1_25lookback_scan_determinismE0ELb0ES3_N6thrust23THRUST_200600_302600_NS6detail15normal_iteratorINS9_10device_ptrIiEEEESE_SE_iNS9_4plusIiEE19head_flag_predicateiEE10hipError_tPvRmT2_T3_T4_T5_mT6_T7_P12ihipStream_tbENKUlT_T0_E_clISt17integral_constantIbLb0EESX_IbLb1EEEEDaST_SU_EUlST_E_NS1_11comp_targetILNS1_3genE8ELNS1_11target_archE1030ELNS1_3gpuE2ELNS1_3repE0EEENS1_30default_config_static_selectorELNS0_4arch9wavefront6targetE0EEEvT1_.num_named_barrier, 0
	.set _ZN7rocprim17ROCPRIM_400000_NS6detail17trampoline_kernelINS0_14default_configENS1_27scan_by_key_config_selectorIiiEEZZNS1_16scan_by_key_implILNS1_25lookback_scan_determinismE0ELb0ES3_N6thrust23THRUST_200600_302600_NS6detail15normal_iteratorINS9_10device_ptrIiEEEESE_SE_iNS9_4plusIiEE19head_flag_predicateiEE10hipError_tPvRmT2_T3_T4_T5_mT6_T7_P12ihipStream_tbENKUlT_T0_E_clISt17integral_constantIbLb0EESX_IbLb1EEEEDaST_SU_EUlST_E_NS1_11comp_targetILNS1_3genE8ELNS1_11target_archE1030ELNS1_3gpuE2ELNS1_3repE0EEENS1_30default_config_static_selectorELNS0_4arch9wavefront6targetE0EEEvT1_.private_seg_size, 0
	.set _ZN7rocprim17ROCPRIM_400000_NS6detail17trampoline_kernelINS0_14default_configENS1_27scan_by_key_config_selectorIiiEEZZNS1_16scan_by_key_implILNS1_25lookback_scan_determinismE0ELb0ES3_N6thrust23THRUST_200600_302600_NS6detail15normal_iteratorINS9_10device_ptrIiEEEESE_SE_iNS9_4plusIiEE19head_flag_predicateiEE10hipError_tPvRmT2_T3_T4_T5_mT6_T7_P12ihipStream_tbENKUlT_T0_E_clISt17integral_constantIbLb0EESX_IbLb1EEEEDaST_SU_EUlST_E_NS1_11comp_targetILNS1_3genE8ELNS1_11target_archE1030ELNS1_3gpuE2ELNS1_3repE0EEENS1_30default_config_static_selectorELNS0_4arch9wavefront6targetE0EEEvT1_.uses_vcc, 0
	.set _ZN7rocprim17ROCPRIM_400000_NS6detail17trampoline_kernelINS0_14default_configENS1_27scan_by_key_config_selectorIiiEEZZNS1_16scan_by_key_implILNS1_25lookback_scan_determinismE0ELb0ES3_N6thrust23THRUST_200600_302600_NS6detail15normal_iteratorINS9_10device_ptrIiEEEESE_SE_iNS9_4plusIiEE19head_flag_predicateiEE10hipError_tPvRmT2_T3_T4_T5_mT6_T7_P12ihipStream_tbENKUlT_T0_E_clISt17integral_constantIbLb0EESX_IbLb1EEEEDaST_SU_EUlST_E_NS1_11comp_targetILNS1_3genE8ELNS1_11target_archE1030ELNS1_3gpuE2ELNS1_3repE0EEENS1_30default_config_static_selectorELNS0_4arch9wavefront6targetE0EEEvT1_.uses_flat_scratch, 0
	.set _ZN7rocprim17ROCPRIM_400000_NS6detail17trampoline_kernelINS0_14default_configENS1_27scan_by_key_config_selectorIiiEEZZNS1_16scan_by_key_implILNS1_25lookback_scan_determinismE0ELb0ES3_N6thrust23THRUST_200600_302600_NS6detail15normal_iteratorINS9_10device_ptrIiEEEESE_SE_iNS9_4plusIiEE19head_flag_predicateiEE10hipError_tPvRmT2_T3_T4_T5_mT6_T7_P12ihipStream_tbENKUlT_T0_E_clISt17integral_constantIbLb0EESX_IbLb1EEEEDaST_SU_EUlST_E_NS1_11comp_targetILNS1_3genE8ELNS1_11target_archE1030ELNS1_3gpuE2ELNS1_3repE0EEENS1_30default_config_static_selectorELNS0_4arch9wavefront6targetE0EEEvT1_.has_dyn_sized_stack, 0
	.set _ZN7rocprim17ROCPRIM_400000_NS6detail17trampoline_kernelINS0_14default_configENS1_27scan_by_key_config_selectorIiiEEZZNS1_16scan_by_key_implILNS1_25lookback_scan_determinismE0ELb0ES3_N6thrust23THRUST_200600_302600_NS6detail15normal_iteratorINS9_10device_ptrIiEEEESE_SE_iNS9_4plusIiEE19head_flag_predicateiEE10hipError_tPvRmT2_T3_T4_T5_mT6_T7_P12ihipStream_tbENKUlT_T0_E_clISt17integral_constantIbLb0EESX_IbLb1EEEEDaST_SU_EUlST_E_NS1_11comp_targetILNS1_3genE8ELNS1_11target_archE1030ELNS1_3gpuE2ELNS1_3repE0EEENS1_30default_config_static_selectorELNS0_4arch9wavefront6targetE0EEEvT1_.has_recursion, 0
	.set _ZN7rocprim17ROCPRIM_400000_NS6detail17trampoline_kernelINS0_14default_configENS1_27scan_by_key_config_selectorIiiEEZZNS1_16scan_by_key_implILNS1_25lookback_scan_determinismE0ELb0ES3_N6thrust23THRUST_200600_302600_NS6detail15normal_iteratorINS9_10device_ptrIiEEEESE_SE_iNS9_4plusIiEE19head_flag_predicateiEE10hipError_tPvRmT2_T3_T4_T5_mT6_T7_P12ihipStream_tbENKUlT_T0_E_clISt17integral_constantIbLb0EESX_IbLb1EEEEDaST_SU_EUlST_E_NS1_11comp_targetILNS1_3genE8ELNS1_11target_archE1030ELNS1_3gpuE2ELNS1_3repE0EEENS1_30default_config_static_selectorELNS0_4arch9wavefront6targetE0EEEvT1_.has_indirect_call, 0
	.section	.AMDGPU.csdata,"",@progbits
; Kernel info:
; codeLenInByte = 0
; TotalNumSgprs: 0
; NumVgprs: 0
; ScratchSize: 0
; MemoryBound: 0
; FloatMode: 240
; IeeeMode: 1
; LDSByteSize: 0 bytes/workgroup (compile time only)
; SGPRBlocks: 0
; VGPRBlocks: 0
; NumSGPRsForWavesPerEU: 1
; NumVGPRsForWavesPerEU: 1
; NamedBarCnt: 0
; Occupancy: 16
; WaveLimiterHint : 0
; COMPUTE_PGM_RSRC2:SCRATCH_EN: 0
; COMPUTE_PGM_RSRC2:USER_SGPR: 2
; COMPUTE_PGM_RSRC2:TRAP_HANDLER: 0
; COMPUTE_PGM_RSRC2:TGID_X_EN: 1
; COMPUTE_PGM_RSRC2:TGID_Y_EN: 0
; COMPUTE_PGM_RSRC2:TGID_Z_EN: 0
; COMPUTE_PGM_RSRC2:TIDIG_COMP_CNT: 0
	.section	.text._ZN7rocprim17ROCPRIM_400000_NS6detail17trampoline_kernelINS0_14default_configENS1_27scan_by_key_config_selectorIiiEEZZNS1_16scan_by_key_implILNS1_25lookback_scan_determinismE0ELb1ES3_N6thrust23THRUST_200600_302600_NS6detail15normal_iteratorINS9_10device_ptrIiEEEESE_SE_iNS9_4plusIiEE19head_flag_predicateiEE10hipError_tPvRmT2_T3_T4_T5_mT6_T7_P12ihipStream_tbENKUlT_T0_E_clISt17integral_constantIbLb0EESY_EEDaST_SU_EUlST_E_NS1_11comp_targetILNS1_3genE0ELNS1_11target_archE4294967295ELNS1_3gpuE0ELNS1_3repE0EEENS1_30default_config_static_selectorELNS0_4arch9wavefront6targetE0EEEvT1_,"axG",@progbits,_ZN7rocprim17ROCPRIM_400000_NS6detail17trampoline_kernelINS0_14default_configENS1_27scan_by_key_config_selectorIiiEEZZNS1_16scan_by_key_implILNS1_25lookback_scan_determinismE0ELb1ES3_N6thrust23THRUST_200600_302600_NS6detail15normal_iteratorINS9_10device_ptrIiEEEESE_SE_iNS9_4plusIiEE19head_flag_predicateiEE10hipError_tPvRmT2_T3_T4_T5_mT6_T7_P12ihipStream_tbENKUlT_T0_E_clISt17integral_constantIbLb0EESY_EEDaST_SU_EUlST_E_NS1_11comp_targetILNS1_3genE0ELNS1_11target_archE4294967295ELNS1_3gpuE0ELNS1_3repE0EEENS1_30default_config_static_selectorELNS0_4arch9wavefront6targetE0EEEvT1_,comdat
	.protected	_ZN7rocprim17ROCPRIM_400000_NS6detail17trampoline_kernelINS0_14default_configENS1_27scan_by_key_config_selectorIiiEEZZNS1_16scan_by_key_implILNS1_25lookback_scan_determinismE0ELb1ES3_N6thrust23THRUST_200600_302600_NS6detail15normal_iteratorINS9_10device_ptrIiEEEESE_SE_iNS9_4plusIiEE19head_flag_predicateiEE10hipError_tPvRmT2_T3_T4_T5_mT6_T7_P12ihipStream_tbENKUlT_T0_E_clISt17integral_constantIbLb0EESY_EEDaST_SU_EUlST_E_NS1_11comp_targetILNS1_3genE0ELNS1_11target_archE4294967295ELNS1_3gpuE0ELNS1_3repE0EEENS1_30default_config_static_selectorELNS0_4arch9wavefront6targetE0EEEvT1_ ; -- Begin function _ZN7rocprim17ROCPRIM_400000_NS6detail17trampoline_kernelINS0_14default_configENS1_27scan_by_key_config_selectorIiiEEZZNS1_16scan_by_key_implILNS1_25lookback_scan_determinismE0ELb1ES3_N6thrust23THRUST_200600_302600_NS6detail15normal_iteratorINS9_10device_ptrIiEEEESE_SE_iNS9_4plusIiEE19head_flag_predicateiEE10hipError_tPvRmT2_T3_T4_T5_mT6_T7_P12ihipStream_tbENKUlT_T0_E_clISt17integral_constantIbLb0EESY_EEDaST_SU_EUlST_E_NS1_11comp_targetILNS1_3genE0ELNS1_11target_archE4294967295ELNS1_3gpuE0ELNS1_3repE0EEENS1_30default_config_static_selectorELNS0_4arch9wavefront6targetE0EEEvT1_
	.globl	_ZN7rocprim17ROCPRIM_400000_NS6detail17trampoline_kernelINS0_14default_configENS1_27scan_by_key_config_selectorIiiEEZZNS1_16scan_by_key_implILNS1_25lookback_scan_determinismE0ELb1ES3_N6thrust23THRUST_200600_302600_NS6detail15normal_iteratorINS9_10device_ptrIiEEEESE_SE_iNS9_4plusIiEE19head_flag_predicateiEE10hipError_tPvRmT2_T3_T4_T5_mT6_T7_P12ihipStream_tbENKUlT_T0_E_clISt17integral_constantIbLb0EESY_EEDaST_SU_EUlST_E_NS1_11comp_targetILNS1_3genE0ELNS1_11target_archE4294967295ELNS1_3gpuE0ELNS1_3repE0EEENS1_30default_config_static_selectorELNS0_4arch9wavefront6targetE0EEEvT1_
	.p2align	8
	.type	_ZN7rocprim17ROCPRIM_400000_NS6detail17trampoline_kernelINS0_14default_configENS1_27scan_by_key_config_selectorIiiEEZZNS1_16scan_by_key_implILNS1_25lookback_scan_determinismE0ELb1ES3_N6thrust23THRUST_200600_302600_NS6detail15normal_iteratorINS9_10device_ptrIiEEEESE_SE_iNS9_4plusIiEE19head_flag_predicateiEE10hipError_tPvRmT2_T3_T4_T5_mT6_T7_P12ihipStream_tbENKUlT_T0_E_clISt17integral_constantIbLb0EESY_EEDaST_SU_EUlST_E_NS1_11comp_targetILNS1_3genE0ELNS1_11target_archE4294967295ELNS1_3gpuE0ELNS1_3repE0EEENS1_30default_config_static_selectorELNS0_4arch9wavefront6targetE0EEEvT1_,@function
_ZN7rocprim17ROCPRIM_400000_NS6detail17trampoline_kernelINS0_14default_configENS1_27scan_by_key_config_selectorIiiEEZZNS1_16scan_by_key_implILNS1_25lookback_scan_determinismE0ELb1ES3_N6thrust23THRUST_200600_302600_NS6detail15normal_iteratorINS9_10device_ptrIiEEEESE_SE_iNS9_4plusIiEE19head_flag_predicateiEE10hipError_tPvRmT2_T3_T4_T5_mT6_T7_P12ihipStream_tbENKUlT_T0_E_clISt17integral_constantIbLb0EESY_EEDaST_SU_EUlST_E_NS1_11comp_targetILNS1_3genE0ELNS1_11target_archE4294967295ELNS1_3gpuE0ELNS1_3repE0EEENS1_30default_config_static_selectorELNS0_4arch9wavefront6targetE0EEEvT1_: ; @_ZN7rocprim17ROCPRIM_400000_NS6detail17trampoline_kernelINS0_14default_configENS1_27scan_by_key_config_selectorIiiEEZZNS1_16scan_by_key_implILNS1_25lookback_scan_determinismE0ELb1ES3_N6thrust23THRUST_200600_302600_NS6detail15normal_iteratorINS9_10device_ptrIiEEEESE_SE_iNS9_4plusIiEE19head_flag_predicateiEE10hipError_tPvRmT2_T3_T4_T5_mT6_T7_P12ihipStream_tbENKUlT_T0_E_clISt17integral_constantIbLb0EESY_EEDaST_SU_EUlST_E_NS1_11comp_targetILNS1_3genE0ELNS1_11target_archE4294967295ELNS1_3gpuE0ELNS1_3repE0EEENS1_30default_config_static_selectorELNS0_4arch9wavefront6targetE0EEEvT1_
; %bb.0:
	s_clause 0x2
	s_load_b96 s[24:26], s[0:1], 0x38
	s_load_b256 s[8:15], s[0:1], 0x0
	s_load_b128 s[20:23], s[0:1], 0x48
	s_bfe_u32 s4, ttmp6, 0x4000c
	s_delay_alu instid0(SALU_CYCLE_1)
	s_add_co_i32 s4, s4, 1
	s_clause 0x1
	s_load_b32 s33, s[0:1], 0x20
	s_load_b128 s[16:19], s[0:1], 0x28
	s_and_b32 s2, ttmp6, 15
	s_wait_xcnt 0x0
	s_mul_i32 s0, ttmp9, s4
	s_getreg_b32 s5, hwreg(HW_REG_IB_STS2, 6, 4)
	s_add_co_i32 s6, s2, s0
	s_mov_b32 s3, 0
	s_barrier_signal -1
	s_mov_b32 s29, s3
	s_barrier_wait -1
	s_wait_kmcnt 0x0
	s_mov_b32 s2, s26
	s_lshl_b64 s[26:27], s[10:11], 2
	s_cmp_eq_u32 s5, 0
	s_mul_u64 s[4:5], s[24:25], s[2:3]
	s_cselect_b32 s28, ttmp9, s6
	s_add_nc_u64 s[0:1], s[8:9], s[26:27]
	s_add_nc_u64 s[4:5], s[4:5], s[28:29]
	s_add_nc_u64 s[8:9], s[20:21], -1
	s_mul_i32 s2, s28, 0xc00
	v_cmp_ge_u64_e64 s19, s[4:5], s[8:9]
	s_add_nc_u64 s[6:7], s[12:13], s[26:27]
	s_lshl_b64 s[20:21], s[2:3], 2
	s_mul_i32 s29, s8, 0xfffff400
	s_add_nc_u64 s[30:31], s[0:1], s[20:21]
	s_add_nc_u64 s[12:13], s[6:7], s[20:21]
	s_and_b32 vcc_lo, exec_lo, s19
	s_cbranch_vccz .LBB785_66
; %bb.1:
	v_mov_b32_e32 v1, 0
	s_add_co_i32 s34, s29, s18
	s_delay_alu instid0(SALU_CYCLE_1)
	v_cmp_gt_u32_e32 vcc_lo, s34, v0
	flat_load_b32 v1, v1, s[30:31]
	s_wait_loadcnt_dscnt 0x0
	v_mov_b32_e32 v2, v1
	s_and_saveexec_b32 s0, vcc_lo
	s_cbranch_execz .LBB785_3
; %bb.2:
	flat_load_b32 v2, v0, s[30:31] scale_offset
.LBB785_3:
	s_wait_xcnt 0x0
	s_or_b32 exec_lo, exec_lo, s0
	v_or_b32_e32 v3, 0x100, v0
	s_delay_alu instid0(VALU_DEP_1)
	v_cmp_gt_u32_e64 s0, s34, v3
	v_mov_b32_e32 v3, v1
	s_and_saveexec_b32 s1, s0
	s_cbranch_execz .LBB785_5
; %bb.4:
	flat_load_b32 v3, v0, s[30:31] offset:1024 scale_offset
.LBB785_5:
	s_wait_xcnt 0x0
	s_or_b32 exec_lo, exec_lo, s1
	v_or_b32_e32 v4, 0x200, v0
	s_delay_alu instid0(VALU_DEP_1)
	v_cmp_gt_u32_e64 s1, s34, v4
	v_mov_b32_e32 v4, v1
	s_and_saveexec_b32 s2, s1
	s_cbranch_execz .LBB785_7
; %bb.6:
	flat_load_b32 v4, v0, s[30:31] offset:2048 scale_offset
.LBB785_7:
	;; [unrolled: 11-line block ×10, first 2 shown]
	s_wait_xcnt 0x0
	s_or_b32 exec_lo, exec_lo, s10
	v_or_b32_e32 v13, 0xb00, v0
	s_delay_alu instid0(VALU_DEP_1) | instskip(SKIP_2) | instid1(SALU_CYCLE_1)
	v_cmp_gt_u32_e64 s10, s34, v13
	v_cmp_le_u32_e64 s11, s34, v13
	s_and_saveexec_b32 s35, s11
	s_xor_b32 s11, exec_lo, s35
	s_delay_alu instid0(SALU_CYCLE_1)
	s_and_not1_saveexec_b32 s11, s11
	s_cbranch_execz .LBB785_25
; %bb.24:
	flat_load_b32 v1, v0, s[30:31] offset:11264 scale_offset
.LBB785_25:
	s_wait_xcnt 0x0
	s_or_b32 exec_lo, exec_lo, s11
	v_lshlrev_b32_e32 v14, 2, v0
	s_mov_b32 s35, exec_lo
	s_wait_loadcnt_dscnt 0x0
	ds_store_2addr_stride64_b32 v14, v2, v3 offset1:4
	ds_store_2addr_stride64_b32 v14, v4, v5 offset0:8 offset1:12
	ds_store_2addr_stride64_b32 v14, v6, v7 offset0:16 offset1:20
	ds_store_2addr_stride64_b32 v14, v8, v9 offset0:24 offset1:28
	ds_store_2addr_stride64_b32 v14, v10, v11 offset0:32 offset1:36
	ds_store_2addr_stride64_b32 v14, v12, v1 offset0:40 offset1:44
	v_mov_b32_e32 v1, 0
	s_wait_dscnt 0x0
	s_barrier_signal -1
	s_barrier_wait -1
	flat_load_b32 v16, v1, s[30:31]
	s_wait_xcnt 0x0
	v_mad_u32_u24 v1, v0, 44, v14
	ds_load_b128 v[10:13], v1
	ds_load_b128 v[6:9], v1 offset:16
	ds_load_b128 v[2:5], v1 offset:32
	v_mad_i32_i24 v15, 0xffffffd4, v0, v1
	s_wait_dscnt 0x2
	ds_store_b32 v15, v10 offset:13312
	s_wait_loadcnt_dscnt 0x0
	s_barrier_signal -1
	s_barrier_wait -1
	v_cmpx_ne_u32_e32 0xff, v0
; %bb.26:
	v_mul_i32_i24_e32 v10, 0xffffffd4, v0
	s_delay_alu instid0(VALU_DEP_1)
	v_add_nc_u32_e32 v10, v1, v10
	ds_load_b32 v16, v10 offset:13316
; %bb.27:
	s_or_b32 exec_lo, exec_lo, s35
	s_wait_dscnt 0x0
	s_barrier_signal -1
	s_barrier_wait -1
                                        ; implicit-def: $vgpr10
	s_and_saveexec_b32 s11, vcc_lo
	s_cbranch_execz .LBB785_102
; %bb.28:
	flat_load_b32 v10, v0, s[12:13] scale_offset
	s_wait_xcnt 0x0
	s_or_b32 exec_lo, exec_lo, s11
                                        ; implicit-def: $vgpr15
	s_and_saveexec_b32 s11, s0
	s_cbranch_execnz .LBB785_103
.LBB785_29:
	s_or_b32 exec_lo, exec_lo, s11
                                        ; implicit-def: $vgpr18
	s_and_saveexec_b32 s0, s1
	s_cbranch_execz .LBB785_104
.LBB785_30:
	flat_load_b32 v18, v0, s[12:13] offset:2048 scale_offset
	s_wait_xcnt 0x0
	s_or_b32 exec_lo, exec_lo, s0
                                        ; implicit-def: $vgpr19
	s_and_saveexec_b32 s0, s2
	s_cbranch_execnz .LBB785_105
.LBB785_31:
	s_or_b32 exec_lo, exec_lo, s0
                                        ; implicit-def: $vgpr20
	s_and_saveexec_b32 s0, s3
	s_cbranch_execz .LBB785_106
.LBB785_32:
	flat_load_b32 v20, v0, s[12:13] offset:4096 scale_offset
	s_wait_xcnt 0x0
	s_or_b32 exec_lo, exec_lo, s0
                                        ; implicit-def: $vgpr21
	s_and_saveexec_b32 s0, s4
	s_cbranch_execnz .LBB785_107
.LBB785_33:
	s_or_b32 exec_lo, exec_lo, s0
                                        ; implicit-def: $vgpr22
	s_and_saveexec_b32 s0, s5
	s_cbranch_execz .LBB785_108
.LBB785_34:
	flat_load_b32 v22, v0, s[12:13] offset:6144 scale_offset
	s_wait_xcnt 0x0
	s_or_b32 exec_lo, exec_lo, s0
                                        ; implicit-def: $vgpr23
	s_and_saveexec_b32 s0, s6
	s_cbranch_execnz .LBB785_109
.LBB785_35:
	s_or_b32 exec_lo, exec_lo, s0
                                        ; implicit-def: $vgpr24
	s_and_saveexec_b32 s0, s7
	s_cbranch_execz .LBB785_110
.LBB785_36:
	flat_load_b32 v24, v0, s[12:13] offset:8192 scale_offset
	s_wait_xcnt 0x0
	s_or_b32 exec_lo, exec_lo, s0
                                        ; implicit-def: $vgpr25
	s_and_saveexec_b32 s0, s8
	s_cbranch_execnz .LBB785_111
.LBB785_37:
	s_or_b32 exec_lo, exec_lo, s0
                                        ; implicit-def: $vgpr26
	s_and_saveexec_b32 s0, s9
	s_cbranch_execz .LBB785_39
.LBB785_38:
	flat_load_b32 v26, v0, s[12:13] offset:10240 scale_offset
.LBB785_39:
	s_wait_xcnt 0x0
	s_or_b32 exec_lo, exec_lo, s0
	v_mul_u32_u24_e32 v17, 12, v0
                                        ; implicit-def: $vgpr27
	s_and_saveexec_b32 s0, s10
	s_cbranch_execz .LBB785_41
; %bb.40:
	flat_load_b32 v27, v0, s[12:13] offset:11264 scale_offset
.LBB785_41:
	s_wait_xcnt 0x0
	s_or_b32 exec_lo, exec_lo, s0
	s_wait_loadcnt_dscnt 0x0
	ds_store_2addr_stride64_b32 v14, v10, v15 offset1:4
	ds_store_2addr_stride64_b32 v14, v18, v19 offset0:8 offset1:12
	ds_store_2addr_stride64_b32 v14, v20, v21 offset0:16 offset1:20
	;; [unrolled: 1-line block ×5, first 2 shown]
	v_mov_b64_e32 v[14:15], 0
	v_mov_b64_e32 v[42:43], 0
	;; [unrolled: 1-line block ×21, first 2 shown]
	s_mov_b32 s0, 0
	s_mov_b32 s3, 0
	s_mov_b32 s1, exec_lo
	s_wait_dscnt 0x0
	s_barrier_signal -1
	s_barrier_wait -1
                                        ; implicit-def: $sgpr2
                                        ; implicit-def: $vgpr10
	v_cmpx_gt_u32_e64 s34, v17
	s_cbranch_execz .LBB785_65
; %bb.42:
	ds_load_b32 v10, v1
	v_cmp_eq_u32_e32 vcc_lo, 0, v11
	v_or_b32_e32 v36, 1, v17
	v_mov_b64_e32 v[42:43], 0
	v_mov_b64_e32 v[40:41], 0
	;; [unrolled: 1-line block ×17, first 2 shown]
	s_wait_dscnt 0x0
	v_cndmask_b32_e32 v14, s33, v10, vcc_lo
	v_cmp_ne_u32_e32 vcc_lo, 0, v11
	v_mov_b64_e32 v[20:21], 0
	v_mov_b64_e32 v[18:19], 0
	s_mov_b32 s4, 0
	s_mov_b32 s3, exec_lo
	v_cndmask_b32_e64 v15, 0, 1, vcc_lo
                                        ; implicit-def: $sgpr2
                                        ; implicit-def: $vgpr10
	v_cmpx_gt_u32_e64 s34, v36
	s_cbranch_execz .LBB785_64
; %bb.43:
	ds_load_2addr_b32 v[10:11], v1 offset0:1 offset1:2
	v_cmp_eq_u32_e32 vcc_lo, 0, v12
	v_or_b32_e32 v34, 2, v17
	v_mov_b64_e32 v[40:41], 0
	v_mov_b64_e32 v[44:45], 0
	;; [unrolled: 1-line block ×17, first 2 shown]
	s_wait_dscnt 0x0
	v_cndmask_b32_e32 v42, s33, v10, vcc_lo
	v_cmp_ne_u32_e32 vcc_lo, 0, v12
	s_mov_b32 s5, 0
	s_mov_b32 s4, exec_lo
                                        ; implicit-def: $sgpr2
                                        ; implicit-def: $vgpr10
	v_cndmask_b32_e64 v43, 0, 1, vcc_lo
	v_cmpx_gt_u32_e64 s34, v34
	s_cbranch_execz .LBB785_63
; %bb.44:
	v_cmp_eq_u32_e32 vcc_lo, 0, v13
	v_mov_b64_e32 v[44:45], 0
	v_mov_b64_e32 v[46:47], 0
	;; [unrolled: 1-line block ×4, first 2 shown]
	v_dual_cndmask_b32 v40, s33, v11, vcc_lo :: v_dual_bitop2_b32 v10, 3, v17 bitop3:0x54
	v_cmp_ne_u32_e32 vcc_lo, 0, v13
	v_mov_b64_e32 v[52:53], 0
	v_mov_b64_e32 v[54:55], 0
	;; [unrolled: 1-line block ×11, first 2 shown]
	v_cndmask_b32_e64 v41, 0, 1, vcc_lo
	v_cmp_gt_u32_e32 vcc_lo, s34, v10
	s_mov_b32 s6, 0
                                        ; implicit-def: $sgpr2
                                        ; implicit-def: $vgpr10
	s_and_saveexec_b32 s5, vcc_lo
	s_cbranch_execz .LBB785_62
; %bb.45:
	ds_load_2addr_b32 v[10:11], v1 offset0:3 offset1:4
	v_cmp_ne_u32_e32 vcc_lo, 0, v6
	v_mov_b64_e32 v[46:47], 0
	v_mov_b64_e32 v[48:49], 0
	;; [unrolled: 1-line block ×4, first 2 shown]
	v_cndmask_b32_e64 v45, 0, 1, vcc_lo
	v_cmp_eq_u32_e32 vcc_lo, 0, v6
	v_mov_b64_e32 v[54:55], 0
	v_mov_b64_e32 v[56:57], 0
	;; [unrolled: 1-line block ×9, first 2 shown]
	v_add_nc_u32_e32 v12, 4, v17
	s_mov_b32 s7, 0
	s_mov_b32 s6, exec_lo
	s_wait_dscnt 0x0
	v_cndmask_b32_e32 v44, s33, v10, vcc_lo
                                        ; implicit-def: $sgpr2
                                        ; implicit-def: $vgpr10
	v_cmpx_gt_u32_e64 s34, v12
	s_cbranch_execz .LBB785_61
; %bb.46:
	v_cmp_eq_u32_e32 vcc_lo, 0, v7
	v_mov_b64_e32 v[48:49], 0
	v_mov_b64_e32 v[50:51], 0
	;; [unrolled: 1-line block ×4, first 2 shown]
	v_dual_cndmask_b32 v46, s33, v11, vcc_lo :: v_dual_add_nc_u32 v6, 5, v17
	v_cmp_ne_u32_e32 vcc_lo, 0, v7
	v_mov_b64_e32 v[56:57], 0
	v_mov_b64_e32 v[58:59], 0
	v_mov_b64_e32 v[26:27], 0
	v_mov_b64_e32 v[24:25], 0
	v_mov_b64_e32 v[22:23], 0
	v_mov_b64_e32 v[20:21], 0
	v_mov_b64_e32 v[18:19], 0
	v_cndmask_b32_e64 v47, 0, 1, vcc_lo
	s_mov_b32 s8, 0
	s_mov_b32 s7, exec_lo
                                        ; implicit-def: $sgpr2
                                        ; implicit-def: $vgpr10
	v_cmpx_gt_u32_e64 s34, v6
	s_cbranch_execz .LBB785_60
; %bb.47:
	ds_load_2addr_b32 v[6:7], v1 offset0:5 offset1:6
	v_cmp_ne_u32_e32 vcc_lo, 0, v8
	v_mov_b64_e32 v[50:51], 0
	v_mov_b64_e32 v[52:53], 0
	;; [unrolled: 1-line block ×4, first 2 shown]
	v_cndmask_b32_e64 v49, 0, 1, vcc_lo
	v_cmp_eq_u32_e32 vcc_lo, 0, v8
	v_add_nc_u32_e32 v10, 6, v17
	v_mov_b64_e32 v[58:59], 0
	v_mov_b64_e32 v[24:25], 0
	;; [unrolled: 1-line block ×5, first 2 shown]
	s_mov_b32 s9, 0
                                        ; implicit-def: $sgpr2
	s_wait_dscnt 0x0
	v_cndmask_b32_e32 v48, s33, v6, vcc_lo
	v_cmp_gt_u32_e32 vcc_lo, s34, v10
                                        ; implicit-def: $vgpr10
	s_and_saveexec_b32 s8, vcc_lo
	s_cbranch_execz .LBB785_59
; %bb.48:
	v_cmp_eq_u32_e32 vcc_lo, 0, v9
	v_mov_b64_e32 v[52:53], 0
	v_mov_b64_e32 v[54:55], 0
	;; [unrolled: 1-line block ×4, first 2 shown]
	v_dual_cndmask_b32 v50, s33, v7, vcc_lo :: v_dual_add_nc_u32 v6, 7, v17
	v_cmp_ne_u32_e32 vcc_lo, 0, v9
	v_mov_b64_e32 v[22:23], 0
	v_mov_b64_e32 v[20:21], 0
	;; [unrolled: 1-line block ×3, first 2 shown]
	s_mov_b32 s10, 0
	v_cndmask_b32_e64 v51, 0, 1, vcc_lo
	s_mov_b32 s9, exec_lo
                                        ; implicit-def: $sgpr2
                                        ; implicit-def: $vgpr10
	v_cmpx_gt_u32_e64 s34, v6
	s_cbranch_execz .LBB785_58
; %bb.49:
	ds_load_2addr_b32 v[6:7], v1 offset0:7 offset1:8
	v_cmp_ne_u32_e32 vcc_lo, 0, v2
	v_mov_b64_e32 v[54:55], 0
	v_mov_b64_e32 v[56:57], 0
	;; [unrolled: 1-line block ×4, first 2 shown]
	v_cndmask_b32_e64 v53, 0, 1, vcc_lo
	v_cmp_eq_u32_e32 vcc_lo, 0, v2
	v_mov_b64_e32 v[18:19], 0
	v_add_nc_u32_e32 v8, 8, v17
	s_mov_b32 s11, 0
	s_mov_b32 s10, exec_lo
                                        ; implicit-def: $sgpr2
                                        ; implicit-def: $vgpr10
	s_wait_dscnt 0x0
	v_cndmask_b32_e32 v52, s33, v6, vcc_lo
	v_cmpx_gt_u32_e64 s34, v8
	s_cbranch_execz .LBB785_57
; %bb.50:
	v_cmp_eq_u32_e32 vcc_lo, 0, v3
	v_mov_b64_e32 v[56:57], 0
	v_mov_b64_e32 v[58:59], 0
	;; [unrolled: 1-line block ×3, first 2 shown]
	s_mov_b32 s35, 0
	v_dual_cndmask_b32 v54, s33, v7, vcc_lo :: v_dual_add_nc_u32 v2, 9, v17
	v_cmp_ne_u32_e32 vcc_lo, 0, v3
	s_mov_b32 s11, exec_lo
                                        ; implicit-def: $sgpr2
                                        ; implicit-def: $vgpr10
	v_cndmask_b32_e64 v55, 0, 1, vcc_lo
	s_delay_alu instid0(VALU_DEP_3)
	v_cmpx_gt_u32_e64 s34, v2
	s_cbranch_execz .LBB785_56
; %bb.51:
	ds_load_2addr_b32 v[2:3], v1 offset0:9 offset1:10
	v_cmp_ne_u32_e32 vcc_lo, 0, v4
	v_mov_b64_e32 v[58:59], 0
	s_mov_b32 s36, 0
	s_mov_b32 s35, exec_lo
                                        ; implicit-def: $sgpr2
                                        ; implicit-def: $vgpr10
	v_cndmask_b32_e64 v57, 0, 1, vcc_lo
	v_cmp_eq_u32_e32 vcc_lo, 0, v4
	s_wait_dscnt 0x0
	v_dual_add_nc_u32 v6, 10, v17 :: v_dual_cndmask_b32 v56, s33, v2, vcc_lo
	s_delay_alu instid0(VALU_DEP_1)
	v_cmpx_gt_u32_e64 s34, v6
	s_cbranch_execz .LBB785_55
; %bb.52:
	v_cmp_eq_u32_e32 vcc_lo, 0, v5
	v_add_nc_u32_e32 v2, 11, v17
                                        ; implicit-def: $sgpr2
                                        ; implicit-def: $vgpr10
	v_cndmask_b32_e32 v58, s33, v3, vcc_lo
	v_cmp_ne_u32_e32 vcc_lo, 0, v5
	v_cndmask_b32_e64 v59, 0, 1, vcc_lo
	s_delay_alu instid0(VALU_DEP_4) | instskip(SKIP_2) | instid1(SALU_CYCLE_1)
	v_cmp_gt_u32_e32 vcc_lo, s34, v2
	s_mov_b32 s34, 0
	s_and_saveexec_b32 s36, vcc_lo
	s_xor_b32 s36, exec_lo, s36
	s_cbranch_execz .LBB785_54
; %bb.53:
	ds_load_b32 v1, v1 offset:44
	v_cmp_ne_u32_e64 s2, 0, v16
	s_mov_b32 s34, exec_lo
	s_wait_dscnt 0x0
	v_cndmask_b32_e64 v10, v1, s33, s2
.LBB785_54:
	s_or_b32 exec_lo, exec_lo, s36
	s_delay_alu instid0(SALU_CYCLE_1)
	s_and_b32 s36, s34, exec_lo
.LBB785_55:
	s_or_b32 exec_lo, exec_lo, s35
	v_mov_b64_e32 v[18:19], v[58:59]
	s_and_b32 s35, s36, exec_lo
.LBB785_56:
	s_or_b32 exec_lo, exec_lo, s11
	v_mov_b64_e32 v[20:21], v[56:57]
	s_and_b32 s11, s35, exec_lo
.LBB785_57:
	s_or_b32 exec_lo, exec_lo, s10
	v_mov_b64_e32 v[22:23], v[54:55]
	s_and_b32 s10, s11, exec_lo
.LBB785_58:
	s_or_b32 exec_lo, exec_lo, s9
	v_mov_b64_e32 v[24:25], v[52:53]
	s_and_b32 s9, s10, exec_lo
.LBB785_59:
	s_or_b32 exec_lo, exec_lo, s8
	v_mov_b64_e32 v[26:27], v[50:51]
	s_and_b32 s8, s9, exec_lo
.LBB785_60:
	s_or_b32 exec_lo, exec_lo, s7
	v_mov_b64_e32 v[28:29], v[48:49]
	s_and_b32 s7, s8, exec_lo
.LBB785_61:
	s_or_b32 exec_lo, exec_lo, s6
	v_mov_b64_e32 v[30:31], v[46:47]
	s_and_b32 s6, s7, exec_lo
.LBB785_62:
	s_or_b32 exec_lo, exec_lo, s5
	v_mov_b64_e32 v[32:33], v[44:45]
	s_and_b32 s5, s6, exec_lo
.LBB785_63:
	s_or_b32 exec_lo, exec_lo, s4
	v_mov_b64_e32 v[34:35], v[40:41]
	s_and_b32 s4, s5, exec_lo
.LBB785_64:
	s_or_b32 exec_lo, exec_lo, s3
	v_mov_b64_e32 v[36:37], v[42:43]
	s_and_b32 s3, s4, exec_lo
.LBB785_65:
	s_or_b32 exec_lo, exec_lo, s1
	v_lshlrev_b32_e32 v16, 2, v0
	s_and_b32 vcc_lo, exec_lo, s0
	s_cbranch_vccnz .LBB785_67
	s_branch .LBB785_72
.LBB785_66:
                                        ; implicit-def: $sgpr2
                                        ; implicit-def: $vgpr10
                                        ; implicit-def: $vgpr14_vgpr15
                                        ; implicit-def: $vgpr42_vgpr43
                                        ; implicit-def: $vgpr40_vgpr41
                                        ; implicit-def: $vgpr44_vgpr45
                                        ; implicit-def: $vgpr46_vgpr47
                                        ; implicit-def: $vgpr48_vgpr49
                                        ; implicit-def: $vgpr50_vgpr51
                                        ; implicit-def: $vgpr52_vgpr53
                                        ; implicit-def: $vgpr54_vgpr55
                                        ; implicit-def: $vgpr56_vgpr57
                                        ; implicit-def: $vgpr58_vgpr59
                                        ; implicit-def: $vgpr36_vgpr37
                                        ; implicit-def: $vgpr34_vgpr35
                                        ; implicit-def: $vgpr32_vgpr33
                                        ; implicit-def: $vgpr30_vgpr31
                                        ; implicit-def: $vgpr28_vgpr29
                                        ; implicit-def: $vgpr26_vgpr27
                                        ; implicit-def: $vgpr24_vgpr25
                                        ; implicit-def: $vgpr22_vgpr23
                                        ; implicit-def: $vgpr20_vgpr21
                                        ; implicit-def: $vgpr18_vgpr19
	v_lshlrev_b32_e32 v16, 2, v0
	s_cbranch_execz .LBB785_72
.LBB785_67:
	s_clause 0xb
	flat_load_b32 v1, v0, s[30:31] scale_offset
	flat_load_b32 v2, v0, s[30:31] offset:1024 scale_offset
	flat_load_b32 v3, v0, s[30:31] offset:2048 scale_offset
	;; [unrolled: 1-line block ×11, first 2 shown]
	v_mov_b32_e32 v13, 0
	v_mad_u32_u24 v17, v0, 44, v16
	s_mov_b32 s0, exec_lo
	s_wait_loadcnt_dscnt 0xa0a
	ds_store_2addr_stride64_b32 v16, v1, v2 offset1:4
	s_wait_loadcnt_dscnt 0x809
	ds_store_2addr_stride64_b32 v16, v3, v4 offset0:8 offset1:12
	s_wait_loadcnt_dscnt 0x608
	ds_store_2addr_stride64_b32 v16, v5, v6 offset0:16 offset1:20
	;; [unrolled: 2-line block ×5, first 2 shown]
	s_wait_dscnt 0x0
	s_barrier_signal -1
	s_barrier_wait -1
	flat_load_b32 v1, v13, s[30:31] offset:12288
	s_wait_xcnt 0x0
	ds_load_b128 v[10:13], v17
	ds_load_b128 v[6:9], v17 offset:16
	ds_load_b128 v[2:5], v17 offset:32
	v_mad_i32_i24 v14, 0xffffffd4, v0, v17
	s_wait_dscnt 0x2
	ds_store_b32 v14, v10 offset:13312
	s_wait_loadcnt_dscnt 0x0
	s_barrier_signal -1
	s_barrier_wait -1
	v_cmpx_ne_u32_e32 0xff, v0
; %bb.68:
	v_mul_i32_i24_e32 v1, 0xffffffd4, v0
	s_delay_alu instid0(VALU_DEP_1)
	v_add_nc_u32_e32 v1, v17, v1
	ds_load_b32 v1, v1 offset:13316
; %bb.69:
	s_or_b32 exec_lo, exec_lo, s0
	s_wait_dscnt 0x0
	s_barrier_signal -1
	s_barrier_wait -1
	s_clause 0xb
	flat_load_b32 v10, v0, s[12:13] scale_offset
	flat_load_b32 v14, v0, s[12:13] offset:1024 scale_offset
	flat_load_b32 v15, v0, s[12:13] offset:2048 scale_offset
	;; [unrolled: 1-line block ×11, first 2 shown]
	v_cmp_eq_u32_e32 vcc_lo, 0, v11
	v_mov_b32_e32 v11, s33
	s_wait_loadcnt_dscnt 0xa0a
	ds_store_2addr_stride64_b32 v16, v10, v14 offset1:4
	s_wait_loadcnt_dscnt 0x809
	ds_store_2addr_stride64_b32 v16, v15, v18 offset0:8 offset1:12
	s_wait_loadcnt_dscnt 0x608
	ds_store_2addr_stride64_b32 v16, v19, v20 offset0:16 offset1:20
	;; [unrolled: 2-line block ×5, first 2 shown]
	s_wait_dscnt 0x0
	s_barrier_signal -1
	s_barrier_wait -1
	ds_load_2addr_b32 v[26:27], v17 offset0:1 offset1:2
	ds_load_2addr_b32 v[24:25], v17 offset0:3 offset1:4
	;; [unrolled: 1-line block ×5, first 2 shown]
	ds_load_b32 v10, v17 offset:44
	v_mov_b64_e32 v[14:15], 0x100000000
	s_and_saveexec_b32 s0, vcc_lo
; %bb.70:
	ds_load_b32 v11, v17
	v_mov_b64_e32 v[14:15], 0
; %bb.71:
	s_or_b32 exec_lo, exec_lo, s0
	v_cmp_eq_u32_e32 vcc_lo, 0, v12
	s_wait_dscnt 0x0
	s_delay_alu instid0(VALU_DEP_2)
	v_or_b32_e32 v14, v14, v11
	v_cmp_ne_u32_e64 s2, 0, v1
	s_mov_b32 s3, -1
	v_cndmask_b32_e32 v42, s33, v26, vcc_lo
	v_cmp_ne_u32_e32 vcc_lo, 0, v12
	v_cndmask_b32_e64 v10, v10, s33, s2
	v_cndmask_b32_e64 v43, 0, 1, vcc_lo
	v_cmp_eq_u32_e32 vcc_lo, 0, v13
	s_delay_alu instid0(VALU_DEP_2) | instskip(SKIP_4) | instid1(VALU_DEP_2)
	v_mov_b64_e32 v[36:37], v[42:43]
	v_cndmask_b32_e32 v40, s33, v27, vcc_lo
	v_cmp_ne_u32_e32 vcc_lo, 0, v13
	v_cndmask_b32_e64 v41, 0, 1, vcc_lo
	v_cmp_eq_u32_e32 vcc_lo, 0, v6
	v_mov_b64_e32 v[34:35], v[40:41]
	v_cndmask_b32_e32 v44, s33, v24, vcc_lo
	v_cmp_ne_u32_e32 vcc_lo, 0, v6
	v_cndmask_b32_e64 v45, 0, 1, vcc_lo
	v_cmp_eq_u32_e32 vcc_lo, 0, v7
	s_delay_alu instid0(VALU_DEP_2) | instskip(SKIP_4) | instid1(VALU_DEP_2)
	v_mov_b64_e32 v[32:33], v[44:45]
	v_cndmask_b32_e32 v46, s33, v25, vcc_lo
	v_cmp_ne_u32_e32 vcc_lo, 0, v7
	v_cndmask_b32_e64 v47, 0, 1, vcc_lo
	v_cmp_eq_u32_e32 vcc_lo, 0, v8
	v_mov_b64_e32 v[30:31], v[46:47]
	v_cndmask_b32_e32 v48, s33, v22, vcc_lo
	v_cmp_ne_u32_e32 vcc_lo, 0, v8
	;; [unrolled: 11-line block ×4, first 2 shown]
	v_cndmask_b32_e64 v57, 0, 1, vcc_lo
	v_cmp_eq_u32_e32 vcc_lo, 0, v5
	s_delay_alu instid0(VALU_DEP_2) | instskip(SKIP_3) | instid1(VALU_DEP_1)
	v_mov_b64_e32 v[20:21], v[56:57]
	v_cndmask_b32_e32 v58, s33, v19, vcc_lo
	v_cmp_ne_u32_e32 vcc_lo, 0, v5
	v_cndmask_b32_e64 v59, 0, 1, vcc_lo
	v_mov_b64_e32 v[18:19], v[58:59]
.LBB785_72:
	v_mov_b64_e32 v[38:39], 0
	s_and_saveexec_b32 s0, s3
	s_cbranch_execz .LBB785_74
; %bb.73:
	v_cndmask_b32_e64 v11, 0, 1, s2
	v_mov_b64_e32 v[18:19], v[58:59]
	v_mov_b64_e32 v[20:21], v[56:57]
	;; [unrolled: 1-line block ×11, first 2 shown]
.LBB785_74:
	s_or_b32 exec_lo, exec_lo, s0
	v_dual_lshrrev_b32 v1, 2, v0 :: v_dual_bitop2_b32 v40, v25, v23 bitop3:0x54
	s_delay_alu instid0(VALU_DEP_3)
	v_or_b32_e32 v17, v21, v19
	s_cmp_lg_u32 s28, 0
	v_cmp_gt_u32_e32 vcc_lo, 32, v0
	s_barrier_signal -1
	s_barrier_wait -1
	s_cbranch_scc0 .LBB785_112
; %bb.75:
	s_mov_b64 s[10:11], 0x100000000
	v_or3_b32 v3, v40, v27, v29
	v_cmp_gt_u64_e64 s0, s[10:11], v[36:37]
	v_cmp_gt_u64_e64 s1, s[10:11], v[34:35]
	;; [unrolled: 1-line block ×7, first 2 shown]
	v_dual_cndmask_b32 v2, 0, v14, s0 :: v_dual_bitop2_b32 v5, 56, v1 bitop3:0x40
	v_cmp_gt_u64_e64 s7, s[10:11], v[22:23]
	v_cmp_gt_u64_e64 s8, s[10:11], v[20:21]
	;; [unrolled: 1-line block ×3, first 2 shown]
	s_delay_alu instid0(VALU_DEP_4) | instskip(SKIP_3) | instid1(VALU_DEP_4)
	v_add_nc_u32_e32 v2, v2, v36
	v_cmp_gt_u64_e64 s10, s[10:11], v[38:39]
	v_or3_b32 v3, v3, v31, v33
	v_lshl_add_u32 v5, v0, 3, v5
	v_cndmask_b32_e64 v2, 0, v2, s1
	s_delay_alu instid0(VALU_DEP_3) | instskip(NEXT) | instid1(VALU_DEP_2)
	v_or3_b32 v3, v3, v35, v37
	v_add_nc_u32_e32 v2, v2, v34
	s_delay_alu instid0(VALU_DEP_2) | instskip(NEXT) | instid1(VALU_DEP_2)
	v_or3_b32 v3, v39, v17, v3
	v_cndmask_b32_e64 v2, 0, v2, s2
	s_delay_alu instid0(VALU_DEP_2) | instskip(NEXT) | instid1(VALU_DEP_2)
	v_and_b32_e32 v3, 0xff, v3
	v_add_nc_u32_e32 v2, v2, v32
	s_delay_alu instid0(VALU_DEP_1) | instskip(NEXT) | instid1(VALU_DEP_1)
	v_cndmask_b32_e64 v2, 0, v2, s3
	v_add_nc_u32_e32 v2, v2, v30
	s_delay_alu instid0(VALU_DEP_1) | instskip(NEXT) | instid1(VALU_DEP_1)
	v_cndmask_b32_e64 v2, 0, v2, s4
	;; [unrolled: 3-line block ×7, first 2 shown]
	v_dual_add_nc_u32 v4, v2, v18 :: v_dual_mov_b32 v2, 0
	s_delay_alu instid0(VALU_DEP_1) | instskip(NEXT) | instid1(VALU_DEP_2)
	v_cndmask_b32_e64 v4, 0, v4, s10
	v_cmp_eq_u64_e64 s10, 0, v[2:3]
	s_delay_alu instid0(VALU_DEP_1)
	v_dual_add_nc_u32 v12, v4, v38 :: v_dual_cndmask_b32 v13, 1, v15, s10
	ds_store_b32 v5, v12
	ds_store_b8 v5, v13 offset:4
	s_wait_dscnt 0x0
	s_barrier_signal -1
	s_barrier_wait -1
	s_and_saveexec_b32 s11, vcc_lo
	s_cbranch_execz .LBB785_85
; %bb.76:
	v_dual_lshlrev_b32 v2, 1, v0 :: v_dual_lshlrev_b32 v3, 6, v0
	s_mov_b32 s12, exec_lo
	s_delay_alu instid0(VALU_DEP_1) | instskip(NEXT) | instid1(VALU_DEP_1)
	v_and_b32_e32 v2, 0x1f8, v2
	v_add_nc_u32_e32 v4, v2, v3
	ds_load_u8 v5, v4 offset:12
	ds_load_b64 v[2:3], v4
	ds_load_2addr_b32 v[6:7], v4 offset0:2 offset1:4
	ds_load_u8 v10, v4 offset:20
	ds_load_u8 v11, v4 offset:28
	;; [unrolled: 1-line block ×5, first 2 shown]
	ds_load_b32 v44, v4 offset:56
	s_wait_dscnt 0x8
	v_cmp_eq_u16_e64 s10, 0, v5
	s_wait_dscnt 0x5
	s_delay_alu instid0(VALU_DEP_1)
	v_dual_cndmask_b32 v45, 0, v2, s10 :: v_dual_bitop2_b32 v5, v10, v5 bitop3:0x54
	ds_load_2addr_b32 v[8:9], v4 offset0:6 offset1:8
	v_cmp_eq_u16_e64 s10, 0, v10
	s_wait_dscnt 0x4
	v_bitop3_b16 v5, v5, v41, v11 bitop3:0xfe
	v_add_nc_u32_e32 v6, v45, v6
	s_delay_alu instid0(VALU_DEP_1) | instskip(SKIP_1) | instid1(VALU_DEP_2)
	v_cndmask_b32_e64 v6, 0, v6, s10
	v_cmp_eq_u16_e64 s10, 0, v11
	v_add_nc_u32_e32 v6, v6, v7
	s_delay_alu instid0(VALU_DEP_1)
	v_cndmask_b32_e64 v45, 0, v6, s10
	ds_load_2addr_b32 v[6:7], v4 offset0:10 offset1:12
	v_cmp_eq_u16_e64 s10, 0, v41
	s_wait_dscnt 0x1
	v_add_nc_u32_e32 v8, v45, v8
	ds_load_u8 v45, v4 offset:60
	v_cndmask_b32_e64 v8, 0, v8, s10
	v_cmp_eq_u16_e64 s10, 0, v42
	s_delay_alu instid0(VALU_DEP_2) | instskip(SKIP_1) | instid1(VALU_DEP_2)
	v_add_nc_u32_e32 v8, v8, v9
	v_bitop3_b16 v9, v5, v43, v42 bitop3:0xfe
	v_dual_cndmask_b32 v8, 0, v8, s10 :: v_dual_bitop2_b32 v5, 1, v3 bitop3:0x40
	s_delay_alu instid0(VALU_DEP_2) | instskip(SKIP_1) | instid1(VALU_DEP_2)
	v_cmp_eq_u16_e64 s10, 0, v9
	s_wait_dscnt 0x0
	v_dual_add_nc_u32 v6, v8, v6 :: v_dual_bitop2_b32 v8, 1, v45 bitop3:0x40
	s_delay_alu instid0(VALU_DEP_2) | instskip(SKIP_1) | instid1(VALU_DEP_1)
	v_cndmask_b32_e64 v9, 1, v5, s10
	v_cmp_eq_u16_e64 s10, 0, v43
	v_cndmask_b32_e64 v6, 0, v6, s10
	s_delay_alu instid0(VALU_DEP_4) | instskip(SKIP_1) | instid1(VALU_DEP_2)
	v_cmp_eq_u32_e64 s10, 1, v8
	v_mbcnt_lo_u32_b32 v8, -1, 0
	v_cndmask_b32_e64 v9, v9, 1, s10
	v_cmp_eq_u16_e64 s10, 0, v45
	s_delay_alu instid0(VALU_DEP_2) | instskip(SKIP_2) | instid1(VALU_DEP_1)
	v_and_b32_e32 v10, 0xffff, v9
	v_add_nc_u32_e32 v7, v6, v7
	v_and_b32_e32 v6, 0xffffff00, v3
	v_dual_cndmask_b32 v7, 0, v7, s10 :: v_dual_bitop2_b32 v11, v6, v10 bitop3:0x54
	v_and_b32_e32 v10, 15, v8
	s_delay_alu instid0(VALU_DEP_2) | instskip(NEXT) | instid1(VALU_DEP_3)
	v_mov_b32_dpp v42, v11 row_shr:1 row_mask:0xf bank_mask:0xf
	v_add_nc_u32_e32 v7, v7, v44
	s_delay_alu instid0(VALU_DEP_1) | instskip(NEXT) | instid1(VALU_DEP_4)
	v_mov_b32_dpp v41, v7 row_shr:1 row_mask:0xf bank_mask:0xf
	v_cmpx_ne_u32_e32 0, v10
	s_cbranch_execz .LBB785_78
; %bb.77:
	v_and_b32_e32 v11, 1, v9
	v_and_b32_e32 v42, 1, v42
	s_delay_alu instid0(VALU_DEP_2) | instskip(NEXT) | instid1(VALU_DEP_1)
	v_cmp_eq_u32_e64 s10, 1, v11
	v_cndmask_b32_e64 v42, v42, 1, s10
	v_cmp_eq_u16_e64 s10, 0, v9
	s_delay_alu instid0(VALU_DEP_2) | instskip(NEXT) | instid1(VALU_DEP_1)
	v_and_b32_e32 v11, 0xffff, v42
	v_dual_cndmask_b32 v9, 0, v41, s10 :: v_dual_bitop2_b32 v11, v6, v11 bitop3:0x54
	s_delay_alu instid0(VALU_DEP_1)
	v_dual_add_nc_u32 v7, v9, v7 :: v_dual_mov_b32 v9, v42
.LBB785_78:
	s_or_b32 exec_lo, exec_lo, s12
	s_delay_alu instid0(VALU_DEP_1) | instskip(NEXT) | instid1(VALU_DEP_3)
	v_mov_b32_dpp v41, v7 row_shr:2 row_mask:0xf bank_mask:0xf
	v_mov_b32_dpp v42, v11 row_shr:2 row_mask:0xf bank_mask:0xf
	s_mov_b32 s12, exec_lo
	v_cmpx_lt_u32_e32 1, v10
	s_cbranch_execz .LBB785_80
; %bb.79:
	v_and_b32_e32 v11, 1, v9
	v_and_b32_e32 v42, 1, v42
	s_delay_alu instid0(VALU_DEP_2) | instskip(NEXT) | instid1(VALU_DEP_1)
	v_cmp_eq_u32_e64 s10, 1, v11
	v_cndmask_b32_e64 v42, v42, 1, s10
	v_cmp_eq_u16_e64 s10, 0, v9
	s_delay_alu instid0(VALU_DEP_2) | instskip(NEXT) | instid1(VALU_DEP_1)
	v_and_b32_e32 v11, 0xffff, v42
	v_dual_cndmask_b32 v9, 0, v41, s10 :: v_dual_bitop2_b32 v11, v6, v11 bitop3:0x54
	s_delay_alu instid0(VALU_DEP_1)
	v_dual_add_nc_u32 v7, v9, v7 :: v_dual_mov_b32 v9, v42
.LBB785_80:
	s_or_b32 exec_lo, exec_lo, s12
	s_delay_alu instid0(VALU_DEP_1) | instskip(NEXT) | instid1(VALU_DEP_3)
	v_mov_b32_dpp v41, v7 row_shr:4 row_mask:0xf bank_mask:0xf
	v_mov_b32_dpp v42, v11 row_shr:4 row_mask:0xf bank_mask:0xf
	s_mov_b32 s12, exec_lo
	v_cmpx_lt_u32_e32 3, v10
	;; [unrolled: 20-line block ×3, first 2 shown]
	s_cbranch_execz .LBB785_84
; %bb.83:
	v_and_b32_e32 v10, 1, v9
	v_and_b32_e32 v11, 1, v42
	s_delay_alu instid0(VALU_DEP_2) | instskip(NEXT) | instid1(VALU_DEP_1)
	v_cmp_eq_u32_e64 s10, 1, v10
	v_cndmask_b32_e64 v10, v11, 1, s10
	v_cmp_eq_u16_e64 s10, 0, v9
	s_delay_alu instid0(VALU_DEP_2) | instskip(NEXT) | instid1(VALU_DEP_1)
	v_and_b32_e32 v11, 0xffff, v10
	v_dual_cndmask_b32 v9, 0, v41, s10 :: v_dual_bitop2_b32 v11, v6, v11 bitop3:0x54
	s_delay_alu instid0(VALU_DEP_1)
	v_dual_add_nc_u32 v7, v9, v7 :: v_dual_mov_b32 v9, v10
.LBB785_84:
	s_or_b32 exec_lo, exec_lo, s12
	ds_swizzle_b32 v10, v11 offset:swizzle(BROADCAST,32,15)
	ds_swizzle_b32 v11, v7 offset:swizzle(BROADCAST,32,15)
	v_and_b32_e32 v41, 1, v9
	v_bfe_i32 v43, v8, 4, 1
	v_and_b32_e32 v3, 0xff, v3
	; wave barrier
	s_delay_alu instid0(VALU_DEP_3) | instskip(SKIP_2) | instid1(VALU_DEP_1)
	v_cmp_eq_u32_e64 s10, 1, v41
	s_wait_dscnt 0x1
	v_dual_add_nc_u32 v41, -1, v8 :: v_dual_bitop2_b32 v10, 1, v10 bitop3:0x40
	v_cndmask_b32_e64 v10, v10, 1, s10
	v_and_b32_e32 v42, 16, v8
	v_cmp_eq_u16_e64 s10, 0, v9
	s_wait_dscnt 0x0
	s_delay_alu instid0(VALU_DEP_1) | instskip(NEXT) | instid1(VALU_DEP_3)
	v_cndmask_b32_e64 v11, 0, v11, s10
	v_cmp_eq_u32_e64 s10, 0, v42
	s_delay_alu instid0(VALU_DEP_1) | instskip(SKIP_1) | instid1(VALU_DEP_4)
	v_cndmask_b32_e64 v9, v10, v9, s10
	v_cmp_gt_i32_e64 s10, 0, v41
	v_and_b32_e32 v10, v43, v11
	s_delay_alu instid0(VALU_DEP_3) | instskip(NEXT) | instid1(VALU_DEP_2)
	v_and_b32_e32 v9, 0xffff, v9
	v_dual_cndmask_b32 v8, v41, v8, s10 :: v_dual_add_nc_u32 v7, v10, v7
	v_cmp_eq_u16_e64 s10, 0, v3
	s_delay_alu instid0(VALU_DEP_2)
	v_lshlrev_b32_e32 v8, 2, v8
	ds_bpermute_b32 v7, v8, v7
	s_wait_dscnt 0x0
	v_dual_cndmask_b32 v3, 0, v7, s10 :: v_dual_bitop2_b32 v6, v6, v9 bitop3:0x54
	ds_bpermute_b32 v6, v8, v6
	v_cmp_eq_u32_e64 s10, 1, v5
	v_add_nc_u32_e32 v2, v3, v2
	s_wait_dscnt 0x0
	v_and_b32_e32 v6, 1, v6
	s_delay_alu instid0(VALU_DEP_1) | instskip(SKIP_1) | instid1(VALU_DEP_1)
	v_cndmask_b32_e64 v3, v6, 1, s10
	v_cmp_eq_u32_e64 s10, 0, v0
	v_dual_cndmask_b32 v8, v3, v13, s10 :: v_dual_cndmask_b32 v5, v2, v12, s10
	ds_store_b32 v4, v5
	ds_store_b8 v4, v8 offset:4
	; wave barrier
	ds_load_u8 v9, v4 offset:12
	ds_load_2addr_b32 v[2:3], v4 offset0:2 offset1:4
	ds_load_u8 v10, v4 offset:20
	ds_load_u8 v11, v4 offset:28
	;; [unrolled: 1-line block ×5, first 2 shown]
	ds_load_b32 v44, v4 offset:56
	ds_load_u8 v45, v4 offset:60
	ds_load_2addr_b32 v[6:7], v4 offset0:6 offset1:8
	s_wait_dscnt 0x9
	v_cmp_eq_u16_e64 s10, 0, v9
	v_and_b32_e32 v9, 1, v9
	s_delay_alu instid0(VALU_DEP_2) | instskip(SKIP_2) | instid1(VALU_DEP_2)
	v_cndmask_b32_e64 v5, 0, v5, s10
	s_wait_dscnt 0x7
	v_cmp_eq_u16_e64 s10, 0, v10
	v_add_nc_u32_e32 v5, v5, v2
	s_delay_alu instid0(VALU_DEP_1) | instskip(SKIP_2) | instid1(VALU_DEP_2)
	v_cndmask_b32_e64 v2, 0, v5, s10
	s_wait_dscnt 0x6
	v_cmp_eq_u16_e64 s10, 0, v11
	v_add_nc_u32_e32 v46, v2, v3
	ds_load_2addr_b32 v[2:3], v4 offset0:10 offset1:12
	v_cndmask_b32_e64 v47, 0, v46, s10
	s_wait_dscnt 0x6
	v_cmp_eq_u16_e64 s10, 0, v41
	ds_store_2addr_b32 v4, v5, v46 offset0:2 offset1:4
	s_wait_dscnt 0x2
	v_add_nc_u32_e32 v6, v47, v6
	s_delay_alu instid0(VALU_DEP_1) | instskip(SKIP_3) | instid1(VALU_DEP_4)
	v_cndmask_b32_e64 v47, 0, v6, s10
	v_cmp_eq_u32_e64 s10, 1, v9
	v_and_b32_e32 v9, 1, v11
	v_and_b32_e32 v11, 1, v41
	v_dual_add_nc_u32 v7, v47, v7 :: v_dual_bitop2_b32 v10, 1, v10 bitop3:0x40
	s_delay_alu instid0(VALU_DEP_4) | instskip(SKIP_1) | instid1(VALU_DEP_3)
	v_cndmask_b32_e64 v8, v8, 1, s10
	v_and_b32_e32 v47, 1, v45
	v_cmp_eq_u32_e64 s10, 1, v10
	s_delay_alu instid0(VALU_DEP_1) | instskip(SKIP_1) | instid1(VALU_DEP_1)
	v_cndmask_b32_e64 v10, v8, 1, s10
	v_cmp_eq_u16_e64 s10, 0, v42
	v_dual_cndmask_b32 v41, 0, v7, s10 :: v_dual_bitop2_b32 v42, 1, v42 bitop3:0x40
	v_cmp_eq_u32_e64 s10, 1, v9
	s_wait_dscnt 0x1
	s_delay_alu instid0(VALU_DEP_2) | instskip(NEXT) | instid1(VALU_DEP_2)
	v_dual_add_nc_u32 v2, v41, v2 :: v_dual_bitop2_b32 v41, 1, v43 bitop3:0x40
	v_cndmask_b32_e64 v9, v10, 1, s10
	v_cmp_eq_u32_e64 s10, 1, v11
	s_delay_alu instid0(VALU_DEP_1) | instskip(SKIP_1) | instid1(VALU_DEP_1)
	v_cndmask_b32_e64 v11, v9, 1, s10
	v_cmp_eq_u16_e64 s10, 0, v43
	v_cndmask_b32_e64 v43, 0, v2, s10
	v_cmp_eq_u32_e64 s10, 1, v42
	s_delay_alu instid0(VALU_DEP_2) | instskip(NEXT) | instid1(VALU_DEP_2)
	v_add_nc_u32_e32 v3, v43, v3
	v_cndmask_b32_e64 v42, v11, 1, s10
	v_cmp_eq_u32_e64 s10, 1, v41
	ds_store_2addr_b32 v4, v6, v7 offset0:6 offset1:8
	ds_store_2addr_b32 v4, v2, v3 offset0:10 offset1:12
	v_cndmask_b32_e64 v41, v42, 1, s10
	v_cmp_eq_u16_e64 s10, 0, v45
	s_delay_alu instid0(VALU_DEP_1) | instskip(SKIP_1) | instid1(VALU_DEP_2)
	v_cndmask_b32_e64 v5, 0, v3, s10
	v_cmp_eq_u32_e64 s10, 1, v47
	v_add_nc_u32_e32 v2, v5, v44
	s_delay_alu instid0(VALU_DEP_2)
	v_cndmask_b32_e64 v43, v41, 1, s10
	ds_store_b8 v4, v8 offset:12
	ds_store_b8 v4, v10 offset:20
	;; [unrolled: 1-line block ×6, first 2 shown]
	ds_store_b32 v4, v2 offset:56
	ds_store_b8 v4, v43 offset:60
.LBB785_85:
	s_or_b32 exec_lo, exec_lo, s11
	v_cmp_eq_u32_e64 s10, 0, v0
	s_mov_b32 s12, exec_lo
	s_wait_dscnt 0x0
	s_barrier_signal -1
	s_barrier_wait -1
	v_cmpx_ne_u32_e32 0, v0
	s_cbranch_execz .LBB785_87
; %bb.86:
	v_add_nc_u32_e32 v2, -1, v0
	s_delay_alu instid0(VALU_DEP_1) | instskip(NEXT) | instid1(VALU_DEP_1)
	v_lshrrev_b32_e32 v3, 2, v2
	v_and_b32_e32 v3, 0x3ffffff8, v3
	s_delay_alu instid0(VALU_DEP_1)
	v_lshl_add_u32 v2, v2, 3, v3
	ds_load_b32 v12, v2
	ds_load_u8 v13, v2 offset:4
.LBB785_87:
	s_or_b32 exec_lo, exec_lo, s12
	s_and_saveexec_b32 s34, vcc_lo
	s_cbranch_execz .LBB785_157
; %bb.88:
	v_mov_b32_e32 v5, 0
	v_mbcnt_lo_u32_b32 v41, -1, 0
	s_mov_b32 s13, 0
	ds_load_b64 v[2:3], v5 offset:2096
	v_cmp_eq_u32_e64 s11, 0, v41
	s_and_saveexec_b32 s30, s11
	s_cbranch_execz .LBB785_90
; %bb.89:
	s_add_co_i32 s12, s28, 32
	v_mov_b32_e32 v4, 1
	s_lshl_b64 s[12:13], s[12:13], 4
	s_delay_alu instid0(SALU_CYCLE_1) | instskip(NEXT) | instid1(SALU_CYCLE_1)
	s_add_nc_u64 s[12:13], s[16:17], s[12:13]
	v_mov_b64_e32 v[6:7], s[12:13]
	s_wait_dscnt 0x0
	;;#ASMSTART
	global_store_b128 v[6:7], v[2:5] off scope:SCOPE_DEV	
s_wait_storecnt 0x0
	;;#ASMEND
.LBB785_90:
	s_or_b32 exec_lo, exec_lo, s30
	v_xad_u32 v8, v41, -1, s28
	s_mov_b32 s12, exec_lo
	s_delay_alu instid0(VALU_DEP_1) | instskip(NEXT) | instid1(VALU_DEP_1)
	v_add_nc_u32_e32 v4, 32, v8
	v_lshl_add_u64 v[10:11], v[4:5], 4, s[16:17]
	;;#ASMSTART
	global_load_b128 v[4:7], v[10:11] off scope:SCOPE_DEV	
s_wait_loadcnt 0x0
	;;#ASMEND
	v_and_b32_e32 v7, 0xff, v6
	v_and_b32_e32 v5, 0xff, v5
	s_delay_alu instid0(VALU_DEP_2)
	v_cmpx_eq_u16_e32 0, v7
	s_cbranch_execz .LBB785_94
; %bb.91:
	s_mov_b32 s13, 0
.LBB785_92:                             ; =>This Inner Loop Header: Depth=1
	;;#ASMSTART
	global_load_b128 v[4:7], v[10:11] off scope:SCOPE_DEV	
s_wait_loadcnt 0x0
	;;#ASMEND
	v_and_b32_e32 v7, 0xff, v6
	s_delay_alu instid0(VALU_DEP_1) | instskip(SKIP_1) | instid1(SALU_CYCLE_1)
	v_cmp_ne_u16_e32 vcc_lo, 0, v7
	s_or_b32 s13, vcc_lo, s13
	s_and_not1_b32 exec_lo, exec_lo, s13
	s_cbranch_execnz .LBB785_92
; %bb.93:
	s_or_b32 exec_lo, exec_lo, s13
	v_and_b32_e32 v5, 0xff, v5
.LBB785_94:
	s_or_b32 exec_lo, exec_lo, s12
	v_cmp_ne_u32_e32 vcc_lo, 31, v41
	v_and_b32_e32 v9, 0xff, v6
	v_lshlrev_b32_e64 v43, v41, -1
	s_mov_b64 s[30:31], 0x100000000
	v_lshl_or_b32 v52, v41, 2, 64
	v_add_co_ci_u32_e64 v7, null, 0, v41, vcc_lo
	v_cmp_eq_u16_e32 vcc_lo, 2, v9
	v_cmp_gt_u64_e64 s12, s[30:31], v[4:5]
	s_delay_alu instid0(VALU_DEP_3) | instskip(SKIP_1) | instid1(VALU_DEP_2)
	v_dual_lshlrev_b32 v42, 2, v7 :: v_dual_bitop2_b32 v10, 1, v5 bitop3:0x40
	v_and_or_b32 v9, vcc_lo, v43, 0x80000000
	v_cmp_eq_u32_e32 vcc_lo, 1, v10
	ds_bpermute_b32 v7, v42, v5
	ds_bpermute_b32 v10, v42, v4
	v_ctz_i32_b32_e32 v9, v9
	s_wait_dscnt 0x1
	v_and_b32_e32 v7, 1, v7
	s_delay_alu instid0(VALU_DEP_1) | instskip(SKIP_1) | instid1(VALU_DEP_2)
	v_cndmask_b32_e64 v7, v7, 1, vcc_lo
	v_cmp_gt_u32_e32 vcc_lo, 30, v41
	v_and_b32_e32 v45, 0xffff, v7
	v_cndmask_b32_e64 v11, 0, 2, vcc_lo
	v_cmp_lt_u32_e32 vcc_lo, v41, v9
	s_delay_alu instid0(VALU_DEP_2) | instskip(NEXT) | instid1(VALU_DEP_4)
	v_add_lshl_u32 v44, v11, v41, 2
	v_dual_cndmask_b32 v11, v5, v45, vcc_lo :: v_dual_cndmask_b32 v7, v5, v7, vcc_lo
	s_and_b32 vcc_lo, vcc_lo, s12
	s_wait_dscnt 0x0
	v_cndmask_b32_e32 v10, 0, v10, vcc_lo
	ds_bpermute_b32 v5, v44, v11
	v_and_b32_e32 v46, 1, v7
	v_and_b32_e32 v48, 0xff, v7
	v_add_nc_u32_e32 v4, v10, v4
	s_delay_alu instid0(VALU_DEP_3) | instskip(NEXT) | instid1(VALU_DEP_3)
	v_cmp_eq_u32_e32 vcc_lo, 1, v46
	v_cmp_eq_u16_e64 s12, 0, v48
	ds_bpermute_b32 v10, v44, v4
	s_wait_dscnt 0x1
	v_and_b32_e32 v5, 1, v5
	s_delay_alu instid0(VALU_DEP_1) | instskip(SKIP_2) | instid1(VALU_DEP_3)
	v_cndmask_b32_e64 v5, v5, 1, vcc_lo
	v_add_nc_u32_e32 v45, 2, v41
	v_cmp_gt_u32_e32 vcc_lo, 28, v41
	v_and_b32_e32 v47, 0xffff, v5
	v_cndmask_b32_e64 v46, 0, 4, vcc_lo
	s_delay_alu instid0(VALU_DEP_4) | instskip(NEXT) | instid1(VALU_DEP_2)
	v_cmp_gt_u32_e32 vcc_lo, v45, v9
	v_add_lshl_u32 v46, v46, v41, 2
	v_cndmask_b32_e32 v5, v5, v7, vcc_lo
	s_wait_dscnt 0x0
	v_dual_cndmask_b32 v7, v47, v11, vcc_lo :: v_dual_cndmask_b32 v10, 0, v10, s12
	s_delay_alu instid0(VALU_DEP_2) | instskip(SKIP_4) | instid1(VALU_DEP_3)
	v_and_b32_e32 v48, 1, v5
	ds_bpermute_b32 v11, v46, v7
	v_cndmask_b32_e64 v10, v10, 0, vcc_lo
	v_cmp_eq_u32_e32 vcc_lo, 1, v48
	v_and_b32_e32 v48, 0xff, v5
	v_add_nc_u32_e32 v4, v10, v4
	s_delay_alu instid0(VALU_DEP_2)
	v_cmp_eq_u16_e64 s12, 0, v48
	s_wait_dscnt 0x0
	v_and_b32_e32 v11, 1, v11
	ds_bpermute_b32 v10, v46, v4
	v_add_nc_u32_e32 v47, 4, v41
	v_cndmask_b32_e64 v11, v11, 1, vcc_lo
	v_cmp_gt_u32_e32 vcc_lo, 24, v41
	s_delay_alu instid0(VALU_DEP_2) | instskip(SKIP_1) | instid1(VALU_DEP_1)
	v_and_b32_e32 v50, 0xffff, v11
	v_cndmask_b32_e64 v49, 0, 8, vcc_lo
	v_add_lshl_u32 v48, v49, v41, 2
	s_wait_dscnt 0x0
	v_dual_add_nc_u32 v49, 8, v41 :: v_dual_cndmask_b32 v10, 0, v10, s12
	v_cmp_gt_u32_e32 vcc_lo, v47, v9
	v_dual_cndmask_b32 v5, v11, v5, vcc_lo :: v_dual_cndmask_b32 v7, v50, v7, vcc_lo
	s_delay_alu instid0(VALU_DEP_3) | instskip(NEXT) | instid1(VALU_DEP_2)
	v_cndmask_b32_e64 v10, v10, 0, vcc_lo
	v_and_b32_e32 v50, 1, v5
	ds_bpermute_b32 v11, v48, v7
	v_add_nc_u32_e32 v4, v10, v4
	v_and_b32_e32 v51, 0xff, v5
	v_cmp_eq_u32_e32 vcc_lo, 1, v50
	ds_bpermute_b32 v10, v48, v4
	s_wait_dscnt 0x1
	v_and_b32_e32 v11, 1, v11
	s_delay_alu instid0(VALU_DEP_1) | instskip(SKIP_1) | instid1(VALU_DEP_2)
	v_cndmask_b32_e64 v11, v11, 1, vcc_lo
	v_cmp_eq_u16_e32 vcc_lo, 0, v51
	v_and_b32_e32 v50, 0xffff, v11
	s_wait_dscnt 0x0
	v_cndmask_b32_e32 v10, 0, v10, vcc_lo
	v_cmp_gt_u32_e32 vcc_lo, v49, v9
	s_delay_alu instid0(VALU_DEP_3) | instskip(NEXT) | instid1(VALU_DEP_3)
	v_dual_cndmask_b32 v5, v11, v5, vcc_lo :: v_dual_cndmask_b32 v7, v50, v7, vcc_lo
	v_cndmask_b32_e64 v10, v10, 0, vcc_lo
	s_delay_alu instid0(VALU_DEP_2) | instskip(SKIP_3) | instid1(VALU_DEP_1)
	v_and_b32_e32 v50, 1, v5
	ds_bpermute_b32 v7, v52, v7
	v_add_nc_u32_e32 v4, v10, v4
	v_and_b32_e32 v11, 0xff, v5
	v_cmp_eq_u16_e32 vcc_lo, 0, v11
	s_wait_dscnt 0x0
	v_and_b32_e32 v7, 1, v7
	ds_bpermute_b32 v10, v52, v4
	s_wait_dscnt 0x0
	v_dual_cndmask_b32 v10, 0, v10 :: v_dual_add_nc_u32 v53, 16, v41
	v_cmp_eq_u32_e32 vcc_lo, 1, v50
	v_cndmask_b32_e64 v7, v7, 1, vcc_lo
	s_delay_alu instid0(VALU_DEP_3) | instskip(NEXT) | instid1(VALU_DEP_2)
	v_cmp_gt_u32_e32 vcc_lo, v53, v9
	v_dual_mov_b32 v9, 0 :: v_dual_cndmask_b32 v5, v7, v5, vcc_lo
	v_cndmask_b32_e64 v7, v10, 0, vcc_lo
	s_delay_alu instid0(VALU_DEP_1)
	v_add_nc_u32_e32 v4, v7, v4
	s_branch .LBB785_98
.LBB785_95:                             ;   in Loop: Header=BB785_98 Depth=1
	s_or_b32 exec_lo, exec_lo, s13
	v_and_b32_e32 v5, 0xff, v5
.LBB785_96:                             ;   in Loop: Header=BB785_98 Depth=1
	s_or_b32 exec_lo, exec_lo, s12
	ds_bpermute_b32 v7, v42, v5
	v_and_b32_e32 v10, 0xff, v6
	v_cmp_gt_u64_e64 s12, s[30:31], v[4:5]
	v_subrev_nc_u32_e32 v8, 32, v8
	s_delay_alu instid0(VALU_DEP_3) | instskip(SKIP_2) | instid1(VALU_DEP_2)
	v_cmp_eq_u16_e32 vcc_lo, 2, v10
	v_and_b32_e32 v10, 1, v5
	v_and_or_b32 v11, vcc_lo, v43, 0x80000000
	v_cmp_eq_u32_e32 vcc_lo, 1, v10
	s_delay_alu instid0(VALU_DEP_2) | instskip(SKIP_3) | instid1(VALU_DEP_1)
	v_ctz_i32_b32_e32 v10, v11
	ds_bpermute_b32 v11, v42, v4
	s_wait_dscnt 0x1
	v_and_b32_e32 v7, 1, v7
	v_cndmask_b32_e64 v7, v7, 1, vcc_lo
	v_cmp_lt_u32_e32 vcc_lo, v41, v10
	s_delay_alu instid0(VALU_DEP_2) | instskip(NEXT) | instid1(VALU_DEP_1)
	v_and_b32_e32 v54, 0xffff, v7
	v_dual_cndmask_b32 v7, v5, v7 :: v_dual_cndmask_b32 v54, v5, v54
	s_and_b32 vcc_lo, vcc_lo, s12
	s_delay_alu instid0(VALU_DEP_1)
	v_and_b32_e32 v56, 0xff, v7
	v_and_b32_e32 v55, 1, v7
	ds_bpermute_b32 v5, v44, v54
	s_wait_dscnt 0x1
	v_cndmask_b32_e32 v11, 0, v11, vcc_lo
	v_cmp_eq_u16_e64 s12, 0, v56
	v_cmp_eq_u32_e32 vcc_lo, 1, v55
	s_wait_dscnt 0x0
	s_delay_alu instid0(VALU_DEP_3) | instskip(NEXT) | instid1(VALU_DEP_1)
	v_dual_add_nc_u32 v4, v11, v4 :: v_dual_bitop2_b32 v5, 1, v5 bitop3:0x40
	v_cndmask_b32_e64 v5, v5, 1, vcc_lo
	ds_bpermute_b32 v11, v44, v4
	v_cmp_gt_u32_e32 vcc_lo, v45, v10
	v_and_b32_e32 v55, 0xffff, v5
	s_delay_alu instid0(VALU_DEP_1) | instskip(NEXT) | instid1(VALU_DEP_1)
	v_dual_cndmask_b32 v5, v5, v7, vcc_lo :: v_dual_cndmask_b32 v7, v55, v54, vcc_lo
	v_and_b32_e32 v55, 1, v5
	ds_bpermute_b32 v54, v46, v7
	s_wait_dscnt 0x1
	v_cndmask_b32_e64 v11, 0, v11, s12
	s_delay_alu instid0(VALU_DEP_1) | instskip(SKIP_2) | instid1(VALU_DEP_3)
	v_cndmask_b32_e64 v11, v11, 0, vcc_lo
	v_cmp_eq_u32_e32 vcc_lo, 1, v55
	v_and_b32_e32 v55, 0xff, v5
	v_add_nc_u32_e32 v4, v11, v4
	s_delay_alu instid0(VALU_DEP_2)
	v_cmp_eq_u16_e64 s12, 0, v55
	s_wait_dscnt 0x0
	v_and_b32_e32 v54, 1, v54
	ds_bpermute_b32 v11, v46, v4
	v_cndmask_b32_e64 v54, v54, 1, vcc_lo
	v_cmp_gt_u32_e32 vcc_lo, v47, v10
	s_delay_alu instid0(VALU_DEP_2) | instskip(SKIP_3) | instid1(VALU_DEP_1)
	v_and_b32_e32 v56, 0xffff, v54
	s_wait_dscnt 0x0
	v_dual_cndmask_b32 v5, v54, v5, vcc_lo :: v_dual_cndmask_b32 v11, 0, v11, s12
	s_mov_b32 s12, 0
	v_cndmask_b32_e64 v11, v11, 0, vcc_lo
	v_cndmask_b32_e32 v7, v56, v7, vcc_lo
	s_delay_alu instid0(VALU_DEP_3) | instskip(NEXT) | instid1(VALU_DEP_3)
	v_and_b32_e32 v56, 0xff, v5
	v_add_nc_u32_e32 v4, v11, v4
	ds_bpermute_b32 v54, v48, v7
	ds_bpermute_b32 v11, v48, v4
	v_and_b32_e32 v55, 1, v5
	s_delay_alu instid0(VALU_DEP_1) | instskip(SKIP_2) | instid1(VALU_DEP_1)
	v_cmp_eq_u32_e32 vcc_lo, 1, v55
	s_wait_dscnt 0x1
	v_and_b32_e32 v54, 1, v54
	v_cndmask_b32_e64 v54, v54, 1, vcc_lo
	v_cmp_eq_u16_e32 vcc_lo, 0, v56
	s_delay_alu instid0(VALU_DEP_2) | instskip(SKIP_3) | instid1(VALU_DEP_2)
	v_and_b32_e32 v55, 0xffff, v54
	s_wait_dscnt 0x0
	v_cndmask_b32_e32 v11, 0, v11, vcc_lo
	v_cmp_gt_u32_e32 vcc_lo, v49, v10
	v_cndmask_b32_e64 v11, v11, 0, vcc_lo
	v_dual_cndmask_b32 v7, v55, v7, vcc_lo :: v_dual_cndmask_b32 v5, v54, v5, vcc_lo
	s_delay_alu instid0(VALU_DEP_2) | instskip(SKIP_4) | instid1(VALU_DEP_1)
	v_add_nc_u32_e32 v4, v11, v4
	ds_bpermute_b32 v7, v52, v7
	v_and_b32_e32 v55, 0xff, v5
	ds_bpermute_b32 v11, v52, v4
	v_and_b32_e32 v54, 1, v5
	v_cmp_eq_u32_e32 vcc_lo, 1, v54
	s_wait_dscnt 0x1
	v_cndmask_b32_e64 v7, v7, 1, vcc_lo
	v_cmp_eq_u16_e32 vcc_lo, 0, v55
	s_wait_dscnt 0x0
	v_cndmask_b32_e32 v11, 0, v11, vcc_lo
	v_cmp_gt_u32_e32 vcc_lo, v53, v10
	v_and_b32_e32 v10, 0xff, v50
	v_cndmask_b32_e32 v5, v7, v5, vcc_lo
	s_delay_alu instid0(VALU_DEP_4) | instskip(NEXT) | instid1(VALU_DEP_3)
	v_cndmask_b32_e64 v7, v11, 0, vcc_lo
	v_cmp_eq_u16_e32 vcc_lo, 0, v10
	s_delay_alu instid0(VALU_DEP_2) | instskip(NEXT) | instid1(VALU_DEP_1)
	v_dual_add_nc_u32 v4, v7, v4 :: v_dual_bitop2_b32 v7, 1, v50 bitop3:0x40
	v_dual_cndmask_b32 v4, 0, v4, vcc_lo :: v_dual_bitop2_b32 v5, 1, v5 bitop3:0x40
	s_delay_alu instid0(VALU_DEP_2) | instskip(NEXT) | instid1(VALU_DEP_2)
	v_cmp_eq_u32_e32 vcc_lo, 1, v7
	v_add_nc_u32_e32 v4, v4, v51
	s_delay_alu instid0(VALU_DEP_3)
	v_cndmask_b32_e64 v5, v5, 1, vcc_lo
.LBB785_97:                             ;   in Loop: Header=BB785_98 Depth=1
	s_and_b32 vcc_lo, exec_lo, s12
	s_cbranch_vccnz .LBB785_153
.LBB785_98:                             ; =>This Loop Header: Depth=1
                                        ;     Child Loop BB785_101 Depth 2
	v_and_b32_e32 v6, 0xff, v6
	s_delay_alu instid0(VALU_DEP_2) | instskip(SKIP_1) | instid1(VALU_DEP_2)
	v_dual_mov_b32 v50, v5 :: v_dual_mov_b32 v51, v4
	s_mov_b32 s12, -1
                                        ; implicit-def: $vgpr5
                                        ; implicit-def: $vgpr4
	v_cmp_ne_u16_e32 vcc_lo, 2, v6
                                        ; implicit-def: $vgpr6
	s_cmp_lg_u32 vcc_lo, exec_lo
	s_cbranch_scc1 .LBB785_97
; %bb.99:                               ;   in Loop: Header=BB785_98 Depth=1
	v_lshl_add_u64 v[10:11], v[8:9], 4, s[16:17]
	;;#ASMSTART
	global_load_b128 v[4:7], v[10:11] off scope:SCOPE_DEV	
s_wait_loadcnt 0x0
	;;#ASMEND
	v_and_b32_e32 v7, 0xff, v6
	v_and_b32_e32 v5, 0xff, v5
	s_mov_b32 s12, exec_lo
	s_delay_alu instid0(VALU_DEP_2)
	v_cmpx_eq_u16_e32 0, v7
	s_cbranch_execz .LBB785_96
; %bb.100:                              ;   in Loop: Header=BB785_98 Depth=1
	s_mov_b32 s13, 0
.LBB785_101:                            ;   Parent Loop BB785_98 Depth=1
                                        ; =>  This Inner Loop Header: Depth=2
	;;#ASMSTART
	global_load_b128 v[4:7], v[10:11] off scope:SCOPE_DEV	
s_wait_loadcnt 0x0
	;;#ASMEND
	v_and_b32_e32 v7, 0xff, v6
	s_delay_alu instid0(VALU_DEP_1) | instskip(SKIP_1) | instid1(SALU_CYCLE_1)
	v_cmp_ne_u16_e32 vcc_lo, 0, v7
	s_or_b32 s13, vcc_lo, s13
	s_and_not1_b32 exec_lo, exec_lo, s13
	s_cbranch_execnz .LBB785_101
	s_branch .LBB785_95
.LBB785_102:
	s_or_b32 exec_lo, exec_lo, s11
                                        ; implicit-def: $vgpr15
	s_and_saveexec_b32 s11, s0
	s_cbranch_execz .LBB785_29
.LBB785_103:
	flat_load_b32 v15, v0, s[12:13] offset:1024 scale_offset
	s_wait_xcnt 0x0
	s_or_b32 exec_lo, exec_lo, s11
                                        ; implicit-def: $vgpr18
	s_and_saveexec_b32 s0, s1
	s_cbranch_execnz .LBB785_30
.LBB785_104:
	s_or_b32 exec_lo, exec_lo, s0
                                        ; implicit-def: $vgpr19
	s_and_saveexec_b32 s0, s2
	s_cbranch_execz .LBB785_31
.LBB785_105:
	flat_load_b32 v19, v0, s[12:13] offset:3072 scale_offset
	s_wait_xcnt 0x0
	s_or_b32 exec_lo, exec_lo, s0
                                        ; implicit-def: $vgpr20
	s_and_saveexec_b32 s0, s3
	s_cbranch_execnz .LBB785_32
.LBB785_106:
	s_or_b32 exec_lo, exec_lo, s0
                                        ; implicit-def: $vgpr21
	s_and_saveexec_b32 s0, s4
	s_cbranch_execz .LBB785_33
.LBB785_107:
	flat_load_b32 v21, v0, s[12:13] offset:5120 scale_offset
	s_wait_xcnt 0x0
	s_or_b32 exec_lo, exec_lo, s0
                                        ; implicit-def: $vgpr22
	s_and_saveexec_b32 s0, s5
	s_cbranch_execnz .LBB785_34
.LBB785_108:
	s_or_b32 exec_lo, exec_lo, s0
                                        ; implicit-def: $vgpr23
	s_and_saveexec_b32 s0, s6
	s_cbranch_execz .LBB785_35
.LBB785_109:
	flat_load_b32 v23, v0, s[12:13] offset:7168 scale_offset
	s_wait_xcnt 0x0
	s_or_b32 exec_lo, exec_lo, s0
                                        ; implicit-def: $vgpr24
	s_and_saveexec_b32 s0, s7
	s_cbranch_execnz .LBB785_36
.LBB785_110:
	s_or_b32 exec_lo, exec_lo, s0
                                        ; implicit-def: $vgpr25
	s_and_saveexec_b32 s0, s8
	s_cbranch_execz .LBB785_37
.LBB785_111:
	flat_load_b32 v25, v0, s[12:13] offset:9216 scale_offset
	s_wait_xcnt 0x0
	s_or_b32 exec_lo, exec_lo, s0
                                        ; implicit-def: $vgpr26
	s_and_saveexec_b32 s0, s9
	s_cbranch_execz .LBB785_39
	s_branch .LBB785_38
.LBB785_112:
                                        ; implicit-def: $vgpr13
                                        ; implicit-def: $vgpr9
                                        ; implicit-def: $vgpr5
	s_cbranch_execnz .LBB785_158
.LBB785_113:
	s_add_nc_u64 s[0:1], s[14:15], s[26:27]
	s_and_b32 vcc_lo, exec_lo, s19
	s_add_nc_u64 s[0:1], s[0:1], s[20:21]
	s_cbranch_vccz .LBB785_175
.LBB785_114:
	v_mul_u32_u24_e32 v1, 12, v0
	s_add_co_i32 s29, s29, s18
	s_mov_b32 s2, exec_lo
	s_delay_alu instid0(VALU_DEP_1)
	v_cmpx_gt_u32_e64 s29, v1
	s_cbranch_execz .LBB785_130
; %bb.115:
	v_or_b32_e32 v14, 1, v1
	s_mov_b32 s3, exec_lo
	s_delay_alu instid0(VALU_DEP_1)
	v_cmpx_gt_u32_e64 s29, v14
	s_cbranch_execz .LBB785_129
; %bb.116:
	v_or_b32_e32 v14, 2, v1
	;; [unrolled: 6-line block ×3, first 2 shown]
	s_mov_b32 s5, exec_lo
	s_delay_alu instid0(VALU_DEP_1)
	v_cmpx_gt_u32_e64 s29, v14
	s_cbranch_execz .LBB785_127
; %bb.118:
	v_add_nc_u32_e32 v14, 4, v1
	s_mov_b32 s6, exec_lo
	s_delay_alu instid0(VALU_DEP_1)
	v_cmpx_gt_u32_e64 s29, v14
	s_cbranch_execz .LBB785_126
; %bb.119:
	v_add_nc_u32_e32 v14, 5, v1
	;; [unrolled: 6-line block ×4, first 2 shown]
	s_mov_b32 s9, exec_lo
	s_delay_alu instid0(VALU_DEP_1)
	v_cmpx_gt_u32_e64 s29, v14
; %bb.122:
	v_add_nc_u32_e32 v14, 8, v1
	s_mov_b32 s10, exec_lo
	s_delay_alu instid0(VALU_DEP_1)
	v_cmpx_gt_u32_e64 s29, v14
	s_or_b32 exec_lo, exec_lo, s10
; %bb.123:
	s_delay_alu instid0(SALU_CYCLE_1)
	s_or_b32 exec_lo, exec_lo, s9
.LBB785_124:
	s_delay_alu instid0(SALU_CYCLE_1)
	s_or_b32 exec_lo, exec_lo, s8
.LBB785_125:
	s_delay_alu instid0(SALU_CYCLE_1)
	s_or_b32 exec_lo, exec_lo, s7
.LBB785_126:
	s_delay_alu instid0(SALU_CYCLE_1)
	s_or_b32 exec_lo, exec_lo, s6
.LBB785_127:
	s_delay_alu instid0(SALU_CYCLE_1)
	s_or_b32 exec_lo, exec_lo, s5
.LBB785_128:
	s_delay_alu instid0(SALU_CYCLE_1)
	s_or_b32 exec_lo, exec_lo, s4
.LBB785_129:
	s_delay_alu instid0(SALU_CYCLE_1)
	s_or_b32 exec_lo, exec_lo, s3
.LBB785_130:
	s_delay_alu instid0(SALU_CYCLE_1) | instskip(SKIP_3) | instid1(VALU_DEP_1)
	s_or_b32 exec_lo, exec_lo, s2
	v_dual_lshlrev_b32 v1, 2, v1 :: v_dual_mov_b32 v17, 0
	s_barrier_signal -1
	s_barrier_wait -1
	v_mad_i32_i24 v14, 0xffffffd4, v0, v1
	ds_store_b128 v1, v[2:5]
	ds_store_b128 v1, v[6:9] offset:16
	ds_store_b128 v1, v[10:13] offset:32
	s_wait_dscnt 0x0
	s_barrier_signal -1
	s_barrier_wait -1
	ds_load_2addr_stride64_b32 v[26:27], v14 offset0:4 offset1:8
	ds_load_2addr_stride64_b32 v[24:25], v14 offset0:12 offset1:16
	;; [unrolled: 1-line block ×5, first 2 shown]
	ds_load_b32 v15, v14 offset:11264
	v_add_nc_u64_e32 v[16:17], s[0:1], v[16:17]
	s_mov_b32 s2, exec_lo
	v_cmpx_gt_u32_e64 s29, v0
	s_cbranch_execz .LBB785_132
; %bb.131:
	v_mul_i32_i24_e32 v14, 0xffffffd4, v0
	s_delay_alu instid0(VALU_DEP_1)
	v_add_nc_u32_e32 v1, v1, v14
	ds_load_b32 v1, v1
	s_wait_dscnt 0x0
	flat_store_b32 v[16:17], v1
.LBB785_132:
	s_wait_xcnt 0x0
	s_or_b32 exec_lo, exec_lo, s2
	v_or_b32_e32 v1, 0x100, v0
	s_mov_b32 s2, exec_lo
	s_delay_alu instid0(VALU_DEP_1)
	v_cmpx_gt_u32_e64 s29, v1
	s_cbranch_execz .LBB785_134
; %bb.133:
	s_wait_dscnt 0x5
	flat_store_b32 v[16:17], v26 offset:1024
.LBB785_134:
	s_wait_xcnt 0x0
	s_or_b32 exec_lo, exec_lo, s2
	v_or_b32_e32 v1, 0x200, v0
	s_mov_b32 s2, exec_lo
	s_delay_alu instid0(VALU_DEP_1)
	v_cmpx_gt_u32_e64 s29, v1
	s_cbranch_execz .LBB785_136
; %bb.135:
	s_wait_dscnt 0x5
	flat_store_b32 v[16:17], v27 offset:2048
.LBB785_136:
	;; [unrolled: 11-line block ×10, first 2 shown]
	s_wait_xcnt 0x0
	s_or_b32 exec_lo, exec_lo, s2
	v_or_b32_e32 v1, 0xb00, v0
	s_delay_alu instid0(VALU_DEP_1)
	v_cmp_gt_u32_e64 s2, s29, v1
	s_branch .LBB785_177
.LBB785_153:
	s_and_saveexec_b32 s12, s11
	s_cbranch_execz .LBB785_155
; %bb.154:
	v_and_b32_e32 v4, 0xff, v3
	s_mov_b32 s31, 0
	s_add_co_i32 s30, s28, 32
	v_and_b32_e32 v5, 1, v50
	s_lshl_b64 s[30:31], s[30:31], 4
	v_cmp_eq_u32_e32 vcc_lo, 0, v4
	s_add_nc_u64 s[30:31], s[16:17], s[30:31]
	s_delay_alu instid0(SALU_CYCLE_1) | instskip(SKIP_1) | instid1(VALU_DEP_1)
	v_mov_b64_e32 v[6:7], s[30:31]
	v_cndmask_b32_e32 v4, 0, v51, vcc_lo
	v_dual_add_nc_u32 v2, v4, v2 :: v_dual_bitop2_b32 v3, 1, v3 bitop3:0x40
	s_delay_alu instid0(VALU_DEP_1)
	v_cmp_eq_u32_e32 vcc_lo, 1, v3
	v_mov_b32_e32 v4, 2
	v_cndmask_b32_e64 v3, v5, 1, vcc_lo
	v_mov_b32_e32 v5, 0
	;;#ASMSTART
	global_store_b128 v[6:7], v[2:5] off scope:SCOPE_DEV	
s_wait_storecnt 0x0
	;;#ASMEND
.LBB785_155:
	s_or_b32 exec_lo, exec_lo, s12
	s_delay_alu instid0(SALU_CYCLE_1)
	s_and_b32 exec_lo, exec_lo, s10
	s_cbranch_execz .LBB785_157
; %bb.156:
	v_mov_b32_e32 v2, 0
	ds_store_b32 v2, v51
	ds_store_b8 v2, v50 offset:4
.LBB785_157:
	s_or_b32 exec_lo, exec_lo, s34
	s_wait_dscnt 0x0
	v_and_b32_e32 v3, 0xff, v13
	s_barrier_signal -1
	s_barrier_wait -1
	s_delay_alu instid0(VALU_DEP_1)
	v_cmp_eq_u16_e32 vcc_lo, 0, v3
	v_mov_b32_e32 v4, 0
	v_and_b32_e32 v5, 0xff, v15
	ds_load_b32 v2, v4
	s_wait_dscnt 0x0
	v_cndmask_b32_e32 v3, 0, v2, vcc_lo
	v_cmp_eq_u64_e32 vcc_lo, 0, v[4:5]
	s_delay_alu instid0(VALU_DEP_2) | instskip(NEXT) | instid1(VALU_DEP_1)
	v_add_nc_u32_e32 v3, v3, v12
	v_cndmask_b32_e64 v2, v3, v2, s10
	s_delay_alu instid0(VALU_DEP_1) | instskip(NEXT) | instid1(VALU_DEP_1)
	v_cndmask_b32_e32 v3, 0, v2, vcc_lo
	v_add_nc_u32_e32 v3, v3, v14
	s_delay_alu instid0(VALU_DEP_1) | instskip(NEXT) | instid1(VALU_DEP_1)
	v_cndmask_b32_e64 v4, 0, v3, s0
	v_add_nc_u32_e32 v4, v4, v36
	s_delay_alu instid0(VALU_DEP_1) | instskip(NEXT) | instid1(VALU_DEP_1)
	v_cndmask_b32_e64 v5, 0, v4, s1
	;; [unrolled: 3-line block ×10, first 2 shown]
	v_add_nc_u32_e32 v13, v13, v18
	s_branch .LBB785_113
.LBB785_158:
	s_cmp_eq_u64 s[24:25], 0
	v_mov_b32_e32 v41, s33
	s_cselect_b32 s0, -1, 0
	s_cmp_eq_u64 s[22:23], 0
	s_cselect_b32 s1, -1, 0
	s_delay_alu instid0(SALU_CYCLE_1) | instskip(NEXT) | instid1(SALU_CYCLE_1)
	s_or_b32 s0, s0, s1
	s_and_b32 vcc_lo, exec_lo, s0
	s_cbranch_vccnz .LBB785_160
; %bb.159:
	v_mov_b32_e32 v2, 0
	global_load_b32 v41, v2, s[22:23]
.LBB785_160:
	s_mov_b64 s[10:11], 0x100000000
	v_or3_b32 v3, v40, v27, v29
	v_cmp_gt_u64_e32 vcc_lo, s[10:11], v[36:37]
	v_cmp_gt_u64_e64 s0, s[10:11], v[34:35]
	v_cmp_gt_u64_e64 s9, s[10:11], v[38:39]
	;; [unrolled: 1-line block ×6, first 2 shown]
	s_wait_xcnt 0x0
	v_dual_cndmask_b32 v2, 0, v14, vcc_lo :: v_dual_bitop2_b32 v1, 56, v1 bitop3:0x40
	v_cmp_gt_u64_e64 s5, s[10:11], v[24:25]
	v_cmp_gt_u64_e64 s6, s[10:11], v[22:23]
	;; [unrolled: 1-line block ×3, first 2 shown]
	s_delay_alu instid0(VALU_DEP_4)
	v_add_nc_u32_e32 v2, v2, v36
	v_or3_b32 v3, v3, v31, v33
	v_cmp_gt_u64_e64 s8, s[10:11], v[18:19]
	v_lshl_add_u32 v1, v0, 3, v1
	s_mov_b32 s10, exec_lo
	v_cndmask_b32_e64 v2, 0, v2, s0
	v_or3_b32 v3, v3, v35, v37
	s_delay_alu instid0(VALU_DEP_2) | instskip(NEXT) | instid1(VALU_DEP_2)
	v_add_nc_u32_e32 v2, v2, v34
	v_or3_b32 v3, v39, v17, v3
	s_delay_alu instid0(VALU_DEP_2) | instskip(NEXT) | instid1(VALU_DEP_2)
	v_cndmask_b32_e64 v2, 0, v2, s1
	v_and_b32_e32 v3, 0xff, v3
	s_delay_alu instid0(VALU_DEP_2) | instskip(NEXT) | instid1(VALU_DEP_1)
	v_add_nc_u32_e32 v2, v2, v32
	v_cndmask_b32_e64 v2, 0, v2, s2
	s_delay_alu instid0(VALU_DEP_1) | instskip(NEXT) | instid1(VALU_DEP_1)
	v_add_nc_u32_e32 v2, v2, v30
	v_cndmask_b32_e64 v2, 0, v2, s3
	s_delay_alu instid0(VALU_DEP_1) | instskip(NEXT) | instid1(VALU_DEP_1)
	;; [unrolled: 3-line block ×7, first 2 shown]
	v_dual_add_nc_u32 v4, v2, v18 :: v_dual_mov_b32 v2, 0
	v_cndmask_b32_e64 v4, 0, v4, s9
	s_delay_alu instid0(VALU_DEP_2) | instskip(NEXT) | instid1(VALU_DEP_1)
	v_cmp_eq_u64_e64 s9, 0, v[2:3]
	v_dual_add_nc_u32 v4, v4, v38 :: v_dual_cndmask_b32 v5, 1, v15, s9
	ds_store_b32 v1, v4
	ds_store_b8 v1, v5 offset:4
	s_wait_loadcnt_dscnt 0x0
	s_barrier_signal -1
	s_barrier_wait -1
	v_cmpx_gt_u32_e32 32, v0
	s_cbranch_execz .LBB785_170
; %bb.161:
	v_dual_lshlrev_b32 v1, 1, v0 :: v_dual_lshlrev_b32 v2, 6, v0
	s_mov_b32 s11, exec_lo
	s_delay_alu instid0(VALU_DEP_1) | instskip(NEXT) | instid1(VALU_DEP_1)
	v_and_b32_e32 v1, 0x1f8, v1
	v_add_nc_u32_e32 v1, v1, v2
	ds_load_u8 v12, v1 offset:12
	ds_load_b64 v[2:3], v1
	ds_load_2addr_b32 v[6:7], v1 offset0:2 offset1:4
	ds_load_u8 v13, v1 offset:20
	ds_load_u8 v17, v1 offset:28
	;; [unrolled: 1-line block ×5, first 2 shown]
	ds_load_b32 v25, v1 offset:56
	s_wait_dscnt 0x8
	v_cmp_eq_u16_e64 s9, 0, v12
	s_wait_dscnt 0x7
	s_delay_alu instid0(VALU_DEP_1)
	v_cndmask_b32_e64 v10, 0, v2, s9
	ds_load_2addr_b32 v[8:9], v1 offset0:6 offset1:8
	s_wait_dscnt 0x6
	v_cmp_eq_u16_e64 s9, 0, v13
	v_add_nc_u32_e32 v6, v10, v6
	ds_load_2addr_b32 v[10:11], v1 offset0:10 offset1:12
	v_cndmask_b32_e64 v6, 0, v6, s9
	s_wait_dscnt 0x6
	v_cmp_eq_u16_e64 s9, 0, v17
	s_delay_alu instid0(VALU_DEP_2) | instskip(NEXT) | instid1(VALU_DEP_1)
	v_dual_add_nc_u32 v6, v6, v7 :: v_dual_bitop2_b32 v7, v13, v12 bitop3:0x54
	v_cndmask_b32_e64 v6, 0, v6, s9
	s_wait_dscnt 0x5
	v_cmp_eq_u16_e64 s9, 0, v19
	s_delay_alu instid0(VALU_DEP_3)
	v_bitop3_b16 v7, v7, v19, v17 bitop3:0xfe
	s_wait_dscnt 0x1
	v_add_nc_u32_e32 v6, v6, v8
	ds_load_u8 v8, v1 offset:60
	v_bitop3_b16 v7, v7, v23, v21 bitop3:0xfe
	v_cndmask_b32_e64 v6, 0, v6, s9
	v_cmp_eq_u16_e64 s9, 0, v21
	s_delay_alu instid0(VALU_DEP_2) | instskip(NEXT) | instid1(VALU_DEP_1)
	v_add_nc_u32_e32 v6, v6, v9
	v_dual_cndmask_b32 v9, 0, v6, s9 :: v_dual_bitop2_b32 v6, 1, v3 bitop3:0x40
	v_cmp_eq_u16_e64 s9, 0, v7
	s_wait_dscnt 0x0
	s_delay_alu instid0(VALU_DEP_2) | instskip(NEXT) | instid1(VALU_DEP_2)
	v_dual_add_nc_u32 v9, v9, v10 :: v_dual_bitop2_b32 v10, 1, v8 bitop3:0x40
	v_cndmask_b32_e64 v7, 1, v6, s9
	v_cmp_eq_u16_e64 s9, 0, v23
	s_delay_alu instid0(VALU_DEP_1) | instskip(NEXT) | instid1(VALU_DEP_4)
	v_cndmask_b32_e64 v9, 0, v9, s9
	v_cmp_eq_u32_e64 s9, 1, v10
	s_delay_alu instid0(VALU_DEP_2) | instskip(NEXT) | instid1(VALU_DEP_2)
	v_add_nc_u32_e32 v9, v9, v11
	v_cndmask_b32_e64 v10, v7, 1, s9
	v_cmp_eq_u16_e64 s9, 0, v8
	v_and_b32_e32 v7, 0xffffff00, v3
	s_delay_alu instid0(VALU_DEP_3) | instskip(NEXT) | instid1(VALU_DEP_3)
	v_and_b32_e32 v11, 0xffff, v10
	v_cndmask_b32_e64 v8, 0, v9, s9
	v_mbcnt_lo_u32_b32 v9, -1, 0
	s_delay_alu instid0(VALU_DEP_2) | instskip(NEXT) | instid1(VALU_DEP_2)
	v_dual_add_nc_u32 v8, v8, v25 :: v_dual_bitop2_b32 v12, v7, v11 bitop3:0x54
	v_and_b32_e32 v11, 15, v9
	s_delay_alu instid0(VALU_DEP_2) | instskip(NEXT) | instid1(VALU_DEP_3)
	v_mov_b32_dpp v17, v12 row_shr:1 row_mask:0xf bank_mask:0xf
	v_mov_b32_dpp v13, v8 row_shr:1 row_mask:0xf bank_mask:0xf
	s_delay_alu instid0(VALU_DEP_3)
	v_cmpx_ne_u32_e32 0, v11
	s_cbranch_execz .LBB785_163
; %bb.162:
	v_and_b32_e32 v12, 1, v10
	v_and_b32_e32 v17, 1, v17
	s_delay_alu instid0(VALU_DEP_2) | instskip(NEXT) | instid1(VALU_DEP_1)
	v_cmp_eq_u32_e64 s9, 1, v12
	v_cndmask_b32_e64 v17, v17, 1, s9
	v_cmp_eq_u16_e64 s9, 0, v10
	s_delay_alu instid0(VALU_DEP_2) | instskip(NEXT) | instid1(VALU_DEP_1)
	v_and_b32_e32 v12, 0xffff, v17
	v_dual_cndmask_b32 v10, 0, v13, s9 :: v_dual_bitop2_b32 v12, v7, v12 bitop3:0x54
	s_delay_alu instid0(VALU_DEP_1)
	v_dual_add_nc_u32 v8, v10, v8 :: v_dual_mov_b32 v10, v17
.LBB785_163:
	s_or_b32 exec_lo, exec_lo, s11
	s_delay_alu instid0(VALU_DEP_1) | instskip(NEXT) | instid1(VALU_DEP_3)
	v_mov_b32_dpp v13, v8 row_shr:2 row_mask:0xf bank_mask:0xf
	v_mov_b32_dpp v17, v12 row_shr:2 row_mask:0xf bank_mask:0xf
	s_mov_b32 s11, exec_lo
	v_cmpx_lt_u32_e32 1, v11
	s_cbranch_execz .LBB785_165
; %bb.164:
	v_and_b32_e32 v12, 1, v10
	v_and_b32_e32 v17, 1, v17
	s_delay_alu instid0(VALU_DEP_2) | instskip(NEXT) | instid1(VALU_DEP_1)
	v_cmp_eq_u32_e64 s9, 1, v12
	v_cndmask_b32_e64 v17, v17, 1, s9
	v_cmp_eq_u16_e64 s9, 0, v10
	s_delay_alu instid0(VALU_DEP_2) | instskip(NEXT) | instid1(VALU_DEP_1)
	v_and_b32_e32 v12, 0xffff, v17
	v_dual_cndmask_b32 v10, 0, v13, s9 :: v_dual_bitop2_b32 v12, v7, v12 bitop3:0x54
	s_delay_alu instid0(VALU_DEP_1)
	v_dual_add_nc_u32 v8, v10, v8 :: v_dual_mov_b32 v10, v17
.LBB785_165:
	s_or_b32 exec_lo, exec_lo, s11
	s_delay_alu instid0(VALU_DEP_1) | instskip(NEXT) | instid1(VALU_DEP_3)
	v_mov_b32_dpp v13, v8 row_shr:4 row_mask:0xf bank_mask:0xf
	v_mov_b32_dpp v17, v12 row_shr:4 row_mask:0xf bank_mask:0xf
	s_mov_b32 s11, exec_lo
	v_cmpx_lt_u32_e32 3, v11
	;; [unrolled: 20-line block ×3, first 2 shown]
	s_cbranch_execz .LBB785_169
; %bb.168:
	v_and_b32_e32 v11, 1, v10
	v_and_b32_e32 v12, 1, v17
	s_delay_alu instid0(VALU_DEP_2) | instskip(NEXT) | instid1(VALU_DEP_1)
	v_cmp_eq_u32_e64 s9, 1, v11
	v_cndmask_b32_e64 v11, v12, 1, s9
	v_cmp_eq_u16_e64 s9, 0, v10
	s_delay_alu instid0(VALU_DEP_2) | instskip(NEXT) | instid1(VALU_DEP_1)
	v_and_b32_e32 v12, 0xffff, v11
	v_dual_cndmask_b32 v10, 0, v13, s9 :: v_dual_bitop2_b32 v12, v7, v12 bitop3:0x54
	s_delay_alu instid0(VALU_DEP_1)
	v_dual_add_nc_u32 v8, v10, v8 :: v_dual_mov_b32 v10, v11
.LBB785_169:
	s_or_b32 exec_lo, exec_lo, s11
	ds_swizzle_b32 v11, v12 offset:swizzle(BROADCAST,32,15)
	ds_swizzle_b32 v12, v8 offset:swizzle(BROADCAST,32,15)
	v_and_b32_e32 v13, 1, v10
	v_bfe_i32 v19, v9, 4, 1
	v_and_b32_e32 v3, 0xff, v3
	; wave barrier
	s_delay_alu instid0(VALU_DEP_3) | instskip(SKIP_2) | instid1(VALU_DEP_1)
	v_cmp_eq_u32_e64 s9, 1, v13
	s_wait_dscnt 0x1
	v_dual_add_nc_u32 v13, -1, v9 :: v_dual_bitop2_b32 v11, 1, v11 bitop3:0x40
	v_cndmask_b32_e64 v11, v11, 1, s9
	v_and_b32_e32 v17, 16, v9
	v_cmp_eq_u16_e64 s9, 0, v10
	s_wait_dscnt 0x0
	s_delay_alu instid0(VALU_DEP_1) | instskip(NEXT) | instid1(VALU_DEP_3)
	v_cndmask_b32_e64 v12, 0, v12, s9
	v_cmp_eq_u32_e64 s9, 0, v17
	s_delay_alu instid0(VALU_DEP_1) | instskip(SKIP_1) | instid1(VALU_DEP_4)
	v_cndmask_b32_e64 v10, v11, v10, s9
	v_cmp_gt_i32_e64 s9, 0, v13
	v_and_b32_e32 v11, v19, v12
	s_delay_alu instid0(VALU_DEP_3) | instskip(NEXT) | instid1(VALU_DEP_2)
	v_and_b32_e32 v10, 0xffff, v10
	v_dual_cndmask_b32 v9, v13, v9, s9 :: v_dual_add_nc_u32 v8, v11, v8
	v_cmp_eq_u16_e64 s9, 0, v3
	s_delay_alu instid0(VALU_DEP_2)
	v_lshlrev_b32_e32 v9, 2, v9
	ds_bpermute_b32 v8, v9, v8
	s_wait_dscnt 0x0
	v_dual_cndmask_b32 v3, 0, v8, s9 :: v_dual_bitop2_b32 v7, v7, v10 bitop3:0x54
	ds_bpermute_b32 v7, v9, v7
	v_cmp_eq_u32_e64 s9, 1, v6
	s_wait_dscnt 0x0
	v_dual_add_nc_u32 v2, v3, v2 :: v_dual_bitop2_b32 v7, 1, v7 bitop3:0x40
	s_delay_alu instid0(VALU_DEP_1) | instskip(SKIP_1) | instid1(VALU_DEP_1)
	v_cndmask_b32_e64 v3, v7, 1, s9
	v_cmp_eq_u32_e64 s9, 0, v0
	v_dual_cndmask_b32 v4, v2, v4, s9 :: v_dual_cndmask_b32 v6, v3, v5, s9
	ds_store_b32 v1, v4
	ds_store_b8 v1, v6 offset:4
	; wave barrier
	ds_load_u8 v7, v1 offset:12
	ds_load_2addr_b32 v[2:3], v1 offset0:2 offset1:4
	ds_load_u8 v8, v1 offset:20
	ds_load_u8 v9, v1 offset:28
	;; [unrolled: 1-line block ×5, first 2 shown]
	ds_load_b32 v13, v1 offset:56
	ds_load_u8 v17, v1 offset:60
	s_wait_dscnt 0x8
	v_cmp_eq_u16_e64 s9, 0, v7
	s_delay_alu instid0(VALU_DEP_1) | instskip(SKIP_4) | instid1(VALU_DEP_1)
	v_cndmask_b32_e64 v19, 0, v4, s9
	ds_load_2addr_b32 v[4:5], v1 offset0:6 offset1:8
	s_wait_dscnt 0x7
	v_cmp_eq_u16_e64 s9, 0, v8
	v_add_nc_u32_e32 v19, v19, v2
	v_cndmask_b32_e64 v2, 0, v19, s9
	s_wait_dscnt 0x6
	v_cmp_eq_u16_e64 s9, 0, v9
	s_delay_alu instid0(VALU_DEP_2)
	v_add_nc_u32_e32 v21, v2, v3
	ds_load_2addr_b32 v[2:3], v1 offset0:10 offset1:12
	v_cndmask_b32_e64 v23, 0, v21, s9
	s_wait_dscnt 0x6
	v_cmp_eq_u16_e64 s9, 0, v10
	ds_store_2addr_b32 v1, v19, v21 offset0:2 offset1:4
	s_wait_dscnt 0x2
	v_dual_add_nc_u32 v4, v23, v4 :: v_dual_bitop2_b32 v7, 1, v7 bitop3:0x40
	s_delay_alu instid0(VALU_DEP_1) | instskip(SKIP_1) | instid1(VALU_DEP_3)
	v_cndmask_b32_e64 v23, 0, v4, s9
	v_and_b32_e32 v8, 1, v8
	v_cmp_eq_u32_e64 s9, 1, v7
	v_and_b32_e32 v7, 1, v9
	s_delay_alu instid0(VALU_DEP_4) | instskip(NEXT) | instid1(VALU_DEP_3)
	v_add_nc_u32_e32 v5, v23, v5
	v_cndmask_b32_e64 v6, v6, 1, s9
	v_cmp_eq_u32_e64 s9, 1, v8
	s_delay_alu instid0(VALU_DEP_1) | instskip(SKIP_1) | instid1(VALU_DEP_1)
	v_cndmask_b32_e64 v8, v6, 1, s9
	v_cmp_eq_u16_e64 s9, 0, v11
	v_dual_cndmask_b32 v10, 0, v5, s9 :: v_dual_bitop2_b32 v9, 1, v10 bitop3:0x40
	s_wait_dscnt 0x1
	s_delay_alu instid0(VALU_DEP_1) | instskip(SKIP_2) | instid1(VALU_DEP_2)
	v_add_nc_u32_e32 v2, v10, v2
	v_cmp_eq_u32_e64 s9, 1, v7
	v_and_b32_e32 v10, 1, v12
	v_cndmask_b32_e64 v7, v8, 1, s9
	v_cmp_eq_u32_e64 s9, 1, v9
	s_delay_alu instid0(VALU_DEP_1) | instskip(SKIP_1) | instid1(VALU_DEP_1)
	v_cndmask_b32_e64 v9, v7, 1, s9
	v_cmp_eq_u16_e64 s9, 0, v12
	v_dual_cndmask_b32 v12, 0, v2, s9 :: v_dual_bitop2_b32 v11, 1, v11 bitop3:0x40
	s_delay_alu instid0(VALU_DEP_1) | instskip(NEXT) | instid1(VALU_DEP_2)
	v_cmp_eq_u32_e64 s9, 1, v11
	v_add_nc_u32_e32 v3, v12, v3
	s_delay_alu instid0(VALU_DEP_2)
	v_cndmask_b32_e64 v11, v9, 1, s9
	v_cmp_eq_u32_e64 s9, 1, v10
	ds_store_2addr_b32 v1, v4, v5 offset0:6 offset1:8
	ds_store_2addr_b32 v1, v2, v3 offset0:10 offset1:12
	v_cndmask_b32_e64 v10, v11, 1, s9
	v_cmp_eq_u16_e64 s9, 0, v17
	s_delay_alu instid0(VALU_DEP_1) | instskip(NEXT) | instid1(VALU_DEP_1)
	v_dual_cndmask_b32 v12, 0, v3, s9 :: v_dual_bitop2_b32 v23, 1, v17 bitop3:0x40
	v_cmp_eq_u32_e64 s9, 1, v23
	s_delay_alu instid0(VALU_DEP_2) | instskip(NEXT) | instid1(VALU_DEP_2)
	v_add_nc_u32_e32 v2, v12, v13
	v_cndmask_b32_e64 v17, v10, 1, s9
	ds_store_b8 v1, v6 offset:12
	ds_store_b8 v1, v8 offset:20
	;; [unrolled: 1-line block ×6, first 2 shown]
	ds_store_b32 v1, v2 offset:56
	ds_store_b8 v1, v17 offset:60
.LBB785_170:
	s_or_b32 exec_lo, exec_lo, s10
	v_cmp_eq_u32_e64 s9, 0, v0
	v_mov_b32_e32 v2, v41
	s_mov_b32 s11, exec_lo
	s_wait_dscnt 0x0
	s_barrier_signal -1
	s_barrier_wait -1
	v_cmpx_ne_u32_e32 0, v0
	s_cbranch_execz .LBB785_172
; %bb.171:
	v_add_nc_u32_e32 v1, -1, v0
	s_delay_alu instid0(VALU_DEP_1) | instskip(NEXT) | instid1(VALU_DEP_1)
	v_lshrrev_b32_e32 v2, 2, v1
	v_and_b32_e32 v2, 0x3ffffff8, v2
	s_delay_alu instid0(VALU_DEP_1) | instskip(SKIP_4) | instid1(VALU_DEP_1)
	v_lshl_add_u32 v1, v1, 3, v2
	ds_load_u8 v2, v1 offset:4
	ds_load_b32 v1, v1
	s_wait_dscnt 0x1
	v_cmp_eq_u16_e64 s10, 0, v2
	v_cndmask_b32_e64 v2, 0, v41, s10
	s_wait_dscnt 0x0
	s_delay_alu instid0(VALU_DEP_1)
	v_add_nc_u32_e32 v2, v2, v1
.LBB785_172:
	s_or_b32 exec_lo, exec_lo, s11
	v_and_b32_e32 v39, 0xff, v15
	v_mov_b32_e32 v38, 0
	s_delay_alu instid0(VALU_DEP_1) | instskip(NEXT) | instid1(VALU_DEP_1)
	v_cmp_eq_u64_e64 s10, 0, v[38:39]
	v_cndmask_b32_e64 v1, 0, v2, s10
	s_delay_alu instid0(VALU_DEP_1) | instskip(NEXT) | instid1(VALU_DEP_1)
	v_add_nc_u32_e32 v3, v1, v14
	v_cndmask_b32_e32 v1, 0, v3, vcc_lo
	s_delay_alu instid0(VALU_DEP_1) | instskip(NEXT) | instid1(VALU_DEP_1)
	v_add_nc_u32_e32 v4, v1, v36
	v_cndmask_b32_e64 v1, 0, v4, s0
	s_delay_alu instid0(VALU_DEP_1) | instskip(NEXT) | instid1(VALU_DEP_1)
	v_add_nc_u32_e32 v5, v1, v34
	v_cndmask_b32_e64 v1, 0, v5, s1
	;; [unrolled: 3-line block ×9, first 2 shown]
	s_delay_alu instid0(VALU_DEP_1)
	v_add_nc_u32_e32 v13, v1, v18
	s_and_saveexec_b32 s0, s9
	s_cbranch_execz .LBB785_174
; %bb.173:
	ds_load_u8 v1, v38 offset:2100
	ds_load_b32 v17, v38 offset:2096
	v_mov_b32_e32 v15, v38
	s_add_nc_u64 s[2:3], s[16:17], 0x200
	v_dual_mov_b32 v20, 2 :: v_dual_mov_b32 v21, v38
	s_wait_dscnt 0x1
	v_and_b32_e32 v14, 0xffff, v1
	s_delay_alu instid0(VALU_DEP_1) | instskip(SKIP_3) | instid1(VALU_DEP_2)
	v_cmp_eq_u64_e32 vcc_lo, 0, v[14:15]
	v_dual_cndmask_b32 v1, 0, v41, vcc_lo :: v_dual_mov_b32 v19, v14
	v_mov_b64_e32 v[14:15], s[2:3]
	s_wait_dscnt 0x0
	v_add_nc_u32_e32 v18, v1, v17
	;;#ASMSTART
	global_store_b128 v[14:15], v[18:21] off scope:SCOPE_DEV	
s_wait_storecnt 0x0
	;;#ASMEND
.LBB785_174:
	s_or_b32 exec_lo, exec_lo, s0
	s_add_nc_u64 s[0:1], s[14:15], s[26:27]
	s_and_b32 vcc_lo, exec_lo, s19
	s_add_nc_u64 s[0:1], s[0:1], s[20:21]
	s_cbranch_vccnz .LBB785_114
.LBB785_175:
	s_mov_b32 s2, 0
                                        ; implicit-def: $vgpr15
	s_cbranch_execz .LBB785_177
; %bb.176:
	v_mul_u32_u24_e32 v1, 48, v0
	v_mul_i32_i24_e32 v14, 0xffffffd4, v0
	s_wait_storecnt_dscnt 0x0
	s_barrier_signal -1
	s_barrier_wait -1
	ds_store_b128 v1, v[2:5]
	ds_store_b128 v1, v[6:9] offset:16
	ds_store_b128 v1, v[10:13] offset:32
	v_mad_u32_u24 v1, v0, 48, v14
	s_wait_dscnt 0x0
	s_barrier_signal -1
	s_barrier_wait -1
	ds_load_2addr_stride64_b32 v[2:3], v1 offset1:4
	ds_load_2addr_stride64_b32 v[4:5], v1 offset0:8 offset1:12
	ds_load_2addr_stride64_b32 v[6:7], v1 offset0:16 offset1:20
	;; [unrolled: 1-line block ×5, first 2 shown]
	s_or_b32 s2, s2, exec_lo
	s_wait_dscnt 0x5
	s_clause 0x1
	flat_store_b32 v0, v2, s[0:1] scale_offset
	flat_store_b32 v0, v3, s[0:1] offset:1024 scale_offset
	s_wait_dscnt 0x6
	s_clause 0x1
	flat_store_b32 v0, v4, s[0:1] offset:2048 scale_offset
	flat_store_b32 v0, v5, s[0:1] offset:3072 scale_offset
	s_wait_dscnt 0x7
	s_clause 0x1
	flat_store_b32 v0, v6, s[0:1] offset:4096 scale_offset
	;; [unrolled: 4-line block ×4, first 2 shown]
	flat_store_b32 v0, v11, s[0:1] offset:9216 scale_offset
	s_wait_dscnt 0xa
	flat_store_b32 v0, v14, s[0:1] offset:10240 scale_offset
.LBB785_177:
	s_wait_xcnt 0x0
	s_delay_alu instid0(VALU_DEP_1)
	s_and_saveexec_b32 s3, s2
	s_cbranch_execz .LBB785_179
; %bb.178:
	s_wait_dscnt 0x0
	flat_store_b32 v0, v15, s[0:1] offset:11264 scale_offset
	s_endpgm
.LBB785_179:
	s_endpgm
	.section	.rodata,"a",@progbits
	.p2align	6, 0x0
	.amdhsa_kernel _ZN7rocprim17ROCPRIM_400000_NS6detail17trampoline_kernelINS0_14default_configENS1_27scan_by_key_config_selectorIiiEEZZNS1_16scan_by_key_implILNS1_25lookback_scan_determinismE0ELb1ES3_N6thrust23THRUST_200600_302600_NS6detail15normal_iteratorINS9_10device_ptrIiEEEESE_SE_iNS9_4plusIiEE19head_flag_predicateiEE10hipError_tPvRmT2_T3_T4_T5_mT6_T7_P12ihipStream_tbENKUlT_T0_E_clISt17integral_constantIbLb0EESY_EEDaST_SU_EUlST_E_NS1_11comp_targetILNS1_3genE0ELNS1_11target_archE4294967295ELNS1_3gpuE0ELNS1_3repE0EEENS1_30default_config_static_selectorELNS0_4arch9wavefront6targetE0EEEvT1_
		.amdhsa_group_segment_fixed_size 14336
		.amdhsa_private_segment_fixed_size 0
		.amdhsa_kernarg_size 112
		.amdhsa_user_sgpr_count 2
		.amdhsa_user_sgpr_dispatch_ptr 0
		.amdhsa_user_sgpr_queue_ptr 0
		.amdhsa_user_sgpr_kernarg_segment_ptr 1
		.amdhsa_user_sgpr_dispatch_id 0
		.amdhsa_user_sgpr_kernarg_preload_length 0
		.amdhsa_user_sgpr_kernarg_preload_offset 0
		.amdhsa_user_sgpr_private_segment_size 0
		.amdhsa_wavefront_size32 1
		.amdhsa_uses_dynamic_stack 0
		.amdhsa_enable_private_segment 0
		.amdhsa_system_sgpr_workgroup_id_x 1
		.amdhsa_system_sgpr_workgroup_id_y 0
		.amdhsa_system_sgpr_workgroup_id_z 0
		.amdhsa_system_sgpr_workgroup_info 0
		.amdhsa_system_vgpr_workitem_id 0
		.amdhsa_next_free_vgpr 60
		.amdhsa_next_free_sgpr 37
		.amdhsa_named_barrier_count 0
		.amdhsa_reserve_vcc 1
		.amdhsa_float_round_mode_32 0
		.amdhsa_float_round_mode_16_64 0
		.amdhsa_float_denorm_mode_32 3
		.amdhsa_float_denorm_mode_16_64 3
		.amdhsa_fp16_overflow 0
		.amdhsa_memory_ordered 1
		.amdhsa_forward_progress 1
		.amdhsa_inst_pref_size 95
		.amdhsa_round_robin_scheduling 0
		.amdhsa_exception_fp_ieee_invalid_op 0
		.amdhsa_exception_fp_denorm_src 0
		.amdhsa_exception_fp_ieee_div_zero 0
		.amdhsa_exception_fp_ieee_overflow 0
		.amdhsa_exception_fp_ieee_underflow 0
		.amdhsa_exception_fp_ieee_inexact 0
		.amdhsa_exception_int_div_zero 0
	.end_amdhsa_kernel
	.section	.text._ZN7rocprim17ROCPRIM_400000_NS6detail17trampoline_kernelINS0_14default_configENS1_27scan_by_key_config_selectorIiiEEZZNS1_16scan_by_key_implILNS1_25lookback_scan_determinismE0ELb1ES3_N6thrust23THRUST_200600_302600_NS6detail15normal_iteratorINS9_10device_ptrIiEEEESE_SE_iNS9_4plusIiEE19head_flag_predicateiEE10hipError_tPvRmT2_T3_T4_T5_mT6_T7_P12ihipStream_tbENKUlT_T0_E_clISt17integral_constantIbLb0EESY_EEDaST_SU_EUlST_E_NS1_11comp_targetILNS1_3genE0ELNS1_11target_archE4294967295ELNS1_3gpuE0ELNS1_3repE0EEENS1_30default_config_static_selectorELNS0_4arch9wavefront6targetE0EEEvT1_,"axG",@progbits,_ZN7rocprim17ROCPRIM_400000_NS6detail17trampoline_kernelINS0_14default_configENS1_27scan_by_key_config_selectorIiiEEZZNS1_16scan_by_key_implILNS1_25lookback_scan_determinismE0ELb1ES3_N6thrust23THRUST_200600_302600_NS6detail15normal_iteratorINS9_10device_ptrIiEEEESE_SE_iNS9_4plusIiEE19head_flag_predicateiEE10hipError_tPvRmT2_T3_T4_T5_mT6_T7_P12ihipStream_tbENKUlT_T0_E_clISt17integral_constantIbLb0EESY_EEDaST_SU_EUlST_E_NS1_11comp_targetILNS1_3genE0ELNS1_11target_archE4294967295ELNS1_3gpuE0ELNS1_3repE0EEENS1_30default_config_static_selectorELNS0_4arch9wavefront6targetE0EEEvT1_,comdat
.Lfunc_end785:
	.size	_ZN7rocprim17ROCPRIM_400000_NS6detail17trampoline_kernelINS0_14default_configENS1_27scan_by_key_config_selectorIiiEEZZNS1_16scan_by_key_implILNS1_25lookback_scan_determinismE0ELb1ES3_N6thrust23THRUST_200600_302600_NS6detail15normal_iteratorINS9_10device_ptrIiEEEESE_SE_iNS9_4plusIiEE19head_flag_predicateiEE10hipError_tPvRmT2_T3_T4_T5_mT6_T7_P12ihipStream_tbENKUlT_T0_E_clISt17integral_constantIbLb0EESY_EEDaST_SU_EUlST_E_NS1_11comp_targetILNS1_3genE0ELNS1_11target_archE4294967295ELNS1_3gpuE0ELNS1_3repE0EEENS1_30default_config_static_selectorELNS0_4arch9wavefront6targetE0EEEvT1_, .Lfunc_end785-_ZN7rocprim17ROCPRIM_400000_NS6detail17trampoline_kernelINS0_14default_configENS1_27scan_by_key_config_selectorIiiEEZZNS1_16scan_by_key_implILNS1_25lookback_scan_determinismE0ELb1ES3_N6thrust23THRUST_200600_302600_NS6detail15normal_iteratorINS9_10device_ptrIiEEEESE_SE_iNS9_4plusIiEE19head_flag_predicateiEE10hipError_tPvRmT2_T3_T4_T5_mT6_T7_P12ihipStream_tbENKUlT_T0_E_clISt17integral_constantIbLb0EESY_EEDaST_SU_EUlST_E_NS1_11comp_targetILNS1_3genE0ELNS1_11target_archE4294967295ELNS1_3gpuE0ELNS1_3repE0EEENS1_30default_config_static_selectorELNS0_4arch9wavefront6targetE0EEEvT1_
                                        ; -- End function
	.set _ZN7rocprim17ROCPRIM_400000_NS6detail17trampoline_kernelINS0_14default_configENS1_27scan_by_key_config_selectorIiiEEZZNS1_16scan_by_key_implILNS1_25lookback_scan_determinismE0ELb1ES3_N6thrust23THRUST_200600_302600_NS6detail15normal_iteratorINS9_10device_ptrIiEEEESE_SE_iNS9_4plusIiEE19head_flag_predicateiEE10hipError_tPvRmT2_T3_T4_T5_mT6_T7_P12ihipStream_tbENKUlT_T0_E_clISt17integral_constantIbLb0EESY_EEDaST_SU_EUlST_E_NS1_11comp_targetILNS1_3genE0ELNS1_11target_archE4294967295ELNS1_3gpuE0ELNS1_3repE0EEENS1_30default_config_static_selectorELNS0_4arch9wavefront6targetE0EEEvT1_.num_vgpr, 60
	.set _ZN7rocprim17ROCPRIM_400000_NS6detail17trampoline_kernelINS0_14default_configENS1_27scan_by_key_config_selectorIiiEEZZNS1_16scan_by_key_implILNS1_25lookback_scan_determinismE0ELb1ES3_N6thrust23THRUST_200600_302600_NS6detail15normal_iteratorINS9_10device_ptrIiEEEESE_SE_iNS9_4plusIiEE19head_flag_predicateiEE10hipError_tPvRmT2_T3_T4_T5_mT6_T7_P12ihipStream_tbENKUlT_T0_E_clISt17integral_constantIbLb0EESY_EEDaST_SU_EUlST_E_NS1_11comp_targetILNS1_3genE0ELNS1_11target_archE4294967295ELNS1_3gpuE0ELNS1_3repE0EEENS1_30default_config_static_selectorELNS0_4arch9wavefront6targetE0EEEvT1_.num_agpr, 0
	.set _ZN7rocprim17ROCPRIM_400000_NS6detail17trampoline_kernelINS0_14default_configENS1_27scan_by_key_config_selectorIiiEEZZNS1_16scan_by_key_implILNS1_25lookback_scan_determinismE0ELb1ES3_N6thrust23THRUST_200600_302600_NS6detail15normal_iteratorINS9_10device_ptrIiEEEESE_SE_iNS9_4plusIiEE19head_flag_predicateiEE10hipError_tPvRmT2_T3_T4_T5_mT6_T7_P12ihipStream_tbENKUlT_T0_E_clISt17integral_constantIbLb0EESY_EEDaST_SU_EUlST_E_NS1_11comp_targetILNS1_3genE0ELNS1_11target_archE4294967295ELNS1_3gpuE0ELNS1_3repE0EEENS1_30default_config_static_selectorELNS0_4arch9wavefront6targetE0EEEvT1_.numbered_sgpr, 37
	.set _ZN7rocprim17ROCPRIM_400000_NS6detail17trampoline_kernelINS0_14default_configENS1_27scan_by_key_config_selectorIiiEEZZNS1_16scan_by_key_implILNS1_25lookback_scan_determinismE0ELb1ES3_N6thrust23THRUST_200600_302600_NS6detail15normal_iteratorINS9_10device_ptrIiEEEESE_SE_iNS9_4plusIiEE19head_flag_predicateiEE10hipError_tPvRmT2_T3_T4_T5_mT6_T7_P12ihipStream_tbENKUlT_T0_E_clISt17integral_constantIbLb0EESY_EEDaST_SU_EUlST_E_NS1_11comp_targetILNS1_3genE0ELNS1_11target_archE4294967295ELNS1_3gpuE0ELNS1_3repE0EEENS1_30default_config_static_selectorELNS0_4arch9wavefront6targetE0EEEvT1_.num_named_barrier, 0
	.set _ZN7rocprim17ROCPRIM_400000_NS6detail17trampoline_kernelINS0_14default_configENS1_27scan_by_key_config_selectorIiiEEZZNS1_16scan_by_key_implILNS1_25lookback_scan_determinismE0ELb1ES3_N6thrust23THRUST_200600_302600_NS6detail15normal_iteratorINS9_10device_ptrIiEEEESE_SE_iNS9_4plusIiEE19head_flag_predicateiEE10hipError_tPvRmT2_T3_T4_T5_mT6_T7_P12ihipStream_tbENKUlT_T0_E_clISt17integral_constantIbLb0EESY_EEDaST_SU_EUlST_E_NS1_11comp_targetILNS1_3genE0ELNS1_11target_archE4294967295ELNS1_3gpuE0ELNS1_3repE0EEENS1_30default_config_static_selectorELNS0_4arch9wavefront6targetE0EEEvT1_.private_seg_size, 0
	.set _ZN7rocprim17ROCPRIM_400000_NS6detail17trampoline_kernelINS0_14default_configENS1_27scan_by_key_config_selectorIiiEEZZNS1_16scan_by_key_implILNS1_25lookback_scan_determinismE0ELb1ES3_N6thrust23THRUST_200600_302600_NS6detail15normal_iteratorINS9_10device_ptrIiEEEESE_SE_iNS9_4plusIiEE19head_flag_predicateiEE10hipError_tPvRmT2_T3_T4_T5_mT6_T7_P12ihipStream_tbENKUlT_T0_E_clISt17integral_constantIbLb0EESY_EEDaST_SU_EUlST_E_NS1_11comp_targetILNS1_3genE0ELNS1_11target_archE4294967295ELNS1_3gpuE0ELNS1_3repE0EEENS1_30default_config_static_selectorELNS0_4arch9wavefront6targetE0EEEvT1_.uses_vcc, 1
	.set _ZN7rocprim17ROCPRIM_400000_NS6detail17trampoline_kernelINS0_14default_configENS1_27scan_by_key_config_selectorIiiEEZZNS1_16scan_by_key_implILNS1_25lookback_scan_determinismE0ELb1ES3_N6thrust23THRUST_200600_302600_NS6detail15normal_iteratorINS9_10device_ptrIiEEEESE_SE_iNS9_4plusIiEE19head_flag_predicateiEE10hipError_tPvRmT2_T3_T4_T5_mT6_T7_P12ihipStream_tbENKUlT_T0_E_clISt17integral_constantIbLb0EESY_EEDaST_SU_EUlST_E_NS1_11comp_targetILNS1_3genE0ELNS1_11target_archE4294967295ELNS1_3gpuE0ELNS1_3repE0EEENS1_30default_config_static_selectorELNS0_4arch9wavefront6targetE0EEEvT1_.uses_flat_scratch, 1
	.set _ZN7rocprim17ROCPRIM_400000_NS6detail17trampoline_kernelINS0_14default_configENS1_27scan_by_key_config_selectorIiiEEZZNS1_16scan_by_key_implILNS1_25lookback_scan_determinismE0ELb1ES3_N6thrust23THRUST_200600_302600_NS6detail15normal_iteratorINS9_10device_ptrIiEEEESE_SE_iNS9_4plusIiEE19head_flag_predicateiEE10hipError_tPvRmT2_T3_T4_T5_mT6_T7_P12ihipStream_tbENKUlT_T0_E_clISt17integral_constantIbLb0EESY_EEDaST_SU_EUlST_E_NS1_11comp_targetILNS1_3genE0ELNS1_11target_archE4294967295ELNS1_3gpuE0ELNS1_3repE0EEENS1_30default_config_static_selectorELNS0_4arch9wavefront6targetE0EEEvT1_.has_dyn_sized_stack, 0
	.set _ZN7rocprim17ROCPRIM_400000_NS6detail17trampoline_kernelINS0_14default_configENS1_27scan_by_key_config_selectorIiiEEZZNS1_16scan_by_key_implILNS1_25lookback_scan_determinismE0ELb1ES3_N6thrust23THRUST_200600_302600_NS6detail15normal_iteratorINS9_10device_ptrIiEEEESE_SE_iNS9_4plusIiEE19head_flag_predicateiEE10hipError_tPvRmT2_T3_T4_T5_mT6_T7_P12ihipStream_tbENKUlT_T0_E_clISt17integral_constantIbLb0EESY_EEDaST_SU_EUlST_E_NS1_11comp_targetILNS1_3genE0ELNS1_11target_archE4294967295ELNS1_3gpuE0ELNS1_3repE0EEENS1_30default_config_static_selectorELNS0_4arch9wavefront6targetE0EEEvT1_.has_recursion, 0
	.set _ZN7rocprim17ROCPRIM_400000_NS6detail17trampoline_kernelINS0_14default_configENS1_27scan_by_key_config_selectorIiiEEZZNS1_16scan_by_key_implILNS1_25lookback_scan_determinismE0ELb1ES3_N6thrust23THRUST_200600_302600_NS6detail15normal_iteratorINS9_10device_ptrIiEEEESE_SE_iNS9_4plusIiEE19head_flag_predicateiEE10hipError_tPvRmT2_T3_T4_T5_mT6_T7_P12ihipStream_tbENKUlT_T0_E_clISt17integral_constantIbLb0EESY_EEDaST_SU_EUlST_E_NS1_11comp_targetILNS1_3genE0ELNS1_11target_archE4294967295ELNS1_3gpuE0ELNS1_3repE0EEENS1_30default_config_static_selectorELNS0_4arch9wavefront6targetE0EEEvT1_.has_indirect_call, 0
	.section	.AMDGPU.csdata,"",@progbits
; Kernel info:
; codeLenInByte = 12036
; TotalNumSgprs: 39
; NumVgprs: 60
; ScratchSize: 0
; MemoryBound: 0
; FloatMode: 240
; IeeeMode: 1
; LDSByteSize: 14336 bytes/workgroup (compile time only)
; SGPRBlocks: 0
; VGPRBlocks: 3
; NumSGPRsForWavesPerEU: 39
; NumVGPRsForWavesPerEU: 60
; NamedBarCnt: 0
; Occupancy: 16
; WaveLimiterHint : 1
; COMPUTE_PGM_RSRC2:SCRATCH_EN: 0
; COMPUTE_PGM_RSRC2:USER_SGPR: 2
; COMPUTE_PGM_RSRC2:TRAP_HANDLER: 0
; COMPUTE_PGM_RSRC2:TGID_X_EN: 1
; COMPUTE_PGM_RSRC2:TGID_Y_EN: 0
; COMPUTE_PGM_RSRC2:TGID_Z_EN: 0
; COMPUTE_PGM_RSRC2:TIDIG_COMP_CNT: 0
	.section	.text._ZN7rocprim17ROCPRIM_400000_NS6detail17trampoline_kernelINS0_14default_configENS1_27scan_by_key_config_selectorIiiEEZZNS1_16scan_by_key_implILNS1_25lookback_scan_determinismE0ELb1ES3_N6thrust23THRUST_200600_302600_NS6detail15normal_iteratorINS9_10device_ptrIiEEEESE_SE_iNS9_4plusIiEE19head_flag_predicateiEE10hipError_tPvRmT2_T3_T4_T5_mT6_T7_P12ihipStream_tbENKUlT_T0_E_clISt17integral_constantIbLb0EESY_EEDaST_SU_EUlST_E_NS1_11comp_targetILNS1_3genE10ELNS1_11target_archE1201ELNS1_3gpuE5ELNS1_3repE0EEENS1_30default_config_static_selectorELNS0_4arch9wavefront6targetE0EEEvT1_,"axG",@progbits,_ZN7rocprim17ROCPRIM_400000_NS6detail17trampoline_kernelINS0_14default_configENS1_27scan_by_key_config_selectorIiiEEZZNS1_16scan_by_key_implILNS1_25lookback_scan_determinismE0ELb1ES3_N6thrust23THRUST_200600_302600_NS6detail15normal_iteratorINS9_10device_ptrIiEEEESE_SE_iNS9_4plusIiEE19head_flag_predicateiEE10hipError_tPvRmT2_T3_T4_T5_mT6_T7_P12ihipStream_tbENKUlT_T0_E_clISt17integral_constantIbLb0EESY_EEDaST_SU_EUlST_E_NS1_11comp_targetILNS1_3genE10ELNS1_11target_archE1201ELNS1_3gpuE5ELNS1_3repE0EEENS1_30default_config_static_selectorELNS0_4arch9wavefront6targetE0EEEvT1_,comdat
	.protected	_ZN7rocprim17ROCPRIM_400000_NS6detail17trampoline_kernelINS0_14default_configENS1_27scan_by_key_config_selectorIiiEEZZNS1_16scan_by_key_implILNS1_25lookback_scan_determinismE0ELb1ES3_N6thrust23THRUST_200600_302600_NS6detail15normal_iteratorINS9_10device_ptrIiEEEESE_SE_iNS9_4plusIiEE19head_flag_predicateiEE10hipError_tPvRmT2_T3_T4_T5_mT6_T7_P12ihipStream_tbENKUlT_T0_E_clISt17integral_constantIbLb0EESY_EEDaST_SU_EUlST_E_NS1_11comp_targetILNS1_3genE10ELNS1_11target_archE1201ELNS1_3gpuE5ELNS1_3repE0EEENS1_30default_config_static_selectorELNS0_4arch9wavefront6targetE0EEEvT1_ ; -- Begin function _ZN7rocprim17ROCPRIM_400000_NS6detail17trampoline_kernelINS0_14default_configENS1_27scan_by_key_config_selectorIiiEEZZNS1_16scan_by_key_implILNS1_25lookback_scan_determinismE0ELb1ES3_N6thrust23THRUST_200600_302600_NS6detail15normal_iteratorINS9_10device_ptrIiEEEESE_SE_iNS9_4plusIiEE19head_flag_predicateiEE10hipError_tPvRmT2_T3_T4_T5_mT6_T7_P12ihipStream_tbENKUlT_T0_E_clISt17integral_constantIbLb0EESY_EEDaST_SU_EUlST_E_NS1_11comp_targetILNS1_3genE10ELNS1_11target_archE1201ELNS1_3gpuE5ELNS1_3repE0EEENS1_30default_config_static_selectorELNS0_4arch9wavefront6targetE0EEEvT1_
	.globl	_ZN7rocprim17ROCPRIM_400000_NS6detail17trampoline_kernelINS0_14default_configENS1_27scan_by_key_config_selectorIiiEEZZNS1_16scan_by_key_implILNS1_25lookback_scan_determinismE0ELb1ES3_N6thrust23THRUST_200600_302600_NS6detail15normal_iteratorINS9_10device_ptrIiEEEESE_SE_iNS9_4plusIiEE19head_flag_predicateiEE10hipError_tPvRmT2_T3_T4_T5_mT6_T7_P12ihipStream_tbENKUlT_T0_E_clISt17integral_constantIbLb0EESY_EEDaST_SU_EUlST_E_NS1_11comp_targetILNS1_3genE10ELNS1_11target_archE1201ELNS1_3gpuE5ELNS1_3repE0EEENS1_30default_config_static_selectorELNS0_4arch9wavefront6targetE0EEEvT1_
	.p2align	8
	.type	_ZN7rocprim17ROCPRIM_400000_NS6detail17trampoline_kernelINS0_14default_configENS1_27scan_by_key_config_selectorIiiEEZZNS1_16scan_by_key_implILNS1_25lookback_scan_determinismE0ELb1ES3_N6thrust23THRUST_200600_302600_NS6detail15normal_iteratorINS9_10device_ptrIiEEEESE_SE_iNS9_4plusIiEE19head_flag_predicateiEE10hipError_tPvRmT2_T3_T4_T5_mT6_T7_P12ihipStream_tbENKUlT_T0_E_clISt17integral_constantIbLb0EESY_EEDaST_SU_EUlST_E_NS1_11comp_targetILNS1_3genE10ELNS1_11target_archE1201ELNS1_3gpuE5ELNS1_3repE0EEENS1_30default_config_static_selectorELNS0_4arch9wavefront6targetE0EEEvT1_,@function
_ZN7rocprim17ROCPRIM_400000_NS6detail17trampoline_kernelINS0_14default_configENS1_27scan_by_key_config_selectorIiiEEZZNS1_16scan_by_key_implILNS1_25lookback_scan_determinismE0ELb1ES3_N6thrust23THRUST_200600_302600_NS6detail15normal_iteratorINS9_10device_ptrIiEEEESE_SE_iNS9_4plusIiEE19head_flag_predicateiEE10hipError_tPvRmT2_T3_T4_T5_mT6_T7_P12ihipStream_tbENKUlT_T0_E_clISt17integral_constantIbLb0EESY_EEDaST_SU_EUlST_E_NS1_11comp_targetILNS1_3genE10ELNS1_11target_archE1201ELNS1_3gpuE5ELNS1_3repE0EEENS1_30default_config_static_selectorELNS0_4arch9wavefront6targetE0EEEvT1_: ; @_ZN7rocprim17ROCPRIM_400000_NS6detail17trampoline_kernelINS0_14default_configENS1_27scan_by_key_config_selectorIiiEEZZNS1_16scan_by_key_implILNS1_25lookback_scan_determinismE0ELb1ES3_N6thrust23THRUST_200600_302600_NS6detail15normal_iteratorINS9_10device_ptrIiEEEESE_SE_iNS9_4plusIiEE19head_flag_predicateiEE10hipError_tPvRmT2_T3_T4_T5_mT6_T7_P12ihipStream_tbENKUlT_T0_E_clISt17integral_constantIbLb0EESY_EEDaST_SU_EUlST_E_NS1_11comp_targetILNS1_3genE10ELNS1_11target_archE1201ELNS1_3gpuE5ELNS1_3repE0EEENS1_30default_config_static_selectorELNS0_4arch9wavefront6targetE0EEEvT1_
; %bb.0:
	.section	.rodata,"a",@progbits
	.p2align	6, 0x0
	.amdhsa_kernel _ZN7rocprim17ROCPRIM_400000_NS6detail17trampoline_kernelINS0_14default_configENS1_27scan_by_key_config_selectorIiiEEZZNS1_16scan_by_key_implILNS1_25lookback_scan_determinismE0ELb1ES3_N6thrust23THRUST_200600_302600_NS6detail15normal_iteratorINS9_10device_ptrIiEEEESE_SE_iNS9_4plusIiEE19head_flag_predicateiEE10hipError_tPvRmT2_T3_T4_T5_mT6_T7_P12ihipStream_tbENKUlT_T0_E_clISt17integral_constantIbLb0EESY_EEDaST_SU_EUlST_E_NS1_11comp_targetILNS1_3genE10ELNS1_11target_archE1201ELNS1_3gpuE5ELNS1_3repE0EEENS1_30default_config_static_selectorELNS0_4arch9wavefront6targetE0EEEvT1_
		.amdhsa_group_segment_fixed_size 0
		.amdhsa_private_segment_fixed_size 0
		.amdhsa_kernarg_size 112
		.amdhsa_user_sgpr_count 2
		.amdhsa_user_sgpr_dispatch_ptr 0
		.amdhsa_user_sgpr_queue_ptr 0
		.amdhsa_user_sgpr_kernarg_segment_ptr 1
		.amdhsa_user_sgpr_dispatch_id 0
		.amdhsa_user_sgpr_kernarg_preload_length 0
		.amdhsa_user_sgpr_kernarg_preload_offset 0
		.amdhsa_user_sgpr_private_segment_size 0
		.amdhsa_wavefront_size32 1
		.amdhsa_uses_dynamic_stack 0
		.amdhsa_enable_private_segment 0
		.amdhsa_system_sgpr_workgroup_id_x 1
		.amdhsa_system_sgpr_workgroup_id_y 0
		.amdhsa_system_sgpr_workgroup_id_z 0
		.amdhsa_system_sgpr_workgroup_info 0
		.amdhsa_system_vgpr_workitem_id 0
		.amdhsa_next_free_vgpr 1
		.amdhsa_next_free_sgpr 1
		.amdhsa_named_barrier_count 0
		.amdhsa_reserve_vcc 0
		.amdhsa_float_round_mode_32 0
		.amdhsa_float_round_mode_16_64 0
		.amdhsa_float_denorm_mode_32 3
		.amdhsa_float_denorm_mode_16_64 3
		.amdhsa_fp16_overflow 0
		.amdhsa_memory_ordered 1
		.amdhsa_forward_progress 1
		.amdhsa_inst_pref_size 0
		.amdhsa_round_robin_scheduling 0
		.amdhsa_exception_fp_ieee_invalid_op 0
		.amdhsa_exception_fp_denorm_src 0
		.amdhsa_exception_fp_ieee_div_zero 0
		.amdhsa_exception_fp_ieee_overflow 0
		.amdhsa_exception_fp_ieee_underflow 0
		.amdhsa_exception_fp_ieee_inexact 0
		.amdhsa_exception_int_div_zero 0
	.end_amdhsa_kernel
	.section	.text._ZN7rocprim17ROCPRIM_400000_NS6detail17trampoline_kernelINS0_14default_configENS1_27scan_by_key_config_selectorIiiEEZZNS1_16scan_by_key_implILNS1_25lookback_scan_determinismE0ELb1ES3_N6thrust23THRUST_200600_302600_NS6detail15normal_iteratorINS9_10device_ptrIiEEEESE_SE_iNS9_4plusIiEE19head_flag_predicateiEE10hipError_tPvRmT2_T3_T4_T5_mT6_T7_P12ihipStream_tbENKUlT_T0_E_clISt17integral_constantIbLb0EESY_EEDaST_SU_EUlST_E_NS1_11comp_targetILNS1_3genE10ELNS1_11target_archE1201ELNS1_3gpuE5ELNS1_3repE0EEENS1_30default_config_static_selectorELNS0_4arch9wavefront6targetE0EEEvT1_,"axG",@progbits,_ZN7rocprim17ROCPRIM_400000_NS6detail17trampoline_kernelINS0_14default_configENS1_27scan_by_key_config_selectorIiiEEZZNS1_16scan_by_key_implILNS1_25lookback_scan_determinismE0ELb1ES3_N6thrust23THRUST_200600_302600_NS6detail15normal_iteratorINS9_10device_ptrIiEEEESE_SE_iNS9_4plusIiEE19head_flag_predicateiEE10hipError_tPvRmT2_T3_T4_T5_mT6_T7_P12ihipStream_tbENKUlT_T0_E_clISt17integral_constantIbLb0EESY_EEDaST_SU_EUlST_E_NS1_11comp_targetILNS1_3genE10ELNS1_11target_archE1201ELNS1_3gpuE5ELNS1_3repE0EEENS1_30default_config_static_selectorELNS0_4arch9wavefront6targetE0EEEvT1_,comdat
.Lfunc_end786:
	.size	_ZN7rocprim17ROCPRIM_400000_NS6detail17trampoline_kernelINS0_14default_configENS1_27scan_by_key_config_selectorIiiEEZZNS1_16scan_by_key_implILNS1_25lookback_scan_determinismE0ELb1ES3_N6thrust23THRUST_200600_302600_NS6detail15normal_iteratorINS9_10device_ptrIiEEEESE_SE_iNS9_4plusIiEE19head_flag_predicateiEE10hipError_tPvRmT2_T3_T4_T5_mT6_T7_P12ihipStream_tbENKUlT_T0_E_clISt17integral_constantIbLb0EESY_EEDaST_SU_EUlST_E_NS1_11comp_targetILNS1_3genE10ELNS1_11target_archE1201ELNS1_3gpuE5ELNS1_3repE0EEENS1_30default_config_static_selectorELNS0_4arch9wavefront6targetE0EEEvT1_, .Lfunc_end786-_ZN7rocprim17ROCPRIM_400000_NS6detail17trampoline_kernelINS0_14default_configENS1_27scan_by_key_config_selectorIiiEEZZNS1_16scan_by_key_implILNS1_25lookback_scan_determinismE0ELb1ES3_N6thrust23THRUST_200600_302600_NS6detail15normal_iteratorINS9_10device_ptrIiEEEESE_SE_iNS9_4plusIiEE19head_flag_predicateiEE10hipError_tPvRmT2_T3_T4_T5_mT6_T7_P12ihipStream_tbENKUlT_T0_E_clISt17integral_constantIbLb0EESY_EEDaST_SU_EUlST_E_NS1_11comp_targetILNS1_3genE10ELNS1_11target_archE1201ELNS1_3gpuE5ELNS1_3repE0EEENS1_30default_config_static_selectorELNS0_4arch9wavefront6targetE0EEEvT1_
                                        ; -- End function
	.set _ZN7rocprim17ROCPRIM_400000_NS6detail17trampoline_kernelINS0_14default_configENS1_27scan_by_key_config_selectorIiiEEZZNS1_16scan_by_key_implILNS1_25lookback_scan_determinismE0ELb1ES3_N6thrust23THRUST_200600_302600_NS6detail15normal_iteratorINS9_10device_ptrIiEEEESE_SE_iNS9_4plusIiEE19head_flag_predicateiEE10hipError_tPvRmT2_T3_T4_T5_mT6_T7_P12ihipStream_tbENKUlT_T0_E_clISt17integral_constantIbLb0EESY_EEDaST_SU_EUlST_E_NS1_11comp_targetILNS1_3genE10ELNS1_11target_archE1201ELNS1_3gpuE5ELNS1_3repE0EEENS1_30default_config_static_selectorELNS0_4arch9wavefront6targetE0EEEvT1_.num_vgpr, 0
	.set _ZN7rocprim17ROCPRIM_400000_NS6detail17trampoline_kernelINS0_14default_configENS1_27scan_by_key_config_selectorIiiEEZZNS1_16scan_by_key_implILNS1_25lookback_scan_determinismE0ELb1ES3_N6thrust23THRUST_200600_302600_NS6detail15normal_iteratorINS9_10device_ptrIiEEEESE_SE_iNS9_4plusIiEE19head_flag_predicateiEE10hipError_tPvRmT2_T3_T4_T5_mT6_T7_P12ihipStream_tbENKUlT_T0_E_clISt17integral_constantIbLb0EESY_EEDaST_SU_EUlST_E_NS1_11comp_targetILNS1_3genE10ELNS1_11target_archE1201ELNS1_3gpuE5ELNS1_3repE0EEENS1_30default_config_static_selectorELNS0_4arch9wavefront6targetE0EEEvT1_.num_agpr, 0
	.set _ZN7rocprim17ROCPRIM_400000_NS6detail17trampoline_kernelINS0_14default_configENS1_27scan_by_key_config_selectorIiiEEZZNS1_16scan_by_key_implILNS1_25lookback_scan_determinismE0ELb1ES3_N6thrust23THRUST_200600_302600_NS6detail15normal_iteratorINS9_10device_ptrIiEEEESE_SE_iNS9_4plusIiEE19head_flag_predicateiEE10hipError_tPvRmT2_T3_T4_T5_mT6_T7_P12ihipStream_tbENKUlT_T0_E_clISt17integral_constantIbLb0EESY_EEDaST_SU_EUlST_E_NS1_11comp_targetILNS1_3genE10ELNS1_11target_archE1201ELNS1_3gpuE5ELNS1_3repE0EEENS1_30default_config_static_selectorELNS0_4arch9wavefront6targetE0EEEvT1_.numbered_sgpr, 0
	.set _ZN7rocprim17ROCPRIM_400000_NS6detail17trampoline_kernelINS0_14default_configENS1_27scan_by_key_config_selectorIiiEEZZNS1_16scan_by_key_implILNS1_25lookback_scan_determinismE0ELb1ES3_N6thrust23THRUST_200600_302600_NS6detail15normal_iteratorINS9_10device_ptrIiEEEESE_SE_iNS9_4plusIiEE19head_flag_predicateiEE10hipError_tPvRmT2_T3_T4_T5_mT6_T7_P12ihipStream_tbENKUlT_T0_E_clISt17integral_constantIbLb0EESY_EEDaST_SU_EUlST_E_NS1_11comp_targetILNS1_3genE10ELNS1_11target_archE1201ELNS1_3gpuE5ELNS1_3repE0EEENS1_30default_config_static_selectorELNS0_4arch9wavefront6targetE0EEEvT1_.num_named_barrier, 0
	.set _ZN7rocprim17ROCPRIM_400000_NS6detail17trampoline_kernelINS0_14default_configENS1_27scan_by_key_config_selectorIiiEEZZNS1_16scan_by_key_implILNS1_25lookback_scan_determinismE0ELb1ES3_N6thrust23THRUST_200600_302600_NS6detail15normal_iteratorINS9_10device_ptrIiEEEESE_SE_iNS9_4plusIiEE19head_flag_predicateiEE10hipError_tPvRmT2_T3_T4_T5_mT6_T7_P12ihipStream_tbENKUlT_T0_E_clISt17integral_constantIbLb0EESY_EEDaST_SU_EUlST_E_NS1_11comp_targetILNS1_3genE10ELNS1_11target_archE1201ELNS1_3gpuE5ELNS1_3repE0EEENS1_30default_config_static_selectorELNS0_4arch9wavefront6targetE0EEEvT1_.private_seg_size, 0
	.set _ZN7rocprim17ROCPRIM_400000_NS6detail17trampoline_kernelINS0_14default_configENS1_27scan_by_key_config_selectorIiiEEZZNS1_16scan_by_key_implILNS1_25lookback_scan_determinismE0ELb1ES3_N6thrust23THRUST_200600_302600_NS6detail15normal_iteratorINS9_10device_ptrIiEEEESE_SE_iNS9_4plusIiEE19head_flag_predicateiEE10hipError_tPvRmT2_T3_T4_T5_mT6_T7_P12ihipStream_tbENKUlT_T0_E_clISt17integral_constantIbLb0EESY_EEDaST_SU_EUlST_E_NS1_11comp_targetILNS1_3genE10ELNS1_11target_archE1201ELNS1_3gpuE5ELNS1_3repE0EEENS1_30default_config_static_selectorELNS0_4arch9wavefront6targetE0EEEvT1_.uses_vcc, 0
	.set _ZN7rocprim17ROCPRIM_400000_NS6detail17trampoline_kernelINS0_14default_configENS1_27scan_by_key_config_selectorIiiEEZZNS1_16scan_by_key_implILNS1_25lookback_scan_determinismE0ELb1ES3_N6thrust23THRUST_200600_302600_NS6detail15normal_iteratorINS9_10device_ptrIiEEEESE_SE_iNS9_4plusIiEE19head_flag_predicateiEE10hipError_tPvRmT2_T3_T4_T5_mT6_T7_P12ihipStream_tbENKUlT_T0_E_clISt17integral_constantIbLb0EESY_EEDaST_SU_EUlST_E_NS1_11comp_targetILNS1_3genE10ELNS1_11target_archE1201ELNS1_3gpuE5ELNS1_3repE0EEENS1_30default_config_static_selectorELNS0_4arch9wavefront6targetE0EEEvT1_.uses_flat_scratch, 0
	.set _ZN7rocprim17ROCPRIM_400000_NS6detail17trampoline_kernelINS0_14default_configENS1_27scan_by_key_config_selectorIiiEEZZNS1_16scan_by_key_implILNS1_25lookback_scan_determinismE0ELb1ES3_N6thrust23THRUST_200600_302600_NS6detail15normal_iteratorINS9_10device_ptrIiEEEESE_SE_iNS9_4plusIiEE19head_flag_predicateiEE10hipError_tPvRmT2_T3_T4_T5_mT6_T7_P12ihipStream_tbENKUlT_T0_E_clISt17integral_constantIbLb0EESY_EEDaST_SU_EUlST_E_NS1_11comp_targetILNS1_3genE10ELNS1_11target_archE1201ELNS1_3gpuE5ELNS1_3repE0EEENS1_30default_config_static_selectorELNS0_4arch9wavefront6targetE0EEEvT1_.has_dyn_sized_stack, 0
	.set _ZN7rocprim17ROCPRIM_400000_NS6detail17trampoline_kernelINS0_14default_configENS1_27scan_by_key_config_selectorIiiEEZZNS1_16scan_by_key_implILNS1_25lookback_scan_determinismE0ELb1ES3_N6thrust23THRUST_200600_302600_NS6detail15normal_iteratorINS9_10device_ptrIiEEEESE_SE_iNS9_4plusIiEE19head_flag_predicateiEE10hipError_tPvRmT2_T3_T4_T5_mT6_T7_P12ihipStream_tbENKUlT_T0_E_clISt17integral_constantIbLb0EESY_EEDaST_SU_EUlST_E_NS1_11comp_targetILNS1_3genE10ELNS1_11target_archE1201ELNS1_3gpuE5ELNS1_3repE0EEENS1_30default_config_static_selectorELNS0_4arch9wavefront6targetE0EEEvT1_.has_recursion, 0
	.set _ZN7rocprim17ROCPRIM_400000_NS6detail17trampoline_kernelINS0_14default_configENS1_27scan_by_key_config_selectorIiiEEZZNS1_16scan_by_key_implILNS1_25lookback_scan_determinismE0ELb1ES3_N6thrust23THRUST_200600_302600_NS6detail15normal_iteratorINS9_10device_ptrIiEEEESE_SE_iNS9_4plusIiEE19head_flag_predicateiEE10hipError_tPvRmT2_T3_T4_T5_mT6_T7_P12ihipStream_tbENKUlT_T0_E_clISt17integral_constantIbLb0EESY_EEDaST_SU_EUlST_E_NS1_11comp_targetILNS1_3genE10ELNS1_11target_archE1201ELNS1_3gpuE5ELNS1_3repE0EEENS1_30default_config_static_selectorELNS0_4arch9wavefront6targetE0EEEvT1_.has_indirect_call, 0
	.section	.AMDGPU.csdata,"",@progbits
; Kernel info:
; codeLenInByte = 0
; TotalNumSgprs: 0
; NumVgprs: 0
; ScratchSize: 0
; MemoryBound: 0
; FloatMode: 240
; IeeeMode: 1
; LDSByteSize: 0 bytes/workgroup (compile time only)
; SGPRBlocks: 0
; VGPRBlocks: 0
; NumSGPRsForWavesPerEU: 1
; NumVGPRsForWavesPerEU: 1
; NamedBarCnt: 0
; Occupancy: 16
; WaveLimiterHint : 0
; COMPUTE_PGM_RSRC2:SCRATCH_EN: 0
; COMPUTE_PGM_RSRC2:USER_SGPR: 2
; COMPUTE_PGM_RSRC2:TRAP_HANDLER: 0
; COMPUTE_PGM_RSRC2:TGID_X_EN: 1
; COMPUTE_PGM_RSRC2:TGID_Y_EN: 0
; COMPUTE_PGM_RSRC2:TGID_Z_EN: 0
; COMPUTE_PGM_RSRC2:TIDIG_COMP_CNT: 0
	.section	.text._ZN7rocprim17ROCPRIM_400000_NS6detail17trampoline_kernelINS0_14default_configENS1_27scan_by_key_config_selectorIiiEEZZNS1_16scan_by_key_implILNS1_25lookback_scan_determinismE0ELb1ES3_N6thrust23THRUST_200600_302600_NS6detail15normal_iteratorINS9_10device_ptrIiEEEESE_SE_iNS9_4plusIiEE19head_flag_predicateiEE10hipError_tPvRmT2_T3_T4_T5_mT6_T7_P12ihipStream_tbENKUlT_T0_E_clISt17integral_constantIbLb0EESY_EEDaST_SU_EUlST_E_NS1_11comp_targetILNS1_3genE5ELNS1_11target_archE942ELNS1_3gpuE9ELNS1_3repE0EEENS1_30default_config_static_selectorELNS0_4arch9wavefront6targetE0EEEvT1_,"axG",@progbits,_ZN7rocprim17ROCPRIM_400000_NS6detail17trampoline_kernelINS0_14default_configENS1_27scan_by_key_config_selectorIiiEEZZNS1_16scan_by_key_implILNS1_25lookback_scan_determinismE0ELb1ES3_N6thrust23THRUST_200600_302600_NS6detail15normal_iteratorINS9_10device_ptrIiEEEESE_SE_iNS9_4plusIiEE19head_flag_predicateiEE10hipError_tPvRmT2_T3_T4_T5_mT6_T7_P12ihipStream_tbENKUlT_T0_E_clISt17integral_constantIbLb0EESY_EEDaST_SU_EUlST_E_NS1_11comp_targetILNS1_3genE5ELNS1_11target_archE942ELNS1_3gpuE9ELNS1_3repE0EEENS1_30default_config_static_selectorELNS0_4arch9wavefront6targetE0EEEvT1_,comdat
	.protected	_ZN7rocprim17ROCPRIM_400000_NS6detail17trampoline_kernelINS0_14default_configENS1_27scan_by_key_config_selectorIiiEEZZNS1_16scan_by_key_implILNS1_25lookback_scan_determinismE0ELb1ES3_N6thrust23THRUST_200600_302600_NS6detail15normal_iteratorINS9_10device_ptrIiEEEESE_SE_iNS9_4plusIiEE19head_flag_predicateiEE10hipError_tPvRmT2_T3_T4_T5_mT6_T7_P12ihipStream_tbENKUlT_T0_E_clISt17integral_constantIbLb0EESY_EEDaST_SU_EUlST_E_NS1_11comp_targetILNS1_3genE5ELNS1_11target_archE942ELNS1_3gpuE9ELNS1_3repE0EEENS1_30default_config_static_selectorELNS0_4arch9wavefront6targetE0EEEvT1_ ; -- Begin function _ZN7rocprim17ROCPRIM_400000_NS6detail17trampoline_kernelINS0_14default_configENS1_27scan_by_key_config_selectorIiiEEZZNS1_16scan_by_key_implILNS1_25lookback_scan_determinismE0ELb1ES3_N6thrust23THRUST_200600_302600_NS6detail15normal_iteratorINS9_10device_ptrIiEEEESE_SE_iNS9_4plusIiEE19head_flag_predicateiEE10hipError_tPvRmT2_T3_T4_T5_mT6_T7_P12ihipStream_tbENKUlT_T0_E_clISt17integral_constantIbLb0EESY_EEDaST_SU_EUlST_E_NS1_11comp_targetILNS1_3genE5ELNS1_11target_archE942ELNS1_3gpuE9ELNS1_3repE0EEENS1_30default_config_static_selectorELNS0_4arch9wavefront6targetE0EEEvT1_
	.globl	_ZN7rocprim17ROCPRIM_400000_NS6detail17trampoline_kernelINS0_14default_configENS1_27scan_by_key_config_selectorIiiEEZZNS1_16scan_by_key_implILNS1_25lookback_scan_determinismE0ELb1ES3_N6thrust23THRUST_200600_302600_NS6detail15normal_iteratorINS9_10device_ptrIiEEEESE_SE_iNS9_4plusIiEE19head_flag_predicateiEE10hipError_tPvRmT2_T3_T4_T5_mT6_T7_P12ihipStream_tbENKUlT_T0_E_clISt17integral_constantIbLb0EESY_EEDaST_SU_EUlST_E_NS1_11comp_targetILNS1_3genE5ELNS1_11target_archE942ELNS1_3gpuE9ELNS1_3repE0EEENS1_30default_config_static_selectorELNS0_4arch9wavefront6targetE0EEEvT1_
	.p2align	8
	.type	_ZN7rocprim17ROCPRIM_400000_NS6detail17trampoline_kernelINS0_14default_configENS1_27scan_by_key_config_selectorIiiEEZZNS1_16scan_by_key_implILNS1_25lookback_scan_determinismE0ELb1ES3_N6thrust23THRUST_200600_302600_NS6detail15normal_iteratorINS9_10device_ptrIiEEEESE_SE_iNS9_4plusIiEE19head_flag_predicateiEE10hipError_tPvRmT2_T3_T4_T5_mT6_T7_P12ihipStream_tbENKUlT_T0_E_clISt17integral_constantIbLb0EESY_EEDaST_SU_EUlST_E_NS1_11comp_targetILNS1_3genE5ELNS1_11target_archE942ELNS1_3gpuE9ELNS1_3repE0EEENS1_30default_config_static_selectorELNS0_4arch9wavefront6targetE0EEEvT1_,@function
_ZN7rocprim17ROCPRIM_400000_NS6detail17trampoline_kernelINS0_14default_configENS1_27scan_by_key_config_selectorIiiEEZZNS1_16scan_by_key_implILNS1_25lookback_scan_determinismE0ELb1ES3_N6thrust23THRUST_200600_302600_NS6detail15normal_iteratorINS9_10device_ptrIiEEEESE_SE_iNS9_4plusIiEE19head_flag_predicateiEE10hipError_tPvRmT2_T3_T4_T5_mT6_T7_P12ihipStream_tbENKUlT_T0_E_clISt17integral_constantIbLb0EESY_EEDaST_SU_EUlST_E_NS1_11comp_targetILNS1_3genE5ELNS1_11target_archE942ELNS1_3gpuE9ELNS1_3repE0EEENS1_30default_config_static_selectorELNS0_4arch9wavefront6targetE0EEEvT1_: ; @_ZN7rocprim17ROCPRIM_400000_NS6detail17trampoline_kernelINS0_14default_configENS1_27scan_by_key_config_selectorIiiEEZZNS1_16scan_by_key_implILNS1_25lookback_scan_determinismE0ELb1ES3_N6thrust23THRUST_200600_302600_NS6detail15normal_iteratorINS9_10device_ptrIiEEEESE_SE_iNS9_4plusIiEE19head_flag_predicateiEE10hipError_tPvRmT2_T3_T4_T5_mT6_T7_P12ihipStream_tbENKUlT_T0_E_clISt17integral_constantIbLb0EESY_EEDaST_SU_EUlST_E_NS1_11comp_targetILNS1_3genE5ELNS1_11target_archE942ELNS1_3gpuE9ELNS1_3repE0EEENS1_30default_config_static_selectorELNS0_4arch9wavefront6targetE0EEEvT1_
; %bb.0:
	.section	.rodata,"a",@progbits
	.p2align	6, 0x0
	.amdhsa_kernel _ZN7rocprim17ROCPRIM_400000_NS6detail17trampoline_kernelINS0_14default_configENS1_27scan_by_key_config_selectorIiiEEZZNS1_16scan_by_key_implILNS1_25lookback_scan_determinismE0ELb1ES3_N6thrust23THRUST_200600_302600_NS6detail15normal_iteratorINS9_10device_ptrIiEEEESE_SE_iNS9_4plusIiEE19head_flag_predicateiEE10hipError_tPvRmT2_T3_T4_T5_mT6_T7_P12ihipStream_tbENKUlT_T0_E_clISt17integral_constantIbLb0EESY_EEDaST_SU_EUlST_E_NS1_11comp_targetILNS1_3genE5ELNS1_11target_archE942ELNS1_3gpuE9ELNS1_3repE0EEENS1_30default_config_static_selectorELNS0_4arch9wavefront6targetE0EEEvT1_
		.amdhsa_group_segment_fixed_size 0
		.amdhsa_private_segment_fixed_size 0
		.amdhsa_kernarg_size 112
		.amdhsa_user_sgpr_count 2
		.amdhsa_user_sgpr_dispatch_ptr 0
		.amdhsa_user_sgpr_queue_ptr 0
		.amdhsa_user_sgpr_kernarg_segment_ptr 1
		.amdhsa_user_sgpr_dispatch_id 0
		.amdhsa_user_sgpr_kernarg_preload_length 0
		.amdhsa_user_sgpr_kernarg_preload_offset 0
		.amdhsa_user_sgpr_private_segment_size 0
		.amdhsa_wavefront_size32 1
		.amdhsa_uses_dynamic_stack 0
		.amdhsa_enable_private_segment 0
		.amdhsa_system_sgpr_workgroup_id_x 1
		.amdhsa_system_sgpr_workgroup_id_y 0
		.amdhsa_system_sgpr_workgroup_id_z 0
		.amdhsa_system_sgpr_workgroup_info 0
		.amdhsa_system_vgpr_workitem_id 0
		.amdhsa_next_free_vgpr 1
		.amdhsa_next_free_sgpr 1
		.amdhsa_named_barrier_count 0
		.amdhsa_reserve_vcc 0
		.amdhsa_float_round_mode_32 0
		.amdhsa_float_round_mode_16_64 0
		.amdhsa_float_denorm_mode_32 3
		.amdhsa_float_denorm_mode_16_64 3
		.amdhsa_fp16_overflow 0
		.amdhsa_memory_ordered 1
		.amdhsa_forward_progress 1
		.amdhsa_inst_pref_size 0
		.amdhsa_round_robin_scheduling 0
		.amdhsa_exception_fp_ieee_invalid_op 0
		.amdhsa_exception_fp_denorm_src 0
		.amdhsa_exception_fp_ieee_div_zero 0
		.amdhsa_exception_fp_ieee_overflow 0
		.amdhsa_exception_fp_ieee_underflow 0
		.amdhsa_exception_fp_ieee_inexact 0
		.amdhsa_exception_int_div_zero 0
	.end_amdhsa_kernel
	.section	.text._ZN7rocprim17ROCPRIM_400000_NS6detail17trampoline_kernelINS0_14default_configENS1_27scan_by_key_config_selectorIiiEEZZNS1_16scan_by_key_implILNS1_25lookback_scan_determinismE0ELb1ES3_N6thrust23THRUST_200600_302600_NS6detail15normal_iteratorINS9_10device_ptrIiEEEESE_SE_iNS9_4plusIiEE19head_flag_predicateiEE10hipError_tPvRmT2_T3_T4_T5_mT6_T7_P12ihipStream_tbENKUlT_T0_E_clISt17integral_constantIbLb0EESY_EEDaST_SU_EUlST_E_NS1_11comp_targetILNS1_3genE5ELNS1_11target_archE942ELNS1_3gpuE9ELNS1_3repE0EEENS1_30default_config_static_selectorELNS0_4arch9wavefront6targetE0EEEvT1_,"axG",@progbits,_ZN7rocprim17ROCPRIM_400000_NS6detail17trampoline_kernelINS0_14default_configENS1_27scan_by_key_config_selectorIiiEEZZNS1_16scan_by_key_implILNS1_25lookback_scan_determinismE0ELb1ES3_N6thrust23THRUST_200600_302600_NS6detail15normal_iteratorINS9_10device_ptrIiEEEESE_SE_iNS9_4plusIiEE19head_flag_predicateiEE10hipError_tPvRmT2_T3_T4_T5_mT6_T7_P12ihipStream_tbENKUlT_T0_E_clISt17integral_constantIbLb0EESY_EEDaST_SU_EUlST_E_NS1_11comp_targetILNS1_3genE5ELNS1_11target_archE942ELNS1_3gpuE9ELNS1_3repE0EEENS1_30default_config_static_selectorELNS0_4arch9wavefront6targetE0EEEvT1_,comdat
.Lfunc_end787:
	.size	_ZN7rocprim17ROCPRIM_400000_NS6detail17trampoline_kernelINS0_14default_configENS1_27scan_by_key_config_selectorIiiEEZZNS1_16scan_by_key_implILNS1_25lookback_scan_determinismE0ELb1ES3_N6thrust23THRUST_200600_302600_NS6detail15normal_iteratorINS9_10device_ptrIiEEEESE_SE_iNS9_4plusIiEE19head_flag_predicateiEE10hipError_tPvRmT2_T3_T4_T5_mT6_T7_P12ihipStream_tbENKUlT_T0_E_clISt17integral_constantIbLb0EESY_EEDaST_SU_EUlST_E_NS1_11comp_targetILNS1_3genE5ELNS1_11target_archE942ELNS1_3gpuE9ELNS1_3repE0EEENS1_30default_config_static_selectorELNS0_4arch9wavefront6targetE0EEEvT1_, .Lfunc_end787-_ZN7rocprim17ROCPRIM_400000_NS6detail17trampoline_kernelINS0_14default_configENS1_27scan_by_key_config_selectorIiiEEZZNS1_16scan_by_key_implILNS1_25lookback_scan_determinismE0ELb1ES3_N6thrust23THRUST_200600_302600_NS6detail15normal_iteratorINS9_10device_ptrIiEEEESE_SE_iNS9_4plusIiEE19head_flag_predicateiEE10hipError_tPvRmT2_T3_T4_T5_mT6_T7_P12ihipStream_tbENKUlT_T0_E_clISt17integral_constantIbLb0EESY_EEDaST_SU_EUlST_E_NS1_11comp_targetILNS1_3genE5ELNS1_11target_archE942ELNS1_3gpuE9ELNS1_3repE0EEENS1_30default_config_static_selectorELNS0_4arch9wavefront6targetE0EEEvT1_
                                        ; -- End function
	.set _ZN7rocprim17ROCPRIM_400000_NS6detail17trampoline_kernelINS0_14default_configENS1_27scan_by_key_config_selectorIiiEEZZNS1_16scan_by_key_implILNS1_25lookback_scan_determinismE0ELb1ES3_N6thrust23THRUST_200600_302600_NS6detail15normal_iteratorINS9_10device_ptrIiEEEESE_SE_iNS9_4plusIiEE19head_flag_predicateiEE10hipError_tPvRmT2_T3_T4_T5_mT6_T7_P12ihipStream_tbENKUlT_T0_E_clISt17integral_constantIbLb0EESY_EEDaST_SU_EUlST_E_NS1_11comp_targetILNS1_3genE5ELNS1_11target_archE942ELNS1_3gpuE9ELNS1_3repE0EEENS1_30default_config_static_selectorELNS0_4arch9wavefront6targetE0EEEvT1_.num_vgpr, 0
	.set _ZN7rocprim17ROCPRIM_400000_NS6detail17trampoline_kernelINS0_14default_configENS1_27scan_by_key_config_selectorIiiEEZZNS1_16scan_by_key_implILNS1_25lookback_scan_determinismE0ELb1ES3_N6thrust23THRUST_200600_302600_NS6detail15normal_iteratorINS9_10device_ptrIiEEEESE_SE_iNS9_4plusIiEE19head_flag_predicateiEE10hipError_tPvRmT2_T3_T4_T5_mT6_T7_P12ihipStream_tbENKUlT_T0_E_clISt17integral_constantIbLb0EESY_EEDaST_SU_EUlST_E_NS1_11comp_targetILNS1_3genE5ELNS1_11target_archE942ELNS1_3gpuE9ELNS1_3repE0EEENS1_30default_config_static_selectorELNS0_4arch9wavefront6targetE0EEEvT1_.num_agpr, 0
	.set _ZN7rocprim17ROCPRIM_400000_NS6detail17trampoline_kernelINS0_14default_configENS1_27scan_by_key_config_selectorIiiEEZZNS1_16scan_by_key_implILNS1_25lookback_scan_determinismE0ELb1ES3_N6thrust23THRUST_200600_302600_NS6detail15normal_iteratorINS9_10device_ptrIiEEEESE_SE_iNS9_4plusIiEE19head_flag_predicateiEE10hipError_tPvRmT2_T3_T4_T5_mT6_T7_P12ihipStream_tbENKUlT_T0_E_clISt17integral_constantIbLb0EESY_EEDaST_SU_EUlST_E_NS1_11comp_targetILNS1_3genE5ELNS1_11target_archE942ELNS1_3gpuE9ELNS1_3repE0EEENS1_30default_config_static_selectorELNS0_4arch9wavefront6targetE0EEEvT1_.numbered_sgpr, 0
	.set _ZN7rocprim17ROCPRIM_400000_NS6detail17trampoline_kernelINS0_14default_configENS1_27scan_by_key_config_selectorIiiEEZZNS1_16scan_by_key_implILNS1_25lookback_scan_determinismE0ELb1ES3_N6thrust23THRUST_200600_302600_NS6detail15normal_iteratorINS9_10device_ptrIiEEEESE_SE_iNS9_4plusIiEE19head_flag_predicateiEE10hipError_tPvRmT2_T3_T4_T5_mT6_T7_P12ihipStream_tbENKUlT_T0_E_clISt17integral_constantIbLb0EESY_EEDaST_SU_EUlST_E_NS1_11comp_targetILNS1_3genE5ELNS1_11target_archE942ELNS1_3gpuE9ELNS1_3repE0EEENS1_30default_config_static_selectorELNS0_4arch9wavefront6targetE0EEEvT1_.num_named_barrier, 0
	.set _ZN7rocprim17ROCPRIM_400000_NS6detail17trampoline_kernelINS0_14default_configENS1_27scan_by_key_config_selectorIiiEEZZNS1_16scan_by_key_implILNS1_25lookback_scan_determinismE0ELb1ES3_N6thrust23THRUST_200600_302600_NS6detail15normal_iteratorINS9_10device_ptrIiEEEESE_SE_iNS9_4plusIiEE19head_flag_predicateiEE10hipError_tPvRmT2_T3_T4_T5_mT6_T7_P12ihipStream_tbENKUlT_T0_E_clISt17integral_constantIbLb0EESY_EEDaST_SU_EUlST_E_NS1_11comp_targetILNS1_3genE5ELNS1_11target_archE942ELNS1_3gpuE9ELNS1_3repE0EEENS1_30default_config_static_selectorELNS0_4arch9wavefront6targetE0EEEvT1_.private_seg_size, 0
	.set _ZN7rocprim17ROCPRIM_400000_NS6detail17trampoline_kernelINS0_14default_configENS1_27scan_by_key_config_selectorIiiEEZZNS1_16scan_by_key_implILNS1_25lookback_scan_determinismE0ELb1ES3_N6thrust23THRUST_200600_302600_NS6detail15normal_iteratorINS9_10device_ptrIiEEEESE_SE_iNS9_4plusIiEE19head_flag_predicateiEE10hipError_tPvRmT2_T3_T4_T5_mT6_T7_P12ihipStream_tbENKUlT_T0_E_clISt17integral_constantIbLb0EESY_EEDaST_SU_EUlST_E_NS1_11comp_targetILNS1_3genE5ELNS1_11target_archE942ELNS1_3gpuE9ELNS1_3repE0EEENS1_30default_config_static_selectorELNS0_4arch9wavefront6targetE0EEEvT1_.uses_vcc, 0
	.set _ZN7rocprim17ROCPRIM_400000_NS6detail17trampoline_kernelINS0_14default_configENS1_27scan_by_key_config_selectorIiiEEZZNS1_16scan_by_key_implILNS1_25lookback_scan_determinismE0ELb1ES3_N6thrust23THRUST_200600_302600_NS6detail15normal_iteratorINS9_10device_ptrIiEEEESE_SE_iNS9_4plusIiEE19head_flag_predicateiEE10hipError_tPvRmT2_T3_T4_T5_mT6_T7_P12ihipStream_tbENKUlT_T0_E_clISt17integral_constantIbLb0EESY_EEDaST_SU_EUlST_E_NS1_11comp_targetILNS1_3genE5ELNS1_11target_archE942ELNS1_3gpuE9ELNS1_3repE0EEENS1_30default_config_static_selectorELNS0_4arch9wavefront6targetE0EEEvT1_.uses_flat_scratch, 0
	.set _ZN7rocprim17ROCPRIM_400000_NS6detail17trampoline_kernelINS0_14default_configENS1_27scan_by_key_config_selectorIiiEEZZNS1_16scan_by_key_implILNS1_25lookback_scan_determinismE0ELb1ES3_N6thrust23THRUST_200600_302600_NS6detail15normal_iteratorINS9_10device_ptrIiEEEESE_SE_iNS9_4plusIiEE19head_flag_predicateiEE10hipError_tPvRmT2_T3_T4_T5_mT6_T7_P12ihipStream_tbENKUlT_T0_E_clISt17integral_constantIbLb0EESY_EEDaST_SU_EUlST_E_NS1_11comp_targetILNS1_3genE5ELNS1_11target_archE942ELNS1_3gpuE9ELNS1_3repE0EEENS1_30default_config_static_selectorELNS0_4arch9wavefront6targetE0EEEvT1_.has_dyn_sized_stack, 0
	.set _ZN7rocprim17ROCPRIM_400000_NS6detail17trampoline_kernelINS0_14default_configENS1_27scan_by_key_config_selectorIiiEEZZNS1_16scan_by_key_implILNS1_25lookback_scan_determinismE0ELb1ES3_N6thrust23THRUST_200600_302600_NS6detail15normal_iteratorINS9_10device_ptrIiEEEESE_SE_iNS9_4plusIiEE19head_flag_predicateiEE10hipError_tPvRmT2_T3_T4_T5_mT6_T7_P12ihipStream_tbENKUlT_T0_E_clISt17integral_constantIbLb0EESY_EEDaST_SU_EUlST_E_NS1_11comp_targetILNS1_3genE5ELNS1_11target_archE942ELNS1_3gpuE9ELNS1_3repE0EEENS1_30default_config_static_selectorELNS0_4arch9wavefront6targetE0EEEvT1_.has_recursion, 0
	.set _ZN7rocprim17ROCPRIM_400000_NS6detail17trampoline_kernelINS0_14default_configENS1_27scan_by_key_config_selectorIiiEEZZNS1_16scan_by_key_implILNS1_25lookback_scan_determinismE0ELb1ES3_N6thrust23THRUST_200600_302600_NS6detail15normal_iteratorINS9_10device_ptrIiEEEESE_SE_iNS9_4plusIiEE19head_flag_predicateiEE10hipError_tPvRmT2_T3_T4_T5_mT6_T7_P12ihipStream_tbENKUlT_T0_E_clISt17integral_constantIbLb0EESY_EEDaST_SU_EUlST_E_NS1_11comp_targetILNS1_3genE5ELNS1_11target_archE942ELNS1_3gpuE9ELNS1_3repE0EEENS1_30default_config_static_selectorELNS0_4arch9wavefront6targetE0EEEvT1_.has_indirect_call, 0
	.section	.AMDGPU.csdata,"",@progbits
; Kernel info:
; codeLenInByte = 0
; TotalNumSgprs: 0
; NumVgprs: 0
; ScratchSize: 0
; MemoryBound: 0
; FloatMode: 240
; IeeeMode: 1
; LDSByteSize: 0 bytes/workgroup (compile time only)
; SGPRBlocks: 0
; VGPRBlocks: 0
; NumSGPRsForWavesPerEU: 1
; NumVGPRsForWavesPerEU: 1
; NamedBarCnt: 0
; Occupancy: 16
; WaveLimiterHint : 0
; COMPUTE_PGM_RSRC2:SCRATCH_EN: 0
; COMPUTE_PGM_RSRC2:USER_SGPR: 2
; COMPUTE_PGM_RSRC2:TRAP_HANDLER: 0
; COMPUTE_PGM_RSRC2:TGID_X_EN: 1
; COMPUTE_PGM_RSRC2:TGID_Y_EN: 0
; COMPUTE_PGM_RSRC2:TGID_Z_EN: 0
; COMPUTE_PGM_RSRC2:TIDIG_COMP_CNT: 0
	.section	.text._ZN7rocprim17ROCPRIM_400000_NS6detail17trampoline_kernelINS0_14default_configENS1_27scan_by_key_config_selectorIiiEEZZNS1_16scan_by_key_implILNS1_25lookback_scan_determinismE0ELb1ES3_N6thrust23THRUST_200600_302600_NS6detail15normal_iteratorINS9_10device_ptrIiEEEESE_SE_iNS9_4plusIiEE19head_flag_predicateiEE10hipError_tPvRmT2_T3_T4_T5_mT6_T7_P12ihipStream_tbENKUlT_T0_E_clISt17integral_constantIbLb0EESY_EEDaST_SU_EUlST_E_NS1_11comp_targetILNS1_3genE4ELNS1_11target_archE910ELNS1_3gpuE8ELNS1_3repE0EEENS1_30default_config_static_selectorELNS0_4arch9wavefront6targetE0EEEvT1_,"axG",@progbits,_ZN7rocprim17ROCPRIM_400000_NS6detail17trampoline_kernelINS0_14default_configENS1_27scan_by_key_config_selectorIiiEEZZNS1_16scan_by_key_implILNS1_25lookback_scan_determinismE0ELb1ES3_N6thrust23THRUST_200600_302600_NS6detail15normal_iteratorINS9_10device_ptrIiEEEESE_SE_iNS9_4plusIiEE19head_flag_predicateiEE10hipError_tPvRmT2_T3_T4_T5_mT6_T7_P12ihipStream_tbENKUlT_T0_E_clISt17integral_constantIbLb0EESY_EEDaST_SU_EUlST_E_NS1_11comp_targetILNS1_3genE4ELNS1_11target_archE910ELNS1_3gpuE8ELNS1_3repE0EEENS1_30default_config_static_selectorELNS0_4arch9wavefront6targetE0EEEvT1_,comdat
	.protected	_ZN7rocprim17ROCPRIM_400000_NS6detail17trampoline_kernelINS0_14default_configENS1_27scan_by_key_config_selectorIiiEEZZNS1_16scan_by_key_implILNS1_25lookback_scan_determinismE0ELb1ES3_N6thrust23THRUST_200600_302600_NS6detail15normal_iteratorINS9_10device_ptrIiEEEESE_SE_iNS9_4plusIiEE19head_flag_predicateiEE10hipError_tPvRmT2_T3_T4_T5_mT6_T7_P12ihipStream_tbENKUlT_T0_E_clISt17integral_constantIbLb0EESY_EEDaST_SU_EUlST_E_NS1_11comp_targetILNS1_3genE4ELNS1_11target_archE910ELNS1_3gpuE8ELNS1_3repE0EEENS1_30default_config_static_selectorELNS0_4arch9wavefront6targetE0EEEvT1_ ; -- Begin function _ZN7rocprim17ROCPRIM_400000_NS6detail17trampoline_kernelINS0_14default_configENS1_27scan_by_key_config_selectorIiiEEZZNS1_16scan_by_key_implILNS1_25lookback_scan_determinismE0ELb1ES3_N6thrust23THRUST_200600_302600_NS6detail15normal_iteratorINS9_10device_ptrIiEEEESE_SE_iNS9_4plusIiEE19head_flag_predicateiEE10hipError_tPvRmT2_T3_T4_T5_mT6_T7_P12ihipStream_tbENKUlT_T0_E_clISt17integral_constantIbLb0EESY_EEDaST_SU_EUlST_E_NS1_11comp_targetILNS1_3genE4ELNS1_11target_archE910ELNS1_3gpuE8ELNS1_3repE0EEENS1_30default_config_static_selectorELNS0_4arch9wavefront6targetE0EEEvT1_
	.globl	_ZN7rocprim17ROCPRIM_400000_NS6detail17trampoline_kernelINS0_14default_configENS1_27scan_by_key_config_selectorIiiEEZZNS1_16scan_by_key_implILNS1_25lookback_scan_determinismE0ELb1ES3_N6thrust23THRUST_200600_302600_NS6detail15normal_iteratorINS9_10device_ptrIiEEEESE_SE_iNS9_4plusIiEE19head_flag_predicateiEE10hipError_tPvRmT2_T3_T4_T5_mT6_T7_P12ihipStream_tbENKUlT_T0_E_clISt17integral_constantIbLb0EESY_EEDaST_SU_EUlST_E_NS1_11comp_targetILNS1_3genE4ELNS1_11target_archE910ELNS1_3gpuE8ELNS1_3repE0EEENS1_30default_config_static_selectorELNS0_4arch9wavefront6targetE0EEEvT1_
	.p2align	8
	.type	_ZN7rocprim17ROCPRIM_400000_NS6detail17trampoline_kernelINS0_14default_configENS1_27scan_by_key_config_selectorIiiEEZZNS1_16scan_by_key_implILNS1_25lookback_scan_determinismE0ELb1ES3_N6thrust23THRUST_200600_302600_NS6detail15normal_iteratorINS9_10device_ptrIiEEEESE_SE_iNS9_4plusIiEE19head_flag_predicateiEE10hipError_tPvRmT2_T3_T4_T5_mT6_T7_P12ihipStream_tbENKUlT_T0_E_clISt17integral_constantIbLb0EESY_EEDaST_SU_EUlST_E_NS1_11comp_targetILNS1_3genE4ELNS1_11target_archE910ELNS1_3gpuE8ELNS1_3repE0EEENS1_30default_config_static_selectorELNS0_4arch9wavefront6targetE0EEEvT1_,@function
_ZN7rocprim17ROCPRIM_400000_NS6detail17trampoline_kernelINS0_14default_configENS1_27scan_by_key_config_selectorIiiEEZZNS1_16scan_by_key_implILNS1_25lookback_scan_determinismE0ELb1ES3_N6thrust23THRUST_200600_302600_NS6detail15normal_iteratorINS9_10device_ptrIiEEEESE_SE_iNS9_4plusIiEE19head_flag_predicateiEE10hipError_tPvRmT2_T3_T4_T5_mT6_T7_P12ihipStream_tbENKUlT_T0_E_clISt17integral_constantIbLb0EESY_EEDaST_SU_EUlST_E_NS1_11comp_targetILNS1_3genE4ELNS1_11target_archE910ELNS1_3gpuE8ELNS1_3repE0EEENS1_30default_config_static_selectorELNS0_4arch9wavefront6targetE0EEEvT1_: ; @_ZN7rocprim17ROCPRIM_400000_NS6detail17trampoline_kernelINS0_14default_configENS1_27scan_by_key_config_selectorIiiEEZZNS1_16scan_by_key_implILNS1_25lookback_scan_determinismE0ELb1ES3_N6thrust23THRUST_200600_302600_NS6detail15normal_iteratorINS9_10device_ptrIiEEEESE_SE_iNS9_4plusIiEE19head_flag_predicateiEE10hipError_tPvRmT2_T3_T4_T5_mT6_T7_P12ihipStream_tbENKUlT_T0_E_clISt17integral_constantIbLb0EESY_EEDaST_SU_EUlST_E_NS1_11comp_targetILNS1_3genE4ELNS1_11target_archE910ELNS1_3gpuE8ELNS1_3repE0EEENS1_30default_config_static_selectorELNS0_4arch9wavefront6targetE0EEEvT1_
; %bb.0:
	.section	.rodata,"a",@progbits
	.p2align	6, 0x0
	.amdhsa_kernel _ZN7rocprim17ROCPRIM_400000_NS6detail17trampoline_kernelINS0_14default_configENS1_27scan_by_key_config_selectorIiiEEZZNS1_16scan_by_key_implILNS1_25lookback_scan_determinismE0ELb1ES3_N6thrust23THRUST_200600_302600_NS6detail15normal_iteratorINS9_10device_ptrIiEEEESE_SE_iNS9_4plusIiEE19head_flag_predicateiEE10hipError_tPvRmT2_T3_T4_T5_mT6_T7_P12ihipStream_tbENKUlT_T0_E_clISt17integral_constantIbLb0EESY_EEDaST_SU_EUlST_E_NS1_11comp_targetILNS1_3genE4ELNS1_11target_archE910ELNS1_3gpuE8ELNS1_3repE0EEENS1_30default_config_static_selectorELNS0_4arch9wavefront6targetE0EEEvT1_
		.amdhsa_group_segment_fixed_size 0
		.amdhsa_private_segment_fixed_size 0
		.amdhsa_kernarg_size 112
		.amdhsa_user_sgpr_count 2
		.amdhsa_user_sgpr_dispatch_ptr 0
		.amdhsa_user_sgpr_queue_ptr 0
		.amdhsa_user_sgpr_kernarg_segment_ptr 1
		.amdhsa_user_sgpr_dispatch_id 0
		.amdhsa_user_sgpr_kernarg_preload_length 0
		.amdhsa_user_sgpr_kernarg_preload_offset 0
		.amdhsa_user_sgpr_private_segment_size 0
		.amdhsa_wavefront_size32 1
		.amdhsa_uses_dynamic_stack 0
		.amdhsa_enable_private_segment 0
		.amdhsa_system_sgpr_workgroup_id_x 1
		.amdhsa_system_sgpr_workgroup_id_y 0
		.amdhsa_system_sgpr_workgroup_id_z 0
		.amdhsa_system_sgpr_workgroup_info 0
		.amdhsa_system_vgpr_workitem_id 0
		.amdhsa_next_free_vgpr 1
		.amdhsa_next_free_sgpr 1
		.amdhsa_named_barrier_count 0
		.amdhsa_reserve_vcc 0
		.amdhsa_float_round_mode_32 0
		.amdhsa_float_round_mode_16_64 0
		.amdhsa_float_denorm_mode_32 3
		.amdhsa_float_denorm_mode_16_64 3
		.amdhsa_fp16_overflow 0
		.amdhsa_memory_ordered 1
		.amdhsa_forward_progress 1
		.amdhsa_inst_pref_size 0
		.amdhsa_round_robin_scheduling 0
		.amdhsa_exception_fp_ieee_invalid_op 0
		.amdhsa_exception_fp_denorm_src 0
		.amdhsa_exception_fp_ieee_div_zero 0
		.amdhsa_exception_fp_ieee_overflow 0
		.amdhsa_exception_fp_ieee_underflow 0
		.amdhsa_exception_fp_ieee_inexact 0
		.amdhsa_exception_int_div_zero 0
	.end_amdhsa_kernel
	.section	.text._ZN7rocprim17ROCPRIM_400000_NS6detail17trampoline_kernelINS0_14default_configENS1_27scan_by_key_config_selectorIiiEEZZNS1_16scan_by_key_implILNS1_25lookback_scan_determinismE0ELb1ES3_N6thrust23THRUST_200600_302600_NS6detail15normal_iteratorINS9_10device_ptrIiEEEESE_SE_iNS9_4plusIiEE19head_flag_predicateiEE10hipError_tPvRmT2_T3_T4_T5_mT6_T7_P12ihipStream_tbENKUlT_T0_E_clISt17integral_constantIbLb0EESY_EEDaST_SU_EUlST_E_NS1_11comp_targetILNS1_3genE4ELNS1_11target_archE910ELNS1_3gpuE8ELNS1_3repE0EEENS1_30default_config_static_selectorELNS0_4arch9wavefront6targetE0EEEvT1_,"axG",@progbits,_ZN7rocprim17ROCPRIM_400000_NS6detail17trampoline_kernelINS0_14default_configENS1_27scan_by_key_config_selectorIiiEEZZNS1_16scan_by_key_implILNS1_25lookback_scan_determinismE0ELb1ES3_N6thrust23THRUST_200600_302600_NS6detail15normal_iteratorINS9_10device_ptrIiEEEESE_SE_iNS9_4plusIiEE19head_flag_predicateiEE10hipError_tPvRmT2_T3_T4_T5_mT6_T7_P12ihipStream_tbENKUlT_T0_E_clISt17integral_constantIbLb0EESY_EEDaST_SU_EUlST_E_NS1_11comp_targetILNS1_3genE4ELNS1_11target_archE910ELNS1_3gpuE8ELNS1_3repE0EEENS1_30default_config_static_selectorELNS0_4arch9wavefront6targetE0EEEvT1_,comdat
.Lfunc_end788:
	.size	_ZN7rocprim17ROCPRIM_400000_NS6detail17trampoline_kernelINS0_14default_configENS1_27scan_by_key_config_selectorIiiEEZZNS1_16scan_by_key_implILNS1_25lookback_scan_determinismE0ELb1ES3_N6thrust23THRUST_200600_302600_NS6detail15normal_iteratorINS9_10device_ptrIiEEEESE_SE_iNS9_4plusIiEE19head_flag_predicateiEE10hipError_tPvRmT2_T3_T4_T5_mT6_T7_P12ihipStream_tbENKUlT_T0_E_clISt17integral_constantIbLb0EESY_EEDaST_SU_EUlST_E_NS1_11comp_targetILNS1_3genE4ELNS1_11target_archE910ELNS1_3gpuE8ELNS1_3repE0EEENS1_30default_config_static_selectorELNS0_4arch9wavefront6targetE0EEEvT1_, .Lfunc_end788-_ZN7rocprim17ROCPRIM_400000_NS6detail17trampoline_kernelINS0_14default_configENS1_27scan_by_key_config_selectorIiiEEZZNS1_16scan_by_key_implILNS1_25lookback_scan_determinismE0ELb1ES3_N6thrust23THRUST_200600_302600_NS6detail15normal_iteratorINS9_10device_ptrIiEEEESE_SE_iNS9_4plusIiEE19head_flag_predicateiEE10hipError_tPvRmT2_T3_T4_T5_mT6_T7_P12ihipStream_tbENKUlT_T0_E_clISt17integral_constantIbLb0EESY_EEDaST_SU_EUlST_E_NS1_11comp_targetILNS1_3genE4ELNS1_11target_archE910ELNS1_3gpuE8ELNS1_3repE0EEENS1_30default_config_static_selectorELNS0_4arch9wavefront6targetE0EEEvT1_
                                        ; -- End function
	.set _ZN7rocprim17ROCPRIM_400000_NS6detail17trampoline_kernelINS0_14default_configENS1_27scan_by_key_config_selectorIiiEEZZNS1_16scan_by_key_implILNS1_25lookback_scan_determinismE0ELb1ES3_N6thrust23THRUST_200600_302600_NS6detail15normal_iteratorINS9_10device_ptrIiEEEESE_SE_iNS9_4plusIiEE19head_flag_predicateiEE10hipError_tPvRmT2_T3_T4_T5_mT6_T7_P12ihipStream_tbENKUlT_T0_E_clISt17integral_constantIbLb0EESY_EEDaST_SU_EUlST_E_NS1_11comp_targetILNS1_3genE4ELNS1_11target_archE910ELNS1_3gpuE8ELNS1_3repE0EEENS1_30default_config_static_selectorELNS0_4arch9wavefront6targetE0EEEvT1_.num_vgpr, 0
	.set _ZN7rocprim17ROCPRIM_400000_NS6detail17trampoline_kernelINS0_14default_configENS1_27scan_by_key_config_selectorIiiEEZZNS1_16scan_by_key_implILNS1_25lookback_scan_determinismE0ELb1ES3_N6thrust23THRUST_200600_302600_NS6detail15normal_iteratorINS9_10device_ptrIiEEEESE_SE_iNS9_4plusIiEE19head_flag_predicateiEE10hipError_tPvRmT2_T3_T4_T5_mT6_T7_P12ihipStream_tbENKUlT_T0_E_clISt17integral_constantIbLb0EESY_EEDaST_SU_EUlST_E_NS1_11comp_targetILNS1_3genE4ELNS1_11target_archE910ELNS1_3gpuE8ELNS1_3repE0EEENS1_30default_config_static_selectorELNS0_4arch9wavefront6targetE0EEEvT1_.num_agpr, 0
	.set _ZN7rocprim17ROCPRIM_400000_NS6detail17trampoline_kernelINS0_14default_configENS1_27scan_by_key_config_selectorIiiEEZZNS1_16scan_by_key_implILNS1_25lookback_scan_determinismE0ELb1ES3_N6thrust23THRUST_200600_302600_NS6detail15normal_iteratorINS9_10device_ptrIiEEEESE_SE_iNS9_4plusIiEE19head_flag_predicateiEE10hipError_tPvRmT2_T3_T4_T5_mT6_T7_P12ihipStream_tbENKUlT_T0_E_clISt17integral_constantIbLb0EESY_EEDaST_SU_EUlST_E_NS1_11comp_targetILNS1_3genE4ELNS1_11target_archE910ELNS1_3gpuE8ELNS1_3repE0EEENS1_30default_config_static_selectorELNS0_4arch9wavefront6targetE0EEEvT1_.numbered_sgpr, 0
	.set _ZN7rocprim17ROCPRIM_400000_NS6detail17trampoline_kernelINS0_14default_configENS1_27scan_by_key_config_selectorIiiEEZZNS1_16scan_by_key_implILNS1_25lookback_scan_determinismE0ELb1ES3_N6thrust23THRUST_200600_302600_NS6detail15normal_iteratorINS9_10device_ptrIiEEEESE_SE_iNS9_4plusIiEE19head_flag_predicateiEE10hipError_tPvRmT2_T3_T4_T5_mT6_T7_P12ihipStream_tbENKUlT_T0_E_clISt17integral_constantIbLb0EESY_EEDaST_SU_EUlST_E_NS1_11comp_targetILNS1_3genE4ELNS1_11target_archE910ELNS1_3gpuE8ELNS1_3repE0EEENS1_30default_config_static_selectorELNS0_4arch9wavefront6targetE0EEEvT1_.num_named_barrier, 0
	.set _ZN7rocprim17ROCPRIM_400000_NS6detail17trampoline_kernelINS0_14default_configENS1_27scan_by_key_config_selectorIiiEEZZNS1_16scan_by_key_implILNS1_25lookback_scan_determinismE0ELb1ES3_N6thrust23THRUST_200600_302600_NS6detail15normal_iteratorINS9_10device_ptrIiEEEESE_SE_iNS9_4plusIiEE19head_flag_predicateiEE10hipError_tPvRmT2_T3_T4_T5_mT6_T7_P12ihipStream_tbENKUlT_T0_E_clISt17integral_constantIbLb0EESY_EEDaST_SU_EUlST_E_NS1_11comp_targetILNS1_3genE4ELNS1_11target_archE910ELNS1_3gpuE8ELNS1_3repE0EEENS1_30default_config_static_selectorELNS0_4arch9wavefront6targetE0EEEvT1_.private_seg_size, 0
	.set _ZN7rocprim17ROCPRIM_400000_NS6detail17trampoline_kernelINS0_14default_configENS1_27scan_by_key_config_selectorIiiEEZZNS1_16scan_by_key_implILNS1_25lookback_scan_determinismE0ELb1ES3_N6thrust23THRUST_200600_302600_NS6detail15normal_iteratorINS9_10device_ptrIiEEEESE_SE_iNS9_4plusIiEE19head_flag_predicateiEE10hipError_tPvRmT2_T3_T4_T5_mT6_T7_P12ihipStream_tbENKUlT_T0_E_clISt17integral_constantIbLb0EESY_EEDaST_SU_EUlST_E_NS1_11comp_targetILNS1_3genE4ELNS1_11target_archE910ELNS1_3gpuE8ELNS1_3repE0EEENS1_30default_config_static_selectorELNS0_4arch9wavefront6targetE0EEEvT1_.uses_vcc, 0
	.set _ZN7rocprim17ROCPRIM_400000_NS6detail17trampoline_kernelINS0_14default_configENS1_27scan_by_key_config_selectorIiiEEZZNS1_16scan_by_key_implILNS1_25lookback_scan_determinismE0ELb1ES3_N6thrust23THRUST_200600_302600_NS6detail15normal_iteratorINS9_10device_ptrIiEEEESE_SE_iNS9_4plusIiEE19head_flag_predicateiEE10hipError_tPvRmT2_T3_T4_T5_mT6_T7_P12ihipStream_tbENKUlT_T0_E_clISt17integral_constantIbLb0EESY_EEDaST_SU_EUlST_E_NS1_11comp_targetILNS1_3genE4ELNS1_11target_archE910ELNS1_3gpuE8ELNS1_3repE0EEENS1_30default_config_static_selectorELNS0_4arch9wavefront6targetE0EEEvT1_.uses_flat_scratch, 0
	.set _ZN7rocprim17ROCPRIM_400000_NS6detail17trampoline_kernelINS0_14default_configENS1_27scan_by_key_config_selectorIiiEEZZNS1_16scan_by_key_implILNS1_25lookback_scan_determinismE0ELb1ES3_N6thrust23THRUST_200600_302600_NS6detail15normal_iteratorINS9_10device_ptrIiEEEESE_SE_iNS9_4plusIiEE19head_flag_predicateiEE10hipError_tPvRmT2_T3_T4_T5_mT6_T7_P12ihipStream_tbENKUlT_T0_E_clISt17integral_constantIbLb0EESY_EEDaST_SU_EUlST_E_NS1_11comp_targetILNS1_3genE4ELNS1_11target_archE910ELNS1_3gpuE8ELNS1_3repE0EEENS1_30default_config_static_selectorELNS0_4arch9wavefront6targetE0EEEvT1_.has_dyn_sized_stack, 0
	.set _ZN7rocprim17ROCPRIM_400000_NS6detail17trampoline_kernelINS0_14default_configENS1_27scan_by_key_config_selectorIiiEEZZNS1_16scan_by_key_implILNS1_25lookback_scan_determinismE0ELb1ES3_N6thrust23THRUST_200600_302600_NS6detail15normal_iteratorINS9_10device_ptrIiEEEESE_SE_iNS9_4plusIiEE19head_flag_predicateiEE10hipError_tPvRmT2_T3_T4_T5_mT6_T7_P12ihipStream_tbENKUlT_T0_E_clISt17integral_constantIbLb0EESY_EEDaST_SU_EUlST_E_NS1_11comp_targetILNS1_3genE4ELNS1_11target_archE910ELNS1_3gpuE8ELNS1_3repE0EEENS1_30default_config_static_selectorELNS0_4arch9wavefront6targetE0EEEvT1_.has_recursion, 0
	.set _ZN7rocprim17ROCPRIM_400000_NS6detail17trampoline_kernelINS0_14default_configENS1_27scan_by_key_config_selectorIiiEEZZNS1_16scan_by_key_implILNS1_25lookback_scan_determinismE0ELb1ES3_N6thrust23THRUST_200600_302600_NS6detail15normal_iteratorINS9_10device_ptrIiEEEESE_SE_iNS9_4plusIiEE19head_flag_predicateiEE10hipError_tPvRmT2_T3_T4_T5_mT6_T7_P12ihipStream_tbENKUlT_T0_E_clISt17integral_constantIbLb0EESY_EEDaST_SU_EUlST_E_NS1_11comp_targetILNS1_3genE4ELNS1_11target_archE910ELNS1_3gpuE8ELNS1_3repE0EEENS1_30default_config_static_selectorELNS0_4arch9wavefront6targetE0EEEvT1_.has_indirect_call, 0
	.section	.AMDGPU.csdata,"",@progbits
; Kernel info:
; codeLenInByte = 0
; TotalNumSgprs: 0
; NumVgprs: 0
; ScratchSize: 0
; MemoryBound: 0
; FloatMode: 240
; IeeeMode: 1
; LDSByteSize: 0 bytes/workgroup (compile time only)
; SGPRBlocks: 0
; VGPRBlocks: 0
; NumSGPRsForWavesPerEU: 1
; NumVGPRsForWavesPerEU: 1
; NamedBarCnt: 0
; Occupancy: 16
; WaveLimiterHint : 0
; COMPUTE_PGM_RSRC2:SCRATCH_EN: 0
; COMPUTE_PGM_RSRC2:USER_SGPR: 2
; COMPUTE_PGM_RSRC2:TRAP_HANDLER: 0
; COMPUTE_PGM_RSRC2:TGID_X_EN: 1
; COMPUTE_PGM_RSRC2:TGID_Y_EN: 0
; COMPUTE_PGM_RSRC2:TGID_Z_EN: 0
; COMPUTE_PGM_RSRC2:TIDIG_COMP_CNT: 0
	.section	.text._ZN7rocprim17ROCPRIM_400000_NS6detail17trampoline_kernelINS0_14default_configENS1_27scan_by_key_config_selectorIiiEEZZNS1_16scan_by_key_implILNS1_25lookback_scan_determinismE0ELb1ES3_N6thrust23THRUST_200600_302600_NS6detail15normal_iteratorINS9_10device_ptrIiEEEESE_SE_iNS9_4plusIiEE19head_flag_predicateiEE10hipError_tPvRmT2_T3_T4_T5_mT6_T7_P12ihipStream_tbENKUlT_T0_E_clISt17integral_constantIbLb0EESY_EEDaST_SU_EUlST_E_NS1_11comp_targetILNS1_3genE3ELNS1_11target_archE908ELNS1_3gpuE7ELNS1_3repE0EEENS1_30default_config_static_selectorELNS0_4arch9wavefront6targetE0EEEvT1_,"axG",@progbits,_ZN7rocprim17ROCPRIM_400000_NS6detail17trampoline_kernelINS0_14default_configENS1_27scan_by_key_config_selectorIiiEEZZNS1_16scan_by_key_implILNS1_25lookback_scan_determinismE0ELb1ES3_N6thrust23THRUST_200600_302600_NS6detail15normal_iteratorINS9_10device_ptrIiEEEESE_SE_iNS9_4plusIiEE19head_flag_predicateiEE10hipError_tPvRmT2_T3_T4_T5_mT6_T7_P12ihipStream_tbENKUlT_T0_E_clISt17integral_constantIbLb0EESY_EEDaST_SU_EUlST_E_NS1_11comp_targetILNS1_3genE3ELNS1_11target_archE908ELNS1_3gpuE7ELNS1_3repE0EEENS1_30default_config_static_selectorELNS0_4arch9wavefront6targetE0EEEvT1_,comdat
	.protected	_ZN7rocprim17ROCPRIM_400000_NS6detail17trampoline_kernelINS0_14default_configENS1_27scan_by_key_config_selectorIiiEEZZNS1_16scan_by_key_implILNS1_25lookback_scan_determinismE0ELb1ES3_N6thrust23THRUST_200600_302600_NS6detail15normal_iteratorINS9_10device_ptrIiEEEESE_SE_iNS9_4plusIiEE19head_flag_predicateiEE10hipError_tPvRmT2_T3_T4_T5_mT6_T7_P12ihipStream_tbENKUlT_T0_E_clISt17integral_constantIbLb0EESY_EEDaST_SU_EUlST_E_NS1_11comp_targetILNS1_3genE3ELNS1_11target_archE908ELNS1_3gpuE7ELNS1_3repE0EEENS1_30default_config_static_selectorELNS0_4arch9wavefront6targetE0EEEvT1_ ; -- Begin function _ZN7rocprim17ROCPRIM_400000_NS6detail17trampoline_kernelINS0_14default_configENS1_27scan_by_key_config_selectorIiiEEZZNS1_16scan_by_key_implILNS1_25lookback_scan_determinismE0ELb1ES3_N6thrust23THRUST_200600_302600_NS6detail15normal_iteratorINS9_10device_ptrIiEEEESE_SE_iNS9_4plusIiEE19head_flag_predicateiEE10hipError_tPvRmT2_T3_T4_T5_mT6_T7_P12ihipStream_tbENKUlT_T0_E_clISt17integral_constantIbLb0EESY_EEDaST_SU_EUlST_E_NS1_11comp_targetILNS1_3genE3ELNS1_11target_archE908ELNS1_3gpuE7ELNS1_3repE0EEENS1_30default_config_static_selectorELNS0_4arch9wavefront6targetE0EEEvT1_
	.globl	_ZN7rocprim17ROCPRIM_400000_NS6detail17trampoline_kernelINS0_14default_configENS1_27scan_by_key_config_selectorIiiEEZZNS1_16scan_by_key_implILNS1_25lookback_scan_determinismE0ELb1ES3_N6thrust23THRUST_200600_302600_NS6detail15normal_iteratorINS9_10device_ptrIiEEEESE_SE_iNS9_4plusIiEE19head_flag_predicateiEE10hipError_tPvRmT2_T3_T4_T5_mT6_T7_P12ihipStream_tbENKUlT_T0_E_clISt17integral_constantIbLb0EESY_EEDaST_SU_EUlST_E_NS1_11comp_targetILNS1_3genE3ELNS1_11target_archE908ELNS1_3gpuE7ELNS1_3repE0EEENS1_30default_config_static_selectorELNS0_4arch9wavefront6targetE0EEEvT1_
	.p2align	8
	.type	_ZN7rocprim17ROCPRIM_400000_NS6detail17trampoline_kernelINS0_14default_configENS1_27scan_by_key_config_selectorIiiEEZZNS1_16scan_by_key_implILNS1_25lookback_scan_determinismE0ELb1ES3_N6thrust23THRUST_200600_302600_NS6detail15normal_iteratorINS9_10device_ptrIiEEEESE_SE_iNS9_4plusIiEE19head_flag_predicateiEE10hipError_tPvRmT2_T3_T4_T5_mT6_T7_P12ihipStream_tbENKUlT_T0_E_clISt17integral_constantIbLb0EESY_EEDaST_SU_EUlST_E_NS1_11comp_targetILNS1_3genE3ELNS1_11target_archE908ELNS1_3gpuE7ELNS1_3repE0EEENS1_30default_config_static_selectorELNS0_4arch9wavefront6targetE0EEEvT1_,@function
_ZN7rocprim17ROCPRIM_400000_NS6detail17trampoline_kernelINS0_14default_configENS1_27scan_by_key_config_selectorIiiEEZZNS1_16scan_by_key_implILNS1_25lookback_scan_determinismE0ELb1ES3_N6thrust23THRUST_200600_302600_NS6detail15normal_iteratorINS9_10device_ptrIiEEEESE_SE_iNS9_4plusIiEE19head_flag_predicateiEE10hipError_tPvRmT2_T3_T4_T5_mT6_T7_P12ihipStream_tbENKUlT_T0_E_clISt17integral_constantIbLb0EESY_EEDaST_SU_EUlST_E_NS1_11comp_targetILNS1_3genE3ELNS1_11target_archE908ELNS1_3gpuE7ELNS1_3repE0EEENS1_30default_config_static_selectorELNS0_4arch9wavefront6targetE0EEEvT1_: ; @_ZN7rocprim17ROCPRIM_400000_NS6detail17trampoline_kernelINS0_14default_configENS1_27scan_by_key_config_selectorIiiEEZZNS1_16scan_by_key_implILNS1_25lookback_scan_determinismE0ELb1ES3_N6thrust23THRUST_200600_302600_NS6detail15normal_iteratorINS9_10device_ptrIiEEEESE_SE_iNS9_4plusIiEE19head_flag_predicateiEE10hipError_tPvRmT2_T3_T4_T5_mT6_T7_P12ihipStream_tbENKUlT_T0_E_clISt17integral_constantIbLb0EESY_EEDaST_SU_EUlST_E_NS1_11comp_targetILNS1_3genE3ELNS1_11target_archE908ELNS1_3gpuE7ELNS1_3repE0EEENS1_30default_config_static_selectorELNS0_4arch9wavefront6targetE0EEEvT1_
; %bb.0:
	.section	.rodata,"a",@progbits
	.p2align	6, 0x0
	.amdhsa_kernel _ZN7rocprim17ROCPRIM_400000_NS6detail17trampoline_kernelINS0_14default_configENS1_27scan_by_key_config_selectorIiiEEZZNS1_16scan_by_key_implILNS1_25lookback_scan_determinismE0ELb1ES3_N6thrust23THRUST_200600_302600_NS6detail15normal_iteratorINS9_10device_ptrIiEEEESE_SE_iNS9_4plusIiEE19head_flag_predicateiEE10hipError_tPvRmT2_T3_T4_T5_mT6_T7_P12ihipStream_tbENKUlT_T0_E_clISt17integral_constantIbLb0EESY_EEDaST_SU_EUlST_E_NS1_11comp_targetILNS1_3genE3ELNS1_11target_archE908ELNS1_3gpuE7ELNS1_3repE0EEENS1_30default_config_static_selectorELNS0_4arch9wavefront6targetE0EEEvT1_
		.amdhsa_group_segment_fixed_size 0
		.amdhsa_private_segment_fixed_size 0
		.amdhsa_kernarg_size 112
		.amdhsa_user_sgpr_count 2
		.amdhsa_user_sgpr_dispatch_ptr 0
		.amdhsa_user_sgpr_queue_ptr 0
		.amdhsa_user_sgpr_kernarg_segment_ptr 1
		.amdhsa_user_sgpr_dispatch_id 0
		.amdhsa_user_sgpr_kernarg_preload_length 0
		.amdhsa_user_sgpr_kernarg_preload_offset 0
		.amdhsa_user_sgpr_private_segment_size 0
		.amdhsa_wavefront_size32 1
		.amdhsa_uses_dynamic_stack 0
		.amdhsa_enable_private_segment 0
		.amdhsa_system_sgpr_workgroup_id_x 1
		.amdhsa_system_sgpr_workgroup_id_y 0
		.amdhsa_system_sgpr_workgroup_id_z 0
		.amdhsa_system_sgpr_workgroup_info 0
		.amdhsa_system_vgpr_workitem_id 0
		.amdhsa_next_free_vgpr 1
		.amdhsa_next_free_sgpr 1
		.amdhsa_named_barrier_count 0
		.amdhsa_reserve_vcc 0
		.amdhsa_float_round_mode_32 0
		.amdhsa_float_round_mode_16_64 0
		.amdhsa_float_denorm_mode_32 3
		.amdhsa_float_denorm_mode_16_64 3
		.amdhsa_fp16_overflow 0
		.amdhsa_memory_ordered 1
		.amdhsa_forward_progress 1
		.amdhsa_inst_pref_size 0
		.amdhsa_round_robin_scheduling 0
		.amdhsa_exception_fp_ieee_invalid_op 0
		.amdhsa_exception_fp_denorm_src 0
		.amdhsa_exception_fp_ieee_div_zero 0
		.amdhsa_exception_fp_ieee_overflow 0
		.amdhsa_exception_fp_ieee_underflow 0
		.amdhsa_exception_fp_ieee_inexact 0
		.amdhsa_exception_int_div_zero 0
	.end_amdhsa_kernel
	.section	.text._ZN7rocprim17ROCPRIM_400000_NS6detail17trampoline_kernelINS0_14default_configENS1_27scan_by_key_config_selectorIiiEEZZNS1_16scan_by_key_implILNS1_25lookback_scan_determinismE0ELb1ES3_N6thrust23THRUST_200600_302600_NS6detail15normal_iteratorINS9_10device_ptrIiEEEESE_SE_iNS9_4plusIiEE19head_flag_predicateiEE10hipError_tPvRmT2_T3_T4_T5_mT6_T7_P12ihipStream_tbENKUlT_T0_E_clISt17integral_constantIbLb0EESY_EEDaST_SU_EUlST_E_NS1_11comp_targetILNS1_3genE3ELNS1_11target_archE908ELNS1_3gpuE7ELNS1_3repE0EEENS1_30default_config_static_selectorELNS0_4arch9wavefront6targetE0EEEvT1_,"axG",@progbits,_ZN7rocprim17ROCPRIM_400000_NS6detail17trampoline_kernelINS0_14default_configENS1_27scan_by_key_config_selectorIiiEEZZNS1_16scan_by_key_implILNS1_25lookback_scan_determinismE0ELb1ES3_N6thrust23THRUST_200600_302600_NS6detail15normal_iteratorINS9_10device_ptrIiEEEESE_SE_iNS9_4plusIiEE19head_flag_predicateiEE10hipError_tPvRmT2_T3_T4_T5_mT6_T7_P12ihipStream_tbENKUlT_T0_E_clISt17integral_constantIbLb0EESY_EEDaST_SU_EUlST_E_NS1_11comp_targetILNS1_3genE3ELNS1_11target_archE908ELNS1_3gpuE7ELNS1_3repE0EEENS1_30default_config_static_selectorELNS0_4arch9wavefront6targetE0EEEvT1_,comdat
.Lfunc_end789:
	.size	_ZN7rocprim17ROCPRIM_400000_NS6detail17trampoline_kernelINS0_14default_configENS1_27scan_by_key_config_selectorIiiEEZZNS1_16scan_by_key_implILNS1_25lookback_scan_determinismE0ELb1ES3_N6thrust23THRUST_200600_302600_NS6detail15normal_iteratorINS9_10device_ptrIiEEEESE_SE_iNS9_4plusIiEE19head_flag_predicateiEE10hipError_tPvRmT2_T3_T4_T5_mT6_T7_P12ihipStream_tbENKUlT_T0_E_clISt17integral_constantIbLb0EESY_EEDaST_SU_EUlST_E_NS1_11comp_targetILNS1_3genE3ELNS1_11target_archE908ELNS1_3gpuE7ELNS1_3repE0EEENS1_30default_config_static_selectorELNS0_4arch9wavefront6targetE0EEEvT1_, .Lfunc_end789-_ZN7rocprim17ROCPRIM_400000_NS6detail17trampoline_kernelINS0_14default_configENS1_27scan_by_key_config_selectorIiiEEZZNS1_16scan_by_key_implILNS1_25lookback_scan_determinismE0ELb1ES3_N6thrust23THRUST_200600_302600_NS6detail15normal_iteratorINS9_10device_ptrIiEEEESE_SE_iNS9_4plusIiEE19head_flag_predicateiEE10hipError_tPvRmT2_T3_T4_T5_mT6_T7_P12ihipStream_tbENKUlT_T0_E_clISt17integral_constantIbLb0EESY_EEDaST_SU_EUlST_E_NS1_11comp_targetILNS1_3genE3ELNS1_11target_archE908ELNS1_3gpuE7ELNS1_3repE0EEENS1_30default_config_static_selectorELNS0_4arch9wavefront6targetE0EEEvT1_
                                        ; -- End function
	.set _ZN7rocprim17ROCPRIM_400000_NS6detail17trampoline_kernelINS0_14default_configENS1_27scan_by_key_config_selectorIiiEEZZNS1_16scan_by_key_implILNS1_25lookback_scan_determinismE0ELb1ES3_N6thrust23THRUST_200600_302600_NS6detail15normal_iteratorINS9_10device_ptrIiEEEESE_SE_iNS9_4plusIiEE19head_flag_predicateiEE10hipError_tPvRmT2_T3_T4_T5_mT6_T7_P12ihipStream_tbENKUlT_T0_E_clISt17integral_constantIbLb0EESY_EEDaST_SU_EUlST_E_NS1_11comp_targetILNS1_3genE3ELNS1_11target_archE908ELNS1_3gpuE7ELNS1_3repE0EEENS1_30default_config_static_selectorELNS0_4arch9wavefront6targetE0EEEvT1_.num_vgpr, 0
	.set _ZN7rocprim17ROCPRIM_400000_NS6detail17trampoline_kernelINS0_14default_configENS1_27scan_by_key_config_selectorIiiEEZZNS1_16scan_by_key_implILNS1_25lookback_scan_determinismE0ELb1ES3_N6thrust23THRUST_200600_302600_NS6detail15normal_iteratorINS9_10device_ptrIiEEEESE_SE_iNS9_4plusIiEE19head_flag_predicateiEE10hipError_tPvRmT2_T3_T4_T5_mT6_T7_P12ihipStream_tbENKUlT_T0_E_clISt17integral_constantIbLb0EESY_EEDaST_SU_EUlST_E_NS1_11comp_targetILNS1_3genE3ELNS1_11target_archE908ELNS1_3gpuE7ELNS1_3repE0EEENS1_30default_config_static_selectorELNS0_4arch9wavefront6targetE0EEEvT1_.num_agpr, 0
	.set _ZN7rocprim17ROCPRIM_400000_NS6detail17trampoline_kernelINS0_14default_configENS1_27scan_by_key_config_selectorIiiEEZZNS1_16scan_by_key_implILNS1_25lookback_scan_determinismE0ELb1ES3_N6thrust23THRUST_200600_302600_NS6detail15normal_iteratorINS9_10device_ptrIiEEEESE_SE_iNS9_4plusIiEE19head_flag_predicateiEE10hipError_tPvRmT2_T3_T4_T5_mT6_T7_P12ihipStream_tbENKUlT_T0_E_clISt17integral_constantIbLb0EESY_EEDaST_SU_EUlST_E_NS1_11comp_targetILNS1_3genE3ELNS1_11target_archE908ELNS1_3gpuE7ELNS1_3repE0EEENS1_30default_config_static_selectorELNS0_4arch9wavefront6targetE0EEEvT1_.numbered_sgpr, 0
	.set _ZN7rocprim17ROCPRIM_400000_NS6detail17trampoline_kernelINS0_14default_configENS1_27scan_by_key_config_selectorIiiEEZZNS1_16scan_by_key_implILNS1_25lookback_scan_determinismE0ELb1ES3_N6thrust23THRUST_200600_302600_NS6detail15normal_iteratorINS9_10device_ptrIiEEEESE_SE_iNS9_4plusIiEE19head_flag_predicateiEE10hipError_tPvRmT2_T3_T4_T5_mT6_T7_P12ihipStream_tbENKUlT_T0_E_clISt17integral_constantIbLb0EESY_EEDaST_SU_EUlST_E_NS1_11comp_targetILNS1_3genE3ELNS1_11target_archE908ELNS1_3gpuE7ELNS1_3repE0EEENS1_30default_config_static_selectorELNS0_4arch9wavefront6targetE0EEEvT1_.num_named_barrier, 0
	.set _ZN7rocprim17ROCPRIM_400000_NS6detail17trampoline_kernelINS0_14default_configENS1_27scan_by_key_config_selectorIiiEEZZNS1_16scan_by_key_implILNS1_25lookback_scan_determinismE0ELb1ES3_N6thrust23THRUST_200600_302600_NS6detail15normal_iteratorINS9_10device_ptrIiEEEESE_SE_iNS9_4plusIiEE19head_flag_predicateiEE10hipError_tPvRmT2_T3_T4_T5_mT6_T7_P12ihipStream_tbENKUlT_T0_E_clISt17integral_constantIbLb0EESY_EEDaST_SU_EUlST_E_NS1_11comp_targetILNS1_3genE3ELNS1_11target_archE908ELNS1_3gpuE7ELNS1_3repE0EEENS1_30default_config_static_selectorELNS0_4arch9wavefront6targetE0EEEvT1_.private_seg_size, 0
	.set _ZN7rocprim17ROCPRIM_400000_NS6detail17trampoline_kernelINS0_14default_configENS1_27scan_by_key_config_selectorIiiEEZZNS1_16scan_by_key_implILNS1_25lookback_scan_determinismE0ELb1ES3_N6thrust23THRUST_200600_302600_NS6detail15normal_iteratorINS9_10device_ptrIiEEEESE_SE_iNS9_4plusIiEE19head_flag_predicateiEE10hipError_tPvRmT2_T3_T4_T5_mT6_T7_P12ihipStream_tbENKUlT_T0_E_clISt17integral_constantIbLb0EESY_EEDaST_SU_EUlST_E_NS1_11comp_targetILNS1_3genE3ELNS1_11target_archE908ELNS1_3gpuE7ELNS1_3repE0EEENS1_30default_config_static_selectorELNS0_4arch9wavefront6targetE0EEEvT1_.uses_vcc, 0
	.set _ZN7rocprim17ROCPRIM_400000_NS6detail17trampoline_kernelINS0_14default_configENS1_27scan_by_key_config_selectorIiiEEZZNS1_16scan_by_key_implILNS1_25lookback_scan_determinismE0ELb1ES3_N6thrust23THRUST_200600_302600_NS6detail15normal_iteratorINS9_10device_ptrIiEEEESE_SE_iNS9_4plusIiEE19head_flag_predicateiEE10hipError_tPvRmT2_T3_T4_T5_mT6_T7_P12ihipStream_tbENKUlT_T0_E_clISt17integral_constantIbLb0EESY_EEDaST_SU_EUlST_E_NS1_11comp_targetILNS1_3genE3ELNS1_11target_archE908ELNS1_3gpuE7ELNS1_3repE0EEENS1_30default_config_static_selectorELNS0_4arch9wavefront6targetE0EEEvT1_.uses_flat_scratch, 0
	.set _ZN7rocprim17ROCPRIM_400000_NS6detail17trampoline_kernelINS0_14default_configENS1_27scan_by_key_config_selectorIiiEEZZNS1_16scan_by_key_implILNS1_25lookback_scan_determinismE0ELb1ES3_N6thrust23THRUST_200600_302600_NS6detail15normal_iteratorINS9_10device_ptrIiEEEESE_SE_iNS9_4plusIiEE19head_flag_predicateiEE10hipError_tPvRmT2_T3_T4_T5_mT6_T7_P12ihipStream_tbENKUlT_T0_E_clISt17integral_constantIbLb0EESY_EEDaST_SU_EUlST_E_NS1_11comp_targetILNS1_3genE3ELNS1_11target_archE908ELNS1_3gpuE7ELNS1_3repE0EEENS1_30default_config_static_selectorELNS0_4arch9wavefront6targetE0EEEvT1_.has_dyn_sized_stack, 0
	.set _ZN7rocprim17ROCPRIM_400000_NS6detail17trampoline_kernelINS0_14default_configENS1_27scan_by_key_config_selectorIiiEEZZNS1_16scan_by_key_implILNS1_25lookback_scan_determinismE0ELb1ES3_N6thrust23THRUST_200600_302600_NS6detail15normal_iteratorINS9_10device_ptrIiEEEESE_SE_iNS9_4plusIiEE19head_flag_predicateiEE10hipError_tPvRmT2_T3_T4_T5_mT6_T7_P12ihipStream_tbENKUlT_T0_E_clISt17integral_constantIbLb0EESY_EEDaST_SU_EUlST_E_NS1_11comp_targetILNS1_3genE3ELNS1_11target_archE908ELNS1_3gpuE7ELNS1_3repE0EEENS1_30default_config_static_selectorELNS0_4arch9wavefront6targetE0EEEvT1_.has_recursion, 0
	.set _ZN7rocprim17ROCPRIM_400000_NS6detail17trampoline_kernelINS0_14default_configENS1_27scan_by_key_config_selectorIiiEEZZNS1_16scan_by_key_implILNS1_25lookback_scan_determinismE0ELb1ES3_N6thrust23THRUST_200600_302600_NS6detail15normal_iteratorINS9_10device_ptrIiEEEESE_SE_iNS9_4plusIiEE19head_flag_predicateiEE10hipError_tPvRmT2_T3_T4_T5_mT6_T7_P12ihipStream_tbENKUlT_T0_E_clISt17integral_constantIbLb0EESY_EEDaST_SU_EUlST_E_NS1_11comp_targetILNS1_3genE3ELNS1_11target_archE908ELNS1_3gpuE7ELNS1_3repE0EEENS1_30default_config_static_selectorELNS0_4arch9wavefront6targetE0EEEvT1_.has_indirect_call, 0
	.section	.AMDGPU.csdata,"",@progbits
; Kernel info:
; codeLenInByte = 0
; TotalNumSgprs: 0
; NumVgprs: 0
; ScratchSize: 0
; MemoryBound: 0
; FloatMode: 240
; IeeeMode: 1
; LDSByteSize: 0 bytes/workgroup (compile time only)
; SGPRBlocks: 0
; VGPRBlocks: 0
; NumSGPRsForWavesPerEU: 1
; NumVGPRsForWavesPerEU: 1
; NamedBarCnt: 0
; Occupancy: 16
; WaveLimiterHint : 0
; COMPUTE_PGM_RSRC2:SCRATCH_EN: 0
; COMPUTE_PGM_RSRC2:USER_SGPR: 2
; COMPUTE_PGM_RSRC2:TRAP_HANDLER: 0
; COMPUTE_PGM_RSRC2:TGID_X_EN: 1
; COMPUTE_PGM_RSRC2:TGID_Y_EN: 0
; COMPUTE_PGM_RSRC2:TGID_Z_EN: 0
; COMPUTE_PGM_RSRC2:TIDIG_COMP_CNT: 0
	.section	.text._ZN7rocprim17ROCPRIM_400000_NS6detail17trampoline_kernelINS0_14default_configENS1_27scan_by_key_config_selectorIiiEEZZNS1_16scan_by_key_implILNS1_25lookback_scan_determinismE0ELb1ES3_N6thrust23THRUST_200600_302600_NS6detail15normal_iteratorINS9_10device_ptrIiEEEESE_SE_iNS9_4plusIiEE19head_flag_predicateiEE10hipError_tPvRmT2_T3_T4_T5_mT6_T7_P12ihipStream_tbENKUlT_T0_E_clISt17integral_constantIbLb0EESY_EEDaST_SU_EUlST_E_NS1_11comp_targetILNS1_3genE2ELNS1_11target_archE906ELNS1_3gpuE6ELNS1_3repE0EEENS1_30default_config_static_selectorELNS0_4arch9wavefront6targetE0EEEvT1_,"axG",@progbits,_ZN7rocprim17ROCPRIM_400000_NS6detail17trampoline_kernelINS0_14default_configENS1_27scan_by_key_config_selectorIiiEEZZNS1_16scan_by_key_implILNS1_25lookback_scan_determinismE0ELb1ES3_N6thrust23THRUST_200600_302600_NS6detail15normal_iteratorINS9_10device_ptrIiEEEESE_SE_iNS9_4plusIiEE19head_flag_predicateiEE10hipError_tPvRmT2_T3_T4_T5_mT6_T7_P12ihipStream_tbENKUlT_T0_E_clISt17integral_constantIbLb0EESY_EEDaST_SU_EUlST_E_NS1_11comp_targetILNS1_3genE2ELNS1_11target_archE906ELNS1_3gpuE6ELNS1_3repE0EEENS1_30default_config_static_selectorELNS0_4arch9wavefront6targetE0EEEvT1_,comdat
	.protected	_ZN7rocprim17ROCPRIM_400000_NS6detail17trampoline_kernelINS0_14default_configENS1_27scan_by_key_config_selectorIiiEEZZNS1_16scan_by_key_implILNS1_25lookback_scan_determinismE0ELb1ES3_N6thrust23THRUST_200600_302600_NS6detail15normal_iteratorINS9_10device_ptrIiEEEESE_SE_iNS9_4plusIiEE19head_flag_predicateiEE10hipError_tPvRmT2_T3_T4_T5_mT6_T7_P12ihipStream_tbENKUlT_T0_E_clISt17integral_constantIbLb0EESY_EEDaST_SU_EUlST_E_NS1_11comp_targetILNS1_3genE2ELNS1_11target_archE906ELNS1_3gpuE6ELNS1_3repE0EEENS1_30default_config_static_selectorELNS0_4arch9wavefront6targetE0EEEvT1_ ; -- Begin function _ZN7rocprim17ROCPRIM_400000_NS6detail17trampoline_kernelINS0_14default_configENS1_27scan_by_key_config_selectorIiiEEZZNS1_16scan_by_key_implILNS1_25lookback_scan_determinismE0ELb1ES3_N6thrust23THRUST_200600_302600_NS6detail15normal_iteratorINS9_10device_ptrIiEEEESE_SE_iNS9_4plusIiEE19head_flag_predicateiEE10hipError_tPvRmT2_T3_T4_T5_mT6_T7_P12ihipStream_tbENKUlT_T0_E_clISt17integral_constantIbLb0EESY_EEDaST_SU_EUlST_E_NS1_11comp_targetILNS1_3genE2ELNS1_11target_archE906ELNS1_3gpuE6ELNS1_3repE0EEENS1_30default_config_static_selectorELNS0_4arch9wavefront6targetE0EEEvT1_
	.globl	_ZN7rocprim17ROCPRIM_400000_NS6detail17trampoline_kernelINS0_14default_configENS1_27scan_by_key_config_selectorIiiEEZZNS1_16scan_by_key_implILNS1_25lookback_scan_determinismE0ELb1ES3_N6thrust23THRUST_200600_302600_NS6detail15normal_iteratorINS9_10device_ptrIiEEEESE_SE_iNS9_4plusIiEE19head_flag_predicateiEE10hipError_tPvRmT2_T3_T4_T5_mT6_T7_P12ihipStream_tbENKUlT_T0_E_clISt17integral_constantIbLb0EESY_EEDaST_SU_EUlST_E_NS1_11comp_targetILNS1_3genE2ELNS1_11target_archE906ELNS1_3gpuE6ELNS1_3repE0EEENS1_30default_config_static_selectorELNS0_4arch9wavefront6targetE0EEEvT1_
	.p2align	8
	.type	_ZN7rocprim17ROCPRIM_400000_NS6detail17trampoline_kernelINS0_14default_configENS1_27scan_by_key_config_selectorIiiEEZZNS1_16scan_by_key_implILNS1_25lookback_scan_determinismE0ELb1ES3_N6thrust23THRUST_200600_302600_NS6detail15normal_iteratorINS9_10device_ptrIiEEEESE_SE_iNS9_4plusIiEE19head_flag_predicateiEE10hipError_tPvRmT2_T3_T4_T5_mT6_T7_P12ihipStream_tbENKUlT_T0_E_clISt17integral_constantIbLb0EESY_EEDaST_SU_EUlST_E_NS1_11comp_targetILNS1_3genE2ELNS1_11target_archE906ELNS1_3gpuE6ELNS1_3repE0EEENS1_30default_config_static_selectorELNS0_4arch9wavefront6targetE0EEEvT1_,@function
_ZN7rocprim17ROCPRIM_400000_NS6detail17trampoline_kernelINS0_14default_configENS1_27scan_by_key_config_selectorIiiEEZZNS1_16scan_by_key_implILNS1_25lookback_scan_determinismE0ELb1ES3_N6thrust23THRUST_200600_302600_NS6detail15normal_iteratorINS9_10device_ptrIiEEEESE_SE_iNS9_4plusIiEE19head_flag_predicateiEE10hipError_tPvRmT2_T3_T4_T5_mT6_T7_P12ihipStream_tbENKUlT_T0_E_clISt17integral_constantIbLb0EESY_EEDaST_SU_EUlST_E_NS1_11comp_targetILNS1_3genE2ELNS1_11target_archE906ELNS1_3gpuE6ELNS1_3repE0EEENS1_30default_config_static_selectorELNS0_4arch9wavefront6targetE0EEEvT1_: ; @_ZN7rocprim17ROCPRIM_400000_NS6detail17trampoline_kernelINS0_14default_configENS1_27scan_by_key_config_selectorIiiEEZZNS1_16scan_by_key_implILNS1_25lookback_scan_determinismE0ELb1ES3_N6thrust23THRUST_200600_302600_NS6detail15normal_iteratorINS9_10device_ptrIiEEEESE_SE_iNS9_4plusIiEE19head_flag_predicateiEE10hipError_tPvRmT2_T3_T4_T5_mT6_T7_P12ihipStream_tbENKUlT_T0_E_clISt17integral_constantIbLb0EESY_EEDaST_SU_EUlST_E_NS1_11comp_targetILNS1_3genE2ELNS1_11target_archE906ELNS1_3gpuE6ELNS1_3repE0EEENS1_30default_config_static_selectorELNS0_4arch9wavefront6targetE0EEEvT1_
; %bb.0:
	.section	.rodata,"a",@progbits
	.p2align	6, 0x0
	.amdhsa_kernel _ZN7rocprim17ROCPRIM_400000_NS6detail17trampoline_kernelINS0_14default_configENS1_27scan_by_key_config_selectorIiiEEZZNS1_16scan_by_key_implILNS1_25lookback_scan_determinismE0ELb1ES3_N6thrust23THRUST_200600_302600_NS6detail15normal_iteratorINS9_10device_ptrIiEEEESE_SE_iNS9_4plusIiEE19head_flag_predicateiEE10hipError_tPvRmT2_T3_T4_T5_mT6_T7_P12ihipStream_tbENKUlT_T0_E_clISt17integral_constantIbLb0EESY_EEDaST_SU_EUlST_E_NS1_11comp_targetILNS1_3genE2ELNS1_11target_archE906ELNS1_3gpuE6ELNS1_3repE0EEENS1_30default_config_static_selectorELNS0_4arch9wavefront6targetE0EEEvT1_
		.amdhsa_group_segment_fixed_size 0
		.amdhsa_private_segment_fixed_size 0
		.amdhsa_kernarg_size 112
		.amdhsa_user_sgpr_count 2
		.amdhsa_user_sgpr_dispatch_ptr 0
		.amdhsa_user_sgpr_queue_ptr 0
		.amdhsa_user_sgpr_kernarg_segment_ptr 1
		.amdhsa_user_sgpr_dispatch_id 0
		.amdhsa_user_sgpr_kernarg_preload_length 0
		.amdhsa_user_sgpr_kernarg_preload_offset 0
		.amdhsa_user_sgpr_private_segment_size 0
		.amdhsa_wavefront_size32 1
		.amdhsa_uses_dynamic_stack 0
		.amdhsa_enable_private_segment 0
		.amdhsa_system_sgpr_workgroup_id_x 1
		.amdhsa_system_sgpr_workgroup_id_y 0
		.amdhsa_system_sgpr_workgroup_id_z 0
		.amdhsa_system_sgpr_workgroup_info 0
		.amdhsa_system_vgpr_workitem_id 0
		.amdhsa_next_free_vgpr 1
		.amdhsa_next_free_sgpr 1
		.amdhsa_named_barrier_count 0
		.amdhsa_reserve_vcc 0
		.amdhsa_float_round_mode_32 0
		.amdhsa_float_round_mode_16_64 0
		.amdhsa_float_denorm_mode_32 3
		.amdhsa_float_denorm_mode_16_64 3
		.amdhsa_fp16_overflow 0
		.amdhsa_memory_ordered 1
		.amdhsa_forward_progress 1
		.amdhsa_inst_pref_size 0
		.amdhsa_round_robin_scheduling 0
		.amdhsa_exception_fp_ieee_invalid_op 0
		.amdhsa_exception_fp_denorm_src 0
		.amdhsa_exception_fp_ieee_div_zero 0
		.amdhsa_exception_fp_ieee_overflow 0
		.amdhsa_exception_fp_ieee_underflow 0
		.amdhsa_exception_fp_ieee_inexact 0
		.amdhsa_exception_int_div_zero 0
	.end_amdhsa_kernel
	.section	.text._ZN7rocprim17ROCPRIM_400000_NS6detail17trampoline_kernelINS0_14default_configENS1_27scan_by_key_config_selectorIiiEEZZNS1_16scan_by_key_implILNS1_25lookback_scan_determinismE0ELb1ES3_N6thrust23THRUST_200600_302600_NS6detail15normal_iteratorINS9_10device_ptrIiEEEESE_SE_iNS9_4plusIiEE19head_flag_predicateiEE10hipError_tPvRmT2_T3_T4_T5_mT6_T7_P12ihipStream_tbENKUlT_T0_E_clISt17integral_constantIbLb0EESY_EEDaST_SU_EUlST_E_NS1_11comp_targetILNS1_3genE2ELNS1_11target_archE906ELNS1_3gpuE6ELNS1_3repE0EEENS1_30default_config_static_selectorELNS0_4arch9wavefront6targetE0EEEvT1_,"axG",@progbits,_ZN7rocprim17ROCPRIM_400000_NS6detail17trampoline_kernelINS0_14default_configENS1_27scan_by_key_config_selectorIiiEEZZNS1_16scan_by_key_implILNS1_25lookback_scan_determinismE0ELb1ES3_N6thrust23THRUST_200600_302600_NS6detail15normal_iteratorINS9_10device_ptrIiEEEESE_SE_iNS9_4plusIiEE19head_flag_predicateiEE10hipError_tPvRmT2_T3_T4_T5_mT6_T7_P12ihipStream_tbENKUlT_T0_E_clISt17integral_constantIbLb0EESY_EEDaST_SU_EUlST_E_NS1_11comp_targetILNS1_3genE2ELNS1_11target_archE906ELNS1_3gpuE6ELNS1_3repE0EEENS1_30default_config_static_selectorELNS0_4arch9wavefront6targetE0EEEvT1_,comdat
.Lfunc_end790:
	.size	_ZN7rocprim17ROCPRIM_400000_NS6detail17trampoline_kernelINS0_14default_configENS1_27scan_by_key_config_selectorIiiEEZZNS1_16scan_by_key_implILNS1_25lookback_scan_determinismE0ELb1ES3_N6thrust23THRUST_200600_302600_NS6detail15normal_iteratorINS9_10device_ptrIiEEEESE_SE_iNS9_4plusIiEE19head_flag_predicateiEE10hipError_tPvRmT2_T3_T4_T5_mT6_T7_P12ihipStream_tbENKUlT_T0_E_clISt17integral_constantIbLb0EESY_EEDaST_SU_EUlST_E_NS1_11comp_targetILNS1_3genE2ELNS1_11target_archE906ELNS1_3gpuE6ELNS1_3repE0EEENS1_30default_config_static_selectorELNS0_4arch9wavefront6targetE0EEEvT1_, .Lfunc_end790-_ZN7rocprim17ROCPRIM_400000_NS6detail17trampoline_kernelINS0_14default_configENS1_27scan_by_key_config_selectorIiiEEZZNS1_16scan_by_key_implILNS1_25lookback_scan_determinismE0ELb1ES3_N6thrust23THRUST_200600_302600_NS6detail15normal_iteratorINS9_10device_ptrIiEEEESE_SE_iNS9_4plusIiEE19head_flag_predicateiEE10hipError_tPvRmT2_T3_T4_T5_mT6_T7_P12ihipStream_tbENKUlT_T0_E_clISt17integral_constantIbLb0EESY_EEDaST_SU_EUlST_E_NS1_11comp_targetILNS1_3genE2ELNS1_11target_archE906ELNS1_3gpuE6ELNS1_3repE0EEENS1_30default_config_static_selectorELNS0_4arch9wavefront6targetE0EEEvT1_
                                        ; -- End function
	.set _ZN7rocprim17ROCPRIM_400000_NS6detail17trampoline_kernelINS0_14default_configENS1_27scan_by_key_config_selectorIiiEEZZNS1_16scan_by_key_implILNS1_25lookback_scan_determinismE0ELb1ES3_N6thrust23THRUST_200600_302600_NS6detail15normal_iteratorINS9_10device_ptrIiEEEESE_SE_iNS9_4plusIiEE19head_flag_predicateiEE10hipError_tPvRmT2_T3_T4_T5_mT6_T7_P12ihipStream_tbENKUlT_T0_E_clISt17integral_constantIbLb0EESY_EEDaST_SU_EUlST_E_NS1_11comp_targetILNS1_3genE2ELNS1_11target_archE906ELNS1_3gpuE6ELNS1_3repE0EEENS1_30default_config_static_selectorELNS0_4arch9wavefront6targetE0EEEvT1_.num_vgpr, 0
	.set _ZN7rocprim17ROCPRIM_400000_NS6detail17trampoline_kernelINS0_14default_configENS1_27scan_by_key_config_selectorIiiEEZZNS1_16scan_by_key_implILNS1_25lookback_scan_determinismE0ELb1ES3_N6thrust23THRUST_200600_302600_NS6detail15normal_iteratorINS9_10device_ptrIiEEEESE_SE_iNS9_4plusIiEE19head_flag_predicateiEE10hipError_tPvRmT2_T3_T4_T5_mT6_T7_P12ihipStream_tbENKUlT_T0_E_clISt17integral_constantIbLb0EESY_EEDaST_SU_EUlST_E_NS1_11comp_targetILNS1_3genE2ELNS1_11target_archE906ELNS1_3gpuE6ELNS1_3repE0EEENS1_30default_config_static_selectorELNS0_4arch9wavefront6targetE0EEEvT1_.num_agpr, 0
	.set _ZN7rocprim17ROCPRIM_400000_NS6detail17trampoline_kernelINS0_14default_configENS1_27scan_by_key_config_selectorIiiEEZZNS1_16scan_by_key_implILNS1_25lookback_scan_determinismE0ELb1ES3_N6thrust23THRUST_200600_302600_NS6detail15normal_iteratorINS9_10device_ptrIiEEEESE_SE_iNS9_4plusIiEE19head_flag_predicateiEE10hipError_tPvRmT2_T3_T4_T5_mT6_T7_P12ihipStream_tbENKUlT_T0_E_clISt17integral_constantIbLb0EESY_EEDaST_SU_EUlST_E_NS1_11comp_targetILNS1_3genE2ELNS1_11target_archE906ELNS1_3gpuE6ELNS1_3repE0EEENS1_30default_config_static_selectorELNS0_4arch9wavefront6targetE0EEEvT1_.numbered_sgpr, 0
	.set _ZN7rocprim17ROCPRIM_400000_NS6detail17trampoline_kernelINS0_14default_configENS1_27scan_by_key_config_selectorIiiEEZZNS1_16scan_by_key_implILNS1_25lookback_scan_determinismE0ELb1ES3_N6thrust23THRUST_200600_302600_NS6detail15normal_iteratorINS9_10device_ptrIiEEEESE_SE_iNS9_4plusIiEE19head_flag_predicateiEE10hipError_tPvRmT2_T3_T4_T5_mT6_T7_P12ihipStream_tbENKUlT_T0_E_clISt17integral_constantIbLb0EESY_EEDaST_SU_EUlST_E_NS1_11comp_targetILNS1_3genE2ELNS1_11target_archE906ELNS1_3gpuE6ELNS1_3repE0EEENS1_30default_config_static_selectorELNS0_4arch9wavefront6targetE0EEEvT1_.num_named_barrier, 0
	.set _ZN7rocprim17ROCPRIM_400000_NS6detail17trampoline_kernelINS0_14default_configENS1_27scan_by_key_config_selectorIiiEEZZNS1_16scan_by_key_implILNS1_25lookback_scan_determinismE0ELb1ES3_N6thrust23THRUST_200600_302600_NS6detail15normal_iteratorINS9_10device_ptrIiEEEESE_SE_iNS9_4plusIiEE19head_flag_predicateiEE10hipError_tPvRmT2_T3_T4_T5_mT6_T7_P12ihipStream_tbENKUlT_T0_E_clISt17integral_constantIbLb0EESY_EEDaST_SU_EUlST_E_NS1_11comp_targetILNS1_3genE2ELNS1_11target_archE906ELNS1_3gpuE6ELNS1_3repE0EEENS1_30default_config_static_selectorELNS0_4arch9wavefront6targetE0EEEvT1_.private_seg_size, 0
	.set _ZN7rocprim17ROCPRIM_400000_NS6detail17trampoline_kernelINS0_14default_configENS1_27scan_by_key_config_selectorIiiEEZZNS1_16scan_by_key_implILNS1_25lookback_scan_determinismE0ELb1ES3_N6thrust23THRUST_200600_302600_NS6detail15normal_iteratorINS9_10device_ptrIiEEEESE_SE_iNS9_4plusIiEE19head_flag_predicateiEE10hipError_tPvRmT2_T3_T4_T5_mT6_T7_P12ihipStream_tbENKUlT_T0_E_clISt17integral_constantIbLb0EESY_EEDaST_SU_EUlST_E_NS1_11comp_targetILNS1_3genE2ELNS1_11target_archE906ELNS1_3gpuE6ELNS1_3repE0EEENS1_30default_config_static_selectorELNS0_4arch9wavefront6targetE0EEEvT1_.uses_vcc, 0
	.set _ZN7rocprim17ROCPRIM_400000_NS6detail17trampoline_kernelINS0_14default_configENS1_27scan_by_key_config_selectorIiiEEZZNS1_16scan_by_key_implILNS1_25lookback_scan_determinismE0ELb1ES3_N6thrust23THRUST_200600_302600_NS6detail15normal_iteratorINS9_10device_ptrIiEEEESE_SE_iNS9_4plusIiEE19head_flag_predicateiEE10hipError_tPvRmT2_T3_T4_T5_mT6_T7_P12ihipStream_tbENKUlT_T0_E_clISt17integral_constantIbLb0EESY_EEDaST_SU_EUlST_E_NS1_11comp_targetILNS1_3genE2ELNS1_11target_archE906ELNS1_3gpuE6ELNS1_3repE0EEENS1_30default_config_static_selectorELNS0_4arch9wavefront6targetE0EEEvT1_.uses_flat_scratch, 0
	.set _ZN7rocprim17ROCPRIM_400000_NS6detail17trampoline_kernelINS0_14default_configENS1_27scan_by_key_config_selectorIiiEEZZNS1_16scan_by_key_implILNS1_25lookback_scan_determinismE0ELb1ES3_N6thrust23THRUST_200600_302600_NS6detail15normal_iteratorINS9_10device_ptrIiEEEESE_SE_iNS9_4plusIiEE19head_flag_predicateiEE10hipError_tPvRmT2_T3_T4_T5_mT6_T7_P12ihipStream_tbENKUlT_T0_E_clISt17integral_constantIbLb0EESY_EEDaST_SU_EUlST_E_NS1_11comp_targetILNS1_3genE2ELNS1_11target_archE906ELNS1_3gpuE6ELNS1_3repE0EEENS1_30default_config_static_selectorELNS0_4arch9wavefront6targetE0EEEvT1_.has_dyn_sized_stack, 0
	.set _ZN7rocprim17ROCPRIM_400000_NS6detail17trampoline_kernelINS0_14default_configENS1_27scan_by_key_config_selectorIiiEEZZNS1_16scan_by_key_implILNS1_25lookback_scan_determinismE0ELb1ES3_N6thrust23THRUST_200600_302600_NS6detail15normal_iteratorINS9_10device_ptrIiEEEESE_SE_iNS9_4plusIiEE19head_flag_predicateiEE10hipError_tPvRmT2_T3_T4_T5_mT6_T7_P12ihipStream_tbENKUlT_T0_E_clISt17integral_constantIbLb0EESY_EEDaST_SU_EUlST_E_NS1_11comp_targetILNS1_3genE2ELNS1_11target_archE906ELNS1_3gpuE6ELNS1_3repE0EEENS1_30default_config_static_selectorELNS0_4arch9wavefront6targetE0EEEvT1_.has_recursion, 0
	.set _ZN7rocprim17ROCPRIM_400000_NS6detail17trampoline_kernelINS0_14default_configENS1_27scan_by_key_config_selectorIiiEEZZNS1_16scan_by_key_implILNS1_25lookback_scan_determinismE0ELb1ES3_N6thrust23THRUST_200600_302600_NS6detail15normal_iteratorINS9_10device_ptrIiEEEESE_SE_iNS9_4plusIiEE19head_flag_predicateiEE10hipError_tPvRmT2_T3_T4_T5_mT6_T7_P12ihipStream_tbENKUlT_T0_E_clISt17integral_constantIbLb0EESY_EEDaST_SU_EUlST_E_NS1_11comp_targetILNS1_3genE2ELNS1_11target_archE906ELNS1_3gpuE6ELNS1_3repE0EEENS1_30default_config_static_selectorELNS0_4arch9wavefront6targetE0EEEvT1_.has_indirect_call, 0
	.section	.AMDGPU.csdata,"",@progbits
; Kernel info:
; codeLenInByte = 0
; TotalNumSgprs: 0
; NumVgprs: 0
; ScratchSize: 0
; MemoryBound: 0
; FloatMode: 240
; IeeeMode: 1
; LDSByteSize: 0 bytes/workgroup (compile time only)
; SGPRBlocks: 0
; VGPRBlocks: 0
; NumSGPRsForWavesPerEU: 1
; NumVGPRsForWavesPerEU: 1
; NamedBarCnt: 0
; Occupancy: 16
; WaveLimiterHint : 0
; COMPUTE_PGM_RSRC2:SCRATCH_EN: 0
; COMPUTE_PGM_RSRC2:USER_SGPR: 2
; COMPUTE_PGM_RSRC2:TRAP_HANDLER: 0
; COMPUTE_PGM_RSRC2:TGID_X_EN: 1
; COMPUTE_PGM_RSRC2:TGID_Y_EN: 0
; COMPUTE_PGM_RSRC2:TGID_Z_EN: 0
; COMPUTE_PGM_RSRC2:TIDIG_COMP_CNT: 0
	.section	.text._ZN7rocprim17ROCPRIM_400000_NS6detail17trampoline_kernelINS0_14default_configENS1_27scan_by_key_config_selectorIiiEEZZNS1_16scan_by_key_implILNS1_25lookback_scan_determinismE0ELb1ES3_N6thrust23THRUST_200600_302600_NS6detail15normal_iteratorINS9_10device_ptrIiEEEESE_SE_iNS9_4plusIiEE19head_flag_predicateiEE10hipError_tPvRmT2_T3_T4_T5_mT6_T7_P12ihipStream_tbENKUlT_T0_E_clISt17integral_constantIbLb0EESY_EEDaST_SU_EUlST_E_NS1_11comp_targetILNS1_3genE10ELNS1_11target_archE1200ELNS1_3gpuE4ELNS1_3repE0EEENS1_30default_config_static_selectorELNS0_4arch9wavefront6targetE0EEEvT1_,"axG",@progbits,_ZN7rocprim17ROCPRIM_400000_NS6detail17trampoline_kernelINS0_14default_configENS1_27scan_by_key_config_selectorIiiEEZZNS1_16scan_by_key_implILNS1_25lookback_scan_determinismE0ELb1ES3_N6thrust23THRUST_200600_302600_NS6detail15normal_iteratorINS9_10device_ptrIiEEEESE_SE_iNS9_4plusIiEE19head_flag_predicateiEE10hipError_tPvRmT2_T3_T4_T5_mT6_T7_P12ihipStream_tbENKUlT_T0_E_clISt17integral_constantIbLb0EESY_EEDaST_SU_EUlST_E_NS1_11comp_targetILNS1_3genE10ELNS1_11target_archE1200ELNS1_3gpuE4ELNS1_3repE0EEENS1_30default_config_static_selectorELNS0_4arch9wavefront6targetE0EEEvT1_,comdat
	.protected	_ZN7rocprim17ROCPRIM_400000_NS6detail17trampoline_kernelINS0_14default_configENS1_27scan_by_key_config_selectorIiiEEZZNS1_16scan_by_key_implILNS1_25lookback_scan_determinismE0ELb1ES3_N6thrust23THRUST_200600_302600_NS6detail15normal_iteratorINS9_10device_ptrIiEEEESE_SE_iNS9_4plusIiEE19head_flag_predicateiEE10hipError_tPvRmT2_T3_T4_T5_mT6_T7_P12ihipStream_tbENKUlT_T0_E_clISt17integral_constantIbLb0EESY_EEDaST_SU_EUlST_E_NS1_11comp_targetILNS1_3genE10ELNS1_11target_archE1200ELNS1_3gpuE4ELNS1_3repE0EEENS1_30default_config_static_selectorELNS0_4arch9wavefront6targetE0EEEvT1_ ; -- Begin function _ZN7rocprim17ROCPRIM_400000_NS6detail17trampoline_kernelINS0_14default_configENS1_27scan_by_key_config_selectorIiiEEZZNS1_16scan_by_key_implILNS1_25lookback_scan_determinismE0ELb1ES3_N6thrust23THRUST_200600_302600_NS6detail15normal_iteratorINS9_10device_ptrIiEEEESE_SE_iNS9_4plusIiEE19head_flag_predicateiEE10hipError_tPvRmT2_T3_T4_T5_mT6_T7_P12ihipStream_tbENKUlT_T0_E_clISt17integral_constantIbLb0EESY_EEDaST_SU_EUlST_E_NS1_11comp_targetILNS1_3genE10ELNS1_11target_archE1200ELNS1_3gpuE4ELNS1_3repE0EEENS1_30default_config_static_selectorELNS0_4arch9wavefront6targetE0EEEvT1_
	.globl	_ZN7rocprim17ROCPRIM_400000_NS6detail17trampoline_kernelINS0_14default_configENS1_27scan_by_key_config_selectorIiiEEZZNS1_16scan_by_key_implILNS1_25lookback_scan_determinismE0ELb1ES3_N6thrust23THRUST_200600_302600_NS6detail15normal_iteratorINS9_10device_ptrIiEEEESE_SE_iNS9_4plusIiEE19head_flag_predicateiEE10hipError_tPvRmT2_T3_T4_T5_mT6_T7_P12ihipStream_tbENKUlT_T0_E_clISt17integral_constantIbLb0EESY_EEDaST_SU_EUlST_E_NS1_11comp_targetILNS1_3genE10ELNS1_11target_archE1200ELNS1_3gpuE4ELNS1_3repE0EEENS1_30default_config_static_selectorELNS0_4arch9wavefront6targetE0EEEvT1_
	.p2align	8
	.type	_ZN7rocprim17ROCPRIM_400000_NS6detail17trampoline_kernelINS0_14default_configENS1_27scan_by_key_config_selectorIiiEEZZNS1_16scan_by_key_implILNS1_25lookback_scan_determinismE0ELb1ES3_N6thrust23THRUST_200600_302600_NS6detail15normal_iteratorINS9_10device_ptrIiEEEESE_SE_iNS9_4plusIiEE19head_flag_predicateiEE10hipError_tPvRmT2_T3_T4_T5_mT6_T7_P12ihipStream_tbENKUlT_T0_E_clISt17integral_constantIbLb0EESY_EEDaST_SU_EUlST_E_NS1_11comp_targetILNS1_3genE10ELNS1_11target_archE1200ELNS1_3gpuE4ELNS1_3repE0EEENS1_30default_config_static_selectorELNS0_4arch9wavefront6targetE0EEEvT1_,@function
_ZN7rocprim17ROCPRIM_400000_NS6detail17trampoline_kernelINS0_14default_configENS1_27scan_by_key_config_selectorIiiEEZZNS1_16scan_by_key_implILNS1_25lookback_scan_determinismE0ELb1ES3_N6thrust23THRUST_200600_302600_NS6detail15normal_iteratorINS9_10device_ptrIiEEEESE_SE_iNS9_4plusIiEE19head_flag_predicateiEE10hipError_tPvRmT2_T3_T4_T5_mT6_T7_P12ihipStream_tbENKUlT_T0_E_clISt17integral_constantIbLb0EESY_EEDaST_SU_EUlST_E_NS1_11comp_targetILNS1_3genE10ELNS1_11target_archE1200ELNS1_3gpuE4ELNS1_3repE0EEENS1_30default_config_static_selectorELNS0_4arch9wavefront6targetE0EEEvT1_: ; @_ZN7rocprim17ROCPRIM_400000_NS6detail17trampoline_kernelINS0_14default_configENS1_27scan_by_key_config_selectorIiiEEZZNS1_16scan_by_key_implILNS1_25lookback_scan_determinismE0ELb1ES3_N6thrust23THRUST_200600_302600_NS6detail15normal_iteratorINS9_10device_ptrIiEEEESE_SE_iNS9_4plusIiEE19head_flag_predicateiEE10hipError_tPvRmT2_T3_T4_T5_mT6_T7_P12ihipStream_tbENKUlT_T0_E_clISt17integral_constantIbLb0EESY_EEDaST_SU_EUlST_E_NS1_11comp_targetILNS1_3genE10ELNS1_11target_archE1200ELNS1_3gpuE4ELNS1_3repE0EEENS1_30default_config_static_selectorELNS0_4arch9wavefront6targetE0EEEvT1_
; %bb.0:
	.section	.rodata,"a",@progbits
	.p2align	6, 0x0
	.amdhsa_kernel _ZN7rocprim17ROCPRIM_400000_NS6detail17trampoline_kernelINS0_14default_configENS1_27scan_by_key_config_selectorIiiEEZZNS1_16scan_by_key_implILNS1_25lookback_scan_determinismE0ELb1ES3_N6thrust23THRUST_200600_302600_NS6detail15normal_iteratorINS9_10device_ptrIiEEEESE_SE_iNS9_4plusIiEE19head_flag_predicateiEE10hipError_tPvRmT2_T3_T4_T5_mT6_T7_P12ihipStream_tbENKUlT_T0_E_clISt17integral_constantIbLb0EESY_EEDaST_SU_EUlST_E_NS1_11comp_targetILNS1_3genE10ELNS1_11target_archE1200ELNS1_3gpuE4ELNS1_3repE0EEENS1_30default_config_static_selectorELNS0_4arch9wavefront6targetE0EEEvT1_
		.amdhsa_group_segment_fixed_size 0
		.amdhsa_private_segment_fixed_size 0
		.amdhsa_kernarg_size 112
		.amdhsa_user_sgpr_count 2
		.amdhsa_user_sgpr_dispatch_ptr 0
		.amdhsa_user_sgpr_queue_ptr 0
		.amdhsa_user_sgpr_kernarg_segment_ptr 1
		.amdhsa_user_sgpr_dispatch_id 0
		.amdhsa_user_sgpr_kernarg_preload_length 0
		.amdhsa_user_sgpr_kernarg_preload_offset 0
		.amdhsa_user_sgpr_private_segment_size 0
		.amdhsa_wavefront_size32 1
		.amdhsa_uses_dynamic_stack 0
		.amdhsa_enable_private_segment 0
		.amdhsa_system_sgpr_workgroup_id_x 1
		.amdhsa_system_sgpr_workgroup_id_y 0
		.amdhsa_system_sgpr_workgroup_id_z 0
		.amdhsa_system_sgpr_workgroup_info 0
		.amdhsa_system_vgpr_workitem_id 0
		.amdhsa_next_free_vgpr 1
		.amdhsa_next_free_sgpr 1
		.amdhsa_named_barrier_count 0
		.amdhsa_reserve_vcc 0
		.amdhsa_float_round_mode_32 0
		.amdhsa_float_round_mode_16_64 0
		.amdhsa_float_denorm_mode_32 3
		.amdhsa_float_denorm_mode_16_64 3
		.amdhsa_fp16_overflow 0
		.amdhsa_memory_ordered 1
		.amdhsa_forward_progress 1
		.amdhsa_inst_pref_size 0
		.amdhsa_round_robin_scheduling 0
		.amdhsa_exception_fp_ieee_invalid_op 0
		.amdhsa_exception_fp_denorm_src 0
		.amdhsa_exception_fp_ieee_div_zero 0
		.amdhsa_exception_fp_ieee_overflow 0
		.amdhsa_exception_fp_ieee_underflow 0
		.amdhsa_exception_fp_ieee_inexact 0
		.amdhsa_exception_int_div_zero 0
	.end_amdhsa_kernel
	.section	.text._ZN7rocprim17ROCPRIM_400000_NS6detail17trampoline_kernelINS0_14default_configENS1_27scan_by_key_config_selectorIiiEEZZNS1_16scan_by_key_implILNS1_25lookback_scan_determinismE0ELb1ES3_N6thrust23THRUST_200600_302600_NS6detail15normal_iteratorINS9_10device_ptrIiEEEESE_SE_iNS9_4plusIiEE19head_flag_predicateiEE10hipError_tPvRmT2_T3_T4_T5_mT6_T7_P12ihipStream_tbENKUlT_T0_E_clISt17integral_constantIbLb0EESY_EEDaST_SU_EUlST_E_NS1_11comp_targetILNS1_3genE10ELNS1_11target_archE1200ELNS1_3gpuE4ELNS1_3repE0EEENS1_30default_config_static_selectorELNS0_4arch9wavefront6targetE0EEEvT1_,"axG",@progbits,_ZN7rocprim17ROCPRIM_400000_NS6detail17trampoline_kernelINS0_14default_configENS1_27scan_by_key_config_selectorIiiEEZZNS1_16scan_by_key_implILNS1_25lookback_scan_determinismE0ELb1ES3_N6thrust23THRUST_200600_302600_NS6detail15normal_iteratorINS9_10device_ptrIiEEEESE_SE_iNS9_4plusIiEE19head_flag_predicateiEE10hipError_tPvRmT2_T3_T4_T5_mT6_T7_P12ihipStream_tbENKUlT_T0_E_clISt17integral_constantIbLb0EESY_EEDaST_SU_EUlST_E_NS1_11comp_targetILNS1_3genE10ELNS1_11target_archE1200ELNS1_3gpuE4ELNS1_3repE0EEENS1_30default_config_static_selectorELNS0_4arch9wavefront6targetE0EEEvT1_,comdat
.Lfunc_end791:
	.size	_ZN7rocprim17ROCPRIM_400000_NS6detail17trampoline_kernelINS0_14default_configENS1_27scan_by_key_config_selectorIiiEEZZNS1_16scan_by_key_implILNS1_25lookback_scan_determinismE0ELb1ES3_N6thrust23THRUST_200600_302600_NS6detail15normal_iteratorINS9_10device_ptrIiEEEESE_SE_iNS9_4plusIiEE19head_flag_predicateiEE10hipError_tPvRmT2_T3_T4_T5_mT6_T7_P12ihipStream_tbENKUlT_T0_E_clISt17integral_constantIbLb0EESY_EEDaST_SU_EUlST_E_NS1_11comp_targetILNS1_3genE10ELNS1_11target_archE1200ELNS1_3gpuE4ELNS1_3repE0EEENS1_30default_config_static_selectorELNS0_4arch9wavefront6targetE0EEEvT1_, .Lfunc_end791-_ZN7rocprim17ROCPRIM_400000_NS6detail17trampoline_kernelINS0_14default_configENS1_27scan_by_key_config_selectorIiiEEZZNS1_16scan_by_key_implILNS1_25lookback_scan_determinismE0ELb1ES3_N6thrust23THRUST_200600_302600_NS6detail15normal_iteratorINS9_10device_ptrIiEEEESE_SE_iNS9_4plusIiEE19head_flag_predicateiEE10hipError_tPvRmT2_T3_T4_T5_mT6_T7_P12ihipStream_tbENKUlT_T0_E_clISt17integral_constantIbLb0EESY_EEDaST_SU_EUlST_E_NS1_11comp_targetILNS1_3genE10ELNS1_11target_archE1200ELNS1_3gpuE4ELNS1_3repE0EEENS1_30default_config_static_selectorELNS0_4arch9wavefront6targetE0EEEvT1_
                                        ; -- End function
	.set _ZN7rocprim17ROCPRIM_400000_NS6detail17trampoline_kernelINS0_14default_configENS1_27scan_by_key_config_selectorIiiEEZZNS1_16scan_by_key_implILNS1_25lookback_scan_determinismE0ELb1ES3_N6thrust23THRUST_200600_302600_NS6detail15normal_iteratorINS9_10device_ptrIiEEEESE_SE_iNS9_4plusIiEE19head_flag_predicateiEE10hipError_tPvRmT2_T3_T4_T5_mT6_T7_P12ihipStream_tbENKUlT_T0_E_clISt17integral_constantIbLb0EESY_EEDaST_SU_EUlST_E_NS1_11comp_targetILNS1_3genE10ELNS1_11target_archE1200ELNS1_3gpuE4ELNS1_3repE0EEENS1_30default_config_static_selectorELNS0_4arch9wavefront6targetE0EEEvT1_.num_vgpr, 0
	.set _ZN7rocprim17ROCPRIM_400000_NS6detail17trampoline_kernelINS0_14default_configENS1_27scan_by_key_config_selectorIiiEEZZNS1_16scan_by_key_implILNS1_25lookback_scan_determinismE0ELb1ES3_N6thrust23THRUST_200600_302600_NS6detail15normal_iteratorINS9_10device_ptrIiEEEESE_SE_iNS9_4plusIiEE19head_flag_predicateiEE10hipError_tPvRmT2_T3_T4_T5_mT6_T7_P12ihipStream_tbENKUlT_T0_E_clISt17integral_constantIbLb0EESY_EEDaST_SU_EUlST_E_NS1_11comp_targetILNS1_3genE10ELNS1_11target_archE1200ELNS1_3gpuE4ELNS1_3repE0EEENS1_30default_config_static_selectorELNS0_4arch9wavefront6targetE0EEEvT1_.num_agpr, 0
	.set _ZN7rocprim17ROCPRIM_400000_NS6detail17trampoline_kernelINS0_14default_configENS1_27scan_by_key_config_selectorIiiEEZZNS1_16scan_by_key_implILNS1_25lookback_scan_determinismE0ELb1ES3_N6thrust23THRUST_200600_302600_NS6detail15normal_iteratorINS9_10device_ptrIiEEEESE_SE_iNS9_4plusIiEE19head_flag_predicateiEE10hipError_tPvRmT2_T3_T4_T5_mT6_T7_P12ihipStream_tbENKUlT_T0_E_clISt17integral_constantIbLb0EESY_EEDaST_SU_EUlST_E_NS1_11comp_targetILNS1_3genE10ELNS1_11target_archE1200ELNS1_3gpuE4ELNS1_3repE0EEENS1_30default_config_static_selectorELNS0_4arch9wavefront6targetE0EEEvT1_.numbered_sgpr, 0
	.set _ZN7rocprim17ROCPRIM_400000_NS6detail17trampoline_kernelINS0_14default_configENS1_27scan_by_key_config_selectorIiiEEZZNS1_16scan_by_key_implILNS1_25lookback_scan_determinismE0ELb1ES3_N6thrust23THRUST_200600_302600_NS6detail15normal_iteratorINS9_10device_ptrIiEEEESE_SE_iNS9_4plusIiEE19head_flag_predicateiEE10hipError_tPvRmT2_T3_T4_T5_mT6_T7_P12ihipStream_tbENKUlT_T0_E_clISt17integral_constantIbLb0EESY_EEDaST_SU_EUlST_E_NS1_11comp_targetILNS1_3genE10ELNS1_11target_archE1200ELNS1_3gpuE4ELNS1_3repE0EEENS1_30default_config_static_selectorELNS0_4arch9wavefront6targetE0EEEvT1_.num_named_barrier, 0
	.set _ZN7rocprim17ROCPRIM_400000_NS6detail17trampoline_kernelINS0_14default_configENS1_27scan_by_key_config_selectorIiiEEZZNS1_16scan_by_key_implILNS1_25lookback_scan_determinismE0ELb1ES3_N6thrust23THRUST_200600_302600_NS6detail15normal_iteratorINS9_10device_ptrIiEEEESE_SE_iNS9_4plusIiEE19head_flag_predicateiEE10hipError_tPvRmT2_T3_T4_T5_mT6_T7_P12ihipStream_tbENKUlT_T0_E_clISt17integral_constantIbLb0EESY_EEDaST_SU_EUlST_E_NS1_11comp_targetILNS1_3genE10ELNS1_11target_archE1200ELNS1_3gpuE4ELNS1_3repE0EEENS1_30default_config_static_selectorELNS0_4arch9wavefront6targetE0EEEvT1_.private_seg_size, 0
	.set _ZN7rocprim17ROCPRIM_400000_NS6detail17trampoline_kernelINS0_14default_configENS1_27scan_by_key_config_selectorIiiEEZZNS1_16scan_by_key_implILNS1_25lookback_scan_determinismE0ELb1ES3_N6thrust23THRUST_200600_302600_NS6detail15normal_iteratorINS9_10device_ptrIiEEEESE_SE_iNS9_4plusIiEE19head_flag_predicateiEE10hipError_tPvRmT2_T3_T4_T5_mT6_T7_P12ihipStream_tbENKUlT_T0_E_clISt17integral_constantIbLb0EESY_EEDaST_SU_EUlST_E_NS1_11comp_targetILNS1_3genE10ELNS1_11target_archE1200ELNS1_3gpuE4ELNS1_3repE0EEENS1_30default_config_static_selectorELNS0_4arch9wavefront6targetE0EEEvT1_.uses_vcc, 0
	.set _ZN7rocprim17ROCPRIM_400000_NS6detail17trampoline_kernelINS0_14default_configENS1_27scan_by_key_config_selectorIiiEEZZNS1_16scan_by_key_implILNS1_25lookback_scan_determinismE0ELb1ES3_N6thrust23THRUST_200600_302600_NS6detail15normal_iteratorINS9_10device_ptrIiEEEESE_SE_iNS9_4plusIiEE19head_flag_predicateiEE10hipError_tPvRmT2_T3_T4_T5_mT6_T7_P12ihipStream_tbENKUlT_T0_E_clISt17integral_constantIbLb0EESY_EEDaST_SU_EUlST_E_NS1_11comp_targetILNS1_3genE10ELNS1_11target_archE1200ELNS1_3gpuE4ELNS1_3repE0EEENS1_30default_config_static_selectorELNS0_4arch9wavefront6targetE0EEEvT1_.uses_flat_scratch, 0
	.set _ZN7rocprim17ROCPRIM_400000_NS6detail17trampoline_kernelINS0_14default_configENS1_27scan_by_key_config_selectorIiiEEZZNS1_16scan_by_key_implILNS1_25lookback_scan_determinismE0ELb1ES3_N6thrust23THRUST_200600_302600_NS6detail15normal_iteratorINS9_10device_ptrIiEEEESE_SE_iNS9_4plusIiEE19head_flag_predicateiEE10hipError_tPvRmT2_T3_T4_T5_mT6_T7_P12ihipStream_tbENKUlT_T0_E_clISt17integral_constantIbLb0EESY_EEDaST_SU_EUlST_E_NS1_11comp_targetILNS1_3genE10ELNS1_11target_archE1200ELNS1_3gpuE4ELNS1_3repE0EEENS1_30default_config_static_selectorELNS0_4arch9wavefront6targetE0EEEvT1_.has_dyn_sized_stack, 0
	.set _ZN7rocprim17ROCPRIM_400000_NS6detail17trampoline_kernelINS0_14default_configENS1_27scan_by_key_config_selectorIiiEEZZNS1_16scan_by_key_implILNS1_25lookback_scan_determinismE0ELb1ES3_N6thrust23THRUST_200600_302600_NS6detail15normal_iteratorINS9_10device_ptrIiEEEESE_SE_iNS9_4plusIiEE19head_flag_predicateiEE10hipError_tPvRmT2_T3_T4_T5_mT6_T7_P12ihipStream_tbENKUlT_T0_E_clISt17integral_constantIbLb0EESY_EEDaST_SU_EUlST_E_NS1_11comp_targetILNS1_3genE10ELNS1_11target_archE1200ELNS1_3gpuE4ELNS1_3repE0EEENS1_30default_config_static_selectorELNS0_4arch9wavefront6targetE0EEEvT1_.has_recursion, 0
	.set _ZN7rocprim17ROCPRIM_400000_NS6detail17trampoline_kernelINS0_14default_configENS1_27scan_by_key_config_selectorIiiEEZZNS1_16scan_by_key_implILNS1_25lookback_scan_determinismE0ELb1ES3_N6thrust23THRUST_200600_302600_NS6detail15normal_iteratorINS9_10device_ptrIiEEEESE_SE_iNS9_4plusIiEE19head_flag_predicateiEE10hipError_tPvRmT2_T3_T4_T5_mT6_T7_P12ihipStream_tbENKUlT_T0_E_clISt17integral_constantIbLb0EESY_EEDaST_SU_EUlST_E_NS1_11comp_targetILNS1_3genE10ELNS1_11target_archE1200ELNS1_3gpuE4ELNS1_3repE0EEENS1_30default_config_static_selectorELNS0_4arch9wavefront6targetE0EEEvT1_.has_indirect_call, 0
	.section	.AMDGPU.csdata,"",@progbits
; Kernel info:
; codeLenInByte = 0
; TotalNumSgprs: 0
; NumVgprs: 0
; ScratchSize: 0
; MemoryBound: 0
; FloatMode: 240
; IeeeMode: 1
; LDSByteSize: 0 bytes/workgroup (compile time only)
; SGPRBlocks: 0
; VGPRBlocks: 0
; NumSGPRsForWavesPerEU: 1
; NumVGPRsForWavesPerEU: 1
; NamedBarCnt: 0
; Occupancy: 16
; WaveLimiterHint : 0
; COMPUTE_PGM_RSRC2:SCRATCH_EN: 0
; COMPUTE_PGM_RSRC2:USER_SGPR: 2
; COMPUTE_PGM_RSRC2:TRAP_HANDLER: 0
; COMPUTE_PGM_RSRC2:TGID_X_EN: 1
; COMPUTE_PGM_RSRC2:TGID_Y_EN: 0
; COMPUTE_PGM_RSRC2:TGID_Z_EN: 0
; COMPUTE_PGM_RSRC2:TIDIG_COMP_CNT: 0
	.section	.text._ZN7rocprim17ROCPRIM_400000_NS6detail17trampoline_kernelINS0_14default_configENS1_27scan_by_key_config_selectorIiiEEZZNS1_16scan_by_key_implILNS1_25lookback_scan_determinismE0ELb1ES3_N6thrust23THRUST_200600_302600_NS6detail15normal_iteratorINS9_10device_ptrIiEEEESE_SE_iNS9_4plusIiEE19head_flag_predicateiEE10hipError_tPvRmT2_T3_T4_T5_mT6_T7_P12ihipStream_tbENKUlT_T0_E_clISt17integral_constantIbLb0EESY_EEDaST_SU_EUlST_E_NS1_11comp_targetILNS1_3genE9ELNS1_11target_archE1100ELNS1_3gpuE3ELNS1_3repE0EEENS1_30default_config_static_selectorELNS0_4arch9wavefront6targetE0EEEvT1_,"axG",@progbits,_ZN7rocprim17ROCPRIM_400000_NS6detail17trampoline_kernelINS0_14default_configENS1_27scan_by_key_config_selectorIiiEEZZNS1_16scan_by_key_implILNS1_25lookback_scan_determinismE0ELb1ES3_N6thrust23THRUST_200600_302600_NS6detail15normal_iteratorINS9_10device_ptrIiEEEESE_SE_iNS9_4plusIiEE19head_flag_predicateiEE10hipError_tPvRmT2_T3_T4_T5_mT6_T7_P12ihipStream_tbENKUlT_T0_E_clISt17integral_constantIbLb0EESY_EEDaST_SU_EUlST_E_NS1_11comp_targetILNS1_3genE9ELNS1_11target_archE1100ELNS1_3gpuE3ELNS1_3repE0EEENS1_30default_config_static_selectorELNS0_4arch9wavefront6targetE0EEEvT1_,comdat
	.protected	_ZN7rocprim17ROCPRIM_400000_NS6detail17trampoline_kernelINS0_14default_configENS1_27scan_by_key_config_selectorIiiEEZZNS1_16scan_by_key_implILNS1_25lookback_scan_determinismE0ELb1ES3_N6thrust23THRUST_200600_302600_NS6detail15normal_iteratorINS9_10device_ptrIiEEEESE_SE_iNS9_4plusIiEE19head_flag_predicateiEE10hipError_tPvRmT2_T3_T4_T5_mT6_T7_P12ihipStream_tbENKUlT_T0_E_clISt17integral_constantIbLb0EESY_EEDaST_SU_EUlST_E_NS1_11comp_targetILNS1_3genE9ELNS1_11target_archE1100ELNS1_3gpuE3ELNS1_3repE0EEENS1_30default_config_static_selectorELNS0_4arch9wavefront6targetE0EEEvT1_ ; -- Begin function _ZN7rocprim17ROCPRIM_400000_NS6detail17trampoline_kernelINS0_14default_configENS1_27scan_by_key_config_selectorIiiEEZZNS1_16scan_by_key_implILNS1_25lookback_scan_determinismE0ELb1ES3_N6thrust23THRUST_200600_302600_NS6detail15normal_iteratorINS9_10device_ptrIiEEEESE_SE_iNS9_4plusIiEE19head_flag_predicateiEE10hipError_tPvRmT2_T3_T4_T5_mT6_T7_P12ihipStream_tbENKUlT_T0_E_clISt17integral_constantIbLb0EESY_EEDaST_SU_EUlST_E_NS1_11comp_targetILNS1_3genE9ELNS1_11target_archE1100ELNS1_3gpuE3ELNS1_3repE0EEENS1_30default_config_static_selectorELNS0_4arch9wavefront6targetE0EEEvT1_
	.globl	_ZN7rocprim17ROCPRIM_400000_NS6detail17trampoline_kernelINS0_14default_configENS1_27scan_by_key_config_selectorIiiEEZZNS1_16scan_by_key_implILNS1_25lookback_scan_determinismE0ELb1ES3_N6thrust23THRUST_200600_302600_NS6detail15normal_iteratorINS9_10device_ptrIiEEEESE_SE_iNS9_4plusIiEE19head_flag_predicateiEE10hipError_tPvRmT2_T3_T4_T5_mT6_T7_P12ihipStream_tbENKUlT_T0_E_clISt17integral_constantIbLb0EESY_EEDaST_SU_EUlST_E_NS1_11comp_targetILNS1_3genE9ELNS1_11target_archE1100ELNS1_3gpuE3ELNS1_3repE0EEENS1_30default_config_static_selectorELNS0_4arch9wavefront6targetE0EEEvT1_
	.p2align	8
	.type	_ZN7rocprim17ROCPRIM_400000_NS6detail17trampoline_kernelINS0_14default_configENS1_27scan_by_key_config_selectorIiiEEZZNS1_16scan_by_key_implILNS1_25lookback_scan_determinismE0ELb1ES3_N6thrust23THRUST_200600_302600_NS6detail15normal_iteratorINS9_10device_ptrIiEEEESE_SE_iNS9_4plusIiEE19head_flag_predicateiEE10hipError_tPvRmT2_T3_T4_T5_mT6_T7_P12ihipStream_tbENKUlT_T0_E_clISt17integral_constantIbLb0EESY_EEDaST_SU_EUlST_E_NS1_11comp_targetILNS1_3genE9ELNS1_11target_archE1100ELNS1_3gpuE3ELNS1_3repE0EEENS1_30default_config_static_selectorELNS0_4arch9wavefront6targetE0EEEvT1_,@function
_ZN7rocprim17ROCPRIM_400000_NS6detail17trampoline_kernelINS0_14default_configENS1_27scan_by_key_config_selectorIiiEEZZNS1_16scan_by_key_implILNS1_25lookback_scan_determinismE0ELb1ES3_N6thrust23THRUST_200600_302600_NS6detail15normal_iteratorINS9_10device_ptrIiEEEESE_SE_iNS9_4plusIiEE19head_flag_predicateiEE10hipError_tPvRmT2_T3_T4_T5_mT6_T7_P12ihipStream_tbENKUlT_T0_E_clISt17integral_constantIbLb0EESY_EEDaST_SU_EUlST_E_NS1_11comp_targetILNS1_3genE9ELNS1_11target_archE1100ELNS1_3gpuE3ELNS1_3repE0EEENS1_30default_config_static_selectorELNS0_4arch9wavefront6targetE0EEEvT1_: ; @_ZN7rocprim17ROCPRIM_400000_NS6detail17trampoline_kernelINS0_14default_configENS1_27scan_by_key_config_selectorIiiEEZZNS1_16scan_by_key_implILNS1_25lookback_scan_determinismE0ELb1ES3_N6thrust23THRUST_200600_302600_NS6detail15normal_iteratorINS9_10device_ptrIiEEEESE_SE_iNS9_4plusIiEE19head_flag_predicateiEE10hipError_tPvRmT2_T3_T4_T5_mT6_T7_P12ihipStream_tbENKUlT_T0_E_clISt17integral_constantIbLb0EESY_EEDaST_SU_EUlST_E_NS1_11comp_targetILNS1_3genE9ELNS1_11target_archE1100ELNS1_3gpuE3ELNS1_3repE0EEENS1_30default_config_static_selectorELNS0_4arch9wavefront6targetE0EEEvT1_
; %bb.0:
	.section	.rodata,"a",@progbits
	.p2align	6, 0x0
	.amdhsa_kernel _ZN7rocprim17ROCPRIM_400000_NS6detail17trampoline_kernelINS0_14default_configENS1_27scan_by_key_config_selectorIiiEEZZNS1_16scan_by_key_implILNS1_25lookback_scan_determinismE0ELb1ES3_N6thrust23THRUST_200600_302600_NS6detail15normal_iteratorINS9_10device_ptrIiEEEESE_SE_iNS9_4plusIiEE19head_flag_predicateiEE10hipError_tPvRmT2_T3_T4_T5_mT6_T7_P12ihipStream_tbENKUlT_T0_E_clISt17integral_constantIbLb0EESY_EEDaST_SU_EUlST_E_NS1_11comp_targetILNS1_3genE9ELNS1_11target_archE1100ELNS1_3gpuE3ELNS1_3repE0EEENS1_30default_config_static_selectorELNS0_4arch9wavefront6targetE0EEEvT1_
		.amdhsa_group_segment_fixed_size 0
		.amdhsa_private_segment_fixed_size 0
		.amdhsa_kernarg_size 112
		.amdhsa_user_sgpr_count 2
		.amdhsa_user_sgpr_dispatch_ptr 0
		.amdhsa_user_sgpr_queue_ptr 0
		.amdhsa_user_sgpr_kernarg_segment_ptr 1
		.amdhsa_user_sgpr_dispatch_id 0
		.amdhsa_user_sgpr_kernarg_preload_length 0
		.amdhsa_user_sgpr_kernarg_preload_offset 0
		.amdhsa_user_sgpr_private_segment_size 0
		.amdhsa_wavefront_size32 1
		.amdhsa_uses_dynamic_stack 0
		.amdhsa_enable_private_segment 0
		.amdhsa_system_sgpr_workgroup_id_x 1
		.amdhsa_system_sgpr_workgroup_id_y 0
		.amdhsa_system_sgpr_workgroup_id_z 0
		.amdhsa_system_sgpr_workgroup_info 0
		.amdhsa_system_vgpr_workitem_id 0
		.amdhsa_next_free_vgpr 1
		.amdhsa_next_free_sgpr 1
		.amdhsa_named_barrier_count 0
		.amdhsa_reserve_vcc 0
		.amdhsa_float_round_mode_32 0
		.amdhsa_float_round_mode_16_64 0
		.amdhsa_float_denorm_mode_32 3
		.amdhsa_float_denorm_mode_16_64 3
		.amdhsa_fp16_overflow 0
		.amdhsa_memory_ordered 1
		.amdhsa_forward_progress 1
		.amdhsa_inst_pref_size 0
		.amdhsa_round_robin_scheduling 0
		.amdhsa_exception_fp_ieee_invalid_op 0
		.amdhsa_exception_fp_denorm_src 0
		.amdhsa_exception_fp_ieee_div_zero 0
		.amdhsa_exception_fp_ieee_overflow 0
		.amdhsa_exception_fp_ieee_underflow 0
		.amdhsa_exception_fp_ieee_inexact 0
		.amdhsa_exception_int_div_zero 0
	.end_amdhsa_kernel
	.section	.text._ZN7rocprim17ROCPRIM_400000_NS6detail17trampoline_kernelINS0_14default_configENS1_27scan_by_key_config_selectorIiiEEZZNS1_16scan_by_key_implILNS1_25lookback_scan_determinismE0ELb1ES3_N6thrust23THRUST_200600_302600_NS6detail15normal_iteratorINS9_10device_ptrIiEEEESE_SE_iNS9_4plusIiEE19head_flag_predicateiEE10hipError_tPvRmT2_T3_T4_T5_mT6_T7_P12ihipStream_tbENKUlT_T0_E_clISt17integral_constantIbLb0EESY_EEDaST_SU_EUlST_E_NS1_11comp_targetILNS1_3genE9ELNS1_11target_archE1100ELNS1_3gpuE3ELNS1_3repE0EEENS1_30default_config_static_selectorELNS0_4arch9wavefront6targetE0EEEvT1_,"axG",@progbits,_ZN7rocprim17ROCPRIM_400000_NS6detail17trampoline_kernelINS0_14default_configENS1_27scan_by_key_config_selectorIiiEEZZNS1_16scan_by_key_implILNS1_25lookback_scan_determinismE0ELb1ES3_N6thrust23THRUST_200600_302600_NS6detail15normal_iteratorINS9_10device_ptrIiEEEESE_SE_iNS9_4plusIiEE19head_flag_predicateiEE10hipError_tPvRmT2_T3_T4_T5_mT6_T7_P12ihipStream_tbENKUlT_T0_E_clISt17integral_constantIbLb0EESY_EEDaST_SU_EUlST_E_NS1_11comp_targetILNS1_3genE9ELNS1_11target_archE1100ELNS1_3gpuE3ELNS1_3repE0EEENS1_30default_config_static_selectorELNS0_4arch9wavefront6targetE0EEEvT1_,comdat
.Lfunc_end792:
	.size	_ZN7rocprim17ROCPRIM_400000_NS6detail17trampoline_kernelINS0_14default_configENS1_27scan_by_key_config_selectorIiiEEZZNS1_16scan_by_key_implILNS1_25lookback_scan_determinismE0ELb1ES3_N6thrust23THRUST_200600_302600_NS6detail15normal_iteratorINS9_10device_ptrIiEEEESE_SE_iNS9_4plusIiEE19head_flag_predicateiEE10hipError_tPvRmT2_T3_T4_T5_mT6_T7_P12ihipStream_tbENKUlT_T0_E_clISt17integral_constantIbLb0EESY_EEDaST_SU_EUlST_E_NS1_11comp_targetILNS1_3genE9ELNS1_11target_archE1100ELNS1_3gpuE3ELNS1_3repE0EEENS1_30default_config_static_selectorELNS0_4arch9wavefront6targetE0EEEvT1_, .Lfunc_end792-_ZN7rocprim17ROCPRIM_400000_NS6detail17trampoline_kernelINS0_14default_configENS1_27scan_by_key_config_selectorIiiEEZZNS1_16scan_by_key_implILNS1_25lookback_scan_determinismE0ELb1ES3_N6thrust23THRUST_200600_302600_NS6detail15normal_iteratorINS9_10device_ptrIiEEEESE_SE_iNS9_4plusIiEE19head_flag_predicateiEE10hipError_tPvRmT2_T3_T4_T5_mT6_T7_P12ihipStream_tbENKUlT_T0_E_clISt17integral_constantIbLb0EESY_EEDaST_SU_EUlST_E_NS1_11comp_targetILNS1_3genE9ELNS1_11target_archE1100ELNS1_3gpuE3ELNS1_3repE0EEENS1_30default_config_static_selectorELNS0_4arch9wavefront6targetE0EEEvT1_
                                        ; -- End function
	.set _ZN7rocprim17ROCPRIM_400000_NS6detail17trampoline_kernelINS0_14default_configENS1_27scan_by_key_config_selectorIiiEEZZNS1_16scan_by_key_implILNS1_25lookback_scan_determinismE0ELb1ES3_N6thrust23THRUST_200600_302600_NS6detail15normal_iteratorINS9_10device_ptrIiEEEESE_SE_iNS9_4plusIiEE19head_flag_predicateiEE10hipError_tPvRmT2_T3_T4_T5_mT6_T7_P12ihipStream_tbENKUlT_T0_E_clISt17integral_constantIbLb0EESY_EEDaST_SU_EUlST_E_NS1_11comp_targetILNS1_3genE9ELNS1_11target_archE1100ELNS1_3gpuE3ELNS1_3repE0EEENS1_30default_config_static_selectorELNS0_4arch9wavefront6targetE0EEEvT1_.num_vgpr, 0
	.set _ZN7rocprim17ROCPRIM_400000_NS6detail17trampoline_kernelINS0_14default_configENS1_27scan_by_key_config_selectorIiiEEZZNS1_16scan_by_key_implILNS1_25lookback_scan_determinismE0ELb1ES3_N6thrust23THRUST_200600_302600_NS6detail15normal_iteratorINS9_10device_ptrIiEEEESE_SE_iNS9_4plusIiEE19head_flag_predicateiEE10hipError_tPvRmT2_T3_T4_T5_mT6_T7_P12ihipStream_tbENKUlT_T0_E_clISt17integral_constantIbLb0EESY_EEDaST_SU_EUlST_E_NS1_11comp_targetILNS1_3genE9ELNS1_11target_archE1100ELNS1_3gpuE3ELNS1_3repE0EEENS1_30default_config_static_selectorELNS0_4arch9wavefront6targetE0EEEvT1_.num_agpr, 0
	.set _ZN7rocprim17ROCPRIM_400000_NS6detail17trampoline_kernelINS0_14default_configENS1_27scan_by_key_config_selectorIiiEEZZNS1_16scan_by_key_implILNS1_25lookback_scan_determinismE0ELb1ES3_N6thrust23THRUST_200600_302600_NS6detail15normal_iteratorINS9_10device_ptrIiEEEESE_SE_iNS9_4plusIiEE19head_flag_predicateiEE10hipError_tPvRmT2_T3_T4_T5_mT6_T7_P12ihipStream_tbENKUlT_T0_E_clISt17integral_constantIbLb0EESY_EEDaST_SU_EUlST_E_NS1_11comp_targetILNS1_3genE9ELNS1_11target_archE1100ELNS1_3gpuE3ELNS1_3repE0EEENS1_30default_config_static_selectorELNS0_4arch9wavefront6targetE0EEEvT1_.numbered_sgpr, 0
	.set _ZN7rocprim17ROCPRIM_400000_NS6detail17trampoline_kernelINS0_14default_configENS1_27scan_by_key_config_selectorIiiEEZZNS1_16scan_by_key_implILNS1_25lookback_scan_determinismE0ELb1ES3_N6thrust23THRUST_200600_302600_NS6detail15normal_iteratorINS9_10device_ptrIiEEEESE_SE_iNS9_4plusIiEE19head_flag_predicateiEE10hipError_tPvRmT2_T3_T4_T5_mT6_T7_P12ihipStream_tbENKUlT_T0_E_clISt17integral_constantIbLb0EESY_EEDaST_SU_EUlST_E_NS1_11comp_targetILNS1_3genE9ELNS1_11target_archE1100ELNS1_3gpuE3ELNS1_3repE0EEENS1_30default_config_static_selectorELNS0_4arch9wavefront6targetE0EEEvT1_.num_named_barrier, 0
	.set _ZN7rocprim17ROCPRIM_400000_NS6detail17trampoline_kernelINS0_14default_configENS1_27scan_by_key_config_selectorIiiEEZZNS1_16scan_by_key_implILNS1_25lookback_scan_determinismE0ELb1ES3_N6thrust23THRUST_200600_302600_NS6detail15normal_iteratorINS9_10device_ptrIiEEEESE_SE_iNS9_4plusIiEE19head_flag_predicateiEE10hipError_tPvRmT2_T3_T4_T5_mT6_T7_P12ihipStream_tbENKUlT_T0_E_clISt17integral_constantIbLb0EESY_EEDaST_SU_EUlST_E_NS1_11comp_targetILNS1_3genE9ELNS1_11target_archE1100ELNS1_3gpuE3ELNS1_3repE0EEENS1_30default_config_static_selectorELNS0_4arch9wavefront6targetE0EEEvT1_.private_seg_size, 0
	.set _ZN7rocprim17ROCPRIM_400000_NS6detail17trampoline_kernelINS0_14default_configENS1_27scan_by_key_config_selectorIiiEEZZNS1_16scan_by_key_implILNS1_25lookback_scan_determinismE0ELb1ES3_N6thrust23THRUST_200600_302600_NS6detail15normal_iteratorINS9_10device_ptrIiEEEESE_SE_iNS9_4plusIiEE19head_flag_predicateiEE10hipError_tPvRmT2_T3_T4_T5_mT6_T7_P12ihipStream_tbENKUlT_T0_E_clISt17integral_constantIbLb0EESY_EEDaST_SU_EUlST_E_NS1_11comp_targetILNS1_3genE9ELNS1_11target_archE1100ELNS1_3gpuE3ELNS1_3repE0EEENS1_30default_config_static_selectorELNS0_4arch9wavefront6targetE0EEEvT1_.uses_vcc, 0
	.set _ZN7rocprim17ROCPRIM_400000_NS6detail17trampoline_kernelINS0_14default_configENS1_27scan_by_key_config_selectorIiiEEZZNS1_16scan_by_key_implILNS1_25lookback_scan_determinismE0ELb1ES3_N6thrust23THRUST_200600_302600_NS6detail15normal_iteratorINS9_10device_ptrIiEEEESE_SE_iNS9_4plusIiEE19head_flag_predicateiEE10hipError_tPvRmT2_T3_T4_T5_mT6_T7_P12ihipStream_tbENKUlT_T0_E_clISt17integral_constantIbLb0EESY_EEDaST_SU_EUlST_E_NS1_11comp_targetILNS1_3genE9ELNS1_11target_archE1100ELNS1_3gpuE3ELNS1_3repE0EEENS1_30default_config_static_selectorELNS0_4arch9wavefront6targetE0EEEvT1_.uses_flat_scratch, 0
	.set _ZN7rocprim17ROCPRIM_400000_NS6detail17trampoline_kernelINS0_14default_configENS1_27scan_by_key_config_selectorIiiEEZZNS1_16scan_by_key_implILNS1_25lookback_scan_determinismE0ELb1ES3_N6thrust23THRUST_200600_302600_NS6detail15normal_iteratorINS9_10device_ptrIiEEEESE_SE_iNS9_4plusIiEE19head_flag_predicateiEE10hipError_tPvRmT2_T3_T4_T5_mT6_T7_P12ihipStream_tbENKUlT_T0_E_clISt17integral_constantIbLb0EESY_EEDaST_SU_EUlST_E_NS1_11comp_targetILNS1_3genE9ELNS1_11target_archE1100ELNS1_3gpuE3ELNS1_3repE0EEENS1_30default_config_static_selectorELNS0_4arch9wavefront6targetE0EEEvT1_.has_dyn_sized_stack, 0
	.set _ZN7rocprim17ROCPRIM_400000_NS6detail17trampoline_kernelINS0_14default_configENS1_27scan_by_key_config_selectorIiiEEZZNS1_16scan_by_key_implILNS1_25lookback_scan_determinismE0ELb1ES3_N6thrust23THRUST_200600_302600_NS6detail15normal_iteratorINS9_10device_ptrIiEEEESE_SE_iNS9_4plusIiEE19head_flag_predicateiEE10hipError_tPvRmT2_T3_T4_T5_mT6_T7_P12ihipStream_tbENKUlT_T0_E_clISt17integral_constantIbLb0EESY_EEDaST_SU_EUlST_E_NS1_11comp_targetILNS1_3genE9ELNS1_11target_archE1100ELNS1_3gpuE3ELNS1_3repE0EEENS1_30default_config_static_selectorELNS0_4arch9wavefront6targetE0EEEvT1_.has_recursion, 0
	.set _ZN7rocprim17ROCPRIM_400000_NS6detail17trampoline_kernelINS0_14default_configENS1_27scan_by_key_config_selectorIiiEEZZNS1_16scan_by_key_implILNS1_25lookback_scan_determinismE0ELb1ES3_N6thrust23THRUST_200600_302600_NS6detail15normal_iteratorINS9_10device_ptrIiEEEESE_SE_iNS9_4plusIiEE19head_flag_predicateiEE10hipError_tPvRmT2_T3_T4_T5_mT6_T7_P12ihipStream_tbENKUlT_T0_E_clISt17integral_constantIbLb0EESY_EEDaST_SU_EUlST_E_NS1_11comp_targetILNS1_3genE9ELNS1_11target_archE1100ELNS1_3gpuE3ELNS1_3repE0EEENS1_30default_config_static_selectorELNS0_4arch9wavefront6targetE0EEEvT1_.has_indirect_call, 0
	.section	.AMDGPU.csdata,"",@progbits
; Kernel info:
; codeLenInByte = 0
; TotalNumSgprs: 0
; NumVgprs: 0
; ScratchSize: 0
; MemoryBound: 0
; FloatMode: 240
; IeeeMode: 1
; LDSByteSize: 0 bytes/workgroup (compile time only)
; SGPRBlocks: 0
; VGPRBlocks: 0
; NumSGPRsForWavesPerEU: 1
; NumVGPRsForWavesPerEU: 1
; NamedBarCnt: 0
; Occupancy: 16
; WaveLimiterHint : 0
; COMPUTE_PGM_RSRC2:SCRATCH_EN: 0
; COMPUTE_PGM_RSRC2:USER_SGPR: 2
; COMPUTE_PGM_RSRC2:TRAP_HANDLER: 0
; COMPUTE_PGM_RSRC2:TGID_X_EN: 1
; COMPUTE_PGM_RSRC2:TGID_Y_EN: 0
; COMPUTE_PGM_RSRC2:TGID_Z_EN: 0
; COMPUTE_PGM_RSRC2:TIDIG_COMP_CNT: 0
	.section	.text._ZN7rocprim17ROCPRIM_400000_NS6detail17trampoline_kernelINS0_14default_configENS1_27scan_by_key_config_selectorIiiEEZZNS1_16scan_by_key_implILNS1_25lookback_scan_determinismE0ELb1ES3_N6thrust23THRUST_200600_302600_NS6detail15normal_iteratorINS9_10device_ptrIiEEEESE_SE_iNS9_4plusIiEE19head_flag_predicateiEE10hipError_tPvRmT2_T3_T4_T5_mT6_T7_P12ihipStream_tbENKUlT_T0_E_clISt17integral_constantIbLb0EESY_EEDaST_SU_EUlST_E_NS1_11comp_targetILNS1_3genE8ELNS1_11target_archE1030ELNS1_3gpuE2ELNS1_3repE0EEENS1_30default_config_static_selectorELNS0_4arch9wavefront6targetE0EEEvT1_,"axG",@progbits,_ZN7rocprim17ROCPRIM_400000_NS6detail17trampoline_kernelINS0_14default_configENS1_27scan_by_key_config_selectorIiiEEZZNS1_16scan_by_key_implILNS1_25lookback_scan_determinismE0ELb1ES3_N6thrust23THRUST_200600_302600_NS6detail15normal_iteratorINS9_10device_ptrIiEEEESE_SE_iNS9_4plusIiEE19head_flag_predicateiEE10hipError_tPvRmT2_T3_T4_T5_mT6_T7_P12ihipStream_tbENKUlT_T0_E_clISt17integral_constantIbLb0EESY_EEDaST_SU_EUlST_E_NS1_11comp_targetILNS1_3genE8ELNS1_11target_archE1030ELNS1_3gpuE2ELNS1_3repE0EEENS1_30default_config_static_selectorELNS0_4arch9wavefront6targetE0EEEvT1_,comdat
	.protected	_ZN7rocprim17ROCPRIM_400000_NS6detail17trampoline_kernelINS0_14default_configENS1_27scan_by_key_config_selectorIiiEEZZNS1_16scan_by_key_implILNS1_25lookback_scan_determinismE0ELb1ES3_N6thrust23THRUST_200600_302600_NS6detail15normal_iteratorINS9_10device_ptrIiEEEESE_SE_iNS9_4plusIiEE19head_flag_predicateiEE10hipError_tPvRmT2_T3_T4_T5_mT6_T7_P12ihipStream_tbENKUlT_T0_E_clISt17integral_constantIbLb0EESY_EEDaST_SU_EUlST_E_NS1_11comp_targetILNS1_3genE8ELNS1_11target_archE1030ELNS1_3gpuE2ELNS1_3repE0EEENS1_30default_config_static_selectorELNS0_4arch9wavefront6targetE0EEEvT1_ ; -- Begin function _ZN7rocprim17ROCPRIM_400000_NS6detail17trampoline_kernelINS0_14default_configENS1_27scan_by_key_config_selectorIiiEEZZNS1_16scan_by_key_implILNS1_25lookback_scan_determinismE0ELb1ES3_N6thrust23THRUST_200600_302600_NS6detail15normal_iteratorINS9_10device_ptrIiEEEESE_SE_iNS9_4plusIiEE19head_flag_predicateiEE10hipError_tPvRmT2_T3_T4_T5_mT6_T7_P12ihipStream_tbENKUlT_T0_E_clISt17integral_constantIbLb0EESY_EEDaST_SU_EUlST_E_NS1_11comp_targetILNS1_3genE8ELNS1_11target_archE1030ELNS1_3gpuE2ELNS1_3repE0EEENS1_30default_config_static_selectorELNS0_4arch9wavefront6targetE0EEEvT1_
	.globl	_ZN7rocprim17ROCPRIM_400000_NS6detail17trampoline_kernelINS0_14default_configENS1_27scan_by_key_config_selectorIiiEEZZNS1_16scan_by_key_implILNS1_25lookback_scan_determinismE0ELb1ES3_N6thrust23THRUST_200600_302600_NS6detail15normal_iteratorINS9_10device_ptrIiEEEESE_SE_iNS9_4plusIiEE19head_flag_predicateiEE10hipError_tPvRmT2_T3_T4_T5_mT6_T7_P12ihipStream_tbENKUlT_T0_E_clISt17integral_constantIbLb0EESY_EEDaST_SU_EUlST_E_NS1_11comp_targetILNS1_3genE8ELNS1_11target_archE1030ELNS1_3gpuE2ELNS1_3repE0EEENS1_30default_config_static_selectorELNS0_4arch9wavefront6targetE0EEEvT1_
	.p2align	8
	.type	_ZN7rocprim17ROCPRIM_400000_NS6detail17trampoline_kernelINS0_14default_configENS1_27scan_by_key_config_selectorIiiEEZZNS1_16scan_by_key_implILNS1_25lookback_scan_determinismE0ELb1ES3_N6thrust23THRUST_200600_302600_NS6detail15normal_iteratorINS9_10device_ptrIiEEEESE_SE_iNS9_4plusIiEE19head_flag_predicateiEE10hipError_tPvRmT2_T3_T4_T5_mT6_T7_P12ihipStream_tbENKUlT_T0_E_clISt17integral_constantIbLb0EESY_EEDaST_SU_EUlST_E_NS1_11comp_targetILNS1_3genE8ELNS1_11target_archE1030ELNS1_3gpuE2ELNS1_3repE0EEENS1_30default_config_static_selectorELNS0_4arch9wavefront6targetE0EEEvT1_,@function
_ZN7rocprim17ROCPRIM_400000_NS6detail17trampoline_kernelINS0_14default_configENS1_27scan_by_key_config_selectorIiiEEZZNS1_16scan_by_key_implILNS1_25lookback_scan_determinismE0ELb1ES3_N6thrust23THRUST_200600_302600_NS6detail15normal_iteratorINS9_10device_ptrIiEEEESE_SE_iNS9_4plusIiEE19head_flag_predicateiEE10hipError_tPvRmT2_T3_T4_T5_mT6_T7_P12ihipStream_tbENKUlT_T0_E_clISt17integral_constantIbLb0EESY_EEDaST_SU_EUlST_E_NS1_11comp_targetILNS1_3genE8ELNS1_11target_archE1030ELNS1_3gpuE2ELNS1_3repE0EEENS1_30default_config_static_selectorELNS0_4arch9wavefront6targetE0EEEvT1_: ; @_ZN7rocprim17ROCPRIM_400000_NS6detail17trampoline_kernelINS0_14default_configENS1_27scan_by_key_config_selectorIiiEEZZNS1_16scan_by_key_implILNS1_25lookback_scan_determinismE0ELb1ES3_N6thrust23THRUST_200600_302600_NS6detail15normal_iteratorINS9_10device_ptrIiEEEESE_SE_iNS9_4plusIiEE19head_flag_predicateiEE10hipError_tPvRmT2_T3_T4_T5_mT6_T7_P12ihipStream_tbENKUlT_T0_E_clISt17integral_constantIbLb0EESY_EEDaST_SU_EUlST_E_NS1_11comp_targetILNS1_3genE8ELNS1_11target_archE1030ELNS1_3gpuE2ELNS1_3repE0EEENS1_30default_config_static_selectorELNS0_4arch9wavefront6targetE0EEEvT1_
; %bb.0:
	.section	.rodata,"a",@progbits
	.p2align	6, 0x0
	.amdhsa_kernel _ZN7rocprim17ROCPRIM_400000_NS6detail17trampoline_kernelINS0_14default_configENS1_27scan_by_key_config_selectorIiiEEZZNS1_16scan_by_key_implILNS1_25lookback_scan_determinismE0ELb1ES3_N6thrust23THRUST_200600_302600_NS6detail15normal_iteratorINS9_10device_ptrIiEEEESE_SE_iNS9_4plusIiEE19head_flag_predicateiEE10hipError_tPvRmT2_T3_T4_T5_mT6_T7_P12ihipStream_tbENKUlT_T0_E_clISt17integral_constantIbLb0EESY_EEDaST_SU_EUlST_E_NS1_11comp_targetILNS1_3genE8ELNS1_11target_archE1030ELNS1_3gpuE2ELNS1_3repE0EEENS1_30default_config_static_selectorELNS0_4arch9wavefront6targetE0EEEvT1_
		.amdhsa_group_segment_fixed_size 0
		.amdhsa_private_segment_fixed_size 0
		.amdhsa_kernarg_size 112
		.amdhsa_user_sgpr_count 2
		.amdhsa_user_sgpr_dispatch_ptr 0
		.amdhsa_user_sgpr_queue_ptr 0
		.amdhsa_user_sgpr_kernarg_segment_ptr 1
		.amdhsa_user_sgpr_dispatch_id 0
		.amdhsa_user_sgpr_kernarg_preload_length 0
		.amdhsa_user_sgpr_kernarg_preload_offset 0
		.amdhsa_user_sgpr_private_segment_size 0
		.amdhsa_wavefront_size32 1
		.amdhsa_uses_dynamic_stack 0
		.amdhsa_enable_private_segment 0
		.amdhsa_system_sgpr_workgroup_id_x 1
		.amdhsa_system_sgpr_workgroup_id_y 0
		.amdhsa_system_sgpr_workgroup_id_z 0
		.amdhsa_system_sgpr_workgroup_info 0
		.amdhsa_system_vgpr_workitem_id 0
		.amdhsa_next_free_vgpr 1
		.amdhsa_next_free_sgpr 1
		.amdhsa_named_barrier_count 0
		.amdhsa_reserve_vcc 0
		.amdhsa_float_round_mode_32 0
		.amdhsa_float_round_mode_16_64 0
		.amdhsa_float_denorm_mode_32 3
		.amdhsa_float_denorm_mode_16_64 3
		.amdhsa_fp16_overflow 0
		.amdhsa_memory_ordered 1
		.amdhsa_forward_progress 1
		.amdhsa_inst_pref_size 0
		.amdhsa_round_robin_scheduling 0
		.amdhsa_exception_fp_ieee_invalid_op 0
		.amdhsa_exception_fp_denorm_src 0
		.amdhsa_exception_fp_ieee_div_zero 0
		.amdhsa_exception_fp_ieee_overflow 0
		.amdhsa_exception_fp_ieee_underflow 0
		.amdhsa_exception_fp_ieee_inexact 0
		.amdhsa_exception_int_div_zero 0
	.end_amdhsa_kernel
	.section	.text._ZN7rocprim17ROCPRIM_400000_NS6detail17trampoline_kernelINS0_14default_configENS1_27scan_by_key_config_selectorIiiEEZZNS1_16scan_by_key_implILNS1_25lookback_scan_determinismE0ELb1ES3_N6thrust23THRUST_200600_302600_NS6detail15normal_iteratorINS9_10device_ptrIiEEEESE_SE_iNS9_4plusIiEE19head_flag_predicateiEE10hipError_tPvRmT2_T3_T4_T5_mT6_T7_P12ihipStream_tbENKUlT_T0_E_clISt17integral_constantIbLb0EESY_EEDaST_SU_EUlST_E_NS1_11comp_targetILNS1_3genE8ELNS1_11target_archE1030ELNS1_3gpuE2ELNS1_3repE0EEENS1_30default_config_static_selectorELNS0_4arch9wavefront6targetE0EEEvT1_,"axG",@progbits,_ZN7rocprim17ROCPRIM_400000_NS6detail17trampoline_kernelINS0_14default_configENS1_27scan_by_key_config_selectorIiiEEZZNS1_16scan_by_key_implILNS1_25lookback_scan_determinismE0ELb1ES3_N6thrust23THRUST_200600_302600_NS6detail15normal_iteratorINS9_10device_ptrIiEEEESE_SE_iNS9_4plusIiEE19head_flag_predicateiEE10hipError_tPvRmT2_T3_T4_T5_mT6_T7_P12ihipStream_tbENKUlT_T0_E_clISt17integral_constantIbLb0EESY_EEDaST_SU_EUlST_E_NS1_11comp_targetILNS1_3genE8ELNS1_11target_archE1030ELNS1_3gpuE2ELNS1_3repE0EEENS1_30default_config_static_selectorELNS0_4arch9wavefront6targetE0EEEvT1_,comdat
.Lfunc_end793:
	.size	_ZN7rocprim17ROCPRIM_400000_NS6detail17trampoline_kernelINS0_14default_configENS1_27scan_by_key_config_selectorIiiEEZZNS1_16scan_by_key_implILNS1_25lookback_scan_determinismE0ELb1ES3_N6thrust23THRUST_200600_302600_NS6detail15normal_iteratorINS9_10device_ptrIiEEEESE_SE_iNS9_4plusIiEE19head_flag_predicateiEE10hipError_tPvRmT2_T3_T4_T5_mT6_T7_P12ihipStream_tbENKUlT_T0_E_clISt17integral_constantIbLb0EESY_EEDaST_SU_EUlST_E_NS1_11comp_targetILNS1_3genE8ELNS1_11target_archE1030ELNS1_3gpuE2ELNS1_3repE0EEENS1_30default_config_static_selectorELNS0_4arch9wavefront6targetE0EEEvT1_, .Lfunc_end793-_ZN7rocprim17ROCPRIM_400000_NS6detail17trampoline_kernelINS0_14default_configENS1_27scan_by_key_config_selectorIiiEEZZNS1_16scan_by_key_implILNS1_25lookback_scan_determinismE0ELb1ES3_N6thrust23THRUST_200600_302600_NS6detail15normal_iteratorINS9_10device_ptrIiEEEESE_SE_iNS9_4plusIiEE19head_flag_predicateiEE10hipError_tPvRmT2_T3_T4_T5_mT6_T7_P12ihipStream_tbENKUlT_T0_E_clISt17integral_constantIbLb0EESY_EEDaST_SU_EUlST_E_NS1_11comp_targetILNS1_3genE8ELNS1_11target_archE1030ELNS1_3gpuE2ELNS1_3repE0EEENS1_30default_config_static_selectorELNS0_4arch9wavefront6targetE0EEEvT1_
                                        ; -- End function
	.set _ZN7rocprim17ROCPRIM_400000_NS6detail17trampoline_kernelINS0_14default_configENS1_27scan_by_key_config_selectorIiiEEZZNS1_16scan_by_key_implILNS1_25lookback_scan_determinismE0ELb1ES3_N6thrust23THRUST_200600_302600_NS6detail15normal_iteratorINS9_10device_ptrIiEEEESE_SE_iNS9_4plusIiEE19head_flag_predicateiEE10hipError_tPvRmT2_T3_T4_T5_mT6_T7_P12ihipStream_tbENKUlT_T0_E_clISt17integral_constantIbLb0EESY_EEDaST_SU_EUlST_E_NS1_11comp_targetILNS1_3genE8ELNS1_11target_archE1030ELNS1_3gpuE2ELNS1_3repE0EEENS1_30default_config_static_selectorELNS0_4arch9wavefront6targetE0EEEvT1_.num_vgpr, 0
	.set _ZN7rocprim17ROCPRIM_400000_NS6detail17trampoline_kernelINS0_14default_configENS1_27scan_by_key_config_selectorIiiEEZZNS1_16scan_by_key_implILNS1_25lookback_scan_determinismE0ELb1ES3_N6thrust23THRUST_200600_302600_NS6detail15normal_iteratorINS9_10device_ptrIiEEEESE_SE_iNS9_4plusIiEE19head_flag_predicateiEE10hipError_tPvRmT2_T3_T4_T5_mT6_T7_P12ihipStream_tbENKUlT_T0_E_clISt17integral_constantIbLb0EESY_EEDaST_SU_EUlST_E_NS1_11comp_targetILNS1_3genE8ELNS1_11target_archE1030ELNS1_3gpuE2ELNS1_3repE0EEENS1_30default_config_static_selectorELNS0_4arch9wavefront6targetE0EEEvT1_.num_agpr, 0
	.set _ZN7rocprim17ROCPRIM_400000_NS6detail17trampoline_kernelINS0_14default_configENS1_27scan_by_key_config_selectorIiiEEZZNS1_16scan_by_key_implILNS1_25lookback_scan_determinismE0ELb1ES3_N6thrust23THRUST_200600_302600_NS6detail15normal_iteratorINS9_10device_ptrIiEEEESE_SE_iNS9_4plusIiEE19head_flag_predicateiEE10hipError_tPvRmT2_T3_T4_T5_mT6_T7_P12ihipStream_tbENKUlT_T0_E_clISt17integral_constantIbLb0EESY_EEDaST_SU_EUlST_E_NS1_11comp_targetILNS1_3genE8ELNS1_11target_archE1030ELNS1_3gpuE2ELNS1_3repE0EEENS1_30default_config_static_selectorELNS0_4arch9wavefront6targetE0EEEvT1_.numbered_sgpr, 0
	.set _ZN7rocprim17ROCPRIM_400000_NS6detail17trampoline_kernelINS0_14default_configENS1_27scan_by_key_config_selectorIiiEEZZNS1_16scan_by_key_implILNS1_25lookback_scan_determinismE0ELb1ES3_N6thrust23THRUST_200600_302600_NS6detail15normal_iteratorINS9_10device_ptrIiEEEESE_SE_iNS9_4plusIiEE19head_flag_predicateiEE10hipError_tPvRmT2_T3_T4_T5_mT6_T7_P12ihipStream_tbENKUlT_T0_E_clISt17integral_constantIbLb0EESY_EEDaST_SU_EUlST_E_NS1_11comp_targetILNS1_3genE8ELNS1_11target_archE1030ELNS1_3gpuE2ELNS1_3repE0EEENS1_30default_config_static_selectorELNS0_4arch9wavefront6targetE0EEEvT1_.num_named_barrier, 0
	.set _ZN7rocprim17ROCPRIM_400000_NS6detail17trampoline_kernelINS0_14default_configENS1_27scan_by_key_config_selectorIiiEEZZNS1_16scan_by_key_implILNS1_25lookback_scan_determinismE0ELb1ES3_N6thrust23THRUST_200600_302600_NS6detail15normal_iteratorINS9_10device_ptrIiEEEESE_SE_iNS9_4plusIiEE19head_flag_predicateiEE10hipError_tPvRmT2_T3_T4_T5_mT6_T7_P12ihipStream_tbENKUlT_T0_E_clISt17integral_constantIbLb0EESY_EEDaST_SU_EUlST_E_NS1_11comp_targetILNS1_3genE8ELNS1_11target_archE1030ELNS1_3gpuE2ELNS1_3repE0EEENS1_30default_config_static_selectorELNS0_4arch9wavefront6targetE0EEEvT1_.private_seg_size, 0
	.set _ZN7rocprim17ROCPRIM_400000_NS6detail17trampoline_kernelINS0_14default_configENS1_27scan_by_key_config_selectorIiiEEZZNS1_16scan_by_key_implILNS1_25lookback_scan_determinismE0ELb1ES3_N6thrust23THRUST_200600_302600_NS6detail15normal_iteratorINS9_10device_ptrIiEEEESE_SE_iNS9_4plusIiEE19head_flag_predicateiEE10hipError_tPvRmT2_T3_T4_T5_mT6_T7_P12ihipStream_tbENKUlT_T0_E_clISt17integral_constantIbLb0EESY_EEDaST_SU_EUlST_E_NS1_11comp_targetILNS1_3genE8ELNS1_11target_archE1030ELNS1_3gpuE2ELNS1_3repE0EEENS1_30default_config_static_selectorELNS0_4arch9wavefront6targetE0EEEvT1_.uses_vcc, 0
	.set _ZN7rocprim17ROCPRIM_400000_NS6detail17trampoline_kernelINS0_14default_configENS1_27scan_by_key_config_selectorIiiEEZZNS1_16scan_by_key_implILNS1_25lookback_scan_determinismE0ELb1ES3_N6thrust23THRUST_200600_302600_NS6detail15normal_iteratorINS9_10device_ptrIiEEEESE_SE_iNS9_4plusIiEE19head_flag_predicateiEE10hipError_tPvRmT2_T3_T4_T5_mT6_T7_P12ihipStream_tbENKUlT_T0_E_clISt17integral_constantIbLb0EESY_EEDaST_SU_EUlST_E_NS1_11comp_targetILNS1_3genE8ELNS1_11target_archE1030ELNS1_3gpuE2ELNS1_3repE0EEENS1_30default_config_static_selectorELNS0_4arch9wavefront6targetE0EEEvT1_.uses_flat_scratch, 0
	.set _ZN7rocprim17ROCPRIM_400000_NS6detail17trampoline_kernelINS0_14default_configENS1_27scan_by_key_config_selectorIiiEEZZNS1_16scan_by_key_implILNS1_25lookback_scan_determinismE0ELb1ES3_N6thrust23THRUST_200600_302600_NS6detail15normal_iteratorINS9_10device_ptrIiEEEESE_SE_iNS9_4plusIiEE19head_flag_predicateiEE10hipError_tPvRmT2_T3_T4_T5_mT6_T7_P12ihipStream_tbENKUlT_T0_E_clISt17integral_constantIbLb0EESY_EEDaST_SU_EUlST_E_NS1_11comp_targetILNS1_3genE8ELNS1_11target_archE1030ELNS1_3gpuE2ELNS1_3repE0EEENS1_30default_config_static_selectorELNS0_4arch9wavefront6targetE0EEEvT1_.has_dyn_sized_stack, 0
	.set _ZN7rocprim17ROCPRIM_400000_NS6detail17trampoline_kernelINS0_14default_configENS1_27scan_by_key_config_selectorIiiEEZZNS1_16scan_by_key_implILNS1_25lookback_scan_determinismE0ELb1ES3_N6thrust23THRUST_200600_302600_NS6detail15normal_iteratorINS9_10device_ptrIiEEEESE_SE_iNS9_4plusIiEE19head_flag_predicateiEE10hipError_tPvRmT2_T3_T4_T5_mT6_T7_P12ihipStream_tbENKUlT_T0_E_clISt17integral_constantIbLb0EESY_EEDaST_SU_EUlST_E_NS1_11comp_targetILNS1_3genE8ELNS1_11target_archE1030ELNS1_3gpuE2ELNS1_3repE0EEENS1_30default_config_static_selectorELNS0_4arch9wavefront6targetE0EEEvT1_.has_recursion, 0
	.set _ZN7rocprim17ROCPRIM_400000_NS6detail17trampoline_kernelINS0_14default_configENS1_27scan_by_key_config_selectorIiiEEZZNS1_16scan_by_key_implILNS1_25lookback_scan_determinismE0ELb1ES3_N6thrust23THRUST_200600_302600_NS6detail15normal_iteratorINS9_10device_ptrIiEEEESE_SE_iNS9_4plusIiEE19head_flag_predicateiEE10hipError_tPvRmT2_T3_T4_T5_mT6_T7_P12ihipStream_tbENKUlT_T0_E_clISt17integral_constantIbLb0EESY_EEDaST_SU_EUlST_E_NS1_11comp_targetILNS1_3genE8ELNS1_11target_archE1030ELNS1_3gpuE2ELNS1_3repE0EEENS1_30default_config_static_selectorELNS0_4arch9wavefront6targetE0EEEvT1_.has_indirect_call, 0
	.section	.AMDGPU.csdata,"",@progbits
; Kernel info:
; codeLenInByte = 0
; TotalNumSgprs: 0
; NumVgprs: 0
; ScratchSize: 0
; MemoryBound: 0
; FloatMode: 240
; IeeeMode: 1
; LDSByteSize: 0 bytes/workgroup (compile time only)
; SGPRBlocks: 0
; VGPRBlocks: 0
; NumSGPRsForWavesPerEU: 1
; NumVGPRsForWavesPerEU: 1
; NamedBarCnt: 0
; Occupancy: 16
; WaveLimiterHint : 0
; COMPUTE_PGM_RSRC2:SCRATCH_EN: 0
; COMPUTE_PGM_RSRC2:USER_SGPR: 2
; COMPUTE_PGM_RSRC2:TRAP_HANDLER: 0
; COMPUTE_PGM_RSRC2:TGID_X_EN: 1
; COMPUTE_PGM_RSRC2:TGID_Y_EN: 0
; COMPUTE_PGM_RSRC2:TGID_Z_EN: 0
; COMPUTE_PGM_RSRC2:TIDIG_COMP_CNT: 0
	.section	.text._ZN7rocprim17ROCPRIM_400000_NS6detail17trampoline_kernelINS0_14default_configENS1_27scan_by_key_config_selectorIiiEEZZNS1_16scan_by_key_implILNS1_25lookback_scan_determinismE0ELb1ES3_N6thrust23THRUST_200600_302600_NS6detail15normal_iteratorINS9_10device_ptrIiEEEESE_SE_iNS9_4plusIiEE19head_flag_predicateiEE10hipError_tPvRmT2_T3_T4_T5_mT6_T7_P12ihipStream_tbENKUlT_T0_E_clISt17integral_constantIbLb1EESY_EEDaST_SU_EUlST_E_NS1_11comp_targetILNS1_3genE0ELNS1_11target_archE4294967295ELNS1_3gpuE0ELNS1_3repE0EEENS1_30default_config_static_selectorELNS0_4arch9wavefront6targetE0EEEvT1_,"axG",@progbits,_ZN7rocprim17ROCPRIM_400000_NS6detail17trampoline_kernelINS0_14default_configENS1_27scan_by_key_config_selectorIiiEEZZNS1_16scan_by_key_implILNS1_25lookback_scan_determinismE0ELb1ES3_N6thrust23THRUST_200600_302600_NS6detail15normal_iteratorINS9_10device_ptrIiEEEESE_SE_iNS9_4plusIiEE19head_flag_predicateiEE10hipError_tPvRmT2_T3_T4_T5_mT6_T7_P12ihipStream_tbENKUlT_T0_E_clISt17integral_constantIbLb1EESY_EEDaST_SU_EUlST_E_NS1_11comp_targetILNS1_3genE0ELNS1_11target_archE4294967295ELNS1_3gpuE0ELNS1_3repE0EEENS1_30default_config_static_selectorELNS0_4arch9wavefront6targetE0EEEvT1_,comdat
	.protected	_ZN7rocprim17ROCPRIM_400000_NS6detail17trampoline_kernelINS0_14default_configENS1_27scan_by_key_config_selectorIiiEEZZNS1_16scan_by_key_implILNS1_25lookback_scan_determinismE0ELb1ES3_N6thrust23THRUST_200600_302600_NS6detail15normal_iteratorINS9_10device_ptrIiEEEESE_SE_iNS9_4plusIiEE19head_flag_predicateiEE10hipError_tPvRmT2_T3_T4_T5_mT6_T7_P12ihipStream_tbENKUlT_T0_E_clISt17integral_constantIbLb1EESY_EEDaST_SU_EUlST_E_NS1_11comp_targetILNS1_3genE0ELNS1_11target_archE4294967295ELNS1_3gpuE0ELNS1_3repE0EEENS1_30default_config_static_selectorELNS0_4arch9wavefront6targetE0EEEvT1_ ; -- Begin function _ZN7rocprim17ROCPRIM_400000_NS6detail17trampoline_kernelINS0_14default_configENS1_27scan_by_key_config_selectorIiiEEZZNS1_16scan_by_key_implILNS1_25lookback_scan_determinismE0ELb1ES3_N6thrust23THRUST_200600_302600_NS6detail15normal_iteratorINS9_10device_ptrIiEEEESE_SE_iNS9_4plusIiEE19head_flag_predicateiEE10hipError_tPvRmT2_T3_T4_T5_mT6_T7_P12ihipStream_tbENKUlT_T0_E_clISt17integral_constantIbLb1EESY_EEDaST_SU_EUlST_E_NS1_11comp_targetILNS1_3genE0ELNS1_11target_archE4294967295ELNS1_3gpuE0ELNS1_3repE0EEENS1_30default_config_static_selectorELNS0_4arch9wavefront6targetE0EEEvT1_
	.globl	_ZN7rocprim17ROCPRIM_400000_NS6detail17trampoline_kernelINS0_14default_configENS1_27scan_by_key_config_selectorIiiEEZZNS1_16scan_by_key_implILNS1_25lookback_scan_determinismE0ELb1ES3_N6thrust23THRUST_200600_302600_NS6detail15normal_iteratorINS9_10device_ptrIiEEEESE_SE_iNS9_4plusIiEE19head_flag_predicateiEE10hipError_tPvRmT2_T3_T4_T5_mT6_T7_P12ihipStream_tbENKUlT_T0_E_clISt17integral_constantIbLb1EESY_EEDaST_SU_EUlST_E_NS1_11comp_targetILNS1_3genE0ELNS1_11target_archE4294967295ELNS1_3gpuE0ELNS1_3repE0EEENS1_30default_config_static_selectorELNS0_4arch9wavefront6targetE0EEEvT1_
	.p2align	8
	.type	_ZN7rocprim17ROCPRIM_400000_NS6detail17trampoline_kernelINS0_14default_configENS1_27scan_by_key_config_selectorIiiEEZZNS1_16scan_by_key_implILNS1_25lookback_scan_determinismE0ELb1ES3_N6thrust23THRUST_200600_302600_NS6detail15normal_iteratorINS9_10device_ptrIiEEEESE_SE_iNS9_4plusIiEE19head_flag_predicateiEE10hipError_tPvRmT2_T3_T4_T5_mT6_T7_P12ihipStream_tbENKUlT_T0_E_clISt17integral_constantIbLb1EESY_EEDaST_SU_EUlST_E_NS1_11comp_targetILNS1_3genE0ELNS1_11target_archE4294967295ELNS1_3gpuE0ELNS1_3repE0EEENS1_30default_config_static_selectorELNS0_4arch9wavefront6targetE0EEEvT1_,@function
_ZN7rocprim17ROCPRIM_400000_NS6detail17trampoline_kernelINS0_14default_configENS1_27scan_by_key_config_selectorIiiEEZZNS1_16scan_by_key_implILNS1_25lookback_scan_determinismE0ELb1ES3_N6thrust23THRUST_200600_302600_NS6detail15normal_iteratorINS9_10device_ptrIiEEEESE_SE_iNS9_4plusIiEE19head_flag_predicateiEE10hipError_tPvRmT2_T3_T4_T5_mT6_T7_P12ihipStream_tbENKUlT_T0_E_clISt17integral_constantIbLb1EESY_EEDaST_SU_EUlST_E_NS1_11comp_targetILNS1_3genE0ELNS1_11target_archE4294967295ELNS1_3gpuE0ELNS1_3repE0EEENS1_30default_config_static_selectorELNS0_4arch9wavefront6targetE0EEEvT1_: ; @_ZN7rocprim17ROCPRIM_400000_NS6detail17trampoline_kernelINS0_14default_configENS1_27scan_by_key_config_selectorIiiEEZZNS1_16scan_by_key_implILNS1_25lookback_scan_determinismE0ELb1ES3_N6thrust23THRUST_200600_302600_NS6detail15normal_iteratorINS9_10device_ptrIiEEEESE_SE_iNS9_4plusIiEE19head_flag_predicateiEE10hipError_tPvRmT2_T3_T4_T5_mT6_T7_P12ihipStream_tbENKUlT_T0_E_clISt17integral_constantIbLb1EESY_EEDaST_SU_EUlST_E_NS1_11comp_targetILNS1_3genE0ELNS1_11target_archE4294967295ELNS1_3gpuE0ELNS1_3repE0EEENS1_30default_config_static_selectorELNS0_4arch9wavefront6targetE0EEEvT1_
; %bb.0:
	s_endpgm
	.section	.rodata,"a",@progbits
	.p2align	6, 0x0
	.amdhsa_kernel _ZN7rocprim17ROCPRIM_400000_NS6detail17trampoline_kernelINS0_14default_configENS1_27scan_by_key_config_selectorIiiEEZZNS1_16scan_by_key_implILNS1_25lookback_scan_determinismE0ELb1ES3_N6thrust23THRUST_200600_302600_NS6detail15normal_iteratorINS9_10device_ptrIiEEEESE_SE_iNS9_4plusIiEE19head_flag_predicateiEE10hipError_tPvRmT2_T3_T4_T5_mT6_T7_P12ihipStream_tbENKUlT_T0_E_clISt17integral_constantIbLb1EESY_EEDaST_SU_EUlST_E_NS1_11comp_targetILNS1_3genE0ELNS1_11target_archE4294967295ELNS1_3gpuE0ELNS1_3repE0EEENS1_30default_config_static_selectorELNS0_4arch9wavefront6targetE0EEEvT1_
		.amdhsa_group_segment_fixed_size 0
		.amdhsa_private_segment_fixed_size 0
		.amdhsa_kernarg_size 112
		.amdhsa_user_sgpr_count 2
		.amdhsa_user_sgpr_dispatch_ptr 0
		.amdhsa_user_sgpr_queue_ptr 0
		.amdhsa_user_sgpr_kernarg_segment_ptr 1
		.amdhsa_user_sgpr_dispatch_id 0
		.amdhsa_user_sgpr_kernarg_preload_length 0
		.amdhsa_user_sgpr_kernarg_preload_offset 0
		.amdhsa_user_sgpr_private_segment_size 0
		.amdhsa_wavefront_size32 1
		.amdhsa_uses_dynamic_stack 0
		.amdhsa_enable_private_segment 0
		.amdhsa_system_sgpr_workgroup_id_x 1
		.amdhsa_system_sgpr_workgroup_id_y 0
		.amdhsa_system_sgpr_workgroup_id_z 0
		.amdhsa_system_sgpr_workgroup_info 0
		.amdhsa_system_vgpr_workitem_id 0
		.amdhsa_next_free_vgpr 1
		.amdhsa_next_free_sgpr 1
		.amdhsa_named_barrier_count 0
		.amdhsa_reserve_vcc 0
		.amdhsa_float_round_mode_32 0
		.amdhsa_float_round_mode_16_64 0
		.amdhsa_float_denorm_mode_32 3
		.amdhsa_float_denorm_mode_16_64 3
		.amdhsa_fp16_overflow 0
		.amdhsa_memory_ordered 1
		.amdhsa_forward_progress 1
		.amdhsa_inst_pref_size 1
		.amdhsa_round_robin_scheduling 0
		.amdhsa_exception_fp_ieee_invalid_op 0
		.amdhsa_exception_fp_denorm_src 0
		.amdhsa_exception_fp_ieee_div_zero 0
		.amdhsa_exception_fp_ieee_overflow 0
		.amdhsa_exception_fp_ieee_underflow 0
		.amdhsa_exception_fp_ieee_inexact 0
		.amdhsa_exception_int_div_zero 0
	.end_amdhsa_kernel
	.section	.text._ZN7rocprim17ROCPRIM_400000_NS6detail17trampoline_kernelINS0_14default_configENS1_27scan_by_key_config_selectorIiiEEZZNS1_16scan_by_key_implILNS1_25lookback_scan_determinismE0ELb1ES3_N6thrust23THRUST_200600_302600_NS6detail15normal_iteratorINS9_10device_ptrIiEEEESE_SE_iNS9_4plusIiEE19head_flag_predicateiEE10hipError_tPvRmT2_T3_T4_T5_mT6_T7_P12ihipStream_tbENKUlT_T0_E_clISt17integral_constantIbLb1EESY_EEDaST_SU_EUlST_E_NS1_11comp_targetILNS1_3genE0ELNS1_11target_archE4294967295ELNS1_3gpuE0ELNS1_3repE0EEENS1_30default_config_static_selectorELNS0_4arch9wavefront6targetE0EEEvT1_,"axG",@progbits,_ZN7rocprim17ROCPRIM_400000_NS6detail17trampoline_kernelINS0_14default_configENS1_27scan_by_key_config_selectorIiiEEZZNS1_16scan_by_key_implILNS1_25lookback_scan_determinismE0ELb1ES3_N6thrust23THRUST_200600_302600_NS6detail15normal_iteratorINS9_10device_ptrIiEEEESE_SE_iNS9_4plusIiEE19head_flag_predicateiEE10hipError_tPvRmT2_T3_T4_T5_mT6_T7_P12ihipStream_tbENKUlT_T0_E_clISt17integral_constantIbLb1EESY_EEDaST_SU_EUlST_E_NS1_11comp_targetILNS1_3genE0ELNS1_11target_archE4294967295ELNS1_3gpuE0ELNS1_3repE0EEENS1_30default_config_static_selectorELNS0_4arch9wavefront6targetE0EEEvT1_,comdat
.Lfunc_end794:
	.size	_ZN7rocprim17ROCPRIM_400000_NS6detail17trampoline_kernelINS0_14default_configENS1_27scan_by_key_config_selectorIiiEEZZNS1_16scan_by_key_implILNS1_25lookback_scan_determinismE0ELb1ES3_N6thrust23THRUST_200600_302600_NS6detail15normal_iteratorINS9_10device_ptrIiEEEESE_SE_iNS9_4plusIiEE19head_flag_predicateiEE10hipError_tPvRmT2_T3_T4_T5_mT6_T7_P12ihipStream_tbENKUlT_T0_E_clISt17integral_constantIbLb1EESY_EEDaST_SU_EUlST_E_NS1_11comp_targetILNS1_3genE0ELNS1_11target_archE4294967295ELNS1_3gpuE0ELNS1_3repE0EEENS1_30default_config_static_selectorELNS0_4arch9wavefront6targetE0EEEvT1_, .Lfunc_end794-_ZN7rocprim17ROCPRIM_400000_NS6detail17trampoline_kernelINS0_14default_configENS1_27scan_by_key_config_selectorIiiEEZZNS1_16scan_by_key_implILNS1_25lookback_scan_determinismE0ELb1ES3_N6thrust23THRUST_200600_302600_NS6detail15normal_iteratorINS9_10device_ptrIiEEEESE_SE_iNS9_4plusIiEE19head_flag_predicateiEE10hipError_tPvRmT2_T3_T4_T5_mT6_T7_P12ihipStream_tbENKUlT_T0_E_clISt17integral_constantIbLb1EESY_EEDaST_SU_EUlST_E_NS1_11comp_targetILNS1_3genE0ELNS1_11target_archE4294967295ELNS1_3gpuE0ELNS1_3repE0EEENS1_30default_config_static_selectorELNS0_4arch9wavefront6targetE0EEEvT1_
                                        ; -- End function
	.set _ZN7rocprim17ROCPRIM_400000_NS6detail17trampoline_kernelINS0_14default_configENS1_27scan_by_key_config_selectorIiiEEZZNS1_16scan_by_key_implILNS1_25lookback_scan_determinismE0ELb1ES3_N6thrust23THRUST_200600_302600_NS6detail15normal_iteratorINS9_10device_ptrIiEEEESE_SE_iNS9_4plusIiEE19head_flag_predicateiEE10hipError_tPvRmT2_T3_T4_T5_mT6_T7_P12ihipStream_tbENKUlT_T0_E_clISt17integral_constantIbLb1EESY_EEDaST_SU_EUlST_E_NS1_11comp_targetILNS1_3genE0ELNS1_11target_archE4294967295ELNS1_3gpuE0ELNS1_3repE0EEENS1_30default_config_static_selectorELNS0_4arch9wavefront6targetE0EEEvT1_.num_vgpr, 0
	.set _ZN7rocprim17ROCPRIM_400000_NS6detail17trampoline_kernelINS0_14default_configENS1_27scan_by_key_config_selectorIiiEEZZNS1_16scan_by_key_implILNS1_25lookback_scan_determinismE0ELb1ES3_N6thrust23THRUST_200600_302600_NS6detail15normal_iteratorINS9_10device_ptrIiEEEESE_SE_iNS9_4plusIiEE19head_flag_predicateiEE10hipError_tPvRmT2_T3_T4_T5_mT6_T7_P12ihipStream_tbENKUlT_T0_E_clISt17integral_constantIbLb1EESY_EEDaST_SU_EUlST_E_NS1_11comp_targetILNS1_3genE0ELNS1_11target_archE4294967295ELNS1_3gpuE0ELNS1_3repE0EEENS1_30default_config_static_selectorELNS0_4arch9wavefront6targetE0EEEvT1_.num_agpr, 0
	.set _ZN7rocprim17ROCPRIM_400000_NS6detail17trampoline_kernelINS0_14default_configENS1_27scan_by_key_config_selectorIiiEEZZNS1_16scan_by_key_implILNS1_25lookback_scan_determinismE0ELb1ES3_N6thrust23THRUST_200600_302600_NS6detail15normal_iteratorINS9_10device_ptrIiEEEESE_SE_iNS9_4plusIiEE19head_flag_predicateiEE10hipError_tPvRmT2_T3_T4_T5_mT6_T7_P12ihipStream_tbENKUlT_T0_E_clISt17integral_constantIbLb1EESY_EEDaST_SU_EUlST_E_NS1_11comp_targetILNS1_3genE0ELNS1_11target_archE4294967295ELNS1_3gpuE0ELNS1_3repE0EEENS1_30default_config_static_selectorELNS0_4arch9wavefront6targetE0EEEvT1_.numbered_sgpr, 0
	.set _ZN7rocprim17ROCPRIM_400000_NS6detail17trampoline_kernelINS0_14default_configENS1_27scan_by_key_config_selectorIiiEEZZNS1_16scan_by_key_implILNS1_25lookback_scan_determinismE0ELb1ES3_N6thrust23THRUST_200600_302600_NS6detail15normal_iteratorINS9_10device_ptrIiEEEESE_SE_iNS9_4plusIiEE19head_flag_predicateiEE10hipError_tPvRmT2_T3_T4_T5_mT6_T7_P12ihipStream_tbENKUlT_T0_E_clISt17integral_constantIbLb1EESY_EEDaST_SU_EUlST_E_NS1_11comp_targetILNS1_3genE0ELNS1_11target_archE4294967295ELNS1_3gpuE0ELNS1_3repE0EEENS1_30default_config_static_selectorELNS0_4arch9wavefront6targetE0EEEvT1_.num_named_barrier, 0
	.set _ZN7rocprim17ROCPRIM_400000_NS6detail17trampoline_kernelINS0_14default_configENS1_27scan_by_key_config_selectorIiiEEZZNS1_16scan_by_key_implILNS1_25lookback_scan_determinismE0ELb1ES3_N6thrust23THRUST_200600_302600_NS6detail15normal_iteratorINS9_10device_ptrIiEEEESE_SE_iNS9_4plusIiEE19head_flag_predicateiEE10hipError_tPvRmT2_T3_T4_T5_mT6_T7_P12ihipStream_tbENKUlT_T0_E_clISt17integral_constantIbLb1EESY_EEDaST_SU_EUlST_E_NS1_11comp_targetILNS1_3genE0ELNS1_11target_archE4294967295ELNS1_3gpuE0ELNS1_3repE0EEENS1_30default_config_static_selectorELNS0_4arch9wavefront6targetE0EEEvT1_.private_seg_size, 0
	.set _ZN7rocprim17ROCPRIM_400000_NS6detail17trampoline_kernelINS0_14default_configENS1_27scan_by_key_config_selectorIiiEEZZNS1_16scan_by_key_implILNS1_25lookback_scan_determinismE0ELb1ES3_N6thrust23THRUST_200600_302600_NS6detail15normal_iteratorINS9_10device_ptrIiEEEESE_SE_iNS9_4plusIiEE19head_flag_predicateiEE10hipError_tPvRmT2_T3_T4_T5_mT6_T7_P12ihipStream_tbENKUlT_T0_E_clISt17integral_constantIbLb1EESY_EEDaST_SU_EUlST_E_NS1_11comp_targetILNS1_3genE0ELNS1_11target_archE4294967295ELNS1_3gpuE0ELNS1_3repE0EEENS1_30default_config_static_selectorELNS0_4arch9wavefront6targetE0EEEvT1_.uses_vcc, 0
	.set _ZN7rocprim17ROCPRIM_400000_NS6detail17trampoline_kernelINS0_14default_configENS1_27scan_by_key_config_selectorIiiEEZZNS1_16scan_by_key_implILNS1_25lookback_scan_determinismE0ELb1ES3_N6thrust23THRUST_200600_302600_NS6detail15normal_iteratorINS9_10device_ptrIiEEEESE_SE_iNS9_4plusIiEE19head_flag_predicateiEE10hipError_tPvRmT2_T3_T4_T5_mT6_T7_P12ihipStream_tbENKUlT_T0_E_clISt17integral_constantIbLb1EESY_EEDaST_SU_EUlST_E_NS1_11comp_targetILNS1_3genE0ELNS1_11target_archE4294967295ELNS1_3gpuE0ELNS1_3repE0EEENS1_30default_config_static_selectorELNS0_4arch9wavefront6targetE0EEEvT1_.uses_flat_scratch, 0
	.set _ZN7rocprim17ROCPRIM_400000_NS6detail17trampoline_kernelINS0_14default_configENS1_27scan_by_key_config_selectorIiiEEZZNS1_16scan_by_key_implILNS1_25lookback_scan_determinismE0ELb1ES3_N6thrust23THRUST_200600_302600_NS6detail15normal_iteratorINS9_10device_ptrIiEEEESE_SE_iNS9_4plusIiEE19head_flag_predicateiEE10hipError_tPvRmT2_T3_T4_T5_mT6_T7_P12ihipStream_tbENKUlT_T0_E_clISt17integral_constantIbLb1EESY_EEDaST_SU_EUlST_E_NS1_11comp_targetILNS1_3genE0ELNS1_11target_archE4294967295ELNS1_3gpuE0ELNS1_3repE0EEENS1_30default_config_static_selectorELNS0_4arch9wavefront6targetE0EEEvT1_.has_dyn_sized_stack, 0
	.set _ZN7rocprim17ROCPRIM_400000_NS6detail17trampoline_kernelINS0_14default_configENS1_27scan_by_key_config_selectorIiiEEZZNS1_16scan_by_key_implILNS1_25lookback_scan_determinismE0ELb1ES3_N6thrust23THRUST_200600_302600_NS6detail15normal_iteratorINS9_10device_ptrIiEEEESE_SE_iNS9_4plusIiEE19head_flag_predicateiEE10hipError_tPvRmT2_T3_T4_T5_mT6_T7_P12ihipStream_tbENKUlT_T0_E_clISt17integral_constantIbLb1EESY_EEDaST_SU_EUlST_E_NS1_11comp_targetILNS1_3genE0ELNS1_11target_archE4294967295ELNS1_3gpuE0ELNS1_3repE0EEENS1_30default_config_static_selectorELNS0_4arch9wavefront6targetE0EEEvT1_.has_recursion, 0
	.set _ZN7rocprim17ROCPRIM_400000_NS6detail17trampoline_kernelINS0_14default_configENS1_27scan_by_key_config_selectorIiiEEZZNS1_16scan_by_key_implILNS1_25lookback_scan_determinismE0ELb1ES3_N6thrust23THRUST_200600_302600_NS6detail15normal_iteratorINS9_10device_ptrIiEEEESE_SE_iNS9_4plusIiEE19head_flag_predicateiEE10hipError_tPvRmT2_T3_T4_T5_mT6_T7_P12ihipStream_tbENKUlT_T0_E_clISt17integral_constantIbLb1EESY_EEDaST_SU_EUlST_E_NS1_11comp_targetILNS1_3genE0ELNS1_11target_archE4294967295ELNS1_3gpuE0ELNS1_3repE0EEENS1_30default_config_static_selectorELNS0_4arch9wavefront6targetE0EEEvT1_.has_indirect_call, 0
	.section	.AMDGPU.csdata,"",@progbits
; Kernel info:
; codeLenInByte = 4
; TotalNumSgprs: 0
; NumVgprs: 0
; ScratchSize: 0
; MemoryBound: 0
; FloatMode: 240
; IeeeMode: 1
; LDSByteSize: 0 bytes/workgroup (compile time only)
; SGPRBlocks: 0
; VGPRBlocks: 0
; NumSGPRsForWavesPerEU: 1
; NumVGPRsForWavesPerEU: 1
; NamedBarCnt: 0
; Occupancy: 16
; WaveLimiterHint : 0
; COMPUTE_PGM_RSRC2:SCRATCH_EN: 0
; COMPUTE_PGM_RSRC2:USER_SGPR: 2
; COMPUTE_PGM_RSRC2:TRAP_HANDLER: 0
; COMPUTE_PGM_RSRC2:TGID_X_EN: 1
; COMPUTE_PGM_RSRC2:TGID_Y_EN: 0
; COMPUTE_PGM_RSRC2:TGID_Z_EN: 0
; COMPUTE_PGM_RSRC2:TIDIG_COMP_CNT: 0
	.section	.text._ZN7rocprim17ROCPRIM_400000_NS6detail17trampoline_kernelINS0_14default_configENS1_27scan_by_key_config_selectorIiiEEZZNS1_16scan_by_key_implILNS1_25lookback_scan_determinismE0ELb1ES3_N6thrust23THRUST_200600_302600_NS6detail15normal_iteratorINS9_10device_ptrIiEEEESE_SE_iNS9_4plusIiEE19head_flag_predicateiEE10hipError_tPvRmT2_T3_T4_T5_mT6_T7_P12ihipStream_tbENKUlT_T0_E_clISt17integral_constantIbLb1EESY_EEDaST_SU_EUlST_E_NS1_11comp_targetILNS1_3genE10ELNS1_11target_archE1201ELNS1_3gpuE5ELNS1_3repE0EEENS1_30default_config_static_selectorELNS0_4arch9wavefront6targetE0EEEvT1_,"axG",@progbits,_ZN7rocprim17ROCPRIM_400000_NS6detail17trampoline_kernelINS0_14default_configENS1_27scan_by_key_config_selectorIiiEEZZNS1_16scan_by_key_implILNS1_25lookback_scan_determinismE0ELb1ES3_N6thrust23THRUST_200600_302600_NS6detail15normal_iteratorINS9_10device_ptrIiEEEESE_SE_iNS9_4plusIiEE19head_flag_predicateiEE10hipError_tPvRmT2_T3_T4_T5_mT6_T7_P12ihipStream_tbENKUlT_T0_E_clISt17integral_constantIbLb1EESY_EEDaST_SU_EUlST_E_NS1_11comp_targetILNS1_3genE10ELNS1_11target_archE1201ELNS1_3gpuE5ELNS1_3repE0EEENS1_30default_config_static_selectorELNS0_4arch9wavefront6targetE0EEEvT1_,comdat
	.protected	_ZN7rocprim17ROCPRIM_400000_NS6detail17trampoline_kernelINS0_14default_configENS1_27scan_by_key_config_selectorIiiEEZZNS1_16scan_by_key_implILNS1_25lookback_scan_determinismE0ELb1ES3_N6thrust23THRUST_200600_302600_NS6detail15normal_iteratorINS9_10device_ptrIiEEEESE_SE_iNS9_4plusIiEE19head_flag_predicateiEE10hipError_tPvRmT2_T3_T4_T5_mT6_T7_P12ihipStream_tbENKUlT_T0_E_clISt17integral_constantIbLb1EESY_EEDaST_SU_EUlST_E_NS1_11comp_targetILNS1_3genE10ELNS1_11target_archE1201ELNS1_3gpuE5ELNS1_3repE0EEENS1_30default_config_static_selectorELNS0_4arch9wavefront6targetE0EEEvT1_ ; -- Begin function _ZN7rocprim17ROCPRIM_400000_NS6detail17trampoline_kernelINS0_14default_configENS1_27scan_by_key_config_selectorIiiEEZZNS1_16scan_by_key_implILNS1_25lookback_scan_determinismE0ELb1ES3_N6thrust23THRUST_200600_302600_NS6detail15normal_iteratorINS9_10device_ptrIiEEEESE_SE_iNS9_4plusIiEE19head_flag_predicateiEE10hipError_tPvRmT2_T3_T4_T5_mT6_T7_P12ihipStream_tbENKUlT_T0_E_clISt17integral_constantIbLb1EESY_EEDaST_SU_EUlST_E_NS1_11comp_targetILNS1_3genE10ELNS1_11target_archE1201ELNS1_3gpuE5ELNS1_3repE0EEENS1_30default_config_static_selectorELNS0_4arch9wavefront6targetE0EEEvT1_
	.globl	_ZN7rocprim17ROCPRIM_400000_NS6detail17trampoline_kernelINS0_14default_configENS1_27scan_by_key_config_selectorIiiEEZZNS1_16scan_by_key_implILNS1_25lookback_scan_determinismE0ELb1ES3_N6thrust23THRUST_200600_302600_NS6detail15normal_iteratorINS9_10device_ptrIiEEEESE_SE_iNS9_4plusIiEE19head_flag_predicateiEE10hipError_tPvRmT2_T3_T4_T5_mT6_T7_P12ihipStream_tbENKUlT_T0_E_clISt17integral_constantIbLb1EESY_EEDaST_SU_EUlST_E_NS1_11comp_targetILNS1_3genE10ELNS1_11target_archE1201ELNS1_3gpuE5ELNS1_3repE0EEENS1_30default_config_static_selectorELNS0_4arch9wavefront6targetE0EEEvT1_
	.p2align	8
	.type	_ZN7rocprim17ROCPRIM_400000_NS6detail17trampoline_kernelINS0_14default_configENS1_27scan_by_key_config_selectorIiiEEZZNS1_16scan_by_key_implILNS1_25lookback_scan_determinismE0ELb1ES3_N6thrust23THRUST_200600_302600_NS6detail15normal_iteratorINS9_10device_ptrIiEEEESE_SE_iNS9_4plusIiEE19head_flag_predicateiEE10hipError_tPvRmT2_T3_T4_T5_mT6_T7_P12ihipStream_tbENKUlT_T0_E_clISt17integral_constantIbLb1EESY_EEDaST_SU_EUlST_E_NS1_11comp_targetILNS1_3genE10ELNS1_11target_archE1201ELNS1_3gpuE5ELNS1_3repE0EEENS1_30default_config_static_selectorELNS0_4arch9wavefront6targetE0EEEvT1_,@function
_ZN7rocprim17ROCPRIM_400000_NS6detail17trampoline_kernelINS0_14default_configENS1_27scan_by_key_config_selectorIiiEEZZNS1_16scan_by_key_implILNS1_25lookback_scan_determinismE0ELb1ES3_N6thrust23THRUST_200600_302600_NS6detail15normal_iteratorINS9_10device_ptrIiEEEESE_SE_iNS9_4plusIiEE19head_flag_predicateiEE10hipError_tPvRmT2_T3_T4_T5_mT6_T7_P12ihipStream_tbENKUlT_T0_E_clISt17integral_constantIbLb1EESY_EEDaST_SU_EUlST_E_NS1_11comp_targetILNS1_3genE10ELNS1_11target_archE1201ELNS1_3gpuE5ELNS1_3repE0EEENS1_30default_config_static_selectorELNS0_4arch9wavefront6targetE0EEEvT1_: ; @_ZN7rocprim17ROCPRIM_400000_NS6detail17trampoline_kernelINS0_14default_configENS1_27scan_by_key_config_selectorIiiEEZZNS1_16scan_by_key_implILNS1_25lookback_scan_determinismE0ELb1ES3_N6thrust23THRUST_200600_302600_NS6detail15normal_iteratorINS9_10device_ptrIiEEEESE_SE_iNS9_4plusIiEE19head_flag_predicateiEE10hipError_tPvRmT2_T3_T4_T5_mT6_T7_P12ihipStream_tbENKUlT_T0_E_clISt17integral_constantIbLb1EESY_EEDaST_SU_EUlST_E_NS1_11comp_targetILNS1_3genE10ELNS1_11target_archE1201ELNS1_3gpuE5ELNS1_3repE0EEENS1_30default_config_static_selectorELNS0_4arch9wavefront6targetE0EEEvT1_
; %bb.0:
	.section	.rodata,"a",@progbits
	.p2align	6, 0x0
	.amdhsa_kernel _ZN7rocprim17ROCPRIM_400000_NS6detail17trampoline_kernelINS0_14default_configENS1_27scan_by_key_config_selectorIiiEEZZNS1_16scan_by_key_implILNS1_25lookback_scan_determinismE0ELb1ES3_N6thrust23THRUST_200600_302600_NS6detail15normal_iteratorINS9_10device_ptrIiEEEESE_SE_iNS9_4plusIiEE19head_flag_predicateiEE10hipError_tPvRmT2_T3_T4_T5_mT6_T7_P12ihipStream_tbENKUlT_T0_E_clISt17integral_constantIbLb1EESY_EEDaST_SU_EUlST_E_NS1_11comp_targetILNS1_3genE10ELNS1_11target_archE1201ELNS1_3gpuE5ELNS1_3repE0EEENS1_30default_config_static_selectorELNS0_4arch9wavefront6targetE0EEEvT1_
		.amdhsa_group_segment_fixed_size 0
		.amdhsa_private_segment_fixed_size 0
		.amdhsa_kernarg_size 112
		.amdhsa_user_sgpr_count 2
		.amdhsa_user_sgpr_dispatch_ptr 0
		.amdhsa_user_sgpr_queue_ptr 0
		.amdhsa_user_sgpr_kernarg_segment_ptr 1
		.amdhsa_user_sgpr_dispatch_id 0
		.amdhsa_user_sgpr_kernarg_preload_length 0
		.amdhsa_user_sgpr_kernarg_preload_offset 0
		.amdhsa_user_sgpr_private_segment_size 0
		.amdhsa_wavefront_size32 1
		.amdhsa_uses_dynamic_stack 0
		.amdhsa_enable_private_segment 0
		.amdhsa_system_sgpr_workgroup_id_x 1
		.amdhsa_system_sgpr_workgroup_id_y 0
		.amdhsa_system_sgpr_workgroup_id_z 0
		.amdhsa_system_sgpr_workgroup_info 0
		.amdhsa_system_vgpr_workitem_id 0
		.amdhsa_next_free_vgpr 1
		.amdhsa_next_free_sgpr 1
		.amdhsa_named_barrier_count 0
		.amdhsa_reserve_vcc 0
		.amdhsa_float_round_mode_32 0
		.amdhsa_float_round_mode_16_64 0
		.amdhsa_float_denorm_mode_32 3
		.amdhsa_float_denorm_mode_16_64 3
		.amdhsa_fp16_overflow 0
		.amdhsa_memory_ordered 1
		.amdhsa_forward_progress 1
		.amdhsa_inst_pref_size 0
		.amdhsa_round_robin_scheduling 0
		.amdhsa_exception_fp_ieee_invalid_op 0
		.amdhsa_exception_fp_denorm_src 0
		.amdhsa_exception_fp_ieee_div_zero 0
		.amdhsa_exception_fp_ieee_overflow 0
		.amdhsa_exception_fp_ieee_underflow 0
		.amdhsa_exception_fp_ieee_inexact 0
		.amdhsa_exception_int_div_zero 0
	.end_amdhsa_kernel
	.section	.text._ZN7rocprim17ROCPRIM_400000_NS6detail17trampoline_kernelINS0_14default_configENS1_27scan_by_key_config_selectorIiiEEZZNS1_16scan_by_key_implILNS1_25lookback_scan_determinismE0ELb1ES3_N6thrust23THRUST_200600_302600_NS6detail15normal_iteratorINS9_10device_ptrIiEEEESE_SE_iNS9_4plusIiEE19head_flag_predicateiEE10hipError_tPvRmT2_T3_T4_T5_mT6_T7_P12ihipStream_tbENKUlT_T0_E_clISt17integral_constantIbLb1EESY_EEDaST_SU_EUlST_E_NS1_11comp_targetILNS1_3genE10ELNS1_11target_archE1201ELNS1_3gpuE5ELNS1_3repE0EEENS1_30default_config_static_selectorELNS0_4arch9wavefront6targetE0EEEvT1_,"axG",@progbits,_ZN7rocprim17ROCPRIM_400000_NS6detail17trampoline_kernelINS0_14default_configENS1_27scan_by_key_config_selectorIiiEEZZNS1_16scan_by_key_implILNS1_25lookback_scan_determinismE0ELb1ES3_N6thrust23THRUST_200600_302600_NS6detail15normal_iteratorINS9_10device_ptrIiEEEESE_SE_iNS9_4plusIiEE19head_flag_predicateiEE10hipError_tPvRmT2_T3_T4_T5_mT6_T7_P12ihipStream_tbENKUlT_T0_E_clISt17integral_constantIbLb1EESY_EEDaST_SU_EUlST_E_NS1_11comp_targetILNS1_3genE10ELNS1_11target_archE1201ELNS1_3gpuE5ELNS1_3repE0EEENS1_30default_config_static_selectorELNS0_4arch9wavefront6targetE0EEEvT1_,comdat
.Lfunc_end795:
	.size	_ZN7rocprim17ROCPRIM_400000_NS6detail17trampoline_kernelINS0_14default_configENS1_27scan_by_key_config_selectorIiiEEZZNS1_16scan_by_key_implILNS1_25lookback_scan_determinismE0ELb1ES3_N6thrust23THRUST_200600_302600_NS6detail15normal_iteratorINS9_10device_ptrIiEEEESE_SE_iNS9_4plusIiEE19head_flag_predicateiEE10hipError_tPvRmT2_T3_T4_T5_mT6_T7_P12ihipStream_tbENKUlT_T0_E_clISt17integral_constantIbLb1EESY_EEDaST_SU_EUlST_E_NS1_11comp_targetILNS1_3genE10ELNS1_11target_archE1201ELNS1_3gpuE5ELNS1_3repE0EEENS1_30default_config_static_selectorELNS0_4arch9wavefront6targetE0EEEvT1_, .Lfunc_end795-_ZN7rocprim17ROCPRIM_400000_NS6detail17trampoline_kernelINS0_14default_configENS1_27scan_by_key_config_selectorIiiEEZZNS1_16scan_by_key_implILNS1_25lookback_scan_determinismE0ELb1ES3_N6thrust23THRUST_200600_302600_NS6detail15normal_iteratorINS9_10device_ptrIiEEEESE_SE_iNS9_4plusIiEE19head_flag_predicateiEE10hipError_tPvRmT2_T3_T4_T5_mT6_T7_P12ihipStream_tbENKUlT_T0_E_clISt17integral_constantIbLb1EESY_EEDaST_SU_EUlST_E_NS1_11comp_targetILNS1_3genE10ELNS1_11target_archE1201ELNS1_3gpuE5ELNS1_3repE0EEENS1_30default_config_static_selectorELNS0_4arch9wavefront6targetE0EEEvT1_
                                        ; -- End function
	.set _ZN7rocprim17ROCPRIM_400000_NS6detail17trampoline_kernelINS0_14default_configENS1_27scan_by_key_config_selectorIiiEEZZNS1_16scan_by_key_implILNS1_25lookback_scan_determinismE0ELb1ES3_N6thrust23THRUST_200600_302600_NS6detail15normal_iteratorINS9_10device_ptrIiEEEESE_SE_iNS9_4plusIiEE19head_flag_predicateiEE10hipError_tPvRmT2_T3_T4_T5_mT6_T7_P12ihipStream_tbENKUlT_T0_E_clISt17integral_constantIbLb1EESY_EEDaST_SU_EUlST_E_NS1_11comp_targetILNS1_3genE10ELNS1_11target_archE1201ELNS1_3gpuE5ELNS1_3repE0EEENS1_30default_config_static_selectorELNS0_4arch9wavefront6targetE0EEEvT1_.num_vgpr, 0
	.set _ZN7rocprim17ROCPRIM_400000_NS6detail17trampoline_kernelINS0_14default_configENS1_27scan_by_key_config_selectorIiiEEZZNS1_16scan_by_key_implILNS1_25lookback_scan_determinismE0ELb1ES3_N6thrust23THRUST_200600_302600_NS6detail15normal_iteratorINS9_10device_ptrIiEEEESE_SE_iNS9_4plusIiEE19head_flag_predicateiEE10hipError_tPvRmT2_T3_T4_T5_mT6_T7_P12ihipStream_tbENKUlT_T0_E_clISt17integral_constantIbLb1EESY_EEDaST_SU_EUlST_E_NS1_11comp_targetILNS1_3genE10ELNS1_11target_archE1201ELNS1_3gpuE5ELNS1_3repE0EEENS1_30default_config_static_selectorELNS0_4arch9wavefront6targetE0EEEvT1_.num_agpr, 0
	.set _ZN7rocprim17ROCPRIM_400000_NS6detail17trampoline_kernelINS0_14default_configENS1_27scan_by_key_config_selectorIiiEEZZNS1_16scan_by_key_implILNS1_25lookback_scan_determinismE0ELb1ES3_N6thrust23THRUST_200600_302600_NS6detail15normal_iteratorINS9_10device_ptrIiEEEESE_SE_iNS9_4plusIiEE19head_flag_predicateiEE10hipError_tPvRmT2_T3_T4_T5_mT6_T7_P12ihipStream_tbENKUlT_T0_E_clISt17integral_constantIbLb1EESY_EEDaST_SU_EUlST_E_NS1_11comp_targetILNS1_3genE10ELNS1_11target_archE1201ELNS1_3gpuE5ELNS1_3repE0EEENS1_30default_config_static_selectorELNS0_4arch9wavefront6targetE0EEEvT1_.numbered_sgpr, 0
	.set _ZN7rocprim17ROCPRIM_400000_NS6detail17trampoline_kernelINS0_14default_configENS1_27scan_by_key_config_selectorIiiEEZZNS1_16scan_by_key_implILNS1_25lookback_scan_determinismE0ELb1ES3_N6thrust23THRUST_200600_302600_NS6detail15normal_iteratorINS9_10device_ptrIiEEEESE_SE_iNS9_4plusIiEE19head_flag_predicateiEE10hipError_tPvRmT2_T3_T4_T5_mT6_T7_P12ihipStream_tbENKUlT_T0_E_clISt17integral_constantIbLb1EESY_EEDaST_SU_EUlST_E_NS1_11comp_targetILNS1_3genE10ELNS1_11target_archE1201ELNS1_3gpuE5ELNS1_3repE0EEENS1_30default_config_static_selectorELNS0_4arch9wavefront6targetE0EEEvT1_.num_named_barrier, 0
	.set _ZN7rocprim17ROCPRIM_400000_NS6detail17trampoline_kernelINS0_14default_configENS1_27scan_by_key_config_selectorIiiEEZZNS1_16scan_by_key_implILNS1_25lookback_scan_determinismE0ELb1ES3_N6thrust23THRUST_200600_302600_NS6detail15normal_iteratorINS9_10device_ptrIiEEEESE_SE_iNS9_4plusIiEE19head_flag_predicateiEE10hipError_tPvRmT2_T3_T4_T5_mT6_T7_P12ihipStream_tbENKUlT_T0_E_clISt17integral_constantIbLb1EESY_EEDaST_SU_EUlST_E_NS1_11comp_targetILNS1_3genE10ELNS1_11target_archE1201ELNS1_3gpuE5ELNS1_3repE0EEENS1_30default_config_static_selectorELNS0_4arch9wavefront6targetE0EEEvT1_.private_seg_size, 0
	.set _ZN7rocprim17ROCPRIM_400000_NS6detail17trampoline_kernelINS0_14default_configENS1_27scan_by_key_config_selectorIiiEEZZNS1_16scan_by_key_implILNS1_25lookback_scan_determinismE0ELb1ES3_N6thrust23THRUST_200600_302600_NS6detail15normal_iteratorINS9_10device_ptrIiEEEESE_SE_iNS9_4plusIiEE19head_flag_predicateiEE10hipError_tPvRmT2_T3_T4_T5_mT6_T7_P12ihipStream_tbENKUlT_T0_E_clISt17integral_constantIbLb1EESY_EEDaST_SU_EUlST_E_NS1_11comp_targetILNS1_3genE10ELNS1_11target_archE1201ELNS1_3gpuE5ELNS1_3repE0EEENS1_30default_config_static_selectorELNS0_4arch9wavefront6targetE0EEEvT1_.uses_vcc, 0
	.set _ZN7rocprim17ROCPRIM_400000_NS6detail17trampoline_kernelINS0_14default_configENS1_27scan_by_key_config_selectorIiiEEZZNS1_16scan_by_key_implILNS1_25lookback_scan_determinismE0ELb1ES3_N6thrust23THRUST_200600_302600_NS6detail15normal_iteratorINS9_10device_ptrIiEEEESE_SE_iNS9_4plusIiEE19head_flag_predicateiEE10hipError_tPvRmT2_T3_T4_T5_mT6_T7_P12ihipStream_tbENKUlT_T0_E_clISt17integral_constantIbLb1EESY_EEDaST_SU_EUlST_E_NS1_11comp_targetILNS1_3genE10ELNS1_11target_archE1201ELNS1_3gpuE5ELNS1_3repE0EEENS1_30default_config_static_selectorELNS0_4arch9wavefront6targetE0EEEvT1_.uses_flat_scratch, 0
	.set _ZN7rocprim17ROCPRIM_400000_NS6detail17trampoline_kernelINS0_14default_configENS1_27scan_by_key_config_selectorIiiEEZZNS1_16scan_by_key_implILNS1_25lookback_scan_determinismE0ELb1ES3_N6thrust23THRUST_200600_302600_NS6detail15normal_iteratorINS9_10device_ptrIiEEEESE_SE_iNS9_4plusIiEE19head_flag_predicateiEE10hipError_tPvRmT2_T3_T4_T5_mT6_T7_P12ihipStream_tbENKUlT_T0_E_clISt17integral_constantIbLb1EESY_EEDaST_SU_EUlST_E_NS1_11comp_targetILNS1_3genE10ELNS1_11target_archE1201ELNS1_3gpuE5ELNS1_3repE0EEENS1_30default_config_static_selectorELNS0_4arch9wavefront6targetE0EEEvT1_.has_dyn_sized_stack, 0
	.set _ZN7rocprim17ROCPRIM_400000_NS6detail17trampoline_kernelINS0_14default_configENS1_27scan_by_key_config_selectorIiiEEZZNS1_16scan_by_key_implILNS1_25lookback_scan_determinismE0ELb1ES3_N6thrust23THRUST_200600_302600_NS6detail15normal_iteratorINS9_10device_ptrIiEEEESE_SE_iNS9_4plusIiEE19head_flag_predicateiEE10hipError_tPvRmT2_T3_T4_T5_mT6_T7_P12ihipStream_tbENKUlT_T0_E_clISt17integral_constantIbLb1EESY_EEDaST_SU_EUlST_E_NS1_11comp_targetILNS1_3genE10ELNS1_11target_archE1201ELNS1_3gpuE5ELNS1_3repE0EEENS1_30default_config_static_selectorELNS0_4arch9wavefront6targetE0EEEvT1_.has_recursion, 0
	.set _ZN7rocprim17ROCPRIM_400000_NS6detail17trampoline_kernelINS0_14default_configENS1_27scan_by_key_config_selectorIiiEEZZNS1_16scan_by_key_implILNS1_25lookback_scan_determinismE0ELb1ES3_N6thrust23THRUST_200600_302600_NS6detail15normal_iteratorINS9_10device_ptrIiEEEESE_SE_iNS9_4plusIiEE19head_flag_predicateiEE10hipError_tPvRmT2_T3_T4_T5_mT6_T7_P12ihipStream_tbENKUlT_T0_E_clISt17integral_constantIbLb1EESY_EEDaST_SU_EUlST_E_NS1_11comp_targetILNS1_3genE10ELNS1_11target_archE1201ELNS1_3gpuE5ELNS1_3repE0EEENS1_30default_config_static_selectorELNS0_4arch9wavefront6targetE0EEEvT1_.has_indirect_call, 0
	.section	.AMDGPU.csdata,"",@progbits
; Kernel info:
; codeLenInByte = 0
; TotalNumSgprs: 0
; NumVgprs: 0
; ScratchSize: 0
; MemoryBound: 0
; FloatMode: 240
; IeeeMode: 1
; LDSByteSize: 0 bytes/workgroup (compile time only)
; SGPRBlocks: 0
; VGPRBlocks: 0
; NumSGPRsForWavesPerEU: 1
; NumVGPRsForWavesPerEU: 1
; NamedBarCnt: 0
; Occupancy: 16
; WaveLimiterHint : 0
; COMPUTE_PGM_RSRC2:SCRATCH_EN: 0
; COMPUTE_PGM_RSRC2:USER_SGPR: 2
; COMPUTE_PGM_RSRC2:TRAP_HANDLER: 0
; COMPUTE_PGM_RSRC2:TGID_X_EN: 1
; COMPUTE_PGM_RSRC2:TGID_Y_EN: 0
; COMPUTE_PGM_RSRC2:TGID_Z_EN: 0
; COMPUTE_PGM_RSRC2:TIDIG_COMP_CNT: 0
	.section	.text._ZN7rocprim17ROCPRIM_400000_NS6detail17trampoline_kernelINS0_14default_configENS1_27scan_by_key_config_selectorIiiEEZZNS1_16scan_by_key_implILNS1_25lookback_scan_determinismE0ELb1ES3_N6thrust23THRUST_200600_302600_NS6detail15normal_iteratorINS9_10device_ptrIiEEEESE_SE_iNS9_4plusIiEE19head_flag_predicateiEE10hipError_tPvRmT2_T3_T4_T5_mT6_T7_P12ihipStream_tbENKUlT_T0_E_clISt17integral_constantIbLb1EESY_EEDaST_SU_EUlST_E_NS1_11comp_targetILNS1_3genE5ELNS1_11target_archE942ELNS1_3gpuE9ELNS1_3repE0EEENS1_30default_config_static_selectorELNS0_4arch9wavefront6targetE0EEEvT1_,"axG",@progbits,_ZN7rocprim17ROCPRIM_400000_NS6detail17trampoline_kernelINS0_14default_configENS1_27scan_by_key_config_selectorIiiEEZZNS1_16scan_by_key_implILNS1_25lookback_scan_determinismE0ELb1ES3_N6thrust23THRUST_200600_302600_NS6detail15normal_iteratorINS9_10device_ptrIiEEEESE_SE_iNS9_4plusIiEE19head_flag_predicateiEE10hipError_tPvRmT2_T3_T4_T5_mT6_T7_P12ihipStream_tbENKUlT_T0_E_clISt17integral_constantIbLb1EESY_EEDaST_SU_EUlST_E_NS1_11comp_targetILNS1_3genE5ELNS1_11target_archE942ELNS1_3gpuE9ELNS1_3repE0EEENS1_30default_config_static_selectorELNS0_4arch9wavefront6targetE0EEEvT1_,comdat
	.protected	_ZN7rocprim17ROCPRIM_400000_NS6detail17trampoline_kernelINS0_14default_configENS1_27scan_by_key_config_selectorIiiEEZZNS1_16scan_by_key_implILNS1_25lookback_scan_determinismE0ELb1ES3_N6thrust23THRUST_200600_302600_NS6detail15normal_iteratorINS9_10device_ptrIiEEEESE_SE_iNS9_4plusIiEE19head_flag_predicateiEE10hipError_tPvRmT2_T3_T4_T5_mT6_T7_P12ihipStream_tbENKUlT_T0_E_clISt17integral_constantIbLb1EESY_EEDaST_SU_EUlST_E_NS1_11comp_targetILNS1_3genE5ELNS1_11target_archE942ELNS1_3gpuE9ELNS1_3repE0EEENS1_30default_config_static_selectorELNS0_4arch9wavefront6targetE0EEEvT1_ ; -- Begin function _ZN7rocprim17ROCPRIM_400000_NS6detail17trampoline_kernelINS0_14default_configENS1_27scan_by_key_config_selectorIiiEEZZNS1_16scan_by_key_implILNS1_25lookback_scan_determinismE0ELb1ES3_N6thrust23THRUST_200600_302600_NS6detail15normal_iteratorINS9_10device_ptrIiEEEESE_SE_iNS9_4plusIiEE19head_flag_predicateiEE10hipError_tPvRmT2_T3_T4_T5_mT6_T7_P12ihipStream_tbENKUlT_T0_E_clISt17integral_constantIbLb1EESY_EEDaST_SU_EUlST_E_NS1_11comp_targetILNS1_3genE5ELNS1_11target_archE942ELNS1_3gpuE9ELNS1_3repE0EEENS1_30default_config_static_selectorELNS0_4arch9wavefront6targetE0EEEvT1_
	.globl	_ZN7rocprim17ROCPRIM_400000_NS6detail17trampoline_kernelINS0_14default_configENS1_27scan_by_key_config_selectorIiiEEZZNS1_16scan_by_key_implILNS1_25lookback_scan_determinismE0ELb1ES3_N6thrust23THRUST_200600_302600_NS6detail15normal_iteratorINS9_10device_ptrIiEEEESE_SE_iNS9_4plusIiEE19head_flag_predicateiEE10hipError_tPvRmT2_T3_T4_T5_mT6_T7_P12ihipStream_tbENKUlT_T0_E_clISt17integral_constantIbLb1EESY_EEDaST_SU_EUlST_E_NS1_11comp_targetILNS1_3genE5ELNS1_11target_archE942ELNS1_3gpuE9ELNS1_3repE0EEENS1_30default_config_static_selectorELNS0_4arch9wavefront6targetE0EEEvT1_
	.p2align	8
	.type	_ZN7rocprim17ROCPRIM_400000_NS6detail17trampoline_kernelINS0_14default_configENS1_27scan_by_key_config_selectorIiiEEZZNS1_16scan_by_key_implILNS1_25lookback_scan_determinismE0ELb1ES3_N6thrust23THRUST_200600_302600_NS6detail15normal_iteratorINS9_10device_ptrIiEEEESE_SE_iNS9_4plusIiEE19head_flag_predicateiEE10hipError_tPvRmT2_T3_T4_T5_mT6_T7_P12ihipStream_tbENKUlT_T0_E_clISt17integral_constantIbLb1EESY_EEDaST_SU_EUlST_E_NS1_11comp_targetILNS1_3genE5ELNS1_11target_archE942ELNS1_3gpuE9ELNS1_3repE0EEENS1_30default_config_static_selectorELNS0_4arch9wavefront6targetE0EEEvT1_,@function
_ZN7rocprim17ROCPRIM_400000_NS6detail17trampoline_kernelINS0_14default_configENS1_27scan_by_key_config_selectorIiiEEZZNS1_16scan_by_key_implILNS1_25lookback_scan_determinismE0ELb1ES3_N6thrust23THRUST_200600_302600_NS6detail15normal_iteratorINS9_10device_ptrIiEEEESE_SE_iNS9_4plusIiEE19head_flag_predicateiEE10hipError_tPvRmT2_T3_T4_T5_mT6_T7_P12ihipStream_tbENKUlT_T0_E_clISt17integral_constantIbLb1EESY_EEDaST_SU_EUlST_E_NS1_11comp_targetILNS1_3genE5ELNS1_11target_archE942ELNS1_3gpuE9ELNS1_3repE0EEENS1_30default_config_static_selectorELNS0_4arch9wavefront6targetE0EEEvT1_: ; @_ZN7rocprim17ROCPRIM_400000_NS6detail17trampoline_kernelINS0_14default_configENS1_27scan_by_key_config_selectorIiiEEZZNS1_16scan_by_key_implILNS1_25lookback_scan_determinismE0ELb1ES3_N6thrust23THRUST_200600_302600_NS6detail15normal_iteratorINS9_10device_ptrIiEEEESE_SE_iNS9_4plusIiEE19head_flag_predicateiEE10hipError_tPvRmT2_T3_T4_T5_mT6_T7_P12ihipStream_tbENKUlT_T0_E_clISt17integral_constantIbLb1EESY_EEDaST_SU_EUlST_E_NS1_11comp_targetILNS1_3genE5ELNS1_11target_archE942ELNS1_3gpuE9ELNS1_3repE0EEENS1_30default_config_static_selectorELNS0_4arch9wavefront6targetE0EEEvT1_
; %bb.0:
	.section	.rodata,"a",@progbits
	.p2align	6, 0x0
	.amdhsa_kernel _ZN7rocprim17ROCPRIM_400000_NS6detail17trampoline_kernelINS0_14default_configENS1_27scan_by_key_config_selectorIiiEEZZNS1_16scan_by_key_implILNS1_25lookback_scan_determinismE0ELb1ES3_N6thrust23THRUST_200600_302600_NS6detail15normal_iteratorINS9_10device_ptrIiEEEESE_SE_iNS9_4plusIiEE19head_flag_predicateiEE10hipError_tPvRmT2_T3_T4_T5_mT6_T7_P12ihipStream_tbENKUlT_T0_E_clISt17integral_constantIbLb1EESY_EEDaST_SU_EUlST_E_NS1_11comp_targetILNS1_3genE5ELNS1_11target_archE942ELNS1_3gpuE9ELNS1_3repE0EEENS1_30default_config_static_selectorELNS0_4arch9wavefront6targetE0EEEvT1_
		.amdhsa_group_segment_fixed_size 0
		.amdhsa_private_segment_fixed_size 0
		.amdhsa_kernarg_size 112
		.amdhsa_user_sgpr_count 2
		.amdhsa_user_sgpr_dispatch_ptr 0
		.amdhsa_user_sgpr_queue_ptr 0
		.amdhsa_user_sgpr_kernarg_segment_ptr 1
		.amdhsa_user_sgpr_dispatch_id 0
		.amdhsa_user_sgpr_kernarg_preload_length 0
		.amdhsa_user_sgpr_kernarg_preload_offset 0
		.amdhsa_user_sgpr_private_segment_size 0
		.amdhsa_wavefront_size32 1
		.amdhsa_uses_dynamic_stack 0
		.amdhsa_enable_private_segment 0
		.amdhsa_system_sgpr_workgroup_id_x 1
		.amdhsa_system_sgpr_workgroup_id_y 0
		.amdhsa_system_sgpr_workgroup_id_z 0
		.amdhsa_system_sgpr_workgroup_info 0
		.amdhsa_system_vgpr_workitem_id 0
		.amdhsa_next_free_vgpr 1
		.amdhsa_next_free_sgpr 1
		.amdhsa_named_barrier_count 0
		.amdhsa_reserve_vcc 0
		.amdhsa_float_round_mode_32 0
		.amdhsa_float_round_mode_16_64 0
		.amdhsa_float_denorm_mode_32 3
		.amdhsa_float_denorm_mode_16_64 3
		.amdhsa_fp16_overflow 0
		.amdhsa_memory_ordered 1
		.amdhsa_forward_progress 1
		.amdhsa_inst_pref_size 0
		.amdhsa_round_robin_scheduling 0
		.amdhsa_exception_fp_ieee_invalid_op 0
		.amdhsa_exception_fp_denorm_src 0
		.amdhsa_exception_fp_ieee_div_zero 0
		.amdhsa_exception_fp_ieee_overflow 0
		.amdhsa_exception_fp_ieee_underflow 0
		.amdhsa_exception_fp_ieee_inexact 0
		.amdhsa_exception_int_div_zero 0
	.end_amdhsa_kernel
	.section	.text._ZN7rocprim17ROCPRIM_400000_NS6detail17trampoline_kernelINS0_14default_configENS1_27scan_by_key_config_selectorIiiEEZZNS1_16scan_by_key_implILNS1_25lookback_scan_determinismE0ELb1ES3_N6thrust23THRUST_200600_302600_NS6detail15normal_iteratorINS9_10device_ptrIiEEEESE_SE_iNS9_4plusIiEE19head_flag_predicateiEE10hipError_tPvRmT2_T3_T4_T5_mT6_T7_P12ihipStream_tbENKUlT_T0_E_clISt17integral_constantIbLb1EESY_EEDaST_SU_EUlST_E_NS1_11comp_targetILNS1_3genE5ELNS1_11target_archE942ELNS1_3gpuE9ELNS1_3repE0EEENS1_30default_config_static_selectorELNS0_4arch9wavefront6targetE0EEEvT1_,"axG",@progbits,_ZN7rocprim17ROCPRIM_400000_NS6detail17trampoline_kernelINS0_14default_configENS1_27scan_by_key_config_selectorIiiEEZZNS1_16scan_by_key_implILNS1_25lookback_scan_determinismE0ELb1ES3_N6thrust23THRUST_200600_302600_NS6detail15normal_iteratorINS9_10device_ptrIiEEEESE_SE_iNS9_4plusIiEE19head_flag_predicateiEE10hipError_tPvRmT2_T3_T4_T5_mT6_T7_P12ihipStream_tbENKUlT_T0_E_clISt17integral_constantIbLb1EESY_EEDaST_SU_EUlST_E_NS1_11comp_targetILNS1_3genE5ELNS1_11target_archE942ELNS1_3gpuE9ELNS1_3repE0EEENS1_30default_config_static_selectorELNS0_4arch9wavefront6targetE0EEEvT1_,comdat
.Lfunc_end796:
	.size	_ZN7rocprim17ROCPRIM_400000_NS6detail17trampoline_kernelINS0_14default_configENS1_27scan_by_key_config_selectorIiiEEZZNS1_16scan_by_key_implILNS1_25lookback_scan_determinismE0ELb1ES3_N6thrust23THRUST_200600_302600_NS6detail15normal_iteratorINS9_10device_ptrIiEEEESE_SE_iNS9_4plusIiEE19head_flag_predicateiEE10hipError_tPvRmT2_T3_T4_T5_mT6_T7_P12ihipStream_tbENKUlT_T0_E_clISt17integral_constantIbLb1EESY_EEDaST_SU_EUlST_E_NS1_11comp_targetILNS1_3genE5ELNS1_11target_archE942ELNS1_3gpuE9ELNS1_3repE0EEENS1_30default_config_static_selectorELNS0_4arch9wavefront6targetE0EEEvT1_, .Lfunc_end796-_ZN7rocprim17ROCPRIM_400000_NS6detail17trampoline_kernelINS0_14default_configENS1_27scan_by_key_config_selectorIiiEEZZNS1_16scan_by_key_implILNS1_25lookback_scan_determinismE0ELb1ES3_N6thrust23THRUST_200600_302600_NS6detail15normal_iteratorINS9_10device_ptrIiEEEESE_SE_iNS9_4plusIiEE19head_flag_predicateiEE10hipError_tPvRmT2_T3_T4_T5_mT6_T7_P12ihipStream_tbENKUlT_T0_E_clISt17integral_constantIbLb1EESY_EEDaST_SU_EUlST_E_NS1_11comp_targetILNS1_3genE5ELNS1_11target_archE942ELNS1_3gpuE9ELNS1_3repE0EEENS1_30default_config_static_selectorELNS0_4arch9wavefront6targetE0EEEvT1_
                                        ; -- End function
	.set _ZN7rocprim17ROCPRIM_400000_NS6detail17trampoline_kernelINS0_14default_configENS1_27scan_by_key_config_selectorIiiEEZZNS1_16scan_by_key_implILNS1_25lookback_scan_determinismE0ELb1ES3_N6thrust23THRUST_200600_302600_NS6detail15normal_iteratorINS9_10device_ptrIiEEEESE_SE_iNS9_4plusIiEE19head_flag_predicateiEE10hipError_tPvRmT2_T3_T4_T5_mT6_T7_P12ihipStream_tbENKUlT_T0_E_clISt17integral_constantIbLb1EESY_EEDaST_SU_EUlST_E_NS1_11comp_targetILNS1_3genE5ELNS1_11target_archE942ELNS1_3gpuE9ELNS1_3repE0EEENS1_30default_config_static_selectorELNS0_4arch9wavefront6targetE0EEEvT1_.num_vgpr, 0
	.set _ZN7rocprim17ROCPRIM_400000_NS6detail17trampoline_kernelINS0_14default_configENS1_27scan_by_key_config_selectorIiiEEZZNS1_16scan_by_key_implILNS1_25lookback_scan_determinismE0ELb1ES3_N6thrust23THRUST_200600_302600_NS6detail15normal_iteratorINS9_10device_ptrIiEEEESE_SE_iNS9_4plusIiEE19head_flag_predicateiEE10hipError_tPvRmT2_T3_T4_T5_mT6_T7_P12ihipStream_tbENKUlT_T0_E_clISt17integral_constantIbLb1EESY_EEDaST_SU_EUlST_E_NS1_11comp_targetILNS1_3genE5ELNS1_11target_archE942ELNS1_3gpuE9ELNS1_3repE0EEENS1_30default_config_static_selectorELNS0_4arch9wavefront6targetE0EEEvT1_.num_agpr, 0
	.set _ZN7rocprim17ROCPRIM_400000_NS6detail17trampoline_kernelINS0_14default_configENS1_27scan_by_key_config_selectorIiiEEZZNS1_16scan_by_key_implILNS1_25lookback_scan_determinismE0ELb1ES3_N6thrust23THRUST_200600_302600_NS6detail15normal_iteratorINS9_10device_ptrIiEEEESE_SE_iNS9_4plusIiEE19head_flag_predicateiEE10hipError_tPvRmT2_T3_T4_T5_mT6_T7_P12ihipStream_tbENKUlT_T0_E_clISt17integral_constantIbLb1EESY_EEDaST_SU_EUlST_E_NS1_11comp_targetILNS1_3genE5ELNS1_11target_archE942ELNS1_3gpuE9ELNS1_3repE0EEENS1_30default_config_static_selectorELNS0_4arch9wavefront6targetE0EEEvT1_.numbered_sgpr, 0
	.set _ZN7rocprim17ROCPRIM_400000_NS6detail17trampoline_kernelINS0_14default_configENS1_27scan_by_key_config_selectorIiiEEZZNS1_16scan_by_key_implILNS1_25lookback_scan_determinismE0ELb1ES3_N6thrust23THRUST_200600_302600_NS6detail15normal_iteratorINS9_10device_ptrIiEEEESE_SE_iNS9_4plusIiEE19head_flag_predicateiEE10hipError_tPvRmT2_T3_T4_T5_mT6_T7_P12ihipStream_tbENKUlT_T0_E_clISt17integral_constantIbLb1EESY_EEDaST_SU_EUlST_E_NS1_11comp_targetILNS1_3genE5ELNS1_11target_archE942ELNS1_3gpuE9ELNS1_3repE0EEENS1_30default_config_static_selectorELNS0_4arch9wavefront6targetE0EEEvT1_.num_named_barrier, 0
	.set _ZN7rocprim17ROCPRIM_400000_NS6detail17trampoline_kernelINS0_14default_configENS1_27scan_by_key_config_selectorIiiEEZZNS1_16scan_by_key_implILNS1_25lookback_scan_determinismE0ELb1ES3_N6thrust23THRUST_200600_302600_NS6detail15normal_iteratorINS9_10device_ptrIiEEEESE_SE_iNS9_4plusIiEE19head_flag_predicateiEE10hipError_tPvRmT2_T3_T4_T5_mT6_T7_P12ihipStream_tbENKUlT_T0_E_clISt17integral_constantIbLb1EESY_EEDaST_SU_EUlST_E_NS1_11comp_targetILNS1_3genE5ELNS1_11target_archE942ELNS1_3gpuE9ELNS1_3repE0EEENS1_30default_config_static_selectorELNS0_4arch9wavefront6targetE0EEEvT1_.private_seg_size, 0
	.set _ZN7rocprim17ROCPRIM_400000_NS6detail17trampoline_kernelINS0_14default_configENS1_27scan_by_key_config_selectorIiiEEZZNS1_16scan_by_key_implILNS1_25lookback_scan_determinismE0ELb1ES3_N6thrust23THRUST_200600_302600_NS6detail15normal_iteratorINS9_10device_ptrIiEEEESE_SE_iNS9_4plusIiEE19head_flag_predicateiEE10hipError_tPvRmT2_T3_T4_T5_mT6_T7_P12ihipStream_tbENKUlT_T0_E_clISt17integral_constantIbLb1EESY_EEDaST_SU_EUlST_E_NS1_11comp_targetILNS1_3genE5ELNS1_11target_archE942ELNS1_3gpuE9ELNS1_3repE0EEENS1_30default_config_static_selectorELNS0_4arch9wavefront6targetE0EEEvT1_.uses_vcc, 0
	.set _ZN7rocprim17ROCPRIM_400000_NS6detail17trampoline_kernelINS0_14default_configENS1_27scan_by_key_config_selectorIiiEEZZNS1_16scan_by_key_implILNS1_25lookback_scan_determinismE0ELb1ES3_N6thrust23THRUST_200600_302600_NS6detail15normal_iteratorINS9_10device_ptrIiEEEESE_SE_iNS9_4plusIiEE19head_flag_predicateiEE10hipError_tPvRmT2_T3_T4_T5_mT6_T7_P12ihipStream_tbENKUlT_T0_E_clISt17integral_constantIbLb1EESY_EEDaST_SU_EUlST_E_NS1_11comp_targetILNS1_3genE5ELNS1_11target_archE942ELNS1_3gpuE9ELNS1_3repE0EEENS1_30default_config_static_selectorELNS0_4arch9wavefront6targetE0EEEvT1_.uses_flat_scratch, 0
	.set _ZN7rocprim17ROCPRIM_400000_NS6detail17trampoline_kernelINS0_14default_configENS1_27scan_by_key_config_selectorIiiEEZZNS1_16scan_by_key_implILNS1_25lookback_scan_determinismE0ELb1ES3_N6thrust23THRUST_200600_302600_NS6detail15normal_iteratorINS9_10device_ptrIiEEEESE_SE_iNS9_4plusIiEE19head_flag_predicateiEE10hipError_tPvRmT2_T3_T4_T5_mT6_T7_P12ihipStream_tbENKUlT_T0_E_clISt17integral_constantIbLb1EESY_EEDaST_SU_EUlST_E_NS1_11comp_targetILNS1_3genE5ELNS1_11target_archE942ELNS1_3gpuE9ELNS1_3repE0EEENS1_30default_config_static_selectorELNS0_4arch9wavefront6targetE0EEEvT1_.has_dyn_sized_stack, 0
	.set _ZN7rocprim17ROCPRIM_400000_NS6detail17trampoline_kernelINS0_14default_configENS1_27scan_by_key_config_selectorIiiEEZZNS1_16scan_by_key_implILNS1_25lookback_scan_determinismE0ELb1ES3_N6thrust23THRUST_200600_302600_NS6detail15normal_iteratorINS9_10device_ptrIiEEEESE_SE_iNS9_4plusIiEE19head_flag_predicateiEE10hipError_tPvRmT2_T3_T4_T5_mT6_T7_P12ihipStream_tbENKUlT_T0_E_clISt17integral_constantIbLb1EESY_EEDaST_SU_EUlST_E_NS1_11comp_targetILNS1_3genE5ELNS1_11target_archE942ELNS1_3gpuE9ELNS1_3repE0EEENS1_30default_config_static_selectorELNS0_4arch9wavefront6targetE0EEEvT1_.has_recursion, 0
	.set _ZN7rocprim17ROCPRIM_400000_NS6detail17trampoline_kernelINS0_14default_configENS1_27scan_by_key_config_selectorIiiEEZZNS1_16scan_by_key_implILNS1_25lookback_scan_determinismE0ELb1ES3_N6thrust23THRUST_200600_302600_NS6detail15normal_iteratorINS9_10device_ptrIiEEEESE_SE_iNS9_4plusIiEE19head_flag_predicateiEE10hipError_tPvRmT2_T3_T4_T5_mT6_T7_P12ihipStream_tbENKUlT_T0_E_clISt17integral_constantIbLb1EESY_EEDaST_SU_EUlST_E_NS1_11comp_targetILNS1_3genE5ELNS1_11target_archE942ELNS1_3gpuE9ELNS1_3repE0EEENS1_30default_config_static_selectorELNS0_4arch9wavefront6targetE0EEEvT1_.has_indirect_call, 0
	.section	.AMDGPU.csdata,"",@progbits
; Kernel info:
; codeLenInByte = 0
; TotalNumSgprs: 0
; NumVgprs: 0
; ScratchSize: 0
; MemoryBound: 0
; FloatMode: 240
; IeeeMode: 1
; LDSByteSize: 0 bytes/workgroup (compile time only)
; SGPRBlocks: 0
; VGPRBlocks: 0
; NumSGPRsForWavesPerEU: 1
; NumVGPRsForWavesPerEU: 1
; NamedBarCnt: 0
; Occupancy: 16
; WaveLimiterHint : 0
; COMPUTE_PGM_RSRC2:SCRATCH_EN: 0
; COMPUTE_PGM_RSRC2:USER_SGPR: 2
; COMPUTE_PGM_RSRC2:TRAP_HANDLER: 0
; COMPUTE_PGM_RSRC2:TGID_X_EN: 1
; COMPUTE_PGM_RSRC2:TGID_Y_EN: 0
; COMPUTE_PGM_RSRC2:TGID_Z_EN: 0
; COMPUTE_PGM_RSRC2:TIDIG_COMP_CNT: 0
	.section	.text._ZN7rocprim17ROCPRIM_400000_NS6detail17trampoline_kernelINS0_14default_configENS1_27scan_by_key_config_selectorIiiEEZZNS1_16scan_by_key_implILNS1_25lookback_scan_determinismE0ELb1ES3_N6thrust23THRUST_200600_302600_NS6detail15normal_iteratorINS9_10device_ptrIiEEEESE_SE_iNS9_4plusIiEE19head_flag_predicateiEE10hipError_tPvRmT2_T3_T4_T5_mT6_T7_P12ihipStream_tbENKUlT_T0_E_clISt17integral_constantIbLb1EESY_EEDaST_SU_EUlST_E_NS1_11comp_targetILNS1_3genE4ELNS1_11target_archE910ELNS1_3gpuE8ELNS1_3repE0EEENS1_30default_config_static_selectorELNS0_4arch9wavefront6targetE0EEEvT1_,"axG",@progbits,_ZN7rocprim17ROCPRIM_400000_NS6detail17trampoline_kernelINS0_14default_configENS1_27scan_by_key_config_selectorIiiEEZZNS1_16scan_by_key_implILNS1_25lookback_scan_determinismE0ELb1ES3_N6thrust23THRUST_200600_302600_NS6detail15normal_iteratorINS9_10device_ptrIiEEEESE_SE_iNS9_4plusIiEE19head_flag_predicateiEE10hipError_tPvRmT2_T3_T4_T5_mT6_T7_P12ihipStream_tbENKUlT_T0_E_clISt17integral_constantIbLb1EESY_EEDaST_SU_EUlST_E_NS1_11comp_targetILNS1_3genE4ELNS1_11target_archE910ELNS1_3gpuE8ELNS1_3repE0EEENS1_30default_config_static_selectorELNS0_4arch9wavefront6targetE0EEEvT1_,comdat
	.protected	_ZN7rocprim17ROCPRIM_400000_NS6detail17trampoline_kernelINS0_14default_configENS1_27scan_by_key_config_selectorIiiEEZZNS1_16scan_by_key_implILNS1_25lookback_scan_determinismE0ELb1ES3_N6thrust23THRUST_200600_302600_NS6detail15normal_iteratorINS9_10device_ptrIiEEEESE_SE_iNS9_4plusIiEE19head_flag_predicateiEE10hipError_tPvRmT2_T3_T4_T5_mT6_T7_P12ihipStream_tbENKUlT_T0_E_clISt17integral_constantIbLb1EESY_EEDaST_SU_EUlST_E_NS1_11comp_targetILNS1_3genE4ELNS1_11target_archE910ELNS1_3gpuE8ELNS1_3repE0EEENS1_30default_config_static_selectorELNS0_4arch9wavefront6targetE0EEEvT1_ ; -- Begin function _ZN7rocprim17ROCPRIM_400000_NS6detail17trampoline_kernelINS0_14default_configENS1_27scan_by_key_config_selectorIiiEEZZNS1_16scan_by_key_implILNS1_25lookback_scan_determinismE0ELb1ES3_N6thrust23THRUST_200600_302600_NS6detail15normal_iteratorINS9_10device_ptrIiEEEESE_SE_iNS9_4plusIiEE19head_flag_predicateiEE10hipError_tPvRmT2_T3_T4_T5_mT6_T7_P12ihipStream_tbENKUlT_T0_E_clISt17integral_constantIbLb1EESY_EEDaST_SU_EUlST_E_NS1_11comp_targetILNS1_3genE4ELNS1_11target_archE910ELNS1_3gpuE8ELNS1_3repE0EEENS1_30default_config_static_selectorELNS0_4arch9wavefront6targetE0EEEvT1_
	.globl	_ZN7rocprim17ROCPRIM_400000_NS6detail17trampoline_kernelINS0_14default_configENS1_27scan_by_key_config_selectorIiiEEZZNS1_16scan_by_key_implILNS1_25lookback_scan_determinismE0ELb1ES3_N6thrust23THRUST_200600_302600_NS6detail15normal_iteratorINS9_10device_ptrIiEEEESE_SE_iNS9_4plusIiEE19head_flag_predicateiEE10hipError_tPvRmT2_T3_T4_T5_mT6_T7_P12ihipStream_tbENKUlT_T0_E_clISt17integral_constantIbLb1EESY_EEDaST_SU_EUlST_E_NS1_11comp_targetILNS1_3genE4ELNS1_11target_archE910ELNS1_3gpuE8ELNS1_3repE0EEENS1_30default_config_static_selectorELNS0_4arch9wavefront6targetE0EEEvT1_
	.p2align	8
	.type	_ZN7rocprim17ROCPRIM_400000_NS6detail17trampoline_kernelINS0_14default_configENS1_27scan_by_key_config_selectorIiiEEZZNS1_16scan_by_key_implILNS1_25lookback_scan_determinismE0ELb1ES3_N6thrust23THRUST_200600_302600_NS6detail15normal_iteratorINS9_10device_ptrIiEEEESE_SE_iNS9_4plusIiEE19head_flag_predicateiEE10hipError_tPvRmT2_T3_T4_T5_mT6_T7_P12ihipStream_tbENKUlT_T0_E_clISt17integral_constantIbLb1EESY_EEDaST_SU_EUlST_E_NS1_11comp_targetILNS1_3genE4ELNS1_11target_archE910ELNS1_3gpuE8ELNS1_3repE0EEENS1_30default_config_static_selectorELNS0_4arch9wavefront6targetE0EEEvT1_,@function
_ZN7rocprim17ROCPRIM_400000_NS6detail17trampoline_kernelINS0_14default_configENS1_27scan_by_key_config_selectorIiiEEZZNS1_16scan_by_key_implILNS1_25lookback_scan_determinismE0ELb1ES3_N6thrust23THRUST_200600_302600_NS6detail15normal_iteratorINS9_10device_ptrIiEEEESE_SE_iNS9_4plusIiEE19head_flag_predicateiEE10hipError_tPvRmT2_T3_T4_T5_mT6_T7_P12ihipStream_tbENKUlT_T0_E_clISt17integral_constantIbLb1EESY_EEDaST_SU_EUlST_E_NS1_11comp_targetILNS1_3genE4ELNS1_11target_archE910ELNS1_3gpuE8ELNS1_3repE0EEENS1_30default_config_static_selectorELNS0_4arch9wavefront6targetE0EEEvT1_: ; @_ZN7rocprim17ROCPRIM_400000_NS6detail17trampoline_kernelINS0_14default_configENS1_27scan_by_key_config_selectorIiiEEZZNS1_16scan_by_key_implILNS1_25lookback_scan_determinismE0ELb1ES3_N6thrust23THRUST_200600_302600_NS6detail15normal_iteratorINS9_10device_ptrIiEEEESE_SE_iNS9_4plusIiEE19head_flag_predicateiEE10hipError_tPvRmT2_T3_T4_T5_mT6_T7_P12ihipStream_tbENKUlT_T0_E_clISt17integral_constantIbLb1EESY_EEDaST_SU_EUlST_E_NS1_11comp_targetILNS1_3genE4ELNS1_11target_archE910ELNS1_3gpuE8ELNS1_3repE0EEENS1_30default_config_static_selectorELNS0_4arch9wavefront6targetE0EEEvT1_
; %bb.0:
	.section	.rodata,"a",@progbits
	.p2align	6, 0x0
	.amdhsa_kernel _ZN7rocprim17ROCPRIM_400000_NS6detail17trampoline_kernelINS0_14default_configENS1_27scan_by_key_config_selectorIiiEEZZNS1_16scan_by_key_implILNS1_25lookback_scan_determinismE0ELb1ES3_N6thrust23THRUST_200600_302600_NS6detail15normal_iteratorINS9_10device_ptrIiEEEESE_SE_iNS9_4plusIiEE19head_flag_predicateiEE10hipError_tPvRmT2_T3_T4_T5_mT6_T7_P12ihipStream_tbENKUlT_T0_E_clISt17integral_constantIbLb1EESY_EEDaST_SU_EUlST_E_NS1_11comp_targetILNS1_3genE4ELNS1_11target_archE910ELNS1_3gpuE8ELNS1_3repE0EEENS1_30default_config_static_selectorELNS0_4arch9wavefront6targetE0EEEvT1_
		.amdhsa_group_segment_fixed_size 0
		.amdhsa_private_segment_fixed_size 0
		.amdhsa_kernarg_size 112
		.amdhsa_user_sgpr_count 2
		.amdhsa_user_sgpr_dispatch_ptr 0
		.amdhsa_user_sgpr_queue_ptr 0
		.amdhsa_user_sgpr_kernarg_segment_ptr 1
		.amdhsa_user_sgpr_dispatch_id 0
		.amdhsa_user_sgpr_kernarg_preload_length 0
		.amdhsa_user_sgpr_kernarg_preload_offset 0
		.amdhsa_user_sgpr_private_segment_size 0
		.amdhsa_wavefront_size32 1
		.amdhsa_uses_dynamic_stack 0
		.amdhsa_enable_private_segment 0
		.amdhsa_system_sgpr_workgroup_id_x 1
		.amdhsa_system_sgpr_workgroup_id_y 0
		.amdhsa_system_sgpr_workgroup_id_z 0
		.amdhsa_system_sgpr_workgroup_info 0
		.amdhsa_system_vgpr_workitem_id 0
		.amdhsa_next_free_vgpr 1
		.amdhsa_next_free_sgpr 1
		.amdhsa_named_barrier_count 0
		.amdhsa_reserve_vcc 0
		.amdhsa_float_round_mode_32 0
		.amdhsa_float_round_mode_16_64 0
		.amdhsa_float_denorm_mode_32 3
		.amdhsa_float_denorm_mode_16_64 3
		.amdhsa_fp16_overflow 0
		.amdhsa_memory_ordered 1
		.amdhsa_forward_progress 1
		.amdhsa_inst_pref_size 0
		.amdhsa_round_robin_scheduling 0
		.amdhsa_exception_fp_ieee_invalid_op 0
		.amdhsa_exception_fp_denorm_src 0
		.amdhsa_exception_fp_ieee_div_zero 0
		.amdhsa_exception_fp_ieee_overflow 0
		.amdhsa_exception_fp_ieee_underflow 0
		.amdhsa_exception_fp_ieee_inexact 0
		.amdhsa_exception_int_div_zero 0
	.end_amdhsa_kernel
	.section	.text._ZN7rocprim17ROCPRIM_400000_NS6detail17trampoline_kernelINS0_14default_configENS1_27scan_by_key_config_selectorIiiEEZZNS1_16scan_by_key_implILNS1_25lookback_scan_determinismE0ELb1ES3_N6thrust23THRUST_200600_302600_NS6detail15normal_iteratorINS9_10device_ptrIiEEEESE_SE_iNS9_4plusIiEE19head_flag_predicateiEE10hipError_tPvRmT2_T3_T4_T5_mT6_T7_P12ihipStream_tbENKUlT_T0_E_clISt17integral_constantIbLb1EESY_EEDaST_SU_EUlST_E_NS1_11comp_targetILNS1_3genE4ELNS1_11target_archE910ELNS1_3gpuE8ELNS1_3repE0EEENS1_30default_config_static_selectorELNS0_4arch9wavefront6targetE0EEEvT1_,"axG",@progbits,_ZN7rocprim17ROCPRIM_400000_NS6detail17trampoline_kernelINS0_14default_configENS1_27scan_by_key_config_selectorIiiEEZZNS1_16scan_by_key_implILNS1_25lookback_scan_determinismE0ELb1ES3_N6thrust23THRUST_200600_302600_NS6detail15normal_iteratorINS9_10device_ptrIiEEEESE_SE_iNS9_4plusIiEE19head_flag_predicateiEE10hipError_tPvRmT2_T3_T4_T5_mT6_T7_P12ihipStream_tbENKUlT_T0_E_clISt17integral_constantIbLb1EESY_EEDaST_SU_EUlST_E_NS1_11comp_targetILNS1_3genE4ELNS1_11target_archE910ELNS1_3gpuE8ELNS1_3repE0EEENS1_30default_config_static_selectorELNS0_4arch9wavefront6targetE0EEEvT1_,comdat
.Lfunc_end797:
	.size	_ZN7rocprim17ROCPRIM_400000_NS6detail17trampoline_kernelINS0_14default_configENS1_27scan_by_key_config_selectorIiiEEZZNS1_16scan_by_key_implILNS1_25lookback_scan_determinismE0ELb1ES3_N6thrust23THRUST_200600_302600_NS6detail15normal_iteratorINS9_10device_ptrIiEEEESE_SE_iNS9_4plusIiEE19head_flag_predicateiEE10hipError_tPvRmT2_T3_T4_T5_mT6_T7_P12ihipStream_tbENKUlT_T0_E_clISt17integral_constantIbLb1EESY_EEDaST_SU_EUlST_E_NS1_11comp_targetILNS1_3genE4ELNS1_11target_archE910ELNS1_3gpuE8ELNS1_3repE0EEENS1_30default_config_static_selectorELNS0_4arch9wavefront6targetE0EEEvT1_, .Lfunc_end797-_ZN7rocprim17ROCPRIM_400000_NS6detail17trampoline_kernelINS0_14default_configENS1_27scan_by_key_config_selectorIiiEEZZNS1_16scan_by_key_implILNS1_25lookback_scan_determinismE0ELb1ES3_N6thrust23THRUST_200600_302600_NS6detail15normal_iteratorINS9_10device_ptrIiEEEESE_SE_iNS9_4plusIiEE19head_flag_predicateiEE10hipError_tPvRmT2_T3_T4_T5_mT6_T7_P12ihipStream_tbENKUlT_T0_E_clISt17integral_constantIbLb1EESY_EEDaST_SU_EUlST_E_NS1_11comp_targetILNS1_3genE4ELNS1_11target_archE910ELNS1_3gpuE8ELNS1_3repE0EEENS1_30default_config_static_selectorELNS0_4arch9wavefront6targetE0EEEvT1_
                                        ; -- End function
	.set _ZN7rocprim17ROCPRIM_400000_NS6detail17trampoline_kernelINS0_14default_configENS1_27scan_by_key_config_selectorIiiEEZZNS1_16scan_by_key_implILNS1_25lookback_scan_determinismE0ELb1ES3_N6thrust23THRUST_200600_302600_NS6detail15normal_iteratorINS9_10device_ptrIiEEEESE_SE_iNS9_4plusIiEE19head_flag_predicateiEE10hipError_tPvRmT2_T3_T4_T5_mT6_T7_P12ihipStream_tbENKUlT_T0_E_clISt17integral_constantIbLb1EESY_EEDaST_SU_EUlST_E_NS1_11comp_targetILNS1_3genE4ELNS1_11target_archE910ELNS1_3gpuE8ELNS1_3repE0EEENS1_30default_config_static_selectorELNS0_4arch9wavefront6targetE0EEEvT1_.num_vgpr, 0
	.set _ZN7rocprim17ROCPRIM_400000_NS6detail17trampoline_kernelINS0_14default_configENS1_27scan_by_key_config_selectorIiiEEZZNS1_16scan_by_key_implILNS1_25lookback_scan_determinismE0ELb1ES3_N6thrust23THRUST_200600_302600_NS6detail15normal_iteratorINS9_10device_ptrIiEEEESE_SE_iNS9_4plusIiEE19head_flag_predicateiEE10hipError_tPvRmT2_T3_T4_T5_mT6_T7_P12ihipStream_tbENKUlT_T0_E_clISt17integral_constantIbLb1EESY_EEDaST_SU_EUlST_E_NS1_11comp_targetILNS1_3genE4ELNS1_11target_archE910ELNS1_3gpuE8ELNS1_3repE0EEENS1_30default_config_static_selectorELNS0_4arch9wavefront6targetE0EEEvT1_.num_agpr, 0
	.set _ZN7rocprim17ROCPRIM_400000_NS6detail17trampoline_kernelINS0_14default_configENS1_27scan_by_key_config_selectorIiiEEZZNS1_16scan_by_key_implILNS1_25lookback_scan_determinismE0ELb1ES3_N6thrust23THRUST_200600_302600_NS6detail15normal_iteratorINS9_10device_ptrIiEEEESE_SE_iNS9_4plusIiEE19head_flag_predicateiEE10hipError_tPvRmT2_T3_T4_T5_mT6_T7_P12ihipStream_tbENKUlT_T0_E_clISt17integral_constantIbLb1EESY_EEDaST_SU_EUlST_E_NS1_11comp_targetILNS1_3genE4ELNS1_11target_archE910ELNS1_3gpuE8ELNS1_3repE0EEENS1_30default_config_static_selectorELNS0_4arch9wavefront6targetE0EEEvT1_.numbered_sgpr, 0
	.set _ZN7rocprim17ROCPRIM_400000_NS6detail17trampoline_kernelINS0_14default_configENS1_27scan_by_key_config_selectorIiiEEZZNS1_16scan_by_key_implILNS1_25lookback_scan_determinismE0ELb1ES3_N6thrust23THRUST_200600_302600_NS6detail15normal_iteratorINS9_10device_ptrIiEEEESE_SE_iNS9_4plusIiEE19head_flag_predicateiEE10hipError_tPvRmT2_T3_T4_T5_mT6_T7_P12ihipStream_tbENKUlT_T0_E_clISt17integral_constantIbLb1EESY_EEDaST_SU_EUlST_E_NS1_11comp_targetILNS1_3genE4ELNS1_11target_archE910ELNS1_3gpuE8ELNS1_3repE0EEENS1_30default_config_static_selectorELNS0_4arch9wavefront6targetE0EEEvT1_.num_named_barrier, 0
	.set _ZN7rocprim17ROCPRIM_400000_NS6detail17trampoline_kernelINS0_14default_configENS1_27scan_by_key_config_selectorIiiEEZZNS1_16scan_by_key_implILNS1_25lookback_scan_determinismE0ELb1ES3_N6thrust23THRUST_200600_302600_NS6detail15normal_iteratorINS9_10device_ptrIiEEEESE_SE_iNS9_4plusIiEE19head_flag_predicateiEE10hipError_tPvRmT2_T3_T4_T5_mT6_T7_P12ihipStream_tbENKUlT_T0_E_clISt17integral_constantIbLb1EESY_EEDaST_SU_EUlST_E_NS1_11comp_targetILNS1_3genE4ELNS1_11target_archE910ELNS1_3gpuE8ELNS1_3repE0EEENS1_30default_config_static_selectorELNS0_4arch9wavefront6targetE0EEEvT1_.private_seg_size, 0
	.set _ZN7rocprim17ROCPRIM_400000_NS6detail17trampoline_kernelINS0_14default_configENS1_27scan_by_key_config_selectorIiiEEZZNS1_16scan_by_key_implILNS1_25lookback_scan_determinismE0ELb1ES3_N6thrust23THRUST_200600_302600_NS6detail15normal_iteratorINS9_10device_ptrIiEEEESE_SE_iNS9_4plusIiEE19head_flag_predicateiEE10hipError_tPvRmT2_T3_T4_T5_mT6_T7_P12ihipStream_tbENKUlT_T0_E_clISt17integral_constantIbLb1EESY_EEDaST_SU_EUlST_E_NS1_11comp_targetILNS1_3genE4ELNS1_11target_archE910ELNS1_3gpuE8ELNS1_3repE0EEENS1_30default_config_static_selectorELNS0_4arch9wavefront6targetE0EEEvT1_.uses_vcc, 0
	.set _ZN7rocprim17ROCPRIM_400000_NS6detail17trampoline_kernelINS0_14default_configENS1_27scan_by_key_config_selectorIiiEEZZNS1_16scan_by_key_implILNS1_25lookback_scan_determinismE0ELb1ES3_N6thrust23THRUST_200600_302600_NS6detail15normal_iteratorINS9_10device_ptrIiEEEESE_SE_iNS9_4plusIiEE19head_flag_predicateiEE10hipError_tPvRmT2_T3_T4_T5_mT6_T7_P12ihipStream_tbENKUlT_T0_E_clISt17integral_constantIbLb1EESY_EEDaST_SU_EUlST_E_NS1_11comp_targetILNS1_3genE4ELNS1_11target_archE910ELNS1_3gpuE8ELNS1_3repE0EEENS1_30default_config_static_selectorELNS0_4arch9wavefront6targetE0EEEvT1_.uses_flat_scratch, 0
	.set _ZN7rocprim17ROCPRIM_400000_NS6detail17trampoline_kernelINS0_14default_configENS1_27scan_by_key_config_selectorIiiEEZZNS1_16scan_by_key_implILNS1_25lookback_scan_determinismE0ELb1ES3_N6thrust23THRUST_200600_302600_NS6detail15normal_iteratorINS9_10device_ptrIiEEEESE_SE_iNS9_4plusIiEE19head_flag_predicateiEE10hipError_tPvRmT2_T3_T4_T5_mT6_T7_P12ihipStream_tbENKUlT_T0_E_clISt17integral_constantIbLb1EESY_EEDaST_SU_EUlST_E_NS1_11comp_targetILNS1_3genE4ELNS1_11target_archE910ELNS1_3gpuE8ELNS1_3repE0EEENS1_30default_config_static_selectorELNS0_4arch9wavefront6targetE0EEEvT1_.has_dyn_sized_stack, 0
	.set _ZN7rocprim17ROCPRIM_400000_NS6detail17trampoline_kernelINS0_14default_configENS1_27scan_by_key_config_selectorIiiEEZZNS1_16scan_by_key_implILNS1_25lookback_scan_determinismE0ELb1ES3_N6thrust23THRUST_200600_302600_NS6detail15normal_iteratorINS9_10device_ptrIiEEEESE_SE_iNS9_4plusIiEE19head_flag_predicateiEE10hipError_tPvRmT2_T3_T4_T5_mT6_T7_P12ihipStream_tbENKUlT_T0_E_clISt17integral_constantIbLb1EESY_EEDaST_SU_EUlST_E_NS1_11comp_targetILNS1_3genE4ELNS1_11target_archE910ELNS1_3gpuE8ELNS1_3repE0EEENS1_30default_config_static_selectorELNS0_4arch9wavefront6targetE0EEEvT1_.has_recursion, 0
	.set _ZN7rocprim17ROCPRIM_400000_NS6detail17trampoline_kernelINS0_14default_configENS1_27scan_by_key_config_selectorIiiEEZZNS1_16scan_by_key_implILNS1_25lookback_scan_determinismE0ELb1ES3_N6thrust23THRUST_200600_302600_NS6detail15normal_iteratorINS9_10device_ptrIiEEEESE_SE_iNS9_4plusIiEE19head_flag_predicateiEE10hipError_tPvRmT2_T3_T4_T5_mT6_T7_P12ihipStream_tbENKUlT_T0_E_clISt17integral_constantIbLb1EESY_EEDaST_SU_EUlST_E_NS1_11comp_targetILNS1_3genE4ELNS1_11target_archE910ELNS1_3gpuE8ELNS1_3repE0EEENS1_30default_config_static_selectorELNS0_4arch9wavefront6targetE0EEEvT1_.has_indirect_call, 0
	.section	.AMDGPU.csdata,"",@progbits
; Kernel info:
; codeLenInByte = 0
; TotalNumSgprs: 0
; NumVgprs: 0
; ScratchSize: 0
; MemoryBound: 0
; FloatMode: 240
; IeeeMode: 1
; LDSByteSize: 0 bytes/workgroup (compile time only)
; SGPRBlocks: 0
; VGPRBlocks: 0
; NumSGPRsForWavesPerEU: 1
; NumVGPRsForWavesPerEU: 1
; NamedBarCnt: 0
; Occupancy: 16
; WaveLimiterHint : 0
; COMPUTE_PGM_RSRC2:SCRATCH_EN: 0
; COMPUTE_PGM_RSRC2:USER_SGPR: 2
; COMPUTE_PGM_RSRC2:TRAP_HANDLER: 0
; COMPUTE_PGM_RSRC2:TGID_X_EN: 1
; COMPUTE_PGM_RSRC2:TGID_Y_EN: 0
; COMPUTE_PGM_RSRC2:TGID_Z_EN: 0
; COMPUTE_PGM_RSRC2:TIDIG_COMP_CNT: 0
	.section	.text._ZN7rocprim17ROCPRIM_400000_NS6detail17trampoline_kernelINS0_14default_configENS1_27scan_by_key_config_selectorIiiEEZZNS1_16scan_by_key_implILNS1_25lookback_scan_determinismE0ELb1ES3_N6thrust23THRUST_200600_302600_NS6detail15normal_iteratorINS9_10device_ptrIiEEEESE_SE_iNS9_4plusIiEE19head_flag_predicateiEE10hipError_tPvRmT2_T3_T4_T5_mT6_T7_P12ihipStream_tbENKUlT_T0_E_clISt17integral_constantIbLb1EESY_EEDaST_SU_EUlST_E_NS1_11comp_targetILNS1_3genE3ELNS1_11target_archE908ELNS1_3gpuE7ELNS1_3repE0EEENS1_30default_config_static_selectorELNS0_4arch9wavefront6targetE0EEEvT1_,"axG",@progbits,_ZN7rocprim17ROCPRIM_400000_NS6detail17trampoline_kernelINS0_14default_configENS1_27scan_by_key_config_selectorIiiEEZZNS1_16scan_by_key_implILNS1_25lookback_scan_determinismE0ELb1ES3_N6thrust23THRUST_200600_302600_NS6detail15normal_iteratorINS9_10device_ptrIiEEEESE_SE_iNS9_4plusIiEE19head_flag_predicateiEE10hipError_tPvRmT2_T3_T4_T5_mT6_T7_P12ihipStream_tbENKUlT_T0_E_clISt17integral_constantIbLb1EESY_EEDaST_SU_EUlST_E_NS1_11comp_targetILNS1_3genE3ELNS1_11target_archE908ELNS1_3gpuE7ELNS1_3repE0EEENS1_30default_config_static_selectorELNS0_4arch9wavefront6targetE0EEEvT1_,comdat
	.protected	_ZN7rocprim17ROCPRIM_400000_NS6detail17trampoline_kernelINS0_14default_configENS1_27scan_by_key_config_selectorIiiEEZZNS1_16scan_by_key_implILNS1_25lookback_scan_determinismE0ELb1ES3_N6thrust23THRUST_200600_302600_NS6detail15normal_iteratorINS9_10device_ptrIiEEEESE_SE_iNS9_4plusIiEE19head_flag_predicateiEE10hipError_tPvRmT2_T3_T4_T5_mT6_T7_P12ihipStream_tbENKUlT_T0_E_clISt17integral_constantIbLb1EESY_EEDaST_SU_EUlST_E_NS1_11comp_targetILNS1_3genE3ELNS1_11target_archE908ELNS1_3gpuE7ELNS1_3repE0EEENS1_30default_config_static_selectorELNS0_4arch9wavefront6targetE0EEEvT1_ ; -- Begin function _ZN7rocprim17ROCPRIM_400000_NS6detail17trampoline_kernelINS0_14default_configENS1_27scan_by_key_config_selectorIiiEEZZNS1_16scan_by_key_implILNS1_25lookback_scan_determinismE0ELb1ES3_N6thrust23THRUST_200600_302600_NS6detail15normal_iteratorINS9_10device_ptrIiEEEESE_SE_iNS9_4plusIiEE19head_flag_predicateiEE10hipError_tPvRmT2_T3_T4_T5_mT6_T7_P12ihipStream_tbENKUlT_T0_E_clISt17integral_constantIbLb1EESY_EEDaST_SU_EUlST_E_NS1_11comp_targetILNS1_3genE3ELNS1_11target_archE908ELNS1_3gpuE7ELNS1_3repE0EEENS1_30default_config_static_selectorELNS0_4arch9wavefront6targetE0EEEvT1_
	.globl	_ZN7rocprim17ROCPRIM_400000_NS6detail17trampoline_kernelINS0_14default_configENS1_27scan_by_key_config_selectorIiiEEZZNS1_16scan_by_key_implILNS1_25lookback_scan_determinismE0ELb1ES3_N6thrust23THRUST_200600_302600_NS6detail15normal_iteratorINS9_10device_ptrIiEEEESE_SE_iNS9_4plusIiEE19head_flag_predicateiEE10hipError_tPvRmT2_T3_T4_T5_mT6_T7_P12ihipStream_tbENKUlT_T0_E_clISt17integral_constantIbLb1EESY_EEDaST_SU_EUlST_E_NS1_11comp_targetILNS1_3genE3ELNS1_11target_archE908ELNS1_3gpuE7ELNS1_3repE0EEENS1_30default_config_static_selectorELNS0_4arch9wavefront6targetE0EEEvT1_
	.p2align	8
	.type	_ZN7rocprim17ROCPRIM_400000_NS6detail17trampoline_kernelINS0_14default_configENS1_27scan_by_key_config_selectorIiiEEZZNS1_16scan_by_key_implILNS1_25lookback_scan_determinismE0ELb1ES3_N6thrust23THRUST_200600_302600_NS6detail15normal_iteratorINS9_10device_ptrIiEEEESE_SE_iNS9_4plusIiEE19head_flag_predicateiEE10hipError_tPvRmT2_T3_T4_T5_mT6_T7_P12ihipStream_tbENKUlT_T0_E_clISt17integral_constantIbLb1EESY_EEDaST_SU_EUlST_E_NS1_11comp_targetILNS1_3genE3ELNS1_11target_archE908ELNS1_3gpuE7ELNS1_3repE0EEENS1_30default_config_static_selectorELNS0_4arch9wavefront6targetE0EEEvT1_,@function
_ZN7rocprim17ROCPRIM_400000_NS6detail17trampoline_kernelINS0_14default_configENS1_27scan_by_key_config_selectorIiiEEZZNS1_16scan_by_key_implILNS1_25lookback_scan_determinismE0ELb1ES3_N6thrust23THRUST_200600_302600_NS6detail15normal_iteratorINS9_10device_ptrIiEEEESE_SE_iNS9_4plusIiEE19head_flag_predicateiEE10hipError_tPvRmT2_T3_T4_T5_mT6_T7_P12ihipStream_tbENKUlT_T0_E_clISt17integral_constantIbLb1EESY_EEDaST_SU_EUlST_E_NS1_11comp_targetILNS1_3genE3ELNS1_11target_archE908ELNS1_3gpuE7ELNS1_3repE0EEENS1_30default_config_static_selectorELNS0_4arch9wavefront6targetE0EEEvT1_: ; @_ZN7rocprim17ROCPRIM_400000_NS6detail17trampoline_kernelINS0_14default_configENS1_27scan_by_key_config_selectorIiiEEZZNS1_16scan_by_key_implILNS1_25lookback_scan_determinismE0ELb1ES3_N6thrust23THRUST_200600_302600_NS6detail15normal_iteratorINS9_10device_ptrIiEEEESE_SE_iNS9_4plusIiEE19head_flag_predicateiEE10hipError_tPvRmT2_T3_T4_T5_mT6_T7_P12ihipStream_tbENKUlT_T0_E_clISt17integral_constantIbLb1EESY_EEDaST_SU_EUlST_E_NS1_11comp_targetILNS1_3genE3ELNS1_11target_archE908ELNS1_3gpuE7ELNS1_3repE0EEENS1_30default_config_static_selectorELNS0_4arch9wavefront6targetE0EEEvT1_
; %bb.0:
	.section	.rodata,"a",@progbits
	.p2align	6, 0x0
	.amdhsa_kernel _ZN7rocprim17ROCPRIM_400000_NS6detail17trampoline_kernelINS0_14default_configENS1_27scan_by_key_config_selectorIiiEEZZNS1_16scan_by_key_implILNS1_25lookback_scan_determinismE0ELb1ES3_N6thrust23THRUST_200600_302600_NS6detail15normal_iteratorINS9_10device_ptrIiEEEESE_SE_iNS9_4plusIiEE19head_flag_predicateiEE10hipError_tPvRmT2_T3_T4_T5_mT6_T7_P12ihipStream_tbENKUlT_T0_E_clISt17integral_constantIbLb1EESY_EEDaST_SU_EUlST_E_NS1_11comp_targetILNS1_3genE3ELNS1_11target_archE908ELNS1_3gpuE7ELNS1_3repE0EEENS1_30default_config_static_selectorELNS0_4arch9wavefront6targetE0EEEvT1_
		.amdhsa_group_segment_fixed_size 0
		.amdhsa_private_segment_fixed_size 0
		.amdhsa_kernarg_size 112
		.amdhsa_user_sgpr_count 2
		.amdhsa_user_sgpr_dispatch_ptr 0
		.amdhsa_user_sgpr_queue_ptr 0
		.amdhsa_user_sgpr_kernarg_segment_ptr 1
		.amdhsa_user_sgpr_dispatch_id 0
		.amdhsa_user_sgpr_kernarg_preload_length 0
		.amdhsa_user_sgpr_kernarg_preload_offset 0
		.amdhsa_user_sgpr_private_segment_size 0
		.amdhsa_wavefront_size32 1
		.amdhsa_uses_dynamic_stack 0
		.amdhsa_enable_private_segment 0
		.amdhsa_system_sgpr_workgroup_id_x 1
		.amdhsa_system_sgpr_workgroup_id_y 0
		.amdhsa_system_sgpr_workgroup_id_z 0
		.amdhsa_system_sgpr_workgroup_info 0
		.amdhsa_system_vgpr_workitem_id 0
		.amdhsa_next_free_vgpr 1
		.amdhsa_next_free_sgpr 1
		.amdhsa_named_barrier_count 0
		.amdhsa_reserve_vcc 0
		.amdhsa_float_round_mode_32 0
		.amdhsa_float_round_mode_16_64 0
		.amdhsa_float_denorm_mode_32 3
		.amdhsa_float_denorm_mode_16_64 3
		.amdhsa_fp16_overflow 0
		.amdhsa_memory_ordered 1
		.amdhsa_forward_progress 1
		.amdhsa_inst_pref_size 0
		.amdhsa_round_robin_scheduling 0
		.amdhsa_exception_fp_ieee_invalid_op 0
		.amdhsa_exception_fp_denorm_src 0
		.amdhsa_exception_fp_ieee_div_zero 0
		.amdhsa_exception_fp_ieee_overflow 0
		.amdhsa_exception_fp_ieee_underflow 0
		.amdhsa_exception_fp_ieee_inexact 0
		.amdhsa_exception_int_div_zero 0
	.end_amdhsa_kernel
	.section	.text._ZN7rocprim17ROCPRIM_400000_NS6detail17trampoline_kernelINS0_14default_configENS1_27scan_by_key_config_selectorIiiEEZZNS1_16scan_by_key_implILNS1_25lookback_scan_determinismE0ELb1ES3_N6thrust23THRUST_200600_302600_NS6detail15normal_iteratorINS9_10device_ptrIiEEEESE_SE_iNS9_4plusIiEE19head_flag_predicateiEE10hipError_tPvRmT2_T3_T4_T5_mT6_T7_P12ihipStream_tbENKUlT_T0_E_clISt17integral_constantIbLb1EESY_EEDaST_SU_EUlST_E_NS1_11comp_targetILNS1_3genE3ELNS1_11target_archE908ELNS1_3gpuE7ELNS1_3repE0EEENS1_30default_config_static_selectorELNS0_4arch9wavefront6targetE0EEEvT1_,"axG",@progbits,_ZN7rocprim17ROCPRIM_400000_NS6detail17trampoline_kernelINS0_14default_configENS1_27scan_by_key_config_selectorIiiEEZZNS1_16scan_by_key_implILNS1_25lookback_scan_determinismE0ELb1ES3_N6thrust23THRUST_200600_302600_NS6detail15normal_iteratorINS9_10device_ptrIiEEEESE_SE_iNS9_4plusIiEE19head_flag_predicateiEE10hipError_tPvRmT2_T3_T4_T5_mT6_T7_P12ihipStream_tbENKUlT_T0_E_clISt17integral_constantIbLb1EESY_EEDaST_SU_EUlST_E_NS1_11comp_targetILNS1_3genE3ELNS1_11target_archE908ELNS1_3gpuE7ELNS1_3repE0EEENS1_30default_config_static_selectorELNS0_4arch9wavefront6targetE0EEEvT1_,comdat
.Lfunc_end798:
	.size	_ZN7rocprim17ROCPRIM_400000_NS6detail17trampoline_kernelINS0_14default_configENS1_27scan_by_key_config_selectorIiiEEZZNS1_16scan_by_key_implILNS1_25lookback_scan_determinismE0ELb1ES3_N6thrust23THRUST_200600_302600_NS6detail15normal_iteratorINS9_10device_ptrIiEEEESE_SE_iNS9_4plusIiEE19head_flag_predicateiEE10hipError_tPvRmT2_T3_T4_T5_mT6_T7_P12ihipStream_tbENKUlT_T0_E_clISt17integral_constantIbLb1EESY_EEDaST_SU_EUlST_E_NS1_11comp_targetILNS1_3genE3ELNS1_11target_archE908ELNS1_3gpuE7ELNS1_3repE0EEENS1_30default_config_static_selectorELNS0_4arch9wavefront6targetE0EEEvT1_, .Lfunc_end798-_ZN7rocprim17ROCPRIM_400000_NS6detail17trampoline_kernelINS0_14default_configENS1_27scan_by_key_config_selectorIiiEEZZNS1_16scan_by_key_implILNS1_25lookback_scan_determinismE0ELb1ES3_N6thrust23THRUST_200600_302600_NS6detail15normal_iteratorINS9_10device_ptrIiEEEESE_SE_iNS9_4plusIiEE19head_flag_predicateiEE10hipError_tPvRmT2_T3_T4_T5_mT6_T7_P12ihipStream_tbENKUlT_T0_E_clISt17integral_constantIbLb1EESY_EEDaST_SU_EUlST_E_NS1_11comp_targetILNS1_3genE3ELNS1_11target_archE908ELNS1_3gpuE7ELNS1_3repE0EEENS1_30default_config_static_selectorELNS0_4arch9wavefront6targetE0EEEvT1_
                                        ; -- End function
	.set _ZN7rocprim17ROCPRIM_400000_NS6detail17trampoline_kernelINS0_14default_configENS1_27scan_by_key_config_selectorIiiEEZZNS1_16scan_by_key_implILNS1_25lookback_scan_determinismE0ELb1ES3_N6thrust23THRUST_200600_302600_NS6detail15normal_iteratorINS9_10device_ptrIiEEEESE_SE_iNS9_4plusIiEE19head_flag_predicateiEE10hipError_tPvRmT2_T3_T4_T5_mT6_T7_P12ihipStream_tbENKUlT_T0_E_clISt17integral_constantIbLb1EESY_EEDaST_SU_EUlST_E_NS1_11comp_targetILNS1_3genE3ELNS1_11target_archE908ELNS1_3gpuE7ELNS1_3repE0EEENS1_30default_config_static_selectorELNS0_4arch9wavefront6targetE0EEEvT1_.num_vgpr, 0
	.set _ZN7rocprim17ROCPRIM_400000_NS6detail17trampoline_kernelINS0_14default_configENS1_27scan_by_key_config_selectorIiiEEZZNS1_16scan_by_key_implILNS1_25lookback_scan_determinismE0ELb1ES3_N6thrust23THRUST_200600_302600_NS6detail15normal_iteratorINS9_10device_ptrIiEEEESE_SE_iNS9_4plusIiEE19head_flag_predicateiEE10hipError_tPvRmT2_T3_T4_T5_mT6_T7_P12ihipStream_tbENKUlT_T0_E_clISt17integral_constantIbLb1EESY_EEDaST_SU_EUlST_E_NS1_11comp_targetILNS1_3genE3ELNS1_11target_archE908ELNS1_3gpuE7ELNS1_3repE0EEENS1_30default_config_static_selectorELNS0_4arch9wavefront6targetE0EEEvT1_.num_agpr, 0
	.set _ZN7rocprim17ROCPRIM_400000_NS6detail17trampoline_kernelINS0_14default_configENS1_27scan_by_key_config_selectorIiiEEZZNS1_16scan_by_key_implILNS1_25lookback_scan_determinismE0ELb1ES3_N6thrust23THRUST_200600_302600_NS6detail15normal_iteratorINS9_10device_ptrIiEEEESE_SE_iNS9_4plusIiEE19head_flag_predicateiEE10hipError_tPvRmT2_T3_T4_T5_mT6_T7_P12ihipStream_tbENKUlT_T0_E_clISt17integral_constantIbLb1EESY_EEDaST_SU_EUlST_E_NS1_11comp_targetILNS1_3genE3ELNS1_11target_archE908ELNS1_3gpuE7ELNS1_3repE0EEENS1_30default_config_static_selectorELNS0_4arch9wavefront6targetE0EEEvT1_.numbered_sgpr, 0
	.set _ZN7rocprim17ROCPRIM_400000_NS6detail17trampoline_kernelINS0_14default_configENS1_27scan_by_key_config_selectorIiiEEZZNS1_16scan_by_key_implILNS1_25lookback_scan_determinismE0ELb1ES3_N6thrust23THRUST_200600_302600_NS6detail15normal_iteratorINS9_10device_ptrIiEEEESE_SE_iNS9_4plusIiEE19head_flag_predicateiEE10hipError_tPvRmT2_T3_T4_T5_mT6_T7_P12ihipStream_tbENKUlT_T0_E_clISt17integral_constantIbLb1EESY_EEDaST_SU_EUlST_E_NS1_11comp_targetILNS1_3genE3ELNS1_11target_archE908ELNS1_3gpuE7ELNS1_3repE0EEENS1_30default_config_static_selectorELNS0_4arch9wavefront6targetE0EEEvT1_.num_named_barrier, 0
	.set _ZN7rocprim17ROCPRIM_400000_NS6detail17trampoline_kernelINS0_14default_configENS1_27scan_by_key_config_selectorIiiEEZZNS1_16scan_by_key_implILNS1_25lookback_scan_determinismE0ELb1ES3_N6thrust23THRUST_200600_302600_NS6detail15normal_iteratorINS9_10device_ptrIiEEEESE_SE_iNS9_4plusIiEE19head_flag_predicateiEE10hipError_tPvRmT2_T3_T4_T5_mT6_T7_P12ihipStream_tbENKUlT_T0_E_clISt17integral_constantIbLb1EESY_EEDaST_SU_EUlST_E_NS1_11comp_targetILNS1_3genE3ELNS1_11target_archE908ELNS1_3gpuE7ELNS1_3repE0EEENS1_30default_config_static_selectorELNS0_4arch9wavefront6targetE0EEEvT1_.private_seg_size, 0
	.set _ZN7rocprim17ROCPRIM_400000_NS6detail17trampoline_kernelINS0_14default_configENS1_27scan_by_key_config_selectorIiiEEZZNS1_16scan_by_key_implILNS1_25lookback_scan_determinismE0ELb1ES3_N6thrust23THRUST_200600_302600_NS6detail15normal_iteratorINS9_10device_ptrIiEEEESE_SE_iNS9_4plusIiEE19head_flag_predicateiEE10hipError_tPvRmT2_T3_T4_T5_mT6_T7_P12ihipStream_tbENKUlT_T0_E_clISt17integral_constantIbLb1EESY_EEDaST_SU_EUlST_E_NS1_11comp_targetILNS1_3genE3ELNS1_11target_archE908ELNS1_3gpuE7ELNS1_3repE0EEENS1_30default_config_static_selectorELNS0_4arch9wavefront6targetE0EEEvT1_.uses_vcc, 0
	.set _ZN7rocprim17ROCPRIM_400000_NS6detail17trampoline_kernelINS0_14default_configENS1_27scan_by_key_config_selectorIiiEEZZNS1_16scan_by_key_implILNS1_25lookback_scan_determinismE0ELb1ES3_N6thrust23THRUST_200600_302600_NS6detail15normal_iteratorINS9_10device_ptrIiEEEESE_SE_iNS9_4plusIiEE19head_flag_predicateiEE10hipError_tPvRmT2_T3_T4_T5_mT6_T7_P12ihipStream_tbENKUlT_T0_E_clISt17integral_constantIbLb1EESY_EEDaST_SU_EUlST_E_NS1_11comp_targetILNS1_3genE3ELNS1_11target_archE908ELNS1_3gpuE7ELNS1_3repE0EEENS1_30default_config_static_selectorELNS0_4arch9wavefront6targetE0EEEvT1_.uses_flat_scratch, 0
	.set _ZN7rocprim17ROCPRIM_400000_NS6detail17trampoline_kernelINS0_14default_configENS1_27scan_by_key_config_selectorIiiEEZZNS1_16scan_by_key_implILNS1_25lookback_scan_determinismE0ELb1ES3_N6thrust23THRUST_200600_302600_NS6detail15normal_iteratorINS9_10device_ptrIiEEEESE_SE_iNS9_4plusIiEE19head_flag_predicateiEE10hipError_tPvRmT2_T3_T4_T5_mT6_T7_P12ihipStream_tbENKUlT_T0_E_clISt17integral_constantIbLb1EESY_EEDaST_SU_EUlST_E_NS1_11comp_targetILNS1_3genE3ELNS1_11target_archE908ELNS1_3gpuE7ELNS1_3repE0EEENS1_30default_config_static_selectorELNS0_4arch9wavefront6targetE0EEEvT1_.has_dyn_sized_stack, 0
	.set _ZN7rocprim17ROCPRIM_400000_NS6detail17trampoline_kernelINS0_14default_configENS1_27scan_by_key_config_selectorIiiEEZZNS1_16scan_by_key_implILNS1_25lookback_scan_determinismE0ELb1ES3_N6thrust23THRUST_200600_302600_NS6detail15normal_iteratorINS9_10device_ptrIiEEEESE_SE_iNS9_4plusIiEE19head_flag_predicateiEE10hipError_tPvRmT2_T3_T4_T5_mT6_T7_P12ihipStream_tbENKUlT_T0_E_clISt17integral_constantIbLb1EESY_EEDaST_SU_EUlST_E_NS1_11comp_targetILNS1_3genE3ELNS1_11target_archE908ELNS1_3gpuE7ELNS1_3repE0EEENS1_30default_config_static_selectorELNS0_4arch9wavefront6targetE0EEEvT1_.has_recursion, 0
	.set _ZN7rocprim17ROCPRIM_400000_NS6detail17trampoline_kernelINS0_14default_configENS1_27scan_by_key_config_selectorIiiEEZZNS1_16scan_by_key_implILNS1_25lookback_scan_determinismE0ELb1ES3_N6thrust23THRUST_200600_302600_NS6detail15normal_iteratorINS9_10device_ptrIiEEEESE_SE_iNS9_4plusIiEE19head_flag_predicateiEE10hipError_tPvRmT2_T3_T4_T5_mT6_T7_P12ihipStream_tbENKUlT_T0_E_clISt17integral_constantIbLb1EESY_EEDaST_SU_EUlST_E_NS1_11comp_targetILNS1_3genE3ELNS1_11target_archE908ELNS1_3gpuE7ELNS1_3repE0EEENS1_30default_config_static_selectorELNS0_4arch9wavefront6targetE0EEEvT1_.has_indirect_call, 0
	.section	.AMDGPU.csdata,"",@progbits
; Kernel info:
; codeLenInByte = 0
; TotalNumSgprs: 0
; NumVgprs: 0
; ScratchSize: 0
; MemoryBound: 0
; FloatMode: 240
; IeeeMode: 1
; LDSByteSize: 0 bytes/workgroup (compile time only)
; SGPRBlocks: 0
; VGPRBlocks: 0
; NumSGPRsForWavesPerEU: 1
; NumVGPRsForWavesPerEU: 1
; NamedBarCnt: 0
; Occupancy: 16
; WaveLimiterHint : 0
; COMPUTE_PGM_RSRC2:SCRATCH_EN: 0
; COMPUTE_PGM_RSRC2:USER_SGPR: 2
; COMPUTE_PGM_RSRC2:TRAP_HANDLER: 0
; COMPUTE_PGM_RSRC2:TGID_X_EN: 1
; COMPUTE_PGM_RSRC2:TGID_Y_EN: 0
; COMPUTE_PGM_RSRC2:TGID_Z_EN: 0
; COMPUTE_PGM_RSRC2:TIDIG_COMP_CNT: 0
	.section	.text._ZN7rocprim17ROCPRIM_400000_NS6detail17trampoline_kernelINS0_14default_configENS1_27scan_by_key_config_selectorIiiEEZZNS1_16scan_by_key_implILNS1_25lookback_scan_determinismE0ELb1ES3_N6thrust23THRUST_200600_302600_NS6detail15normal_iteratorINS9_10device_ptrIiEEEESE_SE_iNS9_4plusIiEE19head_flag_predicateiEE10hipError_tPvRmT2_T3_T4_T5_mT6_T7_P12ihipStream_tbENKUlT_T0_E_clISt17integral_constantIbLb1EESY_EEDaST_SU_EUlST_E_NS1_11comp_targetILNS1_3genE2ELNS1_11target_archE906ELNS1_3gpuE6ELNS1_3repE0EEENS1_30default_config_static_selectorELNS0_4arch9wavefront6targetE0EEEvT1_,"axG",@progbits,_ZN7rocprim17ROCPRIM_400000_NS6detail17trampoline_kernelINS0_14default_configENS1_27scan_by_key_config_selectorIiiEEZZNS1_16scan_by_key_implILNS1_25lookback_scan_determinismE0ELb1ES3_N6thrust23THRUST_200600_302600_NS6detail15normal_iteratorINS9_10device_ptrIiEEEESE_SE_iNS9_4plusIiEE19head_flag_predicateiEE10hipError_tPvRmT2_T3_T4_T5_mT6_T7_P12ihipStream_tbENKUlT_T0_E_clISt17integral_constantIbLb1EESY_EEDaST_SU_EUlST_E_NS1_11comp_targetILNS1_3genE2ELNS1_11target_archE906ELNS1_3gpuE6ELNS1_3repE0EEENS1_30default_config_static_selectorELNS0_4arch9wavefront6targetE0EEEvT1_,comdat
	.protected	_ZN7rocprim17ROCPRIM_400000_NS6detail17trampoline_kernelINS0_14default_configENS1_27scan_by_key_config_selectorIiiEEZZNS1_16scan_by_key_implILNS1_25lookback_scan_determinismE0ELb1ES3_N6thrust23THRUST_200600_302600_NS6detail15normal_iteratorINS9_10device_ptrIiEEEESE_SE_iNS9_4plusIiEE19head_flag_predicateiEE10hipError_tPvRmT2_T3_T4_T5_mT6_T7_P12ihipStream_tbENKUlT_T0_E_clISt17integral_constantIbLb1EESY_EEDaST_SU_EUlST_E_NS1_11comp_targetILNS1_3genE2ELNS1_11target_archE906ELNS1_3gpuE6ELNS1_3repE0EEENS1_30default_config_static_selectorELNS0_4arch9wavefront6targetE0EEEvT1_ ; -- Begin function _ZN7rocprim17ROCPRIM_400000_NS6detail17trampoline_kernelINS0_14default_configENS1_27scan_by_key_config_selectorIiiEEZZNS1_16scan_by_key_implILNS1_25lookback_scan_determinismE0ELb1ES3_N6thrust23THRUST_200600_302600_NS6detail15normal_iteratorINS9_10device_ptrIiEEEESE_SE_iNS9_4plusIiEE19head_flag_predicateiEE10hipError_tPvRmT2_T3_T4_T5_mT6_T7_P12ihipStream_tbENKUlT_T0_E_clISt17integral_constantIbLb1EESY_EEDaST_SU_EUlST_E_NS1_11comp_targetILNS1_3genE2ELNS1_11target_archE906ELNS1_3gpuE6ELNS1_3repE0EEENS1_30default_config_static_selectorELNS0_4arch9wavefront6targetE0EEEvT1_
	.globl	_ZN7rocprim17ROCPRIM_400000_NS6detail17trampoline_kernelINS0_14default_configENS1_27scan_by_key_config_selectorIiiEEZZNS1_16scan_by_key_implILNS1_25lookback_scan_determinismE0ELb1ES3_N6thrust23THRUST_200600_302600_NS6detail15normal_iteratorINS9_10device_ptrIiEEEESE_SE_iNS9_4plusIiEE19head_flag_predicateiEE10hipError_tPvRmT2_T3_T4_T5_mT6_T7_P12ihipStream_tbENKUlT_T0_E_clISt17integral_constantIbLb1EESY_EEDaST_SU_EUlST_E_NS1_11comp_targetILNS1_3genE2ELNS1_11target_archE906ELNS1_3gpuE6ELNS1_3repE0EEENS1_30default_config_static_selectorELNS0_4arch9wavefront6targetE0EEEvT1_
	.p2align	8
	.type	_ZN7rocprim17ROCPRIM_400000_NS6detail17trampoline_kernelINS0_14default_configENS1_27scan_by_key_config_selectorIiiEEZZNS1_16scan_by_key_implILNS1_25lookback_scan_determinismE0ELb1ES3_N6thrust23THRUST_200600_302600_NS6detail15normal_iteratorINS9_10device_ptrIiEEEESE_SE_iNS9_4plusIiEE19head_flag_predicateiEE10hipError_tPvRmT2_T3_T4_T5_mT6_T7_P12ihipStream_tbENKUlT_T0_E_clISt17integral_constantIbLb1EESY_EEDaST_SU_EUlST_E_NS1_11comp_targetILNS1_3genE2ELNS1_11target_archE906ELNS1_3gpuE6ELNS1_3repE0EEENS1_30default_config_static_selectorELNS0_4arch9wavefront6targetE0EEEvT1_,@function
_ZN7rocprim17ROCPRIM_400000_NS6detail17trampoline_kernelINS0_14default_configENS1_27scan_by_key_config_selectorIiiEEZZNS1_16scan_by_key_implILNS1_25lookback_scan_determinismE0ELb1ES3_N6thrust23THRUST_200600_302600_NS6detail15normal_iteratorINS9_10device_ptrIiEEEESE_SE_iNS9_4plusIiEE19head_flag_predicateiEE10hipError_tPvRmT2_T3_T4_T5_mT6_T7_P12ihipStream_tbENKUlT_T0_E_clISt17integral_constantIbLb1EESY_EEDaST_SU_EUlST_E_NS1_11comp_targetILNS1_3genE2ELNS1_11target_archE906ELNS1_3gpuE6ELNS1_3repE0EEENS1_30default_config_static_selectorELNS0_4arch9wavefront6targetE0EEEvT1_: ; @_ZN7rocprim17ROCPRIM_400000_NS6detail17trampoline_kernelINS0_14default_configENS1_27scan_by_key_config_selectorIiiEEZZNS1_16scan_by_key_implILNS1_25lookback_scan_determinismE0ELb1ES3_N6thrust23THRUST_200600_302600_NS6detail15normal_iteratorINS9_10device_ptrIiEEEESE_SE_iNS9_4plusIiEE19head_flag_predicateiEE10hipError_tPvRmT2_T3_T4_T5_mT6_T7_P12ihipStream_tbENKUlT_T0_E_clISt17integral_constantIbLb1EESY_EEDaST_SU_EUlST_E_NS1_11comp_targetILNS1_3genE2ELNS1_11target_archE906ELNS1_3gpuE6ELNS1_3repE0EEENS1_30default_config_static_selectorELNS0_4arch9wavefront6targetE0EEEvT1_
; %bb.0:
	.section	.rodata,"a",@progbits
	.p2align	6, 0x0
	.amdhsa_kernel _ZN7rocprim17ROCPRIM_400000_NS6detail17trampoline_kernelINS0_14default_configENS1_27scan_by_key_config_selectorIiiEEZZNS1_16scan_by_key_implILNS1_25lookback_scan_determinismE0ELb1ES3_N6thrust23THRUST_200600_302600_NS6detail15normal_iteratorINS9_10device_ptrIiEEEESE_SE_iNS9_4plusIiEE19head_flag_predicateiEE10hipError_tPvRmT2_T3_T4_T5_mT6_T7_P12ihipStream_tbENKUlT_T0_E_clISt17integral_constantIbLb1EESY_EEDaST_SU_EUlST_E_NS1_11comp_targetILNS1_3genE2ELNS1_11target_archE906ELNS1_3gpuE6ELNS1_3repE0EEENS1_30default_config_static_selectorELNS0_4arch9wavefront6targetE0EEEvT1_
		.amdhsa_group_segment_fixed_size 0
		.amdhsa_private_segment_fixed_size 0
		.amdhsa_kernarg_size 112
		.amdhsa_user_sgpr_count 2
		.amdhsa_user_sgpr_dispatch_ptr 0
		.amdhsa_user_sgpr_queue_ptr 0
		.amdhsa_user_sgpr_kernarg_segment_ptr 1
		.amdhsa_user_sgpr_dispatch_id 0
		.amdhsa_user_sgpr_kernarg_preload_length 0
		.amdhsa_user_sgpr_kernarg_preload_offset 0
		.amdhsa_user_sgpr_private_segment_size 0
		.amdhsa_wavefront_size32 1
		.amdhsa_uses_dynamic_stack 0
		.amdhsa_enable_private_segment 0
		.amdhsa_system_sgpr_workgroup_id_x 1
		.amdhsa_system_sgpr_workgroup_id_y 0
		.amdhsa_system_sgpr_workgroup_id_z 0
		.amdhsa_system_sgpr_workgroup_info 0
		.amdhsa_system_vgpr_workitem_id 0
		.amdhsa_next_free_vgpr 1
		.amdhsa_next_free_sgpr 1
		.amdhsa_named_barrier_count 0
		.amdhsa_reserve_vcc 0
		.amdhsa_float_round_mode_32 0
		.amdhsa_float_round_mode_16_64 0
		.amdhsa_float_denorm_mode_32 3
		.amdhsa_float_denorm_mode_16_64 3
		.amdhsa_fp16_overflow 0
		.amdhsa_memory_ordered 1
		.amdhsa_forward_progress 1
		.amdhsa_inst_pref_size 0
		.amdhsa_round_robin_scheduling 0
		.amdhsa_exception_fp_ieee_invalid_op 0
		.amdhsa_exception_fp_denorm_src 0
		.amdhsa_exception_fp_ieee_div_zero 0
		.amdhsa_exception_fp_ieee_overflow 0
		.amdhsa_exception_fp_ieee_underflow 0
		.amdhsa_exception_fp_ieee_inexact 0
		.amdhsa_exception_int_div_zero 0
	.end_amdhsa_kernel
	.section	.text._ZN7rocprim17ROCPRIM_400000_NS6detail17trampoline_kernelINS0_14default_configENS1_27scan_by_key_config_selectorIiiEEZZNS1_16scan_by_key_implILNS1_25lookback_scan_determinismE0ELb1ES3_N6thrust23THRUST_200600_302600_NS6detail15normal_iteratorINS9_10device_ptrIiEEEESE_SE_iNS9_4plusIiEE19head_flag_predicateiEE10hipError_tPvRmT2_T3_T4_T5_mT6_T7_P12ihipStream_tbENKUlT_T0_E_clISt17integral_constantIbLb1EESY_EEDaST_SU_EUlST_E_NS1_11comp_targetILNS1_3genE2ELNS1_11target_archE906ELNS1_3gpuE6ELNS1_3repE0EEENS1_30default_config_static_selectorELNS0_4arch9wavefront6targetE0EEEvT1_,"axG",@progbits,_ZN7rocprim17ROCPRIM_400000_NS6detail17trampoline_kernelINS0_14default_configENS1_27scan_by_key_config_selectorIiiEEZZNS1_16scan_by_key_implILNS1_25lookback_scan_determinismE0ELb1ES3_N6thrust23THRUST_200600_302600_NS6detail15normal_iteratorINS9_10device_ptrIiEEEESE_SE_iNS9_4plusIiEE19head_flag_predicateiEE10hipError_tPvRmT2_T3_T4_T5_mT6_T7_P12ihipStream_tbENKUlT_T0_E_clISt17integral_constantIbLb1EESY_EEDaST_SU_EUlST_E_NS1_11comp_targetILNS1_3genE2ELNS1_11target_archE906ELNS1_3gpuE6ELNS1_3repE0EEENS1_30default_config_static_selectorELNS0_4arch9wavefront6targetE0EEEvT1_,comdat
.Lfunc_end799:
	.size	_ZN7rocprim17ROCPRIM_400000_NS6detail17trampoline_kernelINS0_14default_configENS1_27scan_by_key_config_selectorIiiEEZZNS1_16scan_by_key_implILNS1_25lookback_scan_determinismE0ELb1ES3_N6thrust23THRUST_200600_302600_NS6detail15normal_iteratorINS9_10device_ptrIiEEEESE_SE_iNS9_4plusIiEE19head_flag_predicateiEE10hipError_tPvRmT2_T3_T4_T5_mT6_T7_P12ihipStream_tbENKUlT_T0_E_clISt17integral_constantIbLb1EESY_EEDaST_SU_EUlST_E_NS1_11comp_targetILNS1_3genE2ELNS1_11target_archE906ELNS1_3gpuE6ELNS1_3repE0EEENS1_30default_config_static_selectorELNS0_4arch9wavefront6targetE0EEEvT1_, .Lfunc_end799-_ZN7rocprim17ROCPRIM_400000_NS6detail17trampoline_kernelINS0_14default_configENS1_27scan_by_key_config_selectorIiiEEZZNS1_16scan_by_key_implILNS1_25lookback_scan_determinismE0ELb1ES3_N6thrust23THRUST_200600_302600_NS6detail15normal_iteratorINS9_10device_ptrIiEEEESE_SE_iNS9_4plusIiEE19head_flag_predicateiEE10hipError_tPvRmT2_T3_T4_T5_mT6_T7_P12ihipStream_tbENKUlT_T0_E_clISt17integral_constantIbLb1EESY_EEDaST_SU_EUlST_E_NS1_11comp_targetILNS1_3genE2ELNS1_11target_archE906ELNS1_3gpuE6ELNS1_3repE0EEENS1_30default_config_static_selectorELNS0_4arch9wavefront6targetE0EEEvT1_
                                        ; -- End function
	.set _ZN7rocprim17ROCPRIM_400000_NS6detail17trampoline_kernelINS0_14default_configENS1_27scan_by_key_config_selectorIiiEEZZNS1_16scan_by_key_implILNS1_25lookback_scan_determinismE0ELb1ES3_N6thrust23THRUST_200600_302600_NS6detail15normal_iteratorINS9_10device_ptrIiEEEESE_SE_iNS9_4plusIiEE19head_flag_predicateiEE10hipError_tPvRmT2_T3_T4_T5_mT6_T7_P12ihipStream_tbENKUlT_T0_E_clISt17integral_constantIbLb1EESY_EEDaST_SU_EUlST_E_NS1_11comp_targetILNS1_3genE2ELNS1_11target_archE906ELNS1_3gpuE6ELNS1_3repE0EEENS1_30default_config_static_selectorELNS0_4arch9wavefront6targetE0EEEvT1_.num_vgpr, 0
	.set _ZN7rocprim17ROCPRIM_400000_NS6detail17trampoline_kernelINS0_14default_configENS1_27scan_by_key_config_selectorIiiEEZZNS1_16scan_by_key_implILNS1_25lookback_scan_determinismE0ELb1ES3_N6thrust23THRUST_200600_302600_NS6detail15normal_iteratorINS9_10device_ptrIiEEEESE_SE_iNS9_4plusIiEE19head_flag_predicateiEE10hipError_tPvRmT2_T3_T4_T5_mT6_T7_P12ihipStream_tbENKUlT_T0_E_clISt17integral_constantIbLb1EESY_EEDaST_SU_EUlST_E_NS1_11comp_targetILNS1_3genE2ELNS1_11target_archE906ELNS1_3gpuE6ELNS1_3repE0EEENS1_30default_config_static_selectorELNS0_4arch9wavefront6targetE0EEEvT1_.num_agpr, 0
	.set _ZN7rocprim17ROCPRIM_400000_NS6detail17trampoline_kernelINS0_14default_configENS1_27scan_by_key_config_selectorIiiEEZZNS1_16scan_by_key_implILNS1_25lookback_scan_determinismE0ELb1ES3_N6thrust23THRUST_200600_302600_NS6detail15normal_iteratorINS9_10device_ptrIiEEEESE_SE_iNS9_4plusIiEE19head_flag_predicateiEE10hipError_tPvRmT2_T3_T4_T5_mT6_T7_P12ihipStream_tbENKUlT_T0_E_clISt17integral_constantIbLb1EESY_EEDaST_SU_EUlST_E_NS1_11comp_targetILNS1_3genE2ELNS1_11target_archE906ELNS1_3gpuE6ELNS1_3repE0EEENS1_30default_config_static_selectorELNS0_4arch9wavefront6targetE0EEEvT1_.numbered_sgpr, 0
	.set _ZN7rocprim17ROCPRIM_400000_NS6detail17trampoline_kernelINS0_14default_configENS1_27scan_by_key_config_selectorIiiEEZZNS1_16scan_by_key_implILNS1_25lookback_scan_determinismE0ELb1ES3_N6thrust23THRUST_200600_302600_NS6detail15normal_iteratorINS9_10device_ptrIiEEEESE_SE_iNS9_4plusIiEE19head_flag_predicateiEE10hipError_tPvRmT2_T3_T4_T5_mT6_T7_P12ihipStream_tbENKUlT_T0_E_clISt17integral_constantIbLb1EESY_EEDaST_SU_EUlST_E_NS1_11comp_targetILNS1_3genE2ELNS1_11target_archE906ELNS1_3gpuE6ELNS1_3repE0EEENS1_30default_config_static_selectorELNS0_4arch9wavefront6targetE0EEEvT1_.num_named_barrier, 0
	.set _ZN7rocprim17ROCPRIM_400000_NS6detail17trampoline_kernelINS0_14default_configENS1_27scan_by_key_config_selectorIiiEEZZNS1_16scan_by_key_implILNS1_25lookback_scan_determinismE0ELb1ES3_N6thrust23THRUST_200600_302600_NS6detail15normal_iteratorINS9_10device_ptrIiEEEESE_SE_iNS9_4plusIiEE19head_flag_predicateiEE10hipError_tPvRmT2_T3_T4_T5_mT6_T7_P12ihipStream_tbENKUlT_T0_E_clISt17integral_constantIbLb1EESY_EEDaST_SU_EUlST_E_NS1_11comp_targetILNS1_3genE2ELNS1_11target_archE906ELNS1_3gpuE6ELNS1_3repE0EEENS1_30default_config_static_selectorELNS0_4arch9wavefront6targetE0EEEvT1_.private_seg_size, 0
	.set _ZN7rocprim17ROCPRIM_400000_NS6detail17trampoline_kernelINS0_14default_configENS1_27scan_by_key_config_selectorIiiEEZZNS1_16scan_by_key_implILNS1_25lookback_scan_determinismE0ELb1ES3_N6thrust23THRUST_200600_302600_NS6detail15normal_iteratorINS9_10device_ptrIiEEEESE_SE_iNS9_4plusIiEE19head_flag_predicateiEE10hipError_tPvRmT2_T3_T4_T5_mT6_T7_P12ihipStream_tbENKUlT_T0_E_clISt17integral_constantIbLb1EESY_EEDaST_SU_EUlST_E_NS1_11comp_targetILNS1_3genE2ELNS1_11target_archE906ELNS1_3gpuE6ELNS1_3repE0EEENS1_30default_config_static_selectorELNS0_4arch9wavefront6targetE0EEEvT1_.uses_vcc, 0
	.set _ZN7rocprim17ROCPRIM_400000_NS6detail17trampoline_kernelINS0_14default_configENS1_27scan_by_key_config_selectorIiiEEZZNS1_16scan_by_key_implILNS1_25lookback_scan_determinismE0ELb1ES3_N6thrust23THRUST_200600_302600_NS6detail15normal_iteratorINS9_10device_ptrIiEEEESE_SE_iNS9_4plusIiEE19head_flag_predicateiEE10hipError_tPvRmT2_T3_T4_T5_mT6_T7_P12ihipStream_tbENKUlT_T0_E_clISt17integral_constantIbLb1EESY_EEDaST_SU_EUlST_E_NS1_11comp_targetILNS1_3genE2ELNS1_11target_archE906ELNS1_3gpuE6ELNS1_3repE0EEENS1_30default_config_static_selectorELNS0_4arch9wavefront6targetE0EEEvT1_.uses_flat_scratch, 0
	.set _ZN7rocprim17ROCPRIM_400000_NS6detail17trampoline_kernelINS0_14default_configENS1_27scan_by_key_config_selectorIiiEEZZNS1_16scan_by_key_implILNS1_25lookback_scan_determinismE0ELb1ES3_N6thrust23THRUST_200600_302600_NS6detail15normal_iteratorINS9_10device_ptrIiEEEESE_SE_iNS9_4plusIiEE19head_flag_predicateiEE10hipError_tPvRmT2_T3_T4_T5_mT6_T7_P12ihipStream_tbENKUlT_T0_E_clISt17integral_constantIbLb1EESY_EEDaST_SU_EUlST_E_NS1_11comp_targetILNS1_3genE2ELNS1_11target_archE906ELNS1_3gpuE6ELNS1_3repE0EEENS1_30default_config_static_selectorELNS0_4arch9wavefront6targetE0EEEvT1_.has_dyn_sized_stack, 0
	.set _ZN7rocprim17ROCPRIM_400000_NS6detail17trampoline_kernelINS0_14default_configENS1_27scan_by_key_config_selectorIiiEEZZNS1_16scan_by_key_implILNS1_25lookback_scan_determinismE0ELb1ES3_N6thrust23THRUST_200600_302600_NS6detail15normal_iteratorINS9_10device_ptrIiEEEESE_SE_iNS9_4plusIiEE19head_flag_predicateiEE10hipError_tPvRmT2_T3_T4_T5_mT6_T7_P12ihipStream_tbENKUlT_T0_E_clISt17integral_constantIbLb1EESY_EEDaST_SU_EUlST_E_NS1_11comp_targetILNS1_3genE2ELNS1_11target_archE906ELNS1_3gpuE6ELNS1_3repE0EEENS1_30default_config_static_selectorELNS0_4arch9wavefront6targetE0EEEvT1_.has_recursion, 0
	.set _ZN7rocprim17ROCPRIM_400000_NS6detail17trampoline_kernelINS0_14default_configENS1_27scan_by_key_config_selectorIiiEEZZNS1_16scan_by_key_implILNS1_25lookback_scan_determinismE0ELb1ES3_N6thrust23THRUST_200600_302600_NS6detail15normal_iteratorINS9_10device_ptrIiEEEESE_SE_iNS9_4plusIiEE19head_flag_predicateiEE10hipError_tPvRmT2_T3_T4_T5_mT6_T7_P12ihipStream_tbENKUlT_T0_E_clISt17integral_constantIbLb1EESY_EEDaST_SU_EUlST_E_NS1_11comp_targetILNS1_3genE2ELNS1_11target_archE906ELNS1_3gpuE6ELNS1_3repE0EEENS1_30default_config_static_selectorELNS0_4arch9wavefront6targetE0EEEvT1_.has_indirect_call, 0
	.section	.AMDGPU.csdata,"",@progbits
; Kernel info:
; codeLenInByte = 0
; TotalNumSgprs: 0
; NumVgprs: 0
; ScratchSize: 0
; MemoryBound: 0
; FloatMode: 240
; IeeeMode: 1
; LDSByteSize: 0 bytes/workgroup (compile time only)
; SGPRBlocks: 0
; VGPRBlocks: 0
; NumSGPRsForWavesPerEU: 1
; NumVGPRsForWavesPerEU: 1
; NamedBarCnt: 0
; Occupancy: 16
; WaveLimiterHint : 0
; COMPUTE_PGM_RSRC2:SCRATCH_EN: 0
; COMPUTE_PGM_RSRC2:USER_SGPR: 2
; COMPUTE_PGM_RSRC2:TRAP_HANDLER: 0
; COMPUTE_PGM_RSRC2:TGID_X_EN: 1
; COMPUTE_PGM_RSRC2:TGID_Y_EN: 0
; COMPUTE_PGM_RSRC2:TGID_Z_EN: 0
; COMPUTE_PGM_RSRC2:TIDIG_COMP_CNT: 0
	.section	.text._ZN7rocprim17ROCPRIM_400000_NS6detail17trampoline_kernelINS0_14default_configENS1_27scan_by_key_config_selectorIiiEEZZNS1_16scan_by_key_implILNS1_25lookback_scan_determinismE0ELb1ES3_N6thrust23THRUST_200600_302600_NS6detail15normal_iteratorINS9_10device_ptrIiEEEESE_SE_iNS9_4plusIiEE19head_flag_predicateiEE10hipError_tPvRmT2_T3_T4_T5_mT6_T7_P12ihipStream_tbENKUlT_T0_E_clISt17integral_constantIbLb1EESY_EEDaST_SU_EUlST_E_NS1_11comp_targetILNS1_3genE10ELNS1_11target_archE1200ELNS1_3gpuE4ELNS1_3repE0EEENS1_30default_config_static_selectorELNS0_4arch9wavefront6targetE0EEEvT1_,"axG",@progbits,_ZN7rocprim17ROCPRIM_400000_NS6detail17trampoline_kernelINS0_14default_configENS1_27scan_by_key_config_selectorIiiEEZZNS1_16scan_by_key_implILNS1_25lookback_scan_determinismE0ELb1ES3_N6thrust23THRUST_200600_302600_NS6detail15normal_iteratorINS9_10device_ptrIiEEEESE_SE_iNS9_4plusIiEE19head_flag_predicateiEE10hipError_tPvRmT2_T3_T4_T5_mT6_T7_P12ihipStream_tbENKUlT_T0_E_clISt17integral_constantIbLb1EESY_EEDaST_SU_EUlST_E_NS1_11comp_targetILNS1_3genE10ELNS1_11target_archE1200ELNS1_3gpuE4ELNS1_3repE0EEENS1_30default_config_static_selectorELNS0_4arch9wavefront6targetE0EEEvT1_,comdat
	.protected	_ZN7rocprim17ROCPRIM_400000_NS6detail17trampoline_kernelINS0_14default_configENS1_27scan_by_key_config_selectorIiiEEZZNS1_16scan_by_key_implILNS1_25lookback_scan_determinismE0ELb1ES3_N6thrust23THRUST_200600_302600_NS6detail15normal_iteratorINS9_10device_ptrIiEEEESE_SE_iNS9_4plusIiEE19head_flag_predicateiEE10hipError_tPvRmT2_T3_T4_T5_mT6_T7_P12ihipStream_tbENKUlT_T0_E_clISt17integral_constantIbLb1EESY_EEDaST_SU_EUlST_E_NS1_11comp_targetILNS1_3genE10ELNS1_11target_archE1200ELNS1_3gpuE4ELNS1_3repE0EEENS1_30default_config_static_selectorELNS0_4arch9wavefront6targetE0EEEvT1_ ; -- Begin function _ZN7rocprim17ROCPRIM_400000_NS6detail17trampoline_kernelINS0_14default_configENS1_27scan_by_key_config_selectorIiiEEZZNS1_16scan_by_key_implILNS1_25lookback_scan_determinismE0ELb1ES3_N6thrust23THRUST_200600_302600_NS6detail15normal_iteratorINS9_10device_ptrIiEEEESE_SE_iNS9_4plusIiEE19head_flag_predicateiEE10hipError_tPvRmT2_T3_T4_T5_mT6_T7_P12ihipStream_tbENKUlT_T0_E_clISt17integral_constantIbLb1EESY_EEDaST_SU_EUlST_E_NS1_11comp_targetILNS1_3genE10ELNS1_11target_archE1200ELNS1_3gpuE4ELNS1_3repE0EEENS1_30default_config_static_selectorELNS0_4arch9wavefront6targetE0EEEvT1_
	.globl	_ZN7rocprim17ROCPRIM_400000_NS6detail17trampoline_kernelINS0_14default_configENS1_27scan_by_key_config_selectorIiiEEZZNS1_16scan_by_key_implILNS1_25lookback_scan_determinismE0ELb1ES3_N6thrust23THRUST_200600_302600_NS6detail15normal_iteratorINS9_10device_ptrIiEEEESE_SE_iNS9_4plusIiEE19head_flag_predicateiEE10hipError_tPvRmT2_T3_T4_T5_mT6_T7_P12ihipStream_tbENKUlT_T0_E_clISt17integral_constantIbLb1EESY_EEDaST_SU_EUlST_E_NS1_11comp_targetILNS1_3genE10ELNS1_11target_archE1200ELNS1_3gpuE4ELNS1_3repE0EEENS1_30default_config_static_selectorELNS0_4arch9wavefront6targetE0EEEvT1_
	.p2align	8
	.type	_ZN7rocprim17ROCPRIM_400000_NS6detail17trampoline_kernelINS0_14default_configENS1_27scan_by_key_config_selectorIiiEEZZNS1_16scan_by_key_implILNS1_25lookback_scan_determinismE0ELb1ES3_N6thrust23THRUST_200600_302600_NS6detail15normal_iteratorINS9_10device_ptrIiEEEESE_SE_iNS9_4plusIiEE19head_flag_predicateiEE10hipError_tPvRmT2_T3_T4_T5_mT6_T7_P12ihipStream_tbENKUlT_T0_E_clISt17integral_constantIbLb1EESY_EEDaST_SU_EUlST_E_NS1_11comp_targetILNS1_3genE10ELNS1_11target_archE1200ELNS1_3gpuE4ELNS1_3repE0EEENS1_30default_config_static_selectorELNS0_4arch9wavefront6targetE0EEEvT1_,@function
_ZN7rocprim17ROCPRIM_400000_NS6detail17trampoline_kernelINS0_14default_configENS1_27scan_by_key_config_selectorIiiEEZZNS1_16scan_by_key_implILNS1_25lookback_scan_determinismE0ELb1ES3_N6thrust23THRUST_200600_302600_NS6detail15normal_iteratorINS9_10device_ptrIiEEEESE_SE_iNS9_4plusIiEE19head_flag_predicateiEE10hipError_tPvRmT2_T3_T4_T5_mT6_T7_P12ihipStream_tbENKUlT_T0_E_clISt17integral_constantIbLb1EESY_EEDaST_SU_EUlST_E_NS1_11comp_targetILNS1_3genE10ELNS1_11target_archE1200ELNS1_3gpuE4ELNS1_3repE0EEENS1_30default_config_static_selectorELNS0_4arch9wavefront6targetE0EEEvT1_: ; @_ZN7rocprim17ROCPRIM_400000_NS6detail17trampoline_kernelINS0_14default_configENS1_27scan_by_key_config_selectorIiiEEZZNS1_16scan_by_key_implILNS1_25lookback_scan_determinismE0ELb1ES3_N6thrust23THRUST_200600_302600_NS6detail15normal_iteratorINS9_10device_ptrIiEEEESE_SE_iNS9_4plusIiEE19head_flag_predicateiEE10hipError_tPvRmT2_T3_T4_T5_mT6_T7_P12ihipStream_tbENKUlT_T0_E_clISt17integral_constantIbLb1EESY_EEDaST_SU_EUlST_E_NS1_11comp_targetILNS1_3genE10ELNS1_11target_archE1200ELNS1_3gpuE4ELNS1_3repE0EEENS1_30default_config_static_selectorELNS0_4arch9wavefront6targetE0EEEvT1_
; %bb.0:
	.section	.rodata,"a",@progbits
	.p2align	6, 0x0
	.amdhsa_kernel _ZN7rocprim17ROCPRIM_400000_NS6detail17trampoline_kernelINS0_14default_configENS1_27scan_by_key_config_selectorIiiEEZZNS1_16scan_by_key_implILNS1_25lookback_scan_determinismE0ELb1ES3_N6thrust23THRUST_200600_302600_NS6detail15normal_iteratorINS9_10device_ptrIiEEEESE_SE_iNS9_4plusIiEE19head_flag_predicateiEE10hipError_tPvRmT2_T3_T4_T5_mT6_T7_P12ihipStream_tbENKUlT_T0_E_clISt17integral_constantIbLb1EESY_EEDaST_SU_EUlST_E_NS1_11comp_targetILNS1_3genE10ELNS1_11target_archE1200ELNS1_3gpuE4ELNS1_3repE0EEENS1_30default_config_static_selectorELNS0_4arch9wavefront6targetE0EEEvT1_
		.amdhsa_group_segment_fixed_size 0
		.amdhsa_private_segment_fixed_size 0
		.amdhsa_kernarg_size 112
		.amdhsa_user_sgpr_count 2
		.amdhsa_user_sgpr_dispatch_ptr 0
		.amdhsa_user_sgpr_queue_ptr 0
		.amdhsa_user_sgpr_kernarg_segment_ptr 1
		.amdhsa_user_sgpr_dispatch_id 0
		.amdhsa_user_sgpr_kernarg_preload_length 0
		.amdhsa_user_sgpr_kernarg_preload_offset 0
		.amdhsa_user_sgpr_private_segment_size 0
		.amdhsa_wavefront_size32 1
		.amdhsa_uses_dynamic_stack 0
		.amdhsa_enable_private_segment 0
		.amdhsa_system_sgpr_workgroup_id_x 1
		.amdhsa_system_sgpr_workgroup_id_y 0
		.amdhsa_system_sgpr_workgroup_id_z 0
		.amdhsa_system_sgpr_workgroup_info 0
		.amdhsa_system_vgpr_workitem_id 0
		.amdhsa_next_free_vgpr 1
		.amdhsa_next_free_sgpr 1
		.amdhsa_named_barrier_count 0
		.amdhsa_reserve_vcc 0
		.amdhsa_float_round_mode_32 0
		.amdhsa_float_round_mode_16_64 0
		.amdhsa_float_denorm_mode_32 3
		.amdhsa_float_denorm_mode_16_64 3
		.amdhsa_fp16_overflow 0
		.amdhsa_memory_ordered 1
		.amdhsa_forward_progress 1
		.amdhsa_inst_pref_size 0
		.amdhsa_round_robin_scheduling 0
		.amdhsa_exception_fp_ieee_invalid_op 0
		.amdhsa_exception_fp_denorm_src 0
		.amdhsa_exception_fp_ieee_div_zero 0
		.amdhsa_exception_fp_ieee_overflow 0
		.amdhsa_exception_fp_ieee_underflow 0
		.amdhsa_exception_fp_ieee_inexact 0
		.amdhsa_exception_int_div_zero 0
	.end_amdhsa_kernel
	.section	.text._ZN7rocprim17ROCPRIM_400000_NS6detail17trampoline_kernelINS0_14default_configENS1_27scan_by_key_config_selectorIiiEEZZNS1_16scan_by_key_implILNS1_25lookback_scan_determinismE0ELb1ES3_N6thrust23THRUST_200600_302600_NS6detail15normal_iteratorINS9_10device_ptrIiEEEESE_SE_iNS9_4plusIiEE19head_flag_predicateiEE10hipError_tPvRmT2_T3_T4_T5_mT6_T7_P12ihipStream_tbENKUlT_T0_E_clISt17integral_constantIbLb1EESY_EEDaST_SU_EUlST_E_NS1_11comp_targetILNS1_3genE10ELNS1_11target_archE1200ELNS1_3gpuE4ELNS1_3repE0EEENS1_30default_config_static_selectorELNS0_4arch9wavefront6targetE0EEEvT1_,"axG",@progbits,_ZN7rocprim17ROCPRIM_400000_NS6detail17trampoline_kernelINS0_14default_configENS1_27scan_by_key_config_selectorIiiEEZZNS1_16scan_by_key_implILNS1_25lookback_scan_determinismE0ELb1ES3_N6thrust23THRUST_200600_302600_NS6detail15normal_iteratorINS9_10device_ptrIiEEEESE_SE_iNS9_4plusIiEE19head_flag_predicateiEE10hipError_tPvRmT2_T3_T4_T5_mT6_T7_P12ihipStream_tbENKUlT_T0_E_clISt17integral_constantIbLb1EESY_EEDaST_SU_EUlST_E_NS1_11comp_targetILNS1_3genE10ELNS1_11target_archE1200ELNS1_3gpuE4ELNS1_3repE0EEENS1_30default_config_static_selectorELNS0_4arch9wavefront6targetE0EEEvT1_,comdat
.Lfunc_end800:
	.size	_ZN7rocprim17ROCPRIM_400000_NS6detail17trampoline_kernelINS0_14default_configENS1_27scan_by_key_config_selectorIiiEEZZNS1_16scan_by_key_implILNS1_25lookback_scan_determinismE0ELb1ES3_N6thrust23THRUST_200600_302600_NS6detail15normal_iteratorINS9_10device_ptrIiEEEESE_SE_iNS9_4plusIiEE19head_flag_predicateiEE10hipError_tPvRmT2_T3_T4_T5_mT6_T7_P12ihipStream_tbENKUlT_T0_E_clISt17integral_constantIbLb1EESY_EEDaST_SU_EUlST_E_NS1_11comp_targetILNS1_3genE10ELNS1_11target_archE1200ELNS1_3gpuE4ELNS1_3repE0EEENS1_30default_config_static_selectorELNS0_4arch9wavefront6targetE0EEEvT1_, .Lfunc_end800-_ZN7rocprim17ROCPRIM_400000_NS6detail17trampoline_kernelINS0_14default_configENS1_27scan_by_key_config_selectorIiiEEZZNS1_16scan_by_key_implILNS1_25lookback_scan_determinismE0ELb1ES3_N6thrust23THRUST_200600_302600_NS6detail15normal_iteratorINS9_10device_ptrIiEEEESE_SE_iNS9_4plusIiEE19head_flag_predicateiEE10hipError_tPvRmT2_T3_T4_T5_mT6_T7_P12ihipStream_tbENKUlT_T0_E_clISt17integral_constantIbLb1EESY_EEDaST_SU_EUlST_E_NS1_11comp_targetILNS1_3genE10ELNS1_11target_archE1200ELNS1_3gpuE4ELNS1_3repE0EEENS1_30default_config_static_selectorELNS0_4arch9wavefront6targetE0EEEvT1_
                                        ; -- End function
	.set _ZN7rocprim17ROCPRIM_400000_NS6detail17trampoline_kernelINS0_14default_configENS1_27scan_by_key_config_selectorIiiEEZZNS1_16scan_by_key_implILNS1_25lookback_scan_determinismE0ELb1ES3_N6thrust23THRUST_200600_302600_NS6detail15normal_iteratorINS9_10device_ptrIiEEEESE_SE_iNS9_4plusIiEE19head_flag_predicateiEE10hipError_tPvRmT2_T3_T4_T5_mT6_T7_P12ihipStream_tbENKUlT_T0_E_clISt17integral_constantIbLb1EESY_EEDaST_SU_EUlST_E_NS1_11comp_targetILNS1_3genE10ELNS1_11target_archE1200ELNS1_3gpuE4ELNS1_3repE0EEENS1_30default_config_static_selectorELNS0_4arch9wavefront6targetE0EEEvT1_.num_vgpr, 0
	.set _ZN7rocprim17ROCPRIM_400000_NS6detail17trampoline_kernelINS0_14default_configENS1_27scan_by_key_config_selectorIiiEEZZNS1_16scan_by_key_implILNS1_25lookback_scan_determinismE0ELb1ES3_N6thrust23THRUST_200600_302600_NS6detail15normal_iteratorINS9_10device_ptrIiEEEESE_SE_iNS9_4plusIiEE19head_flag_predicateiEE10hipError_tPvRmT2_T3_T4_T5_mT6_T7_P12ihipStream_tbENKUlT_T0_E_clISt17integral_constantIbLb1EESY_EEDaST_SU_EUlST_E_NS1_11comp_targetILNS1_3genE10ELNS1_11target_archE1200ELNS1_3gpuE4ELNS1_3repE0EEENS1_30default_config_static_selectorELNS0_4arch9wavefront6targetE0EEEvT1_.num_agpr, 0
	.set _ZN7rocprim17ROCPRIM_400000_NS6detail17trampoline_kernelINS0_14default_configENS1_27scan_by_key_config_selectorIiiEEZZNS1_16scan_by_key_implILNS1_25lookback_scan_determinismE0ELb1ES3_N6thrust23THRUST_200600_302600_NS6detail15normal_iteratorINS9_10device_ptrIiEEEESE_SE_iNS9_4plusIiEE19head_flag_predicateiEE10hipError_tPvRmT2_T3_T4_T5_mT6_T7_P12ihipStream_tbENKUlT_T0_E_clISt17integral_constantIbLb1EESY_EEDaST_SU_EUlST_E_NS1_11comp_targetILNS1_3genE10ELNS1_11target_archE1200ELNS1_3gpuE4ELNS1_3repE0EEENS1_30default_config_static_selectorELNS0_4arch9wavefront6targetE0EEEvT1_.numbered_sgpr, 0
	.set _ZN7rocprim17ROCPRIM_400000_NS6detail17trampoline_kernelINS0_14default_configENS1_27scan_by_key_config_selectorIiiEEZZNS1_16scan_by_key_implILNS1_25lookback_scan_determinismE0ELb1ES3_N6thrust23THRUST_200600_302600_NS6detail15normal_iteratorINS9_10device_ptrIiEEEESE_SE_iNS9_4plusIiEE19head_flag_predicateiEE10hipError_tPvRmT2_T3_T4_T5_mT6_T7_P12ihipStream_tbENKUlT_T0_E_clISt17integral_constantIbLb1EESY_EEDaST_SU_EUlST_E_NS1_11comp_targetILNS1_3genE10ELNS1_11target_archE1200ELNS1_3gpuE4ELNS1_3repE0EEENS1_30default_config_static_selectorELNS0_4arch9wavefront6targetE0EEEvT1_.num_named_barrier, 0
	.set _ZN7rocprim17ROCPRIM_400000_NS6detail17trampoline_kernelINS0_14default_configENS1_27scan_by_key_config_selectorIiiEEZZNS1_16scan_by_key_implILNS1_25lookback_scan_determinismE0ELb1ES3_N6thrust23THRUST_200600_302600_NS6detail15normal_iteratorINS9_10device_ptrIiEEEESE_SE_iNS9_4plusIiEE19head_flag_predicateiEE10hipError_tPvRmT2_T3_T4_T5_mT6_T7_P12ihipStream_tbENKUlT_T0_E_clISt17integral_constantIbLb1EESY_EEDaST_SU_EUlST_E_NS1_11comp_targetILNS1_3genE10ELNS1_11target_archE1200ELNS1_3gpuE4ELNS1_3repE0EEENS1_30default_config_static_selectorELNS0_4arch9wavefront6targetE0EEEvT1_.private_seg_size, 0
	.set _ZN7rocprim17ROCPRIM_400000_NS6detail17trampoline_kernelINS0_14default_configENS1_27scan_by_key_config_selectorIiiEEZZNS1_16scan_by_key_implILNS1_25lookback_scan_determinismE0ELb1ES3_N6thrust23THRUST_200600_302600_NS6detail15normal_iteratorINS9_10device_ptrIiEEEESE_SE_iNS9_4plusIiEE19head_flag_predicateiEE10hipError_tPvRmT2_T3_T4_T5_mT6_T7_P12ihipStream_tbENKUlT_T0_E_clISt17integral_constantIbLb1EESY_EEDaST_SU_EUlST_E_NS1_11comp_targetILNS1_3genE10ELNS1_11target_archE1200ELNS1_3gpuE4ELNS1_3repE0EEENS1_30default_config_static_selectorELNS0_4arch9wavefront6targetE0EEEvT1_.uses_vcc, 0
	.set _ZN7rocprim17ROCPRIM_400000_NS6detail17trampoline_kernelINS0_14default_configENS1_27scan_by_key_config_selectorIiiEEZZNS1_16scan_by_key_implILNS1_25lookback_scan_determinismE0ELb1ES3_N6thrust23THRUST_200600_302600_NS6detail15normal_iteratorINS9_10device_ptrIiEEEESE_SE_iNS9_4plusIiEE19head_flag_predicateiEE10hipError_tPvRmT2_T3_T4_T5_mT6_T7_P12ihipStream_tbENKUlT_T0_E_clISt17integral_constantIbLb1EESY_EEDaST_SU_EUlST_E_NS1_11comp_targetILNS1_3genE10ELNS1_11target_archE1200ELNS1_3gpuE4ELNS1_3repE0EEENS1_30default_config_static_selectorELNS0_4arch9wavefront6targetE0EEEvT1_.uses_flat_scratch, 0
	.set _ZN7rocprim17ROCPRIM_400000_NS6detail17trampoline_kernelINS0_14default_configENS1_27scan_by_key_config_selectorIiiEEZZNS1_16scan_by_key_implILNS1_25lookback_scan_determinismE0ELb1ES3_N6thrust23THRUST_200600_302600_NS6detail15normal_iteratorINS9_10device_ptrIiEEEESE_SE_iNS9_4plusIiEE19head_flag_predicateiEE10hipError_tPvRmT2_T3_T4_T5_mT6_T7_P12ihipStream_tbENKUlT_T0_E_clISt17integral_constantIbLb1EESY_EEDaST_SU_EUlST_E_NS1_11comp_targetILNS1_3genE10ELNS1_11target_archE1200ELNS1_3gpuE4ELNS1_3repE0EEENS1_30default_config_static_selectorELNS0_4arch9wavefront6targetE0EEEvT1_.has_dyn_sized_stack, 0
	.set _ZN7rocprim17ROCPRIM_400000_NS6detail17trampoline_kernelINS0_14default_configENS1_27scan_by_key_config_selectorIiiEEZZNS1_16scan_by_key_implILNS1_25lookback_scan_determinismE0ELb1ES3_N6thrust23THRUST_200600_302600_NS6detail15normal_iteratorINS9_10device_ptrIiEEEESE_SE_iNS9_4plusIiEE19head_flag_predicateiEE10hipError_tPvRmT2_T3_T4_T5_mT6_T7_P12ihipStream_tbENKUlT_T0_E_clISt17integral_constantIbLb1EESY_EEDaST_SU_EUlST_E_NS1_11comp_targetILNS1_3genE10ELNS1_11target_archE1200ELNS1_3gpuE4ELNS1_3repE0EEENS1_30default_config_static_selectorELNS0_4arch9wavefront6targetE0EEEvT1_.has_recursion, 0
	.set _ZN7rocprim17ROCPRIM_400000_NS6detail17trampoline_kernelINS0_14default_configENS1_27scan_by_key_config_selectorIiiEEZZNS1_16scan_by_key_implILNS1_25lookback_scan_determinismE0ELb1ES3_N6thrust23THRUST_200600_302600_NS6detail15normal_iteratorINS9_10device_ptrIiEEEESE_SE_iNS9_4plusIiEE19head_flag_predicateiEE10hipError_tPvRmT2_T3_T4_T5_mT6_T7_P12ihipStream_tbENKUlT_T0_E_clISt17integral_constantIbLb1EESY_EEDaST_SU_EUlST_E_NS1_11comp_targetILNS1_3genE10ELNS1_11target_archE1200ELNS1_3gpuE4ELNS1_3repE0EEENS1_30default_config_static_selectorELNS0_4arch9wavefront6targetE0EEEvT1_.has_indirect_call, 0
	.section	.AMDGPU.csdata,"",@progbits
; Kernel info:
; codeLenInByte = 0
; TotalNumSgprs: 0
; NumVgprs: 0
; ScratchSize: 0
; MemoryBound: 0
; FloatMode: 240
; IeeeMode: 1
; LDSByteSize: 0 bytes/workgroup (compile time only)
; SGPRBlocks: 0
; VGPRBlocks: 0
; NumSGPRsForWavesPerEU: 1
; NumVGPRsForWavesPerEU: 1
; NamedBarCnt: 0
; Occupancy: 16
; WaveLimiterHint : 0
; COMPUTE_PGM_RSRC2:SCRATCH_EN: 0
; COMPUTE_PGM_RSRC2:USER_SGPR: 2
; COMPUTE_PGM_RSRC2:TRAP_HANDLER: 0
; COMPUTE_PGM_RSRC2:TGID_X_EN: 1
; COMPUTE_PGM_RSRC2:TGID_Y_EN: 0
; COMPUTE_PGM_RSRC2:TGID_Z_EN: 0
; COMPUTE_PGM_RSRC2:TIDIG_COMP_CNT: 0
	.section	.text._ZN7rocprim17ROCPRIM_400000_NS6detail17trampoline_kernelINS0_14default_configENS1_27scan_by_key_config_selectorIiiEEZZNS1_16scan_by_key_implILNS1_25lookback_scan_determinismE0ELb1ES3_N6thrust23THRUST_200600_302600_NS6detail15normal_iteratorINS9_10device_ptrIiEEEESE_SE_iNS9_4plusIiEE19head_flag_predicateiEE10hipError_tPvRmT2_T3_T4_T5_mT6_T7_P12ihipStream_tbENKUlT_T0_E_clISt17integral_constantIbLb1EESY_EEDaST_SU_EUlST_E_NS1_11comp_targetILNS1_3genE9ELNS1_11target_archE1100ELNS1_3gpuE3ELNS1_3repE0EEENS1_30default_config_static_selectorELNS0_4arch9wavefront6targetE0EEEvT1_,"axG",@progbits,_ZN7rocprim17ROCPRIM_400000_NS6detail17trampoline_kernelINS0_14default_configENS1_27scan_by_key_config_selectorIiiEEZZNS1_16scan_by_key_implILNS1_25lookback_scan_determinismE0ELb1ES3_N6thrust23THRUST_200600_302600_NS6detail15normal_iteratorINS9_10device_ptrIiEEEESE_SE_iNS9_4plusIiEE19head_flag_predicateiEE10hipError_tPvRmT2_T3_T4_T5_mT6_T7_P12ihipStream_tbENKUlT_T0_E_clISt17integral_constantIbLb1EESY_EEDaST_SU_EUlST_E_NS1_11comp_targetILNS1_3genE9ELNS1_11target_archE1100ELNS1_3gpuE3ELNS1_3repE0EEENS1_30default_config_static_selectorELNS0_4arch9wavefront6targetE0EEEvT1_,comdat
	.protected	_ZN7rocprim17ROCPRIM_400000_NS6detail17trampoline_kernelINS0_14default_configENS1_27scan_by_key_config_selectorIiiEEZZNS1_16scan_by_key_implILNS1_25lookback_scan_determinismE0ELb1ES3_N6thrust23THRUST_200600_302600_NS6detail15normal_iteratorINS9_10device_ptrIiEEEESE_SE_iNS9_4plusIiEE19head_flag_predicateiEE10hipError_tPvRmT2_T3_T4_T5_mT6_T7_P12ihipStream_tbENKUlT_T0_E_clISt17integral_constantIbLb1EESY_EEDaST_SU_EUlST_E_NS1_11comp_targetILNS1_3genE9ELNS1_11target_archE1100ELNS1_3gpuE3ELNS1_3repE0EEENS1_30default_config_static_selectorELNS0_4arch9wavefront6targetE0EEEvT1_ ; -- Begin function _ZN7rocprim17ROCPRIM_400000_NS6detail17trampoline_kernelINS0_14default_configENS1_27scan_by_key_config_selectorIiiEEZZNS1_16scan_by_key_implILNS1_25lookback_scan_determinismE0ELb1ES3_N6thrust23THRUST_200600_302600_NS6detail15normal_iteratorINS9_10device_ptrIiEEEESE_SE_iNS9_4plusIiEE19head_flag_predicateiEE10hipError_tPvRmT2_T3_T4_T5_mT6_T7_P12ihipStream_tbENKUlT_T0_E_clISt17integral_constantIbLb1EESY_EEDaST_SU_EUlST_E_NS1_11comp_targetILNS1_3genE9ELNS1_11target_archE1100ELNS1_3gpuE3ELNS1_3repE0EEENS1_30default_config_static_selectorELNS0_4arch9wavefront6targetE0EEEvT1_
	.globl	_ZN7rocprim17ROCPRIM_400000_NS6detail17trampoline_kernelINS0_14default_configENS1_27scan_by_key_config_selectorIiiEEZZNS1_16scan_by_key_implILNS1_25lookback_scan_determinismE0ELb1ES3_N6thrust23THRUST_200600_302600_NS6detail15normal_iteratorINS9_10device_ptrIiEEEESE_SE_iNS9_4plusIiEE19head_flag_predicateiEE10hipError_tPvRmT2_T3_T4_T5_mT6_T7_P12ihipStream_tbENKUlT_T0_E_clISt17integral_constantIbLb1EESY_EEDaST_SU_EUlST_E_NS1_11comp_targetILNS1_3genE9ELNS1_11target_archE1100ELNS1_3gpuE3ELNS1_3repE0EEENS1_30default_config_static_selectorELNS0_4arch9wavefront6targetE0EEEvT1_
	.p2align	8
	.type	_ZN7rocprim17ROCPRIM_400000_NS6detail17trampoline_kernelINS0_14default_configENS1_27scan_by_key_config_selectorIiiEEZZNS1_16scan_by_key_implILNS1_25lookback_scan_determinismE0ELb1ES3_N6thrust23THRUST_200600_302600_NS6detail15normal_iteratorINS9_10device_ptrIiEEEESE_SE_iNS9_4plusIiEE19head_flag_predicateiEE10hipError_tPvRmT2_T3_T4_T5_mT6_T7_P12ihipStream_tbENKUlT_T0_E_clISt17integral_constantIbLb1EESY_EEDaST_SU_EUlST_E_NS1_11comp_targetILNS1_3genE9ELNS1_11target_archE1100ELNS1_3gpuE3ELNS1_3repE0EEENS1_30default_config_static_selectorELNS0_4arch9wavefront6targetE0EEEvT1_,@function
_ZN7rocprim17ROCPRIM_400000_NS6detail17trampoline_kernelINS0_14default_configENS1_27scan_by_key_config_selectorIiiEEZZNS1_16scan_by_key_implILNS1_25lookback_scan_determinismE0ELb1ES3_N6thrust23THRUST_200600_302600_NS6detail15normal_iteratorINS9_10device_ptrIiEEEESE_SE_iNS9_4plusIiEE19head_flag_predicateiEE10hipError_tPvRmT2_T3_T4_T5_mT6_T7_P12ihipStream_tbENKUlT_T0_E_clISt17integral_constantIbLb1EESY_EEDaST_SU_EUlST_E_NS1_11comp_targetILNS1_3genE9ELNS1_11target_archE1100ELNS1_3gpuE3ELNS1_3repE0EEENS1_30default_config_static_selectorELNS0_4arch9wavefront6targetE0EEEvT1_: ; @_ZN7rocprim17ROCPRIM_400000_NS6detail17trampoline_kernelINS0_14default_configENS1_27scan_by_key_config_selectorIiiEEZZNS1_16scan_by_key_implILNS1_25lookback_scan_determinismE0ELb1ES3_N6thrust23THRUST_200600_302600_NS6detail15normal_iteratorINS9_10device_ptrIiEEEESE_SE_iNS9_4plusIiEE19head_flag_predicateiEE10hipError_tPvRmT2_T3_T4_T5_mT6_T7_P12ihipStream_tbENKUlT_T0_E_clISt17integral_constantIbLb1EESY_EEDaST_SU_EUlST_E_NS1_11comp_targetILNS1_3genE9ELNS1_11target_archE1100ELNS1_3gpuE3ELNS1_3repE0EEENS1_30default_config_static_selectorELNS0_4arch9wavefront6targetE0EEEvT1_
; %bb.0:
	.section	.rodata,"a",@progbits
	.p2align	6, 0x0
	.amdhsa_kernel _ZN7rocprim17ROCPRIM_400000_NS6detail17trampoline_kernelINS0_14default_configENS1_27scan_by_key_config_selectorIiiEEZZNS1_16scan_by_key_implILNS1_25lookback_scan_determinismE0ELb1ES3_N6thrust23THRUST_200600_302600_NS6detail15normal_iteratorINS9_10device_ptrIiEEEESE_SE_iNS9_4plusIiEE19head_flag_predicateiEE10hipError_tPvRmT2_T3_T4_T5_mT6_T7_P12ihipStream_tbENKUlT_T0_E_clISt17integral_constantIbLb1EESY_EEDaST_SU_EUlST_E_NS1_11comp_targetILNS1_3genE9ELNS1_11target_archE1100ELNS1_3gpuE3ELNS1_3repE0EEENS1_30default_config_static_selectorELNS0_4arch9wavefront6targetE0EEEvT1_
		.amdhsa_group_segment_fixed_size 0
		.amdhsa_private_segment_fixed_size 0
		.amdhsa_kernarg_size 112
		.amdhsa_user_sgpr_count 2
		.amdhsa_user_sgpr_dispatch_ptr 0
		.amdhsa_user_sgpr_queue_ptr 0
		.amdhsa_user_sgpr_kernarg_segment_ptr 1
		.amdhsa_user_sgpr_dispatch_id 0
		.amdhsa_user_sgpr_kernarg_preload_length 0
		.amdhsa_user_sgpr_kernarg_preload_offset 0
		.amdhsa_user_sgpr_private_segment_size 0
		.amdhsa_wavefront_size32 1
		.amdhsa_uses_dynamic_stack 0
		.amdhsa_enable_private_segment 0
		.amdhsa_system_sgpr_workgroup_id_x 1
		.amdhsa_system_sgpr_workgroup_id_y 0
		.amdhsa_system_sgpr_workgroup_id_z 0
		.amdhsa_system_sgpr_workgroup_info 0
		.amdhsa_system_vgpr_workitem_id 0
		.amdhsa_next_free_vgpr 1
		.amdhsa_next_free_sgpr 1
		.amdhsa_named_barrier_count 0
		.amdhsa_reserve_vcc 0
		.amdhsa_float_round_mode_32 0
		.amdhsa_float_round_mode_16_64 0
		.amdhsa_float_denorm_mode_32 3
		.amdhsa_float_denorm_mode_16_64 3
		.amdhsa_fp16_overflow 0
		.amdhsa_memory_ordered 1
		.amdhsa_forward_progress 1
		.amdhsa_inst_pref_size 0
		.amdhsa_round_robin_scheduling 0
		.amdhsa_exception_fp_ieee_invalid_op 0
		.amdhsa_exception_fp_denorm_src 0
		.amdhsa_exception_fp_ieee_div_zero 0
		.amdhsa_exception_fp_ieee_overflow 0
		.amdhsa_exception_fp_ieee_underflow 0
		.amdhsa_exception_fp_ieee_inexact 0
		.amdhsa_exception_int_div_zero 0
	.end_amdhsa_kernel
	.section	.text._ZN7rocprim17ROCPRIM_400000_NS6detail17trampoline_kernelINS0_14default_configENS1_27scan_by_key_config_selectorIiiEEZZNS1_16scan_by_key_implILNS1_25lookback_scan_determinismE0ELb1ES3_N6thrust23THRUST_200600_302600_NS6detail15normal_iteratorINS9_10device_ptrIiEEEESE_SE_iNS9_4plusIiEE19head_flag_predicateiEE10hipError_tPvRmT2_T3_T4_T5_mT6_T7_P12ihipStream_tbENKUlT_T0_E_clISt17integral_constantIbLb1EESY_EEDaST_SU_EUlST_E_NS1_11comp_targetILNS1_3genE9ELNS1_11target_archE1100ELNS1_3gpuE3ELNS1_3repE0EEENS1_30default_config_static_selectorELNS0_4arch9wavefront6targetE0EEEvT1_,"axG",@progbits,_ZN7rocprim17ROCPRIM_400000_NS6detail17trampoline_kernelINS0_14default_configENS1_27scan_by_key_config_selectorIiiEEZZNS1_16scan_by_key_implILNS1_25lookback_scan_determinismE0ELb1ES3_N6thrust23THRUST_200600_302600_NS6detail15normal_iteratorINS9_10device_ptrIiEEEESE_SE_iNS9_4plusIiEE19head_flag_predicateiEE10hipError_tPvRmT2_T3_T4_T5_mT6_T7_P12ihipStream_tbENKUlT_T0_E_clISt17integral_constantIbLb1EESY_EEDaST_SU_EUlST_E_NS1_11comp_targetILNS1_3genE9ELNS1_11target_archE1100ELNS1_3gpuE3ELNS1_3repE0EEENS1_30default_config_static_selectorELNS0_4arch9wavefront6targetE0EEEvT1_,comdat
.Lfunc_end801:
	.size	_ZN7rocprim17ROCPRIM_400000_NS6detail17trampoline_kernelINS0_14default_configENS1_27scan_by_key_config_selectorIiiEEZZNS1_16scan_by_key_implILNS1_25lookback_scan_determinismE0ELb1ES3_N6thrust23THRUST_200600_302600_NS6detail15normal_iteratorINS9_10device_ptrIiEEEESE_SE_iNS9_4plusIiEE19head_flag_predicateiEE10hipError_tPvRmT2_T3_T4_T5_mT6_T7_P12ihipStream_tbENKUlT_T0_E_clISt17integral_constantIbLb1EESY_EEDaST_SU_EUlST_E_NS1_11comp_targetILNS1_3genE9ELNS1_11target_archE1100ELNS1_3gpuE3ELNS1_3repE0EEENS1_30default_config_static_selectorELNS0_4arch9wavefront6targetE0EEEvT1_, .Lfunc_end801-_ZN7rocprim17ROCPRIM_400000_NS6detail17trampoline_kernelINS0_14default_configENS1_27scan_by_key_config_selectorIiiEEZZNS1_16scan_by_key_implILNS1_25lookback_scan_determinismE0ELb1ES3_N6thrust23THRUST_200600_302600_NS6detail15normal_iteratorINS9_10device_ptrIiEEEESE_SE_iNS9_4plusIiEE19head_flag_predicateiEE10hipError_tPvRmT2_T3_T4_T5_mT6_T7_P12ihipStream_tbENKUlT_T0_E_clISt17integral_constantIbLb1EESY_EEDaST_SU_EUlST_E_NS1_11comp_targetILNS1_3genE9ELNS1_11target_archE1100ELNS1_3gpuE3ELNS1_3repE0EEENS1_30default_config_static_selectorELNS0_4arch9wavefront6targetE0EEEvT1_
                                        ; -- End function
	.set _ZN7rocprim17ROCPRIM_400000_NS6detail17trampoline_kernelINS0_14default_configENS1_27scan_by_key_config_selectorIiiEEZZNS1_16scan_by_key_implILNS1_25lookback_scan_determinismE0ELb1ES3_N6thrust23THRUST_200600_302600_NS6detail15normal_iteratorINS9_10device_ptrIiEEEESE_SE_iNS9_4plusIiEE19head_flag_predicateiEE10hipError_tPvRmT2_T3_T4_T5_mT6_T7_P12ihipStream_tbENKUlT_T0_E_clISt17integral_constantIbLb1EESY_EEDaST_SU_EUlST_E_NS1_11comp_targetILNS1_3genE9ELNS1_11target_archE1100ELNS1_3gpuE3ELNS1_3repE0EEENS1_30default_config_static_selectorELNS0_4arch9wavefront6targetE0EEEvT1_.num_vgpr, 0
	.set _ZN7rocprim17ROCPRIM_400000_NS6detail17trampoline_kernelINS0_14default_configENS1_27scan_by_key_config_selectorIiiEEZZNS1_16scan_by_key_implILNS1_25lookback_scan_determinismE0ELb1ES3_N6thrust23THRUST_200600_302600_NS6detail15normal_iteratorINS9_10device_ptrIiEEEESE_SE_iNS9_4plusIiEE19head_flag_predicateiEE10hipError_tPvRmT2_T3_T4_T5_mT6_T7_P12ihipStream_tbENKUlT_T0_E_clISt17integral_constantIbLb1EESY_EEDaST_SU_EUlST_E_NS1_11comp_targetILNS1_3genE9ELNS1_11target_archE1100ELNS1_3gpuE3ELNS1_3repE0EEENS1_30default_config_static_selectorELNS0_4arch9wavefront6targetE0EEEvT1_.num_agpr, 0
	.set _ZN7rocprim17ROCPRIM_400000_NS6detail17trampoline_kernelINS0_14default_configENS1_27scan_by_key_config_selectorIiiEEZZNS1_16scan_by_key_implILNS1_25lookback_scan_determinismE0ELb1ES3_N6thrust23THRUST_200600_302600_NS6detail15normal_iteratorINS9_10device_ptrIiEEEESE_SE_iNS9_4plusIiEE19head_flag_predicateiEE10hipError_tPvRmT2_T3_T4_T5_mT6_T7_P12ihipStream_tbENKUlT_T0_E_clISt17integral_constantIbLb1EESY_EEDaST_SU_EUlST_E_NS1_11comp_targetILNS1_3genE9ELNS1_11target_archE1100ELNS1_3gpuE3ELNS1_3repE0EEENS1_30default_config_static_selectorELNS0_4arch9wavefront6targetE0EEEvT1_.numbered_sgpr, 0
	.set _ZN7rocprim17ROCPRIM_400000_NS6detail17trampoline_kernelINS0_14default_configENS1_27scan_by_key_config_selectorIiiEEZZNS1_16scan_by_key_implILNS1_25lookback_scan_determinismE0ELb1ES3_N6thrust23THRUST_200600_302600_NS6detail15normal_iteratorINS9_10device_ptrIiEEEESE_SE_iNS9_4plusIiEE19head_flag_predicateiEE10hipError_tPvRmT2_T3_T4_T5_mT6_T7_P12ihipStream_tbENKUlT_T0_E_clISt17integral_constantIbLb1EESY_EEDaST_SU_EUlST_E_NS1_11comp_targetILNS1_3genE9ELNS1_11target_archE1100ELNS1_3gpuE3ELNS1_3repE0EEENS1_30default_config_static_selectorELNS0_4arch9wavefront6targetE0EEEvT1_.num_named_barrier, 0
	.set _ZN7rocprim17ROCPRIM_400000_NS6detail17trampoline_kernelINS0_14default_configENS1_27scan_by_key_config_selectorIiiEEZZNS1_16scan_by_key_implILNS1_25lookback_scan_determinismE0ELb1ES3_N6thrust23THRUST_200600_302600_NS6detail15normal_iteratorINS9_10device_ptrIiEEEESE_SE_iNS9_4plusIiEE19head_flag_predicateiEE10hipError_tPvRmT2_T3_T4_T5_mT6_T7_P12ihipStream_tbENKUlT_T0_E_clISt17integral_constantIbLb1EESY_EEDaST_SU_EUlST_E_NS1_11comp_targetILNS1_3genE9ELNS1_11target_archE1100ELNS1_3gpuE3ELNS1_3repE0EEENS1_30default_config_static_selectorELNS0_4arch9wavefront6targetE0EEEvT1_.private_seg_size, 0
	.set _ZN7rocprim17ROCPRIM_400000_NS6detail17trampoline_kernelINS0_14default_configENS1_27scan_by_key_config_selectorIiiEEZZNS1_16scan_by_key_implILNS1_25lookback_scan_determinismE0ELb1ES3_N6thrust23THRUST_200600_302600_NS6detail15normal_iteratorINS9_10device_ptrIiEEEESE_SE_iNS9_4plusIiEE19head_flag_predicateiEE10hipError_tPvRmT2_T3_T4_T5_mT6_T7_P12ihipStream_tbENKUlT_T0_E_clISt17integral_constantIbLb1EESY_EEDaST_SU_EUlST_E_NS1_11comp_targetILNS1_3genE9ELNS1_11target_archE1100ELNS1_3gpuE3ELNS1_3repE0EEENS1_30default_config_static_selectorELNS0_4arch9wavefront6targetE0EEEvT1_.uses_vcc, 0
	.set _ZN7rocprim17ROCPRIM_400000_NS6detail17trampoline_kernelINS0_14default_configENS1_27scan_by_key_config_selectorIiiEEZZNS1_16scan_by_key_implILNS1_25lookback_scan_determinismE0ELb1ES3_N6thrust23THRUST_200600_302600_NS6detail15normal_iteratorINS9_10device_ptrIiEEEESE_SE_iNS9_4plusIiEE19head_flag_predicateiEE10hipError_tPvRmT2_T3_T4_T5_mT6_T7_P12ihipStream_tbENKUlT_T0_E_clISt17integral_constantIbLb1EESY_EEDaST_SU_EUlST_E_NS1_11comp_targetILNS1_3genE9ELNS1_11target_archE1100ELNS1_3gpuE3ELNS1_3repE0EEENS1_30default_config_static_selectorELNS0_4arch9wavefront6targetE0EEEvT1_.uses_flat_scratch, 0
	.set _ZN7rocprim17ROCPRIM_400000_NS6detail17trampoline_kernelINS0_14default_configENS1_27scan_by_key_config_selectorIiiEEZZNS1_16scan_by_key_implILNS1_25lookback_scan_determinismE0ELb1ES3_N6thrust23THRUST_200600_302600_NS6detail15normal_iteratorINS9_10device_ptrIiEEEESE_SE_iNS9_4plusIiEE19head_flag_predicateiEE10hipError_tPvRmT2_T3_T4_T5_mT6_T7_P12ihipStream_tbENKUlT_T0_E_clISt17integral_constantIbLb1EESY_EEDaST_SU_EUlST_E_NS1_11comp_targetILNS1_3genE9ELNS1_11target_archE1100ELNS1_3gpuE3ELNS1_3repE0EEENS1_30default_config_static_selectorELNS0_4arch9wavefront6targetE0EEEvT1_.has_dyn_sized_stack, 0
	.set _ZN7rocprim17ROCPRIM_400000_NS6detail17trampoline_kernelINS0_14default_configENS1_27scan_by_key_config_selectorIiiEEZZNS1_16scan_by_key_implILNS1_25lookback_scan_determinismE0ELb1ES3_N6thrust23THRUST_200600_302600_NS6detail15normal_iteratorINS9_10device_ptrIiEEEESE_SE_iNS9_4plusIiEE19head_flag_predicateiEE10hipError_tPvRmT2_T3_T4_T5_mT6_T7_P12ihipStream_tbENKUlT_T0_E_clISt17integral_constantIbLb1EESY_EEDaST_SU_EUlST_E_NS1_11comp_targetILNS1_3genE9ELNS1_11target_archE1100ELNS1_3gpuE3ELNS1_3repE0EEENS1_30default_config_static_selectorELNS0_4arch9wavefront6targetE0EEEvT1_.has_recursion, 0
	.set _ZN7rocprim17ROCPRIM_400000_NS6detail17trampoline_kernelINS0_14default_configENS1_27scan_by_key_config_selectorIiiEEZZNS1_16scan_by_key_implILNS1_25lookback_scan_determinismE0ELb1ES3_N6thrust23THRUST_200600_302600_NS6detail15normal_iteratorINS9_10device_ptrIiEEEESE_SE_iNS9_4plusIiEE19head_flag_predicateiEE10hipError_tPvRmT2_T3_T4_T5_mT6_T7_P12ihipStream_tbENKUlT_T0_E_clISt17integral_constantIbLb1EESY_EEDaST_SU_EUlST_E_NS1_11comp_targetILNS1_3genE9ELNS1_11target_archE1100ELNS1_3gpuE3ELNS1_3repE0EEENS1_30default_config_static_selectorELNS0_4arch9wavefront6targetE0EEEvT1_.has_indirect_call, 0
	.section	.AMDGPU.csdata,"",@progbits
; Kernel info:
; codeLenInByte = 0
; TotalNumSgprs: 0
; NumVgprs: 0
; ScratchSize: 0
; MemoryBound: 0
; FloatMode: 240
; IeeeMode: 1
; LDSByteSize: 0 bytes/workgroup (compile time only)
; SGPRBlocks: 0
; VGPRBlocks: 0
; NumSGPRsForWavesPerEU: 1
; NumVGPRsForWavesPerEU: 1
; NamedBarCnt: 0
; Occupancy: 16
; WaveLimiterHint : 0
; COMPUTE_PGM_RSRC2:SCRATCH_EN: 0
; COMPUTE_PGM_RSRC2:USER_SGPR: 2
; COMPUTE_PGM_RSRC2:TRAP_HANDLER: 0
; COMPUTE_PGM_RSRC2:TGID_X_EN: 1
; COMPUTE_PGM_RSRC2:TGID_Y_EN: 0
; COMPUTE_PGM_RSRC2:TGID_Z_EN: 0
; COMPUTE_PGM_RSRC2:TIDIG_COMP_CNT: 0
	.section	.text._ZN7rocprim17ROCPRIM_400000_NS6detail17trampoline_kernelINS0_14default_configENS1_27scan_by_key_config_selectorIiiEEZZNS1_16scan_by_key_implILNS1_25lookback_scan_determinismE0ELb1ES3_N6thrust23THRUST_200600_302600_NS6detail15normal_iteratorINS9_10device_ptrIiEEEESE_SE_iNS9_4plusIiEE19head_flag_predicateiEE10hipError_tPvRmT2_T3_T4_T5_mT6_T7_P12ihipStream_tbENKUlT_T0_E_clISt17integral_constantIbLb1EESY_EEDaST_SU_EUlST_E_NS1_11comp_targetILNS1_3genE8ELNS1_11target_archE1030ELNS1_3gpuE2ELNS1_3repE0EEENS1_30default_config_static_selectorELNS0_4arch9wavefront6targetE0EEEvT1_,"axG",@progbits,_ZN7rocprim17ROCPRIM_400000_NS6detail17trampoline_kernelINS0_14default_configENS1_27scan_by_key_config_selectorIiiEEZZNS1_16scan_by_key_implILNS1_25lookback_scan_determinismE0ELb1ES3_N6thrust23THRUST_200600_302600_NS6detail15normal_iteratorINS9_10device_ptrIiEEEESE_SE_iNS9_4plusIiEE19head_flag_predicateiEE10hipError_tPvRmT2_T3_T4_T5_mT6_T7_P12ihipStream_tbENKUlT_T0_E_clISt17integral_constantIbLb1EESY_EEDaST_SU_EUlST_E_NS1_11comp_targetILNS1_3genE8ELNS1_11target_archE1030ELNS1_3gpuE2ELNS1_3repE0EEENS1_30default_config_static_selectorELNS0_4arch9wavefront6targetE0EEEvT1_,comdat
	.protected	_ZN7rocprim17ROCPRIM_400000_NS6detail17trampoline_kernelINS0_14default_configENS1_27scan_by_key_config_selectorIiiEEZZNS1_16scan_by_key_implILNS1_25lookback_scan_determinismE0ELb1ES3_N6thrust23THRUST_200600_302600_NS6detail15normal_iteratorINS9_10device_ptrIiEEEESE_SE_iNS9_4plusIiEE19head_flag_predicateiEE10hipError_tPvRmT2_T3_T4_T5_mT6_T7_P12ihipStream_tbENKUlT_T0_E_clISt17integral_constantIbLb1EESY_EEDaST_SU_EUlST_E_NS1_11comp_targetILNS1_3genE8ELNS1_11target_archE1030ELNS1_3gpuE2ELNS1_3repE0EEENS1_30default_config_static_selectorELNS0_4arch9wavefront6targetE0EEEvT1_ ; -- Begin function _ZN7rocprim17ROCPRIM_400000_NS6detail17trampoline_kernelINS0_14default_configENS1_27scan_by_key_config_selectorIiiEEZZNS1_16scan_by_key_implILNS1_25lookback_scan_determinismE0ELb1ES3_N6thrust23THRUST_200600_302600_NS6detail15normal_iteratorINS9_10device_ptrIiEEEESE_SE_iNS9_4plusIiEE19head_flag_predicateiEE10hipError_tPvRmT2_T3_T4_T5_mT6_T7_P12ihipStream_tbENKUlT_T0_E_clISt17integral_constantIbLb1EESY_EEDaST_SU_EUlST_E_NS1_11comp_targetILNS1_3genE8ELNS1_11target_archE1030ELNS1_3gpuE2ELNS1_3repE0EEENS1_30default_config_static_selectorELNS0_4arch9wavefront6targetE0EEEvT1_
	.globl	_ZN7rocprim17ROCPRIM_400000_NS6detail17trampoline_kernelINS0_14default_configENS1_27scan_by_key_config_selectorIiiEEZZNS1_16scan_by_key_implILNS1_25lookback_scan_determinismE0ELb1ES3_N6thrust23THRUST_200600_302600_NS6detail15normal_iteratorINS9_10device_ptrIiEEEESE_SE_iNS9_4plusIiEE19head_flag_predicateiEE10hipError_tPvRmT2_T3_T4_T5_mT6_T7_P12ihipStream_tbENKUlT_T0_E_clISt17integral_constantIbLb1EESY_EEDaST_SU_EUlST_E_NS1_11comp_targetILNS1_3genE8ELNS1_11target_archE1030ELNS1_3gpuE2ELNS1_3repE0EEENS1_30default_config_static_selectorELNS0_4arch9wavefront6targetE0EEEvT1_
	.p2align	8
	.type	_ZN7rocprim17ROCPRIM_400000_NS6detail17trampoline_kernelINS0_14default_configENS1_27scan_by_key_config_selectorIiiEEZZNS1_16scan_by_key_implILNS1_25lookback_scan_determinismE0ELb1ES3_N6thrust23THRUST_200600_302600_NS6detail15normal_iteratorINS9_10device_ptrIiEEEESE_SE_iNS9_4plusIiEE19head_flag_predicateiEE10hipError_tPvRmT2_T3_T4_T5_mT6_T7_P12ihipStream_tbENKUlT_T0_E_clISt17integral_constantIbLb1EESY_EEDaST_SU_EUlST_E_NS1_11comp_targetILNS1_3genE8ELNS1_11target_archE1030ELNS1_3gpuE2ELNS1_3repE0EEENS1_30default_config_static_selectorELNS0_4arch9wavefront6targetE0EEEvT1_,@function
_ZN7rocprim17ROCPRIM_400000_NS6detail17trampoline_kernelINS0_14default_configENS1_27scan_by_key_config_selectorIiiEEZZNS1_16scan_by_key_implILNS1_25lookback_scan_determinismE0ELb1ES3_N6thrust23THRUST_200600_302600_NS6detail15normal_iteratorINS9_10device_ptrIiEEEESE_SE_iNS9_4plusIiEE19head_flag_predicateiEE10hipError_tPvRmT2_T3_T4_T5_mT6_T7_P12ihipStream_tbENKUlT_T0_E_clISt17integral_constantIbLb1EESY_EEDaST_SU_EUlST_E_NS1_11comp_targetILNS1_3genE8ELNS1_11target_archE1030ELNS1_3gpuE2ELNS1_3repE0EEENS1_30default_config_static_selectorELNS0_4arch9wavefront6targetE0EEEvT1_: ; @_ZN7rocprim17ROCPRIM_400000_NS6detail17trampoline_kernelINS0_14default_configENS1_27scan_by_key_config_selectorIiiEEZZNS1_16scan_by_key_implILNS1_25lookback_scan_determinismE0ELb1ES3_N6thrust23THRUST_200600_302600_NS6detail15normal_iteratorINS9_10device_ptrIiEEEESE_SE_iNS9_4plusIiEE19head_flag_predicateiEE10hipError_tPvRmT2_T3_T4_T5_mT6_T7_P12ihipStream_tbENKUlT_T0_E_clISt17integral_constantIbLb1EESY_EEDaST_SU_EUlST_E_NS1_11comp_targetILNS1_3genE8ELNS1_11target_archE1030ELNS1_3gpuE2ELNS1_3repE0EEENS1_30default_config_static_selectorELNS0_4arch9wavefront6targetE0EEEvT1_
; %bb.0:
	.section	.rodata,"a",@progbits
	.p2align	6, 0x0
	.amdhsa_kernel _ZN7rocprim17ROCPRIM_400000_NS6detail17trampoline_kernelINS0_14default_configENS1_27scan_by_key_config_selectorIiiEEZZNS1_16scan_by_key_implILNS1_25lookback_scan_determinismE0ELb1ES3_N6thrust23THRUST_200600_302600_NS6detail15normal_iteratorINS9_10device_ptrIiEEEESE_SE_iNS9_4plusIiEE19head_flag_predicateiEE10hipError_tPvRmT2_T3_T4_T5_mT6_T7_P12ihipStream_tbENKUlT_T0_E_clISt17integral_constantIbLb1EESY_EEDaST_SU_EUlST_E_NS1_11comp_targetILNS1_3genE8ELNS1_11target_archE1030ELNS1_3gpuE2ELNS1_3repE0EEENS1_30default_config_static_selectorELNS0_4arch9wavefront6targetE0EEEvT1_
		.amdhsa_group_segment_fixed_size 0
		.amdhsa_private_segment_fixed_size 0
		.amdhsa_kernarg_size 112
		.amdhsa_user_sgpr_count 2
		.amdhsa_user_sgpr_dispatch_ptr 0
		.amdhsa_user_sgpr_queue_ptr 0
		.amdhsa_user_sgpr_kernarg_segment_ptr 1
		.amdhsa_user_sgpr_dispatch_id 0
		.amdhsa_user_sgpr_kernarg_preload_length 0
		.amdhsa_user_sgpr_kernarg_preload_offset 0
		.amdhsa_user_sgpr_private_segment_size 0
		.amdhsa_wavefront_size32 1
		.amdhsa_uses_dynamic_stack 0
		.amdhsa_enable_private_segment 0
		.amdhsa_system_sgpr_workgroup_id_x 1
		.amdhsa_system_sgpr_workgroup_id_y 0
		.amdhsa_system_sgpr_workgroup_id_z 0
		.amdhsa_system_sgpr_workgroup_info 0
		.amdhsa_system_vgpr_workitem_id 0
		.amdhsa_next_free_vgpr 1
		.amdhsa_next_free_sgpr 1
		.amdhsa_named_barrier_count 0
		.amdhsa_reserve_vcc 0
		.amdhsa_float_round_mode_32 0
		.amdhsa_float_round_mode_16_64 0
		.amdhsa_float_denorm_mode_32 3
		.amdhsa_float_denorm_mode_16_64 3
		.amdhsa_fp16_overflow 0
		.amdhsa_memory_ordered 1
		.amdhsa_forward_progress 1
		.amdhsa_inst_pref_size 0
		.amdhsa_round_robin_scheduling 0
		.amdhsa_exception_fp_ieee_invalid_op 0
		.amdhsa_exception_fp_denorm_src 0
		.amdhsa_exception_fp_ieee_div_zero 0
		.amdhsa_exception_fp_ieee_overflow 0
		.amdhsa_exception_fp_ieee_underflow 0
		.amdhsa_exception_fp_ieee_inexact 0
		.amdhsa_exception_int_div_zero 0
	.end_amdhsa_kernel
	.section	.text._ZN7rocprim17ROCPRIM_400000_NS6detail17trampoline_kernelINS0_14default_configENS1_27scan_by_key_config_selectorIiiEEZZNS1_16scan_by_key_implILNS1_25lookback_scan_determinismE0ELb1ES3_N6thrust23THRUST_200600_302600_NS6detail15normal_iteratorINS9_10device_ptrIiEEEESE_SE_iNS9_4plusIiEE19head_flag_predicateiEE10hipError_tPvRmT2_T3_T4_T5_mT6_T7_P12ihipStream_tbENKUlT_T0_E_clISt17integral_constantIbLb1EESY_EEDaST_SU_EUlST_E_NS1_11comp_targetILNS1_3genE8ELNS1_11target_archE1030ELNS1_3gpuE2ELNS1_3repE0EEENS1_30default_config_static_selectorELNS0_4arch9wavefront6targetE0EEEvT1_,"axG",@progbits,_ZN7rocprim17ROCPRIM_400000_NS6detail17trampoline_kernelINS0_14default_configENS1_27scan_by_key_config_selectorIiiEEZZNS1_16scan_by_key_implILNS1_25lookback_scan_determinismE0ELb1ES3_N6thrust23THRUST_200600_302600_NS6detail15normal_iteratorINS9_10device_ptrIiEEEESE_SE_iNS9_4plusIiEE19head_flag_predicateiEE10hipError_tPvRmT2_T3_T4_T5_mT6_T7_P12ihipStream_tbENKUlT_T0_E_clISt17integral_constantIbLb1EESY_EEDaST_SU_EUlST_E_NS1_11comp_targetILNS1_3genE8ELNS1_11target_archE1030ELNS1_3gpuE2ELNS1_3repE0EEENS1_30default_config_static_selectorELNS0_4arch9wavefront6targetE0EEEvT1_,comdat
.Lfunc_end802:
	.size	_ZN7rocprim17ROCPRIM_400000_NS6detail17trampoline_kernelINS0_14default_configENS1_27scan_by_key_config_selectorIiiEEZZNS1_16scan_by_key_implILNS1_25lookback_scan_determinismE0ELb1ES3_N6thrust23THRUST_200600_302600_NS6detail15normal_iteratorINS9_10device_ptrIiEEEESE_SE_iNS9_4plusIiEE19head_flag_predicateiEE10hipError_tPvRmT2_T3_T4_T5_mT6_T7_P12ihipStream_tbENKUlT_T0_E_clISt17integral_constantIbLb1EESY_EEDaST_SU_EUlST_E_NS1_11comp_targetILNS1_3genE8ELNS1_11target_archE1030ELNS1_3gpuE2ELNS1_3repE0EEENS1_30default_config_static_selectorELNS0_4arch9wavefront6targetE0EEEvT1_, .Lfunc_end802-_ZN7rocprim17ROCPRIM_400000_NS6detail17trampoline_kernelINS0_14default_configENS1_27scan_by_key_config_selectorIiiEEZZNS1_16scan_by_key_implILNS1_25lookback_scan_determinismE0ELb1ES3_N6thrust23THRUST_200600_302600_NS6detail15normal_iteratorINS9_10device_ptrIiEEEESE_SE_iNS9_4plusIiEE19head_flag_predicateiEE10hipError_tPvRmT2_T3_T4_T5_mT6_T7_P12ihipStream_tbENKUlT_T0_E_clISt17integral_constantIbLb1EESY_EEDaST_SU_EUlST_E_NS1_11comp_targetILNS1_3genE8ELNS1_11target_archE1030ELNS1_3gpuE2ELNS1_3repE0EEENS1_30default_config_static_selectorELNS0_4arch9wavefront6targetE0EEEvT1_
                                        ; -- End function
	.set _ZN7rocprim17ROCPRIM_400000_NS6detail17trampoline_kernelINS0_14default_configENS1_27scan_by_key_config_selectorIiiEEZZNS1_16scan_by_key_implILNS1_25lookback_scan_determinismE0ELb1ES3_N6thrust23THRUST_200600_302600_NS6detail15normal_iteratorINS9_10device_ptrIiEEEESE_SE_iNS9_4plusIiEE19head_flag_predicateiEE10hipError_tPvRmT2_T3_T4_T5_mT6_T7_P12ihipStream_tbENKUlT_T0_E_clISt17integral_constantIbLb1EESY_EEDaST_SU_EUlST_E_NS1_11comp_targetILNS1_3genE8ELNS1_11target_archE1030ELNS1_3gpuE2ELNS1_3repE0EEENS1_30default_config_static_selectorELNS0_4arch9wavefront6targetE0EEEvT1_.num_vgpr, 0
	.set _ZN7rocprim17ROCPRIM_400000_NS6detail17trampoline_kernelINS0_14default_configENS1_27scan_by_key_config_selectorIiiEEZZNS1_16scan_by_key_implILNS1_25lookback_scan_determinismE0ELb1ES3_N6thrust23THRUST_200600_302600_NS6detail15normal_iteratorINS9_10device_ptrIiEEEESE_SE_iNS9_4plusIiEE19head_flag_predicateiEE10hipError_tPvRmT2_T3_T4_T5_mT6_T7_P12ihipStream_tbENKUlT_T0_E_clISt17integral_constantIbLb1EESY_EEDaST_SU_EUlST_E_NS1_11comp_targetILNS1_3genE8ELNS1_11target_archE1030ELNS1_3gpuE2ELNS1_3repE0EEENS1_30default_config_static_selectorELNS0_4arch9wavefront6targetE0EEEvT1_.num_agpr, 0
	.set _ZN7rocprim17ROCPRIM_400000_NS6detail17trampoline_kernelINS0_14default_configENS1_27scan_by_key_config_selectorIiiEEZZNS1_16scan_by_key_implILNS1_25lookback_scan_determinismE0ELb1ES3_N6thrust23THRUST_200600_302600_NS6detail15normal_iteratorINS9_10device_ptrIiEEEESE_SE_iNS9_4plusIiEE19head_flag_predicateiEE10hipError_tPvRmT2_T3_T4_T5_mT6_T7_P12ihipStream_tbENKUlT_T0_E_clISt17integral_constantIbLb1EESY_EEDaST_SU_EUlST_E_NS1_11comp_targetILNS1_3genE8ELNS1_11target_archE1030ELNS1_3gpuE2ELNS1_3repE0EEENS1_30default_config_static_selectorELNS0_4arch9wavefront6targetE0EEEvT1_.numbered_sgpr, 0
	.set _ZN7rocprim17ROCPRIM_400000_NS6detail17trampoline_kernelINS0_14default_configENS1_27scan_by_key_config_selectorIiiEEZZNS1_16scan_by_key_implILNS1_25lookback_scan_determinismE0ELb1ES3_N6thrust23THRUST_200600_302600_NS6detail15normal_iteratorINS9_10device_ptrIiEEEESE_SE_iNS9_4plusIiEE19head_flag_predicateiEE10hipError_tPvRmT2_T3_T4_T5_mT6_T7_P12ihipStream_tbENKUlT_T0_E_clISt17integral_constantIbLb1EESY_EEDaST_SU_EUlST_E_NS1_11comp_targetILNS1_3genE8ELNS1_11target_archE1030ELNS1_3gpuE2ELNS1_3repE0EEENS1_30default_config_static_selectorELNS0_4arch9wavefront6targetE0EEEvT1_.num_named_barrier, 0
	.set _ZN7rocprim17ROCPRIM_400000_NS6detail17trampoline_kernelINS0_14default_configENS1_27scan_by_key_config_selectorIiiEEZZNS1_16scan_by_key_implILNS1_25lookback_scan_determinismE0ELb1ES3_N6thrust23THRUST_200600_302600_NS6detail15normal_iteratorINS9_10device_ptrIiEEEESE_SE_iNS9_4plusIiEE19head_flag_predicateiEE10hipError_tPvRmT2_T3_T4_T5_mT6_T7_P12ihipStream_tbENKUlT_T0_E_clISt17integral_constantIbLb1EESY_EEDaST_SU_EUlST_E_NS1_11comp_targetILNS1_3genE8ELNS1_11target_archE1030ELNS1_3gpuE2ELNS1_3repE0EEENS1_30default_config_static_selectorELNS0_4arch9wavefront6targetE0EEEvT1_.private_seg_size, 0
	.set _ZN7rocprim17ROCPRIM_400000_NS6detail17trampoline_kernelINS0_14default_configENS1_27scan_by_key_config_selectorIiiEEZZNS1_16scan_by_key_implILNS1_25lookback_scan_determinismE0ELb1ES3_N6thrust23THRUST_200600_302600_NS6detail15normal_iteratorINS9_10device_ptrIiEEEESE_SE_iNS9_4plusIiEE19head_flag_predicateiEE10hipError_tPvRmT2_T3_T4_T5_mT6_T7_P12ihipStream_tbENKUlT_T0_E_clISt17integral_constantIbLb1EESY_EEDaST_SU_EUlST_E_NS1_11comp_targetILNS1_3genE8ELNS1_11target_archE1030ELNS1_3gpuE2ELNS1_3repE0EEENS1_30default_config_static_selectorELNS0_4arch9wavefront6targetE0EEEvT1_.uses_vcc, 0
	.set _ZN7rocprim17ROCPRIM_400000_NS6detail17trampoline_kernelINS0_14default_configENS1_27scan_by_key_config_selectorIiiEEZZNS1_16scan_by_key_implILNS1_25lookback_scan_determinismE0ELb1ES3_N6thrust23THRUST_200600_302600_NS6detail15normal_iteratorINS9_10device_ptrIiEEEESE_SE_iNS9_4plusIiEE19head_flag_predicateiEE10hipError_tPvRmT2_T3_T4_T5_mT6_T7_P12ihipStream_tbENKUlT_T0_E_clISt17integral_constantIbLb1EESY_EEDaST_SU_EUlST_E_NS1_11comp_targetILNS1_3genE8ELNS1_11target_archE1030ELNS1_3gpuE2ELNS1_3repE0EEENS1_30default_config_static_selectorELNS0_4arch9wavefront6targetE0EEEvT1_.uses_flat_scratch, 0
	.set _ZN7rocprim17ROCPRIM_400000_NS6detail17trampoline_kernelINS0_14default_configENS1_27scan_by_key_config_selectorIiiEEZZNS1_16scan_by_key_implILNS1_25lookback_scan_determinismE0ELb1ES3_N6thrust23THRUST_200600_302600_NS6detail15normal_iteratorINS9_10device_ptrIiEEEESE_SE_iNS9_4plusIiEE19head_flag_predicateiEE10hipError_tPvRmT2_T3_T4_T5_mT6_T7_P12ihipStream_tbENKUlT_T0_E_clISt17integral_constantIbLb1EESY_EEDaST_SU_EUlST_E_NS1_11comp_targetILNS1_3genE8ELNS1_11target_archE1030ELNS1_3gpuE2ELNS1_3repE0EEENS1_30default_config_static_selectorELNS0_4arch9wavefront6targetE0EEEvT1_.has_dyn_sized_stack, 0
	.set _ZN7rocprim17ROCPRIM_400000_NS6detail17trampoline_kernelINS0_14default_configENS1_27scan_by_key_config_selectorIiiEEZZNS1_16scan_by_key_implILNS1_25lookback_scan_determinismE0ELb1ES3_N6thrust23THRUST_200600_302600_NS6detail15normal_iteratorINS9_10device_ptrIiEEEESE_SE_iNS9_4plusIiEE19head_flag_predicateiEE10hipError_tPvRmT2_T3_T4_T5_mT6_T7_P12ihipStream_tbENKUlT_T0_E_clISt17integral_constantIbLb1EESY_EEDaST_SU_EUlST_E_NS1_11comp_targetILNS1_3genE8ELNS1_11target_archE1030ELNS1_3gpuE2ELNS1_3repE0EEENS1_30default_config_static_selectorELNS0_4arch9wavefront6targetE0EEEvT1_.has_recursion, 0
	.set _ZN7rocprim17ROCPRIM_400000_NS6detail17trampoline_kernelINS0_14default_configENS1_27scan_by_key_config_selectorIiiEEZZNS1_16scan_by_key_implILNS1_25lookback_scan_determinismE0ELb1ES3_N6thrust23THRUST_200600_302600_NS6detail15normal_iteratorINS9_10device_ptrIiEEEESE_SE_iNS9_4plusIiEE19head_flag_predicateiEE10hipError_tPvRmT2_T3_T4_T5_mT6_T7_P12ihipStream_tbENKUlT_T0_E_clISt17integral_constantIbLb1EESY_EEDaST_SU_EUlST_E_NS1_11comp_targetILNS1_3genE8ELNS1_11target_archE1030ELNS1_3gpuE2ELNS1_3repE0EEENS1_30default_config_static_selectorELNS0_4arch9wavefront6targetE0EEEvT1_.has_indirect_call, 0
	.section	.AMDGPU.csdata,"",@progbits
; Kernel info:
; codeLenInByte = 0
; TotalNumSgprs: 0
; NumVgprs: 0
; ScratchSize: 0
; MemoryBound: 0
; FloatMode: 240
; IeeeMode: 1
; LDSByteSize: 0 bytes/workgroup (compile time only)
; SGPRBlocks: 0
; VGPRBlocks: 0
; NumSGPRsForWavesPerEU: 1
; NumVGPRsForWavesPerEU: 1
; NamedBarCnt: 0
; Occupancy: 16
; WaveLimiterHint : 0
; COMPUTE_PGM_RSRC2:SCRATCH_EN: 0
; COMPUTE_PGM_RSRC2:USER_SGPR: 2
; COMPUTE_PGM_RSRC2:TRAP_HANDLER: 0
; COMPUTE_PGM_RSRC2:TGID_X_EN: 1
; COMPUTE_PGM_RSRC2:TGID_Y_EN: 0
; COMPUTE_PGM_RSRC2:TGID_Z_EN: 0
; COMPUTE_PGM_RSRC2:TIDIG_COMP_CNT: 0
	.section	.text._ZN7rocprim17ROCPRIM_400000_NS6detail17trampoline_kernelINS0_14default_configENS1_27scan_by_key_config_selectorIiiEEZZNS1_16scan_by_key_implILNS1_25lookback_scan_determinismE0ELb1ES3_N6thrust23THRUST_200600_302600_NS6detail15normal_iteratorINS9_10device_ptrIiEEEESE_SE_iNS9_4plusIiEE19head_flag_predicateiEE10hipError_tPvRmT2_T3_T4_T5_mT6_T7_P12ihipStream_tbENKUlT_T0_E_clISt17integral_constantIbLb1EESX_IbLb0EEEEDaST_SU_EUlST_E_NS1_11comp_targetILNS1_3genE0ELNS1_11target_archE4294967295ELNS1_3gpuE0ELNS1_3repE0EEENS1_30default_config_static_selectorELNS0_4arch9wavefront6targetE0EEEvT1_,"axG",@progbits,_ZN7rocprim17ROCPRIM_400000_NS6detail17trampoline_kernelINS0_14default_configENS1_27scan_by_key_config_selectorIiiEEZZNS1_16scan_by_key_implILNS1_25lookback_scan_determinismE0ELb1ES3_N6thrust23THRUST_200600_302600_NS6detail15normal_iteratorINS9_10device_ptrIiEEEESE_SE_iNS9_4plusIiEE19head_flag_predicateiEE10hipError_tPvRmT2_T3_T4_T5_mT6_T7_P12ihipStream_tbENKUlT_T0_E_clISt17integral_constantIbLb1EESX_IbLb0EEEEDaST_SU_EUlST_E_NS1_11comp_targetILNS1_3genE0ELNS1_11target_archE4294967295ELNS1_3gpuE0ELNS1_3repE0EEENS1_30default_config_static_selectorELNS0_4arch9wavefront6targetE0EEEvT1_,comdat
	.protected	_ZN7rocprim17ROCPRIM_400000_NS6detail17trampoline_kernelINS0_14default_configENS1_27scan_by_key_config_selectorIiiEEZZNS1_16scan_by_key_implILNS1_25lookback_scan_determinismE0ELb1ES3_N6thrust23THRUST_200600_302600_NS6detail15normal_iteratorINS9_10device_ptrIiEEEESE_SE_iNS9_4plusIiEE19head_flag_predicateiEE10hipError_tPvRmT2_T3_T4_T5_mT6_T7_P12ihipStream_tbENKUlT_T0_E_clISt17integral_constantIbLb1EESX_IbLb0EEEEDaST_SU_EUlST_E_NS1_11comp_targetILNS1_3genE0ELNS1_11target_archE4294967295ELNS1_3gpuE0ELNS1_3repE0EEENS1_30default_config_static_selectorELNS0_4arch9wavefront6targetE0EEEvT1_ ; -- Begin function _ZN7rocprim17ROCPRIM_400000_NS6detail17trampoline_kernelINS0_14default_configENS1_27scan_by_key_config_selectorIiiEEZZNS1_16scan_by_key_implILNS1_25lookback_scan_determinismE0ELb1ES3_N6thrust23THRUST_200600_302600_NS6detail15normal_iteratorINS9_10device_ptrIiEEEESE_SE_iNS9_4plusIiEE19head_flag_predicateiEE10hipError_tPvRmT2_T3_T4_T5_mT6_T7_P12ihipStream_tbENKUlT_T0_E_clISt17integral_constantIbLb1EESX_IbLb0EEEEDaST_SU_EUlST_E_NS1_11comp_targetILNS1_3genE0ELNS1_11target_archE4294967295ELNS1_3gpuE0ELNS1_3repE0EEENS1_30default_config_static_selectorELNS0_4arch9wavefront6targetE0EEEvT1_
	.globl	_ZN7rocprim17ROCPRIM_400000_NS6detail17trampoline_kernelINS0_14default_configENS1_27scan_by_key_config_selectorIiiEEZZNS1_16scan_by_key_implILNS1_25lookback_scan_determinismE0ELb1ES3_N6thrust23THRUST_200600_302600_NS6detail15normal_iteratorINS9_10device_ptrIiEEEESE_SE_iNS9_4plusIiEE19head_flag_predicateiEE10hipError_tPvRmT2_T3_T4_T5_mT6_T7_P12ihipStream_tbENKUlT_T0_E_clISt17integral_constantIbLb1EESX_IbLb0EEEEDaST_SU_EUlST_E_NS1_11comp_targetILNS1_3genE0ELNS1_11target_archE4294967295ELNS1_3gpuE0ELNS1_3repE0EEENS1_30default_config_static_selectorELNS0_4arch9wavefront6targetE0EEEvT1_
	.p2align	8
	.type	_ZN7rocprim17ROCPRIM_400000_NS6detail17trampoline_kernelINS0_14default_configENS1_27scan_by_key_config_selectorIiiEEZZNS1_16scan_by_key_implILNS1_25lookback_scan_determinismE0ELb1ES3_N6thrust23THRUST_200600_302600_NS6detail15normal_iteratorINS9_10device_ptrIiEEEESE_SE_iNS9_4plusIiEE19head_flag_predicateiEE10hipError_tPvRmT2_T3_T4_T5_mT6_T7_P12ihipStream_tbENKUlT_T0_E_clISt17integral_constantIbLb1EESX_IbLb0EEEEDaST_SU_EUlST_E_NS1_11comp_targetILNS1_3genE0ELNS1_11target_archE4294967295ELNS1_3gpuE0ELNS1_3repE0EEENS1_30default_config_static_selectorELNS0_4arch9wavefront6targetE0EEEvT1_,@function
_ZN7rocprim17ROCPRIM_400000_NS6detail17trampoline_kernelINS0_14default_configENS1_27scan_by_key_config_selectorIiiEEZZNS1_16scan_by_key_implILNS1_25lookback_scan_determinismE0ELb1ES3_N6thrust23THRUST_200600_302600_NS6detail15normal_iteratorINS9_10device_ptrIiEEEESE_SE_iNS9_4plusIiEE19head_flag_predicateiEE10hipError_tPvRmT2_T3_T4_T5_mT6_T7_P12ihipStream_tbENKUlT_T0_E_clISt17integral_constantIbLb1EESX_IbLb0EEEEDaST_SU_EUlST_E_NS1_11comp_targetILNS1_3genE0ELNS1_11target_archE4294967295ELNS1_3gpuE0ELNS1_3repE0EEENS1_30default_config_static_selectorELNS0_4arch9wavefront6targetE0EEEvT1_: ; @_ZN7rocprim17ROCPRIM_400000_NS6detail17trampoline_kernelINS0_14default_configENS1_27scan_by_key_config_selectorIiiEEZZNS1_16scan_by_key_implILNS1_25lookback_scan_determinismE0ELb1ES3_N6thrust23THRUST_200600_302600_NS6detail15normal_iteratorINS9_10device_ptrIiEEEESE_SE_iNS9_4plusIiEE19head_flag_predicateiEE10hipError_tPvRmT2_T3_T4_T5_mT6_T7_P12ihipStream_tbENKUlT_T0_E_clISt17integral_constantIbLb1EESX_IbLb0EEEEDaST_SU_EUlST_E_NS1_11comp_targetILNS1_3genE0ELNS1_11target_archE4294967295ELNS1_3gpuE0ELNS1_3repE0EEENS1_30default_config_static_selectorELNS0_4arch9wavefront6targetE0EEEvT1_
; %bb.0:
	s_endpgm
	.section	.rodata,"a",@progbits
	.p2align	6, 0x0
	.amdhsa_kernel _ZN7rocprim17ROCPRIM_400000_NS6detail17trampoline_kernelINS0_14default_configENS1_27scan_by_key_config_selectorIiiEEZZNS1_16scan_by_key_implILNS1_25lookback_scan_determinismE0ELb1ES3_N6thrust23THRUST_200600_302600_NS6detail15normal_iteratorINS9_10device_ptrIiEEEESE_SE_iNS9_4plusIiEE19head_flag_predicateiEE10hipError_tPvRmT2_T3_T4_T5_mT6_T7_P12ihipStream_tbENKUlT_T0_E_clISt17integral_constantIbLb1EESX_IbLb0EEEEDaST_SU_EUlST_E_NS1_11comp_targetILNS1_3genE0ELNS1_11target_archE4294967295ELNS1_3gpuE0ELNS1_3repE0EEENS1_30default_config_static_selectorELNS0_4arch9wavefront6targetE0EEEvT1_
		.amdhsa_group_segment_fixed_size 0
		.amdhsa_private_segment_fixed_size 0
		.amdhsa_kernarg_size 112
		.amdhsa_user_sgpr_count 2
		.amdhsa_user_sgpr_dispatch_ptr 0
		.amdhsa_user_sgpr_queue_ptr 0
		.amdhsa_user_sgpr_kernarg_segment_ptr 1
		.amdhsa_user_sgpr_dispatch_id 0
		.amdhsa_user_sgpr_kernarg_preload_length 0
		.amdhsa_user_sgpr_kernarg_preload_offset 0
		.amdhsa_user_sgpr_private_segment_size 0
		.amdhsa_wavefront_size32 1
		.amdhsa_uses_dynamic_stack 0
		.amdhsa_enable_private_segment 0
		.amdhsa_system_sgpr_workgroup_id_x 1
		.amdhsa_system_sgpr_workgroup_id_y 0
		.amdhsa_system_sgpr_workgroup_id_z 0
		.amdhsa_system_sgpr_workgroup_info 0
		.amdhsa_system_vgpr_workitem_id 0
		.amdhsa_next_free_vgpr 1
		.amdhsa_next_free_sgpr 1
		.amdhsa_named_barrier_count 0
		.amdhsa_reserve_vcc 0
		.amdhsa_float_round_mode_32 0
		.amdhsa_float_round_mode_16_64 0
		.amdhsa_float_denorm_mode_32 3
		.amdhsa_float_denorm_mode_16_64 3
		.amdhsa_fp16_overflow 0
		.amdhsa_memory_ordered 1
		.amdhsa_forward_progress 1
		.amdhsa_inst_pref_size 1
		.amdhsa_round_robin_scheduling 0
		.amdhsa_exception_fp_ieee_invalid_op 0
		.amdhsa_exception_fp_denorm_src 0
		.amdhsa_exception_fp_ieee_div_zero 0
		.amdhsa_exception_fp_ieee_overflow 0
		.amdhsa_exception_fp_ieee_underflow 0
		.amdhsa_exception_fp_ieee_inexact 0
		.amdhsa_exception_int_div_zero 0
	.end_amdhsa_kernel
	.section	.text._ZN7rocprim17ROCPRIM_400000_NS6detail17trampoline_kernelINS0_14default_configENS1_27scan_by_key_config_selectorIiiEEZZNS1_16scan_by_key_implILNS1_25lookback_scan_determinismE0ELb1ES3_N6thrust23THRUST_200600_302600_NS6detail15normal_iteratorINS9_10device_ptrIiEEEESE_SE_iNS9_4plusIiEE19head_flag_predicateiEE10hipError_tPvRmT2_T3_T4_T5_mT6_T7_P12ihipStream_tbENKUlT_T0_E_clISt17integral_constantIbLb1EESX_IbLb0EEEEDaST_SU_EUlST_E_NS1_11comp_targetILNS1_3genE0ELNS1_11target_archE4294967295ELNS1_3gpuE0ELNS1_3repE0EEENS1_30default_config_static_selectorELNS0_4arch9wavefront6targetE0EEEvT1_,"axG",@progbits,_ZN7rocprim17ROCPRIM_400000_NS6detail17trampoline_kernelINS0_14default_configENS1_27scan_by_key_config_selectorIiiEEZZNS1_16scan_by_key_implILNS1_25lookback_scan_determinismE0ELb1ES3_N6thrust23THRUST_200600_302600_NS6detail15normal_iteratorINS9_10device_ptrIiEEEESE_SE_iNS9_4plusIiEE19head_flag_predicateiEE10hipError_tPvRmT2_T3_T4_T5_mT6_T7_P12ihipStream_tbENKUlT_T0_E_clISt17integral_constantIbLb1EESX_IbLb0EEEEDaST_SU_EUlST_E_NS1_11comp_targetILNS1_3genE0ELNS1_11target_archE4294967295ELNS1_3gpuE0ELNS1_3repE0EEENS1_30default_config_static_selectorELNS0_4arch9wavefront6targetE0EEEvT1_,comdat
.Lfunc_end803:
	.size	_ZN7rocprim17ROCPRIM_400000_NS6detail17trampoline_kernelINS0_14default_configENS1_27scan_by_key_config_selectorIiiEEZZNS1_16scan_by_key_implILNS1_25lookback_scan_determinismE0ELb1ES3_N6thrust23THRUST_200600_302600_NS6detail15normal_iteratorINS9_10device_ptrIiEEEESE_SE_iNS9_4plusIiEE19head_flag_predicateiEE10hipError_tPvRmT2_T3_T4_T5_mT6_T7_P12ihipStream_tbENKUlT_T0_E_clISt17integral_constantIbLb1EESX_IbLb0EEEEDaST_SU_EUlST_E_NS1_11comp_targetILNS1_3genE0ELNS1_11target_archE4294967295ELNS1_3gpuE0ELNS1_3repE0EEENS1_30default_config_static_selectorELNS0_4arch9wavefront6targetE0EEEvT1_, .Lfunc_end803-_ZN7rocprim17ROCPRIM_400000_NS6detail17trampoline_kernelINS0_14default_configENS1_27scan_by_key_config_selectorIiiEEZZNS1_16scan_by_key_implILNS1_25lookback_scan_determinismE0ELb1ES3_N6thrust23THRUST_200600_302600_NS6detail15normal_iteratorINS9_10device_ptrIiEEEESE_SE_iNS9_4plusIiEE19head_flag_predicateiEE10hipError_tPvRmT2_T3_T4_T5_mT6_T7_P12ihipStream_tbENKUlT_T0_E_clISt17integral_constantIbLb1EESX_IbLb0EEEEDaST_SU_EUlST_E_NS1_11comp_targetILNS1_3genE0ELNS1_11target_archE4294967295ELNS1_3gpuE0ELNS1_3repE0EEENS1_30default_config_static_selectorELNS0_4arch9wavefront6targetE0EEEvT1_
                                        ; -- End function
	.set _ZN7rocprim17ROCPRIM_400000_NS6detail17trampoline_kernelINS0_14default_configENS1_27scan_by_key_config_selectorIiiEEZZNS1_16scan_by_key_implILNS1_25lookback_scan_determinismE0ELb1ES3_N6thrust23THRUST_200600_302600_NS6detail15normal_iteratorINS9_10device_ptrIiEEEESE_SE_iNS9_4plusIiEE19head_flag_predicateiEE10hipError_tPvRmT2_T3_T4_T5_mT6_T7_P12ihipStream_tbENKUlT_T0_E_clISt17integral_constantIbLb1EESX_IbLb0EEEEDaST_SU_EUlST_E_NS1_11comp_targetILNS1_3genE0ELNS1_11target_archE4294967295ELNS1_3gpuE0ELNS1_3repE0EEENS1_30default_config_static_selectorELNS0_4arch9wavefront6targetE0EEEvT1_.num_vgpr, 0
	.set _ZN7rocprim17ROCPRIM_400000_NS6detail17trampoline_kernelINS0_14default_configENS1_27scan_by_key_config_selectorIiiEEZZNS1_16scan_by_key_implILNS1_25lookback_scan_determinismE0ELb1ES3_N6thrust23THRUST_200600_302600_NS6detail15normal_iteratorINS9_10device_ptrIiEEEESE_SE_iNS9_4plusIiEE19head_flag_predicateiEE10hipError_tPvRmT2_T3_T4_T5_mT6_T7_P12ihipStream_tbENKUlT_T0_E_clISt17integral_constantIbLb1EESX_IbLb0EEEEDaST_SU_EUlST_E_NS1_11comp_targetILNS1_3genE0ELNS1_11target_archE4294967295ELNS1_3gpuE0ELNS1_3repE0EEENS1_30default_config_static_selectorELNS0_4arch9wavefront6targetE0EEEvT1_.num_agpr, 0
	.set _ZN7rocprim17ROCPRIM_400000_NS6detail17trampoline_kernelINS0_14default_configENS1_27scan_by_key_config_selectorIiiEEZZNS1_16scan_by_key_implILNS1_25lookback_scan_determinismE0ELb1ES3_N6thrust23THRUST_200600_302600_NS6detail15normal_iteratorINS9_10device_ptrIiEEEESE_SE_iNS9_4plusIiEE19head_flag_predicateiEE10hipError_tPvRmT2_T3_T4_T5_mT6_T7_P12ihipStream_tbENKUlT_T0_E_clISt17integral_constantIbLb1EESX_IbLb0EEEEDaST_SU_EUlST_E_NS1_11comp_targetILNS1_3genE0ELNS1_11target_archE4294967295ELNS1_3gpuE0ELNS1_3repE0EEENS1_30default_config_static_selectorELNS0_4arch9wavefront6targetE0EEEvT1_.numbered_sgpr, 0
	.set _ZN7rocprim17ROCPRIM_400000_NS6detail17trampoline_kernelINS0_14default_configENS1_27scan_by_key_config_selectorIiiEEZZNS1_16scan_by_key_implILNS1_25lookback_scan_determinismE0ELb1ES3_N6thrust23THRUST_200600_302600_NS6detail15normal_iteratorINS9_10device_ptrIiEEEESE_SE_iNS9_4plusIiEE19head_flag_predicateiEE10hipError_tPvRmT2_T3_T4_T5_mT6_T7_P12ihipStream_tbENKUlT_T0_E_clISt17integral_constantIbLb1EESX_IbLb0EEEEDaST_SU_EUlST_E_NS1_11comp_targetILNS1_3genE0ELNS1_11target_archE4294967295ELNS1_3gpuE0ELNS1_3repE0EEENS1_30default_config_static_selectorELNS0_4arch9wavefront6targetE0EEEvT1_.num_named_barrier, 0
	.set _ZN7rocprim17ROCPRIM_400000_NS6detail17trampoline_kernelINS0_14default_configENS1_27scan_by_key_config_selectorIiiEEZZNS1_16scan_by_key_implILNS1_25lookback_scan_determinismE0ELb1ES3_N6thrust23THRUST_200600_302600_NS6detail15normal_iteratorINS9_10device_ptrIiEEEESE_SE_iNS9_4plusIiEE19head_flag_predicateiEE10hipError_tPvRmT2_T3_T4_T5_mT6_T7_P12ihipStream_tbENKUlT_T0_E_clISt17integral_constantIbLb1EESX_IbLb0EEEEDaST_SU_EUlST_E_NS1_11comp_targetILNS1_3genE0ELNS1_11target_archE4294967295ELNS1_3gpuE0ELNS1_3repE0EEENS1_30default_config_static_selectorELNS0_4arch9wavefront6targetE0EEEvT1_.private_seg_size, 0
	.set _ZN7rocprim17ROCPRIM_400000_NS6detail17trampoline_kernelINS0_14default_configENS1_27scan_by_key_config_selectorIiiEEZZNS1_16scan_by_key_implILNS1_25lookback_scan_determinismE0ELb1ES3_N6thrust23THRUST_200600_302600_NS6detail15normal_iteratorINS9_10device_ptrIiEEEESE_SE_iNS9_4plusIiEE19head_flag_predicateiEE10hipError_tPvRmT2_T3_T4_T5_mT6_T7_P12ihipStream_tbENKUlT_T0_E_clISt17integral_constantIbLb1EESX_IbLb0EEEEDaST_SU_EUlST_E_NS1_11comp_targetILNS1_3genE0ELNS1_11target_archE4294967295ELNS1_3gpuE0ELNS1_3repE0EEENS1_30default_config_static_selectorELNS0_4arch9wavefront6targetE0EEEvT1_.uses_vcc, 0
	.set _ZN7rocprim17ROCPRIM_400000_NS6detail17trampoline_kernelINS0_14default_configENS1_27scan_by_key_config_selectorIiiEEZZNS1_16scan_by_key_implILNS1_25lookback_scan_determinismE0ELb1ES3_N6thrust23THRUST_200600_302600_NS6detail15normal_iteratorINS9_10device_ptrIiEEEESE_SE_iNS9_4plusIiEE19head_flag_predicateiEE10hipError_tPvRmT2_T3_T4_T5_mT6_T7_P12ihipStream_tbENKUlT_T0_E_clISt17integral_constantIbLb1EESX_IbLb0EEEEDaST_SU_EUlST_E_NS1_11comp_targetILNS1_3genE0ELNS1_11target_archE4294967295ELNS1_3gpuE0ELNS1_3repE0EEENS1_30default_config_static_selectorELNS0_4arch9wavefront6targetE0EEEvT1_.uses_flat_scratch, 0
	.set _ZN7rocprim17ROCPRIM_400000_NS6detail17trampoline_kernelINS0_14default_configENS1_27scan_by_key_config_selectorIiiEEZZNS1_16scan_by_key_implILNS1_25lookback_scan_determinismE0ELb1ES3_N6thrust23THRUST_200600_302600_NS6detail15normal_iteratorINS9_10device_ptrIiEEEESE_SE_iNS9_4plusIiEE19head_flag_predicateiEE10hipError_tPvRmT2_T3_T4_T5_mT6_T7_P12ihipStream_tbENKUlT_T0_E_clISt17integral_constantIbLb1EESX_IbLb0EEEEDaST_SU_EUlST_E_NS1_11comp_targetILNS1_3genE0ELNS1_11target_archE4294967295ELNS1_3gpuE0ELNS1_3repE0EEENS1_30default_config_static_selectorELNS0_4arch9wavefront6targetE0EEEvT1_.has_dyn_sized_stack, 0
	.set _ZN7rocprim17ROCPRIM_400000_NS6detail17trampoline_kernelINS0_14default_configENS1_27scan_by_key_config_selectorIiiEEZZNS1_16scan_by_key_implILNS1_25lookback_scan_determinismE0ELb1ES3_N6thrust23THRUST_200600_302600_NS6detail15normal_iteratorINS9_10device_ptrIiEEEESE_SE_iNS9_4plusIiEE19head_flag_predicateiEE10hipError_tPvRmT2_T3_T4_T5_mT6_T7_P12ihipStream_tbENKUlT_T0_E_clISt17integral_constantIbLb1EESX_IbLb0EEEEDaST_SU_EUlST_E_NS1_11comp_targetILNS1_3genE0ELNS1_11target_archE4294967295ELNS1_3gpuE0ELNS1_3repE0EEENS1_30default_config_static_selectorELNS0_4arch9wavefront6targetE0EEEvT1_.has_recursion, 0
	.set _ZN7rocprim17ROCPRIM_400000_NS6detail17trampoline_kernelINS0_14default_configENS1_27scan_by_key_config_selectorIiiEEZZNS1_16scan_by_key_implILNS1_25lookback_scan_determinismE0ELb1ES3_N6thrust23THRUST_200600_302600_NS6detail15normal_iteratorINS9_10device_ptrIiEEEESE_SE_iNS9_4plusIiEE19head_flag_predicateiEE10hipError_tPvRmT2_T3_T4_T5_mT6_T7_P12ihipStream_tbENKUlT_T0_E_clISt17integral_constantIbLb1EESX_IbLb0EEEEDaST_SU_EUlST_E_NS1_11comp_targetILNS1_3genE0ELNS1_11target_archE4294967295ELNS1_3gpuE0ELNS1_3repE0EEENS1_30default_config_static_selectorELNS0_4arch9wavefront6targetE0EEEvT1_.has_indirect_call, 0
	.section	.AMDGPU.csdata,"",@progbits
; Kernel info:
; codeLenInByte = 4
; TotalNumSgprs: 0
; NumVgprs: 0
; ScratchSize: 0
; MemoryBound: 0
; FloatMode: 240
; IeeeMode: 1
; LDSByteSize: 0 bytes/workgroup (compile time only)
; SGPRBlocks: 0
; VGPRBlocks: 0
; NumSGPRsForWavesPerEU: 1
; NumVGPRsForWavesPerEU: 1
; NamedBarCnt: 0
; Occupancy: 16
; WaveLimiterHint : 0
; COMPUTE_PGM_RSRC2:SCRATCH_EN: 0
; COMPUTE_PGM_RSRC2:USER_SGPR: 2
; COMPUTE_PGM_RSRC2:TRAP_HANDLER: 0
; COMPUTE_PGM_RSRC2:TGID_X_EN: 1
; COMPUTE_PGM_RSRC2:TGID_Y_EN: 0
; COMPUTE_PGM_RSRC2:TGID_Z_EN: 0
; COMPUTE_PGM_RSRC2:TIDIG_COMP_CNT: 0
	.section	.text._ZN7rocprim17ROCPRIM_400000_NS6detail17trampoline_kernelINS0_14default_configENS1_27scan_by_key_config_selectorIiiEEZZNS1_16scan_by_key_implILNS1_25lookback_scan_determinismE0ELb1ES3_N6thrust23THRUST_200600_302600_NS6detail15normal_iteratorINS9_10device_ptrIiEEEESE_SE_iNS9_4plusIiEE19head_flag_predicateiEE10hipError_tPvRmT2_T3_T4_T5_mT6_T7_P12ihipStream_tbENKUlT_T0_E_clISt17integral_constantIbLb1EESX_IbLb0EEEEDaST_SU_EUlST_E_NS1_11comp_targetILNS1_3genE10ELNS1_11target_archE1201ELNS1_3gpuE5ELNS1_3repE0EEENS1_30default_config_static_selectorELNS0_4arch9wavefront6targetE0EEEvT1_,"axG",@progbits,_ZN7rocprim17ROCPRIM_400000_NS6detail17trampoline_kernelINS0_14default_configENS1_27scan_by_key_config_selectorIiiEEZZNS1_16scan_by_key_implILNS1_25lookback_scan_determinismE0ELb1ES3_N6thrust23THRUST_200600_302600_NS6detail15normal_iteratorINS9_10device_ptrIiEEEESE_SE_iNS9_4plusIiEE19head_flag_predicateiEE10hipError_tPvRmT2_T3_T4_T5_mT6_T7_P12ihipStream_tbENKUlT_T0_E_clISt17integral_constantIbLb1EESX_IbLb0EEEEDaST_SU_EUlST_E_NS1_11comp_targetILNS1_3genE10ELNS1_11target_archE1201ELNS1_3gpuE5ELNS1_3repE0EEENS1_30default_config_static_selectorELNS0_4arch9wavefront6targetE0EEEvT1_,comdat
	.protected	_ZN7rocprim17ROCPRIM_400000_NS6detail17trampoline_kernelINS0_14default_configENS1_27scan_by_key_config_selectorIiiEEZZNS1_16scan_by_key_implILNS1_25lookback_scan_determinismE0ELb1ES3_N6thrust23THRUST_200600_302600_NS6detail15normal_iteratorINS9_10device_ptrIiEEEESE_SE_iNS9_4plusIiEE19head_flag_predicateiEE10hipError_tPvRmT2_T3_T4_T5_mT6_T7_P12ihipStream_tbENKUlT_T0_E_clISt17integral_constantIbLb1EESX_IbLb0EEEEDaST_SU_EUlST_E_NS1_11comp_targetILNS1_3genE10ELNS1_11target_archE1201ELNS1_3gpuE5ELNS1_3repE0EEENS1_30default_config_static_selectorELNS0_4arch9wavefront6targetE0EEEvT1_ ; -- Begin function _ZN7rocprim17ROCPRIM_400000_NS6detail17trampoline_kernelINS0_14default_configENS1_27scan_by_key_config_selectorIiiEEZZNS1_16scan_by_key_implILNS1_25lookback_scan_determinismE0ELb1ES3_N6thrust23THRUST_200600_302600_NS6detail15normal_iteratorINS9_10device_ptrIiEEEESE_SE_iNS9_4plusIiEE19head_flag_predicateiEE10hipError_tPvRmT2_T3_T4_T5_mT6_T7_P12ihipStream_tbENKUlT_T0_E_clISt17integral_constantIbLb1EESX_IbLb0EEEEDaST_SU_EUlST_E_NS1_11comp_targetILNS1_3genE10ELNS1_11target_archE1201ELNS1_3gpuE5ELNS1_3repE0EEENS1_30default_config_static_selectorELNS0_4arch9wavefront6targetE0EEEvT1_
	.globl	_ZN7rocprim17ROCPRIM_400000_NS6detail17trampoline_kernelINS0_14default_configENS1_27scan_by_key_config_selectorIiiEEZZNS1_16scan_by_key_implILNS1_25lookback_scan_determinismE0ELb1ES3_N6thrust23THRUST_200600_302600_NS6detail15normal_iteratorINS9_10device_ptrIiEEEESE_SE_iNS9_4plusIiEE19head_flag_predicateiEE10hipError_tPvRmT2_T3_T4_T5_mT6_T7_P12ihipStream_tbENKUlT_T0_E_clISt17integral_constantIbLb1EESX_IbLb0EEEEDaST_SU_EUlST_E_NS1_11comp_targetILNS1_3genE10ELNS1_11target_archE1201ELNS1_3gpuE5ELNS1_3repE0EEENS1_30default_config_static_selectorELNS0_4arch9wavefront6targetE0EEEvT1_
	.p2align	8
	.type	_ZN7rocprim17ROCPRIM_400000_NS6detail17trampoline_kernelINS0_14default_configENS1_27scan_by_key_config_selectorIiiEEZZNS1_16scan_by_key_implILNS1_25lookback_scan_determinismE0ELb1ES3_N6thrust23THRUST_200600_302600_NS6detail15normal_iteratorINS9_10device_ptrIiEEEESE_SE_iNS9_4plusIiEE19head_flag_predicateiEE10hipError_tPvRmT2_T3_T4_T5_mT6_T7_P12ihipStream_tbENKUlT_T0_E_clISt17integral_constantIbLb1EESX_IbLb0EEEEDaST_SU_EUlST_E_NS1_11comp_targetILNS1_3genE10ELNS1_11target_archE1201ELNS1_3gpuE5ELNS1_3repE0EEENS1_30default_config_static_selectorELNS0_4arch9wavefront6targetE0EEEvT1_,@function
_ZN7rocprim17ROCPRIM_400000_NS6detail17trampoline_kernelINS0_14default_configENS1_27scan_by_key_config_selectorIiiEEZZNS1_16scan_by_key_implILNS1_25lookback_scan_determinismE0ELb1ES3_N6thrust23THRUST_200600_302600_NS6detail15normal_iteratorINS9_10device_ptrIiEEEESE_SE_iNS9_4plusIiEE19head_flag_predicateiEE10hipError_tPvRmT2_T3_T4_T5_mT6_T7_P12ihipStream_tbENKUlT_T0_E_clISt17integral_constantIbLb1EESX_IbLb0EEEEDaST_SU_EUlST_E_NS1_11comp_targetILNS1_3genE10ELNS1_11target_archE1201ELNS1_3gpuE5ELNS1_3repE0EEENS1_30default_config_static_selectorELNS0_4arch9wavefront6targetE0EEEvT1_: ; @_ZN7rocprim17ROCPRIM_400000_NS6detail17trampoline_kernelINS0_14default_configENS1_27scan_by_key_config_selectorIiiEEZZNS1_16scan_by_key_implILNS1_25lookback_scan_determinismE0ELb1ES3_N6thrust23THRUST_200600_302600_NS6detail15normal_iteratorINS9_10device_ptrIiEEEESE_SE_iNS9_4plusIiEE19head_flag_predicateiEE10hipError_tPvRmT2_T3_T4_T5_mT6_T7_P12ihipStream_tbENKUlT_T0_E_clISt17integral_constantIbLb1EESX_IbLb0EEEEDaST_SU_EUlST_E_NS1_11comp_targetILNS1_3genE10ELNS1_11target_archE1201ELNS1_3gpuE5ELNS1_3repE0EEENS1_30default_config_static_selectorELNS0_4arch9wavefront6targetE0EEEvT1_
; %bb.0:
	.section	.rodata,"a",@progbits
	.p2align	6, 0x0
	.amdhsa_kernel _ZN7rocprim17ROCPRIM_400000_NS6detail17trampoline_kernelINS0_14default_configENS1_27scan_by_key_config_selectorIiiEEZZNS1_16scan_by_key_implILNS1_25lookback_scan_determinismE0ELb1ES3_N6thrust23THRUST_200600_302600_NS6detail15normal_iteratorINS9_10device_ptrIiEEEESE_SE_iNS9_4plusIiEE19head_flag_predicateiEE10hipError_tPvRmT2_T3_T4_T5_mT6_T7_P12ihipStream_tbENKUlT_T0_E_clISt17integral_constantIbLb1EESX_IbLb0EEEEDaST_SU_EUlST_E_NS1_11comp_targetILNS1_3genE10ELNS1_11target_archE1201ELNS1_3gpuE5ELNS1_3repE0EEENS1_30default_config_static_selectorELNS0_4arch9wavefront6targetE0EEEvT1_
		.amdhsa_group_segment_fixed_size 0
		.amdhsa_private_segment_fixed_size 0
		.amdhsa_kernarg_size 112
		.amdhsa_user_sgpr_count 2
		.amdhsa_user_sgpr_dispatch_ptr 0
		.amdhsa_user_sgpr_queue_ptr 0
		.amdhsa_user_sgpr_kernarg_segment_ptr 1
		.amdhsa_user_sgpr_dispatch_id 0
		.amdhsa_user_sgpr_kernarg_preload_length 0
		.amdhsa_user_sgpr_kernarg_preload_offset 0
		.amdhsa_user_sgpr_private_segment_size 0
		.amdhsa_wavefront_size32 1
		.amdhsa_uses_dynamic_stack 0
		.amdhsa_enable_private_segment 0
		.amdhsa_system_sgpr_workgroup_id_x 1
		.amdhsa_system_sgpr_workgroup_id_y 0
		.amdhsa_system_sgpr_workgroup_id_z 0
		.amdhsa_system_sgpr_workgroup_info 0
		.amdhsa_system_vgpr_workitem_id 0
		.amdhsa_next_free_vgpr 1
		.amdhsa_next_free_sgpr 1
		.amdhsa_named_barrier_count 0
		.amdhsa_reserve_vcc 0
		.amdhsa_float_round_mode_32 0
		.amdhsa_float_round_mode_16_64 0
		.amdhsa_float_denorm_mode_32 3
		.amdhsa_float_denorm_mode_16_64 3
		.amdhsa_fp16_overflow 0
		.amdhsa_memory_ordered 1
		.amdhsa_forward_progress 1
		.amdhsa_inst_pref_size 0
		.amdhsa_round_robin_scheduling 0
		.amdhsa_exception_fp_ieee_invalid_op 0
		.amdhsa_exception_fp_denorm_src 0
		.amdhsa_exception_fp_ieee_div_zero 0
		.amdhsa_exception_fp_ieee_overflow 0
		.amdhsa_exception_fp_ieee_underflow 0
		.amdhsa_exception_fp_ieee_inexact 0
		.amdhsa_exception_int_div_zero 0
	.end_amdhsa_kernel
	.section	.text._ZN7rocprim17ROCPRIM_400000_NS6detail17trampoline_kernelINS0_14default_configENS1_27scan_by_key_config_selectorIiiEEZZNS1_16scan_by_key_implILNS1_25lookback_scan_determinismE0ELb1ES3_N6thrust23THRUST_200600_302600_NS6detail15normal_iteratorINS9_10device_ptrIiEEEESE_SE_iNS9_4plusIiEE19head_flag_predicateiEE10hipError_tPvRmT2_T3_T4_T5_mT6_T7_P12ihipStream_tbENKUlT_T0_E_clISt17integral_constantIbLb1EESX_IbLb0EEEEDaST_SU_EUlST_E_NS1_11comp_targetILNS1_3genE10ELNS1_11target_archE1201ELNS1_3gpuE5ELNS1_3repE0EEENS1_30default_config_static_selectorELNS0_4arch9wavefront6targetE0EEEvT1_,"axG",@progbits,_ZN7rocprim17ROCPRIM_400000_NS6detail17trampoline_kernelINS0_14default_configENS1_27scan_by_key_config_selectorIiiEEZZNS1_16scan_by_key_implILNS1_25lookback_scan_determinismE0ELb1ES3_N6thrust23THRUST_200600_302600_NS6detail15normal_iteratorINS9_10device_ptrIiEEEESE_SE_iNS9_4plusIiEE19head_flag_predicateiEE10hipError_tPvRmT2_T3_T4_T5_mT6_T7_P12ihipStream_tbENKUlT_T0_E_clISt17integral_constantIbLb1EESX_IbLb0EEEEDaST_SU_EUlST_E_NS1_11comp_targetILNS1_3genE10ELNS1_11target_archE1201ELNS1_3gpuE5ELNS1_3repE0EEENS1_30default_config_static_selectorELNS0_4arch9wavefront6targetE0EEEvT1_,comdat
.Lfunc_end804:
	.size	_ZN7rocprim17ROCPRIM_400000_NS6detail17trampoline_kernelINS0_14default_configENS1_27scan_by_key_config_selectorIiiEEZZNS1_16scan_by_key_implILNS1_25lookback_scan_determinismE0ELb1ES3_N6thrust23THRUST_200600_302600_NS6detail15normal_iteratorINS9_10device_ptrIiEEEESE_SE_iNS9_4plusIiEE19head_flag_predicateiEE10hipError_tPvRmT2_T3_T4_T5_mT6_T7_P12ihipStream_tbENKUlT_T0_E_clISt17integral_constantIbLb1EESX_IbLb0EEEEDaST_SU_EUlST_E_NS1_11comp_targetILNS1_3genE10ELNS1_11target_archE1201ELNS1_3gpuE5ELNS1_3repE0EEENS1_30default_config_static_selectorELNS0_4arch9wavefront6targetE0EEEvT1_, .Lfunc_end804-_ZN7rocprim17ROCPRIM_400000_NS6detail17trampoline_kernelINS0_14default_configENS1_27scan_by_key_config_selectorIiiEEZZNS1_16scan_by_key_implILNS1_25lookback_scan_determinismE0ELb1ES3_N6thrust23THRUST_200600_302600_NS6detail15normal_iteratorINS9_10device_ptrIiEEEESE_SE_iNS9_4plusIiEE19head_flag_predicateiEE10hipError_tPvRmT2_T3_T4_T5_mT6_T7_P12ihipStream_tbENKUlT_T0_E_clISt17integral_constantIbLb1EESX_IbLb0EEEEDaST_SU_EUlST_E_NS1_11comp_targetILNS1_3genE10ELNS1_11target_archE1201ELNS1_3gpuE5ELNS1_3repE0EEENS1_30default_config_static_selectorELNS0_4arch9wavefront6targetE0EEEvT1_
                                        ; -- End function
	.set _ZN7rocprim17ROCPRIM_400000_NS6detail17trampoline_kernelINS0_14default_configENS1_27scan_by_key_config_selectorIiiEEZZNS1_16scan_by_key_implILNS1_25lookback_scan_determinismE0ELb1ES3_N6thrust23THRUST_200600_302600_NS6detail15normal_iteratorINS9_10device_ptrIiEEEESE_SE_iNS9_4plusIiEE19head_flag_predicateiEE10hipError_tPvRmT2_T3_T4_T5_mT6_T7_P12ihipStream_tbENKUlT_T0_E_clISt17integral_constantIbLb1EESX_IbLb0EEEEDaST_SU_EUlST_E_NS1_11comp_targetILNS1_3genE10ELNS1_11target_archE1201ELNS1_3gpuE5ELNS1_3repE0EEENS1_30default_config_static_selectorELNS0_4arch9wavefront6targetE0EEEvT1_.num_vgpr, 0
	.set _ZN7rocprim17ROCPRIM_400000_NS6detail17trampoline_kernelINS0_14default_configENS1_27scan_by_key_config_selectorIiiEEZZNS1_16scan_by_key_implILNS1_25lookback_scan_determinismE0ELb1ES3_N6thrust23THRUST_200600_302600_NS6detail15normal_iteratorINS9_10device_ptrIiEEEESE_SE_iNS9_4plusIiEE19head_flag_predicateiEE10hipError_tPvRmT2_T3_T4_T5_mT6_T7_P12ihipStream_tbENKUlT_T0_E_clISt17integral_constantIbLb1EESX_IbLb0EEEEDaST_SU_EUlST_E_NS1_11comp_targetILNS1_3genE10ELNS1_11target_archE1201ELNS1_3gpuE5ELNS1_3repE0EEENS1_30default_config_static_selectorELNS0_4arch9wavefront6targetE0EEEvT1_.num_agpr, 0
	.set _ZN7rocprim17ROCPRIM_400000_NS6detail17trampoline_kernelINS0_14default_configENS1_27scan_by_key_config_selectorIiiEEZZNS1_16scan_by_key_implILNS1_25lookback_scan_determinismE0ELb1ES3_N6thrust23THRUST_200600_302600_NS6detail15normal_iteratorINS9_10device_ptrIiEEEESE_SE_iNS9_4plusIiEE19head_flag_predicateiEE10hipError_tPvRmT2_T3_T4_T5_mT6_T7_P12ihipStream_tbENKUlT_T0_E_clISt17integral_constantIbLb1EESX_IbLb0EEEEDaST_SU_EUlST_E_NS1_11comp_targetILNS1_3genE10ELNS1_11target_archE1201ELNS1_3gpuE5ELNS1_3repE0EEENS1_30default_config_static_selectorELNS0_4arch9wavefront6targetE0EEEvT1_.numbered_sgpr, 0
	.set _ZN7rocprim17ROCPRIM_400000_NS6detail17trampoline_kernelINS0_14default_configENS1_27scan_by_key_config_selectorIiiEEZZNS1_16scan_by_key_implILNS1_25lookback_scan_determinismE0ELb1ES3_N6thrust23THRUST_200600_302600_NS6detail15normal_iteratorINS9_10device_ptrIiEEEESE_SE_iNS9_4plusIiEE19head_flag_predicateiEE10hipError_tPvRmT2_T3_T4_T5_mT6_T7_P12ihipStream_tbENKUlT_T0_E_clISt17integral_constantIbLb1EESX_IbLb0EEEEDaST_SU_EUlST_E_NS1_11comp_targetILNS1_3genE10ELNS1_11target_archE1201ELNS1_3gpuE5ELNS1_3repE0EEENS1_30default_config_static_selectorELNS0_4arch9wavefront6targetE0EEEvT1_.num_named_barrier, 0
	.set _ZN7rocprim17ROCPRIM_400000_NS6detail17trampoline_kernelINS0_14default_configENS1_27scan_by_key_config_selectorIiiEEZZNS1_16scan_by_key_implILNS1_25lookback_scan_determinismE0ELb1ES3_N6thrust23THRUST_200600_302600_NS6detail15normal_iteratorINS9_10device_ptrIiEEEESE_SE_iNS9_4plusIiEE19head_flag_predicateiEE10hipError_tPvRmT2_T3_T4_T5_mT6_T7_P12ihipStream_tbENKUlT_T0_E_clISt17integral_constantIbLb1EESX_IbLb0EEEEDaST_SU_EUlST_E_NS1_11comp_targetILNS1_3genE10ELNS1_11target_archE1201ELNS1_3gpuE5ELNS1_3repE0EEENS1_30default_config_static_selectorELNS0_4arch9wavefront6targetE0EEEvT1_.private_seg_size, 0
	.set _ZN7rocprim17ROCPRIM_400000_NS6detail17trampoline_kernelINS0_14default_configENS1_27scan_by_key_config_selectorIiiEEZZNS1_16scan_by_key_implILNS1_25lookback_scan_determinismE0ELb1ES3_N6thrust23THRUST_200600_302600_NS6detail15normal_iteratorINS9_10device_ptrIiEEEESE_SE_iNS9_4plusIiEE19head_flag_predicateiEE10hipError_tPvRmT2_T3_T4_T5_mT6_T7_P12ihipStream_tbENKUlT_T0_E_clISt17integral_constantIbLb1EESX_IbLb0EEEEDaST_SU_EUlST_E_NS1_11comp_targetILNS1_3genE10ELNS1_11target_archE1201ELNS1_3gpuE5ELNS1_3repE0EEENS1_30default_config_static_selectorELNS0_4arch9wavefront6targetE0EEEvT1_.uses_vcc, 0
	.set _ZN7rocprim17ROCPRIM_400000_NS6detail17trampoline_kernelINS0_14default_configENS1_27scan_by_key_config_selectorIiiEEZZNS1_16scan_by_key_implILNS1_25lookback_scan_determinismE0ELb1ES3_N6thrust23THRUST_200600_302600_NS6detail15normal_iteratorINS9_10device_ptrIiEEEESE_SE_iNS9_4plusIiEE19head_flag_predicateiEE10hipError_tPvRmT2_T3_T4_T5_mT6_T7_P12ihipStream_tbENKUlT_T0_E_clISt17integral_constantIbLb1EESX_IbLb0EEEEDaST_SU_EUlST_E_NS1_11comp_targetILNS1_3genE10ELNS1_11target_archE1201ELNS1_3gpuE5ELNS1_3repE0EEENS1_30default_config_static_selectorELNS0_4arch9wavefront6targetE0EEEvT1_.uses_flat_scratch, 0
	.set _ZN7rocprim17ROCPRIM_400000_NS6detail17trampoline_kernelINS0_14default_configENS1_27scan_by_key_config_selectorIiiEEZZNS1_16scan_by_key_implILNS1_25lookback_scan_determinismE0ELb1ES3_N6thrust23THRUST_200600_302600_NS6detail15normal_iteratorINS9_10device_ptrIiEEEESE_SE_iNS9_4plusIiEE19head_flag_predicateiEE10hipError_tPvRmT2_T3_T4_T5_mT6_T7_P12ihipStream_tbENKUlT_T0_E_clISt17integral_constantIbLb1EESX_IbLb0EEEEDaST_SU_EUlST_E_NS1_11comp_targetILNS1_3genE10ELNS1_11target_archE1201ELNS1_3gpuE5ELNS1_3repE0EEENS1_30default_config_static_selectorELNS0_4arch9wavefront6targetE0EEEvT1_.has_dyn_sized_stack, 0
	.set _ZN7rocprim17ROCPRIM_400000_NS6detail17trampoline_kernelINS0_14default_configENS1_27scan_by_key_config_selectorIiiEEZZNS1_16scan_by_key_implILNS1_25lookback_scan_determinismE0ELb1ES3_N6thrust23THRUST_200600_302600_NS6detail15normal_iteratorINS9_10device_ptrIiEEEESE_SE_iNS9_4plusIiEE19head_flag_predicateiEE10hipError_tPvRmT2_T3_T4_T5_mT6_T7_P12ihipStream_tbENKUlT_T0_E_clISt17integral_constantIbLb1EESX_IbLb0EEEEDaST_SU_EUlST_E_NS1_11comp_targetILNS1_3genE10ELNS1_11target_archE1201ELNS1_3gpuE5ELNS1_3repE0EEENS1_30default_config_static_selectorELNS0_4arch9wavefront6targetE0EEEvT1_.has_recursion, 0
	.set _ZN7rocprim17ROCPRIM_400000_NS6detail17trampoline_kernelINS0_14default_configENS1_27scan_by_key_config_selectorIiiEEZZNS1_16scan_by_key_implILNS1_25lookback_scan_determinismE0ELb1ES3_N6thrust23THRUST_200600_302600_NS6detail15normal_iteratorINS9_10device_ptrIiEEEESE_SE_iNS9_4plusIiEE19head_flag_predicateiEE10hipError_tPvRmT2_T3_T4_T5_mT6_T7_P12ihipStream_tbENKUlT_T0_E_clISt17integral_constantIbLb1EESX_IbLb0EEEEDaST_SU_EUlST_E_NS1_11comp_targetILNS1_3genE10ELNS1_11target_archE1201ELNS1_3gpuE5ELNS1_3repE0EEENS1_30default_config_static_selectorELNS0_4arch9wavefront6targetE0EEEvT1_.has_indirect_call, 0
	.section	.AMDGPU.csdata,"",@progbits
; Kernel info:
; codeLenInByte = 0
; TotalNumSgprs: 0
; NumVgprs: 0
; ScratchSize: 0
; MemoryBound: 0
; FloatMode: 240
; IeeeMode: 1
; LDSByteSize: 0 bytes/workgroup (compile time only)
; SGPRBlocks: 0
; VGPRBlocks: 0
; NumSGPRsForWavesPerEU: 1
; NumVGPRsForWavesPerEU: 1
; NamedBarCnt: 0
; Occupancy: 16
; WaveLimiterHint : 0
; COMPUTE_PGM_RSRC2:SCRATCH_EN: 0
; COMPUTE_PGM_RSRC2:USER_SGPR: 2
; COMPUTE_PGM_RSRC2:TRAP_HANDLER: 0
; COMPUTE_PGM_RSRC2:TGID_X_EN: 1
; COMPUTE_PGM_RSRC2:TGID_Y_EN: 0
; COMPUTE_PGM_RSRC2:TGID_Z_EN: 0
; COMPUTE_PGM_RSRC2:TIDIG_COMP_CNT: 0
	.section	.text._ZN7rocprim17ROCPRIM_400000_NS6detail17trampoline_kernelINS0_14default_configENS1_27scan_by_key_config_selectorIiiEEZZNS1_16scan_by_key_implILNS1_25lookback_scan_determinismE0ELb1ES3_N6thrust23THRUST_200600_302600_NS6detail15normal_iteratorINS9_10device_ptrIiEEEESE_SE_iNS9_4plusIiEE19head_flag_predicateiEE10hipError_tPvRmT2_T3_T4_T5_mT6_T7_P12ihipStream_tbENKUlT_T0_E_clISt17integral_constantIbLb1EESX_IbLb0EEEEDaST_SU_EUlST_E_NS1_11comp_targetILNS1_3genE5ELNS1_11target_archE942ELNS1_3gpuE9ELNS1_3repE0EEENS1_30default_config_static_selectorELNS0_4arch9wavefront6targetE0EEEvT1_,"axG",@progbits,_ZN7rocprim17ROCPRIM_400000_NS6detail17trampoline_kernelINS0_14default_configENS1_27scan_by_key_config_selectorIiiEEZZNS1_16scan_by_key_implILNS1_25lookback_scan_determinismE0ELb1ES3_N6thrust23THRUST_200600_302600_NS6detail15normal_iteratorINS9_10device_ptrIiEEEESE_SE_iNS9_4plusIiEE19head_flag_predicateiEE10hipError_tPvRmT2_T3_T4_T5_mT6_T7_P12ihipStream_tbENKUlT_T0_E_clISt17integral_constantIbLb1EESX_IbLb0EEEEDaST_SU_EUlST_E_NS1_11comp_targetILNS1_3genE5ELNS1_11target_archE942ELNS1_3gpuE9ELNS1_3repE0EEENS1_30default_config_static_selectorELNS0_4arch9wavefront6targetE0EEEvT1_,comdat
	.protected	_ZN7rocprim17ROCPRIM_400000_NS6detail17trampoline_kernelINS0_14default_configENS1_27scan_by_key_config_selectorIiiEEZZNS1_16scan_by_key_implILNS1_25lookback_scan_determinismE0ELb1ES3_N6thrust23THRUST_200600_302600_NS6detail15normal_iteratorINS9_10device_ptrIiEEEESE_SE_iNS9_4plusIiEE19head_flag_predicateiEE10hipError_tPvRmT2_T3_T4_T5_mT6_T7_P12ihipStream_tbENKUlT_T0_E_clISt17integral_constantIbLb1EESX_IbLb0EEEEDaST_SU_EUlST_E_NS1_11comp_targetILNS1_3genE5ELNS1_11target_archE942ELNS1_3gpuE9ELNS1_3repE0EEENS1_30default_config_static_selectorELNS0_4arch9wavefront6targetE0EEEvT1_ ; -- Begin function _ZN7rocprim17ROCPRIM_400000_NS6detail17trampoline_kernelINS0_14default_configENS1_27scan_by_key_config_selectorIiiEEZZNS1_16scan_by_key_implILNS1_25lookback_scan_determinismE0ELb1ES3_N6thrust23THRUST_200600_302600_NS6detail15normal_iteratorINS9_10device_ptrIiEEEESE_SE_iNS9_4plusIiEE19head_flag_predicateiEE10hipError_tPvRmT2_T3_T4_T5_mT6_T7_P12ihipStream_tbENKUlT_T0_E_clISt17integral_constantIbLb1EESX_IbLb0EEEEDaST_SU_EUlST_E_NS1_11comp_targetILNS1_3genE5ELNS1_11target_archE942ELNS1_3gpuE9ELNS1_3repE0EEENS1_30default_config_static_selectorELNS0_4arch9wavefront6targetE0EEEvT1_
	.globl	_ZN7rocprim17ROCPRIM_400000_NS6detail17trampoline_kernelINS0_14default_configENS1_27scan_by_key_config_selectorIiiEEZZNS1_16scan_by_key_implILNS1_25lookback_scan_determinismE0ELb1ES3_N6thrust23THRUST_200600_302600_NS6detail15normal_iteratorINS9_10device_ptrIiEEEESE_SE_iNS9_4plusIiEE19head_flag_predicateiEE10hipError_tPvRmT2_T3_T4_T5_mT6_T7_P12ihipStream_tbENKUlT_T0_E_clISt17integral_constantIbLb1EESX_IbLb0EEEEDaST_SU_EUlST_E_NS1_11comp_targetILNS1_3genE5ELNS1_11target_archE942ELNS1_3gpuE9ELNS1_3repE0EEENS1_30default_config_static_selectorELNS0_4arch9wavefront6targetE0EEEvT1_
	.p2align	8
	.type	_ZN7rocprim17ROCPRIM_400000_NS6detail17trampoline_kernelINS0_14default_configENS1_27scan_by_key_config_selectorIiiEEZZNS1_16scan_by_key_implILNS1_25lookback_scan_determinismE0ELb1ES3_N6thrust23THRUST_200600_302600_NS6detail15normal_iteratorINS9_10device_ptrIiEEEESE_SE_iNS9_4plusIiEE19head_flag_predicateiEE10hipError_tPvRmT2_T3_T4_T5_mT6_T7_P12ihipStream_tbENKUlT_T0_E_clISt17integral_constantIbLb1EESX_IbLb0EEEEDaST_SU_EUlST_E_NS1_11comp_targetILNS1_3genE5ELNS1_11target_archE942ELNS1_3gpuE9ELNS1_3repE0EEENS1_30default_config_static_selectorELNS0_4arch9wavefront6targetE0EEEvT1_,@function
_ZN7rocprim17ROCPRIM_400000_NS6detail17trampoline_kernelINS0_14default_configENS1_27scan_by_key_config_selectorIiiEEZZNS1_16scan_by_key_implILNS1_25lookback_scan_determinismE0ELb1ES3_N6thrust23THRUST_200600_302600_NS6detail15normal_iteratorINS9_10device_ptrIiEEEESE_SE_iNS9_4plusIiEE19head_flag_predicateiEE10hipError_tPvRmT2_T3_T4_T5_mT6_T7_P12ihipStream_tbENKUlT_T0_E_clISt17integral_constantIbLb1EESX_IbLb0EEEEDaST_SU_EUlST_E_NS1_11comp_targetILNS1_3genE5ELNS1_11target_archE942ELNS1_3gpuE9ELNS1_3repE0EEENS1_30default_config_static_selectorELNS0_4arch9wavefront6targetE0EEEvT1_: ; @_ZN7rocprim17ROCPRIM_400000_NS6detail17trampoline_kernelINS0_14default_configENS1_27scan_by_key_config_selectorIiiEEZZNS1_16scan_by_key_implILNS1_25lookback_scan_determinismE0ELb1ES3_N6thrust23THRUST_200600_302600_NS6detail15normal_iteratorINS9_10device_ptrIiEEEESE_SE_iNS9_4plusIiEE19head_flag_predicateiEE10hipError_tPvRmT2_T3_T4_T5_mT6_T7_P12ihipStream_tbENKUlT_T0_E_clISt17integral_constantIbLb1EESX_IbLb0EEEEDaST_SU_EUlST_E_NS1_11comp_targetILNS1_3genE5ELNS1_11target_archE942ELNS1_3gpuE9ELNS1_3repE0EEENS1_30default_config_static_selectorELNS0_4arch9wavefront6targetE0EEEvT1_
; %bb.0:
	.section	.rodata,"a",@progbits
	.p2align	6, 0x0
	.amdhsa_kernel _ZN7rocprim17ROCPRIM_400000_NS6detail17trampoline_kernelINS0_14default_configENS1_27scan_by_key_config_selectorIiiEEZZNS1_16scan_by_key_implILNS1_25lookback_scan_determinismE0ELb1ES3_N6thrust23THRUST_200600_302600_NS6detail15normal_iteratorINS9_10device_ptrIiEEEESE_SE_iNS9_4plusIiEE19head_flag_predicateiEE10hipError_tPvRmT2_T3_T4_T5_mT6_T7_P12ihipStream_tbENKUlT_T0_E_clISt17integral_constantIbLb1EESX_IbLb0EEEEDaST_SU_EUlST_E_NS1_11comp_targetILNS1_3genE5ELNS1_11target_archE942ELNS1_3gpuE9ELNS1_3repE0EEENS1_30default_config_static_selectorELNS0_4arch9wavefront6targetE0EEEvT1_
		.amdhsa_group_segment_fixed_size 0
		.amdhsa_private_segment_fixed_size 0
		.amdhsa_kernarg_size 112
		.amdhsa_user_sgpr_count 2
		.amdhsa_user_sgpr_dispatch_ptr 0
		.amdhsa_user_sgpr_queue_ptr 0
		.amdhsa_user_sgpr_kernarg_segment_ptr 1
		.amdhsa_user_sgpr_dispatch_id 0
		.amdhsa_user_sgpr_kernarg_preload_length 0
		.amdhsa_user_sgpr_kernarg_preload_offset 0
		.amdhsa_user_sgpr_private_segment_size 0
		.amdhsa_wavefront_size32 1
		.amdhsa_uses_dynamic_stack 0
		.amdhsa_enable_private_segment 0
		.amdhsa_system_sgpr_workgroup_id_x 1
		.amdhsa_system_sgpr_workgroup_id_y 0
		.amdhsa_system_sgpr_workgroup_id_z 0
		.amdhsa_system_sgpr_workgroup_info 0
		.amdhsa_system_vgpr_workitem_id 0
		.amdhsa_next_free_vgpr 1
		.amdhsa_next_free_sgpr 1
		.amdhsa_named_barrier_count 0
		.amdhsa_reserve_vcc 0
		.amdhsa_float_round_mode_32 0
		.amdhsa_float_round_mode_16_64 0
		.amdhsa_float_denorm_mode_32 3
		.amdhsa_float_denorm_mode_16_64 3
		.amdhsa_fp16_overflow 0
		.amdhsa_memory_ordered 1
		.amdhsa_forward_progress 1
		.amdhsa_inst_pref_size 0
		.amdhsa_round_robin_scheduling 0
		.amdhsa_exception_fp_ieee_invalid_op 0
		.amdhsa_exception_fp_denorm_src 0
		.amdhsa_exception_fp_ieee_div_zero 0
		.amdhsa_exception_fp_ieee_overflow 0
		.amdhsa_exception_fp_ieee_underflow 0
		.amdhsa_exception_fp_ieee_inexact 0
		.amdhsa_exception_int_div_zero 0
	.end_amdhsa_kernel
	.section	.text._ZN7rocprim17ROCPRIM_400000_NS6detail17trampoline_kernelINS0_14default_configENS1_27scan_by_key_config_selectorIiiEEZZNS1_16scan_by_key_implILNS1_25lookback_scan_determinismE0ELb1ES3_N6thrust23THRUST_200600_302600_NS6detail15normal_iteratorINS9_10device_ptrIiEEEESE_SE_iNS9_4plusIiEE19head_flag_predicateiEE10hipError_tPvRmT2_T3_T4_T5_mT6_T7_P12ihipStream_tbENKUlT_T0_E_clISt17integral_constantIbLb1EESX_IbLb0EEEEDaST_SU_EUlST_E_NS1_11comp_targetILNS1_3genE5ELNS1_11target_archE942ELNS1_3gpuE9ELNS1_3repE0EEENS1_30default_config_static_selectorELNS0_4arch9wavefront6targetE0EEEvT1_,"axG",@progbits,_ZN7rocprim17ROCPRIM_400000_NS6detail17trampoline_kernelINS0_14default_configENS1_27scan_by_key_config_selectorIiiEEZZNS1_16scan_by_key_implILNS1_25lookback_scan_determinismE0ELb1ES3_N6thrust23THRUST_200600_302600_NS6detail15normal_iteratorINS9_10device_ptrIiEEEESE_SE_iNS9_4plusIiEE19head_flag_predicateiEE10hipError_tPvRmT2_T3_T4_T5_mT6_T7_P12ihipStream_tbENKUlT_T0_E_clISt17integral_constantIbLb1EESX_IbLb0EEEEDaST_SU_EUlST_E_NS1_11comp_targetILNS1_3genE5ELNS1_11target_archE942ELNS1_3gpuE9ELNS1_3repE0EEENS1_30default_config_static_selectorELNS0_4arch9wavefront6targetE0EEEvT1_,comdat
.Lfunc_end805:
	.size	_ZN7rocprim17ROCPRIM_400000_NS6detail17trampoline_kernelINS0_14default_configENS1_27scan_by_key_config_selectorIiiEEZZNS1_16scan_by_key_implILNS1_25lookback_scan_determinismE0ELb1ES3_N6thrust23THRUST_200600_302600_NS6detail15normal_iteratorINS9_10device_ptrIiEEEESE_SE_iNS9_4plusIiEE19head_flag_predicateiEE10hipError_tPvRmT2_T3_T4_T5_mT6_T7_P12ihipStream_tbENKUlT_T0_E_clISt17integral_constantIbLb1EESX_IbLb0EEEEDaST_SU_EUlST_E_NS1_11comp_targetILNS1_3genE5ELNS1_11target_archE942ELNS1_3gpuE9ELNS1_3repE0EEENS1_30default_config_static_selectorELNS0_4arch9wavefront6targetE0EEEvT1_, .Lfunc_end805-_ZN7rocprim17ROCPRIM_400000_NS6detail17trampoline_kernelINS0_14default_configENS1_27scan_by_key_config_selectorIiiEEZZNS1_16scan_by_key_implILNS1_25lookback_scan_determinismE0ELb1ES3_N6thrust23THRUST_200600_302600_NS6detail15normal_iteratorINS9_10device_ptrIiEEEESE_SE_iNS9_4plusIiEE19head_flag_predicateiEE10hipError_tPvRmT2_T3_T4_T5_mT6_T7_P12ihipStream_tbENKUlT_T0_E_clISt17integral_constantIbLb1EESX_IbLb0EEEEDaST_SU_EUlST_E_NS1_11comp_targetILNS1_3genE5ELNS1_11target_archE942ELNS1_3gpuE9ELNS1_3repE0EEENS1_30default_config_static_selectorELNS0_4arch9wavefront6targetE0EEEvT1_
                                        ; -- End function
	.set _ZN7rocprim17ROCPRIM_400000_NS6detail17trampoline_kernelINS0_14default_configENS1_27scan_by_key_config_selectorIiiEEZZNS1_16scan_by_key_implILNS1_25lookback_scan_determinismE0ELb1ES3_N6thrust23THRUST_200600_302600_NS6detail15normal_iteratorINS9_10device_ptrIiEEEESE_SE_iNS9_4plusIiEE19head_flag_predicateiEE10hipError_tPvRmT2_T3_T4_T5_mT6_T7_P12ihipStream_tbENKUlT_T0_E_clISt17integral_constantIbLb1EESX_IbLb0EEEEDaST_SU_EUlST_E_NS1_11comp_targetILNS1_3genE5ELNS1_11target_archE942ELNS1_3gpuE9ELNS1_3repE0EEENS1_30default_config_static_selectorELNS0_4arch9wavefront6targetE0EEEvT1_.num_vgpr, 0
	.set _ZN7rocprim17ROCPRIM_400000_NS6detail17trampoline_kernelINS0_14default_configENS1_27scan_by_key_config_selectorIiiEEZZNS1_16scan_by_key_implILNS1_25lookback_scan_determinismE0ELb1ES3_N6thrust23THRUST_200600_302600_NS6detail15normal_iteratorINS9_10device_ptrIiEEEESE_SE_iNS9_4plusIiEE19head_flag_predicateiEE10hipError_tPvRmT2_T3_T4_T5_mT6_T7_P12ihipStream_tbENKUlT_T0_E_clISt17integral_constantIbLb1EESX_IbLb0EEEEDaST_SU_EUlST_E_NS1_11comp_targetILNS1_3genE5ELNS1_11target_archE942ELNS1_3gpuE9ELNS1_3repE0EEENS1_30default_config_static_selectorELNS0_4arch9wavefront6targetE0EEEvT1_.num_agpr, 0
	.set _ZN7rocprim17ROCPRIM_400000_NS6detail17trampoline_kernelINS0_14default_configENS1_27scan_by_key_config_selectorIiiEEZZNS1_16scan_by_key_implILNS1_25lookback_scan_determinismE0ELb1ES3_N6thrust23THRUST_200600_302600_NS6detail15normal_iteratorINS9_10device_ptrIiEEEESE_SE_iNS9_4plusIiEE19head_flag_predicateiEE10hipError_tPvRmT2_T3_T4_T5_mT6_T7_P12ihipStream_tbENKUlT_T0_E_clISt17integral_constantIbLb1EESX_IbLb0EEEEDaST_SU_EUlST_E_NS1_11comp_targetILNS1_3genE5ELNS1_11target_archE942ELNS1_3gpuE9ELNS1_3repE0EEENS1_30default_config_static_selectorELNS0_4arch9wavefront6targetE0EEEvT1_.numbered_sgpr, 0
	.set _ZN7rocprim17ROCPRIM_400000_NS6detail17trampoline_kernelINS0_14default_configENS1_27scan_by_key_config_selectorIiiEEZZNS1_16scan_by_key_implILNS1_25lookback_scan_determinismE0ELb1ES3_N6thrust23THRUST_200600_302600_NS6detail15normal_iteratorINS9_10device_ptrIiEEEESE_SE_iNS9_4plusIiEE19head_flag_predicateiEE10hipError_tPvRmT2_T3_T4_T5_mT6_T7_P12ihipStream_tbENKUlT_T0_E_clISt17integral_constantIbLb1EESX_IbLb0EEEEDaST_SU_EUlST_E_NS1_11comp_targetILNS1_3genE5ELNS1_11target_archE942ELNS1_3gpuE9ELNS1_3repE0EEENS1_30default_config_static_selectorELNS0_4arch9wavefront6targetE0EEEvT1_.num_named_barrier, 0
	.set _ZN7rocprim17ROCPRIM_400000_NS6detail17trampoline_kernelINS0_14default_configENS1_27scan_by_key_config_selectorIiiEEZZNS1_16scan_by_key_implILNS1_25lookback_scan_determinismE0ELb1ES3_N6thrust23THRUST_200600_302600_NS6detail15normal_iteratorINS9_10device_ptrIiEEEESE_SE_iNS9_4plusIiEE19head_flag_predicateiEE10hipError_tPvRmT2_T3_T4_T5_mT6_T7_P12ihipStream_tbENKUlT_T0_E_clISt17integral_constantIbLb1EESX_IbLb0EEEEDaST_SU_EUlST_E_NS1_11comp_targetILNS1_3genE5ELNS1_11target_archE942ELNS1_3gpuE9ELNS1_3repE0EEENS1_30default_config_static_selectorELNS0_4arch9wavefront6targetE0EEEvT1_.private_seg_size, 0
	.set _ZN7rocprim17ROCPRIM_400000_NS6detail17trampoline_kernelINS0_14default_configENS1_27scan_by_key_config_selectorIiiEEZZNS1_16scan_by_key_implILNS1_25lookback_scan_determinismE0ELb1ES3_N6thrust23THRUST_200600_302600_NS6detail15normal_iteratorINS9_10device_ptrIiEEEESE_SE_iNS9_4plusIiEE19head_flag_predicateiEE10hipError_tPvRmT2_T3_T4_T5_mT6_T7_P12ihipStream_tbENKUlT_T0_E_clISt17integral_constantIbLb1EESX_IbLb0EEEEDaST_SU_EUlST_E_NS1_11comp_targetILNS1_3genE5ELNS1_11target_archE942ELNS1_3gpuE9ELNS1_3repE0EEENS1_30default_config_static_selectorELNS0_4arch9wavefront6targetE0EEEvT1_.uses_vcc, 0
	.set _ZN7rocprim17ROCPRIM_400000_NS6detail17trampoline_kernelINS0_14default_configENS1_27scan_by_key_config_selectorIiiEEZZNS1_16scan_by_key_implILNS1_25lookback_scan_determinismE0ELb1ES3_N6thrust23THRUST_200600_302600_NS6detail15normal_iteratorINS9_10device_ptrIiEEEESE_SE_iNS9_4plusIiEE19head_flag_predicateiEE10hipError_tPvRmT2_T3_T4_T5_mT6_T7_P12ihipStream_tbENKUlT_T0_E_clISt17integral_constantIbLb1EESX_IbLb0EEEEDaST_SU_EUlST_E_NS1_11comp_targetILNS1_3genE5ELNS1_11target_archE942ELNS1_3gpuE9ELNS1_3repE0EEENS1_30default_config_static_selectorELNS0_4arch9wavefront6targetE0EEEvT1_.uses_flat_scratch, 0
	.set _ZN7rocprim17ROCPRIM_400000_NS6detail17trampoline_kernelINS0_14default_configENS1_27scan_by_key_config_selectorIiiEEZZNS1_16scan_by_key_implILNS1_25lookback_scan_determinismE0ELb1ES3_N6thrust23THRUST_200600_302600_NS6detail15normal_iteratorINS9_10device_ptrIiEEEESE_SE_iNS9_4plusIiEE19head_flag_predicateiEE10hipError_tPvRmT2_T3_T4_T5_mT6_T7_P12ihipStream_tbENKUlT_T0_E_clISt17integral_constantIbLb1EESX_IbLb0EEEEDaST_SU_EUlST_E_NS1_11comp_targetILNS1_3genE5ELNS1_11target_archE942ELNS1_3gpuE9ELNS1_3repE0EEENS1_30default_config_static_selectorELNS0_4arch9wavefront6targetE0EEEvT1_.has_dyn_sized_stack, 0
	.set _ZN7rocprim17ROCPRIM_400000_NS6detail17trampoline_kernelINS0_14default_configENS1_27scan_by_key_config_selectorIiiEEZZNS1_16scan_by_key_implILNS1_25lookback_scan_determinismE0ELb1ES3_N6thrust23THRUST_200600_302600_NS6detail15normal_iteratorINS9_10device_ptrIiEEEESE_SE_iNS9_4plusIiEE19head_flag_predicateiEE10hipError_tPvRmT2_T3_T4_T5_mT6_T7_P12ihipStream_tbENKUlT_T0_E_clISt17integral_constantIbLb1EESX_IbLb0EEEEDaST_SU_EUlST_E_NS1_11comp_targetILNS1_3genE5ELNS1_11target_archE942ELNS1_3gpuE9ELNS1_3repE0EEENS1_30default_config_static_selectorELNS0_4arch9wavefront6targetE0EEEvT1_.has_recursion, 0
	.set _ZN7rocprim17ROCPRIM_400000_NS6detail17trampoline_kernelINS0_14default_configENS1_27scan_by_key_config_selectorIiiEEZZNS1_16scan_by_key_implILNS1_25lookback_scan_determinismE0ELb1ES3_N6thrust23THRUST_200600_302600_NS6detail15normal_iteratorINS9_10device_ptrIiEEEESE_SE_iNS9_4plusIiEE19head_flag_predicateiEE10hipError_tPvRmT2_T3_T4_T5_mT6_T7_P12ihipStream_tbENKUlT_T0_E_clISt17integral_constantIbLb1EESX_IbLb0EEEEDaST_SU_EUlST_E_NS1_11comp_targetILNS1_3genE5ELNS1_11target_archE942ELNS1_3gpuE9ELNS1_3repE0EEENS1_30default_config_static_selectorELNS0_4arch9wavefront6targetE0EEEvT1_.has_indirect_call, 0
	.section	.AMDGPU.csdata,"",@progbits
; Kernel info:
; codeLenInByte = 0
; TotalNumSgprs: 0
; NumVgprs: 0
; ScratchSize: 0
; MemoryBound: 0
; FloatMode: 240
; IeeeMode: 1
; LDSByteSize: 0 bytes/workgroup (compile time only)
; SGPRBlocks: 0
; VGPRBlocks: 0
; NumSGPRsForWavesPerEU: 1
; NumVGPRsForWavesPerEU: 1
; NamedBarCnt: 0
; Occupancy: 16
; WaveLimiterHint : 0
; COMPUTE_PGM_RSRC2:SCRATCH_EN: 0
; COMPUTE_PGM_RSRC2:USER_SGPR: 2
; COMPUTE_PGM_RSRC2:TRAP_HANDLER: 0
; COMPUTE_PGM_RSRC2:TGID_X_EN: 1
; COMPUTE_PGM_RSRC2:TGID_Y_EN: 0
; COMPUTE_PGM_RSRC2:TGID_Z_EN: 0
; COMPUTE_PGM_RSRC2:TIDIG_COMP_CNT: 0
	.section	.text._ZN7rocprim17ROCPRIM_400000_NS6detail17trampoline_kernelINS0_14default_configENS1_27scan_by_key_config_selectorIiiEEZZNS1_16scan_by_key_implILNS1_25lookback_scan_determinismE0ELb1ES3_N6thrust23THRUST_200600_302600_NS6detail15normal_iteratorINS9_10device_ptrIiEEEESE_SE_iNS9_4plusIiEE19head_flag_predicateiEE10hipError_tPvRmT2_T3_T4_T5_mT6_T7_P12ihipStream_tbENKUlT_T0_E_clISt17integral_constantIbLb1EESX_IbLb0EEEEDaST_SU_EUlST_E_NS1_11comp_targetILNS1_3genE4ELNS1_11target_archE910ELNS1_3gpuE8ELNS1_3repE0EEENS1_30default_config_static_selectorELNS0_4arch9wavefront6targetE0EEEvT1_,"axG",@progbits,_ZN7rocprim17ROCPRIM_400000_NS6detail17trampoline_kernelINS0_14default_configENS1_27scan_by_key_config_selectorIiiEEZZNS1_16scan_by_key_implILNS1_25lookback_scan_determinismE0ELb1ES3_N6thrust23THRUST_200600_302600_NS6detail15normal_iteratorINS9_10device_ptrIiEEEESE_SE_iNS9_4plusIiEE19head_flag_predicateiEE10hipError_tPvRmT2_T3_T4_T5_mT6_T7_P12ihipStream_tbENKUlT_T0_E_clISt17integral_constantIbLb1EESX_IbLb0EEEEDaST_SU_EUlST_E_NS1_11comp_targetILNS1_3genE4ELNS1_11target_archE910ELNS1_3gpuE8ELNS1_3repE0EEENS1_30default_config_static_selectorELNS0_4arch9wavefront6targetE0EEEvT1_,comdat
	.protected	_ZN7rocprim17ROCPRIM_400000_NS6detail17trampoline_kernelINS0_14default_configENS1_27scan_by_key_config_selectorIiiEEZZNS1_16scan_by_key_implILNS1_25lookback_scan_determinismE0ELb1ES3_N6thrust23THRUST_200600_302600_NS6detail15normal_iteratorINS9_10device_ptrIiEEEESE_SE_iNS9_4plusIiEE19head_flag_predicateiEE10hipError_tPvRmT2_T3_T4_T5_mT6_T7_P12ihipStream_tbENKUlT_T0_E_clISt17integral_constantIbLb1EESX_IbLb0EEEEDaST_SU_EUlST_E_NS1_11comp_targetILNS1_3genE4ELNS1_11target_archE910ELNS1_3gpuE8ELNS1_3repE0EEENS1_30default_config_static_selectorELNS0_4arch9wavefront6targetE0EEEvT1_ ; -- Begin function _ZN7rocprim17ROCPRIM_400000_NS6detail17trampoline_kernelINS0_14default_configENS1_27scan_by_key_config_selectorIiiEEZZNS1_16scan_by_key_implILNS1_25lookback_scan_determinismE0ELb1ES3_N6thrust23THRUST_200600_302600_NS6detail15normal_iteratorINS9_10device_ptrIiEEEESE_SE_iNS9_4plusIiEE19head_flag_predicateiEE10hipError_tPvRmT2_T3_T4_T5_mT6_T7_P12ihipStream_tbENKUlT_T0_E_clISt17integral_constantIbLb1EESX_IbLb0EEEEDaST_SU_EUlST_E_NS1_11comp_targetILNS1_3genE4ELNS1_11target_archE910ELNS1_3gpuE8ELNS1_3repE0EEENS1_30default_config_static_selectorELNS0_4arch9wavefront6targetE0EEEvT1_
	.globl	_ZN7rocprim17ROCPRIM_400000_NS6detail17trampoline_kernelINS0_14default_configENS1_27scan_by_key_config_selectorIiiEEZZNS1_16scan_by_key_implILNS1_25lookback_scan_determinismE0ELb1ES3_N6thrust23THRUST_200600_302600_NS6detail15normal_iteratorINS9_10device_ptrIiEEEESE_SE_iNS9_4plusIiEE19head_flag_predicateiEE10hipError_tPvRmT2_T3_T4_T5_mT6_T7_P12ihipStream_tbENKUlT_T0_E_clISt17integral_constantIbLb1EESX_IbLb0EEEEDaST_SU_EUlST_E_NS1_11comp_targetILNS1_3genE4ELNS1_11target_archE910ELNS1_3gpuE8ELNS1_3repE0EEENS1_30default_config_static_selectorELNS0_4arch9wavefront6targetE0EEEvT1_
	.p2align	8
	.type	_ZN7rocprim17ROCPRIM_400000_NS6detail17trampoline_kernelINS0_14default_configENS1_27scan_by_key_config_selectorIiiEEZZNS1_16scan_by_key_implILNS1_25lookback_scan_determinismE0ELb1ES3_N6thrust23THRUST_200600_302600_NS6detail15normal_iteratorINS9_10device_ptrIiEEEESE_SE_iNS9_4plusIiEE19head_flag_predicateiEE10hipError_tPvRmT2_T3_T4_T5_mT6_T7_P12ihipStream_tbENKUlT_T0_E_clISt17integral_constantIbLb1EESX_IbLb0EEEEDaST_SU_EUlST_E_NS1_11comp_targetILNS1_3genE4ELNS1_11target_archE910ELNS1_3gpuE8ELNS1_3repE0EEENS1_30default_config_static_selectorELNS0_4arch9wavefront6targetE0EEEvT1_,@function
_ZN7rocprim17ROCPRIM_400000_NS6detail17trampoline_kernelINS0_14default_configENS1_27scan_by_key_config_selectorIiiEEZZNS1_16scan_by_key_implILNS1_25lookback_scan_determinismE0ELb1ES3_N6thrust23THRUST_200600_302600_NS6detail15normal_iteratorINS9_10device_ptrIiEEEESE_SE_iNS9_4plusIiEE19head_flag_predicateiEE10hipError_tPvRmT2_T3_T4_T5_mT6_T7_P12ihipStream_tbENKUlT_T0_E_clISt17integral_constantIbLb1EESX_IbLb0EEEEDaST_SU_EUlST_E_NS1_11comp_targetILNS1_3genE4ELNS1_11target_archE910ELNS1_3gpuE8ELNS1_3repE0EEENS1_30default_config_static_selectorELNS0_4arch9wavefront6targetE0EEEvT1_: ; @_ZN7rocprim17ROCPRIM_400000_NS6detail17trampoline_kernelINS0_14default_configENS1_27scan_by_key_config_selectorIiiEEZZNS1_16scan_by_key_implILNS1_25lookback_scan_determinismE0ELb1ES3_N6thrust23THRUST_200600_302600_NS6detail15normal_iteratorINS9_10device_ptrIiEEEESE_SE_iNS9_4plusIiEE19head_flag_predicateiEE10hipError_tPvRmT2_T3_T4_T5_mT6_T7_P12ihipStream_tbENKUlT_T0_E_clISt17integral_constantIbLb1EESX_IbLb0EEEEDaST_SU_EUlST_E_NS1_11comp_targetILNS1_3genE4ELNS1_11target_archE910ELNS1_3gpuE8ELNS1_3repE0EEENS1_30default_config_static_selectorELNS0_4arch9wavefront6targetE0EEEvT1_
; %bb.0:
	.section	.rodata,"a",@progbits
	.p2align	6, 0x0
	.amdhsa_kernel _ZN7rocprim17ROCPRIM_400000_NS6detail17trampoline_kernelINS0_14default_configENS1_27scan_by_key_config_selectorIiiEEZZNS1_16scan_by_key_implILNS1_25lookback_scan_determinismE0ELb1ES3_N6thrust23THRUST_200600_302600_NS6detail15normal_iteratorINS9_10device_ptrIiEEEESE_SE_iNS9_4plusIiEE19head_flag_predicateiEE10hipError_tPvRmT2_T3_T4_T5_mT6_T7_P12ihipStream_tbENKUlT_T0_E_clISt17integral_constantIbLb1EESX_IbLb0EEEEDaST_SU_EUlST_E_NS1_11comp_targetILNS1_3genE4ELNS1_11target_archE910ELNS1_3gpuE8ELNS1_3repE0EEENS1_30default_config_static_selectorELNS0_4arch9wavefront6targetE0EEEvT1_
		.amdhsa_group_segment_fixed_size 0
		.amdhsa_private_segment_fixed_size 0
		.amdhsa_kernarg_size 112
		.amdhsa_user_sgpr_count 2
		.amdhsa_user_sgpr_dispatch_ptr 0
		.amdhsa_user_sgpr_queue_ptr 0
		.amdhsa_user_sgpr_kernarg_segment_ptr 1
		.amdhsa_user_sgpr_dispatch_id 0
		.amdhsa_user_sgpr_kernarg_preload_length 0
		.amdhsa_user_sgpr_kernarg_preload_offset 0
		.amdhsa_user_sgpr_private_segment_size 0
		.amdhsa_wavefront_size32 1
		.amdhsa_uses_dynamic_stack 0
		.amdhsa_enable_private_segment 0
		.amdhsa_system_sgpr_workgroup_id_x 1
		.amdhsa_system_sgpr_workgroup_id_y 0
		.amdhsa_system_sgpr_workgroup_id_z 0
		.amdhsa_system_sgpr_workgroup_info 0
		.amdhsa_system_vgpr_workitem_id 0
		.amdhsa_next_free_vgpr 1
		.amdhsa_next_free_sgpr 1
		.amdhsa_named_barrier_count 0
		.amdhsa_reserve_vcc 0
		.amdhsa_float_round_mode_32 0
		.amdhsa_float_round_mode_16_64 0
		.amdhsa_float_denorm_mode_32 3
		.amdhsa_float_denorm_mode_16_64 3
		.amdhsa_fp16_overflow 0
		.amdhsa_memory_ordered 1
		.amdhsa_forward_progress 1
		.amdhsa_inst_pref_size 0
		.amdhsa_round_robin_scheduling 0
		.amdhsa_exception_fp_ieee_invalid_op 0
		.amdhsa_exception_fp_denorm_src 0
		.amdhsa_exception_fp_ieee_div_zero 0
		.amdhsa_exception_fp_ieee_overflow 0
		.amdhsa_exception_fp_ieee_underflow 0
		.amdhsa_exception_fp_ieee_inexact 0
		.amdhsa_exception_int_div_zero 0
	.end_amdhsa_kernel
	.section	.text._ZN7rocprim17ROCPRIM_400000_NS6detail17trampoline_kernelINS0_14default_configENS1_27scan_by_key_config_selectorIiiEEZZNS1_16scan_by_key_implILNS1_25lookback_scan_determinismE0ELb1ES3_N6thrust23THRUST_200600_302600_NS6detail15normal_iteratorINS9_10device_ptrIiEEEESE_SE_iNS9_4plusIiEE19head_flag_predicateiEE10hipError_tPvRmT2_T3_T4_T5_mT6_T7_P12ihipStream_tbENKUlT_T0_E_clISt17integral_constantIbLb1EESX_IbLb0EEEEDaST_SU_EUlST_E_NS1_11comp_targetILNS1_3genE4ELNS1_11target_archE910ELNS1_3gpuE8ELNS1_3repE0EEENS1_30default_config_static_selectorELNS0_4arch9wavefront6targetE0EEEvT1_,"axG",@progbits,_ZN7rocprim17ROCPRIM_400000_NS6detail17trampoline_kernelINS0_14default_configENS1_27scan_by_key_config_selectorIiiEEZZNS1_16scan_by_key_implILNS1_25lookback_scan_determinismE0ELb1ES3_N6thrust23THRUST_200600_302600_NS6detail15normal_iteratorINS9_10device_ptrIiEEEESE_SE_iNS9_4plusIiEE19head_flag_predicateiEE10hipError_tPvRmT2_T3_T4_T5_mT6_T7_P12ihipStream_tbENKUlT_T0_E_clISt17integral_constantIbLb1EESX_IbLb0EEEEDaST_SU_EUlST_E_NS1_11comp_targetILNS1_3genE4ELNS1_11target_archE910ELNS1_3gpuE8ELNS1_3repE0EEENS1_30default_config_static_selectorELNS0_4arch9wavefront6targetE0EEEvT1_,comdat
.Lfunc_end806:
	.size	_ZN7rocprim17ROCPRIM_400000_NS6detail17trampoline_kernelINS0_14default_configENS1_27scan_by_key_config_selectorIiiEEZZNS1_16scan_by_key_implILNS1_25lookback_scan_determinismE0ELb1ES3_N6thrust23THRUST_200600_302600_NS6detail15normal_iteratorINS9_10device_ptrIiEEEESE_SE_iNS9_4plusIiEE19head_flag_predicateiEE10hipError_tPvRmT2_T3_T4_T5_mT6_T7_P12ihipStream_tbENKUlT_T0_E_clISt17integral_constantIbLb1EESX_IbLb0EEEEDaST_SU_EUlST_E_NS1_11comp_targetILNS1_3genE4ELNS1_11target_archE910ELNS1_3gpuE8ELNS1_3repE0EEENS1_30default_config_static_selectorELNS0_4arch9wavefront6targetE0EEEvT1_, .Lfunc_end806-_ZN7rocprim17ROCPRIM_400000_NS6detail17trampoline_kernelINS0_14default_configENS1_27scan_by_key_config_selectorIiiEEZZNS1_16scan_by_key_implILNS1_25lookback_scan_determinismE0ELb1ES3_N6thrust23THRUST_200600_302600_NS6detail15normal_iteratorINS9_10device_ptrIiEEEESE_SE_iNS9_4plusIiEE19head_flag_predicateiEE10hipError_tPvRmT2_T3_T4_T5_mT6_T7_P12ihipStream_tbENKUlT_T0_E_clISt17integral_constantIbLb1EESX_IbLb0EEEEDaST_SU_EUlST_E_NS1_11comp_targetILNS1_3genE4ELNS1_11target_archE910ELNS1_3gpuE8ELNS1_3repE0EEENS1_30default_config_static_selectorELNS0_4arch9wavefront6targetE0EEEvT1_
                                        ; -- End function
	.set _ZN7rocprim17ROCPRIM_400000_NS6detail17trampoline_kernelINS0_14default_configENS1_27scan_by_key_config_selectorIiiEEZZNS1_16scan_by_key_implILNS1_25lookback_scan_determinismE0ELb1ES3_N6thrust23THRUST_200600_302600_NS6detail15normal_iteratorINS9_10device_ptrIiEEEESE_SE_iNS9_4plusIiEE19head_flag_predicateiEE10hipError_tPvRmT2_T3_T4_T5_mT6_T7_P12ihipStream_tbENKUlT_T0_E_clISt17integral_constantIbLb1EESX_IbLb0EEEEDaST_SU_EUlST_E_NS1_11comp_targetILNS1_3genE4ELNS1_11target_archE910ELNS1_3gpuE8ELNS1_3repE0EEENS1_30default_config_static_selectorELNS0_4arch9wavefront6targetE0EEEvT1_.num_vgpr, 0
	.set _ZN7rocprim17ROCPRIM_400000_NS6detail17trampoline_kernelINS0_14default_configENS1_27scan_by_key_config_selectorIiiEEZZNS1_16scan_by_key_implILNS1_25lookback_scan_determinismE0ELb1ES3_N6thrust23THRUST_200600_302600_NS6detail15normal_iteratorINS9_10device_ptrIiEEEESE_SE_iNS9_4plusIiEE19head_flag_predicateiEE10hipError_tPvRmT2_T3_T4_T5_mT6_T7_P12ihipStream_tbENKUlT_T0_E_clISt17integral_constantIbLb1EESX_IbLb0EEEEDaST_SU_EUlST_E_NS1_11comp_targetILNS1_3genE4ELNS1_11target_archE910ELNS1_3gpuE8ELNS1_3repE0EEENS1_30default_config_static_selectorELNS0_4arch9wavefront6targetE0EEEvT1_.num_agpr, 0
	.set _ZN7rocprim17ROCPRIM_400000_NS6detail17trampoline_kernelINS0_14default_configENS1_27scan_by_key_config_selectorIiiEEZZNS1_16scan_by_key_implILNS1_25lookback_scan_determinismE0ELb1ES3_N6thrust23THRUST_200600_302600_NS6detail15normal_iteratorINS9_10device_ptrIiEEEESE_SE_iNS9_4plusIiEE19head_flag_predicateiEE10hipError_tPvRmT2_T3_T4_T5_mT6_T7_P12ihipStream_tbENKUlT_T0_E_clISt17integral_constantIbLb1EESX_IbLb0EEEEDaST_SU_EUlST_E_NS1_11comp_targetILNS1_3genE4ELNS1_11target_archE910ELNS1_3gpuE8ELNS1_3repE0EEENS1_30default_config_static_selectorELNS0_4arch9wavefront6targetE0EEEvT1_.numbered_sgpr, 0
	.set _ZN7rocprim17ROCPRIM_400000_NS6detail17trampoline_kernelINS0_14default_configENS1_27scan_by_key_config_selectorIiiEEZZNS1_16scan_by_key_implILNS1_25lookback_scan_determinismE0ELb1ES3_N6thrust23THRUST_200600_302600_NS6detail15normal_iteratorINS9_10device_ptrIiEEEESE_SE_iNS9_4plusIiEE19head_flag_predicateiEE10hipError_tPvRmT2_T3_T4_T5_mT6_T7_P12ihipStream_tbENKUlT_T0_E_clISt17integral_constantIbLb1EESX_IbLb0EEEEDaST_SU_EUlST_E_NS1_11comp_targetILNS1_3genE4ELNS1_11target_archE910ELNS1_3gpuE8ELNS1_3repE0EEENS1_30default_config_static_selectorELNS0_4arch9wavefront6targetE0EEEvT1_.num_named_barrier, 0
	.set _ZN7rocprim17ROCPRIM_400000_NS6detail17trampoline_kernelINS0_14default_configENS1_27scan_by_key_config_selectorIiiEEZZNS1_16scan_by_key_implILNS1_25lookback_scan_determinismE0ELb1ES3_N6thrust23THRUST_200600_302600_NS6detail15normal_iteratorINS9_10device_ptrIiEEEESE_SE_iNS9_4plusIiEE19head_flag_predicateiEE10hipError_tPvRmT2_T3_T4_T5_mT6_T7_P12ihipStream_tbENKUlT_T0_E_clISt17integral_constantIbLb1EESX_IbLb0EEEEDaST_SU_EUlST_E_NS1_11comp_targetILNS1_3genE4ELNS1_11target_archE910ELNS1_3gpuE8ELNS1_3repE0EEENS1_30default_config_static_selectorELNS0_4arch9wavefront6targetE0EEEvT1_.private_seg_size, 0
	.set _ZN7rocprim17ROCPRIM_400000_NS6detail17trampoline_kernelINS0_14default_configENS1_27scan_by_key_config_selectorIiiEEZZNS1_16scan_by_key_implILNS1_25lookback_scan_determinismE0ELb1ES3_N6thrust23THRUST_200600_302600_NS6detail15normal_iteratorINS9_10device_ptrIiEEEESE_SE_iNS9_4plusIiEE19head_flag_predicateiEE10hipError_tPvRmT2_T3_T4_T5_mT6_T7_P12ihipStream_tbENKUlT_T0_E_clISt17integral_constantIbLb1EESX_IbLb0EEEEDaST_SU_EUlST_E_NS1_11comp_targetILNS1_3genE4ELNS1_11target_archE910ELNS1_3gpuE8ELNS1_3repE0EEENS1_30default_config_static_selectorELNS0_4arch9wavefront6targetE0EEEvT1_.uses_vcc, 0
	.set _ZN7rocprim17ROCPRIM_400000_NS6detail17trampoline_kernelINS0_14default_configENS1_27scan_by_key_config_selectorIiiEEZZNS1_16scan_by_key_implILNS1_25lookback_scan_determinismE0ELb1ES3_N6thrust23THRUST_200600_302600_NS6detail15normal_iteratorINS9_10device_ptrIiEEEESE_SE_iNS9_4plusIiEE19head_flag_predicateiEE10hipError_tPvRmT2_T3_T4_T5_mT6_T7_P12ihipStream_tbENKUlT_T0_E_clISt17integral_constantIbLb1EESX_IbLb0EEEEDaST_SU_EUlST_E_NS1_11comp_targetILNS1_3genE4ELNS1_11target_archE910ELNS1_3gpuE8ELNS1_3repE0EEENS1_30default_config_static_selectorELNS0_4arch9wavefront6targetE0EEEvT1_.uses_flat_scratch, 0
	.set _ZN7rocprim17ROCPRIM_400000_NS6detail17trampoline_kernelINS0_14default_configENS1_27scan_by_key_config_selectorIiiEEZZNS1_16scan_by_key_implILNS1_25lookback_scan_determinismE0ELb1ES3_N6thrust23THRUST_200600_302600_NS6detail15normal_iteratorINS9_10device_ptrIiEEEESE_SE_iNS9_4plusIiEE19head_flag_predicateiEE10hipError_tPvRmT2_T3_T4_T5_mT6_T7_P12ihipStream_tbENKUlT_T0_E_clISt17integral_constantIbLb1EESX_IbLb0EEEEDaST_SU_EUlST_E_NS1_11comp_targetILNS1_3genE4ELNS1_11target_archE910ELNS1_3gpuE8ELNS1_3repE0EEENS1_30default_config_static_selectorELNS0_4arch9wavefront6targetE0EEEvT1_.has_dyn_sized_stack, 0
	.set _ZN7rocprim17ROCPRIM_400000_NS6detail17trampoline_kernelINS0_14default_configENS1_27scan_by_key_config_selectorIiiEEZZNS1_16scan_by_key_implILNS1_25lookback_scan_determinismE0ELb1ES3_N6thrust23THRUST_200600_302600_NS6detail15normal_iteratorINS9_10device_ptrIiEEEESE_SE_iNS9_4plusIiEE19head_flag_predicateiEE10hipError_tPvRmT2_T3_T4_T5_mT6_T7_P12ihipStream_tbENKUlT_T0_E_clISt17integral_constantIbLb1EESX_IbLb0EEEEDaST_SU_EUlST_E_NS1_11comp_targetILNS1_3genE4ELNS1_11target_archE910ELNS1_3gpuE8ELNS1_3repE0EEENS1_30default_config_static_selectorELNS0_4arch9wavefront6targetE0EEEvT1_.has_recursion, 0
	.set _ZN7rocprim17ROCPRIM_400000_NS6detail17trampoline_kernelINS0_14default_configENS1_27scan_by_key_config_selectorIiiEEZZNS1_16scan_by_key_implILNS1_25lookback_scan_determinismE0ELb1ES3_N6thrust23THRUST_200600_302600_NS6detail15normal_iteratorINS9_10device_ptrIiEEEESE_SE_iNS9_4plusIiEE19head_flag_predicateiEE10hipError_tPvRmT2_T3_T4_T5_mT6_T7_P12ihipStream_tbENKUlT_T0_E_clISt17integral_constantIbLb1EESX_IbLb0EEEEDaST_SU_EUlST_E_NS1_11comp_targetILNS1_3genE4ELNS1_11target_archE910ELNS1_3gpuE8ELNS1_3repE0EEENS1_30default_config_static_selectorELNS0_4arch9wavefront6targetE0EEEvT1_.has_indirect_call, 0
	.section	.AMDGPU.csdata,"",@progbits
; Kernel info:
; codeLenInByte = 0
; TotalNumSgprs: 0
; NumVgprs: 0
; ScratchSize: 0
; MemoryBound: 0
; FloatMode: 240
; IeeeMode: 1
; LDSByteSize: 0 bytes/workgroup (compile time only)
; SGPRBlocks: 0
; VGPRBlocks: 0
; NumSGPRsForWavesPerEU: 1
; NumVGPRsForWavesPerEU: 1
; NamedBarCnt: 0
; Occupancy: 16
; WaveLimiterHint : 0
; COMPUTE_PGM_RSRC2:SCRATCH_EN: 0
; COMPUTE_PGM_RSRC2:USER_SGPR: 2
; COMPUTE_PGM_RSRC2:TRAP_HANDLER: 0
; COMPUTE_PGM_RSRC2:TGID_X_EN: 1
; COMPUTE_PGM_RSRC2:TGID_Y_EN: 0
; COMPUTE_PGM_RSRC2:TGID_Z_EN: 0
; COMPUTE_PGM_RSRC2:TIDIG_COMP_CNT: 0
	.section	.text._ZN7rocprim17ROCPRIM_400000_NS6detail17trampoline_kernelINS0_14default_configENS1_27scan_by_key_config_selectorIiiEEZZNS1_16scan_by_key_implILNS1_25lookback_scan_determinismE0ELb1ES3_N6thrust23THRUST_200600_302600_NS6detail15normal_iteratorINS9_10device_ptrIiEEEESE_SE_iNS9_4plusIiEE19head_flag_predicateiEE10hipError_tPvRmT2_T3_T4_T5_mT6_T7_P12ihipStream_tbENKUlT_T0_E_clISt17integral_constantIbLb1EESX_IbLb0EEEEDaST_SU_EUlST_E_NS1_11comp_targetILNS1_3genE3ELNS1_11target_archE908ELNS1_3gpuE7ELNS1_3repE0EEENS1_30default_config_static_selectorELNS0_4arch9wavefront6targetE0EEEvT1_,"axG",@progbits,_ZN7rocprim17ROCPRIM_400000_NS6detail17trampoline_kernelINS0_14default_configENS1_27scan_by_key_config_selectorIiiEEZZNS1_16scan_by_key_implILNS1_25lookback_scan_determinismE0ELb1ES3_N6thrust23THRUST_200600_302600_NS6detail15normal_iteratorINS9_10device_ptrIiEEEESE_SE_iNS9_4plusIiEE19head_flag_predicateiEE10hipError_tPvRmT2_T3_T4_T5_mT6_T7_P12ihipStream_tbENKUlT_T0_E_clISt17integral_constantIbLb1EESX_IbLb0EEEEDaST_SU_EUlST_E_NS1_11comp_targetILNS1_3genE3ELNS1_11target_archE908ELNS1_3gpuE7ELNS1_3repE0EEENS1_30default_config_static_selectorELNS0_4arch9wavefront6targetE0EEEvT1_,comdat
	.protected	_ZN7rocprim17ROCPRIM_400000_NS6detail17trampoline_kernelINS0_14default_configENS1_27scan_by_key_config_selectorIiiEEZZNS1_16scan_by_key_implILNS1_25lookback_scan_determinismE0ELb1ES3_N6thrust23THRUST_200600_302600_NS6detail15normal_iteratorINS9_10device_ptrIiEEEESE_SE_iNS9_4plusIiEE19head_flag_predicateiEE10hipError_tPvRmT2_T3_T4_T5_mT6_T7_P12ihipStream_tbENKUlT_T0_E_clISt17integral_constantIbLb1EESX_IbLb0EEEEDaST_SU_EUlST_E_NS1_11comp_targetILNS1_3genE3ELNS1_11target_archE908ELNS1_3gpuE7ELNS1_3repE0EEENS1_30default_config_static_selectorELNS0_4arch9wavefront6targetE0EEEvT1_ ; -- Begin function _ZN7rocprim17ROCPRIM_400000_NS6detail17trampoline_kernelINS0_14default_configENS1_27scan_by_key_config_selectorIiiEEZZNS1_16scan_by_key_implILNS1_25lookback_scan_determinismE0ELb1ES3_N6thrust23THRUST_200600_302600_NS6detail15normal_iteratorINS9_10device_ptrIiEEEESE_SE_iNS9_4plusIiEE19head_flag_predicateiEE10hipError_tPvRmT2_T3_T4_T5_mT6_T7_P12ihipStream_tbENKUlT_T0_E_clISt17integral_constantIbLb1EESX_IbLb0EEEEDaST_SU_EUlST_E_NS1_11comp_targetILNS1_3genE3ELNS1_11target_archE908ELNS1_3gpuE7ELNS1_3repE0EEENS1_30default_config_static_selectorELNS0_4arch9wavefront6targetE0EEEvT1_
	.globl	_ZN7rocprim17ROCPRIM_400000_NS6detail17trampoline_kernelINS0_14default_configENS1_27scan_by_key_config_selectorIiiEEZZNS1_16scan_by_key_implILNS1_25lookback_scan_determinismE0ELb1ES3_N6thrust23THRUST_200600_302600_NS6detail15normal_iteratorINS9_10device_ptrIiEEEESE_SE_iNS9_4plusIiEE19head_flag_predicateiEE10hipError_tPvRmT2_T3_T4_T5_mT6_T7_P12ihipStream_tbENKUlT_T0_E_clISt17integral_constantIbLb1EESX_IbLb0EEEEDaST_SU_EUlST_E_NS1_11comp_targetILNS1_3genE3ELNS1_11target_archE908ELNS1_3gpuE7ELNS1_3repE0EEENS1_30default_config_static_selectorELNS0_4arch9wavefront6targetE0EEEvT1_
	.p2align	8
	.type	_ZN7rocprim17ROCPRIM_400000_NS6detail17trampoline_kernelINS0_14default_configENS1_27scan_by_key_config_selectorIiiEEZZNS1_16scan_by_key_implILNS1_25lookback_scan_determinismE0ELb1ES3_N6thrust23THRUST_200600_302600_NS6detail15normal_iteratorINS9_10device_ptrIiEEEESE_SE_iNS9_4plusIiEE19head_flag_predicateiEE10hipError_tPvRmT2_T3_T4_T5_mT6_T7_P12ihipStream_tbENKUlT_T0_E_clISt17integral_constantIbLb1EESX_IbLb0EEEEDaST_SU_EUlST_E_NS1_11comp_targetILNS1_3genE3ELNS1_11target_archE908ELNS1_3gpuE7ELNS1_3repE0EEENS1_30default_config_static_selectorELNS0_4arch9wavefront6targetE0EEEvT1_,@function
_ZN7rocprim17ROCPRIM_400000_NS6detail17trampoline_kernelINS0_14default_configENS1_27scan_by_key_config_selectorIiiEEZZNS1_16scan_by_key_implILNS1_25lookback_scan_determinismE0ELb1ES3_N6thrust23THRUST_200600_302600_NS6detail15normal_iteratorINS9_10device_ptrIiEEEESE_SE_iNS9_4plusIiEE19head_flag_predicateiEE10hipError_tPvRmT2_T3_T4_T5_mT6_T7_P12ihipStream_tbENKUlT_T0_E_clISt17integral_constantIbLb1EESX_IbLb0EEEEDaST_SU_EUlST_E_NS1_11comp_targetILNS1_3genE3ELNS1_11target_archE908ELNS1_3gpuE7ELNS1_3repE0EEENS1_30default_config_static_selectorELNS0_4arch9wavefront6targetE0EEEvT1_: ; @_ZN7rocprim17ROCPRIM_400000_NS6detail17trampoline_kernelINS0_14default_configENS1_27scan_by_key_config_selectorIiiEEZZNS1_16scan_by_key_implILNS1_25lookback_scan_determinismE0ELb1ES3_N6thrust23THRUST_200600_302600_NS6detail15normal_iteratorINS9_10device_ptrIiEEEESE_SE_iNS9_4plusIiEE19head_flag_predicateiEE10hipError_tPvRmT2_T3_T4_T5_mT6_T7_P12ihipStream_tbENKUlT_T0_E_clISt17integral_constantIbLb1EESX_IbLb0EEEEDaST_SU_EUlST_E_NS1_11comp_targetILNS1_3genE3ELNS1_11target_archE908ELNS1_3gpuE7ELNS1_3repE0EEENS1_30default_config_static_selectorELNS0_4arch9wavefront6targetE0EEEvT1_
; %bb.0:
	.section	.rodata,"a",@progbits
	.p2align	6, 0x0
	.amdhsa_kernel _ZN7rocprim17ROCPRIM_400000_NS6detail17trampoline_kernelINS0_14default_configENS1_27scan_by_key_config_selectorIiiEEZZNS1_16scan_by_key_implILNS1_25lookback_scan_determinismE0ELb1ES3_N6thrust23THRUST_200600_302600_NS6detail15normal_iteratorINS9_10device_ptrIiEEEESE_SE_iNS9_4plusIiEE19head_flag_predicateiEE10hipError_tPvRmT2_T3_T4_T5_mT6_T7_P12ihipStream_tbENKUlT_T0_E_clISt17integral_constantIbLb1EESX_IbLb0EEEEDaST_SU_EUlST_E_NS1_11comp_targetILNS1_3genE3ELNS1_11target_archE908ELNS1_3gpuE7ELNS1_3repE0EEENS1_30default_config_static_selectorELNS0_4arch9wavefront6targetE0EEEvT1_
		.amdhsa_group_segment_fixed_size 0
		.amdhsa_private_segment_fixed_size 0
		.amdhsa_kernarg_size 112
		.amdhsa_user_sgpr_count 2
		.amdhsa_user_sgpr_dispatch_ptr 0
		.amdhsa_user_sgpr_queue_ptr 0
		.amdhsa_user_sgpr_kernarg_segment_ptr 1
		.amdhsa_user_sgpr_dispatch_id 0
		.amdhsa_user_sgpr_kernarg_preload_length 0
		.amdhsa_user_sgpr_kernarg_preload_offset 0
		.amdhsa_user_sgpr_private_segment_size 0
		.amdhsa_wavefront_size32 1
		.amdhsa_uses_dynamic_stack 0
		.amdhsa_enable_private_segment 0
		.amdhsa_system_sgpr_workgroup_id_x 1
		.amdhsa_system_sgpr_workgroup_id_y 0
		.amdhsa_system_sgpr_workgroup_id_z 0
		.amdhsa_system_sgpr_workgroup_info 0
		.amdhsa_system_vgpr_workitem_id 0
		.amdhsa_next_free_vgpr 1
		.amdhsa_next_free_sgpr 1
		.amdhsa_named_barrier_count 0
		.amdhsa_reserve_vcc 0
		.amdhsa_float_round_mode_32 0
		.amdhsa_float_round_mode_16_64 0
		.amdhsa_float_denorm_mode_32 3
		.amdhsa_float_denorm_mode_16_64 3
		.amdhsa_fp16_overflow 0
		.amdhsa_memory_ordered 1
		.amdhsa_forward_progress 1
		.amdhsa_inst_pref_size 0
		.amdhsa_round_robin_scheduling 0
		.amdhsa_exception_fp_ieee_invalid_op 0
		.amdhsa_exception_fp_denorm_src 0
		.amdhsa_exception_fp_ieee_div_zero 0
		.amdhsa_exception_fp_ieee_overflow 0
		.amdhsa_exception_fp_ieee_underflow 0
		.amdhsa_exception_fp_ieee_inexact 0
		.amdhsa_exception_int_div_zero 0
	.end_amdhsa_kernel
	.section	.text._ZN7rocprim17ROCPRIM_400000_NS6detail17trampoline_kernelINS0_14default_configENS1_27scan_by_key_config_selectorIiiEEZZNS1_16scan_by_key_implILNS1_25lookback_scan_determinismE0ELb1ES3_N6thrust23THRUST_200600_302600_NS6detail15normal_iteratorINS9_10device_ptrIiEEEESE_SE_iNS9_4plusIiEE19head_flag_predicateiEE10hipError_tPvRmT2_T3_T4_T5_mT6_T7_P12ihipStream_tbENKUlT_T0_E_clISt17integral_constantIbLb1EESX_IbLb0EEEEDaST_SU_EUlST_E_NS1_11comp_targetILNS1_3genE3ELNS1_11target_archE908ELNS1_3gpuE7ELNS1_3repE0EEENS1_30default_config_static_selectorELNS0_4arch9wavefront6targetE0EEEvT1_,"axG",@progbits,_ZN7rocprim17ROCPRIM_400000_NS6detail17trampoline_kernelINS0_14default_configENS1_27scan_by_key_config_selectorIiiEEZZNS1_16scan_by_key_implILNS1_25lookback_scan_determinismE0ELb1ES3_N6thrust23THRUST_200600_302600_NS6detail15normal_iteratorINS9_10device_ptrIiEEEESE_SE_iNS9_4plusIiEE19head_flag_predicateiEE10hipError_tPvRmT2_T3_T4_T5_mT6_T7_P12ihipStream_tbENKUlT_T0_E_clISt17integral_constantIbLb1EESX_IbLb0EEEEDaST_SU_EUlST_E_NS1_11comp_targetILNS1_3genE3ELNS1_11target_archE908ELNS1_3gpuE7ELNS1_3repE0EEENS1_30default_config_static_selectorELNS0_4arch9wavefront6targetE0EEEvT1_,comdat
.Lfunc_end807:
	.size	_ZN7rocprim17ROCPRIM_400000_NS6detail17trampoline_kernelINS0_14default_configENS1_27scan_by_key_config_selectorIiiEEZZNS1_16scan_by_key_implILNS1_25lookback_scan_determinismE0ELb1ES3_N6thrust23THRUST_200600_302600_NS6detail15normal_iteratorINS9_10device_ptrIiEEEESE_SE_iNS9_4plusIiEE19head_flag_predicateiEE10hipError_tPvRmT2_T3_T4_T5_mT6_T7_P12ihipStream_tbENKUlT_T0_E_clISt17integral_constantIbLb1EESX_IbLb0EEEEDaST_SU_EUlST_E_NS1_11comp_targetILNS1_3genE3ELNS1_11target_archE908ELNS1_3gpuE7ELNS1_3repE0EEENS1_30default_config_static_selectorELNS0_4arch9wavefront6targetE0EEEvT1_, .Lfunc_end807-_ZN7rocprim17ROCPRIM_400000_NS6detail17trampoline_kernelINS0_14default_configENS1_27scan_by_key_config_selectorIiiEEZZNS1_16scan_by_key_implILNS1_25lookback_scan_determinismE0ELb1ES3_N6thrust23THRUST_200600_302600_NS6detail15normal_iteratorINS9_10device_ptrIiEEEESE_SE_iNS9_4plusIiEE19head_flag_predicateiEE10hipError_tPvRmT2_T3_T4_T5_mT6_T7_P12ihipStream_tbENKUlT_T0_E_clISt17integral_constantIbLb1EESX_IbLb0EEEEDaST_SU_EUlST_E_NS1_11comp_targetILNS1_3genE3ELNS1_11target_archE908ELNS1_3gpuE7ELNS1_3repE0EEENS1_30default_config_static_selectorELNS0_4arch9wavefront6targetE0EEEvT1_
                                        ; -- End function
	.set _ZN7rocprim17ROCPRIM_400000_NS6detail17trampoline_kernelINS0_14default_configENS1_27scan_by_key_config_selectorIiiEEZZNS1_16scan_by_key_implILNS1_25lookback_scan_determinismE0ELb1ES3_N6thrust23THRUST_200600_302600_NS6detail15normal_iteratorINS9_10device_ptrIiEEEESE_SE_iNS9_4plusIiEE19head_flag_predicateiEE10hipError_tPvRmT2_T3_T4_T5_mT6_T7_P12ihipStream_tbENKUlT_T0_E_clISt17integral_constantIbLb1EESX_IbLb0EEEEDaST_SU_EUlST_E_NS1_11comp_targetILNS1_3genE3ELNS1_11target_archE908ELNS1_3gpuE7ELNS1_3repE0EEENS1_30default_config_static_selectorELNS0_4arch9wavefront6targetE0EEEvT1_.num_vgpr, 0
	.set _ZN7rocprim17ROCPRIM_400000_NS6detail17trampoline_kernelINS0_14default_configENS1_27scan_by_key_config_selectorIiiEEZZNS1_16scan_by_key_implILNS1_25lookback_scan_determinismE0ELb1ES3_N6thrust23THRUST_200600_302600_NS6detail15normal_iteratorINS9_10device_ptrIiEEEESE_SE_iNS9_4plusIiEE19head_flag_predicateiEE10hipError_tPvRmT2_T3_T4_T5_mT6_T7_P12ihipStream_tbENKUlT_T0_E_clISt17integral_constantIbLb1EESX_IbLb0EEEEDaST_SU_EUlST_E_NS1_11comp_targetILNS1_3genE3ELNS1_11target_archE908ELNS1_3gpuE7ELNS1_3repE0EEENS1_30default_config_static_selectorELNS0_4arch9wavefront6targetE0EEEvT1_.num_agpr, 0
	.set _ZN7rocprim17ROCPRIM_400000_NS6detail17trampoline_kernelINS0_14default_configENS1_27scan_by_key_config_selectorIiiEEZZNS1_16scan_by_key_implILNS1_25lookback_scan_determinismE0ELb1ES3_N6thrust23THRUST_200600_302600_NS6detail15normal_iteratorINS9_10device_ptrIiEEEESE_SE_iNS9_4plusIiEE19head_flag_predicateiEE10hipError_tPvRmT2_T3_T4_T5_mT6_T7_P12ihipStream_tbENKUlT_T0_E_clISt17integral_constantIbLb1EESX_IbLb0EEEEDaST_SU_EUlST_E_NS1_11comp_targetILNS1_3genE3ELNS1_11target_archE908ELNS1_3gpuE7ELNS1_3repE0EEENS1_30default_config_static_selectorELNS0_4arch9wavefront6targetE0EEEvT1_.numbered_sgpr, 0
	.set _ZN7rocprim17ROCPRIM_400000_NS6detail17trampoline_kernelINS0_14default_configENS1_27scan_by_key_config_selectorIiiEEZZNS1_16scan_by_key_implILNS1_25lookback_scan_determinismE0ELb1ES3_N6thrust23THRUST_200600_302600_NS6detail15normal_iteratorINS9_10device_ptrIiEEEESE_SE_iNS9_4plusIiEE19head_flag_predicateiEE10hipError_tPvRmT2_T3_T4_T5_mT6_T7_P12ihipStream_tbENKUlT_T0_E_clISt17integral_constantIbLb1EESX_IbLb0EEEEDaST_SU_EUlST_E_NS1_11comp_targetILNS1_3genE3ELNS1_11target_archE908ELNS1_3gpuE7ELNS1_3repE0EEENS1_30default_config_static_selectorELNS0_4arch9wavefront6targetE0EEEvT1_.num_named_barrier, 0
	.set _ZN7rocprim17ROCPRIM_400000_NS6detail17trampoline_kernelINS0_14default_configENS1_27scan_by_key_config_selectorIiiEEZZNS1_16scan_by_key_implILNS1_25lookback_scan_determinismE0ELb1ES3_N6thrust23THRUST_200600_302600_NS6detail15normal_iteratorINS9_10device_ptrIiEEEESE_SE_iNS9_4plusIiEE19head_flag_predicateiEE10hipError_tPvRmT2_T3_T4_T5_mT6_T7_P12ihipStream_tbENKUlT_T0_E_clISt17integral_constantIbLb1EESX_IbLb0EEEEDaST_SU_EUlST_E_NS1_11comp_targetILNS1_3genE3ELNS1_11target_archE908ELNS1_3gpuE7ELNS1_3repE0EEENS1_30default_config_static_selectorELNS0_4arch9wavefront6targetE0EEEvT1_.private_seg_size, 0
	.set _ZN7rocprim17ROCPRIM_400000_NS6detail17trampoline_kernelINS0_14default_configENS1_27scan_by_key_config_selectorIiiEEZZNS1_16scan_by_key_implILNS1_25lookback_scan_determinismE0ELb1ES3_N6thrust23THRUST_200600_302600_NS6detail15normal_iteratorINS9_10device_ptrIiEEEESE_SE_iNS9_4plusIiEE19head_flag_predicateiEE10hipError_tPvRmT2_T3_T4_T5_mT6_T7_P12ihipStream_tbENKUlT_T0_E_clISt17integral_constantIbLb1EESX_IbLb0EEEEDaST_SU_EUlST_E_NS1_11comp_targetILNS1_3genE3ELNS1_11target_archE908ELNS1_3gpuE7ELNS1_3repE0EEENS1_30default_config_static_selectorELNS0_4arch9wavefront6targetE0EEEvT1_.uses_vcc, 0
	.set _ZN7rocprim17ROCPRIM_400000_NS6detail17trampoline_kernelINS0_14default_configENS1_27scan_by_key_config_selectorIiiEEZZNS1_16scan_by_key_implILNS1_25lookback_scan_determinismE0ELb1ES3_N6thrust23THRUST_200600_302600_NS6detail15normal_iteratorINS9_10device_ptrIiEEEESE_SE_iNS9_4plusIiEE19head_flag_predicateiEE10hipError_tPvRmT2_T3_T4_T5_mT6_T7_P12ihipStream_tbENKUlT_T0_E_clISt17integral_constantIbLb1EESX_IbLb0EEEEDaST_SU_EUlST_E_NS1_11comp_targetILNS1_3genE3ELNS1_11target_archE908ELNS1_3gpuE7ELNS1_3repE0EEENS1_30default_config_static_selectorELNS0_4arch9wavefront6targetE0EEEvT1_.uses_flat_scratch, 0
	.set _ZN7rocprim17ROCPRIM_400000_NS6detail17trampoline_kernelINS0_14default_configENS1_27scan_by_key_config_selectorIiiEEZZNS1_16scan_by_key_implILNS1_25lookback_scan_determinismE0ELb1ES3_N6thrust23THRUST_200600_302600_NS6detail15normal_iteratorINS9_10device_ptrIiEEEESE_SE_iNS9_4plusIiEE19head_flag_predicateiEE10hipError_tPvRmT2_T3_T4_T5_mT6_T7_P12ihipStream_tbENKUlT_T0_E_clISt17integral_constantIbLb1EESX_IbLb0EEEEDaST_SU_EUlST_E_NS1_11comp_targetILNS1_3genE3ELNS1_11target_archE908ELNS1_3gpuE7ELNS1_3repE0EEENS1_30default_config_static_selectorELNS0_4arch9wavefront6targetE0EEEvT1_.has_dyn_sized_stack, 0
	.set _ZN7rocprim17ROCPRIM_400000_NS6detail17trampoline_kernelINS0_14default_configENS1_27scan_by_key_config_selectorIiiEEZZNS1_16scan_by_key_implILNS1_25lookback_scan_determinismE0ELb1ES3_N6thrust23THRUST_200600_302600_NS6detail15normal_iteratorINS9_10device_ptrIiEEEESE_SE_iNS9_4plusIiEE19head_flag_predicateiEE10hipError_tPvRmT2_T3_T4_T5_mT6_T7_P12ihipStream_tbENKUlT_T0_E_clISt17integral_constantIbLb1EESX_IbLb0EEEEDaST_SU_EUlST_E_NS1_11comp_targetILNS1_3genE3ELNS1_11target_archE908ELNS1_3gpuE7ELNS1_3repE0EEENS1_30default_config_static_selectorELNS0_4arch9wavefront6targetE0EEEvT1_.has_recursion, 0
	.set _ZN7rocprim17ROCPRIM_400000_NS6detail17trampoline_kernelINS0_14default_configENS1_27scan_by_key_config_selectorIiiEEZZNS1_16scan_by_key_implILNS1_25lookback_scan_determinismE0ELb1ES3_N6thrust23THRUST_200600_302600_NS6detail15normal_iteratorINS9_10device_ptrIiEEEESE_SE_iNS9_4plusIiEE19head_flag_predicateiEE10hipError_tPvRmT2_T3_T4_T5_mT6_T7_P12ihipStream_tbENKUlT_T0_E_clISt17integral_constantIbLb1EESX_IbLb0EEEEDaST_SU_EUlST_E_NS1_11comp_targetILNS1_3genE3ELNS1_11target_archE908ELNS1_3gpuE7ELNS1_3repE0EEENS1_30default_config_static_selectorELNS0_4arch9wavefront6targetE0EEEvT1_.has_indirect_call, 0
	.section	.AMDGPU.csdata,"",@progbits
; Kernel info:
; codeLenInByte = 0
; TotalNumSgprs: 0
; NumVgprs: 0
; ScratchSize: 0
; MemoryBound: 0
; FloatMode: 240
; IeeeMode: 1
; LDSByteSize: 0 bytes/workgroup (compile time only)
; SGPRBlocks: 0
; VGPRBlocks: 0
; NumSGPRsForWavesPerEU: 1
; NumVGPRsForWavesPerEU: 1
; NamedBarCnt: 0
; Occupancy: 16
; WaveLimiterHint : 0
; COMPUTE_PGM_RSRC2:SCRATCH_EN: 0
; COMPUTE_PGM_RSRC2:USER_SGPR: 2
; COMPUTE_PGM_RSRC2:TRAP_HANDLER: 0
; COMPUTE_PGM_RSRC2:TGID_X_EN: 1
; COMPUTE_PGM_RSRC2:TGID_Y_EN: 0
; COMPUTE_PGM_RSRC2:TGID_Z_EN: 0
; COMPUTE_PGM_RSRC2:TIDIG_COMP_CNT: 0
	.section	.text._ZN7rocprim17ROCPRIM_400000_NS6detail17trampoline_kernelINS0_14default_configENS1_27scan_by_key_config_selectorIiiEEZZNS1_16scan_by_key_implILNS1_25lookback_scan_determinismE0ELb1ES3_N6thrust23THRUST_200600_302600_NS6detail15normal_iteratorINS9_10device_ptrIiEEEESE_SE_iNS9_4plusIiEE19head_flag_predicateiEE10hipError_tPvRmT2_T3_T4_T5_mT6_T7_P12ihipStream_tbENKUlT_T0_E_clISt17integral_constantIbLb1EESX_IbLb0EEEEDaST_SU_EUlST_E_NS1_11comp_targetILNS1_3genE2ELNS1_11target_archE906ELNS1_3gpuE6ELNS1_3repE0EEENS1_30default_config_static_selectorELNS0_4arch9wavefront6targetE0EEEvT1_,"axG",@progbits,_ZN7rocprim17ROCPRIM_400000_NS6detail17trampoline_kernelINS0_14default_configENS1_27scan_by_key_config_selectorIiiEEZZNS1_16scan_by_key_implILNS1_25lookback_scan_determinismE0ELb1ES3_N6thrust23THRUST_200600_302600_NS6detail15normal_iteratorINS9_10device_ptrIiEEEESE_SE_iNS9_4plusIiEE19head_flag_predicateiEE10hipError_tPvRmT2_T3_T4_T5_mT6_T7_P12ihipStream_tbENKUlT_T0_E_clISt17integral_constantIbLb1EESX_IbLb0EEEEDaST_SU_EUlST_E_NS1_11comp_targetILNS1_3genE2ELNS1_11target_archE906ELNS1_3gpuE6ELNS1_3repE0EEENS1_30default_config_static_selectorELNS0_4arch9wavefront6targetE0EEEvT1_,comdat
	.protected	_ZN7rocprim17ROCPRIM_400000_NS6detail17trampoline_kernelINS0_14default_configENS1_27scan_by_key_config_selectorIiiEEZZNS1_16scan_by_key_implILNS1_25lookback_scan_determinismE0ELb1ES3_N6thrust23THRUST_200600_302600_NS6detail15normal_iteratorINS9_10device_ptrIiEEEESE_SE_iNS9_4plusIiEE19head_flag_predicateiEE10hipError_tPvRmT2_T3_T4_T5_mT6_T7_P12ihipStream_tbENKUlT_T0_E_clISt17integral_constantIbLb1EESX_IbLb0EEEEDaST_SU_EUlST_E_NS1_11comp_targetILNS1_3genE2ELNS1_11target_archE906ELNS1_3gpuE6ELNS1_3repE0EEENS1_30default_config_static_selectorELNS0_4arch9wavefront6targetE0EEEvT1_ ; -- Begin function _ZN7rocprim17ROCPRIM_400000_NS6detail17trampoline_kernelINS0_14default_configENS1_27scan_by_key_config_selectorIiiEEZZNS1_16scan_by_key_implILNS1_25lookback_scan_determinismE0ELb1ES3_N6thrust23THRUST_200600_302600_NS6detail15normal_iteratorINS9_10device_ptrIiEEEESE_SE_iNS9_4plusIiEE19head_flag_predicateiEE10hipError_tPvRmT2_T3_T4_T5_mT6_T7_P12ihipStream_tbENKUlT_T0_E_clISt17integral_constantIbLb1EESX_IbLb0EEEEDaST_SU_EUlST_E_NS1_11comp_targetILNS1_3genE2ELNS1_11target_archE906ELNS1_3gpuE6ELNS1_3repE0EEENS1_30default_config_static_selectorELNS0_4arch9wavefront6targetE0EEEvT1_
	.globl	_ZN7rocprim17ROCPRIM_400000_NS6detail17trampoline_kernelINS0_14default_configENS1_27scan_by_key_config_selectorIiiEEZZNS1_16scan_by_key_implILNS1_25lookback_scan_determinismE0ELb1ES3_N6thrust23THRUST_200600_302600_NS6detail15normal_iteratorINS9_10device_ptrIiEEEESE_SE_iNS9_4plusIiEE19head_flag_predicateiEE10hipError_tPvRmT2_T3_T4_T5_mT6_T7_P12ihipStream_tbENKUlT_T0_E_clISt17integral_constantIbLb1EESX_IbLb0EEEEDaST_SU_EUlST_E_NS1_11comp_targetILNS1_3genE2ELNS1_11target_archE906ELNS1_3gpuE6ELNS1_3repE0EEENS1_30default_config_static_selectorELNS0_4arch9wavefront6targetE0EEEvT1_
	.p2align	8
	.type	_ZN7rocprim17ROCPRIM_400000_NS6detail17trampoline_kernelINS0_14default_configENS1_27scan_by_key_config_selectorIiiEEZZNS1_16scan_by_key_implILNS1_25lookback_scan_determinismE0ELb1ES3_N6thrust23THRUST_200600_302600_NS6detail15normal_iteratorINS9_10device_ptrIiEEEESE_SE_iNS9_4plusIiEE19head_flag_predicateiEE10hipError_tPvRmT2_T3_T4_T5_mT6_T7_P12ihipStream_tbENKUlT_T0_E_clISt17integral_constantIbLb1EESX_IbLb0EEEEDaST_SU_EUlST_E_NS1_11comp_targetILNS1_3genE2ELNS1_11target_archE906ELNS1_3gpuE6ELNS1_3repE0EEENS1_30default_config_static_selectorELNS0_4arch9wavefront6targetE0EEEvT1_,@function
_ZN7rocprim17ROCPRIM_400000_NS6detail17trampoline_kernelINS0_14default_configENS1_27scan_by_key_config_selectorIiiEEZZNS1_16scan_by_key_implILNS1_25lookback_scan_determinismE0ELb1ES3_N6thrust23THRUST_200600_302600_NS6detail15normal_iteratorINS9_10device_ptrIiEEEESE_SE_iNS9_4plusIiEE19head_flag_predicateiEE10hipError_tPvRmT2_T3_T4_T5_mT6_T7_P12ihipStream_tbENKUlT_T0_E_clISt17integral_constantIbLb1EESX_IbLb0EEEEDaST_SU_EUlST_E_NS1_11comp_targetILNS1_3genE2ELNS1_11target_archE906ELNS1_3gpuE6ELNS1_3repE0EEENS1_30default_config_static_selectorELNS0_4arch9wavefront6targetE0EEEvT1_: ; @_ZN7rocprim17ROCPRIM_400000_NS6detail17trampoline_kernelINS0_14default_configENS1_27scan_by_key_config_selectorIiiEEZZNS1_16scan_by_key_implILNS1_25lookback_scan_determinismE0ELb1ES3_N6thrust23THRUST_200600_302600_NS6detail15normal_iteratorINS9_10device_ptrIiEEEESE_SE_iNS9_4plusIiEE19head_flag_predicateiEE10hipError_tPvRmT2_T3_T4_T5_mT6_T7_P12ihipStream_tbENKUlT_T0_E_clISt17integral_constantIbLb1EESX_IbLb0EEEEDaST_SU_EUlST_E_NS1_11comp_targetILNS1_3genE2ELNS1_11target_archE906ELNS1_3gpuE6ELNS1_3repE0EEENS1_30default_config_static_selectorELNS0_4arch9wavefront6targetE0EEEvT1_
; %bb.0:
	.section	.rodata,"a",@progbits
	.p2align	6, 0x0
	.amdhsa_kernel _ZN7rocprim17ROCPRIM_400000_NS6detail17trampoline_kernelINS0_14default_configENS1_27scan_by_key_config_selectorIiiEEZZNS1_16scan_by_key_implILNS1_25lookback_scan_determinismE0ELb1ES3_N6thrust23THRUST_200600_302600_NS6detail15normal_iteratorINS9_10device_ptrIiEEEESE_SE_iNS9_4plusIiEE19head_flag_predicateiEE10hipError_tPvRmT2_T3_T4_T5_mT6_T7_P12ihipStream_tbENKUlT_T0_E_clISt17integral_constantIbLb1EESX_IbLb0EEEEDaST_SU_EUlST_E_NS1_11comp_targetILNS1_3genE2ELNS1_11target_archE906ELNS1_3gpuE6ELNS1_3repE0EEENS1_30default_config_static_selectorELNS0_4arch9wavefront6targetE0EEEvT1_
		.amdhsa_group_segment_fixed_size 0
		.amdhsa_private_segment_fixed_size 0
		.amdhsa_kernarg_size 112
		.amdhsa_user_sgpr_count 2
		.amdhsa_user_sgpr_dispatch_ptr 0
		.amdhsa_user_sgpr_queue_ptr 0
		.amdhsa_user_sgpr_kernarg_segment_ptr 1
		.amdhsa_user_sgpr_dispatch_id 0
		.amdhsa_user_sgpr_kernarg_preload_length 0
		.amdhsa_user_sgpr_kernarg_preload_offset 0
		.amdhsa_user_sgpr_private_segment_size 0
		.amdhsa_wavefront_size32 1
		.amdhsa_uses_dynamic_stack 0
		.amdhsa_enable_private_segment 0
		.amdhsa_system_sgpr_workgroup_id_x 1
		.amdhsa_system_sgpr_workgroup_id_y 0
		.amdhsa_system_sgpr_workgroup_id_z 0
		.amdhsa_system_sgpr_workgroup_info 0
		.amdhsa_system_vgpr_workitem_id 0
		.amdhsa_next_free_vgpr 1
		.amdhsa_next_free_sgpr 1
		.amdhsa_named_barrier_count 0
		.amdhsa_reserve_vcc 0
		.amdhsa_float_round_mode_32 0
		.amdhsa_float_round_mode_16_64 0
		.amdhsa_float_denorm_mode_32 3
		.amdhsa_float_denorm_mode_16_64 3
		.amdhsa_fp16_overflow 0
		.amdhsa_memory_ordered 1
		.amdhsa_forward_progress 1
		.amdhsa_inst_pref_size 0
		.amdhsa_round_robin_scheduling 0
		.amdhsa_exception_fp_ieee_invalid_op 0
		.amdhsa_exception_fp_denorm_src 0
		.amdhsa_exception_fp_ieee_div_zero 0
		.amdhsa_exception_fp_ieee_overflow 0
		.amdhsa_exception_fp_ieee_underflow 0
		.amdhsa_exception_fp_ieee_inexact 0
		.amdhsa_exception_int_div_zero 0
	.end_amdhsa_kernel
	.section	.text._ZN7rocprim17ROCPRIM_400000_NS6detail17trampoline_kernelINS0_14default_configENS1_27scan_by_key_config_selectorIiiEEZZNS1_16scan_by_key_implILNS1_25lookback_scan_determinismE0ELb1ES3_N6thrust23THRUST_200600_302600_NS6detail15normal_iteratorINS9_10device_ptrIiEEEESE_SE_iNS9_4plusIiEE19head_flag_predicateiEE10hipError_tPvRmT2_T3_T4_T5_mT6_T7_P12ihipStream_tbENKUlT_T0_E_clISt17integral_constantIbLb1EESX_IbLb0EEEEDaST_SU_EUlST_E_NS1_11comp_targetILNS1_3genE2ELNS1_11target_archE906ELNS1_3gpuE6ELNS1_3repE0EEENS1_30default_config_static_selectorELNS0_4arch9wavefront6targetE0EEEvT1_,"axG",@progbits,_ZN7rocprim17ROCPRIM_400000_NS6detail17trampoline_kernelINS0_14default_configENS1_27scan_by_key_config_selectorIiiEEZZNS1_16scan_by_key_implILNS1_25lookback_scan_determinismE0ELb1ES3_N6thrust23THRUST_200600_302600_NS6detail15normal_iteratorINS9_10device_ptrIiEEEESE_SE_iNS9_4plusIiEE19head_flag_predicateiEE10hipError_tPvRmT2_T3_T4_T5_mT6_T7_P12ihipStream_tbENKUlT_T0_E_clISt17integral_constantIbLb1EESX_IbLb0EEEEDaST_SU_EUlST_E_NS1_11comp_targetILNS1_3genE2ELNS1_11target_archE906ELNS1_3gpuE6ELNS1_3repE0EEENS1_30default_config_static_selectorELNS0_4arch9wavefront6targetE0EEEvT1_,comdat
.Lfunc_end808:
	.size	_ZN7rocprim17ROCPRIM_400000_NS6detail17trampoline_kernelINS0_14default_configENS1_27scan_by_key_config_selectorIiiEEZZNS1_16scan_by_key_implILNS1_25lookback_scan_determinismE0ELb1ES3_N6thrust23THRUST_200600_302600_NS6detail15normal_iteratorINS9_10device_ptrIiEEEESE_SE_iNS9_4plusIiEE19head_flag_predicateiEE10hipError_tPvRmT2_T3_T4_T5_mT6_T7_P12ihipStream_tbENKUlT_T0_E_clISt17integral_constantIbLb1EESX_IbLb0EEEEDaST_SU_EUlST_E_NS1_11comp_targetILNS1_3genE2ELNS1_11target_archE906ELNS1_3gpuE6ELNS1_3repE0EEENS1_30default_config_static_selectorELNS0_4arch9wavefront6targetE0EEEvT1_, .Lfunc_end808-_ZN7rocprim17ROCPRIM_400000_NS6detail17trampoline_kernelINS0_14default_configENS1_27scan_by_key_config_selectorIiiEEZZNS1_16scan_by_key_implILNS1_25lookback_scan_determinismE0ELb1ES3_N6thrust23THRUST_200600_302600_NS6detail15normal_iteratorINS9_10device_ptrIiEEEESE_SE_iNS9_4plusIiEE19head_flag_predicateiEE10hipError_tPvRmT2_T3_T4_T5_mT6_T7_P12ihipStream_tbENKUlT_T0_E_clISt17integral_constantIbLb1EESX_IbLb0EEEEDaST_SU_EUlST_E_NS1_11comp_targetILNS1_3genE2ELNS1_11target_archE906ELNS1_3gpuE6ELNS1_3repE0EEENS1_30default_config_static_selectorELNS0_4arch9wavefront6targetE0EEEvT1_
                                        ; -- End function
	.set _ZN7rocprim17ROCPRIM_400000_NS6detail17trampoline_kernelINS0_14default_configENS1_27scan_by_key_config_selectorIiiEEZZNS1_16scan_by_key_implILNS1_25lookback_scan_determinismE0ELb1ES3_N6thrust23THRUST_200600_302600_NS6detail15normal_iteratorINS9_10device_ptrIiEEEESE_SE_iNS9_4plusIiEE19head_flag_predicateiEE10hipError_tPvRmT2_T3_T4_T5_mT6_T7_P12ihipStream_tbENKUlT_T0_E_clISt17integral_constantIbLb1EESX_IbLb0EEEEDaST_SU_EUlST_E_NS1_11comp_targetILNS1_3genE2ELNS1_11target_archE906ELNS1_3gpuE6ELNS1_3repE0EEENS1_30default_config_static_selectorELNS0_4arch9wavefront6targetE0EEEvT1_.num_vgpr, 0
	.set _ZN7rocprim17ROCPRIM_400000_NS6detail17trampoline_kernelINS0_14default_configENS1_27scan_by_key_config_selectorIiiEEZZNS1_16scan_by_key_implILNS1_25lookback_scan_determinismE0ELb1ES3_N6thrust23THRUST_200600_302600_NS6detail15normal_iteratorINS9_10device_ptrIiEEEESE_SE_iNS9_4plusIiEE19head_flag_predicateiEE10hipError_tPvRmT2_T3_T4_T5_mT6_T7_P12ihipStream_tbENKUlT_T0_E_clISt17integral_constantIbLb1EESX_IbLb0EEEEDaST_SU_EUlST_E_NS1_11comp_targetILNS1_3genE2ELNS1_11target_archE906ELNS1_3gpuE6ELNS1_3repE0EEENS1_30default_config_static_selectorELNS0_4arch9wavefront6targetE0EEEvT1_.num_agpr, 0
	.set _ZN7rocprim17ROCPRIM_400000_NS6detail17trampoline_kernelINS0_14default_configENS1_27scan_by_key_config_selectorIiiEEZZNS1_16scan_by_key_implILNS1_25lookback_scan_determinismE0ELb1ES3_N6thrust23THRUST_200600_302600_NS6detail15normal_iteratorINS9_10device_ptrIiEEEESE_SE_iNS9_4plusIiEE19head_flag_predicateiEE10hipError_tPvRmT2_T3_T4_T5_mT6_T7_P12ihipStream_tbENKUlT_T0_E_clISt17integral_constantIbLb1EESX_IbLb0EEEEDaST_SU_EUlST_E_NS1_11comp_targetILNS1_3genE2ELNS1_11target_archE906ELNS1_3gpuE6ELNS1_3repE0EEENS1_30default_config_static_selectorELNS0_4arch9wavefront6targetE0EEEvT1_.numbered_sgpr, 0
	.set _ZN7rocprim17ROCPRIM_400000_NS6detail17trampoline_kernelINS0_14default_configENS1_27scan_by_key_config_selectorIiiEEZZNS1_16scan_by_key_implILNS1_25lookback_scan_determinismE0ELb1ES3_N6thrust23THRUST_200600_302600_NS6detail15normal_iteratorINS9_10device_ptrIiEEEESE_SE_iNS9_4plusIiEE19head_flag_predicateiEE10hipError_tPvRmT2_T3_T4_T5_mT6_T7_P12ihipStream_tbENKUlT_T0_E_clISt17integral_constantIbLb1EESX_IbLb0EEEEDaST_SU_EUlST_E_NS1_11comp_targetILNS1_3genE2ELNS1_11target_archE906ELNS1_3gpuE6ELNS1_3repE0EEENS1_30default_config_static_selectorELNS0_4arch9wavefront6targetE0EEEvT1_.num_named_barrier, 0
	.set _ZN7rocprim17ROCPRIM_400000_NS6detail17trampoline_kernelINS0_14default_configENS1_27scan_by_key_config_selectorIiiEEZZNS1_16scan_by_key_implILNS1_25lookback_scan_determinismE0ELb1ES3_N6thrust23THRUST_200600_302600_NS6detail15normal_iteratorINS9_10device_ptrIiEEEESE_SE_iNS9_4plusIiEE19head_flag_predicateiEE10hipError_tPvRmT2_T3_T4_T5_mT6_T7_P12ihipStream_tbENKUlT_T0_E_clISt17integral_constantIbLb1EESX_IbLb0EEEEDaST_SU_EUlST_E_NS1_11comp_targetILNS1_3genE2ELNS1_11target_archE906ELNS1_3gpuE6ELNS1_3repE0EEENS1_30default_config_static_selectorELNS0_4arch9wavefront6targetE0EEEvT1_.private_seg_size, 0
	.set _ZN7rocprim17ROCPRIM_400000_NS6detail17trampoline_kernelINS0_14default_configENS1_27scan_by_key_config_selectorIiiEEZZNS1_16scan_by_key_implILNS1_25lookback_scan_determinismE0ELb1ES3_N6thrust23THRUST_200600_302600_NS6detail15normal_iteratorINS9_10device_ptrIiEEEESE_SE_iNS9_4plusIiEE19head_flag_predicateiEE10hipError_tPvRmT2_T3_T4_T5_mT6_T7_P12ihipStream_tbENKUlT_T0_E_clISt17integral_constantIbLb1EESX_IbLb0EEEEDaST_SU_EUlST_E_NS1_11comp_targetILNS1_3genE2ELNS1_11target_archE906ELNS1_3gpuE6ELNS1_3repE0EEENS1_30default_config_static_selectorELNS0_4arch9wavefront6targetE0EEEvT1_.uses_vcc, 0
	.set _ZN7rocprim17ROCPRIM_400000_NS6detail17trampoline_kernelINS0_14default_configENS1_27scan_by_key_config_selectorIiiEEZZNS1_16scan_by_key_implILNS1_25lookback_scan_determinismE0ELb1ES3_N6thrust23THRUST_200600_302600_NS6detail15normal_iteratorINS9_10device_ptrIiEEEESE_SE_iNS9_4plusIiEE19head_flag_predicateiEE10hipError_tPvRmT2_T3_T4_T5_mT6_T7_P12ihipStream_tbENKUlT_T0_E_clISt17integral_constantIbLb1EESX_IbLb0EEEEDaST_SU_EUlST_E_NS1_11comp_targetILNS1_3genE2ELNS1_11target_archE906ELNS1_3gpuE6ELNS1_3repE0EEENS1_30default_config_static_selectorELNS0_4arch9wavefront6targetE0EEEvT1_.uses_flat_scratch, 0
	.set _ZN7rocprim17ROCPRIM_400000_NS6detail17trampoline_kernelINS0_14default_configENS1_27scan_by_key_config_selectorIiiEEZZNS1_16scan_by_key_implILNS1_25lookback_scan_determinismE0ELb1ES3_N6thrust23THRUST_200600_302600_NS6detail15normal_iteratorINS9_10device_ptrIiEEEESE_SE_iNS9_4plusIiEE19head_flag_predicateiEE10hipError_tPvRmT2_T3_T4_T5_mT6_T7_P12ihipStream_tbENKUlT_T0_E_clISt17integral_constantIbLb1EESX_IbLb0EEEEDaST_SU_EUlST_E_NS1_11comp_targetILNS1_3genE2ELNS1_11target_archE906ELNS1_3gpuE6ELNS1_3repE0EEENS1_30default_config_static_selectorELNS0_4arch9wavefront6targetE0EEEvT1_.has_dyn_sized_stack, 0
	.set _ZN7rocprim17ROCPRIM_400000_NS6detail17trampoline_kernelINS0_14default_configENS1_27scan_by_key_config_selectorIiiEEZZNS1_16scan_by_key_implILNS1_25lookback_scan_determinismE0ELb1ES3_N6thrust23THRUST_200600_302600_NS6detail15normal_iteratorINS9_10device_ptrIiEEEESE_SE_iNS9_4plusIiEE19head_flag_predicateiEE10hipError_tPvRmT2_T3_T4_T5_mT6_T7_P12ihipStream_tbENKUlT_T0_E_clISt17integral_constantIbLb1EESX_IbLb0EEEEDaST_SU_EUlST_E_NS1_11comp_targetILNS1_3genE2ELNS1_11target_archE906ELNS1_3gpuE6ELNS1_3repE0EEENS1_30default_config_static_selectorELNS0_4arch9wavefront6targetE0EEEvT1_.has_recursion, 0
	.set _ZN7rocprim17ROCPRIM_400000_NS6detail17trampoline_kernelINS0_14default_configENS1_27scan_by_key_config_selectorIiiEEZZNS1_16scan_by_key_implILNS1_25lookback_scan_determinismE0ELb1ES3_N6thrust23THRUST_200600_302600_NS6detail15normal_iteratorINS9_10device_ptrIiEEEESE_SE_iNS9_4plusIiEE19head_flag_predicateiEE10hipError_tPvRmT2_T3_T4_T5_mT6_T7_P12ihipStream_tbENKUlT_T0_E_clISt17integral_constantIbLb1EESX_IbLb0EEEEDaST_SU_EUlST_E_NS1_11comp_targetILNS1_3genE2ELNS1_11target_archE906ELNS1_3gpuE6ELNS1_3repE0EEENS1_30default_config_static_selectorELNS0_4arch9wavefront6targetE0EEEvT1_.has_indirect_call, 0
	.section	.AMDGPU.csdata,"",@progbits
; Kernel info:
; codeLenInByte = 0
; TotalNumSgprs: 0
; NumVgprs: 0
; ScratchSize: 0
; MemoryBound: 0
; FloatMode: 240
; IeeeMode: 1
; LDSByteSize: 0 bytes/workgroup (compile time only)
; SGPRBlocks: 0
; VGPRBlocks: 0
; NumSGPRsForWavesPerEU: 1
; NumVGPRsForWavesPerEU: 1
; NamedBarCnt: 0
; Occupancy: 16
; WaveLimiterHint : 0
; COMPUTE_PGM_RSRC2:SCRATCH_EN: 0
; COMPUTE_PGM_RSRC2:USER_SGPR: 2
; COMPUTE_PGM_RSRC2:TRAP_HANDLER: 0
; COMPUTE_PGM_RSRC2:TGID_X_EN: 1
; COMPUTE_PGM_RSRC2:TGID_Y_EN: 0
; COMPUTE_PGM_RSRC2:TGID_Z_EN: 0
; COMPUTE_PGM_RSRC2:TIDIG_COMP_CNT: 0
	.section	.text._ZN7rocprim17ROCPRIM_400000_NS6detail17trampoline_kernelINS0_14default_configENS1_27scan_by_key_config_selectorIiiEEZZNS1_16scan_by_key_implILNS1_25lookback_scan_determinismE0ELb1ES3_N6thrust23THRUST_200600_302600_NS6detail15normal_iteratorINS9_10device_ptrIiEEEESE_SE_iNS9_4plusIiEE19head_flag_predicateiEE10hipError_tPvRmT2_T3_T4_T5_mT6_T7_P12ihipStream_tbENKUlT_T0_E_clISt17integral_constantIbLb1EESX_IbLb0EEEEDaST_SU_EUlST_E_NS1_11comp_targetILNS1_3genE10ELNS1_11target_archE1200ELNS1_3gpuE4ELNS1_3repE0EEENS1_30default_config_static_selectorELNS0_4arch9wavefront6targetE0EEEvT1_,"axG",@progbits,_ZN7rocprim17ROCPRIM_400000_NS6detail17trampoline_kernelINS0_14default_configENS1_27scan_by_key_config_selectorIiiEEZZNS1_16scan_by_key_implILNS1_25lookback_scan_determinismE0ELb1ES3_N6thrust23THRUST_200600_302600_NS6detail15normal_iteratorINS9_10device_ptrIiEEEESE_SE_iNS9_4plusIiEE19head_flag_predicateiEE10hipError_tPvRmT2_T3_T4_T5_mT6_T7_P12ihipStream_tbENKUlT_T0_E_clISt17integral_constantIbLb1EESX_IbLb0EEEEDaST_SU_EUlST_E_NS1_11comp_targetILNS1_3genE10ELNS1_11target_archE1200ELNS1_3gpuE4ELNS1_3repE0EEENS1_30default_config_static_selectorELNS0_4arch9wavefront6targetE0EEEvT1_,comdat
	.protected	_ZN7rocprim17ROCPRIM_400000_NS6detail17trampoline_kernelINS0_14default_configENS1_27scan_by_key_config_selectorIiiEEZZNS1_16scan_by_key_implILNS1_25lookback_scan_determinismE0ELb1ES3_N6thrust23THRUST_200600_302600_NS6detail15normal_iteratorINS9_10device_ptrIiEEEESE_SE_iNS9_4plusIiEE19head_flag_predicateiEE10hipError_tPvRmT2_T3_T4_T5_mT6_T7_P12ihipStream_tbENKUlT_T0_E_clISt17integral_constantIbLb1EESX_IbLb0EEEEDaST_SU_EUlST_E_NS1_11comp_targetILNS1_3genE10ELNS1_11target_archE1200ELNS1_3gpuE4ELNS1_3repE0EEENS1_30default_config_static_selectorELNS0_4arch9wavefront6targetE0EEEvT1_ ; -- Begin function _ZN7rocprim17ROCPRIM_400000_NS6detail17trampoline_kernelINS0_14default_configENS1_27scan_by_key_config_selectorIiiEEZZNS1_16scan_by_key_implILNS1_25lookback_scan_determinismE0ELb1ES3_N6thrust23THRUST_200600_302600_NS6detail15normal_iteratorINS9_10device_ptrIiEEEESE_SE_iNS9_4plusIiEE19head_flag_predicateiEE10hipError_tPvRmT2_T3_T4_T5_mT6_T7_P12ihipStream_tbENKUlT_T0_E_clISt17integral_constantIbLb1EESX_IbLb0EEEEDaST_SU_EUlST_E_NS1_11comp_targetILNS1_3genE10ELNS1_11target_archE1200ELNS1_3gpuE4ELNS1_3repE0EEENS1_30default_config_static_selectorELNS0_4arch9wavefront6targetE0EEEvT1_
	.globl	_ZN7rocprim17ROCPRIM_400000_NS6detail17trampoline_kernelINS0_14default_configENS1_27scan_by_key_config_selectorIiiEEZZNS1_16scan_by_key_implILNS1_25lookback_scan_determinismE0ELb1ES3_N6thrust23THRUST_200600_302600_NS6detail15normal_iteratorINS9_10device_ptrIiEEEESE_SE_iNS9_4plusIiEE19head_flag_predicateiEE10hipError_tPvRmT2_T3_T4_T5_mT6_T7_P12ihipStream_tbENKUlT_T0_E_clISt17integral_constantIbLb1EESX_IbLb0EEEEDaST_SU_EUlST_E_NS1_11comp_targetILNS1_3genE10ELNS1_11target_archE1200ELNS1_3gpuE4ELNS1_3repE0EEENS1_30default_config_static_selectorELNS0_4arch9wavefront6targetE0EEEvT1_
	.p2align	8
	.type	_ZN7rocprim17ROCPRIM_400000_NS6detail17trampoline_kernelINS0_14default_configENS1_27scan_by_key_config_selectorIiiEEZZNS1_16scan_by_key_implILNS1_25lookback_scan_determinismE0ELb1ES3_N6thrust23THRUST_200600_302600_NS6detail15normal_iteratorINS9_10device_ptrIiEEEESE_SE_iNS9_4plusIiEE19head_flag_predicateiEE10hipError_tPvRmT2_T3_T4_T5_mT6_T7_P12ihipStream_tbENKUlT_T0_E_clISt17integral_constantIbLb1EESX_IbLb0EEEEDaST_SU_EUlST_E_NS1_11comp_targetILNS1_3genE10ELNS1_11target_archE1200ELNS1_3gpuE4ELNS1_3repE0EEENS1_30default_config_static_selectorELNS0_4arch9wavefront6targetE0EEEvT1_,@function
_ZN7rocprim17ROCPRIM_400000_NS6detail17trampoline_kernelINS0_14default_configENS1_27scan_by_key_config_selectorIiiEEZZNS1_16scan_by_key_implILNS1_25lookback_scan_determinismE0ELb1ES3_N6thrust23THRUST_200600_302600_NS6detail15normal_iteratorINS9_10device_ptrIiEEEESE_SE_iNS9_4plusIiEE19head_flag_predicateiEE10hipError_tPvRmT2_T3_T4_T5_mT6_T7_P12ihipStream_tbENKUlT_T0_E_clISt17integral_constantIbLb1EESX_IbLb0EEEEDaST_SU_EUlST_E_NS1_11comp_targetILNS1_3genE10ELNS1_11target_archE1200ELNS1_3gpuE4ELNS1_3repE0EEENS1_30default_config_static_selectorELNS0_4arch9wavefront6targetE0EEEvT1_: ; @_ZN7rocprim17ROCPRIM_400000_NS6detail17trampoline_kernelINS0_14default_configENS1_27scan_by_key_config_selectorIiiEEZZNS1_16scan_by_key_implILNS1_25lookback_scan_determinismE0ELb1ES3_N6thrust23THRUST_200600_302600_NS6detail15normal_iteratorINS9_10device_ptrIiEEEESE_SE_iNS9_4plusIiEE19head_flag_predicateiEE10hipError_tPvRmT2_T3_T4_T5_mT6_T7_P12ihipStream_tbENKUlT_T0_E_clISt17integral_constantIbLb1EESX_IbLb0EEEEDaST_SU_EUlST_E_NS1_11comp_targetILNS1_3genE10ELNS1_11target_archE1200ELNS1_3gpuE4ELNS1_3repE0EEENS1_30default_config_static_selectorELNS0_4arch9wavefront6targetE0EEEvT1_
; %bb.0:
	.section	.rodata,"a",@progbits
	.p2align	6, 0x0
	.amdhsa_kernel _ZN7rocprim17ROCPRIM_400000_NS6detail17trampoline_kernelINS0_14default_configENS1_27scan_by_key_config_selectorIiiEEZZNS1_16scan_by_key_implILNS1_25lookback_scan_determinismE0ELb1ES3_N6thrust23THRUST_200600_302600_NS6detail15normal_iteratorINS9_10device_ptrIiEEEESE_SE_iNS9_4plusIiEE19head_flag_predicateiEE10hipError_tPvRmT2_T3_T4_T5_mT6_T7_P12ihipStream_tbENKUlT_T0_E_clISt17integral_constantIbLb1EESX_IbLb0EEEEDaST_SU_EUlST_E_NS1_11comp_targetILNS1_3genE10ELNS1_11target_archE1200ELNS1_3gpuE4ELNS1_3repE0EEENS1_30default_config_static_selectorELNS0_4arch9wavefront6targetE0EEEvT1_
		.amdhsa_group_segment_fixed_size 0
		.amdhsa_private_segment_fixed_size 0
		.amdhsa_kernarg_size 112
		.amdhsa_user_sgpr_count 2
		.amdhsa_user_sgpr_dispatch_ptr 0
		.amdhsa_user_sgpr_queue_ptr 0
		.amdhsa_user_sgpr_kernarg_segment_ptr 1
		.amdhsa_user_sgpr_dispatch_id 0
		.amdhsa_user_sgpr_kernarg_preload_length 0
		.amdhsa_user_sgpr_kernarg_preload_offset 0
		.amdhsa_user_sgpr_private_segment_size 0
		.amdhsa_wavefront_size32 1
		.amdhsa_uses_dynamic_stack 0
		.amdhsa_enable_private_segment 0
		.amdhsa_system_sgpr_workgroup_id_x 1
		.amdhsa_system_sgpr_workgroup_id_y 0
		.amdhsa_system_sgpr_workgroup_id_z 0
		.amdhsa_system_sgpr_workgroup_info 0
		.amdhsa_system_vgpr_workitem_id 0
		.amdhsa_next_free_vgpr 1
		.amdhsa_next_free_sgpr 1
		.amdhsa_named_barrier_count 0
		.amdhsa_reserve_vcc 0
		.amdhsa_float_round_mode_32 0
		.amdhsa_float_round_mode_16_64 0
		.amdhsa_float_denorm_mode_32 3
		.amdhsa_float_denorm_mode_16_64 3
		.amdhsa_fp16_overflow 0
		.amdhsa_memory_ordered 1
		.amdhsa_forward_progress 1
		.amdhsa_inst_pref_size 0
		.amdhsa_round_robin_scheduling 0
		.amdhsa_exception_fp_ieee_invalid_op 0
		.amdhsa_exception_fp_denorm_src 0
		.amdhsa_exception_fp_ieee_div_zero 0
		.amdhsa_exception_fp_ieee_overflow 0
		.amdhsa_exception_fp_ieee_underflow 0
		.amdhsa_exception_fp_ieee_inexact 0
		.amdhsa_exception_int_div_zero 0
	.end_amdhsa_kernel
	.section	.text._ZN7rocprim17ROCPRIM_400000_NS6detail17trampoline_kernelINS0_14default_configENS1_27scan_by_key_config_selectorIiiEEZZNS1_16scan_by_key_implILNS1_25lookback_scan_determinismE0ELb1ES3_N6thrust23THRUST_200600_302600_NS6detail15normal_iteratorINS9_10device_ptrIiEEEESE_SE_iNS9_4plusIiEE19head_flag_predicateiEE10hipError_tPvRmT2_T3_T4_T5_mT6_T7_P12ihipStream_tbENKUlT_T0_E_clISt17integral_constantIbLb1EESX_IbLb0EEEEDaST_SU_EUlST_E_NS1_11comp_targetILNS1_3genE10ELNS1_11target_archE1200ELNS1_3gpuE4ELNS1_3repE0EEENS1_30default_config_static_selectorELNS0_4arch9wavefront6targetE0EEEvT1_,"axG",@progbits,_ZN7rocprim17ROCPRIM_400000_NS6detail17trampoline_kernelINS0_14default_configENS1_27scan_by_key_config_selectorIiiEEZZNS1_16scan_by_key_implILNS1_25lookback_scan_determinismE0ELb1ES3_N6thrust23THRUST_200600_302600_NS6detail15normal_iteratorINS9_10device_ptrIiEEEESE_SE_iNS9_4plusIiEE19head_flag_predicateiEE10hipError_tPvRmT2_T3_T4_T5_mT6_T7_P12ihipStream_tbENKUlT_T0_E_clISt17integral_constantIbLb1EESX_IbLb0EEEEDaST_SU_EUlST_E_NS1_11comp_targetILNS1_3genE10ELNS1_11target_archE1200ELNS1_3gpuE4ELNS1_3repE0EEENS1_30default_config_static_selectorELNS0_4arch9wavefront6targetE0EEEvT1_,comdat
.Lfunc_end809:
	.size	_ZN7rocprim17ROCPRIM_400000_NS6detail17trampoline_kernelINS0_14default_configENS1_27scan_by_key_config_selectorIiiEEZZNS1_16scan_by_key_implILNS1_25lookback_scan_determinismE0ELb1ES3_N6thrust23THRUST_200600_302600_NS6detail15normal_iteratorINS9_10device_ptrIiEEEESE_SE_iNS9_4plusIiEE19head_flag_predicateiEE10hipError_tPvRmT2_T3_T4_T5_mT6_T7_P12ihipStream_tbENKUlT_T0_E_clISt17integral_constantIbLb1EESX_IbLb0EEEEDaST_SU_EUlST_E_NS1_11comp_targetILNS1_3genE10ELNS1_11target_archE1200ELNS1_3gpuE4ELNS1_3repE0EEENS1_30default_config_static_selectorELNS0_4arch9wavefront6targetE0EEEvT1_, .Lfunc_end809-_ZN7rocprim17ROCPRIM_400000_NS6detail17trampoline_kernelINS0_14default_configENS1_27scan_by_key_config_selectorIiiEEZZNS1_16scan_by_key_implILNS1_25lookback_scan_determinismE0ELb1ES3_N6thrust23THRUST_200600_302600_NS6detail15normal_iteratorINS9_10device_ptrIiEEEESE_SE_iNS9_4plusIiEE19head_flag_predicateiEE10hipError_tPvRmT2_T3_T4_T5_mT6_T7_P12ihipStream_tbENKUlT_T0_E_clISt17integral_constantIbLb1EESX_IbLb0EEEEDaST_SU_EUlST_E_NS1_11comp_targetILNS1_3genE10ELNS1_11target_archE1200ELNS1_3gpuE4ELNS1_3repE0EEENS1_30default_config_static_selectorELNS0_4arch9wavefront6targetE0EEEvT1_
                                        ; -- End function
	.set _ZN7rocprim17ROCPRIM_400000_NS6detail17trampoline_kernelINS0_14default_configENS1_27scan_by_key_config_selectorIiiEEZZNS1_16scan_by_key_implILNS1_25lookback_scan_determinismE0ELb1ES3_N6thrust23THRUST_200600_302600_NS6detail15normal_iteratorINS9_10device_ptrIiEEEESE_SE_iNS9_4plusIiEE19head_flag_predicateiEE10hipError_tPvRmT2_T3_T4_T5_mT6_T7_P12ihipStream_tbENKUlT_T0_E_clISt17integral_constantIbLb1EESX_IbLb0EEEEDaST_SU_EUlST_E_NS1_11comp_targetILNS1_3genE10ELNS1_11target_archE1200ELNS1_3gpuE4ELNS1_3repE0EEENS1_30default_config_static_selectorELNS0_4arch9wavefront6targetE0EEEvT1_.num_vgpr, 0
	.set _ZN7rocprim17ROCPRIM_400000_NS6detail17trampoline_kernelINS0_14default_configENS1_27scan_by_key_config_selectorIiiEEZZNS1_16scan_by_key_implILNS1_25lookback_scan_determinismE0ELb1ES3_N6thrust23THRUST_200600_302600_NS6detail15normal_iteratorINS9_10device_ptrIiEEEESE_SE_iNS9_4plusIiEE19head_flag_predicateiEE10hipError_tPvRmT2_T3_T4_T5_mT6_T7_P12ihipStream_tbENKUlT_T0_E_clISt17integral_constantIbLb1EESX_IbLb0EEEEDaST_SU_EUlST_E_NS1_11comp_targetILNS1_3genE10ELNS1_11target_archE1200ELNS1_3gpuE4ELNS1_3repE0EEENS1_30default_config_static_selectorELNS0_4arch9wavefront6targetE0EEEvT1_.num_agpr, 0
	.set _ZN7rocprim17ROCPRIM_400000_NS6detail17trampoline_kernelINS0_14default_configENS1_27scan_by_key_config_selectorIiiEEZZNS1_16scan_by_key_implILNS1_25lookback_scan_determinismE0ELb1ES3_N6thrust23THRUST_200600_302600_NS6detail15normal_iteratorINS9_10device_ptrIiEEEESE_SE_iNS9_4plusIiEE19head_flag_predicateiEE10hipError_tPvRmT2_T3_T4_T5_mT6_T7_P12ihipStream_tbENKUlT_T0_E_clISt17integral_constantIbLb1EESX_IbLb0EEEEDaST_SU_EUlST_E_NS1_11comp_targetILNS1_3genE10ELNS1_11target_archE1200ELNS1_3gpuE4ELNS1_3repE0EEENS1_30default_config_static_selectorELNS0_4arch9wavefront6targetE0EEEvT1_.numbered_sgpr, 0
	.set _ZN7rocprim17ROCPRIM_400000_NS6detail17trampoline_kernelINS0_14default_configENS1_27scan_by_key_config_selectorIiiEEZZNS1_16scan_by_key_implILNS1_25lookback_scan_determinismE0ELb1ES3_N6thrust23THRUST_200600_302600_NS6detail15normal_iteratorINS9_10device_ptrIiEEEESE_SE_iNS9_4plusIiEE19head_flag_predicateiEE10hipError_tPvRmT2_T3_T4_T5_mT6_T7_P12ihipStream_tbENKUlT_T0_E_clISt17integral_constantIbLb1EESX_IbLb0EEEEDaST_SU_EUlST_E_NS1_11comp_targetILNS1_3genE10ELNS1_11target_archE1200ELNS1_3gpuE4ELNS1_3repE0EEENS1_30default_config_static_selectorELNS0_4arch9wavefront6targetE0EEEvT1_.num_named_barrier, 0
	.set _ZN7rocprim17ROCPRIM_400000_NS6detail17trampoline_kernelINS0_14default_configENS1_27scan_by_key_config_selectorIiiEEZZNS1_16scan_by_key_implILNS1_25lookback_scan_determinismE0ELb1ES3_N6thrust23THRUST_200600_302600_NS6detail15normal_iteratorINS9_10device_ptrIiEEEESE_SE_iNS9_4plusIiEE19head_flag_predicateiEE10hipError_tPvRmT2_T3_T4_T5_mT6_T7_P12ihipStream_tbENKUlT_T0_E_clISt17integral_constantIbLb1EESX_IbLb0EEEEDaST_SU_EUlST_E_NS1_11comp_targetILNS1_3genE10ELNS1_11target_archE1200ELNS1_3gpuE4ELNS1_3repE0EEENS1_30default_config_static_selectorELNS0_4arch9wavefront6targetE0EEEvT1_.private_seg_size, 0
	.set _ZN7rocprim17ROCPRIM_400000_NS6detail17trampoline_kernelINS0_14default_configENS1_27scan_by_key_config_selectorIiiEEZZNS1_16scan_by_key_implILNS1_25lookback_scan_determinismE0ELb1ES3_N6thrust23THRUST_200600_302600_NS6detail15normal_iteratorINS9_10device_ptrIiEEEESE_SE_iNS9_4plusIiEE19head_flag_predicateiEE10hipError_tPvRmT2_T3_T4_T5_mT6_T7_P12ihipStream_tbENKUlT_T0_E_clISt17integral_constantIbLb1EESX_IbLb0EEEEDaST_SU_EUlST_E_NS1_11comp_targetILNS1_3genE10ELNS1_11target_archE1200ELNS1_3gpuE4ELNS1_3repE0EEENS1_30default_config_static_selectorELNS0_4arch9wavefront6targetE0EEEvT1_.uses_vcc, 0
	.set _ZN7rocprim17ROCPRIM_400000_NS6detail17trampoline_kernelINS0_14default_configENS1_27scan_by_key_config_selectorIiiEEZZNS1_16scan_by_key_implILNS1_25lookback_scan_determinismE0ELb1ES3_N6thrust23THRUST_200600_302600_NS6detail15normal_iteratorINS9_10device_ptrIiEEEESE_SE_iNS9_4plusIiEE19head_flag_predicateiEE10hipError_tPvRmT2_T3_T4_T5_mT6_T7_P12ihipStream_tbENKUlT_T0_E_clISt17integral_constantIbLb1EESX_IbLb0EEEEDaST_SU_EUlST_E_NS1_11comp_targetILNS1_3genE10ELNS1_11target_archE1200ELNS1_3gpuE4ELNS1_3repE0EEENS1_30default_config_static_selectorELNS0_4arch9wavefront6targetE0EEEvT1_.uses_flat_scratch, 0
	.set _ZN7rocprim17ROCPRIM_400000_NS6detail17trampoline_kernelINS0_14default_configENS1_27scan_by_key_config_selectorIiiEEZZNS1_16scan_by_key_implILNS1_25lookback_scan_determinismE0ELb1ES3_N6thrust23THRUST_200600_302600_NS6detail15normal_iteratorINS9_10device_ptrIiEEEESE_SE_iNS9_4plusIiEE19head_flag_predicateiEE10hipError_tPvRmT2_T3_T4_T5_mT6_T7_P12ihipStream_tbENKUlT_T0_E_clISt17integral_constantIbLb1EESX_IbLb0EEEEDaST_SU_EUlST_E_NS1_11comp_targetILNS1_3genE10ELNS1_11target_archE1200ELNS1_3gpuE4ELNS1_3repE0EEENS1_30default_config_static_selectorELNS0_4arch9wavefront6targetE0EEEvT1_.has_dyn_sized_stack, 0
	.set _ZN7rocprim17ROCPRIM_400000_NS6detail17trampoline_kernelINS0_14default_configENS1_27scan_by_key_config_selectorIiiEEZZNS1_16scan_by_key_implILNS1_25lookback_scan_determinismE0ELb1ES3_N6thrust23THRUST_200600_302600_NS6detail15normal_iteratorINS9_10device_ptrIiEEEESE_SE_iNS9_4plusIiEE19head_flag_predicateiEE10hipError_tPvRmT2_T3_T4_T5_mT6_T7_P12ihipStream_tbENKUlT_T0_E_clISt17integral_constantIbLb1EESX_IbLb0EEEEDaST_SU_EUlST_E_NS1_11comp_targetILNS1_3genE10ELNS1_11target_archE1200ELNS1_3gpuE4ELNS1_3repE0EEENS1_30default_config_static_selectorELNS0_4arch9wavefront6targetE0EEEvT1_.has_recursion, 0
	.set _ZN7rocprim17ROCPRIM_400000_NS6detail17trampoline_kernelINS0_14default_configENS1_27scan_by_key_config_selectorIiiEEZZNS1_16scan_by_key_implILNS1_25lookback_scan_determinismE0ELb1ES3_N6thrust23THRUST_200600_302600_NS6detail15normal_iteratorINS9_10device_ptrIiEEEESE_SE_iNS9_4plusIiEE19head_flag_predicateiEE10hipError_tPvRmT2_T3_T4_T5_mT6_T7_P12ihipStream_tbENKUlT_T0_E_clISt17integral_constantIbLb1EESX_IbLb0EEEEDaST_SU_EUlST_E_NS1_11comp_targetILNS1_3genE10ELNS1_11target_archE1200ELNS1_3gpuE4ELNS1_3repE0EEENS1_30default_config_static_selectorELNS0_4arch9wavefront6targetE0EEEvT1_.has_indirect_call, 0
	.section	.AMDGPU.csdata,"",@progbits
; Kernel info:
; codeLenInByte = 0
; TotalNumSgprs: 0
; NumVgprs: 0
; ScratchSize: 0
; MemoryBound: 0
; FloatMode: 240
; IeeeMode: 1
; LDSByteSize: 0 bytes/workgroup (compile time only)
; SGPRBlocks: 0
; VGPRBlocks: 0
; NumSGPRsForWavesPerEU: 1
; NumVGPRsForWavesPerEU: 1
; NamedBarCnt: 0
; Occupancy: 16
; WaveLimiterHint : 0
; COMPUTE_PGM_RSRC2:SCRATCH_EN: 0
; COMPUTE_PGM_RSRC2:USER_SGPR: 2
; COMPUTE_PGM_RSRC2:TRAP_HANDLER: 0
; COMPUTE_PGM_RSRC2:TGID_X_EN: 1
; COMPUTE_PGM_RSRC2:TGID_Y_EN: 0
; COMPUTE_PGM_RSRC2:TGID_Z_EN: 0
; COMPUTE_PGM_RSRC2:TIDIG_COMP_CNT: 0
	.section	.text._ZN7rocprim17ROCPRIM_400000_NS6detail17trampoline_kernelINS0_14default_configENS1_27scan_by_key_config_selectorIiiEEZZNS1_16scan_by_key_implILNS1_25lookback_scan_determinismE0ELb1ES3_N6thrust23THRUST_200600_302600_NS6detail15normal_iteratorINS9_10device_ptrIiEEEESE_SE_iNS9_4plusIiEE19head_flag_predicateiEE10hipError_tPvRmT2_T3_T4_T5_mT6_T7_P12ihipStream_tbENKUlT_T0_E_clISt17integral_constantIbLb1EESX_IbLb0EEEEDaST_SU_EUlST_E_NS1_11comp_targetILNS1_3genE9ELNS1_11target_archE1100ELNS1_3gpuE3ELNS1_3repE0EEENS1_30default_config_static_selectorELNS0_4arch9wavefront6targetE0EEEvT1_,"axG",@progbits,_ZN7rocprim17ROCPRIM_400000_NS6detail17trampoline_kernelINS0_14default_configENS1_27scan_by_key_config_selectorIiiEEZZNS1_16scan_by_key_implILNS1_25lookback_scan_determinismE0ELb1ES3_N6thrust23THRUST_200600_302600_NS6detail15normal_iteratorINS9_10device_ptrIiEEEESE_SE_iNS9_4plusIiEE19head_flag_predicateiEE10hipError_tPvRmT2_T3_T4_T5_mT6_T7_P12ihipStream_tbENKUlT_T0_E_clISt17integral_constantIbLb1EESX_IbLb0EEEEDaST_SU_EUlST_E_NS1_11comp_targetILNS1_3genE9ELNS1_11target_archE1100ELNS1_3gpuE3ELNS1_3repE0EEENS1_30default_config_static_selectorELNS0_4arch9wavefront6targetE0EEEvT1_,comdat
	.protected	_ZN7rocprim17ROCPRIM_400000_NS6detail17trampoline_kernelINS0_14default_configENS1_27scan_by_key_config_selectorIiiEEZZNS1_16scan_by_key_implILNS1_25lookback_scan_determinismE0ELb1ES3_N6thrust23THRUST_200600_302600_NS6detail15normal_iteratorINS9_10device_ptrIiEEEESE_SE_iNS9_4plusIiEE19head_flag_predicateiEE10hipError_tPvRmT2_T3_T4_T5_mT6_T7_P12ihipStream_tbENKUlT_T0_E_clISt17integral_constantIbLb1EESX_IbLb0EEEEDaST_SU_EUlST_E_NS1_11comp_targetILNS1_3genE9ELNS1_11target_archE1100ELNS1_3gpuE3ELNS1_3repE0EEENS1_30default_config_static_selectorELNS0_4arch9wavefront6targetE0EEEvT1_ ; -- Begin function _ZN7rocprim17ROCPRIM_400000_NS6detail17trampoline_kernelINS0_14default_configENS1_27scan_by_key_config_selectorIiiEEZZNS1_16scan_by_key_implILNS1_25lookback_scan_determinismE0ELb1ES3_N6thrust23THRUST_200600_302600_NS6detail15normal_iteratorINS9_10device_ptrIiEEEESE_SE_iNS9_4plusIiEE19head_flag_predicateiEE10hipError_tPvRmT2_T3_T4_T5_mT6_T7_P12ihipStream_tbENKUlT_T0_E_clISt17integral_constantIbLb1EESX_IbLb0EEEEDaST_SU_EUlST_E_NS1_11comp_targetILNS1_3genE9ELNS1_11target_archE1100ELNS1_3gpuE3ELNS1_3repE0EEENS1_30default_config_static_selectorELNS0_4arch9wavefront6targetE0EEEvT1_
	.globl	_ZN7rocprim17ROCPRIM_400000_NS6detail17trampoline_kernelINS0_14default_configENS1_27scan_by_key_config_selectorIiiEEZZNS1_16scan_by_key_implILNS1_25lookback_scan_determinismE0ELb1ES3_N6thrust23THRUST_200600_302600_NS6detail15normal_iteratorINS9_10device_ptrIiEEEESE_SE_iNS9_4plusIiEE19head_flag_predicateiEE10hipError_tPvRmT2_T3_T4_T5_mT6_T7_P12ihipStream_tbENKUlT_T0_E_clISt17integral_constantIbLb1EESX_IbLb0EEEEDaST_SU_EUlST_E_NS1_11comp_targetILNS1_3genE9ELNS1_11target_archE1100ELNS1_3gpuE3ELNS1_3repE0EEENS1_30default_config_static_selectorELNS0_4arch9wavefront6targetE0EEEvT1_
	.p2align	8
	.type	_ZN7rocprim17ROCPRIM_400000_NS6detail17trampoline_kernelINS0_14default_configENS1_27scan_by_key_config_selectorIiiEEZZNS1_16scan_by_key_implILNS1_25lookback_scan_determinismE0ELb1ES3_N6thrust23THRUST_200600_302600_NS6detail15normal_iteratorINS9_10device_ptrIiEEEESE_SE_iNS9_4plusIiEE19head_flag_predicateiEE10hipError_tPvRmT2_T3_T4_T5_mT6_T7_P12ihipStream_tbENKUlT_T0_E_clISt17integral_constantIbLb1EESX_IbLb0EEEEDaST_SU_EUlST_E_NS1_11comp_targetILNS1_3genE9ELNS1_11target_archE1100ELNS1_3gpuE3ELNS1_3repE0EEENS1_30default_config_static_selectorELNS0_4arch9wavefront6targetE0EEEvT1_,@function
_ZN7rocprim17ROCPRIM_400000_NS6detail17trampoline_kernelINS0_14default_configENS1_27scan_by_key_config_selectorIiiEEZZNS1_16scan_by_key_implILNS1_25lookback_scan_determinismE0ELb1ES3_N6thrust23THRUST_200600_302600_NS6detail15normal_iteratorINS9_10device_ptrIiEEEESE_SE_iNS9_4plusIiEE19head_flag_predicateiEE10hipError_tPvRmT2_T3_T4_T5_mT6_T7_P12ihipStream_tbENKUlT_T0_E_clISt17integral_constantIbLb1EESX_IbLb0EEEEDaST_SU_EUlST_E_NS1_11comp_targetILNS1_3genE9ELNS1_11target_archE1100ELNS1_3gpuE3ELNS1_3repE0EEENS1_30default_config_static_selectorELNS0_4arch9wavefront6targetE0EEEvT1_: ; @_ZN7rocprim17ROCPRIM_400000_NS6detail17trampoline_kernelINS0_14default_configENS1_27scan_by_key_config_selectorIiiEEZZNS1_16scan_by_key_implILNS1_25lookback_scan_determinismE0ELb1ES3_N6thrust23THRUST_200600_302600_NS6detail15normal_iteratorINS9_10device_ptrIiEEEESE_SE_iNS9_4plusIiEE19head_flag_predicateiEE10hipError_tPvRmT2_T3_T4_T5_mT6_T7_P12ihipStream_tbENKUlT_T0_E_clISt17integral_constantIbLb1EESX_IbLb0EEEEDaST_SU_EUlST_E_NS1_11comp_targetILNS1_3genE9ELNS1_11target_archE1100ELNS1_3gpuE3ELNS1_3repE0EEENS1_30default_config_static_selectorELNS0_4arch9wavefront6targetE0EEEvT1_
; %bb.0:
	.section	.rodata,"a",@progbits
	.p2align	6, 0x0
	.amdhsa_kernel _ZN7rocprim17ROCPRIM_400000_NS6detail17trampoline_kernelINS0_14default_configENS1_27scan_by_key_config_selectorIiiEEZZNS1_16scan_by_key_implILNS1_25lookback_scan_determinismE0ELb1ES3_N6thrust23THRUST_200600_302600_NS6detail15normal_iteratorINS9_10device_ptrIiEEEESE_SE_iNS9_4plusIiEE19head_flag_predicateiEE10hipError_tPvRmT2_T3_T4_T5_mT6_T7_P12ihipStream_tbENKUlT_T0_E_clISt17integral_constantIbLb1EESX_IbLb0EEEEDaST_SU_EUlST_E_NS1_11comp_targetILNS1_3genE9ELNS1_11target_archE1100ELNS1_3gpuE3ELNS1_3repE0EEENS1_30default_config_static_selectorELNS0_4arch9wavefront6targetE0EEEvT1_
		.amdhsa_group_segment_fixed_size 0
		.amdhsa_private_segment_fixed_size 0
		.amdhsa_kernarg_size 112
		.amdhsa_user_sgpr_count 2
		.amdhsa_user_sgpr_dispatch_ptr 0
		.amdhsa_user_sgpr_queue_ptr 0
		.amdhsa_user_sgpr_kernarg_segment_ptr 1
		.amdhsa_user_sgpr_dispatch_id 0
		.amdhsa_user_sgpr_kernarg_preload_length 0
		.amdhsa_user_sgpr_kernarg_preload_offset 0
		.amdhsa_user_sgpr_private_segment_size 0
		.amdhsa_wavefront_size32 1
		.amdhsa_uses_dynamic_stack 0
		.amdhsa_enable_private_segment 0
		.amdhsa_system_sgpr_workgroup_id_x 1
		.amdhsa_system_sgpr_workgroup_id_y 0
		.amdhsa_system_sgpr_workgroup_id_z 0
		.amdhsa_system_sgpr_workgroup_info 0
		.amdhsa_system_vgpr_workitem_id 0
		.amdhsa_next_free_vgpr 1
		.amdhsa_next_free_sgpr 1
		.amdhsa_named_barrier_count 0
		.amdhsa_reserve_vcc 0
		.amdhsa_float_round_mode_32 0
		.amdhsa_float_round_mode_16_64 0
		.amdhsa_float_denorm_mode_32 3
		.amdhsa_float_denorm_mode_16_64 3
		.amdhsa_fp16_overflow 0
		.amdhsa_memory_ordered 1
		.amdhsa_forward_progress 1
		.amdhsa_inst_pref_size 0
		.amdhsa_round_robin_scheduling 0
		.amdhsa_exception_fp_ieee_invalid_op 0
		.amdhsa_exception_fp_denorm_src 0
		.amdhsa_exception_fp_ieee_div_zero 0
		.amdhsa_exception_fp_ieee_overflow 0
		.amdhsa_exception_fp_ieee_underflow 0
		.amdhsa_exception_fp_ieee_inexact 0
		.amdhsa_exception_int_div_zero 0
	.end_amdhsa_kernel
	.section	.text._ZN7rocprim17ROCPRIM_400000_NS6detail17trampoline_kernelINS0_14default_configENS1_27scan_by_key_config_selectorIiiEEZZNS1_16scan_by_key_implILNS1_25lookback_scan_determinismE0ELb1ES3_N6thrust23THRUST_200600_302600_NS6detail15normal_iteratorINS9_10device_ptrIiEEEESE_SE_iNS9_4plusIiEE19head_flag_predicateiEE10hipError_tPvRmT2_T3_T4_T5_mT6_T7_P12ihipStream_tbENKUlT_T0_E_clISt17integral_constantIbLb1EESX_IbLb0EEEEDaST_SU_EUlST_E_NS1_11comp_targetILNS1_3genE9ELNS1_11target_archE1100ELNS1_3gpuE3ELNS1_3repE0EEENS1_30default_config_static_selectorELNS0_4arch9wavefront6targetE0EEEvT1_,"axG",@progbits,_ZN7rocprim17ROCPRIM_400000_NS6detail17trampoline_kernelINS0_14default_configENS1_27scan_by_key_config_selectorIiiEEZZNS1_16scan_by_key_implILNS1_25lookback_scan_determinismE0ELb1ES3_N6thrust23THRUST_200600_302600_NS6detail15normal_iteratorINS9_10device_ptrIiEEEESE_SE_iNS9_4plusIiEE19head_flag_predicateiEE10hipError_tPvRmT2_T3_T4_T5_mT6_T7_P12ihipStream_tbENKUlT_T0_E_clISt17integral_constantIbLb1EESX_IbLb0EEEEDaST_SU_EUlST_E_NS1_11comp_targetILNS1_3genE9ELNS1_11target_archE1100ELNS1_3gpuE3ELNS1_3repE0EEENS1_30default_config_static_selectorELNS0_4arch9wavefront6targetE0EEEvT1_,comdat
.Lfunc_end810:
	.size	_ZN7rocprim17ROCPRIM_400000_NS6detail17trampoline_kernelINS0_14default_configENS1_27scan_by_key_config_selectorIiiEEZZNS1_16scan_by_key_implILNS1_25lookback_scan_determinismE0ELb1ES3_N6thrust23THRUST_200600_302600_NS6detail15normal_iteratorINS9_10device_ptrIiEEEESE_SE_iNS9_4plusIiEE19head_flag_predicateiEE10hipError_tPvRmT2_T3_T4_T5_mT6_T7_P12ihipStream_tbENKUlT_T0_E_clISt17integral_constantIbLb1EESX_IbLb0EEEEDaST_SU_EUlST_E_NS1_11comp_targetILNS1_3genE9ELNS1_11target_archE1100ELNS1_3gpuE3ELNS1_3repE0EEENS1_30default_config_static_selectorELNS0_4arch9wavefront6targetE0EEEvT1_, .Lfunc_end810-_ZN7rocprim17ROCPRIM_400000_NS6detail17trampoline_kernelINS0_14default_configENS1_27scan_by_key_config_selectorIiiEEZZNS1_16scan_by_key_implILNS1_25lookback_scan_determinismE0ELb1ES3_N6thrust23THRUST_200600_302600_NS6detail15normal_iteratorINS9_10device_ptrIiEEEESE_SE_iNS9_4plusIiEE19head_flag_predicateiEE10hipError_tPvRmT2_T3_T4_T5_mT6_T7_P12ihipStream_tbENKUlT_T0_E_clISt17integral_constantIbLb1EESX_IbLb0EEEEDaST_SU_EUlST_E_NS1_11comp_targetILNS1_3genE9ELNS1_11target_archE1100ELNS1_3gpuE3ELNS1_3repE0EEENS1_30default_config_static_selectorELNS0_4arch9wavefront6targetE0EEEvT1_
                                        ; -- End function
	.set _ZN7rocprim17ROCPRIM_400000_NS6detail17trampoline_kernelINS0_14default_configENS1_27scan_by_key_config_selectorIiiEEZZNS1_16scan_by_key_implILNS1_25lookback_scan_determinismE0ELb1ES3_N6thrust23THRUST_200600_302600_NS6detail15normal_iteratorINS9_10device_ptrIiEEEESE_SE_iNS9_4plusIiEE19head_flag_predicateiEE10hipError_tPvRmT2_T3_T4_T5_mT6_T7_P12ihipStream_tbENKUlT_T0_E_clISt17integral_constantIbLb1EESX_IbLb0EEEEDaST_SU_EUlST_E_NS1_11comp_targetILNS1_3genE9ELNS1_11target_archE1100ELNS1_3gpuE3ELNS1_3repE0EEENS1_30default_config_static_selectorELNS0_4arch9wavefront6targetE0EEEvT1_.num_vgpr, 0
	.set _ZN7rocprim17ROCPRIM_400000_NS6detail17trampoline_kernelINS0_14default_configENS1_27scan_by_key_config_selectorIiiEEZZNS1_16scan_by_key_implILNS1_25lookback_scan_determinismE0ELb1ES3_N6thrust23THRUST_200600_302600_NS6detail15normal_iteratorINS9_10device_ptrIiEEEESE_SE_iNS9_4plusIiEE19head_flag_predicateiEE10hipError_tPvRmT2_T3_T4_T5_mT6_T7_P12ihipStream_tbENKUlT_T0_E_clISt17integral_constantIbLb1EESX_IbLb0EEEEDaST_SU_EUlST_E_NS1_11comp_targetILNS1_3genE9ELNS1_11target_archE1100ELNS1_3gpuE3ELNS1_3repE0EEENS1_30default_config_static_selectorELNS0_4arch9wavefront6targetE0EEEvT1_.num_agpr, 0
	.set _ZN7rocprim17ROCPRIM_400000_NS6detail17trampoline_kernelINS0_14default_configENS1_27scan_by_key_config_selectorIiiEEZZNS1_16scan_by_key_implILNS1_25lookback_scan_determinismE0ELb1ES3_N6thrust23THRUST_200600_302600_NS6detail15normal_iteratorINS9_10device_ptrIiEEEESE_SE_iNS9_4plusIiEE19head_flag_predicateiEE10hipError_tPvRmT2_T3_T4_T5_mT6_T7_P12ihipStream_tbENKUlT_T0_E_clISt17integral_constantIbLb1EESX_IbLb0EEEEDaST_SU_EUlST_E_NS1_11comp_targetILNS1_3genE9ELNS1_11target_archE1100ELNS1_3gpuE3ELNS1_3repE0EEENS1_30default_config_static_selectorELNS0_4arch9wavefront6targetE0EEEvT1_.numbered_sgpr, 0
	.set _ZN7rocprim17ROCPRIM_400000_NS6detail17trampoline_kernelINS0_14default_configENS1_27scan_by_key_config_selectorIiiEEZZNS1_16scan_by_key_implILNS1_25lookback_scan_determinismE0ELb1ES3_N6thrust23THRUST_200600_302600_NS6detail15normal_iteratorINS9_10device_ptrIiEEEESE_SE_iNS9_4plusIiEE19head_flag_predicateiEE10hipError_tPvRmT2_T3_T4_T5_mT6_T7_P12ihipStream_tbENKUlT_T0_E_clISt17integral_constantIbLb1EESX_IbLb0EEEEDaST_SU_EUlST_E_NS1_11comp_targetILNS1_3genE9ELNS1_11target_archE1100ELNS1_3gpuE3ELNS1_3repE0EEENS1_30default_config_static_selectorELNS0_4arch9wavefront6targetE0EEEvT1_.num_named_barrier, 0
	.set _ZN7rocprim17ROCPRIM_400000_NS6detail17trampoline_kernelINS0_14default_configENS1_27scan_by_key_config_selectorIiiEEZZNS1_16scan_by_key_implILNS1_25lookback_scan_determinismE0ELb1ES3_N6thrust23THRUST_200600_302600_NS6detail15normal_iteratorINS9_10device_ptrIiEEEESE_SE_iNS9_4plusIiEE19head_flag_predicateiEE10hipError_tPvRmT2_T3_T4_T5_mT6_T7_P12ihipStream_tbENKUlT_T0_E_clISt17integral_constantIbLb1EESX_IbLb0EEEEDaST_SU_EUlST_E_NS1_11comp_targetILNS1_3genE9ELNS1_11target_archE1100ELNS1_3gpuE3ELNS1_3repE0EEENS1_30default_config_static_selectorELNS0_4arch9wavefront6targetE0EEEvT1_.private_seg_size, 0
	.set _ZN7rocprim17ROCPRIM_400000_NS6detail17trampoline_kernelINS0_14default_configENS1_27scan_by_key_config_selectorIiiEEZZNS1_16scan_by_key_implILNS1_25lookback_scan_determinismE0ELb1ES3_N6thrust23THRUST_200600_302600_NS6detail15normal_iteratorINS9_10device_ptrIiEEEESE_SE_iNS9_4plusIiEE19head_flag_predicateiEE10hipError_tPvRmT2_T3_T4_T5_mT6_T7_P12ihipStream_tbENKUlT_T0_E_clISt17integral_constantIbLb1EESX_IbLb0EEEEDaST_SU_EUlST_E_NS1_11comp_targetILNS1_3genE9ELNS1_11target_archE1100ELNS1_3gpuE3ELNS1_3repE0EEENS1_30default_config_static_selectorELNS0_4arch9wavefront6targetE0EEEvT1_.uses_vcc, 0
	.set _ZN7rocprim17ROCPRIM_400000_NS6detail17trampoline_kernelINS0_14default_configENS1_27scan_by_key_config_selectorIiiEEZZNS1_16scan_by_key_implILNS1_25lookback_scan_determinismE0ELb1ES3_N6thrust23THRUST_200600_302600_NS6detail15normal_iteratorINS9_10device_ptrIiEEEESE_SE_iNS9_4plusIiEE19head_flag_predicateiEE10hipError_tPvRmT2_T3_T4_T5_mT6_T7_P12ihipStream_tbENKUlT_T0_E_clISt17integral_constantIbLb1EESX_IbLb0EEEEDaST_SU_EUlST_E_NS1_11comp_targetILNS1_3genE9ELNS1_11target_archE1100ELNS1_3gpuE3ELNS1_3repE0EEENS1_30default_config_static_selectorELNS0_4arch9wavefront6targetE0EEEvT1_.uses_flat_scratch, 0
	.set _ZN7rocprim17ROCPRIM_400000_NS6detail17trampoline_kernelINS0_14default_configENS1_27scan_by_key_config_selectorIiiEEZZNS1_16scan_by_key_implILNS1_25lookback_scan_determinismE0ELb1ES3_N6thrust23THRUST_200600_302600_NS6detail15normal_iteratorINS9_10device_ptrIiEEEESE_SE_iNS9_4plusIiEE19head_flag_predicateiEE10hipError_tPvRmT2_T3_T4_T5_mT6_T7_P12ihipStream_tbENKUlT_T0_E_clISt17integral_constantIbLb1EESX_IbLb0EEEEDaST_SU_EUlST_E_NS1_11comp_targetILNS1_3genE9ELNS1_11target_archE1100ELNS1_3gpuE3ELNS1_3repE0EEENS1_30default_config_static_selectorELNS0_4arch9wavefront6targetE0EEEvT1_.has_dyn_sized_stack, 0
	.set _ZN7rocprim17ROCPRIM_400000_NS6detail17trampoline_kernelINS0_14default_configENS1_27scan_by_key_config_selectorIiiEEZZNS1_16scan_by_key_implILNS1_25lookback_scan_determinismE0ELb1ES3_N6thrust23THRUST_200600_302600_NS6detail15normal_iteratorINS9_10device_ptrIiEEEESE_SE_iNS9_4plusIiEE19head_flag_predicateiEE10hipError_tPvRmT2_T3_T4_T5_mT6_T7_P12ihipStream_tbENKUlT_T0_E_clISt17integral_constantIbLb1EESX_IbLb0EEEEDaST_SU_EUlST_E_NS1_11comp_targetILNS1_3genE9ELNS1_11target_archE1100ELNS1_3gpuE3ELNS1_3repE0EEENS1_30default_config_static_selectorELNS0_4arch9wavefront6targetE0EEEvT1_.has_recursion, 0
	.set _ZN7rocprim17ROCPRIM_400000_NS6detail17trampoline_kernelINS0_14default_configENS1_27scan_by_key_config_selectorIiiEEZZNS1_16scan_by_key_implILNS1_25lookback_scan_determinismE0ELb1ES3_N6thrust23THRUST_200600_302600_NS6detail15normal_iteratorINS9_10device_ptrIiEEEESE_SE_iNS9_4plusIiEE19head_flag_predicateiEE10hipError_tPvRmT2_T3_T4_T5_mT6_T7_P12ihipStream_tbENKUlT_T0_E_clISt17integral_constantIbLb1EESX_IbLb0EEEEDaST_SU_EUlST_E_NS1_11comp_targetILNS1_3genE9ELNS1_11target_archE1100ELNS1_3gpuE3ELNS1_3repE0EEENS1_30default_config_static_selectorELNS0_4arch9wavefront6targetE0EEEvT1_.has_indirect_call, 0
	.section	.AMDGPU.csdata,"",@progbits
; Kernel info:
; codeLenInByte = 0
; TotalNumSgprs: 0
; NumVgprs: 0
; ScratchSize: 0
; MemoryBound: 0
; FloatMode: 240
; IeeeMode: 1
; LDSByteSize: 0 bytes/workgroup (compile time only)
; SGPRBlocks: 0
; VGPRBlocks: 0
; NumSGPRsForWavesPerEU: 1
; NumVGPRsForWavesPerEU: 1
; NamedBarCnt: 0
; Occupancy: 16
; WaveLimiterHint : 0
; COMPUTE_PGM_RSRC2:SCRATCH_EN: 0
; COMPUTE_PGM_RSRC2:USER_SGPR: 2
; COMPUTE_PGM_RSRC2:TRAP_HANDLER: 0
; COMPUTE_PGM_RSRC2:TGID_X_EN: 1
; COMPUTE_PGM_RSRC2:TGID_Y_EN: 0
; COMPUTE_PGM_RSRC2:TGID_Z_EN: 0
; COMPUTE_PGM_RSRC2:TIDIG_COMP_CNT: 0
	.section	.text._ZN7rocprim17ROCPRIM_400000_NS6detail17trampoline_kernelINS0_14default_configENS1_27scan_by_key_config_selectorIiiEEZZNS1_16scan_by_key_implILNS1_25lookback_scan_determinismE0ELb1ES3_N6thrust23THRUST_200600_302600_NS6detail15normal_iteratorINS9_10device_ptrIiEEEESE_SE_iNS9_4plusIiEE19head_flag_predicateiEE10hipError_tPvRmT2_T3_T4_T5_mT6_T7_P12ihipStream_tbENKUlT_T0_E_clISt17integral_constantIbLb1EESX_IbLb0EEEEDaST_SU_EUlST_E_NS1_11comp_targetILNS1_3genE8ELNS1_11target_archE1030ELNS1_3gpuE2ELNS1_3repE0EEENS1_30default_config_static_selectorELNS0_4arch9wavefront6targetE0EEEvT1_,"axG",@progbits,_ZN7rocprim17ROCPRIM_400000_NS6detail17trampoline_kernelINS0_14default_configENS1_27scan_by_key_config_selectorIiiEEZZNS1_16scan_by_key_implILNS1_25lookback_scan_determinismE0ELb1ES3_N6thrust23THRUST_200600_302600_NS6detail15normal_iteratorINS9_10device_ptrIiEEEESE_SE_iNS9_4plusIiEE19head_flag_predicateiEE10hipError_tPvRmT2_T3_T4_T5_mT6_T7_P12ihipStream_tbENKUlT_T0_E_clISt17integral_constantIbLb1EESX_IbLb0EEEEDaST_SU_EUlST_E_NS1_11comp_targetILNS1_3genE8ELNS1_11target_archE1030ELNS1_3gpuE2ELNS1_3repE0EEENS1_30default_config_static_selectorELNS0_4arch9wavefront6targetE0EEEvT1_,comdat
	.protected	_ZN7rocprim17ROCPRIM_400000_NS6detail17trampoline_kernelINS0_14default_configENS1_27scan_by_key_config_selectorIiiEEZZNS1_16scan_by_key_implILNS1_25lookback_scan_determinismE0ELb1ES3_N6thrust23THRUST_200600_302600_NS6detail15normal_iteratorINS9_10device_ptrIiEEEESE_SE_iNS9_4plusIiEE19head_flag_predicateiEE10hipError_tPvRmT2_T3_T4_T5_mT6_T7_P12ihipStream_tbENKUlT_T0_E_clISt17integral_constantIbLb1EESX_IbLb0EEEEDaST_SU_EUlST_E_NS1_11comp_targetILNS1_3genE8ELNS1_11target_archE1030ELNS1_3gpuE2ELNS1_3repE0EEENS1_30default_config_static_selectorELNS0_4arch9wavefront6targetE0EEEvT1_ ; -- Begin function _ZN7rocprim17ROCPRIM_400000_NS6detail17trampoline_kernelINS0_14default_configENS1_27scan_by_key_config_selectorIiiEEZZNS1_16scan_by_key_implILNS1_25lookback_scan_determinismE0ELb1ES3_N6thrust23THRUST_200600_302600_NS6detail15normal_iteratorINS9_10device_ptrIiEEEESE_SE_iNS9_4plusIiEE19head_flag_predicateiEE10hipError_tPvRmT2_T3_T4_T5_mT6_T7_P12ihipStream_tbENKUlT_T0_E_clISt17integral_constantIbLb1EESX_IbLb0EEEEDaST_SU_EUlST_E_NS1_11comp_targetILNS1_3genE8ELNS1_11target_archE1030ELNS1_3gpuE2ELNS1_3repE0EEENS1_30default_config_static_selectorELNS0_4arch9wavefront6targetE0EEEvT1_
	.globl	_ZN7rocprim17ROCPRIM_400000_NS6detail17trampoline_kernelINS0_14default_configENS1_27scan_by_key_config_selectorIiiEEZZNS1_16scan_by_key_implILNS1_25lookback_scan_determinismE0ELb1ES3_N6thrust23THRUST_200600_302600_NS6detail15normal_iteratorINS9_10device_ptrIiEEEESE_SE_iNS9_4plusIiEE19head_flag_predicateiEE10hipError_tPvRmT2_T3_T4_T5_mT6_T7_P12ihipStream_tbENKUlT_T0_E_clISt17integral_constantIbLb1EESX_IbLb0EEEEDaST_SU_EUlST_E_NS1_11comp_targetILNS1_3genE8ELNS1_11target_archE1030ELNS1_3gpuE2ELNS1_3repE0EEENS1_30default_config_static_selectorELNS0_4arch9wavefront6targetE0EEEvT1_
	.p2align	8
	.type	_ZN7rocprim17ROCPRIM_400000_NS6detail17trampoline_kernelINS0_14default_configENS1_27scan_by_key_config_selectorIiiEEZZNS1_16scan_by_key_implILNS1_25lookback_scan_determinismE0ELb1ES3_N6thrust23THRUST_200600_302600_NS6detail15normal_iteratorINS9_10device_ptrIiEEEESE_SE_iNS9_4plusIiEE19head_flag_predicateiEE10hipError_tPvRmT2_T3_T4_T5_mT6_T7_P12ihipStream_tbENKUlT_T0_E_clISt17integral_constantIbLb1EESX_IbLb0EEEEDaST_SU_EUlST_E_NS1_11comp_targetILNS1_3genE8ELNS1_11target_archE1030ELNS1_3gpuE2ELNS1_3repE0EEENS1_30default_config_static_selectorELNS0_4arch9wavefront6targetE0EEEvT1_,@function
_ZN7rocprim17ROCPRIM_400000_NS6detail17trampoline_kernelINS0_14default_configENS1_27scan_by_key_config_selectorIiiEEZZNS1_16scan_by_key_implILNS1_25lookback_scan_determinismE0ELb1ES3_N6thrust23THRUST_200600_302600_NS6detail15normal_iteratorINS9_10device_ptrIiEEEESE_SE_iNS9_4plusIiEE19head_flag_predicateiEE10hipError_tPvRmT2_T3_T4_T5_mT6_T7_P12ihipStream_tbENKUlT_T0_E_clISt17integral_constantIbLb1EESX_IbLb0EEEEDaST_SU_EUlST_E_NS1_11comp_targetILNS1_3genE8ELNS1_11target_archE1030ELNS1_3gpuE2ELNS1_3repE0EEENS1_30default_config_static_selectorELNS0_4arch9wavefront6targetE0EEEvT1_: ; @_ZN7rocprim17ROCPRIM_400000_NS6detail17trampoline_kernelINS0_14default_configENS1_27scan_by_key_config_selectorIiiEEZZNS1_16scan_by_key_implILNS1_25lookback_scan_determinismE0ELb1ES3_N6thrust23THRUST_200600_302600_NS6detail15normal_iteratorINS9_10device_ptrIiEEEESE_SE_iNS9_4plusIiEE19head_flag_predicateiEE10hipError_tPvRmT2_T3_T4_T5_mT6_T7_P12ihipStream_tbENKUlT_T0_E_clISt17integral_constantIbLb1EESX_IbLb0EEEEDaST_SU_EUlST_E_NS1_11comp_targetILNS1_3genE8ELNS1_11target_archE1030ELNS1_3gpuE2ELNS1_3repE0EEENS1_30default_config_static_selectorELNS0_4arch9wavefront6targetE0EEEvT1_
; %bb.0:
	.section	.rodata,"a",@progbits
	.p2align	6, 0x0
	.amdhsa_kernel _ZN7rocprim17ROCPRIM_400000_NS6detail17trampoline_kernelINS0_14default_configENS1_27scan_by_key_config_selectorIiiEEZZNS1_16scan_by_key_implILNS1_25lookback_scan_determinismE0ELb1ES3_N6thrust23THRUST_200600_302600_NS6detail15normal_iteratorINS9_10device_ptrIiEEEESE_SE_iNS9_4plusIiEE19head_flag_predicateiEE10hipError_tPvRmT2_T3_T4_T5_mT6_T7_P12ihipStream_tbENKUlT_T0_E_clISt17integral_constantIbLb1EESX_IbLb0EEEEDaST_SU_EUlST_E_NS1_11comp_targetILNS1_3genE8ELNS1_11target_archE1030ELNS1_3gpuE2ELNS1_3repE0EEENS1_30default_config_static_selectorELNS0_4arch9wavefront6targetE0EEEvT1_
		.amdhsa_group_segment_fixed_size 0
		.amdhsa_private_segment_fixed_size 0
		.amdhsa_kernarg_size 112
		.amdhsa_user_sgpr_count 2
		.amdhsa_user_sgpr_dispatch_ptr 0
		.amdhsa_user_sgpr_queue_ptr 0
		.amdhsa_user_sgpr_kernarg_segment_ptr 1
		.amdhsa_user_sgpr_dispatch_id 0
		.amdhsa_user_sgpr_kernarg_preload_length 0
		.amdhsa_user_sgpr_kernarg_preload_offset 0
		.amdhsa_user_sgpr_private_segment_size 0
		.amdhsa_wavefront_size32 1
		.amdhsa_uses_dynamic_stack 0
		.amdhsa_enable_private_segment 0
		.amdhsa_system_sgpr_workgroup_id_x 1
		.amdhsa_system_sgpr_workgroup_id_y 0
		.amdhsa_system_sgpr_workgroup_id_z 0
		.amdhsa_system_sgpr_workgroup_info 0
		.amdhsa_system_vgpr_workitem_id 0
		.amdhsa_next_free_vgpr 1
		.amdhsa_next_free_sgpr 1
		.amdhsa_named_barrier_count 0
		.amdhsa_reserve_vcc 0
		.amdhsa_float_round_mode_32 0
		.amdhsa_float_round_mode_16_64 0
		.amdhsa_float_denorm_mode_32 3
		.amdhsa_float_denorm_mode_16_64 3
		.amdhsa_fp16_overflow 0
		.amdhsa_memory_ordered 1
		.amdhsa_forward_progress 1
		.amdhsa_inst_pref_size 0
		.amdhsa_round_robin_scheduling 0
		.amdhsa_exception_fp_ieee_invalid_op 0
		.amdhsa_exception_fp_denorm_src 0
		.amdhsa_exception_fp_ieee_div_zero 0
		.amdhsa_exception_fp_ieee_overflow 0
		.amdhsa_exception_fp_ieee_underflow 0
		.amdhsa_exception_fp_ieee_inexact 0
		.amdhsa_exception_int_div_zero 0
	.end_amdhsa_kernel
	.section	.text._ZN7rocprim17ROCPRIM_400000_NS6detail17trampoline_kernelINS0_14default_configENS1_27scan_by_key_config_selectorIiiEEZZNS1_16scan_by_key_implILNS1_25lookback_scan_determinismE0ELb1ES3_N6thrust23THRUST_200600_302600_NS6detail15normal_iteratorINS9_10device_ptrIiEEEESE_SE_iNS9_4plusIiEE19head_flag_predicateiEE10hipError_tPvRmT2_T3_T4_T5_mT6_T7_P12ihipStream_tbENKUlT_T0_E_clISt17integral_constantIbLb1EESX_IbLb0EEEEDaST_SU_EUlST_E_NS1_11comp_targetILNS1_3genE8ELNS1_11target_archE1030ELNS1_3gpuE2ELNS1_3repE0EEENS1_30default_config_static_selectorELNS0_4arch9wavefront6targetE0EEEvT1_,"axG",@progbits,_ZN7rocprim17ROCPRIM_400000_NS6detail17trampoline_kernelINS0_14default_configENS1_27scan_by_key_config_selectorIiiEEZZNS1_16scan_by_key_implILNS1_25lookback_scan_determinismE0ELb1ES3_N6thrust23THRUST_200600_302600_NS6detail15normal_iteratorINS9_10device_ptrIiEEEESE_SE_iNS9_4plusIiEE19head_flag_predicateiEE10hipError_tPvRmT2_T3_T4_T5_mT6_T7_P12ihipStream_tbENKUlT_T0_E_clISt17integral_constantIbLb1EESX_IbLb0EEEEDaST_SU_EUlST_E_NS1_11comp_targetILNS1_3genE8ELNS1_11target_archE1030ELNS1_3gpuE2ELNS1_3repE0EEENS1_30default_config_static_selectorELNS0_4arch9wavefront6targetE0EEEvT1_,comdat
.Lfunc_end811:
	.size	_ZN7rocprim17ROCPRIM_400000_NS6detail17trampoline_kernelINS0_14default_configENS1_27scan_by_key_config_selectorIiiEEZZNS1_16scan_by_key_implILNS1_25lookback_scan_determinismE0ELb1ES3_N6thrust23THRUST_200600_302600_NS6detail15normal_iteratorINS9_10device_ptrIiEEEESE_SE_iNS9_4plusIiEE19head_flag_predicateiEE10hipError_tPvRmT2_T3_T4_T5_mT6_T7_P12ihipStream_tbENKUlT_T0_E_clISt17integral_constantIbLb1EESX_IbLb0EEEEDaST_SU_EUlST_E_NS1_11comp_targetILNS1_3genE8ELNS1_11target_archE1030ELNS1_3gpuE2ELNS1_3repE0EEENS1_30default_config_static_selectorELNS0_4arch9wavefront6targetE0EEEvT1_, .Lfunc_end811-_ZN7rocprim17ROCPRIM_400000_NS6detail17trampoline_kernelINS0_14default_configENS1_27scan_by_key_config_selectorIiiEEZZNS1_16scan_by_key_implILNS1_25lookback_scan_determinismE0ELb1ES3_N6thrust23THRUST_200600_302600_NS6detail15normal_iteratorINS9_10device_ptrIiEEEESE_SE_iNS9_4plusIiEE19head_flag_predicateiEE10hipError_tPvRmT2_T3_T4_T5_mT6_T7_P12ihipStream_tbENKUlT_T0_E_clISt17integral_constantIbLb1EESX_IbLb0EEEEDaST_SU_EUlST_E_NS1_11comp_targetILNS1_3genE8ELNS1_11target_archE1030ELNS1_3gpuE2ELNS1_3repE0EEENS1_30default_config_static_selectorELNS0_4arch9wavefront6targetE0EEEvT1_
                                        ; -- End function
	.set _ZN7rocprim17ROCPRIM_400000_NS6detail17trampoline_kernelINS0_14default_configENS1_27scan_by_key_config_selectorIiiEEZZNS1_16scan_by_key_implILNS1_25lookback_scan_determinismE0ELb1ES3_N6thrust23THRUST_200600_302600_NS6detail15normal_iteratorINS9_10device_ptrIiEEEESE_SE_iNS9_4plusIiEE19head_flag_predicateiEE10hipError_tPvRmT2_T3_T4_T5_mT6_T7_P12ihipStream_tbENKUlT_T0_E_clISt17integral_constantIbLb1EESX_IbLb0EEEEDaST_SU_EUlST_E_NS1_11comp_targetILNS1_3genE8ELNS1_11target_archE1030ELNS1_3gpuE2ELNS1_3repE0EEENS1_30default_config_static_selectorELNS0_4arch9wavefront6targetE0EEEvT1_.num_vgpr, 0
	.set _ZN7rocprim17ROCPRIM_400000_NS6detail17trampoline_kernelINS0_14default_configENS1_27scan_by_key_config_selectorIiiEEZZNS1_16scan_by_key_implILNS1_25lookback_scan_determinismE0ELb1ES3_N6thrust23THRUST_200600_302600_NS6detail15normal_iteratorINS9_10device_ptrIiEEEESE_SE_iNS9_4plusIiEE19head_flag_predicateiEE10hipError_tPvRmT2_T3_T4_T5_mT6_T7_P12ihipStream_tbENKUlT_T0_E_clISt17integral_constantIbLb1EESX_IbLb0EEEEDaST_SU_EUlST_E_NS1_11comp_targetILNS1_3genE8ELNS1_11target_archE1030ELNS1_3gpuE2ELNS1_3repE0EEENS1_30default_config_static_selectorELNS0_4arch9wavefront6targetE0EEEvT1_.num_agpr, 0
	.set _ZN7rocprim17ROCPRIM_400000_NS6detail17trampoline_kernelINS0_14default_configENS1_27scan_by_key_config_selectorIiiEEZZNS1_16scan_by_key_implILNS1_25lookback_scan_determinismE0ELb1ES3_N6thrust23THRUST_200600_302600_NS6detail15normal_iteratorINS9_10device_ptrIiEEEESE_SE_iNS9_4plusIiEE19head_flag_predicateiEE10hipError_tPvRmT2_T3_T4_T5_mT6_T7_P12ihipStream_tbENKUlT_T0_E_clISt17integral_constantIbLb1EESX_IbLb0EEEEDaST_SU_EUlST_E_NS1_11comp_targetILNS1_3genE8ELNS1_11target_archE1030ELNS1_3gpuE2ELNS1_3repE0EEENS1_30default_config_static_selectorELNS0_4arch9wavefront6targetE0EEEvT1_.numbered_sgpr, 0
	.set _ZN7rocprim17ROCPRIM_400000_NS6detail17trampoline_kernelINS0_14default_configENS1_27scan_by_key_config_selectorIiiEEZZNS1_16scan_by_key_implILNS1_25lookback_scan_determinismE0ELb1ES3_N6thrust23THRUST_200600_302600_NS6detail15normal_iteratorINS9_10device_ptrIiEEEESE_SE_iNS9_4plusIiEE19head_flag_predicateiEE10hipError_tPvRmT2_T3_T4_T5_mT6_T7_P12ihipStream_tbENKUlT_T0_E_clISt17integral_constantIbLb1EESX_IbLb0EEEEDaST_SU_EUlST_E_NS1_11comp_targetILNS1_3genE8ELNS1_11target_archE1030ELNS1_3gpuE2ELNS1_3repE0EEENS1_30default_config_static_selectorELNS0_4arch9wavefront6targetE0EEEvT1_.num_named_barrier, 0
	.set _ZN7rocprim17ROCPRIM_400000_NS6detail17trampoline_kernelINS0_14default_configENS1_27scan_by_key_config_selectorIiiEEZZNS1_16scan_by_key_implILNS1_25lookback_scan_determinismE0ELb1ES3_N6thrust23THRUST_200600_302600_NS6detail15normal_iteratorINS9_10device_ptrIiEEEESE_SE_iNS9_4plusIiEE19head_flag_predicateiEE10hipError_tPvRmT2_T3_T4_T5_mT6_T7_P12ihipStream_tbENKUlT_T0_E_clISt17integral_constantIbLb1EESX_IbLb0EEEEDaST_SU_EUlST_E_NS1_11comp_targetILNS1_3genE8ELNS1_11target_archE1030ELNS1_3gpuE2ELNS1_3repE0EEENS1_30default_config_static_selectorELNS0_4arch9wavefront6targetE0EEEvT1_.private_seg_size, 0
	.set _ZN7rocprim17ROCPRIM_400000_NS6detail17trampoline_kernelINS0_14default_configENS1_27scan_by_key_config_selectorIiiEEZZNS1_16scan_by_key_implILNS1_25lookback_scan_determinismE0ELb1ES3_N6thrust23THRUST_200600_302600_NS6detail15normal_iteratorINS9_10device_ptrIiEEEESE_SE_iNS9_4plusIiEE19head_flag_predicateiEE10hipError_tPvRmT2_T3_T4_T5_mT6_T7_P12ihipStream_tbENKUlT_T0_E_clISt17integral_constantIbLb1EESX_IbLb0EEEEDaST_SU_EUlST_E_NS1_11comp_targetILNS1_3genE8ELNS1_11target_archE1030ELNS1_3gpuE2ELNS1_3repE0EEENS1_30default_config_static_selectorELNS0_4arch9wavefront6targetE0EEEvT1_.uses_vcc, 0
	.set _ZN7rocprim17ROCPRIM_400000_NS6detail17trampoline_kernelINS0_14default_configENS1_27scan_by_key_config_selectorIiiEEZZNS1_16scan_by_key_implILNS1_25lookback_scan_determinismE0ELb1ES3_N6thrust23THRUST_200600_302600_NS6detail15normal_iteratorINS9_10device_ptrIiEEEESE_SE_iNS9_4plusIiEE19head_flag_predicateiEE10hipError_tPvRmT2_T3_T4_T5_mT6_T7_P12ihipStream_tbENKUlT_T0_E_clISt17integral_constantIbLb1EESX_IbLb0EEEEDaST_SU_EUlST_E_NS1_11comp_targetILNS1_3genE8ELNS1_11target_archE1030ELNS1_3gpuE2ELNS1_3repE0EEENS1_30default_config_static_selectorELNS0_4arch9wavefront6targetE0EEEvT1_.uses_flat_scratch, 0
	.set _ZN7rocprim17ROCPRIM_400000_NS6detail17trampoline_kernelINS0_14default_configENS1_27scan_by_key_config_selectorIiiEEZZNS1_16scan_by_key_implILNS1_25lookback_scan_determinismE0ELb1ES3_N6thrust23THRUST_200600_302600_NS6detail15normal_iteratorINS9_10device_ptrIiEEEESE_SE_iNS9_4plusIiEE19head_flag_predicateiEE10hipError_tPvRmT2_T3_T4_T5_mT6_T7_P12ihipStream_tbENKUlT_T0_E_clISt17integral_constantIbLb1EESX_IbLb0EEEEDaST_SU_EUlST_E_NS1_11comp_targetILNS1_3genE8ELNS1_11target_archE1030ELNS1_3gpuE2ELNS1_3repE0EEENS1_30default_config_static_selectorELNS0_4arch9wavefront6targetE0EEEvT1_.has_dyn_sized_stack, 0
	.set _ZN7rocprim17ROCPRIM_400000_NS6detail17trampoline_kernelINS0_14default_configENS1_27scan_by_key_config_selectorIiiEEZZNS1_16scan_by_key_implILNS1_25lookback_scan_determinismE0ELb1ES3_N6thrust23THRUST_200600_302600_NS6detail15normal_iteratorINS9_10device_ptrIiEEEESE_SE_iNS9_4plusIiEE19head_flag_predicateiEE10hipError_tPvRmT2_T3_T4_T5_mT6_T7_P12ihipStream_tbENKUlT_T0_E_clISt17integral_constantIbLb1EESX_IbLb0EEEEDaST_SU_EUlST_E_NS1_11comp_targetILNS1_3genE8ELNS1_11target_archE1030ELNS1_3gpuE2ELNS1_3repE0EEENS1_30default_config_static_selectorELNS0_4arch9wavefront6targetE0EEEvT1_.has_recursion, 0
	.set _ZN7rocprim17ROCPRIM_400000_NS6detail17trampoline_kernelINS0_14default_configENS1_27scan_by_key_config_selectorIiiEEZZNS1_16scan_by_key_implILNS1_25lookback_scan_determinismE0ELb1ES3_N6thrust23THRUST_200600_302600_NS6detail15normal_iteratorINS9_10device_ptrIiEEEESE_SE_iNS9_4plusIiEE19head_flag_predicateiEE10hipError_tPvRmT2_T3_T4_T5_mT6_T7_P12ihipStream_tbENKUlT_T0_E_clISt17integral_constantIbLb1EESX_IbLb0EEEEDaST_SU_EUlST_E_NS1_11comp_targetILNS1_3genE8ELNS1_11target_archE1030ELNS1_3gpuE2ELNS1_3repE0EEENS1_30default_config_static_selectorELNS0_4arch9wavefront6targetE0EEEvT1_.has_indirect_call, 0
	.section	.AMDGPU.csdata,"",@progbits
; Kernel info:
; codeLenInByte = 0
; TotalNumSgprs: 0
; NumVgprs: 0
; ScratchSize: 0
; MemoryBound: 0
; FloatMode: 240
; IeeeMode: 1
; LDSByteSize: 0 bytes/workgroup (compile time only)
; SGPRBlocks: 0
; VGPRBlocks: 0
; NumSGPRsForWavesPerEU: 1
; NumVGPRsForWavesPerEU: 1
; NamedBarCnt: 0
; Occupancy: 16
; WaveLimiterHint : 0
; COMPUTE_PGM_RSRC2:SCRATCH_EN: 0
; COMPUTE_PGM_RSRC2:USER_SGPR: 2
; COMPUTE_PGM_RSRC2:TRAP_HANDLER: 0
; COMPUTE_PGM_RSRC2:TGID_X_EN: 1
; COMPUTE_PGM_RSRC2:TGID_Y_EN: 0
; COMPUTE_PGM_RSRC2:TGID_Z_EN: 0
; COMPUTE_PGM_RSRC2:TIDIG_COMP_CNT: 0
	.section	.text._ZN7rocprim17ROCPRIM_400000_NS6detail17trampoline_kernelINS0_14default_configENS1_27scan_by_key_config_selectorIiiEEZZNS1_16scan_by_key_implILNS1_25lookback_scan_determinismE0ELb1ES3_N6thrust23THRUST_200600_302600_NS6detail15normal_iteratorINS9_10device_ptrIiEEEESE_SE_iNS9_4plusIiEE19head_flag_predicateiEE10hipError_tPvRmT2_T3_T4_T5_mT6_T7_P12ihipStream_tbENKUlT_T0_E_clISt17integral_constantIbLb0EESX_IbLb1EEEEDaST_SU_EUlST_E_NS1_11comp_targetILNS1_3genE0ELNS1_11target_archE4294967295ELNS1_3gpuE0ELNS1_3repE0EEENS1_30default_config_static_selectorELNS0_4arch9wavefront6targetE0EEEvT1_,"axG",@progbits,_ZN7rocprim17ROCPRIM_400000_NS6detail17trampoline_kernelINS0_14default_configENS1_27scan_by_key_config_selectorIiiEEZZNS1_16scan_by_key_implILNS1_25lookback_scan_determinismE0ELb1ES3_N6thrust23THRUST_200600_302600_NS6detail15normal_iteratorINS9_10device_ptrIiEEEESE_SE_iNS9_4plusIiEE19head_flag_predicateiEE10hipError_tPvRmT2_T3_T4_T5_mT6_T7_P12ihipStream_tbENKUlT_T0_E_clISt17integral_constantIbLb0EESX_IbLb1EEEEDaST_SU_EUlST_E_NS1_11comp_targetILNS1_3genE0ELNS1_11target_archE4294967295ELNS1_3gpuE0ELNS1_3repE0EEENS1_30default_config_static_selectorELNS0_4arch9wavefront6targetE0EEEvT1_,comdat
	.protected	_ZN7rocprim17ROCPRIM_400000_NS6detail17trampoline_kernelINS0_14default_configENS1_27scan_by_key_config_selectorIiiEEZZNS1_16scan_by_key_implILNS1_25lookback_scan_determinismE0ELb1ES3_N6thrust23THRUST_200600_302600_NS6detail15normal_iteratorINS9_10device_ptrIiEEEESE_SE_iNS9_4plusIiEE19head_flag_predicateiEE10hipError_tPvRmT2_T3_T4_T5_mT6_T7_P12ihipStream_tbENKUlT_T0_E_clISt17integral_constantIbLb0EESX_IbLb1EEEEDaST_SU_EUlST_E_NS1_11comp_targetILNS1_3genE0ELNS1_11target_archE4294967295ELNS1_3gpuE0ELNS1_3repE0EEENS1_30default_config_static_selectorELNS0_4arch9wavefront6targetE0EEEvT1_ ; -- Begin function _ZN7rocprim17ROCPRIM_400000_NS6detail17trampoline_kernelINS0_14default_configENS1_27scan_by_key_config_selectorIiiEEZZNS1_16scan_by_key_implILNS1_25lookback_scan_determinismE0ELb1ES3_N6thrust23THRUST_200600_302600_NS6detail15normal_iteratorINS9_10device_ptrIiEEEESE_SE_iNS9_4plusIiEE19head_flag_predicateiEE10hipError_tPvRmT2_T3_T4_T5_mT6_T7_P12ihipStream_tbENKUlT_T0_E_clISt17integral_constantIbLb0EESX_IbLb1EEEEDaST_SU_EUlST_E_NS1_11comp_targetILNS1_3genE0ELNS1_11target_archE4294967295ELNS1_3gpuE0ELNS1_3repE0EEENS1_30default_config_static_selectorELNS0_4arch9wavefront6targetE0EEEvT1_
	.globl	_ZN7rocprim17ROCPRIM_400000_NS6detail17trampoline_kernelINS0_14default_configENS1_27scan_by_key_config_selectorIiiEEZZNS1_16scan_by_key_implILNS1_25lookback_scan_determinismE0ELb1ES3_N6thrust23THRUST_200600_302600_NS6detail15normal_iteratorINS9_10device_ptrIiEEEESE_SE_iNS9_4plusIiEE19head_flag_predicateiEE10hipError_tPvRmT2_T3_T4_T5_mT6_T7_P12ihipStream_tbENKUlT_T0_E_clISt17integral_constantIbLb0EESX_IbLb1EEEEDaST_SU_EUlST_E_NS1_11comp_targetILNS1_3genE0ELNS1_11target_archE4294967295ELNS1_3gpuE0ELNS1_3repE0EEENS1_30default_config_static_selectorELNS0_4arch9wavefront6targetE0EEEvT1_
	.p2align	8
	.type	_ZN7rocprim17ROCPRIM_400000_NS6detail17trampoline_kernelINS0_14default_configENS1_27scan_by_key_config_selectorIiiEEZZNS1_16scan_by_key_implILNS1_25lookback_scan_determinismE0ELb1ES3_N6thrust23THRUST_200600_302600_NS6detail15normal_iteratorINS9_10device_ptrIiEEEESE_SE_iNS9_4plusIiEE19head_flag_predicateiEE10hipError_tPvRmT2_T3_T4_T5_mT6_T7_P12ihipStream_tbENKUlT_T0_E_clISt17integral_constantIbLb0EESX_IbLb1EEEEDaST_SU_EUlST_E_NS1_11comp_targetILNS1_3genE0ELNS1_11target_archE4294967295ELNS1_3gpuE0ELNS1_3repE0EEENS1_30default_config_static_selectorELNS0_4arch9wavefront6targetE0EEEvT1_,@function
_ZN7rocprim17ROCPRIM_400000_NS6detail17trampoline_kernelINS0_14default_configENS1_27scan_by_key_config_selectorIiiEEZZNS1_16scan_by_key_implILNS1_25lookback_scan_determinismE0ELb1ES3_N6thrust23THRUST_200600_302600_NS6detail15normal_iteratorINS9_10device_ptrIiEEEESE_SE_iNS9_4plusIiEE19head_flag_predicateiEE10hipError_tPvRmT2_T3_T4_T5_mT6_T7_P12ihipStream_tbENKUlT_T0_E_clISt17integral_constantIbLb0EESX_IbLb1EEEEDaST_SU_EUlST_E_NS1_11comp_targetILNS1_3genE0ELNS1_11target_archE4294967295ELNS1_3gpuE0ELNS1_3repE0EEENS1_30default_config_static_selectorELNS0_4arch9wavefront6targetE0EEEvT1_: ; @_ZN7rocprim17ROCPRIM_400000_NS6detail17trampoline_kernelINS0_14default_configENS1_27scan_by_key_config_selectorIiiEEZZNS1_16scan_by_key_implILNS1_25lookback_scan_determinismE0ELb1ES3_N6thrust23THRUST_200600_302600_NS6detail15normal_iteratorINS9_10device_ptrIiEEEESE_SE_iNS9_4plusIiEE19head_flag_predicateiEE10hipError_tPvRmT2_T3_T4_T5_mT6_T7_P12ihipStream_tbENKUlT_T0_E_clISt17integral_constantIbLb0EESX_IbLb1EEEEDaST_SU_EUlST_E_NS1_11comp_targetILNS1_3genE0ELNS1_11target_archE4294967295ELNS1_3gpuE0ELNS1_3repE0EEENS1_30default_config_static_selectorELNS0_4arch9wavefront6targetE0EEEvT1_
; %bb.0:
	s_clause 0x2
	s_load_b32 s33, s[0:1], 0x20
	s_load_b128 s[20:23], s[0:1], 0x28
	s_load_b64 s[30:31], s[0:1], 0x38
	v_cmp_ne_u32_e64 s3, 0, v0
	v_cmp_eq_u32_e64 s2, 0, v0
	s_and_saveexec_b32 s4, s2
	s_cbranch_execz .LBB812_4
; %bb.1:
	s_mov_b32 s6, exec_lo
	s_mov_b32 s5, exec_lo
	v_mbcnt_lo_u32_b32 v1, s6, 0
                                        ; implicit-def: $vgpr2
	s_delay_alu instid0(VALU_DEP_1)
	v_cmpx_eq_u32_e32 0, v1
	s_cbranch_execz .LBB812_3
; %bb.2:
	s_load_b64 s[8:9], s[0:1], 0x68
	s_bcnt1_i32_b32 s6, s6
	s_delay_alu instid0(SALU_CYCLE_1)
	v_dual_mov_b32 v2, 0 :: v_dual_mov_b32 v3, s6
	s_wait_xcnt 0x0
	s_wait_kmcnt 0x0
	global_atomic_add_u32 v2, v2, v3, s[8:9] th:TH_ATOMIC_RETURN scope:SCOPE_DEV
.LBB812_3:
	s_wait_xcnt 0x0
	s_or_b32 exec_lo, exec_lo, s5
	s_wait_loadcnt 0x0
	v_readfirstlane_b32 s5, v2
	s_delay_alu instid0(VALU_DEP_1)
	v_dual_mov_b32 v2, 0 :: v_dual_add_nc_u32 v1, s5, v1
	ds_store_b32 v2, v1
.LBB812_4:
	s_or_b32 exec_lo, exec_lo, s4
	v_mov_b32_e32 v3, 0
	s_clause 0x2
	s_load_b256 s[12:19], s[0:1], 0x0
	s_load_b32 s4, s[0:1], 0x40
	s_load_b128 s[24:27], s[0:1], 0x48
	s_wait_dscnt 0x0
	s_barrier_signal -1
	s_barrier_wait -1
	ds_load_b32 v2, v3
	s_mov_b32 s5, 0
	s_wait_dscnt 0x0
	s_barrier_signal -1
	s_barrier_wait -1
	s_barrier_signal -1
	s_barrier_wait -1
	s_wait_kmcnt 0x0
	s_lshl_b64 s[28:29], s[14:15], 2
	s_mul_u64 s[0:1], s[30:31], s[4:5]
	s_add_nc_u64 s[10:11], s[24:25], -1
	s_add_nc_u64 s[6:7], s[12:13], s[28:29]
	s_add_nc_u64 s[8:9], s[16:17], s[28:29]
	s_mul_i32 s23, s10, 0xfffff400
	v_add_nc_u64_e32 v[4:5], s[0:1], v[2:3]
	v_readfirstlane_b32 s36, v2
	s_mul_i32 s4, s36, 0xc00
	v_cmp_le_u64_e64 s0, s[10:11], v[4:5]
	s_lshl_b64 s[16:17], s[4:5], 2
	s_delay_alu instid0(SALU_CYCLE_1)
	s_add_nc_u64 s[34:35], s[6:7], s[16:17]
	s_add_nc_u64 s[24:25], s[8:9], s[16:17]
	s_and_b32 vcc_lo, exec_lo, s0
	s_cbranch_vccz .LBB812_70
; %bb.5:
	flat_load_b32 v1, v3, s[34:35]
	s_add_co_i32 s15, s23, s22
	s_delay_alu instid0(SALU_CYCLE_1)
	v_cmp_gt_u32_e32 vcc_lo, s15, v0
	s_wait_loadcnt_dscnt 0x0
	v_mov_b32_e32 v2, v1
	s_and_saveexec_b32 s1, vcc_lo
	s_cbranch_execz .LBB812_7
; %bb.6:
	flat_load_b32 v2, v0, s[34:35] scale_offset
.LBB812_7:
	s_wait_xcnt 0x0
	s_or_b32 exec_lo, exec_lo, s1
	v_or_b32_e32 v3, 0x100, v0
	s_delay_alu instid0(VALU_DEP_1)
	v_cmp_gt_u32_e64 s1, s15, v3
	v_mov_b32_e32 v3, v1
	s_and_saveexec_b32 s4, s1
	s_cbranch_execz .LBB812_9
; %bb.8:
	flat_load_b32 v3, v0, s[34:35] offset:1024 scale_offset
.LBB812_9:
	s_wait_xcnt 0x0
	s_or_b32 exec_lo, exec_lo, s4
	v_or_b32_e32 v4, 0x200, v0
	s_delay_alu instid0(VALU_DEP_1)
	v_cmp_gt_u32_e64 s4, s15, v4
	v_mov_b32_e32 v4, v1
	s_and_saveexec_b32 s5, s4
	s_cbranch_execz .LBB812_11
; %bb.10:
	flat_load_b32 v4, v0, s[34:35] offset:2048 scale_offset
.LBB812_11:
	s_wait_xcnt 0x0
	s_or_b32 exec_lo, exec_lo, s5
	v_or_b32_e32 v5, 0x300, v0
	s_delay_alu instid0(VALU_DEP_1)
	v_cmp_gt_u32_e64 s5, s15, v5
	v_mov_b32_e32 v5, v1
	s_and_saveexec_b32 s6, s5
	s_cbranch_execz .LBB812_13
; %bb.12:
	flat_load_b32 v5, v0, s[34:35] offset:3072 scale_offset
.LBB812_13:
	s_wait_xcnt 0x0
	s_or_b32 exec_lo, exec_lo, s6
	v_or_b32_e32 v6, 0x400, v0
	s_delay_alu instid0(VALU_DEP_1)
	v_cmp_gt_u32_e64 s6, s15, v6
	v_mov_b32_e32 v6, v1
	s_and_saveexec_b32 s7, s6
	s_cbranch_execz .LBB812_15
; %bb.14:
	flat_load_b32 v6, v0, s[34:35] offset:4096 scale_offset
.LBB812_15:
	s_wait_xcnt 0x0
	s_or_b32 exec_lo, exec_lo, s7
	v_or_b32_e32 v7, 0x500, v0
	s_delay_alu instid0(VALU_DEP_1)
	v_cmp_gt_u32_e64 s7, s15, v7
	v_mov_b32_e32 v7, v1
	s_and_saveexec_b32 s8, s7
	s_cbranch_execz .LBB812_17
; %bb.16:
	flat_load_b32 v7, v0, s[34:35] offset:5120 scale_offset
.LBB812_17:
	s_wait_xcnt 0x0
	s_or_b32 exec_lo, exec_lo, s8
	v_or_b32_e32 v8, 0x600, v0
	s_delay_alu instid0(VALU_DEP_1)
	v_cmp_gt_u32_e64 s8, s15, v8
	v_mov_b32_e32 v8, v1
	s_and_saveexec_b32 s9, s8
	s_cbranch_execz .LBB812_19
; %bb.18:
	flat_load_b32 v8, v0, s[34:35] offset:6144 scale_offset
.LBB812_19:
	s_wait_xcnt 0x0
	s_or_b32 exec_lo, exec_lo, s9
	v_or_b32_e32 v9, 0x700, v0
	s_delay_alu instid0(VALU_DEP_1)
	v_cmp_gt_u32_e64 s9, s15, v9
	v_mov_b32_e32 v9, v1
	s_and_saveexec_b32 s10, s9
	s_cbranch_execz .LBB812_21
; %bb.20:
	flat_load_b32 v9, v0, s[34:35] offset:7168 scale_offset
.LBB812_21:
	s_wait_xcnt 0x0
	s_or_b32 exec_lo, exec_lo, s10
	v_or_b32_e32 v10, 0x800, v0
	s_delay_alu instid0(VALU_DEP_1)
	v_cmp_gt_u32_e64 s10, s15, v10
	v_mov_b32_e32 v10, v1
	s_and_saveexec_b32 s11, s10
	s_cbranch_execz .LBB812_23
; %bb.22:
	flat_load_b32 v10, v0, s[34:35] offset:8192 scale_offset
.LBB812_23:
	s_wait_xcnt 0x0
	s_or_b32 exec_lo, exec_lo, s11
	v_or_b32_e32 v11, 0x900, v0
	s_delay_alu instid0(VALU_DEP_1)
	v_cmp_gt_u32_e64 s11, s15, v11
	v_mov_b32_e32 v11, v1
	s_and_saveexec_b32 s12, s11
	s_cbranch_execz .LBB812_25
; %bb.24:
	flat_load_b32 v11, v0, s[34:35] offset:9216 scale_offset
.LBB812_25:
	s_wait_xcnt 0x0
	s_or_b32 exec_lo, exec_lo, s12
	v_or_b32_e32 v12, 0xa00, v0
	s_delay_alu instid0(VALU_DEP_1)
	v_cmp_gt_u32_e64 s12, s15, v12
	v_mov_b32_e32 v12, v1
	s_and_saveexec_b32 s13, s12
	s_cbranch_execz .LBB812_27
; %bb.26:
	flat_load_b32 v12, v0, s[34:35] offset:10240 scale_offset
.LBB812_27:
	s_wait_xcnt 0x0
	s_or_b32 exec_lo, exec_lo, s13
	v_or_b32_e32 v13, 0xb00, v0
	s_delay_alu instid0(VALU_DEP_1) | instskip(SKIP_2) | instid1(SALU_CYCLE_1)
	v_cmp_gt_u32_e64 s13, s15, v13
	v_cmp_le_u32_e64 s14, s15, v13
	s_and_saveexec_b32 s37, s14
	s_xor_b32 s14, exec_lo, s37
	s_delay_alu instid0(SALU_CYCLE_1)
	s_and_not1_saveexec_b32 s14, s14
	s_cbranch_execz .LBB812_29
; %bb.28:
	flat_load_b32 v1, v0, s[34:35] offset:11264 scale_offset
.LBB812_29:
	s_wait_xcnt 0x0
	s_or_b32 exec_lo, exec_lo, s14
	v_lshlrev_b32_e32 v14, 2, v0
	s_mov_b32 s37, exec_lo
	s_wait_loadcnt_dscnt 0x0
	ds_store_2addr_stride64_b32 v14, v2, v3 offset1:4
	ds_store_2addr_stride64_b32 v14, v4, v5 offset0:8 offset1:12
	ds_store_2addr_stride64_b32 v14, v6, v7 offset0:16 offset1:20
	;; [unrolled: 1-line block ×5, first 2 shown]
	v_mov_b32_e32 v1, 0
	s_wait_dscnt 0x0
	s_barrier_signal -1
	s_barrier_wait -1
	flat_load_b32 v16, v1, s[34:35]
	s_wait_xcnt 0x0
	v_mad_u32_u24 v1, v0, 44, v14
	ds_load_b128 v[10:13], v1
	ds_load_b128 v[6:9], v1 offset:16
	ds_load_b128 v[2:5], v1 offset:32
	v_mad_i32_i24 v15, 0xffffffd4, v0, v1
	s_wait_dscnt 0x2
	ds_store_b32 v15, v10 offset:13312
	s_wait_loadcnt_dscnt 0x0
	s_barrier_signal -1
	s_barrier_wait -1
	v_cmpx_ne_u32_e32 0xff, v0
; %bb.30:
	v_mul_i32_i24_e32 v10, 0xffffffd4, v0
	s_delay_alu instid0(VALU_DEP_1)
	v_add_nc_u32_e32 v10, v1, v10
	ds_load_b32 v16, v10 offset:13316
; %bb.31:
	s_or_b32 exec_lo, exec_lo, s37
	s_wait_dscnt 0x0
	s_barrier_signal -1
	s_barrier_wait -1
                                        ; implicit-def: $vgpr10
	s_and_saveexec_b32 s14, vcc_lo
	s_cbranch_execz .LBB812_106
; %bb.32:
	flat_load_b32 v10, v0, s[24:25] scale_offset
	s_wait_xcnt 0x0
	s_or_b32 exec_lo, exec_lo, s14
                                        ; implicit-def: $vgpr15
	s_and_saveexec_b32 s14, s1
	s_cbranch_execnz .LBB812_107
.LBB812_33:
	s_or_b32 exec_lo, exec_lo, s14
                                        ; implicit-def: $vgpr18
	s_and_saveexec_b32 s1, s4
	s_cbranch_execz .LBB812_108
.LBB812_34:
	flat_load_b32 v18, v0, s[24:25] offset:2048 scale_offset
	s_wait_xcnt 0x0
	s_or_b32 exec_lo, exec_lo, s1
                                        ; implicit-def: $vgpr19
	s_and_saveexec_b32 s1, s5
	s_cbranch_execnz .LBB812_109
.LBB812_35:
	s_or_b32 exec_lo, exec_lo, s1
                                        ; implicit-def: $vgpr20
	s_and_saveexec_b32 s1, s6
	s_cbranch_execz .LBB812_110
.LBB812_36:
	flat_load_b32 v20, v0, s[24:25] offset:4096 scale_offset
	s_wait_xcnt 0x0
	s_or_b32 exec_lo, exec_lo, s1
                                        ; implicit-def: $vgpr21
	s_and_saveexec_b32 s1, s7
	s_cbranch_execnz .LBB812_111
.LBB812_37:
	s_or_b32 exec_lo, exec_lo, s1
                                        ; implicit-def: $vgpr22
	s_and_saveexec_b32 s1, s8
	s_cbranch_execz .LBB812_112
.LBB812_38:
	flat_load_b32 v22, v0, s[24:25] offset:6144 scale_offset
	s_wait_xcnt 0x0
	s_or_b32 exec_lo, exec_lo, s1
                                        ; implicit-def: $vgpr23
	s_and_saveexec_b32 s1, s9
	s_cbranch_execnz .LBB812_113
.LBB812_39:
	s_or_b32 exec_lo, exec_lo, s1
                                        ; implicit-def: $vgpr24
	s_and_saveexec_b32 s1, s10
	s_cbranch_execz .LBB812_114
.LBB812_40:
	flat_load_b32 v24, v0, s[24:25] offset:8192 scale_offset
	s_wait_xcnt 0x0
	s_or_b32 exec_lo, exec_lo, s1
                                        ; implicit-def: $vgpr25
	s_and_saveexec_b32 s1, s11
	s_cbranch_execnz .LBB812_115
.LBB812_41:
	s_or_b32 exec_lo, exec_lo, s1
                                        ; implicit-def: $vgpr26
	s_and_saveexec_b32 s1, s12
	s_cbranch_execz .LBB812_43
.LBB812_42:
	flat_load_b32 v26, v0, s[24:25] offset:10240 scale_offset
.LBB812_43:
	s_wait_xcnt 0x0
	s_or_b32 exec_lo, exec_lo, s1
	v_mul_u32_u24_e32 v17, 12, v0
                                        ; implicit-def: $vgpr27
	s_and_saveexec_b32 s1, s13
	s_cbranch_execz .LBB812_45
; %bb.44:
	flat_load_b32 v27, v0, s[24:25] offset:11264 scale_offset
.LBB812_45:
	s_wait_xcnt 0x0
	s_or_b32 exec_lo, exec_lo, s1
	s_wait_loadcnt_dscnt 0x0
	ds_store_2addr_stride64_b32 v14, v10, v15 offset1:4
	ds_store_2addr_stride64_b32 v14, v18, v19 offset0:8 offset1:12
	ds_store_2addr_stride64_b32 v14, v20, v21 offset0:16 offset1:20
	;; [unrolled: 1-line block ×5, first 2 shown]
	v_mov_b64_e32 v[14:15], 0
	v_mov_b64_e32 v[42:43], 0
	;; [unrolled: 1-line block ×21, first 2 shown]
	s_mov_b32 s1, 0
	s_mov_b32 s5, 0
	s_mov_b32 s4, exec_lo
	s_wait_dscnt 0x0
	s_barrier_signal -1
	s_barrier_wait -1
                                        ; implicit-def: $sgpr6
                                        ; implicit-def: $vgpr10
	v_cmpx_gt_u32_e64 s15, v17
	s_cbranch_execz .LBB812_69
; %bb.46:
	ds_load_b32 v10, v1
	v_cmp_eq_u32_e32 vcc_lo, 0, v11
	v_or_b32_e32 v36, 1, v17
	v_mov_b64_e32 v[42:43], 0
	v_mov_b64_e32 v[40:41], 0
	;; [unrolled: 1-line block ×17, first 2 shown]
	s_wait_dscnt 0x0
	v_cndmask_b32_e32 v14, s33, v10, vcc_lo
	v_cmp_ne_u32_e32 vcc_lo, 0, v11
	v_mov_b64_e32 v[20:21], 0
	v_mov_b64_e32 v[18:19], 0
	s_mov_b32 s7, 0
	s_mov_b32 s5, exec_lo
	v_cndmask_b32_e64 v15, 0, 1, vcc_lo
                                        ; implicit-def: $sgpr6
                                        ; implicit-def: $vgpr10
	v_cmpx_gt_u32_e64 s15, v36
	s_cbranch_execz .LBB812_68
; %bb.47:
	ds_load_2addr_b32 v[10:11], v1 offset0:1 offset1:2
	v_cmp_eq_u32_e32 vcc_lo, 0, v12
	v_or_b32_e32 v34, 2, v17
	v_mov_b64_e32 v[40:41], 0
	v_mov_b64_e32 v[44:45], 0
	;; [unrolled: 1-line block ×17, first 2 shown]
	s_wait_dscnt 0x0
	v_cndmask_b32_e32 v42, s33, v10, vcc_lo
	v_cmp_ne_u32_e32 vcc_lo, 0, v12
	s_mov_b32 s8, 0
	s_mov_b32 s7, exec_lo
                                        ; implicit-def: $sgpr6
                                        ; implicit-def: $vgpr10
	v_cndmask_b32_e64 v43, 0, 1, vcc_lo
	v_cmpx_gt_u32_e64 s15, v34
	s_cbranch_execz .LBB812_67
; %bb.48:
	v_cmp_eq_u32_e32 vcc_lo, 0, v13
	v_mov_b64_e32 v[44:45], 0
	v_mov_b64_e32 v[46:47], 0
	;; [unrolled: 1-line block ×4, first 2 shown]
	v_dual_cndmask_b32 v40, s33, v11, vcc_lo :: v_dual_bitop2_b32 v10, 3, v17 bitop3:0x54
	v_cmp_ne_u32_e32 vcc_lo, 0, v13
	v_mov_b64_e32 v[52:53], 0
	v_mov_b64_e32 v[54:55], 0
	v_mov_b64_e32 v[56:57], 0
	v_mov_b64_e32 v[58:59], 0
	v_mov_b64_e32 v[30:31], 0
	v_mov_b64_e32 v[28:29], 0
	v_mov_b64_e32 v[26:27], 0
	v_mov_b64_e32 v[24:25], 0
	v_mov_b64_e32 v[22:23], 0
	v_mov_b64_e32 v[20:21], 0
	v_mov_b64_e32 v[18:19], 0
	v_cndmask_b32_e64 v41, 0, 1, vcc_lo
	v_cmp_gt_u32_e32 vcc_lo, s15, v10
	s_mov_b32 s9, 0
                                        ; implicit-def: $sgpr6
                                        ; implicit-def: $vgpr10
	s_and_saveexec_b32 s8, vcc_lo
	s_cbranch_execz .LBB812_66
; %bb.49:
	ds_load_2addr_b32 v[10:11], v1 offset0:3 offset1:4
	v_cmp_ne_u32_e32 vcc_lo, 0, v6
	v_mov_b64_e32 v[46:47], 0
	v_mov_b64_e32 v[48:49], 0
	;; [unrolled: 1-line block ×4, first 2 shown]
	v_cndmask_b32_e64 v45, 0, 1, vcc_lo
	v_cmp_eq_u32_e32 vcc_lo, 0, v6
	v_mov_b64_e32 v[54:55], 0
	v_mov_b64_e32 v[56:57], 0
	;; [unrolled: 1-line block ×9, first 2 shown]
	v_add_nc_u32_e32 v12, 4, v17
	s_mov_b32 s10, 0
	s_mov_b32 s9, exec_lo
	s_wait_dscnt 0x0
	v_cndmask_b32_e32 v44, s33, v10, vcc_lo
                                        ; implicit-def: $sgpr6
                                        ; implicit-def: $vgpr10
	v_cmpx_gt_u32_e64 s15, v12
	s_cbranch_execz .LBB812_65
; %bb.50:
	v_cmp_eq_u32_e32 vcc_lo, 0, v7
	v_mov_b64_e32 v[48:49], 0
	v_mov_b64_e32 v[50:51], 0
	;; [unrolled: 1-line block ×4, first 2 shown]
	v_dual_cndmask_b32 v46, s33, v11, vcc_lo :: v_dual_add_nc_u32 v6, 5, v17
	v_cmp_ne_u32_e32 vcc_lo, 0, v7
	v_mov_b64_e32 v[56:57], 0
	v_mov_b64_e32 v[58:59], 0
	;; [unrolled: 1-line block ×7, first 2 shown]
	v_cndmask_b32_e64 v47, 0, 1, vcc_lo
	s_mov_b32 s11, 0
	s_mov_b32 s10, exec_lo
                                        ; implicit-def: $sgpr6
                                        ; implicit-def: $vgpr10
	v_cmpx_gt_u32_e64 s15, v6
	s_cbranch_execz .LBB812_64
; %bb.51:
	ds_load_2addr_b32 v[6:7], v1 offset0:5 offset1:6
	v_cmp_ne_u32_e32 vcc_lo, 0, v8
	v_mov_b64_e32 v[50:51], 0
	v_mov_b64_e32 v[52:53], 0
	;; [unrolled: 1-line block ×4, first 2 shown]
	v_cndmask_b32_e64 v49, 0, 1, vcc_lo
	v_cmp_eq_u32_e32 vcc_lo, 0, v8
	v_add_nc_u32_e32 v10, 6, v17
	v_mov_b64_e32 v[58:59], 0
	v_mov_b64_e32 v[24:25], 0
	;; [unrolled: 1-line block ×5, first 2 shown]
	s_mov_b32 s12, 0
                                        ; implicit-def: $sgpr6
	s_wait_dscnt 0x0
	v_cndmask_b32_e32 v48, s33, v6, vcc_lo
	v_cmp_gt_u32_e32 vcc_lo, s15, v10
                                        ; implicit-def: $vgpr10
	s_and_saveexec_b32 s11, vcc_lo
	s_cbranch_execz .LBB812_63
; %bb.52:
	v_cmp_eq_u32_e32 vcc_lo, 0, v9
	v_mov_b64_e32 v[52:53], 0
	v_mov_b64_e32 v[54:55], 0
	;; [unrolled: 1-line block ×4, first 2 shown]
	v_dual_cndmask_b32 v50, s33, v7, vcc_lo :: v_dual_add_nc_u32 v6, 7, v17
	v_cmp_ne_u32_e32 vcc_lo, 0, v9
	v_mov_b64_e32 v[22:23], 0
	v_mov_b64_e32 v[20:21], 0
	;; [unrolled: 1-line block ×3, first 2 shown]
	s_mov_b32 s13, 0
	v_cndmask_b32_e64 v51, 0, 1, vcc_lo
	s_mov_b32 s12, exec_lo
                                        ; implicit-def: $sgpr6
                                        ; implicit-def: $vgpr10
	v_cmpx_gt_u32_e64 s15, v6
	s_cbranch_execz .LBB812_62
; %bb.53:
	ds_load_2addr_b32 v[6:7], v1 offset0:7 offset1:8
	v_cmp_ne_u32_e32 vcc_lo, 0, v2
	v_mov_b64_e32 v[54:55], 0
	v_mov_b64_e32 v[56:57], 0
	;; [unrolled: 1-line block ×4, first 2 shown]
	v_cndmask_b32_e64 v53, 0, 1, vcc_lo
	v_cmp_eq_u32_e32 vcc_lo, 0, v2
	v_mov_b64_e32 v[18:19], 0
	v_add_nc_u32_e32 v8, 8, v17
	s_mov_b32 s14, 0
	s_mov_b32 s13, exec_lo
                                        ; implicit-def: $sgpr6
                                        ; implicit-def: $vgpr10
	s_wait_dscnt 0x0
	v_cndmask_b32_e32 v52, s33, v6, vcc_lo
	v_cmpx_gt_u32_e64 s15, v8
	s_cbranch_execz .LBB812_61
; %bb.54:
	v_cmp_eq_u32_e32 vcc_lo, 0, v3
	v_mov_b64_e32 v[56:57], 0
	v_mov_b64_e32 v[58:59], 0
	;; [unrolled: 1-line block ×3, first 2 shown]
	s_mov_b32 s37, 0
	v_dual_cndmask_b32 v54, s33, v7, vcc_lo :: v_dual_add_nc_u32 v2, 9, v17
	v_cmp_ne_u32_e32 vcc_lo, 0, v3
	s_mov_b32 s14, exec_lo
                                        ; implicit-def: $sgpr6
                                        ; implicit-def: $vgpr10
	v_cndmask_b32_e64 v55, 0, 1, vcc_lo
	s_delay_alu instid0(VALU_DEP_3)
	v_cmpx_gt_u32_e64 s15, v2
	s_cbranch_execz .LBB812_60
; %bb.55:
	ds_load_2addr_b32 v[2:3], v1 offset0:9 offset1:10
	v_cmp_ne_u32_e32 vcc_lo, 0, v4
	v_mov_b64_e32 v[58:59], 0
	s_mov_b32 s38, 0
	s_mov_b32 s37, exec_lo
                                        ; implicit-def: $sgpr6
                                        ; implicit-def: $vgpr10
	v_cndmask_b32_e64 v57, 0, 1, vcc_lo
	v_cmp_eq_u32_e32 vcc_lo, 0, v4
	s_wait_dscnt 0x0
	v_dual_add_nc_u32 v6, 10, v17 :: v_dual_cndmask_b32 v56, s33, v2, vcc_lo
	s_delay_alu instid0(VALU_DEP_1)
	v_cmpx_gt_u32_e64 s15, v6
	s_cbranch_execz .LBB812_59
; %bb.56:
	v_cmp_eq_u32_e32 vcc_lo, 0, v5
	v_add_nc_u32_e32 v2, 11, v17
                                        ; implicit-def: $sgpr6
                                        ; implicit-def: $vgpr10
	v_cndmask_b32_e32 v58, s33, v3, vcc_lo
	v_cmp_ne_u32_e32 vcc_lo, 0, v5
	v_cndmask_b32_e64 v59, 0, 1, vcc_lo
	s_delay_alu instid0(VALU_DEP_4) | instskip(SKIP_2) | instid1(SALU_CYCLE_1)
	v_cmp_gt_u32_e32 vcc_lo, s15, v2
	s_mov_b32 s15, 0
	s_and_saveexec_b32 s38, vcc_lo
	s_xor_b32 s38, exec_lo, s38
	s_cbranch_execz .LBB812_58
; %bb.57:
	ds_load_b32 v1, v1 offset:44
	v_cmp_ne_u32_e64 s6, 0, v16
	s_mov_b32 s15, exec_lo
	s_wait_dscnt 0x0
	v_cndmask_b32_e64 v10, v1, s33, s6
.LBB812_58:
	s_or_b32 exec_lo, exec_lo, s38
	s_delay_alu instid0(SALU_CYCLE_1)
	s_and_b32 s38, s15, exec_lo
.LBB812_59:
	s_or_b32 exec_lo, exec_lo, s37
	v_mov_b64_e32 v[18:19], v[58:59]
	s_and_b32 s37, s38, exec_lo
.LBB812_60:
	s_or_b32 exec_lo, exec_lo, s14
	v_mov_b64_e32 v[20:21], v[56:57]
	s_and_b32 s14, s37, exec_lo
.LBB812_61:
	s_or_b32 exec_lo, exec_lo, s13
	v_mov_b64_e32 v[22:23], v[54:55]
	s_and_b32 s13, s14, exec_lo
.LBB812_62:
	s_or_b32 exec_lo, exec_lo, s12
	v_mov_b64_e32 v[24:25], v[52:53]
	s_and_b32 s12, s13, exec_lo
.LBB812_63:
	s_or_b32 exec_lo, exec_lo, s11
	v_mov_b64_e32 v[26:27], v[50:51]
	s_and_b32 s11, s12, exec_lo
.LBB812_64:
	s_or_b32 exec_lo, exec_lo, s10
	v_mov_b64_e32 v[28:29], v[48:49]
	s_and_b32 s10, s11, exec_lo
.LBB812_65:
	s_or_b32 exec_lo, exec_lo, s9
	v_mov_b64_e32 v[30:31], v[46:47]
	s_and_b32 s9, s10, exec_lo
.LBB812_66:
	s_or_b32 exec_lo, exec_lo, s8
	v_mov_b64_e32 v[32:33], v[44:45]
	s_and_b32 s8, s9, exec_lo
.LBB812_67:
	s_or_b32 exec_lo, exec_lo, s7
	v_mov_b64_e32 v[34:35], v[40:41]
	s_and_b32 s7, s8, exec_lo
.LBB812_68:
	s_or_b32 exec_lo, exec_lo, s5
	v_mov_b64_e32 v[36:37], v[42:43]
	s_and_b32 s5, s7, exec_lo
.LBB812_69:
	s_or_b32 exec_lo, exec_lo, s4
	v_lshlrev_b32_e32 v16, 2, v0
	s_and_b32 vcc_lo, exec_lo, s1
	s_cbranch_vccnz .LBB812_71
	s_branch .LBB812_76
.LBB812_70:
                                        ; implicit-def: $sgpr6
                                        ; implicit-def: $vgpr10
                                        ; implicit-def: $vgpr14_vgpr15
                                        ; implicit-def: $vgpr42_vgpr43
                                        ; implicit-def: $vgpr40_vgpr41
                                        ; implicit-def: $vgpr44_vgpr45
                                        ; implicit-def: $vgpr46_vgpr47
                                        ; implicit-def: $vgpr48_vgpr49
                                        ; implicit-def: $vgpr50_vgpr51
                                        ; implicit-def: $vgpr52_vgpr53
                                        ; implicit-def: $vgpr54_vgpr55
                                        ; implicit-def: $vgpr56_vgpr57
                                        ; implicit-def: $vgpr58_vgpr59
                                        ; implicit-def: $vgpr36_vgpr37
                                        ; implicit-def: $vgpr34_vgpr35
                                        ; implicit-def: $vgpr32_vgpr33
                                        ; implicit-def: $vgpr30_vgpr31
                                        ; implicit-def: $vgpr28_vgpr29
                                        ; implicit-def: $vgpr26_vgpr27
                                        ; implicit-def: $vgpr24_vgpr25
                                        ; implicit-def: $vgpr22_vgpr23
                                        ; implicit-def: $vgpr20_vgpr21
                                        ; implicit-def: $vgpr18_vgpr19
	v_lshlrev_b32_e32 v16, 2, v0
	s_cbranch_execz .LBB812_76
.LBB812_71:
	s_clause 0xb
	flat_load_b32 v1, v0, s[34:35] scale_offset
	flat_load_b32 v2, v0, s[34:35] offset:1024 scale_offset
	flat_load_b32 v3, v0, s[34:35] offset:2048 scale_offset
	;; [unrolled: 1-line block ×11, first 2 shown]
	v_mov_b32_e32 v13, 0
	v_mad_u32_u24 v17, v0, 44, v16
	s_mov_b32 s1, exec_lo
	s_wait_loadcnt_dscnt 0xa0a
	ds_store_2addr_stride64_b32 v16, v1, v2 offset1:4
	s_wait_loadcnt_dscnt 0x809
	ds_store_2addr_stride64_b32 v16, v3, v4 offset0:8 offset1:12
	s_wait_loadcnt_dscnt 0x608
	ds_store_2addr_stride64_b32 v16, v5, v6 offset0:16 offset1:20
	;; [unrolled: 2-line block ×5, first 2 shown]
	s_wait_dscnt 0x0
	s_barrier_signal -1
	s_barrier_wait -1
	flat_load_b32 v1, v13, s[34:35] offset:12288
	s_wait_xcnt 0x0
	ds_load_b128 v[10:13], v17
	ds_load_b128 v[6:9], v17 offset:16
	ds_load_b128 v[2:5], v17 offset:32
	v_mad_i32_i24 v14, 0xffffffd4, v0, v17
	s_wait_dscnt 0x2
	ds_store_b32 v14, v10 offset:13312
	s_wait_loadcnt_dscnt 0x0
	s_barrier_signal -1
	s_barrier_wait -1
	v_cmpx_ne_u32_e32 0xff, v0
; %bb.72:
	v_mul_i32_i24_e32 v1, 0xffffffd4, v0
	s_delay_alu instid0(VALU_DEP_1)
	v_add_nc_u32_e32 v1, v17, v1
	ds_load_b32 v1, v1 offset:13316
; %bb.73:
	s_or_b32 exec_lo, exec_lo, s1
	s_wait_dscnt 0x0
	s_barrier_signal -1
	s_barrier_wait -1
	s_clause 0xb
	flat_load_b32 v10, v0, s[24:25] scale_offset
	flat_load_b32 v14, v0, s[24:25] offset:1024 scale_offset
	flat_load_b32 v15, v0, s[24:25] offset:2048 scale_offset
	;; [unrolled: 1-line block ×11, first 2 shown]
	v_cmp_eq_u32_e32 vcc_lo, 0, v11
	v_mov_b32_e32 v11, s33
	s_wait_loadcnt_dscnt 0xa0a
	ds_store_2addr_stride64_b32 v16, v10, v14 offset1:4
	s_wait_loadcnt_dscnt 0x809
	ds_store_2addr_stride64_b32 v16, v15, v18 offset0:8 offset1:12
	s_wait_loadcnt_dscnt 0x608
	ds_store_2addr_stride64_b32 v16, v19, v20 offset0:16 offset1:20
	;; [unrolled: 2-line block ×5, first 2 shown]
	s_wait_dscnt 0x0
	s_barrier_signal -1
	s_barrier_wait -1
	ds_load_2addr_b32 v[26:27], v17 offset0:1 offset1:2
	ds_load_2addr_b32 v[24:25], v17 offset0:3 offset1:4
	;; [unrolled: 1-line block ×5, first 2 shown]
	ds_load_b32 v10, v17 offset:44
	v_mov_b64_e32 v[14:15], 0x100000000
	s_and_saveexec_b32 s1, vcc_lo
; %bb.74:
	ds_load_b32 v11, v17
	v_mov_b64_e32 v[14:15], 0
; %bb.75:
	s_or_b32 exec_lo, exec_lo, s1
	v_cmp_eq_u32_e32 vcc_lo, 0, v12
	s_wait_dscnt 0x0
	s_delay_alu instid0(VALU_DEP_2)
	v_or_b32_e32 v14, v14, v11
	v_cmp_ne_u32_e64 s6, 0, v1
	s_mov_b32 s5, -1
	v_cndmask_b32_e32 v42, s33, v26, vcc_lo
	v_cmp_ne_u32_e32 vcc_lo, 0, v12
	v_cndmask_b32_e64 v10, v10, s33, s6
	v_cndmask_b32_e64 v43, 0, 1, vcc_lo
	v_cmp_eq_u32_e32 vcc_lo, 0, v13
	s_delay_alu instid0(VALU_DEP_2) | instskip(SKIP_4) | instid1(VALU_DEP_2)
	v_mov_b64_e32 v[36:37], v[42:43]
	v_cndmask_b32_e32 v40, s33, v27, vcc_lo
	v_cmp_ne_u32_e32 vcc_lo, 0, v13
	v_cndmask_b32_e64 v41, 0, 1, vcc_lo
	v_cmp_eq_u32_e32 vcc_lo, 0, v6
	v_mov_b64_e32 v[34:35], v[40:41]
	v_cndmask_b32_e32 v44, s33, v24, vcc_lo
	v_cmp_ne_u32_e32 vcc_lo, 0, v6
	v_cndmask_b32_e64 v45, 0, 1, vcc_lo
	v_cmp_eq_u32_e32 vcc_lo, 0, v7
	s_delay_alu instid0(VALU_DEP_2) | instskip(SKIP_4) | instid1(VALU_DEP_2)
	v_mov_b64_e32 v[32:33], v[44:45]
	v_cndmask_b32_e32 v46, s33, v25, vcc_lo
	v_cmp_ne_u32_e32 vcc_lo, 0, v7
	v_cndmask_b32_e64 v47, 0, 1, vcc_lo
	v_cmp_eq_u32_e32 vcc_lo, 0, v8
	v_mov_b64_e32 v[30:31], v[46:47]
	v_cndmask_b32_e32 v48, s33, v22, vcc_lo
	v_cmp_ne_u32_e32 vcc_lo, 0, v8
	;; [unrolled: 11-line block ×4, first 2 shown]
	v_cndmask_b32_e64 v57, 0, 1, vcc_lo
	v_cmp_eq_u32_e32 vcc_lo, 0, v5
	s_delay_alu instid0(VALU_DEP_2) | instskip(SKIP_3) | instid1(VALU_DEP_1)
	v_mov_b64_e32 v[20:21], v[56:57]
	v_cndmask_b32_e32 v58, s33, v19, vcc_lo
	v_cmp_ne_u32_e32 vcc_lo, 0, v5
	v_cndmask_b32_e64 v59, 0, 1, vcc_lo
	v_mov_b64_e32 v[18:19], v[58:59]
.LBB812_76:
	v_mov_b64_e32 v[38:39], 0
	s_and_saveexec_b32 s1, s5
	s_cbranch_execz .LBB812_78
; %bb.77:
	v_cndmask_b32_e64 v11, 0, 1, s6
	v_mov_b64_e32 v[18:19], v[58:59]
	v_mov_b64_e32 v[20:21], v[56:57]
	;; [unrolled: 1-line block ×11, first 2 shown]
.LBB812_78:
	s_or_b32 exec_lo, exec_lo, s1
	v_dual_lshrrev_b32 v1, 2, v0 :: v_dual_bitop2_b32 v40, v25, v23 bitop3:0x54
	s_delay_alu instid0(VALU_DEP_3)
	v_or_b32_e32 v17, v21, v19
	s_cmp_lg_u32 s36, 0
	v_cmp_gt_u32_e32 vcc_lo, 32, v0
	s_barrier_signal -1
	s_barrier_wait -1
	s_cbranch_scc0 .LBB812_116
; %bb.79:
	s_mov_b64 s[14:15], 0x100000000
	v_or3_b32 v3, v40, v27, v29
	v_cmp_gt_u64_e64 s1, s[14:15], v[36:37]
	v_cmp_gt_u64_e64 s4, s[14:15], v[34:35]
	;; [unrolled: 1-line block ×7, first 2 shown]
	v_dual_cndmask_b32 v2, 0, v14, s1 :: v_dual_bitop2_b32 v5, 56, v1 bitop3:0x40
	v_cmp_gt_u64_e64 s9, s[14:15], v[24:25]
	v_cmp_gt_u64_e64 s10, s[14:15], v[22:23]
	;; [unrolled: 1-line block ×3, first 2 shown]
	s_delay_alu instid0(VALU_DEP_4) | instskip(SKIP_3) | instid1(VALU_DEP_4)
	v_add_nc_u32_e32 v2, v2, v36
	v_or3_b32 v3, v3, v31, v33
	v_cmp_gt_u64_e64 s12, s[14:15], v[18:19]
	v_lshl_add_u32 v5, v0, 3, v5
	v_cndmask_b32_e64 v2, 0, v2, s4
	s_delay_alu instid0(VALU_DEP_4) | instskip(NEXT) | instid1(VALU_DEP_2)
	v_or3_b32 v3, v3, v35, v37
	v_add_nc_u32_e32 v2, v2, v34
	s_delay_alu instid0(VALU_DEP_2) | instskip(NEXT) | instid1(VALU_DEP_2)
	v_or3_b32 v3, v39, v17, v3
	v_cndmask_b32_e64 v2, 0, v2, s5
	s_delay_alu instid0(VALU_DEP_2) | instskip(NEXT) | instid1(VALU_DEP_2)
	v_and_b32_e32 v3, 0xff, v3
	v_add_nc_u32_e32 v2, v2, v32
	s_delay_alu instid0(VALU_DEP_1) | instskip(NEXT) | instid1(VALU_DEP_1)
	v_cndmask_b32_e64 v2, 0, v2, s6
	v_add_nc_u32_e32 v2, v2, v30
	s_delay_alu instid0(VALU_DEP_1) | instskip(NEXT) | instid1(VALU_DEP_1)
	v_cndmask_b32_e64 v2, 0, v2, s7
	;; [unrolled: 3-line block ×7, first 2 shown]
	v_dual_add_nc_u32 v4, v2, v18 :: v_dual_mov_b32 v2, 0
	s_delay_alu instid0(VALU_DEP_1) | instskip(NEXT) | instid1(VALU_DEP_2)
	v_cndmask_b32_e64 v4, 0, v4, s13
	v_cmp_eq_u64_e64 s13, 0, v[2:3]
	s_delay_alu instid0(VALU_DEP_1)
	v_dual_add_nc_u32 v12, v4, v38 :: v_dual_cndmask_b32 v13, 1, v15, s13
	ds_store_b32 v5, v12
	ds_store_b8 v5, v13 offset:4
	s_wait_dscnt 0x0
	s_barrier_signal -1
	s_barrier_wait -1
	s_and_saveexec_b32 s14, vcc_lo
	s_cbranch_execz .LBB812_89
; %bb.80:
	v_dual_lshlrev_b32 v2, 1, v0 :: v_dual_lshlrev_b32 v3, 6, v0
	s_mov_b32 s15, exec_lo
	s_delay_alu instid0(VALU_DEP_1) | instskip(NEXT) | instid1(VALU_DEP_1)
	v_and_b32_e32 v2, 0x1f8, v2
	v_add_nc_u32_e32 v4, v2, v3
	ds_load_u8 v5, v4 offset:12
	ds_load_b64 v[2:3], v4
	ds_load_2addr_b32 v[6:7], v4 offset0:2 offset1:4
	ds_load_u8 v10, v4 offset:20
	ds_load_u8 v11, v4 offset:28
	;; [unrolled: 1-line block ×5, first 2 shown]
	ds_load_b32 v44, v4 offset:56
	s_wait_dscnt 0x8
	v_cmp_eq_u16_e64 s13, 0, v5
	s_wait_dscnt 0x5
	s_delay_alu instid0(VALU_DEP_1)
	v_dual_cndmask_b32 v45, 0, v2, s13 :: v_dual_bitop2_b32 v5, v10, v5 bitop3:0x54
	ds_load_2addr_b32 v[8:9], v4 offset0:6 offset1:8
	v_cmp_eq_u16_e64 s13, 0, v10
	s_wait_dscnt 0x4
	v_bitop3_b16 v5, v5, v41, v11 bitop3:0xfe
	v_add_nc_u32_e32 v6, v45, v6
	s_delay_alu instid0(VALU_DEP_1) | instskip(SKIP_1) | instid1(VALU_DEP_2)
	v_cndmask_b32_e64 v6, 0, v6, s13
	v_cmp_eq_u16_e64 s13, 0, v11
	v_add_nc_u32_e32 v6, v6, v7
	s_delay_alu instid0(VALU_DEP_1)
	v_cndmask_b32_e64 v45, 0, v6, s13
	ds_load_2addr_b32 v[6:7], v4 offset0:10 offset1:12
	v_cmp_eq_u16_e64 s13, 0, v41
	s_wait_dscnt 0x1
	v_add_nc_u32_e32 v8, v45, v8
	ds_load_u8 v45, v4 offset:60
	v_cndmask_b32_e64 v8, 0, v8, s13
	v_cmp_eq_u16_e64 s13, 0, v42
	s_delay_alu instid0(VALU_DEP_2) | instskip(SKIP_1) | instid1(VALU_DEP_2)
	v_add_nc_u32_e32 v8, v8, v9
	v_bitop3_b16 v9, v5, v43, v42 bitop3:0xfe
	v_dual_cndmask_b32 v8, 0, v8, s13 :: v_dual_bitop2_b32 v5, 1, v3 bitop3:0x40
	s_delay_alu instid0(VALU_DEP_2) | instskip(SKIP_1) | instid1(VALU_DEP_2)
	v_cmp_eq_u16_e64 s13, 0, v9
	s_wait_dscnt 0x0
	v_dual_add_nc_u32 v6, v8, v6 :: v_dual_bitop2_b32 v8, 1, v45 bitop3:0x40
	s_delay_alu instid0(VALU_DEP_2) | instskip(SKIP_1) | instid1(VALU_DEP_1)
	v_cndmask_b32_e64 v9, 1, v5, s13
	v_cmp_eq_u16_e64 s13, 0, v43
	v_cndmask_b32_e64 v6, 0, v6, s13
	s_delay_alu instid0(VALU_DEP_4) | instskip(SKIP_1) | instid1(VALU_DEP_2)
	v_cmp_eq_u32_e64 s13, 1, v8
	v_mbcnt_lo_u32_b32 v8, -1, 0
	v_cndmask_b32_e64 v9, v9, 1, s13
	v_cmp_eq_u16_e64 s13, 0, v45
	s_delay_alu instid0(VALU_DEP_2) | instskip(SKIP_2) | instid1(VALU_DEP_1)
	v_and_b32_e32 v10, 0xffff, v9
	v_add_nc_u32_e32 v7, v6, v7
	v_and_b32_e32 v6, 0xffffff00, v3
	v_dual_cndmask_b32 v7, 0, v7, s13 :: v_dual_bitop2_b32 v11, v6, v10 bitop3:0x54
	v_and_b32_e32 v10, 15, v8
	s_delay_alu instid0(VALU_DEP_2) | instskip(NEXT) | instid1(VALU_DEP_3)
	v_mov_b32_dpp v42, v11 row_shr:1 row_mask:0xf bank_mask:0xf
	v_add_nc_u32_e32 v7, v7, v44
	s_delay_alu instid0(VALU_DEP_1) | instskip(NEXT) | instid1(VALU_DEP_4)
	v_mov_b32_dpp v41, v7 row_shr:1 row_mask:0xf bank_mask:0xf
	v_cmpx_ne_u32_e32 0, v10
	s_cbranch_execz .LBB812_82
; %bb.81:
	v_and_b32_e32 v11, 1, v9
	v_and_b32_e32 v42, 1, v42
	s_delay_alu instid0(VALU_DEP_2) | instskip(NEXT) | instid1(VALU_DEP_1)
	v_cmp_eq_u32_e64 s13, 1, v11
	v_cndmask_b32_e64 v42, v42, 1, s13
	v_cmp_eq_u16_e64 s13, 0, v9
	s_delay_alu instid0(VALU_DEP_2) | instskip(NEXT) | instid1(VALU_DEP_1)
	v_and_b32_e32 v11, 0xffff, v42
	v_dual_cndmask_b32 v9, 0, v41, s13 :: v_dual_bitop2_b32 v11, v6, v11 bitop3:0x54
	s_delay_alu instid0(VALU_DEP_1)
	v_dual_add_nc_u32 v7, v9, v7 :: v_dual_mov_b32 v9, v42
.LBB812_82:
	s_or_b32 exec_lo, exec_lo, s15
	s_delay_alu instid0(VALU_DEP_1) | instskip(NEXT) | instid1(VALU_DEP_3)
	v_mov_b32_dpp v41, v7 row_shr:2 row_mask:0xf bank_mask:0xf
	v_mov_b32_dpp v42, v11 row_shr:2 row_mask:0xf bank_mask:0xf
	s_mov_b32 s15, exec_lo
	v_cmpx_lt_u32_e32 1, v10
	s_cbranch_execz .LBB812_84
; %bb.83:
	v_and_b32_e32 v11, 1, v9
	v_and_b32_e32 v42, 1, v42
	s_delay_alu instid0(VALU_DEP_2) | instskip(NEXT) | instid1(VALU_DEP_1)
	v_cmp_eq_u32_e64 s13, 1, v11
	v_cndmask_b32_e64 v42, v42, 1, s13
	v_cmp_eq_u16_e64 s13, 0, v9
	s_delay_alu instid0(VALU_DEP_2) | instskip(NEXT) | instid1(VALU_DEP_1)
	v_and_b32_e32 v11, 0xffff, v42
	v_dual_cndmask_b32 v9, 0, v41, s13 :: v_dual_bitop2_b32 v11, v6, v11 bitop3:0x54
	s_delay_alu instid0(VALU_DEP_1)
	v_dual_add_nc_u32 v7, v9, v7 :: v_dual_mov_b32 v9, v42
.LBB812_84:
	s_or_b32 exec_lo, exec_lo, s15
	s_delay_alu instid0(VALU_DEP_1) | instskip(NEXT) | instid1(VALU_DEP_3)
	v_mov_b32_dpp v41, v7 row_shr:4 row_mask:0xf bank_mask:0xf
	v_mov_b32_dpp v42, v11 row_shr:4 row_mask:0xf bank_mask:0xf
	s_mov_b32 s15, exec_lo
	v_cmpx_lt_u32_e32 3, v10
	;; [unrolled: 20-line block ×3, first 2 shown]
	s_cbranch_execz .LBB812_88
; %bb.87:
	v_and_b32_e32 v10, 1, v9
	v_and_b32_e32 v11, 1, v42
	s_delay_alu instid0(VALU_DEP_2) | instskip(NEXT) | instid1(VALU_DEP_1)
	v_cmp_eq_u32_e64 s13, 1, v10
	v_cndmask_b32_e64 v10, v11, 1, s13
	v_cmp_eq_u16_e64 s13, 0, v9
	s_delay_alu instid0(VALU_DEP_2) | instskip(NEXT) | instid1(VALU_DEP_1)
	v_and_b32_e32 v11, 0xffff, v10
	v_dual_cndmask_b32 v9, 0, v41, s13 :: v_dual_bitop2_b32 v11, v6, v11 bitop3:0x54
	s_delay_alu instid0(VALU_DEP_1)
	v_dual_add_nc_u32 v7, v9, v7 :: v_dual_mov_b32 v9, v10
.LBB812_88:
	s_or_b32 exec_lo, exec_lo, s15
	ds_swizzle_b32 v10, v11 offset:swizzle(BROADCAST,32,15)
	ds_swizzle_b32 v11, v7 offset:swizzle(BROADCAST,32,15)
	v_and_b32_e32 v41, 1, v9
	v_bfe_i32 v43, v8, 4, 1
	v_and_b32_e32 v3, 0xff, v3
	; wave barrier
	s_delay_alu instid0(VALU_DEP_3) | instskip(SKIP_2) | instid1(VALU_DEP_1)
	v_cmp_eq_u32_e64 s13, 1, v41
	s_wait_dscnt 0x1
	v_dual_add_nc_u32 v41, -1, v8 :: v_dual_bitop2_b32 v10, 1, v10 bitop3:0x40
	v_cndmask_b32_e64 v10, v10, 1, s13
	v_and_b32_e32 v42, 16, v8
	v_cmp_eq_u16_e64 s13, 0, v9
	s_wait_dscnt 0x0
	s_delay_alu instid0(VALU_DEP_1) | instskip(NEXT) | instid1(VALU_DEP_3)
	v_cndmask_b32_e64 v11, 0, v11, s13
	v_cmp_eq_u32_e64 s13, 0, v42
	s_delay_alu instid0(VALU_DEP_1) | instskip(SKIP_1) | instid1(VALU_DEP_4)
	v_cndmask_b32_e64 v9, v10, v9, s13
	v_cmp_gt_i32_e64 s13, 0, v41
	v_and_b32_e32 v10, v43, v11
	s_delay_alu instid0(VALU_DEP_3) | instskip(NEXT) | instid1(VALU_DEP_2)
	v_and_b32_e32 v9, 0xffff, v9
	v_dual_cndmask_b32 v8, v41, v8, s13 :: v_dual_add_nc_u32 v7, v10, v7
	v_cmp_eq_u16_e64 s13, 0, v3
	s_delay_alu instid0(VALU_DEP_2)
	v_lshlrev_b32_e32 v8, 2, v8
	ds_bpermute_b32 v7, v8, v7
	s_wait_dscnt 0x0
	v_dual_cndmask_b32 v3, 0, v7, s13 :: v_dual_bitop2_b32 v6, v6, v9 bitop3:0x54
	ds_bpermute_b32 v6, v8, v6
	v_cmp_eq_u32_e64 s13, 1, v5
	v_add_nc_u32_e32 v2, v3, v2
	s_wait_dscnt 0x0
	s_delay_alu instid0(VALU_DEP_1) | instskip(NEXT) | instid1(VALU_DEP_1)
	v_dual_cndmask_b32 v5, v2, v12, s2 :: v_dual_bitop2_b32 v6, 1, v6 bitop3:0x40
	v_cndmask_b32_e64 v3, v6, 1, s13
	s_delay_alu instid0(VALU_DEP_1)
	v_cndmask_b32_e64 v8, v3, v13, s2
	ds_store_b32 v4, v5
	ds_store_b8 v4, v8 offset:4
	; wave barrier
	ds_load_u8 v9, v4 offset:12
	ds_load_2addr_b32 v[2:3], v4 offset0:2 offset1:4
	ds_load_u8 v10, v4 offset:20
	ds_load_u8 v11, v4 offset:28
	;; [unrolled: 1-line block ×5, first 2 shown]
	ds_load_b32 v44, v4 offset:56
	ds_load_u8 v45, v4 offset:60
	ds_load_2addr_b32 v[6:7], v4 offset0:6 offset1:8
	s_wait_dscnt 0x9
	v_cmp_eq_u16_e64 s13, 0, v9
	v_and_b32_e32 v9, 1, v9
	s_delay_alu instid0(VALU_DEP_2) | instskip(SKIP_2) | instid1(VALU_DEP_2)
	v_cndmask_b32_e64 v5, 0, v5, s13
	s_wait_dscnt 0x7
	v_cmp_eq_u16_e64 s13, 0, v10
	v_add_nc_u32_e32 v5, v5, v2
	s_delay_alu instid0(VALU_DEP_1) | instskip(SKIP_2) | instid1(VALU_DEP_2)
	v_cndmask_b32_e64 v2, 0, v5, s13
	s_wait_dscnt 0x6
	v_cmp_eq_u16_e64 s13, 0, v11
	v_add_nc_u32_e32 v46, v2, v3
	ds_load_2addr_b32 v[2:3], v4 offset0:10 offset1:12
	v_cndmask_b32_e64 v47, 0, v46, s13
	s_wait_dscnt 0x6
	v_cmp_eq_u16_e64 s13, 0, v41
	ds_store_2addr_b32 v4, v5, v46 offset0:2 offset1:4
	s_wait_dscnt 0x2
	v_add_nc_u32_e32 v6, v47, v6
	s_delay_alu instid0(VALU_DEP_1) | instskip(SKIP_3) | instid1(VALU_DEP_4)
	v_cndmask_b32_e64 v47, 0, v6, s13
	v_cmp_eq_u32_e64 s13, 1, v9
	v_and_b32_e32 v9, 1, v11
	v_and_b32_e32 v11, 1, v41
	v_dual_add_nc_u32 v7, v47, v7 :: v_dual_bitop2_b32 v10, 1, v10 bitop3:0x40
	s_delay_alu instid0(VALU_DEP_4) | instskip(SKIP_1) | instid1(VALU_DEP_3)
	v_cndmask_b32_e64 v8, v8, 1, s13
	v_and_b32_e32 v47, 1, v45
	v_cmp_eq_u32_e64 s13, 1, v10
	s_delay_alu instid0(VALU_DEP_1) | instskip(SKIP_1) | instid1(VALU_DEP_1)
	v_cndmask_b32_e64 v10, v8, 1, s13
	v_cmp_eq_u16_e64 s13, 0, v42
	v_dual_cndmask_b32 v41, 0, v7, s13 :: v_dual_bitop2_b32 v42, 1, v42 bitop3:0x40
	v_cmp_eq_u32_e64 s13, 1, v9
	s_wait_dscnt 0x1
	s_delay_alu instid0(VALU_DEP_2) | instskip(NEXT) | instid1(VALU_DEP_2)
	v_dual_add_nc_u32 v2, v41, v2 :: v_dual_bitop2_b32 v41, 1, v43 bitop3:0x40
	v_cndmask_b32_e64 v9, v10, 1, s13
	v_cmp_eq_u32_e64 s13, 1, v11
	s_delay_alu instid0(VALU_DEP_1) | instskip(SKIP_1) | instid1(VALU_DEP_1)
	v_cndmask_b32_e64 v11, v9, 1, s13
	v_cmp_eq_u16_e64 s13, 0, v43
	v_cndmask_b32_e64 v43, 0, v2, s13
	v_cmp_eq_u32_e64 s13, 1, v42
	s_delay_alu instid0(VALU_DEP_2) | instskip(NEXT) | instid1(VALU_DEP_2)
	v_add_nc_u32_e32 v3, v43, v3
	v_cndmask_b32_e64 v42, v11, 1, s13
	v_cmp_eq_u32_e64 s13, 1, v41
	ds_store_2addr_b32 v4, v6, v7 offset0:6 offset1:8
	ds_store_2addr_b32 v4, v2, v3 offset0:10 offset1:12
	v_cndmask_b32_e64 v41, v42, 1, s13
	v_cmp_eq_u16_e64 s13, 0, v45
	s_delay_alu instid0(VALU_DEP_1) | instskip(SKIP_1) | instid1(VALU_DEP_2)
	v_cndmask_b32_e64 v5, 0, v3, s13
	v_cmp_eq_u32_e64 s13, 1, v47
	v_add_nc_u32_e32 v2, v5, v44
	s_delay_alu instid0(VALU_DEP_2)
	v_cndmask_b32_e64 v43, v41, 1, s13
	ds_store_b8 v4, v8 offset:12
	ds_store_b8 v4, v10 offset:20
	;; [unrolled: 1-line block ×6, first 2 shown]
	ds_store_b32 v4, v2 offset:56
	ds_store_b8 v4, v43 offset:60
.LBB812_89:
	s_or_b32 exec_lo, exec_lo, s14
	s_wait_dscnt 0x0
	s_barrier_signal -1
	s_barrier_wait -1
	s_and_saveexec_b32 s13, s3
	s_cbranch_execz .LBB812_91
; %bb.90:
	v_add_nc_u32_e32 v2, -1, v0
	s_delay_alu instid0(VALU_DEP_1) | instskip(NEXT) | instid1(VALU_DEP_1)
	v_lshrrev_b32_e32 v3, 2, v2
	v_and_b32_e32 v3, 0x3ffffff8, v3
	s_delay_alu instid0(VALU_DEP_1)
	v_lshl_add_u32 v2, v2, 3, v3
	ds_load_b32 v12, v2
	ds_load_u8 v13, v2 offset:4
.LBB812_91:
	s_or_b32 exec_lo, exec_lo, s13
	s_and_saveexec_b32 s34, vcc_lo
	s_cbranch_execz .LBB812_161
; %bb.92:
	v_mov_b32_e32 v5, 0
	v_mbcnt_lo_u32_b32 v41, -1, 0
	s_mov_b32 s15, 0
	ds_load_b64 v[2:3], v5 offset:2096
	v_cmp_eq_u32_e64 s13, 0, v41
	s_and_saveexec_b32 s24, s13
	s_cbranch_execz .LBB812_94
; %bb.93:
	s_add_co_i32 s14, s36, 32
	v_mov_b32_e32 v4, 1
	s_lshl_b64 s[14:15], s[14:15], 4
	s_delay_alu instid0(SALU_CYCLE_1) | instskip(NEXT) | instid1(SALU_CYCLE_1)
	s_add_nc_u64 s[14:15], s[20:21], s[14:15]
	v_mov_b64_e32 v[6:7], s[14:15]
	s_wait_dscnt 0x0
	;;#ASMSTART
	global_store_b128 v[6:7], v[2:5] off scope:SCOPE_DEV	
s_wait_storecnt 0x0
	;;#ASMEND
.LBB812_94:
	s_or_b32 exec_lo, exec_lo, s24
	v_xad_u32 v8, v41, -1, s36
	s_mov_b32 s14, exec_lo
	s_delay_alu instid0(VALU_DEP_1) | instskip(NEXT) | instid1(VALU_DEP_1)
	v_add_nc_u32_e32 v4, 32, v8
	v_lshl_add_u64 v[10:11], v[4:5], 4, s[20:21]
	;;#ASMSTART
	global_load_b128 v[4:7], v[10:11] off scope:SCOPE_DEV	
s_wait_loadcnt 0x0
	;;#ASMEND
	v_and_b32_e32 v7, 0xff, v6
	v_and_b32_e32 v5, 0xff, v5
	s_delay_alu instid0(VALU_DEP_2)
	v_cmpx_eq_u16_e32 0, v7
	s_cbranch_execz .LBB812_98
; %bb.95:
	s_mov_b32 s15, 0
.LBB812_96:                             ; =>This Inner Loop Header: Depth=1
	;;#ASMSTART
	global_load_b128 v[4:7], v[10:11] off scope:SCOPE_DEV	
s_wait_loadcnt 0x0
	;;#ASMEND
	v_and_b32_e32 v7, 0xff, v6
	s_delay_alu instid0(VALU_DEP_1) | instskip(SKIP_1) | instid1(SALU_CYCLE_1)
	v_cmp_ne_u16_e32 vcc_lo, 0, v7
	s_or_b32 s15, vcc_lo, s15
	s_and_not1_b32 exec_lo, exec_lo, s15
	s_cbranch_execnz .LBB812_96
; %bb.97:
	s_or_b32 exec_lo, exec_lo, s15
	v_and_b32_e32 v5, 0xff, v5
.LBB812_98:
	s_or_b32 exec_lo, exec_lo, s14
	v_cmp_ne_u32_e32 vcc_lo, 31, v41
	v_and_b32_e32 v9, 0xff, v6
	v_lshlrev_b32_e64 v43, v41, -1
	s_mov_b64 s[24:25], 0x100000000
	v_lshl_or_b32 v52, v41, 2, 64
	v_add_co_ci_u32_e64 v7, null, 0, v41, vcc_lo
	v_cmp_eq_u16_e32 vcc_lo, 2, v9
	v_cmp_gt_u64_e64 s14, s[24:25], v[4:5]
	s_delay_alu instid0(VALU_DEP_3) | instskip(SKIP_1) | instid1(VALU_DEP_2)
	v_dual_lshlrev_b32 v42, 2, v7 :: v_dual_bitop2_b32 v10, 1, v5 bitop3:0x40
	v_and_or_b32 v9, vcc_lo, v43, 0x80000000
	v_cmp_eq_u32_e32 vcc_lo, 1, v10
	ds_bpermute_b32 v7, v42, v5
	ds_bpermute_b32 v10, v42, v4
	v_ctz_i32_b32_e32 v9, v9
	s_wait_dscnt 0x1
	v_and_b32_e32 v7, 1, v7
	s_delay_alu instid0(VALU_DEP_1) | instskip(SKIP_1) | instid1(VALU_DEP_2)
	v_cndmask_b32_e64 v7, v7, 1, vcc_lo
	v_cmp_gt_u32_e32 vcc_lo, 30, v41
	v_and_b32_e32 v45, 0xffff, v7
	v_cndmask_b32_e64 v11, 0, 2, vcc_lo
	v_cmp_lt_u32_e32 vcc_lo, v41, v9
	s_delay_alu instid0(VALU_DEP_2) | instskip(NEXT) | instid1(VALU_DEP_4)
	v_add_lshl_u32 v44, v11, v41, 2
	v_dual_cndmask_b32 v11, v5, v45, vcc_lo :: v_dual_cndmask_b32 v7, v5, v7, vcc_lo
	s_and_b32 vcc_lo, vcc_lo, s14
	s_wait_dscnt 0x0
	v_cndmask_b32_e32 v10, 0, v10, vcc_lo
	ds_bpermute_b32 v5, v44, v11
	v_and_b32_e32 v46, 1, v7
	v_and_b32_e32 v48, 0xff, v7
	v_add_nc_u32_e32 v4, v10, v4
	s_delay_alu instid0(VALU_DEP_3) | instskip(NEXT) | instid1(VALU_DEP_3)
	v_cmp_eq_u32_e32 vcc_lo, 1, v46
	v_cmp_eq_u16_e64 s14, 0, v48
	ds_bpermute_b32 v10, v44, v4
	s_wait_dscnt 0x1
	v_and_b32_e32 v5, 1, v5
	s_delay_alu instid0(VALU_DEP_1) | instskip(SKIP_2) | instid1(VALU_DEP_3)
	v_cndmask_b32_e64 v5, v5, 1, vcc_lo
	v_add_nc_u32_e32 v45, 2, v41
	v_cmp_gt_u32_e32 vcc_lo, 28, v41
	v_and_b32_e32 v47, 0xffff, v5
	v_cndmask_b32_e64 v46, 0, 4, vcc_lo
	s_delay_alu instid0(VALU_DEP_4) | instskip(NEXT) | instid1(VALU_DEP_2)
	v_cmp_gt_u32_e32 vcc_lo, v45, v9
	v_add_lshl_u32 v46, v46, v41, 2
	v_cndmask_b32_e32 v5, v5, v7, vcc_lo
	s_wait_dscnt 0x0
	v_dual_cndmask_b32 v7, v47, v11, vcc_lo :: v_dual_cndmask_b32 v10, 0, v10, s14
	s_delay_alu instid0(VALU_DEP_2) | instskip(SKIP_4) | instid1(VALU_DEP_3)
	v_and_b32_e32 v48, 1, v5
	ds_bpermute_b32 v11, v46, v7
	v_cndmask_b32_e64 v10, v10, 0, vcc_lo
	v_cmp_eq_u32_e32 vcc_lo, 1, v48
	v_and_b32_e32 v48, 0xff, v5
	v_add_nc_u32_e32 v4, v10, v4
	s_delay_alu instid0(VALU_DEP_2)
	v_cmp_eq_u16_e64 s14, 0, v48
	s_wait_dscnt 0x0
	v_and_b32_e32 v11, 1, v11
	ds_bpermute_b32 v10, v46, v4
	v_add_nc_u32_e32 v47, 4, v41
	v_cndmask_b32_e64 v11, v11, 1, vcc_lo
	v_cmp_gt_u32_e32 vcc_lo, 24, v41
	s_delay_alu instid0(VALU_DEP_2) | instskip(SKIP_1) | instid1(VALU_DEP_1)
	v_and_b32_e32 v50, 0xffff, v11
	v_cndmask_b32_e64 v49, 0, 8, vcc_lo
	v_add_lshl_u32 v48, v49, v41, 2
	s_wait_dscnt 0x0
	v_dual_add_nc_u32 v49, 8, v41 :: v_dual_cndmask_b32 v10, 0, v10, s14
	v_cmp_gt_u32_e32 vcc_lo, v47, v9
	v_dual_cndmask_b32 v5, v11, v5, vcc_lo :: v_dual_cndmask_b32 v7, v50, v7, vcc_lo
	s_delay_alu instid0(VALU_DEP_3) | instskip(NEXT) | instid1(VALU_DEP_2)
	v_cndmask_b32_e64 v10, v10, 0, vcc_lo
	v_and_b32_e32 v50, 1, v5
	ds_bpermute_b32 v11, v48, v7
	v_add_nc_u32_e32 v4, v10, v4
	v_and_b32_e32 v51, 0xff, v5
	v_cmp_eq_u32_e32 vcc_lo, 1, v50
	ds_bpermute_b32 v10, v48, v4
	s_wait_dscnt 0x1
	v_and_b32_e32 v11, 1, v11
	s_delay_alu instid0(VALU_DEP_1) | instskip(SKIP_1) | instid1(VALU_DEP_2)
	v_cndmask_b32_e64 v11, v11, 1, vcc_lo
	v_cmp_eq_u16_e32 vcc_lo, 0, v51
	v_and_b32_e32 v50, 0xffff, v11
	s_wait_dscnt 0x0
	v_cndmask_b32_e32 v10, 0, v10, vcc_lo
	v_cmp_gt_u32_e32 vcc_lo, v49, v9
	s_delay_alu instid0(VALU_DEP_3) | instskip(NEXT) | instid1(VALU_DEP_3)
	v_dual_cndmask_b32 v5, v11, v5, vcc_lo :: v_dual_cndmask_b32 v7, v50, v7, vcc_lo
	v_cndmask_b32_e64 v10, v10, 0, vcc_lo
	s_delay_alu instid0(VALU_DEP_2) | instskip(SKIP_3) | instid1(VALU_DEP_1)
	v_and_b32_e32 v50, 1, v5
	ds_bpermute_b32 v7, v52, v7
	v_add_nc_u32_e32 v4, v10, v4
	v_and_b32_e32 v11, 0xff, v5
	v_cmp_eq_u16_e32 vcc_lo, 0, v11
	s_wait_dscnt 0x0
	v_and_b32_e32 v7, 1, v7
	ds_bpermute_b32 v10, v52, v4
	s_wait_dscnt 0x0
	v_dual_cndmask_b32 v10, 0, v10 :: v_dual_add_nc_u32 v53, 16, v41
	v_cmp_eq_u32_e32 vcc_lo, 1, v50
	v_cndmask_b32_e64 v7, v7, 1, vcc_lo
	s_delay_alu instid0(VALU_DEP_3) | instskip(NEXT) | instid1(VALU_DEP_2)
	v_cmp_gt_u32_e32 vcc_lo, v53, v9
	v_dual_mov_b32 v9, 0 :: v_dual_cndmask_b32 v5, v7, v5, vcc_lo
	v_cndmask_b32_e64 v7, v10, 0, vcc_lo
	s_delay_alu instid0(VALU_DEP_1)
	v_add_nc_u32_e32 v4, v7, v4
	s_branch .LBB812_102
.LBB812_99:                             ;   in Loop: Header=BB812_102 Depth=1
	s_or_b32 exec_lo, exec_lo, s15
	v_and_b32_e32 v5, 0xff, v5
.LBB812_100:                            ;   in Loop: Header=BB812_102 Depth=1
	s_or_b32 exec_lo, exec_lo, s14
	ds_bpermute_b32 v7, v42, v5
	v_and_b32_e32 v10, 0xff, v6
	v_cmp_gt_u64_e64 s14, s[24:25], v[4:5]
	v_subrev_nc_u32_e32 v8, 32, v8
	s_delay_alu instid0(VALU_DEP_3) | instskip(SKIP_2) | instid1(VALU_DEP_2)
	v_cmp_eq_u16_e32 vcc_lo, 2, v10
	v_and_b32_e32 v10, 1, v5
	v_and_or_b32 v11, vcc_lo, v43, 0x80000000
	v_cmp_eq_u32_e32 vcc_lo, 1, v10
	s_delay_alu instid0(VALU_DEP_2) | instskip(SKIP_3) | instid1(VALU_DEP_1)
	v_ctz_i32_b32_e32 v10, v11
	ds_bpermute_b32 v11, v42, v4
	s_wait_dscnt 0x1
	v_and_b32_e32 v7, 1, v7
	v_cndmask_b32_e64 v7, v7, 1, vcc_lo
	v_cmp_lt_u32_e32 vcc_lo, v41, v10
	s_delay_alu instid0(VALU_DEP_2) | instskip(NEXT) | instid1(VALU_DEP_1)
	v_and_b32_e32 v54, 0xffff, v7
	v_dual_cndmask_b32 v7, v5, v7 :: v_dual_cndmask_b32 v54, v5, v54
	s_and_b32 vcc_lo, vcc_lo, s14
	s_delay_alu instid0(VALU_DEP_1)
	v_and_b32_e32 v56, 0xff, v7
	v_and_b32_e32 v55, 1, v7
	ds_bpermute_b32 v5, v44, v54
	s_wait_dscnt 0x1
	v_cndmask_b32_e32 v11, 0, v11, vcc_lo
	v_cmp_eq_u16_e64 s14, 0, v56
	v_cmp_eq_u32_e32 vcc_lo, 1, v55
	s_wait_dscnt 0x0
	s_delay_alu instid0(VALU_DEP_3) | instskip(NEXT) | instid1(VALU_DEP_1)
	v_dual_add_nc_u32 v4, v11, v4 :: v_dual_bitop2_b32 v5, 1, v5 bitop3:0x40
	v_cndmask_b32_e64 v5, v5, 1, vcc_lo
	ds_bpermute_b32 v11, v44, v4
	v_cmp_gt_u32_e32 vcc_lo, v45, v10
	v_and_b32_e32 v55, 0xffff, v5
	s_delay_alu instid0(VALU_DEP_1) | instskip(NEXT) | instid1(VALU_DEP_1)
	v_dual_cndmask_b32 v5, v5, v7, vcc_lo :: v_dual_cndmask_b32 v7, v55, v54, vcc_lo
	v_and_b32_e32 v55, 1, v5
	ds_bpermute_b32 v54, v46, v7
	s_wait_dscnt 0x1
	v_cndmask_b32_e64 v11, 0, v11, s14
	s_delay_alu instid0(VALU_DEP_1) | instskip(SKIP_2) | instid1(VALU_DEP_3)
	v_cndmask_b32_e64 v11, v11, 0, vcc_lo
	v_cmp_eq_u32_e32 vcc_lo, 1, v55
	v_and_b32_e32 v55, 0xff, v5
	v_add_nc_u32_e32 v4, v11, v4
	s_delay_alu instid0(VALU_DEP_2)
	v_cmp_eq_u16_e64 s14, 0, v55
	s_wait_dscnt 0x0
	v_and_b32_e32 v54, 1, v54
	ds_bpermute_b32 v11, v46, v4
	v_cndmask_b32_e64 v54, v54, 1, vcc_lo
	v_cmp_gt_u32_e32 vcc_lo, v47, v10
	s_delay_alu instid0(VALU_DEP_2) | instskip(SKIP_3) | instid1(VALU_DEP_1)
	v_and_b32_e32 v56, 0xffff, v54
	s_wait_dscnt 0x0
	v_dual_cndmask_b32 v5, v54, v5, vcc_lo :: v_dual_cndmask_b32 v11, 0, v11, s14
	s_mov_b32 s14, 0
	v_cndmask_b32_e64 v11, v11, 0, vcc_lo
	v_cndmask_b32_e32 v7, v56, v7, vcc_lo
	s_delay_alu instid0(VALU_DEP_3) | instskip(NEXT) | instid1(VALU_DEP_3)
	v_and_b32_e32 v56, 0xff, v5
	v_add_nc_u32_e32 v4, v11, v4
	ds_bpermute_b32 v54, v48, v7
	ds_bpermute_b32 v11, v48, v4
	v_and_b32_e32 v55, 1, v5
	s_delay_alu instid0(VALU_DEP_1) | instskip(SKIP_2) | instid1(VALU_DEP_1)
	v_cmp_eq_u32_e32 vcc_lo, 1, v55
	s_wait_dscnt 0x1
	v_and_b32_e32 v54, 1, v54
	v_cndmask_b32_e64 v54, v54, 1, vcc_lo
	v_cmp_eq_u16_e32 vcc_lo, 0, v56
	s_delay_alu instid0(VALU_DEP_2) | instskip(SKIP_3) | instid1(VALU_DEP_2)
	v_and_b32_e32 v55, 0xffff, v54
	s_wait_dscnt 0x0
	v_cndmask_b32_e32 v11, 0, v11, vcc_lo
	v_cmp_gt_u32_e32 vcc_lo, v49, v10
	v_cndmask_b32_e64 v11, v11, 0, vcc_lo
	v_dual_cndmask_b32 v7, v55, v7, vcc_lo :: v_dual_cndmask_b32 v5, v54, v5, vcc_lo
	s_delay_alu instid0(VALU_DEP_2) | instskip(SKIP_4) | instid1(VALU_DEP_1)
	v_add_nc_u32_e32 v4, v11, v4
	ds_bpermute_b32 v7, v52, v7
	v_and_b32_e32 v55, 0xff, v5
	ds_bpermute_b32 v11, v52, v4
	v_and_b32_e32 v54, 1, v5
	v_cmp_eq_u32_e32 vcc_lo, 1, v54
	s_wait_dscnt 0x1
	v_cndmask_b32_e64 v7, v7, 1, vcc_lo
	v_cmp_eq_u16_e32 vcc_lo, 0, v55
	s_wait_dscnt 0x0
	v_cndmask_b32_e32 v11, 0, v11, vcc_lo
	v_cmp_gt_u32_e32 vcc_lo, v53, v10
	v_and_b32_e32 v10, 0xff, v50
	v_cndmask_b32_e32 v5, v7, v5, vcc_lo
	s_delay_alu instid0(VALU_DEP_4) | instskip(NEXT) | instid1(VALU_DEP_3)
	v_cndmask_b32_e64 v7, v11, 0, vcc_lo
	v_cmp_eq_u16_e32 vcc_lo, 0, v10
	s_delay_alu instid0(VALU_DEP_2) | instskip(NEXT) | instid1(VALU_DEP_1)
	v_dual_add_nc_u32 v4, v7, v4 :: v_dual_bitop2_b32 v7, 1, v50 bitop3:0x40
	v_dual_cndmask_b32 v4, 0, v4, vcc_lo :: v_dual_bitop2_b32 v5, 1, v5 bitop3:0x40
	s_delay_alu instid0(VALU_DEP_2) | instskip(NEXT) | instid1(VALU_DEP_2)
	v_cmp_eq_u32_e32 vcc_lo, 1, v7
	v_add_nc_u32_e32 v4, v4, v51
	s_delay_alu instid0(VALU_DEP_3)
	v_cndmask_b32_e64 v5, v5, 1, vcc_lo
.LBB812_101:                            ;   in Loop: Header=BB812_102 Depth=1
	s_and_b32 vcc_lo, exec_lo, s14
	s_cbranch_vccnz .LBB812_157
.LBB812_102:                            ; =>This Loop Header: Depth=1
                                        ;     Child Loop BB812_105 Depth 2
	v_and_b32_e32 v6, 0xff, v6
	s_delay_alu instid0(VALU_DEP_2) | instskip(SKIP_1) | instid1(VALU_DEP_2)
	v_dual_mov_b32 v50, v5 :: v_dual_mov_b32 v51, v4
	s_mov_b32 s14, -1
                                        ; implicit-def: $vgpr5
                                        ; implicit-def: $vgpr4
	v_cmp_ne_u16_e32 vcc_lo, 2, v6
                                        ; implicit-def: $vgpr6
	s_cmp_lg_u32 vcc_lo, exec_lo
	s_cbranch_scc1 .LBB812_101
; %bb.103:                              ;   in Loop: Header=BB812_102 Depth=1
	v_lshl_add_u64 v[10:11], v[8:9], 4, s[20:21]
	;;#ASMSTART
	global_load_b128 v[4:7], v[10:11] off scope:SCOPE_DEV	
s_wait_loadcnt 0x0
	;;#ASMEND
	v_and_b32_e32 v7, 0xff, v6
	v_and_b32_e32 v5, 0xff, v5
	s_mov_b32 s14, exec_lo
	s_delay_alu instid0(VALU_DEP_2)
	v_cmpx_eq_u16_e32 0, v7
	s_cbranch_execz .LBB812_100
; %bb.104:                              ;   in Loop: Header=BB812_102 Depth=1
	s_mov_b32 s15, 0
.LBB812_105:                            ;   Parent Loop BB812_102 Depth=1
                                        ; =>  This Inner Loop Header: Depth=2
	;;#ASMSTART
	global_load_b128 v[4:7], v[10:11] off scope:SCOPE_DEV	
s_wait_loadcnt 0x0
	;;#ASMEND
	v_and_b32_e32 v7, 0xff, v6
	s_delay_alu instid0(VALU_DEP_1) | instskip(SKIP_1) | instid1(SALU_CYCLE_1)
	v_cmp_ne_u16_e32 vcc_lo, 0, v7
	s_or_b32 s15, vcc_lo, s15
	s_and_not1_b32 exec_lo, exec_lo, s15
	s_cbranch_execnz .LBB812_105
	s_branch .LBB812_99
.LBB812_106:
	s_or_b32 exec_lo, exec_lo, s14
                                        ; implicit-def: $vgpr15
	s_and_saveexec_b32 s14, s1
	s_cbranch_execz .LBB812_33
.LBB812_107:
	flat_load_b32 v15, v0, s[24:25] offset:1024 scale_offset
	s_wait_xcnt 0x0
	s_or_b32 exec_lo, exec_lo, s14
                                        ; implicit-def: $vgpr18
	s_and_saveexec_b32 s1, s4
	s_cbranch_execnz .LBB812_34
.LBB812_108:
	s_or_b32 exec_lo, exec_lo, s1
                                        ; implicit-def: $vgpr19
	s_and_saveexec_b32 s1, s5
	s_cbranch_execz .LBB812_35
.LBB812_109:
	flat_load_b32 v19, v0, s[24:25] offset:3072 scale_offset
	s_wait_xcnt 0x0
	s_or_b32 exec_lo, exec_lo, s1
                                        ; implicit-def: $vgpr20
	s_and_saveexec_b32 s1, s6
	s_cbranch_execnz .LBB812_36
.LBB812_110:
	s_or_b32 exec_lo, exec_lo, s1
                                        ; implicit-def: $vgpr21
	s_and_saveexec_b32 s1, s7
	s_cbranch_execz .LBB812_37
.LBB812_111:
	flat_load_b32 v21, v0, s[24:25] offset:5120 scale_offset
	s_wait_xcnt 0x0
	s_or_b32 exec_lo, exec_lo, s1
                                        ; implicit-def: $vgpr22
	s_and_saveexec_b32 s1, s8
	s_cbranch_execnz .LBB812_38
.LBB812_112:
	s_or_b32 exec_lo, exec_lo, s1
                                        ; implicit-def: $vgpr23
	s_and_saveexec_b32 s1, s9
	s_cbranch_execz .LBB812_39
.LBB812_113:
	flat_load_b32 v23, v0, s[24:25] offset:7168 scale_offset
	s_wait_xcnt 0x0
	s_or_b32 exec_lo, exec_lo, s1
                                        ; implicit-def: $vgpr24
	s_and_saveexec_b32 s1, s10
	s_cbranch_execnz .LBB812_40
.LBB812_114:
	s_or_b32 exec_lo, exec_lo, s1
                                        ; implicit-def: $vgpr25
	s_and_saveexec_b32 s1, s11
	s_cbranch_execz .LBB812_41
.LBB812_115:
	flat_load_b32 v25, v0, s[24:25] offset:9216 scale_offset
	s_wait_xcnt 0x0
	s_or_b32 exec_lo, exec_lo, s1
                                        ; implicit-def: $vgpr26
	s_and_saveexec_b32 s1, s12
	s_cbranch_execz .LBB812_43
	s_branch .LBB812_42
.LBB812_116:
                                        ; implicit-def: $vgpr13
                                        ; implicit-def: $vgpr9
                                        ; implicit-def: $vgpr5
	s_cbranch_execnz .LBB812_162
.LBB812_117:
	s_add_nc_u64 s[2:3], s[18:19], s[28:29]
	s_and_b32 vcc_lo, exec_lo, s0
	s_add_nc_u64 s[0:1], s[2:3], s[16:17]
	s_cbranch_vccz .LBB812_179
.LBB812_118:
	v_mul_u32_u24_e32 v1, 12, v0
	s_add_co_i32 s23, s23, s22
	s_mov_b32 s2, exec_lo
	s_delay_alu instid0(VALU_DEP_1)
	v_cmpx_gt_u32_e64 s23, v1
	s_cbranch_execz .LBB812_134
; %bb.119:
	v_or_b32_e32 v14, 1, v1
	s_mov_b32 s3, exec_lo
	s_delay_alu instid0(VALU_DEP_1)
	v_cmpx_gt_u32_e64 s23, v14
	s_cbranch_execz .LBB812_133
; %bb.120:
	v_or_b32_e32 v14, 2, v1
	;; [unrolled: 6-line block ×3, first 2 shown]
	s_mov_b32 s5, exec_lo
	s_delay_alu instid0(VALU_DEP_1)
	v_cmpx_gt_u32_e64 s23, v14
	s_cbranch_execz .LBB812_131
; %bb.122:
	v_add_nc_u32_e32 v14, 4, v1
	s_mov_b32 s6, exec_lo
	s_delay_alu instid0(VALU_DEP_1)
	v_cmpx_gt_u32_e64 s23, v14
	s_cbranch_execz .LBB812_130
; %bb.123:
	v_add_nc_u32_e32 v14, 5, v1
	;; [unrolled: 6-line block ×4, first 2 shown]
	s_mov_b32 s9, exec_lo
	s_delay_alu instid0(VALU_DEP_1)
	v_cmpx_gt_u32_e64 s23, v14
; %bb.126:
	v_add_nc_u32_e32 v14, 8, v1
	s_mov_b32 s10, exec_lo
	s_delay_alu instid0(VALU_DEP_1)
	v_cmpx_gt_u32_e64 s23, v14
	s_or_b32 exec_lo, exec_lo, s10
; %bb.127:
	s_delay_alu instid0(SALU_CYCLE_1)
	s_or_b32 exec_lo, exec_lo, s9
.LBB812_128:
	s_delay_alu instid0(SALU_CYCLE_1)
	s_or_b32 exec_lo, exec_lo, s8
.LBB812_129:
	s_delay_alu instid0(SALU_CYCLE_1)
	s_or_b32 exec_lo, exec_lo, s7
.LBB812_130:
	s_delay_alu instid0(SALU_CYCLE_1)
	s_or_b32 exec_lo, exec_lo, s6
.LBB812_131:
	s_delay_alu instid0(SALU_CYCLE_1)
	s_or_b32 exec_lo, exec_lo, s5
.LBB812_132:
	s_delay_alu instid0(SALU_CYCLE_1)
	s_or_b32 exec_lo, exec_lo, s4
.LBB812_133:
	s_delay_alu instid0(SALU_CYCLE_1)
	s_or_b32 exec_lo, exec_lo, s3
.LBB812_134:
	s_delay_alu instid0(SALU_CYCLE_1) | instskip(SKIP_3) | instid1(VALU_DEP_1)
	s_or_b32 exec_lo, exec_lo, s2
	v_dual_lshlrev_b32 v1, 2, v1 :: v_dual_mov_b32 v17, 0
	s_barrier_signal -1
	s_barrier_wait -1
	v_mad_i32_i24 v14, 0xffffffd4, v0, v1
	ds_store_b128 v1, v[2:5]
	ds_store_b128 v1, v[6:9] offset:16
	ds_store_b128 v1, v[10:13] offset:32
	s_wait_dscnt 0x0
	s_barrier_signal -1
	s_barrier_wait -1
	ds_load_2addr_stride64_b32 v[26:27], v14 offset0:4 offset1:8
	ds_load_2addr_stride64_b32 v[24:25], v14 offset0:12 offset1:16
	;; [unrolled: 1-line block ×5, first 2 shown]
	ds_load_b32 v15, v14 offset:11264
	v_add_nc_u64_e32 v[16:17], s[0:1], v[16:17]
	s_mov_b32 s2, exec_lo
	v_cmpx_gt_u32_e64 s23, v0
	s_cbranch_execz .LBB812_136
; %bb.135:
	v_mul_i32_i24_e32 v14, 0xffffffd4, v0
	s_delay_alu instid0(VALU_DEP_1)
	v_add_nc_u32_e32 v1, v1, v14
	ds_load_b32 v1, v1
	s_wait_dscnt 0x0
	flat_store_b32 v[16:17], v1
.LBB812_136:
	s_wait_xcnt 0x0
	s_or_b32 exec_lo, exec_lo, s2
	v_or_b32_e32 v1, 0x100, v0
	s_mov_b32 s2, exec_lo
	s_delay_alu instid0(VALU_DEP_1)
	v_cmpx_gt_u32_e64 s23, v1
	s_cbranch_execz .LBB812_138
; %bb.137:
	s_wait_dscnt 0x5
	flat_store_b32 v[16:17], v26 offset:1024
.LBB812_138:
	s_wait_xcnt 0x0
	s_or_b32 exec_lo, exec_lo, s2
	v_or_b32_e32 v1, 0x200, v0
	s_mov_b32 s2, exec_lo
	s_delay_alu instid0(VALU_DEP_1)
	v_cmpx_gt_u32_e64 s23, v1
	s_cbranch_execz .LBB812_140
; %bb.139:
	s_wait_dscnt 0x5
	flat_store_b32 v[16:17], v27 offset:2048
.LBB812_140:
	s_wait_xcnt 0x0
	s_or_b32 exec_lo, exec_lo, s2
	v_or_b32_e32 v1, 0x300, v0
	s_mov_b32 s2, exec_lo
	s_delay_alu instid0(VALU_DEP_1)
	v_cmpx_gt_u32_e64 s23, v1
	s_cbranch_execz .LBB812_142
; %bb.141:
	s_wait_dscnt 0x4
	flat_store_b32 v[16:17], v24 offset:3072
.LBB812_142:
	s_wait_xcnt 0x0
	s_or_b32 exec_lo, exec_lo, s2
	v_or_b32_e32 v1, 0x400, v0
	s_mov_b32 s2, exec_lo
	s_delay_alu instid0(VALU_DEP_1)
	v_cmpx_gt_u32_e64 s23, v1
	s_cbranch_execz .LBB812_144
; %bb.143:
	s_wait_dscnt 0x4
	flat_store_b32 v[16:17], v25 offset:4096
.LBB812_144:
	s_wait_xcnt 0x0
	s_or_b32 exec_lo, exec_lo, s2
	v_or_b32_e32 v1, 0x500, v0
	s_mov_b32 s2, exec_lo
	s_delay_alu instid0(VALU_DEP_1)
	v_cmpx_gt_u32_e64 s23, v1
	s_cbranch_execz .LBB812_146
; %bb.145:
	s_wait_dscnt 0x3
	flat_store_b32 v[16:17], v22 offset:5120
.LBB812_146:
	s_wait_xcnt 0x0
	s_or_b32 exec_lo, exec_lo, s2
	v_or_b32_e32 v1, 0x600, v0
	s_mov_b32 s2, exec_lo
	s_delay_alu instid0(VALU_DEP_1)
	v_cmpx_gt_u32_e64 s23, v1
	s_cbranch_execz .LBB812_148
; %bb.147:
	s_wait_dscnt 0x3
	flat_store_b32 v[16:17], v23 offset:6144
.LBB812_148:
	s_wait_xcnt 0x0
	s_or_b32 exec_lo, exec_lo, s2
	v_or_b32_e32 v1, 0x700, v0
	s_mov_b32 s2, exec_lo
	s_delay_alu instid0(VALU_DEP_1)
	v_cmpx_gt_u32_e64 s23, v1
	s_cbranch_execz .LBB812_150
; %bb.149:
	s_wait_dscnt 0x2
	flat_store_b32 v[16:17], v20 offset:7168
.LBB812_150:
	s_wait_xcnt 0x0
	s_or_b32 exec_lo, exec_lo, s2
	v_or_b32_e32 v1, 0x800, v0
	s_mov_b32 s2, exec_lo
	s_delay_alu instid0(VALU_DEP_1)
	v_cmpx_gt_u32_e64 s23, v1
	s_cbranch_execz .LBB812_152
; %bb.151:
	s_wait_dscnt 0x2
	flat_store_b32 v[16:17], v21 offset:8192
.LBB812_152:
	s_wait_xcnt 0x0
	s_or_b32 exec_lo, exec_lo, s2
	v_or_b32_e32 v1, 0x900, v0
	s_mov_b32 s2, exec_lo
	s_delay_alu instid0(VALU_DEP_1)
	v_cmpx_gt_u32_e64 s23, v1
	s_cbranch_execz .LBB812_154
; %bb.153:
	s_wait_dscnt 0x1
	flat_store_b32 v[16:17], v18 offset:9216
.LBB812_154:
	s_wait_xcnt 0x0
	s_or_b32 exec_lo, exec_lo, s2
	v_or_b32_e32 v1, 0xa00, v0
	s_mov_b32 s2, exec_lo
	s_delay_alu instid0(VALU_DEP_1)
	v_cmpx_gt_u32_e64 s23, v1
	s_cbranch_execz .LBB812_156
; %bb.155:
	s_wait_dscnt 0x1
	flat_store_b32 v[16:17], v19 offset:10240
.LBB812_156:
	s_wait_xcnt 0x0
	s_or_b32 exec_lo, exec_lo, s2
	v_or_b32_e32 v1, 0xb00, v0
	s_delay_alu instid0(VALU_DEP_1)
	v_cmp_gt_u32_e64 s2, s23, v1
	s_branch .LBB812_181
.LBB812_157:
	s_and_saveexec_b32 s14, s13
	s_cbranch_execz .LBB812_159
; %bb.158:
	v_and_b32_e32 v4, 0xff, v3
	s_mov_b32 s25, 0
	s_add_co_i32 s24, s36, 32
	v_and_b32_e32 v5, 1, v50
	s_lshl_b64 s[24:25], s[24:25], 4
	v_cmp_eq_u32_e32 vcc_lo, 0, v4
	s_add_nc_u64 s[24:25], s[20:21], s[24:25]
	s_delay_alu instid0(SALU_CYCLE_1) | instskip(SKIP_1) | instid1(VALU_DEP_1)
	v_mov_b64_e32 v[6:7], s[24:25]
	v_cndmask_b32_e32 v4, 0, v51, vcc_lo
	v_dual_add_nc_u32 v2, v4, v2 :: v_dual_bitop2_b32 v3, 1, v3 bitop3:0x40
	s_delay_alu instid0(VALU_DEP_1)
	v_cmp_eq_u32_e32 vcc_lo, 1, v3
	v_mov_b32_e32 v4, 2
	v_cndmask_b32_e64 v3, v5, 1, vcc_lo
	v_mov_b32_e32 v5, 0
	;;#ASMSTART
	global_store_b128 v[6:7], v[2:5] off scope:SCOPE_DEV	
s_wait_storecnt 0x0
	;;#ASMEND
.LBB812_159:
	s_or_b32 exec_lo, exec_lo, s14
	s_delay_alu instid0(SALU_CYCLE_1)
	s_and_b32 exec_lo, exec_lo, s2
	s_cbranch_execz .LBB812_161
; %bb.160:
	v_mov_b32_e32 v2, 0
	ds_store_b32 v2, v51
	ds_store_b8 v2, v50 offset:4
.LBB812_161:
	s_or_b32 exec_lo, exec_lo, s34
	s_wait_dscnt 0x0
	v_and_b32_e32 v3, 0xff, v13
	s_barrier_signal -1
	s_barrier_wait -1
	s_delay_alu instid0(VALU_DEP_1)
	v_cmp_eq_u16_e32 vcc_lo, 0, v3
	v_mov_b32_e32 v4, 0
	v_and_b32_e32 v5, 0xff, v15
	ds_load_b32 v2, v4
	s_wait_dscnt 0x0
	v_cndmask_b32_e32 v3, 0, v2, vcc_lo
	v_cmp_eq_u64_e32 vcc_lo, 0, v[4:5]
	s_delay_alu instid0(VALU_DEP_2) | instskip(NEXT) | instid1(VALU_DEP_1)
	v_add_nc_u32_e32 v3, v3, v12
	v_cndmask_b32_e64 v2, v3, v2, s2
	s_delay_alu instid0(VALU_DEP_1) | instskip(NEXT) | instid1(VALU_DEP_1)
	v_cndmask_b32_e32 v3, 0, v2, vcc_lo
	v_add_nc_u32_e32 v3, v3, v14
	s_delay_alu instid0(VALU_DEP_1) | instskip(NEXT) | instid1(VALU_DEP_1)
	v_cndmask_b32_e64 v4, 0, v3, s1
	v_add_nc_u32_e32 v4, v4, v36
	s_delay_alu instid0(VALU_DEP_1) | instskip(NEXT) | instid1(VALU_DEP_1)
	v_cndmask_b32_e64 v5, 0, v4, s4
	;; [unrolled: 3-line block ×10, first 2 shown]
	v_add_nc_u32_e32 v13, v13, v18
	s_branch .LBB812_117
.LBB812_162:
	s_cmp_eq_u64 s[30:31], 0
	v_mov_b32_e32 v41, s33
	s_cselect_b32 s1, -1, 0
	s_cmp_eq_u64 s[26:27], 0
	s_cselect_b32 s4, -1, 0
	s_delay_alu instid0(SALU_CYCLE_1) | instskip(NEXT) | instid1(SALU_CYCLE_1)
	s_or_b32 s1, s1, s4
	s_and_b32 vcc_lo, exec_lo, s1
	s_cbranch_vccnz .LBB812_164
; %bb.163:
	v_mov_b32_e32 v2, 0
	global_load_b32 v41, v2, s[26:27]
.LBB812_164:
	s_mov_b64 s[12:13], 0x100000000
	v_or3_b32 v3, v40, v27, v29
	v_cmp_gt_u64_e32 vcc_lo, s[12:13], v[36:37]
	v_cmp_gt_u64_e64 s1, s[12:13], v[34:35]
	v_cmp_gt_u64_e64 s4, s[12:13], v[32:33]
	;; [unrolled: 1-line block ×6, first 2 shown]
	s_wait_xcnt 0x0
	v_dual_cndmask_b32 v2, 0, v14, vcc_lo :: v_dual_bitop2_b32 v1, 56, v1 bitop3:0x40
	v_cmp_gt_u64_e64 s9, s[12:13], v[22:23]
	v_cmp_gt_u64_e64 s10, s[12:13], v[20:21]
	;; [unrolled: 1-line block ×3, first 2 shown]
	s_delay_alu instid0(VALU_DEP_4)
	v_add_nc_u32_e32 v2, v2, v36
	v_cmp_gt_u64_e64 s12, s[12:13], v[38:39]
	v_or3_b32 v3, v3, v31, v33
	v_lshl_add_u32 v1, v0, 3, v1
	s_mov_b32 s13, exec_lo
	v_cndmask_b32_e64 v2, 0, v2, s1
	s_delay_alu instid0(VALU_DEP_3) | instskip(NEXT) | instid1(VALU_DEP_2)
	v_or3_b32 v3, v3, v35, v37
	v_add_nc_u32_e32 v2, v2, v34
	s_delay_alu instid0(VALU_DEP_2) | instskip(NEXT) | instid1(VALU_DEP_2)
	v_or3_b32 v3, v39, v17, v3
	v_cndmask_b32_e64 v2, 0, v2, s4
	s_delay_alu instid0(VALU_DEP_2) | instskip(NEXT) | instid1(VALU_DEP_2)
	v_and_b32_e32 v3, 0xff, v3
	v_add_nc_u32_e32 v2, v2, v32
	s_delay_alu instid0(VALU_DEP_1) | instskip(NEXT) | instid1(VALU_DEP_1)
	v_cndmask_b32_e64 v2, 0, v2, s5
	v_add_nc_u32_e32 v2, v2, v30
	s_delay_alu instid0(VALU_DEP_1) | instskip(NEXT) | instid1(VALU_DEP_1)
	v_cndmask_b32_e64 v2, 0, v2, s6
	;; [unrolled: 3-line block ×7, first 2 shown]
	v_dual_add_nc_u32 v4, v2, v18 :: v_dual_mov_b32 v2, 0
	s_delay_alu instid0(VALU_DEP_1) | instskip(NEXT) | instid1(VALU_DEP_2)
	v_cndmask_b32_e64 v4, 0, v4, s12
	v_cmp_eq_u64_e64 s12, 0, v[2:3]
	s_delay_alu instid0(VALU_DEP_1)
	v_dual_add_nc_u32 v4, v4, v38 :: v_dual_cndmask_b32 v5, 1, v15, s12
	ds_store_b32 v1, v4
	ds_store_b8 v1, v5 offset:4
	s_wait_loadcnt_dscnt 0x0
	s_barrier_signal -1
	s_barrier_wait -1
	v_cmpx_gt_u32_e32 32, v0
	s_cbranch_execz .LBB812_174
; %bb.165:
	v_dual_lshlrev_b32 v1, 1, v0 :: v_dual_lshlrev_b32 v2, 6, v0
	s_mov_b32 s14, exec_lo
	s_delay_alu instid0(VALU_DEP_1) | instskip(NEXT) | instid1(VALU_DEP_1)
	v_and_b32_e32 v1, 0x1f8, v1
	v_add_nc_u32_e32 v1, v1, v2
	ds_load_u8 v12, v1 offset:12
	ds_load_b64 v[2:3], v1
	ds_load_2addr_b32 v[6:7], v1 offset0:2 offset1:4
	ds_load_u8 v13, v1 offset:20
	ds_load_u8 v17, v1 offset:28
	ds_load_u8 v19, v1 offset:36
	ds_load_u8 v21, v1 offset:44
	ds_load_u8 v23, v1 offset:52
	ds_load_b32 v25, v1 offset:56
	s_wait_dscnt 0x8
	v_cmp_eq_u16_e64 s12, 0, v12
	s_wait_dscnt 0x7
	s_delay_alu instid0(VALU_DEP_1)
	v_cndmask_b32_e64 v10, 0, v2, s12
	ds_load_2addr_b32 v[8:9], v1 offset0:6 offset1:8
	s_wait_dscnt 0x6
	v_cmp_eq_u16_e64 s12, 0, v13
	v_add_nc_u32_e32 v6, v10, v6
	ds_load_2addr_b32 v[10:11], v1 offset0:10 offset1:12
	v_cndmask_b32_e64 v6, 0, v6, s12
	s_wait_dscnt 0x6
	v_cmp_eq_u16_e64 s12, 0, v17
	s_delay_alu instid0(VALU_DEP_2) | instskip(NEXT) | instid1(VALU_DEP_1)
	v_dual_add_nc_u32 v6, v6, v7 :: v_dual_bitop2_b32 v7, v13, v12 bitop3:0x54
	v_cndmask_b32_e64 v6, 0, v6, s12
	s_wait_dscnt 0x5
	v_cmp_eq_u16_e64 s12, 0, v19
	s_delay_alu instid0(VALU_DEP_3)
	v_bitop3_b16 v7, v7, v19, v17 bitop3:0xfe
	s_wait_dscnt 0x1
	v_add_nc_u32_e32 v6, v6, v8
	ds_load_u8 v8, v1 offset:60
	v_bitop3_b16 v7, v7, v23, v21 bitop3:0xfe
	v_cndmask_b32_e64 v6, 0, v6, s12
	v_cmp_eq_u16_e64 s12, 0, v21
	s_delay_alu instid0(VALU_DEP_2) | instskip(NEXT) | instid1(VALU_DEP_1)
	v_add_nc_u32_e32 v6, v6, v9
	v_dual_cndmask_b32 v9, 0, v6, s12 :: v_dual_bitop2_b32 v6, 1, v3 bitop3:0x40
	v_cmp_eq_u16_e64 s12, 0, v7
	s_wait_dscnt 0x0
	s_delay_alu instid0(VALU_DEP_2) | instskip(NEXT) | instid1(VALU_DEP_2)
	v_dual_add_nc_u32 v9, v9, v10 :: v_dual_bitop2_b32 v10, 1, v8 bitop3:0x40
	v_cndmask_b32_e64 v7, 1, v6, s12
	v_cmp_eq_u16_e64 s12, 0, v23
	s_delay_alu instid0(VALU_DEP_1) | instskip(NEXT) | instid1(VALU_DEP_4)
	v_cndmask_b32_e64 v9, 0, v9, s12
	v_cmp_eq_u32_e64 s12, 1, v10
	s_delay_alu instid0(VALU_DEP_2) | instskip(NEXT) | instid1(VALU_DEP_2)
	v_add_nc_u32_e32 v9, v9, v11
	v_cndmask_b32_e64 v10, v7, 1, s12
	v_cmp_eq_u16_e64 s12, 0, v8
	v_and_b32_e32 v7, 0xffffff00, v3
	s_delay_alu instid0(VALU_DEP_3) | instskip(NEXT) | instid1(VALU_DEP_3)
	v_and_b32_e32 v11, 0xffff, v10
	v_cndmask_b32_e64 v8, 0, v9, s12
	v_mbcnt_lo_u32_b32 v9, -1, 0
	s_delay_alu instid0(VALU_DEP_2) | instskip(NEXT) | instid1(VALU_DEP_2)
	v_dual_add_nc_u32 v8, v8, v25 :: v_dual_bitop2_b32 v12, v7, v11 bitop3:0x54
	v_and_b32_e32 v11, 15, v9
	s_delay_alu instid0(VALU_DEP_2) | instskip(NEXT) | instid1(VALU_DEP_3)
	v_mov_b32_dpp v17, v12 row_shr:1 row_mask:0xf bank_mask:0xf
	v_mov_b32_dpp v13, v8 row_shr:1 row_mask:0xf bank_mask:0xf
	s_delay_alu instid0(VALU_DEP_3)
	v_cmpx_ne_u32_e32 0, v11
	s_cbranch_execz .LBB812_167
; %bb.166:
	v_and_b32_e32 v12, 1, v10
	v_and_b32_e32 v17, 1, v17
	s_delay_alu instid0(VALU_DEP_2) | instskip(NEXT) | instid1(VALU_DEP_1)
	v_cmp_eq_u32_e64 s12, 1, v12
	v_cndmask_b32_e64 v17, v17, 1, s12
	v_cmp_eq_u16_e64 s12, 0, v10
	s_delay_alu instid0(VALU_DEP_2) | instskip(NEXT) | instid1(VALU_DEP_1)
	v_and_b32_e32 v12, 0xffff, v17
	v_dual_cndmask_b32 v10, 0, v13, s12 :: v_dual_bitop2_b32 v12, v7, v12 bitop3:0x54
	s_delay_alu instid0(VALU_DEP_1)
	v_dual_add_nc_u32 v8, v10, v8 :: v_dual_mov_b32 v10, v17
.LBB812_167:
	s_or_b32 exec_lo, exec_lo, s14
	s_delay_alu instid0(VALU_DEP_1) | instskip(NEXT) | instid1(VALU_DEP_3)
	v_mov_b32_dpp v13, v8 row_shr:2 row_mask:0xf bank_mask:0xf
	v_mov_b32_dpp v17, v12 row_shr:2 row_mask:0xf bank_mask:0xf
	s_mov_b32 s14, exec_lo
	v_cmpx_lt_u32_e32 1, v11
	s_cbranch_execz .LBB812_169
; %bb.168:
	v_and_b32_e32 v12, 1, v10
	v_and_b32_e32 v17, 1, v17
	s_delay_alu instid0(VALU_DEP_2) | instskip(NEXT) | instid1(VALU_DEP_1)
	v_cmp_eq_u32_e64 s12, 1, v12
	v_cndmask_b32_e64 v17, v17, 1, s12
	v_cmp_eq_u16_e64 s12, 0, v10
	s_delay_alu instid0(VALU_DEP_2) | instskip(NEXT) | instid1(VALU_DEP_1)
	v_and_b32_e32 v12, 0xffff, v17
	v_dual_cndmask_b32 v10, 0, v13, s12 :: v_dual_bitop2_b32 v12, v7, v12 bitop3:0x54
	s_delay_alu instid0(VALU_DEP_1)
	v_dual_add_nc_u32 v8, v10, v8 :: v_dual_mov_b32 v10, v17
.LBB812_169:
	s_or_b32 exec_lo, exec_lo, s14
	s_delay_alu instid0(VALU_DEP_1) | instskip(NEXT) | instid1(VALU_DEP_3)
	v_mov_b32_dpp v13, v8 row_shr:4 row_mask:0xf bank_mask:0xf
	v_mov_b32_dpp v17, v12 row_shr:4 row_mask:0xf bank_mask:0xf
	s_mov_b32 s14, exec_lo
	v_cmpx_lt_u32_e32 3, v11
	;; [unrolled: 20-line block ×3, first 2 shown]
	s_cbranch_execz .LBB812_173
; %bb.172:
	v_and_b32_e32 v11, 1, v10
	v_and_b32_e32 v12, 1, v17
	s_delay_alu instid0(VALU_DEP_2) | instskip(NEXT) | instid1(VALU_DEP_1)
	v_cmp_eq_u32_e64 s12, 1, v11
	v_cndmask_b32_e64 v11, v12, 1, s12
	v_cmp_eq_u16_e64 s12, 0, v10
	s_delay_alu instid0(VALU_DEP_2) | instskip(NEXT) | instid1(VALU_DEP_1)
	v_and_b32_e32 v12, 0xffff, v11
	v_dual_cndmask_b32 v10, 0, v13, s12 :: v_dual_bitop2_b32 v12, v7, v12 bitop3:0x54
	s_delay_alu instid0(VALU_DEP_1)
	v_dual_add_nc_u32 v8, v10, v8 :: v_dual_mov_b32 v10, v11
.LBB812_173:
	s_or_b32 exec_lo, exec_lo, s14
	ds_swizzle_b32 v11, v12 offset:swizzle(BROADCAST,32,15)
	ds_swizzle_b32 v12, v8 offset:swizzle(BROADCAST,32,15)
	v_and_b32_e32 v13, 1, v10
	v_bfe_i32 v19, v9, 4, 1
	v_and_b32_e32 v3, 0xff, v3
	; wave barrier
	s_delay_alu instid0(VALU_DEP_3) | instskip(SKIP_2) | instid1(VALU_DEP_1)
	v_cmp_eq_u32_e64 s12, 1, v13
	s_wait_dscnt 0x1
	v_dual_add_nc_u32 v13, -1, v9 :: v_dual_bitop2_b32 v11, 1, v11 bitop3:0x40
	v_cndmask_b32_e64 v11, v11, 1, s12
	v_and_b32_e32 v17, 16, v9
	v_cmp_eq_u16_e64 s12, 0, v10
	s_wait_dscnt 0x0
	s_delay_alu instid0(VALU_DEP_1) | instskip(NEXT) | instid1(VALU_DEP_3)
	v_cndmask_b32_e64 v12, 0, v12, s12
	v_cmp_eq_u32_e64 s12, 0, v17
	s_delay_alu instid0(VALU_DEP_1) | instskip(SKIP_1) | instid1(VALU_DEP_4)
	v_cndmask_b32_e64 v10, v11, v10, s12
	v_cmp_gt_i32_e64 s12, 0, v13
	v_and_b32_e32 v11, v19, v12
	s_delay_alu instid0(VALU_DEP_3) | instskip(NEXT) | instid1(VALU_DEP_2)
	v_and_b32_e32 v10, 0xffff, v10
	v_dual_cndmask_b32 v9, v13, v9, s12 :: v_dual_add_nc_u32 v8, v11, v8
	v_cmp_eq_u16_e64 s12, 0, v3
	s_delay_alu instid0(VALU_DEP_2)
	v_lshlrev_b32_e32 v9, 2, v9
	ds_bpermute_b32 v8, v9, v8
	s_wait_dscnt 0x0
	v_dual_cndmask_b32 v3, 0, v8, s12 :: v_dual_bitop2_b32 v7, v7, v10 bitop3:0x54
	ds_bpermute_b32 v7, v9, v7
	v_cmp_eq_u32_e64 s12, 1, v6
	s_wait_dscnt 0x0
	v_dual_add_nc_u32 v2, v3, v2 :: v_dual_bitop2_b32 v7, 1, v7 bitop3:0x40
	s_delay_alu instid0(VALU_DEP_1) | instskip(NEXT) | instid1(VALU_DEP_1)
	v_cndmask_b32_e64 v3, v7, 1, s12
	v_dual_cndmask_b32 v4, v2, v4, s2 :: v_dual_cndmask_b32 v6, v3, v5, s2
	ds_store_b32 v1, v4
	ds_store_b8 v1, v6 offset:4
	; wave barrier
	ds_load_u8 v7, v1 offset:12
	ds_load_2addr_b32 v[2:3], v1 offset0:2 offset1:4
	ds_load_u8 v8, v1 offset:20
	ds_load_u8 v9, v1 offset:28
	;; [unrolled: 1-line block ×5, first 2 shown]
	ds_load_b32 v13, v1 offset:56
	ds_load_u8 v17, v1 offset:60
	s_wait_dscnt 0x8
	v_cmp_eq_u16_e64 s12, 0, v7
	s_delay_alu instid0(VALU_DEP_1) | instskip(SKIP_4) | instid1(VALU_DEP_1)
	v_cndmask_b32_e64 v19, 0, v4, s12
	ds_load_2addr_b32 v[4:5], v1 offset0:6 offset1:8
	s_wait_dscnt 0x7
	v_cmp_eq_u16_e64 s12, 0, v8
	v_add_nc_u32_e32 v19, v19, v2
	v_cndmask_b32_e64 v2, 0, v19, s12
	s_wait_dscnt 0x6
	v_cmp_eq_u16_e64 s12, 0, v9
	s_delay_alu instid0(VALU_DEP_2)
	v_add_nc_u32_e32 v21, v2, v3
	ds_load_2addr_b32 v[2:3], v1 offset0:10 offset1:12
	v_cndmask_b32_e64 v23, 0, v21, s12
	s_wait_dscnt 0x6
	v_cmp_eq_u16_e64 s12, 0, v10
	ds_store_2addr_b32 v1, v19, v21 offset0:2 offset1:4
	s_wait_dscnt 0x2
	v_dual_add_nc_u32 v4, v23, v4 :: v_dual_bitop2_b32 v7, 1, v7 bitop3:0x40
	s_delay_alu instid0(VALU_DEP_1) | instskip(SKIP_1) | instid1(VALU_DEP_3)
	v_cndmask_b32_e64 v23, 0, v4, s12
	v_and_b32_e32 v8, 1, v8
	v_cmp_eq_u32_e64 s12, 1, v7
	v_and_b32_e32 v7, 1, v9
	s_delay_alu instid0(VALU_DEP_4) | instskip(NEXT) | instid1(VALU_DEP_3)
	v_add_nc_u32_e32 v5, v23, v5
	v_cndmask_b32_e64 v6, v6, 1, s12
	v_cmp_eq_u32_e64 s12, 1, v8
	s_delay_alu instid0(VALU_DEP_1) | instskip(SKIP_1) | instid1(VALU_DEP_1)
	v_cndmask_b32_e64 v8, v6, 1, s12
	v_cmp_eq_u16_e64 s12, 0, v11
	v_dual_cndmask_b32 v10, 0, v5, s12 :: v_dual_bitop2_b32 v9, 1, v10 bitop3:0x40
	s_wait_dscnt 0x1
	s_delay_alu instid0(VALU_DEP_1) | instskip(SKIP_2) | instid1(VALU_DEP_2)
	v_add_nc_u32_e32 v2, v10, v2
	v_cmp_eq_u32_e64 s12, 1, v7
	v_and_b32_e32 v10, 1, v12
	v_cndmask_b32_e64 v7, v8, 1, s12
	v_cmp_eq_u32_e64 s12, 1, v9
	s_delay_alu instid0(VALU_DEP_1) | instskip(SKIP_1) | instid1(VALU_DEP_1)
	v_cndmask_b32_e64 v9, v7, 1, s12
	v_cmp_eq_u16_e64 s12, 0, v12
	v_dual_cndmask_b32 v12, 0, v2, s12 :: v_dual_bitop2_b32 v11, 1, v11 bitop3:0x40
	s_delay_alu instid0(VALU_DEP_1) | instskip(NEXT) | instid1(VALU_DEP_2)
	v_cmp_eq_u32_e64 s12, 1, v11
	v_add_nc_u32_e32 v3, v12, v3
	s_delay_alu instid0(VALU_DEP_2)
	v_cndmask_b32_e64 v11, v9, 1, s12
	v_cmp_eq_u32_e64 s12, 1, v10
	ds_store_2addr_b32 v1, v4, v5 offset0:6 offset1:8
	ds_store_2addr_b32 v1, v2, v3 offset0:10 offset1:12
	v_cndmask_b32_e64 v10, v11, 1, s12
	v_cmp_eq_u16_e64 s12, 0, v17
	s_delay_alu instid0(VALU_DEP_1) | instskip(NEXT) | instid1(VALU_DEP_1)
	v_dual_cndmask_b32 v12, 0, v3, s12 :: v_dual_bitop2_b32 v23, 1, v17 bitop3:0x40
	v_cmp_eq_u32_e64 s12, 1, v23
	s_delay_alu instid0(VALU_DEP_2) | instskip(NEXT) | instid1(VALU_DEP_2)
	v_add_nc_u32_e32 v2, v12, v13
	v_cndmask_b32_e64 v17, v10, 1, s12
	ds_store_b8 v1, v6 offset:12
	ds_store_b8 v1, v8 offset:20
	;; [unrolled: 1-line block ×6, first 2 shown]
	ds_store_b32 v1, v2 offset:56
	ds_store_b8 v1, v17 offset:60
.LBB812_174:
	s_or_b32 exec_lo, exec_lo, s13
	v_mov_b32_e32 v2, v41
	s_wait_dscnt 0x0
	s_barrier_signal -1
	s_barrier_wait -1
	s_and_saveexec_b32 s12, s3
	s_cbranch_execz .LBB812_176
; %bb.175:
	v_add_nc_u32_e32 v1, -1, v0
	s_delay_alu instid0(VALU_DEP_1) | instskip(NEXT) | instid1(VALU_DEP_1)
	v_lshrrev_b32_e32 v2, 2, v1
	v_and_b32_e32 v2, 0x3ffffff8, v2
	s_delay_alu instid0(VALU_DEP_1) | instskip(SKIP_4) | instid1(VALU_DEP_1)
	v_lshl_add_u32 v1, v1, 3, v2
	ds_load_u8 v2, v1 offset:4
	ds_load_b32 v1, v1
	s_wait_dscnt 0x1
	v_cmp_eq_u16_e64 s3, 0, v2
	v_cndmask_b32_e64 v2, 0, v41, s3
	s_wait_dscnt 0x0
	s_delay_alu instid0(VALU_DEP_1)
	v_add_nc_u32_e32 v2, v2, v1
.LBB812_176:
	s_or_b32 exec_lo, exec_lo, s12
	v_and_b32_e32 v39, 0xff, v15
	v_mov_b32_e32 v38, 0
	s_delay_alu instid0(VALU_DEP_1) | instskip(NEXT) | instid1(VALU_DEP_1)
	v_cmp_eq_u64_e64 s3, 0, v[38:39]
	v_cndmask_b32_e64 v1, 0, v2, s3
	s_delay_alu instid0(VALU_DEP_1) | instskip(NEXT) | instid1(VALU_DEP_1)
	v_add_nc_u32_e32 v3, v1, v14
	v_cndmask_b32_e32 v1, 0, v3, vcc_lo
	s_delay_alu instid0(VALU_DEP_1) | instskip(NEXT) | instid1(VALU_DEP_1)
	v_add_nc_u32_e32 v4, v1, v36
	v_cndmask_b32_e64 v1, 0, v4, s1
	s_delay_alu instid0(VALU_DEP_1) | instskip(NEXT) | instid1(VALU_DEP_1)
	v_add_nc_u32_e32 v5, v1, v34
	v_cndmask_b32_e64 v1, 0, v5, s4
	;; [unrolled: 3-line block ×9, first 2 shown]
	s_delay_alu instid0(VALU_DEP_1)
	v_add_nc_u32_e32 v13, v1, v18
	s_and_saveexec_b32 s1, s2
	s_cbranch_execz .LBB812_178
; %bb.177:
	ds_load_u8 v1, v38 offset:2100
	ds_load_b32 v17, v38 offset:2096
	v_mov_b32_e32 v15, v38
	s_add_nc_u64 s[2:3], s[20:21], 0x200
	v_dual_mov_b32 v20, 2 :: v_dual_mov_b32 v21, v38
	s_wait_dscnt 0x1
	v_and_b32_e32 v14, 0xffff, v1
	s_delay_alu instid0(VALU_DEP_1) | instskip(SKIP_3) | instid1(VALU_DEP_2)
	v_cmp_eq_u64_e32 vcc_lo, 0, v[14:15]
	v_dual_cndmask_b32 v1, 0, v41, vcc_lo :: v_dual_mov_b32 v19, v14
	v_mov_b64_e32 v[14:15], s[2:3]
	s_wait_dscnt 0x0
	v_add_nc_u32_e32 v18, v1, v17
	;;#ASMSTART
	global_store_b128 v[14:15], v[18:21] off scope:SCOPE_DEV	
s_wait_storecnt 0x0
	;;#ASMEND
.LBB812_178:
	s_or_b32 exec_lo, exec_lo, s1
	s_add_nc_u64 s[2:3], s[18:19], s[28:29]
	s_and_b32 vcc_lo, exec_lo, s0
	s_add_nc_u64 s[0:1], s[2:3], s[16:17]
	s_cbranch_vccnz .LBB812_118
.LBB812_179:
	s_mov_b32 s2, 0
                                        ; implicit-def: $vgpr15
	s_cbranch_execz .LBB812_181
; %bb.180:
	v_mul_u32_u24_e32 v1, 48, v0
	v_mul_i32_i24_e32 v14, 0xffffffd4, v0
	s_wait_storecnt_dscnt 0x0
	s_barrier_signal -1
	s_barrier_wait -1
	ds_store_b128 v1, v[2:5]
	ds_store_b128 v1, v[6:9] offset:16
	ds_store_b128 v1, v[10:13] offset:32
	v_mad_u32_u24 v1, v0, 48, v14
	s_wait_dscnt 0x0
	s_barrier_signal -1
	s_barrier_wait -1
	ds_load_2addr_stride64_b32 v[2:3], v1 offset1:4
	ds_load_2addr_stride64_b32 v[4:5], v1 offset0:8 offset1:12
	ds_load_2addr_stride64_b32 v[6:7], v1 offset0:16 offset1:20
	;; [unrolled: 1-line block ×5, first 2 shown]
	s_or_b32 s2, s2, exec_lo
	s_wait_dscnt 0x5
	s_clause 0x1
	flat_store_b32 v0, v2, s[0:1] scale_offset
	flat_store_b32 v0, v3, s[0:1] offset:1024 scale_offset
	s_wait_dscnt 0x6
	s_clause 0x1
	flat_store_b32 v0, v4, s[0:1] offset:2048 scale_offset
	flat_store_b32 v0, v5, s[0:1] offset:3072 scale_offset
	s_wait_dscnt 0x7
	s_clause 0x1
	flat_store_b32 v0, v6, s[0:1] offset:4096 scale_offset
	;; [unrolled: 4-line block ×4, first 2 shown]
	flat_store_b32 v0, v11, s[0:1] offset:9216 scale_offset
	s_wait_dscnt 0xa
	flat_store_b32 v0, v14, s[0:1] offset:10240 scale_offset
.LBB812_181:
	s_wait_xcnt 0x0
	s_delay_alu instid0(VALU_DEP_1)
	s_and_saveexec_b32 s3, s2
	s_cbranch_execz .LBB812_183
; %bb.182:
	s_wait_dscnt 0x0
	flat_store_b32 v0, v15, s[0:1] offset:11264 scale_offset
	s_endpgm
.LBB812_183:
	s_endpgm
	.section	.rodata,"a",@progbits
	.p2align	6, 0x0
	.amdhsa_kernel _ZN7rocprim17ROCPRIM_400000_NS6detail17trampoline_kernelINS0_14default_configENS1_27scan_by_key_config_selectorIiiEEZZNS1_16scan_by_key_implILNS1_25lookback_scan_determinismE0ELb1ES3_N6thrust23THRUST_200600_302600_NS6detail15normal_iteratorINS9_10device_ptrIiEEEESE_SE_iNS9_4plusIiEE19head_flag_predicateiEE10hipError_tPvRmT2_T3_T4_T5_mT6_T7_P12ihipStream_tbENKUlT_T0_E_clISt17integral_constantIbLb0EESX_IbLb1EEEEDaST_SU_EUlST_E_NS1_11comp_targetILNS1_3genE0ELNS1_11target_archE4294967295ELNS1_3gpuE0ELNS1_3repE0EEENS1_30default_config_static_selectorELNS0_4arch9wavefront6targetE0EEEvT1_
		.amdhsa_group_segment_fixed_size 14336
		.amdhsa_private_segment_fixed_size 0
		.amdhsa_kernarg_size 112
		.amdhsa_user_sgpr_count 2
		.amdhsa_user_sgpr_dispatch_ptr 0
		.amdhsa_user_sgpr_queue_ptr 0
		.amdhsa_user_sgpr_kernarg_segment_ptr 1
		.amdhsa_user_sgpr_dispatch_id 0
		.amdhsa_user_sgpr_kernarg_preload_length 0
		.amdhsa_user_sgpr_kernarg_preload_offset 0
		.amdhsa_user_sgpr_private_segment_size 0
		.amdhsa_wavefront_size32 1
		.amdhsa_uses_dynamic_stack 0
		.amdhsa_enable_private_segment 0
		.amdhsa_system_sgpr_workgroup_id_x 1
		.amdhsa_system_sgpr_workgroup_id_y 0
		.amdhsa_system_sgpr_workgroup_id_z 0
		.amdhsa_system_sgpr_workgroup_info 0
		.amdhsa_system_vgpr_workitem_id 0
		.amdhsa_next_free_vgpr 60
		.amdhsa_next_free_sgpr 39
		.amdhsa_named_barrier_count 0
		.amdhsa_reserve_vcc 1
		.amdhsa_float_round_mode_32 0
		.amdhsa_float_round_mode_16_64 0
		.amdhsa_float_denorm_mode_32 3
		.amdhsa_float_denorm_mode_16_64 3
		.amdhsa_fp16_overflow 0
		.amdhsa_memory_ordered 1
		.amdhsa_forward_progress 1
		.amdhsa_inst_pref_size 95
		.amdhsa_round_robin_scheduling 0
		.amdhsa_exception_fp_ieee_invalid_op 0
		.amdhsa_exception_fp_denorm_src 0
		.amdhsa_exception_fp_ieee_div_zero 0
		.amdhsa_exception_fp_ieee_overflow 0
		.amdhsa_exception_fp_ieee_underflow 0
		.amdhsa_exception_fp_ieee_inexact 0
		.amdhsa_exception_int_div_zero 0
	.end_amdhsa_kernel
	.section	.text._ZN7rocprim17ROCPRIM_400000_NS6detail17trampoline_kernelINS0_14default_configENS1_27scan_by_key_config_selectorIiiEEZZNS1_16scan_by_key_implILNS1_25lookback_scan_determinismE0ELb1ES3_N6thrust23THRUST_200600_302600_NS6detail15normal_iteratorINS9_10device_ptrIiEEEESE_SE_iNS9_4plusIiEE19head_flag_predicateiEE10hipError_tPvRmT2_T3_T4_T5_mT6_T7_P12ihipStream_tbENKUlT_T0_E_clISt17integral_constantIbLb0EESX_IbLb1EEEEDaST_SU_EUlST_E_NS1_11comp_targetILNS1_3genE0ELNS1_11target_archE4294967295ELNS1_3gpuE0ELNS1_3repE0EEENS1_30default_config_static_selectorELNS0_4arch9wavefront6targetE0EEEvT1_,"axG",@progbits,_ZN7rocprim17ROCPRIM_400000_NS6detail17trampoline_kernelINS0_14default_configENS1_27scan_by_key_config_selectorIiiEEZZNS1_16scan_by_key_implILNS1_25lookback_scan_determinismE0ELb1ES3_N6thrust23THRUST_200600_302600_NS6detail15normal_iteratorINS9_10device_ptrIiEEEESE_SE_iNS9_4plusIiEE19head_flag_predicateiEE10hipError_tPvRmT2_T3_T4_T5_mT6_T7_P12ihipStream_tbENKUlT_T0_E_clISt17integral_constantIbLb0EESX_IbLb1EEEEDaST_SU_EUlST_E_NS1_11comp_targetILNS1_3genE0ELNS1_11target_archE4294967295ELNS1_3gpuE0ELNS1_3repE0EEENS1_30default_config_static_selectorELNS0_4arch9wavefront6targetE0EEEvT1_,comdat
.Lfunc_end812:
	.size	_ZN7rocprim17ROCPRIM_400000_NS6detail17trampoline_kernelINS0_14default_configENS1_27scan_by_key_config_selectorIiiEEZZNS1_16scan_by_key_implILNS1_25lookback_scan_determinismE0ELb1ES3_N6thrust23THRUST_200600_302600_NS6detail15normal_iteratorINS9_10device_ptrIiEEEESE_SE_iNS9_4plusIiEE19head_flag_predicateiEE10hipError_tPvRmT2_T3_T4_T5_mT6_T7_P12ihipStream_tbENKUlT_T0_E_clISt17integral_constantIbLb0EESX_IbLb1EEEEDaST_SU_EUlST_E_NS1_11comp_targetILNS1_3genE0ELNS1_11target_archE4294967295ELNS1_3gpuE0ELNS1_3repE0EEENS1_30default_config_static_selectorELNS0_4arch9wavefront6targetE0EEEvT1_, .Lfunc_end812-_ZN7rocprim17ROCPRIM_400000_NS6detail17trampoline_kernelINS0_14default_configENS1_27scan_by_key_config_selectorIiiEEZZNS1_16scan_by_key_implILNS1_25lookback_scan_determinismE0ELb1ES3_N6thrust23THRUST_200600_302600_NS6detail15normal_iteratorINS9_10device_ptrIiEEEESE_SE_iNS9_4plusIiEE19head_flag_predicateiEE10hipError_tPvRmT2_T3_T4_T5_mT6_T7_P12ihipStream_tbENKUlT_T0_E_clISt17integral_constantIbLb0EESX_IbLb1EEEEDaST_SU_EUlST_E_NS1_11comp_targetILNS1_3genE0ELNS1_11target_archE4294967295ELNS1_3gpuE0ELNS1_3repE0EEENS1_30default_config_static_selectorELNS0_4arch9wavefront6targetE0EEEvT1_
                                        ; -- End function
	.set _ZN7rocprim17ROCPRIM_400000_NS6detail17trampoline_kernelINS0_14default_configENS1_27scan_by_key_config_selectorIiiEEZZNS1_16scan_by_key_implILNS1_25lookback_scan_determinismE0ELb1ES3_N6thrust23THRUST_200600_302600_NS6detail15normal_iteratorINS9_10device_ptrIiEEEESE_SE_iNS9_4plusIiEE19head_flag_predicateiEE10hipError_tPvRmT2_T3_T4_T5_mT6_T7_P12ihipStream_tbENKUlT_T0_E_clISt17integral_constantIbLb0EESX_IbLb1EEEEDaST_SU_EUlST_E_NS1_11comp_targetILNS1_3genE0ELNS1_11target_archE4294967295ELNS1_3gpuE0ELNS1_3repE0EEENS1_30default_config_static_selectorELNS0_4arch9wavefront6targetE0EEEvT1_.num_vgpr, 60
	.set _ZN7rocprim17ROCPRIM_400000_NS6detail17trampoline_kernelINS0_14default_configENS1_27scan_by_key_config_selectorIiiEEZZNS1_16scan_by_key_implILNS1_25lookback_scan_determinismE0ELb1ES3_N6thrust23THRUST_200600_302600_NS6detail15normal_iteratorINS9_10device_ptrIiEEEESE_SE_iNS9_4plusIiEE19head_flag_predicateiEE10hipError_tPvRmT2_T3_T4_T5_mT6_T7_P12ihipStream_tbENKUlT_T0_E_clISt17integral_constantIbLb0EESX_IbLb1EEEEDaST_SU_EUlST_E_NS1_11comp_targetILNS1_3genE0ELNS1_11target_archE4294967295ELNS1_3gpuE0ELNS1_3repE0EEENS1_30default_config_static_selectorELNS0_4arch9wavefront6targetE0EEEvT1_.num_agpr, 0
	.set _ZN7rocprim17ROCPRIM_400000_NS6detail17trampoline_kernelINS0_14default_configENS1_27scan_by_key_config_selectorIiiEEZZNS1_16scan_by_key_implILNS1_25lookback_scan_determinismE0ELb1ES3_N6thrust23THRUST_200600_302600_NS6detail15normal_iteratorINS9_10device_ptrIiEEEESE_SE_iNS9_4plusIiEE19head_flag_predicateiEE10hipError_tPvRmT2_T3_T4_T5_mT6_T7_P12ihipStream_tbENKUlT_T0_E_clISt17integral_constantIbLb0EESX_IbLb1EEEEDaST_SU_EUlST_E_NS1_11comp_targetILNS1_3genE0ELNS1_11target_archE4294967295ELNS1_3gpuE0ELNS1_3repE0EEENS1_30default_config_static_selectorELNS0_4arch9wavefront6targetE0EEEvT1_.numbered_sgpr, 39
	.set _ZN7rocprim17ROCPRIM_400000_NS6detail17trampoline_kernelINS0_14default_configENS1_27scan_by_key_config_selectorIiiEEZZNS1_16scan_by_key_implILNS1_25lookback_scan_determinismE0ELb1ES3_N6thrust23THRUST_200600_302600_NS6detail15normal_iteratorINS9_10device_ptrIiEEEESE_SE_iNS9_4plusIiEE19head_flag_predicateiEE10hipError_tPvRmT2_T3_T4_T5_mT6_T7_P12ihipStream_tbENKUlT_T0_E_clISt17integral_constantIbLb0EESX_IbLb1EEEEDaST_SU_EUlST_E_NS1_11comp_targetILNS1_3genE0ELNS1_11target_archE4294967295ELNS1_3gpuE0ELNS1_3repE0EEENS1_30default_config_static_selectorELNS0_4arch9wavefront6targetE0EEEvT1_.num_named_barrier, 0
	.set _ZN7rocprim17ROCPRIM_400000_NS6detail17trampoline_kernelINS0_14default_configENS1_27scan_by_key_config_selectorIiiEEZZNS1_16scan_by_key_implILNS1_25lookback_scan_determinismE0ELb1ES3_N6thrust23THRUST_200600_302600_NS6detail15normal_iteratorINS9_10device_ptrIiEEEESE_SE_iNS9_4plusIiEE19head_flag_predicateiEE10hipError_tPvRmT2_T3_T4_T5_mT6_T7_P12ihipStream_tbENKUlT_T0_E_clISt17integral_constantIbLb0EESX_IbLb1EEEEDaST_SU_EUlST_E_NS1_11comp_targetILNS1_3genE0ELNS1_11target_archE4294967295ELNS1_3gpuE0ELNS1_3repE0EEENS1_30default_config_static_selectorELNS0_4arch9wavefront6targetE0EEEvT1_.private_seg_size, 0
	.set _ZN7rocprim17ROCPRIM_400000_NS6detail17trampoline_kernelINS0_14default_configENS1_27scan_by_key_config_selectorIiiEEZZNS1_16scan_by_key_implILNS1_25lookback_scan_determinismE0ELb1ES3_N6thrust23THRUST_200600_302600_NS6detail15normal_iteratorINS9_10device_ptrIiEEEESE_SE_iNS9_4plusIiEE19head_flag_predicateiEE10hipError_tPvRmT2_T3_T4_T5_mT6_T7_P12ihipStream_tbENKUlT_T0_E_clISt17integral_constantIbLb0EESX_IbLb1EEEEDaST_SU_EUlST_E_NS1_11comp_targetILNS1_3genE0ELNS1_11target_archE4294967295ELNS1_3gpuE0ELNS1_3repE0EEENS1_30default_config_static_selectorELNS0_4arch9wavefront6targetE0EEEvT1_.uses_vcc, 1
	.set _ZN7rocprim17ROCPRIM_400000_NS6detail17trampoline_kernelINS0_14default_configENS1_27scan_by_key_config_selectorIiiEEZZNS1_16scan_by_key_implILNS1_25lookback_scan_determinismE0ELb1ES3_N6thrust23THRUST_200600_302600_NS6detail15normal_iteratorINS9_10device_ptrIiEEEESE_SE_iNS9_4plusIiEE19head_flag_predicateiEE10hipError_tPvRmT2_T3_T4_T5_mT6_T7_P12ihipStream_tbENKUlT_T0_E_clISt17integral_constantIbLb0EESX_IbLb1EEEEDaST_SU_EUlST_E_NS1_11comp_targetILNS1_3genE0ELNS1_11target_archE4294967295ELNS1_3gpuE0ELNS1_3repE0EEENS1_30default_config_static_selectorELNS0_4arch9wavefront6targetE0EEEvT1_.uses_flat_scratch, 1
	.set _ZN7rocprim17ROCPRIM_400000_NS6detail17trampoline_kernelINS0_14default_configENS1_27scan_by_key_config_selectorIiiEEZZNS1_16scan_by_key_implILNS1_25lookback_scan_determinismE0ELb1ES3_N6thrust23THRUST_200600_302600_NS6detail15normal_iteratorINS9_10device_ptrIiEEEESE_SE_iNS9_4plusIiEE19head_flag_predicateiEE10hipError_tPvRmT2_T3_T4_T5_mT6_T7_P12ihipStream_tbENKUlT_T0_E_clISt17integral_constantIbLb0EESX_IbLb1EEEEDaST_SU_EUlST_E_NS1_11comp_targetILNS1_3genE0ELNS1_11target_archE4294967295ELNS1_3gpuE0ELNS1_3repE0EEENS1_30default_config_static_selectorELNS0_4arch9wavefront6targetE0EEEvT1_.has_dyn_sized_stack, 0
	.set _ZN7rocprim17ROCPRIM_400000_NS6detail17trampoline_kernelINS0_14default_configENS1_27scan_by_key_config_selectorIiiEEZZNS1_16scan_by_key_implILNS1_25lookback_scan_determinismE0ELb1ES3_N6thrust23THRUST_200600_302600_NS6detail15normal_iteratorINS9_10device_ptrIiEEEESE_SE_iNS9_4plusIiEE19head_flag_predicateiEE10hipError_tPvRmT2_T3_T4_T5_mT6_T7_P12ihipStream_tbENKUlT_T0_E_clISt17integral_constantIbLb0EESX_IbLb1EEEEDaST_SU_EUlST_E_NS1_11comp_targetILNS1_3genE0ELNS1_11target_archE4294967295ELNS1_3gpuE0ELNS1_3repE0EEENS1_30default_config_static_selectorELNS0_4arch9wavefront6targetE0EEEvT1_.has_recursion, 0
	.set _ZN7rocprim17ROCPRIM_400000_NS6detail17trampoline_kernelINS0_14default_configENS1_27scan_by_key_config_selectorIiiEEZZNS1_16scan_by_key_implILNS1_25lookback_scan_determinismE0ELb1ES3_N6thrust23THRUST_200600_302600_NS6detail15normal_iteratorINS9_10device_ptrIiEEEESE_SE_iNS9_4plusIiEE19head_flag_predicateiEE10hipError_tPvRmT2_T3_T4_T5_mT6_T7_P12ihipStream_tbENKUlT_T0_E_clISt17integral_constantIbLb0EESX_IbLb1EEEEDaST_SU_EUlST_E_NS1_11comp_targetILNS1_3genE0ELNS1_11target_archE4294967295ELNS1_3gpuE0ELNS1_3repE0EEENS1_30default_config_static_selectorELNS0_4arch9wavefront6targetE0EEEvT1_.has_indirect_call, 0
	.section	.AMDGPU.csdata,"",@progbits
; Kernel info:
; codeLenInByte = 12140
; TotalNumSgprs: 41
; NumVgprs: 60
; ScratchSize: 0
; MemoryBound: 0
; FloatMode: 240
; IeeeMode: 1
; LDSByteSize: 14336 bytes/workgroup (compile time only)
; SGPRBlocks: 0
; VGPRBlocks: 3
; NumSGPRsForWavesPerEU: 41
; NumVGPRsForWavesPerEU: 60
; NamedBarCnt: 0
; Occupancy: 16
; WaveLimiterHint : 1
; COMPUTE_PGM_RSRC2:SCRATCH_EN: 0
; COMPUTE_PGM_RSRC2:USER_SGPR: 2
; COMPUTE_PGM_RSRC2:TRAP_HANDLER: 0
; COMPUTE_PGM_RSRC2:TGID_X_EN: 1
; COMPUTE_PGM_RSRC2:TGID_Y_EN: 0
; COMPUTE_PGM_RSRC2:TGID_Z_EN: 0
; COMPUTE_PGM_RSRC2:TIDIG_COMP_CNT: 0
	.section	.text._ZN7rocprim17ROCPRIM_400000_NS6detail17trampoline_kernelINS0_14default_configENS1_27scan_by_key_config_selectorIiiEEZZNS1_16scan_by_key_implILNS1_25lookback_scan_determinismE0ELb1ES3_N6thrust23THRUST_200600_302600_NS6detail15normal_iteratorINS9_10device_ptrIiEEEESE_SE_iNS9_4plusIiEE19head_flag_predicateiEE10hipError_tPvRmT2_T3_T4_T5_mT6_T7_P12ihipStream_tbENKUlT_T0_E_clISt17integral_constantIbLb0EESX_IbLb1EEEEDaST_SU_EUlST_E_NS1_11comp_targetILNS1_3genE10ELNS1_11target_archE1201ELNS1_3gpuE5ELNS1_3repE0EEENS1_30default_config_static_selectorELNS0_4arch9wavefront6targetE0EEEvT1_,"axG",@progbits,_ZN7rocprim17ROCPRIM_400000_NS6detail17trampoline_kernelINS0_14default_configENS1_27scan_by_key_config_selectorIiiEEZZNS1_16scan_by_key_implILNS1_25lookback_scan_determinismE0ELb1ES3_N6thrust23THRUST_200600_302600_NS6detail15normal_iteratorINS9_10device_ptrIiEEEESE_SE_iNS9_4plusIiEE19head_flag_predicateiEE10hipError_tPvRmT2_T3_T4_T5_mT6_T7_P12ihipStream_tbENKUlT_T0_E_clISt17integral_constantIbLb0EESX_IbLb1EEEEDaST_SU_EUlST_E_NS1_11comp_targetILNS1_3genE10ELNS1_11target_archE1201ELNS1_3gpuE5ELNS1_3repE0EEENS1_30default_config_static_selectorELNS0_4arch9wavefront6targetE0EEEvT1_,comdat
	.protected	_ZN7rocprim17ROCPRIM_400000_NS6detail17trampoline_kernelINS0_14default_configENS1_27scan_by_key_config_selectorIiiEEZZNS1_16scan_by_key_implILNS1_25lookback_scan_determinismE0ELb1ES3_N6thrust23THRUST_200600_302600_NS6detail15normal_iteratorINS9_10device_ptrIiEEEESE_SE_iNS9_4plusIiEE19head_flag_predicateiEE10hipError_tPvRmT2_T3_T4_T5_mT6_T7_P12ihipStream_tbENKUlT_T0_E_clISt17integral_constantIbLb0EESX_IbLb1EEEEDaST_SU_EUlST_E_NS1_11comp_targetILNS1_3genE10ELNS1_11target_archE1201ELNS1_3gpuE5ELNS1_3repE0EEENS1_30default_config_static_selectorELNS0_4arch9wavefront6targetE0EEEvT1_ ; -- Begin function _ZN7rocprim17ROCPRIM_400000_NS6detail17trampoline_kernelINS0_14default_configENS1_27scan_by_key_config_selectorIiiEEZZNS1_16scan_by_key_implILNS1_25lookback_scan_determinismE0ELb1ES3_N6thrust23THRUST_200600_302600_NS6detail15normal_iteratorINS9_10device_ptrIiEEEESE_SE_iNS9_4plusIiEE19head_flag_predicateiEE10hipError_tPvRmT2_T3_T4_T5_mT6_T7_P12ihipStream_tbENKUlT_T0_E_clISt17integral_constantIbLb0EESX_IbLb1EEEEDaST_SU_EUlST_E_NS1_11comp_targetILNS1_3genE10ELNS1_11target_archE1201ELNS1_3gpuE5ELNS1_3repE0EEENS1_30default_config_static_selectorELNS0_4arch9wavefront6targetE0EEEvT1_
	.globl	_ZN7rocprim17ROCPRIM_400000_NS6detail17trampoline_kernelINS0_14default_configENS1_27scan_by_key_config_selectorIiiEEZZNS1_16scan_by_key_implILNS1_25lookback_scan_determinismE0ELb1ES3_N6thrust23THRUST_200600_302600_NS6detail15normal_iteratorINS9_10device_ptrIiEEEESE_SE_iNS9_4plusIiEE19head_flag_predicateiEE10hipError_tPvRmT2_T3_T4_T5_mT6_T7_P12ihipStream_tbENKUlT_T0_E_clISt17integral_constantIbLb0EESX_IbLb1EEEEDaST_SU_EUlST_E_NS1_11comp_targetILNS1_3genE10ELNS1_11target_archE1201ELNS1_3gpuE5ELNS1_3repE0EEENS1_30default_config_static_selectorELNS0_4arch9wavefront6targetE0EEEvT1_
	.p2align	8
	.type	_ZN7rocprim17ROCPRIM_400000_NS6detail17trampoline_kernelINS0_14default_configENS1_27scan_by_key_config_selectorIiiEEZZNS1_16scan_by_key_implILNS1_25lookback_scan_determinismE0ELb1ES3_N6thrust23THRUST_200600_302600_NS6detail15normal_iteratorINS9_10device_ptrIiEEEESE_SE_iNS9_4plusIiEE19head_flag_predicateiEE10hipError_tPvRmT2_T3_T4_T5_mT6_T7_P12ihipStream_tbENKUlT_T0_E_clISt17integral_constantIbLb0EESX_IbLb1EEEEDaST_SU_EUlST_E_NS1_11comp_targetILNS1_3genE10ELNS1_11target_archE1201ELNS1_3gpuE5ELNS1_3repE0EEENS1_30default_config_static_selectorELNS0_4arch9wavefront6targetE0EEEvT1_,@function
_ZN7rocprim17ROCPRIM_400000_NS6detail17trampoline_kernelINS0_14default_configENS1_27scan_by_key_config_selectorIiiEEZZNS1_16scan_by_key_implILNS1_25lookback_scan_determinismE0ELb1ES3_N6thrust23THRUST_200600_302600_NS6detail15normal_iteratorINS9_10device_ptrIiEEEESE_SE_iNS9_4plusIiEE19head_flag_predicateiEE10hipError_tPvRmT2_T3_T4_T5_mT6_T7_P12ihipStream_tbENKUlT_T0_E_clISt17integral_constantIbLb0EESX_IbLb1EEEEDaST_SU_EUlST_E_NS1_11comp_targetILNS1_3genE10ELNS1_11target_archE1201ELNS1_3gpuE5ELNS1_3repE0EEENS1_30default_config_static_selectorELNS0_4arch9wavefront6targetE0EEEvT1_: ; @_ZN7rocprim17ROCPRIM_400000_NS6detail17trampoline_kernelINS0_14default_configENS1_27scan_by_key_config_selectorIiiEEZZNS1_16scan_by_key_implILNS1_25lookback_scan_determinismE0ELb1ES3_N6thrust23THRUST_200600_302600_NS6detail15normal_iteratorINS9_10device_ptrIiEEEESE_SE_iNS9_4plusIiEE19head_flag_predicateiEE10hipError_tPvRmT2_T3_T4_T5_mT6_T7_P12ihipStream_tbENKUlT_T0_E_clISt17integral_constantIbLb0EESX_IbLb1EEEEDaST_SU_EUlST_E_NS1_11comp_targetILNS1_3genE10ELNS1_11target_archE1201ELNS1_3gpuE5ELNS1_3repE0EEENS1_30default_config_static_selectorELNS0_4arch9wavefront6targetE0EEEvT1_
; %bb.0:
	.section	.rodata,"a",@progbits
	.p2align	6, 0x0
	.amdhsa_kernel _ZN7rocprim17ROCPRIM_400000_NS6detail17trampoline_kernelINS0_14default_configENS1_27scan_by_key_config_selectorIiiEEZZNS1_16scan_by_key_implILNS1_25lookback_scan_determinismE0ELb1ES3_N6thrust23THRUST_200600_302600_NS6detail15normal_iteratorINS9_10device_ptrIiEEEESE_SE_iNS9_4plusIiEE19head_flag_predicateiEE10hipError_tPvRmT2_T3_T4_T5_mT6_T7_P12ihipStream_tbENKUlT_T0_E_clISt17integral_constantIbLb0EESX_IbLb1EEEEDaST_SU_EUlST_E_NS1_11comp_targetILNS1_3genE10ELNS1_11target_archE1201ELNS1_3gpuE5ELNS1_3repE0EEENS1_30default_config_static_selectorELNS0_4arch9wavefront6targetE0EEEvT1_
		.amdhsa_group_segment_fixed_size 0
		.amdhsa_private_segment_fixed_size 0
		.amdhsa_kernarg_size 112
		.amdhsa_user_sgpr_count 2
		.amdhsa_user_sgpr_dispatch_ptr 0
		.amdhsa_user_sgpr_queue_ptr 0
		.amdhsa_user_sgpr_kernarg_segment_ptr 1
		.amdhsa_user_sgpr_dispatch_id 0
		.amdhsa_user_sgpr_kernarg_preload_length 0
		.amdhsa_user_sgpr_kernarg_preload_offset 0
		.amdhsa_user_sgpr_private_segment_size 0
		.amdhsa_wavefront_size32 1
		.amdhsa_uses_dynamic_stack 0
		.amdhsa_enable_private_segment 0
		.amdhsa_system_sgpr_workgroup_id_x 1
		.amdhsa_system_sgpr_workgroup_id_y 0
		.amdhsa_system_sgpr_workgroup_id_z 0
		.amdhsa_system_sgpr_workgroup_info 0
		.amdhsa_system_vgpr_workitem_id 0
		.amdhsa_next_free_vgpr 1
		.amdhsa_next_free_sgpr 1
		.amdhsa_named_barrier_count 0
		.amdhsa_reserve_vcc 0
		.amdhsa_float_round_mode_32 0
		.amdhsa_float_round_mode_16_64 0
		.amdhsa_float_denorm_mode_32 3
		.amdhsa_float_denorm_mode_16_64 3
		.amdhsa_fp16_overflow 0
		.amdhsa_memory_ordered 1
		.amdhsa_forward_progress 1
		.amdhsa_inst_pref_size 0
		.amdhsa_round_robin_scheduling 0
		.amdhsa_exception_fp_ieee_invalid_op 0
		.amdhsa_exception_fp_denorm_src 0
		.amdhsa_exception_fp_ieee_div_zero 0
		.amdhsa_exception_fp_ieee_overflow 0
		.amdhsa_exception_fp_ieee_underflow 0
		.amdhsa_exception_fp_ieee_inexact 0
		.amdhsa_exception_int_div_zero 0
	.end_amdhsa_kernel
	.section	.text._ZN7rocprim17ROCPRIM_400000_NS6detail17trampoline_kernelINS0_14default_configENS1_27scan_by_key_config_selectorIiiEEZZNS1_16scan_by_key_implILNS1_25lookback_scan_determinismE0ELb1ES3_N6thrust23THRUST_200600_302600_NS6detail15normal_iteratorINS9_10device_ptrIiEEEESE_SE_iNS9_4plusIiEE19head_flag_predicateiEE10hipError_tPvRmT2_T3_T4_T5_mT6_T7_P12ihipStream_tbENKUlT_T0_E_clISt17integral_constantIbLb0EESX_IbLb1EEEEDaST_SU_EUlST_E_NS1_11comp_targetILNS1_3genE10ELNS1_11target_archE1201ELNS1_3gpuE5ELNS1_3repE0EEENS1_30default_config_static_selectorELNS0_4arch9wavefront6targetE0EEEvT1_,"axG",@progbits,_ZN7rocprim17ROCPRIM_400000_NS6detail17trampoline_kernelINS0_14default_configENS1_27scan_by_key_config_selectorIiiEEZZNS1_16scan_by_key_implILNS1_25lookback_scan_determinismE0ELb1ES3_N6thrust23THRUST_200600_302600_NS6detail15normal_iteratorINS9_10device_ptrIiEEEESE_SE_iNS9_4plusIiEE19head_flag_predicateiEE10hipError_tPvRmT2_T3_T4_T5_mT6_T7_P12ihipStream_tbENKUlT_T0_E_clISt17integral_constantIbLb0EESX_IbLb1EEEEDaST_SU_EUlST_E_NS1_11comp_targetILNS1_3genE10ELNS1_11target_archE1201ELNS1_3gpuE5ELNS1_3repE0EEENS1_30default_config_static_selectorELNS0_4arch9wavefront6targetE0EEEvT1_,comdat
.Lfunc_end813:
	.size	_ZN7rocprim17ROCPRIM_400000_NS6detail17trampoline_kernelINS0_14default_configENS1_27scan_by_key_config_selectorIiiEEZZNS1_16scan_by_key_implILNS1_25lookback_scan_determinismE0ELb1ES3_N6thrust23THRUST_200600_302600_NS6detail15normal_iteratorINS9_10device_ptrIiEEEESE_SE_iNS9_4plusIiEE19head_flag_predicateiEE10hipError_tPvRmT2_T3_T4_T5_mT6_T7_P12ihipStream_tbENKUlT_T0_E_clISt17integral_constantIbLb0EESX_IbLb1EEEEDaST_SU_EUlST_E_NS1_11comp_targetILNS1_3genE10ELNS1_11target_archE1201ELNS1_3gpuE5ELNS1_3repE0EEENS1_30default_config_static_selectorELNS0_4arch9wavefront6targetE0EEEvT1_, .Lfunc_end813-_ZN7rocprim17ROCPRIM_400000_NS6detail17trampoline_kernelINS0_14default_configENS1_27scan_by_key_config_selectorIiiEEZZNS1_16scan_by_key_implILNS1_25lookback_scan_determinismE0ELb1ES3_N6thrust23THRUST_200600_302600_NS6detail15normal_iteratorINS9_10device_ptrIiEEEESE_SE_iNS9_4plusIiEE19head_flag_predicateiEE10hipError_tPvRmT2_T3_T4_T5_mT6_T7_P12ihipStream_tbENKUlT_T0_E_clISt17integral_constantIbLb0EESX_IbLb1EEEEDaST_SU_EUlST_E_NS1_11comp_targetILNS1_3genE10ELNS1_11target_archE1201ELNS1_3gpuE5ELNS1_3repE0EEENS1_30default_config_static_selectorELNS0_4arch9wavefront6targetE0EEEvT1_
                                        ; -- End function
	.set _ZN7rocprim17ROCPRIM_400000_NS6detail17trampoline_kernelINS0_14default_configENS1_27scan_by_key_config_selectorIiiEEZZNS1_16scan_by_key_implILNS1_25lookback_scan_determinismE0ELb1ES3_N6thrust23THRUST_200600_302600_NS6detail15normal_iteratorINS9_10device_ptrIiEEEESE_SE_iNS9_4plusIiEE19head_flag_predicateiEE10hipError_tPvRmT2_T3_T4_T5_mT6_T7_P12ihipStream_tbENKUlT_T0_E_clISt17integral_constantIbLb0EESX_IbLb1EEEEDaST_SU_EUlST_E_NS1_11comp_targetILNS1_3genE10ELNS1_11target_archE1201ELNS1_3gpuE5ELNS1_3repE0EEENS1_30default_config_static_selectorELNS0_4arch9wavefront6targetE0EEEvT1_.num_vgpr, 0
	.set _ZN7rocprim17ROCPRIM_400000_NS6detail17trampoline_kernelINS0_14default_configENS1_27scan_by_key_config_selectorIiiEEZZNS1_16scan_by_key_implILNS1_25lookback_scan_determinismE0ELb1ES3_N6thrust23THRUST_200600_302600_NS6detail15normal_iteratorINS9_10device_ptrIiEEEESE_SE_iNS9_4plusIiEE19head_flag_predicateiEE10hipError_tPvRmT2_T3_T4_T5_mT6_T7_P12ihipStream_tbENKUlT_T0_E_clISt17integral_constantIbLb0EESX_IbLb1EEEEDaST_SU_EUlST_E_NS1_11comp_targetILNS1_3genE10ELNS1_11target_archE1201ELNS1_3gpuE5ELNS1_3repE0EEENS1_30default_config_static_selectorELNS0_4arch9wavefront6targetE0EEEvT1_.num_agpr, 0
	.set _ZN7rocprim17ROCPRIM_400000_NS6detail17trampoline_kernelINS0_14default_configENS1_27scan_by_key_config_selectorIiiEEZZNS1_16scan_by_key_implILNS1_25lookback_scan_determinismE0ELb1ES3_N6thrust23THRUST_200600_302600_NS6detail15normal_iteratorINS9_10device_ptrIiEEEESE_SE_iNS9_4plusIiEE19head_flag_predicateiEE10hipError_tPvRmT2_T3_T4_T5_mT6_T7_P12ihipStream_tbENKUlT_T0_E_clISt17integral_constantIbLb0EESX_IbLb1EEEEDaST_SU_EUlST_E_NS1_11comp_targetILNS1_3genE10ELNS1_11target_archE1201ELNS1_3gpuE5ELNS1_3repE0EEENS1_30default_config_static_selectorELNS0_4arch9wavefront6targetE0EEEvT1_.numbered_sgpr, 0
	.set _ZN7rocprim17ROCPRIM_400000_NS6detail17trampoline_kernelINS0_14default_configENS1_27scan_by_key_config_selectorIiiEEZZNS1_16scan_by_key_implILNS1_25lookback_scan_determinismE0ELb1ES3_N6thrust23THRUST_200600_302600_NS6detail15normal_iteratorINS9_10device_ptrIiEEEESE_SE_iNS9_4plusIiEE19head_flag_predicateiEE10hipError_tPvRmT2_T3_T4_T5_mT6_T7_P12ihipStream_tbENKUlT_T0_E_clISt17integral_constantIbLb0EESX_IbLb1EEEEDaST_SU_EUlST_E_NS1_11comp_targetILNS1_3genE10ELNS1_11target_archE1201ELNS1_3gpuE5ELNS1_3repE0EEENS1_30default_config_static_selectorELNS0_4arch9wavefront6targetE0EEEvT1_.num_named_barrier, 0
	.set _ZN7rocprim17ROCPRIM_400000_NS6detail17trampoline_kernelINS0_14default_configENS1_27scan_by_key_config_selectorIiiEEZZNS1_16scan_by_key_implILNS1_25lookback_scan_determinismE0ELb1ES3_N6thrust23THRUST_200600_302600_NS6detail15normal_iteratorINS9_10device_ptrIiEEEESE_SE_iNS9_4plusIiEE19head_flag_predicateiEE10hipError_tPvRmT2_T3_T4_T5_mT6_T7_P12ihipStream_tbENKUlT_T0_E_clISt17integral_constantIbLb0EESX_IbLb1EEEEDaST_SU_EUlST_E_NS1_11comp_targetILNS1_3genE10ELNS1_11target_archE1201ELNS1_3gpuE5ELNS1_3repE0EEENS1_30default_config_static_selectorELNS0_4arch9wavefront6targetE0EEEvT1_.private_seg_size, 0
	.set _ZN7rocprim17ROCPRIM_400000_NS6detail17trampoline_kernelINS0_14default_configENS1_27scan_by_key_config_selectorIiiEEZZNS1_16scan_by_key_implILNS1_25lookback_scan_determinismE0ELb1ES3_N6thrust23THRUST_200600_302600_NS6detail15normal_iteratorINS9_10device_ptrIiEEEESE_SE_iNS9_4plusIiEE19head_flag_predicateiEE10hipError_tPvRmT2_T3_T4_T5_mT6_T7_P12ihipStream_tbENKUlT_T0_E_clISt17integral_constantIbLb0EESX_IbLb1EEEEDaST_SU_EUlST_E_NS1_11comp_targetILNS1_3genE10ELNS1_11target_archE1201ELNS1_3gpuE5ELNS1_3repE0EEENS1_30default_config_static_selectorELNS0_4arch9wavefront6targetE0EEEvT1_.uses_vcc, 0
	.set _ZN7rocprim17ROCPRIM_400000_NS6detail17trampoline_kernelINS0_14default_configENS1_27scan_by_key_config_selectorIiiEEZZNS1_16scan_by_key_implILNS1_25lookback_scan_determinismE0ELb1ES3_N6thrust23THRUST_200600_302600_NS6detail15normal_iteratorINS9_10device_ptrIiEEEESE_SE_iNS9_4plusIiEE19head_flag_predicateiEE10hipError_tPvRmT2_T3_T4_T5_mT6_T7_P12ihipStream_tbENKUlT_T0_E_clISt17integral_constantIbLb0EESX_IbLb1EEEEDaST_SU_EUlST_E_NS1_11comp_targetILNS1_3genE10ELNS1_11target_archE1201ELNS1_3gpuE5ELNS1_3repE0EEENS1_30default_config_static_selectorELNS0_4arch9wavefront6targetE0EEEvT1_.uses_flat_scratch, 0
	.set _ZN7rocprim17ROCPRIM_400000_NS6detail17trampoline_kernelINS0_14default_configENS1_27scan_by_key_config_selectorIiiEEZZNS1_16scan_by_key_implILNS1_25lookback_scan_determinismE0ELb1ES3_N6thrust23THRUST_200600_302600_NS6detail15normal_iteratorINS9_10device_ptrIiEEEESE_SE_iNS9_4plusIiEE19head_flag_predicateiEE10hipError_tPvRmT2_T3_T4_T5_mT6_T7_P12ihipStream_tbENKUlT_T0_E_clISt17integral_constantIbLb0EESX_IbLb1EEEEDaST_SU_EUlST_E_NS1_11comp_targetILNS1_3genE10ELNS1_11target_archE1201ELNS1_3gpuE5ELNS1_3repE0EEENS1_30default_config_static_selectorELNS0_4arch9wavefront6targetE0EEEvT1_.has_dyn_sized_stack, 0
	.set _ZN7rocprim17ROCPRIM_400000_NS6detail17trampoline_kernelINS0_14default_configENS1_27scan_by_key_config_selectorIiiEEZZNS1_16scan_by_key_implILNS1_25lookback_scan_determinismE0ELb1ES3_N6thrust23THRUST_200600_302600_NS6detail15normal_iteratorINS9_10device_ptrIiEEEESE_SE_iNS9_4plusIiEE19head_flag_predicateiEE10hipError_tPvRmT2_T3_T4_T5_mT6_T7_P12ihipStream_tbENKUlT_T0_E_clISt17integral_constantIbLb0EESX_IbLb1EEEEDaST_SU_EUlST_E_NS1_11comp_targetILNS1_3genE10ELNS1_11target_archE1201ELNS1_3gpuE5ELNS1_3repE0EEENS1_30default_config_static_selectorELNS0_4arch9wavefront6targetE0EEEvT1_.has_recursion, 0
	.set _ZN7rocprim17ROCPRIM_400000_NS6detail17trampoline_kernelINS0_14default_configENS1_27scan_by_key_config_selectorIiiEEZZNS1_16scan_by_key_implILNS1_25lookback_scan_determinismE0ELb1ES3_N6thrust23THRUST_200600_302600_NS6detail15normal_iteratorINS9_10device_ptrIiEEEESE_SE_iNS9_4plusIiEE19head_flag_predicateiEE10hipError_tPvRmT2_T3_T4_T5_mT6_T7_P12ihipStream_tbENKUlT_T0_E_clISt17integral_constantIbLb0EESX_IbLb1EEEEDaST_SU_EUlST_E_NS1_11comp_targetILNS1_3genE10ELNS1_11target_archE1201ELNS1_3gpuE5ELNS1_3repE0EEENS1_30default_config_static_selectorELNS0_4arch9wavefront6targetE0EEEvT1_.has_indirect_call, 0
	.section	.AMDGPU.csdata,"",@progbits
; Kernel info:
; codeLenInByte = 0
; TotalNumSgprs: 0
; NumVgprs: 0
; ScratchSize: 0
; MemoryBound: 0
; FloatMode: 240
; IeeeMode: 1
; LDSByteSize: 0 bytes/workgroup (compile time only)
; SGPRBlocks: 0
; VGPRBlocks: 0
; NumSGPRsForWavesPerEU: 1
; NumVGPRsForWavesPerEU: 1
; NamedBarCnt: 0
; Occupancy: 16
; WaveLimiterHint : 0
; COMPUTE_PGM_RSRC2:SCRATCH_EN: 0
; COMPUTE_PGM_RSRC2:USER_SGPR: 2
; COMPUTE_PGM_RSRC2:TRAP_HANDLER: 0
; COMPUTE_PGM_RSRC2:TGID_X_EN: 1
; COMPUTE_PGM_RSRC2:TGID_Y_EN: 0
; COMPUTE_PGM_RSRC2:TGID_Z_EN: 0
; COMPUTE_PGM_RSRC2:TIDIG_COMP_CNT: 0
	.section	.text._ZN7rocprim17ROCPRIM_400000_NS6detail17trampoline_kernelINS0_14default_configENS1_27scan_by_key_config_selectorIiiEEZZNS1_16scan_by_key_implILNS1_25lookback_scan_determinismE0ELb1ES3_N6thrust23THRUST_200600_302600_NS6detail15normal_iteratorINS9_10device_ptrIiEEEESE_SE_iNS9_4plusIiEE19head_flag_predicateiEE10hipError_tPvRmT2_T3_T4_T5_mT6_T7_P12ihipStream_tbENKUlT_T0_E_clISt17integral_constantIbLb0EESX_IbLb1EEEEDaST_SU_EUlST_E_NS1_11comp_targetILNS1_3genE5ELNS1_11target_archE942ELNS1_3gpuE9ELNS1_3repE0EEENS1_30default_config_static_selectorELNS0_4arch9wavefront6targetE0EEEvT1_,"axG",@progbits,_ZN7rocprim17ROCPRIM_400000_NS6detail17trampoline_kernelINS0_14default_configENS1_27scan_by_key_config_selectorIiiEEZZNS1_16scan_by_key_implILNS1_25lookback_scan_determinismE0ELb1ES3_N6thrust23THRUST_200600_302600_NS6detail15normal_iteratorINS9_10device_ptrIiEEEESE_SE_iNS9_4plusIiEE19head_flag_predicateiEE10hipError_tPvRmT2_T3_T4_T5_mT6_T7_P12ihipStream_tbENKUlT_T0_E_clISt17integral_constantIbLb0EESX_IbLb1EEEEDaST_SU_EUlST_E_NS1_11comp_targetILNS1_3genE5ELNS1_11target_archE942ELNS1_3gpuE9ELNS1_3repE0EEENS1_30default_config_static_selectorELNS0_4arch9wavefront6targetE0EEEvT1_,comdat
	.protected	_ZN7rocprim17ROCPRIM_400000_NS6detail17trampoline_kernelINS0_14default_configENS1_27scan_by_key_config_selectorIiiEEZZNS1_16scan_by_key_implILNS1_25lookback_scan_determinismE0ELb1ES3_N6thrust23THRUST_200600_302600_NS6detail15normal_iteratorINS9_10device_ptrIiEEEESE_SE_iNS9_4plusIiEE19head_flag_predicateiEE10hipError_tPvRmT2_T3_T4_T5_mT6_T7_P12ihipStream_tbENKUlT_T0_E_clISt17integral_constantIbLb0EESX_IbLb1EEEEDaST_SU_EUlST_E_NS1_11comp_targetILNS1_3genE5ELNS1_11target_archE942ELNS1_3gpuE9ELNS1_3repE0EEENS1_30default_config_static_selectorELNS0_4arch9wavefront6targetE0EEEvT1_ ; -- Begin function _ZN7rocprim17ROCPRIM_400000_NS6detail17trampoline_kernelINS0_14default_configENS1_27scan_by_key_config_selectorIiiEEZZNS1_16scan_by_key_implILNS1_25lookback_scan_determinismE0ELb1ES3_N6thrust23THRUST_200600_302600_NS6detail15normal_iteratorINS9_10device_ptrIiEEEESE_SE_iNS9_4plusIiEE19head_flag_predicateiEE10hipError_tPvRmT2_T3_T4_T5_mT6_T7_P12ihipStream_tbENKUlT_T0_E_clISt17integral_constantIbLb0EESX_IbLb1EEEEDaST_SU_EUlST_E_NS1_11comp_targetILNS1_3genE5ELNS1_11target_archE942ELNS1_3gpuE9ELNS1_3repE0EEENS1_30default_config_static_selectorELNS0_4arch9wavefront6targetE0EEEvT1_
	.globl	_ZN7rocprim17ROCPRIM_400000_NS6detail17trampoline_kernelINS0_14default_configENS1_27scan_by_key_config_selectorIiiEEZZNS1_16scan_by_key_implILNS1_25lookback_scan_determinismE0ELb1ES3_N6thrust23THRUST_200600_302600_NS6detail15normal_iteratorINS9_10device_ptrIiEEEESE_SE_iNS9_4plusIiEE19head_flag_predicateiEE10hipError_tPvRmT2_T3_T4_T5_mT6_T7_P12ihipStream_tbENKUlT_T0_E_clISt17integral_constantIbLb0EESX_IbLb1EEEEDaST_SU_EUlST_E_NS1_11comp_targetILNS1_3genE5ELNS1_11target_archE942ELNS1_3gpuE9ELNS1_3repE0EEENS1_30default_config_static_selectorELNS0_4arch9wavefront6targetE0EEEvT1_
	.p2align	8
	.type	_ZN7rocprim17ROCPRIM_400000_NS6detail17trampoline_kernelINS0_14default_configENS1_27scan_by_key_config_selectorIiiEEZZNS1_16scan_by_key_implILNS1_25lookback_scan_determinismE0ELb1ES3_N6thrust23THRUST_200600_302600_NS6detail15normal_iteratorINS9_10device_ptrIiEEEESE_SE_iNS9_4plusIiEE19head_flag_predicateiEE10hipError_tPvRmT2_T3_T4_T5_mT6_T7_P12ihipStream_tbENKUlT_T0_E_clISt17integral_constantIbLb0EESX_IbLb1EEEEDaST_SU_EUlST_E_NS1_11comp_targetILNS1_3genE5ELNS1_11target_archE942ELNS1_3gpuE9ELNS1_3repE0EEENS1_30default_config_static_selectorELNS0_4arch9wavefront6targetE0EEEvT1_,@function
_ZN7rocprim17ROCPRIM_400000_NS6detail17trampoline_kernelINS0_14default_configENS1_27scan_by_key_config_selectorIiiEEZZNS1_16scan_by_key_implILNS1_25lookback_scan_determinismE0ELb1ES3_N6thrust23THRUST_200600_302600_NS6detail15normal_iteratorINS9_10device_ptrIiEEEESE_SE_iNS9_4plusIiEE19head_flag_predicateiEE10hipError_tPvRmT2_T3_T4_T5_mT6_T7_P12ihipStream_tbENKUlT_T0_E_clISt17integral_constantIbLb0EESX_IbLb1EEEEDaST_SU_EUlST_E_NS1_11comp_targetILNS1_3genE5ELNS1_11target_archE942ELNS1_3gpuE9ELNS1_3repE0EEENS1_30default_config_static_selectorELNS0_4arch9wavefront6targetE0EEEvT1_: ; @_ZN7rocprim17ROCPRIM_400000_NS6detail17trampoline_kernelINS0_14default_configENS1_27scan_by_key_config_selectorIiiEEZZNS1_16scan_by_key_implILNS1_25lookback_scan_determinismE0ELb1ES3_N6thrust23THRUST_200600_302600_NS6detail15normal_iteratorINS9_10device_ptrIiEEEESE_SE_iNS9_4plusIiEE19head_flag_predicateiEE10hipError_tPvRmT2_T3_T4_T5_mT6_T7_P12ihipStream_tbENKUlT_T0_E_clISt17integral_constantIbLb0EESX_IbLb1EEEEDaST_SU_EUlST_E_NS1_11comp_targetILNS1_3genE5ELNS1_11target_archE942ELNS1_3gpuE9ELNS1_3repE0EEENS1_30default_config_static_selectorELNS0_4arch9wavefront6targetE0EEEvT1_
; %bb.0:
	.section	.rodata,"a",@progbits
	.p2align	6, 0x0
	.amdhsa_kernel _ZN7rocprim17ROCPRIM_400000_NS6detail17trampoline_kernelINS0_14default_configENS1_27scan_by_key_config_selectorIiiEEZZNS1_16scan_by_key_implILNS1_25lookback_scan_determinismE0ELb1ES3_N6thrust23THRUST_200600_302600_NS6detail15normal_iteratorINS9_10device_ptrIiEEEESE_SE_iNS9_4plusIiEE19head_flag_predicateiEE10hipError_tPvRmT2_T3_T4_T5_mT6_T7_P12ihipStream_tbENKUlT_T0_E_clISt17integral_constantIbLb0EESX_IbLb1EEEEDaST_SU_EUlST_E_NS1_11comp_targetILNS1_3genE5ELNS1_11target_archE942ELNS1_3gpuE9ELNS1_3repE0EEENS1_30default_config_static_selectorELNS0_4arch9wavefront6targetE0EEEvT1_
		.amdhsa_group_segment_fixed_size 0
		.amdhsa_private_segment_fixed_size 0
		.amdhsa_kernarg_size 112
		.amdhsa_user_sgpr_count 2
		.amdhsa_user_sgpr_dispatch_ptr 0
		.amdhsa_user_sgpr_queue_ptr 0
		.amdhsa_user_sgpr_kernarg_segment_ptr 1
		.amdhsa_user_sgpr_dispatch_id 0
		.amdhsa_user_sgpr_kernarg_preload_length 0
		.amdhsa_user_sgpr_kernarg_preload_offset 0
		.amdhsa_user_sgpr_private_segment_size 0
		.amdhsa_wavefront_size32 1
		.amdhsa_uses_dynamic_stack 0
		.amdhsa_enable_private_segment 0
		.amdhsa_system_sgpr_workgroup_id_x 1
		.amdhsa_system_sgpr_workgroup_id_y 0
		.amdhsa_system_sgpr_workgroup_id_z 0
		.amdhsa_system_sgpr_workgroup_info 0
		.amdhsa_system_vgpr_workitem_id 0
		.amdhsa_next_free_vgpr 1
		.amdhsa_next_free_sgpr 1
		.amdhsa_named_barrier_count 0
		.amdhsa_reserve_vcc 0
		.amdhsa_float_round_mode_32 0
		.amdhsa_float_round_mode_16_64 0
		.amdhsa_float_denorm_mode_32 3
		.amdhsa_float_denorm_mode_16_64 3
		.amdhsa_fp16_overflow 0
		.amdhsa_memory_ordered 1
		.amdhsa_forward_progress 1
		.amdhsa_inst_pref_size 0
		.amdhsa_round_robin_scheduling 0
		.amdhsa_exception_fp_ieee_invalid_op 0
		.amdhsa_exception_fp_denorm_src 0
		.amdhsa_exception_fp_ieee_div_zero 0
		.amdhsa_exception_fp_ieee_overflow 0
		.amdhsa_exception_fp_ieee_underflow 0
		.amdhsa_exception_fp_ieee_inexact 0
		.amdhsa_exception_int_div_zero 0
	.end_amdhsa_kernel
	.section	.text._ZN7rocprim17ROCPRIM_400000_NS6detail17trampoline_kernelINS0_14default_configENS1_27scan_by_key_config_selectorIiiEEZZNS1_16scan_by_key_implILNS1_25lookback_scan_determinismE0ELb1ES3_N6thrust23THRUST_200600_302600_NS6detail15normal_iteratorINS9_10device_ptrIiEEEESE_SE_iNS9_4plusIiEE19head_flag_predicateiEE10hipError_tPvRmT2_T3_T4_T5_mT6_T7_P12ihipStream_tbENKUlT_T0_E_clISt17integral_constantIbLb0EESX_IbLb1EEEEDaST_SU_EUlST_E_NS1_11comp_targetILNS1_3genE5ELNS1_11target_archE942ELNS1_3gpuE9ELNS1_3repE0EEENS1_30default_config_static_selectorELNS0_4arch9wavefront6targetE0EEEvT1_,"axG",@progbits,_ZN7rocprim17ROCPRIM_400000_NS6detail17trampoline_kernelINS0_14default_configENS1_27scan_by_key_config_selectorIiiEEZZNS1_16scan_by_key_implILNS1_25lookback_scan_determinismE0ELb1ES3_N6thrust23THRUST_200600_302600_NS6detail15normal_iteratorINS9_10device_ptrIiEEEESE_SE_iNS9_4plusIiEE19head_flag_predicateiEE10hipError_tPvRmT2_T3_T4_T5_mT6_T7_P12ihipStream_tbENKUlT_T0_E_clISt17integral_constantIbLb0EESX_IbLb1EEEEDaST_SU_EUlST_E_NS1_11comp_targetILNS1_3genE5ELNS1_11target_archE942ELNS1_3gpuE9ELNS1_3repE0EEENS1_30default_config_static_selectorELNS0_4arch9wavefront6targetE0EEEvT1_,comdat
.Lfunc_end814:
	.size	_ZN7rocprim17ROCPRIM_400000_NS6detail17trampoline_kernelINS0_14default_configENS1_27scan_by_key_config_selectorIiiEEZZNS1_16scan_by_key_implILNS1_25lookback_scan_determinismE0ELb1ES3_N6thrust23THRUST_200600_302600_NS6detail15normal_iteratorINS9_10device_ptrIiEEEESE_SE_iNS9_4plusIiEE19head_flag_predicateiEE10hipError_tPvRmT2_T3_T4_T5_mT6_T7_P12ihipStream_tbENKUlT_T0_E_clISt17integral_constantIbLb0EESX_IbLb1EEEEDaST_SU_EUlST_E_NS1_11comp_targetILNS1_3genE5ELNS1_11target_archE942ELNS1_3gpuE9ELNS1_3repE0EEENS1_30default_config_static_selectorELNS0_4arch9wavefront6targetE0EEEvT1_, .Lfunc_end814-_ZN7rocprim17ROCPRIM_400000_NS6detail17trampoline_kernelINS0_14default_configENS1_27scan_by_key_config_selectorIiiEEZZNS1_16scan_by_key_implILNS1_25lookback_scan_determinismE0ELb1ES3_N6thrust23THRUST_200600_302600_NS6detail15normal_iteratorINS9_10device_ptrIiEEEESE_SE_iNS9_4plusIiEE19head_flag_predicateiEE10hipError_tPvRmT2_T3_T4_T5_mT6_T7_P12ihipStream_tbENKUlT_T0_E_clISt17integral_constantIbLb0EESX_IbLb1EEEEDaST_SU_EUlST_E_NS1_11comp_targetILNS1_3genE5ELNS1_11target_archE942ELNS1_3gpuE9ELNS1_3repE0EEENS1_30default_config_static_selectorELNS0_4arch9wavefront6targetE0EEEvT1_
                                        ; -- End function
	.set _ZN7rocprim17ROCPRIM_400000_NS6detail17trampoline_kernelINS0_14default_configENS1_27scan_by_key_config_selectorIiiEEZZNS1_16scan_by_key_implILNS1_25lookback_scan_determinismE0ELb1ES3_N6thrust23THRUST_200600_302600_NS6detail15normal_iteratorINS9_10device_ptrIiEEEESE_SE_iNS9_4plusIiEE19head_flag_predicateiEE10hipError_tPvRmT2_T3_T4_T5_mT6_T7_P12ihipStream_tbENKUlT_T0_E_clISt17integral_constantIbLb0EESX_IbLb1EEEEDaST_SU_EUlST_E_NS1_11comp_targetILNS1_3genE5ELNS1_11target_archE942ELNS1_3gpuE9ELNS1_3repE0EEENS1_30default_config_static_selectorELNS0_4arch9wavefront6targetE0EEEvT1_.num_vgpr, 0
	.set _ZN7rocprim17ROCPRIM_400000_NS6detail17trampoline_kernelINS0_14default_configENS1_27scan_by_key_config_selectorIiiEEZZNS1_16scan_by_key_implILNS1_25lookback_scan_determinismE0ELb1ES3_N6thrust23THRUST_200600_302600_NS6detail15normal_iteratorINS9_10device_ptrIiEEEESE_SE_iNS9_4plusIiEE19head_flag_predicateiEE10hipError_tPvRmT2_T3_T4_T5_mT6_T7_P12ihipStream_tbENKUlT_T0_E_clISt17integral_constantIbLb0EESX_IbLb1EEEEDaST_SU_EUlST_E_NS1_11comp_targetILNS1_3genE5ELNS1_11target_archE942ELNS1_3gpuE9ELNS1_3repE0EEENS1_30default_config_static_selectorELNS0_4arch9wavefront6targetE0EEEvT1_.num_agpr, 0
	.set _ZN7rocprim17ROCPRIM_400000_NS6detail17trampoline_kernelINS0_14default_configENS1_27scan_by_key_config_selectorIiiEEZZNS1_16scan_by_key_implILNS1_25lookback_scan_determinismE0ELb1ES3_N6thrust23THRUST_200600_302600_NS6detail15normal_iteratorINS9_10device_ptrIiEEEESE_SE_iNS9_4plusIiEE19head_flag_predicateiEE10hipError_tPvRmT2_T3_T4_T5_mT6_T7_P12ihipStream_tbENKUlT_T0_E_clISt17integral_constantIbLb0EESX_IbLb1EEEEDaST_SU_EUlST_E_NS1_11comp_targetILNS1_3genE5ELNS1_11target_archE942ELNS1_3gpuE9ELNS1_3repE0EEENS1_30default_config_static_selectorELNS0_4arch9wavefront6targetE0EEEvT1_.numbered_sgpr, 0
	.set _ZN7rocprim17ROCPRIM_400000_NS6detail17trampoline_kernelINS0_14default_configENS1_27scan_by_key_config_selectorIiiEEZZNS1_16scan_by_key_implILNS1_25lookback_scan_determinismE0ELb1ES3_N6thrust23THRUST_200600_302600_NS6detail15normal_iteratorINS9_10device_ptrIiEEEESE_SE_iNS9_4plusIiEE19head_flag_predicateiEE10hipError_tPvRmT2_T3_T4_T5_mT6_T7_P12ihipStream_tbENKUlT_T0_E_clISt17integral_constantIbLb0EESX_IbLb1EEEEDaST_SU_EUlST_E_NS1_11comp_targetILNS1_3genE5ELNS1_11target_archE942ELNS1_3gpuE9ELNS1_3repE0EEENS1_30default_config_static_selectorELNS0_4arch9wavefront6targetE0EEEvT1_.num_named_barrier, 0
	.set _ZN7rocprim17ROCPRIM_400000_NS6detail17trampoline_kernelINS0_14default_configENS1_27scan_by_key_config_selectorIiiEEZZNS1_16scan_by_key_implILNS1_25lookback_scan_determinismE0ELb1ES3_N6thrust23THRUST_200600_302600_NS6detail15normal_iteratorINS9_10device_ptrIiEEEESE_SE_iNS9_4plusIiEE19head_flag_predicateiEE10hipError_tPvRmT2_T3_T4_T5_mT6_T7_P12ihipStream_tbENKUlT_T0_E_clISt17integral_constantIbLb0EESX_IbLb1EEEEDaST_SU_EUlST_E_NS1_11comp_targetILNS1_3genE5ELNS1_11target_archE942ELNS1_3gpuE9ELNS1_3repE0EEENS1_30default_config_static_selectorELNS0_4arch9wavefront6targetE0EEEvT1_.private_seg_size, 0
	.set _ZN7rocprim17ROCPRIM_400000_NS6detail17trampoline_kernelINS0_14default_configENS1_27scan_by_key_config_selectorIiiEEZZNS1_16scan_by_key_implILNS1_25lookback_scan_determinismE0ELb1ES3_N6thrust23THRUST_200600_302600_NS6detail15normal_iteratorINS9_10device_ptrIiEEEESE_SE_iNS9_4plusIiEE19head_flag_predicateiEE10hipError_tPvRmT2_T3_T4_T5_mT6_T7_P12ihipStream_tbENKUlT_T0_E_clISt17integral_constantIbLb0EESX_IbLb1EEEEDaST_SU_EUlST_E_NS1_11comp_targetILNS1_3genE5ELNS1_11target_archE942ELNS1_3gpuE9ELNS1_3repE0EEENS1_30default_config_static_selectorELNS0_4arch9wavefront6targetE0EEEvT1_.uses_vcc, 0
	.set _ZN7rocprim17ROCPRIM_400000_NS6detail17trampoline_kernelINS0_14default_configENS1_27scan_by_key_config_selectorIiiEEZZNS1_16scan_by_key_implILNS1_25lookback_scan_determinismE0ELb1ES3_N6thrust23THRUST_200600_302600_NS6detail15normal_iteratorINS9_10device_ptrIiEEEESE_SE_iNS9_4plusIiEE19head_flag_predicateiEE10hipError_tPvRmT2_T3_T4_T5_mT6_T7_P12ihipStream_tbENKUlT_T0_E_clISt17integral_constantIbLb0EESX_IbLb1EEEEDaST_SU_EUlST_E_NS1_11comp_targetILNS1_3genE5ELNS1_11target_archE942ELNS1_3gpuE9ELNS1_3repE0EEENS1_30default_config_static_selectorELNS0_4arch9wavefront6targetE0EEEvT1_.uses_flat_scratch, 0
	.set _ZN7rocprim17ROCPRIM_400000_NS6detail17trampoline_kernelINS0_14default_configENS1_27scan_by_key_config_selectorIiiEEZZNS1_16scan_by_key_implILNS1_25lookback_scan_determinismE0ELb1ES3_N6thrust23THRUST_200600_302600_NS6detail15normal_iteratorINS9_10device_ptrIiEEEESE_SE_iNS9_4plusIiEE19head_flag_predicateiEE10hipError_tPvRmT2_T3_T4_T5_mT6_T7_P12ihipStream_tbENKUlT_T0_E_clISt17integral_constantIbLb0EESX_IbLb1EEEEDaST_SU_EUlST_E_NS1_11comp_targetILNS1_3genE5ELNS1_11target_archE942ELNS1_3gpuE9ELNS1_3repE0EEENS1_30default_config_static_selectorELNS0_4arch9wavefront6targetE0EEEvT1_.has_dyn_sized_stack, 0
	.set _ZN7rocprim17ROCPRIM_400000_NS6detail17trampoline_kernelINS0_14default_configENS1_27scan_by_key_config_selectorIiiEEZZNS1_16scan_by_key_implILNS1_25lookback_scan_determinismE0ELb1ES3_N6thrust23THRUST_200600_302600_NS6detail15normal_iteratorINS9_10device_ptrIiEEEESE_SE_iNS9_4plusIiEE19head_flag_predicateiEE10hipError_tPvRmT2_T3_T4_T5_mT6_T7_P12ihipStream_tbENKUlT_T0_E_clISt17integral_constantIbLb0EESX_IbLb1EEEEDaST_SU_EUlST_E_NS1_11comp_targetILNS1_3genE5ELNS1_11target_archE942ELNS1_3gpuE9ELNS1_3repE0EEENS1_30default_config_static_selectorELNS0_4arch9wavefront6targetE0EEEvT1_.has_recursion, 0
	.set _ZN7rocprim17ROCPRIM_400000_NS6detail17trampoline_kernelINS0_14default_configENS1_27scan_by_key_config_selectorIiiEEZZNS1_16scan_by_key_implILNS1_25lookback_scan_determinismE0ELb1ES3_N6thrust23THRUST_200600_302600_NS6detail15normal_iteratorINS9_10device_ptrIiEEEESE_SE_iNS9_4plusIiEE19head_flag_predicateiEE10hipError_tPvRmT2_T3_T4_T5_mT6_T7_P12ihipStream_tbENKUlT_T0_E_clISt17integral_constantIbLb0EESX_IbLb1EEEEDaST_SU_EUlST_E_NS1_11comp_targetILNS1_3genE5ELNS1_11target_archE942ELNS1_3gpuE9ELNS1_3repE0EEENS1_30default_config_static_selectorELNS0_4arch9wavefront6targetE0EEEvT1_.has_indirect_call, 0
	.section	.AMDGPU.csdata,"",@progbits
; Kernel info:
; codeLenInByte = 0
; TotalNumSgprs: 0
; NumVgprs: 0
; ScratchSize: 0
; MemoryBound: 0
; FloatMode: 240
; IeeeMode: 1
; LDSByteSize: 0 bytes/workgroup (compile time only)
; SGPRBlocks: 0
; VGPRBlocks: 0
; NumSGPRsForWavesPerEU: 1
; NumVGPRsForWavesPerEU: 1
; NamedBarCnt: 0
; Occupancy: 16
; WaveLimiterHint : 0
; COMPUTE_PGM_RSRC2:SCRATCH_EN: 0
; COMPUTE_PGM_RSRC2:USER_SGPR: 2
; COMPUTE_PGM_RSRC2:TRAP_HANDLER: 0
; COMPUTE_PGM_RSRC2:TGID_X_EN: 1
; COMPUTE_PGM_RSRC2:TGID_Y_EN: 0
; COMPUTE_PGM_RSRC2:TGID_Z_EN: 0
; COMPUTE_PGM_RSRC2:TIDIG_COMP_CNT: 0
	.section	.text._ZN7rocprim17ROCPRIM_400000_NS6detail17trampoline_kernelINS0_14default_configENS1_27scan_by_key_config_selectorIiiEEZZNS1_16scan_by_key_implILNS1_25lookback_scan_determinismE0ELb1ES3_N6thrust23THRUST_200600_302600_NS6detail15normal_iteratorINS9_10device_ptrIiEEEESE_SE_iNS9_4plusIiEE19head_flag_predicateiEE10hipError_tPvRmT2_T3_T4_T5_mT6_T7_P12ihipStream_tbENKUlT_T0_E_clISt17integral_constantIbLb0EESX_IbLb1EEEEDaST_SU_EUlST_E_NS1_11comp_targetILNS1_3genE4ELNS1_11target_archE910ELNS1_3gpuE8ELNS1_3repE0EEENS1_30default_config_static_selectorELNS0_4arch9wavefront6targetE0EEEvT1_,"axG",@progbits,_ZN7rocprim17ROCPRIM_400000_NS6detail17trampoline_kernelINS0_14default_configENS1_27scan_by_key_config_selectorIiiEEZZNS1_16scan_by_key_implILNS1_25lookback_scan_determinismE0ELb1ES3_N6thrust23THRUST_200600_302600_NS6detail15normal_iteratorINS9_10device_ptrIiEEEESE_SE_iNS9_4plusIiEE19head_flag_predicateiEE10hipError_tPvRmT2_T3_T4_T5_mT6_T7_P12ihipStream_tbENKUlT_T0_E_clISt17integral_constantIbLb0EESX_IbLb1EEEEDaST_SU_EUlST_E_NS1_11comp_targetILNS1_3genE4ELNS1_11target_archE910ELNS1_3gpuE8ELNS1_3repE0EEENS1_30default_config_static_selectorELNS0_4arch9wavefront6targetE0EEEvT1_,comdat
	.protected	_ZN7rocprim17ROCPRIM_400000_NS6detail17trampoline_kernelINS0_14default_configENS1_27scan_by_key_config_selectorIiiEEZZNS1_16scan_by_key_implILNS1_25lookback_scan_determinismE0ELb1ES3_N6thrust23THRUST_200600_302600_NS6detail15normal_iteratorINS9_10device_ptrIiEEEESE_SE_iNS9_4plusIiEE19head_flag_predicateiEE10hipError_tPvRmT2_T3_T4_T5_mT6_T7_P12ihipStream_tbENKUlT_T0_E_clISt17integral_constantIbLb0EESX_IbLb1EEEEDaST_SU_EUlST_E_NS1_11comp_targetILNS1_3genE4ELNS1_11target_archE910ELNS1_3gpuE8ELNS1_3repE0EEENS1_30default_config_static_selectorELNS0_4arch9wavefront6targetE0EEEvT1_ ; -- Begin function _ZN7rocprim17ROCPRIM_400000_NS6detail17trampoline_kernelINS0_14default_configENS1_27scan_by_key_config_selectorIiiEEZZNS1_16scan_by_key_implILNS1_25lookback_scan_determinismE0ELb1ES3_N6thrust23THRUST_200600_302600_NS6detail15normal_iteratorINS9_10device_ptrIiEEEESE_SE_iNS9_4plusIiEE19head_flag_predicateiEE10hipError_tPvRmT2_T3_T4_T5_mT6_T7_P12ihipStream_tbENKUlT_T0_E_clISt17integral_constantIbLb0EESX_IbLb1EEEEDaST_SU_EUlST_E_NS1_11comp_targetILNS1_3genE4ELNS1_11target_archE910ELNS1_3gpuE8ELNS1_3repE0EEENS1_30default_config_static_selectorELNS0_4arch9wavefront6targetE0EEEvT1_
	.globl	_ZN7rocprim17ROCPRIM_400000_NS6detail17trampoline_kernelINS0_14default_configENS1_27scan_by_key_config_selectorIiiEEZZNS1_16scan_by_key_implILNS1_25lookback_scan_determinismE0ELb1ES3_N6thrust23THRUST_200600_302600_NS6detail15normal_iteratorINS9_10device_ptrIiEEEESE_SE_iNS9_4plusIiEE19head_flag_predicateiEE10hipError_tPvRmT2_T3_T4_T5_mT6_T7_P12ihipStream_tbENKUlT_T0_E_clISt17integral_constantIbLb0EESX_IbLb1EEEEDaST_SU_EUlST_E_NS1_11comp_targetILNS1_3genE4ELNS1_11target_archE910ELNS1_3gpuE8ELNS1_3repE0EEENS1_30default_config_static_selectorELNS0_4arch9wavefront6targetE0EEEvT1_
	.p2align	8
	.type	_ZN7rocprim17ROCPRIM_400000_NS6detail17trampoline_kernelINS0_14default_configENS1_27scan_by_key_config_selectorIiiEEZZNS1_16scan_by_key_implILNS1_25lookback_scan_determinismE0ELb1ES3_N6thrust23THRUST_200600_302600_NS6detail15normal_iteratorINS9_10device_ptrIiEEEESE_SE_iNS9_4plusIiEE19head_flag_predicateiEE10hipError_tPvRmT2_T3_T4_T5_mT6_T7_P12ihipStream_tbENKUlT_T0_E_clISt17integral_constantIbLb0EESX_IbLb1EEEEDaST_SU_EUlST_E_NS1_11comp_targetILNS1_3genE4ELNS1_11target_archE910ELNS1_3gpuE8ELNS1_3repE0EEENS1_30default_config_static_selectorELNS0_4arch9wavefront6targetE0EEEvT1_,@function
_ZN7rocprim17ROCPRIM_400000_NS6detail17trampoline_kernelINS0_14default_configENS1_27scan_by_key_config_selectorIiiEEZZNS1_16scan_by_key_implILNS1_25lookback_scan_determinismE0ELb1ES3_N6thrust23THRUST_200600_302600_NS6detail15normal_iteratorINS9_10device_ptrIiEEEESE_SE_iNS9_4plusIiEE19head_flag_predicateiEE10hipError_tPvRmT2_T3_T4_T5_mT6_T7_P12ihipStream_tbENKUlT_T0_E_clISt17integral_constantIbLb0EESX_IbLb1EEEEDaST_SU_EUlST_E_NS1_11comp_targetILNS1_3genE4ELNS1_11target_archE910ELNS1_3gpuE8ELNS1_3repE0EEENS1_30default_config_static_selectorELNS0_4arch9wavefront6targetE0EEEvT1_: ; @_ZN7rocprim17ROCPRIM_400000_NS6detail17trampoline_kernelINS0_14default_configENS1_27scan_by_key_config_selectorIiiEEZZNS1_16scan_by_key_implILNS1_25lookback_scan_determinismE0ELb1ES3_N6thrust23THRUST_200600_302600_NS6detail15normal_iteratorINS9_10device_ptrIiEEEESE_SE_iNS9_4plusIiEE19head_flag_predicateiEE10hipError_tPvRmT2_T3_T4_T5_mT6_T7_P12ihipStream_tbENKUlT_T0_E_clISt17integral_constantIbLb0EESX_IbLb1EEEEDaST_SU_EUlST_E_NS1_11comp_targetILNS1_3genE4ELNS1_11target_archE910ELNS1_3gpuE8ELNS1_3repE0EEENS1_30default_config_static_selectorELNS0_4arch9wavefront6targetE0EEEvT1_
; %bb.0:
	.section	.rodata,"a",@progbits
	.p2align	6, 0x0
	.amdhsa_kernel _ZN7rocprim17ROCPRIM_400000_NS6detail17trampoline_kernelINS0_14default_configENS1_27scan_by_key_config_selectorIiiEEZZNS1_16scan_by_key_implILNS1_25lookback_scan_determinismE0ELb1ES3_N6thrust23THRUST_200600_302600_NS6detail15normal_iteratorINS9_10device_ptrIiEEEESE_SE_iNS9_4plusIiEE19head_flag_predicateiEE10hipError_tPvRmT2_T3_T4_T5_mT6_T7_P12ihipStream_tbENKUlT_T0_E_clISt17integral_constantIbLb0EESX_IbLb1EEEEDaST_SU_EUlST_E_NS1_11comp_targetILNS1_3genE4ELNS1_11target_archE910ELNS1_3gpuE8ELNS1_3repE0EEENS1_30default_config_static_selectorELNS0_4arch9wavefront6targetE0EEEvT1_
		.amdhsa_group_segment_fixed_size 0
		.amdhsa_private_segment_fixed_size 0
		.amdhsa_kernarg_size 112
		.amdhsa_user_sgpr_count 2
		.amdhsa_user_sgpr_dispatch_ptr 0
		.amdhsa_user_sgpr_queue_ptr 0
		.amdhsa_user_sgpr_kernarg_segment_ptr 1
		.amdhsa_user_sgpr_dispatch_id 0
		.amdhsa_user_sgpr_kernarg_preload_length 0
		.amdhsa_user_sgpr_kernarg_preload_offset 0
		.amdhsa_user_sgpr_private_segment_size 0
		.amdhsa_wavefront_size32 1
		.amdhsa_uses_dynamic_stack 0
		.amdhsa_enable_private_segment 0
		.amdhsa_system_sgpr_workgroup_id_x 1
		.amdhsa_system_sgpr_workgroup_id_y 0
		.amdhsa_system_sgpr_workgroup_id_z 0
		.amdhsa_system_sgpr_workgroup_info 0
		.amdhsa_system_vgpr_workitem_id 0
		.amdhsa_next_free_vgpr 1
		.amdhsa_next_free_sgpr 1
		.amdhsa_named_barrier_count 0
		.amdhsa_reserve_vcc 0
		.amdhsa_float_round_mode_32 0
		.amdhsa_float_round_mode_16_64 0
		.amdhsa_float_denorm_mode_32 3
		.amdhsa_float_denorm_mode_16_64 3
		.amdhsa_fp16_overflow 0
		.amdhsa_memory_ordered 1
		.amdhsa_forward_progress 1
		.amdhsa_inst_pref_size 0
		.amdhsa_round_robin_scheduling 0
		.amdhsa_exception_fp_ieee_invalid_op 0
		.amdhsa_exception_fp_denorm_src 0
		.amdhsa_exception_fp_ieee_div_zero 0
		.amdhsa_exception_fp_ieee_overflow 0
		.amdhsa_exception_fp_ieee_underflow 0
		.amdhsa_exception_fp_ieee_inexact 0
		.amdhsa_exception_int_div_zero 0
	.end_amdhsa_kernel
	.section	.text._ZN7rocprim17ROCPRIM_400000_NS6detail17trampoline_kernelINS0_14default_configENS1_27scan_by_key_config_selectorIiiEEZZNS1_16scan_by_key_implILNS1_25lookback_scan_determinismE0ELb1ES3_N6thrust23THRUST_200600_302600_NS6detail15normal_iteratorINS9_10device_ptrIiEEEESE_SE_iNS9_4plusIiEE19head_flag_predicateiEE10hipError_tPvRmT2_T3_T4_T5_mT6_T7_P12ihipStream_tbENKUlT_T0_E_clISt17integral_constantIbLb0EESX_IbLb1EEEEDaST_SU_EUlST_E_NS1_11comp_targetILNS1_3genE4ELNS1_11target_archE910ELNS1_3gpuE8ELNS1_3repE0EEENS1_30default_config_static_selectorELNS0_4arch9wavefront6targetE0EEEvT1_,"axG",@progbits,_ZN7rocprim17ROCPRIM_400000_NS6detail17trampoline_kernelINS0_14default_configENS1_27scan_by_key_config_selectorIiiEEZZNS1_16scan_by_key_implILNS1_25lookback_scan_determinismE0ELb1ES3_N6thrust23THRUST_200600_302600_NS6detail15normal_iteratorINS9_10device_ptrIiEEEESE_SE_iNS9_4plusIiEE19head_flag_predicateiEE10hipError_tPvRmT2_T3_T4_T5_mT6_T7_P12ihipStream_tbENKUlT_T0_E_clISt17integral_constantIbLb0EESX_IbLb1EEEEDaST_SU_EUlST_E_NS1_11comp_targetILNS1_3genE4ELNS1_11target_archE910ELNS1_3gpuE8ELNS1_3repE0EEENS1_30default_config_static_selectorELNS0_4arch9wavefront6targetE0EEEvT1_,comdat
.Lfunc_end815:
	.size	_ZN7rocprim17ROCPRIM_400000_NS6detail17trampoline_kernelINS0_14default_configENS1_27scan_by_key_config_selectorIiiEEZZNS1_16scan_by_key_implILNS1_25lookback_scan_determinismE0ELb1ES3_N6thrust23THRUST_200600_302600_NS6detail15normal_iteratorINS9_10device_ptrIiEEEESE_SE_iNS9_4plusIiEE19head_flag_predicateiEE10hipError_tPvRmT2_T3_T4_T5_mT6_T7_P12ihipStream_tbENKUlT_T0_E_clISt17integral_constantIbLb0EESX_IbLb1EEEEDaST_SU_EUlST_E_NS1_11comp_targetILNS1_3genE4ELNS1_11target_archE910ELNS1_3gpuE8ELNS1_3repE0EEENS1_30default_config_static_selectorELNS0_4arch9wavefront6targetE0EEEvT1_, .Lfunc_end815-_ZN7rocprim17ROCPRIM_400000_NS6detail17trampoline_kernelINS0_14default_configENS1_27scan_by_key_config_selectorIiiEEZZNS1_16scan_by_key_implILNS1_25lookback_scan_determinismE0ELb1ES3_N6thrust23THRUST_200600_302600_NS6detail15normal_iteratorINS9_10device_ptrIiEEEESE_SE_iNS9_4plusIiEE19head_flag_predicateiEE10hipError_tPvRmT2_T3_T4_T5_mT6_T7_P12ihipStream_tbENKUlT_T0_E_clISt17integral_constantIbLb0EESX_IbLb1EEEEDaST_SU_EUlST_E_NS1_11comp_targetILNS1_3genE4ELNS1_11target_archE910ELNS1_3gpuE8ELNS1_3repE0EEENS1_30default_config_static_selectorELNS0_4arch9wavefront6targetE0EEEvT1_
                                        ; -- End function
	.set _ZN7rocprim17ROCPRIM_400000_NS6detail17trampoline_kernelINS0_14default_configENS1_27scan_by_key_config_selectorIiiEEZZNS1_16scan_by_key_implILNS1_25lookback_scan_determinismE0ELb1ES3_N6thrust23THRUST_200600_302600_NS6detail15normal_iteratorINS9_10device_ptrIiEEEESE_SE_iNS9_4plusIiEE19head_flag_predicateiEE10hipError_tPvRmT2_T3_T4_T5_mT6_T7_P12ihipStream_tbENKUlT_T0_E_clISt17integral_constantIbLb0EESX_IbLb1EEEEDaST_SU_EUlST_E_NS1_11comp_targetILNS1_3genE4ELNS1_11target_archE910ELNS1_3gpuE8ELNS1_3repE0EEENS1_30default_config_static_selectorELNS0_4arch9wavefront6targetE0EEEvT1_.num_vgpr, 0
	.set _ZN7rocprim17ROCPRIM_400000_NS6detail17trampoline_kernelINS0_14default_configENS1_27scan_by_key_config_selectorIiiEEZZNS1_16scan_by_key_implILNS1_25lookback_scan_determinismE0ELb1ES3_N6thrust23THRUST_200600_302600_NS6detail15normal_iteratorINS9_10device_ptrIiEEEESE_SE_iNS9_4plusIiEE19head_flag_predicateiEE10hipError_tPvRmT2_T3_T4_T5_mT6_T7_P12ihipStream_tbENKUlT_T0_E_clISt17integral_constantIbLb0EESX_IbLb1EEEEDaST_SU_EUlST_E_NS1_11comp_targetILNS1_3genE4ELNS1_11target_archE910ELNS1_3gpuE8ELNS1_3repE0EEENS1_30default_config_static_selectorELNS0_4arch9wavefront6targetE0EEEvT1_.num_agpr, 0
	.set _ZN7rocprim17ROCPRIM_400000_NS6detail17trampoline_kernelINS0_14default_configENS1_27scan_by_key_config_selectorIiiEEZZNS1_16scan_by_key_implILNS1_25lookback_scan_determinismE0ELb1ES3_N6thrust23THRUST_200600_302600_NS6detail15normal_iteratorINS9_10device_ptrIiEEEESE_SE_iNS9_4plusIiEE19head_flag_predicateiEE10hipError_tPvRmT2_T3_T4_T5_mT6_T7_P12ihipStream_tbENKUlT_T0_E_clISt17integral_constantIbLb0EESX_IbLb1EEEEDaST_SU_EUlST_E_NS1_11comp_targetILNS1_3genE4ELNS1_11target_archE910ELNS1_3gpuE8ELNS1_3repE0EEENS1_30default_config_static_selectorELNS0_4arch9wavefront6targetE0EEEvT1_.numbered_sgpr, 0
	.set _ZN7rocprim17ROCPRIM_400000_NS6detail17trampoline_kernelINS0_14default_configENS1_27scan_by_key_config_selectorIiiEEZZNS1_16scan_by_key_implILNS1_25lookback_scan_determinismE0ELb1ES3_N6thrust23THRUST_200600_302600_NS6detail15normal_iteratorINS9_10device_ptrIiEEEESE_SE_iNS9_4plusIiEE19head_flag_predicateiEE10hipError_tPvRmT2_T3_T4_T5_mT6_T7_P12ihipStream_tbENKUlT_T0_E_clISt17integral_constantIbLb0EESX_IbLb1EEEEDaST_SU_EUlST_E_NS1_11comp_targetILNS1_3genE4ELNS1_11target_archE910ELNS1_3gpuE8ELNS1_3repE0EEENS1_30default_config_static_selectorELNS0_4arch9wavefront6targetE0EEEvT1_.num_named_barrier, 0
	.set _ZN7rocprim17ROCPRIM_400000_NS6detail17trampoline_kernelINS0_14default_configENS1_27scan_by_key_config_selectorIiiEEZZNS1_16scan_by_key_implILNS1_25lookback_scan_determinismE0ELb1ES3_N6thrust23THRUST_200600_302600_NS6detail15normal_iteratorINS9_10device_ptrIiEEEESE_SE_iNS9_4plusIiEE19head_flag_predicateiEE10hipError_tPvRmT2_T3_T4_T5_mT6_T7_P12ihipStream_tbENKUlT_T0_E_clISt17integral_constantIbLb0EESX_IbLb1EEEEDaST_SU_EUlST_E_NS1_11comp_targetILNS1_3genE4ELNS1_11target_archE910ELNS1_3gpuE8ELNS1_3repE0EEENS1_30default_config_static_selectorELNS0_4arch9wavefront6targetE0EEEvT1_.private_seg_size, 0
	.set _ZN7rocprim17ROCPRIM_400000_NS6detail17trampoline_kernelINS0_14default_configENS1_27scan_by_key_config_selectorIiiEEZZNS1_16scan_by_key_implILNS1_25lookback_scan_determinismE0ELb1ES3_N6thrust23THRUST_200600_302600_NS6detail15normal_iteratorINS9_10device_ptrIiEEEESE_SE_iNS9_4plusIiEE19head_flag_predicateiEE10hipError_tPvRmT2_T3_T4_T5_mT6_T7_P12ihipStream_tbENKUlT_T0_E_clISt17integral_constantIbLb0EESX_IbLb1EEEEDaST_SU_EUlST_E_NS1_11comp_targetILNS1_3genE4ELNS1_11target_archE910ELNS1_3gpuE8ELNS1_3repE0EEENS1_30default_config_static_selectorELNS0_4arch9wavefront6targetE0EEEvT1_.uses_vcc, 0
	.set _ZN7rocprim17ROCPRIM_400000_NS6detail17trampoline_kernelINS0_14default_configENS1_27scan_by_key_config_selectorIiiEEZZNS1_16scan_by_key_implILNS1_25lookback_scan_determinismE0ELb1ES3_N6thrust23THRUST_200600_302600_NS6detail15normal_iteratorINS9_10device_ptrIiEEEESE_SE_iNS9_4plusIiEE19head_flag_predicateiEE10hipError_tPvRmT2_T3_T4_T5_mT6_T7_P12ihipStream_tbENKUlT_T0_E_clISt17integral_constantIbLb0EESX_IbLb1EEEEDaST_SU_EUlST_E_NS1_11comp_targetILNS1_3genE4ELNS1_11target_archE910ELNS1_3gpuE8ELNS1_3repE0EEENS1_30default_config_static_selectorELNS0_4arch9wavefront6targetE0EEEvT1_.uses_flat_scratch, 0
	.set _ZN7rocprim17ROCPRIM_400000_NS6detail17trampoline_kernelINS0_14default_configENS1_27scan_by_key_config_selectorIiiEEZZNS1_16scan_by_key_implILNS1_25lookback_scan_determinismE0ELb1ES3_N6thrust23THRUST_200600_302600_NS6detail15normal_iteratorINS9_10device_ptrIiEEEESE_SE_iNS9_4plusIiEE19head_flag_predicateiEE10hipError_tPvRmT2_T3_T4_T5_mT6_T7_P12ihipStream_tbENKUlT_T0_E_clISt17integral_constantIbLb0EESX_IbLb1EEEEDaST_SU_EUlST_E_NS1_11comp_targetILNS1_3genE4ELNS1_11target_archE910ELNS1_3gpuE8ELNS1_3repE0EEENS1_30default_config_static_selectorELNS0_4arch9wavefront6targetE0EEEvT1_.has_dyn_sized_stack, 0
	.set _ZN7rocprim17ROCPRIM_400000_NS6detail17trampoline_kernelINS0_14default_configENS1_27scan_by_key_config_selectorIiiEEZZNS1_16scan_by_key_implILNS1_25lookback_scan_determinismE0ELb1ES3_N6thrust23THRUST_200600_302600_NS6detail15normal_iteratorINS9_10device_ptrIiEEEESE_SE_iNS9_4plusIiEE19head_flag_predicateiEE10hipError_tPvRmT2_T3_T4_T5_mT6_T7_P12ihipStream_tbENKUlT_T0_E_clISt17integral_constantIbLb0EESX_IbLb1EEEEDaST_SU_EUlST_E_NS1_11comp_targetILNS1_3genE4ELNS1_11target_archE910ELNS1_3gpuE8ELNS1_3repE0EEENS1_30default_config_static_selectorELNS0_4arch9wavefront6targetE0EEEvT1_.has_recursion, 0
	.set _ZN7rocprim17ROCPRIM_400000_NS6detail17trampoline_kernelINS0_14default_configENS1_27scan_by_key_config_selectorIiiEEZZNS1_16scan_by_key_implILNS1_25lookback_scan_determinismE0ELb1ES3_N6thrust23THRUST_200600_302600_NS6detail15normal_iteratorINS9_10device_ptrIiEEEESE_SE_iNS9_4plusIiEE19head_flag_predicateiEE10hipError_tPvRmT2_T3_T4_T5_mT6_T7_P12ihipStream_tbENKUlT_T0_E_clISt17integral_constantIbLb0EESX_IbLb1EEEEDaST_SU_EUlST_E_NS1_11comp_targetILNS1_3genE4ELNS1_11target_archE910ELNS1_3gpuE8ELNS1_3repE0EEENS1_30default_config_static_selectorELNS0_4arch9wavefront6targetE0EEEvT1_.has_indirect_call, 0
	.section	.AMDGPU.csdata,"",@progbits
; Kernel info:
; codeLenInByte = 0
; TotalNumSgprs: 0
; NumVgprs: 0
; ScratchSize: 0
; MemoryBound: 0
; FloatMode: 240
; IeeeMode: 1
; LDSByteSize: 0 bytes/workgroup (compile time only)
; SGPRBlocks: 0
; VGPRBlocks: 0
; NumSGPRsForWavesPerEU: 1
; NumVGPRsForWavesPerEU: 1
; NamedBarCnt: 0
; Occupancy: 16
; WaveLimiterHint : 0
; COMPUTE_PGM_RSRC2:SCRATCH_EN: 0
; COMPUTE_PGM_RSRC2:USER_SGPR: 2
; COMPUTE_PGM_RSRC2:TRAP_HANDLER: 0
; COMPUTE_PGM_RSRC2:TGID_X_EN: 1
; COMPUTE_PGM_RSRC2:TGID_Y_EN: 0
; COMPUTE_PGM_RSRC2:TGID_Z_EN: 0
; COMPUTE_PGM_RSRC2:TIDIG_COMP_CNT: 0
	.section	.text._ZN7rocprim17ROCPRIM_400000_NS6detail17trampoline_kernelINS0_14default_configENS1_27scan_by_key_config_selectorIiiEEZZNS1_16scan_by_key_implILNS1_25lookback_scan_determinismE0ELb1ES3_N6thrust23THRUST_200600_302600_NS6detail15normal_iteratorINS9_10device_ptrIiEEEESE_SE_iNS9_4plusIiEE19head_flag_predicateiEE10hipError_tPvRmT2_T3_T4_T5_mT6_T7_P12ihipStream_tbENKUlT_T0_E_clISt17integral_constantIbLb0EESX_IbLb1EEEEDaST_SU_EUlST_E_NS1_11comp_targetILNS1_3genE3ELNS1_11target_archE908ELNS1_3gpuE7ELNS1_3repE0EEENS1_30default_config_static_selectorELNS0_4arch9wavefront6targetE0EEEvT1_,"axG",@progbits,_ZN7rocprim17ROCPRIM_400000_NS6detail17trampoline_kernelINS0_14default_configENS1_27scan_by_key_config_selectorIiiEEZZNS1_16scan_by_key_implILNS1_25lookback_scan_determinismE0ELb1ES3_N6thrust23THRUST_200600_302600_NS6detail15normal_iteratorINS9_10device_ptrIiEEEESE_SE_iNS9_4plusIiEE19head_flag_predicateiEE10hipError_tPvRmT2_T3_T4_T5_mT6_T7_P12ihipStream_tbENKUlT_T0_E_clISt17integral_constantIbLb0EESX_IbLb1EEEEDaST_SU_EUlST_E_NS1_11comp_targetILNS1_3genE3ELNS1_11target_archE908ELNS1_3gpuE7ELNS1_3repE0EEENS1_30default_config_static_selectorELNS0_4arch9wavefront6targetE0EEEvT1_,comdat
	.protected	_ZN7rocprim17ROCPRIM_400000_NS6detail17trampoline_kernelINS0_14default_configENS1_27scan_by_key_config_selectorIiiEEZZNS1_16scan_by_key_implILNS1_25lookback_scan_determinismE0ELb1ES3_N6thrust23THRUST_200600_302600_NS6detail15normal_iteratorINS9_10device_ptrIiEEEESE_SE_iNS9_4plusIiEE19head_flag_predicateiEE10hipError_tPvRmT2_T3_T4_T5_mT6_T7_P12ihipStream_tbENKUlT_T0_E_clISt17integral_constantIbLb0EESX_IbLb1EEEEDaST_SU_EUlST_E_NS1_11comp_targetILNS1_3genE3ELNS1_11target_archE908ELNS1_3gpuE7ELNS1_3repE0EEENS1_30default_config_static_selectorELNS0_4arch9wavefront6targetE0EEEvT1_ ; -- Begin function _ZN7rocprim17ROCPRIM_400000_NS6detail17trampoline_kernelINS0_14default_configENS1_27scan_by_key_config_selectorIiiEEZZNS1_16scan_by_key_implILNS1_25lookback_scan_determinismE0ELb1ES3_N6thrust23THRUST_200600_302600_NS6detail15normal_iteratorINS9_10device_ptrIiEEEESE_SE_iNS9_4plusIiEE19head_flag_predicateiEE10hipError_tPvRmT2_T3_T4_T5_mT6_T7_P12ihipStream_tbENKUlT_T0_E_clISt17integral_constantIbLb0EESX_IbLb1EEEEDaST_SU_EUlST_E_NS1_11comp_targetILNS1_3genE3ELNS1_11target_archE908ELNS1_3gpuE7ELNS1_3repE0EEENS1_30default_config_static_selectorELNS0_4arch9wavefront6targetE0EEEvT1_
	.globl	_ZN7rocprim17ROCPRIM_400000_NS6detail17trampoline_kernelINS0_14default_configENS1_27scan_by_key_config_selectorIiiEEZZNS1_16scan_by_key_implILNS1_25lookback_scan_determinismE0ELb1ES3_N6thrust23THRUST_200600_302600_NS6detail15normal_iteratorINS9_10device_ptrIiEEEESE_SE_iNS9_4plusIiEE19head_flag_predicateiEE10hipError_tPvRmT2_T3_T4_T5_mT6_T7_P12ihipStream_tbENKUlT_T0_E_clISt17integral_constantIbLb0EESX_IbLb1EEEEDaST_SU_EUlST_E_NS1_11comp_targetILNS1_3genE3ELNS1_11target_archE908ELNS1_3gpuE7ELNS1_3repE0EEENS1_30default_config_static_selectorELNS0_4arch9wavefront6targetE0EEEvT1_
	.p2align	8
	.type	_ZN7rocprim17ROCPRIM_400000_NS6detail17trampoline_kernelINS0_14default_configENS1_27scan_by_key_config_selectorIiiEEZZNS1_16scan_by_key_implILNS1_25lookback_scan_determinismE0ELb1ES3_N6thrust23THRUST_200600_302600_NS6detail15normal_iteratorINS9_10device_ptrIiEEEESE_SE_iNS9_4plusIiEE19head_flag_predicateiEE10hipError_tPvRmT2_T3_T4_T5_mT6_T7_P12ihipStream_tbENKUlT_T0_E_clISt17integral_constantIbLb0EESX_IbLb1EEEEDaST_SU_EUlST_E_NS1_11comp_targetILNS1_3genE3ELNS1_11target_archE908ELNS1_3gpuE7ELNS1_3repE0EEENS1_30default_config_static_selectorELNS0_4arch9wavefront6targetE0EEEvT1_,@function
_ZN7rocprim17ROCPRIM_400000_NS6detail17trampoline_kernelINS0_14default_configENS1_27scan_by_key_config_selectorIiiEEZZNS1_16scan_by_key_implILNS1_25lookback_scan_determinismE0ELb1ES3_N6thrust23THRUST_200600_302600_NS6detail15normal_iteratorINS9_10device_ptrIiEEEESE_SE_iNS9_4plusIiEE19head_flag_predicateiEE10hipError_tPvRmT2_T3_T4_T5_mT6_T7_P12ihipStream_tbENKUlT_T0_E_clISt17integral_constantIbLb0EESX_IbLb1EEEEDaST_SU_EUlST_E_NS1_11comp_targetILNS1_3genE3ELNS1_11target_archE908ELNS1_3gpuE7ELNS1_3repE0EEENS1_30default_config_static_selectorELNS0_4arch9wavefront6targetE0EEEvT1_: ; @_ZN7rocprim17ROCPRIM_400000_NS6detail17trampoline_kernelINS0_14default_configENS1_27scan_by_key_config_selectorIiiEEZZNS1_16scan_by_key_implILNS1_25lookback_scan_determinismE0ELb1ES3_N6thrust23THRUST_200600_302600_NS6detail15normal_iteratorINS9_10device_ptrIiEEEESE_SE_iNS9_4plusIiEE19head_flag_predicateiEE10hipError_tPvRmT2_T3_T4_T5_mT6_T7_P12ihipStream_tbENKUlT_T0_E_clISt17integral_constantIbLb0EESX_IbLb1EEEEDaST_SU_EUlST_E_NS1_11comp_targetILNS1_3genE3ELNS1_11target_archE908ELNS1_3gpuE7ELNS1_3repE0EEENS1_30default_config_static_selectorELNS0_4arch9wavefront6targetE0EEEvT1_
; %bb.0:
	.section	.rodata,"a",@progbits
	.p2align	6, 0x0
	.amdhsa_kernel _ZN7rocprim17ROCPRIM_400000_NS6detail17trampoline_kernelINS0_14default_configENS1_27scan_by_key_config_selectorIiiEEZZNS1_16scan_by_key_implILNS1_25lookback_scan_determinismE0ELb1ES3_N6thrust23THRUST_200600_302600_NS6detail15normal_iteratorINS9_10device_ptrIiEEEESE_SE_iNS9_4plusIiEE19head_flag_predicateiEE10hipError_tPvRmT2_T3_T4_T5_mT6_T7_P12ihipStream_tbENKUlT_T0_E_clISt17integral_constantIbLb0EESX_IbLb1EEEEDaST_SU_EUlST_E_NS1_11comp_targetILNS1_3genE3ELNS1_11target_archE908ELNS1_3gpuE7ELNS1_3repE0EEENS1_30default_config_static_selectorELNS0_4arch9wavefront6targetE0EEEvT1_
		.amdhsa_group_segment_fixed_size 0
		.amdhsa_private_segment_fixed_size 0
		.amdhsa_kernarg_size 112
		.amdhsa_user_sgpr_count 2
		.amdhsa_user_sgpr_dispatch_ptr 0
		.amdhsa_user_sgpr_queue_ptr 0
		.amdhsa_user_sgpr_kernarg_segment_ptr 1
		.amdhsa_user_sgpr_dispatch_id 0
		.amdhsa_user_sgpr_kernarg_preload_length 0
		.amdhsa_user_sgpr_kernarg_preload_offset 0
		.amdhsa_user_sgpr_private_segment_size 0
		.amdhsa_wavefront_size32 1
		.amdhsa_uses_dynamic_stack 0
		.amdhsa_enable_private_segment 0
		.amdhsa_system_sgpr_workgroup_id_x 1
		.amdhsa_system_sgpr_workgroup_id_y 0
		.amdhsa_system_sgpr_workgroup_id_z 0
		.amdhsa_system_sgpr_workgroup_info 0
		.amdhsa_system_vgpr_workitem_id 0
		.amdhsa_next_free_vgpr 1
		.amdhsa_next_free_sgpr 1
		.amdhsa_named_barrier_count 0
		.amdhsa_reserve_vcc 0
		.amdhsa_float_round_mode_32 0
		.amdhsa_float_round_mode_16_64 0
		.amdhsa_float_denorm_mode_32 3
		.amdhsa_float_denorm_mode_16_64 3
		.amdhsa_fp16_overflow 0
		.amdhsa_memory_ordered 1
		.amdhsa_forward_progress 1
		.amdhsa_inst_pref_size 0
		.amdhsa_round_robin_scheduling 0
		.amdhsa_exception_fp_ieee_invalid_op 0
		.amdhsa_exception_fp_denorm_src 0
		.amdhsa_exception_fp_ieee_div_zero 0
		.amdhsa_exception_fp_ieee_overflow 0
		.amdhsa_exception_fp_ieee_underflow 0
		.amdhsa_exception_fp_ieee_inexact 0
		.amdhsa_exception_int_div_zero 0
	.end_amdhsa_kernel
	.section	.text._ZN7rocprim17ROCPRIM_400000_NS6detail17trampoline_kernelINS0_14default_configENS1_27scan_by_key_config_selectorIiiEEZZNS1_16scan_by_key_implILNS1_25lookback_scan_determinismE0ELb1ES3_N6thrust23THRUST_200600_302600_NS6detail15normal_iteratorINS9_10device_ptrIiEEEESE_SE_iNS9_4plusIiEE19head_flag_predicateiEE10hipError_tPvRmT2_T3_T4_T5_mT6_T7_P12ihipStream_tbENKUlT_T0_E_clISt17integral_constantIbLb0EESX_IbLb1EEEEDaST_SU_EUlST_E_NS1_11comp_targetILNS1_3genE3ELNS1_11target_archE908ELNS1_3gpuE7ELNS1_3repE0EEENS1_30default_config_static_selectorELNS0_4arch9wavefront6targetE0EEEvT1_,"axG",@progbits,_ZN7rocprim17ROCPRIM_400000_NS6detail17trampoline_kernelINS0_14default_configENS1_27scan_by_key_config_selectorIiiEEZZNS1_16scan_by_key_implILNS1_25lookback_scan_determinismE0ELb1ES3_N6thrust23THRUST_200600_302600_NS6detail15normal_iteratorINS9_10device_ptrIiEEEESE_SE_iNS9_4plusIiEE19head_flag_predicateiEE10hipError_tPvRmT2_T3_T4_T5_mT6_T7_P12ihipStream_tbENKUlT_T0_E_clISt17integral_constantIbLb0EESX_IbLb1EEEEDaST_SU_EUlST_E_NS1_11comp_targetILNS1_3genE3ELNS1_11target_archE908ELNS1_3gpuE7ELNS1_3repE0EEENS1_30default_config_static_selectorELNS0_4arch9wavefront6targetE0EEEvT1_,comdat
.Lfunc_end816:
	.size	_ZN7rocprim17ROCPRIM_400000_NS6detail17trampoline_kernelINS0_14default_configENS1_27scan_by_key_config_selectorIiiEEZZNS1_16scan_by_key_implILNS1_25lookback_scan_determinismE0ELb1ES3_N6thrust23THRUST_200600_302600_NS6detail15normal_iteratorINS9_10device_ptrIiEEEESE_SE_iNS9_4plusIiEE19head_flag_predicateiEE10hipError_tPvRmT2_T3_T4_T5_mT6_T7_P12ihipStream_tbENKUlT_T0_E_clISt17integral_constantIbLb0EESX_IbLb1EEEEDaST_SU_EUlST_E_NS1_11comp_targetILNS1_3genE3ELNS1_11target_archE908ELNS1_3gpuE7ELNS1_3repE0EEENS1_30default_config_static_selectorELNS0_4arch9wavefront6targetE0EEEvT1_, .Lfunc_end816-_ZN7rocprim17ROCPRIM_400000_NS6detail17trampoline_kernelINS0_14default_configENS1_27scan_by_key_config_selectorIiiEEZZNS1_16scan_by_key_implILNS1_25lookback_scan_determinismE0ELb1ES3_N6thrust23THRUST_200600_302600_NS6detail15normal_iteratorINS9_10device_ptrIiEEEESE_SE_iNS9_4plusIiEE19head_flag_predicateiEE10hipError_tPvRmT2_T3_T4_T5_mT6_T7_P12ihipStream_tbENKUlT_T0_E_clISt17integral_constantIbLb0EESX_IbLb1EEEEDaST_SU_EUlST_E_NS1_11comp_targetILNS1_3genE3ELNS1_11target_archE908ELNS1_3gpuE7ELNS1_3repE0EEENS1_30default_config_static_selectorELNS0_4arch9wavefront6targetE0EEEvT1_
                                        ; -- End function
	.set _ZN7rocprim17ROCPRIM_400000_NS6detail17trampoline_kernelINS0_14default_configENS1_27scan_by_key_config_selectorIiiEEZZNS1_16scan_by_key_implILNS1_25lookback_scan_determinismE0ELb1ES3_N6thrust23THRUST_200600_302600_NS6detail15normal_iteratorINS9_10device_ptrIiEEEESE_SE_iNS9_4plusIiEE19head_flag_predicateiEE10hipError_tPvRmT2_T3_T4_T5_mT6_T7_P12ihipStream_tbENKUlT_T0_E_clISt17integral_constantIbLb0EESX_IbLb1EEEEDaST_SU_EUlST_E_NS1_11comp_targetILNS1_3genE3ELNS1_11target_archE908ELNS1_3gpuE7ELNS1_3repE0EEENS1_30default_config_static_selectorELNS0_4arch9wavefront6targetE0EEEvT1_.num_vgpr, 0
	.set _ZN7rocprim17ROCPRIM_400000_NS6detail17trampoline_kernelINS0_14default_configENS1_27scan_by_key_config_selectorIiiEEZZNS1_16scan_by_key_implILNS1_25lookback_scan_determinismE0ELb1ES3_N6thrust23THRUST_200600_302600_NS6detail15normal_iteratorINS9_10device_ptrIiEEEESE_SE_iNS9_4plusIiEE19head_flag_predicateiEE10hipError_tPvRmT2_T3_T4_T5_mT6_T7_P12ihipStream_tbENKUlT_T0_E_clISt17integral_constantIbLb0EESX_IbLb1EEEEDaST_SU_EUlST_E_NS1_11comp_targetILNS1_3genE3ELNS1_11target_archE908ELNS1_3gpuE7ELNS1_3repE0EEENS1_30default_config_static_selectorELNS0_4arch9wavefront6targetE0EEEvT1_.num_agpr, 0
	.set _ZN7rocprim17ROCPRIM_400000_NS6detail17trampoline_kernelINS0_14default_configENS1_27scan_by_key_config_selectorIiiEEZZNS1_16scan_by_key_implILNS1_25lookback_scan_determinismE0ELb1ES3_N6thrust23THRUST_200600_302600_NS6detail15normal_iteratorINS9_10device_ptrIiEEEESE_SE_iNS9_4plusIiEE19head_flag_predicateiEE10hipError_tPvRmT2_T3_T4_T5_mT6_T7_P12ihipStream_tbENKUlT_T0_E_clISt17integral_constantIbLb0EESX_IbLb1EEEEDaST_SU_EUlST_E_NS1_11comp_targetILNS1_3genE3ELNS1_11target_archE908ELNS1_3gpuE7ELNS1_3repE0EEENS1_30default_config_static_selectorELNS0_4arch9wavefront6targetE0EEEvT1_.numbered_sgpr, 0
	.set _ZN7rocprim17ROCPRIM_400000_NS6detail17trampoline_kernelINS0_14default_configENS1_27scan_by_key_config_selectorIiiEEZZNS1_16scan_by_key_implILNS1_25lookback_scan_determinismE0ELb1ES3_N6thrust23THRUST_200600_302600_NS6detail15normal_iteratorINS9_10device_ptrIiEEEESE_SE_iNS9_4plusIiEE19head_flag_predicateiEE10hipError_tPvRmT2_T3_T4_T5_mT6_T7_P12ihipStream_tbENKUlT_T0_E_clISt17integral_constantIbLb0EESX_IbLb1EEEEDaST_SU_EUlST_E_NS1_11comp_targetILNS1_3genE3ELNS1_11target_archE908ELNS1_3gpuE7ELNS1_3repE0EEENS1_30default_config_static_selectorELNS0_4arch9wavefront6targetE0EEEvT1_.num_named_barrier, 0
	.set _ZN7rocprim17ROCPRIM_400000_NS6detail17trampoline_kernelINS0_14default_configENS1_27scan_by_key_config_selectorIiiEEZZNS1_16scan_by_key_implILNS1_25lookback_scan_determinismE0ELb1ES3_N6thrust23THRUST_200600_302600_NS6detail15normal_iteratorINS9_10device_ptrIiEEEESE_SE_iNS9_4plusIiEE19head_flag_predicateiEE10hipError_tPvRmT2_T3_T4_T5_mT6_T7_P12ihipStream_tbENKUlT_T0_E_clISt17integral_constantIbLb0EESX_IbLb1EEEEDaST_SU_EUlST_E_NS1_11comp_targetILNS1_3genE3ELNS1_11target_archE908ELNS1_3gpuE7ELNS1_3repE0EEENS1_30default_config_static_selectorELNS0_4arch9wavefront6targetE0EEEvT1_.private_seg_size, 0
	.set _ZN7rocprim17ROCPRIM_400000_NS6detail17trampoline_kernelINS0_14default_configENS1_27scan_by_key_config_selectorIiiEEZZNS1_16scan_by_key_implILNS1_25lookback_scan_determinismE0ELb1ES3_N6thrust23THRUST_200600_302600_NS6detail15normal_iteratorINS9_10device_ptrIiEEEESE_SE_iNS9_4plusIiEE19head_flag_predicateiEE10hipError_tPvRmT2_T3_T4_T5_mT6_T7_P12ihipStream_tbENKUlT_T0_E_clISt17integral_constantIbLb0EESX_IbLb1EEEEDaST_SU_EUlST_E_NS1_11comp_targetILNS1_3genE3ELNS1_11target_archE908ELNS1_3gpuE7ELNS1_3repE0EEENS1_30default_config_static_selectorELNS0_4arch9wavefront6targetE0EEEvT1_.uses_vcc, 0
	.set _ZN7rocprim17ROCPRIM_400000_NS6detail17trampoline_kernelINS0_14default_configENS1_27scan_by_key_config_selectorIiiEEZZNS1_16scan_by_key_implILNS1_25lookback_scan_determinismE0ELb1ES3_N6thrust23THRUST_200600_302600_NS6detail15normal_iteratorINS9_10device_ptrIiEEEESE_SE_iNS9_4plusIiEE19head_flag_predicateiEE10hipError_tPvRmT2_T3_T4_T5_mT6_T7_P12ihipStream_tbENKUlT_T0_E_clISt17integral_constantIbLb0EESX_IbLb1EEEEDaST_SU_EUlST_E_NS1_11comp_targetILNS1_3genE3ELNS1_11target_archE908ELNS1_3gpuE7ELNS1_3repE0EEENS1_30default_config_static_selectorELNS0_4arch9wavefront6targetE0EEEvT1_.uses_flat_scratch, 0
	.set _ZN7rocprim17ROCPRIM_400000_NS6detail17trampoline_kernelINS0_14default_configENS1_27scan_by_key_config_selectorIiiEEZZNS1_16scan_by_key_implILNS1_25lookback_scan_determinismE0ELb1ES3_N6thrust23THRUST_200600_302600_NS6detail15normal_iteratorINS9_10device_ptrIiEEEESE_SE_iNS9_4plusIiEE19head_flag_predicateiEE10hipError_tPvRmT2_T3_T4_T5_mT6_T7_P12ihipStream_tbENKUlT_T0_E_clISt17integral_constantIbLb0EESX_IbLb1EEEEDaST_SU_EUlST_E_NS1_11comp_targetILNS1_3genE3ELNS1_11target_archE908ELNS1_3gpuE7ELNS1_3repE0EEENS1_30default_config_static_selectorELNS0_4arch9wavefront6targetE0EEEvT1_.has_dyn_sized_stack, 0
	.set _ZN7rocprim17ROCPRIM_400000_NS6detail17trampoline_kernelINS0_14default_configENS1_27scan_by_key_config_selectorIiiEEZZNS1_16scan_by_key_implILNS1_25lookback_scan_determinismE0ELb1ES3_N6thrust23THRUST_200600_302600_NS6detail15normal_iteratorINS9_10device_ptrIiEEEESE_SE_iNS9_4plusIiEE19head_flag_predicateiEE10hipError_tPvRmT2_T3_T4_T5_mT6_T7_P12ihipStream_tbENKUlT_T0_E_clISt17integral_constantIbLb0EESX_IbLb1EEEEDaST_SU_EUlST_E_NS1_11comp_targetILNS1_3genE3ELNS1_11target_archE908ELNS1_3gpuE7ELNS1_3repE0EEENS1_30default_config_static_selectorELNS0_4arch9wavefront6targetE0EEEvT1_.has_recursion, 0
	.set _ZN7rocprim17ROCPRIM_400000_NS6detail17trampoline_kernelINS0_14default_configENS1_27scan_by_key_config_selectorIiiEEZZNS1_16scan_by_key_implILNS1_25lookback_scan_determinismE0ELb1ES3_N6thrust23THRUST_200600_302600_NS6detail15normal_iteratorINS9_10device_ptrIiEEEESE_SE_iNS9_4plusIiEE19head_flag_predicateiEE10hipError_tPvRmT2_T3_T4_T5_mT6_T7_P12ihipStream_tbENKUlT_T0_E_clISt17integral_constantIbLb0EESX_IbLb1EEEEDaST_SU_EUlST_E_NS1_11comp_targetILNS1_3genE3ELNS1_11target_archE908ELNS1_3gpuE7ELNS1_3repE0EEENS1_30default_config_static_selectorELNS0_4arch9wavefront6targetE0EEEvT1_.has_indirect_call, 0
	.section	.AMDGPU.csdata,"",@progbits
; Kernel info:
; codeLenInByte = 0
; TotalNumSgprs: 0
; NumVgprs: 0
; ScratchSize: 0
; MemoryBound: 0
; FloatMode: 240
; IeeeMode: 1
; LDSByteSize: 0 bytes/workgroup (compile time only)
; SGPRBlocks: 0
; VGPRBlocks: 0
; NumSGPRsForWavesPerEU: 1
; NumVGPRsForWavesPerEU: 1
; NamedBarCnt: 0
; Occupancy: 16
; WaveLimiterHint : 0
; COMPUTE_PGM_RSRC2:SCRATCH_EN: 0
; COMPUTE_PGM_RSRC2:USER_SGPR: 2
; COMPUTE_PGM_RSRC2:TRAP_HANDLER: 0
; COMPUTE_PGM_RSRC2:TGID_X_EN: 1
; COMPUTE_PGM_RSRC2:TGID_Y_EN: 0
; COMPUTE_PGM_RSRC2:TGID_Z_EN: 0
; COMPUTE_PGM_RSRC2:TIDIG_COMP_CNT: 0
	.section	.text._ZN7rocprim17ROCPRIM_400000_NS6detail17trampoline_kernelINS0_14default_configENS1_27scan_by_key_config_selectorIiiEEZZNS1_16scan_by_key_implILNS1_25lookback_scan_determinismE0ELb1ES3_N6thrust23THRUST_200600_302600_NS6detail15normal_iteratorINS9_10device_ptrIiEEEESE_SE_iNS9_4plusIiEE19head_flag_predicateiEE10hipError_tPvRmT2_T3_T4_T5_mT6_T7_P12ihipStream_tbENKUlT_T0_E_clISt17integral_constantIbLb0EESX_IbLb1EEEEDaST_SU_EUlST_E_NS1_11comp_targetILNS1_3genE2ELNS1_11target_archE906ELNS1_3gpuE6ELNS1_3repE0EEENS1_30default_config_static_selectorELNS0_4arch9wavefront6targetE0EEEvT1_,"axG",@progbits,_ZN7rocprim17ROCPRIM_400000_NS6detail17trampoline_kernelINS0_14default_configENS1_27scan_by_key_config_selectorIiiEEZZNS1_16scan_by_key_implILNS1_25lookback_scan_determinismE0ELb1ES3_N6thrust23THRUST_200600_302600_NS6detail15normal_iteratorINS9_10device_ptrIiEEEESE_SE_iNS9_4plusIiEE19head_flag_predicateiEE10hipError_tPvRmT2_T3_T4_T5_mT6_T7_P12ihipStream_tbENKUlT_T0_E_clISt17integral_constantIbLb0EESX_IbLb1EEEEDaST_SU_EUlST_E_NS1_11comp_targetILNS1_3genE2ELNS1_11target_archE906ELNS1_3gpuE6ELNS1_3repE0EEENS1_30default_config_static_selectorELNS0_4arch9wavefront6targetE0EEEvT1_,comdat
	.protected	_ZN7rocprim17ROCPRIM_400000_NS6detail17trampoline_kernelINS0_14default_configENS1_27scan_by_key_config_selectorIiiEEZZNS1_16scan_by_key_implILNS1_25lookback_scan_determinismE0ELb1ES3_N6thrust23THRUST_200600_302600_NS6detail15normal_iteratorINS9_10device_ptrIiEEEESE_SE_iNS9_4plusIiEE19head_flag_predicateiEE10hipError_tPvRmT2_T3_T4_T5_mT6_T7_P12ihipStream_tbENKUlT_T0_E_clISt17integral_constantIbLb0EESX_IbLb1EEEEDaST_SU_EUlST_E_NS1_11comp_targetILNS1_3genE2ELNS1_11target_archE906ELNS1_3gpuE6ELNS1_3repE0EEENS1_30default_config_static_selectorELNS0_4arch9wavefront6targetE0EEEvT1_ ; -- Begin function _ZN7rocprim17ROCPRIM_400000_NS6detail17trampoline_kernelINS0_14default_configENS1_27scan_by_key_config_selectorIiiEEZZNS1_16scan_by_key_implILNS1_25lookback_scan_determinismE0ELb1ES3_N6thrust23THRUST_200600_302600_NS6detail15normal_iteratorINS9_10device_ptrIiEEEESE_SE_iNS9_4plusIiEE19head_flag_predicateiEE10hipError_tPvRmT2_T3_T4_T5_mT6_T7_P12ihipStream_tbENKUlT_T0_E_clISt17integral_constantIbLb0EESX_IbLb1EEEEDaST_SU_EUlST_E_NS1_11comp_targetILNS1_3genE2ELNS1_11target_archE906ELNS1_3gpuE6ELNS1_3repE0EEENS1_30default_config_static_selectorELNS0_4arch9wavefront6targetE0EEEvT1_
	.globl	_ZN7rocprim17ROCPRIM_400000_NS6detail17trampoline_kernelINS0_14default_configENS1_27scan_by_key_config_selectorIiiEEZZNS1_16scan_by_key_implILNS1_25lookback_scan_determinismE0ELb1ES3_N6thrust23THRUST_200600_302600_NS6detail15normal_iteratorINS9_10device_ptrIiEEEESE_SE_iNS9_4plusIiEE19head_flag_predicateiEE10hipError_tPvRmT2_T3_T4_T5_mT6_T7_P12ihipStream_tbENKUlT_T0_E_clISt17integral_constantIbLb0EESX_IbLb1EEEEDaST_SU_EUlST_E_NS1_11comp_targetILNS1_3genE2ELNS1_11target_archE906ELNS1_3gpuE6ELNS1_3repE0EEENS1_30default_config_static_selectorELNS0_4arch9wavefront6targetE0EEEvT1_
	.p2align	8
	.type	_ZN7rocprim17ROCPRIM_400000_NS6detail17trampoline_kernelINS0_14default_configENS1_27scan_by_key_config_selectorIiiEEZZNS1_16scan_by_key_implILNS1_25lookback_scan_determinismE0ELb1ES3_N6thrust23THRUST_200600_302600_NS6detail15normal_iteratorINS9_10device_ptrIiEEEESE_SE_iNS9_4plusIiEE19head_flag_predicateiEE10hipError_tPvRmT2_T3_T4_T5_mT6_T7_P12ihipStream_tbENKUlT_T0_E_clISt17integral_constantIbLb0EESX_IbLb1EEEEDaST_SU_EUlST_E_NS1_11comp_targetILNS1_3genE2ELNS1_11target_archE906ELNS1_3gpuE6ELNS1_3repE0EEENS1_30default_config_static_selectorELNS0_4arch9wavefront6targetE0EEEvT1_,@function
_ZN7rocprim17ROCPRIM_400000_NS6detail17trampoline_kernelINS0_14default_configENS1_27scan_by_key_config_selectorIiiEEZZNS1_16scan_by_key_implILNS1_25lookback_scan_determinismE0ELb1ES3_N6thrust23THRUST_200600_302600_NS6detail15normal_iteratorINS9_10device_ptrIiEEEESE_SE_iNS9_4plusIiEE19head_flag_predicateiEE10hipError_tPvRmT2_T3_T4_T5_mT6_T7_P12ihipStream_tbENKUlT_T0_E_clISt17integral_constantIbLb0EESX_IbLb1EEEEDaST_SU_EUlST_E_NS1_11comp_targetILNS1_3genE2ELNS1_11target_archE906ELNS1_3gpuE6ELNS1_3repE0EEENS1_30default_config_static_selectorELNS0_4arch9wavefront6targetE0EEEvT1_: ; @_ZN7rocprim17ROCPRIM_400000_NS6detail17trampoline_kernelINS0_14default_configENS1_27scan_by_key_config_selectorIiiEEZZNS1_16scan_by_key_implILNS1_25lookback_scan_determinismE0ELb1ES3_N6thrust23THRUST_200600_302600_NS6detail15normal_iteratorINS9_10device_ptrIiEEEESE_SE_iNS9_4plusIiEE19head_flag_predicateiEE10hipError_tPvRmT2_T3_T4_T5_mT6_T7_P12ihipStream_tbENKUlT_T0_E_clISt17integral_constantIbLb0EESX_IbLb1EEEEDaST_SU_EUlST_E_NS1_11comp_targetILNS1_3genE2ELNS1_11target_archE906ELNS1_3gpuE6ELNS1_3repE0EEENS1_30default_config_static_selectorELNS0_4arch9wavefront6targetE0EEEvT1_
; %bb.0:
	.section	.rodata,"a",@progbits
	.p2align	6, 0x0
	.amdhsa_kernel _ZN7rocprim17ROCPRIM_400000_NS6detail17trampoline_kernelINS0_14default_configENS1_27scan_by_key_config_selectorIiiEEZZNS1_16scan_by_key_implILNS1_25lookback_scan_determinismE0ELb1ES3_N6thrust23THRUST_200600_302600_NS6detail15normal_iteratorINS9_10device_ptrIiEEEESE_SE_iNS9_4plusIiEE19head_flag_predicateiEE10hipError_tPvRmT2_T3_T4_T5_mT6_T7_P12ihipStream_tbENKUlT_T0_E_clISt17integral_constantIbLb0EESX_IbLb1EEEEDaST_SU_EUlST_E_NS1_11comp_targetILNS1_3genE2ELNS1_11target_archE906ELNS1_3gpuE6ELNS1_3repE0EEENS1_30default_config_static_selectorELNS0_4arch9wavefront6targetE0EEEvT1_
		.amdhsa_group_segment_fixed_size 0
		.amdhsa_private_segment_fixed_size 0
		.amdhsa_kernarg_size 112
		.amdhsa_user_sgpr_count 2
		.amdhsa_user_sgpr_dispatch_ptr 0
		.amdhsa_user_sgpr_queue_ptr 0
		.amdhsa_user_sgpr_kernarg_segment_ptr 1
		.amdhsa_user_sgpr_dispatch_id 0
		.amdhsa_user_sgpr_kernarg_preload_length 0
		.amdhsa_user_sgpr_kernarg_preload_offset 0
		.amdhsa_user_sgpr_private_segment_size 0
		.amdhsa_wavefront_size32 1
		.amdhsa_uses_dynamic_stack 0
		.amdhsa_enable_private_segment 0
		.amdhsa_system_sgpr_workgroup_id_x 1
		.amdhsa_system_sgpr_workgroup_id_y 0
		.amdhsa_system_sgpr_workgroup_id_z 0
		.amdhsa_system_sgpr_workgroup_info 0
		.amdhsa_system_vgpr_workitem_id 0
		.amdhsa_next_free_vgpr 1
		.amdhsa_next_free_sgpr 1
		.amdhsa_named_barrier_count 0
		.amdhsa_reserve_vcc 0
		.amdhsa_float_round_mode_32 0
		.amdhsa_float_round_mode_16_64 0
		.amdhsa_float_denorm_mode_32 3
		.amdhsa_float_denorm_mode_16_64 3
		.amdhsa_fp16_overflow 0
		.amdhsa_memory_ordered 1
		.amdhsa_forward_progress 1
		.amdhsa_inst_pref_size 0
		.amdhsa_round_robin_scheduling 0
		.amdhsa_exception_fp_ieee_invalid_op 0
		.amdhsa_exception_fp_denorm_src 0
		.amdhsa_exception_fp_ieee_div_zero 0
		.amdhsa_exception_fp_ieee_overflow 0
		.amdhsa_exception_fp_ieee_underflow 0
		.amdhsa_exception_fp_ieee_inexact 0
		.amdhsa_exception_int_div_zero 0
	.end_amdhsa_kernel
	.section	.text._ZN7rocprim17ROCPRIM_400000_NS6detail17trampoline_kernelINS0_14default_configENS1_27scan_by_key_config_selectorIiiEEZZNS1_16scan_by_key_implILNS1_25lookback_scan_determinismE0ELb1ES3_N6thrust23THRUST_200600_302600_NS6detail15normal_iteratorINS9_10device_ptrIiEEEESE_SE_iNS9_4plusIiEE19head_flag_predicateiEE10hipError_tPvRmT2_T3_T4_T5_mT6_T7_P12ihipStream_tbENKUlT_T0_E_clISt17integral_constantIbLb0EESX_IbLb1EEEEDaST_SU_EUlST_E_NS1_11comp_targetILNS1_3genE2ELNS1_11target_archE906ELNS1_3gpuE6ELNS1_3repE0EEENS1_30default_config_static_selectorELNS0_4arch9wavefront6targetE0EEEvT1_,"axG",@progbits,_ZN7rocprim17ROCPRIM_400000_NS6detail17trampoline_kernelINS0_14default_configENS1_27scan_by_key_config_selectorIiiEEZZNS1_16scan_by_key_implILNS1_25lookback_scan_determinismE0ELb1ES3_N6thrust23THRUST_200600_302600_NS6detail15normal_iteratorINS9_10device_ptrIiEEEESE_SE_iNS9_4plusIiEE19head_flag_predicateiEE10hipError_tPvRmT2_T3_T4_T5_mT6_T7_P12ihipStream_tbENKUlT_T0_E_clISt17integral_constantIbLb0EESX_IbLb1EEEEDaST_SU_EUlST_E_NS1_11comp_targetILNS1_3genE2ELNS1_11target_archE906ELNS1_3gpuE6ELNS1_3repE0EEENS1_30default_config_static_selectorELNS0_4arch9wavefront6targetE0EEEvT1_,comdat
.Lfunc_end817:
	.size	_ZN7rocprim17ROCPRIM_400000_NS6detail17trampoline_kernelINS0_14default_configENS1_27scan_by_key_config_selectorIiiEEZZNS1_16scan_by_key_implILNS1_25lookback_scan_determinismE0ELb1ES3_N6thrust23THRUST_200600_302600_NS6detail15normal_iteratorINS9_10device_ptrIiEEEESE_SE_iNS9_4plusIiEE19head_flag_predicateiEE10hipError_tPvRmT2_T3_T4_T5_mT6_T7_P12ihipStream_tbENKUlT_T0_E_clISt17integral_constantIbLb0EESX_IbLb1EEEEDaST_SU_EUlST_E_NS1_11comp_targetILNS1_3genE2ELNS1_11target_archE906ELNS1_3gpuE6ELNS1_3repE0EEENS1_30default_config_static_selectorELNS0_4arch9wavefront6targetE0EEEvT1_, .Lfunc_end817-_ZN7rocprim17ROCPRIM_400000_NS6detail17trampoline_kernelINS0_14default_configENS1_27scan_by_key_config_selectorIiiEEZZNS1_16scan_by_key_implILNS1_25lookback_scan_determinismE0ELb1ES3_N6thrust23THRUST_200600_302600_NS6detail15normal_iteratorINS9_10device_ptrIiEEEESE_SE_iNS9_4plusIiEE19head_flag_predicateiEE10hipError_tPvRmT2_T3_T4_T5_mT6_T7_P12ihipStream_tbENKUlT_T0_E_clISt17integral_constantIbLb0EESX_IbLb1EEEEDaST_SU_EUlST_E_NS1_11comp_targetILNS1_3genE2ELNS1_11target_archE906ELNS1_3gpuE6ELNS1_3repE0EEENS1_30default_config_static_selectorELNS0_4arch9wavefront6targetE0EEEvT1_
                                        ; -- End function
	.set _ZN7rocprim17ROCPRIM_400000_NS6detail17trampoline_kernelINS0_14default_configENS1_27scan_by_key_config_selectorIiiEEZZNS1_16scan_by_key_implILNS1_25lookback_scan_determinismE0ELb1ES3_N6thrust23THRUST_200600_302600_NS6detail15normal_iteratorINS9_10device_ptrIiEEEESE_SE_iNS9_4plusIiEE19head_flag_predicateiEE10hipError_tPvRmT2_T3_T4_T5_mT6_T7_P12ihipStream_tbENKUlT_T0_E_clISt17integral_constantIbLb0EESX_IbLb1EEEEDaST_SU_EUlST_E_NS1_11comp_targetILNS1_3genE2ELNS1_11target_archE906ELNS1_3gpuE6ELNS1_3repE0EEENS1_30default_config_static_selectorELNS0_4arch9wavefront6targetE0EEEvT1_.num_vgpr, 0
	.set _ZN7rocprim17ROCPRIM_400000_NS6detail17trampoline_kernelINS0_14default_configENS1_27scan_by_key_config_selectorIiiEEZZNS1_16scan_by_key_implILNS1_25lookback_scan_determinismE0ELb1ES3_N6thrust23THRUST_200600_302600_NS6detail15normal_iteratorINS9_10device_ptrIiEEEESE_SE_iNS9_4plusIiEE19head_flag_predicateiEE10hipError_tPvRmT2_T3_T4_T5_mT6_T7_P12ihipStream_tbENKUlT_T0_E_clISt17integral_constantIbLb0EESX_IbLb1EEEEDaST_SU_EUlST_E_NS1_11comp_targetILNS1_3genE2ELNS1_11target_archE906ELNS1_3gpuE6ELNS1_3repE0EEENS1_30default_config_static_selectorELNS0_4arch9wavefront6targetE0EEEvT1_.num_agpr, 0
	.set _ZN7rocprim17ROCPRIM_400000_NS6detail17trampoline_kernelINS0_14default_configENS1_27scan_by_key_config_selectorIiiEEZZNS1_16scan_by_key_implILNS1_25lookback_scan_determinismE0ELb1ES3_N6thrust23THRUST_200600_302600_NS6detail15normal_iteratorINS9_10device_ptrIiEEEESE_SE_iNS9_4plusIiEE19head_flag_predicateiEE10hipError_tPvRmT2_T3_T4_T5_mT6_T7_P12ihipStream_tbENKUlT_T0_E_clISt17integral_constantIbLb0EESX_IbLb1EEEEDaST_SU_EUlST_E_NS1_11comp_targetILNS1_3genE2ELNS1_11target_archE906ELNS1_3gpuE6ELNS1_3repE0EEENS1_30default_config_static_selectorELNS0_4arch9wavefront6targetE0EEEvT1_.numbered_sgpr, 0
	.set _ZN7rocprim17ROCPRIM_400000_NS6detail17trampoline_kernelINS0_14default_configENS1_27scan_by_key_config_selectorIiiEEZZNS1_16scan_by_key_implILNS1_25lookback_scan_determinismE0ELb1ES3_N6thrust23THRUST_200600_302600_NS6detail15normal_iteratorINS9_10device_ptrIiEEEESE_SE_iNS9_4plusIiEE19head_flag_predicateiEE10hipError_tPvRmT2_T3_T4_T5_mT6_T7_P12ihipStream_tbENKUlT_T0_E_clISt17integral_constantIbLb0EESX_IbLb1EEEEDaST_SU_EUlST_E_NS1_11comp_targetILNS1_3genE2ELNS1_11target_archE906ELNS1_3gpuE6ELNS1_3repE0EEENS1_30default_config_static_selectorELNS0_4arch9wavefront6targetE0EEEvT1_.num_named_barrier, 0
	.set _ZN7rocprim17ROCPRIM_400000_NS6detail17trampoline_kernelINS0_14default_configENS1_27scan_by_key_config_selectorIiiEEZZNS1_16scan_by_key_implILNS1_25lookback_scan_determinismE0ELb1ES3_N6thrust23THRUST_200600_302600_NS6detail15normal_iteratorINS9_10device_ptrIiEEEESE_SE_iNS9_4plusIiEE19head_flag_predicateiEE10hipError_tPvRmT2_T3_T4_T5_mT6_T7_P12ihipStream_tbENKUlT_T0_E_clISt17integral_constantIbLb0EESX_IbLb1EEEEDaST_SU_EUlST_E_NS1_11comp_targetILNS1_3genE2ELNS1_11target_archE906ELNS1_3gpuE6ELNS1_3repE0EEENS1_30default_config_static_selectorELNS0_4arch9wavefront6targetE0EEEvT1_.private_seg_size, 0
	.set _ZN7rocprim17ROCPRIM_400000_NS6detail17trampoline_kernelINS0_14default_configENS1_27scan_by_key_config_selectorIiiEEZZNS1_16scan_by_key_implILNS1_25lookback_scan_determinismE0ELb1ES3_N6thrust23THRUST_200600_302600_NS6detail15normal_iteratorINS9_10device_ptrIiEEEESE_SE_iNS9_4plusIiEE19head_flag_predicateiEE10hipError_tPvRmT2_T3_T4_T5_mT6_T7_P12ihipStream_tbENKUlT_T0_E_clISt17integral_constantIbLb0EESX_IbLb1EEEEDaST_SU_EUlST_E_NS1_11comp_targetILNS1_3genE2ELNS1_11target_archE906ELNS1_3gpuE6ELNS1_3repE0EEENS1_30default_config_static_selectorELNS0_4arch9wavefront6targetE0EEEvT1_.uses_vcc, 0
	.set _ZN7rocprim17ROCPRIM_400000_NS6detail17trampoline_kernelINS0_14default_configENS1_27scan_by_key_config_selectorIiiEEZZNS1_16scan_by_key_implILNS1_25lookback_scan_determinismE0ELb1ES3_N6thrust23THRUST_200600_302600_NS6detail15normal_iteratorINS9_10device_ptrIiEEEESE_SE_iNS9_4plusIiEE19head_flag_predicateiEE10hipError_tPvRmT2_T3_T4_T5_mT6_T7_P12ihipStream_tbENKUlT_T0_E_clISt17integral_constantIbLb0EESX_IbLb1EEEEDaST_SU_EUlST_E_NS1_11comp_targetILNS1_3genE2ELNS1_11target_archE906ELNS1_3gpuE6ELNS1_3repE0EEENS1_30default_config_static_selectorELNS0_4arch9wavefront6targetE0EEEvT1_.uses_flat_scratch, 0
	.set _ZN7rocprim17ROCPRIM_400000_NS6detail17trampoline_kernelINS0_14default_configENS1_27scan_by_key_config_selectorIiiEEZZNS1_16scan_by_key_implILNS1_25lookback_scan_determinismE0ELb1ES3_N6thrust23THRUST_200600_302600_NS6detail15normal_iteratorINS9_10device_ptrIiEEEESE_SE_iNS9_4plusIiEE19head_flag_predicateiEE10hipError_tPvRmT2_T3_T4_T5_mT6_T7_P12ihipStream_tbENKUlT_T0_E_clISt17integral_constantIbLb0EESX_IbLb1EEEEDaST_SU_EUlST_E_NS1_11comp_targetILNS1_3genE2ELNS1_11target_archE906ELNS1_3gpuE6ELNS1_3repE0EEENS1_30default_config_static_selectorELNS0_4arch9wavefront6targetE0EEEvT1_.has_dyn_sized_stack, 0
	.set _ZN7rocprim17ROCPRIM_400000_NS6detail17trampoline_kernelINS0_14default_configENS1_27scan_by_key_config_selectorIiiEEZZNS1_16scan_by_key_implILNS1_25lookback_scan_determinismE0ELb1ES3_N6thrust23THRUST_200600_302600_NS6detail15normal_iteratorINS9_10device_ptrIiEEEESE_SE_iNS9_4plusIiEE19head_flag_predicateiEE10hipError_tPvRmT2_T3_T4_T5_mT6_T7_P12ihipStream_tbENKUlT_T0_E_clISt17integral_constantIbLb0EESX_IbLb1EEEEDaST_SU_EUlST_E_NS1_11comp_targetILNS1_3genE2ELNS1_11target_archE906ELNS1_3gpuE6ELNS1_3repE0EEENS1_30default_config_static_selectorELNS0_4arch9wavefront6targetE0EEEvT1_.has_recursion, 0
	.set _ZN7rocprim17ROCPRIM_400000_NS6detail17trampoline_kernelINS0_14default_configENS1_27scan_by_key_config_selectorIiiEEZZNS1_16scan_by_key_implILNS1_25lookback_scan_determinismE0ELb1ES3_N6thrust23THRUST_200600_302600_NS6detail15normal_iteratorINS9_10device_ptrIiEEEESE_SE_iNS9_4plusIiEE19head_flag_predicateiEE10hipError_tPvRmT2_T3_T4_T5_mT6_T7_P12ihipStream_tbENKUlT_T0_E_clISt17integral_constantIbLb0EESX_IbLb1EEEEDaST_SU_EUlST_E_NS1_11comp_targetILNS1_3genE2ELNS1_11target_archE906ELNS1_3gpuE6ELNS1_3repE0EEENS1_30default_config_static_selectorELNS0_4arch9wavefront6targetE0EEEvT1_.has_indirect_call, 0
	.section	.AMDGPU.csdata,"",@progbits
; Kernel info:
; codeLenInByte = 0
; TotalNumSgprs: 0
; NumVgprs: 0
; ScratchSize: 0
; MemoryBound: 0
; FloatMode: 240
; IeeeMode: 1
; LDSByteSize: 0 bytes/workgroup (compile time only)
; SGPRBlocks: 0
; VGPRBlocks: 0
; NumSGPRsForWavesPerEU: 1
; NumVGPRsForWavesPerEU: 1
; NamedBarCnt: 0
; Occupancy: 16
; WaveLimiterHint : 0
; COMPUTE_PGM_RSRC2:SCRATCH_EN: 0
; COMPUTE_PGM_RSRC2:USER_SGPR: 2
; COMPUTE_PGM_RSRC2:TRAP_HANDLER: 0
; COMPUTE_PGM_RSRC2:TGID_X_EN: 1
; COMPUTE_PGM_RSRC2:TGID_Y_EN: 0
; COMPUTE_PGM_RSRC2:TGID_Z_EN: 0
; COMPUTE_PGM_RSRC2:TIDIG_COMP_CNT: 0
	.section	.text._ZN7rocprim17ROCPRIM_400000_NS6detail17trampoline_kernelINS0_14default_configENS1_27scan_by_key_config_selectorIiiEEZZNS1_16scan_by_key_implILNS1_25lookback_scan_determinismE0ELb1ES3_N6thrust23THRUST_200600_302600_NS6detail15normal_iteratorINS9_10device_ptrIiEEEESE_SE_iNS9_4plusIiEE19head_flag_predicateiEE10hipError_tPvRmT2_T3_T4_T5_mT6_T7_P12ihipStream_tbENKUlT_T0_E_clISt17integral_constantIbLb0EESX_IbLb1EEEEDaST_SU_EUlST_E_NS1_11comp_targetILNS1_3genE10ELNS1_11target_archE1200ELNS1_3gpuE4ELNS1_3repE0EEENS1_30default_config_static_selectorELNS0_4arch9wavefront6targetE0EEEvT1_,"axG",@progbits,_ZN7rocprim17ROCPRIM_400000_NS6detail17trampoline_kernelINS0_14default_configENS1_27scan_by_key_config_selectorIiiEEZZNS1_16scan_by_key_implILNS1_25lookback_scan_determinismE0ELb1ES3_N6thrust23THRUST_200600_302600_NS6detail15normal_iteratorINS9_10device_ptrIiEEEESE_SE_iNS9_4plusIiEE19head_flag_predicateiEE10hipError_tPvRmT2_T3_T4_T5_mT6_T7_P12ihipStream_tbENKUlT_T0_E_clISt17integral_constantIbLb0EESX_IbLb1EEEEDaST_SU_EUlST_E_NS1_11comp_targetILNS1_3genE10ELNS1_11target_archE1200ELNS1_3gpuE4ELNS1_3repE0EEENS1_30default_config_static_selectorELNS0_4arch9wavefront6targetE0EEEvT1_,comdat
	.protected	_ZN7rocprim17ROCPRIM_400000_NS6detail17trampoline_kernelINS0_14default_configENS1_27scan_by_key_config_selectorIiiEEZZNS1_16scan_by_key_implILNS1_25lookback_scan_determinismE0ELb1ES3_N6thrust23THRUST_200600_302600_NS6detail15normal_iteratorINS9_10device_ptrIiEEEESE_SE_iNS9_4plusIiEE19head_flag_predicateiEE10hipError_tPvRmT2_T3_T4_T5_mT6_T7_P12ihipStream_tbENKUlT_T0_E_clISt17integral_constantIbLb0EESX_IbLb1EEEEDaST_SU_EUlST_E_NS1_11comp_targetILNS1_3genE10ELNS1_11target_archE1200ELNS1_3gpuE4ELNS1_3repE0EEENS1_30default_config_static_selectorELNS0_4arch9wavefront6targetE0EEEvT1_ ; -- Begin function _ZN7rocprim17ROCPRIM_400000_NS6detail17trampoline_kernelINS0_14default_configENS1_27scan_by_key_config_selectorIiiEEZZNS1_16scan_by_key_implILNS1_25lookback_scan_determinismE0ELb1ES3_N6thrust23THRUST_200600_302600_NS6detail15normal_iteratorINS9_10device_ptrIiEEEESE_SE_iNS9_4plusIiEE19head_flag_predicateiEE10hipError_tPvRmT2_T3_T4_T5_mT6_T7_P12ihipStream_tbENKUlT_T0_E_clISt17integral_constantIbLb0EESX_IbLb1EEEEDaST_SU_EUlST_E_NS1_11comp_targetILNS1_3genE10ELNS1_11target_archE1200ELNS1_3gpuE4ELNS1_3repE0EEENS1_30default_config_static_selectorELNS0_4arch9wavefront6targetE0EEEvT1_
	.globl	_ZN7rocprim17ROCPRIM_400000_NS6detail17trampoline_kernelINS0_14default_configENS1_27scan_by_key_config_selectorIiiEEZZNS1_16scan_by_key_implILNS1_25lookback_scan_determinismE0ELb1ES3_N6thrust23THRUST_200600_302600_NS6detail15normal_iteratorINS9_10device_ptrIiEEEESE_SE_iNS9_4plusIiEE19head_flag_predicateiEE10hipError_tPvRmT2_T3_T4_T5_mT6_T7_P12ihipStream_tbENKUlT_T0_E_clISt17integral_constantIbLb0EESX_IbLb1EEEEDaST_SU_EUlST_E_NS1_11comp_targetILNS1_3genE10ELNS1_11target_archE1200ELNS1_3gpuE4ELNS1_3repE0EEENS1_30default_config_static_selectorELNS0_4arch9wavefront6targetE0EEEvT1_
	.p2align	8
	.type	_ZN7rocprim17ROCPRIM_400000_NS6detail17trampoline_kernelINS0_14default_configENS1_27scan_by_key_config_selectorIiiEEZZNS1_16scan_by_key_implILNS1_25lookback_scan_determinismE0ELb1ES3_N6thrust23THRUST_200600_302600_NS6detail15normal_iteratorINS9_10device_ptrIiEEEESE_SE_iNS9_4plusIiEE19head_flag_predicateiEE10hipError_tPvRmT2_T3_T4_T5_mT6_T7_P12ihipStream_tbENKUlT_T0_E_clISt17integral_constantIbLb0EESX_IbLb1EEEEDaST_SU_EUlST_E_NS1_11comp_targetILNS1_3genE10ELNS1_11target_archE1200ELNS1_3gpuE4ELNS1_3repE0EEENS1_30default_config_static_selectorELNS0_4arch9wavefront6targetE0EEEvT1_,@function
_ZN7rocprim17ROCPRIM_400000_NS6detail17trampoline_kernelINS0_14default_configENS1_27scan_by_key_config_selectorIiiEEZZNS1_16scan_by_key_implILNS1_25lookback_scan_determinismE0ELb1ES3_N6thrust23THRUST_200600_302600_NS6detail15normal_iteratorINS9_10device_ptrIiEEEESE_SE_iNS9_4plusIiEE19head_flag_predicateiEE10hipError_tPvRmT2_T3_T4_T5_mT6_T7_P12ihipStream_tbENKUlT_T0_E_clISt17integral_constantIbLb0EESX_IbLb1EEEEDaST_SU_EUlST_E_NS1_11comp_targetILNS1_3genE10ELNS1_11target_archE1200ELNS1_3gpuE4ELNS1_3repE0EEENS1_30default_config_static_selectorELNS0_4arch9wavefront6targetE0EEEvT1_: ; @_ZN7rocprim17ROCPRIM_400000_NS6detail17trampoline_kernelINS0_14default_configENS1_27scan_by_key_config_selectorIiiEEZZNS1_16scan_by_key_implILNS1_25lookback_scan_determinismE0ELb1ES3_N6thrust23THRUST_200600_302600_NS6detail15normal_iteratorINS9_10device_ptrIiEEEESE_SE_iNS9_4plusIiEE19head_flag_predicateiEE10hipError_tPvRmT2_T3_T4_T5_mT6_T7_P12ihipStream_tbENKUlT_T0_E_clISt17integral_constantIbLb0EESX_IbLb1EEEEDaST_SU_EUlST_E_NS1_11comp_targetILNS1_3genE10ELNS1_11target_archE1200ELNS1_3gpuE4ELNS1_3repE0EEENS1_30default_config_static_selectorELNS0_4arch9wavefront6targetE0EEEvT1_
; %bb.0:
	.section	.rodata,"a",@progbits
	.p2align	6, 0x0
	.amdhsa_kernel _ZN7rocprim17ROCPRIM_400000_NS6detail17trampoline_kernelINS0_14default_configENS1_27scan_by_key_config_selectorIiiEEZZNS1_16scan_by_key_implILNS1_25lookback_scan_determinismE0ELb1ES3_N6thrust23THRUST_200600_302600_NS6detail15normal_iteratorINS9_10device_ptrIiEEEESE_SE_iNS9_4plusIiEE19head_flag_predicateiEE10hipError_tPvRmT2_T3_T4_T5_mT6_T7_P12ihipStream_tbENKUlT_T0_E_clISt17integral_constantIbLb0EESX_IbLb1EEEEDaST_SU_EUlST_E_NS1_11comp_targetILNS1_3genE10ELNS1_11target_archE1200ELNS1_3gpuE4ELNS1_3repE0EEENS1_30default_config_static_selectorELNS0_4arch9wavefront6targetE0EEEvT1_
		.amdhsa_group_segment_fixed_size 0
		.amdhsa_private_segment_fixed_size 0
		.amdhsa_kernarg_size 112
		.amdhsa_user_sgpr_count 2
		.amdhsa_user_sgpr_dispatch_ptr 0
		.amdhsa_user_sgpr_queue_ptr 0
		.amdhsa_user_sgpr_kernarg_segment_ptr 1
		.amdhsa_user_sgpr_dispatch_id 0
		.amdhsa_user_sgpr_kernarg_preload_length 0
		.amdhsa_user_sgpr_kernarg_preload_offset 0
		.amdhsa_user_sgpr_private_segment_size 0
		.amdhsa_wavefront_size32 1
		.amdhsa_uses_dynamic_stack 0
		.amdhsa_enable_private_segment 0
		.amdhsa_system_sgpr_workgroup_id_x 1
		.amdhsa_system_sgpr_workgroup_id_y 0
		.amdhsa_system_sgpr_workgroup_id_z 0
		.amdhsa_system_sgpr_workgroup_info 0
		.amdhsa_system_vgpr_workitem_id 0
		.amdhsa_next_free_vgpr 1
		.amdhsa_next_free_sgpr 1
		.amdhsa_named_barrier_count 0
		.amdhsa_reserve_vcc 0
		.amdhsa_float_round_mode_32 0
		.amdhsa_float_round_mode_16_64 0
		.amdhsa_float_denorm_mode_32 3
		.amdhsa_float_denorm_mode_16_64 3
		.amdhsa_fp16_overflow 0
		.amdhsa_memory_ordered 1
		.amdhsa_forward_progress 1
		.amdhsa_inst_pref_size 0
		.amdhsa_round_robin_scheduling 0
		.amdhsa_exception_fp_ieee_invalid_op 0
		.amdhsa_exception_fp_denorm_src 0
		.amdhsa_exception_fp_ieee_div_zero 0
		.amdhsa_exception_fp_ieee_overflow 0
		.amdhsa_exception_fp_ieee_underflow 0
		.amdhsa_exception_fp_ieee_inexact 0
		.amdhsa_exception_int_div_zero 0
	.end_amdhsa_kernel
	.section	.text._ZN7rocprim17ROCPRIM_400000_NS6detail17trampoline_kernelINS0_14default_configENS1_27scan_by_key_config_selectorIiiEEZZNS1_16scan_by_key_implILNS1_25lookback_scan_determinismE0ELb1ES3_N6thrust23THRUST_200600_302600_NS6detail15normal_iteratorINS9_10device_ptrIiEEEESE_SE_iNS9_4plusIiEE19head_flag_predicateiEE10hipError_tPvRmT2_T3_T4_T5_mT6_T7_P12ihipStream_tbENKUlT_T0_E_clISt17integral_constantIbLb0EESX_IbLb1EEEEDaST_SU_EUlST_E_NS1_11comp_targetILNS1_3genE10ELNS1_11target_archE1200ELNS1_3gpuE4ELNS1_3repE0EEENS1_30default_config_static_selectorELNS0_4arch9wavefront6targetE0EEEvT1_,"axG",@progbits,_ZN7rocprim17ROCPRIM_400000_NS6detail17trampoline_kernelINS0_14default_configENS1_27scan_by_key_config_selectorIiiEEZZNS1_16scan_by_key_implILNS1_25lookback_scan_determinismE0ELb1ES3_N6thrust23THRUST_200600_302600_NS6detail15normal_iteratorINS9_10device_ptrIiEEEESE_SE_iNS9_4plusIiEE19head_flag_predicateiEE10hipError_tPvRmT2_T3_T4_T5_mT6_T7_P12ihipStream_tbENKUlT_T0_E_clISt17integral_constantIbLb0EESX_IbLb1EEEEDaST_SU_EUlST_E_NS1_11comp_targetILNS1_3genE10ELNS1_11target_archE1200ELNS1_3gpuE4ELNS1_3repE0EEENS1_30default_config_static_selectorELNS0_4arch9wavefront6targetE0EEEvT1_,comdat
.Lfunc_end818:
	.size	_ZN7rocprim17ROCPRIM_400000_NS6detail17trampoline_kernelINS0_14default_configENS1_27scan_by_key_config_selectorIiiEEZZNS1_16scan_by_key_implILNS1_25lookback_scan_determinismE0ELb1ES3_N6thrust23THRUST_200600_302600_NS6detail15normal_iteratorINS9_10device_ptrIiEEEESE_SE_iNS9_4plusIiEE19head_flag_predicateiEE10hipError_tPvRmT2_T3_T4_T5_mT6_T7_P12ihipStream_tbENKUlT_T0_E_clISt17integral_constantIbLb0EESX_IbLb1EEEEDaST_SU_EUlST_E_NS1_11comp_targetILNS1_3genE10ELNS1_11target_archE1200ELNS1_3gpuE4ELNS1_3repE0EEENS1_30default_config_static_selectorELNS0_4arch9wavefront6targetE0EEEvT1_, .Lfunc_end818-_ZN7rocprim17ROCPRIM_400000_NS6detail17trampoline_kernelINS0_14default_configENS1_27scan_by_key_config_selectorIiiEEZZNS1_16scan_by_key_implILNS1_25lookback_scan_determinismE0ELb1ES3_N6thrust23THRUST_200600_302600_NS6detail15normal_iteratorINS9_10device_ptrIiEEEESE_SE_iNS9_4plusIiEE19head_flag_predicateiEE10hipError_tPvRmT2_T3_T4_T5_mT6_T7_P12ihipStream_tbENKUlT_T0_E_clISt17integral_constantIbLb0EESX_IbLb1EEEEDaST_SU_EUlST_E_NS1_11comp_targetILNS1_3genE10ELNS1_11target_archE1200ELNS1_3gpuE4ELNS1_3repE0EEENS1_30default_config_static_selectorELNS0_4arch9wavefront6targetE0EEEvT1_
                                        ; -- End function
	.set _ZN7rocprim17ROCPRIM_400000_NS6detail17trampoline_kernelINS0_14default_configENS1_27scan_by_key_config_selectorIiiEEZZNS1_16scan_by_key_implILNS1_25lookback_scan_determinismE0ELb1ES3_N6thrust23THRUST_200600_302600_NS6detail15normal_iteratorINS9_10device_ptrIiEEEESE_SE_iNS9_4plusIiEE19head_flag_predicateiEE10hipError_tPvRmT2_T3_T4_T5_mT6_T7_P12ihipStream_tbENKUlT_T0_E_clISt17integral_constantIbLb0EESX_IbLb1EEEEDaST_SU_EUlST_E_NS1_11comp_targetILNS1_3genE10ELNS1_11target_archE1200ELNS1_3gpuE4ELNS1_3repE0EEENS1_30default_config_static_selectorELNS0_4arch9wavefront6targetE0EEEvT1_.num_vgpr, 0
	.set _ZN7rocprim17ROCPRIM_400000_NS6detail17trampoline_kernelINS0_14default_configENS1_27scan_by_key_config_selectorIiiEEZZNS1_16scan_by_key_implILNS1_25lookback_scan_determinismE0ELb1ES3_N6thrust23THRUST_200600_302600_NS6detail15normal_iteratorINS9_10device_ptrIiEEEESE_SE_iNS9_4plusIiEE19head_flag_predicateiEE10hipError_tPvRmT2_T3_T4_T5_mT6_T7_P12ihipStream_tbENKUlT_T0_E_clISt17integral_constantIbLb0EESX_IbLb1EEEEDaST_SU_EUlST_E_NS1_11comp_targetILNS1_3genE10ELNS1_11target_archE1200ELNS1_3gpuE4ELNS1_3repE0EEENS1_30default_config_static_selectorELNS0_4arch9wavefront6targetE0EEEvT1_.num_agpr, 0
	.set _ZN7rocprim17ROCPRIM_400000_NS6detail17trampoline_kernelINS0_14default_configENS1_27scan_by_key_config_selectorIiiEEZZNS1_16scan_by_key_implILNS1_25lookback_scan_determinismE0ELb1ES3_N6thrust23THRUST_200600_302600_NS6detail15normal_iteratorINS9_10device_ptrIiEEEESE_SE_iNS9_4plusIiEE19head_flag_predicateiEE10hipError_tPvRmT2_T3_T4_T5_mT6_T7_P12ihipStream_tbENKUlT_T0_E_clISt17integral_constantIbLb0EESX_IbLb1EEEEDaST_SU_EUlST_E_NS1_11comp_targetILNS1_3genE10ELNS1_11target_archE1200ELNS1_3gpuE4ELNS1_3repE0EEENS1_30default_config_static_selectorELNS0_4arch9wavefront6targetE0EEEvT1_.numbered_sgpr, 0
	.set _ZN7rocprim17ROCPRIM_400000_NS6detail17trampoline_kernelINS0_14default_configENS1_27scan_by_key_config_selectorIiiEEZZNS1_16scan_by_key_implILNS1_25lookback_scan_determinismE0ELb1ES3_N6thrust23THRUST_200600_302600_NS6detail15normal_iteratorINS9_10device_ptrIiEEEESE_SE_iNS9_4plusIiEE19head_flag_predicateiEE10hipError_tPvRmT2_T3_T4_T5_mT6_T7_P12ihipStream_tbENKUlT_T0_E_clISt17integral_constantIbLb0EESX_IbLb1EEEEDaST_SU_EUlST_E_NS1_11comp_targetILNS1_3genE10ELNS1_11target_archE1200ELNS1_3gpuE4ELNS1_3repE0EEENS1_30default_config_static_selectorELNS0_4arch9wavefront6targetE0EEEvT1_.num_named_barrier, 0
	.set _ZN7rocprim17ROCPRIM_400000_NS6detail17trampoline_kernelINS0_14default_configENS1_27scan_by_key_config_selectorIiiEEZZNS1_16scan_by_key_implILNS1_25lookback_scan_determinismE0ELb1ES3_N6thrust23THRUST_200600_302600_NS6detail15normal_iteratorINS9_10device_ptrIiEEEESE_SE_iNS9_4plusIiEE19head_flag_predicateiEE10hipError_tPvRmT2_T3_T4_T5_mT6_T7_P12ihipStream_tbENKUlT_T0_E_clISt17integral_constantIbLb0EESX_IbLb1EEEEDaST_SU_EUlST_E_NS1_11comp_targetILNS1_3genE10ELNS1_11target_archE1200ELNS1_3gpuE4ELNS1_3repE0EEENS1_30default_config_static_selectorELNS0_4arch9wavefront6targetE0EEEvT1_.private_seg_size, 0
	.set _ZN7rocprim17ROCPRIM_400000_NS6detail17trampoline_kernelINS0_14default_configENS1_27scan_by_key_config_selectorIiiEEZZNS1_16scan_by_key_implILNS1_25lookback_scan_determinismE0ELb1ES3_N6thrust23THRUST_200600_302600_NS6detail15normal_iteratorINS9_10device_ptrIiEEEESE_SE_iNS9_4plusIiEE19head_flag_predicateiEE10hipError_tPvRmT2_T3_T4_T5_mT6_T7_P12ihipStream_tbENKUlT_T0_E_clISt17integral_constantIbLb0EESX_IbLb1EEEEDaST_SU_EUlST_E_NS1_11comp_targetILNS1_3genE10ELNS1_11target_archE1200ELNS1_3gpuE4ELNS1_3repE0EEENS1_30default_config_static_selectorELNS0_4arch9wavefront6targetE0EEEvT1_.uses_vcc, 0
	.set _ZN7rocprim17ROCPRIM_400000_NS6detail17trampoline_kernelINS0_14default_configENS1_27scan_by_key_config_selectorIiiEEZZNS1_16scan_by_key_implILNS1_25lookback_scan_determinismE0ELb1ES3_N6thrust23THRUST_200600_302600_NS6detail15normal_iteratorINS9_10device_ptrIiEEEESE_SE_iNS9_4plusIiEE19head_flag_predicateiEE10hipError_tPvRmT2_T3_T4_T5_mT6_T7_P12ihipStream_tbENKUlT_T0_E_clISt17integral_constantIbLb0EESX_IbLb1EEEEDaST_SU_EUlST_E_NS1_11comp_targetILNS1_3genE10ELNS1_11target_archE1200ELNS1_3gpuE4ELNS1_3repE0EEENS1_30default_config_static_selectorELNS0_4arch9wavefront6targetE0EEEvT1_.uses_flat_scratch, 0
	.set _ZN7rocprim17ROCPRIM_400000_NS6detail17trampoline_kernelINS0_14default_configENS1_27scan_by_key_config_selectorIiiEEZZNS1_16scan_by_key_implILNS1_25lookback_scan_determinismE0ELb1ES3_N6thrust23THRUST_200600_302600_NS6detail15normal_iteratorINS9_10device_ptrIiEEEESE_SE_iNS9_4plusIiEE19head_flag_predicateiEE10hipError_tPvRmT2_T3_T4_T5_mT6_T7_P12ihipStream_tbENKUlT_T0_E_clISt17integral_constantIbLb0EESX_IbLb1EEEEDaST_SU_EUlST_E_NS1_11comp_targetILNS1_3genE10ELNS1_11target_archE1200ELNS1_3gpuE4ELNS1_3repE0EEENS1_30default_config_static_selectorELNS0_4arch9wavefront6targetE0EEEvT1_.has_dyn_sized_stack, 0
	.set _ZN7rocprim17ROCPRIM_400000_NS6detail17trampoline_kernelINS0_14default_configENS1_27scan_by_key_config_selectorIiiEEZZNS1_16scan_by_key_implILNS1_25lookback_scan_determinismE0ELb1ES3_N6thrust23THRUST_200600_302600_NS6detail15normal_iteratorINS9_10device_ptrIiEEEESE_SE_iNS9_4plusIiEE19head_flag_predicateiEE10hipError_tPvRmT2_T3_T4_T5_mT6_T7_P12ihipStream_tbENKUlT_T0_E_clISt17integral_constantIbLb0EESX_IbLb1EEEEDaST_SU_EUlST_E_NS1_11comp_targetILNS1_3genE10ELNS1_11target_archE1200ELNS1_3gpuE4ELNS1_3repE0EEENS1_30default_config_static_selectorELNS0_4arch9wavefront6targetE0EEEvT1_.has_recursion, 0
	.set _ZN7rocprim17ROCPRIM_400000_NS6detail17trampoline_kernelINS0_14default_configENS1_27scan_by_key_config_selectorIiiEEZZNS1_16scan_by_key_implILNS1_25lookback_scan_determinismE0ELb1ES3_N6thrust23THRUST_200600_302600_NS6detail15normal_iteratorINS9_10device_ptrIiEEEESE_SE_iNS9_4plusIiEE19head_flag_predicateiEE10hipError_tPvRmT2_T3_T4_T5_mT6_T7_P12ihipStream_tbENKUlT_T0_E_clISt17integral_constantIbLb0EESX_IbLb1EEEEDaST_SU_EUlST_E_NS1_11comp_targetILNS1_3genE10ELNS1_11target_archE1200ELNS1_3gpuE4ELNS1_3repE0EEENS1_30default_config_static_selectorELNS0_4arch9wavefront6targetE0EEEvT1_.has_indirect_call, 0
	.section	.AMDGPU.csdata,"",@progbits
; Kernel info:
; codeLenInByte = 0
; TotalNumSgprs: 0
; NumVgprs: 0
; ScratchSize: 0
; MemoryBound: 0
; FloatMode: 240
; IeeeMode: 1
; LDSByteSize: 0 bytes/workgroup (compile time only)
; SGPRBlocks: 0
; VGPRBlocks: 0
; NumSGPRsForWavesPerEU: 1
; NumVGPRsForWavesPerEU: 1
; NamedBarCnt: 0
; Occupancy: 16
; WaveLimiterHint : 0
; COMPUTE_PGM_RSRC2:SCRATCH_EN: 0
; COMPUTE_PGM_RSRC2:USER_SGPR: 2
; COMPUTE_PGM_RSRC2:TRAP_HANDLER: 0
; COMPUTE_PGM_RSRC2:TGID_X_EN: 1
; COMPUTE_PGM_RSRC2:TGID_Y_EN: 0
; COMPUTE_PGM_RSRC2:TGID_Z_EN: 0
; COMPUTE_PGM_RSRC2:TIDIG_COMP_CNT: 0
	.section	.text._ZN7rocprim17ROCPRIM_400000_NS6detail17trampoline_kernelINS0_14default_configENS1_27scan_by_key_config_selectorIiiEEZZNS1_16scan_by_key_implILNS1_25lookback_scan_determinismE0ELb1ES3_N6thrust23THRUST_200600_302600_NS6detail15normal_iteratorINS9_10device_ptrIiEEEESE_SE_iNS9_4plusIiEE19head_flag_predicateiEE10hipError_tPvRmT2_T3_T4_T5_mT6_T7_P12ihipStream_tbENKUlT_T0_E_clISt17integral_constantIbLb0EESX_IbLb1EEEEDaST_SU_EUlST_E_NS1_11comp_targetILNS1_3genE9ELNS1_11target_archE1100ELNS1_3gpuE3ELNS1_3repE0EEENS1_30default_config_static_selectorELNS0_4arch9wavefront6targetE0EEEvT1_,"axG",@progbits,_ZN7rocprim17ROCPRIM_400000_NS6detail17trampoline_kernelINS0_14default_configENS1_27scan_by_key_config_selectorIiiEEZZNS1_16scan_by_key_implILNS1_25lookback_scan_determinismE0ELb1ES3_N6thrust23THRUST_200600_302600_NS6detail15normal_iteratorINS9_10device_ptrIiEEEESE_SE_iNS9_4plusIiEE19head_flag_predicateiEE10hipError_tPvRmT2_T3_T4_T5_mT6_T7_P12ihipStream_tbENKUlT_T0_E_clISt17integral_constantIbLb0EESX_IbLb1EEEEDaST_SU_EUlST_E_NS1_11comp_targetILNS1_3genE9ELNS1_11target_archE1100ELNS1_3gpuE3ELNS1_3repE0EEENS1_30default_config_static_selectorELNS0_4arch9wavefront6targetE0EEEvT1_,comdat
	.protected	_ZN7rocprim17ROCPRIM_400000_NS6detail17trampoline_kernelINS0_14default_configENS1_27scan_by_key_config_selectorIiiEEZZNS1_16scan_by_key_implILNS1_25lookback_scan_determinismE0ELb1ES3_N6thrust23THRUST_200600_302600_NS6detail15normal_iteratorINS9_10device_ptrIiEEEESE_SE_iNS9_4plusIiEE19head_flag_predicateiEE10hipError_tPvRmT2_T3_T4_T5_mT6_T7_P12ihipStream_tbENKUlT_T0_E_clISt17integral_constantIbLb0EESX_IbLb1EEEEDaST_SU_EUlST_E_NS1_11comp_targetILNS1_3genE9ELNS1_11target_archE1100ELNS1_3gpuE3ELNS1_3repE0EEENS1_30default_config_static_selectorELNS0_4arch9wavefront6targetE0EEEvT1_ ; -- Begin function _ZN7rocprim17ROCPRIM_400000_NS6detail17trampoline_kernelINS0_14default_configENS1_27scan_by_key_config_selectorIiiEEZZNS1_16scan_by_key_implILNS1_25lookback_scan_determinismE0ELb1ES3_N6thrust23THRUST_200600_302600_NS6detail15normal_iteratorINS9_10device_ptrIiEEEESE_SE_iNS9_4plusIiEE19head_flag_predicateiEE10hipError_tPvRmT2_T3_T4_T5_mT6_T7_P12ihipStream_tbENKUlT_T0_E_clISt17integral_constantIbLb0EESX_IbLb1EEEEDaST_SU_EUlST_E_NS1_11comp_targetILNS1_3genE9ELNS1_11target_archE1100ELNS1_3gpuE3ELNS1_3repE0EEENS1_30default_config_static_selectorELNS0_4arch9wavefront6targetE0EEEvT1_
	.globl	_ZN7rocprim17ROCPRIM_400000_NS6detail17trampoline_kernelINS0_14default_configENS1_27scan_by_key_config_selectorIiiEEZZNS1_16scan_by_key_implILNS1_25lookback_scan_determinismE0ELb1ES3_N6thrust23THRUST_200600_302600_NS6detail15normal_iteratorINS9_10device_ptrIiEEEESE_SE_iNS9_4plusIiEE19head_flag_predicateiEE10hipError_tPvRmT2_T3_T4_T5_mT6_T7_P12ihipStream_tbENKUlT_T0_E_clISt17integral_constantIbLb0EESX_IbLb1EEEEDaST_SU_EUlST_E_NS1_11comp_targetILNS1_3genE9ELNS1_11target_archE1100ELNS1_3gpuE3ELNS1_3repE0EEENS1_30default_config_static_selectorELNS0_4arch9wavefront6targetE0EEEvT1_
	.p2align	8
	.type	_ZN7rocprim17ROCPRIM_400000_NS6detail17trampoline_kernelINS0_14default_configENS1_27scan_by_key_config_selectorIiiEEZZNS1_16scan_by_key_implILNS1_25lookback_scan_determinismE0ELb1ES3_N6thrust23THRUST_200600_302600_NS6detail15normal_iteratorINS9_10device_ptrIiEEEESE_SE_iNS9_4plusIiEE19head_flag_predicateiEE10hipError_tPvRmT2_T3_T4_T5_mT6_T7_P12ihipStream_tbENKUlT_T0_E_clISt17integral_constantIbLb0EESX_IbLb1EEEEDaST_SU_EUlST_E_NS1_11comp_targetILNS1_3genE9ELNS1_11target_archE1100ELNS1_3gpuE3ELNS1_3repE0EEENS1_30default_config_static_selectorELNS0_4arch9wavefront6targetE0EEEvT1_,@function
_ZN7rocprim17ROCPRIM_400000_NS6detail17trampoline_kernelINS0_14default_configENS1_27scan_by_key_config_selectorIiiEEZZNS1_16scan_by_key_implILNS1_25lookback_scan_determinismE0ELb1ES3_N6thrust23THRUST_200600_302600_NS6detail15normal_iteratorINS9_10device_ptrIiEEEESE_SE_iNS9_4plusIiEE19head_flag_predicateiEE10hipError_tPvRmT2_T3_T4_T5_mT6_T7_P12ihipStream_tbENKUlT_T0_E_clISt17integral_constantIbLb0EESX_IbLb1EEEEDaST_SU_EUlST_E_NS1_11comp_targetILNS1_3genE9ELNS1_11target_archE1100ELNS1_3gpuE3ELNS1_3repE0EEENS1_30default_config_static_selectorELNS0_4arch9wavefront6targetE0EEEvT1_: ; @_ZN7rocprim17ROCPRIM_400000_NS6detail17trampoline_kernelINS0_14default_configENS1_27scan_by_key_config_selectorIiiEEZZNS1_16scan_by_key_implILNS1_25lookback_scan_determinismE0ELb1ES3_N6thrust23THRUST_200600_302600_NS6detail15normal_iteratorINS9_10device_ptrIiEEEESE_SE_iNS9_4plusIiEE19head_flag_predicateiEE10hipError_tPvRmT2_T3_T4_T5_mT6_T7_P12ihipStream_tbENKUlT_T0_E_clISt17integral_constantIbLb0EESX_IbLb1EEEEDaST_SU_EUlST_E_NS1_11comp_targetILNS1_3genE9ELNS1_11target_archE1100ELNS1_3gpuE3ELNS1_3repE0EEENS1_30default_config_static_selectorELNS0_4arch9wavefront6targetE0EEEvT1_
; %bb.0:
	.section	.rodata,"a",@progbits
	.p2align	6, 0x0
	.amdhsa_kernel _ZN7rocprim17ROCPRIM_400000_NS6detail17trampoline_kernelINS0_14default_configENS1_27scan_by_key_config_selectorIiiEEZZNS1_16scan_by_key_implILNS1_25lookback_scan_determinismE0ELb1ES3_N6thrust23THRUST_200600_302600_NS6detail15normal_iteratorINS9_10device_ptrIiEEEESE_SE_iNS9_4plusIiEE19head_flag_predicateiEE10hipError_tPvRmT2_T3_T4_T5_mT6_T7_P12ihipStream_tbENKUlT_T0_E_clISt17integral_constantIbLb0EESX_IbLb1EEEEDaST_SU_EUlST_E_NS1_11comp_targetILNS1_3genE9ELNS1_11target_archE1100ELNS1_3gpuE3ELNS1_3repE0EEENS1_30default_config_static_selectorELNS0_4arch9wavefront6targetE0EEEvT1_
		.amdhsa_group_segment_fixed_size 0
		.amdhsa_private_segment_fixed_size 0
		.amdhsa_kernarg_size 112
		.amdhsa_user_sgpr_count 2
		.amdhsa_user_sgpr_dispatch_ptr 0
		.amdhsa_user_sgpr_queue_ptr 0
		.amdhsa_user_sgpr_kernarg_segment_ptr 1
		.amdhsa_user_sgpr_dispatch_id 0
		.amdhsa_user_sgpr_kernarg_preload_length 0
		.amdhsa_user_sgpr_kernarg_preload_offset 0
		.amdhsa_user_sgpr_private_segment_size 0
		.amdhsa_wavefront_size32 1
		.amdhsa_uses_dynamic_stack 0
		.amdhsa_enable_private_segment 0
		.amdhsa_system_sgpr_workgroup_id_x 1
		.amdhsa_system_sgpr_workgroup_id_y 0
		.amdhsa_system_sgpr_workgroup_id_z 0
		.amdhsa_system_sgpr_workgroup_info 0
		.amdhsa_system_vgpr_workitem_id 0
		.amdhsa_next_free_vgpr 1
		.amdhsa_next_free_sgpr 1
		.amdhsa_named_barrier_count 0
		.amdhsa_reserve_vcc 0
		.amdhsa_float_round_mode_32 0
		.amdhsa_float_round_mode_16_64 0
		.amdhsa_float_denorm_mode_32 3
		.amdhsa_float_denorm_mode_16_64 3
		.amdhsa_fp16_overflow 0
		.amdhsa_memory_ordered 1
		.amdhsa_forward_progress 1
		.amdhsa_inst_pref_size 0
		.amdhsa_round_robin_scheduling 0
		.amdhsa_exception_fp_ieee_invalid_op 0
		.amdhsa_exception_fp_denorm_src 0
		.amdhsa_exception_fp_ieee_div_zero 0
		.amdhsa_exception_fp_ieee_overflow 0
		.amdhsa_exception_fp_ieee_underflow 0
		.amdhsa_exception_fp_ieee_inexact 0
		.amdhsa_exception_int_div_zero 0
	.end_amdhsa_kernel
	.section	.text._ZN7rocprim17ROCPRIM_400000_NS6detail17trampoline_kernelINS0_14default_configENS1_27scan_by_key_config_selectorIiiEEZZNS1_16scan_by_key_implILNS1_25lookback_scan_determinismE0ELb1ES3_N6thrust23THRUST_200600_302600_NS6detail15normal_iteratorINS9_10device_ptrIiEEEESE_SE_iNS9_4plusIiEE19head_flag_predicateiEE10hipError_tPvRmT2_T3_T4_T5_mT6_T7_P12ihipStream_tbENKUlT_T0_E_clISt17integral_constantIbLb0EESX_IbLb1EEEEDaST_SU_EUlST_E_NS1_11comp_targetILNS1_3genE9ELNS1_11target_archE1100ELNS1_3gpuE3ELNS1_3repE0EEENS1_30default_config_static_selectorELNS0_4arch9wavefront6targetE0EEEvT1_,"axG",@progbits,_ZN7rocprim17ROCPRIM_400000_NS6detail17trampoline_kernelINS0_14default_configENS1_27scan_by_key_config_selectorIiiEEZZNS1_16scan_by_key_implILNS1_25lookback_scan_determinismE0ELb1ES3_N6thrust23THRUST_200600_302600_NS6detail15normal_iteratorINS9_10device_ptrIiEEEESE_SE_iNS9_4plusIiEE19head_flag_predicateiEE10hipError_tPvRmT2_T3_T4_T5_mT6_T7_P12ihipStream_tbENKUlT_T0_E_clISt17integral_constantIbLb0EESX_IbLb1EEEEDaST_SU_EUlST_E_NS1_11comp_targetILNS1_3genE9ELNS1_11target_archE1100ELNS1_3gpuE3ELNS1_3repE0EEENS1_30default_config_static_selectorELNS0_4arch9wavefront6targetE0EEEvT1_,comdat
.Lfunc_end819:
	.size	_ZN7rocprim17ROCPRIM_400000_NS6detail17trampoline_kernelINS0_14default_configENS1_27scan_by_key_config_selectorIiiEEZZNS1_16scan_by_key_implILNS1_25lookback_scan_determinismE0ELb1ES3_N6thrust23THRUST_200600_302600_NS6detail15normal_iteratorINS9_10device_ptrIiEEEESE_SE_iNS9_4plusIiEE19head_flag_predicateiEE10hipError_tPvRmT2_T3_T4_T5_mT6_T7_P12ihipStream_tbENKUlT_T0_E_clISt17integral_constantIbLb0EESX_IbLb1EEEEDaST_SU_EUlST_E_NS1_11comp_targetILNS1_3genE9ELNS1_11target_archE1100ELNS1_3gpuE3ELNS1_3repE0EEENS1_30default_config_static_selectorELNS0_4arch9wavefront6targetE0EEEvT1_, .Lfunc_end819-_ZN7rocprim17ROCPRIM_400000_NS6detail17trampoline_kernelINS0_14default_configENS1_27scan_by_key_config_selectorIiiEEZZNS1_16scan_by_key_implILNS1_25lookback_scan_determinismE0ELb1ES3_N6thrust23THRUST_200600_302600_NS6detail15normal_iteratorINS9_10device_ptrIiEEEESE_SE_iNS9_4plusIiEE19head_flag_predicateiEE10hipError_tPvRmT2_T3_T4_T5_mT6_T7_P12ihipStream_tbENKUlT_T0_E_clISt17integral_constantIbLb0EESX_IbLb1EEEEDaST_SU_EUlST_E_NS1_11comp_targetILNS1_3genE9ELNS1_11target_archE1100ELNS1_3gpuE3ELNS1_3repE0EEENS1_30default_config_static_selectorELNS0_4arch9wavefront6targetE0EEEvT1_
                                        ; -- End function
	.set _ZN7rocprim17ROCPRIM_400000_NS6detail17trampoline_kernelINS0_14default_configENS1_27scan_by_key_config_selectorIiiEEZZNS1_16scan_by_key_implILNS1_25lookback_scan_determinismE0ELb1ES3_N6thrust23THRUST_200600_302600_NS6detail15normal_iteratorINS9_10device_ptrIiEEEESE_SE_iNS9_4plusIiEE19head_flag_predicateiEE10hipError_tPvRmT2_T3_T4_T5_mT6_T7_P12ihipStream_tbENKUlT_T0_E_clISt17integral_constantIbLb0EESX_IbLb1EEEEDaST_SU_EUlST_E_NS1_11comp_targetILNS1_3genE9ELNS1_11target_archE1100ELNS1_3gpuE3ELNS1_3repE0EEENS1_30default_config_static_selectorELNS0_4arch9wavefront6targetE0EEEvT1_.num_vgpr, 0
	.set _ZN7rocprim17ROCPRIM_400000_NS6detail17trampoline_kernelINS0_14default_configENS1_27scan_by_key_config_selectorIiiEEZZNS1_16scan_by_key_implILNS1_25lookback_scan_determinismE0ELb1ES3_N6thrust23THRUST_200600_302600_NS6detail15normal_iteratorINS9_10device_ptrIiEEEESE_SE_iNS9_4plusIiEE19head_flag_predicateiEE10hipError_tPvRmT2_T3_T4_T5_mT6_T7_P12ihipStream_tbENKUlT_T0_E_clISt17integral_constantIbLb0EESX_IbLb1EEEEDaST_SU_EUlST_E_NS1_11comp_targetILNS1_3genE9ELNS1_11target_archE1100ELNS1_3gpuE3ELNS1_3repE0EEENS1_30default_config_static_selectorELNS0_4arch9wavefront6targetE0EEEvT1_.num_agpr, 0
	.set _ZN7rocprim17ROCPRIM_400000_NS6detail17trampoline_kernelINS0_14default_configENS1_27scan_by_key_config_selectorIiiEEZZNS1_16scan_by_key_implILNS1_25lookback_scan_determinismE0ELb1ES3_N6thrust23THRUST_200600_302600_NS6detail15normal_iteratorINS9_10device_ptrIiEEEESE_SE_iNS9_4plusIiEE19head_flag_predicateiEE10hipError_tPvRmT2_T3_T4_T5_mT6_T7_P12ihipStream_tbENKUlT_T0_E_clISt17integral_constantIbLb0EESX_IbLb1EEEEDaST_SU_EUlST_E_NS1_11comp_targetILNS1_3genE9ELNS1_11target_archE1100ELNS1_3gpuE3ELNS1_3repE0EEENS1_30default_config_static_selectorELNS0_4arch9wavefront6targetE0EEEvT1_.numbered_sgpr, 0
	.set _ZN7rocprim17ROCPRIM_400000_NS6detail17trampoline_kernelINS0_14default_configENS1_27scan_by_key_config_selectorIiiEEZZNS1_16scan_by_key_implILNS1_25lookback_scan_determinismE0ELb1ES3_N6thrust23THRUST_200600_302600_NS6detail15normal_iteratorINS9_10device_ptrIiEEEESE_SE_iNS9_4plusIiEE19head_flag_predicateiEE10hipError_tPvRmT2_T3_T4_T5_mT6_T7_P12ihipStream_tbENKUlT_T0_E_clISt17integral_constantIbLb0EESX_IbLb1EEEEDaST_SU_EUlST_E_NS1_11comp_targetILNS1_3genE9ELNS1_11target_archE1100ELNS1_3gpuE3ELNS1_3repE0EEENS1_30default_config_static_selectorELNS0_4arch9wavefront6targetE0EEEvT1_.num_named_barrier, 0
	.set _ZN7rocprim17ROCPRIM_400000_NS6detail17trampoline_kernelINS0_14default_configENS1_27scan_by_key_config_selectorIiiEEZZNS1_16scan_by_key_implILNS1_25lookback_scan_determinismE0ELb1ES3_N6thrust23THRUST_200600_302600_NS6detail15normal_iteratorINS9_10device_ptrIiEEEESE_SE_iNS9_4plusIiEE19head_flag_predicateiEE10hipError_tPvRmT2_T3_T4_T5_mT6_T7_P12ihipStream_tbENKUlT_T0_E_clISt17integral_constantIbLb0EESX_IbLb1EEEEDaST_SU_EUlST_E_NS1_11comp_targetILNS1_3genE9ELNS1_11target_archE1100ELNS1_3gpuE3ELNS1_3repE0EEENS1_30default_config_static_selectorELNS0_4arch9wavefront6targetE0EEEvT1_.private_seg_size, 0
	.set _ZN7rocprim17ROCPRIM_400000_NS6detail17trampoline_kernelINS0_14default_configENS1_27scan_by_key_config_selectorIiiEEZZNS1_16scan_by_key_implILNS1_25lookback_scan_determinismE0ELb1ES3_N6thrust23THRUST_200600_302600_NS6detail15normal_iteratorINS9_10device_ptrIiEEEESE_SE_iNS9_4plusIiEE19head_flag_predicateiEE10hipError_tPvRmT2_T3_T4_T5_mT6_T7_P12ihipStream_tbENKUlT_T0_E_clISt17integral_constantIbLb0EESX_IbLb1EEEEDaST_SU_EUlST_E_NS1_11comp_targetILNS1_3genE9ELNS1_11target_archE1100ELNS1_3gpuE3ELNS1_3repE0EEENS1_30default_config_static_selectorELNS0_4arch9wavefront6targetE0EEEvT1_.uses_vcc, 0
	.set _ZN7rocprim17ROCPRIM_400000_NS6detail17trampoline_kernelINS0_14default_configENS1_27scan_by_key_config_selectorIiiEEZZNS1_16scan_by_key_implILNS1_25lookback_scan_determinismE0ELb1ES3_N6thrust23THRUST_200600_302600_NS6detail15normal_iteratorINS9_10device_ptrIiEEEESE_SE_iNS9_4plusIiEE19head_flag_predicateiEE10hipError_tPvRmT2_T3_T4_T5_mT6_T7_P12ihipStream_tbENKUlT_T0_E_clISt17integral_constantIbLb0EESX_IbLb1EEEEDaST_SU_EUlST_E_NS1_11comp_targetILNS1_3genE9ELNS1_11target_archE1100ELNS1_3gpuE3ELNS1_3repE0EEENS1_30default_config_static_selectorELNS0_4arch9wavefront6targetE0EEEvT1_.uses_flat_scratch, 0
	.set _ZN7rocprim17ROCPRIM_400000_NS6detail17trampoline_kernelINS0_14default_configENS1_27scan_by_key_config_selectorIiiEEZZNS1_16scan_by_key_implILNS1_25lookback_scan_determinismE0ELb1ES3_N6thrust23THRUST_200600_302600_NS6detail15normal_iteratorINS9_10device_ptrIiEEEESE_SE_iNS9_4plusIiEE19head_flag_predicateiEE10hipError_tPvRmT2_T3_T4_T5_mT6_T7_P12ihipStream_tbENKUlT_T0_E_clISt17integral_constantIbLb0EESX_IbLb1EEEEDaST_SU_EUlST_E_NS1_11comp_targetILNS1_3genE9ELNS1_11target_archE1100ELNS1_3gpuE3ELNS1_3repE0EEENS1_30default_config_static_selectorELNS0_4arch9wavefront6targetE0EEEvT1_.has_dyn_sized_stack, 0
	.set _ZN7rocprim17ROCPRIM_400000_NS6detail17trampoline_kernelINS0_14default_configENS1_27scan_by_key_config_selectorIiiEEZZNS1_16scan_by_key_implILNS1_25lookback_scan_determinismE0ELb1ES3_N6thrust23THRUST_200600_302600_NS6detail15normal_iteratorINS9_10device_ptrIiEEEESE_SE_iNS9_4plusIiEE19head_flag_predicateiEE10hipError_tPvRmT2_T3_T4_T5_mT6_T7_P12ihipStream_tbENKUlT_T0_E_clISt17integral_constantIbLb0EESX_IbLb1EEEEDaST_SU_EUlST_E_NS1_11comp_targetILNS1_3genE9ELNS1_11target_archE1100ELNS1_3gpuE3ELNS1_3repE0EEENS1_30default_config_static_selectorELNS0_4arch9wavefront6targetE0EEEvT1_.has_recursion, 0
	.set _ZN7rocprim17ROCPRIM_400000_NS6detail17trampoline_kernelINS0_14default_configENS1_27scan_by_key_config_selectorIiiEEZZNS1_16scan_by_key_implILNS1_25lookback_scan_determinismE0ELb1ES3_N6thrust23THRUST_200600_302600_NS6detail15normal_iteratorINS9_10device_ptrIiEEEESE_SE_iNS9_4plusIiEE19head_flag_predicateiEE10hipError_tPvRmT2_T3_T4_T5_mT6_T7_P12ihipStream_tbENKUlT_T0_E_clISt17integral_constantIbLb0EESX_IbLb1EEEEDaST_SU_EUlST_E_NS1_11comp_targetILNS1_3genE9ELNS1_11target_archE1100ELNS1_3gpuE3ELNS1_3repE0EEENS1_30default_config_static_selectorELNS0_4arch9wavefront6targetE0EEEvT1_.has_indirect_call, 0
	.section	.AMDGPU.csdata,"",@progbits
; Kernel info:
; codeLenInByte = 0
; TotalNumSgprs: 0
; NumVgprs: 0
; ScratchSize: 0
; MemoryBound: 0
; FloatMode: 240
; IeeeMode: 1
; LDSByteSize: 0 bytes/workgroup (compile time only)
; SGPRBlocks: 0
; VGPRBlocks: 0
; NumSGPRsForWavesPerEU: 1
; NumVGPRsForWavesPerEU: 1
; NamedBarCnt: 0
; Occupancy: 16
; WaveLimiterHint : 0
; COMPUTE_PGM_RSRC2:SCRATCH_EN: 0
; COMPUTE_PGM_RSRC2:USER_SGPR: 2
; COMPUTE_PGM_RSRC2:TRAP_HANDLER: 0
; COMPUTE_PGM_RSRC2:TGID_X_EN: 1
; COMPUTE_PGM_RSRC2:TGID_Y_EN: 0
; COMPUTE_PGM_RSRC2:TGID_Z_EN: 0
; COMPUTE_PGM_RSRC2:TIDIG_COMP_CNT: 0
	.section	.text._ZN7rocprim17ROCPRIM_400000_NS6detail17trampoline_kernelINS0_14default_configENS1_27scan_by_key_config_selectorIiiEEZZNS1_16scan_by_key_implILNS1_25lookback_scan_determinismE0ELb1ES3_N6thrust23THRUST_200600_302600_NS6detail15normal_iteratorINS9_10device_ptrIiEEEESE_SE_iNS9_4plusIiEE19head_flag_predicateiEE10hipError_tPvRmT2_T3_T4_T5_mT6_T7_P12ihipStream_tbENKUlT_T0_E_clISt17integral_constantIbLb0EESX_IbLb1EEEEDaST_SU_EUlST_E_NS1_11comp_targetILNS1_3genE8ELNS1_11target_archE1030ELNS1_3gpuE2ELNS1_3repE0EEENS1_30default_config_static_selectorELNS0_4arch9wavefront6targetE0EEEvT1_,"axG",@progbits,_ZN7rocprim17ROCPRIM_400000_NS6detail17trampoline_kernelINS0_14default_configENS1_27scan_by_key_config_selectorIiiEEZZNS1_16scan_by_key_implILNS1_25lookback_scan_determinismE0ELb1ES3_N6thrust23THRUST_200600_302600_NS6detail15normal_iteratorINS9_10device_ptrIiEEEESE_SE_iNS9_4plusIiEE19head_flag_predicateiEE10hipError_tPvRmT2_T3_T4_T5_mT6_T7_P12ihipStream_tbENKUlT_T0_E_clISt17integral_constantIbLb0EESX_IbLb1EEEEDaST_SU_EUlST_E_NS1_11comp_targetILNS1_3genE8ELNS1_11target_archE1030ELNS1_3gpuE2ELNS1_3repE0EEENS1_30default_config_static_selectorELNS0_4arch9wavefront6targetE0EEEvT1_,comdat
	.protected	_ZN7rocprim17ROCPRIM_400000_NS6detail17trampoline_kernelINS0_14default_configENS1_27scan_by_key_config_selectorIiiEEZZNS1_16scan_by_key_implILNS1_25lookback_scan_determinismE0ELb1ES3_N6thrust23THRUST_200600_302600_NS6detail15normal_iteratorINS9_10device_ptrIiEEEESE_SE_iNS9_4plusIiEE19head_flag_predicateiEE10hipError_tPvRmT2_T3_T4_T5_mT6_T7_P12ihipStream_tbENKUlT_T0_E_clISt17integral_constantIbLb0EESX_IbLb1EEEEDaST_SU_EUlST_E_NS1_11comp_targetILNS1_3genE8ELNS1_11target_archE1030ELNS1_3gpuE2ELNS1_3repE0EEENS1_30default_config_static_selectorELNS0_4arch9wavefront6targetE0EEEvT1_ ; -- Begin function _ZN7rocprim17ROCPRIM_400000_NS6detail17trampoline_kernelINS0_14default_configENS1_27scan_by_key_config_selectorIiiEEZZNS1_16scan_by_key_implILNS1_25lookback_scan_determinismE0ELb1ES3_N6thrust23THRUST_200600_302600_NS6detail15normal_iteratorINS9_10device_ptrIiEEEESE_SE_iNS9_4plusIiEE19head_flag_predicateiEE10hipError_tPvRmT2_T3_T4_T5_mT6_T7_P12ihipStream_tbENKUlT_T0_E_clISt17integral_constantIbLb0EESX_IbLb1EEEEDaST_SU_EUlST_E_NS1_11comp_targetILNS1_3genE8ELNS1_11target_archE1030ELNS1_3gpuE2ELNS1_3repE0EEENS1_30default_config_static_selectorELNS0_4arch9wavefront6targetE0EEEvT1_
	.globl	_ZN7rocprim17ROCPRIM_400000_NS6detail17trampoline_kernelINS0_14default_configENS1_27scan_by_key_config_selectorIiiEEZZNS1_16scan_by_key_implILNS1_25lookback_scan_determinismE0ELb1ES3_N6thrust23THRUST_200600_302600_NS6detail15normal_iteratorINS9_10device_ptrIiEEEESE_SE_iNS9_4plusIiEE19head_flag_predicateiEE10hipError_tPvRmT2_T3_T4_T5_mT6_T7_P12ihipStream_tbENKUlT_T0_E_clISt17integral_constantIbLb0EESX_IbLb1EEEEDaST_SU_EUlST_E_NS1_11comp_targetILNS1_3genE8ELNS1_11target_archE1030ELNS1_3gpuE2ELNS1_3repE0EEENS1_30default_config_static_selectorELNS0_4arch9wavefront6targetE0EEEvT1_
	.p2align	8
	.type	_ZN7rocprim17ROCPRIM_400000_NS6detail17trampoline_kernelINS0_14default_configENS1_27scan_by_key_config_selectorIiiEEZZNS1_16scan_by_key_implILNS1_25lookback_scan_determinismE0ELb1ES3_N6thrust23THRUST_200600_302600_NS6detail15normal_iteratorINS9_10device_ptrIiEEEESE_SE_iNS9_4plusIiEE19head_flag_predicateiEE10hipError_tPvRmT2_T3_T4_T5_mT6_T7_P12ihipStream_tbENKUlT_T0_E_clISt17integral_constantIbLb0EESX_IbLb1EEEEDaST_SU_EUlST_E_NS1_11comp_targetILNS1_3genE8ELNS1_11target_archE1030ELNS1_3gpuE2ELNS1_3repE0EEENS1_30default_config_static_selectorELNS0_4arch9wavefront6targetE0EEEvT1_,@function
_ZN7rocprim17ROCPRIM_400000_NS6detail17trampoline_kernelINS0_14default_configENS1_27scan_by_key_config_selectorIiiEEZZNS1_16scan_by_key_implILNS1_25lookback_scan_determinismE0ELb1ES3_N6thrust23THRUST_200600_302600_NS6detail15normal_iteratorINS9_10device_ptrIiEEEESE_SE_iNS9_4plusIiEE19head_flag_predicateiEE10hipError_tPvRmT2_T3_T4_T5_mT6_T7_P12ihipStream_tbENKUlT_T0_E_clISt17integral_constantIbLb0EESX_IbLb1EEEEDaST_SU_EUlST_E_NS1_11comp_targetILNS1_3genE8ELNS1_11target_archE1030ELNS1_3gpuE2ELNS1_3repE0EEENS1_30default_config_static_selectorELNS0_4arch9wavefront6targetE0EEEvT1_: ; @_ZN7rocprim17ROCPRIM_400000_NS6detail17trampoline_kernelINS0_14default_configENS1_27scan_by_key_config_selectorIiiEEZZNS1_16scan_by_key_implILNS1_25lookback_scan_determinismE0ELb1ES3_N6thrust23THRUST_200600_302600_NS6detail15normal_iteratorINS9_10device_ptrIiEEEESE_SE_iNS9_4plusIiEE19head_flag_predicateiEE10hipError_tPvRmT2_T3_T4_T5_mT6_T7_P12ihipStream_tbENKUlT_T0_E_clISt17integral_constantIbLb0EESX_IbLb1EEEEDaST_SU_EUlST_E_NS1_11comp_targetILNS1_3genE8ELNS1_11target_archE1030ELNS1_3gpuE2ELNS1_3repE0EEENS1_30default_config_static_selectorELNS0_4arch9wavefront6targetE0EEEvT1_
; %bb.0:
	.section	.rodata,"a",@progbits
	.p2align	6, 0x0
	.amdhsa_kernel _ZN7rocprim17ROCPRIM_400000_NS6detail17trampoline_kernelINS0_14default_configENS1_27scan_by_key_config_selectorIiiEEZZNS1_16scan_by_key_implILNS1_25lookback_scan_determinismE0ELb1ES3_N6thrust23THRUST_200600_302600_NS6detail15normal_iteratorINS9_10device_ptrIiEEEESE_SE_iNS9_4plusIiEE19head_flag_predicateiEE10hipError_tPvRmT2_T3_T4_T5_mT6_T7_P12ihipStream_tbENKUlT_T0_E_clISt17integral_constantIbLb0EESX_IbLb1EEEEDaST_SU_EUlST_E_NS1_11comp_targetILNS1_3genE8ELNS1_11target_archE1030ELNS1_3gpuE2ELNS1_3repE0EEENS1_30default_config_static_selectorELNS0_4arch9wavefront6targetE0EEEvT1_
		.amdhsa_group_segment_fixed_size 0
		.amdhsa_private_segment_fixed_size 0
		.amdhsa_kernarg_size 112
		.amdhsa_user_sgpr_count 2
		.amdhsa_user_sgpr_dispatch_ptr 0
		.amdhsa_user_sgpr_queue_ptr 0
		.amdhsa_user_sgpr_kernarg_segment_ptr 1
		.amdhsa_user_sgpr_dispatch_id 0
		.amdhsa_user_sgpr_kernarg_preload_length 0
		.amdhsa_user_sgpr_kernarg_preload_offset 0
		.amdhsa_user_sgpr_private_segment_size 0
		.amdhsa_wavefront_size32 1
		.amdhsa_uses_dynamic_stack 0
		.amdhsa_enable_private_segment 0
		.amdhsa_system_sgpr_workgroup_id_x 1
		.amdhsa_system_sgpr_workgroup_id_y 0
		.amdhsa_system_sgpr_workgroup_id_z 0
		.amdhsa_system_sgpr_workgroup_info 0
		.amdhsa_system_vgpr_workitem_id 0
		.amdhsa_next_free_vgpr 1
		.amdhsa_next_free_sgpr 1
		.amdhsa_named_barrier_count 0
		.amdhsa_reserve_vcc 0
		.amdhsa_float_round_mode_32 0
		.amdhsa_float_round_mode_16_64 0
		.amdhsa_float_denorm_mode_32 3
		.amdhsa_float_denorm_mode_16_64 3
		.amdhsa_fp16_overflow 0
		.amdhsa_memory_ordered 1
		.amdhsa_forward_progress 1
		.amdhsa_inst_pref_size 0
		.amdhsa_round_robin_scheduling 0
		.amdhsa_exception_fp_ieee_invalid_op 0
		.amdhsa_exception_fp_denorm_src 0
		.amdhsa_exception_fp_ieee_div_zero 0
		.amdhsa_exception_fp_ieee_overflow 0
		.amdhsa_exception_fp_ieee_underflow 0
		.amdhsa_exception_fp_ieee_inexact 0
		.amdhsa_exception_int_div_zero 0
	.end_amdhsa_kernel
	.section	.text._ZN7rocprim17ROCPRIM_400000_NS6detail17trampoline_kernelINS0_14default_configENS1_27scan_by_key_config_selectorIiiEEZZNS1_16scan_by_key_implILNS1_25lookback_scan_determinismE0ELb1ES3_N6thrust23THRUST_200600_302600_NS6detail15normal_iteratorINS9_10device_ptrIiEEEESE_SE_iNS9_4plusIiEE19head_flag_predicateiEE10hipError_tPvRmT2_T3_T4_T5_mT6_T7_P12ihipStream_tbENKUlT_T0_E_clISt17integral_constantIbLb0EESX_IbLb1EEEEDaST_SU_EUlST_E_NS1_11comp_targetILNS1_3genE8ELNS1_11target_archE1030ELNS1_3gpuE2ELNS1_3repE0EEENS1_30default_config_static_selectorELNS0_4arch9wavefront6targetE0EEEvT1_,"axG",@progbits,_ZN7rocprim17ROCPRIM_400000_NS6detail17trampoline_kernelINS0_14default_configENS1_27scan_by_key_config_selectorIiiEEZZNS1_16scan_by_key_implILNS1_25lookback_scan_determinismE0ELb1ES3_N6thrust23THRUST_200600_302600_NS6detail15normal_iteratorINS9_10device_ptrIiEEEESE_SE_iNS9_4plusIiEE19head_flag_predicateiEE10hipError_tPvRmT2_T3_T4_T5_mT6_T7_P12ihipStream_tbENKUlT_T0_E_clISt17integral_constantIbLb0EESX_IbLb1EEEEDaST_SU_EUlST_E_NS1_11comp_targetILNS1_3genE8ELNS1_11target_archE1030ELNS1_3gpuE2ELNS1_3repE0EEENS1_30default_config_static_selectorELNS0_4arch9wavefront6targetE0EEEvT1_,comdat
.Lfunc_end820:
	.size	_ZN7rocprim17ROCPRIM_400000_NS6detail17trampoline_kernelINS0_14default_configENS1_27scan_by_key_config_selectorIiiEEZZNS1_16scan_by_key_implILNS1_25lookback_scan_determinismE0ELb1ES3_N6thrust23THRUST_200600_302600_NS6detail15normal_iteratorINS9_10device_ptrIiEEEESE_SE_iNS9_4plusIiEE19head_flag_predicateiEE10hipError_tPvRmT2_T3_T4_T5_mT6_T7_P12ihipStream_tbENKUlT_T0_E_clISt17integral_constantIbLb0EESX_IbLb1EEEEDaST_SU_EUlST_E_NS1_11comp_targetILNS1_3genE8ELNS1_11target_archE1030ELNS1_3gpuE2ELNS1_3repE0EEENS1_30default_config_static_selectorELNS0_4arch9wavefront6targetE0EEEvT1_, .Lfunc_end820-_ZN7rocprim17ROCPRIM_400000_NS6detail17trampoline_kernelINS0_14default_configENS1_27scan_by_key_config_selectorIiiEEZZNS1_16scan_by_key_implILNS1_25lookback_scan_determinismE0ELb1ES3_N6thrust23THRUST_200600_302600_NS6detail15normal_iteratorINS9_10device_ptrIiEEEESE_SE_iNS9_4plusIiEE19head_flag_predicateiEE10hipError_tPvRmT2_T3_T4_T5_mT6_T7_P12ihipStream_tbENKUlT_T0_E_clISt17integral_constantIbLb0EESX_IbLb1EEEEDaST_SU_EUlST_E_NS1_11comp_targetILNS1_3genE8ELNS1_11target_archE1030ELNS1_3gpuE2ELNS1_3repE0EEENS1_30default_config_static_selectorELNS0_4arch9wavefront6targetE0EEEvT1_
                                        ; -- End function
	.set _ZN7rocprim17ROCPRIM_400000_NS6detail17trampoline_kernelINS0_14default_configENS1_27scan_by_key_config_selectorIiiEEZZNS1_16scan_by_key_implILNS1_25lookback_scan_determinismE0ELb1ES3_N6thrust23THRUST_200600_302600_NS6detail15normal_iteratorINS9_10device_ptrIiEEEESE_SE_iNS9_4plusIiEE19head_flag_predicateiEE10hipError_tPvRmT2_T3_T4_T5_mT6_T7_P12ihipStream_tbENKUlT_T0_E_clISt17integral_constantIbLb0EESX_IbLb1EEEEDaST_SU_EUlST_E_NS1_11comp_targetILNS1_3genE8ELNS1_11target_archE1030ELNS1_3gpuE2ELNS1_3repE0EEENS1_30default_config_static_selectorELNS0_4arch9wavefront6targetE0EEEvT1_.num_vgpr, 0
	.set _ZN7rocprim17ROCPRIM_400000_NS6detail17trampoline_kernelINS0_14default_configENS1_27scan_by_key_config_selectorIiiEEZZNS1_16scan_by_key_implILNS1_25lookback_scan_determinismE0ELb1ES3_N6thrust23THRUST_200600_302600_NS6detail15normal_iteratorINS9_10device_ptrIiEEEESE_SE_iNS9_4plusIiEE19head_flag_predicateiEE10hipError_tPvRmT2_T3_T4_T5_mT6_T7_P12ihipStream_tbENKUlT_T0_E_clISt17integral_constantIbLb0EESX_IbLb1EEEEDaST_SU_EUlST_E_NS1_11comp_targetILNS1_3genE8ELNS1_11target_archE1030ELNS1_3gpuE2ELNS1_3repE0EEENS1_30default_config_static_selectorELNS0_4arch9wavefront6targetE0EEEvT1_.num_agpr, 0
	.set _ZN7rocprim17ROCPRIM_400000_NS6detail17trampoline_kernelINS0_14default_configENS1_27scan_by_key_config_selectorIiiEEZZNS1_16scan_by_key_implILNS1_25lookback_scan_determinismE0ELb1ES3_N6thrust23THRUST_200600_302600_NS6detail15normal_iteratorINS9_10device_ptrIiEEEESE_SE_iNS9_4plusIiEE19head_flag_predicateiEE10hipError_tPvRmT2_T3_T4_T5_mT6_T7_P12ihipStream_tbENKUlT_T0_E_clISt17integral_constantIbLb0EESX_IbLb1EEEEDaST_SU_EUlST_E_NS1_11comp_targetILNS1_3genE8ELNS1_11target_archE1030ELNS1_3gpuE2ELNS1_3repE0EEENS1_30default_config_static_selectorELNS0_4arch9wavefront6targetE0EEEvT1_.numbered_sgpr, 0
	.set _ZN7rocprim17ROCPRIM_400000_NS6detail17trampoline_kernelINS0_14default_configENS1_27scan_by_key_config_selectorIiiEEZZNS1_16scan_by_key_implILNS1_25lookback_scan_determinismE0ELb1ES3_N6thrust23THRUST_200600_302600_NS6detail15normal_iteratorINS9_10device_ptrIiEEEESE_SE_iNS9_4plusIiEE19head_flag_predicateiEE10hipError_tPvRmT2_T3_T4_T5_mT6_T7_P12ihipStream_tbENKUlT_T0_E_clISt17integral_constantIbLb0EESX_IbLb1EEEEDaST_SU_EUlST_E_NS1_11comp_targetILNS1_3genE8ELNS1_11target_archE1030ELNS1_3gpuE2ELNS1_3repE0EEENS1_30default_config_static_selectorELNS0_4arch9wavefront6targetE0EEEvT1_.num_named_barrier, 0
	.set _ZN7rocprim17ROCPRIM_400000_NS6detail17trampoline_kernelINS0_14default_configENS1_27scan_by_key_config_selectorIiiEEZZNS1_16scan_by_key_implILNS1_25lookback_scan_determinismE0ELb1ES3_N6thrust23THRUST_200600_302600_NS6detail15normal_iteratorINS9_10device_ptrIiEEEESE_SE_iNS9_4plusIiEE19head_flag_predicateiEE10hipError_tPvRmT2_T3_T4_T5_mT6_T7_P12ihipStream_tbENKUlT_T0_E_clISt17integral_constantIbLb0EESX_IbLb1EEEEDaST_SU_EUlST_E_NS1_11comp_targetILNS1_3genE8ELNS1_11target_archE1030ELNS1_3gpuE2ELNS1_3repE0EEENS1_30default_config_static_selectorELNS0_4arch9wavefront6targetE0EEEvT1_.private_seg_size, 0
	.set _ZN7rocprim17ROCPRIM_400000_NS6detail17trampoline_kernelINS0_14default_configENS1_27scan_by_key_config_selectorIiiEEZZNS1_16scan_by_key_implILNS1_25lookback_scan_determinismE0ELb1ES3_N6thrust23THRUST_200600_302600_NS6detail15normal_iteratorINS9_10device_ptrIiEEEESE_SE_iNS9_4plusIiEE19head_flag_predicateiEE10hipError_tPvRmT2_T3_T4_T5_mT6_T7_P12ihipStream_tbENKUlT_T0_E_clISt17integral_constantIbLb0EESX_IbLb1EEEEDaST_SU_EUlST_E_NS1_11comp_targetILNS1_3genE8ELNS1_11target_archE1030ELNS1_3gpuE2ELNS1_3repE0EEENS1_30default_config_static_selectorELNS0_4arch9wavefront6targetE0EEEvT1_.uses_vcc, 0
	.set _ZN7rocprim17ROCPRIM_400000_NS6detail17trampoline_kernelINS0_14default_configENS1_27scan_by_key_config_selectorIiiEEZZNS1_16scan_by_key_implILNS1_25lookback_scan_determinismE0ELb1ES3_N6thrust23THRUST_200600_302600_NS6detail15normal_iteratorINS9_10device_ptrIiEEEESE_SE_iNS9_4plusIiEE19head_flag_predicateiEE10hipError_tPvRmT2_T3_T4_T5_mT6_T7_P12ihipStream_tbENKUlT_T0_E_clISt17integral_constantIbLb0EESX_IbLb1EEEEDaST_SU_EUlST_E_NS1_11comp_targetILNS1_3genE8ELNS1_11target_archE1030ELNS1_3gpuE2ELNS1_3repE0EEENS1_30default_config_static_selectorELNS0_4arch9wavefront6targetE0EEEvT1_.uses_flat_scratch, 0
	.set _ZN7rocprim17ROCPRIM_400000_NS6detail17trampoline_kernelINS0_14default_configENS1_27scan_by_key_config_selectorIiiEEZZNS1_16scan_by_key_implILNS1_25lookback_scan_determinismE0ELb1ES3_N6thrust23THRUST_200600_302600_NS6detail15normal_iteratorINS9_10device_ptrIiEEEESE_SE_iNS9_4plusIiEE19head_flag_predicateiEE10hipError_tPvRmT2_T3_T4_T5_mT6_T7_P12ihipStream_tbENKUlT_T0_E_clISt17integral_constantIbLb0EESX_IbLb1EEEEDaST_SU_EUlST_E_NS1_11comp_targetILNS1_3genE8ELNS1_11target_archE1030ELNS1_3gpuE2ELNS1_3repE0EEENS1_30default_config_static_selectorELNS0_4arch9wavefront6targetE0EEEvT1_.has_dyn_sized_stack, 0
	.set _ZN7rocprim17ROCPRIM_400000_NS6detail17trampoline_kernelINS0_14default_configENS1_27scan_by_key_config_selectorIiiEEZZNS1_16scan_by_key_implILNS1_25lookback_scan_determinismE0ELb1ES3_N6thrust23THRUST_200600_302600_NS6detail15normal_iteratorINS9_10device_ptrIiEEEESE_SE_iNS9_4plusIiEE19head_flag_predicateiEE10hipError_tPvRmT2_T3_T4_T5_mT6_T7_P12ihipStream_tbENKUlT_T0_E_clISt17integral_constantIbLb0EESX_IbLb1EEEEDaST_SU_EUlST_E_NS1_11comp_targetILNS1_3genE8ELNS1_11target_archE1030ELNS1_3gpuE2ELNS1_3repE0EEENS1_30default_config_static_selectorELNS0_4arch9wavefront6targetE0EEEvT1_.has_recursion, 0
	.set _ZN7rocprim17ROCPRIM_400000_NS6detail17trampoline_kernelINS0_14default_configENS1_27scan_by_key_config_selectorIiiEEZZNS1_16scan_by_key_implILNS1_25lookback_scan_determinismE0ELb1ES3_N6thrust23THRUST_200600_302600_NS6detail15normal_iteratorINS9_10device_ptrIiEEEESE_SE_iNS9_4plusIiEE19head_flag_predicateiEE10hipError_tPvRmT2_T3_T4_T5_mT6_T7_P12ihipStream_tbENKUlT_T0_E_clISt17integral_constantIbLb0EESX_IbLb1EEEEDaST_SU_EUlST_E_NS1_11comp_targetILNS1_3genE8ELNS1_11target_archE1030ELNS1_3gpuE2ELNS1_3repE0EEENS1_30default_config_static_selectorELNS0_4arch9wavefront6targetE0EEEvT1_.has_indirect_call, 0
	.section	.AMDGPU.csdata,"",@progbits
; Kernel info:
; codeLenInByte = 0
; TotalNumSgprs: 0
; NumVgprs: 0
; ScratchSize: 0
; MemoryBound: 0
; FloatMode: 240
; IeeeMode: 1
; LDSByteSize: 0 bytes/workgroup (compile time only)
; SGPRBlocks: 0
; VGPRBlocks: 0
; NumSGPRsForWavesPerEU: 1
; NumVGPRsForWavesPerEU: 1
; NamedBarCnt: 0
; Occupancy: 16
; WaveLimiterHint : 0
; COMPUTE_PGM_RSRC2:SCRATCH_EN: 0
; COMPUTE_PGM_RSRC2:USER_SGPR: 2
; COMPUTE_PGM_RSRC2:TRAP_HANDLER: 0
; COMPUTE_PGM_RSRC2:TGID_X_EN: 1
; COMPUTE_PGM_RSRC2:TGID_Y_EN: 0
; COMPUTE_PGM_RSRC2:TGID_Z_EN: 0
; COMPUTE_PGM_RSRC2:TIDIG_COMP_CNT: 0
	.section	.text._ZN7rocprim17ROCPRIM_400000_NS6detail17trampoline_kernelINS0_14default_configENS1_27scan_by_key_config_selectorIssEEZZNS1_16scan_by_key_implILNS1_25lookback_scan_determinismE0ELb0ES3_N6thrust23THRUST_200600_302600_NS6detail15normal_iteratorINS9_10device_ptrIsEEEESE_SE_sNS9_4plusIsEE19head_flag_predicatesEE10hipError_tPvRmT2_T3_T4_T5_mT6_T7_P12ihipStream_tbENKUlT_T0_E_clISt17integral_constantIbLb0EESY_EEDaST_SU_EUlST_E_NS1_11comp_targetILNS1_3genE0ELNS1_11target_archE4294967295ELNS1_3gpuE0ELNS1_3repE0EEENS1_30default_config_static_selectorELNS0_4arch9wavefront6targetE0EEEvT1_,"axG",@progbits,_ZN7rocprim17ROCPRIM_400000_NS6detail17trampoline_kernelINS0_14default_configENS1_27scan_by_key_config_selectorIssEEZZNS1_16scan_by_key_implILNS1_25lookback_scan_determinismE0ELb0ES3_N6thrust23THRUST_200600_302600_NS6detail15normal_iteratorINS9_10device_ptrIsEEEESE_SE_sNS9_4plusIsEE19head_flag_predicatesEE10hipError_tPvRmT2_T3_T4_T5_mT6_T7_P12ihipStream_tbENKUlT_T0_E_clISt17integral_constantIbLb0EESY_EEDaST_SU_EUlST_E_NS1_11comp_targetILNS1_3genE0ELNS1_11target_archE4294967295ELNS1_3gpuE0ELNS1_3repE0EEENS1_30default_config_static_selectorELNS0_4arch9wavefront6targetE0EEEvT1_,comdat
	.protected	_ZN7rocprim17ROCPRIM_400000_NS6detail17trampoline_kernelINS0_14default_configENS1_27scan_by_key_config_selectorIssEEZZNS1_16scan_by_key_implILNS1_25lookback_scan_determinismE0ELb0ES3_N6thrust23THRUST_200600_302600_NS6detail15normal_iteratorINS9_10device_ptrIsEEEESE_SE_sNS9_4plusIsEE19head_flag_predicatesEE10hipError_tPvRmT2_T3_T4_T5_mT6_T7_P12ihipStream_tbENKUlT_T0_E_clISt17integral_constantIbLb0EESY_EEDaST_SU_EUlST_E_NS1_11comp_targetILNS1_3genE0ELNS1_11target_archE4294967295ELNS1_3gpuE0ELNS1_3repE0EEENS1_30default_config_static_selectorELNS0_4arch9wavefront6targetE0EEEvT1_ ; -- Begin function _ZN7rocprim17ROCPRIM_400000_NS6detail17trampoline_kernelINS0_14default_configENS1_27scan_by_key_config_selectorIssEEZZNS1_16scan_by_key_implILNS1_25lookback_scan_determinismE0ELb0ES3_N6thrust23THRUST_200600_302600_NS6detail15normal_iteratorINS9_10device_ptrIsEEEESE_SE_sNS9_4plusIsEE19head_flag_predicatesEE10hipError_tPvRmT2_T3_T4_T5_mT6_T7_P12ihipStream_tbENKUlT_T0_E_clISt17integral_constantIbLb0EESY_EEDaST_SU_EUlST_E_NS1_11comp_targetILNS1_3genE0ELNS1_11target_archE4294967295ELNS1_3gpuE0ELNS1_3repE0EEENS1_30default_config_static_selectorELNS0_4arch9wavefront6targetE0EEEvT1_
	.globl	_ZN7rocprim17ROCPRIM_400000_NS6detail17trampoline_kernelINS0_14default_configENS1_27scan_by_key_config_selectorIssEEZZNS1_16scan_by_key_implILNS1_25lookback_scan_determinismE0ELb0ES3_N6thrust23THRUST_200600_302600_NS6detail15normal_iteratorINS9_10device_ptrIsEEEESE_SE_sNS9_4plusIsEE19head_flag_predicatesEE10hipError_tPvRmT2_T3_T4_T5_mT6_T7_P12ihipStream_tbENKUlT_T0_E_clISt17integral_constantIbLb0EESY_EEDaST_SU_EUlST_E_NS1_11comp_targetILNS1_3genE0ELNS1_11target_archE4294967295ELNS1_3gpuE0ELNS1_3repE0EEENS1_30default_config_static_selectorELNS0_4arch9wavefront6targetE0EEEvT1_
	.p2align	8
	.type	_ZN7rocprim17ROCPRIM_400000_NS6detail17trampoline_kernelINS0_14default_configENS1_27scan_by_key_config_selectorIssEEZZNS1_16scan_by_key_implILNS1_25lookback_scan_determinismE0ELb0ES3_N6thrust23THRUST_200600_302600_NS6detail15normal_iteratorINS9_10device_ptrIsEEEESE_SE_sNS9_4plusIsEE19head_flag_predicatesEE10hipError_tPvRmT2_T3_T4_T5_mT6_T7_P12ihipStream_tbENKUlT_T0_E_clISt17integral_constantIbLb0EESY_EEDaST_SU_EUlST_E_NS1_11comp_targetILNS1_3genE0ELNS1_11target_archE4294967295ELNS1_3gpuE0ELNS1_3repE0EEENS1_30default_config_static_selectorELNS0_4arch9wavefront6targetE0EEEvT1_,@function
_ZN7rocprim17ROCPRIM_400000_NS6detail17trampoline_kernelINS0_14default_configENS1_27scan_by_key_config_selectorIssEEZZNS1_16scan_by_key_implILNS1_25lookback_scan_determinismE0ELb0ES3_N6thrust23THRUST_200600_302600_NS6detail15normal_iteratorINS9_10device_ptrIsEEEESE_SE_sNS9_4plusIsEE19head_flag_predicatesEE10hipError_tPvRmT2_T3_T4_T5_mT6_T7_P12ihipStream_tbENKUlT_T0_E_clISt17integral_constantIbLb0EESY_EEDaST_SU_EUlST_E_NS1_11comp_targetILNS1_3genE0ELNS1_11target_archE4294967295ELNS1_3gpuE0ELNS1_3repE0EEENS1_30default_config_static_selectorELNS0_4arch9wavefront6targetE0EEEvT1_: ; @_ZN7rocprim17ROCPRIM_400000_NS6detail17trampoline_kernelINS0_14default_configENS1_27scan_by_key_config_selectorIssEEZZNS1_16scan_by_key_implILNS1_25lookback_scan_determinismE0ELb0ES3_N6thrust23THRUST_200600_302600_NS6detail15normal_iteratorINS9_10device_ptrIsEEEESE_SE_sNS9_4plusIsEE19head_flag_predicatesEE10hipError_tPvRmT2_T3_T4_T5_mT6_T7_P12ihipStream_tbENKUlT_T0_E_clISt17integral_constantIbLb0EESY_EEDaST_SU_EUlST_E_NS1_11comp_targetILNS1_3genE0ELNS1_11target_archE4294967295ELNS1_3gpuE0ELNS1_3repE0EEENS1_30default_config_static_selectorELNS0_4arch9wavefront6targetE0EEEvT1_
; %bb.0:
	s_clause 0x3
	s_load_b96 s[36:38], s[0:1], 0x38
	s_load_b256 s[16:23], s[0:1], 0x0
	s_load_b128 s[28:31], s[0:1], 0x48
	s_load_b128 s[24:27], s[0:1], 0x28
	s_wait_xcnt 0x0
	s_bfe_u32 s0, ttmp6, 0x4000c
	s_and_b32 s2, ttmp6, 15
	s_add_co_i32 s0, s0, 1
	s_getreg_b32 s3, hwreg(HW_REG_IB_STS2, 6, 4)
	s_mul_i32 s0, ttmp9, s0
	s_mov_b32 s1, 0
	s_add_co_i32 s6, s2, s0
	s_mov_b32 s39, s1
	s_barrier_signal -1
	s_barrier_wait -1
	s_wait_kmcnt 0x0
	s_mov_b32 s0, s38
	s_lshl_b64 s[34:35], s[18:19], 1
	s_cmp_eq_u32 s3, 0
	s_mul_u64 s[4:5], s[36:37], s[0:1]
	s_cselect_b32 s38, ttmp9, s6
	s_add_nc_u64 s[8:9], s[28:29], -1
	s_add_nc_u64 s[4:5], s[4:5], s[38:39]
	s_mul_i32 s0, s38, 0x1400
	v_cmp_ge_u64_e64 s27, s[4:5], s[8:9]
	s_add_nc_u64 s[2:3], s[16:17], s[34:35]
	s_add_nc_u64 s[6:7], s[20:21], s[34:35]
	s_lshl_b64 s[28:29], s[0:1], 1
	s_mul_i32 s33, s8, 0xffffec00
	s_add_nc_u64 s[40:41], s[2:3], s[28:29]
	s_add_nc_u64 s[20:21], s[6:7], s[28:29]
	s_and_b32 vcc_lo, exec_lo, s27
	s_cbranch_vccz .LBB821_102
; %bb.1:
	v_mov_b32_e32 v1, 0
	s_add_co_i32 s19, s33, s26
	s_delay_alu instid0(SALU_CYCLE_1)
	v_cmp_gt_u32_e32 vcc_lo, s19, v0
	flat_load_u16 v1, v1, s[40:41]
	s_wait_loadcnt_dscnt 0x0
	v_mov_b32_e32 v2, v1
	s_and_saveexec_b32 s0, vcc_lo
	s_cbranch_execz .LBB821_3
; %bb.2:
	flat_load_u16 v2, v0, s[40:41] scale_offset
.LBB821_3:
	s_wait_xcnt 0x0
	s_or_b32 exec_lo, exec_lo, s0
	v_or_b32_e32 v3, 0x100, v0
	s_delay_alu instid0(VALU_DEP_1)
	v_cmp_gt_u32_e64 s0, s19, v3
	v_mov_b32_e32 v3, v1
	s_and_saveexec_b32 s1, s0
	s_cbranch_execz .LBB821_5
; %bb.4:
	flat_load_u16 v3, v0, s[40:41] offset:512 scale_offset
.LBB821_5:
	s_wait_xcnt 0x0
	s_or_b32 exec_lo, exec_lo, s1
	v_or_b32_e32 v4, 0x200, v0
	s_delay_alu instid0(VALU_DEP_1)
	v_cmp_gt_u32_e64 s1, s19, v4
	v_mov_b32_e32 v4, v1
	s_and_saveexec_b32 s2, s1
	s_cbranch_execz .LBB821_7
; %bb.6:
	flat_load_u16 v4, v0, s[40:41] offset:1024 scale_offset
.LBB821_7:
	s_wait_xcnt 0x0
	s_or_b32 exec_lo, exec_lo, s2
	v_or_b32_e32 v5, 0x300, v0
	s_delay_alu instid0(VALU_DEP_1)
	v_cmp_gt_u32_e64 s2, s19, v5
	v_mov_b32_e32 v5, v1
	s_and_saveexec_b32 s3, s2
	s_cbranch_execz .LBB821_9
; %bb.8:
	flat_load_u16 v5, v0, s[40:41] offset:1536 scale_offset
.LBB821_9:
	s_wait_xcnt 0x0
	s_or_b32 exec_lo, exec_lo, s3
	v_or_b32_e32 v6, 0x400, v0
	s_delay_alu instid0(VALU_DEP_1)
	v_cmp_gt_u32_e64 s3, s19, v6
	v_mov_b32_e32 v6, v1
	s_and_saveexec_b32 s4, s3
	s_cbranch_execz .LBB821_11
; %bb.10:
	flat_load_u16 v6, v0, s[40:41] offset:2048 scale_offset
.LBB821_11:
	s_wait_xcnt 0x0
	s_or_b32 exec_lo, exec_lo, s4
	v_or_b32_e32 v7, 0x500, v0
	s_delay_alu instid0(VALU_DEP_1)
	v_cmp_gt_u32_e64 s4, s19, v7
	v_mov_b32_e32 v7, v1
	s_and_saveexec_b32 s5, s4
	s_cbranch_execz .LBB821_13
; %bb.12:
	flat_load_u16 v7, v0, s[40:41] offset:2560 scale_offset
.LBB821_13:
	s_wait_xcnt 0x0
	s_or_b32 exec_lo, exec_lo, s5
	v_or_b32_e32 v8, 0x600, v0
	s_delay_alu instid0(VALU_DEP_1)
	v_cmp_gt_u32_e64 s5, s19, v8
	v_mov_b32_e32 v8, v1
	s_and_saveexec_b32 s6, s5
	s_cbranch_execz .LBB821_15
; %bb.14:
	flat_load_u16 v8, v0, s[40:41] offset:3072 scale_offset
.LBB821_15:
	s_wait_xcnt 0x0
	s_or_b32 exec_lo, exec_lo, s6
	v_or_b32_e32 v9, 0x700, v0
	s_delay_alu instid0(VALU_DEP_1)
	v_cmp_gt_u32_e64 s6, s19, v9
	v_mov_b32_e32 v9, v1
	s_and_saveexec_b32 s7, s6
	s_cbranch_execz .LBB821_17
; %bb.16:
	flat_load_u16 v9, v0, s[40:41] offset:3584 scale_offset
.LBB821_17:
	s_wait_xcnt 0x0
	s_or_b32 exec_lo, exec_lo, s7
	v_or_b32_e32 v10, 0x800, v0
	v_mov_b32_e32 v11, v1
	s_delay_alu instid0(VALU_DEP_2)
	v_cmp_gt_u32_e64 s7, s19, v10
	s_and_saveexec_b32 s8, s7
	s_cbranch_execz .LBB821_19
; %bb.18:
	flat_load_u16 v11, v0, s[40:41] offset:4096 scale_offset
.LBB821_19:
	s_wait_xcnt 0x0
	s_or_b32 exec_lo, exec_lo, s8
	v_or_b32_e32 v10, 0x900, v0
	v_mov_b32_e32 v12, v1
	s_delay_alu instid0(VALU_DEP_2)
	v_cmp_gt_u32_e64 s8, s19, v10
	s_and_saveexec_b32 s9, s8
	s_cbranch_execz .LBB821_21
; %bb.20:
	flat_load_u16 v12, v0, s[40:41] offset:4608 scale_offset
.LBB821_21:
	s_wait_xcnt 0x0
	s_or_b32 exec_lo, exec_lo, s9
	v_or_b32_e32 v10, 0xa00, v0
	v_mov_b32_e32 v13, v1
	s_delay_alu instid0(VALU_DEP_2)
	v_cmp_gt_u32_e64 s9, s19, v10
	s_and_saveexec_b32 s10, s9
	s_cbranch_execz .LBB821_23
; %bb.22:
	flat_load_u16 v13, v0, s[40:41] offset:5120 scale_offset
.LBB821_23:
	s_wait_xcnt 0x0
	s_or_b32 exec_lo, exec_lo, s10
	v_or_b32_e32 v10, 0xb00, v0
	v_mov_b32_e32 v14, v1
	s_delay_alu instid0(VALU_DEP_2)
	v_cmp_gt_u32_e64 s10, s19, v10
	s_and_saveexec_b32 s11, s10
	s_cbranch_execz .LBB821_25
; %bb.24:
	flat_load_u16 v14, v0, s[40:41] offset:5632 scale_offset
.LBB821_25:
	s_wait_xcnt 0x0
	s_or_b32 exec_lo, exec_lo, s11
	v_or_b32_e32 v10, 0xc00, v0
	v_mov_b32_e32 v15, v1
	s_delay_alu instid0(VALU_DEP_2)
	v_cmp_gt_u32_e64 s11, s19, v10
	s_and_saveexec_b32 s12, s11
	s_cbranch_execz .LBB821_27
; %bb.26:
	flat_load_u16 v15, v0, s[40:41] offset:6144 scale_offset
.LBB821_27:
	s_wait_xcnt 0x0
	s_or_b32 exec_lo, exec_lo, s12
	v_or_b32_e32 v10, 0xd00, v0
	v_mov_b32_e32 v16, v1
	s_delay_alu instid0(VALU_DEP_2)
	v_cmp_gt_u32_e64 s12, s19, v10
	s_and_saveexec_b32 s13, s12
	s_cbranch_execz .LBB821_29
; %bb.28:
	flat_load_u16 v16, v0, s[40:41] offset:6656 scale_offset
.LBB821_29:
	s_wait_xcnt 0x0
	s_or_b32 exec_lo, exec_lo, s13
	v_or_b32_e32 v10, 0xe00, v0
	v_mov_b32_e32 v17, v1
	s_delay_alu instid0(VALU_DEP_2)
	v_cmp_gt_u32_e64 s13, s19, v10
	s_and_saveexec_b32 s14, s13
	s_cbranch_execz .LBB821_31
; %bb.30:
	flat_load_u16 v17, v0, s[40:41] offset:7168 scale_offset
.LBB821_31:
	s_wait_xcnt 0x0
	s_or_b32 exec_lo, exec_lo, s14
	v_or_b32_e32 v10, 0xf00, v0
	v_mov_b32_e32 v18, v1
	s_delay_alu instid0(VALU_DEP_2)
	v_cmp_gt_u32_e64 s14, s19, v10
	s_and_saveexec_b32 s15, s14
	s_cbranch_execz .LBB821_33
; %bb.32:
	flat_load_u16 v18, v0, s[40:41] offset:7680 scale_offset
.LBB821_33:
	s_wait_xcnt 0x0
	s_or_b32 exec_lo, exec_lo, s15
	v_or_b32_e32 v10, 0x1000, v0
	v_mov_b32_e32 v19, v1
	s_delay_alu instid0(VALU_DEP_2)
	v_cmp_gt_u32_e64 s15, s19, v10
	s_and_saveexec_b32 s16, s15
	s_cbranch_execz .LBB821_35
; %bb.34:
	flat_load_u16 v19, v0, s[40:41] offset:8192 scale_offset
.LBB821_35:
	s_wait_xcnt 0x0
	s_or_b32 exec_lo, exec_lo, s16
	v_or_b32_e32 v10, 0x1100, v0
	v_mov_b32_e32 v20, v1
	s_delay_alu instid0(VALU_DEP_2)
	v_cmp_gt_u32_e64 s16, s19, v10
	s_and_saveexec_b32 s17, s16
	s_cbranch_execz .LBB821_37
; %bb.36:
	flat_load_u16 v20, v0, s[40:41] offset:8704 scale_offset
.LBB821_37:
	s_wait_xcnt 0x0
	s_or_b32 exec_lo, exec_lo, s17
	v_or_b32_e32 v10, 0x1200, v0
	v_mov_b32_e32 v21, v1
	s_delay_alu instid0(VALU_DEP_2)
	v_cmp_gt_u32_e64 s17, s19, v10
	s_and_saveexec_b32 s18, s17
	s_cbranch_execz .LBB821_39
; %bb.38:
	flat_load_u16 v21, v0, s[40:41] offset:9216 scale_offset
.LBB821_39:
	s_wait_xcnt 0x0
	s_or_b32 exec_lo, exec_lo, s18
	v_or_b32_e32 v10, 0x1300, v0
	s_delay_alu instid0(VALU_DEP_1)
	v_cmp_gt_u32_e64 s18, s19, v10
	s_and_saveexec_b32 s39, s18
	s_cbranch_execz .LBB821_41
; %bb.40:
	flat_load_u16 v1, v0, s[40:41] offset:9728 scale_offset
.LBB821_41:
	s_wait_xcnt 0x0
	s_or_b32 exec_lo, exec_lo, s39
	v_lshlrev_b32_e32 v10, 1, v0
	s_wait_loadcnt_dscnt 0x0
	ds_store_b16 v10, v2
	ds_store_b16 v10, v3 offset:512
	ds_store_b16 v10, v4 offset:1024
	;; [unrolled: 1-line block ×19, first 2 shown]
	v_mad_u32_u24 v1, v0, 38, v10
	s_wait_dscnt 0x0
	s_barrier_signal -1
	s_barrier_wait -1
	ds_load_b64 v[52:53], v1 offset:32
	ds_load_2addr_b64 v[6:9], v1 offset1:1
	ds_load_2addr_b64 v[2:5], v1 offset0:2 offset1:3
	v_mad_i32_i24 v11, 0xffffffda, v0, v1
	s_wait_dscnt 0x2
	v_lshrrev_b32_e32 v54, 16, v53
	ds_store_b16 v11, v54 offset:10240
	s_wait_dscnt 0x0
	s_barrier_signal -1
	s_barrier_wait -1
	s_barrier_signal -1
	s_barrier_wait -1
                                        ; implicit-def: $vgpr11
	s_and_saveexec_b32 s39, vcc_lo
	s_cbranch_execz .LBB821_156
; %bb.42:
	flat_load_u16 v11, v0, s[20:21] scale_offset
	s_wait_xcnt 0x0
	s_or_b32 exec_lo, exec_lo, s39
                                        ; implicit-def: $vgpr12
	s_and_saveexec_b32 s39, s0
	s_cbranch_execnz .LBB821_157
.LBB821_43:
	s_or_b32 exec_lo, exec_lo, s39
                                        ; implicit-def: $vgpr13
	s_and_saveexec_b32 s0, s1
	s_cbranch_execz .LBB821_158
.LBB821_44:
	flat_load_u16 v13, v0, s[20:21] offset:1024 scale_offset
	s_wait_xcnt 0x0
	s_or_b32 exec_lo, exec_lo, s0
                                        ; implicit-def: $vgpr14
	s_and_saveexec_b32 s0, s2
	s_cbranch_execnz .LBB821_159
.LBB821_45:
	s_or_b32 exec_lo, exec_lo, s0
                                        ; implicit-def: $vgpr15
	s_and_saveexec_b32 s0, s3
	s_cbranch_execz .LBB821_160
.LBB821_46:
	flat_load_u16 v15, v0, s[20:21] offset:2048 scale_offset
	s_wait_xcnt 0x0
	s_or_b32 exec_lo, exec_lo, s0
                                        ; implicit-def: $vgpr16
	s_and_saveexec_b32 s0, s4
	s_cbranch_execnz .LBB821_161
.LBB821_47:
	s_or_b32 exec_lo, exec_lo, s0
                                        ; implicit-def: $vgpr17
	s_and_saveexec_b32 s0, s5
	s_cbranch_execz .LBB821_162
.LBB821_48:
	flat_load_u16 v17, v0, s[20:21] offset:3072 scale_offset
	s_wait_xcnt 0x0
	s_or_b32 exec_lo, exec_lo, s0
                                        ; implicit-def: $vgpr18
	s_and_saveexec_b32 s0, s6
	s_cbranch_execnz .LBB821_163
.LBB821_49:
	s_or_b32 exec_lo, exec_lo, s0
                                        ; implicit-def: $vgpr19
	s_and_saveexec_b32 s0, s7
	s_cbranch_execz .LBB821_164
.LBB821_50:
	flat_load_u16 v19, v0, s[20:21] offset:4096 scale_offset
	s_wait_xcnt 0x0
	s_or_b32 exec_lo, exec_lo, s0
                                        ; implicit-def: $vgpr20
	s_and_saveexec_b32 s0, s8
	s_cbranch_execnz .LBB821_165
.LBB821_51:
	s_or_b32 exec_lo, exec_lo, s0
                                        ; implicit-def: $vgpr21
	s_and_saveexec_b32 s0, s9
	s_cbranch_execz .LBB821_166
.LBB821_52:
	flat_load_u16 v21, v0, s[20:21] offset:5120 scale_offset
	s_wait_xcnt 0x0
	s_or_b32 exec_lo, exec_lo, s0
                                        ; implicit-def: $vgpr22
	s_and_saveexec_b32 s0, s10
	s_cbranch_execnz .LBB821_167
.LBB821_53:
	s_or_b32 exec_lo, exec_lo, s0
                                        ; implicit-def: $vgpr23
	s_and_saveexec_b32 s0, s11
	s_cbranch_execz .LBB821_168
.LBB821_54:
	flat_load_u16 v23, v0, s[20:21] offset:6144 scale_offset
	s_wait_xcnt 0x0
	s_or_b32 exec_lo, exec_lo, s0
                                        ; implicit-def: $vgpr24
	s_and_saveexec_b32 s0, s12
	s_cbranch_execnz .LBB821_169
.LBB821_55:
	s_or_b32 exec_lo, exec_lo, s0
                                        ; implicit-def: $vgpr25
	s_and_saveexec_b32 s0, s13
	s_cbranch_execz .LBB821_170
.LBB821_56:
	flat_load_u16 v25, v0, s[20:21] offset:7168 scale_offset
	s_wait_xcnt 0x0
	s_or_b32 exec_lo, exec_lo, s0
                                        ; implicit-def: $vgpr26
	s_and_saveexec_b32 s0, s14
	s_cbranch_execnz .LBB821_171
.LBB821_57:
	s_or_b32 exec_lo, exec_lo, s0
                                        ; implicit-def: $vgpr27
	s_and_saveexec_b32 s0, s15
	s_cbranch_execz .LBB821_172
.LBB821_58:
	flat_load_u16 v27, v0, s[20:21] offset:8192 scale_offset
	s_wait_xcnt 0x0
	s_or_b32 exec_lo, exec_lo, s0
                                        ; implicit-def: $vgpr28
	s_and_saveexec_b32 s0, s16
	s_cbranch_execnz .LBB821_173
.LBB821_59:
	s_or_b32 exec_lo, exec_lo, s0
                                        ; implicit-def: $vgpr29
	s_and_saveexec_b32 s0, s17
	s_cbranch_execz .LBB821_61
.LBB821_60:
	flat_load_u16 v29, v0, s[20:21] offset:9216 scale_offset
.LBB821_61:
	s_wait_xcnt 0x0
	s_or_b32 exec_lo, exec_lo, s0
	v_mul_u32_u24_e32 v56, 20, v0
                                        ; implicit-def: $vgpr30
	s_and_saveexec_b32 s0, s18
	s_cbranch_execz .LBB821_63
; %bb.62:
	flat_load_u16 v30, v0, s[20:21] offset:9728 scale_offset
.LBB821_63:
	s_wait_xcnt 0x0
	s_or_b32 exec_lo, exec_lo, s0
	s_wait_loadcnt_dscnt 0x0
	ds_store_b16 v10, v11
	ds_store_b16 v10, v12 offset:512
	ds_store_b16 v10, v13 offset:1024
	;; [unrolled: 1-line block ×19, first 2 shown]
	v_mov_b64_e32 v[40:41], 0
	v_mov_b64_e32 v[46:47], 0
	;; [unrolled: 1-line block ×18, first 2 shown]
	v_mov_b32_e32 v15, 0
	s_mov_b32 s0, 0
	s_mov_b32 s1, 0
	s_mov_b32 s2, exec_lo
	s_wait_dscnt 0x0
	s_barrier_signal -1
	s_barrier_wait -1
                                        ; implicit-def: $vgpr55
	v_cmpx_gt_u32_e64 s19, v56
	s_cbranch_execz .LBB821_101
; %bb.64:
	ds_load_u16 v10, v1
	v_cmp_eq_u16_e32 vcc_lo, 0, v6
	v_dual_mov_b32 v15, 0 :: v_dual_bitop2_b32 v12, 1, v56 bitop3:0x54
	v_mov_b64_e32 v[40:41], 0
	v_mov_b64_e32 v[46:47], 0
	v_cndmask_b32_e64 v11, 0x10000, 0, vcc_lo
	v_mov_b64_e32 v[48:49], 0
	v_mov_b64_e32 v[44:45], 0
	v_mov_b64_e32 v[42:43], 0
	v_mov_b64_e32 v[38:39], 0
	v_mov_b64_e32 v[36:37], 0
	v_mov_b64_e32 v[34:35], 0
	v_mov_b64_e32 v[16:17], 0
	v_mov_b64_e32 v[18:19], 0
	v_mov_b64_e32 v[20:21], 0
	v_mov_b64_e32 v[22:23], 0
	v_mov_b64_e32 v[24:25], 0
	v_mov_b64_e32 v[26:27], 0
	v_mov_b64_e32 v[28:29], 0
	s_wait_dscnt 0x0
	v_or_b32_e32 v14, v11, v10
	v_mov_b64_e32 v[30:31], 0
	s_mov_b32 s3, 0
	s_mov_b32 s1, exec_lo
                                        ; implicit-def: $vgpr55
	s_delay_alu instid0(VALU_DEP_2)
	v_mov_b64_e32 v[32:33], v[14:15]
	v_mov_b64_e32 v[10:11], v[14:15]
	v_cmpx_gt_u32_e64 s19, v12
	s_cbranch_execz .LBB821_100
; %bb.65:
	ds_load_b128 v[10:13], v1 offset:2
	v_dual_lshrrev_b32 v6, 16, v6 :: v_dual_bitop2_b32 v32, 2, v56 bitop3:0x54
	v_mov_b64_e32 v[40:41], 0
	v_mov_b64_e32 v[46:47], 0
	;; [unrolled: 1-line block ×3, first 2 shown]
	s_delay_alu instid0(VALU_DEP_4)
	v_cmp_eq_u16_e32 vcc_lo, 0, v6
	v_mov_b64_e32 v[44:45], 0
	v_mov_b64_e32 v[42:43], 0
	;; [unrolled: 1-line block ×4, first 2 shown]
	v_cndmask_b32_e64 v6, 0x10000, 0, vcc_lo
	v_mov_b64_e32 v[34:35], 0
	v_mov_b64_e32 v[16:17], 0
	;; [unrolled: 1-line block ×9, first 2 shown]
	s_wait_dscnt 0x0
	v_and_or_b32 v33, 0xffff, v10, v6
	s_mov_b32 s4, 0
	s_mov_b32 s3, exec_lo
                                        ; implicit-def: $vgpr55
	v_cmpx_gt_u32_e64 s19, v32
	s_cbranch_execz .LBB821_99
; %bb.66:
	v_cmp_eq_u16_e32 vcc_lo, 0, v7
	v_dual_lshrrev_b32 v6, 16, v10 :: v_dual_bitop2_b32 v15, 3, v56 bitop3:0x54
	v_mov_b64_e32 v[40:41], 0
	v_mov_b64_e32 v[46:47], 0
	v_cndmask_b32_e64 v10, 0x10000, 0, vcc_lo
	v_mov_b64_e32 v[48:49], 0
	v_mov_b64_e32 v[44:45], 0
	;; [unrolled: 1-line block ×4, first 2 shown]
	v_dual_mov_b32 v51, 0 :: v_dual_bitop2_b32 v50, v10, v6 bitop3:0x54
	v_mov_b64_e32 v[36:37], 0
	v_mov_b64_e32 v[16:17], 0
	;; [unrolled: 1-line block ×10, first 2 shown]
	s_mov_b32 s5, 0
	s_mov_b32 s4, exec_lo
                                        ; implicit-def: $vgpr55
	v_cmpx_gt_u32_e64 s19, v15
	s_cbranch_execz .LBB821_98
; %bb.67:
	v_dual_lshrrev_b32 v6, 16, v7 :: v_dual_add_nc_u32 v7, 4, v56
	v_mov_b64_e32 v[40:41], 0
	v_mov_b64_e32 v[46:47], 0
	;; [unrolled: 1-line block ×3, first 2 shown]
	s_delay_alu instid0(VALU_DEP_4)
	v_cmp_eq_u16_e32 vcc_lo, 0, v6
	v_mov_b64_e32 v[44:45], 0
	v_mov_b64_e32 v[42:43], 0
	;; [unrolled: 1-line block ×4, first 2 shown]
	v_cndmask_b32_e64 v6, 0x10000, 0, vcc_lo
	v_mov_b64_e32 v[16:17], 0
	v_mov_b64_e32 v[18:19], 0
	v_mov_b64_e32 v[20:21], 0
	v_mov_b64_e32 v[22:23], 0
	v_mov_b64_e32 v[24:25], 0
	v_mov_b64_e32 v[26:27], 0
	v_mov_b64_e32 v[28:29], 0
	v_and_or_b32 v35, 0xffff, v11, v6
	s_mov_b32 s6, 0
	s_mov_b32 s5, exec_lo
                                        ; implicit-def: $vgpr55
	v_cmpx_gt_u32_e64 s19, v7
	s_cbranch_execz .LBB821_97
; %bb.68:
	v_cmp_eq_u16_e32 vcc_lo, 0, v8
	v_dual_lshrrev_b32 v6, 16, v11 :: v_dual_add_nc_u32 v11, 5, v56
	v_mov_b64_e32 v[40:41], 0
	v_mov_b64_e32 v[46:47], 0
	v_cndmask_b32_e64 v7, 0x10000, 0, vcc_lo
	v_mov_b64_e32 v[48:49], 0
	v_cmp_gt_u32_e32 vcc_lo, s19, v11
	v_mov_b64_e32 v[44:45], 0
	v_mov_b64_e32 v[42:43], 0
	v_dual_mov_b32 v11, 0 :: v_dual_bitop2_b32 v10, v7, v6 bitop3:0x54
	v_mov_b64_e32 v[38:39], 0
	v_mov_b64_e32 v[16:17], 0
	;; [unrolled: 1-line block ×9, first 2 shown]
	s_mov_b32 s7, 0
                                        ; implicit-def: $vgpr55
	s_and_saveexec_b32 s6, vcc_lo
	s_cbranch_execz .LBB821_96
; %bb.69:
	v_lshrrev_b32_e32 v6, 16, v8
	v_mov_b64_e32 v[40:41], 0
	v_mov_b64_e32 v[46:47], 0
	;; [unrolled: 1-line block ×4, first 2 shown]
	v_cmp_eq_u16_e32 vcc_lo, 0, v6
	v_mov_b64_e32 v[42:43], 0
	v_mov_b64_e32 v[38:39], 0
	;; [unrolled: 1-line block ×4, first 2 shown]
	v_cndmask_b32_e64 v6, 0x10000, 0, vcc_lo
	v_mov_b64_e32 v[20:21], 0
	v_mov_b64_e32 v[22:23], 0
	;; [unrolled: 1-line block ×4, first 2 shown]
	v_add_nc_u32_e32 v7, 6, v56
	v_and_or_b32 v37, 0xffff, v12, v6
	s_mov_b32 s8, 0
	s_mov_b32 s7, exec_lo
                                        ; implicit-def: $vgpr55
	s_delay_alu instid0(VALU_DEP_2)
	v_cmpx_gt_u32_e64 s19, v7
	s_cbranch_execz .LBB821_95
; %bb.70:
	v_cmp_eq_u16_e32 vcc_lo, 0, v9
	v_dual_mov_b32 v29, 0 :: v_dual_lshrrev_b32 v6, 16, v12
	v_mov_b64_e32 v[40:41], 0
	v_mov_b64_e32 v[46:47], 0
	v_cndmask_b32_e64 v7, 0x10000, 0, vcc_lo
	v_add_nc_u32_e32 v8, 7, v56
	v_mov_b64_e32 v[48:49], 0
	v_mov_b64_e32 v[44:45], 0
	;; [unrolled: 1-line block ×3, first 2 shown]
	v_or_b32_e32 v28, v7, v6
	v_mov_b64_e32 v[16:17], 0
	v_mov_b64_e32 v[18:19], 0
	;; [unrolled: 1-line block ×7, first 2 shown]
	s_mov_b32 s9, 0
	s_mov_b32 s8, exec_lo
                                        ; implicit-def: $vgpr55
	v_cmpx_gt_u32_e64 s19, v8
	s_cbranch_execz .LBB821_94
; %bb.71:
	v_dual_lshrrev_b32 v6, 16, v9 :: v_dual_add_nc_u32 v7, 8, v56
	v_mov_b64_e32 v[40:41], 0
	v_mov_b64_e32 v[46:47], 0
	;; [unrolled: 1-line block ×3, first 2 shown]
	s_delay_alu instid0(VALU_DEP_4)
	v_cmp_eq_u16_e32 vcc_lo, 0, v6
	v_mov_b64_e32 v[44:45], 0
	v_mov_b64_e32 v[42:43], 0
	;; [unrolled: 1-line block ×4, first 2 shown]
	v_cndmask_b32_e64 v6, 0x10000, 0, vcc_lo
	v_mov_b64_e32 v[20:21], 0
	v_mov_b64_e32 v[22:23], 0
	;; [unrolled: 1-line block ×3, first 2 shown]
	s_mov_b32 s10, 0
	v_and_or_b32 v39, 0xffff, v13, v6
	s_mov_b32 s9, exec_lo
                                        ; implicit-def: $vgpr55
	v_cmpx_gt_u32_e64 s19, v7
	s_cbranch_execz .LBB821_93
; %bb.72:
	v_cmp_eq_u16_e32 vcc_lo, 0, v2
	v_dual_lshrrev_b32 v6, 16, v13 :: v_dual_add_nc_u32 v8, 9, v56
	v_mov_b64_e32 v[40:41], 0
	v_mov_b64_e32 v[46:47], 0
	v_cndmask_b32_e64 v7, 0x10000, 0, vcc_lo
	v_mov_b64_e32 v[48:49], 0
	v_mov_b64_e32 v[44:45], 0
	;; [unrolled: 1-line block ×4, first 2 shown]
	v_dual_mov_b32 v13, 0 :: v_dual_bitop2_b32 v12, v7, v6 bitop3:0x54
	v_mov_b64_e32 v[20:21], 0
	v_mov_b64_e32 v[22:23], 0
	s_mov_b32 s11, 0
	s_mov_b32 s10, exec_lo
	v_mov_b64_e32 v[42:43], v[12:13]
	v_mov_b64_e32 v[24:25], v[12:13]
                                        ; implicit-def: $vgpr55
	v_cmpx_gt_u32_e64 s19, v8
	s_cbranch_execz .LBB821_92
; %bb.73:
	ds_load_b128 v[6:9], v1 offset:18
	v_dual_lshrrev_b32 v2, 16, v2 :: v_dual_add_nc_u32 v11, 10, v56
	v_mov_b64_e32 v[40:41], 0
	v_mov_b64_e32 v[46:47], 0
	;; [unrolled: 1-line block ×3, first 2 shown]
	s_delay_alu instid0(VALU_DEP_4)
	v_cmp_eq_u16_e32 vcc_lo, 0, v2
	v_mov_b64_e32 v[44:45], 0
	v_mov_b64_e32 v[16:17], 0
	;; [unrolled: 1-line block ×4, first 2 shown]
	v_cndmask_b32_e64 v2, 0x10000, 0, vcc_lo
	v_mov_b64_e32 v[22:23], 0
	s_mov_b32 s12, 0
	s_mov_b32 s11, exec_lo
                                        ; implicit-def: $vgpr55
	s_wait_dscnt 0x0
	v_and_or_b32 v43, 0xffff, v6, v2
	v_cmpx_gt_u32_e64 s19, v11
	s_cbranch_execz .LBB821_91
; %bb.74:
	v_cmp_eq_u16_e32 vcc_lo, 0, v3
	v_dual_lshrrev_b32 v2, 16, v6 :: v_dual_add_nc_u32 v11, 11, v56
	v_mov_b64_e32 v[40:41], 0
	v_mov_b64_e32 v[46:47], 0
	v_cndmask_b32_e64 v6, 0x10000, 0, vcc_lo
	v_mov_b64_e32 v[48:49], 0
	v_mov_b64_e32 v[16:17], 0
	;; [unrolled: 1-line block ×4, first 2 shown]
	v_dual_mov_b32 v25, 0 :: v_dual_bitop2_b32 v24, v6, v2 bitop3:0x54
	s_mov_b32 s13, 0
	s_mov_b32 s12, exec_lo
                                        ; implicit-def: $vgpr55
	s_delay_alu instid0(VALU_DEP_1)
	v_mov_b64_e32 v[44:45], v[24:25]
	v_mov_b64_e32 v[22:23], v[24:25]
	v_cmpx_gt_u32_e64 s19, v11
	s_cbranch_execz .LBB821_90
; %bb.75:
	v_dual_lshrrev_b32 v2, 16, v3 :: v_dual_add_nc_u32 v3, 12, v56
	v_mov_b64_e32 v[40:41], 0
	v_mov_b64_e32 v[46:47], 0
	;; [unrolled: 1-line block ×3, first 2 shown]
	s_delay_alu instid0(VALU_DEP_4)
	v_cmp_eq_u16_e32 vcc_lo, 0, v2
	v_mov_b64_e32 v[16:17], 0
	v_mov_b64_e32 v[18:19], 0
	;; [unrolled: 1-line block ×3, first 2 shown]
	s_mov_b32 s14, 0
	v_cndmask_b32_e64 v2, 0x10000, 0, vcc_lo
	s_mov_b32 s13, exec_lo
                                        ; implicit-def: $vgpr55
	s_delay_alu instid0(VALU_DEP_1)
	v_and_or_b32 v45, 0xffff, v7, v2
	v_cmpx_gt_u32_e64 s19, v3
	s_cbranch_execz .LBB821_89
; %bb.76:
	v_cmp_eq_u16_e32 vcc_lo, 0, v4
	v_dual_lshrrev_b32 v2, 16, v7 :: v_dual_add_nc_u32 v6, 13, v56
	v_mov_b64_e32 v[40:41], 0
	v_mov_b64_e32 v[46:47], 0
	v_cndmask_b32_e64 v3, 0x10000, 0, vcc_lo
	v_mov_b64_e32 v[16:17], 0
	v_mov_b64_e32 v[18:19], 0
	s_mov_b32 s15, 0
	s_mov_b32 s14, exec_lo
	v_dual_mov_b32 v3, 0 :: v_dual_bitop2_b32 v2, v3, v2 bitop3:0x54
                                        ; implicit-def: $vgpr55
	s_delay_alu instid0(VALU_DEP_1)
	v_mov_b64_e32 v[48:49], v[2:3]
	v_mov_b64_e32 v[20:21], v[2:3]
	v_cmpx_gt_u32_e64 s19, v6
	s_cbranch_execz .LBB821_88
; %bb.77:
	v_lshrrev_b32_e32 v4, 16, v4
	v_mov_b64_e32 v[40:41], 0
	v_mov_b64_e32 v[46:47], 0
	;; [unrolled: 1-line block ×4, first 2 shown]
	v_cmp_eq_u16_e32 vcc_lo, 0, v4
	v_add_nc_u32_e32 v6, 14, v56
	s_mov_b32 s16, 0
	s_mov_b32 s15, exec_lo
                                        ; implicit-def: $vgpr55
	v_cndmask_b32_e64 v4, 0x10000, 0, vcc_lo
	s_delay_alu instid0(VALU_DEP_1)
	v_and_or_b32 v49, 0xffff, v8, v4
	v_cmpx_gt_u32_e64 s19, v6
	s_cbranch_execz .LBB821_87
; %bb.78:
	v_cmp_eq_u16_e32 vcc_lo, 0, v5
	v_dual_lshrrev_b32 v3, 16, v8 :: v_dual_mov_b32 v7, 0
	v_mov_b64_e32 v[40:41], 0
	v_mov_b64_e32 v[16:17], 0
	v_cndmask_b32_e64 v4, 0x10000, 0, vcc_lo
	v_add_nc_u32_e32 v8, 15, v56
	s_mov_b32 s17, 0
	s_mov_b32 s16, exec_lo
                                        ; implicit-def: $vgpr55
	s_delay_alu instid0(VALU_DEP_2) | instskip(NEXT) | instid1(VALU_DEP_1)
	v_or_b32_e32 v6, v4, v3
	v_mov_b64_e32 v[46:47], v[6:7]
	v_mov_b64_e32 v[18:19], v[6:7]
	v_cmpx_gt_u32_e64 s19, v8
	s_cbranch_execz .LBB821_86
; %bb.79:
	v_dual_lshrrev_b32 v3, 16, v5 :: v_dual_add_nc_u32 v4, 16, v56
	v_mov_b64_e32 v[40:41], 0
	s_mov_b32 s18, 0
	s_mov_b32 s17, exec_lo
	s_delay_alu instid0(VALU_DEP_2) | instskip(SKIP_1) | instid1(VALU_DEP_1)
	v_cmp_eq_u16_e32 vcc_lo, 0, v3
                                        ; implicit-def: $vgpr55
	v_cndmask_b32_e64 v3, 0x10000, 0, vcc_lo
	v_and_or_b32 v47, 0xffff, v9, v3
	v_cmpx_gt_u32_e64 s19, v4
	s_cbranch_execz .LBB821_85
; %bb.80:
	v_cmp_eq_u16_e32 vcc_lo, 0, v52
	v_dual_lshrrev_b32 v3, 16, v9 :: v_dual_add_nc_u32 v5, 17, v56
	s_mov_b32 s39, 0
	s_mov_b32 s18, exec_lo
	v_cndmask_b32_e64 v4, 0x10000, 0, vcc_lo
	v_mov_b32_e32 v41, 0
                                        ; implicit-def: $vgpr55
	s_delay_alu instid0(VALU_DEP_1)
	v_dual_mov_b32 v7, v41 :: v_dual_bitop2_b32 v40, v4, v3 bitop3:0x54
	v_cmpx_gt_u32_e64 s19, v5
	s_cbranch_execz .LBB821_84
; %bb.81:
	ds_load_u16 v3, v1 offset:34
	v_lshrrev_b32_e32 v4, 16, v52
	s_mov_b32 s42, 0
	s_mov_b32 s39, exec_lo
                                        ; implicit-def: $vgpr55
	s_delay_alu instid0(VALU_DEP_1) | instskip(SKIP_2) | instid1(VALU_DEP_1)
	v_cmp_eq_u16_e32 vcc_lo, 0, v4
	v_cndmask_b32_e64 v4, 0x10000, 0, vcc_lo
	s_wait_dscnt 0x0
	v_dual_add_nc_u32 v5, 18, v56 :: v_dual_bitop2_b32 v3, v4, v3 bitop3:0x54
	s_delay_alu instid0(VALU_DEP_1)
	v_cmpx_gt_u32_e64 s19, v5
	s_xor_b32 s39, exec_lo, s39
	s_cbranch_execz .LBB821_83
; %bb.82:
	ds_load_b32 v1, v1 offset:36
	v_cmp_eq_u16_e32 vcc_lo, 0, v53
	v_add_nc_u32_e32 v4, 19, v56
	v_cndmask_b32_e64 v5, 0x10000, 0, vcc_lo
	s_wait_dscnt 0x0
	v_lshrrev_b32_e32 v55, 16, v1
	s_delay_alu instid0(VALU_DEP_3) | instskip(NEXT) | instid1(VALU_DEP_3)
	v_cmp_gt_u32_e32 vcc_lo, s19, v4
	v_and_or_b32 v41, 0xffff, v1, v5
	s_and_b32 s42, vcc_lo, exec_lo
.LBB821_83:
	s_or_b32 exec_lo, exec_lo, s39
	s_delay_alu instid0(VALU_DEP_1)
	v_dual_mov_b32 v7, v41 :: v_dual_mov_b32 v41, v3
	s_and_b32 s39, s42, exec_lo
.LBB821_84:
	s_or_b32 exec_lo, exec_lo, s18
	s_delay_alu instid0(SALU_CYCLE_1)
	s_and_b32 s18, s39, exec_lo
.LBB821_85:
	s_or_b32 exec_lo, exec_lo, s17
	v_mov_b32_e32 v46, v6
	v_mov_b64_e32 v[16:17], v[40:41]
	s_and_b32 s17, s18, exec_lo
	s_delay_alu instid0(VALU_DEP_2)
	v_mov_b64_e32 v[18:19], v[46:47]
.LBB821_86:
	s_or_b32 exec_lo, exec_lo, s16
	v_mov_b32_e32 v3, v7
	s_and_b32 s16, s17, exec_lo
.LBB821_87:
	s_or_b32 exec_lo, exec_lo, s15
	v_mov_b32_e32 v48, v2
	s_and_b32 s15, s16, exec_lo
	s_delay_alu instid0(VALU_DEP_1)
	v_mov_b64_e32 v[20:21], v[48:49]
.LBB821_88:
	s_or_b32 exec_lo, exec_lo, s14
	v_mov_b32_e32 v25, v3
	s_and_b32 s14, s15, exec_lo
.LBB821_89:
	s_or_b32 exec_lo, exec_lo, s13
	v_mov_b32_e32 v44, v24
	s_and_b32 s13, s14, exec_lo
	s_delay_alu instid0(VALU_DEP_1)
	v_mov_b64_e32 v[22:23], v[44:45]
.LBB821_90:
	s_or_b32 exec_lo, exec_lo, s12
	v_mov_b32_e32 v13, v25
	s_and_b32 s12, s13, exec_lo
.LBB821_91:
	s_or_b32 exec_lo, exec_lo, s11
	v_mov_b32_e32 v42, v12
	s_and_b32 s11, s12, exec_lo
	s_delay_alu instid0(VALU_DEP_1)
	v_mov_b64_e32 v[24:25], v[42:43]
.LBB821_92:
	s_or_b32 exec_lo, exec_lo, s10
	v_mov_b32_e32 v29, v13
	s_and_b32 s10, s11, exec_lo
.LBB821_93:
	s_or_b32 exec_lo, exec_lo, s9
	v_mov_b32_e32 v38, v28
	s_and_b32 s9, s10, exec_lo
	s_delay_alu instid0(VALU_DEP_1)
	v_mov_b64_e32 v[26:27], v[38:39]
.LBB821_94:
	s_or_b32 exec_lo, exec_lo, s8
	v_mov_b32_e32 v11, v29
	s_and_b32 s8, s9, exec_lo
.LBB821_95:
	s_or_b32 exec_lo, exec_lo, s7
	v_mov_b32_e32 v36, v10
	s_and_b32 s7, s8, exec_lo
	s_delay_alu instid0(VALU_DEP_1)
	v_mov_b64_e32 v[28:29], v[36:37]
.LBB821_96:
	s_or_b32 exec_lo, exec_lo, s6
	v_mov_b32_e32 v51, v11
	s_and_b32 s6, s7, exec_lo
.LBB821_97:
	s_or_b32 exec_lo, exec_lo, s5
	v_mov_b32_e32 v34, v50
	s_and_b32 s5, s6, exec_lo
	s_delay_alu instid0(VALU_DEP_1)
	v_mov_b64_e32 v[30:31], v[34:35]
.LBB821_98:
	s_or_b32 exec_lo, exec_lo, s4
	v_mov_b32_e32 v15, v51
	s_and_b32 s4, s5, exec_lo
.LBB821_99:
	s_or_b32 exec_lo, exec_lo, s3
	v_mov_b32_e32 v32, v14
	s_and_b32 s3, s4, exec_lo
	s_delay_alu instid0(VALU_DEP_1)
	v_mov_b64_e32 v[10:11], v[32:33]
.LBB821_100:
	s_or_b32 exec_lo, exec_lo, s1
	s_delay_alu instid0(SALU_CYCLE_1)
	s_and_b32 s1, s3, exec_lo
.LBB821_101:
	s_or_b32 exec_lo, exec_lo, s2
	v_lshlrev_b32_e32 v2, 1, v0
	s_and_b32 vcc_lo, exec_lo, s0
	s_cbranch_vccnz .LBB821_103
	s_branch .LBB821_104
.LBB821_102:
                                        ; implicit-def: $vgpr40_vgpr41
                                        ; implicit-def: $vgpr46_vgpr47
                                        ; implicit-def: $vgpr48_vgpr49
                                        ; implicit-def: $vgpr44_vgpr45
                                        ; implicit-def: $vgpr42_vgpr43
                                        ; implicit-def: $vgpr38_vgpr39
                                        ; implicit-def: $vgpr36_vgpr37
                                        ; implicit-def: $vgpr34_vgpr35
                                        ; implicit-def: $vgpr32_vgpr33
                                        ; implicit-def: $vgpr54
                                        ; implicit-def: $vgpr55
                                        ; implicit-def: $vgpr16_vgpr17
                                        ; implicit-def: $vgpr18_vgpr19
                                        ; implicit-def: $vgpr20_vgpr21
                                        ; implicit-def: $vgpr22_vgpr23
                                        ; implicit-def: $vgpr24_vgpr25
                                        ; implicit-def: $vgpr26_vgpr27
                                        ; implicit-def: $vgpr28_vgpr29
                                        ; implicit-def: $vgpr30_vgpr31
                                        ; implicit-def: $vgpr10_vgpr11
                                        ; implicit-def: $vgpr15
	v_lshlrev_b32_e32 v2, 1, v0
	s_cbranch_execz .LBB821_104
.LBB821_103:
	s_clause 0x13
	flat_load_u16 v1, v0, s[40:41] scale_offset
	flat_load_u16 v3, v0, s[40:41] offset:512 scale_offset
	flat_load_u16 v4, v0, s[40:41] offset:1024 scale_offset
	;; [unrolled: 1-line block ×19, first 2 shown]
	v_mad_u32_u24 v22, v0, 38, v2
	s_or_b32 s1, s1, exec_lo
	s_wait_loadcnt_dscnt 0x1313
	ds_store_b16 v2, v1
	s_wait_loadcnt_dscnt 0x1213
	ds_store_b16 v2, v3 offset:512
	s_wait_loadcnt_dscnt 0x1113
	ds_store_b16 v2, v4 offset:1024
	;; [unrolled: 2-line block ×19, first 2 shown]
	s_wait_dscnt 0x0
	s_barrier_signal -1
	s_barrier_wait -1
	ds_load_b64 v[12:13], v22 offset:32
	ds_load_2addr_b64 v[4:7], v22 offset1:1
	ds_load_2addr_b64 v[8:11], v22 offset0:2 offset1:3
	v_mad_i32_i24 v1, 0xffffffda, v0, v22
	s_wait_dscnt 0x1
	v_cmp_eq_u16_e32 vcc_lo, 0, v4
	v_dual_lshrrev_b32 v54, 16, v13 :: v_dual_lshrrev_b32 v33, 16, v4
	v_dual_lshrrev_b32 v35, 16, v5 :: v_dual_lshrrev_b32 v37, 16, v6
	v_cndmask_b32_e64 v34, 0x10000, 0, vcc_lo
	ds_store_b16 v1, v54 offset:10240
	s_wait_dscnt 0x0
	s_barrier_signal -1
	s_barrier_wait -1
	s_barrier_signal -1
	s_barrier_wait -1
	s_clause 0x13
	flat_load_u16 v1, v0, s[20:21] scale_offset
	flat_load_u16 v3, v0, s[20:21] offset:512 scale_offset
	flat_load_u16 v14, v0, s[20:21] offset:1024 scale_offset
	;; [unrolled: 1-line block ×19, first 2 shown]
	v_cmp_eq_u16_e32 vcc_lo, 0, v5
	v_dual_lshrrev_b32 v39, 16, v7 :: v_dual_lshrrev_b32 v41, 16, v8
	v_dual_lshrrev_b32 v43, 16, v9 :: v_dual_lshrrev_b32 v45, 16, v10
	v_cndmask_b32_e64 v36, 0x10000, 0, vcc_lo
	v_cmp_eq_u16_e32 vcc_lo, 0, v6
	v_dual_lshrrev_b32 v46, 16, v11 :: v_dual_lshrrev_b32 v47, 16, v12
	s_wait_loadcnt_dscnt 0x1313
	ds_store_b16 v2, v1
	s_wait_loadcnt_dscnt 0x1213
	ds_store_b16 v2, v3 offset:512
	s_wait_loadcnt_dscnt 0x1113
	ds_store_b16 v2, v14 offset:1024
	;; [unrolled: 2-line block ×19, first 2 shown]
	v_cndmask_b32_e64 v38, 0x10000, 0, vcc_lo
	v_cmp_eq_u16_e32 vcc_lo, 0, v7
	s_wait_dscnt 0x0
	s_barrier_signal -1
	s_barrier_wait -1
	v_cndmask_b32_e64 v40, 0x10000, 0, vcc_lo
	v_cmp_eq_u16_e32 vcc_lo, 0, v8
	v_cndmask_b32_e64 v42, 0x10000, 0, vcc_lo
	v_cmp_eq_u16_e32 vcc_lo, 0, v9
	;; [unrolled: 2-line block ×6, first 2 shown]
	ds_load_2addr_b64 v[4:7], v22 offset1:1
	ds_load_b64 v[12:13], v22 offset:32
	ds_load_2addr_b64 v[8:11], v22 offset0:2 offset1:3
	v_cndmask_b32_e64 v49, 0x10000, 0, vcc_lo
	v_cmp_eq_u16_e32 vcc_lo, 0, v33
	v_cndmask_b32_e64 v1, 0x10000, 0, vcc_lo
	v_cmp_eq_u16_e32 vcc_lo, 0, v35
	;; [unrolled: 2-line block ×3, first 2 shown]
	s_wait_dscnt 0x1
	v_dual_lshrrev_b32 v22, 16, v4 :: v_dual_lshrrev_b32 v55, 16, v13
	v_and_b32_e32 v4, 0xffff, v4
	v_cndmask_b32_e64 v14, 0x10000, 0, vcc_lo
	v_cmp_eq_u16_e32 vcc_lo, 0, v39
	v_dual_lshrrev_b32 v23, 16, v5 :: v_dual_lshrrev_b32 v24, 16, v6
	v_and_b32_e32 v5, 0xffff, v5
	v_and_b32_e32 v6, 0xffff, v6
	v_cndmask_b32_e64 v16, 0x10000, 0, vcc_lo
	v_cmp_eq_u16_e32 vcc_lo, 0, v41
	s_wait_dscnt 0x0
	v_dual_lshrrev_b32 v25, 16, v7 :: v_dual_lshrrev_b32 v26, 16, v8
	v_and_b32_e32 v7, 0xffff, v7
	v_and_b32_e32 v8, 0xffff, v8
	v_cndmask_b32_e64 v17, 0x10000, 0, vcc_lo
	v_cmp_eq_u16_e32 vcc_lo, 0, v43
	v_dual_lshrrev_b32 v27, 16, v9 :: v_dual_lshrrev_b32 v28, 16, v10
	v_and_b32_e32 v9, 0xffff, v9
	v_and_b32_e32 v10, 0xffff, v10
	v_cndmask_b32_e64 v18, 0x10000, 0, vcc_lo
	v_cmp_eq_u16_e32 vcc_lo, 0, v45
	;; [unrolled: 5-line block ×3, first 2 shown]
	v_and_or_b32 v15, 0xffff, v13, v49
	v_or_b32_e32 v33, v1, v22
	v_or_b32_e32 v32, v34, v4
	;; [unrolled: 1-line block ×3, first 2 shown]
	v_cndmask_b32_e64 v20, 0x10000, 0, vcc_lo
	v_cmp_eq_u16_e32 vcc_lo, 0, v47
	v_or_b32_e32 v34, v36, v5
	v_or_b32_e32 v37, v14, v24
	;; [unrolled: 1-line block ×4, first 2 shown]
	v_cndmask_b32_e64 v21, 0x10000, 0, vcc_lo
	v_or_b32_e32 v38, v40, v7
	v_or_b32_e32 v43, v17, v26
	;; [unrolled: 1-line block ×11, first 2 shown]
	v_mov_b64_e32 v[16:17], v[40:41]
	v_mov_b64_e32 v[18:19], v[46:47]
	v_mov_b64_e32 v[20:21], v[48:49]
	v_mov_b64_e32 v[22:23], v[44:45]
	v_mov_b64_e32 v[24:25], v[42:43]
	v_mov_b64_e32 v[26:27], v[38:39]
	v_mov_b64_e32 v[28:29], v[36:37]
	v_mov_b64_e32 v[30:31], v[34:35]
	v_mov_b64_e32 v[10:11], v[32:33]
.LBB821_104:
	v_mov_b32_e32 v1, 0
	s_and_saveexec_b32 s0, s1
	s_cbranch_execz .LBB821_106
; %bb.105:
	v_cmp_eq_u16_e32 vcc_lo, 0, v54
	v_and_b32_e32 v1, 0xffff, v55
	v_mov_b64_e32 v[10:11], v[32:33]
	v_mov_b64_e32 v[30:31], v[34:35]
	;; [unrolled: 1-line block ×3, first 2 shown]
	v_cndmask_b32_e64 v3, 0x10000, 0, vcc_lo
	v_mov_b64_e32 v[26:27], v[38:39]
	v_mov_b64_e32 v[24:25], v[42:43]
	;; [unrolled: 1-line block ×6, first 2 shown]
	v_or_b32_e32 v1, v3, v1
.LBB821_106:
	s_or_b32 exec_lo, exec_lo, s0
	s_delay_alu instid0(VALU_DEP_2)
	v_cmp_gt_u32_e64 s18, 0x10000, v11
	v_cmp_gt_u32_e64 s17, 0x10000, v30
	v_cmp_gt_u32_e64 s16, 0x10000, v31
	v_cmp_gt_u32_e64 s15, 0x10000, v28
	v_cmp_gt_u32_e64 s14, 0x10000, v29
	v_cmp_gt_u32_e64 s13, 0x10000, v26
	v_cmp_gt_u32_e64 s12, 0x10000, v27
	v_cmp_gt_u32_e64 s10, 0x10000, v24
	v_or_b32_e32 v43, v27, v24
	v_cmp_gt_u32_e64 s11, 0x10000, v25
	v_cmp_gt_u32_e64 s9, 0x10000, v22
	;; [unrolled: 1-line block ×8, first 2 shown]
	v_or_b32_e32 v45, v19, v16
	v_cmp_gt_u32_e64 s3, 0x10000, v17
	v_cmp_gt_u32_e64 s0, 0x10000, v15
	v_dual_lshrrev_b32 v3, 3, v0 :: v_dual_bitop2_b32 v44, v17, v15 bitop3:0x54
	v_cmp_gt_u32_e64 s1, 0x10000, v1
	s_cmp_lg_u32 s38, 0
	v_cmp_gt_u32_e32 vcc_lo, 32, v0
	s_barrier_signal -1
	s_barrier_wait -1
	s_cbranch_scc0 .LBB821_174
; %bb.107:
	v_or3_b32 v5, v45, v18, v21
	v_dual_cndmask_b32 v4, 0, v10, s18 :: v_dual_bitop2_b32 v7, 28, v3 bitop3:0x40
	v_or3_b32 v6, v43, v26, v29
	v_lshrrev_b32_e32 v14, 16, v10
	s_delay_alu instid0(VALU_DEP_4) | instskip(NEXT) | instid1(VALU_DEP_4)
	v_or3_b32 v5, v5, v20, v23
	v_add_nc_u16 v4, v4, v11
	s_delay_alu instid0(VALU_DEP_4) | instskip(NEXT) | instid1(VALU_DEP_3)
	v_or3_b32 v6, v6, v28, v31
	v_or3_b32 v5, v5, v22, v25
	s_delay_alu instid0(VALU_DEP_3) | instskip(NEXT) | instid1(VALU_DEP_3)
	v_cndmask_b32_e64 v4, 0, v4, s17
	v_or3_b32 v6, v6, v30, v11
	s_delay_alu instid0(VALU_DEP_3) | instskip(NEXT) | instid1(VALU_DEP_3)
	v_or3_b32 v5, v1, v44, v5
	v_add_nc_u16 v4, v4, v30
	s_delay_alu instid0(VALU_DEP_2) | instskip(SKIP_1) | instid1(VALU_DEP_2)
	v_bitop3_b32 v5, v5, 0xff0000, v6 bitop3:0xc8
	v_lshl_add_u32 v6, v0, 2, v7
	v_cmp_eq_u32_e64 s19, 0, v5
	s_delay_alu instid0(VALU_DEP_1) | instskip(NEXT) | instid1(VALU_DEP_1)
	v_dual_cndmask_b32 v4, 0, v4, s16 :: v_dual_cndmask_b32 v33, 1, v14, s19
	v_add_nc_u16 v4, v4, v31
	s_delay_alu instid0(VALU_DEP_1) | instskip(NEXT) | instid1(VALU_DEP_1)
	v_cndmask_b32_e64 v4, 0, v4, s15
	v_add_nc_u16 v4, v4, v28
	s_delay_alu instid0(VALU_DEP_1) | instskip(NEXT) | instid1(VALU_DEP_1)
	v_cndmask_b32_e64 v4, 0, v4, s14
	;; [unrolled: 3-line block ×16, first 2 shown]
	v_add_nc_u16 v32, v4, v1
	ds_store_b16 v6, v32
	ds_store_b8 v6, v33 offset:2
	s_wait_dscnt 0x0
	s_barrier_signal -1
	s_barrier_wait -1
	s_and_saveexec_b32 s20, vcc_lo
	s_cbranch_execz .LBB821_119
; %bb.108:
	v_and_b32_e32 v4, 0xfc, v0
	v_lshlrev_b32_e32 v5, 5, v0
	s_mov_b32 s21, exec_lo
	s_delay_alu instid0(VALU_DEP_1)
	v_add_nc_u32_e32 v4, v4, v5
	ds_load_u8 v6, v4 offset:6
	ds_load_b32 v5, v4
	ds_load_u16 v7, v4 offset:4
	ds_load_u8 v8, v4 offset:10
	ds_load_u16 v9, v4 offset:8
	ds_load_u16 v12, v4 offset:12
	ds_load_u8 v13, v4 offset:14
	ds_load_u16 v34, v4 offset:16
	s_wait_dscnt 0x7
	v_cmp_eq_u16_e64 s19, 0, v6
	s_wait_dscnt 0x4
	s_delay_alu instid0(VALU_DEP_1) | instskip(SKIP_1) | instid1(VALU_DEP_2)
	v_dual_cndmask_b32 v35, 0, v5, s19 :: v_dual_bitop2_b32 v6, v8, v6 bitop3:0x54
	v_cmp_eq_u16_e64 s19, 0, v8
	v_add_nc_u16 v7, v35, v7
	ds_load_u8 v35, v4 offset:18
	v_cndmask_b32_e64 v7, 0, v7, s19
	s_wait_dscnt 0x2
	v_cmp_eq_u16_e64 s19, 0, v13
	s_delay_alu instid0(VALU_DEP_2) | instskip(SKIP_2) | instid1(VALU_DEP_1)
	v_add_nc_u16 v7, v7, v9
	ds_load_u8 v9, v4 offset:22
	v_cndmask_b32_e64 v7, 0, v7, s19
	v_add_nc_u16 v7, v7, v12
	s_wait_dscnt 0x1
	v_cmp_eq_u16_e64 s19, 0, v35
	ds_load_u16 v12, v4 offset:20
	ds_load_u16 v36, v4 offset:24
	ds_load_u8 v37, v4 offset:26
	ds_load_u16 v38, v4 offset:28
	ds_load_u8 v39, v4 offset:30
	v_bitop3_b16 v8, v6, v35, v13 bitop3:0xfe
	v_and_b32_e32 v6, 0x10000, v5
	v_cndmask_b32_e64 v7, 0, v7, s19
	s_delay_alu instid0(VALU_DEP_1) | instskip(SKIP_2) | instid1(VALU_DEP_1)
	v_add_nc_u16 v7, v7, v34
	s_wait_dscnt 0x5
	v_cmp_eq_u16_e64 s19, 0, v9
	v_cndmask_b32_e64 v7, 0, v7, s19
	s_wait_dscnt 0x2
	v_cmp_eq_u16_e64 s19, 0, v37
	v_bitop3_b16 v8, v8, v37, v9 bitop3:0xfe
	s_delay_alu instid0(VALU_DEP_3) | instskip(SKIP_2) | instid1(VALU_DEP_2)
	v_add_nc_u16 v7, v7, v12
	s_wait_dscnt 0x0
	v_and_b32_e32 v9, 1, v39
	v_cndmask_b32_e64 v7, 0, v7, s19
	v_cmp_eq_u16_e64 s19, 0, v39
	s_delay_alu instid0(VALU_DEP_2) | instskip(NEXT) | instid1(VALU_DEP_1)
	v_add_nc_u16 v7, v7, v36
	v_cndmask_b32_e64 v7, 0, v7, s19
	v_cmp_eq_u16_e64 s19, 0, v8
	s_delay_alu instid0(VALU_DEP_2) | instskip(NEXT) | instid1(VALU_DEP_2)
	v_add_nc_u16 v8, v7, v38
	v_cndmask_b32_e64 v12, 0x10000, v6, s19
	v_cmp_eq_u32_e64 s19, 1, v9
	v_and_b32_e32 v7, 0xff000000, v5
	v_mbcnt_lo_u32_b32 v9, -1, 0
	v_and_b32_e32 v13, 0xffff, v8
	s_delay_alu instid0(VALU_DEP_4) | instskip(NEXT) | instid1(VALU_DEP_1)
	v_cndmask_b32_e64 v12, v12, 0x10000, s19
	v_or_b32_e32 v34, v12, v7
	s_delay_alu instid0(VALU_DEP_3) | instskip(NEXT) | instid1(VALU_DEP_2)
	v_or3_b32 v35, v7, v13, v12
	v_dual_lshrrev_b32 v13, 16, v34 :: v_dual_bitop2_b32 v12, 15, v9 bitop3:0x40
	s_delay_alu instid0(VALU_DEP_2) | instskip(NEXT) | instid1(VALU_DEP_2)
	v_mov_b32_dpp v36, v35 row_shr:1 row_mask:0xf bank_mask:0xf
	v_cmpx_ne_u32_e32 0, v12
	s_cbranch_execz .LBB821_110
; %bb.109:
	s_delay_alu instid0(VALU_DEP_2) | instskip(SKIP_1) | instid1(VALU_DEP_2)
	v_dual_lshrrev_b32 v13, 16, v34 :: v_dual_lshrrev_b32 v35, 16, v36
	v_and_b32_e32 v34, 0x10000, v34
	v_and_b32_e32 v13, 0xff, v13
	s_delay_alu instid0(VALU_DEP_1) | instskip(NEXT) | instid1(VALU_DEP_1)
	v_cmp_eq_u16_e64 s19, 0, v13
	v_dual_cndmask_b32 v36, 0, v36, s19 :: v_dual_bitop2_b32 v35, 1, v35 bitop3:0x40
	s_delay_alu instid0(VALU_DEP_4) | instskip(NEXT) | instid1(VALU_DEP_2)
	v_cmp_ne_u32_e64 s19, 0, v34
	v_add_nc_u16 v8, v36, v8
	s_delay_alu instid0(VALU_DEP_2) | instskip(NEXT) | instid1(VALU_DEP_2)
	v_cndmask_b32_e64 v13, v35, 1, s19
	v_and_b32_e32 v35, 0xffff, v8
	s_delay_alu instid0(VALU_DEP_2) | instskip(NEXT) | instid1(VALU_DEP_1)
	v_lshlrev_b32_e32 v34, 16, v13
	v_or3_b32 v35, v34, v35, v7
.LBB821_110:
	s_or_b32 exec_lo, exec_lo, s21
	s_delay_alu instid0(VALU_DEP_1)
	v_lshrrev_b32_e32 v34, 16, v35
	v_mov_b32_dpp v36, v35 row_shr:2 row_mask:0xf bank_mask:0xf
	s_mov_b32 s21, exec_lo
	v_cmpx_lt_u32_e32 1, v12
	s_cbranch_execz .LBB821_112
; %bb.111:
	v_and_b32_e32 v34, 0xff, v34
	v_and_b32_e32 v35, 0x10000, v35
	s_delay_alu instid0(VALU_DEP_2) | instskip(NEXT) | instid1(VALU_DEP_1)
	v_cmp_eq_u16_e64 s19, 0, v34
	v_dual_lshrrev_b32 v13, 16, v36 :: v_dual_cndmask_b32 v34, 0, v36, s19
	s_delay_alu instid0(VALU_DEP_1) | instskip(NEXT) | instid1(VALU_DEP_4)
	v_and_b32_e32 v13, 1, v13
	v_cmp_ne_u32_e64 s19, 0, v35
	s_delay_alu instid0(VALU_DEP_3) | instskip(NEXT) | instid1(VALU_DEP_2)
	v_add_nc_u16 v8, v34, v8
	v_cndmask_b32_e64 v13, v13, 1, s19
	s_delay_alu instid0(VALU_DEP_2) | instskip(NEXT) | instid1(VALU_DEP_2)
	v_and_b32_e32 v35, 0xffff, v8
	v_lshlrev_b32_e32 v34, 16, v13
	s_delay_alu instid0(VALU_DEP_1)
	v_or3_b32 v35, v34, v35, v7
	v_mov_b32_e32 v34, v13
.LBB821_112:
	s_or_b32 exec_lo, exec_lo, s21
	s_delay_alu instid0(VALU_DEP_2)
	v_mov_b32_dpp v36, v35 row_shr:4 row_mask:0xf bank_mask:0xf
	s_mov_b32 s21, exec_lo
	v_cmpx_lt_u32_e32 3, v12
	s_cbranch_execz .LBB821_114
; %bb.113:
	v_and_b32_e32 v35, 0xff, v34
	v_dual_lshrrev_b32 v13, 16, v36 :: v_dual_bitop2_b32 v34, 1, v34 bitop3:0x40
	s_delay_alu instid0(VALU_DEP_2) | instskip(NEXT) | instid1(VALU_DEP_1)
	v_cmp_eq_u16_e64 s19, 0, v35
	v_dual_cndmask_b32 v35, 0, v36, s19 :: v_dual_bitop2_b32 v13, 1, v13 bitop3:0x40
	s_delay_alu instid0(VALU_DEP_3) | instskip(NEXT) | instid1(VALU_DEP_2)
	v_cmp_eq_u32_e64 s19, 1, v34
	v_add_nc_u16 v8, v35, v8
	s_delay_alu instid0(VALU_DEP_2) | instskip(NEXT) | instid1(VALU_DEP_2)
	v_cndmask_b32_e64 v13, v13, 1, s19
	v_and_b32_e32 v35, 0xffff, v8
	s_delay_alu instid0(VALU_DEP_2) | instskip(NEXT) | instid1(VALU_DEP_1)
	v_lshlrev_b32_e32 v34, 16, v13
	v_or3_b32 v35, v34, v35, v7
	v_mov_b32_e32 v34, v13
.LBB821_114:
	s_or_b32 exec_lo, exec_lo, s21
	s_delay_alu instid0(VALU_DEP_2)
	v_mov_b32_dpp v36, v35 row_shr:8 row_mask:0xf bank_mask:0xf
	s_mov_b32 s21, exec_lo
	v_cmpx_lt_u32_e32 7, v12
	s_cbranch_execz .LBB821_116
; %bb.115:
	v_and_b32_e32 v13, 0xff, v34
	v_dual_lshrrev_b32 v12, 16, v36 :: v_dual_bitop2_b32 v34, 1, v34 bitop3:0x40
	s_delay_alu instid0(VALU_DEP_2) | instskip(NEXT) | instid1(VALU_DEP_2)
	v_cmp_eq_u16_e64 s19, 0, v13
	v_and_b32_e32 v12, 1, v12
	s_delay_alu instid0(VALU_DEP_2) | instskip(NEXT) | instid1(VALU_DEP_4)
	v_cndmask_b32_e64 v35, 0, v36, s19
	v_cmp_eq_u32_e64 s19, 1, v34
	s_delay_alu instid0(VALU_DEP_1) | instskip(NEXT) | instid1(VALU_DEP_1)
	v_cndmask_b32_e64 v13, v12, 1, s19
	v_lshlrev_b32_e32 v12, 16, v13
	s_delay_alu instid0(VALU_DEP_4) | instskip(NEXT) | instid1(VALU_DEP_1)
	v_add_nc_u16 v8, v35, v8
	v_and_b32_e32 v34, 0xffff, v8
	s_delay_alu instid0(VALU_DEP_1)
	v_or3_b32 v35, v12, v34, v7
	v_mov_b32_e32 v34, v13
.LBB821_116:
	s_or_b32 exec_lo, exec_lo, s21
	ds_swizzle_b32 v12, v35 offset:swizzle(BROADCAST,32,15)
	v_and_b32_e32 v35, 16, v9
	s_mov_b32 s21, exec_lo
	s_delay_alu instid0(VALU_DEP_1)
	v_cmpx_ne_u32_e32 0, v35
	s_cbranch_execz .LBB821_118
; %bb.117:
	v_and_b32_e32 v13, 0xff, v34
	s_delay_alu instid0(VALU_DEP_1) | instskip(SKIP_2) | instid1(VALU_DEP_1)
	v_cmp_eq_u16_e64 s19, 0, v13
	s_wait_dscnt 0x0
	v_dual_lshrrev_b32 v35, 16, v12 :: v_dual_bitop2_b32 v13, 1, v34 bitop3:0x40
	v_dual_cndmask_b32 v12, 0, v12, s19 :: v_dual_bitop2_b32 v34, 1, v35 bitop3:0x40
	s_delay_alu instid0(VALU_DEP_2) | instskip(NEXT) | instid1(VALU_DEP_2)
	v_cmp_eq_u32_e64 s19, 1, v13
	v_add_nc_u16 v8, v12, v8
	s_delay_alu instid0(VALU_DEP_2)
	v_cndmask_b32_e64 v13, v34, 1, s19
.LBB821_118:
	s_or_b32 exec_lo, exec_lo, s21
	s_wait_dscnt 0x0
	s_delay_alu instid0(VALU_DEP_1) | instskip(SKIP_2) | instid1(VALU_DEP_3)
	v_and_b32_e32 v12, 0xff, v13
	v_add_nc_u32_e32 v13, -1, v9
	v_and_b32_e32 v8, 0xffff, v8
	; wave barrier
	v_lshlrev_b32_e32 v12, 16, v12
	s_delay_alu instid0(VALU_DEP_3) | instskip(NEXT) | instid1(VALU_DEP_2)
	v_cmp_gt_i32_e64 s19, 0, v13
	v_or3_b32 v7, v12, v8, v7
	s_delay_alu instid0(VALU_DEP_2) | instskip(NEXT) | instid1(VALU_DEP_1)
	v_cndmask_b32_e64 v9, v13, v9, s19
	v_lshlrev_b32_e32 v8, 2, v9
	ds_bpermute_b32 v7, v8, v7
	v_and_b32_e32 v8, 0xff0000, v5
	s_delay_alu instid0(VALU_DEP_1) | instskip(SKIP_1) | instid1(VALU_DEP_1)
	v_cmp_eq_u32_e64 s19, 0, v8
	s_wait_dscnt 0x0
	v_dual_lshrrev_b32 v9, 16, v7 :: v_dual_cndmask_b32 v7, 0, v7, s19
	v_cmp_eq_u32_e64 s19, 0, v6
	s_delay_alu instid0(VALU_DEP_2) | instskip(NEXT) | instid1(VALU_DEP_3)
	v_add_nc_u16 v5, v7, v5
	v_and_b32_e32 v8, 1, v9
	s_delay_alu instid0(VALU_DEP_1) | instskip(SKIP_1) | instid1(VALU_DEP_1)
	v_cndmask_b32_e64 v6, 1, v8, s19
	v_cmp_eq_u32_e64 s19, 0, v0
	v_dual_cndmask_b32 v5, v5, v32, s19 :: v_dual_cndmask_b32 v6, v6, v33, s19
	ds_store_b16 v4, v5
	ds_store_b8 v4, v6 offset:2
	; wave barrier
	ds_load_u8 v7, v4 offset:6
	ds_load_u16 v8, v4 offset:4
	ds_load_u8 v9, v4 offset:10
	ds_load_u16 v12, v4 offset:8
	ds_load_u16 v13, v4 offset:12
	ds_load_u8 v34, v4 offset:14
	ds_load_u16 v35, v4 offset:16
	ds_load_u8 v36, v4 offset:18
	s_wait_dscnt 0x7
	v_cmp_eq_u16_e64 s19, 0, v7
	s_delay_alu instid0(VALU_DEP_1) | instskip(SKIP_3) | instid1(VALU_DEP_3)
	v_dual_cndmask_b32 v5, 0, v5, s19 :: v_dual_bitop2_b32 v7, 1, v7 bitop3:0x40
	s_wait_dscnt 0x5
	v_cmp_eq_u16_e64 s19, 0, v9
	v_and_b32_e32 v9, 1, v9
	v_add_nc_u16 v5, v5, v8
	s_delay_alu instid0(VALU_DEP_1) | instskip(SKIP_2) | instid1(VALU_DEP_2)
	v_cndmask_b32_e64 v8, 0, v5, s19
	s_wait_dscnt 0x2
	v_cmp_eq_u16_e64 s19, 0, v34
	v_add_nc_u16 v8, v8, v12
	ds_load_u8 v12, v4 offset:22
	ds_load_u16 v38, v4 offset:20
	ds_load_u8 v39, v4 offset:26
	ds_load_u8 v40, v4 offset:30
	v_cndmask_b32_e64 v37, 0, v8, s19
	v_cmp_eq_u32_e64 s19, 1, v7
	v_and_b32_e32 v7, 1, v34
	s_delay_alu instid0(VALU_DEP_3) | instskip(NEXT) | instid1(VALU_DEP_3)
	v_add_nc_u16 v13, v37, v13
	v_cndmask_b32_e64 v6, v6, 1, s19
	s_wait_dscnt 0x4
	v_cmp_eq_u16_e64 s19, 0, v36
	ds_load_u16 v37, v4 offset:24
	ds_load_u16 v41, v4 offset:28
	v_cndmask_b32_e64 v34, 0, v13, s19
	v_cmp_eq_u32_e64 s19, 1, v9
	s_delay_alu instid0(VALU_DEP_2) | instskip(NEXT) | instid1(VALU_DEP_2)
	v_add_nc_u16 v34, v34, v35
	v_cndmask_b32_e64 v9, v6, 1, s19
	v_cmp_eq_u32_e64 s19, 1, v7
	v_and_b32_e32 v35, 1, v36
	s_delay_alu instid0(VALU_DEP_2) | instskip(SKIP_2) | instid1(VALU_DEP_1)
	v_cndmask_b32_e64 v7, v9, 1, s19
	s_wait_dscnt 0x5
	v_cmp_eq_u16_e64 s19, 0, v12
	v_dual_cndmask_b32 v36, 0, v34, s19 :: v_dual_bitop2_b32 v12, 1, v12 bitop3:0x40
	v_cmp_eq_u32_e64 s19, 1, v35
	s_wait_dscnt 0x4
	s_delay_alu instid0(VALU_DEP_2) | instskip(NEXT) | instid1(VALU_DEP_2)
	v_add_nc_u16 v36, v36, v38
	v_cndmask_b32_e64 v35, v7, 1, s19
	v_cmp_eq_u32_e64 s19, 1, v12
	ds_store_b16 v4, v5 offset:4
	ds_store_b8 v4, v6 offset:6
	ds_store_b16 v4, v8 offset:8
	ds_store_b8 v4, v9 offset:10
	;; [unrolled: 2-line block ×4, first 2 shown]
	v_cndmask_b32_e64 v12, v35, 1, s19
	s_wait_dscnt 0xb
	v_cmp_eq_u16_e64 s19, 0, v39
	s_delay_alu instid0(VALU_DEP_1) | instskip(NEXT) | instid1(VALU_DEP_1)
	v_dual_cndmask_b32 v39, 0, v36, s19 :: v_dual_bitop2_b32 v38, 1, v39 bitop3:0x40
	v_cmp_eq_u32_e64 s19, 1, v38
	s_wait_dscnt 0x9
	s_delay_alu instid0(VALU_DEP_2) | instskip(SKIP_1) | instid1(VALU_DEP_3)
	v_add_nc_u16 v37, v39, v37
	v_and_b32_e32 v42, 1, v40
	v_cndmask_b32_e64 v38, v12, 1, s19
	s_delay_alu instid0(VALU_DEP_2) | instskip(NEXT) | instid1(VALU_DEP_1)
	v_cmp_eq_u32_e64 s19, 1, v42
	v_cndmask_b32_e64 v39, v38, 1, s19
	v_cmp_eq_u16_e64 s19, 0, v40
	s_delay_alu instid0(VALU_DEP_1) | instskip(SKIP_1) | instid1(VALU_DEP_1)
	v_cndmask_b32_e64 v40, 0, v37, s19
	s_wait_dscnt 0x8
	v_add_nc_u16 v5, v40, v41
	ds_store_b16 v4, v36 offset:20
	ds_store_b8 v4, v12 offset:22
	ds_store_b16 v4, v37 offset:24
	ds_store_b8 v4, v38 offset:26
	;; [unrolled: 2-line block ×3, first 2 shown]
.LBB821_119:
	s_or_b32 exec_lo, exec_lo, s20
	v_cmp_eq_u32_e64 s19, 0, v0
	s_mov_b32 s21, exec_lo
	s_wait_dscnt 0x0
	s_barrier_signal -1
	s_barrier_wait -1
	v_cmpx_ne_u32_e32 0, v0
	s_cbranch_execz .LBB821_121
; %bb.120:
	v_add_nc_u32_e32 v4, -1, v0
	s_delay_alu instid0(VALU_DEP_1) | instskip(NEXT) | instid1(VALU_DEP_1)
	v_lshrrev_b32_e32 v5, 3, v4
	v_and_b32_e32 v5, 0x1ffffffc, v5
	s_delay_alu instid0(VALU_DEP_1)
	v_lshl_add_u32 v4, v4, 2, v5
	ds_load_u16 v32, v4
	ds_load_u8 v33, v4 offset:2
.LBB821_121:
	s_or_b32 exec_lo, exec_lo, s21
	s_and_saveexec_b32 s21, vcc_lo
	s_cbranch_execz .LBB821_251
; %bb.122:
	v_mov_b32_e32 v13, 0
	v_mbcnt_lo_u32_b32 v34, -1, 0
	ds_load_b32 v4, v13 offset:1048
	v_cmp_eq_u32_e64 s20, 0, v34
	s_and_saveexec_b32 s39, s20
	s_cbranch_execz .LBB821_124
; %bb.123:
	s_add_co_i32 s40, s38, 32
	s_delay_alu instid0(SALU_CYCLE_1)
	v_dual_mov_b32 v5, 1 :: v_dual_mov_b32 v6, s40
	s_wait_dscnt 0x0
	global_store_b64 v6, v[4:5], s[24:25] scale_offset scope:SCOPE_DEV
.LBB821_124:
	s_wait_xcnt 0x0
	s_or_b32 exec_lo, exec_lo, s39
	v_xad_u32 v6, v34, -1, s38
	s_mov_b32 s39, exec_lo
	s_delay_alu instid0(VALU_DEP_1) | instskip(SKIP_4) | instid1(VALU_DEP_1)
	v_add_nc_u32_e32 v12, 32, v6
	global_load_b64 v[8:9], v12, s[24:25] scale_offset scope:SCOPE_DEV
	s_wait_loadcnt 0x0
	v_and_b32_e32 v5, 0xff, v9
	s_wait_xcnt 0x0
	v_cmpx_eq_u16_e32 0, v5
	s_cbranch_execz .LBB821_128
; %bb.125:
	v_lshl_add_u64 v[12:13], v[12:13], 3, s[24:25]
	s_mov_b32 s40, 0
.LBB821_126:                            ; =>This Inner Loop Header: Depth=1
	global_load_b64 v[8:9], v[12:13], off scope:SCOPE_DEV
	s_wait_loadcnt 0x0
	v_and_b32_e32 v5, 0xff, v9
	s_delay_alu instid0(VALU_DEP_1)
	v_cmp_ne_u16_e32 vcc_lo, 0, v5
	s_or_b32 s40, vcc_lo, s40
	s_wait_xcnt 0x0
	s_and_not1_b32 exec_lo, exec_lo, s40
	s_cbranch_execnz .LBB821_126
; %bb.127:
	s_or_b32 exec_lo, exec_lo, s40
.LBB821_128:
	s_delay_alu instid0(SALU_CYCLE_1)
	s_or_b32 exec_lo, exec_lo, s39
	v_cmp_ne_u32_e32 vcc_lo, 31, v34
	v_and_b32_e32 v46, 0xffffff, v8
	v_and_b32_e32 v7, 0xff, v9
	v_lshlrev_b32_e64 v35, v34, -1
	v_bfe_u32 v13, v8, 16, 8
	v_add_co_ci_u32_e64 v5, null, 0, v34, vcc_lo
	s_delay_alu instid0(VALU_DEP_4) | instskip(SKIP_1) | instid1(VALU_DEP_2)
	v_cmp_eq_u16_e32 vcc_lo, 2, v7
	s_mov_b32 s39, exec_lo
	v_dual_lshrrev_b32 v12, 16, v8 :: v_dual_lshlrev_b32 v5, 2, v5
	v_and_or_b32 v7, vcc_lo, v35, 0x80000000
	ds_bpermute_b32 v36, v5, v46
	v_ctz_i32_b32_e32 v7, v7
	s_delay_alu instid0(VALU_DEP_1)
	v_cmpx_lt_u32_e64 v34, v7
	s_cbranch_execz .LBB821_130
; %bb.129:
	v_and_b32_e32 v12, 0xff0000, v8
	s_delay_alu instid0(VALU_DEP_1) | instskip(SKIP_3) | instid1(VALU_DEP_1)
	v_and_b32_e32 v37, 0x10000, v12
	v_cmp_eq_u32_e32 vcc_lo, 0, v12
	s_wait_dscnt 0x0
	v_dual_cndmask_b32 v36, 0, v36 :: v_dual_lshrrev_b32 v13, 16, v36
	v_and_b32_e32 v13, 1, v13
	v_cmp_ne_u32_e32 vcc_lo, 0, v37
	s_delay_alu instid0(VALU_DEP_3) | instskip(NEXT) | instid1(VALU_DEP_3)
	v_add_nc_u16 v8, v36, v8
	v_cndmask_b32_e64 v12, v13, 1, vcc_lo
	s_delay_alu instid0(VALU_DEP_2) | instskip(NEXT) | instid1(VALU_DEP_2)
	v_and_b32_e32 v36, 0xffff, v8
	v_lshlrev_b32_e32 v13, 16, v12
	s_delay_alu instid0(VALU_DEP_1)
	v_dual_mov_b32 v13, v12 :: v_dual_bitop2_b32 v46, v13, v36 bitop3:0x54
.LBB821_130:
	s_or_b32 exec_lo, exec_lo, s39
	v_cmp_gt_u32_e32 vcc_lo, 30, v34
	v_add_nc_u32_e32 v37, 2, v34
	s_mov_b32 s39, exec_lo
	s_wait_dscnt 0x0
	v_cndmask_b32_e64 v36, 0, 2, vcc_lo
	s_delay_alu instid0(VALU_DEP_1)
	v_add_lshl_u32 v36, v36, v34, 2
	ds_bpermute_b32 v38, v36, v46
	v_cmpx_le_u32_e64 v37, v7
	s_cbranch_execz .LBB821_132
; %bb.131:
	v_cmp_eq_u16_e32 vcc_lo, 0, v13
	s_wait_dscnt 0x0
	v_dual_lshrrev_b32 v12, 16, v38 :: v_dual_bitop2_b32 v13, 1, v13 bitop3:0x40
	s_delay_alu instid0(VALU_DEP_1) | instskip(NEXT) | instid1(VALU_DEP_2)
	v_dual_cndmask_b32 v38, 0, v38, vcc_lo :: v_dual_bitop2_b32 v12, 1, v12 bitop3:0x40
	v_cmp_eq_u32_e32 vcc_lo, 1, v13
	s_delay_alu instid0(VALU_DEP_2) | instskip(NEXT) | instid1(VALU_DEP_3)
	v_add_nc_u16 v8, v38, v8
	v_cndmask_b32_e64 v12, v12, 1, vcc_lo
	s_delay_alu instid0(VALU_DEP_2) | instskip(NEXT) | instid1(VALU_DEP_2)
	v_and_b32_e32 v13, 0xffff, v8
	v_lshlrev_b32_e32 v38, 16, v12
	s_delay_alu instid0(VALU_DEP_1)
	v_dual_mov_b32 v13, v12 :: v_dual_bitop2_b32 v46, v38, v13 bitop3:0x54
.LBB821_132:
	s_or_b32 exec_lo, exec_lo, s39
	v_cmp_gt_u32_e32 vcc_lo, 28, v34
	v_add_nc_u32_e32 v39, 4, v34
	s_mov_b32 s39, exec_lo
	s_wait_dscnt 0x0
	v_cndmask_b32_e64 v38, 0, 4, vcc_lo
	s_delay_alu instid0(VALU_DEP_1)
	v_add_lshl_u32 v38, v38, v34, 2
	ds_bpermute_b32 v40, v38, v46
	v_cmpx_le_u32_e64 v39, v7
	s_cbranch_execz .LBB821_134
; %bb.133:
	v_cmp_eq_u16_e32 vcc_lo, 0, v13
	s_wait_dscnt 0x0
	v_dual_lshrrev_b32 v12, 16, v40 :: v_dual_bitop2_b32 v13, 1, v13 bitop3:0x40
	v_cndmask_b32_e32 v40, 0, v40, vcc_lo
	s_delay_alu instid0(VALU_DEP_2) | instskip(NEXT) | instid1(VALU_DEP_3)
	v_and_b32_e32 v12, 1, v12
	v_cmp_eq_u32_e32 vcc_lo, 1, v13
	s_delay_alu instid0(VALU_DEP_3) | instskip(NEXT) | instid1(VALU_DEP_3)
	v_add_nc_u16 v8, v40, v8
	v_cndmask_b32_e64 v12, v12, 1, vcc_lo
	s_delay_alu instid0(VALU_DEP_2) | instskip(NEXT) | instid1(VALU_DEP_2)
	v_and_b32_e32 v13, 0xffff, v8
	v_lshlrev_b32_e32 v40, 16, v12
	s_delay_alu instid0(VALU_DEP_1)
	v_or_b32_e32 v46, v40, v13
	v_mov_b32_e32 v13, v12
.LBB821_134:
	s_or_b32 exec_lo, exec_lo, s39
	v_cmp_gt_u32_e32 vcc_lo, 24, v34
	v_add_nc_u32_e32 v41, 8, v34
	s_mov_b32 s39, exec_lo
	s_wait_dscnt 0x0
	v_cndmask_b32_e64 v40, 0, 8, vcc_lo
	s_delay_alu instid0(VALU_DEP_1)
	v_add_lshl_u32 v40, v40, v34, 2
	ds_bpermute_b32 v42, v40, v46
	v_cmpx_le_u32_e64 v41, v7
	s_cbranch_execz .LBB821_136
; %bb.135:
	v_cmp_eq_u16_e32 vcc_lo, 0, v13
	s_wait_dscnt 0x0
	v_dual_lshrrev_b32 v12, 16, v42 :: v_dual_bitop2_b32 v13, 1, v13 bitop3:0x40
	s_delay_alu instid0(VALU_DEP_1) | instskip(NEXT) | instid1(VALU_DEP_2)
	v_dual_cndmask_b32 v42, 0, v42, vcc_lo :: v_dual_bitop2_b32 v12, 1, v12 bitop3:0x40
	v_cmp_eq_u32_e32 vcc_lo, 1, v13
	s_delay_alu instid0(VALU_DEP_2) | instskip(NEXT) | instid1(VALU_DEP_3)
	v_add_nc_u16 v8, v42, v8
	v_cndmask_b32_e64 v12, v12, 1, vcc_lo
	s_delay_alu instid0(VALU_DEP_2) | instskip(NEXT) | instid1(VALU_DEP_2)
	v_and_b32_e32 v13, 0xffff, v8
	v_lshlrev_b32_e32 v42, 16, v12
	s_delay_alu instid0(VALU_DEP_1)
	v_dual_mov_b32 v13, v12 :: v_dual_bitop2_b32 v46, v42, v13 bitop3:0x54
.LBB821_136:
	s_or_b32 exec_lo, exec_lo, s39
	s_wait_dscnt 0x0
	v_lshl_or_b32 v42, v34, 2, 64
	v_add_nc_u32_e32 v47, 16, v34
	s_mov_b32 s39, exec_lo
	ds_bpermute_b32 v46, v42, v46
	v_cmpx_le_u32_e64 v47, v7
	s_cbranch_execz .LBB821_138
; %bb.137:
	v_cmp_eq_u16_e32 vcc_lo, 0, v13
	s_wait_dscnt 0x0
	v_dual_lshrrev_b32 v7, 16, v46 :: v_dual_bitop2_b32 v13, 1, v13 bitop3:0x40
	s_delay_alu instid0(VALU_DEP_1) | instskip(NEXT) | instid1(VALU_DEP_2)
	v_dual_cndmask_b32 v12, 0, v46, vcc_lo :: v_dual_bitop2_b32 v7, 1, v7 bitop3:0x40
	v_cmp_eq_u32_e32 vcc_lo, 1, v13
	s_delay_alu instid0(VALU_DEP_2) | instskip(NEXT) | instid1(VALU_DEP_3)
	v_add_nc_u16 v8, v12, v8
	v_cndmask_b32_e64 v12, v7, 1, vcc_lo
.LBB821_138:
	s_or_b32 exec_lo, exec_lo, s39
	v_mov_b32_e32 v7, 0
	s_branch .LBB821_141
.LBB821_139:                            ;   in Loop: Header=BB821_141 Depth=1
	s_or_b32 exec_lo, exec_lo, s39
	v_and_b32_e32 v12, 0xff, v46
	s_delay_alu instid0(VALU_DEP_2) | instskip(SKIP_2) | instid1(VALU_DEP_3)
	v_and_b32_e32 v13, 1, v13
	v_subrev_nc_u32_e32 v6, 32, v6
	s_mov_b32 s39, 0
	v_cmp_eq_u16_e32 vcc_lo, 0, v12
	v_dual_cndmask_b32 v8, 0, v8, vcc_lo :: v_dual_bitop2_b32 v12, 1, v46 bitop3:0x40
	s_delay_alu instid0(VALU_DEP_1) | instskip(NEXT) | instid1(VALU_DEP_2)
	v_cmp_eq_u32_e32 vcc_lo, 1, v12
	v_add_nc_u16 v8, v8, v48
	v_cndmask_b32_e64 v12, v13, 1, vcc_lo
.LBB821_140:                            ;   in Loop: Header=BB821_141 Depth=1
	s_and_b32 vcc_lo, exec_lo, s39
	s_cbranch_vccnz .LBB821_247
.LBB821_141:                            ; =>This Loop Header: Depth=1
                                        ;     Child Loop BB821_144 Depth 2
	v_and_b32_e32 v9, 0xff, v9
	s_wait_dscnt 0x0
	v_dual_mov_b32 v46, v12 :: v_dual_mov_b32 v48, v8
	s_mov_b32 s39, -1
                                        ; implicit-def: $vgpr12
	s_delay_alu instid0(VALU_DEP_2)
	v_cmp_ne_u16_e32 vcc_lo, 2, v9
                                        ; implicit-def: $vgpr8
	s_cmp_lg_u32 vcc_lo, exec_lo
	s_cbranch_scc1 .LBB821_140
; %bb.142:                              ;   in Loop: Header=BB821_141 Depth=1
	global_load_b64 v[8:9], v6, s[24:25] scale_offset scope:SCOPE_DEV
	s_mov_b32 s39, exec_lo
	s_wait_loadcnt 0x0
	v_and_b32_e32 v12, 0xff, v9
	s_wait_xcnt 0x0
	s_delay_alu instid0(VALU_DEP_1)
	v_cmpx_eq_u16_e32 0, v12
	s_cbranch_execz .LBB821_146
; %bb.143:                              ;   in Loop: Header=BB821_141 Depth=1
	v_lshl_add_u64 v[12:13], v[6:7], 3, s[24:25]
	s_mov_b32 s40, 0
.LBB821_144:                            ;   Parent Loop BB821_141 Depth=1
                                        ; =>  This Inner Loop Header: Depth=2
	global_load_b64 v[8:9], v[12:13], off scope:SCOPE_DEV
	s_wait_loadcnt 0x0
	v_and_b32_e32 v49, 0xff, v9
	s_delay_alu instid0(VALU_DEP_1)
	v_cmp_ne_u16_e32 vcc_lo, 0, v49
	s_or_b32 s40, vcc_lo, s40
	s_wait_xcnt 0x0
	s_and_not1_b32 exec_lo, exec_lo, s40
	s_cbranch_execnz .LBB821_144
; %bb.145:                              ;   in Loop: Header=BB821_141 Depth=1
	s_or_b32 exec_lo, exec_lo, s40
.LBB821_146:                            ;   in Loop: Header=BB821_141 Depth=1
	s_delay_alu instid0(SALU_CYCLE_1)
	s_or_b32 exec_lo, exec_lo, s39
	v_and_b32_e32 v50, 0xffffff, v8
	v_and_b32_e32 v12, 0xff, v9
	v_lshrrev_b32_e32 v13, 16, v8
	v_bfe_u32 v49, v8, 16, 8
	s_mov_b32 s39, exec_lo
	ds_bpermute_b32 v51, v5, v50
	v_cmp_eq_u16_e32 vcc_lo, 2, v12
	v_and_or_b32 v12, vcc_lo, v35, 0x80000000
	s_delay_alu instid0(VALU_DEP_1) | instskip(NEXT) | instid1(VALU_DEP_1)
	v_ctz_i32_b32_e32 v12, v12
	v_cmpx_lt_u32_e64 v34, v12
	s_cbranch_execz .LBB821_148
; %bb.147:                              ;   in Loop: Header=BB821_141 Depth=1
	v_and_b32_e32 v13, 0xff0000, v8
	s_delay_alu instid0(VALU_DEP_1) | instskip(SKIP_3) | instid1(VALU_DEP_1)
	v_and_b32_e32 v50, 0x10000, v13
	v_cmp_eq_u32_e32 vcc_lo, 0, v13
	s_wait_dscnt 0x0
	v_dual_lshrrev_b32 v49, 16, v51 :: v_dual_cndmask_b32 v51, 0, v51, vcc_lo
	v_and_b32_e32 v49, 1, v49
	v_cmp_ne_u32_e32 vcc_lo, 0, v50
	s_delay_alu instid0(VALU_DEP_3) | instskip(NEXT) | instid1(VALU_DEP_3)
	v_add_nc_u16 v8, v51, v8
	v_cndmask_b32_e64 v13, v49, 1, vcc_lo
	s_delay_alu instid0(VALU_DEP_2) | instskip(NEXT) | instid1(VALU_DEP_2)
	v_and_b32_e32 v50, 0xffff, v8
	v_lshlrev_b32_e32 v49, 16, v13
	s_delay_alu instid0(VALU_DEP_1)
	v_or_b32_e32 v50, v49, v50
	v_mov_b32_e32 v49, v13
.LBB821_148:                            ;   in Loop: Header=BB821_141 Depth=1
	s_or_b32 exec_lo, exec_lo, s39
	s_wait_dscnt 0x0
	ds_bpermute_b32 v51, v36, v50
	s_mov_b32 s39, exec_lo
	v_cmpx_le_u32_e64 v37, v12
	s_cbranch_execz .LBB821_150
; %bb.149:                              ;   in Loop: Header=BB821_141 Depth=1
	v_cmp_eq_u16_e32 vcc_lo, 0, v49
	s_wait_dscnt 0x0
	v_dual_lshrrev_b32 v13, 16, v51 :: v_dual_bitop2_b32 v49, 1, v49 bitop3:0x40
	s_delay_alu instid0(VALU_DEP_1) | instskip(NEXT) | instid1(VALU_DEP_2)
	v_dual_cndmask_b32 v50, 0, v51, vcc_lo :: v_dual_bitop2_b32 v13, 1, v13 bitop3:0x40
	v_cmp_eq_u32_e32 vcc_lo, 1, v49
	s_delay_alu instid0(VALU_DEP_2) | instskip(NEXT) | instid1(VALU_DEP_3)
	v_add_nc_u16 v8, v50, v8
	v_cndmask_b32_e64 v13, v13, 1, vcc_lo
	s_delay_alu instid0(VALU_DEP_2) | instskip(NEXT) | instid1(VALU_DEP_2)
	v_and_b32_e32 v49, 0xffff, v8
	v_lshlrev_b32_e32 v50, 16, v13
	s_delay_alu instid0(VALU_DEP_1)
	v_dual_mov_b32 v49, v13 :: v_dual_bitop2_b32 v50, v50, v49 bitop3:0x54
.LBB821_150:                            ;   in Loop: Header=BB821_141 Depth=1
	s_or_b32 exec_lo, exec_lo, s39
	s_wait_dscnt 0x0
	ds_bpermute_b32 v51, v38, v50
	s_mov_b32 s39, exec_lo
	v_cmpx_le_u32_e64 v39, v12
	s_cbranch_execz .LBB821_152
; %bb.151:                              ;   in Loop: Header=BB821_141 Depth=1
	v_cmp_eq_u16_e32 vcc_lo, 0, v49
	s_wait_dscnt 0x0
	v_dual_lshrrev_b32 v13, 16, v51 :: v_dual_bitop2_b32 v49, 1, v49 bitop3:0x40
	s_delay_alu instid0(VALU_DEP_1) | instskip(NEXT) | instid1(VALU_DEP_2)
	v_dual_cndmask_b32 v50, 0, v51, vcc_lo :: v_dual_bitop2_b32 v13, 1, v13 bitop3:0x40
	v_cmp_eq_u32_e32 vcc_lo, 1, v49
	s_delay_alu instid0(VALU_DEP_2) | instskip(NEXT) | instid1(VALU_DEP_3)
	v_add_nc_u16 v8, v50, v8
	v_cndmask_b32_e64 v13, v13, 1, vcc_lo
	s_delay_alu instid0(VALU_DEP_2) | instskip(NEXT) | instid1(VALU_DEP_2)
	v_and_b32_e32 v49, 0xffff, v8
	v_lshlrev_b32_e32 v50, 16, v13
	s_delay_alu instid0(VALU_DEP_1)
	v_dual_mov_b32 v49, v13 :: v_dual_bitop2_b32 v50, v50, v49 bitop3:0x54
.LBB821_152:                            ;   in Loop: Header=BB821_141 Depth=1
	;; [unrolled: 22-line block ×3, first 2 shown]
	s_or_b32 exec_lo, exec_lo, s39
	ds_bpermute_b32 v50, v42, v50
	s_mov_b32 s39, exec_lo
	v_cmpx_le_u32_e64 v47, v12
	s_cbranch_execz .LBB821_139
; %bb.155:                              ;   in Loop: Header=BB821_141 Depth=1
	v_cmp_eq_u16_e32 vcc_lo, 0, v49
	s_wait_dscnt 0x0
	v_dual_lshrrev_b32 v49, 16, v50 :: v_dual_bitop2_b32 v13, 1, v49 bitop3:0x40
	v_cndmask_b32_e32 v12, 0, v50, vcc_lo
	s_delay_alu instid0(VALU_DEP_2) | instskip(NEXT) | instid1(VALU_DEP_2)
	v_cmp_eq_u32_e32 vcc_lo, 1, v13
	v_add_nc_u16 v8, v12, v8
	s_delay_alu instid0(VALU_DEP_4)
	v_cndmask_b32_e64 v13, v49, 1, vcc_lo
	s_branch .LBB821_139
.LBB821_156:
	s_or_b32 exec_lo, exec_lo, s39
                                        ; implicit-def: $vgpr12
	s_and_saveexec_b32 s39, s0
	s_cbranch_execz .LBB821_43
.LBB821_157:
	flat_load_u16 v12, v0, s[20:21] offset:512 scale_offset
	s_wait_xcnt 0x0
	s_or_b32 exec_lo, exec_lo, s39
                                        ; implicit-def: $vgpr13
	s_and_saveexec_b32 s0, s1
	s_cbranch_execnz .LBB821_44
.LBB821_158:
	s_or_b32 exec_lo, exec_lo, s0
                                        ; implicit-def: $vgpr14
	s_and_saveexec_b32 s0, s2
	s_cbranch_execz .LBB821_45
.LBB821_159:
	flat_load_u16 v14, v0, s[20:21] offset:1536 scale_offset
	s_wait_xcnt 0x0
	s_or_b32 exec_lo, exec_lo, s0
                                        ; implicit-def: $vgpr15
	s_and_saveexec_b32 s0, s3
	s_cbranch_execnz .LBB821_46
.LBB821_160:
	s_or_b32 exec_lo, exec_lo, s0
                                        ; implicit-def: $vgpr16
	s_and_saveexec_b32 s0, s4
	s_cbranch_execz .LBB821_47
.LBB821_161:
	flat_load_u16 v16, v0, s[20:21] offset:2560 scale_offset
	s_wait_xcnt 0x0
	s_or_b32 exec_lo, exec_lo, s0
                                        ; implicit-def: $vgpr17
	s_and_saveexec_b32 s0, s5
	s_cbranch_execnz .LBB821_48
.LBB821_162:
	s_or_b32 exec_lo, exec_lo, s0
                                        ; implicit-def: $vgpr18
	s_and_saveexec_b32 s0, s6
	s_cbranch_execz .LBB821_49
.LBB821_163:
	flat_load_u16 v18, v0, s[20:21] offset:3584 scale_offset
	s_wait_xcnt 0x0
	s_or_b32 exec_lo, exec_lo, s0
                                        ; implicit-def: $vgpr19
	s_and_saveexec_b32 s0, s7
	s_cbranch_execnz .LBB821_50
.LBB821_164:
	s_or_b32 exec_lo, exec_lo, s0
                                        ; implicit-def: $vgpr20
	s_and_saveexec_b32 s0, s8
	s_cbranch_execz .LBB821_51
.LBB821_165:
	flat_load_u16 v20, v0, s[20:21] offset:4608 scale_offset
	s_wait_xcnt 0x0
	s_or_b32 exec_lo, exec_lo, s0
                                        ; implicit-def: $vgpr21
	s_and_saveexec_b32 s0, s9
	s_cbranch_execnz .LBB821_52
.LBB821_166:
	s_or_b32 exec_lo, exec_lo, s0
                                        ; implicit-def: $vgpr22
	s_and_saveexec_b32 s0, s10
	s_cbranch_execz .LBB821_53
.LBB821_167:
	flat_load_u16 v22, v0, s[20:21] offset:5632 scale_offset
	s_wait_xcnt 0x0
	s_or_b32 exec_lo, exec_lo, s0
                                        ; implicit-def: $vgpr23
	s_and_saveexec_b32 s0, s11
	s_cbranch_execnz .LBB821_54
.LBB821_168:
	s_or_b32 exec_lo, exec_lo, s0
                                        ; implicit-def: $vgpr24
	s_and_saveexec_b32 s0, s12
	s_cbranch_execz .LBB821_55
.LBB821_169:
	flat_load_u16 v24, v0, s[20:21] offset:6656 scale_offset
	s_wait_xcnt 0x0
	s_or_b32 exec_lo, exec_lo, s0
                                        ; implicit-def: $vgpr25
	s_and_saveexec_b32 s0, s13
	s_cbranch_execnz .LBB821_56
.LBB821_170:
	s_or_b32 exec_lo, exec_lo, s0
                                        ; implicit-def: $vgpr26
	s_and_saveexec_b32 s0, s14
	s_cbranch_execz .LBB821_57
.LBB821_171:
	flat_load_u16 v26, v0, s[20:21] offset:7680 scale_offset
	s_wait_xcnt 0x0
	s_or_b32 exec_lo, exec_lo, s0
                                        ; implicit-def: $vgpr27
	s_and_saveexec_b32 s0, s15
	s_cbranch_execnz .LBB821_58
.LBB821_172:
	s_or_b32 exec_lo, exec_lo, s0
                                        ; implicit-def: $vgpr28
	s_and_saveexec_b32 s0, s16
	s_cbranch_execz .LBB821_59
.LBB821_173:
	flat_load_u16 v28, v0, s[20:21] offset:8704 scale_offset
	s_wait_xcnt 0x0
	s_or_b32 exec_lo, exec_lo, s0
                                        ; implicit-def: $vgpr29
	s_and_saveexec_b32 s0, s17
	s_cbranch_execz .LBB821_61
	s_branch .LBB821_60
.LBB821_174:
                                        ; implicit-def: $vgpr5
                                        ; implicit-def: $vgpr4
                                        ; implicit-def: $vgpr6
                                        ; implicit-def: $vgpr7
                                        ; implicit-def: $vgpr8
                                        ; implicit-def: $vgpr9
                                        ; implicit-def: $vgpr12
                                        ; implicit-def: $vgpr14
                                        ; implicit-def: $vgpr13
                                        ; implicit-def: $vgpr32
                                        ; implicit-def: $vgpr33
                                        ; implicit-def: $vgpr34
                                        ; implicit-def: $vgpr35
                                        ; implicit-def: $vgpr36
                                        ; implicit-def: $vgpr37
                                        ; implicit-def: $vgpr39
                                        ; implicit-def: $vgpr38
                                        ; implicit-def: $vgpr40
                                        ; implicit-def: $vgpr41
                                        ; implicit-def: $vgpr42
	s_cbranch_execnz .LBB821_252
.LBB821_175:
	s_add_nc_u64 s[0:1], s[22:23], s[34:35]
	s_and_b32 vcc_lo, exec_lo, s27
	s_add_nc_u64 s[0:1], s[0:1], s[28:29]
	s_cbranch_vccz .LBB821_271
.LBB821_176:
	v_mul_u32_u24_e32 v1, 20, v0
	s_add_co_i32 s33, s33, s26
	s_mov_b32 s2, exec_lo
	s_delay_alu instid0(VALU_DEP_1)
	v_cmpx_gt_u32_e64 s33, v1
	s_cbranch_execz .LBB821_208
; %bb.177:
	v_or_b32_e32 v3, 1, v1
	s_mov_b32 s3, exec_lo
	s_delay_alu instid0(VALU_DEP_1)
	v_cmpx_gt_u32_e64 s33, v3
	s_cbranch_execz .LBB821_207
; %bb.178:
	v_or_b32_e32 v3, 2, v1
	;; [unrolled: 6-line block ×3, first 2 shown]
	s_mov_b32 s5, exec_lo
	s_delay_alu instid0(VALU_DEP_1)
	v_cmpx_gt_u32_e64 s33, v3
	s_cbranch_execz .LBB821_205
; %bb.180:
	v_add_nc_u32_e32 v3, 4, v1
	s_mov_b32 s6, exec_lo
	s_delay_alu instid0(VALU_DEP_1)
	v_cmpx_gt_u32_e64 s33, v3
	s_cbranch_execz .LBB821_204
; %bb.181:
	v_add_nc_u32_e32 v3, 5, v1
	;; [unrolled: 6-line block ×12, first 2 shown]
	s_mov_b32 s17, exec_lo
	s_delay_alu instid0(VALU_DEP_1)
	v_cmpx_gt_u32_e64 s33, v3
; %bb.192:
	v_add_nc_u32_e32 v3, 16, v1
	s_mov_b32 s18, exec_lo
	s_delay_alu instid0(VALU_DEP_1)
	v_cmpx_gt_u32_e64 s33, v3
	s_or_b32 exec_lo, exec_lo, s18
; %bb.193:
	s_delay_alu instid0(SALU_CYCLE_1)
	s_or_b32 exec_lo, exec_lo, s17
.LBB821_194:
	s_delay_alu instid0(SALU_CYCLE_1)
	s_or_b32 exec_lo, exec_lo, s16
.LBB821_195:
	s_delay_alu instid0(SALU_CYCLE_1)
	s_or_b32 exec_lo, exec_lo, s15
.LBB821_196:
	s_delay_alu instid0(SALU_CYCLE_1)
	s_or_b32 exec_lo, exec_lo, s14
.LBB821_197:
	s_delay_alu instid0(SALU_CYCLE_1)
	s_or_b32 exec_lo, exec_lo, s13
.LBB821_198:
	s_delay_alu instid0(SALU_CYCLE_1)
	s_or_b32 exec_lo, exec_lo, s12
.LBB821_199:
	s_delay_alu instid0(SALU_CYCLE_1)
	s_or_b32 exec_lo, exec_lo, s11
.LBB821_200:
	s_delay_alu instid0(SALU_CYCLE_1)
	s_or_b32 exec_lo, exec_lo, s10
.LBB821_201:
	s_delay_alu instid0(SALU_CYCLE_1)
	s_or_b32 exec_lo, exec_lo, s9
.LBB821_202:
	s_delay_alu instid0(SALU_CYCLE_1)
	s_or_b32 exec_lo, exec_lo, s8
.LBB821_203:
	s_delay_alu instid0(SALU_CYCLE_1)
	s_or_b32 exec_lo, exec_lo, s7
.LBB821_204:
	s_delay_alu instid0(SALU_CYCLE_1)
	s_or_b32 exec_lo, exec_lo, s6
.LBB821_205:
	s_delay_alu instid0(SALU_CYCLE_1)
	s_or_b32 exec_lo, exec_lo, s5
.LBB821_206:
	s_delay_alu instid0(SALU_CYCLE_1)
	s_or_b32 exec_lo, exec_lo, s4
.LBB821_207:
	s_delay_alu instid0(SALU_CYCLE_1)
	s_or_b32 exec_lo, exec_lo, s3
.LBB821_208:
	s_delay_alu instid0(SALU_CYCLE_1)
	s_or_b32 exec_lo, exec_lo, s2
	v_dual_mov_b32 v3, 0 :: v_dual_lshlrev_b32 v28, 1, v1
	v_perm_b32 v11, v14, v12, 0x5040100
	v_perm_b32 v10, v9, v8, 0x5040100
	;; [unrolled: 1-line block ×4, first 2 shown]
	v_mad_i32_i24 v1, 0xffffffda, v0, v28
	v_perm_b32 v19, v39, v37, 0x5040100
	v_perm_b32 v18, v36, v35, 0x5040100
	;; [unrolled: 1-line block ×6, first 2 shown]
	s_wait_storecnt 0x0
	s_barrier_signal -1
	s_barrier_wait -1
	ds_store_2addr_b64 v28, v[16:17], v[10:11] offset1:1
	ds_store_2addr_b64 v28, v[20:21], v[18:19] offset0:2 offset1:3
	ds_store_b64 v28, v[22:23] offset:32
	s_wait_dscnt 0x0
	s_barrier_signal -1
	s_barrier_wait -1
	ds_load_u16 v31, v1 offset:512
	ds_load_u16 v30, v1 offset:1024
	;; [unrolled: 1-line block ×19, first 2 shown]
	v_add_nc_u64_e32 v[2:3], s[0:1], v[2:3]
	s_mov_b32 s2, exec_lo
	v_cmpx_gt_u32_e64 s33, v0
	s_cbranch_execz .LBB821_210
; %bb.209:
	v_mul_i32_i24_e32 v43, 0xffffffda, v0
	s_delay_alu instid0(VALU_DEP_1)
	v_add_nc_u32_e32 v28, v28, v43
	ds_load_u16 v28, v28
	s_wait_dscnt 0x0
	flat_store_b16 v[2:3], v28
.LBB821_210:
	s_wait_xcnt 0x0
	s_or_b32 exec_lo, exec_lo, s2
	v_or_b32_e32 v28, 0x100, v0
	s_mov_b32 s2, exec_lo
	s_delay_alu instid0(VALU_DEP_1)
	v_cmpx_gt_u32_e64 s33, v28
	s_cbranch_execz .LBB821_212
; %bb.211:
	s_wait_dscnt 0x12
	flat_store_b16 v[2:3], v31 offset:512
.LBB821_212:
	s_wait_xcnt 0x0
	s_or_b32 exec_lo, exec_lo, s2
	v_or_b32_e32 v28, 0x200, v0
	s_mov_b32 s2, exec_lo
	s_delay_alu instid0(VALU_DEP_1)
	v_cmpx_gt_u32_e64 s33, v28
	s_cbranch_execz .LBB821_214
; %bb.213:
	s_wait_dscnt 0x11
	flat_store_b16 v[2:3], v30 offset:1024
.LBB821_214:
	;; [unrolled: 11-line block ×4, first 2 shown]
	s_wait_xcnt 0x0
	s_or_b32 exec_lo, exec_lo, s2
	s_wait_dscnt 0xf
	v_or_b32_e32 v27, 0x500, v0
	s_mov_b32 s2, exec_lo
	s_delay_alu instid0(VALU_DEP_1)
	v_cmpx_gt_u32_e64 s33, v27
	s_cbranch_execz .LBB821_220
; %bb.219:
	s_wait_dscnt 0xe
	flat_store_b16 v[2:3], v26 offset:2560
.LBB821_220:
	s_wait_xcnt 0x0
	s_or_b32 exec_lo, exec_lo, s2
	s_wait_dscnt 0xe
	v_or_b32_e32 v26, 0x600, v0
	s_mov_b32 s2, exec_lo
	s_delay_alu instid0(VALU_DEP_1)
	v_cmpx_gt_u32_e64 s33, v26
	s_cbranch_execz .LBB821_222
; %bb.221:
	s_wait_dscnt 0xd
	flat_store_b16 v[2:3], v25 offset:3072
.LBB821_222:
	;; [unrolled: 12-line block ×14, first 2 shown]
	s_wait_xcnt 0x0
	s_or_b32 exec_lo, exec_lo, s2
	v_or_b32_e32 v2, 0x1300, v0
	s_delay_alu instid0(VALU_DEP_1)
	v_cmp_gt_u32_e64 s2, s33, v2
	s_branch .LBB821_273
.LBB821_247:
	s_and_saveexec_b32 s39, s20
	s_cbranch_execz .LBB821_249
; %bb.248:
	v_and_b32_e32 v5, 0xff0000, v4
	v_and_b32_e32 v7, 0x10000, v4
	s_add_co_i32 s20, s38, 32
	s_delay_alu instid0(VALU_DEP_2) | instskip(SKIP_1) | instid1(VALU_DEP_1)
	v_cmp_eq_u32_e32 vcc_lo, 0, v5
	v_dual_cndmask_b32 v5, 0, v48, vcc_lo :: v_dual_bitop2_b32 v6, 1, v46 bitop3:0x40
	v_lshlrev_b32_e32 v6, 16, v6
	v_cmp_eq_u32_e32 vcc_lo, 0, v7
	s_delay_alu instid0(VALU_DEP_3) | instskip(NEXT) | instid1(VALU_DEP_3)
	v_add_nc_u16 v4, v5, v4
	v_dual_mov_b32 v5, 2 :: v_dual_cndmask_b32 v6, 0x10000, v6
	s_delay_alu instid0(VALU_DEP_2) | instskip(NEXT) | instid1(VALU_DEP_1)
	v_and_b32_e32 v4, 0xffff, v4
	v_dual_mov_b32 v6, s20 :: v_dual_bitop2_b32 v4, v6, v4 bitop3:0x54
	global_store_b64 v6, v[4:5], s[24:25] scale_offset scope:SCOPE_DEV
.LBB821_249:
	s_wait_xcnt 0x0
	s_or_b32 exec_lo, exec_lo, s39
	s_delay_alu instid0(SALU_CYCLE_1)
	s_and_b32 exec_lo, exec_lo, s19
	s_cbranch_execz .LBB821_251
; %bb.250:
	v_mov_b32_e32 v4, 0
	ds_store_b16 v4, v48
	ds_store_b8 v4, v46 offset:2
.LBB821_251:
	s_or_b32 exec_lo, exec_lo, s21
	v_and_b32_e32 v5, 0x10000, v10
	s_wait_storecnt_dscnt 0x0
	s_barrier_signal -1
	s_barrier_wait -1
	s_delay_alu instid0(VALU_DEP_1)
	v_cmp_ne_u32_e32 vcc_lo, 0, v5
	v_cndmask_b32_e64 v5, v33, 1, vcc_lo
	v_cmp_gt_u32_e32 vcc_lo, 0x10000, v10
	v_dual_mov_b32 v4, 0 :: v_dual_cndmask_b32 v6, 0, v32, vcc_lo
	ds_load_b32 v4, v4
	v_cndmask_b32_e64 v5, v5, v14, s19
	v_cndmask_b32_e64 v6, v6, 0, s19
	s_delay_alu instid0(VALU_DEP_2) | instskip(NEXT) | instid1(VALU_DEP_2)
	v_and_b32_e32 v5, 0xff, v5
	v_add_nc_u16 v6, v6, v10
	s_delay_alu instid0(VALU_DEP_2) | instskip(SKIP_2) | instid1(VALU_DEP_1)
	v_cmp_eq_u16_e32 vcc_lo, 0, v5
	s_wait_dscnt 0x0
	v_cndmask_b32_e32 v4, 0, v4, vcc_lo
	v_add_nc_u16 v5, v6, v4
	s_delay_alu instid0(VALU_DEP_1) | instskip(SKIP_1) | instid1(VALU_DEP_2)
	v_cndmask_b32_e64 v4, 0, v5, s18
	v_and_b32_e32 v5, 0xffff, v5
	v_add_nc_u16 v4, v4, v11
	s_delay_alu instid0(VALU_DEP_1) | instskip(NEXT) | instid1(VALU_DEP_1)
	v_cndmask_b32_e64 v6, 0, v4, s17
	v_add_nc_u16 v6, v6, v30
	s_delay_alu instid0(VALU_DEP_1) | instskip(NEXT) | instid1(VALU_DEP_1)
	v_cndmask_b32_e64 v7, 0, v6, s16
	;; [unrolled: 3-line block ×18, first 2 shown]
	v_add_nc_u16 v42, v42, v1
	s_branch .LBB821_175
.LBB821_252:
	s_cmp_lg_u64 s[36:37], 0
	v_cmp_eq_u32_e32 vcc_lo, 0, v0
	s_cselect_b32 s1, -1, 0
	s_cmp_lg_u64 s[30:31], 0
	v_cmp_ne_u32_e64 s0, 0, v0
	s_cselect_b32 s2, -1, 0
	v_mov_b32_e32 v5, v10
	s_and_b32 s1, s1, s2
	s_delay_alu instid0(SALU_CYCLE_1) | instskip(NEXT) | instid1(SALU_CYCLE_1)
	s_and_b32 s1, vcc_lo, s1
	s_and_saveexec_b32 s2, s1
	s_cbranch_execz .LBB821_254
; %bb.253:
	v_mov_b32_e32 v4, 0
	v_cmp_gt_u32_e64 s1, 0x10000, v10
	s_clause 0x1
	global_load_u16 v5, v4, s[30:31]
	global_load_u8 v6, v4, s[30:31] offset:2
	s_wait_loadcnt 0x0
	v_dual_cndmask_b32 v4, 0, v5, s1 :: v_dual_bitop2_b32 v5, 1, v6 bitop3:0x40
	v_and_b32_e32 v6, 0x10000, v10
	s_delay_alu instid0(VALU_DEP_2) | instskip(NEXT) | instid1(VALU_DEP_3)
	v_lshlrev_b32_e32 v5, 16, v5
	v_add_nc_u16 v4, v4, v10
	s_delay_alu instid0(VALU_DEP_3) | instskip(NEXT) | instid1(VALU_DEP_2)
	v_cmp_eq_u32_e64 s1, 0, v6
	v_and_b32_e32 v4, 0xffff, v4
	s_delay_alu instid0(VALU_DEP_2) | instskip(NEXT) | instid1(VALU_DEP_1)
	v_cndmask_b32_e64 v5, 0x10000, v5, s1
	v_or_b32_e32 v5, v5, v4
.LBB821_254:
	s_or_b32 exec_lo, exec_lo, s2
	v_cmp_gt_u32_e64 s1, 0x10000, v11
	v_cmp_gt_u32_e64 s3, 0x10000, v31
	;; [unrolled: 1-line block ×5, first 2 shown]
	v_cndmask_b32_e64 v4, 0, v5, s1
	v_cmp_gt_u32_e64 s8, 0x10000, v24
	v_cmp_gt_u32_e64 s6, 0x10000, v26
	;; [unrolled: 1-line block ×4, first 2 shown]
	v_add_nc_u16 v4, v4, v11
	v_cmp_gt_u32_e64 s9, 0x10000, v25
	v_cmp_gt_u32_e64 s10, 0x10000, v22
	;; [unrolled: 1-line block ×4, first 2 shown]
	v_cndmask_b32_e64 v6, 0, v4, s2
	v_cmp_gt_u32_e64 s12, 0x10000, v20
	v_cmp_gt_u32_e64 s13, 0x10000, v21
	;; [unrolled: 1-line block ×4, first 2 shown]
	v_add_nc_u16 v6, v6, v30
	v_cmp_gt_u32_e64 s16, 0x10000, v16
	v_cmp_gt_u32_e64 s17, 0x10000, v17
	v_or3_b32 v41, v45, v18, v21
	v_or3_b32 v42, v43, v26, v29
	v_cndmask_b32_e64 v7, 0, v6, s3
	s_mov_b32 s21, exec_lo
	v_and_b32_e32 v3, 28, v3
	s_delay_alu instid0(VALU_DEP_2) | instskip(NEXT) | instid1(VALU_DEP_2)
	v_add_nc_u16 v7, v7, v31
	v_lshl_add_u32 v3, v0, 2, v3
	s_delay_alu instid0(VALU_DEP_2) | instskip(NEXT) | instid1(VALU_DEP_1)
	v_cndmask_b32_e64 v8, 0, v7, s4
	v_add_nc_u16 v8, v8, v28
	s_delay_alu instid0(VALU_DEP_1) | instskip(NEXT) | instid1(VALU_DEP_1)
	v_cndmask_b32_e64 v9, 0, v8, s5
	v_add_nc_u16 v9, v9, v29
	s_delay_alu instid0(VALU_DEP_1) | instskip(NEXT) | instid1(VALU_DEP_1)
	;; [unrolled: 3-line block ×13, first 2 shown]
	v_cndmask_b32_e64 v10, 0, v38, s17
	v_add_nc_u16 v40, v10, v17
	v_or3_b32 v10, v41, v20, v23
	v_or3_b32 v41, v42, v28, v31
	s_delay_alu instid0(VALU_DEP_3) | instskip(NEXT) | instid1(VALU_DEP_3)
	v_cndmask_b32_e64 v42, 0, v40, s18
	v_or3_b32 v10, v10, v22, v25
	s_delay_alu instid0(VALU_DEP_3) | instskip(NEXT) | instid1(VALU_DEP_3)
	v_or3_b32 v43, v41, v30, v11
	v_add_nc_u16 v41, v42, v15
	s_delay_alu instid0(VALU_DEP_3) | instskip(NEXT) | instid1(VALU_DEP_2)
	v_or3_b32 v10, v1, v44, v10
	v_cndmask_b32_e64 v42, 0, v41, s19
	s_delay_alu instid0(VALU_DEP_2) | instskip(SKIP_1) | instid1(VALU_DEP_3)
	v_bitop3_b32 v10, v10, 0xff0000, v43 bitop3:0xc8
	v_lshrrev_b32_e32 v43, 16, v5
	v_add_nc_u16 v42, v42, v1
	s_delay_alu instid0(VALU_DEP_3) | instskip(NEXT) | instid1(VALU_DEP_1)
	v_cmp_eq_u32_e64 s20, 0, v10
	v_cndmask_b32_e64 v10, 1, v43, s20
	ds_store_b16 v3, v42
	ds_store_b8 v3, v10 offset:2
	s_wait_dscnt 0x0
	s_barrier_signal -1
	s_barrier_wait -1
	v_cmpx_gt_u32_e32 32, v0
	s_cbranch_execz .LBB821_266
; %bb.255:
	v_and_b32_e32 v3, 0xfc, v0
	v_lshlrev_b32_e32 v43, 5, v0
	s_mov_b32 s30, exec_lo
	s_delay_alu instid0(VALU_DEP_1)
	v_add_nc_u32_e32 v3, v3, v43
	ds_load_u8 v44, v3 offset:6
	ds_load_b32 v43, v3
	ds_load_u16 v45, v3 offset:4
	ds_load_u8 v46, v3 offset:10
	ds_load_u16 v47, v3 offset:8
	ds_load_u16 v48, v3 offset:12
	ds_load_u8 v49, v3 offset:14
	ds_load_u16 v50, v3 offset:16
	s_wait_dscnt 0x7
	v_cmp_eq_u16_e64 s20, 0, v44
	s_wait_dscnt 0x4
	s_delay_alu instid0(VALU_DEP_1) | instskip(SKIP_1) | instid1(VALU_DEP_2)
	v_dual_cndmask_b32 v51, 0, v43, s20 :: v_dual_bitop2_b32 v44, v46, v44 bitop3:0x54
	v_cmp_eq_u16_e64 s20, 0, v46
	v_add_nc_u16 v45, v51, v45
	ds_load_u8 v51, v3 offset:18
	v_cndmask_b32_e64 v45, 0, v45, s20
	s_wait_dscnt 0x2
	v_cmp_eq_u16_e64 s20, 0, v49
	s_delay_alu instid0(VALU_DEP_2) | instskip(SKIP_2) | instid1(VALU_DEP_1)
	v_add_nc_u16 v45, v45, v47
	ds_load_u8 v47, v3 offset:22
	v_cndmask_b32_e64 v45, 0, v45, s20
	v_add_nc_u16 v45, v45, v48
	ds_load_u16 v48, v3 offset:20
	ds_load_u16 v52, v3 offset:24
	ds_load_u8 v53, v3 offset:26
	ds_load_u16 v54, v3 offset:28
	ds_load_u8 v55, v3 offset:30
	s_wait_dscnt 0x6
	v_cmp_eq_u16_e64 s20, 0, v51
	v_bitop3_b16 v46, v44, v51, v49 bitop3:0xfe
	v_and_b32_e32 v44, 0x10000, v43
	s_delay_alu instid0(VALU_DEP_3)
	v_cndmask_b32_e64 v45, 0, v45, s20
	s_wait_dscnt 0x5
	v_cmp_eq_u16_e64 s20, 0, v47
	s_wait_dscnt 0x2
	v_bitop3_b16 v46, v46, v53, v47 bitop3:0xfe
	s_wait_dscnt 0x0
	v_and_b32_e32 v47, 1, v55
	v_add_nc_u16 v45, v45, v50
	s_delay_alu instid0(VALU_DEP_1) | instskip(SKIP_1) | instid1(VALU_DEP_2)
	v_cndmask_b32_e64 v45, 0, v45, s20
	v_cmp_eq_u16_e64 s20, 0, v53
	v_add_nc_u16 v45, v45, v48
	s_delay_alu instid0(VALU_DEP_1) | instskip(SKIP_1) | instid1(VALU_DEP_2)
	v_cndmask_b32_e64 v45, 0, v45, s20
	v_cmp_eq_u16_e64 s20, 0, v55
	;; [unrolled: 4-line block ×3, first 2 shown]
	v_add_nc_u16 v46, v45, v54
	s_delay_alu instid0(VALU_DEP_2) | instskip(SKIP_4) | instid1(VALU_DEP_4)
	v_cndmask_b32_e64 v48, 0x10000, v44, s20
	v_cmp_eq_u32_e64 s20, 1, v47
	v_and_b32_e32 v45, 0xff000000, v43
	v_mbcnt_lo_u32_b32 v47, -1, 0
	v_and_b32_e32 v49, 0xffff, v46
	v_cndmask_b32_e64 v48, v48, 0x10000, s20
	s_delay_alu instid0(VALU_DEP_1) | instskip(NEXT) | instid1(VALU_DEP_3)
	v_or_b32_e32 v50, v48, v45
	v_or3_b32 v51, v45, v49, v48
	s_delay_alu instid0(VALU_DEP_2) | instskip(NEXT) | instid1(VALU_DEP_2)
	v_dual_lshrrev_b32 v49, 16, v50 :: v_dual_bitop2_b32 v48, 15, v47 bitop3:0x40
	v_mov_b32_dpp v52, v51 row_shr:1 row_mask:0xf bank_mask:0xf
	s_delay_alu instid0(VALU_DEP_2)
	v_cmpx_ne_u32_e32 0, v48
	s_cbranch_execz .LBB821_257
; %bb.256:
	s_delay_alu instid0(VALU_DEP_2) | instskip(SKIP_1) | instid1(VALU_DEP_2)
	v_dual_lshrrev_b32 v49, 16, v50 :: v_dual_lshrrev_b32 v51, 16, v52
	v_and_b32_e32 v50, 0x10000, v50
	v_and_b32_e32 v49, 0xff, v49
	s_delay_alu instid0(VALU_DEP_1) | instskip(NEXT) | instid1(VALU_DEP_1)
	v_cmp_eq_u16_e64 s20, 0, v49
	v_dual_cndmask_b32 v52, 0, v52, s20 :: v_dual_bitop2_b32 v51, 1, v51 bitop3:0x40
	s_delay_alu instid0(VALU_DEP_4) | instskip(NEXT) | instid1(VALU_DEP_2)
	v_cmp_ne_u32_e64 s20, 0, v50
	v_add_nc_u16 v46, v52, v46
	s_delay_alu instid0(VALU_DEP_2) | instskip(NEXT) | instid1(VALU_DEP_2)
	v_cndmask_b32_e64 v49, v51, 1, s20
	v_and_b32_e32 v51, 0xffff, v46
	s_delay_alu instid0(VALU_DEP_2) | instskip(NEXT) | instid1(VALU_DEP_1)
	v_lshlrev_b32_e32 v50, 16, v49
	v_or3_b32 v51, v50, v51, v45
.LBB821_257:
	s_or_b32 exec_lo, exec_lo, s30
	s_delay_alu instid0(VALU_DEP_1)
	v_lshrrev_b32_e32 v50, 16, v51
	v_mov_b32_dpp v52, v51 row_shr:2 row_mask:0xf bank_mask:0xf
	s_mov_b32 s30, exec_lo
	v_cmpx_lt_u32_e32 1, v48
	s_cbranch_execz .LBB821_259
; %bb.258:
	v_and_b32_e32 v50, 0xff, v50
	v_and_b32_e32 v51, 0x10000, v51
	s_delay_alu instid0(VALU_DEP_2) | instskip(NEXT) | instid1(VALU_DEP_1)
	v_cmp_eq_u16_e64 s20, 0, v50
	v_dual_lshrrev_b32 v49, 16, v52 :: v_dual_cndmask_b32 v50, 0, v52, s20
	s_delay_alu instid0(VALU_DEP_1) | instskip(NEXT) | instid1(VALU_DEP_4)
	v_and_b32_e32 v49, 1, v49
	v_cmp_ne_u32_e64 s20, 0, v51
	s_delay_alu instid0(VALU_DEP_3) | instskip(NEXT) | instid1(VALU_DEP_2)
	v_add_nc_u16 v46, v50, v46
	v_cndmask_b32_e64 v49, v49, 1, s20
	s_delay_alu instid0(VALU_DEP_2) | instskip(NEXT) | instid1(VALU_DEP_2)
	v_and_b32_e32 v51, 0xffff, v46
	v_lshlrev_b32_e32 v50, 16, v49
	s_delay_alu instid0(VALU_DEP_1)
	v_or3_b32 v51, v50, v51, v45
	v_mov_b32_e32 v50, v49
.LBB821_259:
	s_or_b32 exec_lo, exec_lo, s30
	s_delay_alu instid0(VALU_DEP_2)
	v_mov_b32_dpp v52, v51 row_shr:4 row_mask:0xf bank_mask:0xf
	s_mov_b32 s30, exec_lo
	v_cmpx_lt_u32_e32 3, v48
	s_cbranch_execz .LBB821_261
; %bb.260:
	v_and_b32_e32 v51, 0xff, v50
	v_dual_lshrrev_b32 v49, 16, v52 :: v_dual_bitop2_b32 v50, 1, v50 bitop3:0x40
	s_delay_alu instid0(VALU_DEP_2) | instskip(NEXT) | instid1(VALU_DEP_1)
	v_cmp_eq_u16_e64 s20, 0, v51
	v_dual_cndmask_b32 v51, 0, v52, s20 :: v_dual_bitop2_b32 v49, 1, v49 bitop3:0x40
	s_delay_alu instid0(VALU_DEP_3) | instskip(NEXT) | instid1(VALU_DEP_2)
	v_cmp_eq_u32_e64 s20, 1, v50
	v_add_nc_u16 v46, v51, v46
	s_delay_alu instid0(VALU_DEP_2) | instskip(NEXT) | instid1(VALU_DEP_2)
	v_cndmask_b32_e64 v49, v49, 1, s20
	v_and_b32_e32 v51, 0xffff, v46
	s_delay_alu instid0(VALU_DEP_2) | instskip(NEXT) | instid1(VALU_DEP_1)
	v_lshlrev_b32_e32 v50, 16, v49
	v_or3_b32 v51, v50, v51, v45
	v_mov_b32_e32 v50, v49
.LBB821_261:
	s_or_b32 exec_lo, exec_lo, s30
	s_delay_alu instid0(VALU_DEP_2)
	v_mov_b32_dpp v52, v51 row_shr:8 row_mask:0xf bank_mask:0xf
	s_mov_b32 s30, exec_lo
	v_cmpx_lt_u32_e32 7, v48
	s_cbranch_execz .LBB821_263
; %bb.262:
	v_and_b32_e32 v49, 0xff, v50
	v_dual_lshrrev_b32 v48, 16, v52 :: v_dual_bitop2_b32 v50, 1, v50 bitop3:0x40
	s_delay_alu instid0(VALU_DEP_2) | instskip(NEXT) | instid1(VALU_DEP_2)
	v_cmp_eq_u16_e64 s20, 0, v49
	v_and_b32_e32 v48, 1, v48
	s_delay_alu instid0(VALU_DEP_2) | instskip(NEXT) | instid1(VALU_DEP_4)
	v_cndmask_b32_e64 v51, 0, v52, s20
	v_cmp_eq_u32_e64 s20, 1, v50
	s_delay_alu instid0(VALU_DEP_1) | instskip(NEXT) | instid1(VALU_DEP_1)
	v_cndmask_b32_e64 v49, v48, 1, s20
	v_lshlrev_b32_e32 v48, 16, v49
	s_delay_alu instid0(VALU_DEP_4) | instskip(NEXT) | instid1(VALU_DEP_1)
	v_add_nc_u16 v46, v51, v46
	v_and_b32_e32 v50, 0xffff, v46
	s_delay_alu instid0(VALU_DEP_1)
	v_or3_b32 v51, v48, v50, v45
	v_mov_b32_e32 v50, v49
.LBB821_263:
	s_or_b32 exec_lo, exec_lo, s30
	ds_swizzle_b32 v48, v51 offset:swizzle(BROADCAST,32,15)
	v_and_b32_e32 v51, 16, v47
	s_mov_b32 s30, exec_lo
	s_delay_alu instid0(VALU_DEP_1)
	v_cmpx_ne_u32_e32 0, v51
	s_cbranch_execz .LBB821_265
; %bb.264:
	v_and_b32_e32 v49, 0xff, v50
	s_delay_alu instid0(VALU_DEP_1) | instskip(SKIP_2) | instid1(VALU_DEP_1)
	v_cmp_eq_u16_e64 s20, 0, v49
	s_wait_dscnt 0x0
	v_dual_lshrrev_b32 v51, 16, v48 :: v_dual_bitop2_b32 v49, 1, v50 bitop3:0x40
	v_dual_cndmask_b32 v48, 0, v48, s20 :: v_dual_bitop2_b32 v50, 1, v51 bitop3:0x40
	s_delay_alu instid0(VALU_DEP_2) | instskip(NEXT) | instid1(VALU_DEP_2)
	v_cmp_eq_u32_e64 s20, 1, v49
	v_add_nc_u16 v46, v48, v46
	s_delay_alu instid0(VALU_DEP_2)
	v_cndmask_b32_e64 v49, v50, 1, s20
.LBB821_265:
	s_or_b32 exec_lo, exec_lo, s30
	s_wait_dscnt 0x0
	s_delay_alu instid0(VALU_DEP_1) | instskip(SKIP_2) | instid1(VALU_DEP_3)
	v_and_b32_e32 v48, 0xff, v49
	v_add_nc_u32_e32 v49, -1, v47
	v_and_b32_e32 v46, 0xffff, v46
	; wave barrier
	v_lshlrev_b32_e32 v48, 16, v48
	s_delay_alu instid0(VALU_DEP_3) | instskip(NEXT) | instid1(VALU_DEP_2)
	v_cmp_gt_i32_e64 s20, 0, v49
	v_or3_b32 v45, v48, v46, v45
	s_delay_alu instid0(VALU_DEP_2) | instskip(NEXT) | instid1(VALU_DEP_1)
	v_cndmask_b32_e64 v47, v49, v47, s20
	v_lshlrev_b32_e32 v46, 2, v47
	ds_bpermute_b32 v45, v46, v45
	v_and_b32_e32 v46, 0xff0000, v43
	s_delay_alu instid0(VALU_DEP_1) | instskip(SKIP_1) | instid1(VALU_DEP_1)
	v_cmp_eq_u32_e64 s20, 0, v46
	s_wait_dscnt 0x0
	v_dual_lshrrev_b32 v47, 16, v45 :: v_dual_cndmask_b32 v45, 0, v45, s20
	v_cmp_eq_u32_e64 s20, 0, v44
	s_delay_alu instid0(VALU_DEP_2) | instskip(NEXT) | instid1(VALU_DEP_1)
	v_add_nc_u16 v43, v45, v43
	v_dual_cndmask_b32 v43, v43, v42, vcc_lo :: v_dual_bitop2_b32 v46, 1, v47 bitop3:0x40
	s_delay_alu instid0(VALU_DEP_1) | instskip(NEXT) | instid1(VALU_DEP_1)
	v_cndmask_b32_e64 v44, 1, v46, s20
	v_cndmask_b32_e32 v10, v44, v10, vcc_lo
	ds_store_b16 v3, v43
	ds_store_b8 v3, v10 offset:2
	; wave barrier
	ds_load_u8 v44, v3 offset:6
	ds_load_u16 v45, v3 offset:4
	ds_load_u8 v46, v3 offset:10
	ds_load_u16 v47, v3 offset:8
	ds_load_u16 v48, v3 offset:12
	ds_load_u8 v49, v3 offset:14
	ds_load_u16 v50, v3 offset:16
	ds_load_u8 v51, v3 offset:18
	s_wait_dscnt 0x7
	v_cmp_eq_u16_e64 s20, 0, v44
	s_delay_alu instid0(VALU_DEP_1) | instskip(SKIP_2) | instid1(VALU_DEP_2)
	v_cndmask_b32_e64 v43, 0, v43, s20
	s_wait_dscnt 0x5
	v_cmp_eq_u16_e64 s20, 0, v46
	v_add_nc_u16 v43, v43, v45
	s_delay_alu instid0(VALU_DEP_1) | instskip(SKIP_2) | instid1(VALU_DEP_2)
	v_cndmask_b32_e64 v45, 0, v43, s20
	s_wait_dscnt 0x2
	v_cmp_eq_u16_e64 s20, 0, v49
	v_add_nc_u16 v45, v45, v47
	v_and_b32_e32 v44, 1, v44
	ds_load_u8 v47, v3 offset:22
	ds_load_u16 v53, v3 offset:20
	ds_load_u8 v54, v3 offset:26
	ds_load_u8 v55, v3 offset:30
	v_cndmask_b32_e64 v52, 0, v45, s20
	v_cmp_eq_u32_e64 s20, 1, v44
	v_and_b32_e32 v44, 1, v49
	s_delay_alu instid0(VALU_DEP_3) | instskip(NEXT) | instid1(VALU_DEP_3)
	v_add_nc_u16 v48, v52, v48
	v_cndmask_b32_e64 v10, v10, 1, s20
	s_wait_dscnt 0x4
	v_cmp_eq_u16_e64 s20, 0, v51
	v_and_b32_e32 v46, 1, v46
	ds_load_u16 v52, v3 offset:24
	ds_load_u16 v56, v3 offset:28
	v_cndmask_b32_e64 v49, 0, v48, s20
	v_cmp_eq_u32_e64 s20, 1, v46
	s_delay_alu instid0(VALU_DEP_2) | instskip(NEXT) | instid1(VALU_DEP_2)
	v_add_nc_u16 v49, v49, v50
	v_cndmask_b32_e64 v46, v10, 1, s20
	v_cmp_eq_u32_e64 s20, 1, v44
	v_and_b32_e32 v50, 1, v51
	s_wait_dscnt 0x2
	v_and_b32_e32 v57, 1, v55
	s_delay_alu instid0(VALU_DEP_3) | instskip(SKIP_1) | instid1(VALU_DEP_1)
	v_cndmask_b32_e64 v44, v46, 1, s20
	v_cmp_eq_u16_e64 s20, 0, v47
	v_dual_cndmask_b32 v51, 0, v49, s20 :: v_dual_bitop2_b32 v47, 1, v47 bitop3:0x40
	v_cmp_eq_u32_e64 s20, 1, v50
	s_delay_alu instid0(VALU_DEP_2) | instskip(NEXT) | instid1(VALU_DEP_2)
	v_add_nc_u16 v51, v51, v53
	v_cndmask_b32_e64 v50, v44, 1, s20
	s_delay_alu instid0(VALU_DEP_4)
	v_cmp_eq_u32_e64 s20, 1, v47
	v_and_b32_e32 v53, 1, v54
	ds_store_b16 v3, v43 offset:4
	ds_store_b8 v3, v10 offset:6
	ds_store_b16 v3, v45 offset:8
	ds_store_b8 v3, v46 offset:10
	;; [unrolled: 2-line block ×4, first 2 shown]
	v_cndmask_b32_e64 v47, v50, 1, s20
	v_cmp_eq_u16_e64 s20, 0, v54
	s_delay_alu instid0(VALU_DEP_1) | instskip(SKIP_2) | instid1(VALU_DEP_2)
	v_cndmask_b32_e64 v54, 0, v51, s20
	v_cmp_eq_u32_e64 s20, 1, v53
	s_wait_dscnt 0x9
	v_add_nc_u16 v52, v54, v52
	s_delay_alu instid0(VALU_DEP_2) | instskip(SKIP_1) | instid1(VALU_DEP_1)
	v_cndmask_b32_e64 v53, v47, 1, s20
	v_cmp_eq_u32_e64 s20, 1, v57
	v_cndmask_b32_e64 v54, v53, 1, s20
	v_cmp_eq_u16_e64 s20, 0, v55
	s_delay_alu instid0(VALU_DEP_1) | instskip(SKIP_1) | instid1(VALU_DEP_1)
	v_cndmask_b32_e64 v55, 0, v52, s20
	s_wait_dscnt 0x8
	v_add_nc_u16 v10, v55, v56
	ds_store_b16 v3, v51 offset:20
	ds_store_b8 v3, v47 offset:22
	ds_store_b16 v3, v52 offset:24
	ds_store_b8 v3, v53 offset:26
	;; [unrolled: 2-line block ×3, first 2 shown]
.LBB821_266:
	s_or_b32 exec_lo, exec_lo, s21
	s_wait_dscnt 0x0
	s_barrier_signal -1
	s_barrier_wait -1
	s_and_saveexec_b32 s20, s0
	s_cbranch_execz .LBB821_268
; %bb.267:
	v_add_nc_u32_e32 v3, -1, v0
	v_cmp_gt_u32_e64 s0, 0x10000, v5
	s_delay_alu instid0(VALU_DEP_2) | instskip(NEXT) | instid1(VALU_DEP_1)
	v_lshrrev_b32_e32 v4, 3, v3
	v_and_b32_e32 v4, 0x1ffffffc, v4
	s_delay_alu instid0(VALU_DEP_1) | instskip(SKIP_4) | instid1(VALU_DEP_1)
	v_lshl_add_u32 v3, v3, 2, v4
	ds_load_u16 v3, v3
	;;#ASMSTART
	;;#ASMEND
	s_wait_dscnt 0x0
	v_cndmask_b32_e64 v3, 0, v3, s0
	v_add_nc_u32_e32 v5, v3, v5
	s_delay_alu instid0(VALU_DEP_1) | instskip(NEXT) | instid1(VALU_DEP_1)
	v_cndmask_b32_e64 v3, 0, v5, s1
	v_add_nc_u16 v4, v3, v11
	s_delay_alu instid0(VALU_DEP_1) | instskip(NEXT) | instid1(VALU_DEP_1)
	v_cndmask_b32_e64 v3, 0, v4, s2
	v_add_nc_u16 v6, v3, v30
	;; [unrolled: 3-line block ×19, first 2 shown]
.LBB821_268:
	s_or_b32 exec_lo, exec_lo, s20
	s_and_saveexec_b32 s0, vcc_lo
	s_cbranch_execz .LBB821_270
; %bb.269:
	v_mov_b32_e32 v1, 0
	ds_load_u8 v3, v1 offset:1050
	ds_load_u16 v10, v1 offset:1048
	s_wait_dscnt 0x1
	v_dual_mov_b32 v11, 2 :: v_dual_lshlrev_b32 v3, 16, v3
	s_wait_dscnt 0x0
	v_and_b32_e32 v10, 0xffff, v10
	s_delay_alu instid0(VALU_DEP_1)
	v_or_b32_e32 v10, v3, v10
	global_store_b64 v1, v[10:11], s[24:25] offset:256 scope:SCOPE_DEV
.LBB821_270:
	s_wait_xcnt 0x0
	s_or_b32 exec_lo, exec_lo, s0
	s_add_nc_u64 s[0:1], s[22:23], s[34:35]
	s_and_b32 vcc_lo, exec_lo, s27
	s_add_nc_u64 s[0:1], s[0:1], s[28:29]
	s_cbranch_vccnz .LBB821_176
.LBB821_271:
	s_mov_b32 s2, 0
                                        ; implicit-def: $vgpr1
	s_cbranch_execz .LBB821_273
; %bb.272:
	s_wait_dscnt 0x0
	v_mul_u32_u24_e32 v1, 40, v0
	v_perm_b32 v3, v14, v12, 0x5040100
	v_perm_b32 v2, v9, v8, 0x5040100
	;; [unrolled: 1-line block ×4, first 2 shown]
	v_mul_i32_i24_e32 v12, 0xffffffda, v0
	v_perm_b32 v5, v39, v37, 0x5040100
	v_perm_b32 v4, v36, v35, 0x5040100
	;; [unrolled: 1-line block ×6, first 2 shown]
	s_wait_storecnt 0x0
	s_barrier_signal -1
	s_barrier_wait -1
	ds_store_2addr_b64 v1, v[6:7], v[2:3] offset1:1
	ds_store_2addr_b64 v1, v[8:9], v[4:5] offset0:2 offset1:3
	ds_store_b64 v1, v[10:11] offset:32
	v_mad_u32_u24 v1, v0, 40, v12
	s_wait_dscnt 0x0
	s_barrier_signal -1
	s_barrier_wait -1
	ds_load_u16 v2, v1
	ds_load_u16 v3, v1 offset:512
	ds_load_u16 v4, v1 offset:1024
	;; [unrolled: 1-line block ×19, first 2 shown]
	s_or_b32 s2, s2, exec_lo
	s_wait_dscnt 0x13
	flat_store_b16 v0, v2, s[0:1] scale_offset
	s_wait_dscnt 0x13
	flat_store_b16 v0, v3, s[0:1] offset:512 scale_offset
	s_wait_dscnt 0x13
	flat_store_b16 v0, v4, s[0:1] offset:1024 scale_offset
	;; [unrolled: 2-line block ×18, first 2 shown]
.LBB821_273:
	s_wait_xcnt 0x0
	s_delay_alu instid0(VALU_DEP_1)
	s_and_saveexec_b32 s3, s2
	s_cbranch_execz .LBB821_275
; %bb.274:
	s_wait_dscnt 0x0
	flat_store_b16 v0, v1, s[0:1] offset:9728 scale_offset
	s_endpgm
.LBB821_275:
	s_endpgm
	.section	.rodata,"a",@progbits
	.p2align	6, 0x0
	.amdhsa_kernel _ZN7rocprim17ROCPRIM_400000_NS6detail17trampoline_kernelINS0_14default_configENS1_27scan_by_key_config_selectorIssEEZZNS1_16scan_by_key_implILNS1_25lookback_scan_determinismE0ELb0ES3_N6thrust23THRUST_200600_302600_NS6detail15normal_iteratorINS9_10device_ptrIsEEEESE_SE_sNS9_4plusIsEE19head_flag_predicatesEE10hipError_tPvRmT2_T3_T4_T5_mT6_T7_P12ihipStream_tbENKUlT_T0_E_clISt17integral_constantIbLb0EESY_EEDaST_SU_EUlST_E_NS1_11comp_targetILNS1_3genE0ELNS1_11target_archE4294967295ELNS1_3gpuE0ELNS1_3repE0EEENS1_30default_config_static_selectorELNS0_4arch9wavefront6targetE0EEEvT1_
		.amdhsa_group_segment_fixed_size 11264
		.amdhsa_private_segment_fixed_size 0
		.amdhsa_kernarg_size 112
		.amdhsa_user_sgpr_count 2
		.amdhsa_user_sgpr_dispatch_ptr 0
		.amdhsa_user_sgpr_queue_ptr 0
		.amdhsa_user_sgpr_kernarg_segment_ptr 1
		.amdhsa_user_sgpr_dispatch_id 0
		.amdhsa_user_sgpr_kernarg_preload_length 0
		.amdhsa_user_sgpr_kernarg_preload_offset 0
		.amdhsa_user_sgpr_private_segment_size 0
		.amdhsa_wavefront_size32 1
		.amdhsa_uses_dynamic_stack 0
		.amdhsa_enable_private_segment 0
		.amdhsa_system_sgpr_workgroup_id_x 1
		.amdhsa_system_sgpr_workgroup_id_y 0
		.amdhsa_system_sgpr_workgroup_id_z 0
		.amdhsa_system_sgpr_workgroup_info 0
		.amdhsa_system_vgpr_workitem_id 0
		.amdhsa_next_free_vgpr 58
		.amdhsa_next_free_sgpr 43
		.amdhsa_named_barrier_count 0
		.amdhsa_reserve_vcc 1
		.amdhsa_float_round_mode_32 0
		.amdhsa_float_round_mode_16_64 0
		.amdhsa_float_denorm_mode_32 3
		.amdhsa_float_denorm_mode_16_64 3
		.amdhsa_fp16_overflow 0
		.amdhsa_memory_ordered 1
		.amdhsa_forward_progress 1
		.amdhsa_inst_pref_size 141
		.amdhsa_round_robin_scheduling 0
		.amdhsa_exception_fp_ieee_invalid_op 0
		.amdhsa_exception_fp_denorm_src 0
		.amdhsa_exception_fp_ieee_div_zero 0
		.amdhsa_exception_fp_ieee_overflow 0
		.amdhsa_exception_fp_ieee_underflow 0
		.amdhsa_exception_fp_ieee_inexact 0
		.amdhsa_exception_int_div_zero 0
	.end_amdhsa_kernel
	.section	.text._ZN7rocprim17ROCPRIM_400000_NS6detail17trampoline_kernelINS0_14default_configENS1_27scan_by_key_config_selectorIssEEZZNS1_16scan_by_key_implILNS1_25lookback_scan_determinismE0ELb0ES3_N6thrust23THRUST_200600_302600_NS6detail15normal_iteratorINS9_10device_ptrIsEEEESE_SE_sNS9_4plusIsEE19head_flag_predicatesEE10hipError_tPvRmT2_T3_T4_T5_mT6_T7_P12ihipStream_tbENKUlT_T0_E_clISt17integral_constantIbLb0EESY_EEDaST_SU_EUlST_E_NS1_11comp_targetILNS1_3genE0ELNS1_11target_archE4294967295ELNS1_3gpuE0ELNS1_3repE0EEENS1_30default_config_static_selectorELNS0_4arch9wavefront6targetE0EEEvT1_,"axG",@progbits,_ZN7rocprim17ROCPRIM_400000_NS6detail17trampoline_kernelINS0_14default_configENS1_27scan_by_key_config_selectorIssEEZZNS1_16scan_by_key_implILNS1_25lookback_scan_determinismE0ELb0ES3_N6thrust23THRUST_200600_302600_NS6detail15normal_iteratorINS9_10device_ptrIsEEEESE_SE_sNS9_4plusIsEE19head_flag_predicatesEE10hipError_tPvRmT2_T3_T4_T5_mT6_T7_P12ihipStream_tbENKUlT_T0_E_clISt17integral_constantIbLb0EESY_EEDaST_SU_EUlST_E_NS1_11comp_targetILNS1_3genE0ELNS1_11target_archE4294967295ELNS1_3gpuE0ELNS1_3repE0EEENS1_30default_config_static_selectorELNS0_4arch9wavefront6targetE0EEEvT1_,comdat
.Lfunc_end821:
	.size	_ZN7rocprim17ROCPRIM_400000_NS6detail17trampoline_kernelINS0_14default_configENS1_27scan_by_key_config_selectorIssEEZZNS1_16scan_by_key_implILNS1_25lookback_scan_determinismE0ELb0ES3_N6thrust23THRUST_200600_302600_NS6detail15normal_iteratorINS9_10device_ptrIsEEEESE_SE_sNS9_4plusIsEE19head_flag_predicatesEE10hipError_tPvRmT2_T3_T4_T5_mT6_T7_P12ihipStream_tbENKUlT_T0_E_clISt17integral_constantIbLb0EESY_EEDaST_SU_EUlST_E_NS1_11comp_targetILNS1_3genE0ELNS1_11target_archE4294967295ELNS1_3gpuE0ELNS1_3repE0EEENS1_30default_config_static_selectorELNS0_4arch9wavefront6targetE0EEEvT1_, .Lfunc_end821-_ZN7rocprim17ROCPRIM_400000_NS6detail17trampoline_kernelINS0_14default_configENS1_27scan_by_key_config_selectorIssEEZZNS1_16scan_by_key_implILNS1_25lookback_scan_determinismE0ELb0ES3_N6thrust23THRUST_200600_302600_NS6detail15normal_iteratorINS9_10device_ptrIsEEEESE_SE_sNS9_4plusIsEE19head_flag_predicatesEE10hipError_tPvRmT2_T3_T4_T5_mT6_T7_P12ihipStream_tbENKUlT_T0_E_clISt17integral_constantIbLb0EESY_EEDaST_SU_EUlST_E_NS1_11comp_targetILNS1_3genE0ELNS1_11target_archE4294967295ELNS1_3gpuE0ELNS1_3repE0EEENS1_30default_config_static_selectorELNS0_4arch9wavefront6targetE0EEEvT1_
                                        ; -- End function
	.set _ZN7rocprim17ROCPRIM_400000_NS6detail17trampoline_kernelINS0_14default_configENS1_27scan_by_key_config_selectorIssEEZZNS1_16scan_by_key_implILNS1_25lookback_scan_determinismE0ELb0ES3_N6thrust23THRUST_200600_302600_NS6detail15normal_iteratorINS9_10device_ptrIsEEEESE_SE_sNS9_4plusIsEE19head_flag_predicatesEE10hipError_tPvRmT2_T3_T4_T5_mT6_T7_P12ihipStream_tbENKUlT_T0_E_clISt17integral_constantIbLb0EESY_EEDaST_SU_EUlST_E_NS1_11comp_targetILNS1_3genE0ELNS1_11target_archE4294967295ELNS1_3gpuE0ELNS1_3repE0EEENS1_30default_config_static_selectorELNS0_4arch9wavefront6targetE0EEEvT1_.num_vgpr, 58
	.set _ZN7rocprim17ROCPRIM_400000_NS6detail17trampoline_kernelINS0_14default_configENS1_27scan_by_key_config_selectorIssEEZZNS1_16scan_by_key_implILNS1_25lookback_scan_determinismE0ELb0ES3_N6thrust23THRUST_200600_302600_NS6detail15normal_iteratorINS9_10device_ptrIsEEEESE_SE_sNS9_4plusIsEE19head_flag_predicatesEE10hipError_tPvRmT2_T3_T4_T5_mT6_T7_P12ihipStream_tbENKUlT_T0_E_clISt17integral_constantIbLb0EESY_EEDaST_SU_EUlST_E_NS1_11comp_targetILNS1_3genE0ELNS1_11target_archE4294967295ELNS1_3gpuE0ELNS1_3repE0EEENS1_30default_config_static_selectorELNS0_4arch9wavefront6targetE0EEEvT1_.num_agpr, 0
	.set _ZN7rocprim17ROCPRIM_400000_NS6detail17trampoline_kernelINS0_14default_configENS1_27scan_by_key_config_selectorIssEEZZNS1_16scan_by_key_implILNS1_25lookback_scan_determinismE0ELb0ES3_N6thrust23THRUST_200600_302600_NS6detail15normal_iteratorINS9_10device_ptrIsEEEESE_SE_sNS9_4plusIsEE19head_flag_predicatesEE10hipError_tPvRmT2_T3_T4_T5_mT6_T7_P12ihipStream_tbENKUlT_T0_E_clISt17integral_constantIbLb0EESY_EEDaST_SU_EUlST_E_NS1_11comp_targetILNS1_3genE0ELNS1_11target_archE4294967295ELNS1_3gpuE0ELNS1_3repE0EEENS1_30default_config_static_selectorELNS0_4arch9wavefront6targetE0EEEvT1_.numbered_sgpr, 43
	.set _ZN7rocprim17ROCPRIM_400000_NS6detail17trampoline_kernelINS0_14default_configENS1_27scan_by_key_config_selectorIssEEZZNS1_16scan_by_key_implILNS1_25lookback_scan_determinismE0ELb0ES3_N6thrust23THRUST_200600_302600_NS6detail15normal_iteratorINS9_10device_ptrIsEEEESE_SE_sNS9_4plusIsEE19head_flag_predicatesEE10hipError_tPvRmT2_T3_T4_T5_mT6_T7_P12ihipStream_tbENKUlT_T0_E_clISt17integral_constantIbLb0EESY_EEDaST_SU_EUlST_E_NS1_11comp_targetILNS1_3genE0ELNS1_11target_archE4294967295ELNS1_3gpuE0ELNS1_3repE0EEENS1_30default_config_static_selectorELNS0_4arch9wavefront6targetE0EEEvT1_.num_named_barrier, 0
	.set _ZN7rocprim17ROCPRIM_400000_NS6detail17trampoline_kernelINS0_14default_configENS1_27scan_by_key_config_selectorIssEEZZNS1_16scan_by_key_implILNS1_25lookback_scan_determinismE0ELb0ES3_N6thrust23THRUST_200600_302600_NS6detail15normal_iteratorINS9_10device_ptrIsEEEESE_SE_sNS9_4plusIsEE19head_flag_predicatesEE10hipError_tPvRmT2_T3_T4_T5_mT6_T7_P12ihipStream_tbENKUlT_T0_E_clISt17integral_constantIbLb0EESY_EEDaST_SU_EUlST_E_NS1_11comp_targetILNS1_3genE0ELNS1_11target_archE4294967295ELNS1_3gpuE0ELNS1_3repE0EEENS1_30default_config_static_selectorELNS0_4arch9wavefront6targetE0EEEvT1_.private_seg_size, 0
	.set _ZN7rocprim17ROCPRIM_400000_NS6detail17trampoline_kernelINS0_14default_configENS1_27scan_by_key_config_selectorIssEEZZNS1_16scan_by_key_implILNS1_25lookback_scan_determinismE0ELb0ES3_N6thrust23THRUST_200600_302600_NS6detail15normal_iteratorINS9_10device_ptrIsEEEESE_SE_sNS9_4plusIsEE19head_flag_predicatesEE10hipError_tPvRmT2_T3_T4_T5_mT6_T7_P12ihipStream_tbENKUlT_T0_E_clISt17integral_constantIbLb0EESY_EEDaST_SU_EUlST_E_NS1_11comp_targetILNS1_3genE0ELNS1_11target_archE4294967295ELNS1_3gpuE0ELNS1_3repE0EEENS1_30default_config_static_selectorELNS0_4arch9wavefront6targetE0EEEvT1_.uses_vcc, 1
	.set _ZN7rocprim17ROCPRIM_400000_NS6detail17trampoline_kernelINS0_14default_configENS1_27scan_by_key_config_selectorIssEEZZNS1_16scan_by_key_implILNS1_25lookback_scan_determinismE0ELb0ES3_N6thrust23THRUST_200600_302600_NS6detail15normal_iteratorINS9_10device_ptrIsEEEESE_SE_sNS9_4plusIsEE19head_flag_predicatesEE10hipError_tPvRmT2_T3_T4_T5_mT6_T7_P12ihipStream_tbENKUlT_T0_E_clISt17integral_constantIbLb0EESY_EEDaST_SU_EUlST_E_NS1_11comp_targetILNS1_3genE0ELNS1_11target_archE4294967295ELNS1_3gpuE0ELNS1_3repE0EEENS1_30default_config_static_selectorELNS0_4arch9wavefront6targetE0EEEvT1_.uses_flat_scratch, 1
	.set _ZN7rocprim17ROCPRIM_400000_NS6detail17trampoline_kernelINS0_14default_configENS1_27scan_by_key_config_selectorIssEEZZNS1_16scan_by_key_implILNS1_25lookback_scan_determinismE0ELb0ES3_N6thrust23THRUST_200600_302600_NS6detail15normal_iteratorINS9_10device_ptrIsEEEESE_SE_sNS9_4plusIsEE19head_flag_predicatesEE10hipError_tPvRmT2_T3_T4_T5_mT6_T7_P12ihipStream_tbENKUlT_T0_E_clISt17integral_constantIbLb0EESY_EEDaST_SU_EUlST_E_NS1_11comp_targetILNS1_3genE0ELNS1_11target_archE4294967295ELNS1_3gpuE0ELNS1_3repE0EEENS1_30default_config_static_selectorELNS0_4arch9wavefront6targetE0EEEvT1_.has_dyn_sized_stack, 0
	.set _ZN7rocprim17ROCPRIM_400000_NS6detail17trampoline_kernelINS0_14default_configENS1_27scan_by_key_config_selectorIssEEZZNS1_16scan_by_key_implILNS1_25lookback_scan_determinismE0ELb0ES3_N6thrust23THRUST_200600_302600_NS6detail15normal_iteratorINS9_10device_ptrIsEEEESE_SE_sNS9_4plusIsEE19head_flag_predicatesEE10hipError_tPvRmT2_T3_T4_T5_mT6_T7_P12ihipStream_tbENKUlT_T0_E_clISt17integral_constantIbLb0EESY_EEDaST_SU_EUlST_E_NS1_11comp_targetILNS1_3genE0ELNS1_11target_archE4294967295ELNS1_3gpuE0ELNS1_3repE0EEENS1_30default_config_static_selectorELNS0_4arch9wavefront6targetE0EEEvT1_.has_recursion, 0
	.set _ZN7rocprim17ROCPRIM_400000_NS6detail17trampoline_kernelINS0_14default_configENS1_27scan_by_key_config_selectorIssEEZZNS1_16scan_by_key_implILNS1_25lookback_scan_determinismE0ELb0ES3_N6thrust23THRUST_200600_302600_NS6detail15normal_iteratorINS9_10device_ptrIsEEEESE_SE_sNS9_4plusIsEE19head_flag_predicatesEE10hipError_tPvRmT2_T3_T4_T5_mT6_T7_P12ihipStream_tbENKUlT_T0_E_clISt17integral_constantIbLb0EESY_EEDaST_SU_EUlST_E_NS1_11comp_targetILNS1_3genE0ELNS1_11target_archE4294967295ELNS1_3gpuE0ELNS1_3repE0EEENS1_30default_config_static_selectorELNS0_4arch9wavefront6targetE0EEEvT1_.has_indirect_call, 0
	.section	.AMDGPU.csdata,"",@progbits
; Kernel info:
; codeLenInByte = 17984
; TotalNumSgprs: 45
; NumVgprs: 58
; ScratchSize: 0
; MemoryBound: 0
; FloatMode: 240
; IeeeMode: 1
; LDSByteSize: 11264 bytes/workgroup (compile time only)
; SGPRBlocks: 0
; VGPRBlocks: 3
; NumSGPRsForWavesPerEU: 45
; NumVGPRsForWavesPerEU: 58
; NamedBarCnt: 0
; Occupancy: 16
; WaveLimiterHint : 1
; COMPUTE_PGM_RSRC2:SCRATCH_EN: 0
; COMPUTE_PGM_RSRC2:USER_SGPR: 2
; COMPUTE_PGM_RSRC2:TRAP_HANDLER: 0
; COMPUTE_PGM_RSRC2:TGID_X_EN: 1
; COMPUTE_PGM_RSRC2:TGID_Y_EN: 0
; COMPUTE_PGM_RSRC2:TGID_Z_EN: 0
; COMPUTE_PGM_RSRC2:TIDIG_COMP_CNT: 0
	.section	.text._ZN7rocprim17ROCPRIM_400000_NS6detail17trampoline_kernelINS0_14default_configENS1_27scan_by_key_config_selectorIssEEZZNS1_16scan_by_key_implILNS1_25lookback_scan_determinismE0ELb0ES3_N6thrust23THRUST_200600_302600_NS6detail15normal_iteratorINS9_10device_ptrIsEEEESE_SE_sNS9_4plusIsEE19head_flag_predicatesEE10hipError_tPvRmT2_T3_T4_T5_mT6_T7_P12ihipStream_tbENKUlT_T0_E_clISt17integral_constantIbLb0EESY_EEDaST_SU_EUlST_E_NS1_11comp_targetILNS1_3genE10ELNS1_11target_archE1201ELNS1_3gpuE5ELNS1_3repE0EEENS1_30default_config_static_selectorELNS0_4arch9wavefront6targetE0EEEvT1_,"axG",@progbits,_ZN7rocprim17ROCPRIM_400000_NS6detail17trampoline_kernelINS0_14default_configENS1_27scan_by_key_config_selectorIssEEZZNS1_16scan_by_key_implILNS1_25lookback_scan_determinismE0ELb0ES3_N6thrust23THRUST_200600_302600_NS6detail15normal_iteratorINS9_10device_ptrIsEEEESE_SE_sNS9_4plusIsEE19head_flag_predicatesEE10hipError_tPvRmT2_T3_T4_T5_mT6_T7_P12ihipStream_tbENKUlT_T0_E_clISt17integral_constantIbLb0EESY_EEDaST_SU_EUlST_E_NS1_11comp_targetILNS1_3genE10ELNS1_11target_archE1201ELNS1_3gpuE5ELNS1_3repE0EEENS1_30default_config_static_selectorELNS0_4arch9wavefront6targetE0EEEvT1_,comdat
	.protected	_ZN7rocprim17ROCPRIM_400000_NS6detail17trampoline_kernelINS0_14default_configENS1_27scan_by_key_config_selectorIssEEZZNS1_16scan_by_key_implILNS1_25lookback_scan_determinismE0ELb0ES3_N6thrust23THRUST_200600_302600_NS6detail15normal_iteratorINS9_10device_ptrIsEEEESE_SE_sNS9_4plusIsEE19head_flag_predicatesEE10hipError_tPvRmT2_T3_T4_T5_mT6_T7_P12ihipStream_tbENKUlT_T0_E_clISt17integral_constantIbLb0EESY_EEDaST_SU_EUlST_E_NS1_11comp_targetILNS1_3genE10ELNS1_11target_archE1201ELNS1_3gpuE5ELNS1_3repE0EEENS1_30default_config_static_selectorELNS0_4arch9wavefront6targetE0EEEvT1_ ; -- Begin function _ZN7rocprim17ROCPRIM_400000_NS6detail17trampoline_kernelINS0_14default_configENS1_27scan_by_key_config_selectorIssEEZZNS1_16scan_by_key_implILNS1_25lookback_scan_determinismE0ELb0ES3_N6thrust23THRUST_200600_302600_NS6detail15normal_iteratorINS9_10device_ptrIsEEEESE_SE_sNS9_4plusIsEE19head_flag_predicatesEE10hipError_tPvRmT2_T3_T4_T5_mT6_T7_P12ihipStream_tbENKUlT_T0_E_clISt17integral_constantIbLb0EESY_EEDaST_SU_EUlST_E_NS1_11comp_targetILNS1_3genE10ELNS1_11target_archE1201ELNS1_3gpuE5ELNS1_3repE0EEENS1_30default_config_static_selectorELNS0_4arch9wavefront6targetE0EEEvT1_
	.globl	_ZN7rocprim17ROCPRIM_400000_NS6detail17trampoline_kernelINS0_14default_configENS1_27scan_by_key_config_selectorIssEEZZNS1_16scan_by_key_implILNS1_25lookback_scan_determinismE0ELb0ES3_N6thrust23THRUST_200600_302600_NS6detail15normal_iteratorINS9_10device_ptrIsEEEESE_SE_sNS9_4plusIsEE19head_flag_predicatesEE10hipError_tPvRmT2_T3_T4_T5_mT6_T7_P12ihipStream_tbENKUlT_T0_E_clISt17integral_constantIbLb0EESY_EEDaST_SU_EUlST_E_NS1_11comp_targetILNS1_3genE10ELNS1_11target_archE1201ELNS1_3gpuE5ELNS1_3repE0EEENS1_30default_config_static_selectorELNS0_4arch9wavefront6targetE0EEEvT1_
	.p2align	8
	.type	_ZN7rocprim17ROCPRIM_400000_NS6detail17trampoline_kernelINS0_14default_configENS1_27scan_by_key_config_selectorIssEEZZNS1_16scan_by_key_implILNS1_25lookback_scan_determinismE0ELb0ES3_N6thrust23THRUST_200600_302600_NS6detail15normal_iteratorINS9_10device_ptrIsEEEESE_SE_sNS9_4plusIsEE19head_flag_predicatesEE10hipError_tPvRmT2_T3_T4_T5_mT6_T7_P12ihipStream_tbENKUlT_T0_E_clISt17integral_constantIbLb0EESY_EEDaST_SU_EUlST_E_NS1_11comp_targetILNS1_3genE10ELNS1_11target_archE1201ELNS1_3gpuE5ELNS1_3repE0EEENS1_30default_config_static_selectorELNS0_4arch9wavefront6targetE0EEEvT1_,@function
_ZN7rocprim17ROCPRIM_400000_NS6detail17trampoline_kernelINS0_14default_configENS1_27scan_by_key_config_selectorIssEEZZNS1_16scan_by_key_implILNS1_25lookback_scan_determinismE0ELb0ES3_N6thrust23THRUST_200600_302600_NS6detail15normal_iteratorINS9_10device_ptrIsEEEESE_SE_sNS9_4plusIsEE19head_flag_predicatesEE10hipError_tPvRmT2_T3_T4_T5_mT6_T7_P12ihipStream_tbENKUlT_T0_E_clISt17integral_constantIbLb0EESY_EEDaST_SU_EUlST_E_NS1_11comp_targetILNS1_3genE10ELNS1_11target_archE1201ELNS1_3gpuE5ELNS1_3repE0EEENS1_30default_config_static_selectorELNS0_4arch9wavefront6targetE0EEEvT1_: ; @_ZN7rocprim17ROCPRIM_400000_NS6detail17trampoline_kernelINS0_14default_configENS1_27scan_by_key_config_selectorIssEEZZNS1_16scan_by_key_implILNS1_25lookback_scan_determinismE0ELb0ES3_N6thrust23THRUST_200600_302600_NS6detail15normal_iteratorINS9_10device_ptrIsEEEESE_SE_sNS9_4plusIsEE19head_flag_predicatesEE10hipError_tPvRmT2_T3_T4_T5_mT6_T7_P12ihipStream_tbENKUlT_T0_E_clISt17integral_constantIbLb0EESY_EEDaST_SU_EUlST_E_NS1_11comp_targetILNS1_3genE10ELNS1_11target_archE1201ELNS1_3gpuE5ELNS1_3repE0EEENS1_30default_config_static_selectorELNS0_4arch9wavefront6targetE0EEEvT1_
; %bb.0:
	.section	.rodata,"a",@progbits
	.p2align	6, 0x0
	.amdhsa_kernel _ZN7rocprim17ROCPRIM_400000_NS6detail17trampoline_kernelINS0_14default_configENS1_27scan_by_key_config_selectorIssEEZZNS1_16scan_by_key_implILNS1_25lookback_scan_determinismE0ELb0ES3_N6thrust23THRUST_200600_302600_NS6detail15normal_iteratorINS9_10device_ptrIsEEEESE_SE_sNS9_4plusIsEE19head_flag_predicatesEE10hipError_tPvRmT2_T3_T4_T5_mT6_T7_P12ihipStream_tbENKUlT_T0_E_clISt17integral_constantIbLb0EESY_EEDaST_SU_EUlST_E_NS1_11comp_targetILNS1_3genE10ELNS1_11target_archE1201ELNS1_3gpuE5ELNS1_3repE0EEENS1_30default_config_static_selectorELNS0_4arch9wavefront6targetE0EEEvT1_
		.amdhsa_group_segment_fixed_size 0
		.amdhsa_private_segment_fixed_size 0
		.amdhsa_kernarg_size 112
		.amdhsa_user_sgpr_count 2
		.amdhsa_user_sgpr_dispatch_ptr 0
		.amdhsa_user_sgpr_queue_ptr 0
		.amdhsa_user_sgpr_kernarg_segment_ptr 1
		.amdhsa_user_sgpr_dispatch_id 0
		.amdhsa_user_sgpr_kernarg_preload_length 0
		.amdhsa_user_sgpr_kernarg_preload_offset 0
		.amdhsa_user_sgpr_private_segment_size 0
		.amdhsa_wavefront_size32 1
		.amdhsa_uses_dynamic_stack 0
		.amdhsa_enable_private_segment 0
		.amdhsa_system_sgpr_workgroup_id_x 1
		.amdhsa_system_sgpr_workgroup_id_y 0
		.amdhsa_system_sgpr_workgroup_id_z 0
		.amdhsa_system_sgpr_workgroup_info 0
		.amdhsa_system_vgpr_workitem_id 0
		.amdhsa_next_free_vgpr 1
		.amdhsa_next_free_sgpr 1
		.amdhsa_named_barrier_count 0
		.amdhsa_reserve_vcc 0
		.amdhsa_float_round_mode_32 0
		.amdhsa_float_round_mode_16_64 0
		.amdhsa_float_denorm_mode_32 3
		.amdhsa_float_denorm_mode_16_64 3
		.amdhsa_fp16_overflow 0
		.amdhsa_memory_ordered 1
		.amdhsa_forward_progress 1
		.amdhsa_inst_pref_size 0
		.amdhsa_round_robin_scheduling 0
		.amdhsa_exception_fp_ieee_invalid_op 0
		.amdhsa_exception_fp_denorm_src 0
		.amdhsa_exception_fp_ieee_div_zero 0
		.amdhsa_exception_fp_ieee_overflow 0
		.amdhsa_exception_fp_ieee_underflow 0
		.amdhsa_exception_fp_ieee_inexact 0
		.amdhsa_exception_int_div_zero 0
	.end_amdhsa_kernel
	.section	.text._ZN7rocprim17ROCPRIM_400000_NS6detail17trampoline_kernelINS0_14default_configENS1_27scan_by_key_config_selectorIssEEZZNS1_16scan_by_key_implILNS1_25lookback_scan_determinismE0ELb0ES3_N6thrust23THRUST_200600_302600_NS6detail15normal_iteratorINS9_10device_ptrIsEEEESE_SE_sNS9_4plusIsEE19head_flag_predicatesEE10hipError_tPvRmT2_T3_T4_T5_mT6_T7_P12ihipStream_tbENKUlT_T0_E_clISt17integral_constantIbLb0EESY_EEDaST_SU_EUlST_E_NS1_11comp_targetILNS1_3genE10ELNS1_11target_archE1201ELNS1_3gpuE5ELNS1_3repE0EEENS1_30default_config_static_selectorELNS0_4arch9wavefront6targetE0EEEvT1_,"axG",@progbits,_ZN7rocprim17ROCPRIM_400000_NS6detail17trampoline_kernelINS0_14default_configENS1_27scan_by_key_config_selectorIssEEZZNS1_16scan_by_key_implILNS1_25lookback_scan_determinismE0ELb0ES3_N6thrust23THRUST_200600_302600_NS6detail15normal_iteratorINS9_10device_ptrIsEEEESE_SE_sNS9_4plusIsEE19head_flag_predicatesEE10hipError_tPvRmT2_T3_T4_T5_mT6_T7_P12ihipStream_tbENKUlT_T0_E_clISt17integral_constantIbLb0EESY_EEDaST_SU_EUlST_E_NS1_11comp_targetILNS1_3genE10ELNS1_11target_archE1201ELNS1_3gpuE5ELNS1_3repE0EEENS1_30default_config_static_selectorELNS0_4arch9wavefront6targetE0EEEvT1_,comdat
.Lfunc_end822:
	.size	_ZN7rocprim17ROCPRIM_400000_NS6detail17trampoline_kernelINS0_14default_configENS1_27scan_by_key_config_selectorIssEEZZNS1_16scan_by_key_implILNS1_25lookback_scan_determinismE0ELb0ES3_N6thrust23THRUST_200600_302600_NS6detail15normal_iteratorINS9_10device_ptrIsEEEESE_SE_sNS9_4plusIsEE19head_flag_predicatesEE10hipError_tPvRmT2_T3_T4_T5_mT6_T7_P12ihipStream_tbENKUlT_T0_E_clISt17integral_constantIbLb0EESY_EEDaST_SU_EUlST_E_NS1_11comp_targetILNS1_3genE10ELNS1_11target_archE1201ELNS1_3gpuE5ELNS1_3repE0EEENS1_30default_config_static_selectorELNS0_4arch9wavefront6targetE0EEEvT1_, .Lfunc_end822-_ZN7rocprim17ROCPRIM_400000_NS6detail17trampoline_kernelINS0_14default_configENS1_27scan_by_key_config_selectorIssEEZZNS1_16scan_by_key_implILNS1_25lookback_scan_determinismE0ELb0ES3_N6thrust23THRUST_200600_302600_NS6detail15normal_iteratorINS9_10device_ptrIsEEEESE_SE_sNS9_4plusIsEE19head_flag_predicatesEE10hipError_tPvRmT2_T3_T4_T5_mT6_T7_P12ihipStream_tbENKUlT_T0_E_clISt17integral_constantIbLb0EESY_EEDaST_SU_EUlST_E_NS1_11comp_targetILNS1_3genE10ELNS1_11target_archE1201ELNS1_3gpuE5ELNS1_3repE0EEENS1_30default_config_static_selectorELNS0_4arch9wavefront6targetE0EEEvT1_
                                        ; -- End function
	.set _ZN7rocprim17ROCPRIM_400000_NS6detail17trampoline_kernelINS0_14default_configENS1_27scan_by_key_config_selectorIssEEZZNS1_16scan_by_key_implILNS1_25lookback_scan_determinismE0ELb0ES3_N6thrust23THRUST_200600_302600_NS6detail15normal_iteratorINS9_10device_ptrIsEEEESE_SE_sNS9_4plusIsEE19head_flag_predicatesEE10hipError_tPvRmT2_T3_T4_T5_mT6_T7_P12ihipStream_tbENKUlT_T0_E_clISt17integral_constantIbLb0EESY_EEDaST_SU_EUlST_E_NS1_11comp_targetILNS1_3genE10ELNS1_11target_archE1201ELNS1_3gpuE5ELNS1_3repE0EEENS1_30default_config_static_selectorELNS0_4arch9wavefront6targetE0EEEvT1_.num_vgpr, 0
	.set _ZN7rocprim17ROCPRIM_400000_NS6detail17trampoline_kernelINS0_14default_configENS1_27scan_by_key_config_selectorIssEEZZNS1_16scan_by_key_implILNS1_25lookback_scan_determinismE0ELb0ES3_N6thrust23THRUST_200600_302600_NS6detail15normal_iteratorINS9_10device_ptrIsEEEESE_SE_sNS9_4plusIsEE19head_flag_predicatesEE10hipError_tPvRmT2_T3_T4_T5_mT6_T7_P12ihipStream_tbENKUlT_T0_E_clISt17integral_constantIbLb0EESY_EEDaST_SU_EUlST_E_NS1_11comp_targetILNS1_3genE10ELNS1_11target_archE1201ELNS1_3gpuE5ELNS1_3repE0EEENS1_30default_config_static_selectorELNS0_4arch9wavefront6targetE0EEEvT1_.num_agpr, 0
	.set _ZN7rocprim17ROCPRIM_400000_NS6detail17trampoline_kernelINS0_14default_configENS1_27scan_by_key_config_selectorIssEEZZNS1_16scan_by_key_implILNS1_25lookback_scan_determinismE0ELb0ES3_N6thrust23THRUST_200600_302600_NS6detail15normal_iteratorINS9_10device_ptrIsEEEESE_SE_sNS9_4plusIsEE19head_flag_predicatesEE10hipError_tPvRmT2_T3_T4_T5_mT6_T7_P12ihipStream_tbENKUlT_T0_E_clISt17integral_constantIbLb0EESY_EEDaST_SU_EUlST_E_NS1_11comp_targetILNS1_3genE10ELNS1_11target_archE1201ELNS1_3gpuE5ELNS1_3repE0EEENS1_30default_config_static_selectorELNS0_4arch9wavefront6targetE0EEEvT1_.numbered_sgpr, 0
	.set _ZN7rocprim17ROCPRIM_400000_NS6detail17trampoline_kernelINS0_14default_configENS1_27scan_by_key_config_selectorIssEEZZNS1_16scan_by_key_implILNS1_25lookback_scan_determinismE0ELb0ES3_N6thrust23THRUST_200600_302600_NS6detail15normal_iteratorINS9_10device_ptrIsEEEESE_SE_sNS9_4plusIsEE19head_flag_predicatesEE10hipError_tPvRmT2_T3_T4_T5_mT6_T7_P12ihipStream_tbENKUlT_T0_E_clISt17integral_constantIbLb0EESY_EEDaST_SU_EUlST_E_NS1_11comp_targetILNS1_3genE10ELNS1_11target_archE1201ELNS1_3gpuE5ELNS1_3repE0EEENS1_30default_config_static_selectorELNS0_4arch9wavefront6targetE0EEEvT1_.num_named_barrier, 0
	.set _ZN7rocprim17ROCPRIM_400000_NS6detail17trampoline_kernelINS0_14default_configENS1_27scan_by_key_config_selectorIssEEZZNS1_16scan_by_key_implILNS1_25lookback_scan_determinismE0ELb0ES3_N6thrust23THRUST_200600_302600_NS6detail15normal_iteratorINS9_10device_ptrIsEEEESE_SE_sNS9_4plusIsEE19head_flag_predicatesEE10hipError_tPvRmT2_T3_T4_T5_mT6_T7_P12ihipStream_tbENKUlT_T0_E_clISt17integral_constantIbLb0EESY_EEDaST_SU_EUlST_E_NS1_11comp_targetILNS1_3genE10ELNS1_11target_archE1201ELNS1_3gpuE5ELNS1_3repE0EEENS1_30default_config_static_selectorELNS0_4arch9wavefront6targetE0EEEvT1_.private_seg_size, 0
	.set _ZN7rocprim17ROCPRIM_400000_NS6detail17trampoline_kernelINS0_14default_configENS1_27scan_by_key_config_selectorIssEEZZNS1_16scan_by_key_implILNS1_25lookback_scan_determinismE0ELb0ES3_N6thrust23THRUST_200600_302600_NS6detail15normal_iteratorINS9_10device_ptrIsEEEESE_SE_sNS9_4plusIsEE19head_flag_predicatesEE10hipError_tPvRmT2_T3_T4_T5_mT6_T7_P12ihipStream_tbENKUlT_T0_E_clISt17integral_constantIbLb0EESY_EEDaST_SU_EUlST_E_NS1_11comp_targetILNS1_3genE10ELNS1_11target_archE1201ELNS1_3gpuE5ELNS1_3repE0EEENS1_30default_config_static_selectorELNS0_4arch9wavefront6targetE0EEEvT1_.uses_vcc, 0
	.set _ZN7rocprim17ROCPRIM_400000_NS6detail17trampoline_kernelINS0_14default_configENS1_27scan_by_key_config_selectorIssEEZZNS1_16scan_by_key_implILNS1_25lookback_scan_determinismE0ELb0ES3_N6thrust23THRUST_200600_302600_NS6detail15normal_iteratorINS9_10device_ptrIsEEEESE_SE_sNS9_4plusIsEE19head_flag_predicatesEE10hipError_tPvRmT2_T3_T4_T5_mT6_T7_P12ihipStream_tbENKUlT_T0_E_clISt17integral_constantIbLb0EESY_EEDaST_SU_EUlST_E_NS1_11comp_targetILNS1_3genE10ELNS1_11target_archE1201ELNS1_3gpuE5ELNS1_3repE0EEENS1_30default_config_static_selectorELNS0_4arch9wavefront6targetE0EEEvT1_.uses_flat_scratch, 0
	.set _ZN7rocprim17ROCPRIM_400000_NS6detail17trampoline_kernelINS0_14default_configENS1_27scan_by_key_config_selectorIssEEZZNS1_16scan_by_key_implILNS1_25lookback_scan_determinismE0ELb0ES3_N6thrust23THRUST_200600_302600_NS6detail15normal_iteratorINS9_10device_ptrIsEEEESE_SE_sNS9_4plusIsEE19head_flag_predicatesEE10hipError_tPvRmT2_T3_T4_T5_mT6_T7_P12ihipStream_tbENKUlT_T0_E_clISt17integral_constantIbLb0EESY_EEDaST_SU_EUlST_E_NS1_11comp_targetILNS1_3genE10ELNS1_11target_archE1201ELNS1_3gpuE5ELNS1_3repE0EEENS1_30default_config_static_selectorELNS0_4arch9wavefront6targetE0EEEvT1_.has_dyn_sized_stack, 0
	.set _ZN7rocprim17ROCPRIM_400000_NS6detail17trampoline_kernelINS0_14default_configENS1_27scan_by_key_config_selectorIssEEZZNS1_16scan_by_key_implILNS1_25lookback_scan_determinismE0ELb0ES3_N6thrust23THRUST_200600_302600_NS6detail15normal_iteratorINS9_10device_ptrIsEEEESE_SE_sNS9_4plusIsEE19head_flag_predicatesEE10hipError_tPvRmT2_T3_T4_T5_mT6_T7_P12ihipStream_tbENKUlT_T0_E_clISt17integral_constantIbLb0EESY_EEDaST_SU_EUlST_E_NS1_11comp_targetILNS1_3genE10ELNS1_11target_archE1201ELNS1_3gpuE5ELNS1_3repE0EEENS1_30default_config_static_selectorELNS0_4arch9wavefront6targetE0EEEvT1_.has_recursion, 0
	.set _ZN7rocprim17ROCPRIM_400000_NS6detail17trampoline_kernelINS0_14default_configENS1_27scan_by_key_config_selectorIssEEZZNS1_16scan_by_key_implILNS1_25lookback_scan_determinismE0ELb0ES3_N6thrust23THRUST_200600_302600_NS6detail15normal_iteratorINS9_10device_ptrIsEEEESE_SE_sNS9_4plusIsEE19head_flag_predicatesEE10hipError_tPvRmT2_T3_T4_T5_mT6_T7_P12ihipStream_tbENKUlT_T0_E_clISt17integral_constantIbLb0EESY_EEDaST_SU_EUlST_E_NS1_11comp_targetILNS1_3genE10ELNS1_11target_archE1201ELNS1_3gpuE5ELNS1_3repE0EEENS1_30default_config_static_selectorELNS0_4arch9wavefront6targetE0EEEvT1_.has_indirect_call, 0
	.section	.AMDGPU.csdata,"",@progbits
; Kernel info:
; codeLenInByte = 0
; TotalNumSgprs: 0
; NumVgprs: 0
; ScratchSize: 0
; MemoryBound: 0
; FloatMode: 240
; IeeeMode: 1
; LDSByteSize: 0 bytes/workgroup (compile time only)
; SGPRBlocks: 0
; VGPRBlocks: 0
; NumSGPRsForWavesPerEU: 1
; NumVGPRsForWavesPerEU: 1
; NamedBarCnt: 0
; Occupancy: 16
; WaveLimiterHint : 0
; COMPUTE_PGM_RSRC2:SCRATCH_EN: 0
; COMPUTE_PGM_RSRC2:USER_SGPR: 2
; COMPUTE_PGM_RSRC2:TRAP_HANDLER: 0
; COMPUTE_PGM_RSRC2:TGID_X_EN: 1
; COMPUTE_PGM_RSRC2:TGID_Y_EN: 0
; COMPUTE_PGM_RSRC2:TGID_Z_EN: 0
; COMPUTE_PGM_RSRC2:TIDIG_COMP_CNT: 0
	.section	.text._ZN7rocprim17ROCPRIM_400000_NS6detail17trampoline_kernelINS0_14default_configENS1_27scan_by_key_config_selectorIssEEZZNS1_16scan_by_key_implILNS1_25lookback_scan_determinismE0ELb0ES3_N6thrust23THRUST_200600_302600_NS6detail15normal_iteratorINS9_10device_ptrIsEEEESE_SE_sNS9_4plusIsEE19head_flag_predicatesEE10hipError_tPvRmT2_T3_T4_T5_mT6_T7_P12ihipStream_tbENKUlT_T0_E_clISt17integral_constantIbLb0EESY_EEDaST_SU_EUlST_E_NS1_11comp_targetILNS1_3genE5ELNS1_11target_archE942ELNS1_3gpuE9ELNS1_3repE0EEENS1_30default_config_static_selectorELNS0_4arch9wavefront6targetE0EEEvT1_,"axG",@progbits,_ZN7rocprim17ROCPRIM_400000_NS6detail17trampoline_kernelINS0_14default_configENS1_27scan_by_key_config_selectorIssEEZZNS1_16scan_by_key_implILNS1_25lookback_scan_determinismE0ELb0ES3_N6thrust23THRUST_200600_302600_NS6detail15normal_iteratorINS9_10device_ptrIsEEEESE_SE_sNS9_4plusIsEE19head_flag_predicatesEE10hipError_tPvRmT2_T3_T4_T5_mT6_T7_P12ihipStream_tbENKUlT_T0_E_clISt17integral_constantIbLb0EESY_EEDaST_SU_EUlST_E_NS1_11comp_targetILNS1_3genE5ELNS1_11target_archE942ELNS1_3gpuE9ELNS1_3repE0EEENS1_30default_config_static_selectorELNS0_4arch9wavefront6targetE0EEEvT1_,comdat
	.protected	_ZN7rocprim17ROCPRIM_400000_NS6detail17trampoline_kernelINS0_14default_configENS1_27scan_by_key_config_selectorIssEEZZNS1_16scan_by_key_implILNS1_25lookback_scan_determinismE0ELb0ES3_N6thrust23THRUST_200600_302600_NS6detail15normal_iteratorINS9_10device_ptrIsEEEESE_SE_sNS9_4plusIsEE19head_flag_predicatesEE10hipError_tPvRmT2_T3_T4_T5_mT6_T7_P12ihipStream_tbENKUlT_T0_E_clISt17integral_constantIbLb0EESY_EEDaST_SU_EUlST_E_NS1_11comp_targetILNS1_3genE5ELNS1_11target_archE942ELNS1_3gpuE9ELNS1_3repE0EEENS1_30default_config_static_selectorELNS0_4arch9wavefront6targetE0EEEvT1_ ; -- Begin function _ZN7rocprim17ROCPRIM_400000_NS6detail17trampoline_kernelINS0_14default_configENS1_27scan_by_key_config_selectorIssEEZZNS1_16scan_by_key_implILNS1_25lookback_scan_determinismE0ELb0ES3_N6thrust23THRUST_200600_302600_NS6detail15normal_iteratorINS9_10device_ptrIsEEEESE_SE_sNS9_4plusIsEE19head_flag_predicatesEE10hipError_tPvRmT2_T3_T4_T5_mT6_T7_P12ihipStream_tbENKUlT_T0_E_clISt17integral_constantIbLb0EESY_EEDaST_SU_EUlST_E_NS1_11comp_targetILNS1_3genE5ELNS1_11target_archE942ELNS1_3gpuE9ELNS1_3repE0EEENS1_30default_config_static_selectorELNS0_4arch9wavefront6targetE0EEEvT1_
	.globl	_ZN7rocprim17ROCPRIM_400000_NS6detail17trampoline_kernelINS0_14default_configENS1_27scan_by_key_config_selectorIssEEZZNS1_16scan_by_key_implILNS1_25lookback_scan_determinismE0ELb0ES3_N6thrust23THRUST_200600_302600_NS6detail15normal_iteratorINS9_10device_ptrIsEEEESE_SE_sNS9_4plusIsEE19head_flag_predicatesEE10hipError_tPvRmT2_T3_T4_T5_mT6_T7_P12ihipStream_tbENKUlT_T0_E_clISt17integral_constantIbLb0EESY_EEDaST_SU_EUlST_E_NS1_11comp_targetILNS1_3genE5ELNS1_11target_archE942ELNS1_3gpuE9ELNS1_3repE0EEENS1_30default_config_static_selectorELNS0_4arch9wavefront6targetE0EEEvT1_
	.p2align	8
	.type	_ZN7rocprim17ROCPRIM_400000_NS6detail17trampoline_kernelINS0_14default_configENS1_27scan_by_key_config_selectorIssEEZZNS1_16scan_by_key_implILNS1_25lookback_scan_determinismE0ELb0ES3_N6thrust23THRUST_200600_302600_NS6detail15normal_iteratorINS9_10device_ptrIsEEEESE_SE_sNS9_4plusIsEE19head_flag_predicatesEE10hipError_tPvRmT2_T3_T4_T5_mT6_T7_P12ihipStream_tbENKUlT_T0_E_clISt17integral_constantIbLb0EESY_EEDaST_SU_EUlST_E_NS1_11comp_targetILNS1_3genE5ELNS1_11target_archE942ELNS1_3gpuE9ELNS1_3repE0EEENS1_30default_config_static_selectorELNS0_4arch9wavefront6targetE0EEEvT1_,@function
_ZN7rocprim17ROCPRIM_400000_NS6detail17trampoline_kernelINS0_14default_configENS1_27scan_by_key_config_selectorIssEEZZNS1_16scan_by_key_implILNS1_25lookback_scan_determinismE0ELb0ES3_N6thrust23THRUST_200600_302600_NS6detail15normal_iteratorINS9_10device_ptrIsEEEESE_SE_sNS9_4plusIsEE19head_flag_predicatesEE10hipError_tPvRmT2_T3_T4_T5_mT6_T7_P12ihipStream_tbENKUlT_T0_E_clISt17integral_constantIbLb0EESY_EEDaST_SU_EUlST_E_NS1_11comp_targetILNS1_3genE5ELNS1_11target_archE942ELNS1_3gpuE9ELNS1_3repE0EEENS1_30default_config_static_selectorELNS0_4arch9wavefront6targetE0EEEvT1_: ; @_ZN7rocprim17ROCPRIM_400000_NS6detail17trampoline_kernelINS0_14default_configENS1_27scan_by_key_config_selectorIssEEZZNS1_16scan_by_key_implILNS1_25lookback_scan_determinismE0ELb0ES3_N6thrust23THRUST_200600_302600_NS6detail15normal_iteratorINS9_10device_ptrIsEEEESE_SE_sNS9_4plusIsEE19head_flag_predicatesEE10hipError_tPvRmT2_T3_T4_T5_mT6_T7_P12ihipStream_tbENKUlT_T0_E_clISt17integral_constantIbLb0EESY_EEDaST_SU_EUlST_E_NS1_11comp_targetILNS1_3genE5ELNS1_11target_archE942ELNS1_3gpuE9ELNS1_3repE0EEENS1_30default_config_static_selectorELNS0_4arch9wavefront6targetE0EEEvT1_
; %bb.0:
	.section	.rodata,"a",@progbits
	.p2align	6, 0x0
	.amdhsa_kernel _ZN7rocprim17ROCPRIM_400000_NS6detail17trampoline_kernelINS0_14default_configENS1_27scan_by_key_config_selectorIssEEZZNS1_16scan_by_key_implILNS1_25lookback_scan_determinismE0ELb0ES3_N6thrust23THRUST_200600_302600_NS6detail15normal_iteratorINS9_10device_ptrIsEEEESE_SE_sNS9_4plusIsEE19head_flag_predicatesEE10hipError_tPvRmT2_T3_T4_T5_mT6_T7_P12ihipStream_tbENKUlT_T0_E_clISt17integral_constantIbLb0EESY_EEDaST_SU_EUlST_E_NS1_11comp_targetILNS1_3genE5ELNS1_11target_archE942ELNS1_3gpuE9ELNS1_3repE0EEENS1_30default_config_static_selectorELNS0_4arch9wavefront6targetE0EEEvT1_
		.amdhsa_group_segment_fixed_size 0
		.amdhsa_private_segment_fixed_size 0
		.amdhsa_kernarg_size 112
		.amdhsa_user_sgpr_count 2
		.amdhsa_user_sgpr_dispatch_ptr 0
		.amdhsa_user_sgpr_queue_ptr 0
		.amdhsa_user_sgpr_kernarg_segment_ptr 1
		.amdhsa_user_sgpr_dispatch_id 0
		.amdhsa_user_sgpr_kernarg_preload_length 0
		.amdhsa_user_sgpr_kernarg_preload_offset 0
		.amdhsa_user_sgpr_private_segment_size 0
		.amdhsa_wavefront_size32 1
		.amdhsa_uses_dynamic_stack 0
		.amdhsa_enable_private_segment 0
		.amdhsa_system_sgpr_workgroup_id_x 1
		.amdhsa_system_sgpr_workgroup_id_y 0
		.amdhsa_system_sgpr_workgroup_id_z 0
		.amdhsa_system_sgpr_workgroup_info 0
		.amdhsa_system_vgpr_workitem_id 0
		.amdhsa_next_free_vgpr 1
		.amdhsa_next_free_sgpr 1
		.amdhsa_named_barrier_count 0
		.amdhsa_reserve_vcc 0
		.amdhsa_float_round_mode_32 0
		.amdhsa_float_round_mode_16_64 0
		.amdhsa_float_denorm_mode_32 3
		.amdhsa_float_denorm_mode_16_64 3
		.amdhsa_fp16_overflow 0
		.amdhsa_memory_ordered 1
		.amdhsa_forward_progress 1
		.amdhsa_inst_pref_size 0
		.amdhsa_round_robin_scheduling 0
		.amdhsa_exception_fp_ieee_invalid_op 0
		.amdhsa_exception_fp_denorm_src 0
		.amdhsa_exception_fp_ieee_div_zero 0
		.amdhsa_exception_fp_ieee_overflow 0
		.amdhsa_exception_fp_ieee_underflow 0
		.amdhsa_exception_fp_ieee_inexact 0
		.amdhsa_exception_int_div_zero 0
	.end_amdhsa_kernel
	.section	.text._ZN7rocprim17ROCPRIM_400000_NS6detail17trampoline_kernelINS0_14default_configENS1_27scan_by_key_config_selectorIssEEZZNS1_16scan_by_key_implILNS1_25lookback_scan_determinismE0ELb0ES3_N6thrust23THRUST_200600_302600_NS6detail15normal_iteratorINS9_10device_ptrIsEEEESE_SE_sNS9_4plusIsEE19head_flag_predicatesEE10hipError_tPvRmT2_T3_T4_T5_mT6_T7_P12ihipStream_tbENKUlT_T0_E_clISt17integral_constantIbLb0EESY_EEDaST_SU_EUlST_E_NS1_11comp_targetILNS1_3genE5ELNS1_11target_archE942ELNS1_3gpuE9ELNS1_3repE0EEENS1_30default_config_static_selectorELNS0_4arch9wavefront6targetE0EEEvT1_,"axG",@progbits,_ZN7rocprim17ROCPRIM_400000_NS6detail17trampoline_kernelINS0_14default_configENS1_27scan_by_key_config_selectorIssEEZZNS1_16scan_by_key_implILNS1_25lookback_scan_determinismE0ELb0ES3_N6thrust23THRUST_200600_302600_NS6detail15normal_iteratorINS9_10device_ptrIsEEEESE_SE_sNS9_4plusIsEE19head_flag_predicatesEE10hipError_tPvRmT2_T3_T4_T5_mT6_T7_P12ihipStream_tbENKUlT_T0_E_clISt17integral_constantIbLb0EESY_EEDaST_SU_EUlST_E_NS1_11comp_targetILNS1_3genE5ELNS1_11target_archE942ELNS1_3gpuE9ELNS1_3repE0EEENS1_30default_config_static_selectorELNS0_4arch9wavefront6targetE0EEEvT1_,comdat
.Lfunc_end823:
	.size	_ZN7rocprim17ROCPRIM_400000_NS6detail17trampoline_kernelINS0_14default_configENS1_27scan_by_key_config_selectorIssEEZZNS1_16scan_by_key_implILNS1_25lookback_scan_determinismE0ELb0ES3_N6thrust23THRUST_200600_302600_NS6detail15normal_iteratorINS9_10device_ptrIsEEEESE_SE_sNS9_4plusIsEE19head_flag_predicatesEE10hipError_tPvRmT2_T3_T4_T5_mT6_T7_P12ihipStream_tbENKUlT_T0_E_clISt17integral_constantIbLb0EESY_EEDaST_SU_EUlST_E_NS1_11comp_targetILNS1_3genE5ELNS1_11target_archE942ELNS1_3gpuE9ELNS1_3repE0EEENS1_30default_config_static_selectorELNS0_4arch9wavefront6targetE0EEEvT1_, .Lfunc_end823-_ZN7rocprim17ROCPRIM_400000_NS6detail17trampoline_kernelINS0_14default_configENS1_27scan_by_key_config_selectorIssEEZZNS1_16scan_by_key_implILNS1_25lookback_scan_determinismE0ELb0ES3_N6thrust23THRUST_200600_302600_NS6detail15normal_iteratorINS9_10device_ptrIsEEEESE_SE_sNS9_4plusIsEE19head_flag_predicatesEE10hipError_tPvRmT2_T3_T4_T5_mT6_T7_P12ihipStream_tbENKUlT_T0_E_clISt17integral_constantIbLb0EESY_EEDaST_SU_EUlST_E_NS1_11comp_targetILNS1_3genE5ELNS1_11target_archE942ELNS1_3gpuE9ELNS1_3repE0EEENS1_30default_config_static_selectorELNS0_4arch9wavefront6targetE0EEEvT1_
                                        ; -- End function
	.set _ZN7rocprim17ROCPRIM_400000_NS6detail17trampoline_kernelINS0_14default_configENS1_27scan_by_key_config_selectorIssEEZZNS1_16scan_by_key_implILNS1_25lookback_scan_determinismE0ELb0ES3_N6thrust23THRUST_200600_302600_NS6detail15normal_iteratorINS9_10device_ptrIsEEEESE_SE_sNS9_4plusIsEE19head_flag_predicatesEE10hipError_tPvRmT2_T3_T4_T5_mT6_T7_P12ihipStream_tbENKUlT_T0_E_clISt17integral_constantIbLb0EESY_EEDaST_SU_EUlST_E_NS1_11comp_targetILNS1_3genE5ELNS1_11target_archE942ELNS1_3gpuE9ELNS1_3repE0EEENS1_30default_config_static_selectorELNS0_4arch9wavefront6targetE0EEEvT1_.num_vgpr, 0
	.set _ZN7rocprim17ROCPRIM_400000_NS6detail17trampoline_kernelINS0_14default_configENS1_27scan_by_key_config_selectorIssEEZZNS1_16scan_by_key_implILNS1_25lookback_scan_determinismE0ELb0ES3_N6thrust23THRUST_200600_302600_NS6detail15normal_iteratorINS9_10device_ptrIsEEEESE_SE_sNS9_4plusIsEE19head_flag_predicatesEE10hipError_tPvRmT2_T3_T4_T5_mT6_T7_P12ihipStream_tbENKUlT_T0_E_clISt17integral_constantIbLb0EESY_EEDaST_SU_EUlST_E_NS1_11comp_targetILNS1_3genE5ELNS1_11target_archE942ELNS1_3gpuE9ELNS1_3repE0EEENS1_30default_config_static_selectorELNS0_4arch9wavefront6targetE0EEEvT1_.num_agpr, 0
	.set _ZN7rocprim17ROCPRIM_400000_NS6detail17trampoline_kernelINS0_14default_configENS1_27scan_by_key_config_selectorIssEEZZNS1_16scan_by_key_implILNS1_25lookback_scan_determinismE0ELb0ES3_N6thrust23THRUST_200600_302600_NS6detail15normal_iteratorINS9_10device_ptrIsEEEESE_SE_sNS9_4plusIsEE19head_flag_predicatesEE10hipError_tPvRmT2_T3_T4_T5_mT6_T7_P12ihipStream_tbENKUlT_T0_E_clISt17integral_constantIbLb0EESY_EEDaST_SU_EUlST_E_NS1_11comp_targetILNS1_3genE5ELNS1_11target_archE942ELNS1_3gpuE9ELNS1_3repE0EEENS1_30default_config_static_selectorELNS0_4arch9wavefront6targetE0EEEvT1_.numbered_sgpr, 0
	.set _ZN7rocprim17ROCPRIM_400000_NS6detail17trampoline_kernelINS0_14default_configENS1_27scan_by_key_config_selectorIssEEZZNS1_16scan_by_key_implILNS1_25lookback_scan_determinismE0ELb0ES3_N6thrust23THRUST_200600_302600_NS6detail15normal_iteratorINS9_10device_ptrIsEEEESE_SE_sNS9_4plusIsEE19head_flag_predicatesEE10hipError_tPvRmT2_T3_T4_T5_mT6_T7_P12ihipStream_tbENKUlT_T0_E_clISt17integral_constantIbLb0EESY_EEDaST_SU_EUlST_E_NS1_11comp_targetILNS1_3genE5ELNS1_11target_archE942ELNS1_3gpuE9ELNS1_3repE0EEENS1_30default_config_static_selectorELNS0_4arch9wavefront6targetE0EEEvT1_.num_named_barrier, 0
	.set _ZN7rocprim17ROCPRIM_400000_NS6detail17trampoline_kernelINS0_14default_configENS1_27scan_by_key_config_selectorIssEEZZNS1_16scan_by_key_implILNS1_25lookback_scan_determinismE0ELb0ES3_N6thrust23THRUST_200600_302600_NS6detail15normal_iteratorINS9_10device_ptrIsEEEESE_SE_sNS9_4plusIsEE19head_flag_predicatesEE10hipError_tPvRmT2_T3_T4_T5_mT6_T7_P12ihipStream_tbENKUlT_T0_E_clISt17integral_constantIbLb0EESY_EEDaST_SU_EUlST_E_NS1_11comp_targetILNS1_3genE5ELNS1_11target_archE942ELNS1_3gpuE9ELNS1_3repE0EEENS1_30default_config_static_selectorELNS0_4arch9wavefront6targetE0EEEvT1_.private_seg_size, 0
	.set _ZN7rocprim17ROCPRIM_400000_NS6detail17trampoline_kernelINS0_14default_configENS1_27scan_by_key_config_selectorIssEEZZNS1_16scan_by_key_implILNS1_25lookback_scan_determinismE0ELb0ES3_N6thrust23THRUST_200600_302600_NS6detail15normal_iteratorINS9_10device_ptrIsEEEESE_SE_sNS9_4plusIsEE19head_flag_predicatesEE10hipError_tPvRmT2_T3_T4_T5_mT6_T7_P12ihipStream_tbENKUlT_T0_E_clISt17integral_constantIbLb0EESY_EEDaST_SU_EUlST_E_NS1_11comp_targetILNS1_3genE5ELNS1_11target_archE942ELNS1_3gpuE9ELNS1_3repE0EEENS1_30default_config_static_selectorELNS0_4arch9wavefront6targetE0EEEvT1_.uses_vcc, 0
	.set _ZN7rocprim17ROCPRIM_400000_NS6detail17trampoline_kernelINS0_14default_configENS1_27scan_by_key_config_selectorIssEEZZNS1_16scan_by_key_implILNS1_25lookback_scan_determinismE0ELb0ES3_N6thrust23THRUST_200600_302600_NS6detail15normal_iteratorINS9_10device_ptrIsEEEESE_SE_sNS9_4plusIsEE19head_flag_predicatesEE10hipError_tPvRmT2_T3_T4_T5_mT6_T7_P12ihipStream_tbENKUlT_T0_E_clISt17integral_constantIbLb0EESY_EEDaST_SU_EUlST_E_NS1_11comp_targetILNS1_3genE5ELNS1_11target_archE942ELNS1_3gpuE9ELNS1_3repE0EEENS1_30default_config_static_selectorELNS0_4arch9wavefront6targetE0EEEvT1_.uses_flat_scratch, 0
	.set _ZN7rocprim17ROCPRIM_400000_NS6detail17trampoline_kernelINS0_14default_configENS1_27scan_by_key_config_selectorIssEEZZNS1_16scan_by_key_implILNS1_25lookback_scan_determinismE0ELb0ES3_N6thrust23THRUST_200600_302600_NS6detail15normal_iteratorINS9_10device_ptrIsEEEESE_SE_sNS9_4plusIsEE19head_flag_predicatesEE10hipError_tPvRmT2_T3_T4_T5_mT6_T7_P12ihipStream_tbENKUlT_T0_E_clISt17integral_constantIbLb0EESY_EEDaST_SU_EUlST_E_NS1_11comp_targetILNS1_3genE5ELNS1_11target_archE942ELNS1_3gpuE9ELNS1_3repE0EEENS1_30default_config_static_selectorELNS0_4arch9wavefront6targetE0EEEvT1_.has_dyn_sized_stack, 0
	.set _ZN7rocprim17ROCPRIM_400000_NS6detail17trampoline_kernelINS0_14default_configENS1_27scan_by_key_config_selectorIssEEZZNS1_16scan_by_key_implILNS1_25lookback_scan_determinismE0ELb0ES3_N6thrust23THRUST_200600_302600_NS6detail15normal_iteratorINS9_10device_ptrIsEEEESE_SE_sNS9_4plusIsEE19head_flag_predicatesEE10hipError_tPvRmT2_T3_T4_T5_mT6_T7_P12ihipStream_tbENKUlT_T0_E_clISt17integral_constantIbLb0EESY_EEDaST_SU_EUlST_E_NS1_11comp_targetILNS1_3genE5ELNS1_11target_archE942ELNS1_3gpuE9ELNS1_3repE0EEENS1_30default_config_static_selectorELNS0_4arch9wavefront6targetE0EEEvT1_.has_recursion, 0
	.set _ZN7rocprim17ROCPRIM_400000_NS6detail17trampoline_kernelINS0_14default_configENS1_27scan_by_key_config_selectorIssEEZZNS1_16scan_by_key_implILNS1_25lookback_scan_determinismE0ELb0ES3_N6thrust23THRUST_200600_302600_NS6detail15normal_iteratorINS9_10device_ptrIsEEEESE_SE_sNS9_4plusIsEE19head_flag_predicatesEE10hipError_tPvRmT2_T3_T4_T5_mT6_T7_P12ihipStream_tbENKUlT_T0_E_clISt17integral_constantIbLb0EESY_EEDaST_SU_EUlST_E_NS1_11comp_targetILNS1_3genE5ELNS1_11target_archE942ELNS1_3gpuE9ELNS1_3repE0EEENS1_30default_config_static_selectorELNS0_4arch9wavefront6targetE0EEEvT1_.has_indirect_call, 0
	.section	.AMDGPU.csdata,"",@progbits
; Kernel info:
; codeLenInByte = 0
; TotalNumSgprs: 0
; NumVgprs: 0
; ScratchSize: 0
; MemoryBound: 0
; FloatMode: 240
; IeeeMode: 1
; LDSByteSize: 0 bytes/workgroup (compile time only)
; SGPRBlocks: 0
; VGPRBlocks: 0
; NumSGPRsForWavesPerEU: 1
; NumVGPRsForWavesPerEU: 1
; NamedBarCnt: 0
; Occupancy: 16
; WaveLimiterHint : 0
; COMPUTE_PGM_RSRC2:SCRATCH_EN: 0
; COMPUTE_PGM_RSRC2:USER_SGPR: 2
; COMPUTE_PGM_RSRC2:TRAP_HANDLER: 0
; COMPUTE_PGM_RSRC2:TGID_X_EN: 1
; COMPUTE_PGM_RSRC2:TGID_Y_EN: 0
; COMPUTE_PGM_RSRC2:TGID_Z_EN: 0
; COMPUTE_PGM_RSRC2:TIDIG_COMP_CNT: 0
	.section	.text._ZN7rocprim17ROCPRIM_400000_NS6detail17trampoline_kernelINS0_14default_configENS1_27scan_by_key_config_selectorIssEEZZNS1_16scan_by_key_implILNS1_25lookback_scan_determinismE0ELb0ES3_N6thrust23THRUST_200600_302600_NS6detail15normal_iteratorINS9_10device_ptrIsEEEESE_SE_sNS9_4plusIsEE19head_flag_predicatesEE10hipError_tPvRmT2_T3_T4_T5_mT6_T7_P12ihipStream_tbENKUlT_T0_E_clISt17integral_constantIbLb0EESY_EEDaST_SU_EUlST_E_NS1_11comp_targetILNS1_3genE4ELNS1_11target_archE910ELNS1_3gpuE8ELNS1_3repE0EEENS1_30default_config_static_selectorELNS0_4arch9wavefront6targetE0EEEvT1_,"axG",@progbits,_ZN7rocprim17ROCPRIM_400000_NS6detail17trampoline_kernelINS0_14default_configENS1_27scan_by_key_config_selectorIssEEZZNS1_16scan_by_key_implILNS1_25lookback_scan_determinismE0ELb0ES3_N6thrust23THRUST_200600_302600_NS6detail15normal_iteratorINS9_10device_ptrIsEEEESE_SE_sNS9_4plusIsEE19head_flag_predicatesEE10hipError_tPvRmT2_T3_T4_T5_mT6_T7_P12ihipStream_tbENKUlT_T0_E_clISt17integral_constantIbLb0EESY_EEDaST_SU_EUlST_E_NS1_11comp_targetILNS1_3genE4ELNS1_11target_archE910ELNS1_3gpuE8ELNS1_3repE0EEENS1_30default_config_static_selectorELNS0_4arch9wavefront6targetE0EEEvT1_,comdat
	.protected	_ZN7rocprim17ROCPRIM_400000_NS6detail17trampoline_kernelINS0_14default_configENS1_27scan_by_key_config_selectorIssEEZZNS1_16scan_by_key_implILNS1_25lookback_scan_determinismE0ELb0ES3_N6thrust23THRUST_200600_302600_NS6detail15normal_iteratorINS9_10device_ptrIsEEEESE_SE_sNS9_4plusIsEE19head_flag_predicatesEE10hipError_tPvRmT2_T3_T4_T5_mT6_T7_P12ihipStream_tbENKUlT_T0_E_clISt17integral_constantIbLb0EESY_EEDaST_SU_EUlST_E_NS1_11comp_targetILNS1_3genE4ELNS1_11target_archE910ELNS1_3gpuE8ELNS1_3repE0EEENS1_30default_config_static_selectorELNS0_4arch9wavefront6targetE0EEEvT1_ ; -- Begin function _ZN7rocprim17ROCPRIM_400000_NS6detail17trampoline_kernelINS0_14default_configENS1_27scan_by_key_config_selectorIssEEZZNS1_16scan_by_key_implILNS1_25lookback_scan_determinismE0ELb0ES3_N6thrust23THRUST_200600_302600_NS6detail15normal_iteratorINS9_10device_ptrIsEEEESE_SE_sNS9_4plusIsEE19head_flag_predicatesEE10hipError_tPvRmT2_T3_T4_T5_mT6_T7_P12ihipStream_tbENKUlT_T0_E_clISt17integral_constantIbLb0EESY_EEDaST_SU_EUlST_E_NS1_11comp_targetILNS1_3genE4ELNS1_11target_archE910ELNS1_3gpuE8ELNS1_3repE0EEENS1_30default_config_static_selectorELNS0_4arch9wavefront6targetE0EEEvT1_
	.globl	_ZN7rocprim17ROCPRIM_400000_NS6detail17trampoline_kernelINS0_14default_configENS1_27scan_by_key_config_selectorIssEEZZNS1_16scan_by_key_implILNS1_25lookback_scan_determinismE0ELb0ES3_N6thrust23THRUST_200600_302600_NS6detail15normal_iteratorINS9_10device_ptrIsEEEESE_SE_sNS9_4plusIsEE19head_flag_predicatesEE10hipError_tPvRmT2_T3_T4_T5_mT6_T7_P12ihipStream_tbENKUlT_T0_E_clISt17integral_constantIbLb0EESY_EEDaST_SU_EUlST_E_NS1_11comp_targetILNS1_3genE4ELNS1_11target_archE910ELNS1_3gpuE8ELNS1_3repE0EEENS1_30default_config_static_selectorELNS0_4arch9wavefront6targetE0EEEvT1_
	.p2align	8
	.type	_ZN7rocprim17ROCPRIM_400000_NS6detail17trampoline_kernelINS0_14default_configENS1_27scan_by_key_config_selectorIssEEZZNS1_16scan_by_key_implILNS1_25lookback_scan_determinismE0ELb0ES3_N6thrust23THRUST_200600_302600_NS6detail15normal_iteratorINS9_10device_ptrIsEEEESE_SE_sNS9_4plusIsEE19head_flag_predicatesEE10hipError_tPvRmT2_T3_T4_T5_mT6_T7_P12ihipStream_tbENKUlT_T0_E_clISt17integral_constantIbLb0EESY_EEDaST_SU_EUlST_E_NS1_11comp_targetILNS1_3genE4ELNS1_11target_archE910ELNS1_3gpuE8ELNS1_3repE0EEENS1_30default_config_static_selectorELNS0_4arch9wavefront6targetE0EEEvT1_,@function
_ZN7rocprim17ROCPRIM_400000_NS6detail17trampoline_kernelINS0_14default_configENS1_27scan_by_key_config_selectorIssEEZZNS1_16scan_by_key_implILNS1_25lookback_scan_determinismE0ELb0ES3_N6thrust23THRUST_200600_302600_NS6detail15normal_iteratorINS9_10device_ptrIsEEEESE_SE_sNS9_4plusIsEE19head_flag_predicatesEE10hipError_tPvRmT2_T3_T4_T5_mT6_T7_P12ihipStream_tbENKUlT_T0_E_clISt17integral_constantIbLb0EESY_EEDaST_SU_EUlST_E_NS1_11comp_targetILNS1_3genE4ELNS1_11target_archE910ELNS1_3gpuE8ELNS1_3repE0EEENS1_30default_config_static_selectorELNS0_4arch9wavefront6targetE0EEEvT1_: ; @_ZN7rocprim17ROCPRIM_400000_NS6detail17trampoline_kernelINS0_14default_configENS1_27scan_by_key_config_selectorIssEEZZNS1_16scan_by_key_implILNS1_25lookback_scan_determinismE0ELb0ES3_N6thrust23THRUST_200600_302600_NS6detail15normal_iteratorINS9_10device_ptrIsEEEESE_SE_sNS9_4plusIsEE19head_flag_predicatesEE10hipError_tPvRmT2_T3_T4_T5_mT6_T7_P12ihipStream_tbENKUlT_T0_E_clISt17integral_constantIbLb0EESY_EEDaST_SU_EUlST_E_NS1_11comp_targetILNS1_3genE4ELNS1_11target_archE910ELNS1_3gpuE8ELNS1_3repE0EEENS1_30default_config_static_selectorELNS0_4arch9wavefront6targetE0EEEvT1_
; %bb.0:
	.section	.rodata,"a",@progbits
	.p2align	6, 0x0
	.amdhsa_kernel _ZN7rocprim17ROCPRIM_400000_NS6detail17trampoline_kernelINS0_14default_configENS1_27scan_by_key_config_selectorIssEEZZNS1_16scan_by_key_implILNS1_25lookback_scan_determinismE0ELb0ES3_N6thrust23THRUST_200600_302600_NS6detail15normal_iteratorINS9_10device_ptrIsEEEESE_SE_sNS9_4plusIsEE19head_flag_predicatesEE10hipError_tPvRmT2_T3_T4_T5_mT6_T7_P12ihipStream_tbENKUlT_T0_E_clISt17integral_constantIbLb0EESY_EEDaST_SU_EUlST_E_NS1_11comp_targetILNS1_3genE4ELNS1_11target_archE910ELNS1_3gpuE8ELNS1_3repE0EEENS1_30default_config_static_selectorELNS0_4arch9wavefront6targetE0EEEvT1_
		.amdhsa_group_segment_fixed_size 0
		.amdhsa_private_segment_fixed_size 0
		.amdhsa_kernarg_size 112
		.amdhsa_user_sgpr_count 2
		.amdhsa_user_sgpr_dispatch_ptr 0
		.amdhsa_user_sgpr_queue_ptr 0
		.amdhsa_user_sgpr_kernarg_segment_ptr 1
		.amdhsa_user_sgpr_dispatch_id 0
		.amdhsa_user_sgpr_kernarg_preload_length 0
		.amdhsa_user_sgpr_kernarg_preload_offset 0
		.amdhsa_user_sgpr_private_segment_size 0
		.amdhsa_wavefront_size32 1
		.amdhsa_uses_dynamic_stack 0
		.amdhsa_enable_private_segment 0
		.amdhsa_system_sgpr_workgroup_id_x 1
		.amdhsa_system_sgpr_workgroup_id_y 0
		.amdhsa_system_sgpr_workgroup_id_z 0
		.amdhsa_system_sgpr_workgroup_info 0
		.amdhsa_system_vgpr_workitem_id 0
		.amdhsa_next_free_vgpr 1
		.amdhsa_next_free_sgpr 1
		.amdhsa_named_barrier_count 0
		.amdhsa_reserve_vcc 0
		.amdhsa_float_round_mode_32 0
		.amdhsa_float_round_mode_16_64 0
		.amdhsa_float_denorm_mode_32 3
		.amdhsa_float_denorm_mode_16_64 3
		.amdhsa_fp16_overflow 0
		.amdhsa_memory_ordered 1
		.amdhsa_forward_progress 1
		.amdhsa_inst_pref_size 0
		.amdhsa_round_robin_scheduling 0
		.amdhsa_exception_fp_ieee_invalid_op 0
		.amdhsa_exception_fp_denorm_src 0
		.amdhsa_exception_fp_ieee_div_zero 0
		.amdhsa_exception_fp_ieee_overflow 0
		.amdhsa_exception_fp_ieee_underflow 0
		.amdhsa_exception_fp_ieee_inexact 0
		.amdhsa_exception_int_div_zero 0
	.end_amdhsa_kernel
	.section	.text._ZN7rocprim17ROCPRIM_400000_NS6detail17trampoline_kernelINS0_14default_configENS1_27scan_by_key_config_selectorIssEEZZNS1_16scan_by_key_implILNS1_25lookback_scan_determinismE0ELb0ES3_N6thrust23THRUST_200600_302600_NS6detail15normal_iteratorINS9_10device_ptrIsEEEESE_SE_sNS9_4plusIsEE19head_flag_predicatesEE10hipError_tPvRmT2_T3_T4_T5_mT6_T7_P12ihipStream_tbENKUlT_T0_E_clISt17integral_constantIbLb0EESY_EEDaST_SU_EUlST_E_NS1_11comp_targetILNS1_3genE4ELNS1_11target_archE910ELNS1_3gpuE8ELNS1_3repE0EEENS1_30default_config_static_selectorELNS0_4arch9wavefront6targetE0EEEvT1_,"axG",@progbits,_ZN7rocprim17ROCPRIM_400000_NS6detail17trampoline_kernelINS0_14default_configENS1_27scan_by_key_config_selectorIssEEZZNS1_16scan_by_key_implILNS1_25lookback_scan_determinismE0ELb0ES3_N6thrust23THRUST_200600_302600_NS6detail15normal_iteratorINS9_10device_ptrIsEEEESE_SE_sNS9_4plusIsEE19head_flag_predicatesEE10hipError_tPvRmT2_T3_T4_T5_mT6_T7_P12ihipStream_tbENKUlT_T0_E_clISt17integral_constantIbLb0EESY_EEDaST_SU_EUlST_E_NS1_11comp_targetILNS1_3genE4ELNS1_11target_archE910ELNS1_3gpuE8ELNS1_3repE0EEENS1_30default_config_static_selectorELNS0_4arch9wavefront6targetE0EEEvT1_,comdat
.Lfunc_end824:
	.size	_ZN7rocprim17ROCPRIM_400000_NS6detail17trampoline_kernelINS0_14default_configENS1_27scan_by_key_config_selectorIssEEZZNS1_16scan_by_key_implILNS1_25lookback_scan_determinismE0ELb0ES3_N6thrust23THRUST_200600_302600_NS6detail15normal_iteratorINS9_10device_ptrIsEEEESE_SE_sNS9_4plusIsEE19head_flag_predicatesEE10hipError_tPvRmT2_T3_T4_T5_mT6_T7_P12ihipStream_tbENKUlT_T0_E_clISt17integral_constantIbLb0EESY_EEDaST_SU_EUlST_E_NS1_11comp_targetILNS1_3genE4ELNS1_11target_archE910ELNS1_3gpuE8ELNS1_3repE0EEENS1_30default_config_static_selectorELNS0_4arch9wavefront6targetE0EEEvT1_, .Lfunc_end824-_ZN7rocprim17ROCPRIM_400000_NS6detail17trampoline_kernelINS0_14default_configENS1_27scan_by_key_config_selectorIssEEZZNS1_16scan_by_key_implILNS1_25lookback_scan_determinismE0ELb0ES3_N6thrust23THRUST_200600_302600_NS6detail15normal_iteratorINS9_10device_ptrIsEEEESE_SE_sNS9_4plusIsEE19head_flag_predicatesEE10hipError_tPvRmT2_T3_T4_T5_mT6_T7_P12ihipStream_tbENKUlT_T0_E_clISt17integral_constantIbLb0EESY_EEDaST_SU_EUlST_E_NS1_11comp_targetILNS1_3genE4ELNS1_11target_archE910ELNS1_3gpuE8ELNS1_3repE0EEENS1_30default_config_static_selectorELNS0_4arch9wavefront6targetE0EEEvT1_
                                        ; -- End function
	.set _ZN7rocprim17ROCPRIM_400000_NS6detail17trampoline_kernelINS0_14default_configENS1_27scan_by_key_config_selectorIssEEZZNS1_16scan_by_key_implILNS1_25lookback_scan_determinismE0ELb0ES3_N6thrust23THRUST_200600_302600_NS6detail15normal_iteratorINS9_10device_ptrIsEEEESE_SE_sNS9_4plusIsEE19head_flag_predicatesEE10hipError_tPvRmT2_T3_T4_T5_mT6_T7_P12ihipStream_tbENKUlT_T0_E_clISt17integral_constantIbLb0EESY_EEDaST_SU_EUlST_E_NS1_11comp_targetILNS1_3genE4ELNS1_11target_archE910ELNS1_3gpuE8ELNS1_3repE0EEENS1_30default_config_static_selectorELNS0_4arch9wavefront6targetE0EEEvT1_.num_vgpr, 0
	.set _ZN7rocprim17ROCPRIM_400000_NS6detail17trampoline_kernelINS0_14default_configENS1_27scan_by_key_config_selectorIssEEZZNS1_16scan_by_key_implILNS1_25lookback_scan_determinismE0ELb0ES3_N6thrust23THRUST_200600_302600_NS6detail15normal_iteratorINS9_10device_ptrIsEEEESE_SE_sNS9_4plusIsEE19head_flag_predicatesEE10hipError_tPvRmT2_T3_T4_T5_mT6_T7_P12ihipStream_tbENKUlT_T0_E_clISt17integral_constantIbLb0EESY_EEDaST_SU_EUlST_E_NS1_11comp_targetILNS1_3genE4ELNS1_11target_archE910ELNS1_3gpuE8ELNS1_3repE0EEENS1_30default_config_static_selectorELNS0_4arch9wavefront6targetE0EEEvT1_.num_agpr, 0
	.set _ZN7rocprim17ROCPRIM_400000_NS6detail17trampoline_kernelINS0_14default_configENS1_27scan_by_key_config_selectorIssEEZZNS1_16scan_by_key_implILNS1_25lookback_scan_determinismE0ELb0ES3_N6thrust23THRUST_200600_302600_NS6detail15normal_iteratorINS9_10device_ptrIsEEEESE_SE_sNS9_4plusIsEE19head_flag_predicatesEE10hipError_tPvRmT2_T3_T4_T5_mT6_T7_P12ihipStream_tbENKUlT_T0_E_clISt17integral_constantIbLb0EESY_EEDaST_SU_EUlST_E_NS1_11comp_targetILNS1_3genE4ELNS1_11target_archE910ELNS1_3gpuE8ELNS1_3repE0EEENS1_30default_config_static_selectorELNS0_4arch9wavefront6targetE0EEEvT1_.numbered_sgpr, 0
	.set _ZN7rocprim17ROCPRIM_400000_NS6detail17trampoline_kernelINS0_14default_configENS1_27scan_by_key_config_selectorIssEEZZNS1_16scan_by_key_implILNS1_25lookback_scan_determinismE0ELb0ES3_N6thrust23THRUST_200600_302600_NS6detail15normal_iteratorINS9_10device_ptrIsEEEESE_SE_sNS9_4plusIsEE19head_flag_predicatesEE10hipError_tPvRmT2_T3_T4_T5_mT6_T7_P12ihipStream_tbENKUlT_T0_E_clISt17integral_constantIbLb0EESY_EEDaST_SU_EUlST_E_NS1_11comp_targetILNS1_3genE4ELNS1_11target_archE910ELNS1_3gpuE8ELNS1_3repE0EEENS1_30default_config_static_selectorELNS0_4arch9wavefront6targetE0EEEvT1_.num_named_barrier, 0
	.set _ZN7rocprim17ROCPRIM_400000_NS6detail17trampoline_kernelINS0_14default_configENS1_27scan_by_key_config_selectorIssEEZZNS1_16scan_by_key_implILNS1_25lookback_scan_determinismE0ELb0ES3_N6thrust23THRUST_200600_302600_NS6detail15normal_iteratorINS9_10device_ptrIsEEEESE_SE_sNS9_4plusIsEE19head_flag_predicatesEE10hipError_tPvRmT2_T3_T4_T5_mT6_T7_P12ihipStream_tbENKUlT_T0_E_clISt17integral_constantIbLb0EESY_EEDaST_SU_EUlST_E_NS1_11comp_targetILNS1_3genE4ELNS1_11target_archE910ELNS1_3gpuE8ELNS1_3repE0EEENS1_30default_config_static_selectorELNS0_4arch9wavefront6targetE0EEEvT1_.private_seg_size, 0
	.set _ZN7rocprim17ROCPRIM_400000_NS6detail17trampoline_kernelINS0_14default_configENS1_27scan_by_key_config_selectorIssEEZZNS1_16scan_by_key_implILNS1_25lookback_scan_determinismE0ELb0ES3_N6thrust23THRUST_200600_302600_NS6detail15normal_iteratorINS9_10device_ptrIsEEEESE_SE_sNS9_4plusIsEE19head_flag_predicatesEE10hipError_tPvRmT2_T3_T4_T5_mT6_T7_P12ihipStream_tbENKUlT_T0_E_clISt17integral_constantIbLb0EESY_EEDaST_SU_EUlST_E_NS1_11comp_targetILNS1_3genE4ELNS1_11target_archE910ELNS1_3gpuE8ELNS1_3repE0EEENS1_30default_config_static_selectorELNS0_4arch9wavefront6targetE0EEEvT1_.uses_vcc, 0
	.set _ZN7rocprim17ROCPRIM_400000_NS6detail17trampoline_kernelINS0_14default_configENS1_27scan_by_key_config_selectorIssEEZZNS1_16scan_by_key_implILNS1_25lookback_scan_determinismE0ELb0ES3_N6thrust23THRUST_200600_302600_NS6detail15normal_iteratorINS9_10device_ptrIsEEEESE_SE_sNS9_4plusIsEE19head_flag_predicatesEE10hipError_tPvRmT2_T3_T4_T5_mT6_T7_P12ihipStream_tbENKUlT_T0_E_clISt17integral_constantIbLb0EESY_EEDaST_SU_EUlST_E_NS1_11comp_targetILNS1_3genE4ELNS1_11target_archE910ELNS1_3gpuE8ELNS1_3repE0EEENS1_30default_config_static_selectorELNS0_4arch9wavefront6targetE0EEEvT1_.uses_flat_scratch, 0
	.set _ZN7rocprim17ROCPRIM_400000_NS6detail17trampoline_kernelINS0_14default_configENS1_27scan_by_key_config_selectorIssEEZZNS1_16scan_by_key_implILNS1_25lookback_scan_determinismE0ELb0ES3_N6thrust23THRUST_200600_302600_NS6detail15normal_iteratorINS9_10device_ptrIsEEEESE_SE_sNS9_4plusIsEE19head_flag_predicatesEE10hipError_tPvRmT2_T3_T4_T5_mT6_T7_P12ihipStream_tbENKUlT_T0_E_clISt17integral_constantIbLb0EESY_EEDaST_SU_EUlST_E_NS1_11comp_targetILNS1_3genE4ELNS1_11target_archE910ELNS1_3gpuE8ELNS1_3repE0EEENS1_30default_config_static_selectorELNS0_4arch9wavefront6targetE0EEEvT1_.has_dyn_sized_stack, 0
	.set _ZN7rocprim17ROCPRIM_400000_NS6detail17trampoline_kernelINS0_14default_configENS1_27scan_by_key_config_selectorIssEEZZNS1_16scan_by_key_implILNS1_25lookback_scan_determinismE0ELb0ES3_N6thrust23THRUST_200600_302600_NS6detail15normal_iteratorINS9_10device_ptrIsEEEESE_SE_sNS9_4plusIsEE19head_flag_predicatesEE10hipError_tPvRmT2_T3_T4_T5_mT6_T7_P12ihipStream_tbENKUlT_T0_E_clISt17integral_constantIbLb0EESY_EEDaST_SU_EUlST_E_NS1_11comp_targetILNS1_3genE4ELNS1_11target_archE910ELNS1_3gpuE8ELNS1_3repE0EEENS1_30default_config_static_selectorELNS0_4arch9wavefront6targetE0EEEvT1_.has_recursion, 0
	.set _ZN7rocprim17ROCPRIM_400000_NS6detail17trampoline_kernelINS0_14default_configENS1_27scan_by_key_config_selectorIssEEZZNS1_16scan_by_key_implILNS1_25lookback_scan_determinismE0ELb0ES3_N6thrust23THRUST_200600_302600_NS6detail15normal_iteratorINS9_10device_ptrIsEEEESE_SE_sNS9_4plusIsEE19head_flag_predicatesEE10hipError_tPvRmT2_T3_T4_T5_mT6_T7_P12ihipStream_tbENKUlT_T0_E_clISt17integral_constantIbLb0EESY_EEDaST_SU_EUlST_E_NS1_11comp_targetILNS1_3genE4ELNS1_11target_archE910ELNS1_3gpuE8ELNS1_3repE0EEENS1_30default_config_static_selectorELNS0_4arch9wavefront6targetE0EEEvT1_.has_indirect_call, 0
	.section	.AMDGPU.csdata,"",@progbits
; Kernel info:
; codeLenInByte = 0
; TotalNumSgprs: 0
; NumVgprs: 0
; ScratchSize: 0
; MemoryBound: 0
; FloatMode: 240
; IeeeMode: 1
; LDSByteSize: 0 bytes/workgroup (compile time only)
; SGPRBlocks: 0
; VGPRBlocks: 0
; NumSGPRsForWavesPerEU: 1
; NumVGPRsForWavesPerEU: 1
; NamedBarCnt: 0
; Occupancy: 16
; WaveLimiterHint : 0
; COMPUTE_PGM_RSRC2:SCRATCH_EN: 0
; COMPUTE_PGM_RSRC2:USER_SGPR: 2
; COMPUTE_PGM_RSRC2:TRAP_HANDLER: 0
; COMPUTE_PGM_RSRC2:TGID_X_EN: 1
; COMPUTE_PGM_RSRC2:TGID_Y_EN: 0
; COMPUTE_PGM_RSRC2:TGID_Z_EN: 0
; COMPUTE_PGM_RSRC2:TIDIG_COMP_CNT: 0
	.section	.text._ZN7rocprim17ROCPRIM_400000_NS6detail17trampoline_kernelINS0_14default_configENS1_27scan_by_key_config_selectorIssEEZZNS1_16scan_by_key_implILNS1_25lookback_scan_determinismE0ELb0ES3_N6thrust23THRUST_200600_302600_NS6detail15normal_iteratorINS9_10device_ptrIsEEEESE_SE_sNS9_4plusIsEE19head_flag_predicatesEE10hipError_tPvRmT2_T3_T4_T5_mT6_T7_P12ihipStream_tbENKUlT_T0_E_clISt17integral_constantIbLb0EESY_EEDaST_SU_EUlST_E_NS1_11comp_targetILNS1_3genE3ELNS1_11target_archE908ELNS1_3gpuE7ELNS1_3repE0EEENS1_30default_config_static_selectorELNS0_4arch9wavefront6targetE0EEEvT1_,"axG",@progbits,_ZN7rocprim17ROCPRIM_400000_NS6detail17trampoline_kernelINS0_14default_configENS1_27scan_by_key_config_selectorIssEEZZNS1_16scan_by_key_implILNS1_25lookback_scan_determinismE0ELb0ES3_N6thrust23THRUST_200600_302600_NS6detail15normal_iteratorINS9_10device_ptrIsEEEESE_SE_sNS9_4plusIsEE19head_flag_predicatesEE10hipError_tPvRmT2_T3_T4_T5_mT6_T7_P12ihipStream_tbENKUlT_T0_E_clISt17integral_constantIbLb0EESY_EEDaST_SU_EUlST_E_NS1_11comp_targetILNS1_3genE3ELNS1_11target_archE908ELNS1_3gpuE7ELNS1_3repE0EEENS1_30default_config_static_selectorELNS0_4arch9wavefront6targetE0EEEvT1_,comdat
	.protected	_ZN7rocprim17ROCPRIM_400000_NS6detail17trampoline_kernelINS0_14default_configENS1_27scan_by_key_config_selectorIssEEZZNS1_16scan_by_key_implILNS1_25lookback_scan_determinismE0ELb0ES3_N6thrust23THRUST_200600_302600_NS6detail15normal_iteratorINS9_10device_ptrIsEEEESE_SE_sNS9_4plusIsEE19head_flag_predicatesEE10hipError_tPvRmT2_T3_T4_T5_mT6_T7_P12ihipStream_tbENKUlT_T0_E_clISt17integral_constantIbLb0EESY_EEDaST_SU_EUlST_E_NS1_11comp_targetILNS1_3genE3ELNS1_11target_archE908ELNS1_3gpuE7ELNS1_3repE0EEENS1_30default_config_static_selectorELNS0_4arch9wavefront6targetE0EEEvT1_ ; -- Begin function _ZN7rocprim17ROCPRIM_400000_NS6detail17trampoline_kernelINS0_14default_configENS1_27scan_by_key_config_selectorIssEEZZNS1_16scan_by_key_implILNS1_25lookback_scan_determinismE0ELb0ES3_N6thrust23THRUST_200600_302600_NS6detail15normal_iteratorINS9_10device_ptrIsEEEESE_SE_sNS9_4plusIsEE19head_flag_predicatesEE10hipError_tPvRmT2_T3_T4_T5_mT6_T7_P12ihipStream_tbENKUlT_T0_E_clISt17integral_constantIbLb0EESY_EEDaST_SU_EUlST_E_NS1_11comp_targetILNS1_3genE3ELNS1_11target_archE908ELNS1_3gpuE7ELNS1_3repE0EEENS1_30default_config_static_selectorELNS0_4arch9wavefront6targetE0EEEvT1_
	.globl	_ZN7rocprim17ROCPRIM_400000_NS6detail17trampoline_kernelINS0_14default_configENS1_27scan_by_key_config_selectorIssEEZZNS1_16scan_by_key_implILNS1_25lookback_scan_determinismE0ELb0ES3_N6thrust23THRUST_200600_302600_NS6detail15normal_iteratorINS9_10device_ptrIsEEEESE_SE_sNS9_4plusIsEE19head_flag_predicatesEE10hipError_tPvRmT2_T3_T4_T5_mT6_T7_P12ihipStream_tbENKUlT_T0_E_clISt17integral_constantIbLb0EESY_EEDaST_SU_EUlST_E_NS1_11comp_targetILNS1_3genE3ELNS1_11target_archE908ELNS1_3gpuE7ELNS1_3repE0EEENS1_30default_config_static_selectorELNS0_4arch9wavefront6targetE0EEEvT1_
	.p2align	8
	.type	_ZN7rocprim17ROCPRIM_400000_NS6detail17trampoline_kernelINS0_14default_configENS1_27scan_by_key_config_selectorIssEEZZNS1_16scan_by_key_implILNS1_25lookback_scan_determinismE0ELb0ES3_N6thrust23THRUST_200600_302600_NS6detail15normal_iteratorINS9_10device_ptrIsEEEESE_SE_sNS9_4plusIsEE19head_flag_predicatesEE10hipError_tPvRmT2_T3_T4_T5_mT6_T7_P12ihipStream_tbENKUlT_T0_E_clISt17integral_constantIbLb0EESY_EEDaST_SU_EUlST_E_NS1_11comp_targetILNS1_3genE3ELNS1_11target_archE908ELNS1_3gpuE7ELNS1_3repE0EEENS1_30default_config_static_selectorELNS0_4arch9wavefront6targetE0EEEvT1_,@function
_ZN7rocprim17ROCPRIM_400000_NS6detail17trampoline_kernelINS0_14default_configENS1_27scan_by_key_config_selectorIssEEZZNS1_16scan_by_key_implILNS1_25lookback_scan_determinismE0ELb0ES3_N6thrust23THRUST_200600_302600_NS6detail15normal_iteratorINS9_10device_ptrIsEEEESE_SE_sNS9_4plusIsEE19head_flag_predicatesEE10hipError_tPvRmT2_T3_T4_T5_mT6_T7_P12ihipStream_tbENKUlT_T0_E_clISt17integral_constantIbLb0EESY_EEDaST_SU_EUlST_E_NS1_11comp_targetILNS1_3genE3ELNS1_11target_archE908ELNS1_3gpuE7ELNS1_3repE0EEENS1_30default_config_static_selectorELNS0_4arch9wavefront6targetE0EEEvT1_: ; @_ZN7rocprim17ROCPRIM_400000_NS6detail17trampoline_kernelINS0_14default_configENS1_27scan_by_key_config_selectorIssEEZZNS1_16scan_by_key_implILNS1_25lookback_scan_determinismE0ELb0ES3_N6thrust23THRUST_200600_302600_NS6detail15normal_iteratorINS9_10device_ptrIsEEEESE_SE_sNS9_4plusIsEE19head_flag_predicatesEE10hipError_tPvRmT2_T3_T4_T5_mT6_T7_P12ihipStream_tbENKUlT_T0_E_clISt17integral_constantIbLb0EESY_EEDaST_SU_EUlST_E_NS1_11comp_targetILNS1_3genE3ELNS1_11target_archE908ELNS1_3gpuE7ELNS1_3repE0EEENS1_30default_config_static_selectorELNS0_4arch9wavefront6targetE0EEEvT1_
; %bb.0:
	.section	.rodata,"a",@progbits
	.p2align	6, 0x0
	.amdhsa_kernel _ZN7rocprim17ROCPRIM_400000_NS6detail17trampoline_kernelINS0_14default_configENS1_27scan_by_key_config_selectorIssEEZZNS1_16scan_by_key_implILNS1_25lookback_scan_determinismE0ELb0ES3_N6thrust23THRUST_200600_302600_NS6detail15normal_iteratorINS9_10device_ptrIsEEEESE_SE_sNS9_4plusIsEE19head_flag_predicatesEE10hipError_tPvRmT2_T3_T4_T5_mT6_T7_P12ihipStream_tbENKUlT_T0_E_clISt17integral_constantIbLb0EESY_EEDaST_SU_EUlST_E_NS1_11comp_targetILNS1_3genE3ELNS1_11target_archE908ELNS1_3gpuE7ELNS1_3repE0EEENS1_30default_config_static_selectorELNS0_4arch9wavefront6targetE0EEEvT1_
		.amdhsa_group_segment_fixed_size 0
		.amdhsa_private_segment_fixed_size 0
		.amdhsa_kernarg_size 112
		.amdhsa_user_sgpr_count 2
		.amdhsa_user_sgpr_dispatch_ptr 0
		.amdhsa_user_sgpr_queue_ptr 0
		.amdhsa_user_sgpr_kernarg_segment_ptr 1
		.amdhsa_user_sgpr_dispatch_id 0
		.amdhsa_user_sgpr_kernarg_preload_length 0
		.amdhsa_user_sgpr_kernarg_preload_offset 0
		.amdhsa_user_sgpr_private_segment_size 0
		.amdhsa_wavefront_size32 1
		.amdhsa_uses_dynamic_stack 0
		.amdhsa_enable_private_segment 0
		.amdhsa_system_sgpr_workgroup_id_x 1
		.amdhsa_system_sgpr_workgroup_id_y 0
		.amdhsa_system_sgpr_workgroup_id_z 0
		.amdhsa_system_sgpr_workgroup_info 0
		.amdhsa_system_vgpr_workitem_id 0
		.amdhsa_next_free_vgpr 1
		.amdhsa_next_free_sgpr 1
		.amdhsa_named_barrier_count 0
		.amdhsa_reserve_vcc 0
		.amdhsa_float_round_mode_32 0
		.amdhsa_float_round_mode_16_64 0
		.amdhsa_float_denorm_mode_32 3
		.amdhsa_float_denorm_mode_16_64 3
		.amdhsa_fp16_overflow 0
		.amdhsa_memory_ordered 1
		.amdhsa_forward_progress 1
		.amdhsa_inst_pref_size 0
		.amdhsa_round_robin_scheduling 0
		.amdhsa_exception_fp_ieee_invalid_op 0
		.amdhsa_exception_fp_denorm_src 0
		.amdhsa_exception_fp_ieee_div_zero 0
		.amdhsa_exception_fp_ieee_overflow 0
		.amdhsa_exception_fp_ieee_underflow 0
		.amdhsa_exception_fp_ieee_inexact 0
		.amdhsa_exception_int_div_zero 0
	.end_amdhsa_kernel
	.section	.text._ZN7rocprim17ROCPRIM_400000_NS6detail17trampoline_kernelINS0_14default_configENS1_27scan_by_key_config_selectorIssEEZZNS1_16scan_by_key_implILNS1_25lookback_scan_determinismE0ELb0ES3_N6thrust23THRUST_200600_302600_NS6detail15normal_iteratorINS9_10device_ptrIsEEEESE_SE_sNS9_4plusIsEE19head_flag_predicatesEE10hipError_tPvRmT2_T3_T4_T5_mT6_T7_P12ihipStream_tbENKUlT_T0_E_clISt17integral_constantIbLb0EESY_EEDaST_SU_EUlST_E_NS1_11comp_targetILNS1_3genE3ELNS1_11target_archE908ELNS1_3gpuE7ELNS1_3repE0EEENS1_30default_config_static_selectorELNS0_4arch9wavefront6targetE0EEEvT1_,"axG",@progbits,_ZN7rocprim17ROCPRIM_400000_NS6detail17trampoline_kernelINS0_14default_configENS1_27scan_by_key_config_selectorIssEEZZNS1_16scan_by_key_implILNS1_25lookback_scan_determinismE0ELb0ES3_N6thrust23THRUST_200600_302600_NS6detail15normal_iteratorINS9_10device_ptrIsEEEESE_SE_sNS9_4plusIsEE19head_flag_predicatesEE10hipError_tPvRmT2_T3_T4_T5_mT6_T7_P12ihipStream_tbENKUlT_T0_E_clISt17integral_constantIbLb0EESY_EEDaST_SU_EUlST_E_NS1_11comp_targetILNS1_3genE3ELNS1_11target_archE908ELNS1_3gpuE7ELNS1_3repE0EEENS1_30default_config_static_selectorELNS0_4arch9wavefront6targetE0EEEvT1_,comdat
.Lfunc_end825:
	.size	_ZN7rocprim17ROCPRIM_400000_NS6detail17trampoline_kernelINS0_14default_configENS1_27scan_by_key_config_selectorIssEEZZNS1_16scan_by_key_implILNS1_25lookback_scan_determinismE0ELb0ES3_N6thrust23THRUST_200600_302600_NS6detail15normal_iteratorINS9_10device_ptrIsEEEESE_SE_sNS9_4plusIsEE19head_flag_predicatesEE10hipError_tPvRmT2_T3_T4_T5_mT6_T7_P12ihipStream_tbENKUlT_T0_E_clISt17integral_constantIbLb0EESY_EEDaST_SU_EUlST_E_NS1_11comp_targetILNS1_3genE3ELNS1_11target_archE908ELNS1_3gpuE7ELNS1_3repE0EEENS1_30default_config_static_selectorELNS0_4arch9wavefront6targetE0EEEvT1_, .Lfunc_end825-_ZN7rocprim17ROCPRIM_400000_NS6detail17trampoline_kernelINS0_14default_configENS1_27scan_by_key_config_selectorIssEEZZNS1_16scan_by_key_implILNS1_25lookback_scan_determinismE0ELb0ES3_N6thrust23THRUST_200600_302600_NS6detail15normal_iteratorINS9_10device_ptrIsEEEESE_SE_sNS9_4plusIsEE19head_flag_predicatesEE10hipError_tPvRmT2_T3_T4_T5_mT6_T7_P12ihipStream_tbENKUlT_T0_E_clISt17integral_constantIbLb0EESY_EEDaST_SU_EUlST_E_NS1_11comp_targetILNS1_3genE3ELNS1_11target_archE908ELNS1_3gpuE7ELNS1_3repE0EEENS1_30default_config_static_selectorELNS0_4arch9wavefront6targetE0EEEvT1_
                                        ; -- End function
	.set _ZN7rocprim17ROCPRIM_400000_NS6detail17trampoline_kernelINS0_14default_configENS1_27scan_by_key_config_selectorIssEEZZNS1_16scan_by_key_implILNS1_25lookback_scan_determinismE0ELb0ES3_N6thrust23THRUST_200600_302600_NS6detail15normal_iteratorINS9_10device_ptrIsEEEESE_SE_sNS9_4plusIsEE19head_flag_predicatesEE10hipError_tPvRmT2_T3_T4_T5_mT6_T7_P12ihipStream_tbENKUlT_T0_E_clISt17integral_constantIbLb0EESY_EEDaST_SU_EUlST_E_NS1_11comp_targetILNS1_3genE3ELNS1_11target_archE908ELNS1_3gpuE7ELNS1_3repE0EEENS1_30default_config_static_selectorELNS0_4arch9wavefront6targetE0EEEvT1_.num_vgpr, 0
	.set _ZN7rocprim17ROCPRIM_400000_NS6detail17trampoline_kernelINS0_14default_configENS1_27scan_by_key_config_selectorIssEEZZNS1_16scan_by_key_implILNS1_25lookback_scan_determinismE0ELb0ES3_N6thrust23THRUST_200600_302600_NS6detail15normal_iteratorINS9_10device_ptrIsEEEESE_SE_sNS9_4plusIsEE19head_flag_predicatesEE10hipError_tPvRmT2_T3_T4_T5_mT6_T7_P12ihipStream_tbENKUlT_T0_E_clISt17integral_constantIbLb0EESY_EEDaST_SU_EUlST_E_NS1_11comp_targetILNS1_3genE3ELNS1_11target_archE908ELNS1_3gpuE7ELNS1_3repE0EEENS1_30default_config_static_selectorELNS0_4arch9wavefront6targetE0EEEvT1_.num_agpr, 0
	.set _ZN7rocprim17ROCPRIM_400000_NS6detail17trampoline_kernelINS0_14default_configENS1_27scan_by_key_config_selectorIssEEZZNS1_16scan_by_key_implILNS1_25lookback_scan_determinismE0ELb0ES3_N6thrust23THRUST_200600_302600_NS6detail15normal_iteratorINS9_10device_ptrIsEEEESE_SE_sNS9_4plusIsEE19head_flag_predicatesEE10hipError_tPvRmT2_T3_T4_T5_mT6_T7_P12ihipStream_tbENKUlT_T0_E_clISt17integral_constantIbLb0EESY_EEDaST_SU_EUlST_E_NS1_11comp_targetILNS1_3genE3ELNS1_11target_archE908ELNS1_3gpuE7ELNS1_3repE0EEENS1_30default_config_static_selectorELNS0_4arch9wavefront6targetE0EEEvT1_.numbered_sgpr, 0
	.set _ZN7rocprim17ROCPRIM_400000_NS6detail17trampoline_kernelINS0_14default_configENS1_27scan_by_key_config_selectorIssEEZZNS1_16scan_by_key_implILNS1_25lookback_scan_determinismE0ELb0ES3_N6thrust23THRUST_200600_302600_NS6detail15normal_iteratorINS9_10device_ptrIsEEEESE_SE_sNS9_4plusIsEE19head_flag_predicatesEE10hipError_tPvRmT2_T3_T4_T5_mT6_T7_P12ihipStream_tbENKUlT_T0_E_clISt17integral_constantIbLb0EESY_EEDaST_SU_EUlST_E_NS1_11comp_targetILNS1_3genE3ELNS1_11target_archE908ELNS1_3gpuE7ELNS1_3repE0EEENS1_30default_config_static_selectorELNS0_4arch9wavefront6targetE0EEEvT1_.num_named_barrier, 0
	.set _ZN7rocprim17ROCPRIM_400000_NS6detail17trampoline_kernelINS0_14default_configENS1_27scan_by_key_config_selectorIssEEZZNS1_16scan_by_key_implILNS1_25lookback_scan_determinismE0ELb0ES3_N6thrust23THRUST_200600_302600_NS6detail15normal_iteratorINS9_10device_ptrIsEEEESE_SE_sNS9_4plusIsEE19head_flag_predicatesEE10hipError_tPvRmT2_T3_T4_T5_mT6_T7_P12ihipStream_tbENKUlT_T0_E_clISt17integral_constantIbLb0EESY_EEDaST_SU_EUlST_E_NS1_11comp_targetILNS1_3genE3ELNS1_11target_archE908ELNS1_3gpuE7ELNS1_3repE0EEENS1_30default_config_static_selectorELNS0_4arch9wavefront6targetE0EEEvT1_.private_seg_size, 0
	.set _ZN7rocprim17ROCPRIM_400000_NS6detail17trampoline_kernelINS0_14default_configENS1_27scan_by_key_config_selectorIssEEZZNS1_16scan_by_key_implILNS1_25lookback_scan_determinismE0ELb0ES3_N6thrust23THRUST_200600_302600_NS6detail15normal_iteratorINS9_10device_ptrIsEEEESE_SE_sNS9_4plusIsEE19head_flag_predicatesEE10hipError_tPvRmT2_T3_T4_T5_mT6_T7_P12ihipStream_tbENKUlT_T0_E_clISt17integral_constantIbLb0EESY_EEDaST_SU_EUlST_E_NS1_11comp_targetILNS1_3genE3ELNS1_11target_archE908ELNS1_3gpuE7ELNS1_3repE0EEENS1_30default_config_static_selectorELNS0_4arch9wavefront6targetE0EEEvT1_.uses_vcc, 0
	.set _ZN7rocprim17ROCPRIM_400000_NS6detail17trampoline_kernelINS0_14default_configENS1_27scan_by_key_config_selectorIssEEZZNS1_16scan_by_key_implILNS1_25lookback_scan_determinismE0ELb0ES3_N6thrust23THRUST_200600_302600_NS6detail15normal_iteratorINS9_10device_ptrIsEEEESE_SE_sNS9_4plusIsEE19head_flag_predicatesEE10hipError_tPvRmT2_T3_T4_T5_mT6_T7_P12ihipStream_tbENKUlT_T0_E_clISt17integral_constantIbLb0EESY_EEDaST_SU_EUlST_E_NS1_11comp_targetILNS1_3genE3ELNS1_11target_archE908ELNS1_3gpuE7ELNS1_3repE0EEENS1_30default_config_static_selectorELNS0_4arch9wavefront6targetE0EEEvT1_.uses_flat_scratch, 0
	.set _ZN7rocprim17ROCPRIM_400000_NS6detail17trampoline_kernelINS0_14default_configENS1_27scan_by_key_config_selectorIssEEZZNS1_16scan_by_key_implILNS1_25lookback_scan_determinismE0ELb0ES3_N6thrust23THRUST_200600_302600_NS6detail15normal_iteratorINS9_10device_ptrIsEEEESE_SE_sNS9_4plusIsEE19head_flag_predicatesEE10hipError_tPvRmT2_T3_T4_T5_mT6_T7_P12ihipStream_tbENKUlT_T0_E_clISt17integral_constantIbLb0EESY_EEDaST_SU_EUlST_E_NS1_11comp_targetILNS1_3genE3ELNS1_11target_archE908ELNS1_3gpuE7ELNS1_3repE0EEENS1_30default_config_static_selectorELNS0_4arch9wavefront6targetE0EEEvT1_.has_dyn_sized_stack, 0
	.set _ZN7rocprim17ROCPRIM_400000_NS6detail17trampoline_kernelINS0_14default_configENS1_27scan_by_key_config_selectorIssEEZZNS1_16scan_by_key_implILNS1_25lookback_scan_determinismE0ELb0ES3_N6thrust23THRUST_200600_302600_NS6detail15normal_iteratorINS9_10device_ptrIsEEEESE_SE_sNS9_4plusIsEE19head_flag_predicatesEE10hipError_tPvRmT2_T3_T4_T5_mT6_T7_P12ihipStream_tbENKUlT_T0_E_clISt17integral_constantIbLb0EESY_EEDaST_SU_EUlST_E_NS1_11comp_targetILNS1_3genE3ELNS1_11target_archE908ELNS1_3gpuE7ELNS1_3repE0EEENS1_30default_config_static_selectorELNS0_4arch9wavefront6targetE0EEEvT1_.has_recursion, 0
	.set _ZN7rocprim17ROCPRIM_400000_NS6detail17trampoline_kernelINS0_14default_configENS1_27scan_by_key_config_selectorIssEEZZNS1_16scan_by_key_implILNS1_25lookback_scan_determinismE0ELb0ES3_N6thrust23THRUST_200600_302600_NS6detail15normal_iteratorINS9_10device_ptrIsEEEESE_SE_sNS9_4plusIsEE19head_flag_predicatesEE10hipError_tPvRmT2_T3_T4_T5_mT6_T7_P12ihipStream_tbENKUlT_T0_E_clISt17integral_constantIbLb0EESY_EEDaST_SU_EUlST_E_NS1_11comp_targetILNS1_3genE3ELNS1_11target_archE908ELNS1_3gpuE7ELNS1_3repE0EEENS1_30default_config_static_selectorELNS0_4arch9wavefront6targetE0EEEvT1_.has_indirect_call, 0
	.section	.AMDGPU.csdata,"",@progbits
; Kernel info:
; codeLenInByte = 0
; TotalNumSgprs: 0
; NumVgprs: 0
; ScratchSize: 0
; MemoryBound: 0
; FloatMode: 240
; IeeeMode: 1
; LDSByteSize: 0 bytes/workgroup (compile time only)
; SGPRBlocks: 0
; VGPRBlocks: 0
; NumSGPRsForWavesPerEU: 1
; NumVGPRsForWavesPerEU: 1
; NamedBarCnt: 0
; Occupancy: 16
; WaveLimiterHint : 0
; COMPUTE_PGM_RSRC2:SCRATCH_EN: 0
; COMPUTE_PGM_RSRC2:USER_SGPR: 2
; COMPUTE_PGM_RSRC2:TRAP_HANDLER: 0
; COMPUTE_PGM_RSRC2:TGID_X_EN: 1
; COMPUTE_PGM_RSRC2:TGID_Y_EN: 0
; COMPUTE_PGM_RSRC2:TGID_Z_EN: 0
; COMPUTE_PGM_RSRC2:TIDIG_COMP_CNT: 0
	.section	.text._ZN7rocprim17ROCPRIM_400000_NS6detail17trampoline_kernelINS0_14default_configENS1_27scan_by_key_config_selectorIssEEZZNS1_16scan_by_key_implILNS1_25lookback_scan_determinismE0ELb0ES3_N6thrust23THRUST_200600_302600_NS6detail15normal_iteratorINS9_10device_ptrIsEEEESE_SE_sNS9_4plusIsEE19head_flag_predicatesEE10hipError_tPvRmT2_T3_T4_T5_mT6_T7_P12ihipStream_tbENKUlT_T0_E_clISt17integral_constantIbLb0EESY_EEDaST_SU_EUlST_E_NS1_11comp_targetILNS1_3genE2ELNS1_11target_archE906ELNS1_3gpuE6ELNS1_3repE0EEENS1_30default_config_static_selectorELNS0_4arch9wavefront6targetE0EEEvT1_,"axG",@progbits,_ZN7rocprim17ROCPRIM_400000_NS6detail17trampoline_kernelINS0_14default_configENS1_27scan_by_key_config_selectorIssEEZZNS1_16scan_by_key_implILNS1_25lookback_scan_determinismE0ELb0ES3_N6thrust23THRUST_200600_302600_NS6detail15normal_iteratorINS9_10device_ptrIsEEEESE_SE_sNS9_4plusIsEE19head_flag_predicatesEE10hipError_tPvRmT2_T3_T4_T5_mT6_T7_P12ihipStream_tbENKUlT_T0_E_clISt17integral_constantIbLb0EESY_EEDaST_SU_EUlST_E_NS1_11comp_targetILNS1_3genE2ELNS1_11target_archE906ELNS1_3gpuE6ELNS1_3repE0EEENS1_30default_config_static_selectorELNS0_4arch9wavefront6targetE0EEEvT1_,comdat
	.protected	_ZN7rocprim17ROCPRIM_400000_NS6detail17trampoline_kernelINS0_14default_configENS1_27scan_by_key_config_selectorIssEEZZNS1_16scan_by_key_implILNS1_25lookback_scan_determinismE0ELb0ES3_N6thrust23THRUST_200600_302600_NS6detail15normal_iteratorINS9_10device_ptrIsEEEESE_SE_sNS9_4plusIsEE19head_flag_predicatesEE10hipError_tPvRmT2_T3_T4_T5_mT6_T7_P12ihipStream_tbENKUlT_T0_E_clISt17integral_constantIbLb0EESY_EEDaST_SU_EUlST_E_NS1_11comp_targetILNS1_3genE2ELNS1_11target_archE906ELNS1_3gpuE6ELNS1_3repE0EEENS1_30default_config_static_selectorELNS0_4arch9wavefront6targetE0EEEvT1_ ; -- Begin function _ZN7rocprim17ROCPRIM_400000_NS6detail17trampoline_kernelINS0_14default_configENS1_27scan_by_key_config_selectorIssEEZZNS1_16scan_by_key_implILNS1_25lookback_scan_determinismE0ELb0ES3_N6thrust23THRUST_200600_302600_NS6detail15normal_iteratorINS9_10device_ptrIsEEEESE_SE_sNS9_4plusIsEE19head_flag_predicatesEE10hipError_tPvRmT2_T3_T4_T5_mT6_T7_P12ihipStream_tbENKUlT_T0_E_clISt17integral_constantIbLb0EESY_EEDaST_SU_EUlST_E_NS1_11comp_targetILNS1_3genE2ELNS1_11target_archE906ELNS1_3gpuE6ELNS1_3repE0EEENS1_30default_config_static_selectorELNS0_4arch9wavefront6targetE0EEEvT1_
	.globl	_ZN7rocprim17ROCPRIM_400000_NS6detail17trampoline_kernelINS0_14default_configENS1_27scan_by_key_config_selectorIssEEZZNS1_16scan_by_key_implILNS1_25lookback_scan_determinismE0ELb0ES3_N6thrust23THRUST_200600_302600_NS6detail15normal_iteratorINS9_10device_ptrIsEEEESE_SE_sNS9_4plusIsEE19head_flag_predicatesEE10hipError_tPvRmT2_T3_T4_T5_mT6_T7_P12ihipStream_tbENKUlT_T0_E_clISt17integral_constantIbLb0EESY_EEDaST_SU_EUlST_E_NS1_11comp_targetILNS1_3genE2ELNS1_11target_archE906ELNS1_3gpuE6ELNS1_3repE0EEENS1_30default_config_static_selectorELNS0_4arch9wavefront6targetE0EEEvT1_
	.p2align	8
	.type	_ZN7rocprim17ROCPRIM_400000_NS6detail17trampoline_kernelINS0_14default_configENS1_27scan_by_key_config_selectorIssEEZZNS1_16scan_by_key_implILNS1_25lookback_scan_determinismE0ELb0ES3_N6thrust23THRUST_200600_302600_NS6detail15normal_iteratorINS9_10device_ptrIsEEEESE_SE_sNS9_4plusIsEE19head_flag_predicatesEE10hipError_tPvRmT2_T3_T4_T5_mT6_T7_P12ihipStream_tbENKUlT_T0_E_clISt17integral_constantIbLb0EESY_EEDaST_SU_EUlST_E_NS1_11comp_targetILNS1_3genE2ELNS1_11target_archE906ELNS1_3gpuE6ELNS1_3repE0EEENS1_30default_config_static_selectorELNS0_4arch9wavefront6targetE0EEEvT1_,@function
_ZN7rocprim17ROCPRIM_400000_NS6detail17trampoline_kernelINS0_14default_configENS1_27scan_by_key_config_selectorIssEEZZNS1_16scan_by_key_implILNS1_25lookback_scan_determinismE0ELb0ES3_N6thrust23THRUST_200600_302600_NS6detail15normal_iteratorINS9_10device_ptrIsEEEESE_SE_sNS9_4plusIsEE19head_flag_predicatesEE10hipError_tPvRmT2_T3_T4_T5_mT6_T7_P12ihipStream_tbENKUlT_T0_E_clISt17integral_constantIbLb0EESY_EEDaST_SU_EUlST_E_NS1_11comp_targetILNS1_3genE2ELNS1_11target_archE906ELNS1_3gpuE6ELNS1_3repE0EEENS1_30default_config_static_selectorELNS0_4arch9wavefront6targetE0EEEvT1_: ; @_ZN7rocprim17ROCPRIM_400000_NS6detail17trampoline_kernelINS0_14default_configENS1_27scan_by_key_config_selectorIssEEZZNS1_16scan_by_key_implILNS1_25lookback_scan_determinismE0ELb0ES3_N6thrust23THRUST_200600_302600_NS6detail15normal_iteratorINS9_10device_ptrIsEEEESE_SE_sNS9_4plusIsEE19head_flag_predicatesEE10hipError_tPvRmT2_T3_T4_T5_mT6_T7_P12ihipStream_tbENKUlT_T0_E_clISt17integral_constantIbLb0EESY_EEDaST_SU_EUlST_E_NS1_11comp_targetILNS1_3genE2ELNS1_11target_archE906ELNS1_3gpuE6ELNS1_3repE0EEENS1_30default_config_static_selectorELNS0_4arch9wavefront6targetE0EEEvT1_
; %bb.0:
	.section	.rodata,"a",@progbits
	.p2align	6, 0x0
	.amdhsa_kernel _ZN7rocprim17ROCPRIM_400000_NS6detail17trampoline_kernelINS0_14default_configENS1_27scan_by_key_config_selectorIssEEZZNS1_16scan_by_key_implILNS1_25lookback_scan_determinismE0ELb0ES3_N6thrust23THRUST_200600_302600_NS6detail15normal_iteratorINS9_10device_ptrIsEEEESE_SE_sNS9_4plusIsEE19head_flag_predicatesEE10hipError_tPvRmT2_T3_T4_T5_mT6_T7_P12ihipStream_tbENKUlT_T0_E_clISt17integral_constantIbLb0EESY_EEDaST_SU_EUlST_E_NS1_11comp_targetILNS1_3genE2ELNS1_11target_archE906ELNS1_3gpuE6ELNS1_3repE0EEENS1_30default_config_static_selectorELNS0_4arch9wavefront6targetE0EEEvT1_
		.amdhsa_group_segment_fixed_size 0
		.amdhsa_private_segment_fixed_size 0
		.amdhsa_kernarg_size 112
		.amdhsa_user_sgpr_count 2
		.amdhsa_user_sgpr_dispatch_ptr 0
		.amdhsa_user_sgpr_queue_ptr 0
		.amdhsa_user_sgpr_kernarg_segment_ptr 1
		.amdhsa_user_sgpr_dispatch_id 0
		.amdhsa_user_sgpr_kernarg_preload_length 0
		.amdhsa_user_sgpr_kernarg_preload_offset 0
		.amdhsa_user_sgpr_private_segment_size 0
		.amdhsa_wavefront_size32 1
		.amdhsa_uses_dynamic_stack 0
		.amdhsa_enable_private_segment 0
		.amdhsa_system_sgpr_workgroup_id_x 1
		.amdhsa_system_sgpr_workgroup_id_y 0
		.amdhsa_system_sgpr_workgroup_id_z 0
		.amdhsa_system_sgpr_workgroup_info 0
		.amdhsa_system_vgpr_workitem_id 0
		.amdhsa_next_free_vgpr 1
		.amdhsa_next_free_sgpr 1
		.amdhsa_named_barrier_count 0
		.amdhsa_reserve_vcc 0
		.amdhsa_float_round_mode_32 0
		.amdhsa_float_round_mode_16_64 0
		.amdhsa_float_denorm_mode_32 3
		.amdhsa_float_denorm_mode_16_64 3
		.amdhsa_fp16_overflow 0
		.amdhsa_memory_ordered 1
		.amdhsa_forward_progress 1
		.amdhsa_inst_pref_size 0
		.amdhsa_round_robin_scheduling 0
		.amdhsa_exception_fp_ieee_invalid_op 0
		.amdhsa_exception_fp_denorm_src 0
		.amdhsa_exception_fp_ieee_div_zero 0
		.amdhsa_exception_fp_ieee_overflow 0
		.amdhsa_exception_fp_ieee_underflow 0
		.amdhsa_exception_fp_ieee_inexact 0
		.amdhsa_exception_int_div_zero 0
	.end_amdhsa_kernel
	.section	.text._ZN7rocprim17ROCPRIM_400000_NS6detail17trampoline_kernelINS0_14default_configENS1_27scan_by_key_config_selectorIssEEZZNS1_16scan_by_key_implILNS1_25lookback_scan_determinismE0ELb0ES3_N6thrust23THRUST_200600_302600_NS6detail15normal_iteratorINS9_10device_ptrIsEEEESE_SE_sNS9_4plusIsEE19head_flag_predicatesEE10hipError_tPvRmT2_T3_T4_T5_mT6_T7_P12ihipStream_tbENKUlT_T0_E_clISt17integral_constantIbLb0EESY_EEDaST_SU_EUlST_E_NS1_11comp_targetILNS1_3genE2ELNS1_11target_archE906ELNS1_3gpuE6ELNS1_3repE0EEENS1_30default_config_static_selectorELNS0_4arch9wavefront6targetE0EEEvT1_,"axG",@progbits,_ZN7rocprim17ROCPRIM_400000_NS6detail17trampoline_kernelINS0_14default_configENS1_27scan_by_key_config_selectorIssEEZZNS1_16scan_by_key_implILNS1_25lookback_scan_determinismE0ELb0ES3_N6thrust23THRUST_200600_302600_NS6detail15normal_iteratorINS9_10device_ptrIsEEEESE_SE_sNS9_4plusIsEE19head_flag_predicatesEE10hipError_tPvRmT2_T3_T4_T5_mT6_T7_P12ihipStream_tbENKUlT_T0_E_clISt17integral_constantIbLb0EESY_EEDaST_SU_EUlST_E_NS1_11comp_targetILNS1_3genE2ELNS1_11target_archE906ELNS1_3gpuE6ELNS1_3repE0EEENS1_30default_config_static_selectorELNS0_4arch9wavefront6targetE0EEEvT1_,comdat
.Lfunc_end826:
	.size	_ZN7rocprim17ROCPRIM_400000_NS6detail17trampoline_kernelINS0_14default_configENS1_27scan_by_key_config_selectorIssEEZZNS1_16scan_by_key_implILNS1_25lookback_scan_determinismE0ELb0ES3_N6thrust23THRUST_200600_302600_NS6detail15normal_iteratorINS9_10device_ptrIsEEEESE_SE_sNS9_4plusIsEE19head_flag_predicatesEE10hipError_tPvRmT2_T3_T4_T5_mT6_T7_P12ihipStream_tbENKUlT_T0_E_clISt17integral_constantIbLb0EESY_EEDaST_SU_EUlST_E_NS1_11comp_targetILNS1_3genE2ELNS1_11target_archE906ELNS1_3gpuE6ELNS1_3repE0EEENS1_30default_config_static_selectorELNS0_4arch9wavefront6targetE0EEEvT1_, .Lfunc_end826-_ZN7rocprim17ROCPRIM_400000_NS6detail17trampoline_kernelINS0_14default_configENS1_27scan_by_key_config_selectorIssEEZZNS1_16scan_by_key_implILNS1_25lookback_scan_determinismE0ELb0ES3_N6thrust23THRUST_200600_302600_NS6detail15normal_iteratorINS9_10device_ptrIsEEEESE_SE_sNS9_4plusIsEE19head_flag_predicatesEE10hipError_tPvRmT2_T3_T4_T5_mT6_T7_P12ihipStream_tbENKUlT_T0_E_clISt17integral_constantIbLb0EESY_EEDaST_SU_EUlST_E_NS1_11comp_targetILNS1_3genE2ELNS1_11target_archE906ELNS1_3gpuE6ELNS1_3repE0EEENS1_30default_config_static_selectorELNS0_4arch9wavefront6targetE0EEEvT1_
                                        ; -- End function
	.set _ZN7rocprim17ROCPRIM_400000_NS6detail17trampoline_kernelINS0_14default_configENS1_27scan_by_key_config_selectorIssEEZZNS1_16scan_by_key_implILNS1_25lookback_scan_determinismE0ELb0ES3_N6thrust23THRUST_200600_302600_NS6detail15normal_iteratorINS9_10device_ptrIsEEEESE_SE_sNS9_4plusIsEE19head_flag_predicatesEE10hipError_tPvRmT2_T3_T4_T5_mT6_T7_P12ihipStream_tbENKUlT_T0_E_clISt17integral_constantIbLb0EESY_EEDaST_SU_EUlST_E_NS1_11comp_targetILNS1_3genE2ELNS1_11target_archE906ELNS1_3gpuE6ELNS1_3repE0EEENS1_30default_config_static_selectorELNS0_4arch9wavefront6targetE0EEEvT1_.num_vgpr, 0
	.set _ZN7rocprim17ROCPRIM_400000_NS6detail17trampoline_kernelINS0_14default_configENS1_27scan_by_key_config_selectorIssEEZZNS1_16scan_by_key_implILNS1_25lookback_scan_determinismE0ELb0ES3_N6thrust23THRUST_200600_302600_NS6detail15normal_iteratorINS9_10device_ptrIsEEEESE_SE_sNS9_4plusIsEE19head_flag_predicatesEE10hipError_tPvRmT2_T3_T4_T5_mT6_T7_P12ihipStream_tbENKUlT_T0_E_clISt17integral_constantIbLb0EESY_EEDaST_SU_EUlST_E_NS1_11comp_targetILNS1_3genE2ELNS1_11target_archE906ELNS1_3gpuE6ELNS1_3repE0EEENS1_30default_config_static_selectorELNS0_4arch9wavefront6targetE0EEEvT1_.num_agpr, 0
	.set _ZN7rocprim17ROCPRIM_400000_NS6detail17trampoline_kernelINS0_14default_configENS1_27scan_by_key_config_selectorIssEEZZNS1_16scan_by_key_implILNS1_25lookback_scan_determinismE0ELb0ES3_N6thrust23THRUST_200600_302600_NS6detail15normal_iteratorINS9_10device_ptrIsEEEESE_SE_sNS9_4plusIsEE19head_flag_predicatesEE10hipError_tPvRmT2_T3_T4_T5_mT6_T7_P12ihipStream_tbENKUlT_T0_E_clISt17integral_constantIbLb0EESY_EEDaST_SU_EUlST_E_NS1_11comp_targetILNS1_3genE2ELNS1_11target_archE906ELNS1_3gpuE6ELNS1_3repE0EEENS1_30default_config_static_selectorELNS0_4arch9wavefront6targetE0EEEvT1_.numbered_sgpr, 0
	.set _ZN7rocprim17ROCPRIM_400000_NS6detail17trampoline_kernelINS0_14default_configENS1_27scan_by_key_config_selectorIssEEZZNS1_16scan_by_key_implILNS1_25lookback_scan_determinismE0ELb0ES3_N6thrust23THRUST_200600_302600_NS6detail15normal_iteratorINS9_10device_ptrIsEEEESE_SE_sNS9_4plusIsEE19head_flag_predicatesEE10hipError_tPvRmT2_T3_T4_T5_mT6_T7_P12ihipStream_tbENKUlT_T0_E_clISt17integral_constantIbLb0EESY_EEDaST_SU_EUlST_E_NS1_11comp_targetILNS1_3genE2ELNS1_11target_archE906ELNS1_3gpuE6ELNS1_3repE0EEENS1_30default_config_static_selectorELNS0_4arch9wavefront6targetE0EEEvT1_.num_named_barrier, 0
	.set _ZN7rocprim17ROCPRIM_400000_NS6detail17trampoline_kernelINS0_14default_configENS1_27scan_by_key_config_selectorIssEEZZNS1_16scan_by_key_implILNS1_25lookback_scan_determinismE0ELb0ES3_N6thrust23THRUST_200600_302600_NS6detail15normal_iteratorINS9_10device_ptrIsEEEESE_SE_sNS9_4plusIsEE19head_flag_predicatesEE10hipError_tPvRmT2_T3_T4_T5_mT6_T7_P12ihipStream_tbENKUlT_T0_E_clISt17integral_constantIbLb0EESY_EEDaST_SU_EUlST_E_NS1_11comp_targetILNS1_3genE2ELNS1_11target_archE906ELNS1_3gpuE6ELNS1_3repE0EEENS1_30default_config_static_selectorELNS0_4arch9wavefront6targetE0EEEvT1_.private_seg_size, 0
	.set _ZN7rocprim17ROCPRIM_400000_NS6detail17trampoline_kernelINS0_14default_configENS1_27scan_by_key_config_selectorIssEEZZNS1_16scan_by_key_implILNS1_25lookback_scan_determinismE0ELb0ES3_N6thrust23THRUST_200600_302600_NS6detail15normal_iteratorINS9_10device_ptrIsEEEESE_SE_sNS9_4plusIsEE19head_flag_predicatesEE10hipError_tPvRmT2_T3_T4_T5_mT6_T7_P12ihipStream_tbENKUlT_T0_E_clISt17integral_constantIbLb0EESY_EEDaST_SU_EUlST_E_NS1_11comp_targetILNS1_3genE2ELNS1_11target_archE906ELNS1_3gpuE6ELNS1_3repE0EEENS1_30default_config_static_selectorELNS0_4arch9wavefront6targetE0EEEvT1_.uses_vcc, 0
	.set _ZN7rocprim17ROCPRIM_400000_NS6detail17trampoline_kernelINS0_14default_configENS1_27scan_by_key_config_selectorIssEEZZNS1_16scan_by_key_implILNS1_25lookback_scan_determinismE0ELb0ES3_N6thrust23THRUST_200600_302600_NS6detail15normal_iteratorINS9_10device_ptrIsEEEESE_SE_sNS9_4plusIsEE19head_flag_predicatesEE10hipError_tPvRmT2_T3_T4_T5_mT6_T7_P12ihipStream_tbENKUlT_T0_E_clISt17integral_constantIbLb0EESY_EEDaST_SU_EUlST_E_NS1_11comp_targetILNS1_3genE2ELNS1_11target_archE906ELNS1_3gpuE6ELNS1_3repE0EEENS1_30default_config_static_selectorELNS0_4arch9wavefront6targetE0EEEvT1_.uses_flat_scratch, 0
	.set _ZN7rocprim17ROCPRIM_400000_NS6detail17trampoline_kernelINS0_14default_configENS1_27scan_by_key_config_selectorIssEEZZNS1_16scan_by_key_implILNS1_25lookback_scan_determinismE0ELb0ES3_N6thrust23THRUST_200600_302600_NS6detail15normal_iteratorINS9_10device_ptrIsEEEESE_SE_sNS9_4plusIsEE19head_flag_predicatesEE10hipError_tPvRmT2_T3_T4_T5_mT6_T7_P12ihipStream_tbENKUlT_T0_E_clISt17integral_constantIbLb0EESY_EEDaST_SU_EUlST_E_NS1_11comp_targetILNS1_3genE2ELNS1_11target_archE906ELNS1_3gpuE6ELNS1_3repE0EEENS1_30default_config_static_selectorELNS0_4arch9wavefront6targetE0EEEvT1_.has_dyn_sized_stack, 0
	.set _ZN7rocprim17ROCPRIM_400000_NS6detail17trampoline_kernelINS0_14default_configENS1_27scan_by_key_config_selectorIssEEZZNS1_16scan_by_key_implILNS1_25lookback_scan_determinismE0ELb0ES3_N6thrust23THRUST_200600_302600_NS6detail15normal_iteratorINS9_10device_ptrIsEEEESE_SE_sNS9_4plusIsEE19head_flag_predicatesEE10hipError_tPvRmT2_T3_T4_T5_mT6_T7_P12ihipStream_tbENKUlT_T0_E_clISt17integral_constantIbLb0EESY_EEDaST_SU_EUlST_E_NS1_11comp_targetILNS1_3genE2ELNS1_11target_archE906ELNS1_3gpuE6ELNS1_3repE0EEENS1_30default_config_static_selectorELNS0_4arch9wavefront6targetE0EEEvT1_.has_recursion, 0
	.set _ZN7rocprim17ROCPRIM_400000_NS6detail17trampoline_kernelINS0_14default_configENS1_27scan_by_key_config_selectorIssEEZZNS1_16scan_by_key_implILNS1_25lookback_scan_determinismE0ELb0ES3_N6thrust23THRUST_200600_302600_NS6detail15normal_iteratorINS9_10device_ptrIsEEEESE_SE_sNS9_4plusIsEE19head_flag_predicatesEE10hipError_tPvRmT2_T3_T4_T5_mT6_T7_P12ihipStream_tbENKUlT_T0_E_clISt17integral_constantIbLb0EESY_EEDaST_SU_EUlST_E_NS1_11comp_targetILNS1_3genE2ELNS1_11target_archE906ELNS1_3gpuE6ELNS1_3repE0EEENS1_30default_config_static_selectorELNS0_4arch9wavefront6targetE0EEEvT1_.has_indirect_call, 0
	.section	.AMDGPU.csdata,"",@progbits
; Kernel info:
; codeLenInByte = 0
; TotalNumSgprs: 0
; NumVgprs: 0
; ScratchSize: 0
; MemoryBound: 0
; FloatMode: 240
; IeeeMode: 1
; LDSByteSize: 0 bytes/workgroup (compile time only)
; SGPRBlocks: 0
; VGPRBlocks: 0
; NumSGPRsForWavesPerEU: 1
; NumVGPRsForWavesPerEU: 1
; NamedBarCnt: 0
; Occupancy: 16
; WaveLimiterHint : 0
; COMPUTE_PGM_RSRC2:SCRATCH_EN: 0
; COMPUTE_PGM_RSRC2:USER_SGPR: 2
; COMPUTE_PGM_RSRC2:TRAP_HANDLER: 0
; COMPUTE_PGM_RSRC2:TGID_X_EN: 1
; COMPUTE_PGM_RSRC2:TGID_Y_EN: 0
; COMPUTE_PGM_RSRC2:TGID_Z_EN: 0
; COMPUTE_PGM_RSRC2:TIDIG_COMP_CNT: 0
	.section	.text._ZN7rocprim17ROCPRIM_400000_NS6detail17trampoline_kernelINS0_14default_configENS1_27scan_by_key_config_selectorIssEEZZNS1_16scan_by_key_implILNS1_25lookback_scan_determinismE0ELb0ES3_N6thrust23THRUST_200600_302600_NS6detail15normal_iteratorINS9_10device_ptrIsEEEESE_SE_sNS9_4plusIsEE19head_flag_predicatesEE10hipError_tPvRmT2_T3_T4_T5_mT6_T7_P12ihipStream_tbENKUlT_T0_E_clISt17integral_constantIbLb0EESY_EEDaST_SU_EUlST_E_NS1_11comp_targetILNS1_3genE10ELNS1_11target_archE1200ELNS1_3gpuE4ELNS1_3repE0EEENS1_30default_config_static_selectorELNS0_4arch9wavefront6targetE0EEEvT1_,"axG",@progbits,_ZN7rocprim17ROCPRIM_400000_NS6detail17trampoline_kernelINS0_14default_configENS1_27scan_by_key_config_selectorIssEEZZNS1_16scan_by_key_implILNS1_25lookback_scan_determinismE0ELb0ES3_N6thrust23THRUST_200600_302600_NS6detail15normal_iteratorINS9_10device_ptrIsEEEESE_SE_sNS9_4plusIsEE19head_flag_predicatesEE10hipError_tPvRmT2_T3_T4_T5_mT6_T7_P12ihipStream_tbENKUlT_T0_E_clISt17integral_constantIbLb0EESY_EEDaST_SU_EUlST_E_NS1_11comp_targetILNS1_3genE10ELNS1_11target_archE1200ELNS1_3gpuE4ELNS1_3repE0EEENS1_30default_config_static_selectorELNS0_4arch9wavefront6targetE0EEEvT1_,comdat
	.protected	_ZN7rocprim17ROCPRIM_400000_NS6detail17trampoline_kernelINS0_14default_configENS1_27scan_by_key_config_selectorIssEEZZNS1_16scan_by_key_implILNS1_25lookback_scan_determinismE0ELb0ES3_N6thrust23THRUST_200600_302600_NS6detail15normal_iteratorINS9_10device_ptrIsEEEESE_SE_sNS9_4plusIsEE19head_flag_predicatesEE10hipError_tPvRmT2_T3_T4_T5_mT6_T7_P12ihipStream_tbENKUlT_T0_E_clISt17integral_constantIbLb0EESY_EEDaST_SU_EUlST_E_NS1_11comp_targetILNS1_3genE10ELNS1_11target_archE1200ELNS1_3gpuE4ELNS1_3repE0EEENS1_30default_config_static_selectorELNS0_4arch9wavefront6targetE0EEEvT1_ ; -- Begin function _ZN7rocprim17ROCPRIM_400000_NS6detail17trampoline_kernelINS0_14default_configENS1_27scan_by_key_config_selectorIssEEZZNS1_16scan_by_key_implILNS1_25lookback_scan_determinismE0ELb0ES3_N6thrust23THRUST_200600_302600_NS6detail15normal_iteratorINS9_10device_ptrIsEEEESE_SE_sNS9_4plusIsEE19head_flag_predicatesEE10hipError_tPvRmT2_T3_T4_T5_mT6_T7_P12ihipStream_tbENKUlT_T0_E_clISt17integral_constantIbLb0EESY_EEDaST_SU_EUlST_E_NS1_11comp_targetILNS1_3genE10ELNS1_11target_archE1200ELNS1_3gpuE4ELNS1_3repE0EEENS1_30default_config_static_selectorELNS0_4arch9wavefront6targetE0EEEvT1_
	.globl	_ZN7rocprim17ROCPRIM_400000_NS6detail17trampoline_kernelINS0_14default_configENS1_27scan_by_key_config_selectorIssEEZZNS1_16scan_by_key_implILNS1_25lookback_scan_determinismE0ELb0ES3_N6thrust23THRUST_200600_302600_NS6detail15normal_iteratorINS9_10device_ptrIsEEEESE_SE_sNS9_4plusIsEE19head_flag_predicatesEE10hipError_tPvRmT2_T3_T4_T5_mT6_T7_P12ihipStream_tbENKUlT_T0_E_clISt17integral_constantIbLb0EESY_EEDaST_SU_EUlST_E_NS1_11comp_targetILNS1_3genE10ELNS1_11target_archE1200ELNS1_3gpuE4ELNS1_3repE0EEENS1_30default_config_static_selectorELNS0_4arch9wavefront6targetE0EEEvT1_
	.p2align	8
	.type	_ZN7rocprim17ROCPRIM_400000_NS6detail17trampoline_kernelINS0_14default_configENS1_27scan_by_key_config_selectorIssEEZZNS1_16scan_by_key_implILNS1_25lookback_scan_determinismE0ELb0ES3_N6thrust23THRUST_200600_302600_NS6detail15normal_iteratorINS9_10device_ptrIsEEEESE_SE_sNS9_4plusIsEE19head_flag_predicatesEE10hipError_tPvRmT2_T3_T4_T5_mT6_T7_P12ihipStream_tbENKUlT_T0_E_clISt17integral_constantIbLb0EESY_EEDaST_SU_EUlST_E_NS1_11comp_targetILNS1_3genE10ELNS1_11target_archE1200ELNS1_3gpuE4ELNS1_3repE0EEENS1_30default_config_static_selectorELNS0_4arch9wavefront6targetE0EEEvT1_,@function
_ZN7rocprim17ROCPRIM_400000_NS6detail17trampoline_kernelINS0_14default_configENS1_27scan_by_key_config_selectorIssEEZZNS1_16scan_by_key_implILNS1_25lookback_scan_determinismE0ELb0ES3_N6thrust23THRUST_200600_302600_NS6detail15normal_iteratorINS9_10device_ptrIsEEEESE_SE_sNS9_4plusIsEE19head_flag_predicatesEE10hipError_tPvRmT2_T3_T4_T5_mT6_T7_P12ihipStream_tbENKUlT_T0_E_clISt17integral_constantIbLb0EESY_EEDaST_SU_EUlST_E_NS1_11comp_targetILNS1_3genE10ELNS1_11target_archE1200ELNS1_3gpuE4ELNS1_3repE0EEENS1_30default_config_static_selectorELNS0_4arch9wavefront6targetE0EEEvT1_: ; @_ZN7rocprim17ROCPRIM_400000_NS6detail17trampoline_kernelINS0_14default_configENS1_27scan_by_key_config_selectorIssEEZZNS1_16scan_by_key_implILNS1_25lookback_scan_determinismE0ELb0ES3_N6thrust23THRUST_200600_302600_NS6detail15normal_iteratorINS9_10device_ptrIsEEEESE_SE_sNS9_4plusIsEE19head_flag_predicatesEE10hipError_tPvRmT2_T3_T4_T5_mT6_T7_P12ihipStream_tbENKUlT_T0_E_clISt17integral_constantIbLb0EESY_EEDaST_SU_EUlST_E_NS1_11comp_targetILNS1_3genE10ELNS1_11target_archE1200ELNS1_3gpuE4ELNS1_3repE0EEENS1_30default_config_static_selectorELNS0_4arch9wavefront6targetE0EEEvT1_
; %bb.0:
	.section	.rodata,"a",@progbits
	.p2align	6, 0x0
	.amdhsa_kernel _ZN7rocprim17ROCPRIM_400000_NS6detail17trampoline_kernelINS0_14default_configENS1_27scan_by_key_config_selectorIssEEZZNS1_16scan_by_key_implILNS1_25lookback_scan_determinismE0ELb0ES3_N6thrust23THRUST_200600_302600_NS6detail15normal_iteratorINS9_10device_ptrIsEEEESE_SE_sNS9_4plusIsEE19head_flag_predicatesEE10hipError_tPvRmT2_T3_T4_T5_mT6_T7_P12ihipStream_tbENKUlT_T0_E_clISt17integral_constantIbLb0EESY_EEDaST_SU_EUlST_E_NS1_11comp_targetILNS1_3genE10ELNS1_11target_archE1200ELNS1_3gpuE4ELNS1_3repE0EEENS1_30default_config_static_selectorELNS0_4arch9wavefront6targetE0EEEvT1_
		.amdhsa_group_segment_fixed_size 0
		.amdhsa_private_segment_fixed_size 0
		.amdhsa_kernarg_size 112
		.amdhsa_user_sgpr_count 2
		.amdhsa_user_sgpr_dispatch_ptr 0
		.amdhsa_user_sgpr_queue_ptr 0
		.amdhsa_user_sgpr_kernarg_segment_ptr 1
		.amdhsa_user_sgpr_dispatch_id 0
		.amdhsa_user_sgpr_kernarg_preload_length 0
		.amdhsa_user_sgpr_kernarg_preload_offset 0
		.amdhsa_user_sgpr_private_segment_size 0
		.amdhsa_wavefront_size32 1
		.amdhsa_uses_dynamic_stack 0
		.amdhsa_enable_private_segment 0
		.amdhsa_system_sgpr_workgroup_id_x 1
		.amdhsa_system_sgpr_workgroup_id_y 0
		.amdhsa_system_sgpr_workgroup_id_z 0
		.amdhsa_system_sgpr_workgroup_info 0
		.amdhsa_system_vgpr_workitem_id 0
		.amdhsa_next_free_vgpr 1
		.amdhsa_next_free_sgpr 1
		.amdhsa_named_barrier_count 0
		.amdhsa_reserve_vcc 0
		.amdhsa_float_round_mode_32 0
		.amdhsa_float_round_mode_16_64 0
		.amdhsa_float_denorm_mode_32 3
		.amdhsa_float_denorm_mode_16_64 3
		.amdhsa_fp16_overflow 0
		.amdhsa_memory_ordered 1
		.amdhsa_forward_progress 1
		.amdhsa_inst_pref_size 0
		.amdhsa_round_robin_scheduling 0
		.amdhsa_exception_fp_ieee_invalid_op 0
		.amdhsa_exception_fp_denorm_src 0
		.amdhsa_exception_fp_ieee_div_zero 0
		.amdhsa_exception_fp_ieee_overflow 0
		.amdhsa_exception_fp_ieee_underflow 0
		.amdhsa_exception_fp_ieee_inexact 0
		.amdhsa_exception_int_div_zero 0
	.end_amdhsa_kernel
	.section	.text._ZN7rocprim17ROCPRIM_400000_NS6detail17trampoline_kernelINS0_14default_configENS1_27scan_by_key_config_selectorIssEEZZNS1_16scan_by_key_implILNS1_25lookback_scan_determinismE0ELb0ES3_N6thrust23THRUST_200600_302600_NS6detail15normal_iteratorINS9_10device_ptrIsEEEESE_SE_sNS9_4plusIsEE19head_flag_predicatesEE10hipError_tPvRmT2_T3_T4_T5_mT6_T7_P12ihipStream_tbENKUlT_T0_E_clISt17integral_constantIbLb0EESY_EEDaST_SU_EUlST_E_NS1_11comp_targetILNS1_3genE10ELNS1_11target_archE1200ELNS1_3gpuE4ELNS1_3repE0EEENS1_30default_config_static_selectorELNS0_4arch9wavefront6targetE0EEEvT1_,"axG",@progbits,_ZN7rocprim17ROCPRIM_400000_NS6detail17trampoline_kernelINS0_14default_configENS1_27scan_by_key_config_selectorIssEEZZNS1_16scan_by_key_implILNS1_25lookback_scan_determinismE0ELb0ES3_N6thrust23THRUST_200600_302600_NS6detail15normal_iteratorINS9_10device_ptrIsEEEESE_SE_sNS9_4plusIsEE19head_flag_predicatesEE10hipError_tPvRmT2_T3_T4_T5_mT6_T7_P12ihipStream_tbENKUlT_T0_E_clISt17integral_constantIbLb0EESY_EEDaST_SU_EUlST_E_NS1_11comp_targetILNS1_3genE10ELNS1_11target_archE1200ELNS1_3gpuE4ELNS1_3repE0EEENS1_30default_config_static_selectorELNS0_4arch9wavefront6targetE0EEEvT1_,comdat
.Lfunc_end827:
	.size	_ZN7rocprim17ROCPRIM_400000_NS6detail17trampoline_kernelINS0_14default_configENS1_27scan_by_key_config_selectorIssEEZZNS1_16scan_by_key_implILNS1_25lookback_scan_determinismE0ELb0ES3_N6thrust23THRUST_200600_302600_NS6detail15normal_iteratorINS9_10device_ptrIsEEEESE_SE_sNS9_4plusIsEE19head_flag_predicatesEE10hipError_tPvRmT2_T3_T4_T5_mT6_T7_P12ihipStream_tbENKUlT_T0_E_clISt17integral_constantIbLb0EESY_EEDaST_SU_EUlST_E_NS1_11comp_targetILNS1_3genE10ELNS1_11target_archE1200ELNS1_3gpuE4ELNS1_3repE0EEENS1_30default_config_static_selectorELNS0_4arch9wavefront6targetE0EEEvT1_, .Lfunc_end827-_ZN7rocprim17ROCPRIM_400000_NS6detail17trampoline_kernelINS0_14default_configENS1_27scan_by_key_config_selectorIssEEZZNS1_16scan_by_key_implILNS1_25lookback_scan_determinismE0ELb0ES3_N6thrust23THRUST_200600_302600_NS6detail15normal_iteratorINS9_10device_ptrIsEEEESE_SE_sNS9_4plusIsEE19head_flag_predicatesEE10hipError_tPvRmT2_T3_T4_T5_mT6_T7_P12ihipStream_tbENKUlT_T0_E_clISt17integral_constantIbLb0EESY_EEDaST_SU_EUlST_E_NS1_11comp_targetILNS1_3genE10ELNS1_11target_archE1200ELNS1_3gpuE4ELNS1_3repE0EEENS1_30default_config_static_selectorELNS0_4arch9wavefront6targetE0EEEvT1_
                                        ; -- End function
	.set _ZN7rocprim17ROCPRIM_400000_NS6detail17trampoline_kernelINS0_14default_configENS1_27scan_by_key_config_selectorIssEEZZNS1_16scan_by_key_implILNS1_25lookback_scan_determinismE0ELb0ES3_N6thrust23THRUST_200600_302600_NS6detail15normal_iteratorINS9_10device_ptrIsEEEESE_SE_sNS9_4plusIsEE19head_flag_predicatesEE10hipError_tPvRmT2_T3_T4_T5_mT6_T7_P12ihipStream_tbENKUlT_T0_E_clISt17integral_constantIbLb0EESY_EEDaST_SU_EUlST_E_NS1_11comp_targetILNS1_3genE10ELNS1_11target_archE1200ELNS1_3gpuE4ELNS1_3repE0EEENS1_30default_config_static_selectorELNS0_4arch9wavefront6targetE0EEEvT1_.num_vgpr, 0
	.set _ZN7rocprim17ROCPRIM_400000_NS6detail17trampoline_kernelINS0_14default_configENS1_27scan_by_key_config_selectorIssEEZZNS1_16scan_by_key_implILNS1_25lookback_scan_determinismE0ELb0ES3_N6thrust23THRUST_200600_302600_NS6detail15normal_iteratorINS9_10device_ptrIsEEEESE_SE_sNS9_4plusIsEE19head_flag_predicatesEE10hipError_tPvRmT2_T3_T4_T5_mT6_T7_P12ihipStream_tbENKUlT_T0_E_clISt17integral_constantIbLb0EESY_EEDaST_SU_EUlST_E_NS1_11comp_targetILNS1_3genE10ELNS1_11target_archE1200ELNS1_3gpuE4ELNS1_3repE0EEENS1_30default_config_static_selectorELNS0_4arch9wavefront6targetE0EEEvT1_.num_agpr, 0
	.set _ZN7rocprim17ROCPRIM_400000_NS6detail17trampoline_kernelINS0_14default_configENS1_27scan_by_key_config_selectorIssEEZZNS1_16scan_by_key_implILNS1_25lookback_scan_determinismE0ELb0ES3_N6thrust23THRUST_200600_302600_NS6detail15normal_iteratorINS9_10device_ptrIsEEEESE_SE_sNS9_4plusIsEE19head_flag_predicatesEE10hipError_tPvRmT2_T3_T4_T5_mT6_T7_P12ihipStream_tbENKUlT_T0_E_clISt17integral_constantIbLb0EESY_EEDaST_SU_EUlST_E_NS1_11comp_targetILNS1_3genE10ELNS1_11target_archE1200ELNS1_3gpuE4ELNS1_3repE0EEENS1_30default_config_static_selectorELNS0_4arch9wavefront6targetE0EEEvT1_.numbered_sgpr, 0
	.set _ZN7rocprim17ROCPRIM_400000_NS6detail17trampoline_kernelINS0_14default_configENS1_27scan_by_key_config_selectorIssEEZZNS1_16scan_by_key_implILNS1_25lookback_scan_determinismE0ELb0ES3_N6thrust23THRUST_200600_302600_NS6detail15normal_iteratorINS9_10device_ptrIsEEEESE_SE_sNS9_4plusIsEE19head_flag_predicatesEE10hipError_tPvRmT2_T3_T4_T5_mT6_T7_P12ihipStream_tbENKUlT_T0_E_clISt17integral_constantIbLb0EESY_EEDaST_SU_EUlST_E_NS1_11comp_targetILNS1_3genE10ELNS1_11target_archE1200ELNS1_3gpuE4ELNS1_3repE0EEENS1_30default_config_static_selectorELNS0_4arch9wavefront6targetE0EEEvT1_.num_named_barrier, 0
	.set _ZN7rocprim17ROCPRIM_400000_NS6detail17trampoline_kernelINS0_14default_configENS1_27scan_by_key_config_selectorIssEEZZNS1_16scan_by_key_implILNS1_25lookback_scan_determinismE0ELb0ES3_N6thrust23THRUST_200600_302600_NS6detail15normal_iteratorINS9_10device_ptrIsEEEESE_SE_sNS9_4plusIsEE19head_flag_predicatesEE10hipError_tPvRmT2_T3_T4_T5_mT6_T7_P12ihipStream_tbENKUlT_T0_E_clISt17integral_constantIbLb0EESY_EEDaST_SU_EUlST_E_NS1_11comp_targetILNS1_3genE10ELNS1_11target_archE1200ELNS1_3gpuE4ELNS1_3repE0EEENS1_30default_config_static_selectorELNS0_4arch9wavefront6targetE0EEEvT1_.private_seg_size, 0
	.set _ZN7rocprim17ROCPRIM_400000_NS6detail17trampoline_kernelINS0_14default_configENS1_27scan_by_key_config_selectorIssEEZZNS1_16scan_by_key_implILNS1_25lookback_scan_determinismE0ELb0ES3_N6thrust23THRUST_200600_302600_NS6detail15normal_iteratorINS9_10device_ptrIsEEEESE_SE_sNS9_4plusIsEE19head_flag_predicatesEE10hipError_tPvRmT2_T3_T4_T5_mT6_T7_P12ihipStream_tbENKUlT_T0_E_clISt17integral_constantIbLb0EESY_EEDaST_SU_EUlST_E_NS1_11comp_targetILNS1_3genE10ELNS1_11target_archE1200ELNS1_3gpuE4ELNS1_3repE0EEENS1_30default_config_static_selectorELNS0_4arch9wavefront6targetE0EEEvT1_.uses_vcc, 0
	.set _ZN7rocprim17ROCPRIM_400000_NS6detail17trampoline_kernelINS0_14default_configENS1_27scan_by_key_config_selectorIssEEZZNS1_16scan_by_key_implILNS1_25lookback_scan_determinismE0ELb0ES3_N6thrust23THRUST_200600_302600_NS6detail15normal_iteratorINS9_10device_ptrIsEEEESE_SE_sNS9_4plusIsEE19head_flag_predicatesEE10hipError_tPvRmT2_T3_T4_T5_mT6_T7_P12ihipStream_tbENKUlT_T0_E_clISt17integral_constantIbLb0EESY_EEDaST_SU_EUlST_E_NS1_11comp_targetILNS1_3genE10ELNS1_11target_archE1200ELNS1_3gpuE4ELNS1_3repE0EEENS1_30default_config_static_selectorELNS0_4arch9wavefront6targetE0EEEvT1_.uses_flat_scratch, 0
	.set _ZN7rocprim17ROCPRIM_400000_NS6detail17trampoline_kernelINS0_14default_configENS1_27scan_by_key_config_selectorIssEEZZNS1_16scan_by_key_implILNS1_25lookback_scan_determinismE0ELb0ES3_N6thrust23THRUST_200600_302600_NS6detail15normal_iteratorINS9_10device_ptrIsEEEESE_SE_sNS9_4plusIsEE19head_flag_predicatesEE10hipError_tPvRmT2_T3_T4_T5_mT6_T7_P12ihipStream_tbENKUlT_T0_E_clISt17integral_constantIbLb0EESY_EEDaST_SU_EUlST_E_NS1_11comp_targetILNS1_3genE10ELNS1_11target_archE1200ELNS1_3gpuE4ELNS1_3repE0EEENS1_30default_config_static_selectorELNS0_4arch9wavefront6targetE0EEEvT1_.has_dyn_sized_stack, 0
	.set _ZN7rocprim17ROCPRIM_400000_NS6detail17trampoline_kernelINS0_14default_configENS1_27scan_by_key_config_selectorIssEEZZNS1_16scan_by_key_implILNS1_25lookback_scan_determinismE0ELb0ES3_N6thrust23THRUST_200600_302600_NS6detail15normal_iteratorINS9_10device_ptrIsEEEESE_SE_sNS9_4plusIsEE19head_flag_predicatesEE10hipError_tPvRmT2_T3_T4_T5_mT6_T7_P12ihipStream_tbENKUlT_T0_E_clISt17integral_constantIbLb0EESY_EEDaST_SU_EUlST_E_NS1_11comp_targetILNS1_3genE10ELNS1_11target_archE1200ELNS1_3gpuE4ELNS1_3repE0EEENS1_30default_config_static_selectorELNS0_4arch9wavefront6targetE0EEEvT1_.has_recursion, 0
	.set _ZN7rocprim17ROCPRIM_400000_NS6detail17trampoline_kernelINS0_14default_configENS1_27scan_by_key_config_selectorIssEEZZNS1_16scan_by_key_implILNS1_25lookback_scan_determinismE0ELb0ES3_N6thrust23THRUST_200600_302600_NS6detail15normal_iteratorINS9_10device_ptrIsEEEESE_SE_sNS9_4plusIsEE19head_flag_predicatesEE10hipError_tPvRmT2_T3_T4_T5_mT6_T7_P12ihipStream_tbENKUlT_T0_E_clISt17integral_constantIbLb0EESY_EEDaST_SU_EUlST_E_NS1_11comp_targetILNS1_3genE10ELNS1_11target_archE1200ELNS1_3gpuE4ELNS1_3repE0EEENS1_30default_config_static_selectorELNS0_4arch9wavefront6targetE0EEEvT1_.has_indirect_call, 0
	.section	.AMDGPU.csdata,"",@progbits
; Kernel info:
; codeLenInByte = 0
; TotalNumSgprs: 0
; NumVgprs: 0
; ScratchSize: 0
; MemoryBound: 0
; FloatMode: 240
; IeeeMode: 1
; LDSByteSize: 0 bytes/workgroup (compile time only)
; SGPRBlocks: 0
; VGPRBlocks: 0
; NumSGPRsForWavesPerEU: 1
; NumVGPRsForWavesPerEU: 1
; NamedBarCnt: 0
; Occupancy: 16
; WaveLimiterHint : 0
; COMPUTE_PGM_RSRC2:SCRATCH_EN: 0
; COMPUTE_PGM_RSRC2:USER_SGPR: 2
; COMPUTE_PGM_RSRC2:TRAP_HANDLER: 0
; COMPUTE_PGM_RSRC2:TGID_X_EN: 1
; COMPUTE_PGM_RSRC2:TGID_Y_EN: 0
; COMPUTE_PGM_RSRC2:TGID_Z_EN: 0
; COMPUTE_PGM_RSRC2:TIDIG_COMP_CNT: 0
	.section	.text._ZN7rocprim17ROCPRIM_400000_NS6detail17trampoline_kernelINS0_14default_configENS1_27scan_by_key_config_selectorIssEEZZNS1_16scan_by_key_implILNS1_25lookback_scan_determinismE0ELb0ES3_N6thrust23THRUST_200600_302600_NS6detail15normal_iteratorINS9_10device_ptrIsEEEESE_SE_sNS9_4plusIsEE19head_flag_predicatesEE10hipError_tPvRmT2_T3_T4_T5_mT6_T7_P12ihipStream_tbENKUlT_T0_E_clISt17integral_constantIbLb0EESY_EEDaST_SU_EUlST_E_NS1_11comp_targetILNS1_3genE9ELNS1_11target_archE1100ELNS1_3gpuE3ELNS1_3repE0EEENS1_30default_config_static_selectorELNS0_4arch9wavefront6targetE0EEEvT1_,"axG",@progbits,_ZN7rocprim17ROCPRIM_400000_NS6detail17trampoline_kernelINS0_14default_configENS1_27scan_by_key_config_selectorIssEEZZNS1_16scan_by_key_implILNS1_25lookback_scan_determinismE0ELb0ES3_N6thrust23THRUST_200600_302600_NS6detail15normal_iteratorINS9_10device_ptrIsEEEESE_SE_sNS9_4plusIsEE19head_flag_predicatesEE10hipError_tPvRmT2_T3_T4_T5_mT6_T7_P12ihipStream_tbENKUlT_T0_E_clISt17integral_constantIbLb0EESY_EEDaST_SU_EUlST_E_NS1_11comp_targetILNS1_3genE9ELNS1_11target_archE1100ELNS1_3gpuE3ELNS1_3repE0EEENS1_30default_config_static_selectorELNS0_4arch9wavefront6targetE0EEEvT1_,comdat
	.protected	_ZN7rocprim17ROCPRIM_400000_NS6detail17trampoline_kernelINS0_14default_configENS1_27scan_by_key_config_selectorIssEEZZNS1_16scan_by_key_implILNS1_25lookback_scan_determinismE0ELb0ES3_N6thrust23THRUST_200600_302600_NS6detail15normal_iteratorINS9_10device_ptrIsEEEESE_SE_sNS9_4plusIsEE19head_flag_predicatesEE10hipError_tPvRmT2_T3_T4_T5_mT6_T7_P12ihipStream_tbENKUlT_T0_E_clISt17integral_constantIbLb0EESY_EEDaST_SU_EUlST_E_NS1_11comp_targetILNS1_3genE9ELNS1_11target_archE1100ELNS1_3gpuE3ELNS1_3repE0EEENS1_30default_config_static_selectorELNS0_4arch9wavefront6targetE0EEEvT1_ ; -- Begin function _ZN7rocprim17ROCPRIM_400000_NS6detail17trampoline_kernelINS0_14default_configENS1_27scan_by_key_config_selectorIssEEZZNS1_16scan_by_key_implILNS1_25lookback_scan_determinismE0ELb0ES3_N6thrust23THRUST_200600_302600_NS6detail15normal_iteratorINS9_10device_ptrIsEEEESE_SE_sNS9_4plusIsEE19head_flag_predicatesEE10hipError_tPvRmT2_T3_T4_T5_mT6_T7_P12ihipStream_tbENKUlT_T0_E_clISt17integral_constantIbLb0EESY_EEDaST_SU_EUlST_E_NS1_11comp_targetILNS1_3genE9ELNS1_11target_archE1100ELNS1_3gpuE3ELNS1_3repE0EEENS1_30default_config_static_selectorELNS0_4arch9wavefront6targetE0EEEvT1_
	.globl	_ZN7rocprim17ROCPRIM_400000_NS6detail17trampoline_kernelINS0_14default_configENS1_27scan_by_key_config_selectorIssEEZZNS1_16scan_by_key_implILNS1_25lookback_scan_determinismE0ELb0ES3_N6thrust23THRUST_200600_302600_NS6detail15normal_iteratorINS9_10device_ptrIsEEEESE_SE_sNS9_4plusIsEE19head_flag_predicatesEE10hipError_tPvRmT2_T3_T4_T5_mT6_T7_P12ihipStream_tbENKUlT_T0_E_clISt17integral_constantIbLb0EESY_EEDaST_SU_EUlST_E_NS1_11comp_targetILNS1_3genE9ELNS1_11target_archE1100ELNS1_3gpuE3ELNS1_3repE0EEENS1_30default_config_static_selectorELNS0_4arch9wavefront6targetE0EEEvT1_
	.p2align	8
	.type	_ZN7rocprim17ROCPRIM_400000_NS6detail17trampoline_kernelINS0_14default_configENS1_27scan_by_key_config_selectorIssEEZZNS1_16scan_by_key_implILNS1_25lookback_scan_determinismE0ELb0ES3_N6thrust23THRUST_200600_302600_NS6detail15normal_iteratorINS9_10device_ptrIsEEEESE_SE_sNS9_4plusIsEE19head_flag_predicatesEE10hipError_tPvRmT2_T3_T4_T5_mT6_T7_P12ihipStream_tbENKUlT_T0_E_clISt17integral_constantIbLb0EESY_EEDaST_SU_EUlST_E_NS1_11comp_targetILNS1_3genE9ELNS1_11target_archE1100ELNS1_3gpuE3ELNS1_3repE0EEENS1_30default_config_static_selectorELNS0_4arch9wavefront6targetE0EEEvT1_,@function
_ZN7rocprim17ROCPRIM_400000_NS6detail17trampoline_kernelINS0_14default_configENS1_27scan_by_key_config_selectorIssEEZZNS1_16scan_by_key_implILNS1_25lookback_scan_determinismE0ELb0ES3_N6thrust23THRUST_200600_302600_NS6detail15normal_iteratorINS9_10device_ptrIsEEEESE_SE_sNS9_4plusIsEE19head_flag_predicatesEE10hipError_tPvRmT2_T3_T4_T5_mT6_T7_P12ihipStream_tbENKUlT_T0_E_clISt17integral_constantIbLb0EESY_EEDaST_SU_EUlST_E_NS1_11comp_targetILNS1_3genE9ELNS1_11target_archE1100ELNS1_3gpuE3ELNS1_3repE0EEENS1_30default_config_static_selectorELNS0_4arch9wavefront6targetE0EEEvT1_: ; @_ZN7rocprim17ROCPRIM_400000_NS6detail17trampoline_kernelINS0_14default_configENS1_27scan_by_key_config_selectorIssEEZZNS1_16scan_by_key_implILNS1_25lookback_scan_determinismE0ELb0ES3_N6thrust23THRUST_200600_302600_NS6detail15normal_iteratorINS9_10device_ptrIsEEEESE_SE_sNS9_4plusIsEE19head_flag_predicatesEE10hipError_tPvRmT2_T3_T4_T5_mT6_T7_P12ihipStream_tbENKUlT_T0_E_clISt17integral_constantIbLb0EESY_EEDaST_SU_EUlST_E_NS1_11comp_targetILNS1_3genE9ELNS1_11target_archE1100ELNS1_3gpuE3ELNS1_3repE0EEENS1_30default_config_static_selectorELNS0_4arch9wavefront6targetE0EEEvT1_
; %bb.0:
	.section	.rodata,"a",@progbits
	.p2align	6, 0x0
	.amdhsa_kernel _ZN7rocprim17ROCPRIM_400000_NS6detail17trampoline_kernelINS0_14default_configENS1_27scan_by_key_config_selectorIssEEZZNS1_16scan_by_key_implILNS1_25lookback_scan_determinismE0ELb0ES3_N6thrust23THRUST_200600_302600_NS6detail15normal_iteratorINS9_10device_ptrIsEEEESE_SE_sNS9_4plusIsEE19head_flag_predicatesEE10hipError_tPvRmT2_T3_T4_T5_mT6_T7_P12ihipStream_tbENKUlT_T0_E_clISt17integral_constantIbLb0EESY_EEDaST_SU_EUlST_E_NS1_11comp_targetILNS1_3genE9ELNS1_11target_archE1100ELNS1_3gpuE3ELNS1_3repE0EEENS1_30default_config_static_selectorELNS0_4arch9wavefront6targetE0EEEvT1_
		.amdhsa_group_segment_fixed_size 0
		.amdhsa_private_segment_fixed_size 0
		.amdhsa_kernarg_size 112
		.amdhsa_user_sgpr_count 2
		.amdhsa_user_sgpr_dispatch_ptr 0
		.amdhsa_user_sgpr_queue_ptr 0
		.amdhsa_user_sgpr_kernarg_segment_ptr 1
		.amdhsa_user_sgpr_dispatch_id 0
		.amdhsa_user_sgpr_kernarg_preload_length 0
		.amdhsa_user_sgpr_kernarg_preload_offset 0
		.amdhsa_user_sgpr_private_segment_size 0
		.amdhsa_wavefront_size32 1
		.amdhsa_uses_dynamic_stack 0
		.amdhsa_enable_private_segment 0
		.amdhsa_system_sgpr_workgroup_id_x 1
		.amdhsa_system_sgpr_workgroup_id_y 0
		.amdhsa_system_sgpr_workgroup_id_z 0
		.amdhsa_system_sgpr_workgroup_info 0
		.amdhsa_system_vgpr_workitem_id 0
		.amdhsa_next_free_vgpr 1
		.amdhsa_next_free_sgpr 1
		.amdhsa_named_barrier_count 0
		.amdhsa_reserve_vcc 0
		.amdhsa_float_round_mode_32 0
		.amdhsa_float_round_mode_16_64 0
		.amdhsa_float_denorm_mode_32 3
		.amdhsa_float_denorm_mode_16_64 3
		.amdhsa_fp16_overflow 0
		.amdhsa_memory_ordered 1
		.amdhsa_forward_progress 1
		.amdhsa_inst_pref_size 0
		.amdhsa_round_robin_scheduling 0
		.amdhsa_exception_fp_ieee_invalid_op 0
		.amdhsa_exception_fp_denorm_src 0
		.amdhsa_exception_fp_ieee_div_zero 0
		.amdhsa_exception_fp_ieee_overflow 0
		.amdhsa_exception_fp_ieee_underflow 0
		.amdhsa_exception_fp_ieee_inexact 0
		.amdhsa_exception_int_div_zero 0
	.end_amdhsa_kernel
	.section	.text._ZN7rocprim17ROCPRIM_400000_NS6detail17trampoline_kernelINS0_14default_configENS1_27scan_by_key_config_selectorIssEEZZNS1_16scan_by_key_implILNS1_25lookback_scan_determinismE0ELb0ES3_N6thrust23THRUST_200600_302600_NS6detail15normal_iteratorINS9_10device_ptrIsEEEESE_SE_sNS9_4plusIsEE19head_flag_predicatesEE10hipError_tPvRmT2_T3_T4_T5_mT6_T7_P12ihipStream_tbENKUlT_T0_E_clISt17integral_constantIbLb0EESY_EEDaST_SU_EUlST_E_NS1_11comp_targetILNS1_3genE9ELNS1_11target_archE1100ELNS1_3gpuE3ELNS1_3repE0EEENS1_30default_config_static_selectorELNS0_4arch9wavefront6targetE0EEEvT1_,"axG",@progbits,_ZN7rocprim17ROCPRIM_400000_NS6detail17trampoline_kernelINS0_14default_configENS1_27scan_by_key_config_selectorIssEEZZNS1_16scan_by_key_implILNS1_25lookback_scan_determinismE0ELb0ES3_N6thrust23THRUST_200600_302600_NS6detail15normal_iteratorINS9_10device_ptrIsEEEESE_SE_sNS9_4plusIsEE19head_flag_predicatesEE10hipError_tPvRmT2_T3_T4_T5_mT6_T7_P12ihipStream_tbENKUlT_T0_E_clISt17integral_constantIbLb0EESY_EEDaST_SU_EUlST_E_NS1_11comp_targetILNS1_3genE9ELNS1_11target_archE1100ELNS1_3gpuE3ELNS1_3repE0EEENS1_30default_config_static_selectorELNS0_4arch9wavefront6targetE0EEEvT1_,comdat
.Lfunc_end828:
	.size	_ZN7rocprim17ROCPRIM_400000_NS6detail17trampoline_kernelINS0_14default_configENS1_27scan_by_key_config_selectorIssEEZZNS1_16scan_by_key_implILNS1_25lookback_scan_determinismE0ELb0ES3_N6thrust23THRUST_200600_302600_NS6detail15normal_iteratorINS9_10device_ptrIsEEEESE_SE_sNS9_4plusIsEE19head_flag_predicatesEE10hipError_tPvRmT2_T3_T4_T5_mT6_T7_P12ihipStream_tbENKUlT_T0_E_clISt17integral_constantIbLb0EESY_EEDaST_SU_EUlST_E_NS1_11comp_targetILNS1_3genE9ELNS1_11target_archE1100ELNS1_3gpuE3ELNS1_3repE0EEENS1_30default_config_static_selectorELNS0_4arch9wavefront6targetE0EEEvT1_, .Lfunc_end828-_ZN7rocprim17ROCPRIM_400000_NS6detail17trampoline_kernelINS0_14default_configENS1_27scan_by_key_config_selectorIssEEZZNS1_16scan_by_key_implILNS1_25lookback_scan_determinismE0ELb0ES3_N6thrust23THRUST_200600_302600_NS6detail15normal_iteratorINS9_10device_ptrIsEEEESE_SE_sNS9_4plusIsEE19head_flag_predicatesEE10hipError_tPvRmT2_T3_T4_T5_mT6_T7_P12ihipStream_tbENKUlT_T0_E_clISt17integral_constantIbLb0EESY_EEDaST_SU_EUlST_E_NS1_11comp_targetILNS1_3genE9ELNS1_11target_archE1100ELNS1_3gpuE3ELNS1_3repE0EEENS1_30default_config_static_selectorELNS0_4arch9wavefront6targetE0EEEvT1_
                                        ; -- End function
	.set _ZN7rocprim17ROCPRIM_400000_NS6detail17trampoline_kernelINS0_14default_configENS1_27scan_by_key_config_selectorIssEEZZNS1_16scan_by_key_implILNS1_25lookback_scan_determinismE0ELb0ES3_N6thrust23THRUST_200600_302600_NS6detail15normal_iteratorINS9_10device_ptrIsEEEESE_SE_sNS9_4plusIsEE19head_flag_predicatesEE10hipError_tPvRmT2_T3_T4_T5_mT6_T7_P12ihipStream_tbENKUlT_T0_E_clISt17integral_constantIbLb0EESY_EEDaST_SU_EUlST_E_NS1_11comp_targetILNS1_3genE9ELNS1_11target_archE1100ELNS1_3gpuE3ELNS1_3repE0EEENS1_30default_config_static_selectorELNS0_4arch9wavefront6targetE0EEEvT1_.num_vgpr, 0
	.set _ZN7rocprim17ROCPRIM_400000_NS6detail17trampoline_kernelINS0_14default_configENS1_27scan_by_key_config_selectorIssEEZZNS1_16scan_by_key_implILNS1_25lookback_scan_determinismE0ELb0ES3_N6thrust23THRUST_200600_302600_NS6detail15normal_iteratorINS9_10device_ptrIsEEEESE_SE_sNS9_4plusIsEE19head_flag_predicatesEE10hipError_tPvRmT2_T3_T4_T5_mT6_T7_P12ihipStream_tbENKUlT_T0_E_clISt17integral_constantIbLb0EESY_EEDaST_SU_EUlST_E_NS1_11comp_targetILNS1_3genE9ELNS1_11target_archE1100ELNS1_3gpuE3ELNS1_3repE0EEENS1_30default_config_static_selectorELNS0_4arch9wavefront6targetE0EEEvT1_.num_agpr, 0
	.set _ZN7rocprim17ROCPRIM_400000_NS6detail17trampoline_kernelINS0_14default_configENS1_27scan_by_key_config_selectorIssEEZZNS1_16scan_by_key_implILNS1_25lookback_scan_determinismE0ELb0ES3_N6thrust23THRUST_200600_302600_NS6detail15normal_iteratorINS9_10device_ptrIsEEEESE_SE_sNS9_4plusIsEE19head_flag_predicatesEE10hipError_tPvRmT2_T3_T4_T5_mT6_T7_P12ihipStream_tbENKUlT_T0_E_clISt17integral_constantIbLb0EESY_EEDaST_SU_EUlST_E_NS1_11comp_targetILNS1_3genE9ELNS1_11target_archE1100ELNS1_3gpuE3ELNS1_3repE0EEENS1_30default_config_static_selectorELNS0_4arch9wavefront6targetE0EEEvT1_.numbered_sgpr, 0
	.set _ZN7rocprim17ROCPRIM_400000_NS6detail17trampoline_kernelINS0_14default_configENS1_27scan_by_key_config_selectorIssEEZZNS1_16scan_by_key_implILNS1_25lookback_scan_determinismE0ELb0ES3_N6thrust23THRUST_200600_302600_NS6detail15normal_iteratorINS9_10device_ptrIsEEEESE_SE_sNS9_4plusIsEE19head_flag_predicatesEE10hipError_tPvRmT2_T3_T4_T5_mT6_T7_P12ihipStream_tbENKUlT_T0_E_clISt17integral_constantIbLb0EESY_EEDaST_SU_EUlST_E_NS1_11comp_targetILNS1_3genE9ELNS1_11target_archE1100ELNS1_3gpuE3ELNS1_3repE0EEENS1_30default_config_static_selectorELNS0_4arch9wavefront6targetE0EEEvT1_.num_named_barrier, 0
	.set _ZN7rocprim17ROCPRIM_400000_NS6detail17trampoline_kernelINS0_14default_configENS1_27scan_by_key_config_selectorIssEEZZNS1_16scan_by_key_implILNS1_25lookback_scan_determinismE0ELb0ES3_N6thrust23THRUST_200600_302600_NS6detail15normal_iteratorINS9_10device_ptrIsEEEESE_SE_sNS9_4plusIsEE19head_flag_predicatesEE10hipError_tPvRmT2_T3_T4_T5_mT6_T7_P12ihipStream_tbENKUlT_T0_E_clISt17integral_constantIbLb0EESY_EEDaST_SU_EUlST_E_NS1_11comp_targetILNS1_3genE9ELNS1_11target_archE1100ELNS1_3gpuE3ELNS1_3repE0EEENS1_30default_config_static_selectorELNS0_4arch9wavefront6targetE0EEEvT1_.private_seg_size, 0
	.set _ZN7rocprim17ROCPRIM_400000_NS6detail17trampoline_kernelINS0_14default_configENS1_27scan_by_key_config_selectorIssEEZZNS1_16scan_by_key_implILNS1_25lookback_scan_determinismE0ELb0ES3_N6thrust23THRUST_200600_302600_NS6detail15normal_iteratorINS9_10device_ptrIsEEEESE_SE_sNS9_4plusIsEE19head_flag_predicatesEE10hipError_tPvRmT2_T3_T4_T5_mT6_T7_P12ihipStream_tbENKUlT_T0_E_clISt17integral_constantIbLb0EESY_EEDaST_SU_EUlST_E_NS1_11comp_targetILNS1_3genE9ELNS1_11target_archE1100ELNS1_3gpuE3ELNS1_3repE0EEENS1_30default_config_static_selectorELNS0_4arch9wavefront6targetE0EEEvT1_.uses_vcc, 0
	.set _ZN7rocprim17ROCPRIM_400000_NS6detail17trampoline_kernelINS0_14default_configENS1_27scan_by_key_config_selectorIssEEZZNS1_16scan_by_key_implILNS1_25lookback_scan_determinismE0ELb0ES3_N6thrust23THRUST_200600_302600_NS6detail15normal_iteratorINS9_10device_ptrIsEEEESE_SE_sNS9_4plusIsEE19head_flag_predicatesEE10hipError_tPvRmT2_T3_T4_T5_mT6_T7_P12ihipStream_tbENKUlT_T0_E_clISt17integral_constantIbLb0EESY_EEDaST_SU_EUlST_E_NS1_11comp_targetILNS1_3genE9ELNS1_11target_archE1100ELNS1_3gpuE3ELNS1_3repE0EEENS1_30default_config_static_selectorELNS0_4arch9wavefront6targetE0EEEvT1_.uses_flat_scratch, 0
	.set _ZN7rocprim17ROCPRIM_400000_NS6detail17trampoline_kernelINS0_14default_configENS1_27scan_by_key_config_selectorIssEEZZNS1_16scan_by_key_implILNS1_25lookback_scan_determinismE0ELb0ES3_N6thrust23THRUST_200600_302600_NS6detail15normal_iteratorINS9_10device_ptrIsEEEESE_SE_sNS9_4plusIsEE19head_flag_predicatesEE10hipError_tPvRmT2_T3_T4_T5_mT6_T7_P12ihipStream_tbENKUlT_T0_E_clISt17integral_constantIbLb0EESY_EEDaST_SU_EUlST_E_NS1_11comp_targetILNS1_3genE9ELNS1_11target_archE1100ELNS1_3gpuE3ELNS1_3repE0EEENS1_30default_config_static_selectorELNS0_4arch9wavefront6targetE0EEEvT1_.has_dyn_sized_stack, 0
	.set _ZN7rocprim17ROCPRIM_400000_NS6detail17trampoline_kernelINS0_14default_configENS1_27scan_by_key_config_selectorIssEEZZNS1_16scan_by_key_implILNS1_25lookback_scan_determinismE0ELb0ES3_N6thrust23THRUST_200600_302600_NS6detail15normal_iteratorINS9_10device_ptrIsEEEESE_SE_sNS9_4plusIsEE19head_flag_predicatesEE10hipError_tPvRmT2_T3_T4_T5_mT6_T7_P12ihipStream_tbENKUlT_T0_E_clISt17integral_constantIbLb0EESY_EEDaST_SU_EUlST_E_NS1_11comp_targetILNS1_3genE9ELNS1_11target_archE1100ELNS1_3gpuE3ELNS1_3repE0EEENS1_30default_config_static_selectorELNS0_4arch9wavefront6targetE0EEEvT1_.has_recursion, 0
	.set _ZN7rocprim17ROCPRIM_400000_NS6detail17trampoline_kernelINS0_14default_configENS1_27scan_by_key_config_selectorIssEEZZNS1_16scan_by_key_implILNS1_25lookback_scan_determinismE0ELb0ES3_N6thrust23THRUST_200600_302600_NS6detail15normal_iteratorINS9_10device_ptrIsEEEESE_SE_sNS9_4plusIsEE19head_flag_predicatesEE10hipError_tPvRmT2_T3_T4_T5_mT6_T7_P12ihipStream_tbENKUlT_T0_E_clISt17integral_constantIbLb0EESY_EEDaST_SU_EUlST_E_NS1_11comp_targetILNS1_3genE9ELNS1_11target_archE1100ELNS1_3gpuE3ELNS1_3repE0EEENS1_30default_config_static_selectorELNS0_4arch9wavefront6targetE0EEEvT1_.has_indirect_call, 0
	.section	.AMDGPU.csdata,"",@progbits
; Kernel info:
; codeLenInByte = 0
; TotalNumSgprs: 0
; NumVgprs: 0
; ScratchSize: 0
; MemoryBound: 0
; FloatMode: 240
; IeeeMode: 1
; LDSByteSize: 0 bytes/workgroup (compile time only)
; SGPRBlocks: 0
; VGPRBlocks: 0
; NumSGPRsForWavesPerEU: 1
; NumVGPRsForWavesPerEU: 1
; NamedBarCnt: 0
; Occupancy: 16
; WaveLimiterHint : 0
; COMPUTE_PGM_RSRC2:SCRATCH_EN: 0
; COMPUTE_PGM_RSRC2:USER_SGPR: 2
; COMPUTE_PGM_RSRC2:TRAP_HANDLER: 0
; COMPUTE_PGM_RSRC2:TGID_X_EN: 1
; COMPUTE_PGM_RSRC2:TGID_Y_EN: 0
; COMPUTE_PGM_RSRC2:TGID_Z_EN: 0
; COMPUTE_PGM_RSRC2:TIDIG_COMP_CNT: 0
	.section	.text._ZN7rocprim17ROCPRIM_400000_NS6detail17trampoline_kernelINS0_14default_configENS1_27scan_by_key_config_selectorIssEEZZNS1_16scan_by_key_implILNS1_25lookback_scan_determinismE0ELb0ES3_N6thrust23THRUST_200600_302600_NS6detail15normal_iteratorINS9_10device_ptrIsEEEESE_SE_sNS9_4plusIsEE19head_flag_predicatesEE10hipError_tPvRmT2_T3_T4_T5_mT6_T7_P12ihipStream_tbENKUlT_T0_E_clISt17integral_constantIbLb0EESY_EEDaST_SU_EUlST_E_NS1_11comp_targetILNS1_3genE8ELNS1_11target_archE1030ELNS1_3gpuE2ELNS1_3repE0EEENS1_30default_config_static_selectorELNS0_4arch9wavefront6targetE0EEEvT1_,"axG",@progbits,_ZN7rocprim17ROCPRIM_400000_NS6detail17trampoline_kernelINS0_14default_configENS1_27scan_by_key_config_selectorIssEEZZNS1_16scan_by_key_implILNS1_25lookback_scan_determinismE0ELb0ES3_N6thrust23THRUST_200600_302600_NS6detail15normal_iteratorINS9_10device_ptrIsEEEESE_SE_sNS9_4plusIsEE19head_flag_predicatesEE10hipError_tPvRmT2_T3_T4_T5_mT6_T7_P12ihipStream_tbENKUlT_T0_E_clISt17integral_constantIbLb0EESY_EEDaST_SU_EUlST_E_NS1_11comp_targetILNS1_3genE8ELNS1_11target_archE1030ELNS1_3gpuE2ELNS1_3repE0EEENS1_30default_config_static_selectorELNS0_4arch9wavefront6targetE0EEEvT1_,comdat
	.protected	_ZN7rocprim17ROCPRIM_400000_NS6detail17trampoline_kernelINS0_14default_configENS1_27scan_by_key_config_selectorIssEEZZNS1_16scan_by_key_implILNS1_25lookback_scan_determinismE0ELb0ES3_N6thrust23THRUST_200600_302600_NS6detail15normal_iteratorINS9_10device_ptrIsEEEESE_SE_sNS9_4plusIsEE19head_flag_predicatesEE10hipError_tPvRmT2_T3_T4_T5_mT6_T7_P12ihipStream_tbENKUlT_T0_E_clISt17integral_constantIbLb0EESY_EEDaST_SU_EUlST_E_NS1_11comp_targetILNS1_3genE8ELNS1_11target_archE1030ELNS1_3gpuE2ELNS1_3repE0EEENS1_30default_config_static_selectorELNS0_4arch9wavefront6targetE0EEEvT1_ ; -- Begin function _ZN7rocprim17ROCPRIM_400000_NS6detail17trampoline_kernelINS0_14default_configENS1_27scan_by_key_config_selectorIssEEZZNS1_16scan_by_key_implILNS1_25lookback_scan_determinismE0ELb0ES3_N6thrust23THRUST_200600_302600_NS6detail15normal_iteratorINS9_10device_ptrIsEEEESE_SE_sNS9_4plusIsEE19head_flag_predicatesEE10hipError_tPvRmT2_T3_T4_T5_mT6_T7_P12ihipStream_tbENKUlT_T0_E_clISt17integral_constantIbLb0EESY_EEDaST_SU_EUlST_E_NS1_11comp_targetILNS1_3genE8ELNS1_11target_archE1030ELNS1_3gpuE2ELNS1_3repE0EEENS1_30default_config_static_selectorELNS0_4arch9wavefront6targetE0EEEvT1_
	.globl	_ZN7rocprim17ROCPRIM_400000_NS6detail17trampoline_kernelINS0_14default_configENS1_27scan_by_key_config_selectorIssEEZZNS1_16scan_by_key_implILNS1_25lookback_scan_determinismE0ELb0ES3_N6thrust23THRUST_200600_302600_NS6detail15normal_iteratorINS9_10device_ptrIsEEEESE_SE_sNS9_4plusIsEE19head_flag_predicatesEE10hipError_tPvRmT2_T3_T4_T5_mT6_T7_P12ihipStream_tbENKUlT_T0_E_clISt17integral_constantIbLb0EESY_EEDaST_SU_EUlST_E_NS1_11comp_targetILNS1_3genE8ELNS1_11target_archE1030ELNS1_3gpuE2ELNS1_3repE0EEENS1_30default_config_static_selectorELNS0_4arch9wavefront6targetE0EEEvT1_
	.p2align	8
	.type	_ZN7rocprim17ROCPRIM_400000_NS6detail17trampoline_kernelINS0_14default_configENS1_27scan_by_key_config_selectorIssEEZZNS1_16scan_by_key_implILNS1_25lookback_scan_determinismE0ELb0ES3_N6thrust23THRUST_200600_302600_NS6detail15normal_iteratorINS9_10device_ptrIsEEEESE_SE_sNS9_4plusIsEE19head_flag_predicatesEE10hipError_tPvRmT2_T3_T4_T5_mT6_T7_P12ihipStream_tbENKUlT_T0_E_clISt17integral_constantIbLb0EESY_EEDaST_SU_EUlST_E_NS1_11comp_targetILNS1_3genE8ELNS1_11target_archE1030ELNS1_3gpuE2ELNS1_3repE0EEENS1_30default_config_static_selectorELNS0_4arch9wavefront6targetE0EEEvT1_,@function
_ZN7rocprim17ROCPRIM_400000_NS6detail17trampoline_kernelINS0_14default_configENS1_27scan_by_key_config_selectorIssEEZZNS1_16scan_by_key_implILNS1_25lookback_scan_determinismE0ELb0ES3_N6thrust23THRUST_200600_302600_NS6detail15normal_iteratorINS9_10device_ptrIsEEEESE_SE_sNS9_4plusIsEE19head_flag_predicatesEE10hipError_tPvRmT2_T3_T4_T5_mT6_T7_P12ihipStream_tbENKUlT_T0_E_clISt17integral_constantIbLb0EESY_EEDaST_SU_EUlST_E_NS1_11comp_targetILNS1_3genE8ELNS1_11target_archE1030ELNS1_3gpuE2ELNS1_3repE0EEENS1_30default_config_static_selectorELNS0_4arch9wavefront6targetE0EEEvT1_: ; @_ZN7rocprim17ROCPRIM_400000_NS6detail17trampoline_kernelINS0_14default_configENS1_27scan_by_key_config_selectorIssEEZZNS1_16scan_by_key_implILNS1_25lookback_scan_determinismE0ELb0ES3_N6thrust23THRUST_200600_302600_NS6detail15normal_iteratorINS9_10device_ptrIsEEEESE_SE_sNS9_4plusIsEE19head_flag_predicatesEE10hipError_tPvRmT2_T3_T4_T5_mT6_T7_P12ihipStream_tbENKUlT_T0_E_clISt17integral_constantIbLb0EESY_EEDaST_SU_EUlST_E_NS1_11comp_targetILNS1_3genE8ELNS1_11target_archE1030ELNS1_3gpuE2ELNS1_3repE0EEENS1_30default_config_static_selectorELNS0_4arch9wavefront6targetE0EEEvT1_
; %bb.0:
	.section	.rodata,"a",@progbits
	.p2align	6, 0x0
	.amdhsa_kernel _ZN7rocprim17ROCPRIM_400000_NS6detail17trampoline_kernelINS0_14default_configENS1_27scan_by_key_config_selectorIssEEZZNS1_16scan_by_key_implILNS1_25lookback_scan_determinismE0ELb0ES3_N6thrust23THRUST_200600_302600_NS6detail15normal_iteratorINS9_10device_ptrIsEEEESE_SE_sNS9_4plusIsEE19head_flag_predicatesEE10hipError_tPvRmT2_T3_T4_T5_mT6_T7_P12ihipStream_tbENKUlT_T0_E_clISt17integral_constantIbLb0EESY_EEDaST_SU_EUlST_E_NS1_11comp_targetILNS1_3genE8ELNS1_11target_archE1030ELNS1_3gpuE2ELNS1_3repE0EEENS1_30default_config_static_selectorELNS0_4arch9wavefront6targetE0EEEvT1_
		.amdhsa_group_segment_fixed_size 0
		.amdhsa_private_segment_fixed_size 0
		.amdhsa_kernarg_size 112
		.amdhsa_user_sgpr_count 2
		.amdhsa_user_sgpr_dispatch_ptr 0
		.amdhsa_user_sgpr_queue_ptr 0
		.amdhsa_user_sgpr_kernarg_segment_ptr 1
		.amdhsa_user_sgpr_dispatch_id 0
		.amdhsa_user_sgpr_kernarg_preload_length 0
		.amdhsa_user_sgpr_kernarg_preload_offset 0
		.amdhsa_user_sgpr_private_segment_size 0
		.amdhsa_wavefront_size32 1
		.amdhsa_uses_dynamic_stack 0
		.amdhsa_enable_private_segment 0
		.amdhsa_system_sgpr_workgroup_id_x 1
		.amdhsa_system_sgpr_workgroup_id_y 0
		.amdhsa_system_sgpr_workgroup_id_z 0
		.amdhsa_system_sgpr_workgroup_info 0
		.amdhsa_system_vgpr_workitem_id 0
		.amdhsa_next_free_vgpr 1
		.amdhsa_next_free_sgpr 1
		.amdhsa_named_barrier_count 0
		.amdhsa_reserve_vcc 0
		.amdhsa_float_round_mode_32 0
		.amdhsa_float_round_mode_16_64 0
		.amdhsa_float_denorm_mode_32 3
		.amdhsa_float_denorm_mode_16_64 3
		.amdhsa_fp16_overflow 0
		.amdhsa_memory_ordered 1
		.amdhsa_forward_progress 1
		.amdhsa_inst_pref_size 0
		.amdhsa_round_robin_scheduling 0
		.amdhsa_exception_fp_ieee_invalid_op 0
		.amdhsa_exception_fp_denorm_src 0
		.amdhsa_exception_fp_ieee_div_zero 0
		.amdhsa_exception_fp_ieee_overflow 0
		.amdhsa_exception_fp_ieee_underflow 0
		.amdhsa_exception_fp_ieee_inexact 0
		.amdhsa_exception_int_div_zero 0
	.end_amdhsa_kernel
	.section	.text._ZN7rocprim17ROCPRIM_400000_NS6detail17trampoline_kernelINS0_14default_configENS1_27scan_by_key_config_selectorIssEEZZNS1_16scan_by_key_implILNS1_25lookback_scan_determinismE0ELb0ES3_N6thrust23THRUST_200600_302600_NS6detail15normal_iteratorINS9_10device_ptrIsEEEESE_SE_sNS9_4plusIsEE19head_flag_predicatesEE10hipError_tPvRmT2_T3_T4_T5_mT6_T7_P12ihipStream_tbENKUlT_T0_E_clISt17integral_constantIbLb0EESY_EEDaST_SU_EUlST_E_NS1_11comp_targetILNS1_3genE8ELNS1_11target_archE1030ELNS1_3gpuE2ELNS1_3repE0EEENS1_30default_config_static_selectorELNS0_4arch9wavefront6targetE0EEEvT1_,"axG",@progbits,_ZN7rocprim17ROCPRIM_400000_NS6detail17trampoline_kernelINS0_14default_configENS1_27scan_by_key_config_selectorIssEEZZNS1_16scan_by_key_implILNS1_25lookback_scan_determinismE0ELb0ES3_N6thrust23THRUST_200600_302600_NS6detail15normal_iteratorINS9_10device_ptrIsEEEESE_SE_sNS9_4plusIsEE19head_flag_predicatesEE10hipError_tPvRmT2_T3_T4_T5_mT6_T7_P12ihipStream_tbENKUlT_T0_E_clISt17integral_constantIbLb0EESY_EEDaST_SU_EUlST_E_NS1_11comp_targetILNS1_3genE8ELNS1_11target_archE1030ELNS1_3gpuE2ELNS1_3repE0EEENS1_30default_config_static_selectorELNS0_4arch9wavefront6targetE0EEEvT1_,comdat
.Lfunc_end829:
	.size	_ZN7rocprim17ROCPRIM_400000_NS6detail17trampoline_kernelINS0_14default_configENS1_27scan_by_key_config_selectorIssEEZZNS1_16scan_by_key_implILNS1_25lookback_scan_determinismE0ELb0ES3_N6thrust23THRUST_200600_302600_NS6detail15normal_iteratorINS9_10device_ptrIsEEEESE_SE_sNS9_4plusIsEE19head_flag_predicatesEE10hipError_tPvRmT2_T3_T4_T5_mT6_T7_P12ihipStream_tbENKUlT_T0_E_clISt17integral_constantIbLb0EESY_EEDaST_SU_EUlST_E_NS1_11comp_targetILNS1_3genE8ELNS1_11target_archE1030ELNS1_3gpuE2ELNS1_3repE0EEENS1_30default_config_static_selectorELNS0_4arch9wavefront6targetE0EEEvT1_, .Lfunc_end829-_ZN7rocprim17ROCPRIM_400000_NS6detail17trampoline_kernelINS0_14default_configENS1_27scan_by_key_config_selectorIssEEZZNS1_16scan_by_key_implILNS1_25lookback_scan_determinismE0ELb0ES3_N6thrust23THRUST_200600_302600_NS6detail15normal_iteratorINS9_10device_ptrIsEEEESE_SE_sNS9_4plusIsEE19head_flag_predicatesEE10hipError_tPvRmT2_T3_T4_T5_mT6_T7_P12ihipStream_tbENKUlT_T0_E_clISt17integral_constantIbLb0EESY_EEDaST_SU_EUlST_E_NS1_11comp_targetILNS1_3genE8ELNS1_11target_archE1030ELNS1_3gpuE2ELNS1_3repE0EEENS1_30default_config_static_selectorELNS0_4arch9wavefront6targetE0EEEvT1_
                                        ; -- End function
	.set _ZN7rocprim17ROCPRIM_400000_NS6detail17trampoline_kernelINS0_14default_configENS1_27scan_by_key_config_selectorIssEEZZNS1_16scan_by_key_implILNS1_25lookback_scan_determinismE0ELb0ES3_N6thrust23THRUST_200600_302600_NS6detail15normal_iteratorINS9_10device_ptrIsEEEESE_SE_sNS9_4plusIsEE19head_flag_predicatesEE10hipError_tPvRmT2_T3_T4_T5_mT6_T7_P12ihipStream_tbENKUlT_T0_E_clISt17integral_constantIbLb0EESY_EEDaST_SU_EUlST_E_NS1_11comp_targetILNS1_3genE8ELNS1_11target_archE1030ELNS1_3gpuE2ELNS1_3repE0EEENS1_30default_config_static_selectorELNS0_4arch9wavefront6targetE0EEEvT1_.num_vgpr, 0
	.set _ZN7rocprim17ROCPRIM_400000_NS6detail17trampoline_kernelINS0_14default_configENS1_27scan_by_key_config_selectorIssEEZZNS1_16scan_by_key_implILNS1_25lookback_scan_determinismE0ELb0ES3_N6thrust23THRUST_200600_302600_NS6detail15normal_iteratorINS9_10device_ptrIsEEEESE_SE_sNS9_4plusIsEE19head_flag_predicatesEE10hipError_tPvRmT2_T3_T4_T5_mT6_T7_P12ihipStream_tbENKUlT_T0_E_clISt17integral_constantIbLb0EESY_EEDaST_SU_EUlST_E_NS1_11comp_targetILNS1_3genE8ELNS1_11target_archE1030ELNS1_3gpuE2ELNS1_3repE0EEENS1_30default_config_static_selectorELNS0_4arch9wavefront6targetE0EEEvT1_.num_agpr, 0
	.set _ZN7rocprim17ROCPRIM_400000_NS6detail17trampoline_kernelINS0_14default_configENS1_27scan_by_key_config_selectorIssEEZZNS1_16scan_by_key_implILNS1_25lookback_scan_determinismE0ELb0ES3_N6thrust23THRUST_200600_302600_NS6detail15normal_iteratorINS9_10device_ptrIsEEEESE_SE_sNS9_4plusIsEE19head_flag_predicatesEE10hipError_tPvRmT2_T3_T4_T5_mT6_T7_P12ihipStream_tbENKUlT_T0_E_clISt17integral_constantIbLb0EESY_EEDaST_SU_EUlST_E_NS1_11comp_targetILNS1_3genE8ELNS1_11target_archE1030ELNS1_3gpuE2ELNS1_3repE0EEENS1_30default_config_static_selectorELNS0_4arch9wavefront6targetE0EEEvT1_.numbered_sgpr, 0
	.set _ZN7rocprim17ROCPRIM_400000_NS6detail17trampoline_kernelINS0_14default_configENS1_27scan_by_key_config_selectorIssEEZZNS1_16scan_by_key_implILNS1_25lookback_scan_determinismE0ELb0ES3_N6thrust23THRUST_200600_302600_NS6detail15normal_iteratorINS9_10device_ptrIsEEEESE_SE_sNS9_4plusIsEE19head_flag_predicatesEE10hipError_tPvRmT2_T3_T4_T5_mT6_T7_P12ihipStream_tbENKUlT_T0_E_clISt17integral_constantIbLb0EESY_EEDaST_SU_EUlST_E_NS1_11comp_targetILNS1_3genE8ELNS1_11target_archE1030ELNS1_3gpuE2ELNS1_3repE0EEENS1_30default_config_static_selectorELNS0_4arch9wavefront6targetE0EEEvT1_.num_named_barrier, 0
	.set _ZN7rocprim17ROCPRIM_400000_NS6detail17trampoline_kernelINS0_14default_configENS1_27scan_by_key_config_selectorIssEEZZNS1_16scan_by_key_implILNS1_25lookback_scan_determinismE0ELb0ES3_N6thrust23THRUST_200600_302600_NS6detail15normal_iteratorINS9_10device_ptrIsEEEESE_SE_sNS9_4plusIsEE19head_flag_predicatesEE10hipError_tPvRmT2_T3_T4_T5_mT6_T7_P12ihipStream_tbENKUlT_T0_E_clISt17integral_constantIbLb0EESY_EEDaST_SU_EUlST_E_NS1_11comp_targetILNS1_3genE8ELNS1_11target_archE1030ELNS1_3gpuE2ELNS1_3repE0EEENS1_30default_config_static_selectorELNS0_4arch9wavefront6targetE0EEEvT1_.private_seg_size, 0
	.set _ZN7rocprim17ROCPRIM_400000_NS6detail17trampoline_kernelINS0_14default_configENS1_27scan_by_key_config_selectorIssEEZZNS1_16scan_by_key_implILNS1_25lookback_scan_determinismE0ELb0ES3_N6thrust23THRUST_200600_302600_NS6detail15normal_iteratorINS9_10device_ptrIsEEEESE_SE_sNS9_4plusIsEE19head_flag_predicatesEE10hipError_tPvRmT2_T3_T4_T5_mT6_T7_P12ihipStream_tbENKUlT_T0_E_clISt17integral_constantIbLb0EESY_EEDaST_SU_EUlST_E_NS1_11comp_targetILNS1_3genE8ELNS1_11target_archE1030ELNS1_3gpuE2ELNS1_3repE0EEENS1_30default_config_static_selectorELNS0_4arch9wavefront6targetE0EEEvT1_.uses_vcc, 0
	.set _ZN7rocprim17ROCPRIM_400000_NS6detail17trampoline_kernelINS0_14default_configENS1_27scan_by_key_config_selectorIssEEZZNS1_16scan_by_key_implILNS1_25lookback_scan_determinismE0ELb0ES3_N6thrust23THRUST_200600_302600_NS6detail15normal_iteratorINS9_10device_ptrIsEEEESE_SE_sNS9_4plusIsEE19head_flag_predicatesEE10hipError_tPvRmT2_T3_T4_T5_mT6_T7_P12ihipStream_tbENKUlT_T0_E_clISt17integral_constantIbLb0EESY_EEDaST_SU_EUlST_E_NS1_11comp_targetILNS1_3genE8ELNS1_11target_archE1030ELNS1_3gpuE2ELNS1_3repE0EEENS1_30default_config_static_selectorELNS0_4arch9wavefront6targetE0EEEvT1_.uses_flat_scratch, 0
	.set _ZN7rocprim17ROCPRIM_400000_NS6detail17trampoline_kernelINS0_14default_configENS1_27scan_by_key_config_selectorIssEEZZNS1_16scan_by_key_implILNS1_25lookback_scan_determinismE0ELb0ES3_N6thrust23THRUST_200600_302600_NS6detail15normal_iteratorINS9_10device_ptrIsEEEESE_SE_sNS9_4plusIsEE19head_flag_predicatesEE10hipError_tPvRmT2_T3_T4_T5_mT6_T7_P12ihipStream_tbENKUlT_T0_E_clISt17integral_constantIbLb0EESY_EEDaST_SU_EUlST_E_NS1_11comp_targetILNS1_3genE8ELNS1_11target_archE1030ELNS1_3gpuE2ELNS1_3repE0EEENS1_30default_config_static_selectorELNS0_4arch9wavefront6targetE0EEEvT1_.has_dyn_sized_stack, 0
	.set _ZN7rocprim17ROCPRIM_400000_NS6detail17trampoline_kernelINS0_14default_configENS1_27scan_by_key_config_selectorIssEEZZNS1_16scan_by_key_implILNS1_25lookback_scan_determinismE0ELb0ES3_N6thrust23THRUST_200600_302600_NS6detail15normal_iteratorINS9_10device_ptrIsEEEESE_SE_sNS9_4plusIsEE19head_flag_predicatesEE10hipError_tPvRmT2_T3_T4_T5_mT6_T7_P12ihipStream_tbENKUlT_T0_E_clISt17integral_constantIbLb0EESY_EEDaST_SU_EUlST_E_NS1_11comp_targetILNS1_3genE8ELNS1_11target_archE1030ELNS1_3gpuE2ELNS1_3repE0EEENS1_30default_config_static_selectorELNS0_4arch9wavefront6targetE0EEEvT1_.has_recursion, 0
	.set _ZN7rocprim17ROCPRIM_400000_NS6detail17trampoline_kernelINS0_14default_configENS1_27scan_by_key_config_selectorIssEEZZNS1_16scan_by_key_implILNS1_25lookback_scan_determinismE0ELb0ES3_N6thrust23THRUST_200600_302600_NS6detail15normal_iteratorINS9_10device_ptrIsEEEESE_SE_sNS9_4plusIsEE19head_flag_predicatesEE10hipError_tPvRmT2_T3_T4_T5_mT6_T7_P12ihipStream_tbENKUlT_T0_E_clISt17integral_constantIbLb0EESY_EEDaST_SU_EUlST_E_NS1_11comp_targetILNS1_3genE8ELNS1_11target_archE1030ELNS1_3gpuE2ELNS1_3repE0EEENS1_30default_config_static_selectorELNS0_4arch9wavefront6targetE0EEEvT1_.has_indirect_call, 0
	.section	.AMDGPU.csdata,"",@progbits
; Kernel info:
; codeLenInByte = 0
; TotalNumSgprs: 0
; NumVgprs: 0
; ScratchSize: 0
; MemoryBound: 0
; FloatMode: 240
; IeeeMode: 1
; LDSByteSize: 0 bytes/workgroup (compile time only)
; SGPRBlocks: 0
; VGPRBlocks: 0
; NumSGPRsForWavesPerEU: 1
; NumVGPRsForWavesPerEU: 1
; NamedBarCnt: 0
; Occupancy: 16
; WaveLimiterHint : 0
; COMPUTE_PGM_RSRC2:SCRATCH_EN: 0
; COMPUTE_PGM_RSRC2:USER_SGPR: 2
; COMPUTE_PGM_RSRC2:TRAP_HANDLER: 0
; COMPUTE_PGM_RSRC2:TGID_X_EN: 1
; COMPUTE_PGM_RSRC2:TGID_Y_EN: 0
; COMPUTE_PGM_RSRC2:TGID_Z_EN: 0
; COMPUTE_PGM_RSRC2:TIDIG_COMP_CNT: 0
	.section	.text._ZN7rocprim17ROCPRIM_400000_NS6detail17trampoline_kernelINS0_14default_configENS1_27scan_by_key_config_selectorIssEEZZNS1_16scan_by_key_implILNS1_25lookback_scan_determinismE0ELb0ES3_N6thrust23THRUST_200600_302600_NS6detail15normal_iteratorINS9_10device_ptrIsEEEESE_SE_sNS9_4plusIsEE19head_flag_predicatesEE10hipError_tPvRmT2_T3_T4_T5_mT6_T7_P12ihipStream_tbENKUlT_T0_E_clISt17integral_constantIbLb1EESY_EEDaST_SU_EUlST_E_NS1_11comp_targetILNS1_3genE0ELNS1_11target_archE4294967295ELNS1_3gpuE0ELNS1_3repE0EEENS1_30default_config_static_selectorELNS0_4arch9wavefront6targetE0EEEvT1_,"axG",@progbits,_ZN7rocprim17ROCPRIM_400000_NS6detail17trampoline_kernelINS0_14default_configENS1_27scan_by_key_config_selectorIssEEZZNS1_16scan_by_key_implILNS1_25lookback_scan_determinismE0ELb0ES3_N6thrust23THRUST_200600_302600_NS6detail15normal_iteratorINS9_10device_ptrIsEEEESE_SE_sNS9_4plusIsEE19head_flag_predicatesEE10hipError_tPvRmT2_T3_T4_T5_mT6_T7_P12ihipStream_tbENKUlT_T0_E_clISt17integral_constantIbLb1EESY_EEDaST_SU_EUlST_E_NS1_11comp_targetILNS1_3genE0ELNS1_11target_archE4294967295ELNS1_3gpuE0ELNS1_3repE0EEENS1_30default_config_static_selectorELNS0_4arch9wavefront6targetE0EEEvT1_,comdat
	.protected	_ZN7rocprim17ROCPRIM_400000_NS6detail17trampoline_kernelINS0_14default_configENS1_27scan_by_key_config_selectorIssEEZZNS1_16scan_by_key_implILNS1_25lookback_scan_determinismE0ELb0ES3_N6thrust23THRUST_200600_302600_NS6detail15normal_iteratorINS9_10device_ptrIsEEEESE_SE_sNS9_4plusIsEE19head_flag_predicatesEE10hipError_tPvRmT2_T3_T4_T5_mT6_T7_P12ihipStream_tbENKUlT_T0_E_clISt17integral_constantIbLb1EESY_EEDaST_SU_EUlST_E_NS1_11comp_targetILNS1_3genE0ELNS1_11target_archE4294967295ELNS1_3gpuE0ELNS1_3repE0EEENS1_30default_config_static_selectorELNS0_4arch9wavefront6targetE0EEEvT1_ ; -- Begin function _ZN7rocprim17ROCPRIM_400000_NS6detail17trampoline_kernelINS0_14default_configENS1_27scan_by_key_config_selectorIssEEZZNS1_16scan_by_key_implILNS1_25lookback_scan_determinismE0ELb0ES3_N6thrust23THRUST_200600_302600_NS6detail15normal_iteratorINS9_10device_ptrIsEEEESE_SE_sNS9_4plusIsEE19head_flag_predicatesEE10hipError_tPvRmT2_T3_T4_T5_mT6_T7_P12ihipStream_tbENKUlT_T0_E_clISt17integral_constantIbLb1EESY_EEDaST_SU_EUlST_E_NS1_11comp_targetILNS1_3genE0ELNS1_11target_archE4294967295ELNS1_3gpuE0ELNS1_3repE0EEENS1_30default_config_static_selectorELNS0_4arch9wavefront6targetE0EEEvT1_
	.globl	_ZN7rocprim17ROCPRIM_400000_NS6detail17trampoline_kernelINS0_14default_configENS1_27scan_by_key_config_selectorIssEEZZNS1_16scan_by_key_implILNS1_25lookback_scan_determinismE0ELb0ES3_N6thrust23THRUST_200600_302600_NS6detail15normal_iteratorINS9_10device_ptrIsEEEESE_SE_sNS9_4plusIsEE19head_flag_predicatesEE10hipError_tPvRmT2_T3_T4_T5_mT6_T7_P12ihipStream_tbENKUlT_T0_E_clISt17integral_constantIbLb1EESY_EEDaST_SU_EUlST_E_NS1_11comp_targetILNS1_3genE0ELNS1_11target_archE4294967295ELNS1_3gpuE0ELNS1_3repE0EEENS1_30default_config_static_selectorELNS0_4arch9wavefront6targetE0EEEvT1_
	.p2align	8
	.type	_ZN7rocprim17ROCPRIM_400000_NS6detail17trampoline_kernelINS0_14default_configENS1_27scan_by_key_config_selectorIssEEZZNS1_16scan_by_key_implILNS1_25lookback_scan_determinismE0ELb0ES3_N6thrust23THRUST_200600_302600_NS6detail15normal_iteratorINS9_10device_ptrIsEEEESE_SE_sNS9_4plusIsEE19head_flag_predicatesEE10hipError_tPvRmT2_T3_T4_T5_mT6_T7_P12ihipStream_tbENKUlT_T0_E_clISt17integral_constantIbLb1EESY_EEDaST_SU_EUlST_E_NS1_11comp_targetILNS1_3genE0ELNS1_11target_archE4294967295ELNS1_3gpuE0ELNS1_3repE0EEENS1_30default_config_static_selectorELNS0_4arch9wavefront6targetE0EEEvT1_,@function
_ZN7rocprim17ROCPRIM_400000_NS6detail17trampoline_kernelINS0_14default_configENS1_27scan_by_key_config_selectorIssEEZZNS1_16scan_by_key_implILNS1_25lookback_scan_determinismE0ELb0ES3_N6thrust23THRUST_200600_302600_NS6detail15normal_iteratorINS9_10device_ptrIsEEEESE_SE_sNS9_4plusIsEE19head_flag_predicatesEE10hipError_tPvRmT2_T3_T4_T5_mT6_T7_P12ihipStream_tbENKUlT_T0_E_clISt17integral_constantIbLb1EESY_EEDaST_SU_EUlST_E_NS1_11comp_targetILNS1_3genE0ELNS1_11target_archE4294967295ELNS1_3gpuE0ELNS1_3repE0EEENS1_30default_config_static_selectorELNS0_4arch9wavefront6targetE0EEEvT1_: ; @_ZN7rocprim17ROCPRIM_400000_NS6detail17trampoline_kernelINS0_14default_configENS1_27scan_by_key_config_selectorIssEEZZNS1_16scan_by_key_implILNS1_25lookback_scan_determinismE0ELb0ES3_N6thrust23THRUST_200600_302600_NS6detail15normal_iteratorINS9_10device_ptrIsEEEESE_SE_sNS9_4plusIsEE19head_flag_predicatesEE10hipError_tPvRmT2_T3_T4_T5_mT6_T7_P12ihipStream_tbENKUlT_T0_E_clISt17integral_constantIbLb1EESY_EEDaST_SU_EUlST_E_NS1_11comp_targetILNS1_3genE0ELNS1_11target_archE4294967295ELNS1_3gpuE0ELNS1_3repE0EEENS1_30default_config_static_selectorELNS0_4arch9wavefront6targetE0EEEvT1_
; %bb.0:
	s_endpgm
	.section	.rodata,"a",@progbits
	.p2align	6, 0x0
	.amdhsa_kernel _ZN7rocprim17ROCPRIM_400000_NS6detail17trampoline_kernelINS0_14default_configENS1_27scan_by_key_config_selectorIssEEZZNS1_16scan_by_key_implILNS1_25lookback_scan_determinismE0ELb0ES3_N6thrust23THRUST_200600_302600_NS6detail15normal_iteratorINS9_10device_ptrIsEEEESE_SE_sNS9_4plusIsEE19head_flag_predicatesEE10hipError_tPvRmT2_T3_T4_T5_mT6_T7_P12ihipStream_tbENKUlT_T0_E_clISt17integral_constantIbLb1EESY_EEDaST_SU_EUlST_E_NS1_11comp_targetILNS1_3genE0ELNS1_11target_archE4294967295ELNS1_3gpuE0ELNS1_3repE0EEENS1_30default_config_static_selectorELNS0_4arch9wavefront6targetE0EEEvT1_
		.amdhsa_group_segment_fixed_size 0
		.amdhsa_private_segment_fixed_size 0
		.amdhsa_kernarg_size 112
		.amdhsa_user_sgpr_count 2
		.amdhsa_user_sgpr_dispatch_ptr 0
		.amdhsa_user_sgpr_queue_ptr 0
		.amdhsa_user_sgpr_kernarg_segment_ptr 1
		.amdhsa_user_sgpr_dispatch_id 0
		.amdhsa_user_sgpr_kernarg_preload_length 0
		.amdhsa_user_sgpr_kernarg_preload_offset 0
		.amdhsa_user_sgpr_private_segment_size 0
		.amdhsa_wavefront_size32 1
		.amdhsa_uses_dynamic_stack 0
		.amdhsa_enable_private_segment 0
		.amdhsa_system_sgpr_workgroup_id_x 1
		.amdhsa_system_sgpr_workgroup_id_y 0
		.amdhsa_system_sgpr_workgroup_id_z 0
		.amdhsa_system_sgpr_workgroup_info 0
		.amdhsa_system_vgpr_workitem_id 0
		.amdhsa_next_free_vgpr 1
		.amdhsa_next_free_sgpr 1
		.amdhsa_named_barrier_count 0
		.amdhsa_reserve_vcc 0
		.amdhsa_float_round_mode_32 0
		.amdhsa_float_round_mode_16_64 0
		.amdhsa_float_denorm_mode_32 3
		.amdhsa_float_denorm_mode_16_64 3
		.amdhsa_fp16_overflow 0
		.amdhsa_memory_ordered 1
		.amdhsa_forward_progress 1
		.amdhsa_inst_pref_size 1
		.amdhsa_round_robin_scheduling 0
		.amdhsa_exception_fp_ieee_invalid_op 0
		.amdhsa_exception_fp_denorm_src 0
		.amdhsa_exception_fp_ieee_div_zero 0
		.amdhsa_exception_fp_ieee_overflow 0
		.amdhsa_exception_fp_ieee_underflow 0
		.amdhsa_exception_fp_ieee_inexact 0
		.amdhsa_exception_int_div_zero 0
	.end_amdhsa_kernel
	.section	.text._ZN7rocprim17ROCPRIM_400000_NS6detail17trampoline_kernelINS0_14default_configENS1_27scan_by_key_config_selectorIssEEZZNS1_16scan_by_key_implILNS1_25lookback_scan_determinismE0ELb0ES3_N6thrust23THRUST_200600_302600_NS6detail15normal_iteratorINS9_10device_ptrIsEEEESE_SE_sNS9_4plusIsEE19head_flag_predicatesEE10hipError_tPvRmT2_T3_T4_T5_mT6_T7_P12ihipStream_tbENKUlT_T0_E_clISt17integral_constantIbLb1EESY_EEDaST_SU_EUlST_E_NS1_11comp_targetILNS1_3genE0ELNS1_11target_archE4294967295ELNS1_3gpuE0ELNS1_3repE0EEENS1_30default_config_static_selectorELNS0_4arch9wavefront6targetE0EEEvT1_,"axG",@progbits,_ZN7rocprim17ROCPRIM_400000_NS6detail17trampoline_kernelINS0_14default_configENS1_27scan_by_key_config_selectorIssEEZZNS1_16scan_by_key_implILNS1_25lookback_scan_determinismE0ELb0ES3_N6thrust23THRUST_200600_302600_NS6detail15normal_iteratorINS9_10device_ptrIsEEEESE_SE_sNS9_4plusIsEE19head_flag_predicatesEE10hipError_tPvRmT2_T3_T4_T5_mT6_T7_P12ihipStream_tbENKUlT_T0_E_clISt17integral_constantIbLb1EESY_EEDaST_SU_EUlST_E_NS1_11comp_targetILNS1_3genE0ELNS1_11target_archE4294967295ELNS1_3gpuE0ELNS1_3repE0EEENS1_30default_config_static_selectorELNS0_4arch9wavefront6targetE0EEEvT1_,comdat
.Lfunc_end830:
	.size	_ZN7rocprim17ROCPRIM_400000_NS6detail17trampoline_kernelINS0_14default_configENS1_27scan_by_key_config_selectorIssEEZZNS1_16scan_by_key_implILNS1_25lookback_scan_determinismE0ELb0ES3_N6thrust23THRUST_200600_302600_NS6detail15normal_iteratorINS9_10device_ptrIsEEEESE_SE_sNS9_4plusIsEE19head_flag_predicatesEE10hipError_tPvRmT2_T3_T4_T5_mT6_T7_P12ihipStream_tbENKUlT_T0_E_clISt17integral_constantIbLb1EESY_EEDaST_SU_EUlST_E_NS1_11comp_targetILNS1_3genE0ELNS1_11target_archE4294967295ELNS1_3gpuE0ELNS1_3repE0EEENS1_30default_config_static_selectorELNS0_4arch9wavefront6targetE0EEEvT1_, .Lfunc_end830-_ZN7rocprim17ROCPRIM_400000_NS6detail17trampoline_kernelINS0_14default_configENS1_27scan_by_key_config_selectorIssEEZZNS1_16scan_by_key_implILNS1_25lookback_scan_determinismE0ELb0ES3_N6thrust23THRUST_200600_302600_NS6detail15normal_iteratorINS9_10device_ptrIsEEEESE_SE_sNS9_4plusIsEE19head_flag_predicatesEE10hipError_tPvRmT2_T3_T4_T5_mT6_T7_P12ihipStream_tbENKUlT_T0_E_clISt17integral_constantIbLb1EESY_EEDaST_SU_EUlST_E_NS1_11comp_targetILNS1_3genE0ELNS1_11target_archE4294967295ELNS1_3gpuE0ELNS1_3repE0EEENS1_30default_config_static_selectorELNS0_4arch9wavefront6targetE0EEEvT1_
                                        ; -- End function
	.set _ZN7rocprim17ROCPRIM_400000_NS6detail17trampoline_kernelINS0_14default_configENS1_27scan_by_key_config_selectorIssEEZZNS1_16scan_by_key_implILNS1_25lookback_scan_determinismE0ELb0ES3_N6thrust23THRUST_200600_302600_NS6detail15normal_iteratorINS9_10device_ptrIsEEEESE_SE_sNS9_4plusIsEE19head_flag_predicatesEE10hipError_tPvRmT2_T3_T4_T5_mT6_T7_P12ihipStream_tbENKUlT_T0_E_clISt17integral_constantIbLb1EESY_EEDaST_SU_EUlST_E_NS1_11comp_targetILNS1_3genE0ELNS1_11target_archE4294967295ELNS1_3gpuE0ELNS1_3repE0EEENS1_30default_config_static_selectorELNS0_4arch9wavefront6targetE0EEEvT1_.num_vgpr, 0
	.set _ZN7rocprim17ROCPRIM_400000_NS6detail17trampoline_kernelINS0_14default_configENS1_27scan_by_key_config_selectorIssEEZZNS1_16scan_by_key_implILNS1_25lookback_scan_determinismE0ELb0ES3_N6thrust23THRUST_200600_302600_NS6detail15normal_iteratorINS9_10device_ptrIsEEEESE_SE_sNS9_4plusIsEE19head_flag_predicatesEE10hipError_tPvRmT2_T3_T4_T5_mT6_T7_P12ihipStream_tbENKUlT_T0_E_clISt17integral_constantIbLb1EESY_EEDaST_SU_EUlST_E_NS1_11comp_targetILNS1_3genE0ELNS1_11target_archE4294967295ELNS1_3gpuE0ELNS1_3repE0EEENS1_30default_config_static_selectorELNS0_4arch9wavefront6targetE0EEEvT1_.num_agpr, 0
	.set _ZN7rocprim17ROCPRIM_400000_NS6detail17trampoline_kernelINS0_14default_configENS1_27scan_by_key_config_selectorIssEEZZNS1_16scan_by_key_implILNS1_25lookback_scan_determinismE0ELb0ES3_N6thrust23THRUST_200600_302600_NS6detail15normal_iteratorINS9_10device_ptrIsEEEESE_SE_sNS9_4plusIsEE19head_flag_predicatesEE10hipError_tPvRmT2_T3_T4_T5_mT6_T7_P12ihipStream_tbENKUlT_T0_E_clISt17integral_constantIbLb1EESY_EEDaST_SU_EUlST_E_NS1_11comp_targetILNS1_3genE0ELNS1_11target_archE4294967295ELNS1_3gpuE0ELNS1_3repE0EEENS1_30default_config_static_selectorELNS0_4arch9wavefront6targetE0EEEvT1_.numbered_sgpr, 0
	.set _ZN7rocprim17ROCPRIM_400000_NS6detail17trampoline_kernelINS0_14default_configENS1_27scan_by_key_config_selectorIssEEZZNS1_16scan_by_key_implILNS1_25lookback_scan_determinismE0ELb0ES3_N6thrust23THRUST_200600_302600_NS6detail15normal_iteratorINS9_10device_ptrIsEEEESE_SE_sNS9_4plusIsEE19head_flag_predicatesEE10hipError_tPvRmT2_T3_T4_T5_mT6_T7_P12ihipStream_tbENKUlT_T0_E_clISt17integral_constantIbLb1EESY_EEDaST_SU_EUlST_E_NS1_11comp_targetILNS1_3genE0ELNS1_11target_archE4294967295ELNS1_3gpuE0ELNS1_3repE0EEENS1_30default_config_static_selectorELNS0_4arch9wavefront6targetE0EEEvT1_.num_named_barrier, 0
	.set _ZN7rocprim17ROCPRIM_400000_NS6detail17trampoline_kernelINS0_14default_configENS1_27scan_by_key_config_selectorIssEEZZNS1_16scan_by_key_implILNS1_25lookback_scan_determinismE0ELb0ES3_N6thrust23THRUST_200600_302600_NS6detail15normal_iteratorINS9_10device_ptrIsEEEESE_SE_sNS9_4plusIsEE19head_flag_predicatesEE10hipError_tPvRmT2_T3_T4_T5_mT6_T7_P12ihipStream_tbENKUlT_T0_E_clISt17integral_constantIbLb1EESY_EEDaST_SU_EUlST_E_NS1_11comp_targetILNS1_3genE0ELNS1_11target_archE4294967295ELNS1_3gpuE0ELNS1_3repE0EEENS1_30default_config_static_selectorELNS0_4arch9wavefront6targetE0EEEvT1_.private_seg_size, 0
	.set _ZN7rocprim17ROCPRIM_400000_NS6detail17trampoline_kernelINS0_14default_configENS1_27scan_by_key_config_selectorIssEEZZNS1_16scan_by_key_implILNS1_25lookback_scan_determinismE0ELb0ES3_N6thrust23THRUST_200600_302600_NS6detail15normal_iteratorINS9_10device_ptrIsEEEESE_SE_sNS9_4plusIsEE19head_flag_predicatesEE10hipError_tPvRmT2_T3_T4_T5_mT6_T7_P12ihipStream_tbENKUlT_T0_E_clISt17integral_constantIbLb1EESY_EEDaST_SU_EUlST_E_NS1_11comp_targetILNS1_3genE0ELNS1_11target_archE4294967295ELNS1_3gpuE0ELNS1_3repE0EEENS1_30default_config_static_selectorELNS0_4arch9wavefront6targetE0EEEvT1_.uses_vcc, 0
	.set _ZN7rocprim17ROCPRIM_400000_NS6detail17trampoline_kernelINS0_14default_configENS1_27scan_by_key_config_selectorIssEEZZNS1_16scan_by_key_implILNS1_25lookback_scan_determinismE0ELb0ES3_N6thrust23THRUST_200600_302600_NS6detail15normal_iteratorINS9_10device_ptrIsEEEESE_SE_sNS9_4plusIsEE19head_flag_predicatesEE10hipError_tPvRmT2_T3_T4_T5_mT6_T7_P12ihipStream_tbENKUlT_T0_E_clISt17integral_constantIbLb1EESY_EEDaST_SU_EUlST_E_NS1_11comp_targetILNS1_3genE0ELNS1_11target_archE4294967295ELNS1_3gpuE0ELNS1_3repE0EEENS1_30default_config_static_selectorELNS0_4arch9wavefront6targetE0EEEvT1_.uses_flat_scratch, 0
	.set _ZN7rocprim17ROCPRIM_400000_NS6detail17trampoline_kernelINS0_14default_configENS1_27scan_by_key_config_selectorIssEEZZNS1_16scan_by_key_implILNS1_25lookback_scan_determinismE0ELb0ES3_N6thrust23THRUST_200600_302600_NS6detail15normal_iteratorINS9_10device_ptrIsEEEESE_SE_sNS9_4plusIsEE19head_flag_predicatesEE10hipError_tPvRmT2_T3_T4_T5_mT6_T7_P12ihipStream_tbENKUlT_T0_E_clISt17integral_constantIbLb1EESY_EEDaST_SU_EUlST_E_NS1_11comp_targetILNS1_3genE0ELNS1_11target_archE4294967295ELNS1_3gpuE0ELNS1_3repE0EEENS1_30default_config_static_selectorELNS0_4arch9wavefront6targetE0EEEvT1_.has_dyn_sized_stack, 0
	.set _ZN7rocprim17ROCPRIM_400000_NS6detail17trampoline_kernelINS0_14default_configENS1_27scan_by_key_config_selectorIssEEZZNS1_16scan_by_key_implILNS1_25lookback_scan_determinismE0ELb0ES3_N6thrust23THRUST_200600_302600_NS6detail15normal_iteratorINS9_10device_ptrIsEEEESE_SE_sNS9_4plusIsEE19head_flag_predicatesEE10hipError_tPvRmT2_T3_T4_T5_mT6_T7_P12ihipStream_tbENKUlT_T0_E_clISt17integral_constantIbLb1EESY_EEDaST_SU_EUlST_E_NS1_11comp_targetILNS1_3genE0ELNS1_11target_archE4294967295ELNS1_3gpuE0ELNS1_3repE0EEENS1_30default_config_static_selectorELNS0_4arch9wavefront6targetE0EEEvT1_.has_recursion, 0
	.set _ZN7rocprim17ROCPRIM_400000_NS6detail17trampoline_kernelINS0_14default_configENS1_27scan_by_key_config_selectorIssEEZZNS1_16scan_by_key_implILNS1_25lookback_scan_determinismE0ELb0ES3_N6thrust23THRUST_200600_302600_NS6detail15normal_iteratorINS9_10device_ptrIsEEEESE_SE_sNS9_4plusIsEE19head_flag_predicatesEE10hipError_tPvRmT2_T3_T4_T5_mT6_T7_P12ihipStream_tbENKUlT_T0_E_clISt17integral_constantIbLb1EESY_EEDaST_SU_EUlST_E_NS1_11comp_targetILNS1_3genE0ELNS1_11target_archE4294967295ELNS1_3gpuE0ELNS1_3repE0EEENS1_30default_config_static_selectorELNS0_4arch9wavefront6targetE0EEEvT1_.has_indirect_call, 0
	.section	.AMDGPU.csdata,"",@progbits
; Kernel info:
; codeLenInByte = 4
; TotalNumSgprs: 0
; NumVgprs: 0
; ScratchSize: 0
; MemoryBound: 0
; FloatMode: 240
; IeeeMode: 1
; LDSByteSize: 0 bytes/workgroup (compile time only)
; SGPRBlocks: 0
; VGPRBlocks: 0
; NumSGPRsForWavesPerEU: 1
; NumVGPRsForWavesPerEU: 1
; NamedBarCnt: 0
; Occupancy: 16
; WaveLimiterHint : 0
; COMPUTE_PGM_RSRC2:SCRATCH_EN: 0
; COMPUTE_PGM_RSRC2:USER_SGPR: 2
; COMPUTE_PGM_RSRC2:TRAP_HANDLER: 0
; COMPUTE_PGM_RSRC2:TGID_X_EN: 1
; COMPUTE_PGM_RSRC2:TGID_Y_EN: 0
; COMPUTE_PGM_RSRC2:TGID_Z_EN: 0
; COMPUTE_PGM_RSRC2:TIDIG_COMP_CNT: 0
	.section	.text._ZN7rocprim17ROCPRIM_400000_NS6detail17trampoline_kernelINS0_14default_configENS1_27scan_by_key_config_selectorIssEEZZNS1_16scan_by_key_implILNS1_25lookback_scan_determinismE0ELb0ES3_N6thrust23THRUST_200600_302600_NS6detail15normal_iteratorINS9_10device_ptrIsEEEESE_SE_sNS9_4plusIsEE19head_flag_predicatesEE10hipError_tPvRmT2_T3_T4_T5_mT6_T7_P12ihipStream_tbENKUlT_T0_E_clISt17integral_constantIbLb1EESY_EEDaST_SU_EUlST_E_NS1_11comp_targetILNS1_3genE10ELNS1_11target_archE1201ELNS1_3gpuE5ELNS1_3repE0EEENS1_30default_config_static_selectorELNS0_4arch9wavefront6targetE0EEEvT1_,"axG",@progbits,_ZN7rocprim17ROCPRIM_400000_NS6detail17trampoline_kernelINS0_14default_configENS1_27scan_by_key_config_selectorIssEEZZNS1_16scan_by_key_implILNS1_25lookback_scan_determinismE0ELb0ES3_N6thrust23THRUST_200600_302600_NS6detail15normal_iteratorINS9_10device_ptrIsEEEESE_SE_sNS9_4plusIsEE19head_flag_predicatesEE10hipError_tPvRmT2_T3_T4_T5_mT6_T7_P12ihipStream_tbENKUlT_T0_E_clISt17integral_constantIbLb1EESY_EEDaST_SU_EUlST_E_NS1_11comp_targetILNS1_3genE10ELNS1_11target_archE1201ELNS1_3gpuE5ELNS1_3repE0EEENS1_30default_config_static_selectorELNS0_4arch9wavefront6targetE0EEEvT1_,comdat
	.protected	_ZN7rocprim17ROCPRIM_400000_NS6detail17trampoline_kernelINS0_14default_configENS1_27scan_by_key_config_selectorIssEEZZNS1_16scan_by_key_implILNS1_25lookback_scan_determinismE0ELb0ES3_N6thrust23THRUST_200600_302600_NS6detail15normal_iteratorINS9_10device_ptrIsEEEESE_SE_sNS9_4plusIsEE19head_flag_predicatesEE10hipError_tPvRmT2_T3_T4_T5_mT6_T7_P12ihipStream_tbENKUlT_T0_E_clISt17integral_constantIbLb1EESY_EEDaST_SU_EUlST_E_NS1_11comp_targetILNS1_3genE10ELNS1_11target_archE1201ELNS1_3gpuE5ELNS1_3repE0EEENS1_30default_config_static_selectorELNS0_4arch9wavefront6targetE0EEEvT1_ ; -- Begin function _ZN7rocprim17ROCPRIM_400000_NS6detail17trampoline_kernelINS0_14default_configENS1_27scan_by_key_config_selectorIssEEZZNS1_16scan_by_key_implILNS1_25lookback_scan_determinismE0ELb0ES3_N6thrust23THRUST_200600_302600_NS6detail15normal_iteratorINS9_10device_ptrIsEEEESE_SE_sNS9_4plusIsEE19head_flag_predicatesEE10hipError_tPvRmT2_T3_T4_T5_mT6_T7_P12ihipStream_tbENKUlT_T0_E_clISt17integral_constantIbLb1EESY_EEDaST_SU_EUlST_E_NS1_11comp_targetILNS1_3genE10ELNS1_11target_archE1201ELNS1_3gpuE5ELNS1_3repE0EEENS1_30default_config_static_selectorELNS0_4arch9wavefront6targetE0EEEvT1_
	.globl	_ZN7rocprim17ROCPRIM_400000_NS6detail17trampoline_kernelINS0_14default_configENS1_27scan_by_key_config_selectorIssEEZZNS1_16scan_by_key_implILNS1_25lookback_scan_determinismE0ELb0ES3_N6thrust23THRUST_200600_302600_NS6detail15normal_iteratorINS9_10device_ptrIsEEEESE_SE_sNS9_4plusIsEE19head_flag_predicatesEE10hipError_tPvRmT2_T3_T4_T5_mT6_T7_P12ihipStream_tbENKUlT_T0_E_clISt17integral_constantIbLb1EESY_EEDaST_SU_EUlST_E_NS1_11comp_targetILNS1_3genE10ELNS1_11target_archE1201ELNS1_3gpuE5ELNS1_3repE0EEENS1_30default_config_static_selectorELNS0_4arch9wavefront6targetE0EEEvT1_
	.p2align	8
	.type	_ZN7rocprim17ROCPRIM_400000_NS6detail17trampoline_kernelINS0_14default_configENS1_27scan_by_key_config_selectorIssEEZZNS1_16scan_by_key_implILNS1_25lookback_scan_determinismE0ELb0ES3_N6thrust23THRUST_200600_302600_NS6detail15normal_iteratorINS9_10device_ptrIsEEEESE_SE_sNS9_4plusIsEE19head_flag_predicatesEE10hipError_tPvRmT2_T3_T4_T5_mT6_T7_P12ihipStream_tbENKUlT_T0_E_clISt17integral_constantIbLb1EESY_EEDaST_SU_EUlST_E_NS1_11comp_targetILNS1_3genE10ELNS1_11target_archE1201ELNS1_3gpuE5ELNS1_3repE0EEENS1_30default_config_static_selectorELNS0_4arch9wavefront6targetE0EEEvT1_,@function
_ZN7rocprim17ROCPRIM_400000_NS6detail17trampoline_kernelINS0_14default_configENS1_27scan_by_key_config_selectorIssEEZZNS1_16scan_by_key_implILNS1_25lookback_scan_determinismE0ELb0ES3_N6thrust23THRUST_200600_302600_NS6detail15normal_iteratorINS9_10device_ptrIsEEEESE_SE_sNS9_4plusIsEE19head_flag_predicatesEE10hipError_tPvRmT2_T3_T4_T5_mT6_T7_P12ihipStream_tbENKUlT_T0_E_clISt17integral_constantIbLb1EESY_EEDaST_SU_EUlST_E_NS1_11comp_targetILNS1_3genE10ELNS1_11target_archE1201ELNS1_3gpuE5ELNS1_3repE0EEENS1_30default_config_static_selectorELNS0_4arch9wavefront6targetE0EEEvT1_: ; @_ZN7rocprim17ROCPRIM_400000_NS6detail17trampoline_kernelINS0_14default_configENS1_27scan_by_key_config_selectorIssEEZZNS1_16scan_by_key_implILNS1_25lookback_scan_determinismE0ELb0ES3_N6thrust23THRUST_200600_302600_NS6detail15normal_iteratorINS9_10device_ptrIsEEEESE_SE_sNS9_4plusIsEE19head_flag_predicatesEE10hipError_tPvRmT2_T3_T4_T5_mT6_T7_P12ihipStream_tbENKUlT_T0_E_clISt17integral_constantIbLb1EESY_EEDaST_SU_EUlST_E_NS1_11comp_targetILNS1_3genE10ELNS1_11target_archE1201ELNS1_3gpuE5ELNS1_3repE0EEENS1_30default_config_static_selectorELNS0_4arch9wavefront6targetE0EEEvT1_
; %bb.0:
	.section	.rodata,"a",@progbits
	.p2align	6, 0x0
	.amdhsa_kernel _ZN7rocprim17ROCPRIM_400000_NS6detail17trampoline_kernelINS0_14default_configENS1_27scan_by_key_config_selectorIssEEZZNS1_16scan_by_key_implILNS1_25lookback_scan_determinismE0ELb0ES3_N6thrust23THRUST_200600_302600_NS6detail15normal_iteratorINS9_10device_ptrIsEEEESE_SE_sNS9_4plusIsEE19head_flag_predicatesEE10hipError_tPvRmT2_T3_T4_T5_mT6_T7_P12ihipStream_tbENKUlT_T0_E_clISt17integral_constantIbLb1EESY_EEDaST_SU_EUlST_E_NS1_11comp_targetILNS1_3genE10ELNS1_11target_archE1201ELNS1_3gpuE5ELNS1_3repE0EEENS1_30default_config_static_selectorELNS0_4arch9wavefront6targetE0EEEvT1_
		.amdhsa_group_segment_fixed_size 0
		.amdhsa_private_segment_fixed_size 0
		.amdhsa_kernarg_size 112
		.amdhsa_user_sgpr_count 2
		.amdhsa_user_sgpr_dispatch_ptr 0
		.amdhsa_user_sgpr_queue_ptr 0
		.amdhsa_user_sgpr_kernarg_segment_ptr 1
		.amdhsa_user_sgpr_dispatch_id 0
		.amdhsa_user_sgpr_kernarg_preload_length 0
		.amdhsa_user_sgpr_kernarg_preload_offset 0
		.amdhsa_user_sgpr_private_segment_size 0
		.amdhsa_wavefront_size32 1
		.amdhsa_uses_dynamic_stack 0
		.amdhsa_enable_private_segment 0
		.amdhsa_system_sgpr_workgroup_id_x 1
		.amdhsa_system_sgpr_workgroup_id_y 0
		.amdhsa_system_sgpr_workgroup_id_z 0
		.amdhsa_system_sgpr_workgroup_info 0
		.amdhsa_system_vgpr_workitem_id 0
		.amdhsa_next_free_vgpr 1
		.amdhsa_next_free_sgpr 1
		.amdhsa_named_barrier_count 0
		.amdhsa_reserve_vcc 0
		.amdhsa_float_round_mode_32 0
		.amdhsa_float_round_mode_16_64 0
		.amdhsa_float_denorm_mode_32 3
		.amdhsa_float_denorm_mode_16_64 3
		.amdhsa_fp16_overflow 0
		.amdhsa_memory_ordered 1
		.amdhsa_forward_progress 1
		.amdhsa_inst_pref_size 0
		.amdhsa_round_robin_scheduling 0
		.amdhsa_exception_fp_ieee_invalid_op 0
		.amdhsa_exception_fp_denorm_src 0
		.amdhsa_exception_fp_ieee_div_zero 0
		.amdhsa_exception_fp_ieee_overflow 0
		.amdhsa_exception_fp_ieee_underflow 0
		.amdhsa_exception_fp_ieee_inexact 0
		.amdhsa_exception_int_div_zero 0
	.end_amdhsa_kernel
	.section	.text._ZN7rocprim17ROCPRIM_400000_NS6detail17trampoline_kernelINS0_14default_configENS1_27scan_by_key_config_selectorIssEEZZNS1_16scan_by_key_implILNS1_25lookback_scan_determinismE0ELb0ES3_N6thrust23THRUST_200600_302600_NS6detail15normal_iteratorINS9_10device_ptrIsEEEESE_SE_sNS9_4plusIsEE19head_flag_predicatesEE10hipError_tPvRmT2_T3_T4_T5_mT6_T7_P12ihipStream_tbENKUlT_T0_E_clISt17integral_constantIbLb1EESY_EEDaST_SU_EUlST_E_NS1_11comp_targetILNS1_3genE10ELNS1_11target_archE1201ELNS1_3gpuE5ELNS1_3repE0EEENS1_30default_config_static_selectorELNS0_4arch9wavefront6targetE0EEEvT1_,"axG",@progbits,_ZN7rocprim17ROCPRIM_400000_NS6detail17trampoline_kernelINS0_14default_configENS1_27scan_by_key_config_selectorIssEEZZNS1_16scan_by_key_implILNS1_25lookback_scan_determinismE0ELb0ES3_N6thrust23THRUST_200600_302600_NS6detail15normal_iteratorINS9_10device_ptrIsEEEESE_SE_sNS9_4plusIsEE19head_flag_predicatesEE10hipError_tPvRmT2_T3_T4_T5_mT6_T7_P12ihipStream_tbENKUlT_T0_E_clISt17integral_constantIbLb1EESY_EEDaST_SU_EUlST_E_NS1_11comp_targetILNS1_3genE10ELNS1_11target_archE1201ELNS1_3gpuE5ELNS1_3repE0EEENS1_30default_config_static_selectorELNS0_4arch9wavefront6targetE0EEEvT1_,comdat
.Lfunc_end831:
	.size	_ZN7rocprim17ROCPRIM_400000_NS6detail17trampoline_kernelINS0_14default_configENS1_27scan_by_key_config_selectorIssEEZZNS1_16scan_by_key_implILNS1_25lookback_scan_determinismE0ELb0ES3_N6thrust23THRUST_200600_302600_NS6detail15normal_iteratorINS9_10device_ptrIsEEEESE_SE_sNS9_4plusIsEE19head_flag_predicatesEE10hipError_tPvRmT2_T3_T4_T5_mT6_T7_P12ihipStream_tbENKUlT_T0_E_clISt17integral_constantIbLb1EESY_EEDaST_SU_EUlST_E_NS1_11comp_targetILNS1_3genE10ELNS1_11target_archE1201ELNS1_3gpuE5ELNS1_3repE0EEENS1_30default_config_static_selectorELNS0_4arch9wavefront6targetE0EEEvT1_, .Lfunc_end831-_ZN7rocprim17ROCPRIM_400000_NS6detail17trampoline_kernelINS0_14default_configENS1_27scan_by_key_config_selectorIssEEZZNS1_16scan_by_key_implILNS1_25lookback_scan_determinismE0ELb0ES3_N6thrust23THRUST_200600_302600_NS6detail15normal_iteratorINS9_10device_ptrIsEEEESE_SE_sNS9_4plusIsEE19head_flag_predicatesEE10hipError_tPvRmT2_T3_T4_T5_mT6_T7_P12ihipStream_tbENKUlT_T0_E_clISt17integral_constantIbLb1EESY_EEDaST_SU_EUlST_E_NS1_11comp_targetILNS1_3genE10ELNS1_11target_archE1201ELNS1_3gpuE5ELNS1_3repE0EEENS1_30default_config_static_selectorELNS0_4arch9wavefront6targetE0EEEvT1_
                                        ; -- End function
	.set _ZN7rocprim17ROCPRIM_400000_NS6detail17trampoline_kernelINS0_14default_configENS1_27scan_by_key_config_selectorIssEEZZNS1_16scan_by_key_implILNS1_25lookback_scan_determinismE0ELb0ES3_N6thrust23THRUST_200600_302600_NS6detail15normal_iteratorINS9_10device_ptrIsEEEESE_SE_sNS9_4plusIsEE19head_flag_predicatesEE10hipError_tPvRmT2_T3_T4_T5_mT6_T7_P12ihipStream_tbENKUlT_T0_E_clISt17integral_constantIbLb1EESY_EEDaST_SU_EUlST_E_NS1_11comp_targetILNS1_3genE10ELNS1_11target_archE1201ELNS1_3gpuE5ELNS1_3repE0EEENS1_30default_config_static_selectorELNS0_4arch9wavefront6targetE0EEEvT1_.num_vgpr, 0
	.set _ZN7rocprim17ROCPRIM_400000_NS6detail17trampoline_kernelINS0_14default_configENS1_27scan_by_key_config_selectorIssEEZZNS1_16scan_by_key_implILNS1_25lookback_scan_determinismE0ELb0ES3_N6thrust23THRUST_200600_302600_NS6detail15normal_iteratorINS9_10device_ptrIsEEEESE_SE_sNS9_4plusIsEE19head_flag_predicatesEE10hipError_tPvRmT2_T3_T4_T5_mT6_T7_P12ihipStream_tbENKUlT_T0_E_clISt17integral_constantIbLb1EESY_EEDaST_SU_EUlST_E_NS1_11comp_targetILNS1_3genE10ELNS1_11target_archE1201ELNS1_3gpuE5ELNS1_3repE0EEENS1_30default_config_static_selectorELNS0_4arch9wavefront6targetE0EEEvT1_.num_agpr, 0
	.set _ZN7rocprim17ROCPRIM_400000_NS6detail17trampoline_kernelINS0_14default_configENS1_27scan_by_key_config_selectorIssEEZZNS1_16scan_by_key_implILNS1_25lookback_scan_determinismE0ELb0ES3_N6thrust23THRUST_200600_302600_NS6detail15normal_iteratorINS9_10device_ptrIsEEEESE_SE_sNS9_4plusIsEE19head_flag_predicatesEE10hipError_tPvRmT2_T3_T4_T5_mT6_T7_P12ihipStream_tbENKUlT_T0_E_clISt17integral_constantIbLb1EESY_EEDaST_SU_EUlST_E_NS1_11comp_targetILNS1_3genE10ELNS1_11target_archE1201ELNS1_3gpuE5ELNS1_3repE0EEENS1_30default_config_static_selectorELNS0_4arch9wavefront6targetE0EEEvT1_.numbered_sgpr, 0
	.set _ZN7rocprim17ROCPRIM_400000_NS6detail17trampoline_kernelINS0_14default_configENS1_27scan_by_key_config_selectorIssEEZZNS1_16scan_by_key_implILNS1_25lookback_scan_determinismE0ELb0ES3_N6thrust23THRUST_200600_302600_NS6detail15normal_iteratorINS9_10device_ptrIsEEEESE_SE_sNS9_4plusIsEE19head_flag_predicatesEE10hipError_tPvRmT2_T3_T4_T5_mT6_T7_P12ihipStream_tbENKUlT_T0_E_clISt17integral_constantIbLb1EESY_EEDaST_SU_EUlST_E_NS1_11comp_targetILNS1_3genE10ELNS1_11target_archE1201ELNS1_3gpuE5ELNS1_3repE0EEENS1_30default_config_static_selectorELNS0_4arch9wavefront6targetE0EEEvT1_.num_named_barrier, 0
	.set _ZN7rocprim17ROCPRIM_400000_NS6detail17trampoline_kernelINS0_14default_configENS1_27scan_by_key_config_selectorIssEEZZNS1_16scan_by_key_implILNS1_25lookback_scan_determinismE0ELb0ES3_N6thrust23THRUST_200600_302600_NS6detail15normal_iteratorINS9_10device_ptrIsEEEESE_SE_sNS9_4plusIsEE19head_flag_predicatesEE10hipError_tPvRmT2_T3_T4_T5_mT6_T7_P12ihipStream_tbENKUlT_T0_E_clISt17integral_constantIbLb1EESY_EEDaST_SU_EUlST_E_NS1_11comp_targetILNS1_3genE10ELNS1_11target_archE1201ELNS1_3gpuE5ELNS1_3repE0EEENS1_30default_config_static_selectorELNS0_4arch9wavefront6targetE0EEEvT1_.private_seg_size, 0
	.set _ZN7rocprim17ROCPRIM_400000_NS6detail17trampoline_kernelINS0_14default_configENS1_27scan_by_key_config_selectorIssEEZZNS1_16scan_by_key_implILNS1_25lookback_scan_determinismE0ELb0ES3_N6thrust23THRUST_200600_302600_NS6detail15normal_iteratorINS9_10device_ptrIsEEEESE_SE_sNS9_4plusIsEE19head_flag_predicatesEE10hipError_tPvRmT2_T3_T4_T5_mT6_T7_P12ihipStream_tbENKUlT_T0_E_clISt17integral_constantIbLb1EESY_EEDaST_SU_EUlST_E_NS1_11comp_targetILNS1_3genE10ELNS1_11target_archE1201ELNS1_3gpuE5ELNS1_3repE0EEENS1_30default_config_static_selectorELNS0_4arch9wavefront6targetE0EEEvT1_.uses_vcc, 0
	.set _ZN7rocprim17ROCPRIM_400000_NS6detail17trampoline_kernelINS0_14default_configENS1_27scan_by_key_config_selectorIssEEZZNS1_16scan_by_key_implILNS1_25lookback_scan_determinismE0ELb0ES3_N6thrust23THRUST_200600_302600_NS6detail15normal_iteratorINS9_10device_ptrIsEEEESE_SE_sNS9_4plusIsEE19head_flag_predicatesEE10hipError_tPvRmT2_T3_T4_T5_mT6_T7_P12ihipStream_tbENKUlT_T0_E_clISt17integral_constantIbLb1EESY_EEDaST_SU_EUlST_E_NS1_11comp_targetILNS1_3genE10ELNS1_11target_archE1201ELNS1_3gpuE5ELNS1_3repE0EEENS1_30default_config_static_selectorELNS0_4arch9wavefront6targetE0EEEvT1_.uses_flat_scratch, 0
	.set _ZN7rocprim17ROCPRIM_400000_NS6detail17trampoline_kernelINS0_14default_configENS1_27scan_by_key_config_selectorIssEEZZNS1_16scan_by_key_implILNS1_25lookback_scan_determinismE0ELb0ES3_N6thrust23THRUST_200600_302600_NS6detail15normal_iteratorINS9_10device_ptrIsEEEESE_SE_sNS9_4plusIsEE19head_flag_predicatesEE10hipError_tPvRmT2_T3_T4_T5_mT6_T7_P12ihipStream_tbENKUlT_T0_E_clISt17integral_constantIbLb1EESY_EEDaST_SU_EUlST_E_NS1_11comp_targetILNS1_3genE10ELNS1_11target_archE1201ELNS1_3gpuE5ELNS1_3repE0EEENS1_30default_config_static_selectorELNS0_4arch9wavefront6targetE0EEEvT1_.has_dyn_sized_stack, 0
	.set _ZN7rocprim17ROCPRIM_400000_NS6detail17trampoline_kernelINS0_14default_configENS1_27scan_by_key_config_selectorIssEEZZNS1_16scan_by_key_implILNS1_25lookback_scan_determinismE0ELb0ES3_N6thrust23THRUST_200600_302600_NS6detail15normal_iteratorINS9_10device_ptrIsEEEESE_SE_sNS9_4plusIsEE19head_flag_predicatesEE10hipError_tPvRmT2_T3_T4_T5_mT6_T7_P12ihipStream_tbENKUlT_T0_E_clISt17integral_constantIbLb1EESY_EEDaST_SU_EUlST_E_NS1_11comp_targetILNS1_3genE10ELNS1_11target_archE1201ELNS1_3gpuE5ELNS1_3repE0EEENS1_30default_config_static_selectorELNS0_4arch9wavefront6targetE0EEEvT1_.has_recursion, 0
	.set _ZN7rocprim17ROCPRIM_400000_NS6detail17trampoline_kernelINS0_14default_configENS1_27scan_by_key_config_selectorIssEEZZNS1_16scan_by_key_implILNS1_25lookback_scan_determinismE0ELb0ES3_N6thrust23THRUST_200600_302600_NS6detail15normal_iteratorINS9_10device_ptrIsEEEESE_SE_sNS9_4plusIsEE19head_flag_predicatesEE10hipError_tPvRmT2_T3_T4_T5_mT6_T7_P12ihipStream_tbENKUlT_T0_E_clISt17integral_constantIbLb1EESY_EEDaST_SU_EUlST_E_NS1_11comp_targetILNS1_3genE10ELNS1_11target_archE1201ELNS1_3gpuE5ELNS1_3repE0EEENS1_30default_config_static_selectorELNS0_4arch9wavefront6targetE0EEEvT1_.has_indirect_call, 0
	.section	.AMDGPU.csdata,"",@progbits
; Kernel info:
; codeLenInByte = 0
; TotalNumSgprs: 0
; NumVgprs: 0
; ScratchSize: 0
; MemoryBound: 0
; FloatMode: 240
; IeeeMode: 1
; LDSByteSize: 0 bytes/workgroup (compile time only)
; SGPRBlocks: 0
; VGPRBlocks: 0
; NumSGPRsForWavesPerEU: 1
; NumVGPRsForWavesPerEU: 1
; NamedBarCnt: 0
; Occupancy: 16
; WaveLimiterHint : 0
; COMPUTE_PGM_RSRC2:SCRATCH_EN: 0
; COMPUTE_PGM_RSRC2:USER_SGPR: 2
; COMPUTE_PGM_RSRC2:TRAP_HANDLER: 0
; COMPUTE_PGM_RSRC2:TGID_X_EN: 1
; COMPUTE_PGM_RSRC2:TGID_Y_EN: 0
; COMPUTE_PGM_RSRC2:TGID_Z_EN: 0
; COMPUTE_PGM_RSRC2:TIDIG_COMP_CNT: 0
	.section	.text._ZN7rocprim17ROCPRIM_400000_NS6detail17trampoline_kernelINS0_14default_configENS1_27scan_by_key_config_selectorIssEEZZNS1_16scan_by_key_implILNS1_25lookback_scan_determinismE0ELb0ES3_N6thrust23THRUST_200600_302600_NS6detail15normal_iteratorINS9_10device_ptrIsEEEESE_SE_sNS9_4plusIsEE19head_flag_predicatesEE10hipError_tPvRmT2_T3_T4_T5_mT6_T7_P12ihipStream_tbENKUlT_T0_E_clISt17integral_constantIbLb1EESY_EEDaST_SU_EUlST_E_NS1_11comp_targetILNS1_3genE5ELNS1_11target_archE942ELNS1_3gpuE9ELNS1_3repE0EEENS1_30default_config_static_selectorELNS0_4arch9wavefront6targetE0EEEvT1_,"axG",@progbits,_ZN7rocprim17ROCPRIM_400000_NS6detail17trampoline_kernelINS0_14default_configENS1_27scan_by_key_config_selectorIssEEZZNS1_16scan_by_key_implILNS1_25lookback_scan_determinismE0ELb0ES3_N6thrust23THRUST_200600_302600_NS6detail15normal_iteratorINS9_10device_ptrIsEEEESE_SE_sNS9_4plusIsEE19head_flag_predicatesEE10hipError_tPvRmT2_T3_T4_T5_mT6_T7_P12ihipStream_tbENKUlT_T0_E_clISt17integral_constantIbLb1EESY_EEDaST_SU_EUlST_E_NS1_11comp_targetILNS1_3genE5ELNS1_11target_archE942ELNS1_3gpuE9ELNS1_3repE0EEENS1_30default_config_static_selectorELNS0_4arch9wavefront6targetE0EEEvT1_,comdat
	.protected	_ZN7rocprim17ROCPRIM_400000_NS6detail17trampoline_kernelINS0_14default_configENS1_27scan_by_key_config_selectorIssEEZZNS1_16scan_by_key_implILNS1_25lookback_scan_determinismE0ELb0ES3_N6thrust23THRUST_200600_302600_NS6detail15normal_iteratorINS9_10device_ptrIsEEEESE_SE_sNS9_4plusIsEE19head_flag_predicatesEE10hipError_tPvRmT2_T3_T4_T5_mT6_T7_P12ihipStream_tbENKUlT_T0_E_clISt17integral_constantIbLb1EESY_EEDaST_SU_EUlST_E_NS1_11comp_targetILNS1_3genE5ELNS1_11target_archE942ELNS1_3gpuE9ELNS1_3repE0EEENS1_30default_config_static_selectorELNS0_4arch9wavefront6targetE0EEEvT1_ ; -- Begin function _ZN7rocprim17ROCPRIM_400000_NS6detail17trampoline_kernelINS0_14default_configENS1_27scan_by_key_config_selectorIssEEZZNS1_16scan_by_key_implILNS1_25lookback_scan_determinismE0ELb0ES3_N6thrust23THRUST_200600_302600_NS6detail15normal_iteratorINS9_10device_ptrIsEEEESE_SE_sNS9_4plusIsEE19head_flag_predicatesEE10hipError_tPvRmT2_T3_T4_T5_mT6_T7_P12ihipStream_tbENKUlT_T0_E_clISt17integral_constantIbLb1EESY_EEDaST_SU_EUlST_E_NS1_11comp_targetILNS1_3genE5ELNS1_11target_archE942ELNS1_3gpuE9ELNS1_3repE0EEENS1_30default_config_static_selectorELNS0_4arch9wavefront6targetE0EEEvT1_
	.globl	_ZN7rocprim17ROCPRIM_400000_NS6detail17trampoline_kernelINS0_14default_configENS1_27scan_by_key_config_selectorIssEEZZNS1_16scan_by_key_implILNS1_25lookback_scan_determinismE0ELb0ES3_N6thrust23THRUST_200600_302600_NS6detail15normal_iteratorINS9_10device_ptrIsEEEESE_SE_sNS9_4plusIsEE19head_flag_predicatesEE10hipError_tPvRmT2_T3_T4_T5_mT6_T7_P12ihipStream_tbENKUlT_T0_E_clISt17integral_constantIbLb1EESY_EEDaST_SU_EUlST_E_NS1_11comp_targetILNS1_3genE5ELNS1_11target_archE942ELNS1_3gpuE9ELNS1_3repE0EEENS1_30default_config_static_selectorELNS0_4arch9wavefront6targetE0EEEvT1_
	.p2align	8
	.type	_ZN7rocprim17ROCPRIM_400000_NS6detail17trampoline_kernelINS0_14default_configENS1_27scan_by_key_config_selectorIssEEZZNS1_16scan_by_key_implILNS1_25lookback_scan_determinismE0ELb0ES3_N6thrust23THRUST_200600_302600_NS6detail15normal_iteratorINS9_10device_ptrIsEEEESE_SE_sNS9_4plusIsEE19head_flag_predicatesEE10hipError_tPvRmT2_T3_T4_T5_mT6_T7_P12ihipStream_tbENKUlT_T0_E_clISt17integral_constantIbLb1EESY_EEDaST_SU_EUlST_E_NS1_11comp_targetILNS1_3genE5ELNS1_11target_archE942ELNS1_3gpuE9ELNS1_3repE0EEENS1_30default_config_static_selectorELNS0_4arch9wavefront6targetE0EEEvT1_,@function
_ZN7rocprim17ROCPRIM_400000_NS6detail17trampoline_kernelINS0_14default_configENS1_27scan_by_key_config_selectorIssEEZZNS1_16scan_by_key_implILNS1_25lookback_scan_determinismE0ELb0ES3_N6thrust23THRUST_200600_302600_NS6detail15normal_iteratorINS9_10device_ptrIsEEEESE_SE_sNS9_4plusIsEE19head_flag_predicatesEE10hipError_tPvRmT2_T3_T4_T5_mT6_T7_P12ihipStream_tbENKUlT_T0_E_clISt17integral_constantIbLb1EESY_EEDaST_SU_EUlST_E_NS1_11comp_targetILNS1_3genE5ELNS1_11target_archE942ELNS1_3gpuE9ELNS1_3repE0EEENS1_30default_config_static_selectorELNS0_4arch9wavefront6targetE0EEEvT1_: ; @_ZN7rocprim17ROCPRIM_400000_NS6detail17trampoline_kernelINS0_14default_configENS1_27scan_by_key_config_selectorIssEEZZNS1_16scan_by_key_implILNS1_25lookback_scan_determinismE0ELb0ES3_N6thrust23THRUST_200600_302600_NS6detail15normal_iteratorINS9_10device_ptrIsEEEESE_SE_sNS9_4plusIsEE19head_flag_predicatesEE10hipError_tPvRmT2_T3_T4_T5_mT6_T7_P12ihipStream_tbENKUlT_T0_E_clISt17integral_constantIbLb1EESY_EEDaST_SU_EUlST_E_NS1_11comp_targetILNS1_3genE5ELNS1_11target_archE942ELNS1_3gpuE9ELNS1_3repE0EEENS1_30default_config_static_selectorELNS0_4arch9wavefront6targetE0EEEvT1_
; %bb.0:
	.section	.rodata,"a",@progbits
	.p2align	6, 0x0
	.amdhsa_kernel _ZN7rocprim17ROCPRIM_400000_NS6detail17trampoline_kernelINS0_14default_configENS1_27scan_by_key_config_selectorIssEEZZNS1_16scan_by_key_implILNS1_25lookback_scan_determinismE0ELb0ES3_N6thrust23THRUST_200600_302600_NS6detail15normal_iteratorINS9_10device_ptrIsEEEESE_SE_sNS9_4plusIsEE19head_flag_predicatesEE10hipError_tPvRmT2_T3_T4_T5_mT6_T7_P12ihipStream_tbENKUlT_T0_E_clISt17integral_constantIbLb1EESY_EEDaST_SU_EUlST_E_NS1_11comp_targetILNS1_3genE5ELNS1_11target_archE942ELNS1_3gpuE9ELNS1_3repE0EEENS1_30default_config_static_selectorELNS0_4arch9wavefront6targetE0EEEvT1_
		.amdhsa_group_segment_fixed_size 0
		.amdhsa_private_segment_fixed_size 0
		.amdhsa_kernarg_size 112
		.amdhsa_user_sgpr_count 2
		.amdhsa_user_sgpr_dispatch_ptr 0
		.amdhsa_user_sgpr_queue_ptr 0
		.amdhsa_user_sgpr_kernarg_segment_ptr 1
		.amdhsa_user_sgpr_dispatch_id 0
		.amdhsa_user_sgpr_kernarg_preload_length 0
		.amdhsa_user_sgpr_kernarg_preload_offset 0
		.amdhsa_user_sgpr_private_segment_size 0
		.amdhsa_wavefront_size32 1
		.amdhsa_uses_dynamic_stack 0
		.amdhsa_enable_private_segment 0
		.amdhsa_system_sgpr_workgroup_id_x 1
		.amdhsa_system_sgpr_workgroup_id_y 0
		.amdhsa_system_sgpr_workgroup_id_z 0
		.amdhsa_system_sgpr_workgroup_info 0
		.amdhsa_system_vgpr_workitem_id 0
		.amdhsa_next_free_vgpr 1
		.amdhsa_next_free_sgpr 1
		.amdhsa_named_barrier_count 0
		.amdhsa_reserve_vcc 0
		.amdhsa_float_round_mode_32 0
		.amdhsa_float_round_mode_16_64 0
		.amdhsa_float_denorm_mode_32 3
		.amdhsa_float_denorm_mode_16_64 3
		.amdhsa_fp16_overflow 0
		.amdhsa_memory_ordered 1
		.amdhsa_forward_progress 1
		.amdhsa_inst_pref_size 0
		.amdhsa_round_robin_scheduling 0
		.amdhsa_exception_fp_ieee_invalid_op 0
		.amdhsa_exception_fp_denorm_src 0
		.amdhsa_exception_fp_ieee_div_zero 0
		.amdhsa_exception_fp_ieee_overflow 0
		.amdhsa_exception_fp_ieee_underflow 0
		.amdhsa_exception_fp_ieee_inexact 0
		.amdhsa_exception_int_div_zero 0
	.end_amdhsa_kernel
	.section	.text._ZN7rocprim17ROCPRIM_400000_NS6detail17trampoline_kernelINS0_14default_configENS1_27scan_by_key_config_selectorIssEEZZNS1_16scan_by_key_implILNS1_25lookback_scan_determinismE0ELb0ES3_N6thrust23THRUST_200600_302600_NS6detail15normal_iteratorINS9_10device_ptrIsEEEESE_SE_sNS9_4plusIsEE19head_flag_predicatesEE10hipError_tPvRmT2_T3_T4_T5_mT6_T7_P12ihipStream_tbENKUlT_T0_E_clISt17integral_constantIbLb1EESY_EEDaST_SU_EUlST_E_NS1_11comp_targetILNS1_3genE5ELNS1_11target_archE942ELNS1_3gpuE9ELNS1_3repE0EEENS1_30default_config_static_selectorELNS0_4arch9wavefront6targetE0EEEvT1_,"axG",@progbits,_ZN7rocprim17ROCPRIM_400000_NS6detail17trampoline_kernelINS0_14default_configENS1_27scan_by_key_config_selectorIssEEZZNS1_16scan_by_key_implILNS1_25lookback_scan_determinismE0ELb0ES3_N6thrust23THRUST_200600_302600_NS6detail15normal_iteratorINS9_10device_ptrIsEEEESE_SE_sNS9_4plusIsEE19head_flag_predicatesEE10hipError_tPvRmT2_T3_T4_T5_mT6_T7_P12ihipStream_tbENKUlT_T0_E_clISt17integral_constantIbLb1EESY_EEDaST_SU_EUlST_E_NS1_11comp_targetILNS1_3genE5ELNS1_11target_archE942ELNS1_3gpuE9ELNS1_3repE0EEENS1_30default_config_static_selectorELNS0_4arch9wavefront6targetE0EEEvT1_,comdat
.Lfunc_end832:
	.size	_ZN7rocprim17ROCPRIM_400000_NS6detail17trampoline_kernelINS0_14default_configENS1_27scan_by_key_config_selectorIssEEZZNS1_16scan_by_key_implILNS1_25lookback_scan_determinismE0ELb0ES3_N6thrust23THRUST_200600_302600_NS6detail15normal_iteratorINS9_10device_ptrIsEEEESE_SE_sNS9_4plusIsEE19head_flag_predicatesEE10hipError_tPvRmT2_T3_T4_T5_mT6_T7_P12ihipStream_tbENKUlT_T0_E_clISt17integral_constantIbLb1EESY_EEDaST_SU_EUlST_E_NS1_11comp_targetILNS1_3genE5ELNS1_11target_archE942ELNS1_3gpuE9ELNS1_3repE0EEENS1_30default_config_static_selectorELNS0_4arch9wavefront6targetE0EEEvT1_, .Lfunc_end832-_ZN7rocprim17ROCPRIM_400000_NS6detail17trampoline_kernelINS0_14default_configENS1_27scan_by_key_config_selectorIssEEZZNS1_16scan_by_key_implILNS1_25lookback_scan_determinismE0ELb0ES3_N6thrust23THRUST_200600_302600_NS6detail15normal_iteratorINS9_10device_ptrIsEEEESE_SE_sNS9_4plusIsEE19head_flag_predicatesEE10hipError_tPvRmT2_T3_T4_T5_mT6_T7_P12ihipStream_tbENKUlT_T0_E_clISt17integral_constantIbLb1EESY_EEDaST_SU_EUlST_E_NS1_11comp_targetILNS1_3genE5ELNS1_11target_archE942ELNS1_3gpuE9ELNS1_3repE0EEENS1_30default_config_static_selectorELNS0_4arch9wavefront6targetE0EEEvT1_
                                        ; -- End function
	.set _ZN7rocprim17ROCPRIM_400000_NS6detail17trampoline_kernelINS0_14default_configENS1_27scan_by_key_config_selectorIssEEZZNS1_16scan_by_key_implILNS1_25lookback_scan_determinismE0ELb0ES3_N6thrust23THRUST_200600_302600_NS6detail15normal_iteratorINS9_10device_ptrIsEEEESE_SE_sNS9_4plusIsEE19head_flag_predicatesEE10hipError_tPvRmT2_T3_T4_T5_mT6_T7_P12ihipStream_tbENKUlT_T0_E_clISt17integral_constantIbLb1EESY_EEDaST_SU_EUlST_E_NS1_11comp_targetILNS1_3genE5ELNS1_11target_archE942ELNS1_3gpuE9ELNS1_3repE0EEENS1_30default_config_static_selectorELNS0_4arch9wavefront6targetE0EEEvT1_.num_vgpr, 0
	.set _ZN7rocprim17ROCPRIM_400000_NS6detail17trampoline_kernelINS0_14default_configENS1_27scan_by_key_config_selectorIssEEZZNS1_16scan_by_key_implILNS1_25lookback_scan_determinismE0ELb0ES3_N6thrust23THRUST_200600_302600_NS6detail15normal_iteratorINS9_10device_ptrIsEEEESE_SE_sNS9_4plusIsEE19head_flag_predicatesEE10hipError_tPvRmT2_T3_T4_T5_mT6_T7_P12ihipStream_tbENKUlT_T0_E_clISt17integral_constantIbLb1EESY_EEDaST_SU_EUlST_E_NS1_11comp_targetILNS1_3genE5ELNS1_11target_archE942ELNS1_3gpuE9ELNS1_3repE0EEENS1_30default_config_static_selectorELNS0_4arch9wavefront6targetE0EEEvT1_.num_agpr, 0
	.set _ZN7rocprim17ROCPRIM_400000_NS6detail17trampoline_kernelINS0_14default_configENS1_27scan_by_key_config_selectorIssEEZZNS1_16scan_by_key_implILNS1_25lookback_scan_determinismE0ELb0ES3_N6thrust23THRUST_200600_302600_NS6detail15normal_iteratorINS9_10device_ptrIsEEEESE_SE_sNS9_4plusIsEE19head_flag_predicatesEE10hipError_tPvRmT2_T3_T4_T5_mT6_T7_P12ihipStream_tbENKUlT_T0_E_clISt17integral_constantIbLb1EESY_EEDaST_SU_EUlST_E_NS1_11comp_targetILNS1_3genE5ELNS1_11target_archE942ELNS1_3gpuE9ELNS1_3repE0EEENS1_30default_config_static_selectorELNS0_4arch9wavefront6targetE0EEEvT1_.numbered_sgpr, 0
	.set _ZN7rocprim17ROCPRIM_400000_NS6detail17trampoline_kernelINS0_14default_configENS1_27scan_by_key_config_selectorIssEEZZNS1_16scan_by_key_implILNS1_25lookback_scan_determinismE0ELb0ES3_N6thrust23THRUST_200600_302600_NS6detail15normal_iteratorINS9_10device_ptrIsEEEESE_SE_sNS9_4plusIsEE19head_flag_predicatesEE10hipError_tPvRmT2_T3_T4_T5_mT6_T7_P12ihipStream_tbENKUlT_T0_E_clISt17integral_constantIbLb1EESY_EEDaST_SU_EUlST_E_NS1_11comp_targetILNS1_3genE5ELNS1_11target_archE942ELNS1_3gpuE9ELNS1_3repE0EEENS1_30default_config_static_selectorELNS0_4arch9wavefront6targetE0EEEvT1_.num_named_barrier, 0
	.set _ZN7rocprim17ROCPRIM_400000_NS6detail17trampoline_kernelINS0_14default_configENS1_27scan_by_key_config_selectorIssEEZZNS1_16scan_by_key_implILNS1_25lookback_scan_determinismE0ELb0ES3_N6thrust23THRUST_200600_302600_NS6detail15normal_iteratorINS9_10device_ptrIsEEEESE_SE_sNS9_4plusIsEE19head_flag_predicatesEE10hipError_tPvRmT2_T3_T4_T5_mT6_T7_P12ihipStream_tbENKUlT_T0_E_clISt17integral_constantIbLb1EESY_EEDaST_SU_EUlST_E_NS1_11comp_targetILNS1_3genE5ELNS1_11target_archE942ELNS1_3gpuE9ELNS1_3repE0EEENS1_30default_config_static_selectorELNS0_4arch9wavefront6targetE0EEEvT1_.private_seg_size, 0
	.set _ZN7rocprim17ROCPRIM_400000_NS6detail17trampoline_kernelINS0_14default_configENS1_27scan_by_key_config_selectorIssEEZZNS1_16scan_by_key_implILNS1_25lookback_scan_determinismE0ELb0ES3_N6thrust23THRUST_200600_302600_NS6detail15normal_iteratorINS9_10device_ptrIsEEEESE_SE_sNS9_4plusIsEE19head_flag_predicatesEE10hipError_tPvRmT2_T3_T4_T5_mT6_T7_P12ihipStream_tbENKUlT_T0_E_clISt17integral_constantIbLb1EESY_EEDaST_SU_EUlST_E_NS1_11comp_targetILNS1_3genE5ELNS1_11target_archE942ELNS1_3gpuE9ELNS1_3repE0EEENS1_30default_config_static_selectorELNS0_4arch9wavefront6targetE0EEEvT1_.uses_vcc, 0
	.set _ZN7rocprim17ROCPRIM_400000_NS6detail17trampoline_kernelINS0_14default_configENS1_27scan_by_key_config_selectorIssEEZZNS1_16scan_by_key_implILNS1_25lookback_scan_determinismE0ELb0ES3_N6thrust23THRUST_200600_302600_NS6detail15normal_iteratorINS9_10device_ptrIsEEEESE_SE_sNS9_4plusIsEE19head_flag_predicatesEE10hipError_tPvRmT2_T3_T4_T5_mT6_T7_P12ihipStream_tbENKUlT_T0_E_clISt17integral_constantIbLb1EESY_EEDaST_SU_EUlST_E_NS1_11comp_targetILNS1_3genE5ELNS1_11target_archE942ELNS1_3gpuE9ELNS1_3repE0EEENS1_30default_config_static_selectorELNS0_4arch9wavefront6targetE0EEEvT1_.uses_flat_scratch, 0
	.set _ZN7rocprim17ROCPRIM_400000_NS6detail17trampoline_kernelINS0_14default_configENS1_27scan_by_key_config_selectorIssEEZZNS1_16scan_by_key_implILNS1_25lookback_scan_determinismE0ELb0ES3_N6thrust23THRUST_200600_302600_NS6detail15normal_iteratorINS9_10device_ptrIsEEEESE_SE_sNS9_4plusIsEE19head_flag_predicatesEE10hipError_tPvRmT2_T3_T4_T5_mT6_T7_P12ihipStream_tbENKUlT_T0_E_clISt17integral_constantIbLb1EESY_EEDaST_SU_EUlST_E_NS1_11comp_targetILNS1_3genE5ELNS1_11target_archE942ELNS1_3gpuE9ELNS1_3repE0EEENS1_30default_config_static_selectorELNS0_4arch9wavefront6targetE0EEEvT1_.has_dyn_sized_stack, 0
	.set _ZN7rocprim17ROCPRIM_400000_NS6detail17trampoline_kernelINS0_14default_configENS1_27scan_by_key_config_selectorIssEEZZNS1_16scan_by_key_implILNS1_25lookback_scan_determinismE0ELb0ES3_N6thrust23THRUST_200600_302600_NS6detail15normal_iteratorINS9_10device_ptrIsEEEESE_SE_sNS9_4plusIsEE19head_flag_predicatesEE10hipError_tPvRmT2_T3_T4_T5_mT6_T7_P12ihipStream_tbENKUlT_T0_E_clISt17integral_constantIbLb1EESY_EEDaST_SU_EUlST_E_NS1_11comp_targetILNS1_3genE5ELNS1_11target_archE942ELNS1_3gpuE9ELNS1_3repE0EEENS1_30default_config_static_selectorELNS0_4arch9wavefront6targetE0EEEvT1_.has_recursion, 0
	.set _ZN7rocprim17ROCPRIM_400000_NS6detail17trampoline_kernelINS0_14default_configENS1_27scan_by_key_config_selectorIssEEZZNS1_16scan_by_key_implILNS1_25lookback_scan_determinismE0ELb0ES3_N6thrust23THRUST_200600_302600_NS6detail15normal_iteratorINS9_10device_ptrIsEEEESE_SE_sNS9_4plusIsEE19head_flag_predicatesEE10hipError_tPvRmT2_T3_T4_T5_mT6_T7_P12ihipStream_tbENKUlT_T0_E_clISt17integral_constantIbLb1EESY_EEDaST_SU_EUlST_E_NS1_11comp_targetILNS1_3genE5ELNS1_11target_archE942ELNS1_3gpuE9ELNS1_3repE0EEENS1_30default_config_static_selectorELNS0_4arch9wavefront6targetE0EEEvT1_.has_indirect_call, 0
	.section	.AMDGPU.csdata,"",@progbits
; Kernel info:
; codeLenInByte = 0
; TotalNumSgprs: 0
; NumVgprs: 0
; ScratchSize: 0
; MemoryBound: 0
; FloatMode: 240
; IeeeMode: 1
; LDSByteSize: 0 bytes/workgroup (compile time only)
; SGPRBlocks: 0
; VGPRBlocks: 0
; NumSGPRsForWavesPerEU: 1
; NumVGPRsForWavesPerEU: 1
; NamedBarCnt: 0
; Occupancy: 16
; WaveLimiterHint : 0
; COMPUTE_PGM_RSRC2:SCRATCH_EN: 0
; COMPUTE_PGM_RSRC2:USER_SGPR: 2
; COMPUTE_PGM_RSRC2:TRAP_HANDLER: 0
; COMPUTE_PGM_RSRC2:TGID_X_EN: 1
; COMPUTE_PGM_RSRC2:TGID_Y_EN: 0
; COMPUTE_PGM_RSRC2:TGID_Z_EN: 0
; COMPUTE_PGM_RSRC2:TIDIG_COMP_CNT: 0
	.section	.text._ZN7rocprim17ROCPRIM_400000_NS6detail17trampoline_kernelINS0_14default_configENS1_27scan_by_key_config_selectorIssEEZZNS1_16scan_by_key_implILNS1_25lookback_scan_determinismE0ELb0ES3_N6thrust23THRUST_200600_302600_NS6detail15normal_iteratorINS9_10device_ptrIsEEEESE_SE_sNS9_4plusIsEE19head_flag_predicatesEE10hipError_tPvRmT2_T3_T4_T5_mT6_T7_P12ihipStream_tbENKUlT_T0_E_clISt17integral_constantIbLb1EESY_EEDaST_SU_EUlST_E_NS1_11comp_targetILNS1_3genE4ELNS1_11target_archE910ELNS1_3gpuE8ELNS1_3repE0EEENS1_30default_config_static_selectorELNS0_4arch9wavefront6targetE0EEEvT1_,"axG",@progbits,_ZN7rocprim17ROCPRIM_400000_NS6detail17trampoline_kernelINS0_14default_configENS1_27scan_by_key_config_selectorIssEEZZNS1_16scan_by_key_implILNS1_25lookback_scan_determinismE0ELb0ES3_N6thrust23THRUST_200600_302600_NS6detail15normal_iteratorINS9_10device_ptrIsEEEESE_SE_sNS9_4plusIsEE19head_flag_predicatesEE10hipError_tPvRmT2_T3_T4_T5_mT6_T7_P12ihipStream_tbENKUlT_T0_E_clISt17integral_constantIbLb1EESY_EEDaST_SU_EUlST_E_NS1_11comp_targetILNS1_3genE4ELNS1_11target_archE910ELNS1_3gpuE8ELNS1_3repE0EEENS1_30default_config_static_selectorELNS0_4arch9wavefront6targetE0EEEvT1_,comdat
	.protected	_ZN7rocprim17ROCPRIM_400000_NS6detail17trampoline_kernelINS0_14default_configENS1_27scan_by_key_config_selectorIssEEZZNS1_16scan_by_key_implILNS1_25lookback_scan_determinismE0ELb0ES3_N6thrust23THRUST_200600_302600_NS6detail15normal_iteratorINS9_10device_ptrIsEEEESE_SE_sNS9_4plusIsEE19head_flag_predicatesEE10hipError_tPvRmT2_T3_T4_T5_mT6_T7_P12ihipStream_tbENKUlT_T0_E_clISt17integral_constantIbLb1EESY_EEDaST_SU_EUlST_E_NS1_11comp_targetILNS1_3genE4ELNS1_11target_archE910ELNS1_3gpuE8ELNS1_3repE0EEENS1_30default_config_static_selectorELNS0_4arch9wavefront6targetE0EEEvT1_ ; -- Begin function _ZN7rocprim17ROCPRIM_400000_NS6detail17trampoline_kernelINS0_14default_configENS1_27scan_by_key_config_selectorIssEEZZNS1_16scan_by_key_implILNS1_25lookback_scan_determinismE0ELb0ES3_N6thrust23THRUST_200600_302600_NS6detail15normal_iteratorINS9_10device_ptrIsEEEESE_SE_sNS9_4plusIsEE19head_flag_predicatesEE10hipError_tPvRmT2_T3_T4_T5_mT6_T7_P12ihipStream_tbENKUlT_T0_E_clISt17integral_constantIbLb1EESY_EEDaST_SU_EUlST_E_NS1_11comp_targetILNS1_3genE4ELNS1_11target_archE910ELNS1_3gpuE8ELNS1_3repE0EEENS1_30default_config_static_selectorELNS0_4arch9wavefront6targetE0EEEvT1_
	.globl	_ZN7rocprim17ROCPRIM_400000_NS6detail17trampoline_kernelINS0_14default_configENS1_27scan_by_key_config_selectorIssEEZZNS1_16scan_by_key_implILNS1_25lookback_scan_determinismE0ELb0ES3_N6thrust23THRUST_200600_302600_NS6detail15normal_iteratorINS9_10device_ptrIsEEEESE_SE_sNS9_4plusIsEE19head_flag_predicatesEE10hipError_tPvRmT2_T3_T4_T5_mT6_T7_P12ihipStream_tbENKUlT_T0_E_clISt17integral_constantIbLb1EESY_EEDaST_SU_EUlST_E_NS1_11comp_targetILNS1_3genE4ELNS1_11target_archE910ELNS1_3gpuE8ELNS1_3repE0EEENS1_30default_config_static_selectorELNS0_4arch9wavefront6targetE0EEEvT1_
	.p2align	8
	.type	_ZN7rocprim17ROCPRIM_400000_NS6detail17trampoline_kernelINS0_14default_configENS1_27scan_by_key_config_selectorIssEEZZNS1_16scan_by_key_implILNS1_25lookback_scan_determinismE0ELb0ES3_N6thrust23THRUST_200600_302600_NS6detail15normal_iteratorINS9_10device_ptrIsEEEESE_SE_sNS9_4plusIsEE19head_flag_predicatesEE10hipError_tPvRmT2_T3_T4_T5_mT6_T7_P12ihipStream_tbENKUlT_T0_E_clISt17integral_constantIbLb1EESY_EEDaST_SU_EUlST_E_NS1_11comp_targetILNS1_3genE4ELNS1_11target_archE910ELNS1_3gpuE8ELNS1_3repE0EEENS1_30default_config_static_selectorELNS0_4arch9wavefront6targetE0EEEvT1_,@function
_ZN7rocprim17ROCPRIM_400000_NS6detail17trampoline_kernelINS0_14default_configENS1_27scan_by_key_config_selectorIssEEZZNS1_16scan_by_key_implILNS1_25lookback_scan_determinismE0ELb0ES3_N6thrust23THRUST_200600_302600_NS6detail15normal_iteratorINS9_10device_ptrIsEEEESE_SE_sNS9_4plusIsEE19head_flag_predicatesEE10hipError_tPvRmT2_T3_T4_T5_mT6_T7_P12ihipStream_tbENKUlT_T0_E_clISt17integral_constantIbLb1EESY_EEDaST_SU_EUlST_E_NS1_11comp_targetILNS1_3genE4ELNS1_11target_archE910ELNS1_3gpuE8ELNS1_3repE0EEENS1_30default_config_static_selectorELNS0_4arch9wavefront6targetE0EEEvT1_: ; @_ZN7rocprim17ROCPRIM_400000_NS6detail17trampoline_kernelINS0_14default_configENS1_27scan_by_key_config_selectorIssEEZZNS1_16scan_by_key_implILNS1_25lookback_scan_determinismE0ELb0ES3_N6thrust23THRUST_200600_302600_NS6detail15normal_iteratorINS9_10device_ptrIsEEEESE_SE_sNS9_4plusIsEE19head_flag_predicatesEE10hipError_tPvRmT2_T3_T4_T5_mT6_T7_P12ihipStream_tbENKUlT_T0_E_clISt17integral_constantIbLb1EESY_EEDaST_SU_EUlST_E_NS1_11comp_targetILNS1_3genE4ELNS1_11target_archE910ELNS1_3gpuE8ELNS1_3repE0EEENS1_30default_config_static_selectorELNS0_4arch9wavefront6targetE0EEEvT1_
; %bb.0:
	.section	.rodata,"a",@progbits
	.p2align	6, 0x0
	.amdhsa_kernel _ZN7rocprim17ROCPRIM_400000_NS6detail17trampoline_kernelINS0_14default_configENS1_27scan_by_key_config_selectorIssEEZZNS1_16scan_by_key_implILNS1_25lookback_scan_determinismE0ELb0ES3_N6thrust23THRUST_200600_302600_NS6detail15normal_iteratorINS9_10device_ptrIsEEEESE_SE_sNS9_4plusIsEE19head_flag_predicatesEE10hipError_tPvRmT2_T3_T4_T5_mT6_T7_P12ihipStream_tbENKUlT_T0_E_clISt17integral_constantIbLb1EESY_EEDaST_SU_EUlST_E_NS1_11comp_targetILNS1_3genE4ELNS1_11target_archE910ELNS1_3gpuE8ELNS1_3repE0EEENS1_30default_config_static_selectorELNS0_4arch9wavefront6targetE0EEEvT1_
		.amdhsa_group_segment_fixed_size 0
		.amdhsa_private_segment_fixed_size 0
		.amdhsa_kernarg_size 112
		.amdhsa_user_sgpr_count 2
		.amdhsa_user_sgpr_dispatch_ptr 0
		.amdhsa_user_sgpr_queue_ptr 0
		.amdhsa_user_sgpr_kernarg_segment_ptr 1
		.amdhsa_user_sgpr_dispatch_id 0
		.amdhsa_user_sgpr_kernarg_preload_length 0
		.amdhsa_user_sgpr_kernarg_preload_offset 0
		.amdhsa_user_sgpr_private_segment_size 0
		.amdhsa_wavefront_size32 1
		.amdhsa_uses_dynamic_stack 0
		.amdhsa_enable_private_segment 0
		.amdhsa_system_sgpr_workgroup_id_x 1
		.amdhsa_system_sgpr_workgroup_id_y 0
		.amdhsa_system_sgpr_workgroup_id_z 0
		.amdhsa_system_sgpr_workgroup_info 0
		.amdhsa_system_vgpr_workitem_id 0
		.amdhsa_next_free_vgpr 1
		.amdhsa_next_free_sgpr 1
		.amdhsa_named_barrier_count 0
		.amdhsa_reserve_vcc 0
		.amdhsa_float_round_mode_32 0
		.amdhsa_float_round_mode_16_64 0
		.amdhsa_float_denorm_mode_32 3
		.amdhsa_float_denorm_mode_16_64 3
		.amdhsa_fp16_overflow 0
		.amdhsa_memory_ordered 1
		.amdhsa_forward_progress 1
		.amdhsa_inst_pref_size 0
		.amdhsa_round_robin_scheduling 0
		.amdhsa_exception_fp_ieee_invalid_op 0
		.amdhsa_exception_fp_denorm_src 0
		.amdhsa_exception_fp_ieee_div_zero 0
		.amdhsa_exception_fp_ieee_overflow 0
		.amdhsa_exception_fp_ieee_underflow 0
		.amdhsa_exception_fp_ieee_inexact 0
		.amdhsa_exception_int_div_zero 0
	.end_amdhsa_kernel
	.section	.text._ZN7rocprim17ROCPRIM_400000_NS6detail17trampoline_kernelINS0_14default_configENS1_27scan_by_key_config_selectorIssEEZZNS1_16scan_by_key_implILNS1_25lookback_scan_determinismE0ELb0ES3_N6thrust23THRUST_200600_302600_NS6detail15normal_iteratorINS9_10device_ptrIsEEEESE_SE_sNS9_4plusIsEE19head_flag_predicatesEE10hipError_tPvRmT2_T3_T4_T5_mT6_T7_P12ihipStream_tbENKUlT_T0_E_clISt17integral_constantIbLb1EESY_EEDaST_SU_EUlST_E_NS1_11comp_targetILNS1_3genE4ELNS1_11target_archE910ELNS1_3gpuE8ELNS1_3repE0EEENS1_30default_config_static_selectorELNS0_4arch9wavefront6targetE0EEEvT1_,"axG",@progbits,_ZN7rocprim17ROCPRIM_400000_NS6detail17trampoline_kernelINS0_14default_configENS1_27scan_by_key_config_selectorIssEEZZNS1_16scan_by_key_implILNS1_25lookback_scan_determinismE0ELb0ES3_N6thrust23THRUST_200600_302600_NS6detail15normal_iteratorINS9_10device_ptrIsEEEESE_SE_sNS9_4plusIsEE19head_flag_predicatesEE10hipError_tPvRmT2_T3_T4_T5_mT6_T7_P12ihipStream_tbENKUlT_T0_E_clISt17integral_constantIbLb1EESY_EEDaST_SU_EUlST_E_NS1_11comp_targetILNS1_3genE4ELNS1_11target_archE910ELNS1_3gpuE8ELNS1_3repE0EEENS1_30default_config_static_selectorELNS0_4arch9wavefront6targetE0EEEvT1_,comdat
.Lfunc_end833:
	.size	_ZN7rocprim17ROCPRIM_400000_NS6detail17trampoline_kernelINS0_14default_configENS1_27scan_by_key_config_selectorIssEEZZNS1_16scan_by_key_implILNS1_25lookback_scan_determinismE0ELb0ES3_N6thrust23THRUST_200600_302600_NS6detail15normal_iteratorINS9_10device_ptrIsEEEESE_SE_sNS9_4plusIsEE19head_flag_predicatesEE10hipError_tPvRmT2_T3_T4_T5_mT6_T7_P12ihipStream_tbENKUlT_T0_E_clISt17integral_constantIbLb1EESY_EEDaST_SU_EUlST_E_NS1_11comp_targetILNS1_3genE4ELNS1_11target_archE910ELNS1_3gpuE8ELNS1_3repE0EEENS1_30default_config_static_selectorELNS0_4arch9wavefront6targetE0EEEvT1_, .Lfunc_end833-_ZN7rocprim17ROCPRIM_400000_NS6detail17trampoline_kernelINS0_14default_configENS1_27scan_by_key_config_selectorIssEEZZNS1_16scan_by_key_implILNS1_25lookback_scan_determinismE0ELb0ES3_N6thrust23THRUST_200600_302600_NS6detail15normal_iteratorINS9_10device_ptrIsEEEESE_SE_sNS9_4plusIsEE19head_flag_predicatesEE10hipError_tPvRmT2_T3_T4_T5_mT6_T7_P12ihipStream_tbENKUlT_T0_E_clISt17integral_constantIbLb1EESY_EEDaST_SU_EUlST_E_NS1_11comp_targetILNS1_3genE4ELNS1_11target_archE910ELNS1_3gpuE8ELNS1_3repE0EEENS1_30default_config_static_selectorELNS0_4arch9wavefront6targetE0EEEvT1_
                                        ; -- End function
	.set _ZN7rocprim17ROCPRIM_400000_NS6detail17trampoline_kernelINS0_14default_configENS1_27scan_by_key_config_selectorIssEEZZNS1_16scan_by_key_implILNS1_25lookback_scan_determinismE0ELb0ES3_N6thrust23THRUST_200600_302600_NS6detail15normal_iteratorINS9_10device_ptrIsEEEESE_SE_sNS9_4plusIsEE19head_flag_predicatesEE10hipError_tPvRmT2_T3_T4_T5_mT6_T7_P12ihipStream_tbENKUlT_T0_E_clISt17integral_constantIbLb1EESY_EEDaST_SU_EUlST_E_NS1_11comp_targetILNS1_3genE4ELNS1_11target_archE910ELNS1_3gpuE8ELNS1_3repE0EEENS1_30default_config_static_selectorELNS0_4arch9wavefront6targetE0EEEvT1_.num_vgpr, 0
	.set _ZN7rocprim17ROCPRIM_400000_NS6detail17trampoline_kernelINS0_14default_configENS1_27scan_by_key_config_selectorIssEEZZNS1_16scan_by_key_implILNS1_25lookback_scan_determinismE0ELb0ES3_N6thrust23THRUST_200600_302600_NS6detail15normal_iteratorINS9_10device_ptrIsEEEESE_SE_sNS9_4plusIsEE19head_flag_predicatesEE10hipError_tPvRmT2_T3_T4_T5_mT6_T7_P12ihipStream_tbENKUlT_T0_E_clISt17integral_constantIbLb1EESY_EEDaST_SU_EUlST_E_NS1_11comp_targetILNS1_3genE4ELNS1_11target_archE910ELNS1_3gpuE8ELNS1_3repE0EEENS1_30default_config_static_selectorELNS0_4arch9wavefront6targetE0EEEvT1_.num_agpr, 0
	.set _ZN7rocprim17ROCPRIM_400000_NS6detail17trampoline_kernelINS0_14default_configENS1_27scan_by_key_config_selectorIssEEZZNS1_16scan_by_key_implILNS1_25lookback_scan_determinismE0ELb0ES3_N6thrust23THRUST_200600_302600_NS6detail15normal_iteratorINS9_10device_ptrIsEEEESE_SE_sNS9_4plusIsEE19head_flag_predicatesEE10hipError_tPvRmT2_T3_T4_T5_mT6_T7_P12ihipStream_tbENKUlT_T0_E_clISt17integral_constantIbLb1EESY_EEDaST_SU_EUlST_E_NS1_11comp_targetILNS1_3genE4ELNS1_11target_archE910ELNS1_3gpuE8ELNS1_3repE0EEENS1_30default_config_static_selectorELNS0_4arch9wavefront6targetE0EEEvT1_.numbered_sgpr, 0
	.set _ZN7rocprim17ROCPRIM_400000_NS6detail17trampoline_kernelINS0_14default_configENS1_27scan_by_key_config_selectorIssEEZZNS1_16scan_by_key_implILNS1_25lookback_scan_determinismE0ELb0ES3_N6thrust23THRUST_200600_302600_NS6detail15normal_iteratorINS9_10device_ptrIsEEEESE_SE_sNS9_4plusIsEE19head_flag_predicatesEE10hipError_tPvRmT2_T3_T4_T5_mT6_T7_P12ihipStream_tbENKUlT_T0_E_clISt17integral_constantIbLb1EESY_EEDaST_SU_EUlST_E_NS1_11comp_targetILNS1_3genE4ELNS1_11target_archE910ELNS1_3gpuE8ELNS1_3repE0EEENS1_30default_config_static_selectorELNS0_4arch9wavefront6targetE0EEEvT1_.num_named_barrier, 0
	.set _ZN7rocprim17ROCPRIM_400000_NS6detail17trampoline_kernelINS0_14default_configENS1_27scan_by_key_config_selectorIssEEZZNS1_16scan_by_key_implILNS1_25lookback_scan_determinismE0ELb0ES3_N6thrust23THRUST_200600_302600_NS6detail15normal_iteratorINS9_10device_ptrIsEEEESE_SE_sNS9_4plusIsEE19head_flag_predicatesEE10hipError_tPvRmT2_T3_T4_T5_mT6_T7_P12ihipStream_tbENKUlT_T0_E_clISt17integral_constantIbLb1EESY_EEDaST_SU_EUlST_E_NS1_11comp_targetILNS1_3genE4ELNS1_11target_archE910ELNS1_3gpuE8ELNS1_3repE0EEENS1_30default_config_static_selectorELNS0_4arch9wavefront6targetE0EEEvT1_.private_seg_size, 0
	.set _ZN7rocprim17ROCPRIM_400000_NS6detail17trampoline_kernelINS0_14default_configENS1_27scan_by_key_config_selectorIssEEZZNS1_16scan_by_key_implILNS1_25lookback_scan_determinismE0ELb0ES3_N6thrust23THRUST_200600_302600_NS6detail15normal_iteratorINS9_10device_ptrIsEEEESE_SE_sNS9_4plusIsEE19head_flag_predicatesEE10hipError_tPvRmT2_T3_T4_T5_mT6_T7_P12ihipStream_tbENKUlT_T0_E_clISt17integral_constantIbLb1EESY_EEDaST_SU_EUlST_E_NS1_11comp_targetILNS1_3genE4ELNS1_11target_archE910ELNS1_3gpuE8ELNS1_3repE0EEENS1_30default_config_static_selectorELNS0_4arch9wavefront6targetE0EEEvT1_.uses_vcc, 0
	.set _ZN7rocprim17ROCPRIM_400000_NS6detail17trampoline_kernelINS0_14default_configENS1_27scan_by_key_config_selectorIssEEZZNS1_16scan_by_key_implILNS1_25lookback_scan_determinismE0ELb0ES3_N6thrust23THRUST_200600_302600_NS6detail15normal_iteratorINS9_10device_ptrIsEEEESE_SE_sNS9_4plusIsEE19head_flag_predicatesEE10hipError_tPvRmT2_T3_T4_T5_mT6_T7_P12ihipStream_tbENKUlT_T0_E_clISt17integral_constantIbLb1EESY_EEDaST_SU_EUlST_E_NS1_11comp_targetILNS1_3genE4ELNS1_11target_archE910ELNS1_3gpuE8ELNS1_3repE0EEENS1_30default_config_static_selectorELNS0_4arch9wavefront6targetE0EEEvT1_.uses_flat_scratch, 0
	.set _ZN7rocprim17ROCPRIM_400000_NS6detail17trampoline_kernelINS0_14default_configENS1_27scan_by_key_config_selectorIssEEZZNS1_16scan_by_key_implILNS1_25lookback_scan_determinismE0ELb0ES3_N6thrust23THRUST_200600_302600_NS6detail15normal_iteratorINS9_10device_ptrIsEEEESE_SE_sNS9_4plusIsEE19head_flag_predicatesEE10hipError_tPvRmT2_T3_T4_T5_mT6_T7_P12ihipStream_tbENKUlT_T0_E_clISt17integral_constantIbLb1EESY_EEDaST_SU_EUlST_E_NS1_11comp_targetILNS1_3genE4ELNS1_11target_archE910ELNS1_3gpuE8ELNS1_3repE0EEENS1_30default_config_static_selectorELNS0_4arch9wavefront6targetE0EEEvT1_.has_dyn_sized_stack, 0
	.set _ZN7rocprim17ROCPRIM_400000_NS6detail17trampoline_kernelINS0_14default_configENS1_27scan_by_key_config_selectorIssEEZZNS1_16scan_by_key_implILNS1_25lookback_scan_determinismE0ELb0ES3_N6thrust23THRUST_200600_302600_NS6detail15normal_iteratorINS9_10device_ptrIsEEEESE_SE_sNS9_4plusIsEE19head_flag_predicatesEE10hipError_tPvRmT2_T3_T4_T5_mT6_T7_P12ihipStream_tbENKUlT_T0_E_clISt17integral_constantIbLb1EESY_EEDaST_SU_EUlST_E_NS1_11comp_targetILNS1_3genE4ELNS1_11target_archE910ELNS1_3gpuE8ELNS1_3repE0EEENS1_30default_config_static_selectorELNS0_4arch9wavefront6targetE0EEEvT1_.has_recursion, 0
	.set _ZN7rocprim17ROCPRIM_400000_NS6detail17trampoline_kernelINS0_14default_configENS1_27scan_by_key_config_selectorIssEEZZNS1_16scan_by_key_implILNS1_25lookback_scan_determinismE0ELb0ES3_N6thrust23THRUST_200600_302600_NS6detail15normal_iteratorINS9_10device_ptrIsEEEESE_SE_sNS9_4plusIsEE19head_flag_predicatesEE10hipError_tPvRmT2_T3_T4_T5_mT6_T7_P12ihipStream_tbENKUlT_T0_E_clISt17integral_constantIbLb1EESY_EEDaST_SU_EUlST_E_NS1_11comp_targetILNS1_3genE4ELNS1_11target_archE910ELNS1_3gpuE8ELNS1_3repE0EEENS1_30default_config_static_selectorELNS0_4arch9wavefront6targetE0EEEvT1_.has_indirect_call, 0
	.section	.AMDGPU.csdata,"",@progbits
; Kernel info:
; codeLenInByte = 0
; TotalNumSgprs: 0
; NumVgprs: 0
; ScratchSize: 0
; MemoryBound: 0
; FloatMode: 240
; IeeeMode: 1
; LDSByteSize: 0 bytes/workgroup (compile time only)
; SGPRBlocks: 0
; VGPRBlocks: 0
; NumSGPRsForWavesPerEU: 1
; NumVGPRsForWavesPerEU: 1
; NamedBarCnt: 0
; Occupancy: 16
; WaveLimiterHint : 0
; COMPUTE_PGM_RSRC2:SCRATCH_EN: 0
; COMPUTE_PGM_RSRC2:USER_SGPR: 2
; COMPUTE_PGM_RSRC2:TRAP_HANDLER: 0
; COMPUTE_PGM_RSRC2:TGID_X_EN: 1
; COMPUTE_PGM_RSRC2:TGID_Y_EN: 0
; COMPUTE_PGM_RSRC2:TGID_Z_EN: 0
; COMPUTE_PGM_RSRC2:TIDIG_COMP_CNT: 0
	.section	.text._ZN7rocprim17ROCPRIM_400000_NS6detail17trampoline_kernelINS0_14default_configENS1_27scan_by_key_config_selectorIssEEZZNS1_16scan_by_key_implILNS1_25lookback_scan_determinismE0ELb0ES3_N6thrust23THRUST_200600_302600_NS6detail15normal_iteratorINS9_10device_ptrIsEEEESE_SE_sNS9_4plusIsEE19head_flag_predicatesEE10hipError_tPvRmT2_T3_T4_T5_mT6_T7_P12ihipStream_tbENKUlT_T0_E_clISt17integral_constantIbLb1EESY_EEDaST_SU_EUlST_E_NS1_11comp_targetILNS1_3genE3ELNS1_11target_archE908ELNS1_3gpuE7ELNS1_3repE0EEENS1_30default_config_static_selectorELNS0_4arch9wavefront6targetE0EEEvT1_,"axG",@progbits,_ZN7rocprim17ROCPRIM_400000_NS6detail17trampoline_kernelINS0_14default_configENS1_27scan_by_key_config_selectorIssEEZZNS1_16scan_by_key_implILNS1_25lookback_scan_determinismE0ELb0ES3_N6thrust23THRUST_200600_302600_NS6detail15normal_iteratorINS9_10device_ptrIsEEEESE_SE_sNS9_4plusIsEE19head_flag_predicatesEE10hipError_tPvRmT2_T3_T4_T5_mT6_T7_P12ihipStream_tbENKUlT_T0_E_clISt17integral_constantIbLb1EESY_EEDaST_SU_EUlST_E_NS1_11comp_targetILNS1_3genE3ELNS1_11target_archE908ELNS1_3gpuE7ELNS1_3repE0EEENS1_30default_config_static_selectorELNS0_4arch9wavefront6targetE0EEEvT1_,comdat
	.protected	_ZN7rocprim17ROCPRIM_400000_NS6detail17trampoline_kernelINS0_14default_configENS1_27scan_by_key_config_selectorIssEEZZNS1_16scan_by_key_implILNS1_25lookback_scan_determinismE0ELb0ES3_N6thrust23THRUST_200600_302600_NS6detail15normal_iteratorINS9_10device_ptrIsEEEESE_SE_sNS9_4plusIsEE19head_flag_predicatesEE10hipError_tPvRmT2_T3_T4_T5_mT6_T7_P12ihipStream_tbENKUlT_T0_E_clISt17integral_constantIbLb1EESY_EEDaST_SU_EUlST_E_NS1_11comp_targetILNS1_3genE3ELNS1_11target_archE908ELNS1_3gpuE7ELNS1_3repE0EEENS1_30default_config_static_selectorELNS0_4arch9wavefront6targetE0EEEvT1_ ; -- Begin function _ZN7rocprim17ROCPRIM_400000_NS6detail17trampoline_kernelINS0_14default_configENS1_27scan_by_key_config_selectorIssEEZZNS1_16scan_by_key_implILNS1_25lookback_scan_determinismE0ELb0ES3_N6thrust23THRUST_200600_302600_NS6detail15normal_iteratorINS9_10device_ptrIsEEEESE_SE_sNS9_4plusIsEE19head_flag_predicatesEE10hipError_tPvRmT2_T3_T4_T5_mT6_T7_P12ihipStream_tbENKUlT_T0_E_clISt17integral_constantIbLb1EESY_EEDaST_SU_EUlST_E_NS1_11comp_targetILNS1_3genE3ELNS1_11target_archE908ELNS1_3gpuE7ELNS1_3repE0EEENS1_30default_config_static_selectorELNS0_4arch9wavefront6targetE0EEEvT1_
	.globl	_ZN7rocprim17ROCPRIM_400000_NS6detail17trampoline_kernelINS0_14default_configENS1_27scan_by_key_config_selectorIssEEZZNS1_16scan_by_key_implILNS1_25lookback_scan_determinismE0ELb0ES3_N6thrust23THRUST_200600_302600_NS6detail15normal_iteratorINS9_10device_ptrIsEEEESE_SE_sNS9_4plusIsEE19head_flag_predicatesEE10hipError_tPvRmT2_T3_T4_T5_mT6_T7_P12ihipStream_tbENKUlT_T0_E_clISt17integral_constantIbLb1EESY_EEDaST_SU_EUlST_E_NS1_11comp_targetILNS1_3genE3ELNS1_11target_archE908ELNS1_3gpuE7ELNS1_3repE0EEENS1_30default_config_static_selectorELNS0_4arch9wavefront6targetE0EEEvT1_
	.p2align	8
	.type	_ZN7rocprim17ROCPRIM_400000_NS6detail17trampoline_kernelINS0_14default_configENS1_27scan_by_key_config_selectorIssEEZZNS1_16scan_by_key_implILNS1_25lookback_scan_determinismE0ELb0ES3_N6thrust23THRUST_200600_302600_NS6detail15normal_iteratorINS9_10device_ptrIsEEEESE_SE_sNS9_4plusIsEE19head_flag_predicatesEE10hipError_tPvRmT2_T3_T4_T5_mT6_T7_P12ihipStream_tbENKUlT_T0_E_clISt17integral_constantIbLb1EESY_EEDaST_SU_EUlST_E_NS1_11comp_targetILNS1_3genE3ELNS1_11target_archE908ELNS1_3gpuE7ELNS1_3repE0EEENS1_30default_config_static_selectorELNS0_4arch9wavefront6targetE0EEEvT1_,@function
_ZN7rocprim17ROCPRIM_400000_NS6detail17trampoline_kernelINS0_14default_configENS1_27scan_by_key_config_selectorIssEEZZNS1_16scan_by_key_implILNS1_25lookback_scan_determinismE0ELb0ES3_N6thrust23THRUST_200600_302600_NS6detail15normal_iteratorINS9_10device_ptrIsEEEESE_SE_sNS9_4plusIsEE19head_flag_predicatesEE10hipError_tPvRmT2_T3_T4_T5_mT6_T7_P12ihipStream_tbENKUlT_T0_E_clISt17integral_constantIbLb1EESY_EEDaST_SU_EUlST_E_NS1_11comp_targetILNS1_3genE3ELNS1_11target_archE908ELNS1_3gpuE7ELNS1_3repE0EEENS1_30default_config_static_selectorELNS0_4arch9wavefront6targetE0EEEvT1_: ; @_ZN7rocprim17ROCPRIM_400000_NS6detail17trampoline_kernelINS0_14default_configENS1_27scan_by_key_config_selectorIssEEZZNS1_16scan_by_key_implILNS1_25lookback_scan_determinismE0ELb0ES3_N6thrust23THRUST_200600_302600_NS6detail15normal_iteratorINS9_10device_ptrIsEEEESE_SE_sNS9_4plusIsEE19head_flag_predicatesEE10hipError_tPvRmT2_T3_T4_T5_mT6_T7_P12ihipStream_tbENKUlT_T0_E_clISt17integral_constantIbLb1EESY_EEDaST_SU_EUlST_E_NS1_11comp_targetILNS1_3genE3ELNS1_11target_archE908ELNS1_3gpuE7ELNS1_3repE0EEENS1_30default_config_static_selectorELNS0_4arch9wavefront6targetE0EEEvT1_
; %bb.0:
	.section	.rodata,"a",@progbits
	.p2align	6, 0x0
	.amdhsa_kernel _ZN7rocprim17ROCPRIM_400000_NS6detail17trampoline_kernelINS0_14default_configENS1_27scan_by_key_config_selectorIssEEZZNS1_16scan_by_key_implILNS1_25lookback_scan_determinismE0ELb0ES3_N6thrust23THRUST_200600_302600_NS6detail15normal_iteratorINS9_10device_ptrIsEEEESE_SE_sNS9_4plusIsEE19head_flag_predicatesEE10hipError_tPvRmT2_T3_T4_T5_mT6_T7_P12ihipStream_tbENKUlT_T0_E_clISt17integral_constantIbLb1EESY_EEDaST_SU_EUlST_E_NS1_11comp_targetILNS1_3genE3ELNS1_11target_archE908ELNS1_3gpuE7ELNS1_3repE0EEENS1_30default_config_static_selectorELNS0_4arch9wavefront6targetE0EEEvT1_
		.amdhsa_group_segment_fixed_size 0
		.amdhsa_private_segment_fixed_size 0
		.amdhsa_kernarg_size 112
		.amdhsa_user_sgpr_count 2
		.amdhsa_user_sgpr_dispatch_ptr 0
		.amdhsa_user_sgpr_queue_ptr 0
		.amdhsa_user_sgpr_kernarg_segment_ptr 1
		.amdhsa_user_sgpr_dispatch_id 0
		.amdhsa_user_sgpr_kernarg_preload_length 0
		.amdhsa_user_sgpr_kernarg_preload_offset 0
		.amdhsa_user_sgpr_private_segment_size 0
		.amdhsa_wavefront_size32 1
		.amdhsa_uses_dynamic_stack 0
		.amdhsa_enable_private_segment 0
		.amdhsa_system_sgpr_workgroup_id_x 1
		.amdhsa_system_sgpr_workgroup_id_y 0
		.amdhsa_system_sgpr_workgroup_id_z 0
		.amdhsa_system_sgpr_workgroup_info 0
		.amdhsa_system_vgpr_workitem_id 0
		.amdhsa_next_free_vgpr 1
		.amdhsa_next_free_sgpr 1
		.amdhsa_named_barrier_count 0
		.amdhsa_reserve_vcc 0
		.amdhsa_float_round_mode_32 0
		.amdhsa_float_round_mode_16_64 0
		.amdhsa_float_denorm_mode_32 3
		.amdhsa_float_denorm_mode_16_64 3
		.amdhsa_fp16_overflow 0
		.amdhsa_memory_ordered 1
		.amdhsa_forward_progress 1
		.amdhsa_inst_pref_size 0
		.amdhsa_round_robin_scheduling 0
		.amdhsa_exception_fp_ieee_invalid_op 0
		.amdhsa_exception_fp_denorm_src 0
		.amdhsa_exception_fp_ieee_div_zero 0
		.amdhsa_exception_fp_ieee_overflow 0
		.amdhsa_exception_fp_ieee_underflow 0
		.amdhsa_exception_fp_ieee_inexact 0
		.amdhsa_exception_int_div_zero 0
	.end_amdhsa_kernel
	.section	.text._ZN7rocprim17ROCPRIM_400000_NS6detail17trampoline_kernelINS0_14default_configENS1_27scan_by_key_config_selectorIssEEZZNS1_16scan_by_key_implILNS1_25lookback_scan_determinismE0ELb0ES3_N6thrust23THRUST_200600_302600_NS6detail15normal_iteratorINS9_10device_ptrIsEEEESE_SE_sNS9_4plusIsEE19head_flag_predicatesEE10hipError_tPvRmT2_T3_T4_T5_mT6_T7_P12ihipStream_tbENKUlT_T0_E_clISt17integral_constantIbLb1EESY_EEDaST_SU_EUlST_E_NS1_11comp_targetILNS1_3genE3ELNS1_11target_archE908ELNS1_3gpuE7ELNS1_3repE0EEENS1_30default_config_static_selectorELNS0_4arch9wavefront6targetE0EEEvT1_,"axG",@progbits,_ZN7rocprim17ROCPRIM_400000_NS6detail17trampoline_kernelINS0_14default_configENS1_27scan_by_key_config_selectorIssEEZZNS1_16scan_by_key_implILNS1_25lookback_scan_determinismE0ELb0ES3_N6thrust23THRUST_200600_302600_NS6detail15normal_iteratorINS9_10device_ptrIsEEEESE_SE_sNS9_4plusIsEE19head_flag_predicatesEE10hipError_tPvRmT2_T3_T4_T5_mT6_T7_P12ihipStream_tbENKUlT_T0_E_clISt17integral_constantIbLb1EESY_EEDaST_SU_EUlST_E_NS1_11comp_targetILNS1_3genE3ELNS1_11target_archE908ELNS1_3gpuE7ELNS1_3repE0EEENS1_30default_config_static_selectorELNS0_4arch9wavefront6targetE0EEEvT1_,comdat
.Lfunc_end834:
	.size	_ZN7rocprim17ROCPRIM_400000_NS6detail17trampoline_kernelINS0_14default_configENS1_27scan_by_key_config_selectorIssEEZZNS1_16scan_by_key_implILNS1_25lookback_scan_determinismE0ELb0ES3_N6thrust23THRUST_200600_302600_NS6detail15normal_iteratorINS9_10device_ptrIsEEEESE_SE_sNS9_4plusIsEE19head_flag_predicatesEE10hipError_tPvRmT2_T3_T4_T5_mT6_T7_P12ihipStream_tbENKUlT_T0_E_clISt17integral_constantIbLb1EESY_EEDaST_SU_EUlST_E_NS1_11comp_targetILNS1_3genE3ELNS1_11target_archE908ELNS1_3gpuE7ELNS1_3repE0EEENS1_30default_config_static_selectorELNS0_4arch9wavefront6targetE0EEEvT1_, .Lfunc_end834-_ZN7rocprim17ROCPRIM_400000_NS6detail17trampoline_kernelINS0_14default_configENS1_27scan_by_key_config_selectorIssEEZZNS1_16scan_by_key_implILNS1_25lookback_scan_determinismE0ELb0ES3_N6thrust23THRUST_200600_302600_NS6detail15normal_iteratorINS9_10device_ptrIsEEEESE_SE_sNS9_4plusIsEE19head_flag_predicatesEE10hipError_tPvRmT2_T3_T4_T5_mT6_T7_P12ihipStream_tbENKUlT_T0_E_clISt17integral_constantIbLb1EESY_EEDaST_SU_EUlST_E_NS1_11comp_targetILNS1_3genE3ELNS1_11target_archE908ELNS1_3gpuE7ELNS1_3repE0EEENS1_30default_config_static_selectorELNS0_4arch9wavefront6targetE0EEEvT1_
                                        ; -- End function
	.set _ZN7rocprim17ROCPRIM_400000_NS6detail17trampoline_kernelINS0_14default_configENS1_27scan_by_key_config_selectorIssEEZZNS1_16scan_by_key_implILNS1_25lookback_scan_determinismE0ELb0ES3_N6thrust23THRUST_200600_302600_NS6detail15normal_iteratorINS9_10device_ptrIsEEEESE_SE_sNS9_4plusIsEE19head_flag_predicatesEE10hipError_tPvRmT2_T3_T4_T5_mT6_T7_P12ihipStream_tbENKUlT_T0_E_clISt17integral_constantIbLb1EESY_EEDaST_SU_EUlST_E_NS1_11comp_targetILNS1_3genE3ELNS1_11target_archE908ELNS1_3gpuE7ELNS1_3repE0EEENS1_30default_config_static_selectorELNS0_4arch9wavefront6targetE0EEEvT1_.num_vgpr, 0
	.set _ZN7rocprim17ROCPRIM_400000_NS6detail17trampoline_kernelINS0_14default_configENS1_27scan_by_key_config_selectorIssEEZZNS1_16scan_by_key_implILNS1_25lookback_scan_determinismE0ELb0ES3_N6thrust23THRUST_200600_302600_NS6detail15normal_iteratorINS9_10device_ptrIsEEEESE_SE_sNS9_4plusIsEE19head_flag_predicatesEE10hipError_tPvRmT2_T3_T4_T5_mT6_T7_P12ihipStream_tbENKUlT_T0_E_clISt17integral_constantIbLb1EESY_EEDaST_SU_EUlST_E_NS1_11comp_targetILNS1_3genE3ELNS1_11target_archE908ELNS1_3gpuE7ELNS1_3repE0EEENS1_30default_config_static_selectorELNS0_4arch9wavefront6targetE0EEEvT1_.num_agpr, 0
	.set _ZN7rocprim17ROCPRIM_400000_NS6detail17trampoline_kernelINS0_14default_configENS1_27scan_by_key_config_selectorIssEEZZNS1_16scan_by_key_implILNS1_25lookback_scan_determinismE0ELb0ES3_N6thrust23THRUST_200600_302600_NS6detail15normal_iteratorINS9_10device_ptrIsEEEESE_SE_sNS9_4plusIsEE19head_flag_predicatesEE10hipError_tPvRmT2_T3_T4_T5_mT6_T7_P12ihipStream_tbENKUlT_T0_E_clISt17integral_constantIbLb1EESY_EEDaST_SU_EUlST_E_NS1_11comp_targetILNS1_3genE3ELNS1_11target_archE908ELNS1_3gpuE7ELNS1_3repE0EEENS1_30default_config_static_selectorELNS0_4arch9wavefront6targetE0EEEvT1_.numbered_sgpr, 0
	.set _ZN7rocprim17ROCPRIM_400000_NS6detail17trampoline_kernelINS0_14default_configENS1_27scan_by_key_config_selectorIssEEZZNS1_16scan_by_key_implILNS1_25lookback_scan_determinismE0ELb0ES3_N6thrust23THRUST_200600_302600_NS6detail15normal_iteratorINS9_10device_ptrIsEEEESE_SE_sNS9_4plusIsEE19head_flag_predicatesEE10hipError_tPvRmT2_T3_T4_T5_mT6_T7_P12ihipStream_tbENKUlT_T0_E_clISt17integral_constantIbLb1EESY_EEDaST_SU_EUlST_E_NS1_11comp_targetILNS1_3genE3ELNS1_11target_archE908ELNS1_3gpuE7ELNS1_3repE0EEENS1_30default_config_static_selectorELNS0_4arch9wavefront6targetE0EEEvT1_.num_named_barrier, 0
	.set _ZN7rocprim17ROCPRIM_400000_NS6detail17trampoline_kernelINS0_14default_configENS1_27scan_by_key_config_selectorIssEEZZNS1_16scan_by_key_implILNS1_25lookback_scan_determinismE0ELb0ES3_N6thrust23THRUST_200600_302600_NS6detail15normal_iteratorINS9_10device_ptrIsEEEESE_SE_sNS9_4plusIsEE19head_flag_predicatesEE10hipError_tPvRmT2_T3_T4_T5_mT6_T7_P12ihipStream_tbENKUlT_T0_E_clISt17integral_constantIbLb1EESY_EEDaST_SU_EUlST_E_NS1_11comp_targetILNS1_3genE3ELNS1_11target_archE908ELNS1_3gpuE7ELNS1_3repE0EEENS1_30default_config_static_selectorELNS0_4arch9wavefront6targetE0EEEvT1_.private_seg_size, 0
	.set _ZN7rocprim17ROCPRIM_400000_NS6detail17trampoline_kernelINS0_14default_configENS1_27scan_by_key_config_selectorIssEEZZNS1_16scan_by_key_implILNS1_25lookback_scan_determinismE0ELb0ES3_N6thrust23THRUST_200600_302600_NS6detail15normal_iteratorINS9_10device_ptrIsEEEESE_SE_sNS9_4plusIsEE19head_flag_predicatesEE10hipError_tPvRmT2_T3_T4_T5_mT6_T7_P12ihipStream_tbENKUlT_T0_E_clISt17integral_constantIbLb1EESY_EEDaST_SU_EUlST_E_NS1_11comp_targetILNS1_3genE3ELNS1_11target_archE908ELNS1_3gpuE7ELNS1_3repE0EEENS1_30default_config_static_selectorELNS0_4arch9wavefront6targetE0EEEvT1_.uses_vcc, 0
	.set _ZN7rocprim17ROCPRIM_400000_NS6detail17trampoline_kernelINS0_14default_configENS1_27scan_by_key_config_selectorIssEEZZNS1_16scan_by_key_implILNS1_25lookback_scan_determinismE0ELb0ES3_N6thrust23THRUST_200600_302600_NS6detail15normal_iteratorINS9_10device_ptrIsEEEESE_SE_sNS9_4plusIsEE19head_flag_predicatesEE10hipError_tPvRmT2_T3_T4_T5_mT6_T7_P12ihipStream_tbENKUlT_T0_E_clISt17integral_constantIbLb1EESY_EEDaST_SU_EUlST_E_NS1_11comp_targetILNS1_3genE3ELNS1_11target_archE908ELNS1_3gpuE7ELNS1_3repE0EEENS1_30default_config_static_selectorELNS0_4arch9wavefront6targetE0EEEvT1_.uses_flat_scratch, 0
	.set _ZN7rocprim17ROCPRIM_400000_NS6detail17trampoline_kernelINS0_14default_configENS1_27scan_by_key_config_selectorIssEEZZNS1_16scan_by_key_implILNS1_25lookback_scan_determinismE0ELb0ES3_N6thrust23THRUST_200600_302600_NS6detail15normal_iteratorINS9_10device_ptrIsEEEESE_SE_sNS9_4plusIsEE19head_flag_predicatesEE10hipError_tPvRmT2_T3_T4_T5_mT6_T7_P12ihipStream_tbENKUlT_T0_E_clISt17integral_constantIbLb1EESY_EEDaST_SU_EUlST_E_NS1_11comp_targetILNS1_3genE3ELNS1_11target_archE908ELNS1_3gpuE7ELNS1_3repE0EEENS1_30default_config_static_selectorELNS0_4arch9wavefront6targetE0EEEvT1_.has_dyn_sized_stack, 0
	.set _ZN7rocprim17ROCPRIM_400000_NS6detail17trampoline_kernelINS0_14default_configENS1_27scan_by_key_config_selectorIssEEZZNS1_16scan_by_key_implILNS1_25lookback_scan_determinismE0ELb0ES3_N6thrust23THRUST_200600_302600_NS6detail15normal_iteratorINS9_10device_ptrIsEEEESE_SE_sNS9_4plusIsEE19head_flag_predicatesEE10hipError_tPvRmT2_T3_T4_T5_mT6_T7_P12ihipStream_tbENKUlT_T0_E_clISt17integral_constantIbLb1EESY_EEDaST_SU_EUlST_E_NS1_11comp_targetILNS1_3genE3ELNS1_11target_archE908ELNS1_3gpuE7ELNS1_3repE0EEENS1_30default_config_static_selectorELNS0_4arch9wavefront6targetE0EEEvT1_.has_recursion, 0
	.set _ZN7rocprim17ROCPRIM_400000_NS6detail17trampoline_kernelINS0_14default_configENS1_27scan_by_key_config_selectorIssEEZZNS1_16scan_by_key_implILNS1_25lookback_scan_determinismE0ELb0ES3_N6thrust23THRUST_200600_302600_NS6detail15normal_iteratorINS9_10device_ptrIsEEEESE_SE_sNS9_4plusIsEE19head_flag_predicatesEE10hipError_tPvRmT2_T3_T4_T5_mT6_T7_P12ihipStream_tbENKUlT_T0_E_clISt17integral_constantIbLb1EESY_EEDaST_SU_EUlST_E_NS1_11comp_targetILNS1_3genE3ELNS1_11target_archE908ELNS1_3gpuE7ELNS1_3repE0EEENS1_30default_config_static_selectorELNS0_4arch9wavefront6targetE0EEEvT1_.has_indirect_call, 0
	.section	.AMDGPU.csdata,"",@progbits
; Kernel info:
; codeLenInByte = 0
; TotalNumSgprs: 0
; NumVgprs: 0
; ScratchSize: 0
; MemoryBound: 0
; FloatMode: 240
; IeeeMode: 1
; LDSByteSize: 0 bytes/workgroup (compile time only)
; SGPRBlocks: 0
; VGPRBlocks: 0
; NumSGPRsForWavesPerEU: 1
; NumVGPRsForWavesPerEU: 1
; NamedBarCnt: 0
; Occupancy: 16
; WaveLimiterHint : 0
; COMPUTE_PGM_RSRC2:SCRATCH_EN: 0
; COMPUTE_PGM_RSRC2:USER_SGPR: 2
; COMPUTE_PGM_RSRC2:TRAP_HANDLER: 0
; COMPUTE_PGM_RSRC2:TGID_X_EN: 1
; COMPUTE_PGM_RSRC2:TGID_Y_EN: 0
; COMPUTE_PGM_RSRC2:TGID_Z_EN: 0
; COMPUTE_PGM_RSRC2:TIDIG_COMP_CNT: 0
	.section	.text._ZN7rocprim17ROCPRIM_400000_NS6detail17trampoline_kernelINS0_14default_configENS1_27scan_by_key_config_selectorIssEEZZNS1_16scan_by_key_implILNS1_25lookback_scan_determinismE0ELb0ES3_N6thrust23THRUST_200600_302600_NS6detail15normal_iteratorINS9_10device_ptrIsEEEESE_SE_sNS9_4plusIsEE19head_flag_predicatesEE10hipError_tPvRmT2_T3_T4_T5_mT6_T7_P12ihipStream_tbENKUlT_T0_E_clISt17integral_constantIbLb1EESY_EEDaST_SU_EUlST_E_NS1_11comp_targetILNS1_3genE2ELNS1_11target_archE906ELNS1_3gpuE6ELNS1_3repE0EEENS1_30default_config_static_selectorELNS0_4arch9wavefront6targetE0EEEvT1_,"axG",@progbits,_ZN7rocprim17ROCPRIM_400000_NS6detail17trampoline_kernelINS0_14default_configENS1_27scan_by_key_config_selectorIssEEZZNS1_16scan_by_key_implILNS1_25lookback_scan_determinismE0ELb0ES3_N6thrust23THRUST_200600_302600_NS6detail15normal_iteratorINS9_10device_ptrIsEEEESE_SE_sNS9_4plusIsEE19head_flag_predicatesEE10hipError_tPvRmT2_T3_T4_T5_mT6_T7_P12ihipStream_tbENKUlT_T0_E_clISt17integral_constantIbLb1EESY_EEDaST_SU_EUlST_E_NS1_11comp_targetILNS1_3genE2ELNS1_11target_archE906ELNS1_3gpuE6ELNS1_3repE0EEENS1_30default_config_static_selectorELNS0_4arch9wavefront6targetE0EEEvT1_,comdat
	.protected	_ZN7rocprim17ROCPRIM_400000_NS6detail17trampoline_kernelINS0_14default_configENS1_27scan_by_key_config_selectorIssEEZZNS1_16scan_by_key_implILNS1_25lookback_scan_determinismE0ELb0ES3_N6thrust23THRUST_200600_302600_NS6detail15normal_iteratorINS9_10device_ptrIsEEEESE_SE_sNS9_4plusIsEE19head_flag_predicatesEE10hipError_tPvRmT2_T3_T4_T5_mT6_T7_P12ihipStream_tbENKUlT_T0_E_clISt17integral_constantIbLb1EESY_EEDaST_SU_EUlST_E_NS1_11comp_targetILNS1_3genE2ELNS1_11target_archE906ELNS1_3gpuE6ELNS1_3repE0EEENS1_30default_config_static_selectorELNS0_4arch9wavefront6targetE0EEEvT1_ ; -- Begin function _ZN7rocprim17ROCPRIM_400000_NS6detail17trampoline_kernelINS0_14default_configENS1_27scan_by_key_config_selectorIssEEZZNS1_16scan_by_key_implILNS1_25lookback_scan_determinismE0ELb0ES3_N6thrust23THRUST_200600_302600_NS6detail15normal_iteratorINS9_10device_ptrIsEEEESE_SE_sNS9_4plusIsEE19head_flag_predicatesEE10hipError_tPvRmT2_T3_T4_T5_mT6_T7_P12ihipStream_tbENKUlT_T0_E_clISt17integral_constantIbLb1EESY_EEDaST_SU_EUlST_E_NS1_11comp_targetILNS1_3genE2ELNS1_11target_archE906ELNS1_3gpuE6ELNS1_3repE0EEENS1_30default_config_static_selectorELNS0_4arch9wavefront6targetE0EEEvT1_
	.globl	_ZN7rocprim17ROCPRIM_400000_NS6detail17trampoline_kernelINS0_14default_configENS1_27scan_by_key_config_selectorIssEEZZNS1_16scan_by_key_implILNS1_25lookback_scan_determinismE0ELb0ES3_N6thrust23THRUST_200600_302600_NS6detail15normal_iteratorINS9_10device_ptrIsEEEESE_SE_sNS9_4plusIsEE19head_flag_predicatesEE10hipError_tPvRmT2_T3_T4_T5_mT6_T7_P12ihipStream_tbENKUlT_T0_E_clISt17integral_constantIbLb1EESY_EEDaST_SU_EUlST_E_NS1_11comp_targetILNS1_3genE2ELNS1_11target_archE906ELNS1_3gpuE6ELNS1_3repE0EEENS1_30default_config_static_selectorELNS0_4arch9wavefront6targetE0EEEvT1_
	.p2align	8
	.type	_ZN7rocprim17ROCPRIM_400000_NS6detail17trampoline_kernelINS0_14default_configENS1_27scan_by_key_config_selectorIssEEZZNS1_16scan_by_key_implILNS1_25lookback_scan_determinismE0ELb0ES3_N6thrust23THRUST_200600_302600_NS6detail15normal_iteratorINS9_10device_ptrIsEEEESE_SE_sNS9_4plusIsEE19head_flag_predicatesEE10hipError_tPvRmT2_T3_T4_T5_mT6_T7_P12ihipStream_tbENKUlT_T0_E_clISt17integral_constantIbLb1EESY_EEDaST_SU_EUlST_E_NS1_11comp_targetILNS1_3genE2ELNS1_11target_archE906ELNS1_3gpuE6ELNS1_3repE0EEENS1_30default_config_static_selectorELNS0_4arch9wavefront6targetE0EEEvT1_,@function
_ZN7rocprim17ROCPRIM_400000_NS6detail17trampoline_kernelINS0_14default_configENS1_27scan_by_key_config_selectorIssEEZZNS1_16scan_by_key_implILNS1_25lookback_scan_determinismE0ELb0ES3_N6thrust23THRUST_200600_302600_NS6detail15normal_iteratorINS9_10device_ptrIsEEEESE_SE_sNS9_4plusIsEE19head_flag_predicatesEE10hipError_tPvRmT2_T3_T4_T5_mT6_T7_P12ihipStream_tbENKUlT_T0_E_clISt17integral_constantIbLb1EESY_EEDaST_SU_EUlST_E_NS1_11comp_targetILNS1_3genE2ELNS1_11target_archE906ELNS1_3gpuE6ELNS1_3repE0EEENS1_30default_config_static_selectorELNS0_4arch9wavefront6targetE0EEEvT1_: ; @_ZN7rocprim17ROCPRIM_400000_NS6detail17trampoline_kernelINS0_14default_configENS1_27scan_by_key_config_selectorIssEEZZNS1_16scan_by_key_implILNS1_25lookback_scan_determinismE0ELb0ES3_N6thrust23THRUST_200600_302600_NS6detail15normal_iteratorINS9_10device_ptrIsEEEESE_SE_sNS9_4plusIsEE19head_flag_predicatesEE10hipError_tPvRmT2_T3_T4_T5_mT6_T7_P12ihipStream_tbENKUlT_T0_E_clISt17integral_constantIbLb1EESY_EEDaST_SU_EUlST_E_NS1_11comp_targetILNS1_3genE2ELNS1_11target_archE906ELNS1_3gpuE6ELNS1_3repE0EEENS1_30default_config_static_selectorELNS0_4arch9wavefront6targetE0EEEvT1_
; %bb.0:
	.section	.rodata,"a",@progbits
	.p2align	6, 0x0
	.amdhsa_kernel _ZN7rocprim17ROCPRIM_400000_NS6detail17trampoline_kernelINS0_14default_configENS1_27scan_by_key_config_selectorIssEEZZNS1_16scan_by_key_implILNS1_25lookback_scan_determinismE0ELb0ES3_N6thrust23THRUST_200600_302600_NS6detail15normal_iteratorINS9_10device_ptrIsEEEESE_SE_sNS9_4plusIsEE19head_flag_predicatesEE10hipError_tPvRmT2_T3_T4_T5_mT6_T7_P12ihipStream_tbENKUlT_T0_E_clISt17integral_constantIbLb1EESY_EEDaST_SU_EUlST_E_NS1_11comp_targetILNS1_3genE2ELNS1_11target_archE906ELNS1_3gpuE6ELNS1_3repE0EEENS1_30default_config_static_selectorELNS0_4arch9wavefront6targetE0EEEvT1_
		.amdhsa_group_segment_fixed_size 0
		.amdhsa_private_segment_fixed_size 0
		.amdhsa_kernarg_size 112
		.amdhsa_user_sgpr_count 2
		.amdhsa_user_sgpr_dispatch_ptr 0
		.amdhsa_user_sgpr_queue_ptr 0
		.amdhsa_user_sgpr_kernarg_segment_ptr 1
		.amdhsa_user_sgpr_dispatch_id 0
		.amdhsa_user_sgpr_kernarg_preload_length 0
		.amdhsa_user_sgpr_kernarg_preload_offset 0
		.amdhsa_user_sgpr_private_segment_size 0
		.amdhsa_wavefront_size32 1
		.amdhsa_uses_dynamic_stack 0
		.amdhsa_enable_private_segment 0
		.amdhsa_system_sgpr_workgroup_id_x 1
		.amdhsa_system_sgpr_workgroup_id_y 0
		.amdhsa_system_sgpr_workgroup_id_z 0
		.amdhsa_system_sgpr_workgroup_info 0
		.amdhsa_system_vgpr_workitem_id 0
		.amdhsa_next_free_vgpr 1
		.amdhsa_next_free_sgpr 1
		.amdhsa_named_barrier_count 0
		.amdhsa_reserve_vcc 0
		.amdhsa_float_round_mode_32 0
		.amdhsa_float_round_mode_16_64 0
		.amdhsa_float_denorm_mode_32 3
		.amdhsa_float_denorm_mode_16_64 3
		.amdhsa_fp16_overflow 0
		.amdhsa_memory_ordered 1
		.amdhsa_forward_progress 1
		.amdhsa_inst_pref_size 0
		.amdhsa_round_robin_scheduling 0
		.amdhsa_exception_fp_ieee_invalid_op 0
		.amdhsa_exception_fp_denorm_src 0
		.amdhsa_exception_fp_ieee_div_zero 0
		.amdhsa_exception_fp_ieee_overflow 0
		.amdhsa_exception_fp_ieee_underflow 0
		.amdhsa_exception_fp_ieee_inexact 0
		.amdhsa_exception_int_div_zero 0
	.end_amdhsa_kernel
	.section	.text._ZN7rocprim17ROCPRIM_400000_NS6detail17trampoline_kernelINS0_14default_configENS1_27scan_by_key_config_selectorIssEEZZNS1_16scan_by_key_implILNS1_25lookback_scan_determinismE0ELb0ES3_N6thrust23THRUST_200600_302600_NS6detail15normal_iteratorINS9_10device_ptrIsEEEESE_SE_sNS9_4plusIsEE19head_flag_predicatesEE10hipError_tPvRmT2_T3_T4_T5_mT6_T7_P12ihipStream_tbENKUlT_T0_E_clISt17integral_constantIbLb1EESY_EEDaST_SU_EUlST_E_NS1_11comp_targetILNS1_3genE2ELNS1_11target_archE906ELNS1_3gpuE6ELNS1_3repE0EEENS1_30default_config_static_selectorELNS0_4arch9wavefront6targetE0EEEvT1_,"axG",@progbits,_ZN7rocprim17ROCPRIM_400000_NS6detail17trampoline_kernelINS0_14default_configENS1_27scan_by_key_config_selectorIssEEZZNS1_16scan_by_key_implILNS1_25lookback_scan_determinismE0ELb0ES3_N6thrust23THRUST_200600_302600_NS6detail15normal_iteratorINS9_10device_ptrIsEEEESE_SE_sNS9_4plusIsEE19head_flag_predicatesEE10hipError_tPvRmT2_T3_T4_T5_mT6_T7_P12ihipStream_tbENKUlT_T0_E_clISt17integral_constantIbLb1EESY_EEDaST_SU_EUlST_E_NS1_11comp_targetILNS1_3genE2ELNS1_11target_archE906ELNS1_3gpuE6ELNS1_3repE0EEENS1_30default_config_static_selectorELNS0_4arch9wavefront6targetE0EEEvT1_,comdat
.Lfunc_end835:
	.size	_ZN7rocprim17ROCPRIM_400000_NS6detail17trampoline_kernelINS0_14default_configENS1_27scan_by_key_config_selectorIssEEZZNS1_16scan_by_key_implILNS1_25lookback_scan_determinismE0ELb0ES3_N6thrust23THRUST_200600_302600_NS6detail15normal_iteratorINS9_10device_ptrIsEEEESE_SE_sNS9_4plusIsEE19head_flag_predicatesEE10hipError_tPvRmT2_T3_T4_T5_mT6_T7_P12ihipStream_tbENKUlT_T0_E_clISt17integral_constantIbLb1EESY_EEDaST_SU_EUlST_E_NS1_11comp_targetILNS1_3genE2ELNS1_11target_archE906ELNS1_3gpuE6ELNS1_3repE0EEENS1_30default_config_static_selectorELNS0_4arch9wavefront6targetE0EEEvT1_, .Lfunc_end835-_ZN7rocprim17ROCPRIM_400000_NS6detail17trampoline_kernelINS0_14default_configENS1_27scan_by_key_config_selectorIssEEZZNS1_16scan_by_key_implILNS1_25lookback_scan_determinismE0ELb0ES3_N6thrust23THRUST_200600_302600_NS6detail15normal_iteratorINS9_10device_ptrIsEEEESE_SE_sNS9_4plusIsEE19head_flag_predicatesEE10hipError_tPvRmT2_T3_T4_T5_mT6_T7_P12ihipStream_tbENKUlT_T0_E_clISt17integral_constantIbLb1EESY_EEDaST_SU_EUlST_E_NS1_11comp_targetILNS1_3genE2ELNS1_11target_archE906ELNS1_3gpuE6ELNS1_3repE0EEENS1_30default_config_static_selectorELNS0_4arch9wavefront6targetE0EEEvT1_
                                        ; -- End function
	.set _ZN7rocprim17ROCPRIM_400000_NS6detail17trampoline_kernelINS0_14default_configENS1_27scan_by_key_config_selectorIssEEZZNS1_16scan_by_key_implILNS1_25lookback_scan_determinismE0ELb0ES3_N6thrust23THRUST_200600_302600_NS6detail15normal_iteratorINS9_10device_ptrIsEEEESE_SE_sNS9_4plusIsEE19head_flag_predicatesEE10hipError_tPvRmT2_T3_T4_T5_mT6_T7_P12ihipStream_tbENKUlT_T0_E_clISt17integral_constantIbLb1EESY_EEDaST_SU_EUlST_E_NS1_11comp_targetILNS1_3genE2ELNS1_11target_archE906ELNS1_3gpuE6ELNS1_3repE0EEENS1_30default_config_static_selectorELNS0_4arch9wavefront6targetE0EEEvT1_.num_vgpr, 0
	.set _ZN7rocprim17ROCPRIM_400000_NS6detail17trampoline_kernelINS0_14default_configENS1_27scan_by_key_config_selectorIssEEZZNS1_16scan_by_key_implILNS1_25lookback_scan_determinismE0ELb0ES3_N6thrust23THRUST_200600_302600_NS6detail15normal_iteratorINS9_10device_ptrIsEEEESE_SE_sNS9_4plusIsEE19head_flag_predicatesEE10hipError_tPvRmT2_T3_T4_T5_mT6_T7_P12ihipStream_tbENKUlT_T0_E_clISt17integral_constantIbLb1EESY_EEDaST_SU_EUlST_E_NS1_11comp_targetILNS1_3genE2ELNS1_11target_archE906ELNS1_3gpuE6ELNS1_3repE0EEENS1_30default_config_static_selectorELNS0_4arch9wavefront6targetE0EEEvT1_.num_agpr, 0
	.set _ZN7rocprim17ROCPRIM_400000_NS6detail17trampoline_kernelINS0_14default_configENS1_27scan_by_key_config_selectorIssEEZZNS1_16scan_by_key_implILNS1_25lookback_scan_determinismE0ELb0ES3_N6thrust23THRUST_200600_302600_NS6detail15normal_iteratorINS9_10device_ptrIsEEEESE_SE_sNS9_4plusIsEE19head_flag_predicatesEE10hipError_tPvRmT2_T3_T4_T5_mT6_T7_P12ihipStream_tbENKUlT_T0_E_clISt17integral_constantIbLb1EESY_EEDaST_SU_EUlST_E_NS1_11comp_targetILNS1_3genE2ELNS1_11target_archE906ELNS1_3gpuE6ELNS1_3repE0EEENS1_30default_config_static_selectorELNS0_4arch9wavefront6targetE0EEEvT1_.numbered_sgpr, 0
	.set _ZN7rocprim17ROCPRIM_400000_NS6detail17trampoline_kernelINS0_14default_configENS1_27scan_by_key_config_selectorIssEEZZNS1_16scan_by_key_implILNS1_25lookback_scan_determinismE0ELb0ES3_N6thrust23THRUST_200600_302600_NS6detail15normal_iteratorINS9_10device_ptrIsEEEESE_SE_sNS9_4plusIsEE19head_flag_predicatesEE10hipError_tPvRmT2_T3_T4_T5_mT6_T7_P12ihipStream_tbENKUlT_T0_E_clISt17integral_constantIbLb1EESY_EEDaST_SU_EUlST_E_NS1_11comp_targetILNS1_3genE2ELNS1_11target_archE906ELNS1_3gpuE6ELNS1_3repE0EEENS1_30default_config_static_selectorELNS0_4arch9wavefront6targetE0EEEvT1_.num_named_barrier, 0
	.set _ZN7rocprim17ROCPRIM_400000_NS6detail17trampoline_kernelINS0_14default_configENS1_27scan_by_key_config_selectorIssEEZZNS1_16scan_by_key_implILNS1_25lookback_scan_determinismE0ELb0ES3_N6thrust23THRUST_200600_302600_NS6detail15normal_iteratorINS9_10device_ptrIsEEEESE_SE_sNS9_4plusIsEE19head_flag_predicatesEE10hipError_tPvRmT2_T3_T4_T5_mT6_T7_P12ihipStream_tbENKUlT_T0_E_clISt17integral_constantIbLb1EESY_EEDaST_SU_EUlST_E_NS1_11comp_targetILNS1_3genE2ELNS1_11target_archE906ELNS1_3gpuE6ELNS1_3repE0EEENS1_30default_config_static_selectorELNS0_4arch9wavefront6targetE0EEEvT1_.private_seg_size, 0
	.set _ZN7rocprim17ROCPRIM_400000_NS6detail17trampoline_kernelINS0_14default_configENS1_27scan_by_key_config_selectorIssEEZZNS1_16scan_by_key_implILNS1_25lookback_scan_determinismE0ELb0ES3_N6thrust23THRUST_200600_302600_NS6detail15normal_iteratorINS9_10device_ptrIsEEEESE_SE_sNS9_4plusIsEE19head_flag_predicatesEE10hipError_tPvRmT2_T3_T4_T5_mT6_T7_P12ihipStream_tbENKUlT_T0_E_clISt17integral_constantIbLb1EESY_EEDaST_SU_EUlST_E_NS1_11comp_targetILNS1_3genE2ELNS1_11target_archE906ELNS1_3gpuE6ELNS1_3repE0EEENS1_30default_config_static_selectorELNS0_4arch9wavefront6targetE0EEEvT1_.uses_vcc, 0
	.set _ZN7rocprim17ROCPRIM_400000_NS6detail17trampoline_kernelINS0_14default_configENS1_27scan_by_key_config_selectorIssEEZZNS1_16scan_by_key_implILNS1_25lookback_scan_determinismE0ELb0ES3_N6thrust23THRUST_200600_302600_NS6detail15normal_iteratorINS9_10device_ptrIsEEEESE_SE_sNS9_4plusIsEE19head_flag_predicatesEE10hipError_tPvRmT2_T3_T4_T5_mT6_T7_P12ihipStream_tbENKUlT_T0_E_clISt17integral_constantIbLb1EESY_EEDaST_SU_EUlST_E_NS1_11comp_targetILNS1_3genE2ELNS1_11target_archE906ELNS1_3gpuE6ELNS1_3repE0EEENS1_30default_config_static_selectorELNS0_4arch9wavefront6targetE0EEEvT1_.uses_flat_scratch, 0
	.set _ZN7rocprim17ROCPRIM_400000_NS6detail17trampoline_kernelINS0_14default_configENS1_27scan_by_key_config_selectorIssEEZZNS1_16scan_by_key_implILNS1_25lookback_scan_determinismE0ELb0ES3_N6thrust23THRUST_200600_302600_NS6detail15normal_iteratorINS9_10device_ptrIsEEEESE_SE_sNS9_4plusIsEE19head_flag_predicatesEE10hipError_tPvRmT2_T3_T4_T5_mT6_T7_P12ihipStream_tbENKUlT_T0_E_clISt17integral_constantIbLb1EESY_EEDaST_SU_EUlST_E_NS1_11comp_targetILNS1_3genE2ELNS1_11target_archE906ELNS1_3gpuE6ELNS1_3repE0EEENS1_30default_config_static_selectorELNS0_4arch9wavefront6targetE0EEEvT1_.has_dyn_sized_stack, 0
	.set _ZN7rocprim17ROCPRIM_400000_NS6detail17trampoline_kernelINS0_14default_configENS1_27scan_by_key_config_selectorIssEEZZNS1_16scan_by_key_implILNS1_25lookback_scan_determinismE0ELb0ES3_N6thrust23THRUST_200600_302600_NS6detail15normal_iteratorINS9_10device_ptrIsEEEESE_SE_sNS9_4plusIsEE19head_flag_predicatesEE10hipError_tPvRmT2_T3_T4_T5_mT6_T7_P12ihipStream_tbENKUlT_T0_E_clISt17integral_constantIbLb1EESY_EEDaST_SU_EUlST_E_NS1_11comp_targetILNS1_3genE2ELNS1_11target_archE906ELNS1_3gpuE6ELNS1_3repE0EEENS1_30default_config_static_selectorELNS0_4arch9wavefront6targetE0EEEvT1_.has_recursion, 0
	.set _ZN7rocprim17ROCPRIM_400000_NS6detail17trampoline_kernelINS0_14default_configENS1_27scan_by_key_config_selectorIssEEZZNS1_16scan_by_key_implILNS1_25lookback_scan_determinismE0ELb0ES3_N6thrust23THRUST_200600_302600_NS6detail15normal_iteratorINS9_10device_ptrIsEEEESE_SE_sNS9_4plusIsEE19head_flag_predicatesEE10hipError_tPvRmT2_T3_T4_T5_mT6_T7_P12ihipStream_tbENKUlT_T0_E_clISt17integral_constantIbLb1EESY_EEDaST_SU_EUlST_E_NS1_11comp_targetILNS1_3genE2ELNS1_11target_archE906ELNS1_3gpuE6ELNS1_3repE0EEENS1_30default_config_static_selectorELNS0_4arch9wavefront6targetE0EEEvT1_.has_indirect_call, 0
	.section	.AMDGPU.csdata,"",@progbits
; Kernel info:
; codeLenInByte = 0
; TotalNumSgprs: 0
; NumVgprs: 0
; ScratchSize: 0
; MemoryBound: 0
; FloatMode: 240
; IeeeMode: 1
; LDSByteSize: 0 bytes/workgroup (compile time only)
; SGPRBlocks: 0
; VGPRBlocks: 0
; NumSGPRsForWavesPerEU: 1
; NumVGPRsForWavesPerEU: 1
; NamedBarCnt: 0
; Occupancy: 16
; WaveLimiterHint : 0
; COMPUTE_PGM_RSRC2:SCRATCH_EN: 0
; COMPUTE_PGM_RSRC2:USER_SGPR: 2
; COMPUTE_PGM_RSRC2:TRAP_HANDLER: 0
; COMPUTE_PGM_RSRC2:TGID_X_EN: 1
; COMPUTE_PGM_RSRC2:TGID_Y_EN: 0
; COMPUTE_PGM_RSRC2:TGID_Z_EN: 0
; COMPUTE_PGM_RSRC2:TIDIG_COMP_CNT: 0
	.section	.text._ZN7rocprim17ROCPRIM_400000_NS6detail17trampoline_kernelINS0_14default_configENS1_27scan_by_key_config_selectorIssEEZZNS1_16scan_by_key_implILNS1_25lookback_scan_determinismE0ELb0ES3_N6thrust23THRUST_200600_302600_NS6detail15normal_iteratorINS9_10device_ptrIsEEEESE_SE_sNS9_4plusIsEE19head_flag_predicatesEE10hipError_tPvRmT2_T3_T4_T5_mT6_T7_P12ihipStream_tbENKUlT_T0_E_clISt17integral_constantIbLb1EESY_EEDaST_SU_EUlST_E_NS1_11comp_targetILNS1_3genE10ELNS1_11target_archE1200ELNS1_3gpuE4ELNS1_3repE0EEENS1_30default_config_static_selectorELNS0_4arch9wavefront6targetE0EEEvT1_,"axG",@progbits,_ZN7rocprim17ROCPRIM_400000_NS6detail17trampoline_kernelINS0_14default_configENS1_27scan_by_key_config_selectorIssEEZZNS1_16scan_by_key_implILNS1_25lookback_scan_determinismE0ELb0ES3_N6thrust23THRUST_200600_302600_NS6detail15normal_iteratorINS9_10device_ptrIsEEEESE_SE_sNS9_4plusIsEE19head_flag_predicatesEE10hipError_tPvRmT2_T3_T4_T5_mT6_T7_P12ihipStream_tbENKUlT_T0_E_clISt17integral_constantIbLb1EESY_EEDaST_SU_EUlST_E_NS1_11comp_targetILNS1_3genE10ELNS1_11target_archE1200ELNS1_3gpuE4ELNS1_3repE0EEENS1_30default_config_static_selectorELNS0_4arch9wavefront6targetE0EEEvT1_,comdat
	.protected	_ZN7rocprim17ROCPRIM_400000_NS6detail17trampoline_kernelINS0_14default_configENS1_27scan_by_key_config_selectorIssEEZZNS1_16scan_by_key_implILNS1_25lookback_scan_determinismE0ELb0ES3_N6thrust23THRUST_200600_302600_NS6detail15normal_iteratorINS9_10device_ptrIsEEEESE_SE_sNS9_4plusIsEE19head_flag_predicatesEE10hipError_tPvRmT2_T3_T4_T5_mT6_T7_P12ihipStream_tbENKUlT_T0_E_clISt17integral_constantIbLb1EESY_EEDaST_SU_EUlST_E_NS1_11comp_targetILNS1_3genE10ELNS1_11target_archE1200ELNS1_3gpuE4ELNS1_3repE0EEENS1_30default_config_static_selectorELNS0_4arch9wavefront6targetE0EEEvT1_ ; -- Begin function _ZN7rocprim17ROCPRIM_400000_NS6detail17trampoline_kernelINS0_14default_configENS1_27scan_by_key_config_selectorIssEEZZNS1_16scan_by_key_implILNS1_25lookback_scan_determinismE0ELb0ES3_N6thrust23THRUST_200600_302600_NS6detail15normal_iteratorINS9_10device_ptrIsEEEESE_SE_sNS9_4plusIsEE19head_flag_predicatesEE10hipError_tPvRmT2_T3_T4_T5_mT6_T7_P12ihipStream_tbENKUlT_T0_E_clISt17integral_constantIbLb1EESY_EEDaST_SU_EUlST_E_NS1_11comp_targetILNS1_3genE10ELNS1_11target_archE1200ELNS1_3gpuE4ELNS1_3repE0EEENS1_30default_config_static_selectorELNS0_4arch9wavefront6targetE0EEEvT1_
	.globl	_ZN7rocprim17ROCPRIM_400000_NS6detail17trampoline_kernelINS0_14default_configENS1_27scan_by_key_config_selectorIssEEZZNS1_16scan_by_key_implILNS1_25lookback_scan_determinismE0ELb0ES3_N6thrust23THRUST_200600_302600_NS6detail15normal_iteratorINS9_10device_ptrIsEEEESE_SE_sNS9_4plusIsEE19head_flag_predicatesEE10hipError_tPvRmT2_T3_T4_T5_mT6_T7_P12ihipStream_tbENKUlT_T0_E_clISt17integral_constantIbLb1EESY_EEDaST_SU_EUlST_E_NS1_11comp_targetILNS1_3genE10ELNS1_11target_archE1200ELNS1_3gpuE4ELNS1_3repE0EEENS1_30default_config_static_selectorELNS0_4arch9wavefront6targetE0EEEvT1_
	.p2align	8
	.type	_ZN7rocprim17ROCPRIM_400000_NS6detail17trampoline_kernelINS0_14default_configENS1_27scan_by_key_config_selectorIssEEZZNS1_16scan_by_key_implILNS1_25lookback_scan_determinismE0ELb0ES3_N6thrust23THRUST_200600_302600_NS6detail15normal_iteratorINS9_10device_ptrIsEEEESE_SE_sNS9_4plusIsEE19head_flag_predicatesEE10hipError_tPvRmT2_T3_T4_T5_mT6_T7_P12ihipStream_tbENKUlT_T0_E_clISt17integral_constantIbLb1EESY_EEDaST_SU_EUlST_E_NS1_11comp_targetILNS1_3genE10ELNS1_11target_archE1200ELNS1_3gpuE4ELNS1_3repE0EEENS1_30default_config_static_selectorELNS0_4arch9wavefront6targetE0EEEvT1_,@function
_ZN7rocprim17ROCPRIM_400000_NS6detail17trampoline_kernelINS0_14default_configENS1_27scan_by_key_config_selectorIssEEZZNS1_16scan_by_key_implILNS1_25lookback_scan_determinismE0ELb0ES3_N6thrust23THRUST_200600_302600_NS6detail15normal_iteratorINS9_10device_ptrIsEEEESE_SE_sNS9_4plusIsEE19head_flag_predicatesEE10hipError_tPvRmT2_T3_T4_T5_mT6_T7_P12ihipStream_tbENKUlT_T0_E_clISt17integral_constantIbLb1EESY_EEDaST_SU_EUlST_E_NS1_11comp_targetILNS1_3genE10ELNS1_11target_archE1200ELNS1_3gpuE4ELNS1_3repE0EEENS1_30default_config_static_selectorELNS0_4arch9wavefront6targetE0EEEvT1_: ; @_ZN7rocprim17ROCPRIM_400000_NS6detail17trampoline_kernelINS0_14default_configENS1_27scan_by_key_config_selectorIssEEZZNS1_16scan_by_key_implILNS1_25lookback_scan_determinismE0ELb0ES3_N6thrust23THRUST_200600_302600_NS6detail15normal_iteratorINS9_10device_ptrIsEEEESE_SE_sNS9_4plusIsEE19head_flag_predicatesEE10hipError_tPvRmT2_T3_T4_T5_mT6_T7_P12ihipStream_tbENKUlT_T0_E_clISt17integral_constantIbLb1EESY_EEDaST_SU_EUlST_E_NS1_11comp_targetILNS1_3genE10ELNS1_11target_archE1200ELNS1_3gpuE4ELNS1_3repE0EEENS1_30default_config_static_selectorELNS0_4arch9wavefront6targetE0EEEvT1_
; %bb.0:
	.section	.rodata,"a",@progbits
	.p2align	6, 0x0
	.amdhsa_kernel _ZN7rocprim17ROCPRIM_400000_NS6detail17trampoline_kernelINS0_14default_configENS1_27scan_by_key_config_selectorIssEEZZNS1_16scan_by_key_implILNS1_25lookback_scan_determinismE0ELb0ES3_N6thrust23THRUST_200600_302600_NS6detail15normal_iteratorINS9_10device_ptrIsEEEESE_SE_sNS9_4plusIsEE19head_flag_predicatesEE10hipError_tPvRmT2_T3_T4_T5_mT6_T7_P12ihipStream_tbENKUlT_T0_E_clISt17integral_constantIbLb1EESY_EEDaST_SU_EUlST_E_NS1_11comp_targetILNS1_3genE10ELNS1_11target_archE1200ELNS1_3gpuE4ELNS1_3repE0EEENS1_30default_config_static_selectorELNS0_4arch9wavefront6targetE0EEEvT1_
		.amdhsa_group_segment_fixed_size 0
		.amdhsa_private_segment_fixed_size 0
		.amdhsa_kernarg_size 112
		.amdhsa_user_sgpr_count 2
		.amdhsa_user_sgpr_dispatch_ptr 0
		.amdhsa_user_sgpr_queue_ptr 0
		.amdhsa_user_sgpr_kernarg_segment_ptr 1
		.amdhsa_user_sgpr_dispatch_id 0
		.amdhsa_user_sgpr_kernarg_preload_length 0
		.amdhsa_user_sgpr_kernarg_preload_offset 0
		.amdhsa_user_sgpr_private_segment_size 0
		.amdhsa_wavefront_size32 1
		.amdhsa_uses_dynamic_stack 0
		.amdhsa_enable_private_segment 0
		.amdhsa_system_sgpr_workgroup_id_x 1
		.amdhsa_system_sgpr_workgroup_id_y 0
		.amdhsa_system_sgpr_workgroup_id_z 0
		.amdhsa_system_sgpr_workgroup_info 0
		.amdhsa_system_vgpr_workitem_id 0
		.amdhsa_next_free_vgpr 1
		.amdhsa_next_free_sgpr 1
		.amdhsa_named_barrier_count 0
		.amdhsa_reserve_vcc 0
		.amdhsa_float_round_mode_32 0
		.amdhsa_float_round_mode_16_64 0
		.amdhsa_float_denorm_mode_32 3
		.amdhsa_float_denorm_mode_16_64 3
		.amdhsa_fp16_overflow 0
		.amdhsa_memory_ordered 1
		.amdhsa_forward_progress 1
		.amdhsa_inst_pref_size 0
		.amdhsa_round_robin_scheduling 0
		.amdhsa_exception_fp_ieee_invalid_op 0
		.amdhsa_exception_fp_denorm_src 0
		.amdhsa_exception_fp_ieee_div_zero 0
		.amdhsa_exception_fp_ieee_overflow 0
		.amdhsa_exception_fp_ieee_underflow 0
		.amdhsa_exception_fp_ieee_inexact 0
		.amdhsa_exception_int_div_zero 0
	.end_amdhsa_kernel
	.section	.text._ZN7rocprim17ROCPRIM_400000_NS6detail17trampoline_kernelINS0_14default_configENS1_27scan_by_key_config_selectorIssEEZZNS1_16scan_by_key_implILNS1_25lookback_scan_determinismE0ELb0ES3_N6thrust23THRUST_200600_302600_NS6detail15normal_iteratorINS9_10device_ptrIsEEEESE_SE_sNS9_4plusIsEE19head_flag_predicatesEE10hipError_tPvRmT2_T3_T4_T5_mT6_T7_P12ihipStream_tbENKUlT_T0_E_clISt17integral_constantIbLb1EESY_EEDaST_SU_EUlST_E_NS1_11comp_targetILNS1_3genE10ELNS1_11target_archE1200ELNS1_3gpuE4ELNS1_3repE0EEENS1_30default_config_static_selectorELNS0_4arch9wavefront6targetE0EEEvT1_,"axG",@progbits,_ZN7rocprim17ROCPRIM_400000_NS6detail17trampoline_kernelINS0_14default_configENS1_27scan_by_key_config_selectorIssEEZZNS1_16scan_by_key_implILNS1_25lookback_scan_determinismE0ELb0ES3_N6thrust23THRUST_200600_302600_NS6detail15normal_iteratorINS9_10device_ptrIsEEEESE_SE_sNS9_4plusIsEE19head_flag_predicatesEE10hipError_tPvRmT2_T3_T4_T5_mT6_T7_P12ihipStream_tbENKUlT_T0_E_clISt17integral_constantIbLb1EESY_EEDaST_SU_EUlST_E_NS1_11comp_targetILNS1_3genE10ELNS1_11target_archE1200ELNS1_3gpuE4ELNS1_3repE0EEENS1_30default_config_static_selectorELNS0_4arch9wavefront6targetE0EEEvT1_,comdat
.Lfunc_end836:
	.size	_ZN7rocprim17ROCPRIM_400000_NS6detail17trampoline_kernelINS0_14default_configENS1_27scan_by_key_config_selectorIssEEZZNS1_16scan_by_key_implILNS1_25lookback_scan_determinismE0ELb0ES3_N6thrust23THRUST_200600_302600_NS6detail15normal_iteratorINS9_10device_ptrIsEEEESE_SE_sNS9_4plusIsEE19head_flag_predicatesEE10hipError_tPvRmT2_T3_T4_T5_mT6_T7_P12ihipStream_tbENKUlT_T0_E_clISt17integral_constantIbLb1EESY_EEDaST_SU_EUlST_E_NS1_11comp_targetILNS1_3genE10ELNS1_11target_archE1200ELNS1_3gpuE4ELNS1_3repE0EEENS1_30default_config_static_selectorELNS0_4arch9wavefront6targetE0EEEvT1_, .Lfunc_end836-_ZN7rocprim17ROCPRIM_400000_NS6detail17trampoline_kernelINS0_14default_configENS1_27scan_by_key_config_selectorIssEEZZNS1_16scan_by_key_implILNS1_25lookback_scan_determinismE0ELb0ES3_N6thrust23THRUST_200600_302600_NS6detail15normal_iteratorINS9_10device_ptrIsEEEESE_SE_sNS9_4plusIsEE19head_flag_predicatesEE10hipError_tPvRmT2_T3_T4_T5_mT6_T7_P12ihipStream_tbENKUlT_T0_E_clISt17integral_constantIbLb1EESY_EEDaST_SU_EUlST_E_NS1_11comp_targetILNS1_3genE10ELNS1_11target_archE1200ELNS1_3gpuE4ELNS1_3repE0EEENS1_30default_config_static_selectorELNS0_4arch9wavefront6targetE0EEEvT1_
                                        ; -- End function
	.set _ZN7rocprim17ROCPRIM_400000_NS6detail17trampoline_kernelINS0_14default_configENS1_27scan_by_key_config_selectorIssEEZZNS1_16scan_by_key_implILNS1_25lookback_scan_determinismE0ELb0ES3_N6thrust23THRUST_200600_302600_NS6detail15normal_iteratorINS9_10device_ptrIsEEEESE_SE_sNS9_4plusIsEE19head_flag_predicatesEE10hipError_tPvRmT2_T3_T4_T5_mT6_T7_P12ihipStream_tbENKUlT_T0_E_clISt17integral_constantIbLb1EESY_EEDaST_SU_EUlST_E_NS1_11comp_targetILNS1_3genE10ELNS1_11target_archE1200ELNS1_3gpuE4ELNS1_3repE0EEENS1_30default_config_static_selectorELNS0_4arch9wavefront6targetE0EEEvT1_.num_vgpr, 0
	.set _ZN7rocprim17ROCPRIM_400000_NS6detail17trampoline_kernelINS0_14default_configENS1_27scan_by_key_config_selectorIssEEZZNS1_16scan_by_key_implILNS1_25lookback_scan_determinismE0ELb0ES3_N6thrust23THRUST_200600_302600_NS6detail15normal_iteratorINS9_10device_ptrIsEEEESE_SE_sNS9_4plusIsEE19head_flag_predicatesEE10hipError_tPvRmT2_T3_T4_T5_mT6_T7_P12ihipStream_tbENKUlT_T0_E_clISt17integral_constantIbLb1EESY_EEDaST_SU_EUlST_E_NS1_11comp_targetILNS1_3genE10ELNS1_11target_archE1200ELNS1_3gpuE4ELNS1_3repE0EEENS1_30default_config_static_selectorELNS0_4arch9wavefront6targetE0EEEvT1_.num_agpr, 0
	.set _ZN7rocprim17ROCPRIM_400000_NS6detail17trampoline_kernelINS0_14default_configENS1_27scan_by_key_config_selectorIssEEZZNS1_16scan_by_key_implILNS1_25lookback_scan_determinismE0ELb0ES3_N6thrust23THRUST_200600_302600_NS6detail15normal_iteratorINS9_10device_ptrIsEEEESE_SE_sNS9_4plusIsEE19head_flag_predicatesEE10hipError_tPvRmT2_T3_T4_T5_mT6_T7_P12ihipStream_tbENKUlT_T0_E_clISt17integral_constantIbLb1EESY_EEDaST_SU_EUlST_E_NS1_11comp_targetILNS1_3genE10ELNS1_11target_archE1200ELNS1_3gpuE4ELNS1_3repE0EEENS1_30default_config_static_selectorELNS0_4arch9wavefront6targetE0EEEvT1_.numbered_sgpr, 0
	.set _ZN7rocprim17ROCPRIM_400000_NS6detail17trampoline_kernelINS0_14default_configENS1_27scan_by_key_config_selectorIssEEZZNS1_16scan_by_key_implILNS1_25lookback_scan_determinismE0ELb0ES3_N6thrust23THRUST_200600_302600_NS6detail15normal_iteratorINS9_10device_ptrIsEEEESE_SE_sNS9_4plusIsEE19head_flag_predicatesEE10hipError_tPvRmT2_T3_T4_T5_mT6_T7_P12ihipStream_tbENKUlT_T0_E_clISt17integral_constantIbLb1EESY_EEDaST_SU_EUlST_E_NS1_11comp_targetILNS1_3genE10ELNS1_11target_archE1200ELNS1_3gpuE4ELNS1_3repE0EEENS1_30default_config_static_selectorELNS0_4arch9wavefront6targetE0EEEvT1_.num_named_barrier, 0
	.set _ZN7rocprim17ROCPRIM_400000_NS6detail17trampoline_kernelINS0_14default_configENS1_27scan_by_key_config_selectorIssEEZZNS1_16scan_by_key_implILNS1_25lookback_scan_determinismE0ELb0ES3_N6thrust23THRUST_200600_302600_NS6detail15normal_iteratorINS9_10device_ptrIsEEEESE_SE_sNS9_4plusIsEE19head_flag_predicatesEE10hipError_tPvRmT2_T3_T4_T5_mT6_T7_P12ihipStream_tbENKUlT_T0_E_clISt17integral_constantIbLb1EESY_EEDaST_SU_EUlST_E_NS1_11comp_targetILNS1_3genE10ELNS1_11target_archE1200ELNS1_3gpuE4ELNS1_3repE0EEENS1_30default_config_static_selectorELNS0_4arch9wavefront6targetE0EEEvT1_.private_seg_size, 0
	.set _ZN7rocprim17ROCPRIM_400000_NS6detail17trampoline_kernelINS0_14default_configENS1_27scan_by_key_config_selectorIssEEZZNS1_16scan_by_key_implILNS1_25lookback_scan_determinismE0ELb0ES3_N6thrust23THRUST_200600_302600_NS6detail15normal_iteratorINS9_10device_ptrIsEEEESE_SE_sNS9_4plusIsEE19head_flag_predicatesEE10hipError_tPvRmT2_T3_T4_T5_mT6_T7_P12ihipStream_tbENKUlT_T0_E_clISt17integral_constantIbLb1EESY_EEDaST_SU_EUlST_E_NS1_11comp_targetILNS1_3genE10ELNS1_11target_archE1200ELNS1_3gpuE4ELNS1_3repE0EEENS1_30default_config_static_selectorELNS0_4arch9wavefront6targetE0EEEvT1_.uses_vcc, 0
	.set _ZN7rocprim17ROCPRIM_400000_NS6detail17trampoline_kernelINS0_14default_configENS1_27scan_by_key_config_selectorIssEEZZNS1_16scan_by_key_implILNS1_25lookback_scan_determinismE0ELb0ES3_N6thrust23THRUST_200600_302600_NS6detail15normal_iteratorINS9_10device_ptrIsEEEESE_SE_sNS9_4plusIsEE19head_flag_predicatesEE10hipError_tPvRmT2_T3_T4_T5_mT6_T7_P12ihipStream_tbENKUlT_T0_E_clISt17integral_constantIbLb1EESY_EEDaST_SU_EUlST_E_NS1_11comp_targetILNS1_3genE10ELNS1_11target_archE1200ELNS1_3gpuE4ELNS1_3repE0EEENS1_30default_config_static_selectorELNS0_4arch9wavefront6targetE0EEEvT1_.uses_flat_scratch, 0
	.set _ZN7rocprim17ROCPRIM_400000_NS6detail17trampoline_kernelINS0_14default_configENS1_27scan_by_key_config_selectorIssEEZZNS1_16scan_by_key_implILNS1_25lookback_scan_determinismE0ELb0ES3_N6thrust23THRUST_200600_302600_NS6detail15normal_iteratorINS9_10device_ptrIsEEEESE_SE_sNS9_4plusIsEE19head_flag_predicatesEE10hipError_tPvRmT2_T3_T4_T5_mT6_T7_P12ihipStream_tbENKUlT_T0_E_clISt17integral_constantIbLb1EESY_EEDaST_SU_EUlST_E_NS1_11comp_targetILNS1_3genE10ELNS1_11target_archE1200ELNS1_3gpuE4ELNS1_3repE0EEENS1_30default_config_static_selectorELNS0_4arch9wavefront6targetE0EEEvT1_.has_dyn_sized_stack, 0
	.set _ZN7rocprim17ROCPRIM_400000_NS6detail17trampoline_kernelINS0_14default_configENS1_27scan_by_key_config_selectorIssEEZZNS1_16scan_by_key_implILNS1_25lookback_scan_determinismE0ELb0ES3_N6thrust23THRUST_200600_302600_NS6detail15normal_iteratorINS9_10device_ptrIsEEEESE_SE_sNS9_4plusIsEE19head_flag_predicatesEE10hipError_tPvRmT2_T3_T4_T5_mT6_T7_P12ihipStream_tbENKUlT_T0_E_clISt17integral_constantIbLb1EESY_EEDaST_SU_EUlST_E_NS1_11comp_targetILNS1_3genE10ELNS1_11target_archE1200ELNS1_3gpuE4ELNS1_3repE0EEENS1_30default_config_static_selectorELNS0_4arch9wavefront6targetE0EEEvT1_.has_recursion, 0
	.set _ZN7rocprim17ROCPRIM_400000_NS6detail17trampoline_kernelINS0_14default_configENS1_27scan_by_key_config_selectorIssEEZZNS1_16scan_by_key_implILNS1_25lookback_scan_determinismE0ELb0ES3_N6thrust23THRUST_200600_302600_NS6detail15normal_iteratorINS9_10device_ptrIsEEEESE_SE_sNS9_4plusIsEE19head_flag_predicatesEE10hipError_tPvRmT2_T3_T4_T5_mT6_T7_P12ihipStream_tbENKUlT_T0_E_clISt17integral_constantIbLb1EESY_EEDaST_SU_EUlST_E_NS1_11comp_targetILNS1_3genE10ELNS1_11target_archE1200ELNS1_3gpuE4ELNS1_3repE0EEENS1_30default_config_static_selectorELNS0_4arch9wavefront6targetE0EEEvT1_.has_indirect_call, 0
	.section	.AMDGPU.csdata,"",@progbits
; Kernel info:
; codeLenInByte = 0
; TotalNumSgprs: 0
; NumVgprs: 0
; ScratchSize: 0
; MemoryBound: 0
; FloatMode: 240
; IeeeMode: 1
; LDSByteSize: 0 bytes/workgroup (compile time only)
; SGPRBlocks: 0
; VGPRBlocks: 0
; NumSGPRsForWavesPerEU: 1
; NumVGPRsForWavesPerEU: 1
; NamedBarCnt: 0
; Occupancy: 16
; WaveLimiterHint : 0
; COMPUTE_PGM_RSRC2:SCRATCH_EN: 0
; COMPUTE_PGM_RSRC2:USER_SGPR: 2
; COMPUTE_PGM_RSRC2:TRAP_HANDLER: 0
; COMPUTE_PGM_RSRC2:TGID_X_EN: 1
; COMPUTE_PGM_RSRC2:TGID_Y_EN: 0
; COMPUTE_PGM_RSRC2:TGID_Z_EN: 0
; COMPUTE_PGM_RSRC2:TIDIG_COMP_CNT: 0
	.section	.text._ZN7rocprim17ROCPRIM_400000_NS6detail17trampoline_kernelINS0_14default_configENS1_27scan_by_key_config_selectorIssEEZZNS1_16scan_by_key_implILNS1_25lookback_scan_determinismE0ELb0ES3_N6thrust23THRUST_200600_302600_NS6detail15normal_iteratorINS9_10device_ptrIsEEEESE_SE_sNS9_4plusIsEE19head_flag_predicatesEE10hipError_tPvRmT2_T3_T4_T5_mT6_T7_P12ihipStream_tbENKUlT_T0_E_clISt17integral_constantIbLb1EESY_EEDaST_SU_EUlST_E_NS1_11comp_targetILNS1_3genE9ELNS1_11target_archE1100ELNS1_3gpuE3ELNS1_3repE0EEENS1_30default_config_static_selectorELNS0_4arch9wavefront6targetE0EEEvT1_,"axG",@progbits,_ZN7rocprim17ROCPRIM_400000_NS6detail17trampoline_kernelINS0_14default_configENS1_27scan_by_key_config_selectorIssEEZZNS1_16scan_by_key_implILNS1_25lookback_scan_determinismE0ELb0ES3_N6thrust23THRUST_200600_302600_NS6detail15normal_iteratorINS9_10device_ptrIsEEEESE_SE_sNS9_4plusIsEE19head_flag_predicatesEE10hipError_tPvRmT2_T3_T4_T5_mT6_T7_P12ihipStream_tbENKUlT_T0_E_clISt17integral_constantIbLb1EESY_EEDaST_SU_EUlST_E_NS1_11comp_targetILNS1_3genE9ELNS1_11target_archE1100ELNS1_3gpuE3ELNS1_3repE0EEENS1_30default_config_static_selectorELNS0_4arch9wavefront6targetE0EEEvT1_,comdat
	.protected	_ZN7rocprim17ROCPRIM_400000_NS6detail17trampoline_kernelINS0_14default_configENS1_27scan_by_key_config_selectorIssEEZZNS1_16scan_by_key_implILNS1_25lookback_scan_determinismE0ELb0ES3_N6thrust23THRUST_200600_302600_NS6detail15normal_iteratorINS9_10device_ptrIsEEEESE_SE_sNS9_4plusIsEE19head_flag_predicatesEE10hipError_tPvRmT2_T3_T4_T5_mT6_T7_P12ihipStream_tbENKUlT_T0_E_clISt17integral_constantIbLb1EESY_EEDaST_SU_EUlST_E_NS1_11comp_targetILNS1_3genE9ELNS1_11target_archE1100ELNS1_3gpuE3ELNS1_3repE0EEENS1_30default_config_static_selectorELNS0_4arch9wavefront6targetE0EEEvT1_ ; -- Begin function _ZN7rocprim17ROCPRIM_400000_NS6detail17trampoline_kernelINS0_14default_configENS1_27scan_by_key_config_selectorIssEEZZNS1_16scan_by_key_implILNS1_25lookback_scan_determinismE0ELb0ES3_N6thrust23THRUST_200600_302600_NS6detail15normal_iteratorINS9_10device_ptrIsEEEESE_SE_sNS9_4plusIsEE19head_flag_predicatesEE10hipError_tPvRmT2_T3_T4_T5_mT6_T7_P12ihipStream_tbENKUlT_T0_E_clISt17integral_constantIbLb1EESY_EEDaST_SU_EUlST_E_NS1_11comp_targetILNS1_3genE9ELNS1_11target_archE1100ELNS1_3gpuE3ELNS1_3repE0EEENS1_30default_config_static_selectorELNS0_4arch9wavefront6targetE0EEEvT1_
	.globl	_ZN7rocprim17ROCPRIM_400000_NS6detail17trampoline_kernelINS0_14default_configENS1_27scan_by_key_config_selectorIssEEZZNS1_16scan_by_key_implILNS1_25lookback_scan_determinismE0ELb0ES3_N6thrust23THRUST_200600_302600_NS6detail15normal_iteratorINS9_10device_ptrIsEEEESE_SE_sNS9_4plusIsEE19head_flag_predicatesEE10hipError_tPvRmT2_T3_T4_T5_mT6_T7_P12ihipStream_tbENKUlT_T0_E_clISt17integral_constantIbLb1EESY_EEDaST_SU_EUlST_E_NS1_11comp_targetILNS1_3genE9ELNS1_11target_archE1100ELNS1_3gpuE3ELNS1_3repE0EEENS1_30default_config_static_selectorELNS0_4arch9wavefront6targetE0EEEvT1_
	.p2align	8
	.type	_ZN7rocprim17ROCPRIM_400000_NS6detail17trampoline_kernelINS0_14default_configENS1_27scan_by_key_config_selectorIssEEZZNS1_16scan_by_key_implILNS1_25lookback_scan_determinismE0ELb0ES3_N6thrust23THRUST_200600_302600_NS6detail15normal_iteratorINS9_10device_ptrIsEEEESE_SE_sNS9_4plusIsEE19head_flag_predicatesEE10hipError_tPvRmT2_T3_T4_T5_mT6_T7_P12ihipStream_tbENKUlT_T0_E_clISt17integral_constantIbLb1EESY_EEDaST_SU_EUlST_E_NS1_11comp_targetILNS1_3genE9ELNS1_11target_archE1100ELNS1_3gpuE3ELNS1_3repE0EEENS1_30default_config_static_selectorELNS0_4arch9wavefront6targetE0EEEvT1_,@function
_ZN7rocprim17ROCPRIM_400000_NS6detail17trampoline_kernelINS0_14default_configENS1_27scan_by_key_config_selectorIssEEZZNS1_16scan_by_key_implILNS1_25lookback_scan_determinismE0ELb0ES3_N6thrust23THRUST_200600_302600_NS6detail15normal_iteratorINS9_10device_ptrIsEEEESE_SE_sNS9_4plusIsEE19head_flag_predicatesEE10hipError_tPvRmT2_T3_T4_T5_mT6_T7_P12ihipStream_tbENKUlT_T0_E_clISt17integral_constantIbLb1EESY_EEDaST_SU_EUlST_E_NS1_11comp_targetILNS1_3genE9ELNS1_11target_archE1100ELNS1_3gpuE3ELNS1_3repE0EEENS1_30default_config_static_selectorELNS0_4arch9wavefront6targetE0EEEvT1_: ; @_ZN7rocprim17ROCPRIM_400000_NS6detail17trampoline_kernelINS0_14default_configENS1_27scan_by_key_config_selectorIssEEZZNS1_16scan_by_key_implILNS1_25lookback_scan_determinismE0ELb0ES3_N6thrust23THRUST_200600_302600_NS6detail15normal_iteratorINS9_10device_ptrIsEEEESE_SE_sNS9_4plusIsEE19head_flag_predicatesEE10hipError_tPvRmT2_T3_T4_T5_mT6_T7_P12ihipStream_tbENKUlT_T0_E_clISt17integral_constantIbLb1EESY_EEDaST_SU_EUlST_E_NS1_11comp_targetILNS1_3genE9ELNS1_11target_archE1100ELNS1_3gpuE3ELNS1_3repE0EEENS1_30default_config_static_selectorELNS0_4arch9wavefront6targetE0EEEvT1_
; %bb.0:
	.section	.rodata,"a",@progbits
	.p2align	6, 0x0
	.amdhsa_kernel _ZN7rocprim17ROCPRIM_400000_NS6detail17trampoline_kernelINS0_14default_configENS1_27scan_by_key_config_selectorIssEEZZNS1_16scan_by_key_implILNS1_25lookback_scan_determinismE0ELb0ES3_N6thrust23THRUST_200600_302600_NS6detail15normal_iteratorINS9_10device_ptrIsEEEESE_SE_sNS9_4plusIsEE19head_flag_predicatesEE10hipError_tPvRmT2_T3_T4_T5_mT6_T7_P12ihipStream_tbENKUlT_T0_E_clISt17integral_constantIbLb1EESY_EEDaST_SU_EUlST_E_NS1_11comp_targetILNS1_3genE9ELNS1_11target_archE1100ELNS1_3gpuE3ELNS1_3repE0EEENS1_30default_config_static_selectorELNS0_4arch9wavefront6targetE0EEEvT1_
		.amdhsa_group_segment_fixed_size 0
		.amdhsa_private_segment_fixed_size 0
		.amdhsa_kernarg_size 112
		.amdhsa_user_sgpr_count 2
		.amdhsa_user_sgpr_dispatch_ptr 0
		.amdhsa_user_sgpr_queue_ptr 0
		.amdhsa_user_sgpr_kernarg_segment_ptr 1
		.amdhsa_user_sgpr_dispatch_id 0
		.amdhsa_user_sgpr_kernarg_preload_length 0
		.amdhsa_user_sgpr_kernarg_preload_offset 0
		.amdhsa_user_sgpr_private_segment_size 0
		.amdhsa_wavefront_size32 1
		.amdhsa_uses_dynamic_stack 0
		.amdhsa_enable_private_segment 0
		.amdhsa_system_sgpr_workgroup_id_x 1
		.amdhsa_system_sgpr_workgroup_id_y 0
		.amdhsa_system_sgpr_workgroup_id_z 0
		.amdhsa_system_sgpr_workgroup_info 0
		.amdhsa_system_vgpr_workitem_id 0
		.amdhsa_next_free_vgpr 1
		.amdhsa_next_free_sgpr 1
		.amdhsa_named_barrier_count 0
		.amdhsa_reserve_vcc 0
		.amdhsa_float_round_mode_32 0
		.amdhsa_float_round_mode_16_64 0
		.amdhsa_float_denorm_mode_32 3
		.amdhsa_float_denorm_mode_16_64 3
		.amdhsa_fp16_overflow 0
		.amdhsa_memory_ordered 1
		.amdhsa_forward_progress 1
		.amdhsa_inst_pref_size 0
		.amdhsa_round_robin_scheduling 0
		.amdhsa_exception_fp_ieee_invalid_op 0
		.amdhsa_exception_fp_denorm_src 0
		.amdhsa_exception_fp_ieee_div_zero 0
		.amdhsa_exception_fp_ieee_overflow 0
		.amdhsa_exception_fp_ieee_underflow 0
		.amdhsa_exception_fp_ieee_inexact 0
		.amdhsa_exception_int_div_zero 0
	.end_amdhsa_kernel
	.section	.text._ZN7rocprim17ROCPRIM_400000_NS6detail17trampoline_kernelINS0_14default_configENS1_27scan_by_key_config_selectorIssEEZZNS1_16scan_by_key_implILNS1_25lookback_scan_determinismE0ELb0ES3_N6thrust23THRUST_200600_302600_NS6detail15normal_iteratorINS9_10device_ptrIsEEEESE_SE_sNS9_4plusIsEE19head_flag_predicatesEE10hipError_tPvRmT2_T3_T4_T5_mT6_T7_P12ihipStream_tbENKUlT_T0_E_clISt17integral_constantIbLb1EESY_EEDaST_SU_EUlST_E_NS1_11comp_targetILNS1_3genE9ELNS1_11target_archE1100ELNS1_3gpuE3ELNS1_3repE0EEENS1_30default_config_static_selectorELNS0_4arch9wavefront6targetE0EEEvT1_,"axG",@progbits,_ZN7rocprim17ROCPRIM_400000_NS6detail17trampoline_kernelINS0_14default_configENS1_27scan_by_key_config_selectorIssEEZZNS1_16scan_by_key_implILNS1_25lookback_scan_determinismE0ELb0ES3_N6thrust23THRUST_200600_302600_NS6detail15normal_iteratorINS9_10device_ptrIsEEEESE_SE_sNS9_4plusIsEE19head_flag_predicatesEE10hipError_tPvRmT2_T3_T4_T5_mT6_T7_P12ihipStream_tbENKUlT_T0_E_clISt17integral_constantIbLb1EESY_EEDaST_SU_EUlST_E_NS1_11comp_targetILNS1_3genE9ELNS1_11target_archE1100ELNS1_3gpuE3ELNS1_3repE0EEENS1_30default_config_static_selectorELNS0_4arch9wavefront6targetE0EEEvT1_,comdat
.Lfunc_end837:
	.size	_ZN7rocprim17ROCPRIM_400000_NS6detail17trampoline_kernelINS0_14default_configENS1_27scan_by_key_config_selectorIssEEZZNS1_16scan_by_key_implILNS1_25lookback_scan_determinismE0ELb0ES3_N6thrust23THRUST_200600_302600_NS6detail15normal_iteratorINS9_10device_ptrIsEEEESE_SE_sNS9_4plusIsEE19head_flag_predicatesEE10hipError_tPvRmT2_T3_T4_T5_mT6_T7_P12ihipStream_tbENKUlT_T0_E_clISt17integral_constantIbLb1EESY_EEDaST_SU_EUlST_E_NS1_11comp_targetILNS1_3genE9ELNS1_11target_archE1100ELNS1_3gpuE3ELNS1_3repE0EEENS1_30default_config_static_selectorELNS0_4arch9wavefront6targetE0EEEvT1_, .Lfunc_end837-_ZN7rocprim17ROCPRIM_400000_NS6detail17trampoline_kernelINS0_14default_configENS1_27scan_by_key_config_selectorIssEEZZNS1_16scan_by_key_implILNS1_25lookback_scan_determinismE0ELb0ES3_N6thrust23THRUST_200600_302600_NS6detail15normal_iteratorINS9_10device_ptrIsEEEESE_SE_sNS9_4plusIsEE19head_flag_predicatesEE10hipError_tPvRmT2_T3_T4_T5_mT6_T7_P12ihipStream_tbENKUlT_T0_E_clISt17integral_constantIbLb1EESY_EEDaST_SU_EUlST_E_NS1_11comp_targetILNS1_3genE9ELNS1_11target_archE1100ELNS1_3gpuE3ELNS1_3repE0EEENS1_30default_config_static_selectorELNS0_4arch9wavefront6targetE0EEEvT1_
                                        ; -- End function
	.set _ZN7rocprim17ROCPRIM_400000_NS6detail17trampoline_kernelINS0_14default_configENS1_27scan_by_key_config_selectorIssEEZZNS1_16scan_by_key_implILNS1_25lookback_scan_determinismE0ELb0ES3_N6thrust23THRUST_200600_302600_NS6detail15normal_iteratorINS9_10device_ptrIsEEEESE_SE_sNS9_4plusIsEE19head_flag_predicatesEE10hipError_tPvRmT2_T3_T4_T5_mT6_T7_P12ihipStream_tbENKUlT_T0_E_clISt17integral_constantIbLb1EESY_EEDaST_SU_EUlST_E_NS1_11comp_targetILNS1_3genE9ELNS1_11target_archE1100ELNS1_3gpuE3ELNS1_3repE0EEENS1_30default_config_static_selectorELNS0_4arch9wavefront6targetE0EEEvT1_.num_vgpr, 0
	.set _ZN7rocprim17ROCPRIM_400000_NS6detail17trampoline_kernelINS0_14default_configENS1_27scan_by_key_config_selectorIssEEZZNS1_16scan_by_key_implILNS1_25lookback_scan_determinismE0ELb0ES3_N6thrust23THRUST_200600_302600_NS6detail15normal_iteratorINS9_10device_ptrIsEEEESE_SE_sNS9_4plusIsEE19head_flag_predicatesEE10hipError_tPvRmT2_T3_T4_T5_mT6_T7_P12ihipStream_tbENKUlT_T0_E_clISt17integral_constantIbLb1EESY_EEDaST_SU_EUlST_E_NS1_11comp_targetILNS1_3genE9ELNS1_11target_archE1100ELNS1_3gpuE3ELNS1_3repE0EEENS1_30default_config_static_selectorELNS0_4arch9wavefront6targetE0EEEvT1_.num_agpr, 0
	.set _ZN7rocprim17ROCPRIM_400000_NS6detail17trampoline_kernelINS0_14default_configENS1_27scan_by_key_config_selectorIssEEZZNS1_16scan_by_key_implILNS1_25lookback_scan_determinismE0ELb0ES3_N6thrust23THRUST_200600_302600_NS6detail15normal_iteratorINS9_10device_ptrIsEEEESE_SE_sNS9_4plusIsEE19head_flag_predicatesEE10hipError_tPvRmT2_T3_T4_T5_mT6_T7_P12ihipStream_tbENKUlT_T0_E_clISt17integral_constantIbLb1EESY_EEDaST_SU_EUlST_E_NS1_11comp_targetILNS1_3genE9ELNS1_11target_archE1100ELNS1_3gpuE3ELNS1_3repE0EEENS1_30default_config_static_selectorELNS0_4arch9wavefront6targetE0EEEvT1_.numbered_sgpr, 0
	.set _ZN7rocprim17ROCPRIM_400000_NS6detail17trampoline_kernelINS0_14default_configENS1_27scan_by_key_config_selectorIssEEZZNS1_16scan_by_key_implILNS1_25lookback_scan_determinismE0ELb0ES3_N6thrust23THRUST_200600_302600_NS6detail15normal_iteratorINS9_10device_ptrIsEEEESE_SE_sNS9_4plusIsEE19head_flag_predicatesEE10hipError_tPvRmT2_T3_T4_T5_mT6_T7_P12ihipStream_tbENKUlT_T0_E_clISt17integral_constantIbLb1EESY_EEDaST_SU_EUlST_E_NS1_11comp_targetILNS1_3genE9ELNS1_11target_archE1100ELNS1_3gpuE3ELNS1_3repE0EEENS1_30default_config_static_selectorELNS0_4arch9wavefront6targetE0EEEvT1_.num_named_barrier, 0
	.set _ZN7rocprim17ROCPRIM_400000_NS6detail17trampoline_kernelINS0_14default_configENS1_27scan_by_key_config_selectorIssEEZZNS1_16scan_by_key_implILNS1_25lookback_scan_determinismE0ELb0ES3_N6thrust23THRUST_200600_302600_NS6detail15normal_iteratorINS9_10device_ptrIsEEEESE_SE_sNS9_4plusIsEE19head_flag_predicatesEE10hipError_tPvRmT2_T3_T4_T5_mT6_T7_P12ihipStream_tbENKUlT_T0_E_clISt17integral_constantIbLb1EESY_EEDaST_SU_EUlST_E_NS1_11comp_targetILNS1_3genE9ELNS1_11target_archE1100ELNS1_3gpuE3ELNS1_3repE0EEENS1_30default_config_static_selectorELNS0_4arch9wavefront6targetE0EEEvT1_.private_seg_size, 0
	.set _ZN7rocprim17ROCPRIM_400000_NS6detail17trampoline_kernelINS0_14default_configENS1_27scan_by_key_config_selectorIssEEZZNS1_16scan_by_key_implILNS1_25lookback_scan_determinismE0ELb0ES3_N6thrust23THRUST_200600_302600_NS6detail15normal_iteratorINS9_10device_ptrIsEEEESE_SE_sNS9_4plusIsEE19head_flag_predicatesEE10hipError_tPvRmT2_T3_T4_T5_mT6_T7_P12ihipStream_tbENKUlT_T0_E_clISt17integral_constantIbLb1EESY_EEDaST_SU_EUlST_E_NS1_11comp_targetILNS1_3genE9ELNS1_11target_archE1100ELNS1_3gpuE3ELNS1_3repE0EEENS1_30default_config_static_selectorELNS0_4arch9wavefront6targetE0EEEvT1_.uses_vcc, 0
	.set _ZN7rocprim17ROCPRIM_400000_NS6detail17trampoline_kernelINS0_14default_configENS1_27scan_by_key_config_selectorIssEEZZNS1_16scan_by_key_implILNS1_25lookback_scan_determinismE0ELb0ES3_N6thrust23THRUST_200600_302600_NS6detail15normal_iteratorINS9_10device_ptrIsEEEESE_SE_sNS9_4plusIsEE19head_flag_predicatesEE10hipError_tPvRmT2_T3_T4_T5_mT6_T7_P12ihipStream_tbENKUlT_T0_E_clISt17integral_constantIbLb1EESY_EEDaST_SU_EUlST_E_NS1_11comp_targetILNS1_3genE9ELNS1_11target_archE1100ELNS1_3gpuE3ELNS1_3repE0EEENS1_30default_config_static_selectorELNS0_4arch9wavefront6targetE0EEEvT1_.uses_flat_scratch, 0
	.set _ZN7rocprim17ROCPRIM_400000_NS6detail17trampoline_kernelINS0_14default_configENS1_27scan_by_key_config_selectorIssEEZZNS1_16scan_by_key_implILNS1_25lookback_scan_determinismE0ELb0ES3_N6thrust23THRUST_200600_302600_NS6detail15normal_iteratorINS9_10device_ptrIsEEEESE_SE_sNS9_4plusIsEE19head_flag_predicatesEE10hipError_tPvRmT2_T3_T4_T5_mT6_T7_P12ihipStream_tbENKUlT_T0_E_clISt17integral_constantIbLb1EESY_EEDaST_SU_EUlST_E_NS1_11comp_targetILNS1_3genE9ELNS1_11target_archE1100ELNS1_3gpuE3ELNS1_3repE0EEENS1_30default_config_static_selectorELNS0_4arch9wavefront6targetE0EEEvT1_.has_dyn_sized_stack, 0
	.set _ZN7rocprim17ROCPRIM_400000_NS6detail17trampoline_kernelINS0_14default_configENS1_27scan_by_key_config_selectorIssEEZZNS1_16scan_by_key_implILNS1_25lookback_scan_determinismE0ELb0ES3_N6thrust23THRUST_200600_302600_NS6detail15normal_iteratorINS9_10device_ptrIsEEEESE_SE_sNS9_4plusIsEE19head_flag_predicatesEE10hipError_tPvRmT2_T3_T4_T5_mT6_T7_P12ihipStream_tbENKUlT_T0_E_clISt17integral_constantIbLb1EESY_EEDaST_SU_EUlST_E_NS1_11comp_targetILNS1_3genE9ELNS1_11target_archE1100ELNS1_3gpuE3ELNS1_3repE0EEENS1_30default_config_static_selectorELNS0_4arch9wavefront6targetE0EEEvT1_.has_recursion, 0
	.set _ZN7rocprim17ROCPRIM_400000_NS6detail17trampoline_kernelINS0_14default_configENS1_27scan_by_key_config_selectorIssEEZZNS1_16scan_by_key_implILNS1_25lookback_scan_determinismE0ELb0ES3_N6thrust23THRUST_200600_302600_NS6detail15normal_iteratorINS9_10device_ptrIsEEEESE_SE_sNS9_4plusIsEE19head_flag_predicatesEE10hipError_tPvRmT2_T3_T4_T5_mT6_T7_P12ihipStream_tbENKUlT_T0_E_clISt17integral_constantIbLb1EESY_EEDaST_SU_EUlST_E_NS1_11comp_targetILNS1_3genE9ELNS1_11target_archE1100ELNS1_3gpuE3ELNS1_3repE0EEENS1_30default_config_static_selectorELNS0_4arch9wavefront6targetE0EEEvT1_.has_indirect_call, 0
	.section	.AMDGPU.csdata,"",@progbits
; Kernel info:
; codeLenInByte = 0
; TotalNumSgprs: 0
; NumVgprs: 0
; ScratchSize: 0
; MemoryBound: 0
; FloatMode: 240
; IeeeMode: 1
; LDSByteSize: 0 bytes/workgroup (compile time only)
; SGPRBlocks: 0
; VGPRBlocks: 0
; NumSGPRsForWavesPerEU: 1
; NumVGPRsForWavesPerEU: 1
; NamedBarCnt: 0
; Occupancy: 16
; WaveLimiterHint : 0
; COMPUTE_PGM_RSRC2:SCRATCH_EN: 0
; COMPUTE_PGM_RSRC2:USER_SGPR: 2
; COMPUTE_PGM_RSRC2:TRAP_HANDLER: 0
; COMPUTE_PGM_RSRC2:TGID_X_EN: 1
; COMPUTE_PGM_RSRC2:TGID_Y_EN: 0
; COMPUTE_PGM_RSRC2:TGID_Z_EN: 0
; COMPUTE_PGM_RSRC2:TIDIG_COMP_CNT: 0
	.section	.text._ZN7rocprim17ROCPRIM_400000_NS6detail17trampoline_kernelINS0_14default_configENS1_27scan_by_key_config_selectorIssEEZZNS1_16scan_by_key_implILNS1_25lookback_scan_determinismE0ELb0ES3_N6thrust23THRUST_200600_302600_NS6detail15normal_iteratorINS9_10device_ptrIsEEEESE_SE_sNS9_4plusIsEE19head_flag_predicatesEE10hipError_tPvRmT2_T3_T4_T5_mT6_T7_P12ihipStream_tbENKUlT_T0_E_clISt17integral_constantIbLb1EESY_EEDaST_SU_EUlST_E_NS1_11comp_targetILNS1_3genE8ELNS1_11target_archE1030ELNS1_3gpuE2ELNS1_3repE0EEENS1_30default_config_static_selectorELNS0_4arch9wavefront6targetE0EEEvT1_,"axG",@progbits,_ZN7rocprim17ROCPRIM_400000_NS6detail17trampoline_kernelINS0_14default_configENS1_27scan_by_key_config_selectorIssEEZZNS1_16scan_by_key_implILNS1_25lookback_scan_determinismE0ELb0ES3_N6thrust23THRUST_200600_302600_NS6detail15normal_iteratorINS9_10device_ptrIsEEEESE_SE_sNS9_4plusIsEE19head_flag_predicatesEE10hipError_tPvRmT2_T3_T4_T5_mT6_T7_P12ihipStream_tbENKUlT_T0_E_clISt17integral_constantIbLb1EESY_EEDaST_SU_EUlST_E_NS1_11comp_targetILNS1_3genE8ELNS1_11target_archE1030ELNS1_3gpuE2ELNS1_3repE0EEENS1_30default_config_static_selectorELNS0_4arch9wavefront6targetE0EEEvT1_,comdat
	.protected	_ZN7rocprim17ROCPRIM_400000_NS6detail17trampoline_kernelINS0_14default_configENS1_27scan_by_key_config_selectorIssEEZZNS1_16scan_by_key_implILNS1_25lookback_scan_determinismE0ELb0ES3_N6thrust23THRUST_200600_302600_NS6detail15normal_iteratorINS9_10device_ptrIsEEEESE_SE_sNS9_4plusIsEE19head_flag_predicatesEE10hipError_tPvRmT2_T3_T4_T5_mT6_T7_P12ihipStream_tbENKUlT_T0_E_clISt17integral_constantIbLb1EESY_EEDaST_SU_EUlST_E_NS1_11comp_targetILNS1_3genE8ELNS1_11target_archE1030ELNS1_3gpuE2ELNS1_3repE0EEENS1_30default_config_static_selectorELNS0_4arch9wavefront6targetE0EEEvT1_ ; -- Begin function _ZN7rocprim17ROCPRIM_400000_NS6detail17trampoline_kernelINS0_14default_configENS1_27scan_by_key_config_selectorIssEEZZNS1_16scan_by_key_implILNS1_25lookback_scan_determinismE0ELb0ES3_N6thrust23THRUST_200600_302600_NS6detail15normal_iteratorINS9_10device_ptrIsEEEESE_SE_sNS9_4plusIsEE19head_flag_predicatesEE10hipError_tPvRmT2_T3_T4_T5_mT6_T7_P12ihipStream_tbENKUlT_T0_E_clISt17integral_constantIbLb1EESY_EEDaST_SU_EUlST_E_NS1_11comp_targetILNS1_3genE8ELNS1_11target_archE1030ELNS1_3gpuE2ELNS1_3repE0EEENS1_30default_config_static_selectorELNS0_4arch9wavefront6targetE0EEEvT1_
	.globl	_ZN7rocprim17ROCPRIM_400000_NS6detail17trampoline_kernelINS0_14default_configENS1_27scan_by_key_config_selectorIssEEZZNS1_16scan_by_key_implILNS1_25lookback_scan_determinismE0ELb0ES3_N6thrust23THRUST_200600_302600_NS6detail15normal_iteratorINS9_10device_ptrIsEEEESE_SE_sNS9_4plusIsEE19head_flag_predicatesEE10hipError_tPvRmT2_T3_T4_T5_mT6_T7_P12ihipStream_tbENKUlT_T0_E_clISt17integral_constantIbLb1EESY_EEDaST_SU_EUlST_E_NS1_11comp_targetILNS1_3genE8ELNS1_11target_archE1030ELNS1_3gpuE2ELNS1_3repE0EEENS1_30default_config_static_selectorELNS0_4arch9wavefront6targetE0EEEvT1_
	.p2align	8
	.type	_ZN7rocprim17ROCPRIM_400000_NS6detail17trampoline_kernelINS0_14default_configENS1_27scan_by_key_config_selectorIssEEZZNS1_16scan_by_key_implILNS1_25lookback_scan_determinismE0ELb0ES3_N6thrust23THRUST_200600_302600_NS6detail15normal_iteratorINS9_10device_ptrIsEEEESE_SE_sNS9_4plusIsEE19head_flag_predicatesEE10hipError_tPvRmT2_T3_T4_T5_mT6_T7_P12ihipStream_tbENKUlT_T0_E_clISt17integral_constantIbLb1EESY_EEDaST_SU_EUlST_E_NS1_11comp_targetILNS1_3genE8ELNS1_11target_archE1030ELNS1_3gpuE2ELNS1_3repE0EEENS1_30default_config_static_selectorELNS0_4arch9wavefront6targetE0EEEvT1_,@function
_ZN7rocprim17ROCPRIM_400000_NS6detail17trampoline_kernelINS0_14default_configENS1_27scan_by_key_config_selectorIssEEZZNS1_16scan_by_key_implILNS1_25lookback_scan_determinismE0ELb0ES3_N6thrust23THRUST_200600_302600_NS6detail15normal_iteratorINS9_10device_ptrIsEEEESE_SE_sNS9_4plusIsEE19head_flag_predicatesEE10hipError_tPvRmT2_T3_T4_T5_mT6_T7_P12ihipStream_tbENKUlT_T0_E_clISt17integral_constantIbLb1EESY_EEDaST_SU_EUlST_E_NS1_11comp_targetILNS1_3genE8ELNS1_11target_archE1030ELNS1_3gpuE2ELNS1_3repE0EEENS1_30default_config_static_selectorELNS0_4arch9wavefront6targetE0EEEvT1_: ; @_ZN7rocprim17ROCPRIM_400000_NS6detail17trampoline_kernelINS0_14default_configENS1_27scan_by_key_config_selectorIssEEZZNS1_16scan_by_key_implILNS1_25lookback_scan_determinismE0ELb0ES3_N6thrust23THRUST_200600_302600_NS6detail15normal_iteratorINS9_10device_ptrIsEEEESE_SE_sNS9_4plusIsEE19head_flag_predicatesEE10hipError_tPvRmT2_T3_T4_T5_mT6_T7_P12ihipStream_tbENKUlT_T0_E_clISt17integral_constantIbLb1EESY_EEDaST_SU_EUlST_E_NS1_11comp_targetILNS1_3genE8ELNS1_11target_archE1030ELNS1_3gpuE2ELNS1_3repE0EEENS1_30default_config_static_selectorELNS0_4arch9wavefront6targetE0EEEvT1_
; %bb.0:
	.section	.rodata,"a",@progbits
	.p2align	6, 0x0
	.amdhsa_kernel _ZN7rocprim17ROCPRIM_400000_NS6detail17trampoline_kernelINS0_14default_configENS1_27scan_by_key_config_selectorIssEEZZNS1_16scan_by_key_implILNS1_25lookback_scan_determinismE0ELb0ES3_N6thrust23THRUST_200600_302600_NS6detail15normal_iteratorINS9_10device_ptrIsEEEESE_SE_sNS9_4plusIsEE19head_flag_predicatesEE10hipError_tPvRmT2_T3_T4_T5_mT6_T7_P12ihipStream_tbENKUlT_T0_E_clISt17integral_constantIbLb1EESY_EEDaST_SU_EUlST_E_NS1_11comp_targetILNS1_3genE8ELNS1_11target_archE1030ELNS1_3gpuE2ELNS1_3repE0EEENS1_30default_config_static_selectorELNS0_4arch9wavefront6targetE0EEEvT1_
		.amdhsa_group_segment_fixed_size 0
		.amdhsa_private_segment_fixed_size 0
		.amdhsa_kernarg_size 112
		.amdhsa_user_sgpr_count 2
		.amdhsa_user_sgpr_dispatch_ptr 0
		.amdhsa_user_sgpr_queue_ptr 0
		.amdhsa_user_sgpr_kernarg_segment_ptr 1
		.amdhsa_user_sgpr_dispatch_id 0
		.amdhsa_user_sgpr_kernarg_preload_length 0
		.amdhsa_user_sgpr_kernarg_preload_offset 0
		.amdhsa_user_sgpr_private_segment_size 0
		.amdhsa_wavefront_size32 1
		.amdhsa_uses_dynamic_stack 0
		.amdhsa_enable_private_segment 0
		.amdhsa_system_sgpr_workgroup_id_x 1
		.amdhsa_system_sgpr_workgroup_id_y 0
		.amdhsa_system_sgpr_workgroup_id_z 0
		.amdhsa_system_sgpr_workgroup_info 0
		.amdhsa_system_vgpr_workitem_id 0
		.amdhsa_next_free_vgpr 1
		.amdhsa_next_free_sgpr 1
		.amdhsa_named_barrier_count 0
		.amdhsa_reserve_vcc 0
		.amdhsa_float_round_mode_32 0
		.amdhsa_float_round_mode_16_64 0
		.amdhsa_float_denorm_mode_32 3
		.amdhsa_float_denorm_mode_16_64 3
		.amdhsa_fp16_overflow 0
		.amdhsa_memory_ordered 1
		.amdhsa_forward_progress 1
		.amdhsa_inst_pref_size 0
		.amdhsa_round_robin_scheduling 0
		.amdhsa_exception_fp_ieee_invalid_op 0
		.amdhsa_exception_fp_denorm_src 0
		.amdhsa_exception_fp_ieee_div_zero 0
		.amdhsa_exception_fp_ieee_overflow 0
		.amdhsa_exception_fp_ieee_underflow 0
		.amdhsa_exception_fp_ieee_inexact 0
		.amdhsa_exception_int_div_zero 0
	.end_amdhsa_kernel
	.section	.text._ZN7rocprim17ROCPRIM_400000_NS6detail17trampoline_kernelINS0_14default_configENS1_27scan_by_key_config_selectorIssEEZZNS1_16scan_by_key_implILNS1_25lookback_scan_determinismE0ELb0ES3_N6thrust23THRUST_200600_302600_NS6detail15normal_iteratorINS9_10device_ptrIsEEEESE_SE_sNS9_4plusIsEE19head_flag_predicatesEE10hipError_tPvRmT2_T3_T4_T5_mT6_T7_P12ihipStream_tbENKUlT_T0_E_clISt17integral_constantIbLb1EESY_EEDaST_SU_EUlST_E_NS1_11comp_targetILNS1_3genE8ELNS1_11target_archE1030ELNS1_3gpuE2ELNS1_3repE0EEENS1_30default_config_static_selectorELNS0_4arch9wavefront6targetE0EEEvT1_,"axG",@progbits,_ZN7rocprim17ROCPRIM_400000_NS6detail17trampoline_kernelINS0_14default_configENS1_27scan_by_key_config_selectorIssEEZZNS1_16scan_by_key_implILNS1_25lookback_scan_determinismE0ELb0ES3_N6thrust23THRUST_200600_302600_NS6detail15normal_iteratorINS9_10device_ptrIsEEEESE_SE_sNS9_4plusIsEE19head_flag_predicatesEE10hipError_tPvRmT2_T3_T4_T5_mT6_T7_P12ihipStream_tbENKUlT_T0_E_clISt17integral_constantIbLb1EESY_EEDaST_SU_EUlST_E_NS1_11comp_targetILNS1_3genE8ELNS1_11target_archE1030ELNS1_3gpuE2ELNS1_3repE0EEENS1_30default_config_static_selectorELNS0_4arch9wavefront6targetE0EEEvT1_,comdat
.Lfunc_end838:
	.size	_ZN7rocprim17ROCPRIM_400000_NS6detail17trampoline_kernelINS0_14default_configENS1_27scan_by_key_config_selectorIssEEZZNS1_16scan_by_key_implILNS1_25lookback_scan_determinismE0ELb0ES3_N6thrust23THRUST_200600_302600_NS6detail15normal_iteratorINS9_10device_ptrIsEEEESE_SE_sNS9_4plusIsEE19head_flag_predicatesEE10hipError_tPvRmT2_T3_T4_T5_mT6_T7_P12ihipStream_tbENKUlT_T0_E_clISt17integral_constantIbLb1EESY_EEDaST_SU_EUlST_E_NS1_11comp_targetILNS1_3genE8ELNS1_11target_archE1030ELNS1_3gpuE2ELNS1_3repE0EEENS1_30default_config_static_selectorELNS0_4arch9wavefront6targetE0EEEvT1_, .Lfunc_end838-_ZN7rocprim17ROCPRIM_400000_NS6detail17trampoline_kernelINS0_14default_configENS1_27scan_by_key_config_selectorIssEEZZNS1_16scan_by_key_implILNS1_25lookback_scan_determinismE0ELb0ES3_N6thrust23THRUST_200600_302600_NS6detail15normal_iteratorINS9_10device_ptrIsEEEESE_SE_sNS9_4plusIsEE19head_flag_predicatesEE10hipError_tPvRmT2_T3_T4_T5_mT6_T7_P12ihipStream_tbENKUlT_T0_E_clISt17integral_constantIbLb1EESY_EEDaST_SU_EUlST_E_NS1_11comp_targetILNS1_3genE8ELNS1_11target_archE1030ELNS1_3gpuE2ELNS1_3repE0EEENS1_30default_config_static_selectorELNS0_4arch9wavefront6targetE0EEEvT1_
                                        ; -- End function
	.set _ZN7rocprim17ROCPRIM_400000_NS6detail17trampoline_kernelINS0_14default_configENS1_27scan_by_key_config_selectorIssEEZZNS1_16scan_by_key_implILNS1_25lookback_scan_determinismE0ELb0ES3_N6thrust23THRUST_200600_302600_NS6detail15normal_iteratorINS9_10device_ptrIsEEEESE_SE_sNS9_4plusIsEE19head_flag_predicatesEE10hipError_tPvRmT2_T3_T4_T5_mT6_T7_P12ihipStream_tbENKUlT_T0_E_clISt17integral_constantIbLb1EESY_EEDaST_SU_EUlST_E_NS1_11comp_targetILNS1_3genE8ELNS1_11target_archE1030ELNS1_3gpuE2ELNS1_3repE0EEENS1_30default_config_static_selectorELNS0_4arch9wavefront6targetE0EEEvT1_.num_vgpr, 0
	.set _ZN7rocprim17ROCPRIM_400000_NS6detail17trampoline_kernelINS0_14default_configENS1_27scan_by_key_config_selectorIssEEZZNS1_16scan_by_key_implILNS1_25lookback_scan_determinismE0ELb0ES3_N6thrust23THRUST_200600_302600_NS6detail15normal_iteratorINS9_10device_ptrIsEEEESE_SE_sNS9_4plusIsEE19head_flag_predicatesEE10hipError_tPvRmT2_T3_T4_T5_mT6_T7_P12ihipStream_tbENKUlT_T0_E_clISt17integral_constantIbLb1EESY_EEDaST_SU_EUlST_E_NS1_11comp_targetILNS1_3genE8ELNS1_11target_archE1030ELNS1_3gpuE2ELNS1_3repE0EEENS1_30default_config_static_selectorELNS0_4arch9wavefront6targetE0EEEvT1_.num_agpr, 0
	.set _ZN7rocprim17ROCPRIM_400000_NS6detail17trampoline_kernelINS0_14default_configENS1_27scan_by_key_config_selectorIssEEZZNS1_16scan_by_key_implILNS1_25lookback_scan_determinismE0ELb0ES3_N6thrust23THRUST_200600_302600_NS6detail15normal_iteratorINS9_10device_ptrIsEEEESE_SE_sNS9_4plusIsEE19head_flag_predicatesEE10hipError_tPvRmT2_T3_T4_T5_mT6_T7_P12ihipStream_tbENKUlT_T0_E_clISt17integral_constantIbLb1EESY_EEDaST_SU_EUlST_E_NS1_11comp_targetILNS1_3genE8ELNS1_11target_archE1030ELNS1_3gpuE2ELNS1_3repE0EEENS1_30default_config_static_selectorELNS0_4arch9wavefront6targetE0EEEvT1_.numbered_sgpr, 0
	.set _ZN7rocprim17ROCPRIM_400000_NS6detail17trampoline_kernelINS0_14default_configENS1_27scan_by_key_config_selectorIssEEZZNS1_16scan_by_key_implILNS1_25lookback_scan_determinismE0ELb0ES3_N6thrust23THRUST_200600_302600_NS6detail15normal_iteratorINS9_10device_ptrIsEEEESE_SE_sNS9_4plusIsEE19head_flag_predicatesEE10hipError_tPvRmT2_T3_T4_T5_mT6_T7_P12ihipStream_tbENKUlT_T0_E_clISt17integral_constantIbLb1EESY_EEDaST_SU_EUlST_E_NS1_11comp_targetILNS1_3genE8ELNS1_11target_archE1030ELNS1_3gpuE2ELNS1_3repE0EEENS1_30default_config_static_selectorELNS0_4arch9wavefront6targetE0EEEvT1_.num_named_barrier, 0
	.set _ZN7rocprim17ROCPRIM_400000_NS6detail17trampoline_kernelINS0_14default_configENS1_27scan_by_key_config_selectorIssEEZZNS1_16scan_by_key_implILNS1_25lookback_scan_determinismE0ELb0ES3_N6thrust23THRUST_200600_302600_NS6detail15normal_iteratorINS9_10device_ptrIsEEEESE_SE_sNS9_4plusIsEE19head_flag_predicatesEE10hipError_tPvRmT2_T3_T4_T5_mT6_T7_P12ihipStream_tbENKUlT_T0_E_clISt17integral_constantIbLb1EESY_EEDaST_SU_EUlST_E_NS1_11comp_targetILNS1_3genE8ELNS1_11target_archE1030ELNS1_3gpuE2ELNS1_3repE0EEENS1_30default_config_static_selectorELNS0_4arch9wavefront6targetE0EEEvT1_.private_seg_size, 0
	.set _ZN7rocprim17ROCPRIM_400000_NS6detail17trampoline_kernelINS0_14default_configENS1_27scan_by_key_config_selectorIssEEZZNS1_16scan_by_key_implILNS1_25lookback_scan_determinismE0ELb0ES3_N6thrust23THRUST_200600_302600_NS6detail15normal_iteratorINS9_10device_ptrIsEEEESE_SE_sNS9_4plusIsEE19head_flag_predicatesEE10hipError_tPvRmT2_T3_T4_T5_mT6_T7_P12ihipStream_tbENKUlT_T0_E_clISt17integral_constantIbLb1EESY_EEDaST_SU_EUlST_E_NS1_11comp_targetILNS1_3genE8ELNS1_11target_archE1030ELNS1_3gpuE2ELNS1_3repE0EEENS1_30default_config_static_selectorELNS0_4arch9wavefront6targetE0EEEvT1_.uses_vcc, 0
	.set _ZN7rocprim17ROCPRIM_400000_NS6detail17trampoline_kernelINS0_14default_configENS1_27scan_by_key_config_selectorIssEEZZNS1_16scan_by_key_implILNS1_25lookback_scan_determinismE0ELb0ES3_N6thrust23THRUST_200600_302600_NS6detail15normal_iteratorINS9_10device_ptrIsEEEESE_SE_sNS9_4plusIsEE19head_flag_predicatesEE10hipError_tPvRmT2_T3_T4_T5_mT6_T7_P12ihipStream_tbENKUlT_T0_E_clISt17integral_constantIbLb1EESY_EEDaST_SU_EUlST_E_NS1_11comp_targetILNS1_3genE8ELNS1_11target_archE1030ELNS1_3gpuE2ELNS1_3repE0EEENS1_30default_config_static_selectorELNS0_4arch9wavefront6targetE0EEEvT1_.uses_flat_scratch, 0
	.set _ZN7rocprim17ROCPRIM_400000_NS6detail17trampoline_kernelINS0_14default_configENS1_27scan_by_key_config_selectorIssEEZZNS1_16scan_by_key_implILNS1_25lookback_scan_determinismE0ELb0ES3_N6thrust23THRUST_200600_302600_NS6detail15normal_iteratorINS9_10device_ptrIsEEEESE_SE_sNS9_4plusIsEE19head_flag_predicatesEE10hipError_tPvRmT2_T3_T4_T5_mT6_T7_P12ihipStream_tbENKUlT_T0_E_clISt17integral_constantIbLb1EESY_EEDaST_SU_EUlST_E_NS1_11comp_targetILNS1_3genE8ELNS1_11target_archE1030ELNS1_3gpuE2ELNS1_3repE0EEENS1_30default_config_static_selectorELNS0_4arch9wavefront6targetE0EEEvT1_.has_dyn_sized_stack, 0
	.set _ZN7rocprim17ROCPRIM_400000_NS6detail17trampoline_kernelINS0_14default_configENS1_27scan_by_key_config_selectorIssEEZZNS1_16scan_by_key_implILNS1_25lookback_scan_determinismE0ELb0ES3_N6thrust23THRUST_200600_302600_NS6detail15normal_iteratorINS9_10device_ptrIsEEEESE_SE_sNS9_4plusIsEE19head_flag_predicatesEE10hipError_tPvRmT2_T3_T4_T5_mT6_T7_P12ihipStream_tbENKUlT_T0_E_clISt17integral_constantIbLb1EESY_EEDaST_SU_EUlST_E_NS1_11comp_targetILNS1_3genE8ELNS1_11target_archE1030ELNS1_3gpuE2ELNS1_3repE0EEENS1_30default_config_static_selectorELNS0_4arch9wavefront6targetE0EEEvT1_.has_recursion, 0
	.set _ZN7rocprim17ROCPRIM_400000_NS6detail17trampoline_kernelINS0_14default_configENS1_27scan_by_key_config_selectorIssEEZZNS1_16scan_by_key_implILNS1_25lookback_scan_determinismE0ELb0ES3_N6thrust23THRUST_200600_302600_NS6detail15normal_iteratorINS9_10device_ptrIsEEEESE_SE_sNS9_4plusIsEE19head_flag_predicatesEE10hipError_tPvRmT2_T3_T4_T5_mT6_T7_P12ihipStream_tbENKUlT_T0_E_clISt17integral_constantIbLb1EESY_EEDaST_SU_EUlST_E_NS1_11comp_targetILNS1_3genE8ELNS1_11target_archE1030ELNS1_3gpuE2ELNS1_3repE0EEENS1_30default_config_static_selectorELNS0_4arch9wavefront6targetE0EEEvT1_.has_indirect_call, 0
	.section	.AMDGPU.csdata,"",@progbits
; Kernel info:
; codeLenInByte = 0
; TotalNumSgprs: 0
; NumVgprs: 0
; ScratchSize: 0
; MemoryBound: 0
; FloatMode: 240
; IeeeMode: 1
; LDSByteSize: 0 bytes/workgroup (compile time only)
; SGPRBlocks: 0
; VGPRBlocks: 0
; NumSGPRsForWavesPerEU: 1
; NumVGPRsForWavesPerEU: 1
; NamedBarCnt: 0
; Occupancy: 16
; WaveLimiterHint : 0
; COMPUTE_PGM_RSRC2:SCRATCH_EN: 0
; COMPUTE_PGM_RSRC2:USER_SGPR: 2
; COMPUTE_PGM_RSRC2:TRAP_HANDLER: 0
; COMPUTE_PGM_RSRC2:TGID_X_EN: 1
; COMPUTE_PGM_RSRC2:TGID_Y_EN: 0
; COMPUTE_PGM_RSRC2:TGID_Z_EN: 0
; COMPUTE_PGM_RSRC2:TIDIG_COMP_CNT: 0
	.section	.text._ZN7rocprim17ROCPRIM_400000_NS6detail17trampoline_kernelINS0_14default_configENS1_27scan_by_key_config_selectorIssEEZZNS1_16scan_by_key_implILNS1_25lookback_scan_determinismE0ELb0ES3_N6thrust23THRUST_200600_302600_NS6detail15normal_iteratorINS9_10device_ptrIsEEEESE_SE_sNS9_4plusIsEE19head_flag_predicatesEE10hipError_tPvRmT2_T3_T4_T5_mT6_T7_P12ihipStream_tbENKUlT_T0_E_clISt17integral_constantIbLb1EESX_IbLb0EEEEDaST_SU_EUlST_E_NS1_11comp_targetILNS1_3genE0ELNS1_11target_archE4294967295ELNS1_3gpuE0ELNS1_3repE0EEENS1_30default_config_static_selectorELNS0_4arch9wavefront6targetE0EEEvT1_,"axG",@progbits,_ZN7rocprim17ROCPRIM_400000_NS6detail17trampoline_kernelINS0_14default_configENS1_27scan_by_key_config_selectorIssEEZZNS1_16scan_by_key_implILNS1_25lookback_scan_determinismE0ELb0ES3_N6thrust23THRUST_200600_302600_NS6detail15normal_iteratorINS9_10device_ptrIsEEEESE_SE_sNS9_4plusIsEE19head_flag_predicatesEE10hipError_tPvRmT2_T3_T4_T5_mT6_T7_P12ihipStream_tbENKUlT_T0_E_clISt17integral_constantIbLb1EESX_IbLb0EEEEDaST_SU_EUlST_E_NS1_11comp_targetILNS1_3genE0ELNS1_11target_archE4294967295ELNS1_3gpuE0ELNS1_3repE0EEENS1_30default_config_static_selectorELNS0_4arch9wavefront6targetE0EEEvT1_,comdat
	.protected	_ZN7rocprim17ROCPRIM_400000_NS6detail17trampoline_kernelINS0_14default_configENS1_27scan_by_key_config_selectorIssEEZZNS1_16scan_by_key_implILNS1_25lookback_scan_determinismE0ELb0ES3_N6thrust23THRUST_200600_302600_NS6detail15normal_iteratorINS9_10device_ptrIsEEEESE_SE_sNS9_4plusIsEE19head_flag_predicatesEE10hipError_tPvRmT2_T3_T4_T5_mT6_T7_P12ihipStream_tbENKUlT_T0_E_clISt17integral_constantIbLb1EESX_IbLb0EEEEDaST_SU_EUlST_E_NS1_11comp_targetILNS1_3genE0ELNS1_11target_archE4294967295ELNS1_3gpuE0ELNS1_3repE0EEENS1_30default_config_static_selectorELNS0_4arch9wavefront6targetE0EEEvT1_ ; -- Begin function _ZN7rocprim17ROCPRIM_400000_NS6detail17trampoline_kernelINS0_14default_configENS1_27scan_by_key_config_selectorIssEEZZNS1_16scan_by_key_implILNS1_25lookback_scan_determinismE0ELb0ES3_N6thrust23THRUST_200600_302600_NS6detail15normal_iteratorINS9_10device_ptrIsEEEESE_SE_sNS9_4plusIsEE19head_flag_predicatesEE10hipError_tPvRmT2_T3_T4_T5_mT6_T7_P12ihipStream_tbENKUlT_T0_E_clISt17integral_constantIbLb1EESX_IbLb0EEEEDaST_SU_EUlST_E_NS1_11comp_targetILNS1_3genE0ELNS1_11target_archE4294967295ELNS1_3gpuE0ELNS1_3repE0EEENS1_30default_config_static_selectorELNS0_4arch9wavefront6targetE0EEEvT1_
	.globl	_ZN7rocprim17ROCPRIM_400000_NS6detail17trampoline_kernelINS0_14default_configENS1_27scan_by_key_config_selectorIssEEZZNS1_16scan_by_key_implILNS1_25lookback_scan_determinismE0ELb0ES3_N6thrust23THRUST_200600_302600_NS6detail15normal_iteratorINS9_10device_ptrIsEEEESE_SE_sNS9_4plusIsEE19head_flag_predicatesEE10hipError_tPvRmT2_T3_T4_T5_mT6_T7_P12ihipStream_tbENKUlT_T0_E_clISt17integral_constantIbLb1EESX_IbLb0EEEEDaST_SU_EUlST_E_NS1_11comp_targetILNS1_3genE0ELNS1_11target_archE4294967295ELNS1_3gpuE0ELNS1_3repE0EEENS1_30default_config_static_selectorELNS0_4arch9wavefront6targetE0EEEvT1_
	.p2align	8
	.type	_ZN7rocprim17ROCPRIM_400000_NS6detail17trampoline_kernelINS0_14default_configENS1_27scan_by_key_config_selectorIssEEZZNS1_16scan_by_key_implILNS1_25lookback_scan_determinismE0ELb0ES3_N6thrust23THRUST_200600_302600_NS6detail15normal_iteratorINS9_10device_ptrIsEEEESE_SE_sNS9_4plusIsEE19head_flag_predicatesEE10hipError_tPvRmT2_T3_T4_T5_mT6_T7_P12ihipStream_tbENKUlT_T0_E_clISt17integral_constantIbLb1EESX_IbLb0EEEEDaST_SU_EUlST_E_NS1_11comp_targetILNS1_3genE0ELNS1_11target_archE4294967295ELNS1_3gpuE0ELNS1_3repE0EEENS1_30default_config_static_selectorELNS0_4arch9wavefront6targetE0EEEvT1_,@function
_ZN7rocprim17ROCPRIM_400000_NS6detail17trampoline_kernelINS0_14default_configENS1_27scan_by_key_config_selectorIssEEZZNS1_16scan_by_key_implILNS1_25lookback_scan_determinismE0ELb0ES3_N6thrust23THRUST_200600_302600_NS6detail15normal_iteratorINS9_10device_ptrIsEEEESE_SE_sNS9_4plusIsEE19head_flag_predicatesEE10hipError_tPvRmT2_T3_T4_T5_mT6_T7_P12ihipStream_tbENKUlT_T0_E_clISt17integral_constantIbLb1EESX_IbLb0EEEEDaST_SU_EUlST_E_NS1_11comp_targetILNS1_3genE0ELNS1_11target_archE4294967295ELNS1_3gpuE0ELNS1_3repE0EEENS1_30default_config_static_selectorELNS0_4arch9wavefront6targetE0EEEvT1_: ; @_ZN7rocprim17ROCPRIM_400000_NS6detail17trampoline_kernelINS0_14default_configENS1_27scan_by_key_config_selectorIssEEZZNS1_16scan_by_key_implILNS1_25lookback_scan_determinismE0ELb0ES3_N6thrust23THRUST_200600_302600_NS6detail15normal_iteratorINS9_10device_ptrIsEEEESE_SE_sNS9_4plusIsEE19head_flag_predicatesEE10hipError_tPvRmT2_T3_T4_T5_mT6_T7_P12ihipStream_tbENKUlT_T0_E_clISt17integral_constantIbLb1EESX_IbLb0EEEEDaST_SU_EUlST_E_NS1_11comp_targetILNS1_3genE0ELNS1_11target_archE4294967295ELNS1_3gpuE0ELNS1_3repE0EEENS1_30default_config_static_selectorELNS0_4arch9wavefront6targetE0EEEvT1_
; %bb.0:
	s_endpgm
	.section	.rodata,"a",@progbits
	.p2align	6, 0x0
	.amdhsa_kernel _ZN7rocprim17ROCPRIM_400000_NS6detail17trampoline_kernelINS0_14default_configENS1_27scan_by_key_config_selectorIssEEZZNS1_16scan_by_key_implILNS1_25lookback_scan_determinismE0ELb0ES3_N6thrust23THRUST_200600_302600_NS6detail15normal_iteratorINS9_10device_ptrIsEEEESE_SE_sNS9_4plusIsEE19head_flag_predicatesEE10hipError_tPvRmT2_T3_T4_T5_mT6_T7_P12ihipStream_tbENKUlT_T0_E_clISt17integral_constantIbLb1EESX_IbLb0EEEEDaST_SU_EUlST_E_NS1_11comp_targetILNS1_3genE0ELNS1_11target_archE4294967295ELNS1_3gpuE0ELNS1_3repE0EEENS1_30default_config_static_selectorELNS0_4arch9wavefront6targetE0EEEvT1_
		.amdhsa_group_segment_fixed_size 0
		.amdhsa_private_segment_fixed_size 0
		.amdhsa_kernarg_size 112
		.amdhsa_user_sgpr_count 2
		.amdhsa_user_sgpr_dispatch_ptr 0
		.amdhsa_user_sgpr_queue_ptr 0
		.amdhsa_user_sgpr_kernarg_segment_ptr 1
		.amdhsa_user_sgpr_dispatch_id 0
		.amdhsa_user_sgpr_kernarg_preload_length 0
		.amdhsa_user_sgpr_kernarg_preload_offset 0
		.amdhsa_user_sgpr_private_segment_size 0
		.amdhsa_wavefront_size32 1
		.amdhsa_uses_dynamic_stack 0
		.amdhsa_enable_private_segment 0
		.amdhsa_system_sgpr_workgroup_id_x 1
		.amdhsa_system_sgpr_workgroup_id_y 0
		.amdhsa_system_sgpr_workgroup_id_z 0
		.amdhsa_system_sgpr_workgroup_info 0
		.amdhsa_system_vgpr_workitem_id 0
		.amdhsa_next_free_vgpr 1
		.amdhsa_next_free_sgpr 1
		.amdhsa_named_barrier_count 0
		.amdhsa_reserve_vcc 0
		.amdhsa_float_round_mode_32 0
		.amdhsa_float_round_mode_16_64 0
		.amdhsa_float_denorm_mode_32 3
		.amdhsa_float_denorm_mode_16_64 3
		.amdhsa_fp16_overflow 0
		.amdhsa_memory_ordered 1
		.amdhsa_forward_progress 1
		.amdhsa_inst_pref_size 1
		.amdhsa_round_robin_scheduling 0
		.amdhsa_exception_fp_ieee_invalid_op 0
		.amdhsa_exception_fp_denorm_src 0
		.amdhsa_exception_fp_ieee_div_zero 0
		.amdhsa_exception_fp_ieee_overflow 0
		.amdhsa_exception_fp_ieee_underflow 0
		.amdhsa_exception_fp_ieee_inexact 0
		.amdhsa_exception_int_div_zero 0
	.end_amdhsa_kernel
	.section	.text._ZN7rocprim17ROCPRIM_400000_NS6detail17trampoline_kernelINS0_14default_configENS1_27scan_by_key_config_selectorIssEEZZNS1_16scan_by_key_implILNS1_25lookback_scan_determinismE0ELb0ES3_N6thrust23THRUST_200600_302600_NS6detail15normal_iteratorINS9_10device_ptrIsEEEESE_SE_sNS9_4plusIsEE19head_flag_predicatesEE10hipError_tPvRmT2_T3_T4_T5_mT6_T7_P12ihipStream_tbENKUlT_T0_E_clISt17integral_constantIbLb1EESX_IbLb0EEEEDaST_SU_EUlST_E_NS1_11comp_targetILNS1_3genE0ELNS1_11target_archE4294967295ELNS1_3gpuE0ELNS1_3repE0EEENS1_30default_config_static_selectorELNS0_4arch9wavefront6targetE0EEEvT1_,"axG",@progbits,_ZN7rocprim17ROCPRIM_400000_NS6detail17trampoline_kernelINS0_14default_configENS1_27scan_by_key_config_selectorIssEEZZNS1_16scan_by_key_implILNS1_25lookback_scan_determinismE0ELb0ES3_N6thrust23THRUST_200600_302600_NS6detail15normal_iteratorINS9_10device_ptrIsEEEESE_SE_sNS9_4plusIsEE19head_flag_predicatesEE10hipError_tPvRmT2_T3_T4_T5_mT6_T7_P12ihipStream_tbENKUlT_T0_E_clISt17integral_constantIbLb1EESX_IbLb0EEEEDaST_SU_EUlST_E_NS1_11comp_targetILNS1_3genE0ELNS1_11target_archE4294967295ELNS1_3gpuE0ELNS1_3repE0EEENS1_30default_config_static_selectorELNS0_4arch9wavefront6targetE0EEEvT1_,comdat
.Lfunc_end839:
	.size	_ZN7rocprim17ROCPRIM_400000_NS6detail17trampoline_kernelINS0_14default_configENS1_27scan_by_key_config_selectorIssEEZZNS1_16scan_by_key_implILNS1_25lookback_scan_determinismE0ELb0ES3_N6thrust23THRUST_200600_302600_NS6detail15normal_iteratorINS9_10device_ptrIsEEEESE_SE_sNS9_4plusIsEE19head_flag_predicatesEE10hipError_tPvRmT2_T3_T4_T5_mT6_T7_P12ihipStream_tbENKUlT_T0_E_clISt17integral_constantIbLb1EESX_IbLb0EEEEDaST_SU_EUlST_E_NS1_11comp_targetILNS1_3genE0ELNS1_11target_archE4294967295ELNS1_3gpuE0ELNS1_3repE0EEENS1_30default_config_static_selectorELNS0_4arch9wavefront6targetE0EEEvT1_, .Lfunc_end839-_ZN7rocprim17ROCPRIM_400000_NS6detail17trampoline_kernelINS0_14default_configENS1_27scan_by_key_config_selectorIssEEZZNS1_16scan_by_key_implILNS1_25lookback_scan_determinismE0ELb0ES3_N6thrust23THRUST_200600_302600_NS6detail15normal_iteratorINS9_10device_ptrIsEEEESE_SE_sNS9_4plusIsEE19head_flag_predicatesEE10hipError_tPvRmT2_T3_T4_T5_mT6_T7_P12ihipStream_tbENKUlT_T0_E_clISt17integral_constantIbLb1EESX_IbLb0EEEEDaST_SU_EUlST_E_NS1_11comp_targetILNS1_3genE0ELNS1_11target_archE4294967295ELNS1_3gpuE0ELNS1_3repE0EEENS1_30default_config_static_selectorELNS0_4arch9wavefront6targetE0EEEvT1_
                                        ; -- End function
	.set _ZN7rocprim17ROCPRIM_400000_NS6detail17trampoline_kernelINS0_14default_configENS1_27scan_by_key_config_selectorIssEEZZNS1_16scan_by_key_implILNS1_25lookback_scan_determinismE0ELb0ES3_N6thrust23THRUST_200600_302600_NS6detail15normal_iteratorINS9_10device_ptrIsEEEESE_SE_sNS9_4plusIsEE19head_flag_predicatesEE10hipError_tPvRmT2_T3_T4_T5_mT6_T7_P12ihipStream_tbENKUlT_T0_E_clISt17integral_constantIbLb1EESX_IbLb0EEEEDaST_SU_EUlST_E_NS1_11comp_targetILNS1_3genE0ELNS1_11target_archE4294967295ELNS1_3gpuE0ELNS1_3repE0EEENS1_30default_config_static_selectorELNS0_4arch9wavefront6targetE0EEEvT1_.num_vgpr, 0
	.set _ZN7rocprim17ROCPRIM_400000_NS6detail17trampoline_kernelINS0_14default_configENS1_27scan_by_key_config_selectorIssEEZZNS1_16scan_by_key_implILNS1_25lookback_scan_determinismE0ELb0ES3_N6thrust23THRUST_200600_302600_NS6detail15normal_iteratorINS9_10device_ptrIsEEEESE_SE_sNS9_4plusIsEE19head_flag_predicatesEE10hipError_tPvRmT2_T3_T4_T5_mT6_T7_P12ihipStream_tbENKUlT_T0_E_clISt17integral_constantIbLb1EESX_IbLb0EEEEDaST_SU_EUlST_E_NS1_11comp_targetILNS1_3genE0ELNS1_11target_archE4294967295ELNS1_3gpuE0ELNS1_3repE0EEENS1_30default_config_static_selectorELNS0_4arch9wavefront6targetE0EEEvT1_.num_agpr, 0
	.set _ZN7rocprim17ROCPRIM_400000_NS6detail17trampoline_kernelINS0_14default_configENS1_27scan_by_key_config_selectorIssEEZZNS1_16scan_by_key_implILNS1_25lookback_scan_determinismE0ELb0ES3_N6thrust23THRUST_200600_302600_NS6detail15normal_iteratorINS9_10device_ptrIsEEEESE_SE_sNS9_4plusIsEE19head_flag_predicatesEE10hipError_tPvRmT2_T3_T4_T5_mT6_T7_P12ihipStream_tbENKUlT_T0_E_clISt17integral_constantIbLb1EESX_IbLb0EEEEDaST_SU_EUlST_E_NS1_11comp_targetILNS1_3genE0ELNS1_11target_archE4294967295ELNS1_3gpuE0ELNS1_3repE0EEENS1_30default_config_static_selectorELNS0_4arch9wavefront6targetE0EEEvT1_.numbered_sgpr, 0
	.set _ZN7rocprim17ROCPRIM_400000_NS6detail17trampoline_kernelINS0_14default_configENS1_27scan_by_key_config_selectorIssEEZZNS1_16scan_by_key_implILNS1_25lookback_scan_determinismE0ELb0ES3_N6thrust23THRUST_200600_302600_NS6detail15normal_iteratorINS9_10device_ptrIsEEEESE_SE_sNS9_4plusIsEE19head_flag_predicatesEE10hipError_tPvRmT2_T3_T4_T5_mT6_T7_P12ihipStream_tbENKUlT_T0_E_clISt17integral_constantIbLb1EESX_IbLb0EEEEDaST_SU_EUlST_E_NS1_11comp_targetILNS1_3genE0ELNS1_11target_archE4294967295ELNS1_3gpuE0ELNS1_3repE0EEENS1_30default_config_static_selectorELNS0_4arch9wavefront6targetE0EEEvT1_.num_named_barrier, 0
	.set _ZN7rocprim17ROCPRIM_400000_NS6detail17trampoline_kernelINS0_14default_configENS1_27scan_by_key_config_selectorIssEEZZNS1_16scan_by_key_implILNS1_25lookback_scan_determinismE0ELb0ES3_N6thrust23THRUST_200600_302600_NS6detail15normal_iteratorINS9_10device_ptrIsEEEESE_SE_sNS9_4plusIsEE19head_flag_predicatesEE10hipError_tPvRmT2_T3_T4_T5_mT6_T7_P12ihipStream_tbENKUlT_T0_E_clISt17integral_constantIbLb1EESX_IbLb0EEEEDaST_SU_EUlST_E_NS1_11comp_targetILNS1_3genE0ELNS1_11target_archE4294967295ELNS1_3gpuE0ELNS1_3repE0EEENS1_30default_config_static_selectorELNS0_4arch9wavefront6targetE0EEEvT1_.private_seg_size, 0
	.set _ZN7rocprim17ROCPRIM_400000_NS6detail17trampoline_kernelINS0_14default_configENS1_27scan_by_key_config_selectorIssEEZZNS1_16scan_by_key_implILNS1_25lookback_scan_determinismE0ELb0ES3_N6thrust23THRUST_200600_302600_NS6detail15normal_iteratorINS9_10device_ptrIsEEEESE_SE_sNS9_4plusIsEE19head_flag_predicatesEE10hipError_tPvRmT2_T3_T4_T5_mT6_T7_P12ihipStream_tbENKUlT_T0_E_clISt17integral_constantIbLb1EESX_IbLb0EEEEDaST_SU_EUlST_E_NS1_11comp_targetILNS1_3genE0ELNS1_11target_archE4294967295ELNS1_3gpuE0ELNS1_3repE0EEENS1_30default_config_static_selectorELNS0_4arch9wavefront6targetE0EEEvT1_.uses_vcc, 0
	.set _ZN7rocprim17ROCPRIM_400000_NS6detail17trampoline_kernelINS0_14default_configENS1_27scan_by_key_config_selectorIssEEZZNS1_16scan_by_key_implILNS1_25lookback_scan_determinismE0ELb0ES3_N6thrust23THRUST_200600_302600_NS6detail15normal_iteratorINS9_10device_ptrIsEEEESE_SE_sNS9_4plusIsEE19head_flag_predicatesEE10hipError_tPvRmT2_T3_T4_T5_mT6_T7_P12ihipStream_tbENKUlT_T0_E_clISt17integral_constantIbLb1EESX_IbLb0EEEEDaST_SU_EUlST_E_NS1_11comp_targetILNS1_3genE0ELNS1_11target_archE4294967295ELNS1_3gpuE0ELNS1_3repE0EEENS1_30default_config_static_selectorELNS0_4arch9wavefront6targetE0EEEvT1_.uses_flat_scratch, 0
	.set _ZN7rocprim17ROCPRIM_400000_NS6detail17trampoline_kernelINS0_14default_configENS1_27scan_by_key_config_selectorIssEEZZNS1_16scan_by_key_implILNS1_25lookback_scan_determinismE0ELb0ES3_N6thrust23THRUST_200600_302600_NS6detail15normal_iteratorINS9_10device_ptrIsEEEESE_SE_sNS9_4plusIsEE19head_flag_predicatesEE10hipError_tPvRmT2_T3_T4_T5_mT6_T7_P12ihipStream_tbENKUlT_T0_E_clISt17integral_constantIbLb1EESX_IbLb0EEEEDaST_SU_EUlST_E_NS1_11comp_targetILNS1_3genE0ELNS1_11target_archE4294967295ELNS1_3gpuE0ELNS1_3repE0EEENS1_30default_config_static_selectorELNS0_4arch9wavefront6targetE0EEEvT1_.has_dyn_sized_stack, 0
	.set _ZN7rocprim17ROCPRIM_400000_NS6detail17trampoline_kernelINS0_14default_configENS1_27scan_by_key_config_selectorIssEEZZNS1_16scan_by_key_implILNS1_25lookback_scan_determinismE0ELb0ES3_N6thrust23THRUST_200600_302600_NS6detail15normal_iteratorINS9_10device_ptrIsEEEESE_SE_sNS9_4plusIsEE19head_flag_predicatesEE10hipError_tPvRmT2_T3_T4_T5_mT6_T7_P12ihipStream_tbENKUlT_T0_E_clISt17integral_constantIbLb1EESX_IbLb0EEEEDaST_SU_EUlST_E_NS1_11comp_targetILNS1_3genE0ELNS1_11target_archE4294967295ELNS1_3gpuE0ELNS1_3repE0EEENS1_30default_config_static_selectorELNS0_4arch9wavefront6targetE0EEEvT1_.has_recursion, 0
	.set _ZN7rocprim17ROCPRIM_400000_NS6detail17trampoline_kernelINS0_14default_configENS1_27scan_by_key_config_selectorIssEEZZNS1_16scan_by_key_implILNS1_25lookback_scan_determinismE0ELb0ES3_N6thrust23THRUST_200600_302600_NS6detail15normal_iteratorINS9_10device_ptrIsEEEESE_SE_sNS9_4plusIsEE19head_flag_predicatesEE10hipError_tPvRmT2_T3_T4_T5_mT6_T7_P12ihipStream_tbENKUlT_T0_E_clISt17integral_constantIbLb1EESX_IbLb0EEEEDaST_SU_EUlST_E_NS1_11comp_targetILNS1_3genE0ELNS1_11target_archE4294967295ELNS1_3gpuE0ELNS1_3repE0EEENS1_30default_config_static_selectorELNS0_4arch9wavefront6targetE0EEEvT1_.has_indirect_call, 0
	.section	.AMDGPU.csdata,"",@progbits
; Kernel info:
; codeLenInByte = 4
; TotalNumSgprs: 0
; NumVgprs: 0
; ScratchSize: 0
; MemoryBound: 0
; FloatMode: 240
; IeeeMode: 1
; LDSByteSize: 0 bytes/workgroup (compile time only)
; SGPRBlocks: 0
; VGPRBlocks: 0
; NumSGPRsForWavesPerEU: 1
; NumVGPRsForWavesPerEU: 1
; NamedBarCnt: 0
; Occupancy: 16
; WaveLimiterHint : 0
; COMPUTE_PGM_RSRC2:SCRATCH_EN: 0
; COMPUTE_PGM_RSRC2:USER_SGPR: 2
; COMPUTE_PGM_RSRC2:TRAP_HANDLER: 0
; COMPUTE_PGM_RSRC2:TGID_X_EN: 1
; COMPUTE_PGM_RSRC2:TGID_Y_EN: 0
; COMPUTE_PGM_RSRC2:TGID_Z_EN: 0
; COMPUTE_PGM_RSRC2:TIDIG_COMP_CNT: 0
	.section	.text._ZN7rocprim17ROCPRIM_400000_NS6detail17trampoline_kernelINS0_14default_configENS1_27scan_by_key_config_selectorIssEEZZNS1_16scan_by_key_implILNS1_25lookback_scan_determinismE0ELb0ES3_N6thrust23THRUST_200600_302600_NS6detail15normal_iteratorINS9_10device_ptrIsEEEESE_SE_sNS9_4plusIsEE19head_flag_predicatesEE10hipError_tPvRmT2_T3_T4_T5_mT6_T7_P12ihipStream_tbENKUlT_T0_E_clISt17integral_constantIbLb1EESX_IbLb0EEEEDaST_SU_EUlST_E_NS1_11comp_targetILNS1_3genE10ELNS1_11target_archE1201ELNS1_3gpuE5ELNS1_3repE0EEENS1_30default_config_static_selectorELNS0_4arch9wavefront6targetE0EEEvT1_,"axG",@progbits,_ZN7rocprim17ROCPRIM_400000_NS6detail17trampoline_kernelINS0_14default_configENS1_27scan_by_key_config_selectorIssEEZZNS1_16scan_by_key_implILNS1_25lookback_scan_determinismE0ELb0ES3_N6thrust23THRUST_200600_302600_NS6detail15normal_iteratorINS9_10device_ptrIsEEEESE_SE_sNS9_4plusIsEE19head_flag_predicatesEE10hipError_tPvRmT2_T3_T4_T5_mT6_T7_P12ihipStream_tbENKUlT_T0_E_clISt17integral_constantIbLb1EESX_IbLb0EEEEDaST_SU_EUlST_E_NS1_11comp_targetILNS1_3genE10ELNS1_11target_archE1201ELNS1_3gpuE5ELNS1_3repE0EEENS1_30default_config_static_selectorELNS0_4arch9wavefront6targetE0EEEvT1_,comdat
	.protected	_ZN7rocprim17ROCPRIM_400000_NS6detail17trampoline_kernelINS0_14default_configENS1_27scan_by_key_config_selectorIssEEZZNS1_16scan_by_key_implILNS1_25lookback_scan_determinismE0ELb0ES3_N6thrust23THRUST_200600_302600_NS6detail15normal_iteratorINS9_10device_ptrIsEEEESE_SE_sNS9_4plusIsEE19head_flag_predicatesEE10hipError_tPvRmT2_T3_T4_T5_mT6_T7_P12ihipStream_tbENKUlT_T0_E_clISt17integral_constantIbLb1EESX_IbLb0EEEEDaST_SU_EUlST_E_NS1_11comp_targetILNS1_3genE10ELNS1_11target_archE1201ELNS1_3gpuE5ELNS1_3repE0EEENS1_30default_config_static_selectorELNS0_4arch9wavefront6targetE0EEEvT1_ ; -- Begin function _ZN7rocprim17ROCPRIM_400000_NS6detail17trampoline_kernelINS0_14default_configENS1_27scan_by_key_config_selectorIssEEZZNS1_16scan_by_key_implILNS1_25lookback_scan_determinismE0ELb0ES3_N6thrust23THRUST_200600_302600_NS6detail15normal_iteratorINS9_10device_ptrIsEEEESE_SE_sNS9_4plusIsEE19head_flag_predicatesEE10hipError_tPvRmT2_T3_T4_T5_mT6_T7_P12ihipStream_tbENKUlT_T0_E_clISt17integral_constantIbLb1EESX_IbLb0EEEEDaST_SU_EUlST_E_NS1_11comp_targetILNS1_3genE10ELNS1_11target_archE1201ELNS1_3gpuE5ELNS1_3repE0EEENS1_30default_config_static_selectorELNS0_4arch9wavefront6targetE0EEEvT1_
	.globl	_ZN7rocprim17ROCPRIM_400000_NS6detail17trampoline_kernelINS0_14default_configENS1_27scan_by_key_config_selectorIssEEZZNS1_16scan_by_key_implILNS1_25lookback_scan_determinismE0ELb0ES3_N6thrust23THRUST_200600_302600_NS6detail15normal_iteratorINS9_10device_ptrIsEEEESE_SE_sNS9_4plusIsEE19head_flag_predicatesEE10hipError_tPvRmT2_T3_T4_T5_mT6_T7_P12ihipStream_tbENKUlT_T0_E_clISt17integral_constantIbLb1EESX_IbLb0EEEEDaST_SU_EUlST_E_NS1_11comp_targetILNS1_3genE10ELNS1_11target_archE1201ELNS1_3gpuE5ELNS1_3repE0EEENS1_30default_config_static_selectorELNS0_4arch9wavefront6targetE0EEEvT1_
	.p2align	8
	.type	_ZN7rocprim17ROCPRIM_400000_NS6detail17trampoline_kernelINS0_14default_configENS1_27scan_by_key_config_selectorIssEEZZNS1_16scan_by_key_implILNS1_25lookback_scan_determinismE0ELb0ES3_N6thrust23THRUST_200600_302600_NS6detail15normal_iteratorINS9_10device_ptrIsEEEESE_SE_sNS9_4plusIsEE19head_flag_predicatesEE10hipError_tPvRmT2_T3_T4_T5_mT6_T7_P12ihipStream_tbENKUlT_T0_E_clISt17integral_constantIbLb1EESX_IbLb0EEEEDaST_SU_EUlST_E_NS1_11comp_targetILNS1_3genE10ELNS1_11target_archE1201ELNS1_3gpuE5ELNS1_3repE0EEENS1_30default_config_static_selectorELNS0_4arch9wavefront6targetE0EEEvT1_,@function
_ZN7rocprim17ROCPRIM_400000_NS6detail17trampoline_kernelINS0_14default_configENS1_27scan_by_key_config_selectorIssEEZZNS1_16scan_by_key_implILNS1_25lookback_scan_determinismE0ELb0ES3_N6thrust23THRUST_200600_302600_NS6detail15normal_iteratorINS9_10device_ptrIsEEEESE_SE_sNS9_4plusIsEE19head_flag_predicatesEE10hipError_tPvRmT2_T3_T4_T5_mT6_T7_P12ihipStream_tbENKUlT_T0_E_clISt17integral_constantIbLb1EESX_IbLb0EEEEDaST_SU_EUlST_E_NS1_11comp_targetILNS1_3genE10ELNS1_11target_archE1201ELNS1_3gpuE5ELNS1_3repE0EEENS1_30default_config_static_selectorELNS0_4arch9wavefront6targetE0EEEvT1_: ; @_ZN7rocprim17ROCPRIM_400000_NS6detail17trampoline_kernelINS0_14default_configENS1_27scan_by_key_config_selectorIssEEZZNS1_16scan_by_key_implILNS1_25lookback_scan_determinismE0ELb0ES3_N6thrust23THRUST_200600_302600_NS6detail15normal_iteratorINS9_10device_ptrIsEEEESE_SE_sNS9_4plusIsEE19head_flag_predicatesEE10hipError_tPvRmT2_T3_T4_T5_mT6_T7_P12ihipStream_tbENKUlT_T0_E_clISt17integral_constantIbLb1EESX_IbLb0EEEEDaST_SU_EUlST_E_NS1_11comp_targetILNS1_3genE10ELNS1_11target_archE1201ELNS1_3gpuE5ELNS1_3repE0EEENS1_30default_config_static_selectorELNS0_4arch9wavefront6targetE0EEEvT1_
; %bb.0:
	.section	.rodata,"a",@progbits
	.p2align	6, 0x0
	.amdhsa_kernel _ZN7rocprim17ROCPRIM_400000_NS6detail17trampoline_kernelINS0_14default_configENS1_27scan_by_key_config_selectorIssEEZZNS1_16scan_by_key_implILNS1_25lookback_scan_determinismE0ELb0ES3_N6thrust23THRUST_200600_302600_NS6detail15normal_iteratorINS9_10device_ptrIsEEEESE_SE_sNS9_4plusIsEE19head_flag_predicatesEE10hipError_tPvRmT2_T3_T4_T5_mT6_T7_P12ihipStream_tbENKUlT_T0_E_clISt17integral_constantIbLb1EESX_IbLb0EEEEDaST_SU_EUlST_E_NS1_11comp_targetILNS1_3genE10ELNS1_11target_archE1201ELNS1_3gpuE5ELNS1_3repE0EEENS1_30default_config_static_selectorELNS0_4arch9wavefront6targetE0EEEvT1_
		.amdhsa_group_segment_fixed_size 0
		.amdhsa_private_segment_fixed_size 0
		.amdhsa_kernarg_size 112
		.amdhsa_user_sgpr_count 2
		.amdhsa_user_sgpr_dispatch_ptr 0
		.amdhsa_user_sgpr_queue_ptr 0
		.amdhsa_user_sgpr_kernarg_segment_ptr 1
		.amdhsa_user_sgpr_dispatch_id 0
		.amdhsa_user_sgpr_kernarg_preload_length 0
		.amdhsa_user_sgpr_kernarg_preload_offset 0
		.amdhsa_user_sgpr_private_segment_size 0
		.amdhsa_wavefront_size32 1
		.amdhsa_uses_dynamic_stack 0
		.amdhsa_enable_private_segment 0
		.amdhsa_system_sgpr_workgroup_id_x 1
		.amdhsa_system_sgpr_workgroup_id_y 0
		.amdhsa_system_sgpr_workgroup_id_z 0
		.amdhsa_system_sgpr_workgroup_info 0
		.amdhsa_system_vgpr_workitem_id 0
		.amdhsa_next_free_vgpr 1
		.amdhsa_next_free_sgpr 1
		.amdhsa_named_barrier_count 0
		.amdhsa_reserve_vcc 0
		.amdhsa_float_round_mode_32 0
		.amdhsa_float_round_mode_16_64 0
		.amdhsa_float_denorm_mode_32 3
		.amdhsa_float_denorm_mode_16_64 3
		.amdhsa_fp16_overflow 0
		.amdhsa_memory_ordered 1
		.amdhsa_forward_progress 1
		.amdhsa_inst_pref_size 0
		.amdhsa_round_robin_scheduling 0
		.amdhsa_exception_fp_ieee_invalid_op 0
		.amdhsa_exception_fp_denorm_src 0
		.amdhsa_exception_fp_ieee_div_zero 0
		.amdhsa_exception_fp_ieee_overflow 0
		.amdhsa_exception_fp_ieee_underflow 0
		.amdhsa_exception_fp_ieee_inexact 0
		.amdhsa_exception_int_div_zero 0
	.end_amdhsa_kernel
	.section	.text._ZN7rocprim17ROCPRIM_400000_NS6detail17trampoline_kernelINS0_14default_configENS1_27scan_by_key_config_selectorIssEEZZNS1_16scan_by_key_implILNS1_25lookback_scan_determinismE0ELb0ES3_N6thrust23THRUST_200600_302600_NS6detail15normal_iteratorINS9_10device_ptrIsEEEESE_SE_sNS9_4plusIsEE19head_flag_predicatesEE10hipError_tPvRmT2_T3_T4_T5_mT6_T7_P12ihipStream_tbENKUlT_T0_E_clISt17integral_constantIbLb1EESX_IbLb0EEEEDaST_SU_EUlST_E_NS1_11comp_targetILNS1_3genE10ELNS1_11target_archE1201ELNS1_3gpuE5ELNS1_3repE0EEENS1_30default_config_static_selectorELNS0_4arch9wavefront6targetE0EEEvT1_,"axG",@progbits,_ZN7rocprim17ROCPRIM_400000_NS6detail17trampoline_kernelINS0_14default_configENS1_27scan_by_key_config_selectorIssEEZZNS1_16scan_by_key_implILNS1_25lookback_scan_determinismE0ELb0ES3_N6thrust23THRUST_200600_302600_NS6detail15normal_iteratorINS9_10device_ptrIsEEEESE_SE_sNS9_4plusIsEE19head_flag_predicatesEE10hipError_tPvRmT2_T3_T4_T5_mT6_T7_P12ihipStream_tbENKUlT_T0_E_clISt17integral_constantIbLb1EESX_IbLb0EEEEDaST_SU_EUlST_E_NS1_11comp_targetILNS1_3genE10ELNS1_11target_archE1201ELNS1_3gpuE5ELNS1_3repE0EEENS1_30default_config_static_selectorELNS0_4arch9wavefront6targetE0EEEvT1_,comdat
.Lfunc_end840:
	.size	_ZN7rocprim17ROCPRIM_400000_NS6detail17trampoline_kernelINS0_14default_configENS1_27scan_by_key_config_selectorIssEEZZNS1_16scan_by_key_implILNS1_25lookback_scan_determinismE0ELb0ES3_N6thrust23THRUST_200600_302600_NS6detail15normal_iteratorINS9_10device_ptrIsEEEESE_SE_sNS9_4plusIsEE19head_flag_predicatesEE10hipError_tPvRmT2_T3_T4_T5_mT6_T7_P12ihipStream_tbENKUlT_T0_E_clISt17integral_constantIbLb1EESX_IbLb0EEEEDaST_SU_EUlST_E_NS1_11comp_targetILNS1_3genE10ELNS1_11target_archE1201ELNS1_3gpuE5ELNS1_3repE0EEENS1_30default_config_static_selectorELNS0_4arch9wavefront6targetE0EEEvT1_, .Lfunc_end840-_ZN7rocprim17ROCPRIM_400000_NS6detail17trampoline_kernelINS0_14default_configENS1_27scan_by_key_config_selectorIssEEZZNS1_16scan_by_key_implILNS1_25lookback_scan_determinismE0ELb0ES3_N6thrust23THRUST_200600_302600_NS6detail15normal_iteratorINS9_10device_ptrIsEEEESE_SE_sNS9_4plusIsEE19head_flag_predicatesEE10hipError_tPvRmT2_T3_T4_T5_mT6_T7_P12ihipStream_tbENKUlT_T0_E_clISt17integral_constantIbLb1EESX_IbLb0EEEEDaST_SU_EUlST_E_NS1_11comp_targetILNS1_3genE10ELNS1_11target_archE1201ELNS1_3gpuE5ELNS1_3repE0EEENS1_30default_config_static_selectorELNS0_4arch9wavefront6targetE0EEEvT1_
                                        ; -- End function
	.set _ZN7rocprim17ROCPRIM_400000_NS6detail17trampoline_kernelINS0_14default_configENS1_27scan_by_key_config_selectorIssEEZZNS1_16scan_by_key_implILNS1_25lookback_scan_determinismE0ELb0ES3_N6thrust23THRUST_200600_302600_NS6detail15normal_iteratorINS9_10device_ptrIsEEEESE_SE_sNS9_4plusIsEE19head_flag_predicatesEE10hipError_tPvRmT2_T3_T4_T5_mT6_T7_P12ihipStream_tbENKUlT_T0_E_clISt17integral_constantIbLb1EESX_IbLb0EEEEDaST_SU_EUlST_E_NS1_11comp_targetILNS1_3genE10ELNS1_11target_archE1201ELNS1_3gpuE5ELNS1_3repE0EEENS1_30default_config_static_selectorELNS0_4arch9wavefront6targetE0EEEvT1_.num_vgpr, 0
	.set _ZN7rocprim17ROCPRIM_400000_NS6detail17trampoline_kernelINS0_14default_configENS1_27scan_by_key_config_selectorIssEEZZNS1_16scan_by_key_implILNS1_25lookback_scan_determinismE0ELb0ES3_N6thrust23THRUST_200600_302600_NS6detail15normal_iteratorINS9_10device_ptrIsEEEESE_SE_sNS9_4plusIsEE19head_flag_predicatesEE10hipError_tPvRmT2_T3_T4_T5_mT6_T7_P12ihipStream_tbENKUlT_T0_E_clISt17integral_constantIbLb1EESX_IbLb0EEEEDaST_SU_EUlST_E_NS1_11comp_targetILNS1_3genE10ELNS1_11target_archE1201ELNS1_3gpuE5ELNS1_3repE0EEENS1_30default_config_static_selectorELNS0_4arch9wavefront6targetE0EEEvT1_.num_agpr, 0
	.set _ZN7rocprim17ROCPRIM_400000_NS6detail17trampoline_kernelINS0_14default_configENS1_27scan_by_key_config_selectorIssEEZZNS1_16scan_by_key_implILNS1_25lookback_scan_determinismE0ELb0ES3_N6thrust23THRUST_200600_302600_NS6detail15normal_iteratorINS9_10device_ptrIsEEEESE_SE_sNS9_4plusIsEE19head_flag_predicatesEE10hipError_tPvRmT2_T3_T4_T5_mT6_T7_P12ihipStream_tbENKUlT_T0_E_clISt17integral_constantIbLb1EESX_IbLb0EEEEDaST_SU_EUlST_E_NS1_11comp_targetILNS1_3genE10ELNS1_11target_archE1201ELNS1_3gpuE5ELNS1_3repE0EEENS1_30default_config_static_selectorELNS0_4arch9wavefront6targetE0EEEvT1_.numbered_sgpr, 0
	.set _ZN7rocprim17ROCPRIM_400000_NS6detail17trampoline_kernelINS0_14default_configENS1_27scan_by_key_config_selectorIssEEZZNS1_16scan_by_key_implILNS1_25lookback_scan_determinismE0ELb0ES3_N6thrust23THRUST_200600_302600_NS6detail15normal_iteratorINS9_10device_ptrIsEEEESE_SE_sNS9_4plusIsEE19head_flag_predicatesEE10hipError_tPvRmT2_T3_T4_T5_mT6_T7_P12ihipStream_tbENKUlT_T0_E_clISt17integral_constantIbLb1EESX_IbLb0EEEEDaST_SU_EUlST_E_NS1_11comp_targetILNS1_3genE10ELNS1_11target_archE1201ELNS1_3gpuE5ELNS1_3repE0EEENS1_30default_config_static_selectorELNS0_4arch9wavefront6targetE0EEEvT1_.num_named_barrier, 0
	.set _ZN7rocprim17ROCPRIM_400000_NS6detail17trampoline_kernelINS0_14default_configENS1_27scan_by_key_config_selectorIssEEZZNS1_16scan_by_key_implILNS1_25lookback_scan_determinismE0ELb0ES3_N6thrust23THRUST_200600_302600_NS6detail15normal_iteratorINS9_10device_ptrIsEEEESE_SE_sNS9_4plusIsEE19head_flag_predicatesEE10hipError_tPvRmT2_T3_T4_T5_mT6_T7_P12ihipStream_tbENKUlT_T0_E_clISt17integral_constantIbLb1EESX_IbLb0EEEEDaST_SU_EUlST_E_NS1_11comp_targetILNS1_3genE10ELNS1_11target_archE1201ELNS1_3gpuE5ELNS1_3repE0EEENS1_30default_config_static_selectorELNS0_4arch9wavefront6targetE0EEEvT1_.private_seg_size, 0
	.set _ZN7rocprim17ROCPRIM_400000_NS6detail17trampoline_kernelINS0_14default_configENS1_27scan_by_key_config_selectorIssEEZZNS1_16scan_by_key_implILNS1_25lookback_scan_determinismE0ELb0ES3_N6thrust23THRUST_200600_302600_NS6detail15normal_iteratorINS9_10device_ptrIsEEEESE_SE_sNS9_4plusIsEE19head_flag_predicatesEE10hipError_tPvRmT2_T3_T4_T5_mT6_T7_P12ihipStream_tbENKUlT_T0_E_clISt17integral_constantIbLb1EESX_IbLb0EEEEDaST_SU_EUlST_E_NS1_11comp_targetILNS1_3genE10ELNS1_11target_archE1201ELNS1_3gpuE5ELNS1_3repE0EEENS1_30default_config_static_selectorELNS0_4arch9wavefront6targetE0EEEvT1_.uses_vcc, 0
	.set _ZN7rocprim17ROCPRIM_400000_NS6detail17trampoline_kernelINS0_14default_configENS1_27scan_by_key_config_selectorIssEEZZNS1_16scan_by_key_implILNS1_25lookback_scan_determinismE0ELb0ES3_N6thrust23THRUST_200600_302600_NS6detail15normal_iteratorINS9_10device_ptrIsEEEESE_SE_sNS9_4plusIsEE19head_flag_predicatesEE10hipError_tPvRmT2_T3_T4_T5_mT6_T7_P12ihipStream_tbENKUlT_T0_E_clISt17integral_constantIbLb1EESX_IbLb0EEEEDaST_SU_EUlST_E_NS1_11comp_targetILNS1_3genE10ELNS1_11target_archE1201ELNS1_3gpuE5ELNS1_3repE0EEENS1_30default_config_static_selectorELNS0_4arch9wavefront6targetE0EEEvT1_.uses_flat_scratch, 0
	.set _ZN7rocprim17ROCPRIM_400000_NS6detail17trampoline_kernelINS0_14default_configENS1_27scan_by_key_config_selectorIssEEZZNS1_16scan_by_key_implILNS1_25lookback_scan_determinismE0ELb0ES3_N6thrust23THRUST_200600_302600_NS6detail15normal_iteratorINS9_10device_ptrIsEEEESE_SE_sNS9_4plusIsEE19head_flag_predicatesEE10hipError_tPvRmT2_T3_T4_T5_mT6_T7_P12ihipStream_tbENKUlT_T0_E_clISt17integral_constantIbLb1EESX_IbLb0EEEEDaST_SU_EUlST_E_NS1_11comp_targetILNS1_3genE10ELNS1_11target_archE1201ELNS1_3gpuE5ELNS1_3repE0EEENS1_30default_config_static_selectorELNS0_4arch9wavefront6targetE0EEEvT1_.has_dyn_sized_stack, 0
	.set _ZN7rocprim17ROCPRIM_400000_NS6detail17trampoline_kernelINS0_14default_configENS1_27scan_by_key_config_selectorIssEEZZNS1_16scan_by_key_implILNS1_25lookback_scan_determinismE0ELb0ES3_N6thrust23THRUST_200600_302600_NS6detail15normal_iteratorINS9_10device_ptrIsEEEESE_SE_sNS9_4plusIsEE19head_flag_predicatesEE10hipError_tPvRmT2_T3_T4_T5_mT6_T7_P12ihipStream_tbENKUlT_T0_E_clISt17integral_constantIbLb1EESX_IbLb0EEEEDaST_SU_EUlST_E_NS1_11comp_targetILNS1_3genE10ELNS1_11target_archE1201ELNS1_3gpuE5ELNS1_3repE0EEENS1_30default_config_static_selectorELNS0_4arch9wavefront6targetE0EEEvT1_.has_recursion, 0
	.set _ZN7rocprim17ROCPRIM_400000_NS6detail17trampoline_kernelINS0_14default_configENS1_27scan_by_key_config_selectorIssEEZZNS1_16scan_by_key_implILNS1_25lookback_scan_determinismE0ELb0ES3_N6thrust23THRUST_200600_302600_NS6detail15normal_iteratorINS9_10device_ptrIsEEEESE_SE_sNS9_4plusIsEE19head_flag_predicatesEE10hipError_tPvRmT2_T3_T4_T5_mT6_T7_P12ihipStream_tbENKUlT_T0_E_clISt17integral_constantIbLb1EESX_IbLb0EEEEDaST_SU_EUlST_E_NS1_11comp_targetILNS1_3genE10ELNS1_11target_archE1201ELNS1_3gpuE5ELNS1_3repE0EEENS1_30default_config_static_selectorELNS0_4arch9wavefront6targetE0EEEvT1_.has_indirect_call, 0
	.section	.AMDGPU.csdata,"",@progbits
; Kernel info:
; codeLenInByte = 0
; TotalNumSgprs: 0
; NumVgprs: 0
; ScratchSize: 0
; MemoryBound: 0
; FloatMode: 240
; IeeeMode: 1
; LDSByteSize: 0 bytes/workgroup (compile time only)
; SGPRBlocks: 0
; VGPRBlocks: 0
; NumSGPRsForWavesPerEU: 1
; NumVGPRsForWavesPerEU: 1
; NamedBarCnt: 0
; Occupancy: 16
; WaveLimiterHint : 0
; COMPUTE_PGM_RSRC2:SCRATCH_EN: 0
; COMPUTE_PGM_RSRC2:USER_SGPR: 2
; COMPUTE_PGM_RSRC2:TRAP_HANDLER: 0
; COMPUTE_PGM_RSRC2:TGID_X_EN: 1
; COMPUTE_PGM_RSRC2:TGID_Y_EN: 0
; COMPUTE_PGM_RSRC2:TGID_Z_EN: 0
; COMPUTE_PGM_RSRC2:TIDIG_COMP_CNT: 0
	.section	.text._ZN7rocprim17ROCPRIM_400000_NS6detail17trampoline_kernelINS0_14default_configENS1_27scan_by_key_config_selectorIssEEZZNS1_16scan_by_key_implILNS1_25lookback_scan_determinismE0ELb0ES3_N6thrust23THRUST_200600_302600_NS6detail15normal_iteratorINS9_10device_ptrIsEEEESE_SE_sNS9_4plusIsEE19head_flag_predicatesEE10hipError_tPvRmT2_T3_T4_T5_mT6_T7_P12ihipStream_tbENKUlT_T0_E_clISt17integral_constantIbLb1EESX_IbLb0EEEEDaST_SU_EUlST_E_NS1_11comp_targetILNS1_3genE5ELNS1_11target_archE942ELNS1_3gpuE9ELNS1_3repE0EEENS1_30default_config_static_selectorELNS0_4arch9wavefront6targetE0EEEvT1_,"axG",@progbits,_ZN7rocprim17ROCPRIM_400000_NS6detail17trampoline_kernelINS0_14default_configENS1_27scan_by_key_config_selectorIssEEZZNS1_16scan_by_key_implILNS1_25lookback_scan_determinismE0ELb0ES3_N6thrust23THRUST_200600_302600_NS6detail15normal_iteratorINS9_10device_ptrIsEEEESE_SE_sNS9_4plusIsEE19head_flag_predicatesEE10hipError_tPvRmT2_T3_T4_T5_mT6_T7_P12ihipStream_tbENKUlT_T0_E_clISt17integral_constantIbLb1EESX_IbLb0EEEEDaST_SU_EUlST_E_NS1_11comp_targetILNS1_3genE5ELNS1_11target_archE942ELNS1_3gpuE9ELNS1_3repE0EEENS1_30default_config_static_selectorELNS0_4arch9wavefront6targetE0EEEvT1_,comdat
	.protected	_ZN7rocprim17ROCPRIM_400000_NS6detail17trampoline_kernelINS0_14default_configENS1_27scan_by_key_config_selectorIssEEZZNS1_16scan_by_key_implILNS1_25lookback_scan_determinismE0ELb0ES3_N6thrust23THRUST_200600_302600_NS6detail15normal_iteratorINS9_10device_ptrIsEEEESE_SE_sNS9_4plusIsEE19head_flag_predicatesEE10hipError_tPvRmT2_T3_T4_T5_mT6_T7_P12ihipStream_tbENKUlT_T0_E_clISt17integral_constantIbLb1EESX_IbLb0EEEEDaST_SU_EUlST_E_NS1_11comp_targetILNS1_3genE5ELNS1_11target_archE942ELNS1_3gpuE9ELNS1_3repE0EEENS1_30default_config_static_selectorELNS0_4arch9wavefront6targetE0EEEvT1_ ; -- Begin function _ZN7rocprim17ROCPRIM_400000_NS6detail17trampoline_kernelINS0_14default_configENS1_27scan_by_key_config_selectorIssEEZZNS1_16scan_by_key_implILNS1_25lookback_scan_determinismE0ELb0ES3_N6thrust23THRUST_200600_302600_NS6detail15normal_iteratorINS9_10device_ptrIsEEEESE_SE_sNS9_4plusIsEE19head_flag_predicatesEE10hipError_tPvRmT2_T3_T4_T5_mT6_T7_P12ihipStream_tbENKUlT_T0_E_clISt17integral_constantIbLb1EESX_IbLb0EEEEDaST_SU_EUlST_E_NS1_11comp_targetILNS1_3genE5ELNS1_11target_archE942ELNS1_3gpuE9ELNS1_3repE0EEENS1_30default_config_static_selectorELNS0_4arch9wavefront6targetE0EEEvT1_
	.globl	_ZN7rocprim17ROCPRIM_400000_NS6detail17trampoline_kernelINS0_14default_configENS1_27scan_by_key_config_selectorIssEEZZNS1_16scan_by_key_implILNS1_25lookback_scan_determinismE0ELb0ES3_N6thrust23THRUST_200600_302600_NS6detail15normal_iteratorINS9_10device_ptrIsEEEESE_SE_sNS9_4plusIsEE19head_flag_predicatesEE10hipError_tPvRmT2_T3_T4_T5_mT6_T7_P12ihipStream_tbENKUlT_T0_E_clISt17integral_constantIbLb1EESX_IbLb0EEEEDaST_SU_EUlST_E_NS1_11comp_targetILNS1_3genE5ELNS1_11target_archE942ELNS1_3gpuE9ELNS1_3repE0EEENS1_30default_config_static_selectorELNS0_4arch9wavefront6targetE0EEEvT1_
	.p2align	8
	.type	_ZN7rocprim17ROCPRIM_400000_NS6detail17trampoline_kernelINS0_14default_configENS1_27scan_by_key_config_selectorIssEEZZNS1_16scan_by_key_implILNS1_25lookback_scan_determinismE0ELb0ES3_N6thrust23THRUST_200600_302600_NS6detail15normal_iteratorINS9_10device_ptrIsEEEESE_SE_sNS9_4plusIsEE19head_flag_predicatesEE10hipError_tPvRmT2_T3_T4_T5_mT6_T7_P12ihipStream_tbENKUlT_T0_E_clISt17integral_constantIbLb1EESX_IbLb0EEEEDaST_SU_EUlST_E_NS1_11comp_targetILNS1_3genE5ELNS1_11target_archE942ELNS1_3gpuE9ELNS1_3repE0EEENS1_30default_config_static_selectorELNS0_4arch9wavefront6targetE0EEEvT1_,@function
_ZN7rocprim17ROCPRIM_400000_NS6detail17trampoline_kernelINS0_14default_configENS1_27scan_by_key_config_selectorIssEEZZNS1_16scan_by_key_implILNS1_25lookback_scan_determinismE0ELb0ES3_N6thrust23THRUST_200600_302600_NS6detail15normal_iteratorINS9_10device_ptrIsEEEESE_SE_sNS9_4plusIsEE19head_flag_predicatesEE10hipError_tPvRmT2_T3_T4_T5_mT6_T7_P12ihipStream_tbENKUlT_T0_E_clISt17integral_constantIbLb1EESX_IbLb0EEEEDaST_SU_EUlST_E_NS1_11comp_targetILNS1_3genE5ELNS1_11target_archE942ELNS1_3gpuE9ELNS1_3repE0EEENS1_30default_config_static_selectorELNS0_4arch9wavefront6targetE0EEEvT1_: ; @_ZN7rocprim17ROCPRIM_400000_NS6detail17trampoline_kernelINS0_14default_configENS1_27scan_by_key_config_selectorIssEEZZNS1_16scan_by_key_implILNS1_25lookback_scan_determinismE0ELb0ES3_N6thrust23THRUST_200600_302600_NS6detail15normal_iteratorINS9_10device_ptrIsEEEESE_SE_sNS9_4plusIsEE19head_flag_predicatesEE10hipError_tPvRmT2_T3_T4_T5_mT6_T7_P12ihipStream_tbENKUlT_T0_E_clISt17integral_constantIbLb1EESX_IbLb0EEEEDaST_SU_EUlST_E_NS1_11comp_targetILNS1_3genE5ELNS1_11target_archE942ELNS1_3gpuE9ELNS1_3repE0EEENS1_30default_config_static_selectorELNS0_4arch9wavefront6targetE0EEEvT1_
; %bb.0:
	.section	.rodata,"a",@progbits
	.p2align	6, 0x0
	.amdhsa_kernel _ZN7rocprim17ROCPRIM_400000_NS6detail17trampoline_kernelINS0_14default_configENS1_27scan_by_key_config_selectorIssEEZZNS1_16scan_by_key_implILNS1_25lookback_scan_determinismE0ELb0ES3_N6thrust23THRUST_200600_302600_NS6detail15normal_iteratorINS9_10device_ptrIsEEEESE_SE_sNS9_4plusIsEE19head_flag_predicatesEE10hipError_tPvRmT2_T3_T4_T5_mT6_T7_P12ihipStream_tbENKUlT_T0_E_clISt17integral_constantIbLb1EESX_IbLb0EEEEDaST_SU_EUlST_E_NS1_11comp_targetILNS1_3genE5ELNS1_11target_archE942ELNS1_3gpuE9ELNS1_3repE0EEENS1_30default_config_static_selectorELNS0_4arch9wavefront6targetE0EEEvT1_
		.amdhsa_group_segment_fixed_size 0
		.amdhsa_private_segment_fixed_size 0
		.amdhsa_kernarg_size 112
		.amdhsa_user_sgpr_count 2
		.amdhsa_user_sgpr_dispatch_ptr 0
		.amdhsa_user_sgpr_queue_ptr 0
		.amdhsa_user_sgpr_kernarg_segment_ptr 1
		.amdhsa_user_sgpr_dispatch_id 0
		.amdhsa_user_sgpr_kernarg_preload_length 0
		.amdhsa_user_sgpr_kernarg_preload_offset 0
		.amdhsa_user_sgpr_private_segment_size 0
		.amdhsa_wavefront_size32 1
		.amdhsa_uses_dynamic_stack 0
		.amdhsa_enable_private_segment 0
		.amdhsa_system_sgpr_workgroup_id_x 1
		.amdhsa_system_sgpr_workgroup_id_y 0
		.amdhsa_system_sgpr_workgroup_id_z 0
		.amdhsa_system_sgpr_workgroup_info 0
		.amdhsa_system_vgpr_workitem_id 0
		.amdhsa_next_free_vgpr 1
		.amdhsa_next_free_sgpr 1
		.amdhsa_named_barrier_count 0
		.amdhsa_reserve_vcc 0
		.amdhsa_float_round_mode_32 0
		.amdhsa_float_round_mode_16_64 0
		.amdhsa_float_denorm_mode_32 3
		.amdhsa_float_denorm_mode_16_64 3
		.amdhsa_fp16_overflow 0
		.amdhsa_memory_ordered 1
		.amdhsa_forward_progress 1
		.amdhsa_inst_pref_size 0
		.amdhsa_round_robin_scheduling 0
		.amdhsa_exception_fp_ieee_invalid_op 0
		.amdhsa_exception_fp_denorm_src 0
		.amdhsa_exception_fp_ieee_div_zero 0
		.amdhsa_exception_fp_ieee_overflow 0
		.amdhsa_exception_fp_ieee_underflow 0
		.amdhsa_exception_fp_ieee_inexact 0
		.amdhsa_exception_int_div_zero 0
	.end_amdhsa_kernel
	.section	.text._ZN7rocprim17ROCPRIM_400000_NS6detail17trampoline_kernelINS0_14default_configENS1_27scan_by_key_config_selectorIssEEZZNS1_16scan_by_key_implILNS1_25lookback_scan_determinismE0ELb0ES3_N6thrust23THRUST_200600_302600_NS6detail15normal_iteratorINS9_10device_ptrIsEEEESE_SE_sNS9_4plusIsEE19head_flag_predicatesEE10hipError_tPvRmT2_T3_T4_T5_mT6_T7_P12ihipStream_tbENKUlT_T0_E_clISt17integral_constantIbLb1EESX_IbLb0EEEEDaST_SU_EUlST_E_NS1_11comp_targetILNS1_3genE5ELNS1_11target_archE942ELNS1_3gpuE9ELNS1_3repE0EEENS1_30default_config_static_selectorELNS0_4arch9wavefront6targetE0EEEvT1_,"axG",@progbits,_ZN7rocprim17ROCPRIM_400000_NS6detail17trampoline_kernelINS0_14default_configENS1_27scan_by_key_config_selectorIssEEZZNS1_16scan_by_key_implILNS1_25lookback_scan_determinismE0ELb0ES3_N6thrust23THRUST_200600_302600_NS6detail15normal_iteratorINS9_10device_ptrIsEEEESE_SE_sNS9_4plusIsEE19head_flag_predicatesEE10hipError_tPvRmT2_T3_T4_T5_mT6_T7_P12ihipStream_tbENKUlT_T0_E_clISt17integral_constantIbLb1EESX_IbLb0EEEEDaST_SU_EUlST_E_NS1_11comp_targetILNS1_3genE5ELNS1_11target_archE942ELNS1_3gpuE9ELNS1_3repE0EEENS1_30default_config_static_selectorELNS0_4arch9wavefront6targetE0EEEvT1_,comdat
.Lfunc_end841:
	.size	_ZN7rocprim17ROCPRIM_400000_NS6detail17trampoline_kernelINS0_14default_configENS1_27scan_by_key_config_selectorIssEEZZNS1_16scan_by_key_implILNS1_25lookback_scan_determinismE0ELb0ES3_N6thrust23THRUST_200600_302600_NS6detail15normal_iteratorINS9_10device_ptrIsEEEESE_SE_sNS9_4plusIsEE19head_flag_predicatesEE10hipError_tPvRmT2_T3_T4_T5_mT6_T7_P12ihipStream_tbENKUlT_T0_E_clISt17integral_constantIbLb1EESX_IbLb0EEEEDaST_SU_EUlST_E_NS1_11comp_targetILNS1_3genE5ELNS1_11target_archE942ELNS1_3gpuE9ELNS1_3repE0EEENS1_30default_config_static_selectorELNS0_4arch9wavefront6targetE0EEEvT1_, .Lfunc_end841-_ZN7rocprim17ROCPRIM_400000_NS6detail17trampoline_kernelINS0_14default_configENS1_27scan_by_key_config_selectorIssEEZZNS1_16scan_by_key_implILNS1_25lookback_scan_determinismE0ELb0ES3_N6thrust23THRUST_200600_302600_NS6detail15normal_iteratorINS9_10device_ptrIsEEEESE_SE_sNS9_4plusIsEE19head_flag_predicatesEE10hipError_tPvRmT2_T3_T4_T5_mT6_T7_P12ihipStream_tbENKUlT_T0_E_clISt17integral_constantIbLb1EESX_IbLb0EEEEDaST_SU_EUlST_E_NS1_11comp_targetILNS1_3genE5ELNS1_11target_archE942ELNS1_3gpuE9ELNS1_3repE0EEENS1_30default_config_static_selectorELNS0_4arch9wavefront6targetE0EEEvT1_
                                        ; -- End function
	.set _ZN7rocprim17ROCPRIM_400000_NS6detail17trampoline_kernelINS0_14default_configENS1_27scan_by_key_config_selectorIssEEZZNS1_16scan_by_key_implILNS1_25lookback_scan_determinismE0ELb0ES3_N6thrust23THRUST_200600_302600_NS6detail15normal_iteratorINS9_10device_ptrIsEEEESE_SE_sNS9_4plusIsEE19head_flag_predicatesEE10hipError_tPvRmT2_T3_T4_T5_mT6_T7_P12ihipStream_tbENKUlT_T0_E_clISt17integral_constantIbLb1EESX_IbLb0EEEEDaST_SU_EUlST_E_NS1_11comp_targetILNS1_3genE5ELNS1_11target_archE942ELNS1_3gpuE9ELNS1_3repE0EEENS1_30default_config_static_selectorELNS0_4arch9wavefront6targetE0EEEvT1_.num_vgpr, 0
	.set _ZN7rocprim17ROCPRIM_400000_NS6detail17trampoline_kernelINS0_14default_configENS1_27scan_by_key_config_selectorIssEEZZNS1_16scan_by_key_implILNS1_25lookback_scan_determinismE0ELb0ES3_N6thrust23THRUST_200600_302600_NS6detail15normal_iteratorINS9_10device_ptrIsEEEESE_SE_sNS9_4plusIsEE19head_flag_predicatesEE10hipError_tPvRmT2_T3_T4_T5_mT6_T7_P12ihipStream_tbENKUlT_T0_E_clISt17integral_constantIbLb1EESX_IbLb0EEEEDaST_SU_EUlST_E_NS1_11comp_targetILNS1_3genE5ELNS1_11target_archE942ELNS1_3gpuE9ELNS1_3repE0EEENS1_30default_config_static_selectorELNS0_4arch9wavefront6targetE0EEEvT1_.num_agpr, 0
	.set _ZN7rocprim17ROCPRIM_400000_NS6detail17trampoline_kernelINS0_14default_configENS1_27scan_by_key_config_selectorIssEEZZNS1_16scan_by_key_implILNS1_25lookback_scan_determinismE0ELb0ES3_N6thrust23THRUST_200600_302600_NS6detail15normal_iteratorINS9_10device_ptrIsEEEESE_SE_sNS9_4plusIsEE19head_flag_predicatesEE10hipError_tPvRmT2_T3_T4_T5_mT6_T7_P12ihipStream_tbENKUlT_T0_E_clISt17integral_constantIbLb1EESX_IbLb0EEEEDaST_SU_EUlST_E_NS1_11comp_targetILNS1_3genE5ELNS1_11target_archE942ELNS1_3gpuE9ELNS1_3repE0EEENS1_30default_config_static_selectorELNS0_4arch9wavefront6targetE0EEEvT1_.numbered_sgpr, 0
	.set _ZN7rocprim17ROCPRIM_400000_NS6detail17trampoline_kernelINS0_14default_configENS1_27scan_by_key_config_selectorIssEEZZNS1_16scan_by_key_implILNS1_25lookback_scan_determinismE0ELb0ES3_N6thrust23THRUST_200600_302600_NS6detail15normal_iteratorINS9_10device_ptrIsEEEESE_SE_sNS9_4plusIsEE19head_flag_predicatesEE10hipError_tPvRmT2_T3_T4_T5_mT6_T7_P12ihipStream_tbENKUlT_T0_E_clISt17integral_constantIbLb1EESX_IbLb0EEEEDaST_SU_EUlST_E_NS1_11comp_targetILNS1_3genE5ELNS1_11target_archE942ELNS1_3gpuE9ELNS1_3repE0EEENS1_30default_config_static_selectorELNS0_4arch9wavefront6targetE0EEEvT1_.num_named_barrier, 0
	.set _ZN7rocprim17ROCPRIM_400000_NS6detail17trampoline_kernelINS0_14default_configENS1_27scan_by_key_config_selectorIssEEZZNS1_16scan_by_key_implILNS1_25lookback_scan_determinismE0ELb0ES3_N6thrust23THRUST_200600_302600_NS6detail15normal_iteratorINS9_10device_ptrIsEEEESE_SE_sNS9_4plusIsEE19head_flag_predicatesEE10hipError_tPvRmT2_T3_T4_T5_mT6_T7_P12ihipStream_tbENKUlT_T0_E_clISt17integral_constantIbLb1EESX_IbLb0EEEEDaST_SU_EUlST_E_NS1_11comp_targetILNS1_3genE5ELNS1_11target_archE942ELNS1_3gpuE9ELNS1_3repE0EEENS1_30default_config_static_selectorELNS0_4arch9wavefront6targetE0EEEvT1_.private_seg_size, 0
	.set _ZN7rocprim17ROCPRIM_400000_NS6detail17trampoline_kernelINS0_14default_configENS1_27scan_by_key_config_selectorIssEEZZNS1_16scan_by_key_implILNS1_25lookback_scan_determinismE0ELb0ES3_N6thrust23THRUST_200600_302600_NS6detail15normal_iteratorINS9_10device_ptrIsEEEESE_SE_sNS9_4plusIsEE19head_flag_predicatesEE10hipError_tPvRmT2_T3_T4_T5_mT6_T7_P12ihipStream_tbENKUlT_T0_E_clISt17integral_constantIbLb1EESX_IbLb0EEEEDaST_SU_EUlST_E_NS1_11comp_targetILNS1_3genE5ELNS1_11target_archE942ELNS1_3gpuE9ELNS1_3repE0EEENS1_30default_config_static_selectorELNS0_4arch9wavefront6targetE0EEEvT1_.uses_vcc, 0
	.set _ZN7rocprim17ROCPRIM_400000_NS6detail17trampoline_kernelINS0_14default_configENS1_27scan_by_key_config_selectorIssEEZZNS1_16scan_by_key_implILNS1_25lookback_scan_determinismE0ELb0ES3_N6thrust23THRUST_200600_302600_NS6detail15normal_iteratorINS9_10device_ptrIsEEEESE_SE_sNS9_4plusIsEE19head_flag_predicatesEE10hipError_tPvRmT2_T3_T4_T5_mT6_T7_P12ihipStream_tbENKUlT_T0_E_clISt17integral_constantIbLb1EESX_IbLb0EEEEDaST_SU_EUlST_E_NS1_11comp_targetILNS1_3genE5ELNS1_11target_archE942ELNS1_3gpuE9ELNS1_3repE0EEENS1_30default_config_static_selectorELNS0_4arch9wavefront6targetE0EEEvT1_.uses_flat_scratch, 0
	.set _ZN7rocprim17ROCPRIM_400000_NS6detail17trampoline_kernelINS0_14default_configENS1_27scan_by_key_config_selectorIssEEZZNS1_16scan_by_key_implILNS1_25lookback_scan_determinismE0ELb0ES3_N6thrust23THRUST_200600_302600_NS6detail15normal_iteratorINS9_10device_ptrIsEEEESE_SE_sNS9_4plusIsEE19head_flag_predicatesEE10hipError_tPvRmT2_T3_T4_T5_mT6_T7_P12ihipStream_tbENKUlT_T0_E_clISt17integral_constantIbLb1EESX_IbLb0EEEEDaST_SU_EUlST_E_NS1_11comp_targetILNS1_3genE5ELNS1_11target_archE942ELNS1_3gpuE9ELNS1_3repE0EEENS1_30default_config_static_selectorELNS0_4arch9wavefront6targetE0EEEvT1_.has_dyn_sized_stack, 0
	.set _ZN7rocprim17ROCPRIM_400000_NS6detail17trampoline_kernelINS0_14default_configENS1_27scan_by_key_config_selectorIssEEZZNS1_16scan_by_key_implILNS1_25lookback_scan_determinismE0ELb0ES3_N6thrust23THRUST_200600_302600_NS6detail15normal_iteratorINS9_10device_ptrIsEEEESE_SE_sNS9_4plusIsEE19head_flag_predicatesEE10hipError_tPvRmT2_T3_T4_T5_mT6_T7_P12ihipStream_tbENKUlT_T0_E_clISt17integral_constantIbLb1EESX_IbLb0EEEEDaST_SU_EUlST_E_NS1_11comp_targetILNS1_3genE5ELNS1_11target_archE942ELNS1_3gpuE9ELNS1_3repE0EEENS1_30default_config_static_selectorELNS0_4arch9wavefront6targetE0EEEvT1_.has_recursion, 0
	.set _ZN7rocprim17ROCPRIM_400000_NS6detail17trampoline_kernelINS0_14default_configENS1_27scan_by_key_config_selectorIssEEZZNS1_16scan_by_key_implILNS1_25lookback_scan_determinismE0ELb0ES3_N6thrust23THRUST_200600_302600_NS6detail15normal_iteratorINS9_10device_ptrIsEEEESE_SE_sNS9_4plusIsEE19head_flag_predicatesEE10hipError_tPvRmT2_T3_T4_T5_mT6_T7_P12ihipStream_tbENKUlT_T0_E_clISt17integral_constantIbLb1EESX_IbLb0EEEEDaST_SU_EUlST_E_NS1_11comp_targetILNS1_3genE5ELNS1_11target_archE942ELNS1_3gpuE9ELNS1_3repE0EEENS1_30default_config_static_selectorELNS0_4arch9wavefront6targetE0EEEvT1_.has_indirect_call, 0
	.section	.AMDGPU.csdata,"",@progbits
; Kernel info:
; codeLenInByte = 0
; TotalNumSgprs: 0
; NumVgprs: 0
; ScratchSize: 0
; MemoryBound: 0
; FloatMode: 240
; IeeeMode: 1
; LDSByteSize: 0 bytes/workgroup (compile time only)
; SGPRBlocks: 0
; VGPRBlocks: 0
; NumSGPRsForWavesPerEU: 1
; NumVGPRsForWavesPerEU: 1
; NamedBarCnt: 0
; Occupancy: 16
; WaveLimiterHint : 0
; COMPUTE_PGM_RSRC2:SCRATCH_EN: 0
; COMPUTE_PGM_RSRC2:USER_SGPR: 2
; COMPUTE_PGM_RSRC2:TRAP_HANDLER: 0
; COMPUTE_PGM_RSRC2:TGID_X_EN: 1
; COMPUTE_PGM_RSRC2:TGID_Y_EN: 0
; COMPUTE_PGM_RSRC2:TGID_Z_EN: 0
; COMPUTE_PGM_RSRC2:TIDIG_COMP_CNT: 0
	.section	.text._ZN7rocprim17ROCPRIM_400000_NS6detail17trampoline_kernelINS0_14default_configENS1_27scan_by_key_config_selectorIssEEZZNS1_16scan_by_key_implILNS1_25lookback_scan_determinismE0ELb0ES3_N6thrust23THRUST_200600_302600_NS6detail15normal_iteratorINS9_10device_ptrIsEEEESE_SE_sNS9_4plusIsEE19head_flag_predicatesEE10hipError_tPvRmT2_T3_T4_T5_mT6_T7_P12ihipStream_tbENKUlT_T0_E_clISt17integral_constantIbLb1EESX_IbLb0EEEEDaST_SU_EUlST_E_NS1_11comp_targetILNS1_3genE4ELNS1_11target_archE910ELNS1_3gpuE8ELNS1_3repE0EEENS1_30default_config_static_selectorELNS0_4arch9wavefront6targetE0EEEvT1_,"axG",@progbits,_ZN7rocprim17ROCPRIM_400000_NS6detail17trampoline_kernelINS0_14default_configENS1_27scan_by_key_config_selectorIssEEZZNS1_16scan_by_key_implILNS1_25lookback_scan_determinismE0ELb0ES3_N6thrust23THRUST_200600_302600_NS6detail15normal_iteratorINS9_10device_ptrIsEEEESE_SE_sNS9_4plusIsEE19head_flag_predicatesEE10hipError_tPvRmT2_T3_T4_T5_mT6_T7_P12ihipStream_tbENKUlT_T0_E_clISt17integral_constantIbLb1EESX_IbLb0EEEEDaST_SU_EUlST_E_NS1_11comp_targetILNS1_3genE4ELNS1_11target_archE910ELNS1_3gpuE8ELNS1_3repE0EEENS1_30default_config_static_selectorELNS0_4arch9wavefront6targetE0EEEvT1_,comdat
	.protected	_ZN7rocprim17ROCPRIM_400000_NS6detail17trampoline_kernelINS0_14default_configENS1_27scan_by_key_config_selectorIssEEZZNS1_16scan_by_key_implILNS1_25lookback_scan_determinismE0ELb0ES3_N6thrust23THRUST_200600_302600_NS6detail15normal_iteratorINS9_10device_ptrIsEEEESE_SE_sNS9_4plusIsEE19head_flag_predicatesEE10hipError_tPvRmT2_T3_T4_T5_mT6_T7_P12ihipStream_tbENKUlT_T0_E_clISt17integral_constantIbLb1EESX_IbLb0EEEEDaST_SU_EUlST_E_NS1_11comp_targetILNS1_3genE4ELNS1_11target_archE910ELNS1_3gpuE8ELNS1_3repE0EEENS1_30default_config_static_selectorELNS0_4arch9wavefront6targetE0EEEvT1_ ; -- Begin function _ZN7rocprim17ROCPRIM_400000_NS6detail17trampoline_kernelINS0_14default_configENS1_27scan_by_key_config_selectorIssEEZZNS1_16scan_by_key_implILNS1_25lookback_scan_determinismE0ELb0ES3_N6thrust23THRUST_200600_302600_NS6detail15normal_iteratorINS9_10device_ptrIsEEEESE_SE_sNS9_4plusIsEE19head_flag_predicatesEE10hipError_tPvRmT2_T3_T4_T5_mT6_T7_P12ihipStream_tbENKUlT_T0_E_clISt17integral_constantIbLb1EESX_IbLb0EEEEDaST_SU_EUlST_E_NS1_11comp_targetILNS1_3genE4ELNS1_11target_archE910ELNS1_3gpuE8ELNS1_3repE0EEENS1_30default_config_static_selectorELNS0_4arch9wavefront6targetE0EEEvT1_
	.globl	_ZN7rocprim17ROCPRIM_400000_NS6detail17trampoline_kernelINS0_14default_configENS1_27scan_by_key_config_selectorIssEEZZNS1_16scan_by_key_implILNS1_25lookback_scan_determinismE0ELb0ES3_N6thrust23THRUST_200600_302600_NS6detail15normal_iteratorINS9_10device_ptrIsEEEESE_SE_sNS9_4plusIsEE19head_flag_predicatesEE10hipError_tPvRmT2_T3_T4_T5_mT6_T7_P12ihipStream_tbENKUlT_T0_E_clISt17integral_constantIbLb1EESX_IbLb0EEEEDaST_SU_EUlST_E_NS1_11comp_targetILNS1_3genE4ELNS1_11target_archE910ELNS1_3gpuE8ELNS1_3repE0EEENS1_30default_config_static_selectorELNS0_4arch9wavefront6targetE0EEEvT1_
	.p2align	8
	.type	_ZN7rocprim17ROCPRIM_400000_NS6detail17trampoline_kernelINS0_14default_configENS1_27scan_by_key_config_selectorIssEEZZNS1_16scan_by_key_implILNS1_25lookback_scan_determinismE0ELb0ES3_N6thrust23THRUST_200600_302600_NS6detail15normal_iteratorINS9_10device_ptrIsEEEESE_SE_sNS9_4plusIsEE19head_flag_predicatesEE10hipError_tPvRmT2_T3_T4_T5_mT6_T7_P12ihipStream_tbENKUlT_T0_E_clISt17integral_constantIbLb1EESX_IbLb0EEEEDaST_SU_EUlST_E_NS1_11comp_targetILNS1_3genE4ELNS1_11target_archE910ELNS1_3gpuE8ELNS1_3repE0EEENS1_30default_config_static_selectorELNS0_4arch9wavefront6targetE0EEEvT1_,@function
_ZN7rocprim17ROCPRIM_400000_NS6detail17trampoline_kernelINS0_14default_configENS1_27scan_by_key_config_selectorIssEEZZNS1_16scan_by_key_implILNS1_25lookback_scan_determinismE0ELb0ES3_N6thrust23THRUST_200600_302600_NS6detail15normal_iteratorINS9_10device_ptrIsEEEESE_SE_sNS9_4plusIsEE19head_flag_predicatesEE10hipError_tPvRmT2_T3_T4_T5_mT6_T7_P12ihipStream_tbENKUlT_T0_E_clISt17integral_constantIbLb1EESX_IbLb0EEEEDaST_SU_EUlST_E_NS1_11comp_targetILNS1_3genE4ELNS1_11target_archE910ELNS1_3gpuE8ELNS1_3repE0EEENS1_30default_config_static_selectorELNS0_4arch9wavefront6targetE0EEEvT1_: ; @_ZN7rocprim17ROCPRIM_400000_NS6detail17trampoline_kernelINS0_14default_configENS1_27scan_by_key_config_selectorIssEEZZNS1_16scan_by_key_implILNS1_25lookback_scan_determinismE0ELb0ES3_N6thrust23THRUST_200600_302600_NS6detail15normal_iteratorINS9_10device_ptrIsEEEESE_SE_sNS9_4plusIsEE19head_flag_predicatesEE10hipError_tPvRmT2_T3_T4_T5_mT6_T7_P12ihipStream_tbENKUlT_T0_E_clISt17integral_constantIbLb1EESX_IbLb0EEEEDaST_SU_EUlST_E_NS1_11comp_targetILNS1_3genE4ELNS1_11target_archE910ELNS1_3gpuE8ELNS1_3repE0EEENS1_30default_config_static_selectorELNS0_4arch9wavefront6targetE0EEEvT1_
; %bb.0:
	.section	.rodata,"a",@progbits
	.p2align	6, 0x0
	.amdhsa_kernel _ZN7rocprim17ROCPRIM_400000_NS6detail17trampoline_kernelINS0_14default_configENS1_27scan_by_key_config_selectorIssEEZZNS1_16scan_by_key_implILNS1_25lookback_scan_determinismE0ELb0ES3_N6thrust23THRUST_200600_302600_NS6detail15normal_iteratorINS9_10device_ptrIsEEEESE_SE_sNS9_4plusIsEE19head_flag_predicatesEE10hipError_tPvRmT2_T3_T4_T5_mT6_T7_P12ihipStream_tbENKUlT_T0_E_clISt17integral_constantIbLb1EESX_IbLb0EEEEDaST_SU_EUlST_E_NS1_11comp_targetILNS1_3genE4ELNS1_11target_archE910ELNS1_3gpuE8ELNS1_3repE0EEENS1_30default_config_static_selectorELNS0_4arch9wavefront6targetE0EEEvT1_
		.amdhsa_group_segment_fixed_size 0
		.amdhsa_private_segment_fixed_size 0
		.amdhsa_kernarg_size 112
		.amdhsa_user_sgpr_count 2
		.amdhsa_user_sgpr_dispatch_ptr 0
		.amdhsa_user_sgpr_queue_ptr 0
		.amdhsa_user_sgpr_kernarg_segment_ptr 1
		.amdhsa_user_sgpr_dispatch_id 0
		.amdhsa_user_sgpr_kernarg_preload_length 0
		.amdhsa_user_sgpr_kernarg_preload_offset 0
		.amdhsa_user_sgpr_private_segment_size 0
		.amdhsa_wavefront_size32 1
		.amdhsa_uses_dynamic_stack 0
		.amdhsa_enable_private_segment 0
		.amdhsa_system_sgpr_workgroup_id_x 1
		.amdhsa_system_sgpr_workgroup_id_y 0
		.amdhsa_system_sgpr_workgroup_id_z 0
		.amdhsa_system_sgpr_workgroup_info 0
		.amdhsa_system_vgpr_workitem_id 0
		.amdhsa_next_free_vgpr 1
		.amdhsa_next_free_sgpr 1
		.amdhsa_named_barrier_count 0
		.amdhsa_reserve_vcc 0
		.amdhsa_float_round_mode_32 0
		.amdhsa_float_round_mode_16_64 0
		.amdhsa_float_denorm_mode_32 3
		.amdhsa_float_denorm_mode_16_64 3
		.amdhsa_fp16_overflow 0
		.amdhsa_memory_ordered 1
		.amdhsa_forward_progress 1
		.amdhsa_inst_pref_size 0
		.amdhsa_round_robin_scheduling 0
		.amdhsa_exception_fp_ieee_invalid_op 0
		.amdhsa_exception_fp_denorm_src 0
		.amdhsa_exception_fp_ieee_div_zero 0
		.amdhsa_exception_fp_ieee_overflow 0
		.amdhsa_exception_fp_ieee_underflow 0
		.amdhsa_exception_fp_ieee_inexact 0
		.amdhsa_exception_int_div_zero 0
	.end_amdhsa_kernel
	.section	.text._ZN7rocprim17ROCPRIM_400000_NS6detail17trampoline_kernelINS0_14default_configENS1_27scan_by_key_config_selectorIssEEZZNS1_16scan_by_key_implILNS1_25lookback_scan_determinismE0ELb0ES3_N6thrust23THRUST_200600_302600_NS6detail15normal_iteratorINS9_10device_ptrIsEEEESE_SE_sNS9_4plusIsEE19head_flag_predicatesEE10hipError_tPvRmT2_T3_T4_T5_mT6_T7_P12ihipStream_tbENKUlT_T0_E_clISt17integral_constantIbLb1EESX_IbLb0EEEEDaST_SU_EUlST_E_NS1_11comp_targetILNS1_3genE4ELNS1_11target_archE910ELNS1_3gpuE8ELNS1_3repE0EEENS1_30default_config_static_selectorELNS0_4arch9wavefront6targetE0EEEvT1_,"axG",@progbits,_ZN7rocprim17ROCPRIM_400000_NS6detail17trampoline_kernelINS0_14default_configENS1_27scan_by_key_config_selectorIssEEZZNS1_16scan_by_key_implILNS1_25lookback_scan_determinismE0ELb0ES3_N6thrust23THRUST_200600_302600_NS6detail15normal_iteratorINS9_10device_ptrIsEEEESE_SE_sNS9_4plusIsEE19head_flag_predicatesEE10hipError_tPvRmT2_T3_T4_T5_mT6_T7_P12ihipStream_tbENKUlT_T0_E_clISt17integral_constantIbLb1EESX_IbLb0EEEEDaST_SU_EUlST_E_NS1_11comp_targetILNS1_3genE4ELNS1_11target_archE910ELNS1_3gpuE8ELNS1_3repE0EEENS1_30default_config_static_selectorELNS0_4arch9wavefront6targetE0EEEvT1_,comdat
.Lfunc_end842:
	.size	_ZN7rocprim17ROCPRIM_400000_NS6detail17trampoline_kernelINS0_14default_configENS1_27scan_by_key_config_selectorIssEEZZNS1_16scan_by_key_implILNS1_25lookback_scan_determinismE0ELb0ES3_N6thrust23THRUST_200600_302600_NS6detail15normal_iteratorINS9_10device_ptrIsEEEESE_SE_sNS9_4plusIsEE19head_flag_predicatesEE10hipError_tPvRmT2_T3_T4_T5_mT6_T7_P12ihipStream_tbENKUlT_T0_E_clISt17integral_constantIbLb1EESX_IbLb0EEEEDaST_SU_EUlST_E_NS1_11comp_targetILNS1_3genE4ELNS1_11target_archE910ELNS1_3gpuE8ELNS1_3repE0EEENS1_30default_config_static_selectorELNS0_4arch9wavefront6targetE0EEEvT1_, .Lfunc_end842-_ZN7rocprim17ROCPRIM_400000_NS6detail17trampoline_kernelINS0_14default_configENS1_27scan_by_key_config_selectorIssEEZZNS1_16scan_by_key_implILNS1_25lookback_scan_determinismE0ELb0ES3_N6thrust23THRUST_200600_302600_NS6detail15normal_iteratorINS9_10device_ptrIsEEEESE_SE_sNS9_4plusIsEE19head_flag_predicatesEE10hipError_tPvRmT2_T3_T4_T5_mT6_T7_P12ihipStream_tbENKUlT_T0_E_clISt17integral_constantIbLb1EESX_IbLb0EEEEDaST_SU_EUlST_E_NS1_11comp_targetILNS1_3genE4ELNS1_11target_archE910ELNS1_3gpuE8ELNS1_3repE0EEENS1_30default_config_static_selectorELNS0_4arch9wavefront6targetE0EEEvT1_
                                        ; -- End function
	.set _ZN7rocprim17ROCPRIM_400000_NS6detail17trampoline_kernelINS0_14default_configENS1_27scan_by_key_config_selectorIssEEZZNS1_16scan_by_key_implILNS1_25lookback_scan_determinismE0ELb0ES3_N6thrust23THRUST_200600_302600_NS6detail15normal_iteratorINS9_10device_ptrIsEEEESE_SE_sNS9_4plusIsEE19head_flag_predicatesEE10hipError_tPvRmT2_T3_T4_T5_mT6_T7_P12ihipStream_tbENKUlT_T0_E_clISt17integral_constantIbLb1EESX_IbLb0EEEEDaST_SU_EUlST_E_NS1_11comp_targetILNS1_3genE4ELNS1_11target_archE910ELNS1_3gpuE8ELNS1_3repE0EEENS1_30default_config_static_selectorELNS0_4arch9wavefront6targetE0EEEvT1_.num_vgpr, 0
	.set _ZN7rocprim17ROCPRIM_400000_NS6detail17trampoline_kernelINS0_14default_configENS1_27scan_by_key_config_selectorIssEEZZNS1_16scan_by_key_implILNS1_25lookback_scan_determinismE0ELb0ES3_N6thrust23THRUST_200600_302600_NS6detail15normal_iteratorINS9_10device_ptrIsEEEESE_SE_sNS9_4plusIsEE19head_flag_predicatesEE10hipError_tPvRmT2_T3_T4_T5_mT6_T7_P12ihipStream_tbENKUlT_T0_E_clISt17integral_constantIbLb1EESX_IbLb0EEEEDaST_SU_EUlST_E_NS1_11comp_targetILNS1_3genE4ELNS1_11target_archE910ELNS1_3gpuE8ELNS1_3repE0EEENS1_30default_config_static_selectorELNS0_4arch9wavefront6targetE0EEEvT1_.num_agpr, 0
	.set _ZN7rocprim17ROCPRIM_400000_NS6detail17trampoline_kernelINS0_14default_configENS1_27scan_by_key_config_selectorIssEEZZNS1_16scan_by_key_implILNS1_25lookback_scan_determinismE0ELb0ES3_N6thrust23THRUST_200600_302600_NS6detail15normal_iteratorINS9_10device_ptrIsEEEESE_SE_sNS9_4plusIsEE19head_flag_predicatesEE10hipError_tPvRmT2_T3_T4_T5_mT6_T7_P12ihipStream_tbENKUlT_T0_E_clISt17integral_constantIbLb1EESX_IbLb0EEEEDaST_SU_EUlST_E_NS1_11comp_targetILNS1_3genE4ELNS1_11target_archE910ELNS1_3gpuE8ELNS1_3repE0EEENS1_30default_config_static_selectorELNS0_4arch9wavefront6targetE0EEEvT1_.numbered_sgpr, 0
	.set _ZN7rocprim17ROCPRIM_400000_NS6detail17trampoline_kernelINS0_14default_configENS1_27scan_by_key_config_selectorIssEEZZNS1_16scan_by_key_implILNS1_25lookback_scan_determinismE0ELb0ES3_N6thrust23THRUST_200600_302600_NS6detail15normal_iteratorINS9_10device_ptrIsEEEESE_SE_sNS9_4plusIsEE19head_flag_predicatesEE10hipError_tPvRmT2_T3_T4_T5_mT6_T7_P12ihipStream_tbENKUlT_T0_E_clISt17integral_constantIbLb1EESX_IbLb0EEEEDaST_SU_EUlST_E_NS1_11comp_targetILNS1_3genE4ELNS1_11target_archE910ELNS1_3gpuE8ELNS1_3repE0EEENS1_30default_config_static_selectorELNS0_4arch9wavefront6targetE0EEEvT1_.num_named_barrier, 0
	.set _ZN7rocprim17ROCPRIM_400000_NS6detail17trampoline_kernelINS0_14default_configENS1_27scan_by_key_config_selectorIssEEZZNS1_16scan_by_key_implILNS1_25lookback_scan_determinismE0ELb0ES3_N6thrust23THRUST_200600_302600_NS6detail15normal_iteratorINS9_10device_ptrIsEEEESE_SE_sNS9_4plusIsEE19head_flag_predicatesEE10hipError_tPvRmT2_T3_T4_T5_mT6_T7_P12ihipStream_tbENKUlT_T0_E_clISt17integral_constantIbLb1EESX_IbLb0EEEEDaST_SU_EUlST_E_NS1_11comp_targetILNS1_3genE4ELNS1_11target_archE910ELNS1_3gpuE8ELNS1_3repE0EEENS1_30default_config_static_selectorELNS0_4arch9wavefront6targetE0EEEvT1_.private_seg_size, 0
	.set _ZN7rocprim17ROCPRIM_400000_NS6detail17trampoline_kernelINS0_14default_configENS1_27scan_by_key_config_selectorIssEEZZNS1_16scan_by_key_implILNS1_25lookback_scan_determinismE0ELb0ES3_N6thrust23THRUST_200600_302600_NS6detail15normal_iteratorINS9_10device_ptrIsEEEESE_SE_sNS9_4plusIsEE19head_flag_predicatesEE10hipError_tPvRmT2_T3_T4_T5_mT6_T7_P12ihipStream_tbENKUlT_T0_E_clISt17integral_constantIbLb1EESX_IbLb0EEEEDaST_SU_EUlST_E_NS1_11comp_targetILNS1_3genE4ELNS1_11target_archE910ELNS1_3gpuE8ELNS1_3repE0EEENS1_30default_config_static_selectorELNS0_4arch9wavefront6targetE0EEEvT1_.uses_vcc, 0
	.set _ZN7rocprim17ROCPRIM_400000_NS6detail17trampoline_kernelINS0_14default_configENS1_27scan_by_key_config_selectorIssEEZZNS1_16scan_by_key_implILNS1_25lookback_scan_determinismE0ELb0ES3_N6thrust23THRUST_200600_302600_NS6detail15normal_iteratorINS9_10device_ptrIsEEEESE_SE_sNS9_4plusIsEE19head_flag_predicatesEE10hipError_tPvRmT2_T3_T4_T5_mT6_T7_P12ihipStream_tbENKUlT_T0_E_clISt17integral_constantIbLb1EESX_IbLb0EEEEDaST_SU_EUlST_E_NS1_11comp_targetILNS1_3genE4ELNS1_11target_archE910ELNS1_3gpuE8ELNS1_3repE0EEENS1_30default_config_static_selectorELNS0_4arch9wavefront6targetE0EEEvT1_.uses_flat_scratch, 0
	.set _ZN7rocprim17ROCPRIM_400000_NS6detail17trampoline_kernelINS0_14default_configENS1_27scan_by_key_config_selectorIssEEZZNS1_16scan_by_key_implILNS1_25lookback_scan_determinismE0ELb0ES3_N6thrust23THRUST_200600_302600_NS6detail15normal_iteratorINS9_10device_ptrIsEEEESE_SE_sNS9_4plusIsEE19head_flag_predicatesEE10hipError_tPvRmT2_T3_T4_T5_mT6_T7_P12ihipStream_tbENKUlT_T0_E_clISt17integral_constantIbLb1EESX_IbLb0EEEEDaST_SU_EUlST_E_NS1_11comp_targetILNS1_3genE4ELNS1_11target_archE910ELNS1_3gpuE8ELNS1_3repE0EEENS1_30default_config_static_selectorELNS0_4arch9wavefront6targetE0EEEvT1_.has_dyn_sized_stack, 0
	.set _ZN7rocprim17ROCPRIM_400000_NS6detail17trampoline_kernelINS0_14default_configENS1_27scan_by_key_config_selectorIssEEZZNS1_16scan_by_key_implILNS1_25lookback_scan_determinismE0ELb0ES3_N6thrust23THRUST_200600_302600_NS6detail15normal_iteratorINS9_10device_ptrIsEEEESE_SE_sNS9_4plusIsEE19head_flag_predicatesEE10hipError_tPvRmT2_T3_T4_T5_mT6_T7_P12ihipStream_tbENKUlT_T0_E_clISt17integral_constantIbLb1EESX_IbLb0EEEEDaST_SU_EUlST_E_NS1_11comp_targetILNS1_3genE4ELNS1_11target_archE910ELNS1_3gpuE8ELNS1_3repE0EEENS1_30default_config_static_selectorELNS0_4arch9wavefront6targetE0EEEvT1_.has_recursion, 0
	.set _ZN7rocprim17ROCPRIM_400000_NS6detail17trampoline_kernelINS0_14default_configENS1_27scan_by_key_config_selectorIssEEZZNS1_16scan_by_key_implILNS1_25lookback_scan_determinismE0ELb0ES3_N6thrust23THRUST_200600_302600_NS6detail15normal_iteratorINS9_10device_ptrIsEEEESE_SE_sNS9_4plusIsEE19head_flag_predicatesEE10hipError_tPvRmT2_T3_T4_T5_mT6_T7_P12ihipStream_tbENKUlT_T0_E_clISt17integral_constantIbLb1EESX_IbLb0EEEEDaST_SU_EUlST_E_NS1_11comp_targetILNS1_3genE4ELNS1_11target_archE910ELNS1_3gpuE8ELNS1_3repE0EEENS1_30default_config_static_selectorELNS0_4arch9wavefront6targetE0EEEvT1_.has_indirect_call, 0
	.section	.AMDGPU.csdata,"",@progbits
; Kernel info:
; codeLenInByte = 0
; TotalNumSgprs: 0
; NumVgprs: 0
; ScratchSize: 0
; MemoryBound: 0
; FloatMode: 240
; IeeeMode: 1
; LDSByteSize: 0 bytes/workgroup (compile time only)
; SGPRBlocks: 0
; VGPRBlocks: 0
; NumSGPRsForWavesPerEU: 1
; NumVGPRsForWavesPerEU: 1
; NamedBarCnt: 0
; Occupancy: 16
; WaveLimiterHint : 0
; COMPUTE_PGM_RSRC2:SCRATCH_EN: 0
; COMPUTE_PGM_RSRC2:USER_SGPR: 2
; COMPUTE_PGM_RSRC2:TRAP_HANDLER: 0
; COMPUTE_PGM_RSRC2:TGID_X_EN: 1
; COMPUTE_PGM_RSRC2:TGID_Y_EN: 0
; COMPUTE_PGM_RSRC2:TGID_Z_EN: 0
; COMPUTE_PGM_RSRC2:TIDIG_COMP_CNT: 0
	.section	.text._ZN7rocprim17ROCPRIM_400000_NS6detail17trampoline_kernelINS0_14default_configENS1_27scan_by_key_config_selectorIssEEZZNS1_16scan_by_key_implILNS1_25lookback_scan_determinismE0ELb0ES3_N6thrust23THRUST_200600_302600_NS6detail15normal_iteratorINS9_10device_ptrIsEEEESE_SE_sNS9_4plusIsEE19head_flag_predicatesEE10hipError_tPvRmT2_T3_T4_T5_mT6_T7_P12ihipStream_tbENKUlT_T0_E_clISt17integral_constantIbLb1EESX_IbLb0EEEEDaST_SU_EUlST_E_NS1_11comp_targetILNS1_3genE3ELNS1_11target_archE908ELNS1_3gpuE7ELNS1_3repE0EEENS1_30default_config_static_selectorELNS0_4arch9wavefront6targetE0EEEvT1_,"axG",@progbits,_ZN7rocprim17ROCPRIM_400000_NS6detail17trampoline_kernelINS0_14default_configENS1_27scan_by_key_config_selectorIssEEZZNS1_16scan_by_key_implILNS1_25lookback_scan_determinismE0ELb0ES3_N6thrust23THRUST_200600_302600_NS6detail15normal_iteratorINS9_10device_ptrIsEEEESE_SE_sNS9_4plusIsEE19head_flag_predicatesEE10hipError_tPvRmT2_T3_T4_T5_mT6_T7_P12ihipStream_tbENKUlT_T0_E_clISt17integral_constantIbLb1EESX_IbLb0EEEEDaST_SU_EUlST_E_NS1_11comp_targetILNS1_3genE3ELNS1_11target_archE908ELNS1_3gpuE7ELNS1_3repE0EEENS1_30default_config_static_selectorELNS0_4arch9wavefront6targetE0EEEvT1_,comdat
	.protected	_ZN7rocprim17ROCPRIM_400000_NS6detail17trampoline_kernelINS0_14default_configENS1_27scan_by_key_config_selectorIssEEZZNS1_16scan_by_key_implILNS1_25lookback_scan_determinismE0ELb0ES3_N6thrust23THRUST_200600_302600_NS6detail15normal_iteratorINS9_10device_ptrIsEEEESE_SE_sNS9_4plusIsEE19head_flag_predicatesEE10hipError_tPvRmT2_T3_T4_T5_mT6_T7_P12ihipStream_tbENKUlT_T0_E_clISt17integral_constantIbLb1EESX_IbLb0EEEEDaST_SU_EUlST_E_NS1_11comp_targetILNS1_3genE3ELNS1_11target_archE908ELNS1_3gpuE7ELNS1_3repE0EEENS1_30default_config_static_selectorELNS0_4arch9wavefront6targetE0EEEvT1_ ; -- Begin function _ZN7rocprim17ROCPRIM_400000_NS6detail17trampoline_kernelINS0_14default_configENS1_27scan_by_key_config_selectorIssEEZZNS1_16scan_by_key_implILNS1_25lookback_scan_determinismE0ELb0ES3_N6thrust23THRUST_200600_302600_NS6detail15normal_iteratorINS9_10device_ptrIsEEEESE_SE_sNS9_4plusIsEE19head_flag_predicatesEE10hipError_tPvRmT2_T3_T4_T5_mT6_T7_P12ihipStream_tbENKUlT_T0_E_clISt17integral_constantIbLb1EESX_IbLb0EEEEDaST_SU_EUlST_E_NS1_11comp_targetILNS1_3genE3ELNS1_11target_archE908ELNS1_3gpuE7ELNS1_3repE0EEENS1_30default_config_static_selectorELNS0_4arch9wavefront6targetE0EEEvT1_
	.globl	_ZN7rocprim17ROCPRIM_400000_NS6detail17trampoline_kernelINS0_14default_configENS1_27scan_by_key_config_selectorIssEEZZNS1_16scan_by_key_implILNS1_25lookback_scan_determinismE0ELb0ES3_N6thrust23THRUST_200600_302600_NS6detail15normal_iteratorINS9_10device_ptrIsEEEESE_SE_sNS9_4plusIsEE19head_flag_predicatesEE10hipError_tPvRmT2_T3_T4_T5_mT6_T7_P12ihipStream_tbENKUlT_T0_E_clISt17integral_constantIbLb1EESX_IbLb0EEEEDaST_SU_EUlST_E_NS1_11comp_targetILNS1_3genE3ELNS1_11target_archE908ELNS1_3gpuE7ELNS1_3repE0EEENS1_30default_config_static_selectorELNS0_4arch9wavefront6targetE0EEEvT1_
	.p2align	8
	.type	_ZN7rocprim17ROCPRIM_400000_NS6detail17trampoline_kernelINS0_14default_configENS1_27scan_by_key_config_selectorIssEEZZNS1_16scan_by_key_implILNS1_25lookback_scan_determinismE0ELb0ES3_N6thrust23THRUST_200600_302600_NS6detail15normal_iteratorINS9_10device_ptrIsEEEESE_SE_sNS9_4plusIsEE19head_flag_predicatesEE10hipError_tPvRmT2_T3_T4_T5_mT6_T7_P12ihipStream_tbENKUlT_T0_E_clISt17integral_constantIbLb1EESX_IbLb0EEEEDaST_SU_EUlST_E_NS1_11comp_targetILNS1_3genE3ELNS1_11target_archE908ELNS1_3gpuE7ELNS1_3repE0EEENS1_30default_config_static_selectorELNS0_4arch9wavefront6targetE0EEEvT1_,@function
_ZN7rocprim17ROCPRIM_400000_NS6detail17trampoline_kernelINS0_14default_configENS1_27scan_by_key_config_selectorIssEEZZNS1_16scan_by_key_implILNS1_25lookback_scan_determinismE0ELb0ES3_N6thrust23THRUST_200600_302600_NS6detail15normal_iteratorINS9_10device_ptrIsEEEESE_SE_sNS9_4plusIsEE19head_flag_predicatesEE10hipError_tPvRmT2_T3_T4_T5_mT6_T7_P12ihipStream_tbENKUlT_T0_E_clISt17integral_constantIbLb1EESX_IbLb0EEEEDaST_SU_EUlST_E_NS1_11comp_targetILNS1_3genE3ELNS1_11target_archE908ELNS1_3gpuE7ELNS1_3repE0EEENS1_30default_config_static_selectorELNS0_4arch9wavefront6targetE0EEEvT1_: ; @_ZN7rocprim17ROCPRIM_400000_NS6detail17trampoline_kernelINS0_14default_configENS1_27scan_by_key_config_selectorIssEEZZNS1_16scan_by_key_implILNS1_25lookback_scan_determinismE0ELb0ES3_N6thrust23THRUST_200600_302600_NS6detail15normal_iteratorINS9_10device_ptrIsEEEESE_SE_sNS9_4plusIsEE19head_flag_predicatesEE10hipError_tPvRmT2_T3_T4_T5_mT6_T7_P12ihipStream_tbENKUlT_T0_E_clISt17integral_constantIbLb1EESX_IbLb0EEEEDaST_SU_EUlST_E_NS1_11comp_targetILNS1_3genE3ELNS1_11target_archE908ELNS1_3gpuE7ELNS1_3repE0EEENS1_30default_config_static_selectorELNS0_4arch9wavefront6targetE0EEEvT1_
; %bb.0:
	.section	.rodata,"a",@progbits
	.p2align	6, 0x0
	.amdhsa_kernel _ZN7rocprim17ROCPRIM_400000_NS6detail17trampoline_kernelINS0_14default_configENS1_27scan_by_key_config_selectorIssEEZZNS1_16scan_by_key_implILNS1_25lookback_scan_determinismE0ELb0ES3_N6thrust23THRUST_200600_302600_NS6detail15normal_iteratorINS9_10device_ptrIsEEEESE_SE_sNS9_4plusIsEE19head_flag_predicatesEE10hipError_tPvRmT2_T3_T4_T5_mT6_T7_P12ihipStream_tbENKUlT_T0_E_clISt17integral_constantIbLb1EESX_IbLb0EEEEDaST_SU_EUlST_E_NS1_11comp_targetILNS1_3genE3ELNS1_11target_archE908ELNS1_3gpuE7ELNS1_3repE0EEENS1_30default_config_static_selectorELNS0_4arch9wavefront6targetE0EEEvT1_
		.amdhsa_group_segment_fixed_size 0
		.amdhsa_private_segment_fixed_size 0
		.amdhsa_kernarg_size 112
		.amdhsa_user_sgpr_count 2
		.amdhsa_user_sgpr_dispatch_ptr 0
		.amdhsa_user_sgpr_queue_ptr 0
		.amdhsa_user_sgpr_kernarg_segment_ptr 1
		.amdhsa_user_sgpr_dispatch_id 0
		.amdhsa_user_sgpr_kernarg_preload_length 0
		.amdhsa_user_sgpr_kernarg_preload_offset 0
		.amdhsa_user_sgpr_private_segment_size 0
		.amdhsa_wavefront_size32 1
		.amdhsa_uses_dynamic_stack 0
		.amdhsa_enable_private_segment 0
		.amdhsa_system_sgpr_workgroup_id_x 1
		.amdhsa_system_sgpr_workgroup_id_y 0
		.amdhsa_system_sgpr_workgroup_id_z 0
		.amdhsa_system_sgpr_workgroup_info 0
		.amdhsa_system_vgpr_workitem_id 0
		.amdhsa_next_free_vgpr 1
		.amdhsa_next_free_sgpr 1
		.amdhsa_named_barrier_count 0
		.amdhsa_reserve_vcc 0
		.amdhsa_float_round_mode_32 0
		.amdhsa_float_round_mode_16_64 0
		.amdhsa_float_denorm_mode_32 3
		.amdhsa_float_denorm_mode_16_64 3
		.amdhsa_fp16_overflow 0
		.amdhsa_memory_ordered 1
		.amdhsa_forward_progress 1
		.amdhsa_inst_pref_size 0
		.amdhsa_round_robin_scheduling 0
		.amdhsa_exception_fp_ieee_invalid_op 0
		.amdhsa_exception_fp_denorm_src 0
		.amdhsa_exception_fp_ieee_div_zero 0
		.amdhsa_exception_fp_ieee_overflow 0
		.amdhsa_exception_fp_ieee_underflow 0
		.amdhsa_exception_fp_ieee_inexact 0
		.amdhsa_exception_int_div_zero 0
	.end_amdhsa_kernel
	.section	.text._ZN7rocprim17ROCPRIM_400000_NS6detail17trampoline_kernelINS0_14default_configENS1_27scan_by_key_config_selectorIssEEZZNS1_16scan_by_key_implILNS1_25lookback_scan_determinismE0ELb0ES3_N6thrust23THRUST_200600_302600_NS6detail15normal_iteratorINS9_10device_ptrIsEEEESE_SE_sNS9_4plusIsEE19head_flag_predicatesEE10hipError_tPvRmT2_T3_T4_T5_mT6_T7_P12ihipStream_tbENKUlT_T0_E_clISt17integral_constantIbLb1EESX_IbLb0EEEEDaST_SU_EUlST_E_NS1_11comp_targetILNS1_3genE3ELNS1_11target_archE908ELNS1_3gpuE7ELNS1_3repE0EEENS1_30default_config_static_selectorELNS0_4arch9wavefront6targetE0EEEvT1_,"axG",@progbits,_ZN7rocprim17ROCPRIM_400000_NS6detail17trampoline_kernelINS0_14default_configENS1_27scan_by_key_config_selectorIssEEZZNS1_16scan_by_key_implILNS1_25lookback_scan_determinismE0ELb0ES3_N6thrust23THRUST_200600_302600_NS6detail15normal_iteratorINS9_10device_ptrIsEEEESE_SE_sNS9_4plusIsEE19head_flag_predicatesEE10hipError_tPvRmT2_T3_T4_T5_mT6_T7_P12ihipStream_tbENKUlT_T0_E_clISt17integral_constantIbLb1EESX_IbLb0EEEEDaST_SU_EUlST_E_NS1_11comp_targetILNS1_3genE3ELNS1_11target_archE908ELNS1_3gpuE7ELNS1_3repE0EEENS1_30default_config_static_selectorELNS0_4arch9wavefront6targetE0EEEvT1_,comdat
.Lfunc_end843:
	.size	_ZN7rocprim17ROCPRIM_400000_NS6detail17trampoline_kernelINS0_14default_configENS1_27scan_by_key_config_selectorIssEEZZNS1_16scan_by_key_implILNS1_25lookback_scan_determinismE0ELb0ES3_N6thrust23THRUST_200600_302600_NS6detail15normal_iteratorINS9_10device_ptrIsEEEESE_SE_sNS9_4plusIsEE19head_flag_predicatesEE10hipError_tPvRmT2_T3_T4_T5_mT6_T7_P12ihipStream_tbENKUlT_T0_E_clISt17integral_constantIbLb1EESX_IbLb0EEEEDaST_SU_EUlST_E_NS1_11comp_targetILNS1_3genE3ELNS1_11target_archE908ELNS1_3gpuE7ELNS1_3repE0EEENS1_30default_config_static_selectorELNS0_4arch9wavefront6targetE0EEEvT1_, .Lfunc_end843-_ZN7rocprim17ROCPRIM_400000_NS6detail17trampoline_kernelINS0_14default_configENS1_27scan_by_key_config_selectorIssEEZZNS1_16scan_by_key_implILNS1_25lookback_scan_determinismE0ELb0ES3_N6thrust23THRUST_200600_302600_NS6detail15normal_iteratorINS9_10device_ptrIsEEEESE_SE_sNS9_4plusIsEE19head_flag_predicatesEE10hipError_tPvRmT2_T3_T4_T5_mT6_T7_P12ihipStream_tbENKUlT_T0_E_clISt17integral_constantIbLb1EESX_IbLb0EEEEDaST_SU_EUlST_E_NS1_11comp_targetILNS1_3genE3ELNS1_11target_archE908ELNS1_3gpuE7ELNS1_3repE0EEENS1_30default_config_static_selectorELNS0_4arch9wavefront6targetE0EEEvT1_
                                        ; -- End function
	.set _ZN7rocprim17ROCPRIM_400000_NS6detail17trampoline_kernelINS0_14default_configENS1_27scan_by_key_config_selectorIssEEZZNS1_16scan_by_key_implILNS1_25lookback_scan_determinismE0ELb0ES3_N6thrust23THRUST_200600_302600_NS6detail15normal_iteratorINS9_10device_ptrIsEEEESE_SE_sNS9_4plusIsEE19head_flag_predicatesEE10hipError_tPvRmT2_T3_T4_T5_mT6_T7_P12ihipStream_tbENKUlT_T0_E_clISt17integral_constantIbLb1EESX_IbLb0EEEEDaST_SU_EUlST_E_NS1_11comp_targetILNS1_3genE3ELNS1_11target_archE908ELNS1_3gpuE7ELNS1_3repE0EEENS1_30default_config_static_selectorELNS0_4arch9wavefront6targetE0EEEvT1_.num_vgpr, 0
	.set _ZN7rocprim17ROCPRIM_400000_NS6detail17trampoline_kernelINS0_14default_configENS1_27scan_by_key_config_selectorIssEEZZNS1_16scan_by_key_implILNS1_25lookback_scan_determinismE0ELb0ES3_N6thrust23THRUST_200600_302600_NS6detail15normal_iteratorINS9_10device_ptrIsEEEESE_SE_sNS9_4plusIsEE19head_flag_predicatesEE10hipError_tPvRmT2_T3_T4_T5_mT6_T7_P12ihipStream_tbENKUlT_T0_E_clISt17integral_constantIbLb1EESX_IbLb0EEEEDaST_SU_EUlST_E_NS1_11comp_targetILNS1_3genE3ELNS1_11target_archE908ELNS1_3gpuE7ELNS1_3repE0EEENS1_30default_config_static_selectorELNS0_4arch9wavefront6targetE0EEEvT1_.num_agpr, 0
	.set _ZN7rocprim17ROCPRIM_400000_NS6detail17trampoline_kernelINS0_14default_configENS1_27scan_by_key_config_selectorIssEEZZNS1_16scan_by_key_implILNS1_25lookback_scan_determinismE0ELb0ES3_N6thrust23THRUST_200600_302600_NS6detail15normal_iteratorINS9_10device_ptrIsEEEESE_SE_sNS9_4plusIsEE19head_flag_predicatesEE10hipError_tPvRmT2_T3_T4_T5_mT6_T7_P12ihipStream_tbENKUlT_T0_E_clISt17integral_constantIbLb1EESX_IbLb0EEEEDaST_SU_EUlST_E_NS1_11comp_targetILNS1_3genE3ELNS1_11target_archE908ELNS1_3gpuE7ELNS1_3repE0EEENS1_30default_config_static_selectorELNS0_4arch9wavefront6targetE0EEEvT1_.numbered_sgpr, 0
	.set _ZN7rocprim17ROCPRIM_400000_NS6detail17trampoline_kernelINS0_14default_configENS1_27scan_by_key_config_selectorIssEEZZNS1_16scan_by_key_implILNS1_25lookback_scan_determinismE0ELb0ES3_N6thrust23THRUST_200600_302600_NS6detail15normal_iteratorINS9_10device_ptrIsEEEESE_SE_sNS9_4plusIsEE19head_flag_predicatesEE10hipError_tPvRmT2_T3_T4_T5_mT6_T7_P12ihipStream_tbENKUlT_T0_E_clISt17integral_constantIbLb1EESX_IbLb0EEEEDaST_SU_EUlST_E_NS1_11comp_targetILNS1_3genE3ELNS1_11target_archE908ELNS1_3gpuE7ELNS1_3repE0EEENS1_30default_config_static_selectorELNS0_4arch9wavefront6targetE0EEEvT1_.num_named_barrier, 0
	.set _ZN7rocprim17ROCPRIM_400000_NS6detail17trampoline_kernelINS0_14default_configENS1_27scan_by_key_config_selectorIssEEZZNS1_16scan_by_key_implILNS1_25lookback_scan_determinismE0ELb0ES3_N6thrust23THRUST_200600_302600_NS6detail15normal_iteratorINS9_10device_ptrIsEEEESE_SE_sNS9_4plusIsEE19head_flag_predicatesEE10hipError_tPvRmT2_T3_T4_T5_mT6_T7_P12ihipStream_tbENKUlT_T0_E_clISt17integral_constantIbLb1EESX_IbLb0EEEEDaST_SU_EUlST_E_NS1_11comp_targetILNS1_3genE3ELNS1_11target_archE908ELNS1_3gpuE7ELNS1_3repE0EEENS1_30default_config_static_selectorELNS0_4arch9wavefront6targetE0EEEvT1_.private_seg_size, 0
	.set _ZN7rocprim17ROCPRIM_400000_NS6detail17trampoline_kernelINS0_14default_configENS1_27scan_by_key_config_selectorIssEEZZNS1_16scan_by_key_implILNS1_25lookback_scan_determinismE0ELb0ES3_N6thrust23THRUST_200600_302600_NS6detail15normal_iteratorINS9_10device_ptrIsEEEESE_SE_sNS9_4plusIsEE19head_flag_predicatesEE10hipError_tPvRmT2_T3_T4_T5_mT6_T7_P12ihipStream_tbENKUlT_T0_E_clISt17integral_constantIbLb1EESX_IbLb0EEEEDaST_SU_EUlST_E_NS1_11comp_targetILNS1_3genE3ELNS1_11target_archE908ELNS1_3gpuE7ELNS1_3repE0EEENS1_30default_config_static_selectorELNS0_4arch9wavefront6targetE0EEEvT1_.uses_vcc, 0
	.set _ZN7rocprim17ROCPRIM_400000_NS6detail17trampoline_kernelINS0_14default_configENS1_27scan_by_key_config_selectorIssEEZZNS1_16scan_by_key_implILNS1_25lookback_scan_determinismE0ELb0ES3_N6thrust23THRUST_200600_302600_NS6detail15normal_iteratorINS9_10device_ptrIsEEEESE_SE_sNS9_4plusIsEE19head_flag_predicatesEE10hipError_tPvRmT2_T3_T4_T5_mT6_T7_P12ihipStream_tbENKUlT_T0_E_clISt17integral_constantIbLb1EESX_IbLb0EEEEDaST_SU_EUlST_E_NS1_11comp_targetILNS1_3genE3ELNS1_11target_archE908ELNS1_3gpuE7ELNS1_3repE0EEENS1_30default_config_static_selectorELNS0_4arch9wavefront6targetE0EEEvT1_.uses_flat_scratch, 0
	.set _ZN7rocprim17ROCPRIM_400000_NS6detail17trampoline_kernelINS0_14default_configENS1_27scan_by_key_config_selectorIssEEZZNS1_16scan_by_key_implILNS1_25lookback_scan_determinismE0ELb0ES3_N6thrust23THRUST_200600_302600_NS6detail15normal_iteratorINS9_10device_ptrIsEEEESE_SE_sNS9_4plusIsEE19head_flag_predicatesEE10hipError_tPvRmT2_T3_T4_T5_mT6_T7_P12ihipStream_tbENKUlT_T0_E_clISt17integral_constantIbLb1EESX_IbLb0EEEEDaST_SU_EUlST_E_NS1_11comp_targetILNS1_3genE3ELNS1_11target_archE908ELNS1_3gpuE7ELNS1_3repE0EEENS1_30default_config_static_selectorELNS0_4arch9wavefront6targetE0EEEvT1_.has_dyn_sized_stack, 0
	.set _ZN7rocprim17ROCPRIM_400000_NS6detail17trampoline_kernelINS0_14default_configENS1_27scan_by_key_config_selectorIssEEZZNS1_16scan_by_key_implILNS1_25lookback_scan_determinismE0ELb0ES3_N6thrust23THRUST_200600_302600_NS6detail15normal_iteratorINS9_10device_ptrIsEEEESE_SE_sNS9_4plusIsEE19head_flag_predicatesEE10hipError_tPvRmT2_T3_T4_T5_mT6_T7_P12ihipStream_tbENKUlT_T0_E_clISt17integral_constantIbLb1EESX_IbLb0EEEEDaST_SU_EUlST_E_NS1_11comp_targetILNS1_3genE3ELNS1_11target_archE908ELNS1_3gpuE7ELNS1_3repE0EEENS1_30default_config_static_selectorELNS0_4arch9wavefront6targetE0EEEvT1_.has_recursion, 0
	.set _ZN7rocprim17ROCPRIM_400000_NS6detail17trampoline_kernelINS0_14default_configENS1_27scan_by_key_config_selectorIssEEZZNS1_16scan_by_key_implILNS1_25lookback_scan_determinismE0ELb0ES3_N6thrust23THRUST_200600_302600_NS6detail15normal_iteratorINS9_10device_ptrIsEEEESE_SE_sNS9_4plusIsEE19head_flag_predicatesEE10hipError_tPvRmT2_T3_T4_T5_mT6_T7_P12ihipStream_tbENKUlT_T0_E_clISt17integral_constantIbLb1EESX_IbLb0EEEEDaST_SU_EUlST_E_NS1_11comp_targetILNS1_3genE3ELNS1_11target_archE908ELNS1_3gpuE7ELNS1_3repE0EEENS1_30default_config_static_selectorELNS0_4arch9wavefront6targetE0EEEvT1_.has_indirect_call, 0
	.section	.AMDGPU.csdata,"",@progbits
; Kernel info:
; codeLenInByte = 0
; TotalNumSgprs: 0
; NumVgprs: 0
; ScratchSize: 0
; MemoryBound: 0
; FloatMode: 240
; IeeeMode: 1
; LDSByteSize: 0 bytes/workgroup (compile time only)
; SGPRBlocks: 0
; VGPRBlocks: 0
; NumSGPRsForWavesPerEU: 1
; NumVGPRsForWavesPerEU: 1
; NamedBarCnt: 0
; Occupancy: 16
; WaveLimiterHint : 0
; COMPUTE_PGM_RSRC2:SCRATCH_EN: 0
; COMPUTE_PGM_RSRC2:USER_SGPR: 2
; COMPUTE_PGM_RSRC2:TRAP_HANDLER: 0
; COMPUTE_PGM_RSRC2:TGID_X_EN: 1
; COMPUTE_PGM_RSRC2:TGID_Y_EN: 0
; COMPUTE_PGM_RSRC2:TGID_Z_EN: 0
; COMPUTE_PGM_RSRC2:TIDIG_COMP_CNT: 0
	.section	.text._ZN7rocprim17ROCPRIM_400000_NS6detail17trampoline_kernelINS0_14default_configENS1_27scan_by_key_config_selectorIssEEZZNS1_16scan_by_key_implILNS1_25lookback_scan_determinismE0ELb0ES3_N6thrust23THRUST_200600_302600_NS6detail15normal_iteratorINS9_10device_ptrIsEEEESE_SE_sNS9_4plusIsEE19head_flag_predicatesEE10hipError_tPvRmT2_T3_T4_T5_mT6_T7_P12ihipStream_tbENKUlT_T0_E_clISt17integral_constantIbLb1EESX_IbLb0EEEEDaST_SU_EUlST_E_NS1_11comp_targetILNS1_3genE2ELNS1_11target_archE906ELNS1_3gpuE6ELNS1_3repE0EEENS1_30default_config_static_selectorELNS0_4arch9wavefront6targetE0EEEvT1_,"axG",@progbits,_ZN7rocprim17ROCPRIM_400000_NS6detail17trampoline_kernelINS0_14default_configENS1_27scan_by_key_config_selectorIssEEZZNS1_16scan_by_key_implILNS1_25lookback_scan_determinismE0ELb0ES3_N6thrust23THRUST_200600_302600_NS6detail15normal_iteratorINS9_10device_ptrIsEEEESE_SE_sNS9_4plusIsEE19head_flag_predicatesEE10hipError_tPvRmT2_T3_T4_T5_mT6_T7_P12ihipStream_tbENKUlT_T0_E_clISt17integral_constantIbLb1EESX_IbLb0EEEEDaST_SU_EUlST_E_NS1_11comp_targetILNS1_3genE2ELNS1_11target_archE906ELNS1_3gpuE6ELNS1_3repE0EEENS1_30default_config_static_selectorELNS0_4arch9wavefront6targetE0EEEvT1_,comdat
	.protected	_ZN7rocprim17ROCPRIM_400000_NS6detail17trampoline_kernelINS0_14default_configENS1_27scan_by_key_config_selectorIssEEZZNS1_16scan_by_key_implILNS1_25lookback_scan_determinismE0ELb0ES3_N6thrust23THRUST_200600_302600_NS6detail15normal_iteratorINS9_10device_ptrIsEEEESE_SE_sNS9_4plusIsEE19head_flag_predicatesEE10hipError_tPvRmT2_T3_T4_T5_mT6_T7_P12ihipStream_tbENKUlT_T0_E_clISt17integral_constantIbLb1EESX_IbLb0EEEEDaST_SU_EUlST_E_NS1_11comp_targetILNS1_3genE2ELNS1_11target_archE906ELNS1_3gpuE6ELNS1_3repE0EEENS1_30default_config_static_selectorELNS0_4arch9wavefront6targetE0EEEvT1_ ; -- Begin function _ZN7rocprim17ROCPRIM_400000_NS6detail17trampoline_kernelINS0_14default_configENS1_27scan_by_key_config_selectorIssEEZZNS1_16scan_by_key_implILNS1_25lookback_scan_determinismE0ELb0ES3_N6thrust23THRUST_200600_302600_NS6detail15normal_iteratorINS9_10device_ptrIsEEEESE_SE_sNS9_4plusIsEE19head_flag_predicatesEE10hipError_tPvRmT2_T3_T4_T5_mT6_T7_P12ihipStream_tbENKUlT_T0_E_clISt17integral_constantIbLb1EESX_IbLb0EEEEDaST_SU_EUlST_E_NS1_11comp_targetILNS1_3genE2ELNS1_11target_archE906ELNS1_3gpuE6ELNS1_3repE0EEENS1_30default_config_static_selectorELNS0_4arch9wavefront6targetE0EEEvT1_
	.globl	_ZN7rocprim17ROCPRIM_400000_NS6detail17trampoline_kernelINS0_14default_configENS1_27scan_by_key_config_selectorIssEEZZNS1_16scan_by_key_implILNS1_25lookback_scan_determinismE0ELb0ES3_N6thrust23THRUST_200600_302600_NS6detail15normal_iteratorINS9_10device_ptrIsEEEESE_SE_sNS9_4plusIsEE19head_flag_predicatesEE10hipError_tPvRmT2_T3_T4_T5_mT6_T7_P12ihipStream_tbENKUlT_T0_E_clISt17integral_constantIbLb1EESX_IbLb0EEEEDaST_SU_EUlST_E_NS1_11comp_targetILNS1_3genE2ELNS1_11target_archE906ELNS1_3gpuE6ELNS1_3repE0EEENS1_30default_config_static_selectorELNS0_4arch9wavefront6targetE0EEEvT1_
	.p2align	8
	.type	_ZN7rocprim17ROCPRIM_400000_NS6detail17trampoline_kernelINS0_14default_configENS1_27scan_by_key_config_selectorIssEEZZNS1_16scan_by_key_implILNS1_25lookback_scan_determinismE0ELb0ES3_N6thrust23THRUST_200600_302600_NS6detail15normal_iteratorINS9_10device_ptrIsEEEESE_SE_sNS9_4plusIsEE19head_flag_predicatesEE10hipError_tPvRmT2_T3_T4_T5_mT6_T7_P12ihipStream_tbENKUlT_T0_E_clISt17integral_constantIbLb1EESX_IbLb0EEEEDaST_SU_EUlST_E_NS1_11comp_targetILNS1_3genE2ELNS1_11target_archE906ELNS1_3gpuE6ELNS1_3repE0EEENS1_30default_config_static_selectorELNS0_4arch9wavefront6targetE0EEEvT1_,@function
_ZN7rocprim17ROCPRIM_400000_NS6detail17trampoline_kernelINS0_14default_configENS1_27scan_by_key_config_selectorIssEEZZNS1_16scan_by_key_implILNS1_25lookback_scan_determinismE0ELb0ES3_N6thrust23THRUST_200600_302600_NS6detail15normal_iteratorINS9_10device_ptrIsEEEESE_SE_sNS9_4plusIsEE19head_flag_predicatesEE10hipError_tPvRmT2_T3_T4_T5_mT6_T7_P12ihipStream_tbENKUlT_T0_E_clISt17integral_constantIbLb1EESX_IbLb0EEEEDaST_SU_EUlST_E_NS1_11comp_targetILNS1_3genE2ELNS1_11target_archE906ELNS1_3gpuE6ELNS1_3repE0EEENS1_30default_config_static_selectorELNS0_4arch9wavefront6targetE0EEEvT1_: ; @_ZN7rocprim17ROCPRIM_400000_NS6detail17trampoline_kernelINS0_14default_configENS1_27scan_by_key_config_selectorIssEEZZNS1_16scan_by_key_implILNS1_25lookback_scan_determinismE0ELb0ES3_N6thrust23THRUST_200600_302600_NS6detail15normal_iteratorINS9_10device_ptrIsEEEESE_SE_sNS9_4plusIsEE19head_flag_predicatesEE10hipError_tPvRmT2_T3_T4_T5_mT6_T7_P12ihipStream_tbENKUlT_T0_E_clISt17integral_constantIbLb1EESX_IbLb0EEEEDaST_SU_EUlST_E_NS1_11comp_targetILNS1_3genE2ELNS1_11target_archE906ELNS1_3gpuE6ELNS1_3repE0EEENS1_30default_config_static_selectorELNS0_4arch9wavefront6targetE0EEEvT1_
; %bb.0:
	.section	.rodata,"a",@progbits
	.p2align	6, 0x0
	.amdhsa_kernel _ZN7rocprim17ROCPRIM_400000_NS6detail17trampoline_kernelINS0_14default_configENS1_27scan_by_key_config_selectorIssEEZZNS1_16scan_by_key_implILNS1_25lookback_scan_determinismE0ELb0ES3_N6thrust23THRUST_200600_302600_NS6detail15normal_iteratorINS9_10device_ptrIsEEEESE_SE_sNS9_4plusIsEE19head_flag_predicatesEE10hipError_tPvRmT2_T3_T4_T5_mT6_T7_P12ihipStream_tbENKUlT_T0_E_clISt17integral_constantIbLb1EESX_IbLb0EEEEDaST_SU_EUlST_E_NS1_11comp_targetILNS1_3genE2ELNS1_11target_archE906ELNS1_3gpuE6ELNS1_3repE0EEENS1_30default_config_static_selectorELNS0_4arch9wavefront6targetE0EEEvT1_
		.amdhsa_group_segment_fixed_size 0
		.amdhsa_private_segment_fixed_size 0
		.amdhsa_kernarg_size 112
		.amdhsa_user_sgpr_count 2
		.amdhsa_user_sgpr_dispatch_ptr 0
		.amdhsa_user_sgpr_queue_ptr 0
		.amdhsa_user_sgpr_kernarg_segment_ptr 1
		.amdhsa_user_sgpr_dispatch_id 0
		.amdhsa_user_sgpr_kernarg_preload_length 0
		.amdhsa_user_sgpr_kernarg_preload_offset 0
		.amdhsa_user_sgpr_private_segment_size 0
		.amdhsa_wavefront_size32 1
		.amdhsa_uses_dynamic_stack 0
		.amdhsa_enable_private_segment 0
		.amdhsa_system_sgpr_workgroup_id_x 1
		.amdhsa_system_sgpr_workgroup_id_y 0
		.amdhsa_system_sgpr_workgroup_id_z 0
		.amdhsa_system_sgpr_workgroup_info 0
		.amdhsa_system_vgpr_workitem_id 0
		.amdhsa_next_free_vgpr 1
		.amdhsa_next_free_sgpr 1
		.amdhsa_named_barrier_count 0
		.amdhsa_reserve_vcc 0
		.amdhsa_float_round_mode_32 0
		.amdhsa_float_round_mode_16_64 0
		.amdhsa_float_denorm_mode_32 3
		.amdhsa_float_denorm_mode_16_64 3
		.amdhsa_fp16_overflow 0
		.amdhsa_memory_ordered 1
		.amdhsa_forward_progress 1
		.amdhsa_inst_pref_size 0
		.amdhsa_round_robin_scheduling 0
		.amdhsa_exception_fp_ieee_invalid_op 0
		.amdhsa_exception_fp_denorm_src 0
		.amdhsa_exception_fp_ieee_div_zero 0
		.amdhsa_exception_fp_ieee_overflow 0
		.amdhsa_exception_fp_ieee_underflow 0
		.amdhsa_exception_fp_ieee_inexact 0
		.amdhsa_exception_int_div_zero 0
	.end_amdhsa_kernel
	.section	.text._ZN7rocprim17ROCPRIM_400000_NS6detail17trampoline_kernelINS0_14default_configENS1_27scan_by_key_config_selectorIssEEZZNS1_16scan_by_key_implILNS1_25lookback_scan_determinismE0ELb0ES3_N6thrust23THRUST_200600_302600_NS6detail15normal_iteratorINS9_10device_ptrIsEEEESE_SE_sNS9_4plusIsEE19head_flag_predicatesEE10hipError_tPvRmT2_T3_T4_T5_mT6_T7_P12ihipStream_tbENKUlT_T0_E_clISt17integral_constantIbLb1EESX_IbLb0EEEEDaST_SU_EUlST_E_NS1_11comp_targetILNS1_3genE2ELNS1_11target_archE906ELNS1_3gpuE6ELNS1_3repE0EEENS1_30default_config_static_selectorELNS0_4arch9wavefront6targetE0EEEvT1_,"axG",@progbits,_ZN7rocprim17ROCPRIM_400000_NS6detail17trampoline_kernelINS0_14default_configENS1_27scan_by_key_config_selectorIssEEZZNS1_16scan_by_key_implILNS1_25lookback_scan_determinismE0ELb0ES3_N6thrust23THRUST_200600_302600_NS6detail15normal_iteratorINS9_10device_ptrIsEEEESE_SE_sNS9_4plusIsEE19head_flag_predicatesEE10hipError_tPvRmT2_T3_T4_T5_mT6_T7_P12ihipStream_tbENKUlT_T0_E_clISt17integral_constantIbLb1EESX_IbLb0EEEEDaST_SU_EUlST_E_NS1_11comp_targetILNS1_3genE2ELNS1_11target_archE906ELNS1_3gpuE6ELNS1_3repE0EEENS1_30default_config_static_selectorELNS0_4arch9wavefront6targetE0EEEvT1_,comdat
.Lfunc_end844:
	.size	_ZN7rocprim17ROCPRIM_400000_NS6detail17trampoline_kernelINS0_14default_configENS1_27scan_by_key_config_selectorIssEEZZNS1_16scan_by_key_implILNS1_25lookback_scan_determinismE0ELb0ES3_N6thrust23THRUST_200600_302600_NS6detail15normal_iteratorINS9_10device_ptrIsEEEESE_SE_sNS9_4plusIsEE19head_flag_predicatesEE10hipError_tPvRmT2_T3_T4_T5_mT6_T7_P12ihipStream_tbENKUlT_T0_E_clISt17integral_constantIbLb1EESX_IbLb0EEEEDaST_SU_EUlST_E_NS1_11comp_targetILNS1_3genE2ELNS1_11target_archE906ELNS1_3gpuE6ELNS1_3repE0EEENS1_30default_config_static_selectorELNS0_4arch9wavefront6targetE0EEEvT1_, .Lfunc_end844-_ZN7rocprim17ROCPRIM_400000_NS6detail17trampoline_kernelINS0_14default_configENS1_27scan_by_key_config_selectorIssEEZZNS1_16scan_by_key_implILNS1_25lookback_scan_determinismE0ELb0ES3_N6thrust23THRUST_200600_302600_NS6detail15normal_iteratorINS9_10device_ptrIsEEEESE_SE_sNS9_4plusIsEE19head_flag_predicatesEE10hipError_tPvRmT2_T3_T4_T5_mT6_T7_P12ihipStream_tbENKUlT_T0_E_clISt17integral_constantIbLb1EESX_IbLb0EEEEDaST_SU_EUlST_E_NS1_11comp_targetILNS1_3genE2ELNS1_11target_archE906ELNS1_3gpuE6ELNS1_3repE0EEENS1_30default_config_static_selectorELNS0_4arch9wavefront6targetE0EEEvT1_
                                        ; -- End function
	.set _ZN7rocprim17ROCPRIM_400000_NS6detail17trampoline_kernelINS0_14default_configENS1_27scan_by_key_config_selectorIssEEZZNS1_16scan_by_key_implILNS1_25lookback_scan_determinismE0ELb0ES3_N6thrust23THRUST_200600_302600_NS6detail15normal_iteratorINS9_10device_ptrIsEEEESE_SE_sNS9_4plusIsEE19head_flag_predicatesEE10hipError_tPvRmT2_T3_T4_T5_mT6_T7_P12ihipStream_tbENKUlT_T0_E_clISt17integral_constantIbLb1EESX_IbLb0EEEEDaST_SU_EUlST_E_NS1_11comp_targetILNS1_3genE2ELNS1_11target_archE906ELNS1_3gpuE6ELNS1_3repE0EEENS1_30default_config_static_selectorELNS0_4arch9wavefront6targetE0EEEvT1_.num_vgpr, 0
	.set _ZN7rocprim17ROCPRIM_400000_NS6detail17trampoline_kernelINS0_14default_configENS1_27scan_by_key_config_selectorIssEEZZNS1_16scan_by_key_implILNS1_25lookback_scan_determinismE0ELb0ES3_N6thrust23THRUST_200600_302600_NS6detail15normal_iteratorINS9_10device_ptrIsEEEESE_SE_sNS9_4plusIsEE19head_flag_predicatesEE10hipError_tPvRmT2_T3_T4_T5_mT6_T7_P12ihipStream_tbENKUlT_T0_E_clISt17integral_constantIbLb1EESX_IbLb0EEEEDaST_SU_EUlST_E_NS1_11comp_targetILNS1_3genE2ELNS1_11target_archE906ELNS1_3gpuE6ELNS1_3repE0EEENS1_30default_config_static_selectorELNS0_4arch9wavefront6targetE0EEEvT1_.num_agpr, 0
	.set _ZN7rocprim17ROCPRIM_400000_NS6detail17trampoline_kernelINS0_14default_configENS1_27scan_by_key_config_selectorIssEEZZNS1_16scan_by_key_implILNS1_25lookback_scan_determinismE0ELb0ES3_N6thrust23THRUST_200600_302600_NS6detail15normal_iteratorINS9_10device_ptrIsEEEESE_SE_sNS9_4plusIsEE19head_flag_predicatesEE10hipError_tPvRmT2_T3_T4_T5_mT6_T7_P12ihipStream_tbENKUlT_T0_E_clISt17integral_constantIbLb1EESX_IbLb0EEEEDaST_SU_EUlST_E_NS1_11comp_targetILNS1_3genE2ELNS1_11target_archE906ELNS1_3gpuE6ELNS1_3repE0EEENS1_30default_config_static_selectorELNS0_4arch9wavefront6targetE0EEEvT1_.numbered_sgpr, 0
	.set _ZN7rocprim17ROCPRIM_400000_NS6detail17trampoline_kernelINS0_14default_configENS1_27scan_by_key_config_selectorIssEEZZNS1_16scan_by_key_implILNS1_25lookback_scan_determinismE0ELb0ES3_N6thrust23THRUST_200600_302600_NS6detail15normal_iteratorINS9_10device_ptrIsEEEESE_SE_sNS9_4plusIsEE19head_flag_predicatesEE10hipError_tPvRmT2_T3_T4_T5_mT6_T7_P12ihipStream_tbENKUlT_T0_E_clISt17integral_constantIbLb1EESX_IbLb0EEEEDaST_SU_EUlST_E_NS1_11comp_targetILNS1_3genE2ELNS1_11target_archE906ELNS1_3gpuE6ELNS1_3repE0EEENS1_30default_config_static_selectorELNS0_4arch9wavefront6targetE0EEEvT1_.num_named_barrier, 0
	.set _ZN7rocprim17ROCPRIM_400000_NS6detail17trampoline_kernelINS0_14default_configENS1_27scan_by_key_config_selectorIssEEZZNS1_16scan_by_key_implILNS1_25lookback_scan_determinismE0ELb0ES3_N6thrust23THRUST_200600_302600_NS6detail15normal_iteratorINS9_10device_ptrIsEEEESE_SE_sNS9_4plusIsEE19head_flag_predicatesEE10hipError_tPvRmT2_T3_T4_T5_mT6_T7_P12ihipStream_tbENKUlT_T0_E_clISt17integral_constantIbLb1EESX_IbLb0EEEEDaST_SU_EUlST_E_NS1_11comp_targetILNS1_3genE2ELNS1_11target_archE906ELNS1_3gpuE6ELNS1_3repE0EEENS1_30default_config_static_selectorELNS0_4arch9wavefront6targetE0EEEvT1_.private_seg_size, 0
	.set _ZN7rocprim17ROCPRIM_400000_NS6detail17trampoline_kernelINS0_14default_configENS1_27scan_by_key_config_selectorIssEEZZNS1_16scan_by_key_implILNS1_25lookback_scan_determinismE0ELb0ES3_N6thrust23THRUST_200600_302600_NS6detail15normal_iteratorINS9_10device_ptrIsEEEESE_SE_sNS9_4plusIsEE19head_flag_predicatesEE10hipError_tPvRmT2_T3_T4_T5_mT6_T7_P12ihipStream_tbENKUlT_T0_E_clISt17integral_constantIbLb1EESX_IbLb0EEEEDaST_SU_EUlST_E_NS1_11comp_targetILNS1_3genE2ELNS1_11target_archE906ELNS1_3gpuE6ELNS1_3repE0EEENS1_30default_config_static_selectorELNS0_4arch9wavefront6targetE0EEEvT1_.uses_vcc, 0
	.set _ZN7rocprim17ROCPRIM_400000_NS6detail17trampoline_kernelINS0_14default_configENS1_27scan_by_key_config_selectorIssEEZZNS1_16scan_by_key_implILNS1_25lookback_scan_determinismE0ELb0ES3_N6thrust23THRUST_200600_302600_NS6detail15normal_iteratorINS9_10device_ptrIsEEEESE_SE_sNS9_4plusIsEE19head_flag_predicatesEE10hipError_tPvRmT2_T3_T4_T5_mT6_T7_P12ihipStream_tbENKUlT_T0_E_clISt17integral_constantIbLb1EESX_IbLb0EEEEDaST_SU_EUlST_E_NS1_11comp_targetILNS1_3genE2ELNS1_11target_archE906ELNS1_3gpuE6ELNS1_3repE0EEENS1_30default_config_static_selectorELNS0_4arch9wavefront6targetE0EEEvT1_.uses_flat_scratch, 0
	.set _ZN7rocprim17ROCPRIM_400000_NS6detail17trampoline_kernelINS0_14default_configENS1_27scan_by_key_config_selectorIssEEZZNS1_16scan_by_key_implILNS1_25lookback_scan_determinismE0ELb0ES3_N6thrust23THRUST_200600_302600_NS6detail15normal_iteratorINS9_10device_ptrIsEEEESE_SE_sNS9_4plusIsEE19head_flag_predicatesEE10hipError_tPvRmT2_T3_T4_T5_mT6_T7_P12ihipStream_tbENKUlT_T0_E_clISt17integral_constantIbLb1EESX_IbLb0EEEEDaST_SU_EUlST_E_NS1_11comp_targetILNS1_3genE2ELNS1_11target_archE906ELNS1_3gpuE6ELNS1_3repE0EEENS1_30default_config_static_selectorELNS0_4arch9wavefront6targetE0EEEvT1_.has_dyn_sized_stack, 0
	.set _ZN7rocprim17ROCPRIM_400000_NS6detail17trampoline_kernelINS0_14default_configENS1_27scan_by_key_config_selectorIssEEZZNS1_16scan_by_key_implILNS1_25lookback_scan_determinismE0ELb0ES3_N6thrust23THRUST_200600_302600_NS6detail15normal_iteratorINS9_10device_ptrIsEEEESE_SE_sNS9_4plusIsEE19head_flag_predicatesEE10hipError_tPvRmT2_T3_T4_T5_mT6_T7_P12ihipStream_tbENKUlT_T0_E_clISt17integral_constantIbLb1EESX_IbLb0EEEEDaST_SU_EUlST_E_NS1_11comp_targetILNS1_3genE2ELNS1_11target_archE906ELNS1_3gpuE6ELNS1_3repE0EEENS1_30default_config_static_selectorELNS0_4arch9wavefront6targetE0EEEvT1_.has_recursion, 0
	.set _ZN7rocprim17ROCPRIM_400000_NS6detail17trampoline_kernelINS0_14default_configENS1_27scan_by_key_config_selectorIssEEZZNS1_16scan_by_key_implILNS1_25lookback_scan_determinismE0ELb0ES3_N6thrust23THRUST_200600_302600_NS6detail15normal_iteratorINS9_10device_ptrIsEEEESE_SE_sNS9_4plusIsEE19head_flag_predicatesEE10hipError_tPvRmT2_T3_T4_T5_mT6_T7_P12ihipStream_tbENKUlT_T0_E_clISt17integral_constantIbLb1EESX_IbLb0EEEEDaST_SU_EUlST_E_NS1_11comp_targetILNS1_3genE2ELNS1_11target_archE906ELNS1_3gpuE6ELNS1_3repE0EEENS1_30default_config_static_selectorELNS0_4arch9wavefront6targetE0EEEvT1_.has_indirect_call, 0
	.section	.AMDGPU.csdata,"",@progbits
; Kernel info:
; codeLenInByte = 0
; TotalNumSgprs: 0
; NumVgprs: 0
; ScratchSize: 0
; MemoryBound: 0
; FloatMode: 240
; IeeeMode: 1
; LDSByteSize: 0 bytes/workgroup (compile time only)
; SGPRBlocks: 0
; VGPRBlocks: 0
; NumSGPRsForWavesPerEU: 1
; NumVGPRsForWavesPerEU: 1
; NamedBarCnt: 0
; Occupancy: 16
; WaveLimiterHint : 0
; COMPUTE_PGM_RSRC2:SCRATCH_EN: 0
; COMPUTE_PGM_RSRC2:USER_SGPR: 2
; COMPUTE_PGM_RSRC2:TRAP_HANDLER: 0
; COMPUTE_PGM_RSRC2:TGID_X_EN: 1
; COMPUTE_PGM_RSRC2:TGID_Y_EN: 0
; COMPUTE_PGM_RSRC2:TGID_Z_EN: 0
; COMPUTE_PGM_RSRC2:TIDIG_COMP_CNT: 0
	.section	.text._ZN7rocprim17ROCPRIM_400000_NS6detail17trampoline_kernelINS0_14default_configENS1_27scan_by_key_config_selectorIssEEZZNS1_16scan_by_key_implILNS1_25lookback_scan_determinismE0ELb0ES3_N6thrust23THRUST_200600_302600_NS6detail15normal_iteratorINS9_10device_ptrIsEEEESE_SE_sNS9_4plusIsEE19head_flag_predicatesEE10hipError_tPvRmT2_T3_T4_T5_mT6_T7_P12ihipStream_tbENKUlT_T0_E_clISt17integral_constantIbLb1EESX_IbLb0EEEEDaST_SU_EUlST_E_NS1_11comp_targetILNS1_3genE10ELNS1_11target_archE1200ELNS1_3gpuE4ELNS1_3repE0EEENS1_30default_config_static_selectorELNS0_4arch9wavefront6targetE0EEEvT1_,"axG",@progbits,_ZN7rocprim17ROCPRIM_400000_NS6detail17trampoline_kernelINS0_14default_configENS1_27scan_by_key_config_selectorIssEEZZNS1_16scan_by_key_implILNS1_25lookback_scan_determinismE0ELb0ES3_N6thrust23THRUST_200600_302600_NS6detail15normal_iteratorINS9_10device_ptrIsEEEESE_SE_sNS9_4plusIsEE19head_flag_predicatesEE10hipError_tPvRmT2_T3_T4_T5_mT6_T7_P12ihipStream_tbENKUlT_T0_E_clISt17integral_constantIbLb1EESX_IbLb0EEEEDaST_SU_EUlST_E_NS1_11comp_targetILNS1_3genE10ELNS1_11target_archE1200ELNS1_3gpuE4ELNS1_3repE0EEENS1_30default_config_static_selectorELNS0_4arch9wavefront6targetE0EEEvT1_,comdat
	.protected	_ZN7rocprim17ROCPRIM_400000_NS6detail17trampoline_kernelINS0_14default_configENS1_27scan_by_key_config_selectorIssEEZZNS1_16scan_by_key_implILNS1_25lookback_scan_determinismE0ELb0ES3_N6thrust23THRUST_200600_302600_NS6detail15normal_iteratorINS9_10device_ptrIsEEEESE_SE_sNS9_4plusIsEE19head_flag_predicatesEE10hipError_tPvRmT2_T3_T4_T5_mT6_T7_P12ihipStream_tbENKUlT_T0_E_clISt17integral_constantIbLb1EESX_IbLb0EEEEDaST_SU_EUlST_E_NS1_11comp_targetILNS1_3genE10ELNS1_11target_archE1200ELNS1_3gpuE4ELNS1_3repE0EEENS1_30default_config_static_selectorELNS0_4arch9wavefront6targetE0EEEvT1_ ; -- Begin function _ZN7rocprim17ROCPRIM_400000_NS6detail17trampoline_kernelINS0_14default_configENS1_27scan_by_key_config_selectorIssEEZZNS1_16scan_by_key_implILNS1_25lookback_scan_determinismE0ELb0ES3_N6thrust23THRUST_200600_302600_NS6detail15normal_iteratorINS9_10device_ptrIsEEEESE_SE_sNS9_4plusIsEE19head_flag_predicatesEE10hipError_tPvRmT2_T3_T4_T5_mT6_T7_P12ihipStream_tbENKUlT_T0_E_clISt17integral_constantIbLb1EESX_IbLb0EEEEDaST_SU_EUlST_E_NS1_11comp_targetILNS1_3genE10ELNS1_11target_archE1200ELNS1_3gpuE4ELNS1_3repE0EEENS1_30default_config_static_selectorELNS0_4arch9wavefront6targetE0EEEvT1_
	.globl	_ZN7rocprim17ROCPRIM_400000_NS6detail17trampoline_kernelINS0_14default_configENS1_27scan_by_key_config_selectorIssEEZZNS1_16scan_by_key_implILNS1_25lookback_scan_determinismE0ELb0ES3_N6thrust23THRUST_200600_302600_NS6detail15normal_iteratorINS9_10device_ptrIsEEEESE_SE_sNS9_4plusIsEE19head_flag_predicatesEE10hipError_tPvRmT2_T3_T4_T5_mT6_T7_P12ihipStream_tbENKUlT_T0_E_clISt17integral_constantIbLb1EESX_IbLb0EEEEDaST_SU_EUlST_E_NS1_11comp_targetILNS1_3genE10ELNS1_11target_archE1200ELNS1_3gpuE4ELNS1_3repE0EEENS1_30default_config_static_selectorELNS0_4arch9wavefront6targetE0EEEvT1_
	.p2align	8
	.type	_ZN7rocprim17ROCPRIM_400000_NS6detail17trampoline_kernelINS0_14default_configENS1_27scan_by_key_config_selectorIssEEZZNS1_16scan_by_key_implILNS1_25lookback_scan_determinismE0ELb0ES3_N6thrust23THRUST_200600_302600_NS6detail15normal_iteratorINS9_10device_ptrIsEEEESE_SE_sNS9_4plusIsEE19head_flag_predicatesEE10hipError_tPvRmT2_T3_T4_T5_mT6_T7_P12ihipStream_tbENKUlT_T0_E_clISt17integral_constantIbLb1EESX_IbLb0EEEEDaST_SU_EUlST_E_NS1_11comp_targetILNS1_3genE10ELNS1_11target_archE1200ELNS1_3gpuE4ELNS1_3repE0EEENS1_30default_config_static_selectorELNS0_4arch9wavefront6targetE0EEEvT1_,@function
_ZN7rocprim17ROCPRIM_400000_NS6detail17trampoline_kernelINS0_14default_configENS1_27scan_by_key_config_selectorIssEEZZNS1_16scan_by_key_implILNS1_25lookback_scan_determinismE0ELb0ES3_N6thrust23THRUST_200600_302600_NS6detail15normal_iteratorINS9_10device_ptrIsEEEESE_SE_sNS9_4plusIsEE19head_flag_predicatesEE10hipError_tPvRmT2_T3_T4_T5_mT6_T7_P12ihipStream_tbENKUlT_T0_E_clISt17integral_constantIbLb1EESX_IbLb0EEEEDaST_SU_EUlST_E_NS1_11comp_targetILNS1_3genE10ELNS1_11target_archE1200ELNS1_3gpuE4ELNS1_3repE0EEENS1_30default_config_static_selectorELNS0_4arch9wavefront6targetE0EEEvT1_: ; @_ZN7rocprim17ROCPRIM_400000_NS6detail17trampoline_kernelINS0_14default_configENS1_27scan_by_key_config_selectorIssEEZZNS1_16scan_by_key_implILNS1_25lookback_scan_determinismE0ELb0ES3_N6thrust23THRUST_200600_302600_NS6detail15normal_iteratorINS9_10device_ptrIsEEEESE_SE_sNS9_4plusIsEE19head_flag_predicatesEE10hipError_tPvRmT2_T3_T4_T5_mT6_T7_P12ihipStream_tbENKUlT_T0_E_clISt17integral_constantIbLb1EESX_IbLb0EEEEDaST_SU_EUlST_E_NS1_11comp_targetILNS1_3genE10ELNS1_11target_archE1200ELNS1_3gpuE4ELNS1_3repE0EEENS1_30default_config_static_selectorELNS0_4arch9wavefront6targetE0EEEvT1_
; %bb.0:
	.section	.rodata,"a",@progbits
	.p2align	6, 0x0
	.amdhsa_kernel _ZN7rocprim17ROCPRIM_400000_NS6detail17trampoline_kernelINS0_14default_configENS1_27scan_by_key_config_selectorIssEEZZNS1_16scan_by_key_implILNS1_25lookback_scan_determinismE0ELb0ES3_N6thrust23THRUST_200600_302600_NS6detail15normal_iteratorINS9_10device_ptrIsEEEESE_SE_sNS9_4plusIsEE19head_flag_predicatesEE10hipError_tPvRmT2_T3_T4_T5_mT6_T7_P12ihipStream_tbENKUlT_T0_E_clISt17integral_constantIbLb1EESX_IbLb0EEEEDaST_SU_EUlST_E_NS1_11comp_targetILNS1_3genE10ELNS1_11target_archE1200ELNS1_3gpuE4ELNS1_3repE0EEENS1_30default_config_static_selectorELNS0_4arch9wavefront6targetE0EEEvT1_
		.amdhsa_group_segment_fixed_size 0
		.amdhsa_private_segment_fixed_size 0
		.amdhsa_kernarg_size 112
		.amdhsa_user_sgpr_count 2
		.amdhsa_user_sgpr_dispatch_ptr 0
		.amdhsa_user_sgpr_queue_ptr 0
		.amdhsa_user_sgpr_kernarg_segment_ptr 1
		.amdhsa_user_sgpr_dispatch_id 0
		.amdhsa_user_sgpr_kernarg_preload_length 0
		.amdhsa_user_sgpr_kernarg_preload_offset 0
		.amdhsa_user_sgpr_private_segment_size 0
		.amdhsa_wavefront_size32 1
		.amdhsa_uses_dynamic_stack 0
		.amdhsa_enable_private_segment 0
		.amdhsa_system_sgpr_workgroup_id_x 1
		.amdhsa_system_sgpr_workgroup_id_y 0
		.amdhsa_system_sgpr_workgroup_id_z 0
		.amdhsa_system_sgpr_workgroup_info 0
		.amdhsa_system_vgpr_workitem_id 0
		.amdhsa_next_free_vgpr 1
		.amdhsa_next_free_sgpr 1
		.amdhsa_named_barrier_count 0
		.amdhsa_reserve_vcc 0
		.amdhsa_float_round_mode_32 0
		.amdhsa_float_round_mode_16_64 0
		.amdhsa_float_denorm_mode_32 3
		.amdhsa_float_denorm_mode_16_64 3
		.amdhsa_fp16_overflow 0
		.amdhsa_memory_ordered 1
		.amdhsa_forward_progress 1
		.amdhsa_inst_pref_size 0
		.amdhsa_round_robin_scheduling 0
		.amdhsa_exception_fp_ieee_invalid_op 0
		.amdhsa_exception_fp_denorm_src 0
		.amdhsa_exception_fp_ieee_div_zero 0
		.amdhsa_exception_fp_ieee_overflow 0
		.amdhsa_exception_fp_ieee_underflow 0
		.amdhsa_exception_fp_ieee_inexact 0
		.amdhsa_exception_int_div_zero 0
	.end_amdhsa_kernel
	.section	.text._ZN7rocprim17ROCPRIM_400000_NS6detail17trampoline_kernelINS0_14default_configENS1_27scan_by_key_config_selectorIssEEZZNS1_16scan_by_key_implILNS1_25lookback_scan_determinismE0ELb0ES3_N6thrust23THRUST_200600_302600_NS6detail15normal_iteratorINS9_10device_ptrIsEEEESE_SE_sNS9_4plusIsEE19head_flag_predicatesEE10hipError_tPvRmT2_T3_T4_T5_mT6_T7_P12ihipStream_tbENKUlT_T0_E_clISt17integral_constantIbLb1EESX_IbLb0EEEEDaST_SU_EUlST_E_NS1_11comp_targetILNS1_3genE10ELNS1_11target_archE1200ELNS1_3gpuE4ELNS1_3repE0EEENS1_30default_config_static_selectorELNS0_4arch9wavefront6targetE0EEEvT1_,"axG",@progbits,_ZN7rocprim17ROCPRIM_400000_NS6detail17trampoline_kernelINS0_14default_configENS1_27scan_by_key_config_selectorIssEEZZNS1_16scan_by_key_implILNS1_25lookback_scan_determinismE0ELb0ES3_N6thrust23THRUST_200600_302600_NS6detail15normal_iteratorINS9_10device_ptrIsEEEESE_SE_sNS9_4plusIsEE19head_flag_predicatesEE10hipError_tPvRmT2_T3_T4_T5_mT6_T7_P12ihipStream_tbENKUlT_T0_E_clISt17integral_constantIbLb1EESX_IbLb0EEEEDaST_SU_EUlST_E_NS1_11comp_targetILNS1_3genE10ELNS1_11target_archE1200ELNS1_3gpuE4ELNS1_3repE0EEENS1_30default_config_static_selectorELNS0_4arch9wavefront6targetE0EEEvT1_,comdat
.Lfunc_end845:
	.size	_ZN7rocprim17ROCPRIM_400000_NS6detail17trampoline_kernelINS0_14default_configENS1_27scan_by_key_config_selectorIssEEZZNS1_16scan_by_key_implILNS1_25lookback_scan_determinismE0ELb0ES3_N6thrust23THRUST_200600_302600_NS6detail15normal_iteratorINS9_10device_ptrIsEEEESE_SE_sNS9_4plusIsEE19head_flag_predicatesEE10hipError_tPvRmT2_T3_T4_T5_mT6_T7_P12ihipStream_tbENKUlT_T0_E_clISt17integral_constantIbLb1EESX_IbLb0EEEEDaST_SU_EUlST_E_NS1_11comp_targetILNS1_3genE10ELNS1_11target_archE1200ELNS1_3gpuE4ELNS1_3repE0EEENS1_30default_config_static_selectorELNS0_4arch9wavefront6targetE0EEEvT1_, .Lfunc_end845-_ZN7rocprim17ROCPRIM_400000_NS6detail17trampoline_kernelINS0_14default_configENS1_27scan_by_key_config_selectorIssEEZZNS1_16scan_by_key_implILNS1_25lookback_scan_determinismE0ELb0ES3_N6thrust23THRUST_200600_302600_NS6detail15normal_iteratorINS9_10device_ptrIsEEEESE_SE_sNS9_4plusIsEE19head_flag_predicatesEE10hipError_tPvRmT2_T3_T4_T5_mT6_T7_P12ihipStream_tbENKUlT_T0_E_clISt17integral_constantIbLb1EESX_IbLb0EEEEDaST_SU_EUlST_E_NS1_11comp_targetILNS1_3genE10ELNS1_11target_archE1200ELNS1_3gpuE4ELNS1_3repE0EEENS1_30default_config_static_selectorELNS0_4arch9wavefront6targetE0EEEvT1_
                                        ; -- End function
	.set _ZN7rocprim17ROCPRIM_400000_NS6detail17trampoline_kernelINS0_14default_configENS1_27scan_by_key_config_selectorIssEEZZNS1_16scan_by_key_implILNS1_25lookback_scan_determinismE0ELb0ES3_N6thrust23THRUST_200600_302600_NS6detail15normal_iteratorINS9_10device_ptrIsEEEESE_SE_sNS9_4plusIsEE19head_flag_predicatesEE10hipError_tPvRmT2_T3_T4_T5_mT6_T7_P12ihipStream_tbENKUlT_T0_E_clISt17integral_constantIbLb1EESX_IbLb0EEEEDaST_SU_EUlST_E_NS1_11comp_targetILNS1_3genE10ELNS1_11target_archE1200ELNS1_3gpuE4ELNS1_3repE0EEENS1_30default_config_static_selectorELNS0_4arch9wavefront6targetE0EEEvT1_.num_vgpr, 0
	.set _ZN7rocprim17ROCPRIM_400000_NS6detail17trampoline_kernelINS0_14default_configENS1_27scan_by_key_config_selectorIssEEZZNS1_16scan_by_key_implILNS1_25lookback_scan_determinismE0ELb0ES3_N6thrust23THRUST_200600_302600_NS6detail15normal_iteratorINS9_10device_ptrIsEEEESE_SE_sNS9_4plusIsEE19head_flag_predicatesEE10hipError_tPvRmT2_T3_T4_T5_mT6_T7_P12ihipStream_tbENKUlT_T0_E_clISt17integral_constantIbLb1EESX_IbLb0EEEEDaST_SU_EUlST_E_NS1_11comp_targetILNS1_3genE10ELNS1_11target_archE1200ELNS1_3gpuE4ELNS1_3repE0EEENS1_30default_config_static_selectorELNS0_4arch9wavefront6targetE0EEEvT1_.num_agpr, 0
	.set _ZN7rocprim17ROCPRIM_400000_NS6detail17trampoline_kernelINS0_14default_configENS1_27scan_by_key_config_selectorIssEEZZNS1_16scan_by_key_implILNS1_25lookback_scan_determinismE0ELb0ES3_N6thrust23THRUST_200600_302600_NS6detail15normal_iteratorINS9_10device_ptrIsEEEESE_SE_sNS9_4plusIsEE19head_flag_predicatesEE10hipError_tPvRmT2_T3_T4_T5_mT6_T7_P12ihipStream_tbENKUlT_T0_E_clISt17integral_constantIbLb1EESX_IbLb0EEEEDaST_SU_EUlST_E_NS1_11comp_targetILNS1_3genE10ELNS1_11target_archE1200ELNS1_3gpuE4ELNS1_3repE0EEENS1_30default_config_static_selectorELNS0_4arch9wavefront6targetE0EEEvT1_.numbered_sgpr, 0
	.set _ZN7rocprim17ROCPRIM_400000_NS6detail17trampoline_kernelINS0_14default_configENS1_27scan_by_key_config_selectorIssEEZZNS1_16scan_by_key_implILNS1_25lookback_scan_determinismE0ELb0ES3_N6thrust23THRUST_200600_302600_NS6detail15normal_iteratorINS9_10device_ptrIsEEEESE_SE_sNS9_4plusIsEE19head_flag_predicatesEE10hipError_tPvRmT2_T3_T4_T5_mT6_T7_P12ihipStream_tbENKUlT_T0_E_clISt17integral_constantIbLb1EESX_IbLb0EEEEDaST_SU_EUlST_E_NS1_11comp_targetILNS1_3genE10ELNS1_11target_archE1200ELNS1_3gpuE4ELNS1_3repE0EEENS1_30default_config_static_selectorELNS0_4arch9wavefront6targetE0EEEvT1_.num_named_barrier, 0
	.set _ZN7rocprim17ROCPRIM_400000_NS6detail17trampoline_kernelINS0_14default_configENS1_27scan_by_key_config_selectorIssEEZZNS1_16scan_by_key_implILNS1_25lookback_scan_determinismE0ELb0ES3_N6thrust23THRUST_200600_302600_NS6detail15normal_iteratorINS9_10device_ptrIsEEEESE_SE_sNS9_4plusIsEE19head_flag_predicatesEE10hipError_tPvRmT2_T3_T4_T5_mT6_T7_P12ihipStream_tbENKUlT_T0_E_clISt17integral_constantIbLb1EESX_IbLb0EEEEDaST_SU_EUlST_E_NS1_11comp_targetILNS1_3genE10ELNS1_11target_archE1200ELNS1_3gpuE4ELNS1_3repE0EEENS1_30default_config_static_selectorELNS0_4arch9wavefront6targetE0EEEvT1_.private_seg_size, 0
	.set _ZN7rocprim17ROCPRIM_400000_NS6detail17trampoline_kernelINS0_14default_configENS1_27scan_by_key_config_selectorIssEEZZNS1_16scan_by_key_implILNS1_25lookback_scan_determinismE0ELb0ES3_N6thrust23THRUST_200600_302600_NS6detail15normal_iteratorINS9_10device_ptrIsEEEESE_SE_sNS9_4plusIsEE19head_flag_predicatesEE10hipError_tPvRmT2_T3_T4_T5_mT6_T7_P12ihipStream_tbENKUlT_T0_E_clISt17integral_constantIbLb1EESX_IbLb0EEEEDaST_SU_EUlST_E_NS1_11comp_targetILNS1_3genE10ELNS1_11target_archE1200ELNS1_3gpuE4ELNS1_3repE0EEENS1_30default_config_static_selectorELNS0_4arch9wavefront6targetE0EEEvT1_.uses_vcc, 0
	.set _ZN7rocprim17ROCPRIM_400000_NS6detail17trampoline_kernelINS0_14default_configENS1_27scan_by_key_config_selectorIssEEZZNS1_16scan_by_key_implILNS1_25lookback_scan_determinismE0ELb0ES3_N6thrust23THRUST_200600_302600_NS6detail15normal_iteratorINS9_10device_ptrIsEEEESE_SE_sNS9_4plusIsEE19head_flag_predicatesEE10hipError_tPvRmT2_T3_T4_T5_mT6_T7_P12ihipStream_tbENKUlT_T0_E_clISt17integral_constantIbLb1EESX_IbLb0EEEEDaST_SU_EUlST_E_NS1_11comp_targetILNS1_3genE10ELNS1_11target_archE1200ELNS1_3gpuE4ELNS1_3repE0EEENS1_30default_config_static_selectorELNS0_4arch9wavefront6targetE0EEEvT1_.uses_flat_scratch, 0
	.set _ZN7rocprim17ROCPRIM_400000_NS6detail17trampoline_kernelINS0_14default_configENS1_27scan_by_key_config_selectorIssEEZZNS1_16scan_by_key_implILNS1_25lookback_scan_determinismE0ELb0ES3_N6thrust23THRUST_200600_302600_NS6detail15normal_iteratorINS9_10device_ptrIsEEEESE_SE_sNS9_4plusIsEE19head_flag_predicatesEE10hipError_tPvRmT2_T3_T4_T5_mT6_T7_P12ihipStream_tbENKUlT_T0_E_clISt17integral_constantIbLb1EESX_IbLb0EEEEDaST_SU_EUlST_E_NS1_11comp_targetILNS1_3genE10ELNS1_11target_archE1200ELNS1_3gpuE4ELNS1_3repE0EEENS1_30default_config_static_selectorELNS0_4arch9wavefront6targetE0EEEvT1_.has_dyn_sized_stack, 0
	.set _ZN7rocprim17ROCPRIM_400000_NS6detail17trampoline_kernelINS0_14default_configENS1_27scan_by_key_config_selectorIssEEZZNS1_16scan_by_key_implILNS1_25lookback_scan_determinismE0ELb0ES3_N6thrust23THRUST_200600_302600_NS6detail15normal_iteratorINS9_10device_ptrIsEEEESE_SE_sNS9_4plusIsEE19head_flag_predicatesEE10hipError_tPvRmT2_T3_T4_T5_mT6_T7_P12ihipStream_tbENKUlT_T0_E_clISt17integral_constantIbLb1EESX_IbLb0EEEEDaST_SU_EUlST_E_NS1_11comp_targetILNS1_3genE10ELNS1_11target_archE1200ELNS1_3gpuE4ELNS1_3repE0EEENS1_30default_config_static_selectorELNS0_4arch9wavefront6targetE0EEEvT1_.has_recursion, 0
	.set _ZN7rocprim17ROCPRIM_400000_NS6detail17trampoline_kernelINS0_14default_configENS1_27scan_by_key_config_selectorIssEEZZNS1_16scan_by_key_implILNS1_25lookback_scan_determinismE0ELb0ES3_N6thrust23THRUST_200600_302600_NS6detail15normal_iteratorINS9_10device_ptrIsEEEESE_SE_sNS9_4plusIsEE19head_flag_predicatesEE10hipError_tPvRmT2_T3_T4_T5_mT6_T7_P12ihipStream_tbENKUlT_T0_E_clISt17integral_constantIbLb1EESX_IbLb0EEEEDaST_SU_EUlST_E_NS1_11comp_targetILNS1_3genE10ELNS1_11target_archE1200ELNS1_3gpuE4ELNS1_3repE0EEENS1_30default_config_static_selectorELNS0_4arch9wavefront6targetE0EEEvT1_.has_indirect_call, 0
	.section	.AMDGPU.csdata,"",@progbits
; Kernel info:
; codeLenInByte = 0
; TotalNumSgprs: 0
; NumVgprs: 0
; ScratchSize: 0
; MemoryBound: 0
; FloatMode: 240
; IeeeMode: 1
; LDSByteSize: 0 bytes/workgroup (compile time only)
; SGPRBlocks: 0
; VGPRBlocks: 0
; NumSGPRsForWavesPerEU: 1
; NumVGPRsForWavesPerEU: 1
; NamedBarCnt: 0
; Occupancy: 16
; WaveLimiterHint : 0
; COMPUTE_PGM_RSRC2:SCRATCH_EN: 0
; COMPUTE_PGM_RSRC2:USER_SGPR: 2
; COMPUTE_PGM_RSRC2:TRAP_HANDLER: 0
; COMPUTE_PGM_RSRC2:TGID_X_EN: 1
; COMPUTE_PGM_RSRC2:TGID_Y_EN: 0
; COMPUTE_PGM_RSRC2:TGID_Z_EN: 0
; COMPUTE_PGM_RSRC2:TIDIG_COMP_CNT: 0
	.section	.text._ZN7rocprim17ROCPRIM_400000_NS6detail17trampoline_kernelINS0_14default_configENS1_27scan_by_key_config_selectorIssEEZZNS1_16scan_by_key_implILNS1_25lookback_scan_determinismE0ELb0ES3_N6thrust23THRUST_200600_302600_NS6detail15normal_iteratorINS9_10device_ptrIsEEEESE_SE_sNS9_4plusIsEE19head_flag_predicatesEE10hipError_tPvRmT2_T3_T4_T5_mT6_T7_P12ihipStream_tbENKUlT_T0_E_clISt17integral_constantIbLb1EESX_IbLb0EEEEDaST_SU_EUlST_E_NS1_11comp_targetILNS1_3genE9ELNS1_11target_archE1100ELNS1_3gpuE3ELNS1_3repE0EEENS1_30default_config_static_selectorELNS0_4arch9wavefront6targetE0EEEvT1_,"axG",@progbits,_ZN7rocprim17ROCPRIM_400000_NS6detail17trampoline_kernelINS0_14default_configENS1_27scan_by_key_config_selectorIssEEZZNS1_16scan_by_key_implILNS1_25lookback_scan_determinismE0ELb0ES3_N6thrust23THRUST_200600_302600_NS6detail15normal_iteratorINS9_10device_ptrIsEEEESE_SE_sNS9_4plusIsEE19head_flag_predicatesEE10hipError_tPvRmT2_T3_T4_T5_mT6_T7_P12ihipStream_tbENKUlT_T0_E_clISt17integral_constantIbLb1EESX_IbLb0EEEEDaST_SU_EUlST_E_NS1_11comp_targetILNS1_3genE9ELNS1_11target_archE1100ELNS1_3gpuE3ELNS1_3repE0EEENS1_30default_config_static_selectorELNS0_4arch9wavefront6targetE0EEEvT1_,comdat
	.protected	_ZN7rocprim17ROCPRIM_400000_NS6detail17trampoline_kernelINS0_14default_configENS1_27scan_by_key_config_selectorIssEEZZNS1_16scan_by_key_implILNS1_25lookback_scan_determinismE0ELb0ES3_N6thrust23THRUST_200600_302600_NS6detail15normal_iteratorINS9_10device_ptrIsEEEESE_SE_sNS9_4plusIsEE19head_flag_predicatesEE10hipError_tPvRmT2_T3_T4_T5_mT6_T7_P12ihipStream_tbENKUlT_T0_E_clISt17integral_constantIbLb1EESX_IbLb0EEEEDaST_SU_EUlST_E_NS1_11comp_targetILNS1_3genE9ELNS1_11target_archE1100ELNS1_3gpuE3ELNS1_3repE0EEENS1_30default_config_static_selectorELNS0_4arch9wavefront6targetE0EEEvT1_ ; -- Begin function _ZN7rocprim17ROCPRIM_400000_NS6detail17trampoline_kernelINS0_14default_configENS1_27scan_by_key_config_selectorIssEEZZNS1_16scan_by_key_implILNS1_25lookback_scan_determinismE0ELb0ES3_N6thrust23THRUST_200600_302600_NS6detail15normal_iteratorINS9_10device_ptrIsEEEESE_SE_sNS9_4plusIsEE19head_flag_predicatesEE10hipError_tPvRmT2_T3_T4_T5_mT6_T7_P12ihipStream_tbENKUlT_T0_E_clISt17integral_constantIbLb1EESX_IbLb0EEEEDaST_SU_EUlST_E_NS1_11comp_targetILNS1_3genE9ELNS1_11target_archE1100ELNS1_3gpuE3ELNS1_3repE0EEENS1_30default_config_static_selectorELNS0_4arch9wavefront6targetE0EEEvT1_
	.globl	_ZN7rocprim17ROCPRIM_400000_NS6detail17trampoline_kernelINS0_14default_configENS1_27scan_by_key_config_selectorIssEEZZNS1_16scan_by_key_implILNS1_25lookback_scan_determinismE0ELb0ES3_N6thrust23THRUST_200600_302600_NS6detail15normal_iteratorINS9_10device_ptrIsEEEESE_SE_sNS9_4plusIsEE19head_flag_predicatesEE10hipError_tPvRmT2_T3_T4_T5_mT6_T7_P12ihipStream_tbENKUlT_T0_E_clISt17integral_constantIbLb1EESX_IbLb0EEEEDaST_SU_EUlST_E_NS1_11comp_targetILNS1_3genE9ELNS1_11target_archE1100ELNS1_3gpuE3ELNS1_3repE0EEENS1_30default_config_static_selectorELNS0_4arch9wavefront6targetE0EEEvT1_
	.p2align	8
	.type	_ZN7rocprim17ROCPRIM_400000_NS6detail17trampoline_kernelINS0_14default_configENS1_27scan_by_key_config_selectorIssEEZZNS1_16scan_by_key_implILNS1_25lookback_scan_determinismE0ELb0ES3_N6thrust23THRUST_200600_302600_NS6detail15normal_iteratorINS9_10device_ptrIsEEEESE_SE_sNS9_4plusIsEE19head_flag_predicatesEE10hipError_tPvRmT2_T3_T4_T5_mT6_T7_P12ihipStream_tbENKUlT_T0_E_clISt17integral_constantIbLb1EESX_IbLb0EEEEDaST_SU_EUlST_E_NS1_11comp_targetILNS1_3genE9ELNS1_11target_archE1100ELNS1_3gpuE3ELNS1_3repE0EEENS1_30default_config_static_selectorELNS0_4arch9wavefront6targetE0EEEvT1_,@function
_ZN7rocprim17ROCPRIM_400000_NS6detail17trampoline_kernelINS0_14default_configENS1_27scan_by_key_config_selectorIssEEZZNS1_16scan_by_key_implILNS1_25lookback_scan_determinismE0ELb0ES3_N6thrust23THRUST_200600_302600_NS6detail15normal_iteratorINS9_10device_ptrIsEEEESE_SE_sNS9_4plusIsEE19head_flag_predicatesEE10hipError_tPvRmT2_T3_T4_T5_mT6_T7_P12ihipStream_tbENKUlT_T0_E_clISt17integral_constantIbLb1EESX_IbLb0EEEEDaST_SU_EUlST_E_NS1_11comp_targetILNS1_3genE9ELNS1_11target_archE1100ELNS1_3gpuE3ELNS1_3repE0EEENS1_30default_config_static_selectorELNS0_4arch9wavefront6targetE0EEEvT1_: ; @_ZN7rocprim17ROCPRIM_400000_NS6detail17trampoline_kernelINS0_14default_configENS1_27scan_by_key_config_selectorIssEEZZNS1_16scan_by_key_implILNS1_25lookback_scan_determinismE0ELb0ES3_N6thrust23THRUST_200600_302600_NS6detail15normal_iteratorINS9_10device_ptrIsEEEESE_SE_sNS9_4plusIsEE19head_flag_predicatesEE10hipError_tPvRmT2_T3_T4_T5_mT6_T7_P12ihipStream_tbENKUlT_T0_E_clISt17integral_constantIbLb1EESX_IbLb0EEEEDaST_SU_EUlST_E_NS1_11comp_targetILNS1_3genE9ELNS1_11target_archE1100ELNS1_3gpuE3ELNS1_3repE0EEENS1_30default_config_static_selectorELNS0_4arch9wavefront6targetE0EEEvT1_
; %bb.0:
	.section	.rodata,"a",@progbits
	.p2align	6, 0x0
	.amdhsa_kernel _ZN7rocprim17ROCPRIM_400000_NS6detail17trampoline_kernelINS0_14default_configENS1_27scan_by_key_config_selectorIssEEZZNS1_16scan_by_key_implILNS1_25lookback_scan_determinismE0ELb0ES3_N6thrust23THRUST_200600_302600_NS6detail15normal_iteratorINS9_10device_ptrIsEEEESE_SE_sNS9_4plusIsEE19head_flag_predicatesEE10hipError_tPvRmT2_T3_T4_T5_mT6_T7_P12ihipStream_tbENKUlT_T0_E_clISt17integral_constantIbLb1EESX_IbLb0EEEEDaST_SU_EUlST_E_NS1_11comp_targetILNS1_3genE9ELNS1_11target_archE1100ELNS1_3gpuE3ELNS1_3repE0EEENS1_30default_config_static_selectorELNS0_4arch9wavefront6targetE0EEEvT1_
		.amdhsa_group_segment_fixed_size 0
		.amdhsa_private_segment_fixed_size 0
		.amdhsa_kernarg_size 112
		.amdhsa_user_sgpr_count 2
		.amdhsa_user_sgpr_dispatch_ptr 0
		.amdhsa_user_sgpr_queue_ptr 0
		.amdhsa_user_sgpr_kernarg_segment_ptr 1
		.amdhsa_user_sgpr_dispatch_id 0
		.amdhsa_user_sgpr_kernarg_preload_length 0
		.amdhsa_user_sgpr_kernarg_preload_offset 0
		.amdhsa_user_sgpr_private_segment_size 0
		.amdhsa_wavefront_size32 1
		.amdhsa_uses_dynamic_stack 0
		.amdhsa_enable_private_segment 0
		.amdhsa_system_sgpr_workgroup_id_x 1
		.amdhsa_system_sgpr_workgroup_id_y 0
		.amdhsa_system_sgpr_workgroup_id_z 0
		.amdhsa_system_sgpr_workgroup_info 0
		.amdhsa_system_vgpr_workitem_id 0
		.amdhsa_next_free_vgpr 1
		.amdhsa_next_free_sgpr 1
		.amdhsa_named_barrier_count 0
		.amdhsa_reserve_vcc 0
		.amdhsa_float_round_mode_32 0
		.amdhsa_float_round_mode_16_64 0
		.amdhsa_float_denorm_mode_32 3
		.amdhsa_float_denorm_mode_16_64 3
		.amdhsa_fp16_overflow 0
		.amdhsa_memory_ordered 1
		.amdhsa_forward_progress 1
		.amdhsa_inst_pref_size 0
		.amdhsa_round_robin_scheduling 0
		.amdhsa_exception_fp_ieee_invalid_op 0
		.amdhsa_exception_fp_denorm_src 0
		.amdhsa_exception_fp_ieee_div_zero 0
		.amdhsa_exception_fp_ieee_overflow 0
		.amdhsa_exception_fp_ieee_underflow 0
		.amdhsa_exception_fp_ieee_inexact 0
		.amdhsa_exception_int_div_zero 0
	.end_amdhsa_kernel
	.section	.text._ZN7rocprim17ROCPRIM_400000_NS6detail17trampoline_kernelINS0_14default_configENS1_27scan_by_key_config_selectorIssEEZZNS1_16scan_by_key_implILNS1_25lookback_scan_determinismE0ELb0ES3_N6thrust23THRUST_200600_302600_NS6detail15normal_iteratorINS9_10device_ptrIsEEEESE_SE_sNS9_4plusIsEE19head_flag_predicatesEE10hipError_tPvRmT2_T3_T4_T5_mT6_T7_P12ihipStream_tbENKUlT_T0_E_clISt17integral_constantIbLb1EESX_IbLb0EEEEDaST_SU_EUlST_E_NS1_11comp_targetILNS1_3genE9ELNS1_11target_archE1100ELNS1_3gpuE3ELNS1_3repE0EEENS1_30default_config_static_selectorELNS0_4arch9wavefront6targetE0EEEvT1_,"axG",@progbits,_ZN7rocprim17ROCPRIM_400000_NS6detail17trampoline_kernelINS0_14default_configENS1_27scan_by_key_config_selectorIssEEZZNS1_16scan_by_key_implILNS1_25lookback_scan_determinismE0ELb0ES3_N6thrust23THRUST_200600_302600_NS6detail15normal_iteratorINS9_10device_ptrIsEEEESE_SE_sNS9_4plusIsEE19head_flag_predicatesEE10hipError_tPvRmT2_T3_T4_T5_mT6_T7_P12ihipStream_tbENKUlT_T0_E_clISt17integral_constantIbLb1EESX_IbLb0EEEEDaST_SU_EUlST_E_NS1_11comp_targetILNS1_3genE9ELNS1_11target_archE1100ELNS1_3gpuE3ELNS1_3repE0EEENS1_30default_config_static_selectorELNS0_4arch9wavefront6targetE0EEEvT1_,comdat
.Lfunc_end846:
	.size	_ZN7rocprim17ROCPRIM_400000_NS6detail17trampoline_kernelINS0_14default_configENS1_27scan_by_key_config_selectorIssEEZZNS1_16scan_by_key_implILNS1_25lookback_scan_determinismE0ELb0ES3_N6thrust23THRUST_200600_302600_NS6detail15normal_iteratorINS9_10device_ptrIsEEEESE_SE_sNS9_4plusIsEE19head_flag_predicatesEE10hipError_tPvRmT2_T3_T4_T5_mT6_T7_P12ihipStream_tbENKUlT_T0_E_clISt17integral_constantIbLb1EESX_IbLb0EEEEDaST_SU_EUlST_E_NS1_11comp_targetILNS1_3genE9ELNS1_11target_archE1100ELNS1_3gpuE3ELNS1_3repE0EEENS1_30default_config_static_selectorELNS0_4arch9wavefront6targetE0EEEvT1_, .Lfunc_end846-_ZN7rocprim17ROCPRIM_400000_NS6detail17trampoline_kernelINS0_14default_configENS1_27scan_by_key_config_selectorIssEEZZNS1_16scan_by_key_implILNS1_25lookback_scan_determinismE0ELb0ES3_N6thrust23THRUST_200600_302600_NS6detail15normal_iteratorINS9_10device_ptrIsEEEESE_SE_sNS9_4plusIsEE19head_flag_predicatesEE10hipError_tPvRmT2_T3_T4_T5_mT6_T7_P12ihipStream_tbENKUlT_T0_E_clISt17integral_constantIbLb1EESX_IbLb0EEEEDaST_SU_EUlST_E_NS1_11comp_targetILNS1_3genE9ELNS1_11target_archE1100ELNS1_3gpuE3ELNS1_3repE0EEENS1_30default_config_static_selectorELNS0_4arch9wavefront6targetE0EEEvT1_
                                        ; -- End function
	.set _ZN7rocprim17ROCPRIM_400000_NS6detail17trampoline_kernelINS0_14default_configENS1_27scan_by_key_config_selectorIssEEZZNS1_16scan_by_key_implILNS1_25lookback_scan_determinismE0ELb0ES3_N6thrust23THRUST_200600_302600_NS6detail15normal_iteratorINS9_10device_ptrIsEEEESE_SE_sNS9_4plusIsEE19head_flag_predicatesEE10hipError_tPvRmT2_T3_T4_T5_mT6_T7_P12ihipStream_tbENKUlT_T0_E_clISt17integral_constantIbLb1EESX_IbLb0EEEEDaST_SU_EUlST_E_NS1_11comp_targetILNS1_3genE9ELNS1_11target_archE1100ELNS1_3gpuE3ELNS1_3repE0EEENS1_30default_config_static_selectorELNS0_4arch9wavefront6targetE0EEEvT1_.num_vgpr, 0
	.set _ZN7rocprim17ROCPRIM_400000_NS6detail17trampoline_kernelINS0_14default_configENS1_27scan_by_key_config_selectorIssEEZZNS1_16scan_by_key_implILNS1_25lookback_scan_determinismE0ELb0ES3_N6thrust23THRUST_200600_302600_NS6detail15normal_iteratorINS9_10device_ptrIsEEEESE_SE_sNS9_4plusIsEE19head_flag_predicatesEE10hipError_tPvRmT2_T3_T4_T5_mT6_T7_P12ihipStream_tbENKUlT_T0_E_clISt17integral_constantIbLb1EESX_IbLb0EEEEDaST_SU_EUlST_E_NS1_11comp_targetILNS1_3genE9ELNS1_11target_archE1100ELNS1_3gpuE3ELNS1_3repE0EEENS1_30default_config_static_selectorELNS0_4arch9wavefront6targetE0EEEvT1_.num_agpr, 0
	.set _ZN7rocprim17ROCPRIM_400000_NS6detail17trampoline_kernelINS0_14default_configENS1_27scan_by_key_config_selectorIssEEZZNS1_16scan_by_key_implILNS1_25lookback_scan_determinismE0ELb0ES3_N6thrust23THRUST_200600_302600_NS6detail15normal_iteratorINS9_10device_ptrIsEEEESE_SE_sNS9_4plusIsEE19head_flag_predicatesEE10hipError_tPvRmT2_T3_T4_T5_mT6_T7_P12ihipStream_tbENKUlT_T0_E_clISt17integral_constantIbLb1EESX_IbLb0EEEEDaST_SU_EUlST_E_NS1_11comp_targetILNS1_3genE9ELNS1_11target_archE1100ELNS1_3gpuE3ELNS1_3repE0EEENS1_30default_config_static_selectorELNS0_4arch9wavefront6targetE0EEEvT1_.numbered_sgpr, 0
	.set _ZN7rocprim17ROCPRIM_400000_NS6detail17trampoline_kernelINS0_14default_configENS1_27scan_by_key_config_selectorIssEEZZNS1_16scan_by_key_implILNS1_25lookback_scan_determinismE0ELb0ES3_N6thrust23THRUST_200600_302600_NS6detail15normal_iteratorINS9_10device_ptrIsEEEESE_SE_sNS9_4plusIsEE19head_flag_predicatesEE10hipError_tPvRmT2_T3_T4_T5_mT6_T7_P12ihipStream_tbENKUlT_T0_E_clISt17integral_constantIbLb1EESX_IbLb0EEEEDaST_SU_EUlST_E_NS1_11comp_targetILNS1_3genE9ELNS1_11target_archE1100ELNS1_3gpuE3ELNS1_3repE0EEENS1_30default_config_static_selectorELNS0_4arch9wavefront6targetE0EEEvT1_.num_named_barrier, 0
	.set _ZN7rocprim17ROCPRIM_400000_NS6detail17trampoline_kernelINS0_14default_configENS1_27scan_by_key_config_selectorIssEEZZNS1_16scan_by_key_implILNS1_25lookback_scan_determinismE0ELb0ES3_N6thrust23THRUST_200600_302600_NS6detail15normal_iteratorINS9_10device_ptrIsEEEESE_SE_sNS9_4plusIsEE19head_flag_predicatesEE10hipError_tPvRmT2_T3_T4_T5_mT6_T7_P12ihipStream_tbENKUlT_T0_E_clISt17integral_constantIbLb1EESX_IbLb0EEEEDaST_SU_EUlST_E_NS1_11comp_targetILNS1_3genE9ELNS1_11target_archE1100ELNS1_3gpuE3ELNS1_3repE0EEENS1_30default_config_static_selectorELNS0_4arch9wavefront6targetE0EEEvT1_.private_seg_size, 0
	.set _ZN7rocprim17ROCPRIM_400000_NS6detail17trampoline_kernelINS0_14default_configENS1_27scan_by_key_config_selectorIssEEZZNS1_16scan_by_key_implILNS1_25lookback_scan_determinismE0ELb0ES3_N6thrust23THRUST_200600_302600_NS6detail15normal_iteratorINS9_10device_ptrIsEEEESE_SE_sNS9_4plusIsEE19head_flag_predicatesEE10hipError_tPvRmT2_T3_T4_T5_mT6_T7_P12ihipStream_tbENKUlT_T0_E_clISt17integral_constantIbLb1EESX_IbLb0EEEEDaST_SU_EUlST_E_NS1_11comp_targetILNS1_3genE9ELNS1_11target_archE1100ELNS1_3gpuE3ELNS1_3repE0EEENS1_30default_config_static_selectorELNS0_4arch9wavefront6targetE0EEEvT1_.uses_vcc, 0
	.set _ZN7rocprim17ROCPRIM_400000_NS6detail17trampoline_kernelINS0_14default_configENS1_27scan_by_key_config_selectorIssEEZZNS1_16scan_by_key_implILNS1_25lookback_scan_determinismE0ELb0ES3_N6thrust23THRUST_200600_302600_NS6detail15normal_iteratorINS9_10device_ptrIsEEEESE_SE_sNS9_4plusIsEE19head_flag_predicatesEE10hipError_tPvRmT2_T3_T4_T5_mT6_T7_P12ihipStream_tbENKUlT_T0_E_clISt17integral_constantIbLb1EESX_IbLb0EEEEDaST_SU_EUlST_E_NS1_11comp_targetILNS1_3genE9ELNS1_11target_archE1100ELNS1_3gpuE3ELNS1_3repE0EEENS1_30default_config_static_selectorELNS0_4arch9wavefront6targetE0EEEvT1_.uses_flat_scratch, 0
	.set _ZN7rocprim17ROCPRIM_400000_NS6detail17trampoline_kernelINS0_14default_configENS1_27scan_by_key_config_selectorIssEEZZNS1_16scan_by_key_implILNS1_25lookback_scan_determinismE0ELb0ES3_N6thrust23THRUST_200600_302600_NS6detail15normal_iteratorINS9_10device_ptrIsEEEESE_SE_sNS9_4plusIsEE19head_flag_predicatesEE10hipError_tPvRmT2_T3_T4_T5_mT6_T7_P12ihipStream_tbENKUlT_T0_E_clISt17integral_constantIbLb1EESX_IbLb0EEEEDaST_SU_EUlST_E_NS1_11comp_targetILNS1_3genE9ELNS1_11target_archE1100ELNS1_3gpuE3ELNS1_3repE0EEENS1_30default_config_static_selectorELNS0_4arch9wavefront6targetE0EEEvT1_.has_dyn_sized_stack, 0
	.set _ZN7rocprim17ROCPRIM_400000_NS6detail17trampoline_kernelINS0_14default_configENS1_27scan_by_key_config_selectorIssEEZZNS1_16scan_by_key_implILNS1_25lookback_scan_determinismE0ELb0ES3_N6thrust23THRUST_200600_302600_NS6detail15normal_iteratorINS9_10device_ptrIsEEEESE_SE_sNS9_4plusIsEE19head_flag_predicatesEE10hipError_tPvRmT2_T3_T4_T5_mT6_T7_P12ihipStream_tbENKUlT_T0_E_clISt17integral_constantIbLb1EESX_IbLb0EEEEDaST_SU_EUlST_E_NS1_11comp_targetILNS1_3genE9ELNS1_11target_archE1100ELNS1_3gpuE3ELNS1_3repE0EEENS1_30default_config_static_selectorELNS0_4arch9wavefront6targetE0EEEvT1_.has_recursion, 0
	.set _ZN7rocprim17ROCPRIM_400000_NS6detail17trampoline_kernelINS0_14default_configENS1_27scan_by_key_config_selectorIssEEZZNS1_16scan_by_key_implILNS1_25lookback_scan_determinismE0ELb0ES3_N6thrust23THRUST_200600_302600_NS6detail15normal_iteratorINS9_10device_ptrIsEEEESE_SE_sNS9_4plusIsEE19head_flag_predicatesEE10hipError_tPvRmT2_T3_T4_T5_mT6_T7_P12ihipStream_tbENKUlT_T0_E_clISt17integral_constantIbLb1EESX_IbLb0EEEEDaST_SU_EUlST_E_NS1_11comp_targetILNS1_3genE9ELNS1_11target_archE1100ELNS1_3gpuE3ELNS1_3repE0EEENS1_30default_config_static_selectorELNS0_4arch9wavefront6targetE0EEEvT1_.has_indirect_call, 0
	.section	.AMDGPU.csdata,"",@progbits
; Kernel info:
; codeLenInByte = 0
; TotalNumSgprs: 0
; NumVgprs: 0
; ScratchSize: 0
; MemoryBound: 0
; FloatMode: 240
; IeeeMode: 1
; LDSByteSize: 0 bytes/workgroup (compile time only)
; SGPRBlocks: 0
; VGPRBlocks: 0
; NumSGPRsForWavesPerEU: 1
; NumVGPRsForWavesPerEU: 1
; NamedBarCnt: 0
; Occupancy: 16
; WaveLimiterHint : 0
; COMPUTE_PGM_RSRC2:SCRATCH_EN: 0
; COMPUTE_PGM_RSRC2:USER_SGPR: 2
; COMPUTE_PGM_RSRC2:TRAP_HANDLER: 0
; COMPUTE_PGM_RSRC2:TGID_X_EN: 1
; COMPUTE_PGM_RSRC2:TGID_Y_EN: 0
; COMPUTE_PGM_RSRC2:TGID_Z_EN: 0
; COMPUTE_PGM_RSRC2:TIDIG_COMP_CNT: 0
	.section	.text._ZN7rocprim17ROCPRIM_400000_NS6detail17trampoline_kernelINS0_14default_configENS1_27scan_by_key_config_selectorIssEEZZNS1_16scan_by_key_implILNS1_25lookback_scan_determinismE0ELb0ES3_N6thrust23THRUST_200600_302600_NS6detail15normal_iteratorINS9_10device_ptrIsEEEESE_SE_sNS9_4plusIsEE19head_flag_predicatesEE10hipError_tPvRmT2_T3_T4_T5_mT6_T7_P12ihipStream_tbENKUlT_T0_E_clISt17integral_constantIbLb1EESX_IbLb0EEEEDaST_SU_EUlST_E_NS1_11comp_targetILNS1_3genE8ELNS1_11target_archE1030ELNS1_3gpuE2ELNS1_3repE0EEENS1_30default_config_static_selectorELNS0_4arch9wavefront6targetE0EEEvT1_,"axG",@progbits,_ZN7rocprim17ROCPRIM_400000_NS6detail17trampoline_kernelINS0_14default_configENS1_27scan_by_key_config_selectorIssEEZZNS1_16scan_by_key_implILNS1_25lookback_scan_determinismE0ELb0ES3_N6thrust23THRUST_200600_302600_NS6detail15normal_iteratorINS9_10device_ptrIsEEEESE_SE_sNS9_4plusIsEE19head_flag_predicatesEE10hipError_tPvRmT2_T3_T4_T5_mT6_T7_P12ihipStream_tbENKUlT_T0_E_clISt17integral_constantIbLb1EESX_IbLb0EEEEDaST_SU_EUlST_E_NS1_11comp_targetILNS1_3genE8ELNS1_11target_archE1030ELNS1_3gpuE2ELNS1_3repE0EEENS1_30default_config_static_selectorELNS0_4arch9wavefront6targetE0EEEvT1_,comdat
	.protected	_ZN7rocprim17ROCPRIM_400000_NS6detail17trampoline_kernelINS0_14default_configENS1_27scan_by_key_config_selectorIssEEZZNS1_16scan_by_key_implILNS1_25lookback_scan_determinismE0ELb0ES3_N6thrust23THRUST_200600_302600_NS6detail15normal_iteratorINS9_10device_ptrIsEEEESE_SE_sNS9_4plusIsEE19head_flag_predicatesEE10hipError_tPvRmT2_T3_T4_T5_mT6_T7_P12ihipStream_tbENKUlT_T0_E_clISt17integral_constantIbLb1EESX_IbLb0EEEEDaST_SU_EUlST_E_NS1_11comp_targetILNS1_3genE8ELNS1_11target_archE1030ELNS1_3gpuE2ELNS1_3repE0EEENS1_30default_config_static_selectorELNS0_4arch9wavefront6targetE0EEEvT1_ ; -- Begin function _ZN7rocprim17ROCPRIM_400000_NS6detail17trampoline_kernelINS0_14default_configENS1_27scan_by_key_config_selectorIssEEZZNS1_16scan_by_key_implILNS1_25lookback_scan_determinismE0ELb0ES3_N6thrust23THRUST_200600_302600_NS6detail15normal_iteratorINS9_10device_ptrIsEEEESE_SE_sNS9_4plusIsEE19head_flag_predicatesEE10hipError_tPvRmT2_T3_T4_T5_mT6_T7_P12ihipStream_tbENKUlT_T0_E_clISt17integral_constantIbLb1EESX_IbLb0EEEEDaST_SU_EUlST_E_NS1_11comp_targetILNS1_3genE8ELNS1_11target_archE1030ELNS1_3gpuE2ELNS1_3repE0EEENS1_30default_config_static_selectorELNS0_4arch9wavefront6targetE0EEEvT1_
	.globl	_ZN7rocprim17ROCPRIM_400000_NS6detail17trampoline_kernelINS0_14default_configENS1_27scan_by_key_config_selectorIssEEZZNS1_16scan_by_key_implILNS1_25lookback_scan_determinismE0ELb0ES3_N6thrust23THRUST_200600_302600_NS6detail15normal_iteratorINS9_10device_ptrIsEEEESE_SE_sNS9_4plusIsEE19head_flag_predicatesEE10hipError_tPvRmT2_T3_T4_T5_mT6_T7_P12ihipStream_tbENKUlT_T0_E_clISt17integral_constantIbLb1EESX_IbLb0EEEEDaST_SU_EUlST_E_NS1_11comp_targetILNS1_3genE8ELNS1_11target_archE1030ELNS1_3gpuE2ELNS1_3repE0EEENS1_30default_config_static_selectorELNS0_4arch9wavefront6targetE0EEEvT1_
	.p2align	8
	.type	_ZN7rocprim17ROCPRIM_400000_NS6detail17trampoline_kernelINS0_14default_configENS1_27scan_by_key_config_selectorIssEEZZNS1_16scan_by_key_implILNS1_25lookback_scan_determinismE0ELb0ES3_N6thrust23THRUST_200600_302600_NS6detail15normal_iteratorINS9_10device_ptrIsEEEESE_SE_sNS9_4plusIsEE19head_flag_predicatesEE10hipError_tPvRmT2_T3_T4_T5_mT6_T7_P12ihipStream_tbENKUlT_T0_E_clISt17integral_constantIbLb1EESX_IbLb0EEEEDaST_SU_EUlST_E_NS1_11comp_targetILNS1_3genE8ELNS1_11target_archE1030ELNS1_3gpuE2ELNS1_3repE0EEENS1_30default_config_static_selectorELNS0_4arch9wavefront6targetE0EEEvT1_,@function
_ZN7rocprim17ROCPRIM_400000_NS6detail17trampoline_kernelINS0_14default_configENS1_27scan_by_key_config_selectorIssEEZZNS1_16scan_by_key_implILNS1_25lookback_scan_determinismE0ELb0ES3_N6thrust23THRUST_200600_302600_NS6detail15normal_iteratorINS9_10device_ptrIsEEEESE_SE_sNS9_4plusIsEE19head_flag_predicatesEE10hipError_tPvRmT2_T3_T4_T5_mT6_T7_P12ihipStream_tbENKUlT_T0_E_clISt17integral_constantIbLb1EESX_IbLb0EEEEDaST_SU_EUlST_E_NS1_11comp_targetILNS1_3genE8ELNS1_11target_archE1030ELNS1_3gpuE2ELNS1_3repE0EEENS1_30default_config_static_selectorELNS0_4arch9wavefront6targetE0EEEvT1_: ; @_ZN7rocprim17ROCPRIM_400000_NS6detail17trampoline_kernelINS0_14default_configENS1_27scan_by_key_config_selectorIssEEZZNS1_16scan_by_key_implILNS1_25lookback_scan_determinismE0ELb0ES3_N6thrust23THRUST_200600_302600_NS6detail15normal_iteratorINS9_10device_ptrIsEEEESE_SE_sNS9_4plusIsEE19head_flag_predicatesEE10hipError_tPvRmT2_T3_T4_T5_mT6_T7_P12ihipStream_tbENKUlT_T0_E_clISt17integral_constantIbLb1EESX_IbLb0EEEEDaST_SU_EUlST_E_NS1_11comp_targetILNS1_3genE8ELNS1_11target_archE1030ELNS1_3gpuE2ELNS1_3repE0EEENS1_30default_config_static_selectorELNS0_4arch9wavefront6targetE0EEEvT1_
; %bb.0:
	.section	.rodata,"a",@progbits
	.p2align	6, 0x0
	.amdhsa_kernel _ZN7rocprim17ROCPRIM_400000_NS6detail17trampoline_kernelINS0_14default_configENS1_27scan_by_key_config_selectorIssEEZZNS1_16scan_by_key_implILNS1_25lookback_scan_determinismE0ELb0ES3_N6thrust23THRUST_200600_302600_NS6detail15normal_iteratorINS9_10device_ptrIsEEEESE_SE_sNS9_4plusIsEE19head_flag_predicatesEE10hipError_tPvRmT2_T3_T4_T5_mT6_T7_P12ihipStream_tbENKUlT_T0_E_clISt17integral_constantIbLb1EESX_IbLb0EEEEDaST_SU_EUlST_E_NS1_11comp_targetILNS1_3genE8ELNS1_11target_archE1030ELNS1_3gpuE2ELNS1_3repE0EEENS1_30default_config_static_selectorELNS0_4arch9wavefront6targetE0EEEvT1_
		.amdhsa_group_segment_fixed_size 0
		.amdhsa_private_segment_fixed_size 0
		.amdhsa_kernarg_size 112
		.amdhsa_user_sgpr_count 2
		.amdhsa_user_sgpr_dispatch_ptr 0
		.amdhsa_user_sgpr_queue_ptr 0
		.amdhsa_user_sgpr_kernarg_segment_ptr 1
		.amdhsa_user_sgpr_dispatch_id 0
		.amdhsa_user_sgpr_kernarg_preload_length 0
		.amdhsa_user_sgpr_kernarg_preload_offset 0
		.amdhsa_user_sgpr_private_segment_size 0
		.amdhsa_wavefront_size32 1
		.amdhsa_uses_dynamic_stack 0
		.amdhsa_enable_private_segment 0
		.amdhsa_system_sgpr_workgroup_id_x 1
		.amdhsa_system_sgpr_workgroup_id_y 0
		.amdhsa_system_sgpr_workgroup_id_z 0
		.amdhsa_system_sgpr_workgroup_info 0
		.amdhsa_system_vgpr_workitem_id 0
		.amdhsa_next_free_vgpr 1
		.amdhsa_next_free_sgpr 1
		.amdhsa_named_barrier_count 0
		.amdhsa_reserve_vcc 0
		.amdhsa_float_round_mode_32 0
		.amdhsa_float_round_mode_16_64 0
		.amdhsa_float_denorm_mode_32 3
		.amdhsa_float_denorm_mode_16_64 3
		.amdhsa_fp16_overflow 0
		.amdhsa_memory_ordered 1
		.amdhsa_forward_progress 1
		.amdhsa_inst_pref_size 0
		.amdhsa_round_robin_scheduling 0
		.amdhsa_exception_fp_ieee_invalid_op 0
		.amdhsa_exception_fp_denorm_src 0
		.amdhsa_exception_fp_ieee_div_zero 0
		.amdhsa_exception_fp_ieee_overflow 0
		.amdhsa_exception_fp_ieee_underflow 0
		.amdhsa_exception_fp_ieee_inexact 0
		.amdhsa_exception_int_div_zero 0
	.end_amdhsa_kernel
	.section	.text._ZN7rocprim17ROCPRIM_400000_NS6detail17trampoline_kernelINS0_14default_configENS1_27scan_by_key_config_selectorIssEEZZNS1_16scan_by_key_implILNS1_25lookback_scan_determinismE0ELb0ES3_N6thrust23THRUST_200600_302600_NS6detail15normal_iteratorINS9_10device_ptrIsEEEESE_SE_sNS9_4plusIsEE19head_flag_predicatesEE10hipError_tPvRmT2_T3_T4_T5_mT6_T7_P12ihipStream_tbENKUlT_T0_E_clISt17integral_constantIbLb1EESX_IbLb0EEEEDaST_SU_EUlST_E_NS1_11comp_targetILNS1_3genE8ELNS1_11target_archE1030ELNS1_3gpuE2ELNS1_3repE0EEENS1_30default_config_static_selectorELNS0_4arch9wavefront6targetE0EEEvT1_,"axG",@progbits,_ZN7rocprim17ROCPRIM_400000_NS6detail17trampoline_kernelINS0_14default_configENS1_27scan_by_key_config_selectorIssEEZZNS1_16scan_by_key_implILNS1_25lookback_scan_determinismE0ELb0ES3_N6thrust23THRUST_200600_302600_NS6detail15normal_iteratorINS9_10device_ptrIsEEEESE_SE_sNS9_4plusIsEE19head_flag_predicatesEE10hipError_tPvRmT2_T3_T4_T5_mT6_T7_P12ihipStream_tbENKUlT_T0_E_clISt17integral_constantIbLb1EESX_IbLb0EEEEDaST_SU_EUlST_E_NS1_11comp_targetILNS1_3genE8ELNS1_11target_archE1030ELNS1_3gpuE2ELNS1_3repE0EEENS1_30default_config_static_selectorELNS0_4arch9wavefront6targetE0EEEvT1_,comdat
.Lfunc_end847:
	.size	_ZN7rocprim17ROCPRIM_400000_NS6detail17trampoline_kernelINS0_14default_configENS1_27scan_by_key_config_selectorIssEEZZNS1_16scan_by_key_implILNS1_25lookback_scan_determinismE0ELb0ES3_N6thrust23THRUST_200600_302600_NS6detail15normal_iteratorINS9_10device_ptrIsEEEESE_SE_sNS9_4plusIsEE19head_flag_predicatesEE10hipError_tPvRmT2_T3_T4_T5_mT6_T7_P12ihipStream_tbENKUlT_T0_E_clISt17integral_constantIbLb1EESX_IbLb0EEEEDaST_SU_EUlST_E_NS1_11comp_targetILNS1_3genE8ELNS1_11target_archE1030ELNS1_3gpuE2ELNS1_3repE0EEENS1_30default_config_static_selectorELNS0_4arch9wavefront6targetE0EEEvT1_, .Lfunc_end847-_ZN7rocprim17ROCPRIM_400000_NS6detail17trampoline_kernelINS0_14default_configENS1_27scan_by_key_config_selectorIssEEZZNS1_16scan_by_key_implILNS1_25lookback_scan_determinismE0ELb0ES3_N6thrust23THRUST_200600_302600_NS6detail15normal_iteratorINS9_10device_ptrIsEEEESE_SE_sNS9_4plusIsEE19head_flag_predicatesEE10hipError_tPvRmT2_T3_T4_T5_mT6_T7_P12ihipStream_tbENKUlT_T0_E_clISt17integral_constantIbLb1EESX_IbLb0EEEEDaST_SU_EUlST_E_NS1_11comp_targetILNS1_3genE8ELNS1_11target_archE1030ELNS1_3gpuE2ELNS1_3repE0EEENS1_30default_config_static_selectorELNS0_4arch9wavefront6targetE0EEEvT1_
                                        ; -- End function
	.set _ZN7rocprim17ROCPRIM_400000_NS6detail17trampoline_kernelINS0_14default_configENS1_27scan_by_key_config_selectorIssEEZZNS1_16scan_by_key_implILNS1_25lookback_scan_determinismE0ELb0ES3_N6thrust23THRUST_200600_302600_NS6detail15normal_iteratorINS9_10device_ptrIsEEEESE_SE_sNS9_4plusIsEE19head_flag_predicatesEE10hipError_tPvRmT2_T3_T4_T5_mT6_T7_P12ihipStream_tbENKUlT_T0_E_clISt17integral_constantIbLb1EESX_IbLb0EEEEDaST_SU_EUlST_E_NS1_11comp_targetILNS1_3genE8ELNS1_11target_archE1030ELNS1_3gpuE2ELNS1_3repE0EEENS1_30default_config_static_selectorELNS0_4arch9wavefront6targetE0EEEvT1_.num_vgpr, 0
	.set _ZN7rocprim17ROCPRIM_400000_NS6detail17trampoline_kernelINS0_14default_configENS1_27scan_by_key_config_selectorIssEEZZNS1_16scan_by_key_implILNS1_25lookback_scan_determinismE0ELb0ES3_N6thrust23THRUST_200600_302600_NS6detail15normal_iteratorINS9_10device_ptrIsEEEESE_SE_sNS9_4plusIsEE19head_flag_predicatesEE10hipError_tPvRmT2_T3_T4_T5_mT6_T7_P12ihipStream_tbENKUlT_T0_E_clISt17integral_constantIbLb1EESX_IbLb0EEEEDaST_SU_EUlST_E_NS1_11comp_targetILNS1_3genE8ELNS1_11target_archE1030ELNS1_3gpuE2ELNS1_3repE0EEENS1_30default_config_static_selectorELNS0_4arch9wavefront6targetE0EEEvT1_.num_agpr, 0
	.set _ZN7rocprim17ROCPRIM_400000_NS6detail17trampoline_kernelINS0_14default_configENS1_27scan_by_key_config_selectorIssEEZZNS1_16scan_by_key_implILNS1_25lookback_scan_determinismE0ELb0ES3_N6thrust23THRUST_200600_302600_NS6detail15normal_iteratorINS9_10device_ptrIsEEEESE_SE_sNS9_4plusIsEE19head_flag_predicatesEE10hipError_tPvRmT2_T3_T4_T5_mT6_T7_P12ihipStream_tbENKUlT_T0_E_clISt17integral_constantIbLb1EESX_IbLb0EEEEDaST_SU_EUlST_E_NS1_11comp_targetILNS1_3genE8ELNS1_11target_archE1030ELNS1_3gpuE2ELNS1_3repE0EEENS1_30default_config_static_selectorELNS0_4arch9wavefront6targetE0EEEvT1_.numbered_sgpr, 0
	.set _ZN7rocprim17ROCPRIM_400000_NS6detail17trampoline_kernelINS0_14default_configENS1_27scan_by_key_config_selectorIssEEZZNS1_16scan_by_key_implILNS1_25lookback_scan_determinismE0ELb0ES3_N6thrust23THRUST_200600_302600_NS6detail15normal_iteratorINS9_10device_ptrIsEEEESE_SE_sNS9_4plusIsEE19head_flag_predicatesEE10hipError_tPvRmT2_T3_T4_T5_mT6_T7_P12ihipStream_tbENKUlT_T0_E_clISt17integral_constantIbLb1EESX_IbLb0EEEEDaST_SU_EUlST_E_NS1_11comp_targetILNS1_3genE8ELNS1_11target_archE1030ELNS1_3gpuE2ELNS1_3repE0EEENS1_30default_config_static_selectorELNS0_4arch9wavefront6targetE0EEEvT1_.num_named_barrier, 0
	.set _ZN7rocprim17ROCPRIM_400000_NS6detail17trampoline_kernelINS0_14default_configENS1_27scan_by_key_config_selectorIssEEZZNS1_16scan_by_key_implILNS1_25lookback_scan_determinismE0ELb0ES3_N6thrust23THRUST_200600_302600_NS6detail15normal_iteratorINS9_10device_ptrIsEEEESE_SE_sNS9_4plusIsEE19head_flag_predicatesEE10hipError_tPvRmT2_T3_T4_T5_mT6_T7_P12ihipStream_tbENKUlT_T0_E_clISt17integral_constantIbLb1EESX_IbLb0EEEEDaST_SU_EUlST_E_NS1_11comp_targetILNS1_3genE8ELNS1_11target_archE1030ELNS1_3gpuE2ELNS1_3repE0EEENS1_30default_config_static_selectorELNS0_4arch9wavefront6targetE0EEEvT1_.private_seg_size, 0
	.set _ZN7rocprim17ROCPRIM_400000_NS6detail17trampoline_kernelINS0_14default_configENS1_27scan_by_key_config_selectorIssEEZZNS1_16scan_by_key_implILNS1_25lookback_scan_determinismE0ELb0ES3_N6thrust23THRUST_200600_302600_NS6detail15normal_iteratorINS9_10device_ptrIsEEEESE_SE_sNS9_4plusIsEE19head_flag_predicatesEE10hipError_tPvRmT2_T3_T4_T5_mT6_T7_P12ihipStream_tbENKUlT_T0_E_clISt17integral_constantIbLb1EESX_IbLb0EEEEDaST_SU_EUlST_E_NS1_11comp_targetILNS1_3genE8ELNS1_11target_archE1030ELNS1_3gpuE2ELNS1_3repE0EEENS1_30default_config_static_selectorELNS0_4arch9wavefront6targetE0EEEvT1_.uses_vcc, 0
	.set _ZN7rocprim17ROCPRIM_400000_NS6detail17trampoline_kernelINS0_14default_configENS1_27scan_by_key_config_selectorIssEEZZNS1_16scan_by_key_implILNS1_25lookback_scan_determinismE0ELb0ES3_N6thrust23THRUST_200600_302600_NS6detail15normal_iteratorINS9_10device_ptrIsEEEESE_SE_sNS9_4plusIsEE19head_flag_predicatesEE10hipError_tPvRmT2_T3_T4_T5_mT6_T7_P12ihipStream_tbENKUlT_T0_E_clISt17integral_constantIbLb1EESX_IbLb0EEEEDaST_SU_EUlST_E_NS1_11comp_targetILNS1_3genE8ELNS1_11target_archE1030ELNS1_3gpuE2ELNS1_3repE0EEENS1_30default_config_static_selectorELNS0_4arch9wavefront6targetE0EEEvT1_.uses_flat_scratch, 0
	.set _ZN7rocprim17ROCPRIM_400000_NS6detail17trampoline_kernelINS0_14default_configENS1_27scan_by_key_config_selectorIssEEZZNS1_16scan_by_key_implILNS1_25lookback_scan_determinismE0ELb0ES3_N6thrust23THRUST_200600_302600_NS6detail15normal_iteratorINS9_10device_ptrIsEEEESE_SE_sNS9_4plusIsEE19head_flag_predicatesEE10hipError_tPvRmT2_T3_T4_T5_mT6_T7_P12ihipStream_tbENKUlT_T0_E_clISt17integral_constantIbLb1EESX_IbLb0EEEEDaST_SU_EUlST_E_NS1_11comp_targetILNS1_3genE8ELNS1_11target_archE1030ELNS1_3gpuE2ELNS1_3repE0EEENS1_30default_config_static_selectorELNS0_4arch9wavefront6targetE0EEEvT1_.has_dyn_sized_stack, 0
	.set _ZN7rocprim17ROCPRIM_400000_NS6detail17trampoline_kernelINS0_14default_configENS1_27scan_by_key_config_selectorIssEEZZNS1_16scan_by_key_implILNS1_25lookback_scan_determinismE0ELb0ES3_N6thrust23THRUST_200600_302600_NS6detail15normal_iteratorINS9_10device_ptrIsEEEESE_SE_sNS9_4plusIsEE19head_flag_predicatesEE10hipError_tPvRmT2_T3_T4_T5_mT6_T7_P12ihipStream_tbENKUlT_T0_E_clISt17integral_constantIbLb1EESX_IbLb0EEEEDaST_SU_EUlST_E_NS1_11comp_targetILNS1_3genE8ELNS1_11target_archE1030ELNS1_3gpuE2ELNS1_3repE0EEENS1_30default_config_static_selectorELNS0_4arch9wavefront6targetE0EEEvT1_.has_recursion, 0
	.set _ZN7rocprim17ROCPRIM_400000_NS6detail17trampoline_kernelINS0_14default_configENS1_27scan_by_key_config_selectorIssEEZZNS1_16scan_by_key_implILNS1_25lookback_scan_determinismE0ELb0ES3_N6thrust23THRUST_200600_302600_NS6detail15normal_iteratorINS9_10device_ptrIsEEEESE_SE_sNS9_4plusIsEE19head_flag_predicatesEE10hipError_tPvRmT2_T3_T4_T5_mT6_T7_P12ihipStream_tbENKUlT_T0_E_clISt17integral_constantIbLb1EESX_IbLb0EEEEDaST_SU_EUlST_E_NS1_11comp_targetILNS1_3genE8ELNS1_11target_archE1030ELNS1_3gpuE2ELNS1_3repE0EEENS1_30default_config_static_selectorELNS0_4arch9wavefront6targetE0EEEvT1_.has_indirect_call, 0
	.section	.AMDGPU.csdata,"",@progbits
; Kernel info:
; codeLenInByte = 0
; TotalNumSgprs: 0
; NumVgprs: 0
; ScratchSize: 0
; MemoryBound: 0
; FloatMode: 240
; IeeeMode: 1
; LDSByteSize: 0 bytes/workgroup (compile time only)
; SGPRBlocks: 0
; VGPRBlocks: 0
; NumSGPRsForWavesPerEU: 1
; NumVGPRsForWavesPerEU: 1
; NamedBarCnt: 0
; Occupancy: 16
; WaveLimiterHint : 0
; COMPUTE_PGM_RSRC2:SCRATCH_EN: 0
; COMPUTE_PGM_RSRC2:USER_SGPR: 2
; COMPUTE_PGM_RSRC2:TRAP_HANDLER: 0
; COMPUTE_PGM_RSRC2:TGID_X_EN: 1
; COMPUTE_PGM_RSRC2:TGID_Y_EN: 0
; COMPUTE_PGM_RSRC2:TGID_Z_EN: 0
; COMPUTE_PGM_RSRC2:TIDIG_COMP_CNT: 0
	.section	.text._ZN7rocprim17ROCPRIM_400000_NS6detail17trampoline_kernelINS0_14default_configENS1_27scan_by_key_config_selectorIssEEZZNS1_16scan_by_key_implILNS1_25lookback_scan_determinismE0ELb0ES3_N6thrust23THRUST_200600_302600_NS6detail15normal_iteratorINS9_10device_ptrIsEEEESE_SE_sNS9_4plusIsEE19head_flag_predicatesEE10hipError_tPvRmT2_T3_T4_T5_mT6_T7_P12ihipStream_tbENKUlT_T0_E_clISt17integral_constantIbLb0EESX_IbLb1EEEEDaST_SU_EUlST_E_NS1_11comp_targetILNS1_3genE0ELNS1_11target_archE4294967295ELNS1_3gpuE0ELNS1_3repE0EEENS1_30default_config_static_selectorELNS0_4arch9wavefront6targetE0EEEvT1_,"axG",@progbits,_ZN7rocprim17ROCPRIM_400000_NS6detail17trampoline_kernelINS0_14default_configENS1_27scan_by_key_config_selectorIssEEZZNS1_16scan_by_key_implILNS1_25lookback_scan_determinismE0ELb0ES3_N6thrust23THRUST_200600_302600_NS6detail15normal_iteratorINS9_10device_ptrIsEEEESE_SE_sNS9_4plusIsEE19head_flag_predicatesEE10hipError_tPvRmT2_T3_T4_T5_mT6_T7_P12ihipStream_tbENKUlT_T0_E_clISt17integral_constantIbLb0EESX_IbLb1EEEEDaST_SU_EUlST_E_NS1_11comp_targetILNS1_3genE0ELNS1_11target_archE4294967295ELNS1_3gpuE0ELNS1_3repE0EEENS1_30default_config_static_selectorELNS0_4arch9wavefront6targetE0EEEvT1_,comdat
	.protected	_ZN7rocprim17ROCPRIM_400000_NS6detail17trampoline_kernelINS0_14default_configENS1_27scan_by_key_config_selectorIssEEZZNS1_16scan_by_key_implILNS1_25lookback_scan_determinismE0ELb0ES3_N6thrust23THRUST_200600_302600_NS6detail15normal_iteratorINS9_10device_ptrIsEEEESE_SE_sNS9_4plusIsEE19head_flag_predicatesEE10hipError_tPvRmT2_T3_T4_T5_mT6_T7_P12ihipStream_tbENKUlT_T0_E_clISt17integral_constantIbLb0EESX_IbLb1EEEEDaST_SU_EUlST_E_NS1_11comp_targetILNS1_3genE0ELNS1_11target_archE4294967295ELNS1_3gpuE0ELNS1_3repE0EEENS1_30default_config_static_selectorELNS0_4arch9wavefront6targetE0EEEvT1_ ; -- Begin function _ZN7rocprim17ROCPRIM_400000_NS6detail17trampoline_kernelINS0_14default_configENS1_27scan_by_key_config_selectorIssEEZZNS1_16scan_by_key_implILNS1_25lookback_scan_determinismE0ELb0ES3_N6thrust23THRUST_200600_302600_NS6detail15normal_iteratorINS9_10device_ptrIsEEEESE_SE_sNS9_4plusIsEE19head_flag_predicatesEE10hipError_tPvRmT2_T3_T4_T5_mT6_T7_P12ihipStream_tbENKUlT_T0_E_clISt17integral_constantIbLb0EESX_IbLb1EEEEDaST_SU_EUlST_E_NS1_11comp_targetILNS1_3genE0ELNS1_11target_archE4294967295ELNS1_3gpuE0ELNS1_3repE0EEENS1_30default_config_static_selectorELNS0_4arch9wavefront6targetE0EEEvT1_
	.globl	_ZN7rocprim17ROCPRIM_400000_NS6detail17trampoline_kernelINS0_14default_configENS1_27scan_by_key_config_selectorIssEEZZNS1_16scan_by_key_implILNS1_25lookback_scan_determinismE0ELb0ES3_N6thrust23THRUST_200600_302600_NS6detail15normal_iteratorINS9_10device_ptrIsEEEESE_SE_sNS9_4plusIsEE19head_flag_predicatesEE10hipError_tPvRmT2_T3_T4_T5_mT6_T7_P12ihipStream_tbENKUlT_T0_E_clISt17integral_constantIbLb0EESX_IbLb1EEEEDaST_SU_EUlST_E_NS1_11comp_targetILNS1_3genE0ELNS1_11target_archE4294967295ELNS1_3gpuE0ELNS1_3repE0EEENS1_30default_config_static_selectorELNS0_4arch9wavefront6targetE0EEEvT1_
	.p2align	8
	.type	_ZN7rocprim17ROCPRIM_400000_NS6detail17trampoline_kernelINS0_14default_configENS1_27scan_by_key_config_selectorIssEEZZNS1_16scan_by_key_implILNS1_25lookback_scan_determinismE0ELb0ES3_N6thrust23THRUST_200600_302600_NS6detail15normal_iteratorINS9_10device_ptrIsEEEESE_SE_sNS9_4plusIsEE19head_flag_predicatesEE10hipError_tPvRmT2_T3_T4_T5_mT6_T7_P12ihipStream_tbENKUlT_T0_E_clISt17integral_constantIbLb0EESX_IbLb1EEEEDaST_SU_EUlST_E_NS1_11comp_targetILNS1_3genE0ELNS1_11target_archE4294967295ELNS1_3gpuE0ELNS1_3repE0EEENS1_30default_config_static_selectorELNS0_4arch9wavefront6targetE0EEEvT1_,@function
_ZN7rocprim17ROCPRIM_400000_NS6detail17trampoline_kernelINS0_14default_configENS1_27scan_by_key_config_selectorIssEEZZNS1_16scan_by_key_implILNS1_25lookback_scan_determinismE0ELb0ES3_N6thrust23THRUST_200600_302600_NS6detail15normal_iteratorINS9_10device_ptrIsEEEESE_SE_sNS9_4plusIsEE19head_flag_predicatesEE10hipError_tPvRmT2_T3_T4_T5_mT6_T7_P12ihipStream_tbENKUlT_T0_E_clISt17integral_constantIbLb0EESX_IbLb1EEEEDaST_SU_EUlST_E_NS1_11comp_targetILNS1_3genE0ELNS1_11target_archE4294967295ELNS1_3gpuE0ELNS1_3repE0EEENS1_30default_config_static_selectorELNS0_4arch9wavefront6targetE0EEEvT1_: ; @_ZN7rocprim17ROCPRIM_400000_NS6detail17trampoline_kernelINS0_14default_configENS1_27scan_by_key_config_selectorIssEEZZNS1_16scan_by_key_implILNS1_25lookback_scan_determinismE0ELb0ES3_N6thrust23THRUST_200600_302600_NS6detail15normal_iteratorINS9_10device_ptrIsEEEESE_SE_sNS9_4plusIsEE19head_flag_predicatesEE10hipError_tPvRmT2_T3_T4_T5_mT6_T7_P12ihipStream_tbENKUlT_T0_E_clISt17integral_constantIbLb0EESX_IbLb1EEEEDaST_SU_EUlST_E_NS1_11comp_targetILNS1_3genE0ELNS1_11target_archE4294967295ELNS1_3gpuE0ELNS1_3repE0EEENS1_30default_config_static_selectorELNS0_4arch9wavefront6targetE0EEEvT1_
; %bb.0:
	s_clause 0x1
	s_load_b128 s[28:31], s[0:1], 0x28
	s_load_b64 s[40:41], s[0:1], 0x38
	v_cmp_ne_u32_e64 s3, 0, v0
	v_cmp_eq_u32_e64 s2, 0, v0
	s_and_saveexec_b32 s4, s2
	s_cbranch_execz .LBB848_4
; %bb.1:
	s_mov_b32 s6, exec_lo
	s_mov_b32 s5, exec_lo
	v_mbcnt_lo_u32_b32 v1, s6, 0
                                        ; implicit-def: $vgpr2
	s_delay_alu instid0(VALU_DEP_1)
	v_cmpx_eq_u32_e32 0, v1
	s_cbranch_execz .LBB848_3
; %bb.2:
	s_load_b64 s[8:9], s[0:1], 0x68
	s_bcnt1_i32_b32 s6, s6
	s_delay_alu instid0(SALU_CYCLE_1)
	v_dual_mov_b32 v2, 0 :: v_dual_mov_b32 v3, s6
	s_wait_xcnt 0x0
	s_wait_kmcnt 0x0
	global_atomic_add_u32 v2, v2, v3, s[8:9] th:TH_ATOMIC_RETURN scope:SCOPE_DEV
.LBB848_3:
	s_wait_xcnt 0x0
	s_or_b32 exec_lo, exec_lo, s5
	s_wait_loadcnt 0x0
	v_readfirstlane_b32 s5, v2
	s_delay_alu instid0(VALU_DEP_1)
	v_dual_mov_b32 v2, 0 :: v_dual_add_nc_u32 v1, s5, v1
	ds_store_b32 v2, v1
.LBB848_4:
	s_or_b32 exec_lo, exec_lo, s4
	v_mov_b32_e32 v17, 0
	s_clause 0x2
	s_load_b256 s[20:27], s[0:1], 0x0
	s_load_b32 s4, s[0:1], 0x40
	s_load_b128 s[36:39], s[0:1], 0x48
	s_wait_dscnt 0x0
	s_barrier_signal -1
	s_barrier_wait -1
	ds_load_b32 v16, v17
	s_mov_b32 s5, 0
	s_wait_dscnt 0x0
	s_barrier_signal -1
	s_barrier_wait -1
	s_barrier_signal -1
	s_barrier_wait -1
	s_wait_kmcnt 0x0
	s_lshl_b64 s[34:35], s[22:23], 1
	s_mul_u64 s[0:1], s[40:41], s[4:5]
	s_add_nc_u64 s[10:11], s[36:37], -1
	s_add_nc_u64 s[6:7], s[20:21], s[34:35]
	s_add_nc_u64 s[8:9], s[24:25], s[34:35]
	s_mul_i32 s31, s10, 0xffffec00
	v_add_nc_u64_e32 v[2:3], s[0:1], v[16:17]
	v_readfirstlane_b32 s1, v16
	s_mul_i32 s4, s1, 0x1400
	v_cmp_le_u64_e64 s0, s[10:11], v[2:3]
	s_lshl_b64 s[24:25], s[4:5], 1
	s_delay_alu instid0(SALU_CYCLE_1)
	s_add_nc_u64 s[36:37], s[6:7], s[24:25]
	s_add_nc_u64 s[22:23], s[8:9], s[24:25]
	s_and_b32 vcc_lo, exec_lo, s0
	s_cbranch_vccz .LBB848_106
; %bb.5:
	flat_load_u16 v1, v17, s[36:37]
	s_add_co_i32 s33, s31, s30
	s_delay_alu instid0(SALU_CYCLE_1)
	v_cmp_gt_u32_e32 vcc_lo, s33, v0
	s_wait_loadcnt_dscnt 0x0
	v_mov_b32_e32 v2, v1
	s_and_saveexec_b32 s1, vcc_lo
	s_cbranch_execz .LBB848_7
; %bb.6:
	flat_load_u16 v2, v0, s[36:37] scale_offset
.LBB848_7:
	s_wait_xcnt 0x0
	s_or_b32 exec_lo, exec_lo, s1
	v_or_b32_e32 v3, 0x100, v0
	s_delay_alu instid0(VALU_DEP_1)
	v_cmp_gt_u32_e64 s1, s33, v3
	v_mov_b32_e32 v3, v1
	s_and_saveexec_b32 s4, s1
	s_cbranch_execz .LBB848_9
; %bb.8:
	flat_load_u16 v3, v0, s[36:37] offset:512 scale_offset
.LBB848_9:
	s_wait_xcnt 0x0
	s_or_b32 exec_lo, exec_lo, s4
	v_or_b32_e32 v4, 0x200, v0
	s_delay_alu instid0(VALU_DEP_1)
	v_cmp_gt_u32_e64 s4, s33, v4
	v_mov_b32_e32 v4, v1
	s_and_saveexec_b32 s5, s4
	s_cbranch_execz .LBB848_11
; %bb.10:
	flat_load_u16 v4, v0, s[36:37] offset:1024 scale_offset
.LBB848_11:
	s_wait_xcnt 0x0
	s_or_b32 exec_lo, exec_lo, s5
	v_or_b32_e32 v5, 0x300, v0
	s_delay_alu instid0(VALU_DEP_1)
	v_cmp_gt_u32_e64 s5, s33, v5
	v_mov_b32_e32 v5, v1
	s_and_saveexec_b32 s6, s5
	s_cbranch_execz .LBB848_13
; %bb.12:
	flat_load_u16 v5, v0, s[36:37] offset:1536 scale_offset
.LBB848_13:
	s_wait_xcnt 0x0
	s_or_b32 exec_lo, exec_lo, s6
	v_or_b32_e32 v6, 0x400, v0
	s_delay_alu instid0(VALU_DEP_1)
	v_cmp_gt_u32_e64 s6, s33, v6
	v_mov_b32_e32 v6, v1
	s_and_saveexec_b32 s7, s6
	s_cbranch_execz .LBB848_15
; %bb.14:
	flat_load_u16 v6, v0, s[36:37] offset:2048 scale_offset
.LBB848_15:
	s_wait_xcnt 0x0
	s_or_b32 exec_lo, exec_lo, s7
	v_or_b32_e32 v7, 0x500, v0
	s_delay_alu instid0(VALU_DEP_1)
	v_cmp_gt_u32_e64 s7, s33, v7
	v_mov_b32_e32 v7, v1
	s_and_saveexec_b32 s8, s7
	s_cbranch_execz .LBB848_17
; %bb.16:
	flat_load_u16 v7, v0, s[36:37] offset:2560 scale_offset
.LBB848_17:
	s_wait_xcnt 0x0
	s_or_b32 exec_lo, exec_lo, s8
	v_or_b32_e32 v8, 0x600, v0
	s_delay_alu instid0(VALU_DEP_1)
	v_cmp_gt_u32_e64 s8, s33, v8
	v_mov_b32_e32 v8, v1
	s_and_saveexec_b32 s9, s8
	s_cbranch_execz .LBB848_19
; %bb.18:
	flat_load_u16 v8, v0, s[36:37] offset:3072 scale_offset
.LBB848_19:
	s_wait_xcnt 0x0
	s_or_b32 exec_lo, exec_lo, s9
	v_or_b32_e32 v9, 0x700, v0
	s_delay_alu instid0(VALU_DEP_1)
	v_cmp_gt_u32_e64 s9, s33, v9
	v_mov_b32_e32 v9, v1
	s_and_saveexec_b32 s10, s9
	s_cbranch_execz .LBB848_21
; %bb.20:
	flat_load_u16 v9, v0, s[36:37] offset:3584 scale_offset
.LBB848_21:
	s_wait_xcnt 0x0
	s_or_b32 exec_lo, exec_lo, s10
	v_or_b32_e32 v10, 0x800, v0
	v_mov_b32_e32 v11, v1
	s_delay_alu instid0(VALU_DEP_2)
	v_cmp_gt_u32_e64 s10, s33, v10
	s_and_saveexec_b32 s11, s10
	s_cbranch_execz .LBB848_23
; %bb.22:
	flat_load_u16 v11, v0, s[36:37] offset:4096 scale_offset
.LBB848_23:
	s_wait_xcnt 0x0
	s_or_b32 exec_lo, exec_lo, s11
	v_or_b32_e32 v10, 0x900, v0
	v_mov_b32_e32 v12, v1
	s_delay_alu instid0(VALU_DEP_2)
	v_cmp_gt_u32_e64 s11, s33, v10
	s_and_saveexec_b32 s12, s11
	s_cbranch_execz .LBB848_25
; %bb.24:
	flat_load_u16 v12, v0, s[36:37] offset:4608 scale_offset
.LBB848_25:
	;; [unrolled: 11-line block ×11, first 2 shown]
	s_wait_xcnt 0x0
	s_or_b32 exec_lo, exec_lo, s21
	v_or_b32_e32 v10, 0x1300, v0
	s_delay_alu instid0(VALU_DEP_1)
	v_cmp_gt_u32_e64 s21, s33, v10
	s_and_saveexec_b32 s42, s21
	s_cbranch_execz .LBB848_45
; %bb.44:
	flat_load_u16 v1, v0, s[36:37] offset:9728 scale_offset
.LBB848_45:
	s_wait_xcnt 0x0
	s_or_b32 exec_lo, exec_lo, s42
	v_lshlrev_b32_e32 v10, 1, v0
	s_wait_loadcnt_dscnt 0x0
	ds_store_b16 v10, v2
	ds_store_b16 v10, v3 offset:512
	ds_store_b16 v10, v4 offset:1024
	ds_store_b16 v10, v5 offset:1536
	ds_store_b16 v10, v6 offset:2048
	ds_store_b16 v10, v7 offset:2560
	ds_store_b16 v10, v8 offset:3072
	ds_store_b16 v10, v9 offset:3584
	ds_store_b16 v10, v11 offset:4096
	ds_store_b16 v10, v12 offset:4608
	ds_store_b16 v10, v13 offset:5120
	ds_store_b16 v10, v14 offset:5632
	ds_store_b16 v10, v15 offset:6144
	ds_store_b16 v10, v17 offset:6656
	ds_store_b16 v10, v18 offset:7168
	ds_store_b16 v10, v19 offset:7680
	ds_store_b16 v10, v20 offset:8192
	ds_store_b16 v10, v21 offset:8704
	ds_store_b16 v10, v22 offset:9216
	ds_store_b16 v10, v1 offset:9728
	v_mad_u32_u24 v1, v0, 38, v10
	s_wait_dscnt 0x0
	s_barrier_signal -1
	s_barrier_wait -1
	ds_load_b64 v[54:55], v1 offset:32
	ds_load_2addr_b64 v[6:9], v1 offset1:1
	ds_load_2addr_b64 v[2:5], v1 offset0:2 offset1:3
	v_mad_i32_i24 v11, 0xffffffda, v0, v1
	s_wait_dscnt 0x2
	v_lshrrev_b32_e32 v17, 16, v55
	ds_store_b16 v11, v17 offset:10240
	s_wait_dscnt 0x0
	s_barrier_signal -1
	s_barrier_wait -1
	s_barrier_signal -1
	s_barrier_wait -1
                                        ; implicit-def: $vgpr11
	s_and_saveexec_b32 s42, vcc_lo
	s_cbranch_execz .LBB848_160
; %bb.46:
	flat_load_u16 v11, v0, s[22:23] scale_offset
	s_wait_xcnt 0x0
	s_or_b32 exec_lo, exec_lo, s42
                                        ; implicit-def: $vgpr12
	s_and_saveexec_b32 s42, s1
	s_cbranch_execnz .LBB848_161
.LBB848_47:
	s_or_b32 exec_lo, exec_lo, s42
                                        ; implicit-def: $vgpr13
	s_and_saveexec_b32 s1, s4
	s_cbranch_execz .LBB848_162
.LBB848_48:
	flat_load_u16 v13, v0, s[22:23] offset:1024 scale_offset
	s_wait_xcnt 0x0
	s_or_b32 exec_lo, exec_lo, s1
                                        ; implicit-def: $vgpr14
	s_and_saveexec_b32 s1, s5
	s_cbranch_execnz .LBB848_163
.LBB848_49:
	s_or_b32 exec_lo, exec_lo, s1
                                        ; implicit-def: $vgpr15
	s_and_saveexec_b32 s1, s6
	s_cbranch_execz .LBB848_164
.LBB848_50:
	flat_load_u16 v15, v0, s[22:23] offset:2048 scale_offset
	s_wait_xcnt 0x0
	s_or_b32 exec_lo, exec_lo, s1
                                        ; implicit-def: $vgpr18
	s_and_saveexec_b32 s1, s7
	s_cbranch_execnz .LBB848_165
.LBB848_51:
	s_or_b32 exec_lo, exec_lo, s1
                                        ; implicit-def: $vgpr19
	s_and_saveexec_b32 s1, s8
	s_cbranch_execz .LBB848_166
.LBB848_52:
	flat_load_u16 v19, v0, s[22:23] offset:3072 scale_offset
	s_wait_xcnt 0x0
	s_or_b32 exec_lo, exec_lo, s1
                                        ; implicit-def: $vgpr20
	s_and_saveexec_b32 s1, s9
	s_cbranch_execnz .LBB848_167
.LBB848_53:
	s_or_b32 exec_lo, exec_lo, s1
                                        ; implicit-def: $vgpr21
	s_and_saveexec_b32 s1, s10
	s_cbranch_execz .LBB848_168
.LBB848_54:
	flat_load_u16 v21, v0, s[22:23] offset:4096 scale_offset
	s_wait_xcnt 0x0
	s_or_b32 exec_lo, exec_lo, s1
                                        ; implicit-def: $vgpr22
	s_and_saveexec_b32 s1, s11
	s_cbranch_execnz .LBB848_169
.LBB848_55:
	s_or_b32 exec_lo, exec_lo, s1
                                        ; implicit-def: $vgpr23
	s_and_saveexec_b32 s1, s12
	s_cbranch_execz .LBB848_170
.LBB848_56:
	flat_load_u16 v23, v0, s[22:23] offset:5120 scale_offset
	s_wait_xcnt 0x0
	s_or_b32 exec_lo, exec_lo, s1
                                        ; implicit-def: $vgpr24
	s_and_saveexec_b32 s1, s13
	s_cbranch_execnz .LBB848_171
.LBB848_57:
	s_or_b32 exec_lo, exec_lo, s1
                                        ; implicit-def: $vgpr25
	s_and_saveexec_b32 s1, s14
	s_cbranch_execz .LBB848_172
.LBB848_58:
	flat_load_u16 v25, v0, s[22:23] offset:6144 scale_offset
	s_wait_xcnt 0x0
	s_or_b32 exec_lo, exec_lo, s1
                                        ; implicit-def: $vgpr26
	s_and_saveexec_b32 s1, s15
	s_cbranch_execnz .LBB848_173
.LBB848_59:
	s_or_b32 exec_lo, exec_lo, s1
                                        ; implicit-def: $vgpr27
	s_and_saveexec_b32 s1, s16
	s_cbranch_execz .LBB848_174
.LBB848_60:
	flat_load_u16 v27, v0, s[22:23] offset:7168 scale_offset
	s_wait_xcnt 0x0
	s_or_b32 exec_lo, exec_lo, s1
                                        ; implicit-def: $vgpr28
	s_and_saveexec_b32 s1, s17
	s_cbranch_execnz .LBB848_175
.LBB848_61:
	s_or_b32 exec_lo, exec_lo, s1
                                        ; implicit-def: $vgpr29
	s_and_saveexec_b32 s1, s18
	s_cbranch_execz .LBB848_176
.LBB848_62:
	flat_load_u16 v29, v0, s[22:23] offset:8192 scale_offset
	s_wait_xcnt 0x0
	s_or_b32 exec_lo, exec_lo, s1
                                        ; implicit-def: $vgpr30
	s_and_saveexec_b32 s1, s19
	s_cbranch_execnz .LBB848_177
.LBB848_63:
	s_or_b32 exec_lo, exec_lo, s1
                                        ; implicit-def: $vgpr31
	s_and_saveexec_b32 s1, s20
	s_cbranch_execz .LBB848_65
.LBB848_64:
	flat_load_u16 v31, v0, s[22:23] offset:9216 scale_offset
.LBB848_65:
	s_wait_xcnt 0x0
	s_or_b32 exec_lo, exec_lo, s1
	v_mul_u32_u24_e32 v57, 20, v0
                                        ; implicit-def: $vgpr32
	s_and_saveexec_b32 s1, s21
	s_cbranch_execz .LBB848_67
; %bb.66:
	flat_load_u16 v32, v0, s[22:23] offset:9728 scale_offset
.LBB848_67:
	s_wait_xcnt 0x0
	s_or_b32 exec_lo, exec_lo, s1
	s_wait_loadcnt_dscnt 0x0
	ds_store_b16 v10, v11
	ds_store_b16 v10, v12 offset:512
	ds_store_b16 v10, v13 offset:1024
	;; [unrolled: 1-line block ×19, first 2 shown]
	v_mov_b64_e32 v[42:43], 0
	v_mov_b64_e32 v[48:49], 0
	;; [unrolled: 1-line block ×18, first 2 shown]
	v_mov_b32_e32 v15, 0
	s_mov_b32 s1, 0
	s_mov_b32 s5, 0
	s_mov_b32 s4, exec_lo
	s_wait_dscnt 0x0
	s_barrier_signal -1
	s_barrier_wait -1
                                        ; implicit-def: $vgpr56
	v_cmpx_gt_u32_e64 s33, v57
	s_cbranch_execz .LBB848_105
; %bb.68:
	ds_load_u16 v10, v1
	v_cmp_eq_u16_e32 vcc_lo, 0, v6
	v_dual_mov_b32 v15, 0 :: v_dual_bitop2_b32 v12, 1, v57 bitop3:0x54
	v_mov_b64_e32 v[42:43], 0
	v_mov_b64_e32 v[48:49], 0
	v_cndmask_b32_e64 v11, 0x10000, 0, vcc_lo
	v_mov_b64_e32 v[50:51], 0
	v_mov_b64_e32 v[46:47], 0
	;; [unrolled: 1-line block ×13, first 2 shown]
	s_wait_dscnt 0x0
	v_or_b32_e32 v14, v11, v10
	v_mov_b64_e32 v[32:33], 0
	s_mov_b32 s6, 0
	s_mov_b32 s5, exec_lo
                                        ; implicit-def: $vgpr56
	s_delay_alu instid0(VALU_DEP_2)
	v_mov_b64_e32 v[34:35], v[14:15]
	v_mov_b64_e32 v[10:11], v[14:15]
	v_cmpx_gt_u32_e64 s33, v12
	s_cbranch_execz .LBB848_104
; %bb.69:
	ds_load_b128 v[10:13], v1 offset:2
	v_dual_lshrrev_b32 v6, 16, v6 :: v_dual_bitop2_b32 v34, 2, v57 bitop3:0x54
	v_mov_b64_e32 v[42:43], 0
	v_mov_b64_e32 v[48:49], 0
	;; [unrolled: 1-line block ×3, first 2 shown]
	s_delay_alu instid0(VALU_DEP_4)
	v_cmp_eq_u16_e32 vcc_lo, 0, v6
	v_mov_b64_e32 v[46:47], 0
	v_mov_b64_e32 v[44:45], 0
	;; [unrolled: 1-line block ×4, first 2 shown]
	v_cndmask_b32_e64 v6, 0x10000, 0, vcc_lo
	v_mov_b64_e32 v[36:37], 0
	v_mov_b64_e32 v[18:19], 0
	v_mov_b64_e32 v[20:21], 0
	v_mov_b64_e32 v[22:23], 0
	v_mov_b64_e32 v[24:25], 0
	v_mov_b64_e32 v[26:27], 0
	v_mov_b64_e32 v[28:29], 0
	v_mov_b64_e32 v[30:31], 0
	v_mov_b64_e32 v[32:33], 0
	s_wait_dscnt 0x0
	v_and_or_b32 v35, 0xffff, v10, v6
	s_mov_b32 s7, 0
	s_mov_b32 s6, exec_lo
                                        ; implicit-def: $vgpr56
	v_cmpx_gt_u32_e64 s33, v34
	s_cbranch_execz .LBB848_103
; %bb.70:
	v_cmp_eq_u16_e32 vcc_lo, 0, v7
	v_dual_lshrrev_b32 v6, 16, v10 :: v_dual_bitop2_b32 v15, 3, v57 bitop3:0x54
	v_mov_b64_e32 v[42:43], 0
	v_mov_b64_e32 v[48:49], 0
	v_cndmask_b32_e64 v10, 0x10000, 0, vcc_lo
	v_mov_b64_e32 v[50:51], 0
	v_mov_b64_e32 v[46:47], 0
	;; [unrolled: 1-line block ×4, first 2 shown]
	v_dual_mov_b32 v53, 0 :: v_dual_bitop2_b32 v52, v10, v6 bitop3:0x54
	v_mov_b64_e32 v[38:39], 0
	v_mov_b64_e32 v[18:19], 0
	;; [unrolled: 1-line block ×10, first 2 shown]
	s_mov_b32 s8, 0
	s_mov_b32 s7, exec_lo
                                        ; implicit-def: $vgpr56
	v_cmpx_gt_u32_e64 s33, v15
	s_cbranch_execz .LBB848_102
; %bb.71:
	v_dual_lshrrev_b32 v6, 16, v7 :: v_dual_add_nc_u32 v7, 4, v57
	v_mov_b64_e32 v[42:43], 0
	v_mov_b64_e32 v[48:49], 0
	;; [unrolled: 1-line block ×3, first 2 shown]
	s_delay_alu instid0(VALU_DEP_4)
	v_cmp_eq_u16_e32 vcc_lo, 0, v6
	v_mov_b64_e32 v[46:47], 0
	v_mov_b64_e32 v[44:45], 0
	;; [unrolled: 1-line block ×4, first 2 shown]
	v_cndmask_b32_e64 v6, 0x10000, 0, vcc_lo
	v_mov_b64_e32 v[18:19], 0
	v_mov_b64_e32 v[20:21], 0
	;; [unrolled: 1-line block ×7, first 2 shown]
	v_and_or_b32 v37, 0xffff, v11, v6
	s_mov_b32 s9, 0
	s_mov_b32 s8, exec_lo
                                        ; implicit-def: $vgpr56
	v_cmpx_gt_u32_e64 s33, v7
	s_cbranch_execz .LBB848_101
; %bb.72:
	v_cmp_eq_u16_e32 vcc_lo, 0, v8
	v_dual_lshrrev_b32 v6, 16, v11 :: v_dual_add_nc_u32 v11, 5, v57
	v_mov_b64_e32 v[42:43], 0
	v_mov_b64_e32 v[48:49], 0
	v_cndmask_b32_e64 v7, 0x10000, 0, vcc_lo
	v_mov_b64_e32 v[50:51], 0
	v_cmp_gt_u32_e32 vcc_lo, s33, v11
	v_mov_b64_e32 v[46:47], 0
	v_mov_b64_e32 v[44:45], 0
	v_dual_mov_b32 v11, 0 :: v_dual_bitop2_b32 v10, v7, v6 bitop3:0x54
	v_mov_b64_e32 v[40:41], 0
	v_mov_b64_e32 v[18:19], 0
	;; [unrolled: 1-line block ×9, first 2 shown]
	s_mov_b32 s10, 0
                                        ; implicit-def: $vgpr56
	s_and_saveexec_b32 s9, vcc_lo
	s_cbranch_execz .LBB848_100
; %bb.73:
	v_dual_lshrrev_b32 v6, 16, v8 :: v_dual_add_nc_u32 v7, 6, v57
	v_mov_b64_e32 v[42:43], 0
	v_mov_b64_e32 v[48:49], 0
	;; [unrolled: 1-line block ×3, first 2 shown]
	s_delay_alu instid0(VALU_DEP_4)
	v_cmp_eq_u16_e32 vcc_lo, 0, v6
	v_mov_b64_e32 v[46:47], 0
	v_mov_b64_e32 v[44:45], 0
	;; [unrolled: 1-line block ×4, first 2 shown]
	v_cndmask_b32_e64 v6, 0x10000, 0, vcc_lo
	v_mov_b64_e32 v[20:21], 0
	v_mov_b64_e32 v[22:23], 0
	;; [unrolled: 1-line block ×5, first 2 shown]
	v_and_or_b32 v39, 0xffff, v12, v6
	s_mov_b32 s11, 0
	s_mov_b32 s10, exec_lo
                                        ; implicit-def: $vgpr56
	v_cmpx_gt_u32_e64 s33, v7
	s_cbranch_execz .LBB848_99
; %bb.74:
	v_cmp_eq_u16_e32 vcc_lo, 0, v9
	v_dual_lshrrev_b32 v6, 16, v12 :: v_dual_add_nc_u32 v8, 7, v57
	v_mov_b64_e32 v[42:43], 0
	v_mov_b64_e32 v[48:49], 0
	v_cndmask_b32_e64 v7, 0x10000, 0, vcc_lo
	v_mov_b64_e32 v[50:51], 0
	v_mov_b64_e32 v[46:47], 0
	v_mov_b64_e32 v[44:45], 0
	v_mov_b64_e32 v[18:19], 0
	v_dual_mov_b32 v31, 0 :: v_dual_bitop2_b32 v30, v7, v6 bitop3:0x54
	v_mov_b64_e32 v[20:21], 0
	v_mov_b64_e32 v[22:23], 0
	;; [unrolled: 1-line block ×6, first 2 shown]
	s_mov_b32 s12, 0
	s_mov_b32 s11, exec_lo
                                        ; implicit-def: $vgpr56
	v_cmpx_gt_u32_e64 s33, v8
	s_cbranch_execz .LBB848_98
; %bb.75:
	v_lshrrev_b32_e32 v6, 16, v9
	v_mov_b64_e32 v[42:43], 0
	v_mov_b64_e32 v[48:49], 0
	;; [unrolled: 1-line block ×4, first 2 shown]
	v_cmp_eq_u16_e32 vcc_lo, 0, v6
	v_mov_b64_e32 v[44:45], 0
	v_mov_b64_e32 v[18:19], 0
	;; [unrolled: 1-line block ×4, first 2 shown]
	v_cndmask_b32_e64 v6, 0x10000, 0, vcc_lo
	v_mov_b64_e32 v[24:25], 0
	v_mov_b64_e32 v[26:27], 0
	v_add_nc_u32_e32 v7, 8, v57
	s_mov_b32 s13, 0
	v_and_or_b32 v41, 0xffff, v13, v6
	s_mov_b32 s12, exec_lo
                                        ; implicit-def: $vgpr56
	s_delay_alu instid0(VALU_DEP_2)
	v_cmpx_gt_u32_e64 s33, v7
	s_cbranch_execz .LBB848_97
; %bb.76:
	v_cmp_eq_u16_e32 vcc_lo, 0, v2
	v_dual_mov_b32 v13, 0 :: v_dual_lshrrev_b32 v6, 16, v13
	v_mov_b64_e32 v[42:43], 0
	v_mov_b64_e32 v[48:49], 0
	v_cndmask_b32_e64 v7, 0x10000, 0, vcc_lo
	v_add_nc_u32_e32 v8, 9, v57
	v_mov_b64_e32 v[50:51], 0
	v_mov_b64_e32 v[46:47], 0
	;; [unrolled: 1-line block ×3, first 2 shown]
	v_or_b32_e32 v12, v7, v6
	v_mov_b64_e32 v[20:21], 0
	v_mov_b64_e32 v[22:23], 0
	v_mov_b64_e32 v[24:25], 0
	s_mov_b32 s14, 0
	v_mov_b64_e32 v[44:45], v[12:13]
	v_mov_b64_e32 v[26:27], v[12:13]
	s_mov_b32 s13, exec_lo
                                        ; implicit-def: $vgpr56
	v_cmpx_gt_u32_e64 s33, v8
	s_cbranch_execz .LBB848_96
; %bb.77:
	ds_load_b128 v[6:9], v1 offset:18
	v_dual_lshrrev_b32 v2, 16, v2 :: v_dual_add_nc_u32 v11, 10, v57
	v_mov_b64_e32 v[42:43], 0
	v_mov_b64_e32 v[48:49], 0
	;; [unrolled: 1-line block ×3, first 2 shown]
	s_delay_alu instid0(VALU_DEP_4)
	v_cmp_eq_u16_e32 vcc_lo, 0, v2
	v_mov_b64_e32 v[46:47], 0
	v_mov_b64_e32 v[18:19], 0
	;; [unrolled: 1-line block ×4, first 2 shown]
	v_cndmask_b32_e64 v2, 0x10000, 0, vcc_lo
	v_mov_b64_e32 v[24:25], 0
	s_mov_b32 s15, 0
	s_mov_b32 s14, exec_lo
                                        ; implicit-def: $vgpr56
	s_wait_dscnt 0x0
	v_and_or_b32 v45, 0xffff, v6, v2
	v_cmpx_gt_u32_e64 s33, v11
	s_cbranch_execz .LBB848_95
; %bb.78:
	v_cmp_eq_u16_e32 vcc_lo, 0, v3
	v_dual_lshrrev_b32 v2, 16, v6 :: v_dual_add_nc_u32 v11, 11, v57
	v_mov_b64_e32 v[42:43], 0
	v_mov_b64_e32 v[48:49], 0
	v_cndmask_b32_e64 v6, 0x10000, 0, vcc_lo
	v_mov_b64_e32 v[50:51], 0
	v_mov_b64_e32 v[18:19], 0
	;; [unrolled: 1-line block ×4, first 2 shown]
	v_dual_mov_b32 v27, 0 :: v_dual_bitop2_b32 v26, v6, v2 bitop3:0x54
	s_mov_b32 s16, 0
	s_mov_b32 s15, exec_lo
                                        ; implicit-def: $vgpr56
	s_delay_alu instid0(VALU_DEP_1)
	v_mov_b64_e32 v[46:47], v[26:27]
	v_mov_b64_e32 v[24:25], v[26:27]
	v_cmpx_gt_u32_e64 s33, v11
	s_cbranch_execz .LBB848_94
; %bb.79:
	v_dual_lshrrev_b32 v2, 16, v3 :: v_dual_add_nc_u32 v3, 12, v57
	v_mov_b64_e32 v[42:43], 0
	v_mov_b64_e32 v[48:49], 0
	;; [unrolled: 1-line block ×3, first 2 shown]
	s_delay_alu instid0(VALU_DEP_4)
	v_cmp_eq_u16_e32 vcc_lo, 0, v2
	v_mov_b64_e32 v[18:19], 0
	v_mov_b64_e32 v[20:21], 0
	;; [unrolled: 1-line block ×3, first 2 shown]
	s_mov_b32 s17, 0
	v_cndmask_b32_e64 v2, 0x10000, 0, vcc_lo
	s_mov_b32 s16, exec_lo
                                        ; implicit-def: $vgpr56
	s_delay_alu instid0(VALU_DEP_1)
	v_and_or_b32 v47, 0xffff, v7, v2
	v_cmpx_gt_u32_e64 s33, v3
	s_cbranch_execz .LBB848_93
; %bb.80:
	v_cmp_eq_u16_e32 vcc_lo, 0, v4
	v_dual_lshrrev_b32 v2, 16, v7 :: v_dual_add_nc_u32 v6, 13, v57
	v_mov_b64_e32 v[42:43], 0
	v_mov_b64_e32 v[48:49], 0
	v_cndmask_b32_e64 v3, 0x10000, 0, vcc_lo
	v_mov_b64_e32 v[18:19], 0
	v_mov_b64_e32 v[20:21], 0
	s_mov_b32 s18, 0
	s_mov_b32 s17, exec_lo
	v_dual_mov_b32 v3, 0 :: v_dual_bitop2_b32 v2, v3, v2 bitop3:0x54
                                        ; implicit-def: $vgpr56
	s_delay_alu instid0(VALU_DEP_1)
	v_mov_b64_e32 v[50:51], v[2:3]
	v_mov_b64_e32 v[22:23], v[2:3]
	v_cmpx_gt_u32_e64 s33, v6
	s_cbranch_execz .LBB848_92
; %bb.81:
	v_dual_lshrrev_b32 v4, 16, v4 :: v_dual_add_nc_u32 v6, 14, v57
	v_mov_b64_e32 v[42:43], 0
	v_mov_b64_e32 v[48:49], 0
	v_mov_b64_e32 v[18:19], 0
	s_delay_alu instid0(VALU_DEP_4) | instskip(SKIP_4) | instid1(VALU_DEP_1)
	v_cmp_eq_u16_e32 vcc_lo, 0, v4
	v_mov_b64_e32 v[20:21], 0
	s_mov_b32 s19, 0
	s_mov_b32 s18, exec_lo
                                        ; implicit-def: $vgpr56
	v_cndmask_b32_e64 v4, 0x10000, 0, vcc_lo
	v_and_or_b32 v51, 0xffff, v8, v4
	v_cmpx_gt_u32_e64 s33, v6
	s_cbranch_execz .LBB848_91
; %bb.82:
	v_cmp_eq_u16_e32 vcc_lo, 0, v5
	v_dual_lshrrev_b32 v3, 16, v8 :: v_dual_add_nc_u32 v8, 15, v57
	v_mov_b64_e32 v[42:43], 0
	v_mov_b64_e32 v[18:19], 0
	v_cndmask_b32_e64 v4, 0x10000, 0, vcc_lo
	v_mov_b32_e32 v7, 0
	s_mov_b32 s20, 0
	s_mov_b32 s19, exec_lo
                                        ; implicit-def: $vgpr56
	s_delay_alu instid0(VALU_DEP_2) | instskip(NEXT) | instid1(VALU_DEP_1)
	v_or_b32_e32 v6, v4, v3
	v_mov_b64_e32 v[48:49], v[6:7]
	v_mov_b64_e32 v[20:21], v[6:7]
	v_cmpx_gt_u32_e64 s33, v8
	s_cbranch_execz .LBB848_90
; %bb.83:
	v_lshrrev_b32_e32 v3, 16, v5
	v_mov_b64_e32 v[42:43], 0
	v_add_nc_u32_e32 v4, 16, v57
	s_mov_b32 s21, 0
	s_mov_b32 s20, exec_lo
	v_cmp_eq_u16_e32 vcc_lo, 0, v3
                                        ; implicit-def: $vgpr56
	v_cndmask_b32_e64 v3, 0x10000, 0, vcc_lo
	s_delay_alu instid0(VALU_DEP_1)
	v_and_or_b32 v49, 0xffff, v9, v3
	v_cmpx_gt_u32_e64 s33, v4
	s_cbranch_execz .LBB848_89
; %bb.84:
	v_cmp_eq_u16_e32 vcc_lo, 0, v54
	v_dual_lshrrev_b32 v3, 16, v9 :: v_dual_mov_b32 v43, 0
	s_mov_b32 s42, 0
	s_mov_b32 s21, exec_lo
	v_cndmask_b32_e64 v4, 0x10000, 0, vcc_lo
	s_delay_alu instid0(VALU_DEP_2) | instskip(NEXT) | instid1(VALU_DEP_2)
	v_dual_add_nc_u32 v5, 17, v57 :: v_dual_mov_b32 v7, v43
                                        ; implicit-def: $vgpr56
	v_or_b32_e32 v42, v4, v3
	s_delay_alu instid0(VALU_DEP_2)
	v_cmpx_gt_u32_e64 s33, v5
	s_cbranch_execz .LBB848_88
; %bb.85:
	ds_load_u16 v3, v1 offset:34
	v_dual_lshrrev_b32 v4, 16, v54 :: v_dual_add_nc_u32 v5, 18, v57
	s_mov_b32 s43, 0
	s_mov_b32 s42, exec_lo
                                        ; implicit-def: $vgpr56
	s_delay_alu instid0(VALU_DEP_1) | instskip(SKIP_2) | instid1(VALU_DEP_1)
	v_cmp_eq_u16_e32 vcc_lo, 0, v4
	v_cndmask_b32_e64 v4, 0x10000, 0, vcc_lo
	s_wait_dscnt 0x0
	v_or_b32_e32 v3, v4, v3
	v_cmpx_gt_u32_e64 s33, v5
	s_xor_b32 s42, exec_lo, s42
	s_cbranch_execz .LBB848_87
; %bb.86:
	ds_load_b32 v1, v1 offset:36
	v_cmp_eq_u16_e32 vcc_lo, 0, v55
	v_add_nc_u32_e32 v4, 19, v57
	v_cndmask_b32_e64 v5, 0x10000, 0, vcc_lo
	s_delay_alu instid0(VALU_DEP_2)
	v_cmp_gt_u32_e32 vcc_lo, s33, v4
	s_and_b32 s43, vcc_lo, exec_lo
	s_wait_dscnt 0x0
	v_lshrrev_b32_e32 v56, 16, v1
	v_and_or_b32 v43, 0xffff, v1, v5
.LBB848_87:
	s_or_b32 exec_lo, exec_lo, s42
	s_delay_alu instid0(VALU_DEP_1)
	v_dual_mov_b32 v7, v43 :: v_dual_mov_b32 v43, v3
	s_and_b32 s42, s43, exec_lo
.LBB848_88:
	s_or_b32 exec_lo, exec_lo, s21
	s_delay_alu instid0(SALU_CYCLE_1)
	s_and_b32 s21, s42, exec_lo
.LBB848_89:
	s_or_b32 exec_lo, exec_lo, s20
	v_mov_b32_e32 v48, v6
	v_mov_b64_e32 v[18:19], v[42:43]
	s_and_b32 s20, s21, exec_lo
	s_delay_alu instid0(VALU_DEP_2)
	v_mov_b64_e32 v[20:21], v[48:49]
.LBB848_90:
	s_or_b32 exec_lo, exec_lo, s19
	v_mov_b32_e32 v3, v7
	s_and_b32 s19, s20, exec_lo
.LBB848_91:
	s_or_b32 exec_lo, exec_lo, s18
	v_mov_b32_e32 v50, v2
	s_and_b32 s18, s19, exec_lo
	s_delay_alu instid0(VALU_DEP_1)
	v_mov_b64_e32 v[22:23], v[50:51]
.LBB848_92:
	s_or_b32 exec_lo, exec_lo, s17
	v_mov_b32_e32 v27, v3
	s_and_b32 s17, s18, exec_lo
.LBB848_93:
	s_or_b32 exec_lo, exec_lo, s16
	v_mov_b32_e32 v46, v26
	s_and_b32 s16, s17, exec_lo
	s_delay_alu instid0(VALU_DEP_1)
	v_mov_b64_e32 v[24:25], v[46:47]
.LBB848_94:
	s_or_b32 exec_lo, exec_lo, s15
	v_mov_b32_e32 v13, v27
	s_and_b32 s15, s16, exec_lo
.LBB848_95:
	s_or_b32 exec_lo, exec_lo, s14
	v_mov_b32_e32 v44, v12
	s_and_b32 s14, s15, exec_lo
	s_delay_alu instid0(VALU_DEP_1)
	v_mov_b64_e32 v[26:27], v[44:45]
.LBB848_96:
	s_or_b32 exec_lo, exec_lo, s13
	v_mov_b32_e32 v31, v13
	s_and_b32 s13, s14, exec_lo
.LBB848_97:
	s_or_b32 exec_lo, exec_lo, s12
	v_mov_b32_e32 v40, v30
	s_and_b32 s12, s13, exec_lo
	s_delay_alu instid0(VALU_DEP_1)
	v_mov_b64_e32 v[28:29], v[40:41]
.LBB848_98:
	s_or_b32 exec_lo, exec_lo, s11
	v_mov_b32_e32 v11, v31
	s_and_b32 s11, s12, exec_lo
.LBB848_99:
	s_or_b32 exec_lo, exec_lo, s10
	v_mov_b32_e32 v38, v10
	s_and_b32 s10, s11, exec_lo
	s_delay_alu instid0(VALU_DEP_1)
	v_mov_b64_e32 v[30:31], v[38:39]
.LBB848_100:
	s_or_b32 exec_lo, exec_lo, s9
	v_mov_b32_e32 v53, v11
	s_and_b32 s9, s10, exec_lo
.LBB848_101:
	s_or_b32 exec_lo, exec_lo, s8
	v_mov_b32_e32 v36, v52
	s_and_b32 s8, s9, exec_lo
	s_delay_alu instid0(VALU_DEP_1)
	v_mov_b64_e32 v[32:33], v[36:37]
.LBB848_102:
	s_or_b32 exec_lo, exec_lo, s7
	v_mov_b32_e32 v15, v53
	s_and_b32 s7, s8, exec_lo
.LBB848_103:
	s_or_b32 exec_lo, exec_lo, s6
	v_mov_b32_e32 v34, v14
	s_and_b32 s6, s7, exec_lo
	s_delay_alu instid0(VALU_DEP_1)
	v_mov_b64_e32 v[10:11], v[34:35]
.LBB848_104:
	s_or_b32 exec_lo, exec_lo, s5
	s_delay_alu instid0(SALU_CYCLE_1)
	s_and_b32 s5, s6, exec_lo
.LBB848_105:
	s_or_b32 exec_lo, exec_lo, s4
	v_lshlrev_b32_e32 v2, 1, v0
	s_and_b32 vcc_lo, exec_lo, s1
	s_cbranch_vccnz .LBB848_107
	s_branch .LBB848_108
.LBB848_106:
                                        ; implicit-def: $vgpr42_vgpr43
                                        ; implicit-def: $vgpr48_vgpr49
                                        ; implicit-def: $vgpr50_vgpr51
                                        ; implicit-def: $vgpr46_vgpr47
                                        ; implicit-def: $vgpr44_vgpr45
                                        ; implicit-def: $vgpr40_vgpr41
                                        ; implicit-def: $vgpr38_vgpr39
                                        ; implicit-def: $vgpr36_vgpr37
                                        ; implicit-def: $vgpr34_vgpr35
                                        ; implicit-def: $vgpr17
                                        ; implicit-def: $vgpr56
                                        ; implicit-def: $vgpr18_vgpr19
                                        ; implicit-def: $vgpr20_vgpr21
                                        ; implicit-def: $vgpr22_vgpr23
                                        ; implicit-def: $vgpr24_vgpr25
                                        ; implicit-def: $vgpr26_vgpr27
                                        ; implicit-def: $vgpr28_vgpr29
                                        ; implicit-def: $vgpr30_vgpr31
                                        ; implicit-def: $vgpr32_vgpr33
                                        ; implicit-def: $vgpr10_vgpr11
                                        ; implicit-def: $vgpr15
	v_lshlrev_b32_e32 v2, 1, v0
	s_cbranch_execz .LBB848_108
.LBB848_107:
	s_clause 0x13
	flat_load_u16 v1, v0, s[36:37] scale_offset
	flat_load_u16 v3, v0, s[36:37] offset:512 scale_offset
	flat_load_u16 v4, v0, s[36:37] offset:1024 scale_offset
	;; [unrolled: 1-line block ×19, first 2 shown]
	v_mad_u32_u24 v23, v0, 38, v2
	s_or_b32 s5, s5, exec_lo
	s_wait_loadcnt_dscnt 0x1313
	ds_store_b16 v2, v1
	s_wait_loadcnt_dscnt 0x1213
	ds_store_b16 v2, v3 offset:512
	s_wait_loadcnt_dscnt 0x1113
	ds_store_b16 v2, v4 offset:1024
	;; [unrolled: 2-line block ×19, first 2 shown]
	s_wait_dscnt 0x0
	s_barrier_signal -1
	s_barrier_wait -1
	ds_load_b64 v[12:13], v23 offset:32
	ds_load_2addr_b64 v[4:7], v23 offset1:1
	ds_load_2addr_b64 v[8:11], v23 offset0:2 offset1:3
	v_mad_i32_i24 v1, 0xffffffda, v0, v23
	s_wait_dscnt 0x1
	v_cmp_eq_u16_e32 vcc_lo, 0, v4
	v_dual_lshrrev_b32 v17, 16, v13 :: v_dual_lshrrev_b32 v35, 16, v4
	v_dual_lshrrev_b32 v37, 16, v5 :: v_dual_lshrrev_b32 v39, 16, v6
	v_cndmask_b32_e64 v36, 0x10000, 0, vcc_lo
	ds_store_b16 v1, v17 offset:10240
	s_wait_dscnt 0x0
	s_barrier_signal -1
	s_barrier_wait -1
	s_barrier_signal -1
	s_barrier_wait -1
	s_clause 0x13
	flat_load_u16 v1, v0, s[22:23] scale_offset
	flat_load_u16 v3, v0, s[22:23] offset:512 scale_offset
	flat_load_u16 v14, v0, s[22:23] offset:1024 scale_offset
	;; [unrolled: 1-line block ×19, first 2 shown]
	v_cmp_eq_u16_e32 vcc_lo, 0, v5
	v_dual_lshrrev_b32 v41, 16, v7 :: v_dual_lshrrev_b32 v43, 16, v8
	v_dual_lshrrev_b32 v45, 16, v9 :: v_dual_lshrrev_b32 v47, 16, v10
	v_cndmask_b32_e64 v38, 0x10000, 0, vcc_lo
	v_cmp_eq_u16_e32 vcc_lo, 0, v6
	v_dual_lshrrev_b32 v48, 16, v11 :: v_dual_lshrrev_b32 v49, 16, v12
	s_wait_loadcnt_dscnt 0x1313
	ds_store_b16 v2, v1
	s_wait_loadcnt_dscnt 0x1213
	ds_store_b16 v2, v3 offset:512
	s_wait_loadcnt_dscnt 0x1113
	ds_store_b16 v2, v14 offset:1024
	;; [unrolled: 2-line block ×19, first 2 shown]
	v_cndmask_b32_e64 v40, 0x10000, 0, vcc_lo
	v_cmp_eq_u16_e32 vcc_lo, 0, v7
	s_wait_dscnt 0x0
	s_barrier_signal -1
	s_barrier_wait -1
	v_cndmask_b32_e64 v42, 0x10000, 0, vcc_lo
	v_cmp_eq_u16_e32 vcc_lo, 0, v8
	v_cndmask_b32_e64 v44, 0x10000, 0, vcc_lo
	v_cmp_eq_u16_e32 vcc_lo, 0, v9
	;; [unrolled: 2-line block ×6, first 2 shown]
	ds_load_2addr_b64 v[4:7], v23 offset1:1
	ds_load_b64 v[12:13], v23 offset:32
	ds_load_2addr_b64 v[8:11], v23 offset0:2 offset1:3
	v_cndmask_b32_e64 v51, 0x10000, 0, vcc_lo
	v_cmp_eq_u16_e32 vcc_lo, 0, v35
	v_cndmask_b32_e64 v1, 0x10000, 0, vcc_lo
	v_cmp_eq_u16_e32 vcc_lo, 0, v37
	;; [unrolled: 2-line block ×3, first 2 shown]
	s_wait_dscnt 0x1
	v_dual_lshrrev_b32 v24, 16, v4 :: v_dual_lshrrev_b32 v56, 16, v13
	v_and_b32_e32 v4, 0xffff, v4
	v_cndmask_b32_e64 v14, 0x10000, 0, vcc_lo
	v_cmp_eq_u16_e32 vcc_lo, 0, v41
	v_dual_lshrrev_b32 v25, 16, v5 :: v_dual_lshrrev_b32 v26, 16, v6
	v_and_b32_e32 v5, 0xffff, v5
	v_and_b32_e32 v6, 0xffff, v6
	v_cndmask_b32_e64 v18, 0x10000, 0, vcc_lo
	v_cmp_eq_u16_e32 vcc_lo, 0, v43
	s_wait_dscnt 0x0
	v_dual_lshrrev_b32 v27, 16, v7 :: v_dual_lshrrev_b32 v28, 16, v8
	v_and_b32_e32 v7, 0xffff, v7
	v_and_b32_e32 v8, 0xffff, v8
	v_cndmask_b32_e64 v19, 0x10000, 0, vcc_lo
	v_cmp_eq_u16_e32 vcc_lo, 0, v45
	v_dual_lshrrev_b32 v29, 16, v9 :: v_dual_lshrrev_b32 v30, 16, v10
	v_and_b32_e32 v9, 0xffff, v9
	v_and_b32_e32 v10, 0xffff, v10
	v_cndmask_b32_e64 v20, 0x10000, 0, vcc_lo
	v_cmp_eq_u16_e32 vcc_lo, 0, v47
	;; [unrolled: 5-line block ×3, first 2 shown]
	v_and_or_b32 v15, 0xffff, v13, v51
	v_or_b32_e32 v35, v1, v24
	v_or_b32_e32 v34, v36, v4
	;; [unrolled: 1-line block ×3, first 2 shown]
	v_cndmask_b32_e64 v22, 0x10000, 0, vcc_lo
	v_cmp_eq_u16_e32 vcc_lo, 0, v49
	v_or_b32_e32 v36, v38, v5
	v_or_b32_e32 v39, v14, v26
	v_or_b32_e32 v38, v40, v6
	v_or_b32_e32 v41, v18, v27
	v_cndmask_b32_e64 v23, 0x10000, 0, vcc_lo
	v_or_b32_e32 v40, v42, v7
	v_or_b32_e32 v45, v19, v28
	;; [unrolled: 1-line block ×11, first 2 shown]
	v_mov_b64_e32 v[18:19], v[42:43]
	v_mov_b64_e32 v[20:21], v[48:49]
	;; [unrolled: 1-line block ×9, first 2 shown]
.LBB848_108:
	v_mov_b32_e32 v1, 0
	s_and_saveexec_b32 s1, s5
	s_cbranch_execz .LBB848_110
; %bb.109:
	v_cmp_eq_u16_e32 vcc_lo, 0, v17
	v_and_b32_e32 v1, 0xffff, v56
	v_mov_b64_e32 v[10:11], v[34:35]
	v_mov_b64_e32 v[32:33], v[36:37]
	;; [unrolled: 1-line block ×3, first 2 shown]
	v_cndmask_b32_e64 v3, 0x10000, 0, vcc_lo
	v_mov_b64_e32 v[28:29], v[40:41]
	v_mov_b64_e32 v[26:27], v[44:45]
	;; [unrolled: 1-line block ×6, first 2 shown]
	v_or_b32_e32 v1, v3, v1
.LBB848_110:
	s_or_b32 exec_lo, exec_lo, s1
	v_cmp_ne_u32_e32 vcc_lo, 0, v16
	s_delay_alu instid0(VALU_DEP_3)
	v_cmp_gt_u32_e64 s21, 0x10000, v11
	v_cmp_gt_u32_e64 s20, 0x10000, v32
	;; [unrolled: 1-line block ×8, first 2 shown]
	v_dual_lshrrev_b32 v3, 3, v0 :: v_dual_bitop2_b32 v43, v29, v26 bitop3:0x54
	v_cmp_gt_u32_e64 s14, 0x10000, v27
	v_cmp_gt_u32_e64 s12, 0x10000, v24
	;; [unrolled: 1-line block ×8, first 2 shown]
	v_or_b32_e32 v45, v21, v18
	v_cmp_gt_u32_e64 s6, 0x10000, v19
	v_cmp_gt_u32_e64 s1, 0x10000, v15
	v_or_b32_e32 v44, v19, v15
	v_cmp_gt_u32_e64 s4, 0x10000, v1
	v_cmp_gt_u32_e64 s22, 32, v0
	s_barrier_signal -1
	s_barrier_wait -1
	s_cbranch_vccz .LBB848_178
; %bb.111:
	v_or3_b32 v5, v45, v20, v23
	v_dual_cndmask_b32 v4, 0, v10, s21 :: v_dual_bitop2_b32 v7, 28, v3 bitop3:0x40
	v_or3_b32 v6, v43, v28, v31
	v_lshrrev_b32_e32 v14, 16, v10
	s_delay_alu instid0(VALU_DEP_4) | instskip(NEXT) | instid1(VALU_DEP_4)
	v_or3_b32 v5, v5, v22, v25
	v_add_nc_u16 v4, v4, v11
	s_delay_alu instid0(VALU_DEP_4) | instskip(NEXT) | instid1(VALU_DEP_3)
	v_or3_b32 v6, v6, v30, v33
	v_or3_b32 v5, v5, v24, v27
	s_delay_alu instid0(VALU_DEP_3) | instskip(NEXT) | instid1(VALU_DEP_3)
	v_cndmask_b32_e64 v4, 0, v4, s20
	v_or3_b32 v6, v6, v32, v11
	s_delay_alu instid0(VALU_DEP_3) | instskip(NEXT) | instid1(VALU_DEP_3)
	v_or3_b32 v5, v1, v44, v5
	v_add_nc_u16 v4, v4, v32
	s_delay_alu instid0(VALU_DEP_2) | instskip(SKIP_1) | instid1(VALU_DEP_2)
	v_bitop3_b32 v5, v5, 0xff0000, v6 bitop3:0xc8
	v_lshl_add_u32 v6, v0, 2, v7
	v_cmp_eq_u32_e32 vcc_lo, 0, v5
	s_delay_alu instid0(VALU_DEP_4) | instskip(NEXT) | instid1(VALU_DEP_1)
	v_dual_cndmask_b32 v4, 0, v4, s19 :: v_dual_cndmask_b32 v34, 1, v14, vcc_lo
	v_add_nc_u16 v4, v4, v33
	s_delay_alu instid0(VALU_DEP_1) | instskip(NEXT) | instid1(VALU_DEP_1)
	v_cndmask_b32_e64 v4, 0, v4, s18
	v_add_nc_u16 v4, v4, v30
	s_delay_alu instid0(VALU_DEP_1) | instskip(NEXT) | instid1(VALU_DEP_1)
	v_cndmask_b32_e64 v4, 0, v4, s17
	;; [unrolled: 3-line block ×16, first 2 shown]
	v_add_nc_u16 v17, v4, v1
	ds_store_b16 v6, v17
	ds_store_b8 v6, v34 offset:2
	s_wait_dscnt 0x0
	s_barrier_signal -1
	s_barrier_wait -1
	s_and_saveexec_b32 s23, s22
	s_cbranch_execz .LBB848_123
; %bb.112:
	v_and_b32_e32 v4, 0xfc, v0
	v_lshlrev_b32_e32 v5, 5, v0
	s_mov_b32 s33, exec_lo
	s_delay_alu instid0(VALU_DEP_1)
	v_add_nc_u32_e32 v4, v4, v5
	ds_load_u8 v6, v4 offset:6
	ds_load_b32 v5, v4
	ds_load_u16 v7, v4 offset:4
	ds_load_u8 v8, v4 offset:10
	ds_load_u16 v9, v4 offset:8
	ds_load_u16 v12, v4 offset:12
	ds_load_u8 v13, v4 offset:14
	ds_load_u16 v35, v4 offset:16
	s_wait_dscnt 0x7
	v_cmp_eq_u16_e32 vcc_lo, 0, v6
	s_wait_dscnt 0x4
	v_dual_cndmask_b32 v36, 0, v5, vcc_lo :: v_dual_bitop2_b32 v6, v8, v6 bitop3:0x54
	v_cmp_eq_u16_e32 vcc_lo, 0, v8
	s_delay_alu instid0(VALU_DEP_2) | instskip(SKIP_4) | instid1(VALU_DEP_2)
	v_add_nc_u16 v7, v36, v7
	ds_load_u8 v36, v4 offset:18
	v_cndmask_b32_e32 v7, 0, v7, vcc_lo
	s_wait_dscnt 0x2
	v_cmp_eq_u16_e32 vcc_lo, 0, v13
	v_add_nc_u16 v7, v7, v9
	ds_load_u8 v9, v4 offset:22
	v_cndmask_b32_e32 v7, 0, v7, vcc_lo
	s_delay_alu instid0(VALU_DEP_1)
	v_add_nc_u16 v7, v7, v12
	ds_load_u16 v12, v4 offset:20
	ds_load_u16 v37, v4 offset:24
	ds_load_u8 v38, v4 offset:26
	ds_load_u16 v39, v4 offset:28
	ds_load_u8 v40, v4 offset:30
	s_wait_dscnt 0x6
	v_cmp_eq_u16_e32 vcc_lo, 0, v36
	v_bitop3_b16 v8, v6, v36, v13 bitop3:0xfe
	v_and_b32_e32 v6, 0x10000, v5
	v_cndmask_b32_e32 v7, 0, v7, vcc_lo
	s_wait_dscnt 0x5
	v_cmp_eq_u16_e32 vcc_lo, 0, v9
	s_wait_dscnt 0x2
	v_bitop3_b16 v8, v8, v38, v9 bitop3:0xfe
	s_wait_dscnt 0x0
	v_and_b32_e32 v9, 1, v40
	v_add_nc_u16 v7, v7, v35
	s_delay_alu instid0(VALU_DEP_1) | instskip(SKIP_1) | instid1(VALU_DEP_2)
	v_cndmask_b32_e32 v7, 0, v7, vcc_lo
	v_cmp_eq_u16_e32 vcc_lo, 0, v38
	v_add_nc_u16 v7, v7, v12
	s_delay_alu instid0(VALU_DEP_1) | instskip(SKIP_1) | instid1(VALU_DEP_2)
	v_cndmask_b32_e32 v7, 0, v7, vcc_lo
	v_cmp_eq_u16_e32 vcc_lo, 0, v40
	;; [unrolled: 4-line block ×3, first 2 shown]
	v_add_nc_u16 v8, v7, v39
	v_cndmask_b32_e32 v12, 0x10000, v6, vcc_lo
	v_cmp_eq_u32_e32 vcc_lo, 1, v9
	v_and_b32_e32 v7, 0xff000000, v5
	v_mbcnt_lo_u32_b32 v9, -1, 0
	v_and_b32_e32 v13, 0xffff, v8
	v_cndmask_b32_e64 v12, v12, 0x10000, vcc_lo
	s_delay_alu instid0(VALU_DEP_1) | instskip(NEXT) | instid1(VALU_DEP_3)
	v_or_b32_e32 v35, v12, v7
	v_or3_b32 v36, v7, v13, v12
	s_delay_alu instid0(VALU_DEP_2) | instskip(NEXT) | instid1(VALU_DEP_2)
	v_dual_lshrrev_b32 v13, 16, v35 :: v_dual_bitop2_b32 v12, 15, v9 bitop3:0x40
	v_mov_b32_dpp v37, v36 row_shr:1 row_mask:0xf bank_mask:0xf
	s_delay_alu instid0(VALU_DEP_2)
	v_cmpx_ne_u32_e32 0, v12
	s_cbranch_execz .LBB848_114
; %bb.113:
	s_delay_alu instid0(VALU_DEP_2) | instskip(SKIP_1) | instid1(VALU_DEP_2)
	v_dual_lshrrev_b32 v13, 16, v35 :: v_dual_lshrrev_b32 v36, 16, v37
	v_and_b32_e32 v35, 0x10000, v35
	v_and_b32_e32 v13, 0xff, v13
	s_delay_alu instid0(VALU_DEP_1) | instskip(NEXT) | instid1(VALU_DEP_4)
	v_cmp_eq_u16_e32 vcc_lo, 0, v13
	v_dual_cndmask_b32 v37, 0, v37, vcc_lo :: v_dual_bitop2_b32 v36, 1, v36 bitop3:0x40
	s_delay_alu instid0(VALU_DEP_4) | instskip(NEXT) | instid1(VALU_DEP_2)
	v_cmp_ne_u32_e32 vcc_lo, 0, v35
	v_add_nc_u16 v8, v37, v8
	s_delay_alu instid0(VALU_DEP_3) | instskip(NEXT) | instid1(VALU_DEP_2)
	v_cndmask_b32_e64 v13, v36, 1, vcc_lo
	v_and_b32_e32 v36, 0xffff, v8
	s_delay_alu instid0(VALU_DEP_2) | instskip(NEXT) | instid1(VALU_DEP_1)
	v_lshlrev_b32_e32 v35, 16, v13
	v_or3_b32 v36, v35, v36, v7
.LBB848_114:
	s_or_b32 exec_lo, exec_lo, s33
	s_delay_alu instid0(VALU_DEP_1)
	v_lshrrev_b32_e32 v35, 16, v36
	v_mov_b32_dpp v37, v36 row_shr:2 row_mask:0xf bank_mask:0xf
	s_mov_b32 s33, exec_lo
	v_cmpx_lt_u32_e32 1, v12
	s_cbranch_execz .LBB848_116
; %bb.115:
	v_and_b32_e32 v35, 0xff, v35
	v_and_b32_e32 v36, 0x10000, v36
	s_delay_alu instid0(VALU_DEP_2) | instskip(SKIP_1) | instid1(VALU_DEP_1)
	v_cmp_eq_u16_e32 vcc_lo, 0, v35
	v_dual_lshrrev_b32 v13, 16, v37 :: v_dual_cndmask_b32 v35, 0, v37, vcc_lo
	v_and_b32_e32 v13, 1, v13
	s_delay_alu instid0(VALU_DEP_4) | instskip(NEXT) | instid1(VALU_DEP_3)
	v_cmp_ne_u32_e32 vcc_lo, 0, v36
	v_add_nc_u16 v8, v35, v8
	s_delay_alu instid0(VALU_DEP_3) | instskip(NEXT) | instid1(VALU_DEP_2)
	v_cndmask_b32_e64 v13, v13, 1, vcc_lo
	v_and_b32_e32 v36, 0xffff, v8
	s_delay_alu instid0(VALU_DEP_2) | instskip(NEXT) | instid1(VALU_DEP_1)
	v_lshlrev_b32_e32 v35, 16, v13
	v_or3_b32 v36, v35, v36, v7
	v_mov_b32_e32 v35, v13
.LBB848_116:
	s_or_b32 exec_lo, exec_lo, s33
	s_delay_alu instid0(VALU_DEP_2)
	v_mov_b32_dpp v37, v36 row_shr:4 row_mask:0xf bank_mask:0xf
	s_mov_b32 s33, exec_lo
	v_cmpx_lt_u32_e32 3, v12
	s_cbranch_execz .LBB848_118
; %bb.117:
	v_and_b32_e32 v36, 0xff, v35
	v_dual_lshrrev_b32 v13, 16, v37 :: v_dual_bitop2_b32 v35, 1, v35 bitop3:0x40
	s_delay_alu instid0(VALU_DEP_2) | instskip(NEXT) | instid1(VALU_DEP_2)
	v_cmp_eq_u16_e32 vcc_lo, 0, v36
	v_and_b32_e32 v13, 1, v13
	v_cndmask_b32_e32 v36, 0, v37, vcc_lo
	s_delay_alu instid0(VALU_DEP_4) | instskip(NEXT) | instid1(VALU_DEP_2)
	v_cmp_eq_u32_e32 vcc_lo, 1, v35
	v_add_nc_u16 v8, v36, v8
	s_delay_alu instid0(VALU_DEP_4) | instskip(NEXT) | instid1(VALU_DEP_2)
	v_cndmask_b32_e64 v13, v13, 1, vcc_lo
	v_and_b32_e32 v36, 0xffff, v8
	s_delay_alu instid0(VALU_DEP_2) | instskip(NEXT) | instid1(VALU_DEP_1)
	v_lshlrev_b32_e32 v35, 16, v13
	v_or3_b32 v36, v35, v36, v7
	v_mov_b32_e32 v35, v13
.LBB848_118:
	s_or_b32 exec_lo, exec_lo, s33
	s_delay_alu instid0(VALU_DEP_2)
	v_mov_b32_dpp v37, v36 row_shr:8 row_mask:0xf bank_mask:0xf
	s_mov_b32 s33, exec_lo
	v_cmpx_lt_u32_e32 7, v12
	s_cbranch_execz .LBB848_120
; %bb.119:
	v_and_b32_e32 v13, 0xff, v35
	v_dual_lshrrev_b32 v12, 16, v37 :: v_dual_bitop2_b32 v35, 1, v35 bitop3:0x40
	s_delay_alu instid0(VALU_DEP_2) | instskip(NEXT) | instid1(VALU_DEP_2)
	v_cmp_eq_u16_e32 vcc_lo, 0, v13
	v_dual_cndmask_b32 v36, 0, v37, vcc_lo :: v_dual_bitop2_b32 v12, 1, v12 bitop3:0x40
	s_delay_alu instid0(VALU_DEP_3) | instskip(NEXT) | instid1(VALU_DEP_2)
	v_cmp_eq_u32_e32 vcc_lo, 1, v35
	v_add_nc_u16 v8, v36, v8
	s_delay_alu instid0(VALU_DEP_3) | instskip(NEXT) | instid1(VALU_DEP_2)
	v_cndmask_b32_e64 v13, v12, 1, vcc_lo
	v_and_b32_e32 v35, 0xffff, v8
	s_delay_alu instid0(VALU_DEP_2) | instskip(NEXT) | instid1(VALU_DEP_1)
	v_lshlrev_b32_e32 v12, 16, v13
	v_or3_b32 v36, v12, v35, v7
	v_mov_b32_e32 v35, v13
.LBB848_120:
	s_or_b32 exec_lo, exec_lo, s33
	ds_swizzle_b32 v12, v36 offset:swizzle(BROADCAST,32,15)
	v_and_b32_e32 v36, 16, v9
	s_mov_b32 s33, exec_lo
	s_delay_alu instid0(VALU_DEP_1)
	v_cmpx_ne_u32_e32 0, v36
	s_cbranch_execz .LBB848_122
; %bb.121:
	v_and_b32_e32 v13, 0xff, v35
	s_delay_alu instid0(VALU_DEP_1) | instskip(SKIP_3) | instid1(VALU_DEP_2)
	v_cmp_eq_u16_e32 vcc_lo, 0, v13
	s_wait_dscnt 0x0
	v_dual_lshrrev_b32 v36, 16, v12 :: v_dual_bitop2_b32 v13, 1, v35 bitop3:0x40
	v_cndmask_b32_e32 v12, 0, v12, vcc_lo
	v_and_b32_e32 v35, 1, v36
	s_delay_alu instid0(VALU_DEP_3) | instskip(NEXT) | instid1(VALU_DEP_3)
	v_cmp_eq_u32_e32 vcc_lo, 1, v13
	v_add_nc_u16 v8, v12, v8
	s_delay_alu instid0(VALU_DEP_3)
	v_cndmask_b32_e64 v13, v35, 1, vcc_lo
.LBB848_122:
	s_or_b32 exec_lo, exec_lo, s33
	s_wait_dscnt 0x0
	s_delay_alu instid0(VALU_DEP_1) | instskip(SKIP_2) | instid1(VALU_DEP_3)
	v_and_b32_e32 v12, 0xff, v13
	v_add_nc_u32_e32 v13, -1, v9
	v_and_b32_e32 v8, 0xffff, v8
	; wave barrier
	v_lshlrev_b32_e32 v12, 16, v12
	s_delay_alu instid0(VALU_DEP_3) | instskip(NEXT) | instid1(VALU_DEP_2)
	v_cmp_gt_i32_e32 vcc_lo, 0, v13
	v_or3_b32 v7, v12, v8, v7
	v_cndmask_b32_e32 v9, v13, v9, vcc_lo
	s_delay_alu instid0(VALU_DEP_1) | instskip(SKIP_2) | instid1(VALU_DEP_1)
	v_lshlrev_b32_e32 v8, 2, v9
	ds_bpermute_b32 v7, v8, v7
	v_and_b32_e32 v8, 0xff0000, v5
	v_cmp_eq_u32_e32 vcc_lo, 0, v8
	s_wait_dscnt 0x0
	v_dual_lshrrev_b32 v9, 16, v7 :: v_dual_cndmask_b32 v7, 0, v7, vcc_lo
	v_cmp_eq_u32_e32 vcc_lo, 0, v6
	s_delay_alu instid0(VALU_DEP_2) | instskip(NEXT) | instid1(VALU_DEP_3)
	v_and_b32_e32 v8, 1, v9
	v_add_nc_u16 v5, v7, v5
	s_delay_alu instid0(VALU_DEP_1) | instskip(NEXT) | instid1(VALU_DEP_1)
	v_dual_cndmask_b32 v6, 1, v8, vcc_lo :: v_dual_cndmask_b32 v5, v5, v17, s2
	v_cndmask_b32_e64 v6, v6, v34, s2
	ds_store_b16 v4, v5
	ds_store_b8 v4, v6 offset:2
	; wave barrier
	ds_load_u8 v7, v4 offset:6
	ds_load_u16 v8, v4 offset:4
	ds_load_u8 v9, v4 offset:10
	ds_load_u16 v12, v4 offset:8
	ds_load_u16 v13, v4 offset:12
	ds_load_u8 v35, v4 offset:14
	ds_load_u16 v36, v4 offset:16
	ds_load_u8 v37, v4 offset:18
	s_wait_dscnt 0x7
	v_cmp_eq_u16_e32 vcc_lo, 0, v7
	v_dual_cndmask_b32 v5, 0, v5, vcc_lo :: v_dual_bitop2_b32 v7, 1, v7 bitop3:0x40
	s_wait_dscnt 0x5
	v_cmp_eq_u16_e32 vcc_lo, 0, v9
	v_and_b32_e32 v9, 1, v9
	s_delay_alu instid0(VALU_DEP_3) | instskip(NEXT) | instid1(VALU_DEP_1)
	v_add_nc_u16 v5, v5, v8
	v_cndmask_b32_e32 v8, 0, v5, vcc_lo
	s_wait_dscnt 0x2
	v_cmp_eq_u16_e32 vcc_lo, 0, v35
	s_delay_alu instid0(VALU_DEP_2)
	v_add_nc_u16 v8, v8, v12
	ds_load_u8 v12, v4 offset:22
	ds_load_u16 v39, v4 offset:20
	ds_load_u8 v40, v4 offset:26
	ds_load_u8 v41, v4 offset:30
	v_cndmask_b32_e32 v38, 0, v8, vcc_lo
	v_cmp_eq_u32_e32 vcc_lo, 1, v7
	v_and_b32_e32 v7, 1, v35
	s_delay_alu instid0(VALU_DEP_3)
	v_add_nc_u16 v13, v38, v13
	v_cndmask_b32_e64 v6, v6, 1, vcc_lo
	s_wait_dscnt 0x4
	v_cmp_eq_u16_e32 vcc_lo, 0, v37
	ds_load_u16 v38, v4 offset:24
	ds_load_u16 v42, v4 offset:28
	v_cndmask_b32_e32 v35, 0, v13, vcc_lo
	v_cmp_eq_u32_e32 vcc_lo, 1, v9
	v_cndmask_b32_e64 v9, v6, 1, vcc_lo
	v_cmp_eq_u32_e32 vcc_lo, 1, v7
	s_delay_alu instid0(VALU_DEP_2) | instskip(SKIP_4) | instid1(VALU_DEP_1)
	v_cndmask_b32_e64 v7, v9, 1, vcc_lo
	s_wait_dscnt 0x5
	v_cmp_eq_u16_e32 vcc_lo, 0, v12
	v_and_b32_e32 v12, 1, v12
	v_add_nc_u16 v35, v35, v36
	v_dual_cndmask_b32 v37, 0, v35, vcc_lo :: v_dual_bitop2_b32 v36, 1, v37 bitop3:0x40
	s_delay_alu instid0(VALU_DEP_1) | instskip(SKIP_1) | instid1(VALU_DEP_2)
	v_cmp_eq_u32_e32 vcc_lo, 1, v36
	s_wait_dscnt 0x4
	v_add_nc_u16 v37, v37, v39
	v_cndmask_b32_e64 v36, v7, 1, vcc_lo
	v_cmp_eq_u32_e32 vcc_lo, 1, v12
	ds_store_b16 v4, v5 offset:4
	ds_store_b8 v4, v6 offset:6
	ds_store_b16 v4, v8 offset:8
	ds_store_b8 v4, v9 offset:10
	;; [unrolled: 2-line block ×4, first 2 shown]
	v_cndmask_b32_e64 v12, v36, 1, vcc_lo
	s_wait_dscnt 0xb
	v_cmp_eq_u16_e32 vcc_lo, 0, v40
	v_dual_cndmask_b32 v40, 0, v37, vcc_lo :: v_dual_bitop2_b32 v39, 1, v40 bitop3:0x40
	s_delay_alu instid0(VALU_DEP_1) | instskip(SKIP_1) | instid1(VALU_DEP_2)
	v_cmp_eq_u32_e32 vcc_lo, 1, v39
	s_wait_dscnt 0x9
	v_add_nc_u16 v38, v40, v38
	v_and_b32_e32 v46, 1, v41
	v_cndmask_b32_e64 v39, v12, 1, vcc_lo
	s_delay_alu instid0(VALU_DEP_2) | instskip(NEXT) | instid1(VALU_DEP_2)
	v_cmp_eq_u32_e32 vcc_lo, 1, v46
	v_cndmask_b32_e64 v40, v39, 1, vcc_lo
	v_cmp_eq_u16_e32 vcc_lo, 0, v41
	v_cndmask_b32_e32 v41, 0, v38, vcc_lo
	s_wait_dscnt 0x8
	s_delay_alu instid0(VALU_DEP_1)
	v_add_nc_u16 v5, v41, v42
	ds_store_b16 v4, v37 offset:20
	ds_store_b8 v4, v12 offset:22
	ds_store_b16 v4, v38 offset:24
	ds_store_b8 v4, v39 offset:26
	;; [unrolled: 2-line block ×3, first 2 shown]
.LBB848_123:
	s_or_b32 exec_lo, exec_lo, s23
	s_wait_dscnt 0x0
	s_barrier_signal -1
	s_barrier_wait -1
	s_and_saveexec_b32 s23, s3
	s_cbranch_execz .LBB848_125
; %bb.124:
	v_add_nc_u32_e32 v4, -1, v0
	s_delay_alu instid0(VALU_DEP_1) | instskip(NEXT) | instid1(VALU_DEP_1)
	v_lshrrev_b32_e32 v5, 3, v4
	v_and_b32_e32 v5, 0x1ffffffc, v5
	s_delay_alu instid0(VALU_DEP_1)
	v_lshl_add_u32 v4, v4, 2, v5
	ds_load_u16 v17, v4
	ds_load_u8 v34, v4 offset:2
.LBB848_125:
	s_or_b32 exec_lo, exec_lo, s23
	s_and_saveexec_b32 s23, s22
	s_cbranch_execz .LBB848_255
; %bb.126:
	v_dual_mov_b32 v13, 0 :: v_dual_add_nc_u32 v35, 32, v16
	v_mbcnt_lo_u32_b32 v36, -1, 0
	ds_load_b32 v4, v13 offset:1048
	v_cmp_eq_u32_e64 s22, 0, v36
	s_and_saveexec_b32 s33, s22
	s_cbranch_execz .LBB848_128
; %bb.127:
	v_mov_b32_e32 v5, 1
	s_wait_dscnt 0x0
	global_store_b64 v35, v[4:5], s[28:29] scale_offset scope:SCOPE_DEV
.LBB848_128:
	s_wait_xcnt 0x0
	s_or_b32 exec_lo, exec_lo, s33
	v_xad_u32 v6, v36, -1, v16
	s_mov_b32 s33, exec_lo
	s_delay_alu instid0(VALU_DEP_1) | instskip(SKIP_4) | instid1(VALU_DEP_1)
	v_add_nc_u32_e32 v12, 32, v6
	global_load_b64 v[8:9], v12, s[28:29] scale_offset scope:SCOPE_DEV
	s_wait_loadcnt 0x0
	v_and_b32_e32 v5, 0xff, v9
	s_wait_xcnt 0x0
	v_cmpx_eq_u16_e32 0, v5
	s_cbranch_execz .LBB848_132
; %bb.129:
	v_lshl_add_u64 v[12:13], v[12:13], 3, s[28:29]
	s_mov_b32 s36, 0
.LBB848_130:                            ; =>This Inner Loop Header: Depth=1
	global_load_b64 v[8:9], v[12:13], off scope:SCOPE_DEV
	s_wait_loadcnt 0x0
	v_and_b32_e32 v5, 0xff, v9
	s_delay_alu instid0(VALU_DEP_1)
	v_cmp_ne_u16_e32 vcc_lo, 0, v5
	s_or_b32 s36, vcc_lo, s36
	s_wait_xcnt 0x0
	s_and_not1_b32 exec_lo, exec_lo, s36
	s_cbranch_execnz .LBB848_130
; %bb.131:
	s_or_b32 exec_lo, exec_lo, s36
.LBB848_132:
	s_delay_alu instid0(SALU_CYCLE_1)
	s_or_b32 exec_lo, exec_lo, s33
	v_cmp_ne_u32_e32 vcc_lo, 31, v36
	v_and_b32_e32 v47, 0xffffff, v8
	v_and_b32_e32 v7, 0xff, v9
	v_lshlrev_b32_e64 v16, v36, -1
	v_bfe_u32 v13, v8, 16, 8
	v_add_co_ci_u32_e64 v5, null, 0, v36, vcc_lo
	s_delay_alu instid0(VALU_DEP_4) | instskip(SKIP_1) | instid1(VALU_DEP_2)
	v_cmp_eq_u16_e32 vcc_lo, 2, v7
	s_mov_b32 s33, exec_lo
	v_dual_lshrrev_b32 v12, 16, v8 :: v_dual_lshlrev_b32 v5, 2, v5
	v_and_or_b32 v7, vcc_lo, v16, 0x80000000
	ds_bpermute_b32 v37, v5, v47
	v_ctz_i32_b32_e32 v7, v7
	s_delay_alu instid0(VALU_DEP_1)
	v_cmpx_lt_u32_e64 v36, v7
	s_cbranch_execz .LBB848_134
; %bb.133:
	v_and_b32_e32 v12, 0xff0000, v8
	s_delay_alu instid0(VALU_DEP_1) | instskip(SKIP_3) | instid1(VALU_DEP_1)
	v_and_b32_e32 v38, 0x10000, v12
	v_cmp_eq_u32_e32 vcc_lo, 0, v12
	s_wait_dscnt 0x0
	v_dual_lshrrev_b32 v13, 16, v37 :: v_dual_cndmask_b32 v37, 0, v37, vcc_lo
	v_and_b32_e32 v13, 1, v13
	v_cmp_ne_u32_e32 vcc_lo, 0, v38
	s_delay_alu instid0(VALU_DEP_3) | instskip(NEXT) | instid1(VALU_DEP_3)
	v_add_nc_u16 v8, v37, v8
	v_cndmask_b32_e64 v12, v13, 1, vcc_lo
	s_delay_alu instid0(VALU_DEP_2) | instskip(NEXT) | instid1(VALU_DEP_2)
	v_and_b32_e32 v37, 0xffff, v8
	v_lshlrev_b32_e32 v13, 16, v12
	s_delay_alu instid0(VALU_DEP_1)
	v_dual_mov_b32 v13, v12 :: v_dual_bitop2_b32 v47, v13, v37 bitop3:0x54
.LBB848_134:
	s_or_b32 exec_lo, exec_lo, s33
	v_cmp_gt_u32_e32 vcc_lo, 30, v36
	v_add_nc_u32_e32 v38, 2, v36
	s_mov_b32 s33, exec_lo
	s_wait_dscnt 0x0
	v_cndmask_b32_e64 v37, 0, 2, vcc_lo
	s_delay_alu instid0(VALU_DEP_1)
	v_add_lshl_u32 v37, v37, v36, 2
	ds_bpermute_b32 v39, v37, v47
	v_cmpx_le_u32_e64 v38, v7
	s_cbranch_execz .LBB848_136
; %bb.135:
	v_cmp_eq_u16_e32 vcc_lo, 0, v13
	s_wait_dscnt 0x0
	v_dual_lshrrev_b32 v12, 16, v39 :: v_dual_bitop2_b32 v13, 1, v13 bitop3:0x40
	s_delay_alu instid0(VALU_DEP_1) | instskip(NEXT) | instid1(VALU_DEP_2)
	v_dual_cndmask_b32 v39, 0, v39, vcc_lo :: v_dual_bitop2_b32 v12, 1, v12 bitop3:0x40
	v_cmp_eq_u32_e32 vcc_lo, 1, v13
	s_delay_alu instid0(VALU_DEP_2) | instskip(NEXT) | instid1(VALU_DEP_3)
	v_add_nc_u16 v8, v39, v8
	v_cndmask_b32_e64 v12, v12, 1, vcc_lo
	s_delay_alu instid0(VALU_DEP_2) | instskip(NEXT) | instid1(VALU_DEP_2)
	v_and_b32_e32 v13, 0xffff, v8
	v_lshlrev_b32_e32 v39, 16, v12
	s_delay_alu instid0(VALU_DEP_1)
	v_dual_mov_b32 v13, v12 :: v_dual_bitop2_b32 v47, v39, v13 bitop3:0x54
.LBB848_136:
	s_or_b32 exec_lo, exec_lo, s33
	v_cmp_gt_u32_e32 vcc_lo, 28, v36
	v_add_nc_u32_e32 v40, 4, v36
	s_mov_b32 s33, exec_lo
	s_wait_dscnt 0x0
	v_cndmask_b32_e64 v39, 0, 4, vcc_lo
	s_delay_alu instid0(VALU_DEP_1)
	v_add_lshl_u32 v39, v39, v36, 2
	ds_bpermute_b32 v41, v39, v47
	v_cmpx_le_u32_e64 v40, v7
	s_cbranch_execz .LBB848_138
; %bb.137:
	v_cmp_eq_u16_e32 vcc_lo, 0, v13
	s_wait_dscnt 0x0
	v_lshrrev_b32_e32 v12, 16, v41
	v_and_b32_e32 v13, 1, v13
	s_delay_alu instid0(VALU_DEP_2) | instskip(NEXT) | instid1(VALU_DEP_2)
	v_dual_cndmask_b32 v41, 0, v41, vcc_lo :: v_dual_bitop2_b32 v12, 1, v12 bitop3:0x40
	v_cmp_eq_u32_e32 vcc_lo, 1, v13
	s_delay_alu instid0(VALU_DEP_2) | instskip(NEXT) | instid1(VALU_DEP_3)
	v_add_nc_u16 v8, v41, v8
	v_cndmask_b32_e64 v12, v12, 1, vcc_lo
	s_delay_alu instid0(VALU_DEP_2) | instskip(NEXT) | instid1(VALU_DEP_2)
	v_and_b32_e32 v13, 0xffff, v8
	v_lshlrev_b32_e32 v41, 16, v12
	s_delay_alu instid0(VALU_DEP_1)
	v_dual_mov_b32 v13, v12 :: v_dual_bitop2_b32 v47, v41, v13 bitop3:0x54
.LBB848_138:
	s_or_b32 exec_lo, exec_lo, s33
	v_cmp_gt_u32_e32 vcc_lo, 24, v36
	v_add_nc_u32_e32 v42, 8, v36
	s_mov_b32 s33, exec_lo
	s_wait_dscnt 0x0
	v_cndmask_b32_e64 v41, 0, 8, vcc_lo
	s_delay_alu instid0(VALU_DEP_1)
	v_add_lshl_u32 v41, v41, v36, 2
	ds_bpermute_b32 v46, v41, v47
	v_cmpx_le_u32_e64 v42, v7
	s_cbranch_execz .LBB848_140
; %bb.139:
	v_cmp_eq_u16_e32 vcc_lo, 0, v13
	s_wait_dscnt 0x0
	v_dual_lshrrev_b32 v12, 16, v46 :: v_dual_bitop2_b32 v13, 1, v13 bitop3:0x40
	s_delay_alu instid0(VALU_DEP_1) | instskip(NEXT) | instid1(VALU_DEP_2)
	v_dual_cndmask_b32 v46, 0, v46, vcc_lo :: v_dual_bitop2_b32 v12, 1, v12 bitop3:0x40
	v_cmp_eq_u32_e32 vcc_lo, 1, v13
	s_delay_alu instid0(VALU_DEP_2) | instskip(NEXT) | instid1(VALU_DEP_3)
	v_add_nc_u16 v8, v46, v8
	v_cndmask_b32_e64 v12, v12, 1, vcc_lo
	s_delay_alu instid0(VALU_DEP_2) | instskip(NEXT) | instid1(VALU_DEP_2)
	v_and_b32_e32 v13, 0xffff, v8
	v_lshlrev_b32_e32 v46, 16, v12
	s_delay_alu instid0(VALU_DEP_1)
	v_dual_mov_b32 v13, v12 :: v_dual_bitop2_b32 v47, v46, v13 bitop3:0x54
.LBB848_140:
	s_or_b32 exec_lo, exec_lo, s33
	s_wait_dscnt 0x0
	v_lshl_or_b32 v46, v36, 2, 64
	s_mov_b32 s33, exec_lo
	ds_bpermute_b32 v48, v46, v47
	v_add_nc_u32_e32 v47, 16, v36
	s_delay_alu instid0(VALU_DEP_1)
	v_cmpx_le_u32_e64 v47, v7
	s_cbranch_execz .LBB848_142
; %bb.141:
	v_cmp_eq_u16_e32 vcc_lo, 0, v13
	s_wait_dscnt 0x0
	v_dual_lshrrev_b32 v7, 16, v48 :: v_dual_bitop2_b32 v13, 1, v13 bitop3:0x40
	s_delay_alu instid0(VALU_DEP_1) | instskip(NEXT) | instid1(VALU_DEP_2)
	v_dual_cndmask_b32 v12, 0, v48, vcc_lo :: v_dual_bitop2_b32 v7, 1, v7 bitop3:0x40
	v_cmp_eq_u32_e32 vcc_lo, 1, v13
	s_delay_alu instid0(VALU_DEP_2) | instskip(NEXT) | instid1(VALU_DEP_3)
	v_add_nc_u16 v8, v12, v8
	v_cndmask_b32_e64 v12, v7, 1, vcc_lo
.LBB848_142:
	s_or_b32 exec_lo, exec_lo, s33
	v_mov_b32_e32 v7, 0
	s_branch .LBB848_145
.LBB848_143:                            ;   in Loop: Header=BB848_145 Depth=1
	s_or_b32 exec_lo, exec_lo, s33
	v_and_b32_e32 v12, 0xff, v48
	v_subrev_nc_u32_e32 v6, 32, v6
	s_mov_b32 s33, 0
	v_and_b32_e32 v13, 1, v13
	s_delay_alu instid0(VALU_DEP_3) | instskip(SKIP_2) | instid1(VALU_DEP_2)
	v_cmp_eq_u16_e32 vcc_lo, 0, v12
	v_and_b32_e32 v12, 1, v48
	v_cndmask_b32_e32 v8, 0, v8, vcc_lo
	v_cmp_eq_u32_e32 vcc_lo, 1, v12
	s_delay_alu instid0(VALU_DEP_2)
	v_add_nc_u16 v8, v8, v49
	v_cndmask_b32_e64 v12, v13, 1, vcc_lo
.LBB848_144:                            ;   in Loop: Header=BB848_145 Depth=1
	s_and_b32 vcc_lo, exec_lo, s33
	s_cbranch_vccnz .LBB848_251
.LBB848_145:                            ; =>This Loop Header: Depth=1
                                        ;     Child Loop BB848_148 Depth 2
	v_and_b32_e32 v9, 0xff, v9
	s_wait_dscnt 0x0
	v_dual_mov_b32 v48, v12 :: v_dual_mov_b32 v49, v8
	s_mov_b32 s33, -1
                                        ; implicit-def: $vgpr12
	s_delay_alu instid0(VALU_DEP_2)
	v_cmp_ne_u16_e32 vcc_lo, 2, v9
                                        ; implicit-def: $vgpr8
	s_cmp_lg_u32 vcc_lo, exec_lo
	s_cbranch_scc1 .LBB848_144
; %bb.146:                              ;   in Loop: Header=BB848_145 Depth=1
	global_load_b64 v[8:9], v6, s[28:29] scale_offset scope:SCOPE_DEV
	s_mov_b32 s33, exec_lo
	s_wait_loadcnt 0x0
	v_and_b32_e32 v12, 0xff, v9
	s_wait_xcnt 0x0
	s_delay_alu instid0(VALU_DEP_1)
	v_cmpx_eq_u16_e32 0, v12
	s_cbranch_execz .LBB848_150
; %bb.147:                              ;   in Loop: Header=BB848_145 Depth=1
	v_lshl_add_u64 v[12:13], v[6:7], 3, s[28:29]
	s_mov_b32 s36, 0
.LBB848_148:                            ;   Parent Loop BB848_145 Depth=1
                                        ; =>  This Inner Loop Header: Depth=2
	global_load_b64 v[8:9], v[12:13], off scope:SCOPE_DEV
	s_wait_loadcnt 0x0
	v_and_b32_e32 v50, 0xff, v9
	s_delay_alu instid0(VALU_DEP_1)
	v_cmp_ne_u16_e32 vcc_lo, 0, v50
	s_or_b32 s36, vcc_lo, s36
	s_wait_xcnt 0x0
	s_and_not1_b32 exec_lo, exec_lo, s36
	s_cbranch_execnz .LBB848_148
; %bb.149:                              ;   in Loop: Header=BB848_145 Depth=1
	s_or_b32 exec_lo, exec_lo, s36
.LBB848_150:                            ;   in Loop: Header=BB848_145 Depth=1
	s_delay_alu instid0(SALU_CYCLE_1)
	s_or_b32 exec_lo, exec_lo, s33
	v_and_b32_e32 v51, 0xffffff, v8
	v_and_b32_e32 v12, 0xff, v9
	v_lshrrev_b32_e32 v13, 16, v8
	v_bfe_u32 v50, v8, 16, 8
	s_mov_b32 s33, exec_lo
	ds_bpermute_b32 v52, v5, v51
	v_cmp_eq_u16_e32 vcc_lo, 2, v12
	v_and_or_b32 v12, vcc_lo, v16, 0x80000000
	s_delay_alu instid0(VALU_DEP_1) | instskip(NEXT) | instid1(VALU_DEP_1)
	v_ctz_i32_b32_e32 v12, v12
	v_cmpx_lt_u32_e64 v36, v12
	s_cbranch_execz .LBB848_152
; %bb.151:                              ;   in Loop: Header=BB848_145 Depth=1
	v_and_b32_e32 v13, 0xff0000, v8
	s_delay_alu instid0(VALU_DEP_1) | instskip(SKIP_3) | instid1(VALU_DEP_1)
	v_and_b32_e32 v51, 0x10000, v13
	v_cmp_eq_u32_e32 vcc_lo, 0, v13
	s_wait_dscnt 0x0
	v_dual_lshrrev_b32 v50, 16, v52 :: v_dual_cndmask_b32 v52, 0, v52, vcc_lo
	v_and_b32_e32 v50, 1, v50
	v_cmp_ne_u32_e32 vcc_lo, 0, v51
	s_delay_alu instid0(VALU_DEP_3) | instskip(NEXT) | instid1(VALU_DEP_3)
	v_add_nc_u16 v8, v52, v8
	v_cndmask_b32_e64 v13, v50, 1, vcc_lo
	s_delay_alu instid0(VALU_DEP_2) | instskip(NEXT) | instid1(VALU_DEP_2)
	v_and_b32_e32 v51, 0xffff, v8
	v_lshlrev_b32_e32 v50, 16, v13
	s_delay_alu instid0(VALU_DEP_1)
	v_dual_mov_b32 v50, v13 :: v_dual_bitop2_b32 v51, v50, v51 bitop3:0x54
.LBB848_152:                            ;   in Loop: Header=BB848_145 Depth=1
	s_or_b32 exec_lo, exec_lo, s33
	s_wait_dscnt 0x0
	ds_bpermute_b32 v52, v37, v51
	s_mov_b32 s33, exec_lo
	v_cmpx_le_u32_e64 v38, v12
	s_cbranch_execz .LBB848_154
; %bb.153:                              ;   in Loop: Header=BB848_145 Depth=1
	v_cmp_eq_u16_e32 vcc_lo, 0, v50
	s_wait_dscnt 0x0
	v_dual_lshrrev_b32 v13, 16, v52 :: v_dual_bitop2_b32 v50, 1, v50 bitop3:0x40
	s_delay_alu instid0(VALU_DEP_1) | instskip(NEXT) | instid1(VALU_DEP_2)
	v_dual_cndmask_b32 v51, 0, v52, vcc_lo :: v_dual_bitop2_b32 v13, 1, v13 bitop3:0x40
	v_cmp_eq_u32_e32 vcc_lo, 1, v50
	s_delay_alu instid0(VALU_DEP_2) | instskip(NEXT) | instid1(VALU_DEP_3)
	v_add_nc_u16 v8, v51, v8
	v_cndmask_b32_e64 v13, v13, 1, vcc_lo
	s_delay_alu instid0(VALU_DEP_2) | instskip(NEXT) | instid1(VALU_DEP_2)
	v_and_b32_e32 v50, 0xffff, v8
	v_lshlrev_b32_e32 v51, 16, v13
	s_delay_alu instid0(VALU_DEP_1)
	v_dual_mov_b32 v50, v13 :: v_dual_bitop2_b32 v51, v51, v50 bitop3:0x54
.LBB848_154:                            ;   in Loop: Header=BB848_145 Depth=1
	s_or_b32 exec_lo, exec_lo, s33
	s_wait_dscnt 0x0
	ds_bpermute_b32 v52, v39, v51
	s_mov_b32 s33, exec_lo
	v_cmpx_le_u32_e64 v40, v12
	s_cbranch_execz .LBB848_156
; %bb.155:                              ;   in Loop: Header=BB848_145 Depth=1
	v_cmp_eq_u16_e32 vcc_lo, 0, v50
	s_wait_dscnt 0x0
	v_dual_lshrrev_b32 v13, 16, v52 :: v_dual_bitop2_b32 v50, 1, v50 bitop3:0x40
	s_delay_alu instid0(VALU_DEP_1) | instskip(NEXT) | instid1(VALU_DEP_2)
	v_dual_cndmask_b32 v51, 0, v52, vcc_lo :: v_dual_bitop2_b32 v13, 1, v13 bitop3:0x40
	v_cmp_eq_u32_e32 vcc_lo, 1, v50
	s_delay_alu instid0(VALU_DEP_2) | instskip(NEXT) | instid1(VALU_DEP_3)
	v_add_nc_u16 v8, v51, v8
	v_cndmask_b32_e64 v13, v13, 1, vcc_lo
	s_delay_alu instid0(VALU_DEP_2) | instskip(NEXT) | instid1(VALU_DEP_2)
	v_and_b32_e32 v50, 0xffff, v8
	v_lshlrev_b32_e32 v51, 16, v13
	s_delay_alu instid0(VALU_DEP_1)
	v_dual_mov_b32 v50, v13 :: v_dual_bitop2_b32 v51, v51, v50 bitop3:0x54
.LBB848_156:                            ;   in Loop: Header=BB848_145 Depth=1
	;; [unrolled: 22-line block ×3, first 2 shown]
	s_or_b32 exec_lo, exec_lo, s33
	ds_bpermute_b32 v51, v46, v51
	s_mov_b32 s33, exec_lo
	v_cmpx_le_u32_e64 v47, v12
	s_cbranch_execz .LBB848_143
; %bb.159:                              ;   in Loop: Header=BB848_145 Depth=1
	v_cmp_eq_u16_e32 vcc_lo, 0, v50
	s_wait_dscnt 0x0
	v_dual_lshrrev_b32 v50, 16, v51 :: v_dual_bitop2_b32 v13, 1, v50 bitop3:0x40
	v_cndmask_b32_e32 v12, 0, v51, vcc_lo
	s_delay_alu instid0(VALU_DEP_2) | instskip(NEXT) | instid1(VALU_DEP_2)
	v_cmp_eq_u32_e32 vcc_lo, 1, v13
	v_add_nc_u16 v8, v12, v8
	s_delay_alu instid0(VALU_DEP_4)
	v_cndmask_b32_e64 v13, v50, 1, vcc_lo
	s_branch .LBB848_143
.LBB848_160:
	s_or_b32 exec_lo, exec_lo, s42
                                        ; implicit-def: $vgpr12
	s_and_saveexec_b32 s42, s1
	s_cbranch_execz .LBB848_47
.LBB848_161:
	flat_load_u16 v12, v0, s[22:23] offset:512 scale_offset
	s_wait_xcnt 0x0
	s_or_b32 exec_lo, exec_lo, s42
                                        ; implicit-def: $vgpr13
	s_and_saveexec_b32 s1, s4
	s_cbranch_execnz .LBB848_48
.LBB848_162:
	s_or_b32 exec_lo, exec_lo, s1
                                        ; implicit-def: $vgpr14
	s_and_saveexec_b32 s1, s5
	s_cbranch_execz .LBB848_49
.LBB848_163:
	flat_load_u16 v14, v0, s[22:23] offset:1536 scale_offset
	s_wait_xcnt 0x0
	s_or_b32 exec_lo, exec_lo, s1
                                        ; implicit-def: $vgpr15
	s_and_saveexec_b32 s1, s6
	s_cbranch_execnz .LBB848_50
.LBB848_164:
	s_or_b32 exec_lo, exec_lo, s1
                                        ; implicit-def: $vgpr18
	s_and_saveexec_b32 s1, s7
	s_cbranch_execz .LBB848_51
.LBB848_165:
	flat_load_u16 v18, v0, s[22:23] offset:2560 scale_offset
	s_wait_xcnt 0x0
	s_or_b32 exec_lo, exec_lo, s1
                                        ; implicit-def: $vgpr19
	s_and_saveexec_b32 s1, s8
	s_cbranch_execnz .LBB848_52
.LBB848_166:
	s_or_b32 exec_lo, exec_lo, s1
                                        ; implicit-def: $vgpr20
	s_and_saveexec_b32 s1, s9
	s_cbranch_execz .LBB848_53
.LBB848_167:
	flat_load_u16 v20, v0, s[22:23] offset:3584 scale_offset
	s_wait_xcnt 0x0
	s_or_b32 exec_lo, exec_lo, s1
                                        ; implicit-def: $vgpr21
	s_and_saveexec_b32 s1, s10
	s_cbranch_execnz .LBB848_54
.LBB848_168:
	s_or_b32 exec_lo, exec_lo, s1
                                        ; implicit-def: $vgpr22
	s_and_saveexec_b32 s1, s11
	s_cbranch_execz .LBB848_55
.LBB848_169:
	flat_load_u16 v22, v0, s[22:23] offset:4608 scale_offset
	s_wait_xcnt 0x0
	s_or_b32 exec_lo, exec_lo, s1
                                        ; implicit-def: $vgpr23
	s_and_saveexec_b32 s1, s12
	s_cbranch_execnz .LBB848_56
.LBB848_170:
	s_or_b32 exec_lo, exec_lo, s1
                                        ; implicit-def: $vgpr24
	s_and_saveexec_b32 s1, s13
	s_cbranch_execz .LBB848_57
.LBB848_171:
	flat_load_u16 v24, v0, s[22:23] offset:5632 scale_offset
	s_wait_xcnt 0x0
	s_or_b32 exec_lo, exec_lo, s1
                                        ; implicit-def: $vgpr25
	s_and_saveexec_b32 s1, s14
	s_cbranch_execnz .LBB848_58
.LBB848_172:
	s_or_b32 exec_lo, exec_lo, s1
                                        ; implicit-def: $vgpr26
	s_and_saveexec_b32 s1, s15
	s_cbranch_execz .LBB848_59
.LBB848_173:
	flat_load_u16 v26, v0, s[22:23] offset:6656 scale_offset
	s_wait_xcnt 0x0
	s_or_b32 exec_lo, exec_lo, s1
                                        ; implicit-def: $vgpr27
	s_and_saveexec_b32 s1, s16
	s_cbranch_execnz .LBB848_60
.LBB848_174:
	s_or_b32 exec_lo, exec_lo, s1
                                        ; implicit-def: $vgpr28
	s_and_saveexec_b32 s1, s17
	s_cbranch_execz .LBB848_61
.LBB848_175:
	flat_load_u16 v28, v0, s[22:23] offset:7680 scale_offset
	s_wait_xcnt 0x0
	s_or_b32 exec_lo, exec_lo, s1
                                        ; implicit-def: $vgpr29
	s_and_saveexec_b32 s1, s18
	s_cbranch_execnz .LBB848_62
.LBB848_176:
	s_or_b32 exec_lo, exec_lo, s1
                                        ; implicit-def: $vgpr30
	s_and_saveexec_b32 s1, s19
	s_cbranch_execz .LBB848_63
.LBB848_177:
	flat_load_u16 v30, v0, s[22:23] offset:8704 scale_offset
	s_wait_xcnt 0x0
	s_or_b32 exec_lo, exec_lo, s1
                                        ; implicit-def: $vgpr31
	s_and_saveexec_b32 s1, s20
	s_cbranch_execz .LBB848_65
	s_branch .LBB848_64
.LBB848_178:
                                        ; implicit-def: $vgpr5
                                        ; implicit-def: $vgpr4
                                        ; implicit-def: $vgpr6
                                        ; implicit-def: $vgpr7
                                        ; implicit-def: $vgpr8
                                        ; implicit-def: $vgpr9
                                        ; implicit-def: $vgpr12
                                        ; implicit-def: $vgpr14
                                        ; implicit-def: $vgpr13
                                        ; implicit-def: $vgpr16
                                        ; implicit-def: $vgpr17
                                        ; implicit-def: $vgpr34
                                        ; implicit-def: $vgpr35
                                        ; implicit-def: $vgpr36
                                        ; implicit-def: $vgpr37
                                        ; implicit-def: $vgpr39
                                        ; implicit-def: $vgpr38
                                        ; implicit-def: $vgpr40
                                        ; implicit-def: $vgpr41
                                        ; implicit-def: $vgpr42
	s_cbranch_execnz .LBB848_256
.LBB848_179:
	s_add_nc_u64 s[2:3], s[26:27], s[34:35]
	s_and_b32 vcc_lo, exec_lo, s0
	s_add_nc_u64 s[0:1], s[2:3], s[24:25]
	s_cbranch_vccz .LBB848_275
.LBB848_180:
	v_mul_u32_u24_e32 v1, 20, v0
	s_add_co_i32 s31, s31, s30
	s_mov_b32 s2, exec_lo
	s_delay_alu instid0(VALU_DEP_1)
	v_cmpx_gt_u32_e64 s31, v1
	s_cbranch_execz .LBB848_212
; %bb.181:
	v_or_b32_e32 v3, 1, v1
	s_mov_b32 s3, exec_lo
	s_delay_alu instid0(VALU_DEP_1)
	v_cmpx_gt_u32_e64 s31, v3
	s_cbranch_execz .LBB848_211
; %bb.182:
	v_or_b32_e32 v3, 2, v1
	;; [unrolled: 6-line block ×3, first 2 shown]
	s_mov_b32 s5, exec_lo
	s_delay_alu instid0(VALU_DEP_1)
	v_cmpx_gt_u32_e64 s31, v3
	s_cbranch_execz .LBB848_209
; %bb.184:
	v_add_nc_u32_e32 v3, 4, v1
	s_mov_b32 s6, exec_lo
	s_delay_alu instid0(VALU_DEP_1)
	v_cmpx_gt_u32_e64 s31, v3
	s_cbranch_execz .LBB848_208
; %bb.185:
	v_add_nc_u32_e32 v3, 5, v1
	;; [unrolled: 6-line block ×12, first 2 shown]
	s_mov_b32 s17, exec_lo
	s_delay_alu instid0(VALU_DEP_1)
	v_cmpx_gt_u32_e64 s31, v3
; %bb.196:
	v_add_nc_u32_e32 v3, 16, v1
	s_mov_b32 s18, exec_lo
	s_delay_alu instid0(VALU_DEP_1)
	v_cmpx_gt_u32_e64 s31, v3
	s_or_b32 exec_lo, exec_lo, s18
; %bb.197:
	s_delay_alu instid0(SALU_CYCLE_1)
	s_or_b32 exec_lo, exec_lo, s17
.LBB848_198:
	s_delay_alu instid0(SALU_CYCLE_1)
	s_or_b32 exec_lo, exec_lo, s16
.LBB848_199:
	s_delay_alu instid0(SALU_CYCLE_1)
	s_or_b32 exec_lo, exec_lo, s15
.LBB848_200:
	s_delay_alu instid0(SALU_CYCLE_1)
	s_or_b32 exec_lo, exec_lo, s14
.LBB848_201:
	s_delay_alu instid0(SALU_CYCLE_1)
	s_or_b32 exec_lo, exec_lo, s13
.LBB848_202:
	s_delay_alu instid0(SALU_CYCLE_1)
	s_or_b32 exec_lo, exec_lo, s12
.LBB848_203:
	s_delay_alu instid0(SALU_CYCLE_1)
	s_or_b32 exec_lo, exec_lo, s11
.LBB848_204:
	s_delay_alu instid0(SALU_CYCLE_1)
	s_or_b32 exec_lo, exec_lo, s10
.LBB848_205:
	s_delay_alu instid0(SALU_CYCLE_1)
	s_or_b32 exec_lo, exec_lo, s9
.LBB848_206:
	s_delay_alu instid0(SALU_CYCLE_1)
	s_or_b32 exec_lo, exec_lo, s8
.LBB848_207:
	s_delay_alu instid0(SALU_CYCLE_1)
	s_or_b32 exec_lo, exec_lo, s7
.LBB848_208:
	s_delay_alu instid0(SALU_CYCLE_1)
	s_or_b32 exec_lo, exec_lo, s6
.LBB848_209:
	s_delay_alu instid0(SALU_CYCLE_1)
	s_or_b32 exec_lo, exec_lo, s5
.LBB848_210:
	s_delay_alu instid0(SALU_CYCLE_1)
	s_or_b32 exec_lo, exec_lo, s4
.LBB848_211:
	s_delay_alu instid0(SALU_CYCLE_1)
	s_or_b32 exec_lo, exec_lo, s3
.LBB848_212:
	s_delay_alu instid0(SALU_CYCLE_1)
	s_or_b32 exec_lo, exec_lo, s2
	v_dual_mov_b32 v3, 0 :: v_dual_lshlrev_b32 v30, 1, v1
	v_perm_b32 v11, v14, v12, 0x5040100
	v_perm_b32 v10, v9, v8, 0x5040100
	;; [unrolled: 1-line block ×4, first 2 shown]
	v_mad_i32_i24 v1, 0xffffffda, v0, v30
	v_perm_b32 v21, v39, v37, 0x5040100
	v_perm_b32 v20, v36, v35, 0x5040100
	;; [unrolled: 1-line block ×6, first 2 shown]
	s_wait_storecnt 0x0
	s_barrier_signal -1
	s_barrier_wait -1
	ds_store_2addr_b64 v30, v[18:19], v[10:11] offset1:1
	ds_store_2addr_b64 v30, v[22:23], v[20:21] offset0:2 offset1:3
	ds_store_b64 v30, v[24:25] offset:32
	s_wait_dscnt 0x0
	s_barrier_signal -1
	s_barrier_wait -1
	ds_load_u16 v33, v1 offset:512
	ds_load_u16 v32, v1 offset:1024
	;; [unrolled: 1-line block ×19, first 2 shown]
	v_add_nc_u64_e32 v[2:3], s[0:1], v[2:3]
	s_mov_b32 s2, exec_lo
	v_cmpx_gt_u32_e64 s31, v0
	s_cbranch_execz .LBB848_214
; %bb.213:
	v_mul_i32_i24_e32 v43, 0xffffffda, v0
	s_delay_alu instid0(VALU_DEP_1)
	v_add_nc_u32_e32 v30, v30, v43
	ds_load_u16 v30, v30
	s_wait_dscnt 0x0
	flat_store_b16 v[2:3], v30
.LBB848_214:
	s_wait_xcnt 0x0
	s_or_b32 exec_lo, exec_lo, s2
	v_or_b32_e32 v30, 0x100, v0
	s_mov_b32 s2, exec_lo
	s_delay_alu instid0(VALU_DEP_1)
	v_cmpx_gt_u32_e64 s31, v30
	s_cbranch_execz .LBB848_216
; %bb.215:
	s_wait_dscnt 0x12
	flat_store_b16 v[2:3], v33 offset:512
.LBB848_216:
	s_wait_xcnt 0x0
	s_or_b32 exec_lo, exec_lo, s2
	v_or_b32_e32 v30, 0x200, v0
	s_mov_b32 s2, exec_lo
	s_delay_alu instid0(VALU_DEP_1)
	v_cmpx_gt_u32_e64 s31, v30
	s_cbranch_execz .LBB848_218
; %bb.217:
	s_wait_dscnt 0x11
	flat_store_b16 v[2:3], v32 offset:1024
.LBB848_218:
	;; [unrolled: 11-line block ×4, first 2 shown]
	s_wait_xcnt 0x0
	s_or_b32 exec_lo, exec_lo, s2
	s_wait_dscnt 0xf
	v_or_b32_e32 v29, 0x500, v0
	s_mov_b32 s2, exec_lo
	s_delay_alu instid0(VALU_DEP_1)
	v_cmpx_gt_u32_e64 s31, v29
	s_cbranch_execz .LBB848_224
; %bb.223:
	s_wait_dscnt 0xe
	flat_store_b16 v[2:3], v28 offset:2560
.LBB848_224:
	s_wait_xcnt 0x0
	s_or_b32 exec_lo, exec_lo, s2
	s_wait_dscnt 0xe
	v_or_b32_e32 v28, 0x600, v0
	s_mov_b32 s2, exec_lo
	s_delay_alu instid0(VALU_DEP_1)
	v_cmpx_gt_u32_e64 s31, v28
	s_cbranch_execz .LBB848_226
; %bb.225:
	s_wait_dscnt 0xd
	flat_store_b16 v[2:3], v27 offset:3072
.LBB848_226:
	;; [unrolled: 12-line block ×14, first 2 shown]
	s_wait_xcnt 0x0
	s_or_b32 exec_lo, exec_lo, s2
	v_or_b32_e32 v2, 0x1300, v0
	s_delay_alu instid0(VALU_DEP_1)
	v_cmp_gt_u32_e64 s2, s31, v2
	s_branch .LBB848_277
.LBB848_251:
	s_and_saveexec_b32 s33, s22
	s_cbranch_execz .LBB848_253
; %bb.252:
	v_and_b32_e32 v5, 0xff0000, v4
	v_and_b32_e32 v7, 0x10000, v4
	s_delay_alu instid0(VALU_DEP_2) | instskip(SKIP_1) | instid1(VALU_DEP_3)
	v_cmp_eq_u32_e32 vcc_lo, 0, v5
	v_dual_cndmask_b32 v5, 0, v49, vcc_lo :: v_dual_bitop2_b32 v6, 1, v48 bitop3:0x40
	v_cmp_eq_u32_e32 vcc_lo, 0, v7
	s_delay_alu instid0(VALU_DEP_2) | instskip(NEXT) | instid1(VALU_DEP_1)
	v_add_nc_u16 v4, v5, v4
	v_and_b32_e32 v4, 0xffff, v4
	s_delay_alu instid0(VALU_DEP_4) | instskip(NEXT) | instid1(VALU_DEP_1)
	v_lshlrev_b32_e32 v6, 16, v6
	v_cndmask_b32_e32 v5, 0x10000, v6, vcc_lo
	s_delay_alu instid0(VALU_DEP_1)
	v_dual_mov_b32 v5, 2 :: v_dual_bitop2_b32 v4, v5, v4 bitop3:0x54
	global_store_b64 v35, v[4:5], s[28:29] scale_offset scope:SCOPE_DEV
.LBB848_253:
	s_wait_xcnt 0x0
	s_or_b32 exec_lo, exec_lo, s33
	s_delay_alu instid0(SALU_CYCLE_1)
	s_and_b32 exec_lo, exec_lo, s2
	s_cbranch_execz .LBB848_255
; %bb.254:
	v_mov_b32_e32 v4, 0
	ds_store_b16 v4, v49
	ds_store_b8 v4, v48 offset:2
.LBB848_255:
	s_or_b32 exec_lo, exec_lo, s23
	v_and_b32_e32 v5, 0x10000, v10
	s_wait_storecnt_dscnt 0x0
	s_barrier_signal -1
	s_barrier_wait -1
	s_delay_alu instid0(VALU_DEP_1)
	v_cmp_ne_u32_e32 vcc_lo, 0, v5
	v_cndmask_b32_e64 v5, v34, 1, vcc_lo
	v_cmp_gt_u32_e32 vcc_lo, 0x10000, v10
	v_dual_mov_b32 v4, 0 :: v_dual_cndmask_b32 v6, 0, v17, vcc_lo
	ds_load_b32 v4, v4
	v_cndmask_b32_e64 v5, v5, v14, s2
	v_cndmask_b32_e64 v6, v6, 0, s2
	s_delay_alu instid0(VALU_DEP_2) | instskip(NEXT) | instid1(VALU_DEP_2)
	v_and_b32_e32 v5, 0xff, v5
	v_add_nc_u16 v6, v6, v10
	s_delay_alu instid0(VALU_DEP_2) | instskip(SKIP_2) | instid1(VALU_DEP_1)
	v_cmp_eq_u16_e32 vcc_lo, 0, v5
	s_wait_dscnt 0x0
	v_cndmask_b32_e32 v4, 0, v4, vcc_lo
	v_add_nc_u16 v5, v6, v4
	s_delay_alu instid0(VALU_DEP_1) | instskip(SKIP_1) | instid1(VALU_DEP_2)
	v_cndmask_b32_e64 v4, 0, v5, s21
	v_and_b32_e32 v5, 0xffff, v5
	v_add_nc_u16 v4, v4, v11
	s_delay_alu instid0(VALU_DEP_1) | instskip(NEXT) | instid1(VALU_DEP_1)
	v_cndmask_b32_e64 v6, 0, v4, s20
	v_add_nc_u16 v6, v6, v32
	s_delay_alu instid0(VALU_DEP_1) | instskip(NEXT) | instid1(VALU_DEP_1)
	v_cndmask_b32_e64 v7, 0, v6, s19
	;; [unrolled: 3-line block ×18, first 2 shown]
	v_add_nc_u16 v42, v42, v1
	s_branch .LBB848_179
.LBB848_256:
	s_cmp_lg_u64 s[40:41], 0
	v_mov_b32_e32 v5, v10
	s_cselect_b32 s1, -1, 0
	s_cmp_lg_u64 s[38:39], 0
	s_cselect_b32 s4, -1, 0
	s_delay_alu instid0(SALU_CYCLE_1) | instskip(NEXT) | instid1(SALU_CYCLE_1)
	s_and_b32 s1, s1, s4
	s_and_b32 s4, s2, s1
	s_delay_alu instid0(SALU_CYCLE_1)
	s_and_saveexec_b32 s1, s4
	s_cbranch_execz .LBB848_258
; %bb.257:
	v_mov_b32_e32 v4, 0
	v_cmp_gt_u32_e32 vcc_lo, 0x10000, v10
	s_clause 0x1
	global_load_u16 v5, v4, s[38:39]
	global_load_u8 v6, v4, s[38:39] offset:2
	s_wait_loadcnt 0x0
	v_dual_cndmask_b32 v4, 0, v5, vcc_lo :: v_dual_bitop2_b32 v5, 1, v6 bitop3:0x40
	v_and_b32_e32 v6, 0x10000, v10
	s_delay_alu instid0(VALU_DEP_2) | instskip(NEXT) | instid1(VALU_DEP_3)
	v_lshlrev_b32_e32 v5, 16, v5
	v_add_nc_u16 v4, v4, v10
	s_delay_alu instid0(VALU_DEP_3) | instskip(NEXT) | instid1(VALU_DEP_2)
	v_cmp_eq_u32_e32 vcc_lo, 0, v6
	v_and_b32_e32 v4, 0xffff, v4
	s_delay_alu instid0(VALU_DEP_4) | instskip(NEXT) | instid1(VALU_DEP_1)
	v_cndmask_b32_e32 v5, 0x10000, v5, vcc_lo
	v_or_b32_e32 v5, v5, v4
.LBB848_258:
	s_or_b32 exec_lo, exec_lo, s1
	v_cmp_gt_u32_e32 vcc_lo, 0x10000, v11
	v_cmp_gt_u32_e64 s4, 0x10000, v33
	v_cmp_gt_u32_e64 s1, 0x10000, v32
	;; [unrolled: 1-line block ×4, first 2 shown]
	v_cndmask_b32_e32 v4, 0, v5, vcc_lo
	v_cmp_gt_u32_e64 s9, 0x10000, v26
	v_cmp_gt_u32_e64 s7, 0x10000, v28
	;; [unrolled: 1-line block ×4, first 2 shown]
	v_add_nc_u16 v4, v4, v11
	v_cmp_gt_u32_e64 s10, 0x10000, v27
	v_cmp_gt_u32_e64 s11, 0x10000, v24
	;; [unrolled: 1-line block ×4, first 2 shown]
	v_cndmask_b32_e64 v6, 0, v4, s1
	v_cmp_gt_u32_e64 s13, 0x10000, v22
	v_cmp_gt_u32_e64 s14, 0x10000, v23
	v_cmp_gt_u32_e64 s15, 0x10000, v20
	v_cmp_gt_u32_e64 s16, 0x10000, v21
	v_add_nc_u16 v6, v6, v32
	v_cmp_gt_u32_e64 s17, 0x10000, v18
	v_cmp_gt_u32_e64 s18, 0x10000, v19
	v_or3_b32 v41, v45, v20, v23
	v_or3_b32 v42, v43, v28, v31
	v_cndmask_b32_e64 v7, 0, v6, s4
	s_mov_b32 s22, exec_lo
	v_and_b32_e32 v3, 28, v3
	s_delay_alu instid0(VALU_DEP_2) | instskip(NEXT) | instid1(VALU_DEP_2)
	v_add_nc_u16 v7, v7, v33
	v_lshl_add_u32 v3, v0, 2, v3
	s_delay_alu instid0(VALU_DEP_2) | instskip(NEXT) | instid1(VALU_DEP_1)
	v_cndmask_b32_e64 v8, 0, v7, s5
	v_add_nc_u16 v8, v8, v30
	s_delay_alu instid0(VALU_DEP_1) | instskip(NEXT) | instid1(VALU_DEP_1)
	v_cndmask_b32_e64 v9, 0, v8, s6
	v_add_nc_u16 v9, v9, v31
	s_delay_alu instid0(VALU_DEP_1) | instskip(NEXT) | instid1(VALU_DEP_1)
	;; [unrolled: 3-line block ×13, first 2 shown]
	v_cndmask_b32_e64 v10, 0, v38, s18
	v_add_nc_u16 v40, v10, v19
	v_or3_b32 v10, v41, v22, v25
	v_or3_b32 v41, v42, v30, v33
	s_delay_alu instid0(VALU_DEP_3) | instskip(NEXT) | instid1(VALU_DEP_3)
	v_cndmask_b32_e64 v42, 0, v40, s19
	v_or3_b32 v10, v10, v24, v27
	s_delay_alu instid0(VALU_DEP_3) | instskip(NEXT) | instid1(VALU_DEP_3)
	v_or3_b32 v43, v41, v32, v11
	v_add_nc_u16 v41, v42, v15
	s_delay_alu instid0(VALU_DEP_3) | instskip(NEXT) | instid1(VALU_DEP_2)
	v_or3_b32 v10, v1, v44, v10
	v_cndmask_b32_e64 v42, 0, v41, s20
	s_delay_alu instid0(VALU_DEP_2) | instskip(SKIP_1) | instid1(VALU_DEP_3)
	v_bitop3_b32 v10, v10, 0xff0000, v43 bitop3:0xc8
	v_lshrrev_b32_e32 v43, 16, v5
	v_add_nc_u16 v42, v42, v1
	s_delay_alu instid0(VALU_DEP_3) | instskip(NEXT) | instid1(VALU_DEP_1)
	v_cmp_eq_u32_e64 s21, 0, v10
	v_cndmask_b32_e64 v10, 1, v43, s21
	ds_store_b16 v3, v42
	ds_store_b8 v3, v10 offset:2
	s_wait_dscnt 0x0
	s_barrier_signal -1
	s_barrier_wait -1
	v_cmpx_gt_u32_e32 32, v0
	s_cbranch_execz .LBB848_270
; %bb.259:
	v_and_b32_e32 v3, 0xfc, v0
	v_lshlrev_b32_e32 v43, 5, v0
	s_mov_b32 s23, exec_lo
	s_delay_alu instid0(VALU_DEP_1)
	v_add_nc_u32_e32 v3, v3, v43
	ds_load_u8 v44, v3 offset:6
	ds_load_b32 v43, v3
	ds_load_u16 v45, v3 offset:4
	ds_load_u8 v46, v3 offset:10
	ds_load_u16 v47, v3 offset:8
	ds_load_u16 v48, v3 offset:12
	ds_load_u8 v49, v3 offset:14
	ds_load_u16 v50, v3 offset:16
	s_wait_dscnt 0x7
	v_cmp_eq_u16_e64 s21, 0, v44
	s_wait_dscnt 0x4
	s_delay_alu instid0(VALU_DEP_1) | instskip(SKIP_1) | instid1(VALU_DEP_2)
	v_dual_cndmask_b32 v51, 0, v43, s21 :: v_dual_bitop2_b32 v44, v46, v44 bitop3:0x54
	v_cmp_eq_u16_e64 s21, 0, v46
	v_add_nc_u16 v45, v51, v45
	ds_load_u8 v51, v3 offset:18
	v_cndmask_b32_e64 v45, 0, v45, s21
	s_wait_dscnt 0x2
	v_cmp_eq_u16_e64 s21, 0, v49
	s_delay_alu instid0(VALU_DEP_2) | instskip(SKIP_2) | instid1(VALU_DEP_1)
	v_add_nc_u16 v45, v45, v47
	ds_load_u8 v47, v3 offset:22
	v_cndmask_b32_e64 v45, 0, v45, s21
	v_add_nc_u16 v45, v45, v48
	ds_load_u16 v48, v3 offset:20
	ds_load_u16 v52, v3 offset:24
	ds_load_u8 v53, v3 offset:26
	ds_load_u16 v54, v3 offset:28
	ds_load_u8 v55, v3 offset:30
	s_wait_dscnt 0x6
	v_cmp_eq_u16_e64 s21, 0, v51
	v_bitop3_b16 v46, v44, v51, v49 bitop3:0xfe
	v_and_b32_e32 v44, 0x10000, v43
	s_delay_alu instid0(VALU_DEP_3)
	v_cndmask_b32_e64 v45, 0, v45, s21
	s_wait_dscnt 0x5
	v_cmp_eq_u16_e64 s21, 0, v47
	s_wait_dscnt 0x2
	v_bitop3_b16 v46, v46, v53, v47 bitop3:0xfe
	s_wait_dscnt 0x0
	v_and_b32_e32 v47, 1, v55
	v_add_nc_u16 v45, v45, v50
	s_delay_alu instid0(VALU_DEP_1) | instskip(SKIP_1) | instid1(VALU_DEP_2)
	v_cndmask_b32_e64 v45, 0, v45, s21
	v_cmp_eq_u16_e64 s21, 0, v53
	v_add_nc_u16 v45, v45, v48
	s_delay_alu instid0(VALU_DEP_1) | instskip(SKIP_1) | instid1(VALU_DEP_2)
	v_cndmask_b32_e64 v45, 0, v45, s21
	v_cmp_eq_u16_e64 s21, 0, v55
	;; [unrolled: 4-line block ×3, first 2 shown]
	v_add_nc_u16 v46, v45, v54
	s_delay_alu instid0(VALU_DEP_2) | instskip(SKIP_4) | instid1(VALU_DEP_4)
	v_cndmask_b32_e64 v48, 0x10000, v44, s21
	v_cmp_eq_u32_e64 s21, 1, v47
	v_and_b32_e32 v45, 0xff000000, v43
	v_mbcnt_lo_u32_b32 v47, -1, 0
	v_and_b32_e32 v49, 0xffff, v46
	v_cndmask_b32_e64 v48, v48, 0x10000, s21
	s_delay_alu instid0(VALU_DEP_1) | instskip(NEXT) | instid1(VALU_DEP_3)
	v_or_b32_e32 v50, v48, v45
	v_or3_b32 v51, v45, v49, v48
	s_delay_alu instid0(VALU_DEP_2) | instskip(NEXT) | instid1(VALU_DEP_2)
	v_dual_lshrrev_b32 v49, 16, v50 :: v_dual_bitop2_b32 v48, 15, v47 bitop3:0x40
	v_mov_b32_dpp v52, v51 row_shr:1 row_mask:0xf bank_mask:0xf
	s_delay_alu instid0(VALU_DEP_2)
	v_cmpx_ne_u32_e32 0, v48
	s_cbranch_execz .LBB848_261
; %bb.260:
	s_delay_alu instid0(VALU_DEP_2) | instskip(SKIP_1) | instid1(VALU_DEP_2)
	v_dual_lshrrev_b32 v49, 16, v50 :: v_dual_lshrrev_b32 v51, 16, v52
	v_and_b32_e32 v50, 0x10000, v50
	v_and_b32_e32 v49, 0xff, v49
	s_delay_alu instid0(VALU_DEP_1) | instskip(NEXT) | instid1(VALU_DEP_1)
	v_cmp_eq_u16_e64 s21, 0, v49
	v_dual_cndmask_b32 v52, 0, v52, s21 :: v_dual_bitop2_b32 v51, 1, v51 bitop3:0x40
	s_delay_alu instid0(VALU_DEP_4) | instskip(NEXT) | instid1(VALU_DEP_2)
	v_cmp_ne_u32_e64 s21, 0, v50
	v_add_nc_u16 v46, v52, v46
	s_delay_alu instid0(VALU_DEP_2) | instskip(NEXT) | instid1(VALU_DEP_2)
	v_cndmask_b32_e64 v49, v51, 1, s21
	v_and_b32_e32 v51, 0xffff, v46
	s_delay_alu instid0(VALU_DEP_2) | instskip(NEXT) | instid1(VALU_DEP_1)
	v_lshlrev_b32_e32 v50, 16, v49
	v_or3_b32 v51, v50, v51, v45
.LBB848_261:
	s_or_b32 exec_lo, exec_lo, s23
	s_delay_alu instid0(VALU_DEP_1)
	v_lshrrev_b32_e32 v50, 16, v51
	v_mov_b32_dpp v52, v51 row_shr:2 row_mask:0xf bank_mask:0xf
	s_mov_b32 s23, exec_lo
	v_cmpx_lt_u32_e32 1, v48
	s_cbranch_execz .LBB848_263
; %bb.262:
	v_and_b32_e32 v50, 0xff, v50
	v_and_b32_e32 v51, 0x10000, v51
	s_delay_alu instid0(VALU_DEP_2) | instskip(NEXT) | instid1(VALU_DEP_1)
	v_cmp_eq_u16_e64 s21, 0, v50
	v_dual_lshrrev_b32 v49, 16, v52 :: v_dual_cndmask_b32 v50, 0, v52, s21
	s_delay_alu instid0(VALU_DEP_1) | instskip(NEXT) | instid1(VALU_DEP_4)
	v_and_b32_e32 v49, 1, v49
	v_cmp_ne_u32_e64 s21, 0, v51
	s_delay_alu instid0(VALU_DEP_3) | instskip(NEXT) | instid1(VALU_DEP_2)
	v_add_nc_u16 v46, v50, v46
	v_cndmask_b32_e64 v49, v49, 1, s21
	s_delay_alu instid0(VALU_DEP_2) | instskip(NEXT) | instid1(VALU_DEP_2)
	v_and_b32_e32 v51, 0xffff, v46
	v_lshlrev_b32_e32 v50, 16, v49
	s_delay_alu instid0(VALU_DEP_1)
	v_or3_b32 v51, v50, v51, v45
	v_mov_b32_e32 v50, v49
.LBB848_263:
	s_or_b32 exec_lo, exec_lo, s23
	s_delay_alu instid0(VALU_DEP_2)
	v_mov_b32_dpp v52, v51 row_shr:4 row_mask:0xf bank_mask:0xf
	s_mov_b32 s23, exec_lo
	v_cmpx_lt_u32_e32 3, v48
	s_cbranch_execz .LBB848_265
; %bb.264:
	v_and_b32_e32 v51, 0xff, v50
	v_dual_lshrrev_b32 v49, 16, v52 :: v_dual_bitop2_b32 v50, 1, v50 bitop3:0x40
	s_delay_alu instid0(VALU_DEP_2) | instskip(NEXT) | instid1(VALU_DEP_1)
	v_cmp_eq_u16_e64 s21, 0, v51
	v_dual_cndmask_b32 v51, 0, v52, s21 :: v_dual_bitop2_b32 v49, 1, v49 bitop3:0x40
	s_delay_alu instid0(VALU_DEP_3) | instskip(NEXT) | instid1(VALU_DEP_2)
	v_cmp_eq_u32_e64 s21, 1, v50
	v_add_nc_u16 v46, v51, v46
	s_delay_alu instid0(VALU_DEP_2) | instskip(NEXT) | instid1(VALU_DEP_2)
	v_cndmask_b32_e64 v49, v49, 1, s21
	v_and_b32_e32 v51, 0xffff, v46
	s_delay_alu instid0(VALU_DEP_2) | instskip(NEXT) | instid1(VALU_DEP_1)
	v_lshlrev_b32_e32 v50, 16, v49
	v_or3_b32 v51, v50, v51, v45
	v_mov_b32_e32 v50, v49
.LBB848_265:
	s_or_b32 exec_lo, exec_lo, s23
	s_delay_alu instid0(VALU_DEP_2)
	v_mov_b32_dpp v52, v51 row_shr:8 row_mask:0xf bank_mask:0xf
	s_mov_b32 s23, exec_lo
	v_cmpx_lt_u32_e32 7, v48
	s_cbranch_execz .LBB848_267
; %bb.266:
	v_and_b32_e32 v49, 0xff, v50
	v_dual_lshrrev_b32 v48, 16, v52 :: v_dual_bitop2_b32 v50, 1, v50 bitop3:0x40
	s_delay_alu instid0(VALU_DEP_2) | instskip(NEXT) | instid1(VALU_DEP_2)
	v_cmp_eq_u16_e64 s21, 0, v49
	v_and_b32_e32 v48, 1, v48
	s_delay_alu instid0(VALU_DEP_2) | instskip(NEXT) | instid1(VALU_DEP_4)
	v_cndmask_b32_e64 v51, 0, v52, s21
	v_cmp_eq_u32_e64 s21, 1, v50
	s_delay_alu instid0(VALU_DEP_1) | instskip(NEXT) | instid1(VALU_DEP_1)
	v_cndmask_b32_e64 v49, v48, 1, s21
	v_lshlrev_b32_e32 v48, 16, v49
	s_delay_alu instid0(VALU_DEP_4) | instskip(NEXT) | instid1(VALU_DEP_1)
	v_add_nc_u16 v46, v51, v46
	v_and_b32_e32 v50, 0xffff, v46
	s_delay_alu instid0(VALU_DEP_1)
	v_or3_b32 v51, v48, v50, v45
	v_mov_b32_e32 v50, v49
.LBB848_267:
	s_or_b32 exec_lo, exec_lo, s23
	ds_swizzle_b32 v48, v51 offset:swizzle(BROADCAST,32,15)
	v_and_b32_e32 v51, 16, v47
	s_mov_b32 s23, exec_lo
	s_delay_alu instid0(VALU_DEP_1)
	v_cmpx_ne_u32_e32 0, v51
	s_cbranch_execz .LBB848_269
; %bb.268:
	v_and_b32_e32 v49, 0xff, v50
	s_delay_alu instid0(VALU_DEP_1) | instskip(SKIP_2) | instid1(VALU_DEP_1)
	v_cmp_eq_u16_e64 s21, 0, v49
	s_wait_dscnt 0x0
	v_dual_lshrrev_b32 v51, 16, v48 :: v_dual_bitop2_b32 v49, 1, v50 bitop3:0x40
	v_dual_cndmask_b32 v48, 0, v48, s21 :: v_dual_bitop2_b32 v50, 1, v51 bitop3:0x40
	s_delay_alu instid0(VALU_DEP_2) | instskip(NEXT) | instid1(VALU_DEP_2)
	v_cmp_eq_u32_e64 s21, 1, v49
	v_add_nc_u16 v46, v48, v46
	s_delay_alu instid0(VALU_DEP_2)
	v_cndmask_b32_e64 v49, v50, 1, s21
.LBB848_269:
	s_or_b32 exec_lo, exec_lo, s23
	s_wait_dscnt 0x0
	s_delay_alu instid0(VALU_DEP_1) | instskip(SKIP_2) | instid1(VALU_DEP_3)
	v_and_b32_e32 v48, 0xff, v49
	v_add_nc_u32_e32 v49, -1, v47
	v_and_b32_e32 v46, 0xffff, v46
	; wave barrier
	v_lshlrev_b32_e32 v48, 16, v48
	s_delay_alu instid0(VALU_DEP_3) | instskip(NEXT) | instid1(VALU_DEP_2)
	v_cmp_gt_i32_e64 s21, 0, v49
	v_or3_b32 v45, v48, v46, v45
	s_delay_alu instid0(VALU_DEP_2) | instskip(NEXT) | instid1(VALU_DEP_1)
	v_cndmask_b32_e64 v47, v49, v47, s21
	v_lshlrev_b32_e32 v46, 2, v47
	ds_bpermute_b32 v45, v46, v45
	v_and_b32_e32 v46, 0xff0000, v43
	s_delay_alu instid0(VALU_DEP_1) | instskip(SKIP_1) | instid1(VALU_DEP_1)
	v_cmp_eq_u32_e64 s21, 0, v46
	s_wait_dscnt 0x0
	v_dual_lshrrev_b32 v47, 16, v45 :: v_dual_cndmask_b32 v45, 0, v45, s21
	v_cmp_eq_u32_e64 s21, 0, v44
	s_delay_alu instid0(VALU_DEP_2) | instskip(NEXT) | instid1(VALU_DEP_1)
	v_add_nc_u16 v43, v45, v43
	v_dual_cndmask_b32 v43, v43, v42, s2 :: v_dual_bitop2_b32 v46, 1, v47 bitop3:0x40
	s_delay_alu instid0(VALU_DEP_1) | instskip(NEXT) | instid1(VALU_DEP_1)
	v_cndmask_b32_e64 v44, 1, v46, s21
	v_cndmask_b32_e64 v10, v44, v10, s2
	ds_store_b16 v3, v43
	ds_store_b8 v3, v10 offset:2
	; wave barrier
	ds_load_u8 v44, v3 offset:6
	ds_load_u16 v45, v3 offset:4
	ds_load_u8 v46, v3 offset:10
	ds_load_u16 v47, v3 offset:8
	ds_load_u16 v48, v3 offset:12
	ds_load_u8 v49, v3 offset:14
	ds_load_u16 v50, v3 offset:16
	ds_load_u8 v51, v3 offset:18
	s_wait_dscnt 0x7
	v_cmp_eq_u16_e64 s21, 0, v44
	s_delay_alu instid0(VALU_DEP_1) | instskip(SKIP_2) | instid1(VALU_DEP_2)
	v_cndmask_b32_e64 v43, 0, v43, s21
	s_wait_dscnt 0x5
	v_cmp_eq_u16_e64 s21, 0, v46
	v_add_nc_u16 v43, v43, v45
	s_delay_alu instid0(VALU_DEP_1) | instskip(SKIP_2) | instid1(VALU_DEP_2)
	v_cndmask_b32_e64 v45, 0, v43, s21
	s_wait_dscnt 0x2
	v_cmp_eq_u16_e64 s21, 0, v49
	v_add_nc_u16 v45, v45, v47
	v_and_b32_e32 v44, 1, v44
	ds_load_u8 v47, v3 offset:22
	ds_load_u16 v53, v3 offset:20
	ds_load_u8 v54, v3 offset:26
	ds_load_u8 v55, v3 offset:30
	v_cndmask_b32_e64 v52, 0, v45, s21
	v_cmp_eq_u32_e64 s21, 1, v44
	v_and_b32_e32 v44, 1, v49
	s_delay_alu instid0(VALU_DEP_3) | instskip(NEXT) | instid1(VALU_DEP_3)
	v_add_nc_u16 v48, v52, v48
	v_cndmask_b32_e64 v10, v10, 1, s21
	s_wait_dscnt 0x4
	v_cmp_eq_u16_e64 s21, 0, v51
	v_and_b32_e32 v46, 1, v46
	ds_load_u16 v52, v3 offset:24
	ds_load_u16 v56, v3 offset:28
	v_cndmask_b32_e64 v49, 0, v48, s21
	v_cmp_eq_u32_e64 s21, 1, v46
	s_delay_alu instid0(VALU_DEP_2) | instskip(NEXT) | instid1(VALU_DEP_2)
	v_add_nc_u16 v49, v49, v50
	v_cndmask_b32_e64 v46, v10, 1, s21
	v_cmp_eq_u32_e64 s21, 1, v44
	v_and_b32_e32 v50, 1, v51
	s_wait_dscnt 0x2
	v_and_b32_e32 v57, 1, v55
	s_delay_alu instid0(VALU_DEP_3) | instskip(SKIP_1) | instid1(VALU_DEP_1)
	v_cndmask_b32_e64 v44, v46, 1, s21
	v_cmp_eq_u16_e64 s21, 0, v47
	v_dual_cndmask_b32 v51, 0, v49, s21 :: v_dual_bitop2_b32 v47, 1, v47 bitop3:0x40
	v_cmp_eq_u32_e64 s21, 1, v50
	s_delay_alu instid0(VALU_DEP_2) | instskip(NEXT) | instid1(VALU_DEP_2)
	v_add_nc_u16 v51, v51, v53
	v_cndmask_b32_e64 v50, v44, 1, s21
	s_delay_alu instid0(VALU_DEP_4)
	v_cmp_eq_u32_e64 s21, 1, v47
	v_and_b32_e32 v53, 1, v54
	ds_store_b16 v3, v43 offset:4
	ds_store_b8 v3, v10 offset:6
	ds_store_b16 v3, v45 offset:8
	ds_store_b8 v3, v46 offset:10
	;; [unrolled: 2-line block ×4, first 2 shown]
	v_cndmask_b32_e64 v47, v50, 1, s21
	v_cmp_eq_u16_e64 s21, 0, v54
	s_delay_alu instid0(VALU_DEP_1) | instskip(SKIP_2) | instid1(VALU_DEP_2)
	v_cndmask_b32_e64 v54, 0, v51, s21
	v_cmp_eq_u32_e64 s21, 1, v53
	s_wait_dscnt 0x9
	v_add_nc_u16 v52, v54, v52
	s_delay_alu instid0(VALU_DEP_2) | instskip(SKIP_1) | instid1(VALU_DEP_1)
	v_cndmask_b32_e64 v53, v47, 1, s21
	v_cmp_eq_u32_e64 s21, 1, v57
	v_cndmask_b32_e64 v54, v53, 1, s21
	v_cmp_eq_u16_e64 s21, 0, v55
	s_delay_alu instid0(VALU_DEP_1) | instskip(SKIP_1) | instid1(VALU_DEP_1)
	v_cndmask_b32_e64 v55, 0, v52, s21
	s_wait_dscnt 0x8
	v_add_nc_u16 v10, v55, v56
	ds_store_b16 v3, v51 offset:20
	ds_store_b8 v3, v47 offset:22
	ds_store_b16 v3, v52 offset:24
	ds_store_b8 v3, v53 offset:26
	;; [unrolled: 2-line block ×3, first 2 shown]
.LBB848_270:
	s_or_b32 exec_lo, exec_lo, s22
	s_wait_dscnt 0x0
	s_barrier_signal -1
	s_barrier_wait -1
	s_and_saveexec_b32 s21, s3
	s_cbranch_execz .LBB848_272
; %bb.271:
	v_add_nc_u32_e32 v3, -1, v0
	v_cmp_gt_u32_e64 s3, 0x10000, v5
	s_delay_alu instid0(VALU_DEP_2) | instskip(NEXT) | instid1(VALU_DEP_1)
	v_lshrrev_b32_e32 v4, 3, v3
	v_and_b32_e32 v4, 0x1ffffffc, v4
	s_delay_alu instid0(VALU_DEP_1) | instskip(SKIP_4) | instid1(VALU_DEP_1)
	v_lshl_add_u32 v3, v3, 2, v4
	ds_load_u16 v3, v3
	;;#ASMSTART
	;;#ASMEND
	s_wait_dscnt 0x0
	v_cndmask_b32_e64 v3, 0, v3, s3
	v_add_nc_u32_e32 v5, v3, v5
	s_delay_alu instid0(VALU_DEP_1) | instskip(NEXT) | instid1(VALU_DEP_1)
	v_cndmask_b32_e32 v3, 0, v5, vcc_lo
	v_add_nc_u16 v4, v3, v11
	s_delay_alu instid0(VALU_DEP_1) | instskip(NEXT) | instid1(VALU_DEP_1)
	v_cndmask_b32_e64 v3, 0, v4, s1
	v_add_nc_u16 v6, v3, v32
	s_delay_alu instid0(VALU_DEP_1) | instskip(NEXT) | instid1(VALU_DEP_1)
	v_cndmask_b32_e64 v3, 0, v6, s4
	;; [unrolled: 3-line block ×18, first 2 shown]
	v_add_nc_u16 v42, v3, v1
.LBB848_272:
	s_or_b32 exec_lo, exec_lo, s21
	s_and_saveexec_b32 s1, s2
	s_cbranch_execz .LBB848_274
; %bb.273:
	v_mov_b32_e32 v1, 0
	ds_load_u8 v3, v1 offset:1050
	ds_load_u16 v10, v1 offset:1048
	s_wait_dscnt 0x1
	v_dual_mov_b32 v11, 2 :: v_dual_lshlrev_b32 v3, 16, v3
	s_wait_dscnt 0x0
	v_and_b32_e32 v10, 0xffff, v10
	s_delay_alu instid0(VALU_DEP_1)
	v_or_b32_e32 v10, v3, v10
	global_store_b64 v1, v[10:11], s[28:29] offset:256 scope:SCOPE_DEV
.LBB848_274:
	s_wait_xcnt 0x0
	s_or_b32 exec_lo, exec_lo, s1
	s_add_nc_u64 s[2:3], s[26:27], s[34:35]
	s_and_b32 vcc_lo, exec_lo, s0
	s_add_nc_u64 s[0:1], s[2:3], s[24:25]
	s_cbranch_vccnz .LBB848_180
.LBB848_275:
	s_mov_b32 s2, 0
                                        ; implicit-def: $vgpr1
	s_cbranch_execz .LBB848_277
; %bb.276:
	s_wait_dscnt 0x0
	v_mul_u32_u24_e32 v1, 40, v0
	v_perm_b32 v3, v14, v12, 0x5040100
	v_perm_b32 v2, v9, v8, 0x5040100
	v_perm_b32 v7, v7, v6, 0x5040100
	v_perm_b32 v6, v4, v5, 0x5040100
	v_mul_i32_i24_e32 v12, 0xffffffda, v0
	v_perm_b32 v5, v39, v37, 0x5040100
	v_perm_b32 v4, v36, v35, 0x5040100
	;; [unrolled: 1-line block ×6, first 2 shown]
	s_wait_storecnt 0x0
	s_barrier_signal -1
	s_barrier_wait -1
	ds_store_2addr_b64 v1, v[6:7], v[2:3] offset1:1
	ds_store_2addr_b64 v1, v[8:9], v[4:5] offset0:2 offset1:3
	ds_store_b64 v1, v[10:11] offset:32
	v_mad_u32_u24 v1, v0, 40, v12
	s_wait_dscnt 0x0
	s_barrier_signal -1
	s_barrier_wait -1
	ds_load_u16 v2, v1
	ds_load_u16 v3, v1 offset:512
	ds_load_u16 v4, v1 offset:1024
	;; [unrolled: 1-line block ×19, first 2 shown]
	s_or_b32 s2, s2, exec_lo
	s_wait_dscnt 0x13
	flat_store_b16 v0, v2, s[0:1] scale_offset
	s_wait_dscnt 0x13
	flat_store_b16 v0, v3, s[0:1] offset:512 scale_offset
	s_wait_dscnt 0x13
	flat_store_b16 v0, v4, s[0:1] offset:1024 scale_offset
	;; [unrolled: 2-line block ×18, first 2 shown]
.LBB848_277:
	s_wait_xcnt 0x0
	s_delay_alu instid0(VALU_DEP_1)
	s_and_saveexec_b32 s3, s2
	s_cbranch_execz .LBB848_279
; %bb.278:
	s_wait_dscnt 0x0
	flat_store_b16 v0, v1, s[0:1] offset:9728 scale_offset
	s_endpgm
.LBB848_279:
	s_endpgm
	.section	.rodata,"a",@progbits
	.p2align	6, 0x0
	.amdhsa_kernel _ZN7rocprim17ROCPRIM_400000_NS6detail17trampoline_kernelINS0_14default_configENS1_27scan_by_key_config_selectorIssEEZZNS1_16scan_by_key_implILNS1_25lookback_scan_determinismE0ELb0ES3_N6thrust23THRUST_200600_302600_NS6detail15normal_iteratorINS9_10device_ptrIsEEEESE_SE_sNS9_4plusIsEE19head_flag_predicatesEE10hipError_tPvRmT2_T3_T4_T5_mT6_T7_P12ihipStream_tbENKUlT_T0_E_clISt17integral_constantIbLb0EESX_IbLb1EEEEDaST_SU_EUlST_E_NS1_11comp_targetILNS1_3genE0ELNS1_11target_archE4294967295ELNS1_3gpuE0ELNS1_3repE0EEENS1_30default_config_static_selectorELNS0_4arch9wavefront6targetE0EEEvT1_
		.amdhsa_group_segment_fixed_size 11264
		.amdhsa_private_segment_fixed_size 0
		.amdhsa_kernarg_size 112
		.amdhsa_user_sgpr_count 2
		.amdhsa_user_sgpr_dispatch_ptr 0
		.amdhsa_user_sgpr_queue_ptr 0
		.amdhsa_user_sgpr_kernarg_segment_ptr 1
		.amdhsa_user_sgpr_dispatch_id 0
		.amdhsa_user_sgpr_kernarg_preload_length 0
		.amdhsa_user_sgpr_kernarg_preload_offset 0
		.amdhsa_user_sgpr_private_segment_size 0
		.amdhsa_wavefront_size32 1
		.amdhsa_uses_dynamic_stack 0
		.amdhsa_enable_private_segment 0
		.amdhsa_system_sgpr_workgroup_id_x 1
		.amdhsa_system_sgpr_workgroup_id_y 0
		.amdhsa_system_sgpr_workgroup_id_z 0
		.amdhsa_system_sgpr_workgroup_info 0
		.amdhsa_system_vgpr_workitem_id 0
		.amdhsa_next_free_vgpr 58
		.amdhsa_next_free_sgpr 44
		.amdhsa_named_barrier_count 0
		.amdhsa_reserve_vcc 1
		.amdhsa_float_round_mode_32 0
		.amdhsa_float_round_mode_16_64 0
		.amdhsa_float_denorm_mode_32 3
		.amdhsa_float_denorm_mode_16_64 3
		.amdhsa_fp16_overflow 0
		.amdhsa_memory_ordered 1
		.amdhsa_forward_progress 1
		.amdhsa_inst_pref_size 140
		.amdhsa_round_robin_scheduling 0
		.amdhsa_exception_fp_ieee_invalid_op 0
		.amdhsa_exception_fp_denorm_src 0
		.amdhsa_exception_fp_ieee_div_zero 0
		.amdhsa_exception_fp_ieee_overflow 0
		.amdhsa_exception_fp_ieee_underflow 0
		.amdhsa_exception_fp_ieee_inexact 0
		.amdhsa_exception_int_div_zero 0
	.end_amdhsa_kernel
	.section	.text._ZN7rocprim17ROCPRIM_400000_NS6detail17trampoline_kernelINS0_14default_configENS1_27scan_by_key_config_selectorIssEEZZNS1_16scan_by_key_implILNS1_25lookback_scan_determinismE0ELb0ES3_N6thrust23THRUST_200600_302600_NS6detail15normal_iteratorINS9_10device_ptrIsEEEESE_SE_sNS9_4plusIsEE19head_flag_predicatesEE10hipError_tPvRmT2_T3_T4_T5_mT6_T7_P12ihipStream_tbENKUlT_T0_E_clISt17integral_constantIbLb0EESX_IbLb1EEEEDaST_SU_EUlST_E_NS1_11comp_targetILNS1_3genE0ELNS1_11target_archE4294967295ELNS1_3gpuE0ELNS1_3repE0EEENS1_30default_config_static_selectorELNS0_4arch9wavefront6targetE0EEEvT1_,"axG",@progbits,_ZN7rocprim17ROCPRIM_400000_NS6detail17trampoline_kernelINS0_14default_configENS1_27scan_by_key_config_selectorIssEEZZNS1_16scan_by_key_implILNS1_25lookback_scan_determinismE0ELb0ES3_N6thrust23THRUST_200600_302600_NS6detail15normal_iteratorINS9_10device_ptrIsEEEESE_SE_sNS9_4plusIsEE19head_flag_predicatesEE10hipError_tPvRmT2_T3_T4_T5_mT6_T7_P12ihipStream_tbENKUlT_T0_E_clISt17integral_constantIbLb0EESX_IbLb1EEEEDaST_SU_EUlST_E_NS1_11comp_targetILNS1_3genE0ELNS1_11target_archE4294967295ELNS1_3gpuE0ELNS1_3repE0EEENS1_30default_config_static_selectorELNS0_4arch9wavefront6targetE0EEEvT1_,comdat
.Lfunc_end848:
	.size	_ZN7rocprim17ROCPRIM_400000_NS6detail17trampoline_kernelINS0_14default_configENS1_27scan_by_key_config_selectorIssEEZZNS1_16scan_by_key_implILNS1_25lookback_scan_determinismE0ELb0ES3_N6thrust23THRUST_200600_302600_NS6detail15normal_iteratorINS9_10device_ptrIsEEEESE_SE_sNS9_4plusIsEE19head_flag_predicatesEE10hipError_tPvRmT2_T3_T4_T5_mT6_T7_P12ihipStream_tbENKUlT_T0_E_clISt17integral_constantIbLb0EESX_IbLb1EEEEDaST_SU_EUlST_E_NS1_11comp_targetILNS1_3genE0ELNS1_11target_archE4294967295ELNS1_3gpuE0ELNS1_3repE0EEENS1_30default_config_static_selectorELNS0_4arch9wavefront6targetE0EEEvT1_, .Lfunc_end848-_ZN7rocprim17ROCPRIM_400000_NS6detail17trampoline_kernelINS0_14default_configENS1_27scan_by_key_config_selectorIssEEZZNS1_16scan_by_key_implILNS1_25lookback_scan_determinismE0ELb0ES3_N6thrust23THRUST_200600_302600_NS6detail15normal_iteratorINS9_10device_ptrIsEEEESE_SE_sNS9_4plusIsEE19head_flag_predicatesEE10hipError_tPvRmT2_T3_T4_T5_mT6_T7_P12ihipStream_tbENKUlT_T0_E_clISt17integral_constantIbLb0EESX_IbLb1EEEEDaST_SU_EUlST_E_NS1_11comp_targetILNS1_3genE0ELNS1_11target_archE4294967295ELNS1_3gpuE0ELNS1_3repE0EEENS1_30default_config_static_selectorELNS0_4arch9wavefront6targetE0EEEvT1_
                                        ; -- End function
	.set _ZN7rocprim17ROCPRIM_400000_NS6detail17trampoline_kernelINS0_14default_configENS1_27scan_by_key_config_selectorIssEEZZNS1_16scan_by_key_implILNS1_25lookback_scan_determinismE0ELb0ES3_N6thrust23THRUST_200600_302600_NS6detail15normal_iteratorINS9_10device_ptrIsEEEESE_SE_sNS9_4plusIsEE19head_flag_predicatesEE10hipError_tPvRmT2_T3_T4_T5_mT6_T7_P12ihipStream_tbENKUlT_T0_E_clISt17integral_constantIbLb0EESX_IbLb1EEEEDaST_SU_EUlST_E_NS1_11comp_targetILNS1_3genE0ELNS1_11target_archE4294967295ELNS1_3gpuE0ELNS1_3repE0EEENS1_30default_config_static_selectorELNS0_4arch9wavefront6targetE0EEEvT1_.num_vgpr, 58
	.set _ZN7rocprim17ROCPRIM_400000_NS6detail17trampoline_kernelINS0_14default_configENS1_27scan_by_key_config_selectorIssEEZZNS1_16scan_by_key_implILNS1_25lookback_scan_determinismE0ELb0ES3_N6thrust23THRUST_200600_302600_NS6detail15normal_iteratorINS9_10device_ptrIsEEEESE_SE_sNS9_4plusIsEE19head_flag_predicatesEE10hipError_tPvRmT2_T3_T4_T5_mT6_T7_P12ihipStream_tbENKUlT_T0_E_clISt17integral_constantIbLb0EESX_IbLb1EEEEDaST_SU_EUlST_E_NS1_11comp_targetILNS1_3genE0ELNS1_11target_archE4294967295ELNS1_3gpuE0ELNS1_3repE0EEENS1_30default_config_static_selectorELNS0_4arch9wavefront6targetE0EEEvT1_.num_agpr, 0
	.set _ZN7rocprim17ROCPRIM_400000_NS6detail17trampoline_kernelINS0_14default_configENS1_27scan_by_key_config_selectorIssEEZZNS1_16scan_by_key_implILNS1_25lookback_scan_determinismE0ELb0ES3_N6thrust23THRUST_200600_302600_NS6detail15normal_iteratorINS9_10device_ptrIsEEEESE_SE_sNS9_4plusIsEE19head_flag_predicatesEE10hipError_tPvRmT2_T3_T4_T5_mT6_T7_P12ihipStream_tbENKUlT_T0_E_clISt17integral_constantIbLb0EESX_IbLb1EEEEDaST_SU_EUlST_E_NS1_11comp_targetILNS1_3genE0ELNS1_11target_archE4294967295ELNS1_3gpuE0ELNS1_3repE0EEENS1_30default_config_static_selectorELNS0_4arch9wavefront6targetE0EEEvT1_.numbered_sgpr, 44
	.set _ZN7rocprim17ROCPRIM_400000_NS6detail17trampoline_kernelINS0_14default_configENS1_27scan_by_key_config_selectorIssEEZZNS1_16scan_by_key_implILNS1_25lookback_scan_determinismE0ELb0ES3_N6thrust23THRUST_200600_302600_NS6detail15normal_iteratorINS9_10device_ptrIsEEEESE_SE_sNS9_4plusIsEE19head_flag_predicatesEE10hipError_tPvRmT2_T3_T4_T5_mT6_T7_P12ihipStream_tbENKUlT_T0_E_clISt17integral_constantIbLb0EESX_IbLb1EEEEDaST_SU_EUlST_E_NS1_11comp_targetILNS1_3genE0ELNS1_11target_archE4294967295ELNS1_3gpuE0ELNS1_3repE0EEENS1_30default_config_static_selectorELNS0_4arch9wavefront6targetE0EEEvT1_.num_named_barrier, 0
	.set _ZN7rocprim17ROCPRIM_400000_NS6detail17trampoline_kernelINS0_14default_configENS1_27scan_by_key_config_selectorIssEEZZNS1_16scan_by_key_implILNS1_25lookback_scan_determinismE0ELb0ES3_N6thrust23THRUST_200600_302600_NS6detail15normal_iteratorINS9_10device_ptrIsEEEESE_SE_sNS9_4plusIsEE19head_flag_predicatesEE10hipError_tPvRmT2_T3_T4_T5_mT6_T7_P12ihipStream_tbENKUlT_T0_E_clISt17integral_constantIbLb0EESX_IbLb1EEEEDaST_SU_EUlST_E_NS1_11comp_targetILNS1_3genE0ELNS1_11target_archE4294967295ELNS1_3gpuE0ELNS1_3repE0EEENS1_30default_config_static_selectorELNS0_4arch9wavefront6targetE0EEEvT1_.private_seg_size, 0
	.set _ZN7rocprim17ROCPRIM_400000_NS6detail17trampoline_kernelINS0_14default_configENS1_27scan_by_key_config_selectorIssEEZZNS1_16scan_by_key_implILNS1_25lookback_scan_determinismE0ELb0ES3_N6thrust23THRUST_200600_302600_NS6detail15normal_iteratorINS9_10device_ptrIsEEEESE_SE_sNS9_4plusIsEE19head_flag_predicatesEE10hipError_tPvRmT2_T3_T4_T5_mT6_T7_P12ihipStream_tbENKUlT_T0_E_clISt17integral_constantIbLb0EESX_IbLb1EEEEDaST_SU_EUlST_E_NS1_11comp_targetILNS1_3genE0ELNS1_11target_archE4294967295ELNS1_3gpuE0ELNS1_3repE0EEENS1_30default_config_static_selectorELNS0_4arch9wavefront6targetE0EEEvT1_.uses_vcc, 1
	.set _ZN7rocprim17ROCPRIM_400000_NS6detail17trampoline_kernelINS0_14default_configENS1_27scan_by_key_config_selectorIssEEZZNS1_16scan_by_key_implILNS1_25lookback_scan_determinismE0ELb0ES3_N6thrust23THRUST_200600_302600_NS6detail15normal_iteratorINS9_10device_ptrIsEEEESE_SE_sNS9_4plusIsEE19head_flag_predicatesEE10hipError_tPvRmT2_T3_T4_T5_mT6_T7_P12ihipStream_tbENKUlT_T0_E_clISt17integral_constantIbLb0EESX_IbLb1EEEEDaST_SU_EUlST_E_NS1_11comp_targetILNS1_3genE0ELNS1_11target_archE4294967295ELNS1_3gpuE0ELNS1_3repE0EEENS1_30default_config_static_selectorELNS0_4arch9wavefront6targetE0EEEvT1_.uses_flat_scratch, 1
	.set _ZN7rocprim17ROCPRIM_400000_NS6detail17trampoline_kernelINS0_14default_configENS1_27scan_by_key_config_selectorIssEEZZNS1_16scan_by_key_implILNS1_25lookback_scan_determinismE0ELb0ES3_N6thrust23THRUST_200600_302600_NS6detail15normal_iteratorINS9_10device_ptrIsEEEESE_SE_sNS9_4plusIsEE19head_flag_predicatesEE10hipError_tPvRmT2_T3_T4_T5_mT6_T7_P12ihipStream_tbENKUlT_T0_E_clISt17integral_constantIbLb0EESX_IbLb1EEEEDaST_SU_EUlST_E_NS1_11comp_targetILNS1_3genE0ELNS1_11target_archE4294967295ELNS1_3gpuE0ELNS1_3repE0EEENS1_30default_config_static_selectorELNS0_4arch9wavefront6targetE0EEEvT1_.has_dyn_sized_stack, 0
	.set _ZN7rocprim17ROCPRIM_400000_NS6detail17trampoline_kernelINS0_14default_configENS1_27scan_by_key_config_selectorIssEEZZNS1_16scan_by_key_implILNS1_25lookback_scan_determinismE0ELb0ES3_N6thrust23THRUST_200600_302600_NS6detail15normal_iteratorINS9_10device_ptrIsEEEESE_SE_sNS9_4plusIsEE19head_flag_predicatesEE10hipError_tPvRmT2_T3_T4_T5_mT6_T7_P12ihipStream_tbENKUlT_T0_E_clISt17integral_constantIbLb0EESX_IbLb1EEEEDaST_SU_EUlST_E_NS1_11comp_targetILNS1_3genE0ELNS1_11target_archE4294967295ELNS1_3gpuE0ELNS1_3repE0EEENS1_30default_config_static_selectorELNS0_4arch9wavefront6targetE0EEEvT1_.has_recursion, 0
	.set _ZN7rocprim17ROCPRIM_400000_NS6detail17trampoline_kernelINS0_14default_configENS1_27scan_by_key_config_selectorIssEEZZNS1_16scan_by_key_implILNS1_25lookback_scan_determinismE0ELb0ES3_N6thrust23THRUST_200600_302600_NS6detail15normal_iteratorINS9_10device_ptrIsEEEESE_SE_sNS9_4plusIsEE19head_flag_predicatesEE10hipError_tPvRmT2_T3_T4_T5_mT6_T7_P12ihipStream_tbENKUlT_T0_E_clISt17integral_constantIbLb0EESX_IbLb1EEEEDaST_SU_EUlST_E_NS1_11comp_targetILNS1_3genE0ELNS1_11target_archE4294967295ELNS1_3gpuE0ELNS1_3repE0EEENS1_30default_config_static_selectorELNS0_4arch9wavefront6targetE0EEEvT1_.has_indirect_call, 0
	.section	.AMDGPU.csdata,"",@progbits
; Kernel info:
; codeLenInByte = 17852
; TotalNumSgprs: 46
; NumVgprs: 58
; ScratchSize: 0
; MemoryBound: 0
; FloatMode: 240
; IeeeMode: 1
; LDSByteSize: 11264 bytes/workgroup (compile time only)
; SGPRBlocks: 0
; VGPRBlocks: 3
; NumSGPRsForWavesPerEU: 46
; NumVGPRsForWavesPerEU: 58
; NamedBarCnt: 0
; Occupancy: 16
; WaveLimiterHint : 1
; COMPUTE_PGM_RSRC2:SCRATCH_EN: 0
; COMPUTE_PGM_RSRC2:USER_SGPR: 2
; COMPUTE_PGM_RSRC2:TRAP_HANDLER: 0
; COMPUTE_PGM_RSRC2:TGID_X_EN: 1
; COMPUTE_PGM_RSRC2:TGID_Y_EN: 0
; COMPUTE_PGM_RSRC2:TGID_Z_EN: 0
; COMPUTE_PGM_RSRC2:TIDIG_COMP_CNT: 0
	.section	.text._ZN7rocprim17ROCPRIM_400000_NS6detail17trampoline_kernelINS0_14default_configENS1_27scan_by_key_config_selectorIssEEZZNS1_16scan_by_key_implILNS1_25lookback_scan_determinismE0ELb0ES3_N6thrust23THRUST_200600_302600_NS6detail15normal_iteratorINS9_10device_ptrIsEEEESE_SE_sNS9_4plusIsEE19head_flag_predicatesEE10hipError_tPvRmT2_T3_T4_T5_mT6_T7_P12ihipStream_tbENKUlT_T0_E_clISt17integral_constantIbLb0EESX_IbLb1EEEEDaST_SU_EUlST_E_NS1_11comp_targetILNS1_3genE10ELNS1_11target_archE1201ELNS1_3gpuE5ELNS1_3repE0EEENS1_30default_config_static_selectorELNS0_4arch9wavefront6targetE0EEEvT1_,"axG",@progbits,_ZN7rocprim17ROCPRIM_400000_NS6detail17trampoline_kernelINS0_14default_configENS1_27scan_by_key_config_selectorIssEEZZNS1_16scan_by_key_implILNS1_25lookback_scan_determinismE0ELb0ES3_N6thrust23THRUST_200600_302600_NS6detail15normal_iteratorINS9_10device_ptrIsEEEESE_SE_sNS9_4plusIsEE19head_flag_predicatesEE10hipError_tPvRmT2_T3_T4_T5_mT6_T7_P12ihipStream_tbENKUlT_T0_E_clISt17integral_constantIbLb0EESX_IbLb1EEEEDaST_SU_EUlST_E_NS1_11comp_targetILNS1_3genE10ELNS1_11target_archE1201ELNS1_3gpuE5ELNS1_3repE0EEENS1_30default_config_static_selectorELNS0_4arch9wavefront6targetE0EEEvT1_,comdat
	.protected	_ZN7rocprim17ROCPRIM_400000_NS6detail17trampoline_kernelINS0_14default_configENS1_27scan_by_key_config_selectorIssEEZZNS1_16scan_by_key_implILNS1_25lookback_scan_determinismE0ELb0ES3_N6thrust23THRUST_200600_302600_NS6detail15normal_iteratorINS9_10device_ptrIsEEEESE_SE_sNS9_4plusIsEE19head_flag_predicatesEE10hipError_tPvRmT2_T3_T4_T5_mT6_T7_P12ihipStream_tbENKUlT_T0_E_clISt17integral_constantIbLb0EESX_IbLb1EEEEDaST_SU_EUlST_E_NS1_11comp_targetILNS1_3genE10ELNS1_11target_archE1201ELNS1_3gpuE5ELNS1_3repE0EEENS1_30default_config_static_selectorELNS0_4arch9wavefront6targetE0EEEvT1_ ; -- Begin function _ZN7rocprim17ROCPRIM_400000_NS6detail17trampoline_kernelINS0_14default_configENS1_27scan_by_key_config_selectorIssEEZZNS1_16scan_by_key_implILNS1_25lookback_scan_determinismE0ELb0ES3_N6thrust23THRUST_200600_302600_NS6detail15normal_iteratorINS9_10device_ptrIsEEEESE_SE_sNS9_4plusIsEE19head_flag_predicatesEE10hipError_tPvRmT2_T3_T4_T5_mT6_T7_P12ihipStream_tbENKUlT_T0_E_clISt17integral_constantIbLb0EESX_IbLb1EEEEDaST_SU_EUlST_E_NS1_11comp_targetILNS1_3genE10ELNS1_11target_archE1201ELNS1_3gpuE5ELNS1_3repE0EEENS1_30default_config_static_selectorELNS0_4arch9wavefront6targetE0EEEvT1_
	.globl	_ZN7rocprim17ROCPRIM_400000_NS6detail17trampoline_kernelINS0_14default_configENS1_27scan_by_key_config_selectorIssEEZZNS1_16scan_by_key_implILNS1_25lookback_scan_determinismE0ELb0ES3_N6thrust23THRUST_200600_302600_NS6detail15normal_iteratorINS9_10device_ptrIsEEEESE_SE_sNS9_4plusIsEE19head_flag_predicatesEE10hipError_tPvRmT2_T3_T4_T5_mT6_T7_P12ihipStream_tbENKUlT_T0_E_clISt17integral_constantIbLb0EESX_IbLb1EEEEDaST_SU_EUlST_E_NS1_11comp_targetILNS1_3genE10ELNS1_11target_archE1201ELNS1_3gpuE5ELNS1_3repE0EEENS1_30default_config_static_selectorELNS0_4arch9wavefront6targetE0EEEvT1_
	.p2align	8
	.type	_ZN7rocprim17ROCPRIM_400000_NS6detail17trampoline_kernelINS0_14default_configENS1_27scan_by_key_config_selectorIssEEZZNS1_16scan_by_key_implILNS1_25lookback_scan_determinismE0ELb0ES3_N6thrust23THRUST_200600_302600_NS6detail15normal_iteratorINS9_10device_ptrIsEEEESE_SE_sNS9_4plusIsEE19head_flag_predicatesEE10hipError_tPvRmT2_T3_T4_T5_mT6_T7_P12ihipStream_tbENKUlT_T0_E_clISt17integral_constantIbLb0EESX_IbLb1EEEEDaST_SU_EUlST_E_NS1_11comp_targetILNS1_3genE10ELNS1_11target_archE1201ELNS1_3gpuE5ELNS1_3repE0EEENS1_30default_config_static_selectorELNS0_4arch9wavefront6targetE0EEEvT1_,@function
_ZN7rocprim17ROCPRIM_400000_NS6detail17trampoline_kernelINS0_14default_configENS1_27scan_by_key_config_selectorIssEEZZNS1_16scan_by_key_implILNS1_25lookback_scan_determinismE0ELb0ES3_N6thrust23THRUST_200600_302600_NS6detail15normal_iteratorINS9_10device_ptrIsEEEESE_SE_sNS9_4plusIsEE19head_flag_predicatesEE10hipError_tPvRmT2_T3_T4_T5_mT6_T7_P12ihipStream_tbENKUlT_T0_E_clISt17integral_constantIbLb0EESX_IbLb1EEEEDaST_SU_EUlST_E_NS1_11comp_targetILNS1_3genE10ELNS1_11target_archE1201ELNS1_3gpuE5ELNS1_3repE0EEENS1_30default_config_static_selectorELNS0_4arch9wavefront6targetE0EEEvT1_: ; @_ZN7rocprim17ROCPRIM_400000_NS6detail17trampoline_kernelINS0_14default_configENS1_27scan_by_key_config_selectorIssEEZZNS1_16scan_by_key_implILNS1_25lookback_scan_determinismE0ELb0ES3_N6thrust23THRUST_200600_302600_NS6detail15normal_iteratorINS9_10device_ptrIsEEEESE_SE_sNS9_4plusIsEE19head_flag_predicatesEE10hipError_tPvRmT2_T3_T4_T5_mT6_T7_P12ihipStream_tbENKUlT_T0_E_clISt17integral_constantIbLb0EESX_IbLb1EEEEDaST_SU_EUlST_E_NS1_11comp_targetILNS1_3genE10ELNS1_11target_archE1201ELNS1_3gpuE5ELNS1_3repE0EEENS1_30default_config_static_selectorELNS0_4arch9wavefront6targetE0EEEvT1_
; %bb.0:
	.section	.rodata,"a",@progbits
	.p2align	6, 0x0
	.amdhsa_kernel _ZN7rocprim17ROCPRIM_400000_NS6detail17trampoline_kernelINS0_14default_configENS1_27scan_by_key_config_selectorIssEEZZNS1_16scan_by_key_implILNS1_25lookback_scan_determinismE0ELb0ES3_N6thrust23THRUST_200600_302600_NS6detail15normal_iteratorINS9_10device_ptrIsEEEESE_SE_sNS9_4plusIsEE19head_flag_predicatesEE10hipError_tPvRmT2_T3_T4_T5_mT6_T7_P12ihipStream_tbENKUlT_T0_E_clISt17integral_constantIbLb0EESX_IbLb1EEEEDaST_SU_EUlST_E_NS1_11comp_targetILNS1_3genE10ELNS1_11target_archE1201ELNS1_3gpuE5ELNS1_3repE0EEENS1_30default_config_static_selectorELNS0_4arch9wavefront6targetE0EEEvT1_
		.amdhsa_group_segment_fixed_size 0
		.amdhsa_private_segment_fixed_size 0
		.amdhsa_kernarg_size 112
		.amdhsa_user_sgpr_count 2
		.amdhsa_user_sgpr_dispatch_ptr 0
		.amdhsa_user_sgpr_queue_ptr 0
		.amdhsa_user_sgpr_kernarg_segment_ptr 1
		.amdhsa_user_sgpr_dispatch_id 0
		.amdhsa_user_sgpr_kernarg_preload_length 0
		.amdhsa_user_sgpr_kernarg_preload_offset 0
		.amdhsa_user_sgpr_private_segment_size 0
		.amdhsa_wavefront_size32 1
		.amdhsa_uses_dynamic_stack 0
		.amdhsa_enable_private_segment 0
		.amdhsa_system_sgpr_workgroup_id_x 1
		.amdhsa_system_sgpr_workgroup_id_y 0
		.amdhsa_system_sgpr_workgroup_id_z 0
		.amdhsa_system_sgpr_workgroup_info 0
		.amdhsa_system_vgpr_workitem_id 0
		.amdhsa_next_free_vgpr 1
		.amdhsa_next_free_sgpr 1
		.amdhsa_named_barrier_count 0
		.amdhsa_reserve_vcc 0
		.amdhsa_float_round_mode_32 0
		.amdhsa_float_round_mode_16_64 0
		.amdhsa_float_denorm_mode_32 3
		.amdhsa_float_denorm_mode_16_64 3
		.amdhsa_fp16_overflow 0
		.amdhsa_memory_ordered 1
		.amdhsa_forward_progress 1
		.amdhsa_inst_pref_size 0
		.amdhsa_round_robin_scheduling 0
		.amdhsa_exception_fp_ieee_invalid_op 0
		.amdhsa_exception_fp_denorm_src 0
		.amdhsa_exception_fp_ieee_div_zero 0
		.amdhsa_exception_fp_ieee_overflow 0
		.amdhsa_exception_fp_ieee_underflow 0
		.amdhsa_exception_fp_ieee_inexact 0
		.amdhsa_exception_int_div_zero 0
	.end_amdhsa_kernel
	.section	.text._ZN7rocprim17ROCPRIM_400000_NS6detail17trampoline_kernelINS0_14default_configENS1_27scan_by_key_config_selectorIssEEZZNS1_16scan_by_key_implILNS1_25lookback_scan_determinismE0ELb0ES3_N6thrust23THRUST_200600_302600_NS6detail15normal_iteratorINS9_10device_ptrIsEEEESE_SE_sNS9_4plusIsEE19head_flag_predicatesEE10hipError_tPvRmT2_T3_T4_T5_mT6_T7_P12ihipStream_tbENKUlT_T0_E_clISt17integral_constantIbLb0EESX_IbLb1EEEEDaST_SU_EUlST_E_NS1_11comp_targetILNS1_3genE10ELNS1_11target_archE1201ELNS1_3gpuE5ELNS1_3repE0EEENS1_30default_config_static_selectorELNS0_4arch9wavefront6targetE0EEEvT1_,"axG",@progbits,_ZN7rocprim17ROCPRIM_400000_NS6detail17trampoline_kernelINS0_14default_configENS1_27scan_by_key_config_selectorIssEEZZNS1_16scan_by_key_implILNS1_25lookback_scan_determinismE0ELb0ES3_N6thrust23THRUST_200600_302600_NS6detail15normal_iteratorINS9_10device_ptrIsEEEESE_SE_sNS9_4plusIsEE19head_flag_predicatesEE10hipError_tPvRmT2_T3_T4_T5_mT6_T7_P12ihipStream_tbENKUlT_T0_E_clISt17integral_constantIbLb0EESX_IbLb1EEEEDaST_SU_EUlST_E_NS1_11comp_targetILNS1_3genE10ELNS1_11target_archE1201ELNS1_3gpuE5ELNS1_3repE0EEENS1_30default_config_static_selectorELNS0_4arch9wavefront6targetE0EEEvT1_,comdat
.Lfunc_end849:
	.size	_ZN7rocprim17ROCPRIM_400000_NS6detail17trampoline_kernelINS0_14default_configENS1_27scan_by_key_config_selectorIssEEZZNS1_16scan_by_key_implILNS1_25lookback_scan_determinismE0ELb0ES3_N6thrust23THRUST_200600_302600_NS6detail15normal_iteratorINS9_10device_ptrIsEEEESE_SE_sNS9_4plusIsEE19head_flag_predicatesEE10hipError_tPvRmT2_T3_T4_T5_mT6_T7_P12ihipStream_tbENKUlT_T0_E_clISt17integral_constantIbLb0EESX_IbLb1EEEEDaST_SU_EUlST_E_NS1_11comp_targetILNS1_3genE10ELNS1_11target_archE1201ELNS1_3gpuE5ELNS1_3repE0EEENS1_30default_config_static_selectorELNS0_4arch9wavefront6targetE0EEEvT1_, .Lfunc_end849-_ZN7rocprim17ROCPRIM_400000_NS6detail17trampoline_kernelINS0_14default_configENS1_27scan_by_key_config_selectorIssEEZZNS1_16scan_by_key_implILNS1_25lookback_scan_determinismE0ELb0ES3_N6thrust23THRUST_200600_302600_NS6detail15normal_iteratorINS9_10device_ptrIsEEEESE_SE_sNS9_4plusIsEE19head_flag_predicatesEE10hipError_tPvRmT2_T3_T4_T5_mT6_T7_P12ihipStream_tbENKUlT_T0_E_clISt17integral_constantIbLb0EESX_IbLb1EEEEDaST_SU_EUlST_E_NS1_11comp_targetILNS1_3genE10ELNS1_11target_archE1201ELNS1_3gpuE5ELNS1_3repE0EEENS1_30default_config_static_selectorELNS0_4arch9wavefront6targetE0EEEvT1_
                                        ; -- End function
	.set _ZN7rocprim17ROCPRIM_400000_NS6detail17trampoline_kernelINS0_14default_configENS1_27scan_by_key_config_selectorIssEEZZNS1_16scan_by_key_implILNS1_25lookback_scan_determinismE0ELb0ES3_N6thrust23THRUST_200600_302600_NS6detail15normal_iteratorINS9_10device_ptrIsEEEESE_SE_sNS9_4plusIsEE19head_flag_predicatesEE10hipError_tPvRmT2_T3_T4_T5_mT6_T7_P12ihipStream_tbENKUlT_T0_E_clISt17integral_constantIbLb0EESX_IbLb1EEEEDaST_SU_EUlST_E_NS1_11comp_targetILNS1_3genE10ELNS1_11target_archE1201ELNS1_3gpuE5ELNS1_3repE0EEENS1_30default_config_static_selectorELNS0_4arch9wavefront6targetE0EEEvT1_.num_vgpr, 0
	.set _ZN7rocprim17ROCPRIM_400000_NS6detail17trampoline_kernelINS0_14default_configENS1_27scan_by_key_config_selectorIssEEZZNS1_16scan_by_key_implILNS1_25lookback_scan_determinismE0ELb0ES3_N6thrust23THRUST_200600_302600_NS6detail15normal_iteratorINS9_10device_ptrIsEEEESE_SE_sNS9_4plusIsEE19head_flag_predicatesEE10hipError_tPvRmT2_T3_T4_T5_mT6_T7_P12ihipStream_tbENKUlT_T0_E_clISt17integral_constantIbLb0EESX_IbLb1EEEEDaST_SU_EUlST_E_NS1_11comp_targetILNS1_3genE10ELNS1_11target_archE1201ELNS1_3gpuE5ELNS1_3repE0EEENS1_30default_config_static_selectorELNS0_4arch9wavefront6targetE0EEEvT1_.num_agpr, 0
	.set _ZN7rocprim17ROCPRIM_400000_NS6detail17trampoline_kernelINS0_14default_configENS1_27scan_by_key_config_selectorIssEEZZNS1_16scan_by_key_implILNS1_25lookback_scan_determinismE0ELb0ES3_N6thrust23THRUST_200600_302600_NS6detail15normal_iteratorINS9_10device_ptrIsEEEESE_SE_sNS9_4plusIsEE19head_flag_predicatesEE10hipError_tPvRmT2_T3_T4_T5_mT6_T7_P12ihipStream_tbENKUlT_T0_E_clISt17integral_constantIbLb0EESX_IbLb1EEEEDaST_SU_EUlST_E_NS1_11comp_targetILNS1_3genE10ELNS1_11target_archE1201ELNS1_3gpuE5ELNS1_3repE0EEENS1_30default_config_static_selectorELNS0_4arch9wavefront6targetE0EEEvT1_.numbered_sgpr, 0
	.set _ZN7rocprim17ROCPRIM_400000_NS6detail17trampoline_kernelINS0_14default_configENS1_27scan_by_key_config_selectorIssEEZZNS1_16scan_by_key_implILNS1_25lookback_scan_determinismE0ELb0ES3_N6thrust23THRUST_200600_302600_NS6detail15normal_iteratorINS9_10device_ptrIsEEEESE_SE_sNS9_4plusIsEE19head_flag_predicatesEE10hipError_tPvRmT2_T3_T4_T5_mT6_T7_P12ihipStream_tbENKUlT_T0_E_clISt17integral_constantIbLb0EESX_IbLb1EEEEDaST_SU_EUlST_E_NS1_11comp_targetILNS1_3genE10ELNS1_11target_archE1201ELNS1_3gpuE5ELNS1_3repE0EEENS1_30default_config_static_selectorELNS0_4arch9wavefront6targetE0EEEvT1_.num_named_barrier, 0
	.set _ZN7rocprim17ROCPRIM_400000_NS6detail17trampoline_kernelINS0_14default_configENS1_27scan_by_key_config_selectorIssEEZZNS1_16scan_by_key_implILNS1_25lookback_scan_determinismE0ELb0ES3_N6thrust23THRUST_200600_302600_NS6detail15normal_iteratorINS9_10device_ptrIsEEEESE_SE_sNS9_4plusIsEE19head_flag_predicatesEE10hipError_tPvRmT2_T3_T4_T5_mT6_T7_P12ihipStream_tbENKUlT_T0_E_clISt17integral_constantIbLb0EESX_IbLb1EEEEDaST_SU_EUlST_E_NS1_11comp_targetILNS1_3genE10ELNS1_11target_archE1201ELNS1_3gpuE5ELNS1_3repE0EEENS1_30default_config_static_selectorELNS0_4arch9wavefront6targetE0EEEvT1_.private_seg_size, 0
	.set _ZN7rocprim17ROCPRIM_400000_NS6detail17trampoline_kernelINS0_14default_configENS1_27scan_by_key_config_selectorIssEEZZNS1_16scan_by_key_implILNS1_25lookback_scan_determinismE0ELb0ES3_N6thrust23THRUST_200600_302600_NS6detail15normal_iteratorINS9_10device_ptrIsEEEESE_SE_sNS9_4plusIsEE19head_flag_predicatesEE10hipError_tPvRmT2_T3_T4_T5_mT6_T7_P12ihipStream_tbENKUlT_T0_E_clISt17integral_constantIbLb0EESX_IbLb1EEEEDaST_SU_EUlST_E_NS1_11comp_targetILNS1_3genE10ELNS1_11target_archE1201ELNS1_3gpuE5ELNS1_3repE0EEENS1_30default_config_static_selectorELNS0_4arch9wavefront6targetE0EEEvT1_.uses_vcc, 0
	.set _ZN7rocprim17ROCPRIM_400000_NS6detail17trampoline_kernelINS0_14default_configENS1_27scan_by_key_config_selectorIssEEZZNS1_16scan_by_key_implILNS1_25lookback_scan_determinismE0ELb0ES3_N6thrust23THRUST_200600_302600_NS6detail15normal_iteratorINS9_10device_ptrIsEEEESE_SE_sNS9_4plusIsEE19head_flag_predicatesEE10hipError_tPvRmT2_T3_T4_T5_mT6_T7_P12ihipStream_tbENKUlT_T0_E_clISt17integral_constantIbLb0EESX_IbLb1EEEEDaST_SU_EUlST_E_NS1_11comp_targetILNS1_3genE10ELNS1_11target_archE1201ELNS1_3gpuE5ELNS1_3repE0EEENS1_30default_config_static_selectorELNS0_4arch9wavefront6targetE0EEEvT1_.uses_flat_scratch, 0
	.set _ZN7rocprim17ROCPRIM_400000_NS6detail17trampoline_kernelINS0_14default_configENS1_27scan_by_key_config_selectorIssEEZZNS1_16scan_by_key_implILNS1_25lookback_scan_determinismE0ELb0ES3_N6thrust23THRUST_200600_302600_NS6detail15normal_iteratorINS9_10device_ptrIsEEEESE_SE_sNS9_4plusIsEE19head_flag_predicatesEE10hipError_tPvRmT2_T3_T4_T5_mT6_T7_P12ihipStream_tbENKUlT_T0_E_clISt17integral_constantIbLb0EESX_IbLb1EEEEDaST_SU_EUlST_E_NS1_11comp_targetILNS1_3genE10ELNS1_11target_archE1201ELNS1_3gpuE5ELNS1_3repE0EEENS1_30default_config_static_selectorELNS0_4arch9wavefront6targetE0EEEvT1_.has_dyn_sized_stack, 0
	.set _ZN7rocprim17ROCPRIM_400000_NS6detail17trampoline_kernelINS0_14default_configENS1_27scan_by_key_config_selectorIssEEZZNS1_16scan_by_key_implILNS1_25lookback_scan_determinismE0ELb0ES3_N6thrust23THRUST_200600_302600_NS6detail15normal_iteratorINS9_10device_ptrIsEEEESE_SE_sNS9_4plusIsEE19head_flag_predicatesEE10hipError_tPvRmT2_T3_T4_T5_mT6_T7_P12ihipStream_tbENKUlT_T0_E_clISt17integral_constantIbLb0EESX_IbLb1EEEEDaST_SU_EUlST_E_NS1_11comp_targetILNS1_3genE10ELNS1_11target_archE1201ELNS1_3gpuE5ELNS1_3repE0EEENS1_30default_config_static_selectorELNS0_4arch9wavefront6targetE0EEEvT1_.has_recursion, 0
	.set _ZN7rocprim17ROCPRIM_400000_NS6detail17trampoline_kernelINS0_14default_configENS1_27scan_by_key_config_selectorIssEEZZNS1_16scan_by_key_implILNS1_25lookback_scan_determinismE0ELb0ES3_N6thrust23THRUST_200600_302600_NS6detail15normal_iteratorINS9_10device_ptrIsEEEESE_SE_sNS9_4plusIsEE19head_flag_predicatesEE10hipError_tPvRmT2_T3_T4_T5_mT6_T7_P12ihipStream_tbENKUlT_T0_E_clISt17integral_constantIbLb0EESX_IbLb1EEEEDaST_SU_EUlST_E_NS1_11comp_targetILNS1_3genE10ELNS1_11target_archE1201ELNS1_3gpuE5ELNS1_3repE0EEENS1_30default_config_static_selectorELNS0_4arch9wavefront6targetE0EEEvT1_.has_indirect_call, 0
	.section	.AMDGPU.csdata,"",@progbits
; Kernel info:
; codeLenInByte = 0
; TotalNumSgprs: 0
; NumVgprs: 0
; ScratchSize: 0
; MemoryBound: 0
; FloatMode: 240
; IeeeMode: 1
; LDSByteSize: 0 bytes/workgroup (compile time only)
; SGPRBlocks: 0
; VGPRBlocks: 0
; NumSGPRsForWavesPerEU: 1
; NumVGPRsForWavesPerEU: 1
; NamedBarCnt: 0
; Occupancy: 16
; WaveLimiterHint : 0
; COMPUTE_PGM_RSRC2:SCRATCH_EN: 0
; COMPUTE_PGM_RSRC2:USER_SGPR: 2
; COMPUTE_PGM_RSRC2:TRAP_HANDLER: 0
; COMPUTE_PGM_RSRC2:TGID_X_EN: 1
; COMPUTE_PGM_RSRC2:TGID_Y_EN: 0
; COMPUTE_PGM_RSRC2:TGID_Z_EN: 0
; COMPUTE_PGM_RSRC2:TIDIG_COMP_CNT: 0
	.section	.text._ZN7rocprim17ROCPRIM_400000_NS6detail17trampoline_kernelINS0_14default_configENS1_27scan_by_key_config_selectorIssEEZZNS1_16scan_by_key_implILNS1_25lookback_scan_determinismE0ELb0ES3_N6thrust23THRUST_200600_302600_NS6detail15normal_iteratorINS9_10device_ptrIsEEEESE_SE_sNS9_4plusIsEE19head_flag_predicatesEE10hipError_tPvRmT2_T3_T4_T5_mT6_T7_P12ihipStream_tbENKUlT_T0_E_clISt17integral_constantIbLb0EESX_IbLb1EEEEDaST_SU_EUlST_E_NS1_11comp_targetILNS1_3genE5ELNS1_11target_archE942ELNS1_3gpuE9ELNS1_3repE0EEENS1_30default_config_static_selectorELNS0_4arch9wavefront6targetE0EEEvT1_,"axG",@progbits,_ZN7rocprim17ROCPRIM_400000_NS6detail17trampoline_kernelINS0_14default_configENS1_27scan_by_key_config_selectorIssEEZZNS1_16scan_by_key_implILNS1_25lookback_scan_determinismE0ELb0ES3_N6thrust23THRUST_200600_302600_NS6detail15normal_iteratorINS9_10device_ptrIsEEEESE_SE_sNS9_4plusIsEE19head_flag_predicatesEE10hipError_tPvRmT2_T3_T4_T5_mT6_T7_P12ihipStream_tbENKUlT_T0_E_clISt17integral_constantIbLb0EESX_IbLb1EEEEDaST_SU_EUlST_E_NS1_11comp_targetILNS1_3genE5ELNS1_11target_archE942ELNS1_3gpuE9ELNS1_3repE0EEENS1_30default_config_static_selectorELNS0_4arch9wavefront6targetE0EEEvT1_,comdat
	.protected	_ZN7rocprim17ROCPRIM_400000_NS6detail17trampoline_kernelINS0_14default_configENS1_27scan_by_key_config_selectorIssEEZZNS1_16scan_by_key_implILNS1_25lookback_scan_determinismE0ELb0ES3_N6thrust23THRUST_200600_302600_NS6detail15normal_iteratorINS9_10device_ptrIsEEEESE_SE_sNS9_4plusIsEE19head_flag_predicatesEE10hipError_tPvRmT2_T3_T4_T5_mT6_T7_P12ihipStream_tbENKUlT_T0_E_clISt17integral_constantIbLb0EESX_IbLb1EEEEDaST_SU_EUlST_E_NS1_11comp_targetILNS1_3genE5ELNS1_11target_archE942ELNS1_3gpuE9ELNS1_3repE0EEENS1_30default_config_static_selectorELNS0_4arch9wavefront6targetE0EEEvT1_ ; -- Begin function _ZN7rocprim17ROCPRIM_400000_NS6detail17trampoline_kernelINS0_14default_configENS1_27scan_by_key_config_selectorIssEEZZNS1_16scan_by_key_implILNS1_25lookback_scan_determinismE0ELb0ES3_N6thrust23THRUST_200600_302600_NS6detail15normal_iteratorINS9_10device_ptrIsEEEESE_SE_sNS9_4plusIsEE19head_flag_predicatesEE10hipError_tPvRmT2_T3_T4_T5_mT6_T7_P12ihipStream_tbENKUlT_T0_E_clISt17integral_constantIbLb0EESX_IbLb1EEEEDaST_SU_EUlST_E_NS1_11comp_targetILNS1_3genE5ELNS1_11target_archE942ELNS1_3gpuE9ELNS1_3repE0EEENS1_30default_config_static_selectorELNS0_4arch9wavefront6targetE0EEEvT1_
	.globl	_ZN7rocprim17ROCPRIM_400000_NS6detail17trampoline_kernelINS0_14default_configENS1_27scan_by_key_config_selectorIssEEZZNS1_16scan_by_key_implILNS1_25lookback_scan_determinismE0ELb0ES3_N6thrust23THRUST_200600_302600_NS6detail15normal_iteratorINS9_10device_ptrIsEEEESE_SE_sNS9_4plusIsEE19head_flag_predicatesEE10hipError_tPvRmT2_T3_T4_T5_mT6_T7_P12ihipStream_tbENKUlT_T0_E_clISt17integral_constantIbLb0EESX_IbLb1EEEEDaST_SU_EUlST_E_NS1_11comp_targetILNS1_3genE5ELNS1_11target_archE942ELNS1_3gpuE9ELNS1_3repE0EEENS1_30default_config_static_selectorELNS0_4arch9wavefront6targetE0EEEvT1_
	.p2align	8
	.type	_ZN7rocprim17ROCPRIM_400000_NS6detail17trampoline_kernelINS0_14default_configENS1_27scan_by_key_config_selectorIssEEZZNS1_16scan_by_key_implILNS1_25lookback_scan_determinismE0ELb0ES3_N6thrust23THRUST_200600_302600_NS6detail15normal_iteratorINS9_10device_ptrIsEEEESE_SE_sNS9_4plusIsEE19head_flag_predicatesEE10hipError_tPvRmT2_T3_T4_T5_mT6_T7_P12ihipStream_tbENKUlT_T0_E_clISt17integral_constantIbLb0EESX_IbLb1EEEEDaST_SU_EUlST_E_NS1_11comp_targetILNS1_3genE5ELNS1_11target_archE942ELNS1_3gpuE9ELNS1_3repE0EEENS1_30default_config_static_selectorELNS0_4arch9wavefront6targetE0EEEvT1_,@function
_ZN7rocprim17ROCPRIM_400000_NS6detail17trampoline_kernelINS0_14default_configENS1_27scan_by_key_config_selectorIssEEZZNS1_16scan_by_key_implILNS1_25lookback_scan_determinismE0ELb0ES3_N6thrust23THRUST_200600_302600_NS6detail15normal_iteratorINS9_10device_ptrIsEEEESE_SE_sNS9_4plusIsEE19head_flag_predicatesEE10hipError_tPvRmT2_T3_T4_T5_mT6_T7_P12ihipStream_tbENKUlT_T0_E_clISt17integral_constantIbLb0EESX_IbLb1EEEEDaST_SU_EUlST_E_NS1_11comp_targetILNS1_3genE5ELNS1_11target_archE942ELNS1_3gpuE9ELNS1_3repE0EEENS1_30default_config_static_selectorELNS0_4arch9wavefront6targetE0EEEvT1_: ; @_ZN7rocprim17ROCPRIM_400000_NS6detail17trampoline_kernelINS0_14default_configENS1_27scan_by_key_config_selectorIssEEZZNS1_16scan_by_key_implILNS1_25lookback_scan_determinismE0ELb0ES3_N6thrust23THRUST_200600_302600_NS6detail15normal_iteratorINS9_10device_ptrIsEEEESE_SE_sNS9_4plusIsEE19head_flag_predicatesEE10hipError_tPvRmT2_T3_T4_T5_mT6_T7_P12ihipStream_tbENKUlT_T0_E_clISt17integral_constantIbLb0EESX_IbLb1EEEEDaST_SU_EUlST_E_NS1_11comp_targetILNS1_3genE5ELNS1_11target_archE942ELNS1_3gpuE9ELNS1_3repE0EEENS1_30default_config_static_selectorELNS0_4arch9wavefront6targetE0EEEvT1_
; %bb.0:
	.section	.rodata,"a",@progbits
	.p2align	6, 0x0
	.amdhsa_kernel _ZN7rocprim17ROCPRIM_400000_NS6detail17trampoline_kernelINS0_14default_configENS1_27scan_by_key_config_selectorIssEEZZNS1_16scan_by_key_implILNS1_25lookback_scan_determinismE0ELb0ES3_N6thrust23THRUST_200600_302600_NS6detail15normal_iteratorINS9_10device_ptrIsEEEESE_SE_sNS9_4plusIsEE19head_flag_predicatesEE10hipError_tPvRmT2_T3_T4_T5_mT6_T7_P12ihipStream_tbENKUlT_T0_E_clISt17integral_constantIbLb0EESX_IbLb1EEEEDaST_SU_EUlST_E_NS1_11comp_targetILNS1_3genE5ELNS1_11target_archE942ELNS1_3gpuE9ELNS1_3repE0EEENS1_30default_config_static_selectorELNS0_4arch9wavefront6targetE0EEEvT1_
		.amdhsa_group_segment_fixed_size 0
		.amdhsa_private_segment_fixed_size 0
		.amdhsa_kernarg_size 112
		.amdhsa_user_sgpr_count 2
		.amdhsa_user_sgpr_dispatch_ptr 0
		.amdhsa_user_sgpr_queue_ptr 0
		.amdhsa_user_sgpr_kernarg_segment_ptr 1
		.amdhsa_user_sgpr_dispatch_id 0
		.amdhsa_user_sgpr_kernarg_preload_length 0
		.amdhsa_user_sgpr_kernarg_preload_offset 0
		.amdhsa_user_sgpr_private_segment_size 0
		.amdhsa_wavefront_size32 1
		.amdhsa_uses_dynamic_stack 0
		.amdhsa_enable_private_segment 0
		.amdhsa_system_sgpr_workgroup_id_x 1
		.amdhsa_system_sgpr_workgroup_id_y 0
		.amdhsa_system_sgpr_workgroup_id_z 0
		.amdhsa_system_sgpr_workgroup_info 0
		.amdhsa_system_vgpr_workitem_id 0
		.amdhsa_next_free_vgpr 1
		.amdhsa_next_free_sgpr 1
		.amdhsa_named_barrier_count 0
		.amdhsa_reserve_vcc 0
		.amdhsa_float_round_mode_32 0
		.amdhsa_float_round_mode_16_64 0
		.amdhsa_float_denorm_mode_32 3
		.amdhsa_float_denorm_mode_16_64 3
		.amdhsa_fp16_overflow 0
		.amdhsa_memory_ordered 1
		.amdhsa_forward_progress 1
		.amdhsa_inst_pref_size 0
		.amdhsa_round_robin_scheduling 0
		.amdhsa_exception_fp_ieee_invalid_op 0
		.amdhsa_exception_fp_denorm_src 0
		.amdhsa_exception_fp_ieee_div_zero 0
		.amdhsa_exception_fp_ieee_overflow 0
		.amdhsa_exception_fp_ieee_underflow 0
		.amdhsa_exception_fp_ieee_inexact 0
		.amdhsa_exception_int_div_zero 0
	.end_amdhsa_kernel
	.section	.text._ZN7rocprim17ROCPRIM_400000_NS6detail17trampoline_kernelINS0_14default_configENS1_27scan_by_key_config_selectorIssEEZZNS1_16scan_by_key_implILNS1_25lookback_scan_determinismE0ELb0ES3_N6thrust23THRUST_200600_302600_NS6detail15normal_iteratorINS9_10device_ptrIsEEEESE_SE_sNS9_4plusIsEE19head_flag_predicatesEE10hipError_tPvRmT2_T3_T4_T5_mT6_T7_P12ihipStream_tbENKUlT_T0_E_clISt17integral_constantIbLb0EESX_IbLb1EEEEDaST_SU_EUlST_E_NS1_11comp_targetILNS1_3genE5ELNS1_11target_archE942ELNS1_3gpuE9ELNS1_3repE0EEENS1_30default_config_static_selectorELNS0_4arch9wavefront6targetE0EEEvT1_,"axG",@progbits,_ZN7rocprim17ROCPRIM_400000_NS6detail17trampoline_kernelINS0_14default_configENS1_27scan_by_key_config_selectorIssEEZZNS1_16scan_by_key_implILNS1_25lookback_scan_determinismE0ELb0ES3_N6thrust23THRUST_200600_302600_NS6detail15normal_iteratorINS9_10device_ptrIsEEEESE_SE_sNS9_4plusIsEE19head_flag_predicatesEE10hipError_tPvRmT2_T3_T4_T5_mT6_T7_P12ihipStream_tbENKUlT_T0_E_clISt17integral_constantIbLb0EESX_IbLb1EEEEDaST_SU_EUlST_E_NS1_11comp_targetILNS1_3genE5ELNS1_11target_archE942ELNS1_3gpuE9ELNS1_3repE0EEENS1_30default_config_static_selectorELNS0_4arch9wavefront6targetE0EEEvT1_,comdat
.Lfunc_end850:
	.size	_ZN7rocprim17ROCPRIM_400000_NS6detail17trampoline_kernelINS0_14default_configENS1_27scan_by_key_config_selectorIssEEZZNS1_16scan_by_key_implILNS1_25lookback_scan_determinismE0ELb0ES3_N6thrust23THRUST_200600_302600_NS6detail15normal_iteratorINS9_10device_ptrIsEEEESE_SE_sNS9_4plusIsEE19head_flag_predicatesEE10hipError_tPvRmT2_T3_T4_T5_mT6_T7_P12ihipStream_tbENKUlT_T0_E_clISt17integral_constantIbLb0EESX_IbLb1EEEEDaST_SU_EUlST_E_NS1_11comp_targetILNS1_3genE5ELNS1_11target_archE942ELNS1_3gpuE9ELNS1_3repE0EEENS1_30default_config_static_selectorELNS0_4arch9wavefront6targetE0EEEvT1_, .Lfunc_end850-_ZN7rocprim17ROCPRIM_400000_NS6detail17trampoline_kernelINS0_14default_configENS1_27scan_by_key_config_selectorIssEEZZNS1_16scan_by_key_implILNS1_25lookback_scan_determinismE0ELb0ES3_N6thrust23THRUST_200600_302600_NS6detail15normal_iteratorINS9_10device_ptrIsEEEESE_SE_sNS9_4plusIsEE19head_flag_predicatesEE10hipError_tPvRmT2_T3_T4_T5_mT6_T7_P12ihipStream_tbENKUlT_T0_E_clISt17integral_constantIbLb0EESX_IbLb1EEEEDaST_SU_EUlST_E_NS1_11comp_targetILNS1_3genE5ELNS1_11target_archE942ELNS1_3gpuE9ELNS1_3repE0EEENS1_30default_config_static_selectorELNS0_4arch9wavefront6targetE0EEEvT1_
                                        ; -- End function
	.set _ZN7rocprim17ROCPRIM_400000_NS6detail17trampoline_kernelINS0_14default_configENS1_27scan_by_key_config_selectorIssEEZZNS1_16scan_by_key_implILNS1_25lookback_scan_determinismE0ELb0ES3_N6thrust23THRUST_200600_302600_NS6detail15normal_iteratorINS9_10device_ptrIsEEEESE_SE_sNS9_4plusIsEE19head_flag_predicatesEE10hipError_tPvRmT2_T3_T4_T5_mT6_T7_P12ihipStream_tbENKUlT_T0_E_clISt17integral_constantIbLb0EESX_IbLb1EEEEDaST_SU_EUlST_E_NS1_11comp_targetILNS1_3genE5ELNS1_11target_archE942ELNS1_3gpuE9ELNS1_3repE0EEENS1_30default_config_static_selectorELNS0_4arch9wavefront6targetE0EEEvT1_.num_vgpr, 0
	.set _ZN7rocprim17ROCPRIM_400000_NS6detail17trampoline_kernelINS0_14default_configENS1_27scan_by_key_config_selectorIssEEZZNS1_16scan_by_key_implILNS1_25lookback_scan_determinismE0ELb0ES3_N6thrust23THRUST_200600_302600_NS6detail15normal_iteratorINS9_10device_ptrIsEEEESE_SE_sNS9_4plusIsEE19head_flag_predicatesEE10hipError_tPvRmT2_T3_T4_T5_mT6_T7_P12ihipStream_tbENKUlT_T0_E_clISt17integral_constantIbLb0EESX_IbLb1EEEEDaST_SU_EUlST_E_NS1_11comp_targetILNS1_3genE5ELNS1_11target_archE942ELNS1_3gpuE9ELNS1_3repE0EEENS1_30default_config_static_selectorELNS0_4arch9wavefront6targetE0EEEvT1_.num_agpr, 0
	.set _ZN7rocprim17ROCPRIM_400000_NS6detail17trampoline_kernelINS0_14default_configENS1_27scan_by_key_config_selectorIssEEZZNS1_16scan_by_key_implILNS1_25lookback_scan_determinismE0ELb0ES3_N6thrust23THRUST_200600_302600_NS6detail15normal_iteratorINS9_10device_ptrIsEEEESE_SE_sNS9_4plusIsEE19head_flag_predicatesEE10hipError_tPvRmT2_T3_T4_T5_mT6_T7_P12ihipStream_tbENKUlT_T0_E_clISt17integral_constantIbLb0EESX_IbLb1EEEEDaST_SU_EUlST_E_NS1_11comp_targetILNS1_3genE5ELNS1_11target_archE942ELNS1_3gpuE9ELNS1_3repE0EEENS1_30default_config_static_selectorELNS0_4arch9wavefront6targetE0EEEvT1_.numbered_sgpr, 0
	.set _ZN7rocprim17ROCPRIM_400000_NS6detail17trampoline_kernelINS0_14default_configENS1_27scan_by_key_config_selectorIssEEZZNS1_16scan_by_key_implILNS1_25lookback_scan_determinismE0ELb0ES3_N6thrust23THRUST_200600_302600_NS6detail15normal_iteratorINS9_10device_ptrIsEEEESE_SE_sNS9_4plusIsEE19head_flag_predicatesEE10hipError_tPvRmT2_T3_T4_T5_mT6_T7_P12ihipStream_tbENKUlT_T0_E_clISt17integral_constantIbLb0EESX_IbLb1EEEEDaST_SU_EUlST_E_NS1_11comp_targetILNS1_3genE5ELNS1_11target_archE942ELNS1_3gpuE9ELNS1_3repE0EEENS1_30default_config_static_selectorELNS0_4arch9wavefront6targetE0EEEvT1_.num_named_barrier, 0
	.set _ZN7rocprim17ROCPRIM_400000_NS6detail17trampoline_kernelINS0_14default_configENS1_27scan_by_key_config_selectorIssEEZZNS1_16scan_by_key_implILNS1_25lookback_scan_determinismE0ELb0ES3_N6thrust23THRUST_200600_302600_NS6detail15normal_iteratorINS9_10device_ptrIsEEEESE_SE_sNS9_4plusIsEE19head_flag_predicatesEE10hipError_tPvRmT2_T3_T4_T5_mT6_T7_P12ihipStream_tbENKUlT_T0_E_clISt17integral_constantIbLb0EESX_IbLb1EEEEDaST_SU_EUlST_E_NS1_11comp_targetILNS1_3genE5ELNS1_11target_archE942ELNS1_3gpuE9ELNS1_3repE0EEENS1_30default_config_static_selectorELNS0_4arch9wavefront6targetE0EEEvT1_.private_seg_size, 0
	.set _ZN7rocprim17ROCPRIM_400000_NS6detail17trampoline_kernelINS0_14default_configENS1_27scan_by_key_config_selectorIssEEZZNS1_16scan_by_key_implILNS1_25lookback_scan_determinismE0ELb0ES3_N6thrust23THRUST_200600_302600_NS6detail15normal_iteratorINS9_10device_ptrIsEEEESE_SE_sNS9_4plusIsEE19head_flag_predicatesEE10hipError_tPvRmT2_T3_T4_T5_mT6_T7_P12ihipStream_tbENKUlT_T0_E_clISt17integral_constantIbLb0EESX_IbLb1EEEEDaST_SU_EUlST_E_NS1_11comp_targetILNS1_3genE5ELNS1_11target_archE942ELNS1_3gpuE9ELNS1_3repE0EEENS1_30default_config_static_selectorELNS0_4arch9wavefront6targetE0EEEvT1_.uses_vcc, 0
	.set _ZN7rocprim17ROCPRIM_400000_NS6detail17trampoline_kernelINS0_14default_configENS1_27scan_by_key_config_selectorIssEEZZNS1_16scan_by_key_implILNS1_25lookback_scan_determinismE0ELb0ES3_N6thrust23THRUST_200600_302600_NS6detail15normal_iteratorINS9_10device_ptrIsEEEESE_SE_sNS9_4plusIsEE19head_flag_predicatesEE10hipError_tPvRmT2_T3_T4_T5_mT6_T7_P12ihipStream_tbENKUlT_T0_E_clISt17integral_constantIbLb0EESX_IbLb1EEEEDaST_SU_EUlST_E_NS1_11comp_targetILNS1_3genE5ELNS1_11target_archE942ELNS1_3gpuE9ELNS1_3repE0EEENS1_30default_config_static_selectorELNS0_4arch9wavefront6targetE0EEEvT1_.uses_flat_scratch, 0
	.set _ZN7rocprim17ROCPRIM_400000_NS6detail17trampoline_kernelINS0_14default_configENS1_27scan_by_key_config_selectorIssEEZZNS1_16scan_by_key_implILNS1_25lookback_scan_determinismE0ELb0ES3_N6thrust23THRUST_200600_302600_NS6detail15normal_iteratorINS9_10device_ptrIsEEEESE_SE_sNS9_4plusIsEE19head_flag_predicatesEE10hipError_tPvRmT2_T3_T4_T5_mT6_T7_P12ihipStream_tbENKUlT_T0_E_clISt17integral_constantIbLb0EESX_IbLb1EEEEDaST_SU_EUlST_E_NS1_11comp_targetILNS1_3genE5ELNS1_11target_archE942ELNS1_3gpuE9ELNS1_3repE0EEENS1_30default_config_static_selectorELNS0_4arch9wavefront6targetE0EEEvT1_.has_dyn_sized_stack, 0
	.set _ZN7rocprim17ROCPRIM_400000_NS6detail17trampoline_kernelINS0_14default_configENS1_27scan_by_key_config_selectorIssEEZZNS1_16scan_by_key_implILNS1_25lookback_scan_determinismE0ELb0ES3_N6thrust23THRUST_200600_302600_NS6detail15normal_iteratorINS9_10device_ptrIsEEEESE_SE_sNS9_4plusIsEE19head_flag_predicatesEE10hipError_tPvRmT2_T3_T4_T5_mT6_T7_P12ihipStream_tbENKUlT_T0_E_clISt17integral_constantIbLb0EESX_IbLb1EEEEDaST_SU_EUlST_E_NS1_11comp_targetILNS1_3genE5ELNS1_11target_archE942ELNS1_3gpuE9ELNS1_3repE0EEENS1_30default_config_static_selectorELNS0_4arch9wavefront6targetE0EEEvT1_.has_recursion, 0
	.set _ZN7rocprim17ROCPRIM_400000_NS6detail17trampoline_kernelINS0_14default_configENS1_27scan_by_key_config_selectorIssEEZZNS1_16scan_by_key_implILNS1_25lookback_scan_determinismE0ELb0ES3_N6thrust23THRUST_200600_302600_NS6detail15normal_iteratorINS9_10device_ptrIsEEEESE_SE_sNS9_4plusIsEE19head_flag_predicatesEE10hipError_tPvRmT2_T3_T4_T5_mT6_T7_P12ihipStream_tbENKUlT_T0_E_clISt17integral_constantIbLb0EESX_IbLb1EEEEDaST_SU_EUlST_E_NS1_11comp_targetILNS1_3genE5ELNS1_11target_archE942ELNS1_3gpuE9ELNS1_3repE0EEENS1_30default_config_static_selectorELNS0_4arch9wavefront6targetE0EEEvT1_.has_indirect_call, 0
	.section	.AMDGPU.csdata,"",@progbits
; Kernel info:
; codeLenInByte = 0
; TotalNumSgprs: 0
; NumVgprs: 0
; ScratchSize: 0
; MemoryBound: 0
; FloatMode: 240
; IeeeMode: 1
; LDSByteSize: 0 bytes/workgroup (compile time only)
; SGPRBlocks: 0
; VGPRBlocks: 0
; NumSGPRsForWavesPerEU: 1
; NumVGPRsForWavesPerEU: 1
; NamedBarCnt: 0
; Occupancy: 16
; WaveLimiterHint : 0
; COMPUTE_PGM_RSRC2:SCRATCH_EN: 0
; COMPUTE_PGM_RSRC2:USER_SGPR: 2
; COMPUTE_PGM_RSRC2:TRAP_HANDLER: 0
; COMPUTE_PGM_RSRC2:TGID_X_EN: 1
; COMPUTE_PGM_RSRC2:TGID_Y_EN: 0
; COMPUTE_PGM_RSRC2:TGID_Z_EN: 0
; COMPUTE_PGM_RSRC2:TIDIG_COMP_CNT: 0
	.section	.text._ZN7rocprim17ROCPRIM_400000_NS6detail17trampoline_kernelINS0_14default_configENS1_27scan_by_key_config_selectorIssEEZZNS1_16scan_by_key_implILNS1_25lookback_scan_determinismE0ELb0ES3_N6thrust23THRUST_200600_302600_NS6detail15normal_iteratorINS9_10device_ptrIsEEEESE_SE_sNS9_4plusIsEE19head_flag_predicatesEE10hipError_tPvRmT2_T3_T4_T5_mT6_T7_P12ihipStream_tbENKUlT_T0_E_clISt17integral_constantIbLb0EESX_IbLb1EEEEDaST_SU_EUlST_E_NS1_11comp_targetILNS1_3genE4ELNS1_11target_archE910ELNS1_3gpuE8ELNS1_3repE0EEENS1_30default_config_static_selectorELNS0_4arch9wavefront6targetE0EEEvT1_,"axG",@progbits,_ZN7rocprim17ROCPRIM_400000_NS6detail17trampoline_kernelINS0_14default_configENS1_27scan_by_key_config_selectorIssEEZZNS1_16scan_by_key_implILNS1_25lookback_scan_determinismE0ELb0ES3_N6thrust23THRUST_200600_302600_NS6detail15normal_iteratorINS9_10device_ptrIsEEEESE_SE_sNS9_4plusIsEE19head_flag_predicatesEE10hipError_tPvRmT2_T3_T4_T5_mT6_T7_P12ihipStream_tbENKUlT_T0_E_clISt17integral_constantIbLb0EESX_IbLb1EEEEDaST_SU_EUlST_E_NS1_11comp_targetILNS1_3genE4ELNS1_11target_archE910ELNS1_3gpuE8ELNS1_3repE0EEENS1_30default_config_static_selectorELNS0_4arch9wavefront6targetE0EEEvT1_,comdat
	.protected	_ZN7rocprim17ROCPRIM_400000_NS6detail17trampoline_kernelINS0_14default_configENS1_27scan_by_key_config_selectorIssEEZZNS1_16scan_by_key_implILNS1_25lookback_scan_determinismE0ELb0ES3_N6thrust23THRUST_200600_302600_NS6detail15normal_iteratorINS9_10device_ptrIsEEEESE_SE_sNS9_4plusIsEE19head_flag_predicatesEE10hipError_tPvRmT2_T3_T4_T5_mT6_T7_P12ihipStream_tbENKUlT_T0_E_clISt17integral_constantIbLb0EESX_IbLb1EEEEDaST_SU_EUlST_E_NS1_11comp_targetILNS1_3genE4ELNS1_11target_archE910ELNS1_3gpuE8ELNS1_3repE0EEENS1_30default_config_static_selectorELNS0_4arch9wavefront6targetE0EEEvT1_ ; -- Begin function _ZN7rocprim17ROCPRIM_400000_NS6detail17trampoline_kernelINS0_14default_configENS1_27scan_by_key_config_selectorIssEEZZNS1_16scan_by_key_implILNS1_25lookback_scan_determinismE0ELb0ES3_N6thrust23THRUST_200600_302600_NS6detail15normal_iteratorINS9_10device_ptrIsEEEESE_SE_sNS9_4plusIsEE19head_flag_predicatesEE10hipError_tPvRmT2_T3_T4_T5_mT6_T7_P12ihipStream_tbENKUlT_T0_E_clISt17integral_constantIbLb0EESX_IbLb1EEEEDaST_SU_EUlST_E_NS1_11comp_targetILNS1_3genE4ELNS1_11target_archE910ELNS1_3gpuE8ELNS1_3repE0EEENS1_30default_config_static_selectorELNS0_4arch9wavefront6targetE0EEEvT1_
	.globl	_ZN7rocprim17ROCPRIM_400000_NS6detail17trampoline_kernelINS0_14default_configENS1_27scan_by_key_config_selectorIssEEZZNS1_16scan_by_key_implILNS1_25lookback_scan_determinismE0ELb0ES3_N6thrust23THRUST_200600_302600_NS6detail15normal_iteratorINS9_10device_ptrIsEEEESE_SE_sNS9_4plusIsEE19head_flag_predicatesEE10hipError_tPvRmT2_T3_T4_T5_mT6_T7_P12ihipStream_tbENKUlT_T0_E_clISt17integral_constantIbLb0EESX_IbLb1EEEEDaST_SU_EUlST_E_NS1_11comp_targetILNS1_3genE4ELNS1_11target_archE910ELNS1_3gpuE8ELNS1_3repE0EEENS1_30default_config_static_selectorELNS0_4arch9wavefront6targetE0EEEvT1_
	.p2align	8
	.type	_ZN7rocprim17ROCPRIM_400000_NS6detail17trampoline_kernelINS0_14default_configENS1_27scan_by_key_config_selectorIssEEZZNS1_16scan_by_key_implILNS1_25lookback_scan_determinismE0ELb0ES3_N6thrust23THRUST_200600_302600_NS6detail15normal_iteratorINS9_10device_ptrIsEEEESE_SE_sNS9_4plusIsEE19head_flag_predicatesEE10hipError_tPvRmT2_T3_T4_T5_mT6_T7_P12ihipStream_tbENKUlT_T0_E_clISt17integral_constantIbLb0EESX_IbLb1EEEEDaST_SU_EUlST_E_NS1_11comp_targetILNS1_3genE4ELNS1_11target_archE910ELNS1_3gpuE8ELNS1_3repE0EEENS1_30default_config_static_selectorELNS0_4arch9wavefront6targetE0EEEvT1_,@function
_ZN7rocprim17ROCPRIM_400000_NS6detail17trampoline_kernelINS0_14default_configENS1_27scan_by_key_config_selectorIssEEZZNS1_16scan_by_key_implILNS1_25lookback_scan_determinismE0ELb0ES3_N6thrust23THRUST_200600_302600_NS6detail15normal_iteratorINS9_10device_ptrIsEEEESE_SE_sNS9_4plusIsEE19head_flag_predicatesEE10hipError_tPvRmT2_T3_T4_T5_mT6_T7_P12ihipStream_tbENKUlT_T0_E_clISt17integral_constantIbLb0EESX_IbLb1EEEEDaST_SU_EUlST_E_NS1_11comp_targetILNS1_3genE4ELNS1_11target_archE910ELNS1_3gpuE8ELNS1_3repE0EEENS1_30default_config_static_selectorELNS0_4arch9wavefront6targetE0EEEvT1_: ; @_ZN7rocprim17ROCPRIM_400000_NS6detail17trampoline_kernelINS0_14default_configENS1_27scan_by_key_config_selectorIssEEZZNS1_16scan_by_key_implILNS1_25lookback_scan_determinismE0ELb0ES3_N6thrust23THRUST_200600_302600_NS6detail15normal_iteratorINS9_10device_ptrIsEEEESE_SE_sNS9_4plusIsEE19head_flag_predicatesEE10hipError_tPvRmT2_T3_T4_T5_mT6_T7_P12ihipStream_tbENKUlT_T0_E_clISt17integral_constantIbLb0EESX_IbLb1EEEEDaST_SU_EUlST_E_NS1_11comp_targetILNS1_3genE4ELNS1_11target_archE910ELNS1_3gpuE8ELNS1_3repE0EEENS1_30default_config_static_selectorELNS0_4arch9wavefront6targetE0EEEvT1_
; %bb.0:
	.section	.rodata,"a",@progbits
	.p2align	6, 0x0
	.amdhsa_kernel _ZN7rocprim17ROCPRIM_400000_NS6detail17trampoline_kernelINS0_14default_configENS1_27scan_by_key_config_selectorIssEEZZNS1_16scan_by_key_implILNS1_25lookback_scan_determinismE0ELb0ES3_N6thrust23THRUST_200600_302600_NS6detail15normal_iteratorINS9_10device_ptrIsEEEESE_SE_sNS9_4plusIsEE19head_flag_predicatesEE10hipError_tPvRmT2_T3_T4_T5_mT6_T7_P12ihipStream_tbENKUlT_T0_E_clISt17integral_constantIbLb0EESX_IbLb1EEEEDaST_SU_EUlST_E_NS1_11comp_targetILNS1_3genE4ELNS1_11target_archE910ELNS1_3gpuE8ELNS1_3repE0EEENS1_30default_config_static_selectorELNS0_4arch9wavefront6targetE0EEEvT1_
		.amdhsa_group_segment_fixed_size 0
		.amdhsa_private_segment_fixed_size 0
		.amdhsa_kernarg_size 112
		.amdhsa_user_sgpr_count 2
		.amdhsa_user_sgpr_dispatch_ptr 0
		.amdhsa_user_sgpr_queue_ptr 0
		.amdhsa_user_sgpr_kernarg_segment_ptr 1
		.amdhsa_user_sgpr_dispatch_id 0
		.amdhsa_user_sgpr_kernarg_preload_length 0
		.amdhsa_user_sgpr_kernarg_preload_offset 0
		.amdhsa_user_sgpr_private_segment_size 0
		.amdhsa_wavefront_size32 1
		.amdhsa_uses_dynamic_stack 0
		.amdhsa_enable_private_segment 0
		.amdhsa_system_sgpr_workgroup_id_x 1
		.amdhsa_system_sgpr_workgroup_id_y 0
		.amdhsa_system_sgpr_workgroup_id_z 0
		.amdhsa_system_sgpr_workgroup_info 0
		.amdhsa_system_vgpr_workitem_id 0
		.amdhsa_next_free_vgpr 1
		.amdhsa_next_free_sgpr 1
		.amdhsa_named_barrier_count 0
		.amdhsa_reserve_vcc 0
		.amdhsa_float_round_mode_32 0
		.amdhsa_float_round_mode_16_64 0
		.amdhsa_float_denorm_mode_32 3
		.amdhsa_float_denorm_mode_16_64 3
		.amdhsa_fp16_overflow 0
		.amdhsa_memory_ordered 1
		.amdhsa_forward_progress 1
		.amdhsa_inst_pref_size 0
		.amdhsa_round_robin_scheduling 0
		.amdhsa_exception_fp_ieee_invalid_op 0
		.amdhsa_exception_fp_denorm_src 0
		.amdhsa_exception_fp_ieee_div_zero 0
		.amdhsa_exception_fp_ieee_overflow 0
		.amdhsa_exception_fp_ieee_underflow 0
		.amdhsa_exception_fp_ieee_inexact 0
		.amdhsa_exception_int_div_zero 0
	.end_amdhsa_kernel
	.section	.text._ZN7rocprim17ROCPRIM_400000_NS6detail17trampoline_kernelINS0_14default_configENS1_27scan_by_key_config_selectorIssEEZZNS1_16scan_by_key_implILNS1_25lookback_scan_determinismE0ELb0ES3_N6thrust23THRUST_200600_302600_NS6detail15normal_iteratorINS9_10device_ptrIsEEEESE_SE_sNS9_4plusIsEE19head_flag_predicatesEE10hipError_tPvRmT2_T3_T4_T5_mT6_T7_P12ihipStream_tbENKUlT_T0_E_clISt17integral_constantIbLb0EESX_IbLb1EEEEDaST_SU_EUlST_E_NS1_11comp_targetILNS1_3genE4ELNS1_11target_archE910ELNS1_3gpuE8ELNS1_3repE0EEENS1_30default_config_static_selectorELNS0_4arch9wavefront6targetE0EEEvT1_,"axG",@progbits,_ZN7rocprim17ROCPRIM_400000_NS6detail17trampoline_kernelINS0_14default_configENS1_27scan_by_key_config_selectorIssEEZZNS1_16scan_by_key_implILNS1_25lookback_scan_determinismE0ELb0ES3_N6thrust23THRUST_200600_302600_NS6detail15normal_iteratorINS9_10device_ptrIsEEEESE_SE_sNS9_4plusIsEE19head_flag_predicatesEE10hipError_tPvRmT2_T3_T4_T5_mT6_T7_P12ihipStream_tbENKUlT_T0_E_clISt17integral_constantIbLb0EESX_IbLb1EEEEDaST_SU_EUlST_E_NS1_11comp_targetILNS1_3genE4ELNS1_11target_archE910ELNS1_3gpuE8ELNS1_3repE0EEENS1_30default_config_static_selectorELNS0_4arch9wavefront6targetE0EEEvT1_,comdat
.Lfunc_end851:
	.size	_ZN7rocprim17ROCPRIM_400000_NS6detail17trampoline_kernelINS0_14default_configENS1_27scan_by_key_config_selectorIssEEZZNS1_16scan_by_key_implILNS1_25lookback_scan_determinismE0ELb0ES3_N6thrust23THRUST_200600_302600_NS6detail15normal_iteratorINS9_10device_ptrIsEEEESE_SE_sNS9_4plusIsEE19head_flag_predicatesEE10hipError_tPvRmT2_T3_T4_T5_mT6_T7_P12ihipStream_tbENKUlT_T0_E_clISt17integral_constantIbLb0EESX_IbLb1EEEEDaST_SU_EUlST_E_NS1_11comp_targetILNS1_3genE4ELNS1_11target_archE910ELNS1_3gpuE8ELNS1_3repE0EEENS1_30default_config_static_selectorELNS0_4arch9wavefront6targetE0EEEvT1_, .Lfunc_end851-_ZN7rocprim17ROCPRIM_400000_NS6detail17trampoline_kernelINS0_14default_configENS1_27scan_by_key_config_selectorIssEEZZNS1_16scan_by_key_implILNS1_25lookback_scan_determinismE0ELb0ES3_N6thrust23THRUST_200600_302600_NS6detail15normal_iteratorINS9_10device_ptrIsEEEESE_SE_sNS9_4plusIsEE19head_flag_predicatesEE10hipError_tPvRmT2_T3_T4_T5_mT6_T7_P12ihipStream_tbENKUlT_T0_E_clISt17integral_constantIbLb0EESX_IbLb1EEEEDaST_SU_EUlST_E_NS1_11comp_targetILNS1_3genE4ELNS1_11target_archE910ELNS1_3gpuE8ELNS1_3repE0EEENS1_30default_config_static_selectorELNS0_4arch9wavefront6targetE0EEEvT1_
                                        ; -- End function
	.set _ZN7rocprim17ROCPRIM_400000_NS6detail17trampoline_kernelINS0_14default_configENS1_27scan_by_key_config_selectorIssEEZZNS1_16scan_by_key_implILNS1_25lookback_scan_determinismE0ELb0ES3_N6thrust23THRUST_200600_302600_NS6detail15normal_iteratorINS9_10device_ptrIsEEEESE_SE_sNS9_4plusIsEE19head_flag_predicatesEE10hipError_tPvRmT2_T3_T4_T5_mT6_T7_P12ihipStream_tbENKUlT_T0_E_clISt17integral_constantIbLb0EESX_IbLb1EEEEDaST_SU_EUlST_E_NS1_11comp_targetILNS1_3genE4ELNS1_11target_archE910ELNS1_3gpuE8ELNS1_3repE0EEENS1_30default_config_static_selectorELNS0_4arch9wavefront6targetE0EEEvT1_.num_vgpr, 0
	.set _ZN7rocprim17ROCPRIM_400000_NS6detail17trampoline_kernelINS0_14default_configENS1_27scan_by_key_config_selectorIssEEZZNS1_16scan_by_key_implILNS1_25lookback_scan_determinismE0ELb0ES3_N6thrust23THRUST_200600_302600_NS6detail15normal_iteratorINS9_10device_ptrIsEEEESE_SE_sNS9_4plusIsEE19head_flag_predicatesEE10hipError_tPvRmT2_T3_T4_T5_mT6_T7_P12ihipStream_tbENKUlT_T0_E_clISt17integral_constantIbLb0EESX_IbLb1EEEEDaST_SU_EUlST_E_NS1_11comp_targetILNS1_3genE4ELNS1_11target_archE910ELNS1_3gpuE8ELNS1_3repE0EEENS1_30default_config_static_selectorELNS0_4arch9wavefront6targetE0EEEvT1_.num_agpr, 0
	.set _ZN7rocprim17ROCPRIM_400000_NS6detail17trampoline_kernelINS0_14default_configENS1_27scan_by_key_config_selectorIssEEZZNS1_16scan_by_key_implILNS1_25lookback_scan_determinismE0ELb0ES3_N6thrust23THRUST_200600_302600_NS6detail15normal_iteratorINS9_10device_ptrIsEEEESE_SE_sNS9_4plusIsEE19head_flag_predicatesEE10hipError_tPvRmT2_T3_T4_T5_mT6_T7_P12ihipStream_tbENKUlT_T0_E_clISt17integral_constantIbLb0EESX_IbLb1EEEEDaST_SU_EUlST_E_NS1_11comp_targetILNS1_3genE4ELNS1_11target_archE910ELNS1_3gpuE8ELNS1_3repE0EEENS1_30default_config_static_selectorELNS0_4arch9wavefront6targetE0EEEvT1_.numbered_sgpr, 0
	.set _ZN7rocprim17ROCPRIM_400000_NS6detail17trampoline_kernelINS0_14default_configENS1_27scan_by_key_config_selectorIssEEZZNS1_16scan_by_key_implILNS1_25lookback_scan_determinismE0ELb0ES3_N6thrust23THRUST_200600_302600_NS6detail15normal_iteratorINS9_10device_ptrIsEEEESE_SE_sNS9_4plusIsEE19head_flag_predicatesEE10hipError_tPvRmT2_T3_T4_T5_mT6_T7_P12ihipStream_tbENKUlT_T0_E_clISt17integral_constantIbLb0EESX_IbLb1EEEEDaST_SU_EUlST_E_NS1_11comp_targetILNS1_3genE4ELNS1_11target_archE910ELNS1_3gpuE8ELNS1_3repE0EEENS1_30default_config_static_selectorELNS0_4arch9wavefront6targetE0EEEvT1_.num_named_barrier, 0
	.set _ZN7rocprim17ROCPRIM_400000_NS6detail17trampoline_kernelINS0_14default_configENS1_27scan_by_key_config_selectorIssEEZZNS1_16scan_by_key_implILNS1_25lookback_scan_determinismE0ELb0ES3_N6thrust23THRUST_200600_302600_NS6detail15normal_iteratorINS9_10device_ptrIsEEEESE_SE_sNS9_4plusIsEE19head_flag_predicatesEE10hipError_tPvRmT2_T3_T4_T5_mT6_T7_P12ihipStream_tbENKUlT_T0_E_clISt17integral_constantIbLb0EESX_IbLb1EEEEDaST_SU_EUlST_E_NS1_11comp_targetILNS1_3genE4ELNS1_11target_archE910ELNS1_3gpuE8ELNS1_3repE0EEENS1_30default_config_static_selectorELNS0_4arch9wavefront6targetE0EEEvT1_.private_seg_size, 0
	.set _ZN7rocprim17ROCPRIM_400000_NS6detail17trampoline_kernelINS0_14default_configENS1_27scan_by_key_config_selectorIssEEZZNS1_16scan_by_key_implILNS1_25lookback_scan_determinismE0ELb0ES3_N6thrust23THRUST_200600_302600_NS6detail15normal_iteratorINS9_10device_ptrIsEEEESE_SE_sNS9_4plusIsEE19head_flag_predicatesEE10hipError_tPvRmT2_T3_T4_T5_mT6_T7_P12ihipStream_tbENKUlT_T0_E_clISt17integral_constantIbLb0EESX_IbLb1EEEEDaST_SU_EUlST_E_NS1_11comp_targetILNS1_3genE4ELNS1_11target_archE910ELNS1_3gpuE8ELNS1_3repE0EEENS1_30default_config_static_selectorELNS0_4arch9wavefront6targetE0EEEvT1_.uses_vcc, 0
	.set _ZN7rocprim17ROCPRIM_400000_NS6detail17trampoline_kernelINS0_14default_configENS1_27scan_by_key_config_selectorIssEEZZNS1_16scan_by_key_implILNS1_25lookback_scan_determinismE0ELb0ES3_N6thrust23THRUST_200600_302600_NS6detail15normal_iteratorINS9_10device_ptrIsEEEESE_SE_sNS9_4plusIsEE19head_flag_predicatesEE10hipError_tPvRmT2_T3_T4_T5_mT6_T7_P12ihipStream_tbENKUlT_T0_E_clISt17integral_constantIbLb0EESX_IbLb1EEEEDaST_SU_EUlST_E_NS1_11comp_targetILNS1_3genE4ELNS1_11target_archE910ELNS1_3gpuE8ELNS1_3repE0EEENS1_30default_config_static_selectorELNS0_4arch9wavefront6targetE0EEEvT1_.uses_flat_scratch, 0
	.set _ZN7rocprim17ROCPRIM_400000_NS6detail17trampoline_kernelINS0_14default_configENS1_27scan_by_key_config_selectorIssEEZZNS1_16scan_by_key_implILNS1_25lookback_scan_determinismE0ELb0ES3_N6thrust23THRUST_200600_302600_NS6detail15normal_iteratorINS9_10device_ptrIsEEEESE_SE_sNS9_4plusIsEE19head_flag_predicatesEE10hipError_tPvRmT2_T3_T4_T5_mT6_T7_P12ihipStream_tbENKUlT_T0_E_clISt17integral_constantIbLb0EESX_IbLb1EEEEDaST_SU_EUlST_E_NS1_11comp_targetILNS1_3genE4ELNS1_11target_archE910ELNS1_3gpuE8ELNS1_3repE0EEENS1_30default_config_static_selectorELNS0_4arch9wavefront6targetE0EEEvT1_.has_dyn_sized_stack, 0
	.set _ZN7rocprim17ROCPRIM_400000_NS6detail17trampoline_kernelINS0_14default_configENS1_27scan_by_key_config_selectorIssEEZZNS1_16scan_by_key_implILNS1_25lookback_scan_determinismE0ELb0ES3_N6thrust23THRUST_200600_302600_NS6detail15normal_iteratorINS9_10device_ptrIsEEEESE_SE_sNS9_4plusIsEE19head_flag_predicatesEE10hipError_tPvRmT2_T3_T4_T5_mT6_T7_P12ihipStream_tbENKUlT_T0_E_clISt17integral_constantIbLb0EESX_IbLb1EEEEDaST_SU_EUlST_E_NS1_11comp_targetILNS1_3genE4ELNS1_11target_archE910ELNS1_3gpuE8ELNS1_3repE0EEENS1_30default_config_static_selectorELNS0_4arch9wavefront6targetE0EEEvT1_.has_recursion, 0
	.set _ZN7rocprim17ROCPRIM_400000_NS6detail17trampoline_kernelINS0_14default_configENS1_27scan_by_key_config_selectorIssEEZZNS1_16scan_by_key_implILNS1_25lookback_scan_determinismE0ELb0ES3_N6thrust23THRUST_200600_302600_NS6detail15normal_iteratorINS9_10device_ptrIsEEEESE_SE_sNS9_4plusIsEE19head_flag_predicatesEE10hipError_tPvRmT2_T3_T4_T5_mT6_T7_P12ihipStream_tbENKUlT_T0_E_clISt17integral_constantIbLb0EESX_IbLb1EEEEDaST_SU_EUlST_E_NS1_11comp_targetILNS1_3genE4ELNS1_11target_archE910ELNS1_3gpuE8ELNS1_3repE0EEENS1_30default_config_static_selectorELNS0_4arch9wavefront6targetE0EEEvT1_.has_indirect_call, 0
	.section	.AMDGPU.csdata,"",@progbits
; Kernel info:
; codeLenInByte = 0
; TotalNumSgprs: 0
; NumVgprs: 0
; ScratchSize: 0
; MemoryBound: 0
; FloatMode: 240
; IeeeMode: 1
; LDSByteSize: 0 bytes/workgroup (compile time only)
; SGPRBlocks: 0
; VGPRBlocks: 0
; NumSGPRsForWavesPerEU: 1
; NumVGPRsForWavesPerEU: 1
; NamedBarCnt: 0
; Occupancy: 16
; WaveLimiterHint : 0
; COMPUTE_PGM_RSRC2:SCRATCH_EN: 0
; COMPUTE_PGM_RSRC2:USER_SGPR: 2
; COMPUTE_PGM_RSRC2:TRAP_HANDLER: 0
; COMPUTE_PGM_RSRC2:TGID_X_EN: 1
; COMPUTE_PGM_RSRC2:TGID_Y_EN: 0
; COMPUTE_PGM_RSRC2:TGID_Z_EN: 0
; COMPUTE_PGM_RSRC2:TIDIG_COMP_CNT: 0
	.section	.text._ZN7rocprim17ROCPRIM_400000_NS6detail17trampoline_kernelINS0_14default_configENS1_27scan_by_key_config_selectorIssEEZZNS1_16scan_by_key_implILNS1_25lookback_scan_determinismE0ELb0ES3_N6thrust23THRUST_200600_302600_NS6detail15normal_iteratorINS9_10device_ptrIsEEEESE_SE_sNS9_4plusIsEE19head_flag_predicatesEE10hipError_tPvRmT2_T3_T4_T5_mT6_T7_P12ihipStream_tbENKUlT_T0_E_clISt17integral_constantIbLb0EESX_IbLb1EEEEDaST_SU_EUlST_E_NS1_11comp_targetILNS1_3genE3ELNS1_11target_archE908ELNS1_3gpuE7ELNS1_3repE0EEENS1_30default_config_static_selectorELNS0_4arch9wavefront6targetE0EEEvT1_,"axG",@progbits,_ZN7rocprim17ROCPRIM_400000_NS6detail17trampoline_kernelINS0_14default_configENS1_27scan_by_key_config_selectorIssEEZZNS1_16scan_by_key_implILNS1_25lookback_scan_determinismE0ELb0ES3_N6thrust23THRUST_200600_302600_NS6detail15normal_iteratorINS9_10device_ptrIsEEEESE_SE_sNS9_4plusIsEE19head_flag_predicatesEE10hipError_tPvRmT2_T3_T4_T5_mT6_T7_P12ihipStream_tbENKUlT_T0_E_clISt17integral_constantIbLb0EESX_IbLb1EEEEDaST_SU_EUlST_E_NS1_11comp_targetILNS1_3genE3ELNS1_11target_archE908ELNS1_3gpuE7ELNS1_3repE0EEENS1_30default_config_static_selectorELNS0_4arch9wavefront6targetE0EEEvT1_,comdat
	.protected	_ZN7rocprim17ROCPRIM_400000_NS6detail17trampoline_kernelINS0_14default_configENS1_27scan_by_key_config_selectorIssEEZZNS1_16scan_by_key_implILNS1_25lookback_scan_determinismE0ELb0ES3_N6thrust23THRUST_200600_302600_NS6detail15normal_iteratorINS9_10device_ptrIsEEEESE_SE_sNS9_4plusIsEE19head_flag_predicatesEE10hipError_tPvRmT2_T3_T4_T5_mT6_T7_P12ihipStream_tbENKUlT_T0_E_clISt17integral_constantIbLb0EESX_IbLb1EEEEDaST_SU_EUlST_E_NS1_11comp_targetILNS1_3genE3ELNS1_11target_archE908ELNS1_3gpuE7ELNS1_3repE0EEENS1_30default_config_static_selectorELNS0_4arch9wavefront6targetE0EEEvT1_ ; -- Begin function _ZN7rocprim17ROCPRIM_400000_NS6detail17trampoline_kernelINS0_14default_configENS1_27scan_by_key_config_selectorIssEEZZNS1_16scan_by_key_implILNS1_25lookback_scan_determinismE0ELb0ES3_N6thrust23THRUST_200600_302600_NS6detail15normal_iteratorINS9_10device_ptrIsEEEESE_SE_sNS9_4plusIsEE19head_flag_predicatesEE10hipError_tPvRmT2_T3_T4_T5_mT6_T7_P12ihipStream_tbENKUlT_T0_E_clISt17integral_constantIbLb0EESX_IbLb1EEEEDaST_SU_EUlST_E_NS1_11comp_targetILNS1_3genE3ELNS1_11target_archE908ELNS1_3gpuE7ELNS1_3repE0EEENS1_30default_config_static_selectorELNS0_4arch9wavefront6targetE0EEEvT1_
	.globl	_ZN7rocprim17ROCPRIM_400000_NS6detail17trampoline_kernelINS0_14default_configENS1_27scan_by_key_config_selectorIssEEZZNS1_16scan_by_key_implILNS1_25lookback_scan_determinismE0ELb0ES3_N6thrust23THRUST_200600_302600_NS6detail15normal_iteratorINS9_10device_ptrIsEEEESE_SE_sNS9_4plusIsEE19head_flag_predicatesEE10hipError_tPvRmT2_T3_T4_T5_mT6_T7_P12ihipStream_tbENKUlT_T0_E_clISt17integral_constantIbLb0EESX_IbLb1EEEEDaST_SU_EUlST_E_NS1_11comp_targetILNS1_3genE3ELNS1_11target_archE908ELNS1_3gpuE7ELNS1_3repE0EEENS1_30default_config_static_selectorELNS0_4arch9wavefront6targetE0EEEvT1_
	.p2align	8
	.type	_ZN7rocprim17ROCPRIM_400000_NS6detail17trampoline_kernelINS0_14default_configENS1_27scan_by_key_config_selectorIssEEZZNS1_16scan_by_key_implILNS1_25lookback_scan_determinismE0ELb0ES3_N6thrust23THRUST_200600_302600_NS6detail15normal_iteratorINS9_10device_ptrIsEEEESE_SE_sNS9_4plusIsEE19head_flag_predicatesEE10hipError_tPvRmT2_T3_T4_T5_mT6_T7_P12ihipStream_tbENKUlT_T0_E_clISt17integral_constantIbLb0EESX_IbLb1EEEEDaST_SU_EUlST_E_NS1_11comp_targetILNS1_3genE3ELNS1_11target_archE908ELNS1_3gpuE7ELNS1_3repE0EEENS1_30default_config_static_selectorELNS0_4arch9wavefront6targetE0EEEvT1_,@function
_ZN7rocprim17ROCPRIM_400000_NS6detail17trampoline_kernelINS0_14default_configENS1_27scan_by_key_config_selectorIssEEZZNS1_16scan_by_key_implILNS1_25lookback_scan_determinismE0ELb0ES3_N6thrust23THRUST_200600_302600_NS6detail15normal_iteratorINS9_10device_ptrIsEEEESE_SE_sNS9_4plusIsEE19head_flag_predicatesEE10hipError_tPvRmT2_T3_T4_T5_mT6_T7_P12ihipStream_tbENKUlT_T0_E_clISt17integral_constantIbLb0EESX_IbLb1EEEEDaST_SU_EUlST_E_NS1_11comp_targetILNS1_3genE3ELNS1_11target_archE908ELNS1_3gpuE7ELNS1_3repE0EEENS1_30default_config_static_selectorELNS0_4arch9wavefront6targetE0EEEvT1_: ; @_ZN7rocprim17ROCPRIM_400000_NS6detail17trampoline_kernelINS0_14default_configENS1_27scan_by_key_config_selectorIssEEZZNS1_16scan_by_key_implILNS1_25lookback_scan_determinismE0ELb0ES3_N6thrust23THRUST_200600_302600_NS6detail15normal_iteratorINS9_10device_ptrIsEEEESE_SE_sNS9_4plusIsEE19head_flag_predicatesEE10hipError_tPvRmT2_T3_T4_T5_mT6_T7_P12ihipStream_tbENKUlT_T0_E_clISt17integral_constantIbLb0EESX_IbLb1EEEEDaST_SU_EUlST_E_NS1_11comp_targetILNS1_3genE3ELNS1_11target_archE908ELNS1_3gpuE7ELNS1_3repE0EEENS1_30default_config_static_selectorELNS0_4arch9wavefront6targetE0EEEvT1_
; %bb.0:
	.section	.rodata,"a",@progbits
	.p2align	6, 0x0
	.amdhsa_kernel _ZN7rocprim17ROCPRIM_400000_NS6detail17trampoline_kernelINS0_14default_configENS1_27scan_by_key_config_selectorIssEEZZNS1_16scan_by_key_implILNS1_25lookback_scan_determinismE0ELb0ES3_N6thrust23THRUST_200600_302600_NS6detail15normal_iteratorINS9_10device_ptrIsEEEESE_SE_sNS9_4plusIsEE19head_flag_predicatesEE10hipError_tPvRmT2_T3_T4_T5_mT6_T7_P12ihipStream_tbENKUlT_T0_E_clISt17integral_constantIbLb0EESX_IbLb1EEEEDaST_SU_EUlST_E_NS1_11comp_targetILNS1_3genE3ELNS1_11target_archE908ELNS1_3gpuE7ELNS1_3repE0EEENS1_30default_config_static_selectorELNS0_4arch9wavefront6targetE0EEEvT1_
		.amdhsa_group_segment_fixed_size 0
		.amdhsa_private_segment_fixed_size 0
		.amdhsa_kernarg_size 112
		.amdhsa_user_sgpr_count 2
		.amdhsa_user_sgpr_dispatch_ptr 0
		.amdhsa_user_sgpr_queue_ptr 0
		.amdhsa_user_sgpr_kernarg_segment_ptr 1
		.amdhsa_user_sgpr_dispatch_id 0
		.amdhsa_user_sgpr_kernarg_preload_length 0
		.amdhsa_user_sgpr_kernarg_preload_offset 0
		.amdhsa_user_sgpr_private_segment_size 0
		.amdhsa_wavefront_size32 1
		.amdhsa_uses_dynamic_stack 0
		.amdhsa_enable_private_segment 0
		.amdhsa_system_sgpr_workgroup_id_x 1
		.amdhsa_system_sgpr_workgroup_id_y 0
		.amdhsa_system_sgpr_workgroup_id_z 0
		.amdhsa_system_sgpr_workgroup_info 0
		.amdhsa_system_vgpr_workitem_id 0
		.amdhsa_next_free_vgpr 1
		.amdhsa_next_free_sgpr 1
		.amdhsa_named_barrier_count 0
		.amdhsa_reserve_vcc 0
		.amdhsa_float_round_mode_32 0
		.amdhsa_float_round_mode_16_64 0
		.amdhsa_float_denorm_mode_32 3
		.amdhsa_float_denorm_mode_16_64 3
		.amdhsa_fp16_overflow 0
		.amdhsa_memory_ordered 1
		.amdhsa_forward_progress 1
		.amdhsa_inst_pref_size 0
		.amdhsa_round_robin_scheduling 0
		.amdhsa_exception_fp_ieee_invalid_op 0
		.amdhsa_exception_fp_denorm_src 0
		.amdhsa_exception_fp_ieee_div_zero 0
		.amdhsa_exception_fp_ieee_overflow 0
		.amdhsa_exception_fp_ieee_underflow 0
		.amdhsa_exception_fp_ieee_inexact 0
		.amdhsa_exception_int_div_zero 0
	.end_amdhsa_kernel
	.section	.text._ZN7rocprim17ROCPRIM_400000_NS6detail17trampoline_kernelINS0_14default_configENS1_27scan_by_key_config_selectorIssEEZZNS1_16scan_by_key_implILNS1_25lookback_scan_determinismE0ELb0ES3_N6thrust23THRUST_200600_302600_NS6detail15normal_iteratorINS9_10device_ptrIsEEEESE_SE_sNS9_4plusIsEE19head_flag_predicatesEE10hipError_tPvRmT2_T3_T4_T5_mT6_T7_P12ihipStream_tbENKUlT_T0_E_clISt17integral_constantIbLb0EESX_IbLb1EEEEDaST_SU_EUlST_E_NS1_11comp_targetILNS1_3genE3ELNS1_11target_archE908ELNS1_3gpuE7ELNS1_3repE0EEENS1_30default_config_static_selectorELNS0_4arch9wavefront6targetE0EEEvT1_,"axG",@progbits,_ZN7rocprim17ROCPRIM_400000_NS6detail17trampoline_kernelINS0_14default_configENS1_27scan_by_key_config_selectorIssEEZZNS1_16scan_by_key_implILNS1_25lookback_scan_determinismE0ELb0ES3_N6thrust23THRUST_200600_302600_NS6detail15normal_iteratorINS9_10device_ptrIsEEEESE_SE_sNS9_4plusIsEE19head_flag_predicatesEE10hipError_tPvRmT2_T3_T4_T5_mT6_T7_P12ihipStream_tbENKUlT_T0_E_clISt17integral_constantIbLb0EESX_IbLb1EEEEDaST_SU_EUlST_E_NS1_11comp_targetILNS1_3genE3ELNS1_11target_archE908ELNS1_3gpuE7ELNS1_3repE0EEENS1_30default_config_static_selectorELNS0_4arch9wavefront6targetE0EEEvT1_,comdat
.Lfunc_end852:
	.size	_ZN7rocprim17ROCPRIM_400000_NS6detail17trampoline_kernelINS0_14default_configENS1_27scan_by_key_config_selectorIssEEZZNS1_16scan_by_key_implILNS1_25lookback_scan_determinismE0ELb0ES3_N6thrust23THRUST_200600_302600_NS6detail15normal_iteratorINS9_10device_ptrIsEEEESE_SE_sNS9_4plusIsEE19head_flag_predicatesEE10hipError_tPvRmT2_T3_T4_T5_mT6_T7_P12ihipStream_tbENKUlT_T0_E_clISt17integral_constantIbLb0EESX_IbLb1EEEEDaST_SU_EUlST_E_NS1_11comp_targetILNS1_3genE3ELNS1_11target_archE908ELNS1_3gpuE7ELNS1_3repE0EEENS1_30default_config_static_selectorELNS0_4arch9wavefront6targetE0EEEvT1_, .Lfunc_end852-_ZN7rocprim17ROCPRIM_400000_NS6detail17trampoline_kernelINS0_14default_configENS1_27scan_by_key_config_selectorIssEEZZNS1_16scan_by_key_implILNS1_25lookback_scan_determinismE0ELb0ES3_N6thrust23THRUST_200600_302600_NS6detail15normal_iteratorINS9_10device_ptrIsEEEESE_SE_sNS9_4plusIsEE19head_flag_predicatesEE10hipError_tPvRmT2_T3_T4_T5_mT6_T7_P12ihipStream_tbENKUlT_T0_E_clISt17integral_constantIbLb0EESX_IbLb1EEEEDaST_SU_EUlST_E_NS1_11comp_targetILNS1_3genE3ELNS1_11target_archE908ELNS1_3gpuE7ELNS1_3repE0EEENS1_30default_config_static_selectorELNS0_4arch9wavefront6targetE0EEEvT1_
                                        ; -- End function
	.set _ZN7rocprim17ROCPRIM_400000_NS6detail17trampoline_kernelINS0_14default_configENS1_27scan_by_key_config_selectorIssEEZZNS1_16scan_by_key_implILNS1_25lookback_scan_determinismE0ELb0ES3_N6thrust23THRUST_200600_302600_NS6detail15normal_iteratorINS9_10device_ptrIsEEEESE_SE_sNS9_4plusIsEE19head_flag_predicatesEE10hipError_tPvRmT2_T3_T4_T5_mT6_T7_P12ihipStream_tbENKUlT_T0_E_clISt17integral_constantIbLb0EESX_IbLb1EEEEDaST_SU_EUlST_E_NS1_11comp_targetILNS1_3genE3ELNS1_11target_archE908ELNS1_3gpuE7ELNS1_3repE0EEENS1_30default_config_static_selectorELNS0_4arch9wavefront6targetE0EEEvT1_.num_vgpr, 0
	.set _ZN7rocprim17ROCPRIM_400000_NS6detail17trampoline_kernelINS0_14default_configENS1_27scan_by_key_config_selectorIssEEZZNS1_16scan_by_key_implILNS1_25lookback_scan_determinismE0ELb0ES3_N6thrust23THRUST_200600_302600_NS6detail15normal_iteratorINS9_10device_ptrIsEEEESE_SE_sNS9_4plusIsEE19head_flag_predicatesEE10hipError_tPvRmT2_T3_T4_T5_mT6_T7_P12ihipStream_tbENKUlT_T0_E_clISt17integral_constantIbLb0EESX_IbLb1EEEEDaST_SU_EUlST_E_NS1_11comp_targetILNS1_3genE3ELNS1_11target_archE908ELNS1_3gpuE7ELNS1_3repE0EEENS1_30default_config_static_selectorELNS0_4arch9wavefront6targetE0EEEvT1_.num_agpr, 0
	.set _ZN7rocprim17ROCPRIM_400000_NS6detail17trampoline_kernelINS0_14default_configENS1_27scan_by_key_config_selectorIssEEZZNS1_16scan_by_key_implILNS1_25lookback_scan_determinismE0ELb0ES3_N6thrust23THRUST_200600_302600_NS6detail15normal_iteratorINS9_10device_ptrIsEEEESE_SE_sNS9_4plusIsEE19head_flag_predicatesEE10hipError_tPvRmT2_T3_T4_T5_mT6_T7_P12ihipStream_tbENKUlT_T0_E_clISt17integral_constantIbLb0EESX_IbLb1EEEEDaST_SU_EUlST_E_NS1_11comp_targetILNS1_3genE3ELNS1_11target_archE908ELNS1_3gpuE7ELNS1_3repE0EEENS1_30default_config_static_selectorELNS0_4arch9wavefront6targetE0EEEvT1_.numbered_sgpr, 0
	.set _ZN7rocprim17ROCPRIM_400000_NS6detail17trampoline_kernelINS0_14default_configENS1_27scan_by_key_config_selectorIssEEZZNS1_16scan_by_key_implILNS1_25lookback_scan_determinismE0ELb0ES3_N6thrust23THRUST_200600_302600_NS6detail15normal_iteratorINS9_10device_ptrIsEEEESE_SE_sNS9_4plusIsEE19head_flag_predicatesEE10hipError_tPvRmT2_T3_T4_T5_mT6_T7_P12ihipStream_tbENKUlT_T0_E_clISt17integral_constantIbLb0EESX_IbLb1EEEEDaST_SU_EUlST_E_NS1_11comp_targetILNS1_3genE3ELNS1_11target_archE908ELNS1_3gpuE7ELNS1_3repE0EEENS1_30default_config_static_selectorELNS0_4arch9wavefront6targetE0EEEvT1_.num_named_barrier, 0
	.set _ZN7rocprim17ROCPRIM_400000_NS6detail17trampoline_kernelINS0_14default_configENS1_27scan_by_key_config_selectorIssEEZZNS1_16scan_by_key_implILNS1_25lookback_scan_determinismE0ELb0ES3_N6thrust23THRUST_200600_302600_NS6detail15normal_iteratorINS9_10device_ptrIsEEEESE_SE_sNS9_4plusIsEE19head_flag_predicatesEE10hipError_tPvRmT2_T3_T4_T5_mT6_T7_P12ihipStream_tbENKUlT_T0_E_clISt17integral_constantIbLb0EESX_IbLb1EEEEDaST_SU_EUlST_E_NS1_11comp_targetILNS1_3genE3ELNS1_11target_archE908ELNS1_3gpuE7ELNS1_3repE0EEENS1_30default_config_static_selectorELNS0_4arch9wavefront6targetE0EEEvT1_.private_seg_size, 0
	.set _ZN7rocprim17ROCPRIM_400000_NS6detail17trampoline_kernelINS0_14default_configENS1_27scan_by_key_config_selectorIssEEZZNS1_16scan_by_key_implILNS1_25lookback_scan_determinismE0ELb0ES3_N6thrust23THRUST_200600_302600_NS6detail15normal_iteratorINS9_10device_ptrIsEEEESE_SE_sNS9_4plusIsEE19head_flag_predicatesEE10hipError_tPvRmT2_T3_T4_T5_mT6_T7_P12ihipStream_tbENKUlT_T0_E_clISt17integral_constantIbLb0EESX_IbLb1EEEEDaST_SU_EUlST_E_NS1_11comp_targetILNS1_3genE3ELNS1_11target_archE908ELNS1_3gpuE7ELNS1_3repE0EEENS1_30default_config_static_selectorELNS0_4arch9wavefront6targetE0EEEvT1_.uses_vcc, 0
	.set _ZN7rocprim17ROCPRIM_400000_NS6detail17trampoline_kernelINS0_14default_configENS1_27scan_by_key_config_selectorIssEEZZNS1_16scan_by_key_implILNS1_25lookback_scan_determinismE0ELb0ES3_N6thrust23THRUST_200600_302600_NS6detail15normal_iteratorINS9_10device_ptrIsEEEESE_SE_sNS9_4plusIsEE19head_flag_predicatesEE10hipError_tPvRmT2_T3_T4_T5_mT6_T7_P12ihipStream_tbENKUlT_T0_E_clISt17integral_constantIbLb0EESX_IbLb1EEEEDaST_SU_EUlST_E_NS1_11comp_targetILNS1_3genE3ELNS1_11target_archE908ELNS1_3gpuE7ELNS1_3repE0EEENS1_30default_config_static_selectorELNS0_4arch9wavefront6targetE0EEEvT1_.uses_flat_scratch, 0
	.set _ZN7rocprim17ROCPRIM_400000_NS6detail17trampoline_kernelINS0_14default_configENS1_27scan_by_key_config_selectorIssEEZZNS1_16scan_by_key_implILNS1_25lookback_scan_determinismE0ELb0ES3_N6thrust23THRUST_200600_302600_NS6detail15normal_iteratorINS9_10device_ptrIsEEEESE_SE_sNS9_4plusIsEE19head_flag_predicatesEE10hipError_tPvRmT2_T3_T4_T5_mT6_T7_P12ihipStream_tbENKUlT_T0_E_clISt17integral_constantIbLb0EESX_IbLb1EEEEDaST_SU_EUlST_E_NS1_11comp_targetILNS1_3genE3ELNS1_11target_archE908ELNS1_3gpuE7ELNS1_3repE0EEENS1_30default_config_static_selectorELNS0_4arch9wavefront6targetE0EEEvT1_.has_dyn_sized_stack, 0
	.set _ZN7rocprim17ROCPRIM_400000_NS6detail17trampoline_kernelINS0_14default_configENS1_27scan_by_key_config_selectorIssEEZZNS1_16scan_by_key_implILNS1_25lookback_scan_determinismE0ELb0ES3_N6thrust23THRUST_200600_302600_NS6detail15normal_iteratorINS9_10device_ptrIsEEEESE_SE_sNS9_4plusIsEE19head_flag_predicatesEE10hipError_tPvRmT2_T3_T4_T5_mT6_T7_P12ihipStream_tbENKUlT_T0_E_clISt17integral_constantIbLb0EESX_IbLb1EEEEDaST_SU_EUlST_E_NS1_11comp_targetILNS1_3genE3ELNS1_11target_archE908ELNS1_3gpuE7ELNS1_3repE0EEENS1_30default_config_static_selectorELNS0_4arch9wavefront6targetE0EEEvT1_.has_recursion, 0
	.set _ZN7rocprim17ROCPRIM_400000_NS6detail17trampoline_kernelINS0_14default_configENS1_27scan_by_key_config_selectorIssEEZZNS1_16scan_by_key_implILNS1_25lookback_scan_determinismE0ELb0ES3_N6thrust23THRUST_200600_302600_NS6detail15normal_iteratorINS9_10device_ptrIsEEEESE_SE_sNS9_4plusIsEE19head_flag_predicatesEE10hipError_tPvRmT2_T3_T4_T5_mT6_T7_P12ihipStream_tbENKUlT_T0_E_clISt17integral_constantIbLb0EESX_IbLb1EEEEDaST_SU_EUlST_E_NS1_11comp_targetILNS1_3genE3ELNS1_11target_archE908ELNS1_3gpuE7ELNS1_3repE0EEENS1_30default_config_static_selectorELNS0_4arch9wavefront6targetE0EEEvT1_.has_indirect_call, 0
	.section	.AMDGPU.csdata,"",@progbits
; Kernel info:
; codeLenInByte = 0
; TotalNumSgprs: 0
; NumVgprs: 0
; ScratchSize: 0
; MemoryBound: 0
; FloatMode: 240
; IeeeMode: 1
; LDSByteSize: 0 bytes/workgroup (compile time only)
; SGPRBlocks: 0
; VGPRBlocks: 0
; NumSGPRsForWavesPerEU: 1
; NumVGPRsForWavesPerEU: 1
; NamedBarCnt: 0
; Occupancy: 16
; WaveLimiterHint : 0
; COMPUTE_PGM_RSRC2:SCRATCH_EN: 0
; COMPUTE_PGM_RSRC2:USER_SGPR: 2
; COMPUTE_PGM_RSRC2:TRAP_HANDLER: 0
; COMPUTE_PGM_RSRC2:TGID_X_EN: 1
; COMPUTE_PGM_RSRC2:TGID_Y_EN: 0
; COMPUTE_PGM_RSRC2:TGID_Z_EN: 0
; COMPUTE_PGM_RSRC2:TIDIG_COMP_CNT: 0
	.section	.text._ZN7rocprim17ROCPRIM_400000_NS6detail17trampoline_kernelINS0_14default_configENS1_27scan_by_key_config_selectorIssEEZZNS1_16scan_by_key_implILNS1_25lookback_scan_determinismE0ELb0ES3_N6thrust23THRUST_200600_302600_NS6detail15normal_iteratorINS9_10device_ptrIsEEEESE_SE_sNS9_4plusIsEE19head_flag_predicatesEE10hipError_tPvRmT2_T3_T4_T5_mT6_T7_P12ihipStream_tbENKUlT_T0_E_clISt17integral_constantIbLb0EESX_IbLb1EEEEDaST_SU_EUlST_E_NS1_11comp_targetILNS1_3genE2ELNS1_11target_archE906ELNS1_3gpuE6ELNS1_3repE0EEENS1_30default_config_static_selectorELNS0_4arch9wavefront6targetE0EEEvT1_,"axG",@progbits,_ZN7rocprim17ROCPRIM_400000_NS6detail17trampoline_kernelINS0_14default_configENS1_27scan_by_key_config_selectorIssEEZZNS1_16scan_by_key_implILNS1_25lookback_scan_determinismE0ELb0ES3_N6thrust23THRUST_200600_302600_NS6detail15normal_iteratorINS9_10device_ptrIsEEEESE_SE_sNS9_4plusIsEE19head_flag_predicatesEE10hipError_tPvRmT2_T3_T4_T5_mT6_T7_P12ihipStream_tbENKUlT_T0_E_clISt17integral_constantIbLb0EESX_IbLb1EEEEDaST_SU_EUlST_E_NS1_11comp_targetILNS1_3genE2ELNS1_11target_archE906ELNS1_3gpuE6ELNS1_3repE0EEENS1_30default_config_static_selectorELNS0_4arch9wavefront6targetE0EEEvT1_,comdat
	.protected	_ZN7rocprim17ROCPRIM_400000_NS6detail17trampoline_kernelINS0_14default_configENS1_27scan_by_key_config_selectorIssEEZZNS1_16scan_by_key_implILNS1_25lookback_scan_determinismE0ELb0ES3_N6thrust23THRUST_200600_302600_NS6detail15normal_iteratorINS9_10device_ptrIsEEEESE_SE_sNS9_4plusIsEE19head_flag_predicatesEE10hipError_tPvRmT2_T3_T4_T5_mT6_T7_P12ihipStream_tbENKUlT_T0_E_clISt17integral_constantIbLb0EESX_IbLb1EEEEDaST_SU_EUlST_E_NS1_11comp_targetILNS1_3genE2ELNS1_11target_archE906ELNS1_3gpuE6ELNS1_3repE0EEENS1_30default_config_static_selectorELNS0_4arch9wavefront6targetE0EEEvT1_ ; -- Begin function _ZN7rocprim17ROCPRIM_400000_NS6detail17trampoline_kernelINS0_14default_configENS1_27scan_by_key_config_selectorIssEEZZNS1_16scan_by_key_implILNS1_25lookback_scan_determinismE0ELb0ES3_N6thrust23THRUST_200600_302600_NS6detail15normal_iteratorINS9_10device_ptrIsEEEESE_SE_sNS9_4plusIsEE19head_flag_predicatesEE10hipError_tPvRmT2_T3_T4_T5_mT6_T7_P12ihipStream_tbENKUlT_T0_E_clISt17integral_constantIbLb0EESX_IbLb1EEEEDaST_SU_EUlST_E_NS1_11comp_targetILNS1_3genE2ELNS1_11target_archE906ELNS1_3gpuE6ELNS1_3repE0EEENS1_30default_config_static_selectorELNS0_4arch9wavefront6targetE0EEEvT1_
	.globl	_ZN7rocprim17ROCPRIM_400000_NS6detail17trampoline_kernelINS0_14default_configENS1_27scan_by_key_config_selectorIssEEZZNS1_16scan_by_key_implILNS1_25lookback_scan_determinismE0ELb0ES3_N6thrust23THRUST_200600_302600_NS6detail15normal_iteratorINS9_10device_ptrIsEEEESE_SE_sNS9_4plusIsEE19head_flag_predicatesEE10hipError_tPvRmT2_T3_T4_T5_mT6_T7_P12ihipStream_tbENKUlT_T0_E_clISt17integral_constantIbLb0EESX_IbLb1EEEEDaST_SU_EUlST_E_NS1_11comp_targetILNS1_3genE2ELNS1_11target_archE906ELNS1_3gpuE6ELNS1_3repE0EEENS1_30default_config_static_selectorELNS0_4arch9wavefront6targetE0EEEvT1_
	.p2align	8
	.type	_ZN7rocprim17ROCPRIM_400000_NS6detail17trampoline_kernelINS0_14default_configENS1_27scan_by_key_config_selectorIssEEZZNS1_16scan_by_key_implILNS1_25lookback_scan_determinismE0ELb0ES3_N6thrust23THRUST_200600_302600_NS6detail15normal_iteratorINS9_10device_ptrIsEEEESE_SE_sNS9_4plusIsEE19head_flag_predicatesEE10hipError_tPvRmT2_T3_T4_T5_mT6_T7_P12ihipStream_tbENKUlT_T0_E_clISt17integral_constantIbLb0EESX_IbLb1EEEEDaST_SU_EUlST_E_NS1_11comp_targetILNS1_3genE2ELNS1_11target_archE906ELNS1_3gpuE6ELNS1_3repE0EEENS1_30default_config_static_selectorELNS0_4arch9wavefront6targetE0EEEvT1_,@function
_ZN7rocprim17ROCPRIM_400000_NS6detail17trampoline_kernelINS0_14default_configENS1_27scan_by_key_config_selectorIssEEZZNS1_16scan_by_key_implILNS1_25lookback_scan_determinismE0ELb0ES3_N6thrust23THRUST_200600_302600_NS6detail15normal_iteratorINS9_10device_ptrIsEEEESE_SE_sNS9_4plusIsEE19head_flag_predicatesEE10hipError_tPvRmT2_T3_T4_T5_mT6_T7_P12ihipStream_tbENKUlT_T0_E_clISt17integral_constantIbLb0EESX_IbLb1EEEEDaST_SU_EUlST_E_NS1_11comp_targetILNS1_3genE2ELNS1_11target_archE906ELNS1_3gpuE6ELNS1_3repE0EEENS1_30default_config_static_selectorELNS0_4arch9wavefront6targetE0EEEvT1_: ; @_ZN7rocprim17ROCPRIM_400000_NS6detail17trampoline_kernelINS0_14default_configENS1_27scan_by_key_config_selectorIssEEZZNS1_16scan_by_key_implILNS1_25lookback_scan_determinismE0ELb0ES3_N6thrust23THRUST_200600_302600_NS6detail15normal_iteratorINS9_10device_ptrIsEEEESE_SE_sNS9_4plusIsEE19head_flag_predicatesEE10hipError_tPvRmT2_T3_T4_T5_mT6_T7_P12ihipStream_tbENKUlT_T0_E_clISt17integral_constantIbLb0EESX_IbLb1EEEEDaST_SU_EUlST_E_NS1_11comp_targetILNS1_3genE2ELNS1_11target_archE906ELNS1_3gpuE6ELNS1_3repE0EEENS1_30default_config_static_selectorELNS0_4arch9wavefront6targetE0EEEvT1_
; %bb.0:
	.section	.rodata,"a",@progbits
	.p2align	6, 0x0
	.amdhsa_kernel _ZN7rocprim17ROCPRIM_400000_NS6detail17trampoline_kernelINS0_14default_configENS1_27scan_by_key_config_selectorIssEEZZNS1_16scan_by_key_implILNS1_25lookback_scan_determinismE0ELb0ES3_N6thrust23THRUST_200600_302600_NS6detail15normal_iteratorINS9_10device_ptrIsEEEESE_SE_sNS9_4plusIsEE19head_flag_predicatesEE10hipError_tPvRmT2_T3_T4_T5_mT6_T7_P12ihipStream_tbENKUlT_T0_E_clISt17integral_constantIbLb0EESX_IbLb1EEEEDaST_SU_EUlST_E_NS1_11comp_targetILNS1_3genE2ELNS1_11target_archE906ELNS1_3gpuE6ELNS1_3repE0EEENS1_30default_config_static_selectorELNS0_4arch9wavefront6targetE0EEEvT1_
		.amdhsa_group_segment_fixed_size 0
		.amdhsa_private_segment_fixed_size 0
		.amdhsa_kernarg_size 112
		.amdhsa_user_sgpr_count 2
		.amdhsa_user_sgpr_dispatch_ptr 0
		.amdhsa_user_sgpr_queue_ptr 0
		.amdhsa_user_sgpr_kernarg_segment_ptr 1
		.amdhsa_user_sgpr_dispatch_id 0
		.amdhsa_user_sgpr_kernarg_preload_length 0
		.amdhsa_user_sgpr_kernarg_preload_offset 0
		.amdhsa_user_sgpr_private_segment_size 0
		.amdhsa_wavefront_size32 1
		.amdhsa_uses_dynamic_stack 0
		.amdhsa_enable_private_segment 0
		.amdhsa_system_sgpr_workgroup_id_x 1
		.amdhsa_system_sgpr_workgroup_id_y 0
		.amdhsa_system_sgpr_workgroup_id_z 0
		.amdhsa_system_sgpr_workgroup_info 0
		.amdhsa_system_vgpr_workitem_id 0
		.amdhsa_next_free_vgpr 1
		.amdhsa_next_free_sgpr 1
		.amdhsa_named_barrier_count 0
		.amdhsa_reserve_vcc 0
		.amdhsa_float_round_mode_32 0
		.amdhsa_float_round_mode_16_64 0
		.amdhsa_float_denorm_mode_32 3
		.amdhsa_float_denorm_mode_16_64 3
		.amdhsa_fp16_overflow 0
		.amdhsa_memory_ordered 1
		.amdhsa_forward_progress 1
		.amdhsa_inst_pref_size 0
		.amdhsa_round_robin_scheduling 0
		.amdhsa_exception_fp_ieee_invalid_op 0
		.amdhsa_exception_fp_denorm_src 0
		.amdhsa_exception_fp_ieee_div_zero 0
		.amdhsa_exception_fp_ieee_overflow 0
		.amdhsa_exception_fp_ieee_underflow 0
		.amdhsa_exception_fp_ieee_inexact 0
		.amdhsa_exception_int_div_zero 0
	.end_amdhsa_kernel
	.section	.text._ZN7rocprim17ROCPRIM_400000_NS6detail17trampoline_kernelINS0_14default_configENS1_27scan_by_key_config_selectorIssEEZZNS1_16scan_by_key_implILNS1_25lookback_scan_determinismE0ELb0ES3_N6thrust23THRUST_200600_302600_NS6detail15normal_iteratorINS9_10device_ptrIsEEEESE_SE_sNS9_4plusIsEE19head_flag_predicatesEE10hipError_tPvRmT2_T3_T4_T5_mT6_T7_P12ihipStream_tbENKUlT_T0_E_clISt17integral_constantIbLb0EESX_IbLb1EEEEDaST_SU_EUlST_E_NS1_11comp_targetILNS1_3genE2ELNS1_11target_archE906ELNS1_3gpuE6ELNS1_3repE0EEENS1_30default_config_static_selectorELNS0_4arch9wavefront6targetE0EEEvT1_,"axG",@progbits,_ZN7rocprim17ROCPRIM_400000_NS6detail17trampoline_kernelINS0_14default_configENS1_27scan_by_key_config_selectorIssEEZZNS1_16scan_by_key_implILNS1_25lookback_scan_determinismE0ELb0ES3_N6thrust23THRUST_200600_302600_NS6detail15normal_iteratorINS9_10device_ptrIsEEEESE_SE_sNS9_4plusIsEE19head_flag_predicatesEE10hipError_tPvRmT2_T3_T4_T5_mT6_T7_P12ihipStream_tbENKUlT_T0_E_clISt17integral_constantIbLb0EESX_IbLb1EEEEDaST_SU_EUlST_E_NS1_11comp_targetILNS1_3genE2ELNS1_11target_archE906ELNS1_3gpuE6ELNS1_3repE0EEENS1_30default_config_static_selectorELNS0_4arch9wavefront6targetE0EEEvT1_,comdat
.Lfunc_end853:
	.size	_ZN7rocprim17ROCPRIM_400000_NS6detail17trampoline_kernelINS0_14default_configENS1_27scan_by_key_config_selectorIssEEZZNS1_16scan_by_key_implILNS1_25lookback_scan_determinismE0ELb0ES3_N6thrust23THRUST_200600_302600_NS6detail15normal_iteratorINS9_10device_ptrIsEEEESE_SE_sNS9_4plusIsEE19head_flag_predicatesEE10hipError_tPvRmT2_T3_T4_T5_mT6_T7_P12ihipStream_tbENKUlT_T0_E_clISt17integral_constantIbLb0EESX_IbLb1EEEEDaST_SU_EUlST_E_NS1_11comp_targetILNS1_3genE2ELNS1_11target_archE906ELNS1_3gpuE6ELNS1_3repE0EEENS1_30default_config_static_selectorELNS0_4arch9wavefront6targetE0EEEvT1_, .Lfunc_end853-_ZN7rocprim17ROCPRIM_400000_NS6detail17trampoline_kernelINS0_14default_configENS1_27scan_by_key_config_selectorIssEEZZNS1_16scan_by_key_implILNS1_25lookback_scan_determinismE0ELb0ES3_N6thrust23THRUST_200600_302600_NS6detail15normal_iteratorINS9_10device_ptrIsEEEESE_SE_sNS9_4plusIsEE19head_flag_predicatesEE10hipError_tPvRmT2_T3_T4_T5_mT6_T7_P12ihipStream_tbENKUlT_T0_E_clISt17integral_constantIbLb0EESX_IbLb1EEEEDaST_SU_EUlST_E_NS1_11comp_targetILNS1_3genE2ELNS1_11target_archE906ELNS1_3gpuE6ELNS1_3repE0EEENS1_30default_config_static_selectorELNS0_4arch9wavefront6targetE0EEEvT1_
                                        ; -- End function
	.set _ZN7rocprim17ROCPRIM_400000_NS6detail17trampoline_kernelINS0_14default_configENS1_27scan_by_key_config_selectorIssEEZZNS1_16scan_by_key_implILNS1_25lookback_scan_determinismE0ELb0ES3_N6thrust23THRUST_200600_302600_NS6detail15normal_iteratorINS9_10device_ptrIsEEEESE_SE_sNS9_4plusIsEE19head_flag_predicatesEE10hipError_tPvRmT2_T3_T4_T5_mT6_T7_P12ihipStream_tbENKUlT_T0_E_clISt17integral_constantIbLb0EESX_IbLb1EEEEDaST_SU_EUlST_E_NS1_11comp_targetILNS1_3genE2ELNS1_11target_archE906ELNS1_3gpuE6ELNS1_3repE0EEENS1_30default_config_static_selectorELNS0_4arch9wavefront6targetE0EEEvT1_.num_vgpr, 0
	.set _ZN7rocprim17ROCPRIM_400000_NS6detail17trampoline_kernelINS0_14default_configENS1_27scan_by_key_config_selectorIssEEZZNS1_16scan_by_key_implILNS1_25lookback_scan_determinismE0ELb0ES3_N6thrust23THRUST_200600_302600_NS6detail15normal_iteratorINS9_10device_ptrIsEEEESE_SE_sNS9_4plusIsEE19head_flag_predicatesEE10hipError_tPvRmT2_T3_T4_T5_mT6_T7_P12ihipStream_tbENKUlT_T0_E_clISt17integral_constantIbLb0EESX_IbLb1EEEEDaST_SU_EUlST_E_NS1_11comp_targetILNS1_3genE2ELNS1_11target_archE906ELNS1_3gpuE6ELNS1_3repE0EEENS1_30default_config_static_selectorELNS0_4arch9wavefront6targetE0EEEvT1_.num_agpr, 0
	.set _ZN7rocprim17ROCPRIM_400000_NS6detail17trampoline_kernelINS0_14default_configENS1_27scan_by_key_config_selectorIssEEZZNS1_16scan_by_key_implILNS1_25lookback_scan_determinismE0ELb0ES3_N6thrust23THRUST_200600_302600_NS6detail15normal_iteratorINS9_10device_ptrIsEEEESE_SE_sNS9_4plusIsEE19head_flag_predicatesEE10hipError_tPvRmT2_T3_T4_T5_mT6_T7_P12ihipStream_tbENKUlT_T0_E_clISt17integral_constantIbLb0EESX_IbLb1EEEEDaST_SU_EUlST_E_NS1_11comp_targetILNS1_3genE2ELNS1_11target_archE906ELNS1_3gpuE6ELNS1_3repE0EEENS1_30default_config_static_selectorELNS0_4arch9wavefront6targetE0EEEvT1_.numbered_sgpr, 0
	.set _ZN7rocprim17ROCPRIM_400000_NS6detail17trampoline_kernelINS0_14default_configENS1_27scan_by_key_config_selectorIssEEZZNS1_16scan_by_key_implILNS1_25lookback_scan_determinismE0ELb0ES3_N6thrust23THRUST_200600_302600_NS6detail15normal_iteratorINS9_10device_ptrIsEEEESE_SE_sNS9_4plusIsEE19head_flag_predicatesEE10hipError_tPvRmT2_T3_T4_T5_mT6_T7_P12ihipStream_tbENKUlT_T0_E_clISt17integral_constantIbLb0EESX_IbLb1EEEEDaST_SU_EUlST_E_NS1_11comp_targetILNS1_3genE2ELNS1_11target_archE906ELNS1_3gpuE6ELNS1_3repE0EEENS1_30default_config_static_selectorELNS0_4arch9wavefront6targetE0EEEvT1_.num_named_barrier, 0
	.set _ZN7rocprim17ROCPRIM_400000_NS6detail17trampoline_kernelINS0_14default_configENS1_27scan_by_key_config_selectorIssEEZZNS1_16scan_by_key_implILNS1_25lookback_scan_determinismE0ELb0ES3_N6thrust23THRUST_200600_302600_NS6detail15normal_iteratorINS9_10device_ptrIsEEEESE_SE_sNS9_4plusIsEE19head_flag_predicatesEE10hipError_tPvRmT2_T3_T4_T5_mT6_T7_P12ihipStream_tbENKUlT_T0_E_clISt17integral_constantIbLb0EESX_IbLb1EEEEDaST_SU_EUlST_E_NS1_11comp_targetILNS1_3genE2ELNS1_11target_archE906ELNS1_3gpuE6ELNS1_3repE0EEENS1_30default_config_static_selectorELNS0_4arch9wavefront6targetE0EEEvT1_.private_seg_size, 0
	.set _ZN7rocprim17ROCPRIM_400000_NS6detail17trampoline_kernelINS0_14default_configENS1_27scan_by_key_config_selectorIssEEZZNS1_16scan_by_key_implILNS1_25lookback_scan_determinismE0ELb0ES3_N6thrust23THRUST_200600_302600_NS6detail15normal_iteratorINS9_10device_ptrIsEEEESE_SE_sNS9_4plusIsEE19head_flag_predicatesEE10hipError_tPvRmT2_T3_T4_T5_mT6_T7_P12ihipStream_tbENKUlT_T0_E_clISt17integral_constantIbLb0EESX_IbLb1EEEEDaST_SU_EUlST_E_NS1_11comp_targetILNS1_3genE2ELNS1_11target_archE906ELNS1_3gpuE6ELNS1_3repE0EEENS1_30default_config_static_selectorELNS0_4arch9wavefront6targetE0EEEvT1_.uses_vcc, 0
	.set _ZN7rocprim17ROCPRIM_400000_NS6detail17trampoline_kernelINS0_14default_configENS1_27scan_by_key_config_selectorIssEEZZNS1_16scan_by_key_implILNS1_25lookback_scan_determinismE0ELb0ES3_N6thrust23THRUST_200600_302600_NS6detail15normal_iteratorINS9_10device_ptrIsEEEESE_SE_sNS9_4plusIsEE19head_flag_predicatesEE10hipError_tPvRmT2_T3_T4_T5_mT6_T7_P12ihipStream_tbENKUlT_T0_E_clISt17integral_constantIbLb0EESX_IbLb1EEEEDaST_SU_EUlST_E_NS1_11comp_targetILNS1_3genE2ELNS1_11target_archE906ELNS1_3gpuE6ELNS1_3repE0EEENS1_30default_config_static_selectorELNS0_4arch9wavefront6targetE0EEEvT1_.uses_flat_scratch, 0
	.set _ZN7rocprim17ROCPRIM_400000_NS6detail17trampoline_kernelINS0_14default_configENS1_27scan_by_key_config_selectorIssEEZZNS1_16scan_by_key_implILNS1_25lookback_scan_determinismE0ELb0ES3_N6thrust23THRUST_200600_302600_NS6detail15normal_iteratorINS9_10device_ptrIsEEEESE_SE_sNS9_4plusIsEE19head_flag_predicatesEE10hipError_tPvRmT2_T3_T4_T5_mT6_T7_P12ihipStream_tbENKUlT_T0_E_clISt17integral_constantIbLb0EESX_IbLb1EEEEDaST_SU_EUlST_E_NS1_11comp_targetILNS1_3genE2ELNS1_11target_archE906ELNS1_3gpuE6ELNS1_3repE0EEENS1_30default_config_static_selectorELNS0_4arch9wavefront6targetE0EEEvT1_.has_dyn_sized_stack, 0
	.set _ZN7rocprim17ROCPRIM_400000_NS6detail17trampoline_kernelINS0_14default_configENS1_27scan_by_key_config_selectorIssEEZZNS1_16scan_by_key_implILNS1_25lookback_scan_determinismE0ELb0ES3_N6thrust23THRUST_200600_302600_NS6detail15normal_iteratorINS9_10device_ptrIsEEEESE_SE_sNS9_4plusIsEE19head_flag_predicatesEE10hipError_tPvRmT2_T3_T4_T5_mT6_T7_P12ihipStream_tbENKUlT_T0_E_clISt17integral_constantIbLb0EESX_IbLb1EEEEDaST_SU_EUlST_E_NS1_11comp_targetILNS1_3genE2ELNS1_11target_archE906ELNS1_3gpuE6ELNS1_3repE0EEENS1_30default_config_static_selectorELNS0_4arch9wavefront6targetE0EEEvT1_.has_recursion, 0
	.set _ZN7rocprim17ROCPRIM_400000_NS6detail17trampoline_kernelINS0_14default_configENS1_27scan_by_key_config_selectorIssEEZZNS1_16scan_by_key_implILNS1_25lookback_scan_determinismE0ELb0ES3_N6thrust23THRUST_200600_302600_NS6detail15normal_iteratorINS9_10device_ptrIsEEEESE_SE_sNS9_4plusIsEE19head_flag_predicatesEE10hipError_tPvRmT2_T3_T4_T5_mT6_T7_P12ihipStream_tbENKUlT_T0_E_clISt17integral_constantIbLb0EESX_IbLb1EEEEDaST_SU_EUlST_E_NS1_11comp_targetILNS1_3genE2ELNS1_11target_archE906ELNS1_3gpuE6ELNS1_3repE0EEENS1_30default_config_static_selectorELNS0_4arch9wavefront6targetE0EEEvT1_.has_indirect_call, 0
	.section	.AMDGPU.csdata,"",@progbits
; Kernel info:
; codeLenInByte = 0
; TotalNumSgprs: 0
; NumVgprs: 0
; ScratchSize: 0
; MemoryBound: 0
; FloatMode: 240
; IeeeMode: 1
; LDSByteSize: 0 bytes/workgroup (compile time only)
; SGPRBlocks: 0
; VGPRBlocks: 0
; NumSGPRsForWavesPerEU: 1
; NumVGPRsForWavesPerEU: 1
; NamedBarCnt: 0
; Occupancy: 16
; WaveLimiterHint : 0
; COMPUTE_PGM_RSRC2:SCRATCH_EN: 0
; COMPUTE_PGM_RSRC2:USER_SGPR: 2
; COMPUTE_PGM_RSRC2:TRAP_HANDLER: 0
; COMPUTE_PGM_RSRC2:TGID_X_EN: 1
; COMPUTE_PGM_RSRC2:TGID_Y_EN: 0
; COMPUTE_PGM_RSRC2:TGID_Z_EN: 0
; COMPUTE_PGM_RSRC2:TIDIG_COMP_CNT: 0
	.section	.text._ZN7rocprim17ROCPRIM_400000_NS6detail17trampoline_kernelINS0_14default_configENS1_27scan_by_key_config_selectorIssEEZZNS1_16scan_by_key_implILNS1_25lookback_scan_determinismE0ELb0ES3_N6thrust23THRUST_200600_302600_NS6detail15normal_iteratorINS9_10device_ptrIsEEEESE_SE_sNS9_4plusIsEE19head_flag_predicatesEE10hipError_tPvRmT2_T3_T4_T5_mT6_T7_P12ihipStream_tbENKUlT_T0_E_clISt17integral_constantIbLb0EESX_IbLb1EEEEDaST_SU_EUlST_E_NS1_11comp_targetILNS1_3genE10ELNS1_11target_archE1200ELNS1_3gpuE4ELNS1_3repE0EEENS1_30default_config_static_selectorELNS0_4arch9wavefront6targetE0EEEvT1_,"axG",@progbits,_ZN7rocprim17ROCPRIM_400000_NS6detail17trampoline_kernelINS0_14default_configENS1_27scan_by_key_config_selectorIssEEZZNS1_16scan_by_key_implILNS1_25lookback_scan_determinismE0ELb0ES3_N6thrust23THRUST_200600_302600_NS6detail15normal_iteratorINS9_10device_ptrIsEEEESE_SE_sNS9_4plusIsEE19head_flag_predicatesEE10hipError_tPvRmT2_T3_T4_T5_mT6_T7_P12ihipStream_tbENKUlT_T0_E_clISt17integral_constantIbLb0EESX_IbLb1EEEEDaST_SU_EUlST_E_NS1_11comp_targetILNS1_3genE10ELNS1_11target_archE1200ELNS1_3gpuE4ELNS1_3repE0EEENS1_30default_config_static_selectorELNS0_4arch9wavefront6targetE0EEEvT1_,comdat
	.protected	_ZN7rocprim17ROCPRIM_400000_NS6detail17trampoline_kernelINS0_14default_configENS1_27scan_by_key_config_selectorIssEEZZNS1_16scan_by_key_implILNS1_25lookback_scan_determinismE0ELb0ES3_N6thrust23THRUST_200600_302600_NS6detail15normal_iteratorINS9_10device_ptrIsEEEESE_SE_sNS9_4plusIsEE19head_flag_predicatesEE10hipError_tPvRmT2_T3_T4_T5_mT6_T7_P12ihipStream_tbENKUlT_T0_E_clISt17integral_constantIbLb0EESX_IbLb1EEEEDaST_SU_EUlST_E_NS1_11comp_targetILNS1_3genE10ELNS1_11target_archE1200ELNS1_3gpuE4ELNS1_3repE0EEENS1_30default_config_static_selectorELNS0_4arch9wavefront6targetE0EEEvT1_ ; -- Begin function _ZN7rocprim17ROCPRIM_400000_NS6detail17trampoline_kernelINS0_14default_configENS1_27scan_by_key_config_selectorIssEEZZNS1_16scan_by_key_implILNS1_25lookback_scan_determinismE0ELb0ES3_N6thrust23THRUST_200600_302600_NS6detail15normal_iteratorINS9_10device_ptrIsEEEESE_SE_sNS9_4plusIsEE19head_flag_predicatesEE10hipError_tPvRmT2_T3_T4_T5_mT6_T7_P12ihipStream_tbENKUlT_T0_E_clISt17integral_constantIbLb0EESX_IbLb1EEEEDaST_SU_EUlST_E_NS1_11comp_targetILNS1_3genE10ELNS1_11target_archE1200ELNS1_3gpuE4ELNS1_3repE0EEENS1_30default_config_static_selectorELNS0_4arch9wavefront6targetE0EEEvT1_
	.globl	_ZN7rocprim17ROCPRIM_400000_NS6detail17trampoline_kernelINS0_14default_configENS1_27scan_by_key_config_selectorIssEEZZNS1_16scan_by_key_implILNS1_25lookback_scan_determinismE0ELb0ES3_N6thrust23THRUST_200600_302600_NS6detail15normal_iteratorINS9_10device_ptrIsEEEESE_SE_sNS9_4plusIsEE19head_flag_predicatesEE10hipError_tPvRmT2_T3_T4_T5_mT6_T7_P12ihipStream_tbENKUlT_T0_E_clISt17integral_constantIbLb0EESX_IbLb1EEEEDaST_SU_EUlST_E_NS1_11comp_targetILNS1_3genE10ELNS1_11target_archE1200ELNS1_3gpuE4ELNS1_3repE0EEENS1_30default_config_static_selectorELNS0_4arch9wavefront6targetE0EEEvT1_
	.p2align	8
	.type	_ZN7rocprim17ROCPRIM_400000_NS6detail17trampoline_kernelINS0_14default_configENS1_27scan_by_key_config_selectorIssEEZZNS1_16scan_by_key_implILNS1_25lookback_scan_determinismE0ELb0ES3_N6thrust23THRUST_200600_302600_NS6detail15normal_iteratorINS9_10device_ptrIsEEEESE_SE_sNS9_4plusIsEE19head_flag_predicatesEE10hipError_tPvRmT2_T3_T4_T5_mT6_T7_P12ihipStream_tbENKUlT_T0_E_clISt17integral_constantIbLb0EESX_IbLb1EEEEDaST_SU_EUlST_E_NS1_11comp_targetILNS1_3genE10ELNS1_11target_archE1200ELNS1_3gpuE4ELNS1_3repE0EEENS1_30default_config_static_selectorELNS0_4arch9wavefront6targetE0EEEvT1_,@function
_ZN7rocprim17ROCPRIM_400000_NS6detail17trampoline_kernelINS0_14default_configENS1_27scan_by_key_config_selectorIssEEZZNS1_16scan_by_key_implILNS1_25lookback_scan_determinismE0ELb0ES3_N6thrust23THRUST_200600_302600_NS6detail15normal_iteratorINS9_10device_ptrIsEEEESE_SE_sNS9_4plusIsEE19head_flag_predicatesEE10hipError_tPvRmT2_T3_T4_T5_mT6_T7_P12ihipStream_tbENKUlT_T0_E_clISt17integral_constantIbLb0EESX_IbLb1EEEEDaST_SU_EUlST_E_NS1_11comp_targetILNS1_3genE10ELNS1_11target_archE1200ELNS1_3gpuE4ELNS1_3repE0EEENS1_30default_config_static_selectorELNS0_4arch9wavefront6targetE0EEEvT1_: ; @_ZN7rocprim17ROCPRIM_400000_NS6detail17trampoline_kernelINS0_14default_configENS1_27scan_by_key_config_selectorIssEEZZNS1_16scan_by_key_implILNS1_25lookback_scan_determinismE0ELb0ES3_N6thrust23THRUST_200600_302600_NS6detail15normal_iteratorINS9_10device_ptrIsEEEESE_SE_sNS9_4plusIsEE19head_flag_predicatesEE10hipError_tPvRmT2_T3_T4_T5_mT6_T7_P12ihipStream_tbENKUlT_T0_E_clISt17integral_constantIbLb0EESX_IbLb1EEEEDaST_SU_EUlST_E_NS1_11comp_targetILNS1_3genE10ELNS1_11target_archE1200ELNS1_3gpuE4ELNS1_3repE0EEENS1_30default_config_static_selectorELNS0_4arch9wavefront6targetE0EEEvT1_
; %bb.0:
	.section	.rodata,"a",@progbits
	.p2align	6, 0x0
	.amdhsa_kernel _ZN7rocprim17ROCPRIM_400000_NS6detail17trampoline_kernelINS0_14default_configENS1_27scan_by_key_config_selectorIssEEZZNS1_16scan_by_key_implILNS1_25lookback_scan_determinismE0ELb0ES3_N6thrust23THRUST_200600_302600_NS6detail15normal_iteratorINS9_10device_ptrIsEEEESE_SE_sNS9_4plusIsEE19head_flag_predicatesEE10hipError_tPvRmT2_T3_T4_T5_mT6_T7_P12ihipStream_tbENKUlT_T0_E_clISt17integral_constantIbLb0EESX_IbLb1EEEEDaST_SU_EUlST_E_NS1_11comp_targetILNS1_3genE10ELNS1_11target_archE1200ELNS1_3gpuE4ELNS1_3repE0EEENS1_30default_config_static_selectorELNS0_4arch9wavefront6targetE0EEEvT1_
		.amdhsa_group_segment_fixed_size 0
		.amdhsa_private_segment_fixed_size 0
		.amdhsa_kernarg_size 112
		.amdhsa_user_sgpr_count 2
		.amdhsa_user_sgpr_dispatch_ptr 0
		.amdhsa_user_sgpr_queue_ptr 0
		.amdhsa_user_sgpr_kernarg_segment_ptr 1
		.amdhsa_user_sgpr_dispatch_id 0
		.amdhsa_user_sgpr_kernarg_preload_length 0
		.amdhsa_user_sgpr_kernarg_preload_offset 0
		.amdhsa_user_sgpr_private_segment_size 0
		.amdhsa_wavefront_size32 1
		.amdhsa_uses_dynamic_stack 0
		.amdhsa_enable_private_segment 0
		.amdhsa_system_sgpr_workgroup_id_x 1
		.amdhsa_system_sgpr_workgroup_id_y 0
		.amdhsa_system_sgpr_workgroup_id_z 0
		.amdhsa_system_sgpr_workgroup_info 0
		.amdhsa_system_vgpr_workitem_id 0
		.amdhsa_next_free_vgpr 1
		.amdhsa_next_free_sgpr 1
		.amdhsa_named_barrier_count 0
		.amdhsa_reserve_vcc 0
		.amdhsa_float_round_mode_32 0
		.amdhsa_float_round_mode_16_64 0
		.amdhsa_float_denorm_mode_32 3
		.amdhsa_float_denorm_mode_16_64 3
		.amdhsa_fp16_overflow 0
		.amdhsa_memory_ordered 1
		.amdhsa_forward_progress 1
		.amdhsa_inst_pref_size 0
		.amdhsa_round_robin_scheduling 0
		.amdhsa_exception_fp_ieee_invalid_op 0
		.amdhsa_exception_fp_denorm_src 0
		.amdhsa_exception_fp_ieee_div_zero 0
		.amdhsa_exception_fp_ieee_overflow 0
		.amdhsa_exception_fp_ieee_underflow 0
		.amdhsa_exception_fp_ieee_inexact 0
		.amdhsa_exception_int_div_zero 0
	.end_amdhsa_kernel
	.section	.text._ZN7rocprim17ROCPRIM_400000_NS6detail17trampoline_kernelINS0_14default_configENS1_27scan_by_key_config_selectorIssEEZZNS1_16scan_by_key_implILNS1_25lookback_scan_determinismE0ELb0ES3_N6thrust23THRUST_200600_302600_NS6detail15normal_iteratorINS9_10device_ptrIsEEEESE_SE_sNS9_4plusIsEE19head_flag_predicatesEE10hipError_tPvRmT2_T3_T4_T5_mT6_T7_P12ihipStream_tbENKUlT_T0_E_clISt17integral_constantIbLb0EESX_IbLb1EEEEDaST_SU_EUlST_E_NS1_11comp_targetILNS1_3genE10ELNS1_11target_archE1200ELNS1_3gpuE4ELNS1_3repE0EEENS1_30default_config_static_selectorELNS0_4arch9wavefront6targetE0EEEvT1_,"axG",@progbits,_ZN7rocprim17ROCPRIM_400000_NS6detail17trampoline_kernelINS0_14default_configENS1_27scan_by_key_config_selectorIssEEZZNS1_16scan_by_key_implILNS1_25lookback_scan_determinismE0ELb0ES3_N6thrust23THRUST_200600_302600_NS6detail15normal_iteratorINS9_10device_ptrIsEEEESE_SE_sNS9_4plusIsEE19head_flag_predicatesEE10hipError_tPvRmT2_T3_T4_T5_mT6_T7_P12ihipStream_tbENKUlT_T0_E_clISt17integral_constantIbLb0EESX_IbLb1EEEEDaST_SU_EUlST_E_NS1_11comp_targetILNS1_3genE10ELNS1_11target_archE1200ELNS1_3gpuE4ELNS1_3repE0EEENS1_30default_config_static_selectorELNS0_4arch9wavefront6targetE0EEEvT1_,comdat
.Lfunc_end854:
	.size	_ZN7rocprim17ROCPRIM_400000_NS6detail17trampoline_kernelINS0_14default_configENS1_27scan_by_key_config_selectorIssEEZZNS1_16scan_by_key_implILNS1_25lookback_scan_determinismE0ELb0ES3_N6thrust23THRUST_200600_302600_NS6detail15normal_iteratorINS9_10device_ptrIsEEEESE_SE_sNS9_4plusIsEE19head_flag_predicatesEE10hipError_tPvRmT2_T3_T4_T5_mT6_T7_P12ihipStream_tbENKUlT_T0_E_clISt17integral_constantIbLb0EESX_IbLb1EEEEDaST_SU_EUlST_E_NS1_11comp_targetILNS1_3genE10ELNS1_11target_archE1200ELNS1_3gpuE4ELNS1_3repE0EEENS1_30default_config_static_selectorELNS0_4arch9wavefront6targetE0EEEvT1_, .Lfunc_end854-_ZN7rocprim17ROCPRIM_400000_NS6detail17trampoline_kernelINS0_14default_configENS1_27scan_by_key_config_selectorIssEEZZNS1_16scan_by_key_implILNS1_25lookback_scan_determinismE0ELb0ES3_N6thrust23THRUST_200600_302600_NS6detail15normal_iteratorINS9_10device_ptrIsEEEESE_SE_sNS9_4plusIsEE19head_flag_predicatesEE10hipError_tPvRmT2_T3_T4_T5_mT6_T7_P12ihipStream_tbENKUlT_T0_E_clISt17integral_constantIbLb0EESX_IbLb1EEEEDaST_SU_EUlST_E_NS1_11comp_targetILNS1_3genE10ELNS1_11target_archE1200ELNS1_3gpuE4ELNS1_3repE0EEENS1_30default_config_static_selectorELNS0_4arch9wavefront6targetE0EEEvT1_
                                        ; -- End function
	.set _ZN7rocprim17ROCPRIM_400000_NS6detail17trampoline_kernelINS0_14default_configENS1_27scan_by_key_config_selectorIssEEZZNS1_16scan_by_key_implILNS1_25lookback_scan_determinismE0ELb0ES3_N6thrust23THRUST_200600_302600_NS6detail15normal_iteratorINS9_10device_ptrIsEEEESE_SE_sNS9_4plusIsEE19head_flag_predicatesEE10hipError_tPvRmT2_T3_T4_T5_mT6_T7_P12ihipStream_tbENKUlT_T0_E_clISt17integral_constantIbLb0EESX_IbLb1EEEEDaST_SU_EUlST_E_NS1_11comp_targetILNS1_3genE10ELNS1_11target_archE1200ELNS1_3gpuE4ELNS1_3repE0EEENS1_30default_config_static_selectorELNS0_4arch9wavefront6targetE0EEEvT1_.num_vgpr, 0
	.set _ZN7rocprim17ROCPRIM_400000_NS6detail17trampoline_kernelINS0_14default_configENS1_27scan_by_key_config_selectorIssEEZZNS1_16scan_by_key_implILNS1_25lookback_scan_determinismE0ELb0ES3_N6thrust23THRUST_200600_302600_NS6detail15normal_iteratorINS9_10device_ptrIsEEEESE_SE_sNS9_4plusIsEE19head_flag_predicatesEE10hipError_tPvRmT2_T3_T4_T5_mT6_T7_P12ihipStream_tbENKUlT_T0_E_clISt17integral_constantIbLb0EESX_IbLb1EEEEDaST_SU_EUlST_E_NS1_11comp_targetILNS1_3genE10ELNS1_11target_archE1200ELNS1_3gpuE4ELNS1_3repE0EEENS1_30default_config_static_selectorELNS0_4arch9wavefront6targetE0EEEvT1_.num_agpr, 0
	.set _ZN7rocprim17ROCPRIM_400000_NS6detail17trampoline_kernelINS0_14default_configENS1_27scan_by_key_config_selectorIssEEZZNS1_16scan_by_key_implILNS1_25lookback_scan_determinismE0ELb0ES3_N6thrust23THRUST_200600_302600_NS6detail15normal_iteratorINS9_10device_ptrIsEEEESE_SE_sNS9_4plusIsEE19head_flag_predicatesEE10hipError_tPvRmT2_T3_T4_T5_mT6_T7_P12ihipStream_tbENKUlT_T0_E_clISt17integral_constantIbLb0EESX_IbLb1EEEEDaST_SU_EUlST_E_NS1_11comp_targetILNS1_3genE10ELNS1_11target_archE1200ELNS1_3gpuE4ELNS1_3repE0EEENS1_30default_config_static_selectorELNS0_4arch9wavefront6targetE0EEEvT1_.numbered_sgpr, 0
	.set _ZN7rocprim17ROCPRIM_400000_NS6detail17trampoline_kernelINS0_14default_configENS1_27scan_by_key_config_selectorIssEEZZNS1_16scan_by_key_implILNS1_25lookback_scan_determinismE0ELb0ES3_N6thrust23THRUST_200600_302600_NS6detail15normal_iteratorINS9_10device_ptrIsEEEESE_SE_sNS9_4plusIsEE19head_flag_predicatesEE10hipError_tPvRmT2_T3_T4_T5_mT6_T7_P12ihipStream_tbENKUlT_T0_E_clISt17integral_constantIbLb0EESX_IbLb1EEEEDaST_SU_EUlST_E_NS1_11comp_targetILNS1_3genE10ELNS1_11target_archE1200ELNS1_3gpuE4ELNS1_3repE0EEENS1_30default_config_static_selectorELNS0_4arch9wavefront6targetE0EEEvT1_.num_named_barrier, 0
	.set _ZN7rocprim17ROCPRIM_400000_NS6detail17trampoline_kernelINS0_14default_configENS1_27scan_by_key_config_selectorIssEEZZNS1_16scan_by_key_implILNS1_25lookback_scan_determinismE0ELb0ES3_N6thrust23THRUST_200600_302600_NS6detail15normal_iteratorINS9_10device_ptrIsEEEESE_SE_sNS9_4plusIsEE19head_flag_predicatesEE10hipError_tPvRmT2_T3_T4_T5_mT6_T7_P12ihipStream_tbENKUlT_T0_E_clISt17integral_constantIbLb0EESX_IbLb1EEEEDaST_SU_EUlST_E_NS1_11comp_targetILNS1_3genE10ELNS1_11target_archE1200ELNS1_3gpuE4ELNS1_3repE0EEENS1_30default_config_static_selectorELNS0_4arch9wavefront6targetE0EEEvT1_.private_seg_size, 0
	.set _ZN7rocprim17ROCPRIM_400000_NS6detail17trampoline_kernelINS0_14default_configENS1_27scan_by_key_config_selectorIssEEZZNS1_16scan_by_key_implILNS1_25lookback_scan_determinismE0ELb0ES3_N6thrust23THRUST_200600_302600_NS6detail15normal_iteratorINS9_10device_ptrIsEEEESE_SE_sNS9_4plusIsEE19head_flag_predicatesEE10hipError_tPvRmT2_T3_T4_T5_mT6_T7_P12ihipStream_tbENKUlT_T0_E_clISt17integral_constantIbLb0EESX_IbLb1EEEEDaST_SU_EUlST_E_NS1_11comp_targetILNS1_3genE10ELNS1_11target_archE1200ELNS1_3gpuE4ELNS1_3repE0EEENS1_30default_config_static_selectorELNS0_4arch9wavefront6targetE0EEEvT1_.uses_vcc, 0
	.set _ZN7rocprim17ROCPRIM_400000_NS6detail17trampoline_kernelINS0_14default_configENS1_27scan_by_key_config_selectorIssEEZZNS1_16scan_by_key_implILNS1_25lookback_scan_determinismE0ELb0ES3_N6thrust23THRUST_200600_302600_NS6detail15normal_iteratorINS9_10device_ptrIsEEEESE_SE_sNS9_4plusIsEE19head_flag_predicatesEE10hipError_tPvRmT2_T3_T4_T5_mT6_T7_P12ihipStream_tbENKUlT_T0_E_clISt17integral_constantIbLb0EESX_IbLb1EEEEDaST_SU_EUlST_E_NS1_11comp_targetILNS1_3genE10ELNS1_11target_archE1200ELNS1_3gpuE4ELNS1_3repE0EEENS1_30default_config_static_selectorELNS0_4arch9wavefront6targetE0EEEvT1_.uses_flat_scratch, 0
	.set _ZN7rocprim17ROCPRIM_400000_NS6detail17trampoline_kernelINS0_14default_configENS1_27scan_by_key_config_selectorIssEEZZNS1_16scan_by_key_implILNS1_25lookback_scan_determinismE0ELb0ES3_N6thrust23THRUST_200600_302600_NS6detail15normal_iteratorINS9_10device_ptrIsEEEESE_SE_sNS9_4plusIsEE19head_flag_predicatesEE10hipError_tPvRmT2_T3_T4_T5_mT6_T7_P12ihipStream_tbENKUlT_T0_E_clISt17integral_constantIbLb0EESX_IbLb1EEEEDaST_SU_EUlST_E_NS1_11comp_targetILNS1_3genE10ELNS1_11target_archE1200ELNS1_3gpuE4ELNS1_3repE0EEENS1_30default_config_static_selectorELNS0_4arch9wavefront6targetE0EEEvT1_.has_dyn_sized_stack, 0
	.set _ZN7rocprim17ROCPRIM_400000_NS6detail17trampoline_kernelINS0_14default_configENS1_27scan_by_key_config_selectorIssEEZZNS1_16scan_by_key_implILNS1_25lookback_scan_determinismE0ELb0ES3_N6thrust23THRUST_200600_302600_NS6detail15normal_iteratorINS9_10device_ptrIsEEEESE_SE_sNS9_4plusIsEE19head_flag_predicatesEE10hipError_tPvRmT2_T3_T4_T5_mT6_T7_P12ihipStream_tbENKUlT_T0_E_clISt17integral_constantIbLb0EESX_IbLb1EEEEDaST_SU_EUlST_E_NS1_11comp_targetILNS1_3genE10ELNS1_11target_archE1200ELNS1_3gpuE4ELNS1_3repE0EEENS1_30default_config_static_selectorELNS0_4arch9wavefront6targetE0EEEvT1_.has_recursion, 0
	.set _ZN7rocprim17ROCPRIM_400000_NS6detail17trampoline_kernelINS0_14default_configENS1_27scan_by_key_config_selectorIssEEZZNS1_16scan_by_key_implILNS1_25lookback_scan_determinismE0ELb0ES3_N6thrust23THRUST_200600_302600_NS6detail15normal_iteratorINS9_10device_ptrIsEEEESE_SE_sNS9_4plusIsEE19head_flag_predicatesEE10hipError_tPvRmT2_T3_T4_T5_mT6_T7_P12ihipStream_tbENKUlT_T0_E_clISt17integral_constantIbLb0EESX_IbLb1EEEEDaST_SU_EUlST_E_NS1_11comp_targetILNS1_3genE10ELNS1_11target_archE1200ELNS1_3gpuE4ELNS1_3repE0EEENS1_30default_config_static_selectorELNS0_4arch9wavefront6targetE0EEEvT1_.has_indirect_call, 0
	.section	.AMDGPU.csdata,"",@progbits
; Kernel info:
; codeLenInByte = 0
; TotalNumSgprs: 0
; NumVgprs: 0
; ScratchSize: 0
; MemoryBound: 0
; FloatMode: 240
; IeeeMode: 1
; LDSByteSize: 0 bytes/workgroup (compile time only)
; SGPRBlocks: 0
; VGPRBlocks: 0
; NumSGPRsForWavesPerEU: 1
; NumVGPRsForWavesPerEU: 1
; NamedBarCnt: 0
; Occupancy: 16
; WaveLimiterHint : 0
; COMPUTE_PGM_RSRC2:SCRATCH_EN: 0
; COMPUTE_PGM_RSRC2:USER_SGPR: 2
; COMPUTE_PGM_RSRC2:TRAP_HANDLER: 0
; COMPUTE_PGM_RSRC2:TGID_X_EN: 1
; COMPUTE_PGM_RSRC2:TGID_Y_EN: 0
; COMPUTE_PGM_RSRC2:TGID_Z_EN: 0
; COMPUTE_PGM_RSRC2:TIDIG_COMP_CNT: 0
	.section	.text._ZN7rocprim17ROCPRIM_400000_NS6detail17trampoline_kernelINS0_14default_configENS1_27scan_by_key_config_selectorIssEEZZNS1_16scan_by_key_implILNS1_25lookback_scan_determinismE0ELb0ES3_N6thrust23THRUST_200600_302600_NS6detail15normal_iteratorINS9_10device_ptrIsEEEESE_SE_sNS9_4plusIsEE19head_flag_predicatesEE10hipError_tPvRmT2_T3_T4_T5_mT6_T7_P12ihipStream_tbENKUlT_T0_E_clISt17integral_constantIbLb0EESX_IbLb1EEEEDaST_SU_EUlST_E_NS1_11comp_targetILNS1_3genE9ELNS1_11target_archE1100ELNS1_3gpuE3ELNS1_3repE0EEENS1_30default_config_static_selectorELNS0_4arch9wavefront6targetE0EEEvT1_,"axG",@progbits,_ZN7rocprim17ROCPRIM_400000_NS6detail17trampoline_kernelINS0_14default_configENS1_27scan_by_key_config_selectorIssEEZZNS1_16scan_by_key_implILNS1_25lookback_scan_determinismE0ELb0ES3_N6thrust23THRUST_200600_302600_NS6detail15normal_iteratorINS9_10device_ptrIsEEEESE_SE_sNS9_4plusIsEE19head_flag_predicatesEE10hipError_tPvRmT2_T3_T4_T5_mT6_T7_P12ihipStream_tbENKUlT_T0_E_clISt17integral_constantIbLb0EESX_IbLb1EEEEDaST_SU_EUlST_E_NS1_11comp_targetILNS1_3genE9ELNS1_11target_archE1100ELNS1_3gpuE3ELNS1_3repE0EEENS1_30default_config_static_selectorELNS0_4arch9wavefront6targetE0EEEvT1_,comdat
	.protected	_ZN7rocprim17ROCPRIM_400000_NS6detail17trampoline_kernelINS0_14default_configENS1_27scan_by_key_config_selectorIssEEZZNS1_16scan_by_key_implILNS1_25lookback_scan_determinismE0ELb0ES3_N6thrust23THRUST_200600_302600_NS6detail15normal_iteratorINS9_10device_ptrIsEEEESE_SE_sNS9_4plusIsEE19head_flag_predicatesEE10hipError_tPvRmT2_T3_T4_T5_mT6_T7_P12ihipStream_tbENKUlT_T0_E_clISt17integral_constantIbLb0EESX_IbLb1EEEEDaST_SU_EUlST_E_NS1_11comp_targetILNS1_3genE9ELNS1_11target_archE1100ELNS1_3gpuE3ELNS1_3repE0EEENS1_30default_config_static_selectorELNS0_4arch9wavefront6targetE0EEEvT1_ ; -- Begin function _ZN7rocprim17ROCPRIM_400000_NS6detail17trampoline_kernelINS0_14default_configENS1_27scan_by_key_config_selectorIssEEZZNS1_16scan_by_key_implILNS1_25lookback_scan_determinismE0ELb0ES3_N6thrust23THRUST_200600_302600_NS6detail15normal_iteratorINS9_10device_ptrIsEEEESE_SE_sNS9_4plusIsEE19head_flag_predicatesEE10hipError_tPvRmT2_T3_T4_T5_mT6_T7_P12ihipStream_tbENKUlT_T0_E_clISt17integral_constantIbLb0EESX_IbLb1EEEEDaST_SU_EUlST_E_NS1_11comp_targetILNS1_3genE9ELNS1_11target_archE1100ELNS1_3gpuE3ELNS1_3repE0EEENS1_30default_config_static_selectorELNS0_4arch9wavefront6targetE0EEEvT1_
	.globl	_ZN7rocprim17ROCPRIM_400000_NS6detail17trampoline_kernelINS0_14default_configENS1_27scan_by_key_config_selectorIssEEZZNS1_16scan_by_key_implILNS1_25lookback_scan_determinismE0ELb0ES3_N6thrust23THRUST_200600_302600_NS6detail15normal_iteratorINS9_10device_ptrIsEEEESE_SE_sNS9_4plusIsEE19head_flag_predicatesEE10hipError_tPvRmT2_T3_T4_T5_mT6_T7_P12ihipStream_tbENKUlT_T0_E_clISt17integral_constantIbLb0EESX_IbLb1EEEEDaST_SU_EUlST_E_NS1_11comp_targetILNS1_3genE9ELNS1_11target_archE1100ELNS1_3gpuE3ELNS1_3repE0EEENS1_30default_config_static_selectorELNS0_4arch9wavefront6targetE0EEEvT1_
	.p2align	8
	.type	_ZN7rocprim17ROCPRIM_400000_NS6detail17trampoline_kernelINS0_14default_configENS1_27scan_by_key_config_selectorIssEEZZNS1_16scan_by_key_implILNS1_25lookback_scan_determinismE0ELb0ES3_N6thrust23THRUST_200600_302600_NS6detail15normal_iteratorINS9_10device_ptrIsEEEESE_SE_sNS9_4plusIsEE19head_flag_predicatesEE10hipError_tPvRmT2_T3_T4_T5_mT6_T7_P12ihipStream_tbENKUlT_T0_E_clISt17integral_constantIbLb0EESX_IbLb1EEEEDaST_SU_EUlST_E_NS1_11comp_targetILNS1_3genE9ELNS1_11target_archE1100ELNS1_3gpuE3ELNS1_3repE0EEENS1_30default_config_static_selectorELNS0_4arch9wavefront6targetE0EEEvT1_,@function
_ZN7rocprim17ROCPRIM_400000_NS6detail17trampoline_kernelINS0_14default_configENS1_27scan_by_key_config_selectorIssEEZZNS1_16scan_by_key_implILNS1_25lookback_scan_determinismE0ELb0ES3_N6thrust23THRUST_200600_302600_NS6detail15normal_iteratorINS9_10device_ptrIsEEEESE_SE_sNS9_4plusIsEE19head_flag_predicatesEE10hipError_tPvRmT2_T3_T4_T5_mT6_T7_P12ihipStream_tbENKUlT_T0_E_clISt17integral_constantIbLb0EESX_IbLb1EEEEDaST_SU_EUlST_E_NS1_11comp_targetILNS1_3genE9ELNS1_11target_archE1100ELNS1_3gpuE3ELNS1_3repE0EEENS1_30default_config_static_selectorELNS0_4arch9wavefront6targetE0EEEvT1_: ; @_ZN7rocprim17ROCPRIM_400000_NS6detail17trampoline_kernelINS0_14default_configENS1_27scan_by_key_config_selectorIssEEZZNS1_16scan_by_key_implILNS1_25lookback_scan_determinismE0ELb0ES3_N6thrust23THRUST_200600_302600_NS6detail15normal_iteratorINS9_10device_ptrIsEEEESE_SE_sNS9_4plusIsEE19head_flag_predicatesEE10hipError_tPvRmT2_T3_T4_T5_mT6_T7_P12ihipStream_tbENKUlT_T0_E_clISt17integral_constantIbLb0EESX_IbLb1EEEEDaST_SU_EUlST_E_NS1_11comp_targetILNS1_3genE9ELNS1_11target_archE1100ELNS1_3gpuE3ELNS1_3repE0EEENS1_30default_config_static_selectorELNS0_4arch9wavefront6targetE0EEEvT1_
; %bb.0:
	.section	.rodata,"a",@progbits
	.p2align	6, 0x0
	.amdhsa_kernel _ZN7rocprim17ROCPRIM_400000_NS6detail17trampoline_kernelINS0_14default_configENS1_27scan_by_key_config_selectorIssEEZZNS1_16scan_by_key_implILNS1_25lookback_scan_determinismE0ELb0ES3_N6thrust23THRUST_200600_302600_NS6detail15normal_iteratorINS9_10device_ptrIsEEEESE_SE_sNS9_4plusIsEE19head_flag_predicatesEE10hipError_tPvRmT2_T3_T4_T5_mT6_T7_P12ihipStream_tbENKUlT_T0_E_clISt17integral_constantIbLb0EESX_IbLb1EEEEDaST_SU_EUlST_E_NS1_11comp_targetILNS1_3genE9ELNS1_11target_archE1100ELNS1_3gpuE3ELNS1_3repE0EEENS1_30default_config_static_selectorELNS0_4arch9wavefront6targetE0EEEvT1_
		.amdhsa_group_segment_fixed_size 0
		.amdhsa_private_segment_fixed_size 0
		.amdhsa_kernarg_size 112
		.amdhsa_user_sgpr_count 2
		.amdhsa_user_sgpr_dispatch_ptr 0
		.amdhsa_user_sgpr_queue_ptr 0
		.amdhsa_user_sgpr_kernarg_segment_ptr 1
		.amdhsa_user_sgpr_dispatch_id 0
		.amdhsa_user_sgpr_kernarg_preload_length 0
		.amdhsa_user_sgpr_kernarg_preload_offset 0
		.amdhsa_user_sgpr_private_segment_size 0
		.amdhsa_wavefront_size32 1
		.amdhsa_uses_dynamic_stack 0
		.amdhsa_enable_private_segment 0
		.amdhsa_system_sgpr_workgroup_id_x 1
		.amdhsa_system_sgpr_workgroup_id_y 0
		.amdhsa_system_sgpr_workgroup_id_z 0
		.amdhsa_system_sgpr_workgroup_info 0
		.amdhsa_system_vgpr_workitem_id 0
		.amdhsa_next_free_vgpr 1
		.amdhsa_next_free_sgpr 1
		.amdhsa_named_barrier_count 0
		.amdhsa_reserve_vcc 0
		.amdhsa_float_round_mode_32 0
		.amdhsa_float_round_mode_16_64 0
		.amdhsa_float_denorm_mode_32 3
		.amdhsa_float_denorm_mode_16_64 3
		.amdhsa_fp16_overflow 0
		.amdhsa_memory_ordered 1
		.amdhsa_forward_progress 1
		.amdhsa_inst_pref_size 0
		.amdhsa_round_robin_scheduling 0
		.amdhsa_exception_fp_ieee_invalid_op 0
		.amdhsa_exception_fp_denorm_src 0
		.amdhsa_exception_fp_ieee_div_zero 0
		.amdhsa_exception_fp_ieee_overflow 0
		.amdhsa_exception_fp_ieee_underflow 0
		.amdhsa_exception_fp_ieee_inexact 0
		.amdhsa_exception_int_div_zero 0
	.end_amdhsa_kernel
	.section	.text._ZN7rocprim17ROCPRIM_400000_NS6detail17trampoline_kernelINS0_14default_configENS1_27scan_by_key_config_selectorIssEEZZNS1_16scan_by_key_implILNS1_25lookback_scan_determinismE0ELb0ES3_N6thrust23THRUST_200600_302600_NS6detail15normal_iteratorINS9_10device_ptrIsEEEESE_SE_sNS9_4plusIsEE19head_flag_predicatesEE10hipError_tPvRmT2_T3_T4_T5_mT6_T7_P12ihipStream_tbENKUlT_T0_E_clISt17integral_constantIbLb0EESX_IbLb1EEEEDaST_SU_EUlST_E_NS1_11comp_targetILNS1_3genE9ELNS1_11target_archE1100ELNS1_3gpuE3ELNS1_3repE0EEENS1_30default_config_static_selectorELNS0_4arch9wavefront6targetE0EEEvT1_,"axG",@progbits,_ZN7rocprim17ROCPRIM_400000_NS6detail17trampoline_kernelINS0_14default_configENS1_27scan_by_key_config_selectorIssEEZZNS1_16scan_by_key_implILNS1_25lookback_scan_determinismE0ELb0ES3_N6thrust23THRUST_200600_302600_NS6detail15normal_iteratorINS9_10device_ptrIsEEEESE_SE_sNS9_4plusIsEE19head_flag_predicatesEE10hipError_tPvRmT2_T3_T4_T5_mT6_T7_P12ihipStream_tbENKUlT_T0_E_clISt17integral_constantIbLb0EESX_IbLb1EEEEDaST_SU_EUlST_E_NS1_11comp_targetILNS1_3genE9ELNS1_11target_archE1100ELNS1_3gpuE3ELNS1_3repE0EEENS1_30default_config_static_selectorELNS0_4arch9wavefront6targetE0EEEvT1_,comdat
.Lfunc_end855:
	.size	_ZN7rocprim17ROCPRIM_400000_NS6detail17trampoline_kernelINS0_14default_configENS1_27scan_by_key_config_selectorIssEEZZNS1_16scan_by_key_implILNS1_25lookback_scan_determinismE0ELb0ES3_N6thrust23THRUST_200600_302600_NS6detail15normal_iteratorINS9_10device_ptrIsEEEESE_SE_sNS9_4plusIsEE19head_flag_predicatesEE10hipError_tPvRmT2_T3_T4_T5_mT6_T7_P12ihipStream_tbENKUlT_T0_E_clISt17integral_constantIbLb0EESX_IbLb1EEEEDaST_SU_EUlST_E_NS1_11comp_targetILNS1_3genE9ELNS1_11target_archE1100ELNS1_3gpuE3ELNS1_3repE0EEENS1_30default_config_static_selectorELNS0_4arch9wavefront6targetE0EEEvT1_, .Lfunc_end855-_ZN7rocprim17ROCPRIM_400000_NS6detail17trampoline_kernelINS0_14default_configENS1_27scan_by_key_config_selectorIssEEZZNS1_16scan_by_key_implILNS1_25lookback_scan_determinismE0ELb0ES3_N6thrust23THRUST_200600_302600_NS6detail15normal_iteratorINS9_10device_ptrIsEEEESE_SE_sNS9_4plusIsEE19head_flag_predicatesEE10hipError_tPvRmT2_T3_T4_T5_mT6_T7_P12ihipStream_tbENKUlT_T0_E_clISt17integral_constantIbLb0EESX_IbLb1EEEEDaST_SU_EUlST_E_NS1_11comp_targetILNS1_3genE9ELNS1_11target_archE1100ELNS1_3gpuE3ELNS1_3repE0EEENS1_30default_config_static_selectorELNS0_4arch9wavefront6targetE0EEEvT1_
                                        ; -- End function
	.set _ZN7rocprim17ROCPRIM_400000_NS6detail17trampoline_kernelINS0_14default_configENS1_27scan_by_key_config_selectorIssEEZZNS1_16scan_by_key_implILNS1_25lookback_scan_determinismE0ELb0ES3_N6thrust23THRUST_200600_302600_NS6detail15normal_iteratorINS9_10device_ptrIsEEEESE_SE_sNS9_4plusIsEE19head_flag_predicatesEE10hipError_tPvRmT2_T3_T4_T5_mT6_T7_P12ihipStream_tbENKUlT_T0_E_clISt17integral_constantIbLb0EESX_IbLb1EEEEDaST_SU_EUlST_E_NS1_11comp_targetILNS1_3genE9ELNS1_11target_archE1100ELNS1_3gpuE3ELNS1_3repE0EEENS1_30default_config_static_selectorELNS0_4arch9wavefront6targetE0EEEvT1_.num_vgpr, 0
	.set _ZN7rocprim17ROCPRIM_400000_NS6detail17trampoline_kernelINS0_14default_configENS1_27scan_by_key_config_selectorIssEEZZNS1_16scan_by_key_implILNS1_25lookback_scan_determinismE0ELb0ES3_N6thrust23THRUST_200600_302600_NS6detail15normal_iteratorINS9_10device_ptrIsEEEESE_SE_sNS9_4plusIsEE19head_flag_predicatesEE10hipError_tPvRmT2_T3_T4_T5_mT6_T7_P12ihipStream_tbENKUlT_T0_E_clISt17integral_constantIbLb0EESX_IbLb1EEEEDaST_SU_EUlST_E_NS1_11comp_targetILNS1_3genE9ELNS1_11target_archE1100ELNS1_3gpuE3ELNS1_3repE0EEENS1_30default_config_static_selectorELNS0_4arch9wavefront6targetE0EEEvT1_.num_agpr, 0
	.set _ZN7rocprim17ROCPRIM_400000_NS6detail17trampoline_kernelINS0_14default_configENS1_27scan_by_key_config_selectorIssEEZZNS1_16scan_by_key_implILNS1_25lookback_scan_determinismE0ELb0ES3_N6thrust23THRUST_200600_302600_NS6detail15normal_iteratorINS9_10device_ptrIsEEEESE_SE_sNS9_4plusIsEE19head_flag_predicatesEE10hipError_tPvRmT2_T3_T4_T5_mT6_T7_P12ihipStream_tbENKUlT_T0_E_clISt17integral_constantIbLb0EESX_IbLb1EEEEDaST_SU_EUlST_E_NS1_11comp_targetILNS1_3genE9ELNS1_11target_archE1100ELNS1_3gpuE3ELNS1_3repE0EEENS1_30default_config_static_selectorELNS0_4arch9wavefront6targetE0EEEvT1_.numbered_sgpr, 0
	.set _ZN7rocprim17ROCPRIM_400000_NS6detail17trampoline_kernelINS0_14default_configENS1_27scan_by_key_config_selectorIssEEZZNS1_16scan_by_key_implILNS1_25lookback_scan_determinismE0ELb0ES3_N6thrust23THRUST_200600_302600_NS6detail15normal_iteratorINS9_10device_ptrIsEEEESE_SE_sNS9_4plusIsEE19head_flag_predicatesEE10hipError_tPvRmT2_T3_T4_T5_mT6_T7_P12ihipStream_tbENKUlT_T0_E_clISt17integral_constantIbLb0EESX_IbLb1EEEEDaST_SU_EUlST_E_NS1_11comp_targetILNS1_3genE9ELNS1_11target_archE1100ELNS1_3gpuE3ELNS1_3repE0EEENS1_30default_config_static_selectorELNS0_4arch9wavefront6targetE0EEEvT1_.num_named_barrier, 0
	.set _ZN7rocprim17ROCPRIM_400000_NS6detail17trampoline_kernelINS0_14default_configENS1_27scan_by_key_config_selectorIssEEZZNS1_16scan_by_key_implILNS1_25lookback_scan_determinismE0ELb0ES3_N6thrust23THRUST_200600_302600_NS6detail15normal_iteratorINS9_10device_ptrIsEEEESE_SE_sNS9_4plusIsEE19head_flag_predicatesEE10hipError_tPvRmT2_T3_T4_T5_mT6_T7_P12ihipStream_tbENKUlT_T0_E_clISt17integral_constantIbLb0EESX_IbLb1EEEEDaST_SU_EUlST_E_NS1_11comp_targetILNS1_3genE9ELNS1_11target_archE1100ELNS1_3gpuE3ELNS1_3repE0EEENS1_30default_config_static_selectorELNS0_4arch9wavefront6targetE0EEEvT1_.private_seg_size, 0
	.set _ZN7rocprim17ROCPRIM_400000_NS6detail17trampoline_kernelINS0_14default_configENS1_27scan_by_key_config_selectorIssEEZZNS1_16scan_by_key_implILNS1_25lookback_scan_determinismE0ELb0ES3_N6thrust23THRUST_200600_302600_NS6detail15normal_iteratorINS9_10device_ptrIsEEEESE_SE_sNS9_4plusIsEE19head_flag_predicatesEE10hipError_tPvRmT2_T3_T4_T5_mT6_T7_P12ihipStream_tbENKUlT_T0_E_clISt17integral_constantIbLb0EESX_IbLb1EEEEDaST_SU_EUlST_E_NS1_11comp_targetILNS1_3genE9ELNS1_11target_archE1100ELNS1_3gpuE3ELNS1_3repE0EEENS1_30default_config_static_selectorELNS0_4arch9wavefront6targetE0EEEvT1_.uses_vcc, 0
	.set _ZN7rocprim17ROCPRIM_400000_NS6detail17trampoline_kernelINS0_14default_configENS1_27scan_by_key_config_selectorIssEEZZNS1_16scan_by_key_implILNS1_25lookback_scan_determinismE0ELb0ES3_N6thrust23THRUST_200600_302600_NS6detail15normal_iteratorINS9_10device_ptrIsEEEESE_SE_sNS9_4plusIsEE19head_flag_predicatesEE10hipError_tPvRmT2_T3_T4_T5_mT6_T7_P12ihipStream_tbENKUlT_T0_E_clISt17integral_constantIbLb0EESX_IbLb1EEEEDaST_SU_EUlST_E_NS1_11comp_targetILNS1_3genE9ELNS1_11target_archE1100ELNS1_3gpuE3ELNS1_3repE0EEENS1_30default_config_static_selectorELNS0_4arch9wavefront6targetE0EEEvT1_.uses_flat_scratch, 0
	.set _ZN7rocprim17ROCPRIM_400000_NS6detail17trampoline_kernelINS0_14default_configENS1_27scan_by_key_config_selectorIssEEZZNS1_16scan_by_key_implILNS1_25lookback_scan_determinismE0ELb0ES3_N6thrust23THRUST_200600_302600_NS6detail15normal_iteratorINS9_10device_ptrIsEEEESE_SE_sNS9_4plusIsEE19head_flag_predicatesEE10hipError_tPvRmT2_T3_T4_T5_mT6_T7_P12ihipStream_tbENKUlT_T0_E_clISt17integral_constantIbLb0EESX_IbLb1EEEEDaST_SU_EUlST_E_NS1_11comp_targetILNS1_3genE9ELNS1_11target_archE1100ELNS1_3gpuE3ELNS1_3repE0EEENS1_30default_config_static_selectorELNS0_4arch9wavefront6targetE0EEEvT1_.has_dyn_sized_stack, 0
	.set _ZN7rocprim17ROCPRIM_400000_NS6detail17trampoline_kernelINS0_14default_configENS1_27scan_by_key_config_selectorIssEEZZNS1_16scan_by_key_implILNS1_25lookback_scan_determinismE0ELb0ES3_N6thrust23THRUST_200600_302600_NS6detail15normal_iteratorINS9_10device_ptrIsEEEESE_SE_sNS9_4plusIsEE19head_flag_predicatesEE10hipError_tPvRmT2_T3_T4_T5_mT6_T7_P12ihipStream_tbENKUlT_T0_E_clISt17integral_constantIbLb0EESX_IbLb1EEEEDaST_SU_EUlST_E_NS1_11comp_targetILNS1_3genE9ELNS1_11target_archE1100ELNS1_3gpuE3ELNS1_3repE0EEENS1_30default_config_static_selectorELNS0_4arch9wavefront6targetE0EEEvT1_.has_recursion, 0
	.set _ZN7rocprim17ROCPRIM_400000_NS6detail17trampoline_kernelINS0_14default_configENS1_27scan_by_key_config_selectorIssEEZZNS1_16scan_by_key_implILNS1_25lookback_scan_determinismE0ELb0ES3_N6thrust23THRUST_200600_302600_NS6detail15normal_iteratorINS9_10device_ptrIsEEEESE_SE_sNS9_4plusIsEE19head_flag_predicatesEE10hipError_tPvRmT2_T3_T4_T5_mT6_T7_P12ihipStream_tbENKUlT_T0_E_clISt17integral_constantIbLb0EESX_IbLb1EEEEDaST_SU_EUlST_E_NS1_11comp_targetILNS1_3genE9ELNS1_11target_archE1100ELNS1_3gpuE3ELNS1_3repE0EEENS1_30default_config_static_selectorELNS0_4arch9wavefront6targetE0EEEvT1_.has_indirect_call, 0
	.section	.AMDGPU.csdata,"",@progbits
; Kernel info:
; codeLenInByte = 0
; TotalNumSgprs: 0
; NumVgprs: 0
; ScratchSize: 0
; MemoryBound: 0
; FloatMode: 240
; IeeeMode: 1
; LDSByteSize: 0 bytes/workgroup (compile time only)
; SGPRBlocks: 0
; VGPRBlocks: 0
; NumSGPRsForWavesPerEU: 1
; NumVGPRsForWavesPerEU: 1
; NamedBarCnt: 0
; Occupancy: 16
; WaveLimiterHint : 0
; COMPUTE_PGM_RSRC2:SCRATCH_EN: 0
; COMPUTE_PGM_RSRC2:USER_SGPR: 2
; COMPUTE_PGM_RSRC2:TRAP_HANDLER: 0
; COMPUTE_PGM_RSRC2:TGID_X_EN: 1
; COMPUTE_PGM_RSRC2:TGID_Y_EN: 0
; COMPUTE_PGM_RSRC2:TGID_Z_EN: 0
; COMPUTE_PGM_RSRC2:TIDIG_COMP_CNT: 0
	.section	.text._ZN7rocprim17ROCPRIM_400000_NS6detail17trampoline_kernelINS0_14default_configENS1_27scan_by_key_config_selectorIssEEZZNS1_16scan_by_key_implILNS1_25lookback_scan_determinismE0ELb0ES3_N6thrust23THRUST_200600_302600_NS6detail15normal_iteratorINS9_10device_ptrIsEEEESE_SE_sNS9_4plusIsEE19head_flag_predicatesEE10hipError_tPvRmT2_T3_T4_T5_mT6_T7_P12ihipStream_tbENKUlT_T0_E_clISt17integral_constantIbLb0EESX_IbLb1EEEEDaST_SU_EUlST_E_NS1_11comp_targetILNS1_3genE8ELNS1_11target_archE1030ELNS1_3gpuE2ELNS1_3repE0EEENS1_30default_config_static_selectorELNS0_4arch9wavefront6targetE0EEEvT1_,"axG",@progbits,_ZN7rocprim17ROCPRIM_400000_NS6detail17trampoline_kernelINS0_14default_configENS1_27scan_by_key_config_selectorIssEEZZNS1_16scan_by_key_implILNS1_25lookback_scan_determinismE0ELb0ES3_N6thrust23THRUST_200600_302600_NS6detail15normal_iteratorINS9_10device_ptrIsEEEESE_SE_sNS9_4plusIsEE19head_flag_predicatesEE10hipError_tPvRmT2_T3_T4_T5_mT6_T7_P12ihipStream_tbENKUlT_T0_E_clISt17integral_constantIbLb0EESX_IbLb1EEEEDaST_SU_EUlST_E_NS1_11comp_targetILNS1_3genE8ELNS1_11target_archE1030ELNS1_3gpuE2ELNS1_3repE0EEENS1_30default_config_static_selectorELNS0_4arch9wavefront6targetE0EEEvT1_,comdat
	.protected	_ZN7rocprim17ROCPRIM_400000_NS6detail17trampoline_kernelINS0_14default_configENS1_27scan_by_key_config_selectorIssEEZZNS1_16scan_by_key_implILNS1_25lookback_scan_determinismE0ELb0ES3_N6thrust23THRUST_200600_302600_NS6detail15normal_iteratorINS9_10device_ptrIsEEEESE_SE_sNS9_4plusIsEE19head_flag_predicatesEE10hipError_tPvRmT2_T3_T4_T5_mT6_T7_P12ihipStream_tbENKUlT_T0_E_clISt17integral_constantIbLb0EESX_IbLb1EEEEDaST_SU_EUlST_E_NS1_11comp_targetILNS1_3genE8ELNS1_11target_archE1030ELNS1_3gpuE2ELNS1_3repE0EEENS1_30default_config_static_selectorELNS0_4arch9wavefront6targetE0EEEvT1_ ; -- Begin function _ZN7rocprim17ROCPRIM_400000_NS6detail17trampoline_kernelINS0_14default_configENS1_27scan_by_key_config_selectorIssEEZZNS1_16scan_by_key_implILNS1_25lookback_scan_determinismE0ELb0ES3_N6thrust23THRUST_200600_302600_NS6detail15normal_iteratorINS9_10device_ptrIsEEEESE_SE_sNS9_4plusIsEE19head_flag_predicatesEE10hipError_tPvRmT2_T3_T4_T5_mT6_T7_P12ihipStream_tbENKUlT_T0_E_clISt17integral_constantIbLb0EESX_IbLb1EEEEDaST_SU_EUlST_E_NS1_11comp_targetILNS1_3genE8ELNS1_11target_archE1030ELNS1_3gpuE2ELNS1_3repE0EEENS1_30default_config_static_selectorELNS0_4arch9wavefront6targetE0EEEvT1_
	.globl	_ZN7rocprim17ROCPRIM_400000_NS6detail17trampoline_kernelINS0_14default_configENS1_27scan_by_key_config_selectorIssEEZZNS1_16scan_by_key_implILNS1_25lookback_scan_determinismE0ELb0ES3_N6thrust23THRUST_200600_302600_NS6detail15normal_iteratorINS9_10device_ptrIsEEEESE_SE_sNS9_4plusIsEE19head_flag_predicatesEE10hipError_tPvRmT2_T3_T4_T5_mT6_T7_P12ihipStream_tbENKUlT_T0_E_clISt17integral_constantIbLb0EESX_IbLb1EEEEDaST_SU_EUlST_E_NS1_11comp_targetILNS1_3genE8ELNS1_11target_archE1030ELNS1_3gpuE2ELNS1_3repE0EEENS1_30default_config_static_selectorELNS0_4arch9wavefront6targetE0EEEvT1_
	.p2align	8
	.type	_ZN7rocprim17ROCPRIM_400000_NS6detail17trampoline_kernelINS0_14default_configENS1_27scan_by_key_config_selectorIssEEZZNS1_16scan_by_key_implILNS1_25lookback_scan_determinismE0ELb0ES3_N6thrust23THRUST_200600_302600_NS6detail15normal_iteratorINS9_10device_ptrIsEEEESE_SE_sNS9_4plusIsEE19head_flag_predicatesEE10hipError_tPvRmT2_T3_T4_T5_mT6_T7_P12ihipStream_tbENKUlT_T0_E_clISt17integral_constantIbLb0EESX_IbLb1EEEEDaST_SU_EUlST_E_NS1_11comp_targetILNS1_3genE8ELNS1_11target_archE1030ELNS1_3gpuE2ELNS1_3repE0EEENS1_30default_config_static_selectorELNS0_4arch9wavefront6targetE0EEEvT1_,@function
_ZN7rocprim17ROCPRIM_400000_NS6detail17trampoline_kernelINS0_14default_configENS1_27scan_by_key_config_selectorIssEEZZNS1_16scan_by_key_implILNS1_25lookback_scan_determinismE0ELb0ES3_N6thrust23THRUST_200600_302600_NS6detail15normal_iteratorINS9_10device_ptrIsEEEESE_SE_sNS9_4plusIsEE19head_flag_predicatesEE10hipError_tPvRmT2_T3_T4_T5_mT6_T7_P12ihipStream_tbENKUlT_T0_E_clISt17integral_constantIbLb0EESX_IbLb1EEEEDaST_SU_EUlST_E_NS1_11comp_targetILNS1_3genE8ELNS1_11target_archE1030ELNS1_3gpuE2ELNS1_3repE0EEENS1_30default_config_static_selectorELNS0_4arch9wavefront6targetE0EEEvT1_: ; @_ZN7rocprim17ROCPRIM_400000_NS6detail17trampoline_kernelINS0_14default_configENS1_27scan_by_key_config_selectorIssEEZZNS1_16scan_by_key_implILNS1_25lookback_scan_determinismE0ELb0ES3_N6thrust23THRUST_200600_302600_NS6detail15normal_iteratorINS9_10device_ptrIsEEEESE_SE_sNS9_4plusIsEE19head_flag_predicatesEE10hipError_tPvRmT2_T3_T4_T5_mT6_T7_P12ihipStream_tbENKUlT_T0_E_clISt17integral_constantIbLb0EESX_IbLb1EEEEDaST_SU_EUlST_E_NS1_11comp_targetILNS1_3genE8ELNS1_11target_archE1030ELNS1_3gpuE2ELNS1_3repE0EEENS1_30default_config_static_selectorELNS0_4arch9wavefront6targetE0EEEvT1_
; %bb.0:
	.section	.rodata,"a",@progbits
	.p2align	6, 0x0
	.amdhsa_kernel _ZN7rocprim17ROCPRIM_400000_NS6detail17trampoline_kernelINS0_14default_configENS1_27scan_by_key_config_selectorIssEEZZNS1_16scan_by_key_implILNS1_25lookback_scan_determinismE0ELb0ES3_N6thrust23THRUST_200600_302600_NS6detail15normal_iteratorINS9_10device_ptrIsEEEESE_SE_sNS9_4plusIsEE19head_flag_predicatesEE10hipError_tPvRmT2_T3_T4_T5_mT6_T7_P12ihipStream_tbENKUlT_T0_E_clISt17integral_constantIbLb0EESX_IbLb1EEEEDaST_SU_EUlST_E_NS1_11comp_targetILNS1_3genE8ELNS1_11target_archE1030ELNS1_3gpuE2ELNS1_3repE0EEENS1_30default_config_static_selectorELNS0_4arch9wavefront6targetE0EEEvT1_
		.amdhsa_group_segment_fixed_size 0
		.amdhsa_private_segment_fixed_size 0
		.amdhsa_kernarg_size 112
		.amdhsa_user_sgpr_count 2
		.amdhsa_user_sgpr_dispatch_ptr 0
		.amdhsa_user_sgpr_queue_ptr 0
		.amdhsa_user_sgpr_kernarg_segment_ptr 1
		.amdhsa_user_sgpr_dispatch_id 0
		.amdhsa_user_sgpr_kernarg_preload_length 0
		.amdhsa_user_sgpr_kernarg_preload_offset 0
		.amdhsa_user_sgpr_private_segment_size 0
		.amdhsa_wavefront_size32 1
		.amdhsa_uses_dynamic_stack 0
		.amdhsa_enable_private_segment 0
		.amdhsa_system_sgpr_workgroup_id_x 1
		.amdhsa_system_sgpr_workgroup_id_y 0
		.amdhsa_system_sgpr_workgroup_id_z 0
		.amdhsa_system_sgpr_workgroup_info 0
		.amdhsa_system_vgpr_workitem_id 0
		.amdhsa_next_free_vgpr 1
		.amdhsa_next_free_sgpr 1
		.amdhsa_named_barrier_count 0
		.amdhsa_reserve_vcc 0
		.amdhsa_float_round_mode_32 0
		.amdhsa_float_round_mode_16_64 0
		.amdhsa_float_denorm_mode_32 3
		.amdhsa_float_denorm_mode_16_64 3
		.amdhsa_fp16_overflow 0
		.amdhsa_memory_ordered 1
		.amdhsa_forward_progress 1
		.amdhsa_inst_pref_size 0
		.amdhsa_round_robin_scheduling 0
		.amdhsa_exception_fp_ieee_invalid_op 0
		.amdhsa_exception_fp_denorm_src 0
		.amdhsa_exception_fp_ieee_div_zero 0
		.amdhsa_exception_fp_ieee_overflow 0
		.amdhsa_exception_fp_ieee_underflow 0
		.amdhsa_exception_fp_ieee_inexact 0
		.amdhsa_exception_int_div_zero 0
	.end_amdhsa_kernel
	.section	.text._ZN7rocprim17ROCPRIM_400000_NS6detail17trampoline_kernelINS0_14default_configENS1_27scan_by_key_config_selectorIssEEZZNS1_16scan_by_key_implILNS1_25lookback_scan_determinismE0ELb0ES3_N6thrust23THRUST_200600_302600_NS6detail15normal_iteratorINS9_10device_ptrIsEEEESE_SE_sNS9_4plusIsEE19head_flag_predicatesEE10hipError_tPvRmT2_T3_T4_T5_mT6_T7_P12ihipStream_tbENKUlT_T0_E_clISt17integral_constantIbLb0EESX_IbLb1EEEEDaST_SU_EUlST_E_NS1_11comp_targetILNS1_3genE8ELNS1_11target_archE1030ELNS1_3gpuE2ELNS1_3repE0EEENS1_30default_config_static_selectorELNS0_4arch9wavefront6targetE0EEEvT1_,"axG",@progbits,_ZN7rocprim17ROCPRIM_400000_NS6detail17trampoline_kernelINS0_14default_configENS1_27scan_by_key_config_selectorIssEEZZNS1_16scan_by_key_implILNS1_25lookback_scan_determinismE0ELb0ES3_N6thrust23THRUST_200600_302600_NS6detail15normal_iteratorINS9_10device_ptrIsEEEESE_SE_sNS9_4plusIsEE19head_flag_predicatesEE10hipError_tPvRmT2_T3_T4_T5_mT6_T7_P12ihipStream_tbENKUlT_T0_E_clISt17integral_constantIbLb0EESX_IbLb1EEEEDaST_SU_EUlST_E_NS1_11comp_targetILNS1_3genE8ELNS1_11target_archE1030ELNS1_3gpuE2ELNS1_3repE0EEENS1_30default_config_static_selectorELNS0_4arch9wavefront6targetE0EEEvT1_,comdat
.Lfunc_end856:
	.size	_ZN7rocprim17ROCPRIM_400000_NS6detail17trampoline_kernelINS0_14default_configENS1_27scan_by_key_config_selectorIssEEZZNS1_16scan_by_key_implILNS1_25lookback_scan_determinismE0ELb0ES3_N6thrust23THRUST_200600_302600_NS6detail15normal_iteratorINS9_10device_ptrIsEEEESE_SE_sNS9_4plusIsEE19head_flag_predicatesEE10hipError_tPvRmT2_T3_T4_T5_mT6_T7_P12ihipStream_tbENKUlT_T0_E_clISt17integral_constantIbLb0EESX_IbLb1EEEEDaST_SU_EUlST_E_NS1_11comp_targetILNS1_3genE8ELNS1_11target_archE1030ELNS1_3gpuE2ELNS1_3repE0EEENS1_30default_config_static_selectorELNS0_4arch9wavefront6targetE0EEEvT1_, .Lfunc_end856-_ZN7rocprim17ROCPRIM_400000_NS6detail17trampoline_kernelINS0_14default_configENS1_27scan_by_key_config_selectorIssEEZZNS1_16scan_by_key_implILNS1_25lookback_scan_determinismE0ELb0ES3_N6thrust23THRUST_200600_302600_NS6detail15normal_iteratorINS9_10device_ptrIsEEEESE_SE_sNS9_4plusIsEE19head_flag_predicatesEE10hipError_tPvRmT2_T3_T4_T5_mT6_T7_P12ihipStream_tbENKUlT_T0_E_clISt17integral_constantIbLb0EESX_IbLb1EEEEDaST_SU_EUlST_E_NS1_11comp_targetILNS1_3genE8ELNS1_11target_archE1030ELNS1_3gpuE2ELNS1_3repE0EEENS1_30default_config_static_selectorELNS0_4arch9wavefront6targetE0EEEvT1_
                                        ; -- End function
	.set _ZN7rocprim17ROCPRIM_400000_NS6detail17trampoline_kernelINS0_14default_configENS1_27scan_by_key_config_selectorIssEEZZNS1_16scan_by_key_implILNS1_25lookback_scan_determinismE0ELb0ES3_N6thrust23THRUST_200600_302600_NS6detail15normal_iteratorINS9_10device_ptrIsEEEESE_SE_sNS9_4plusIsEE19head_flag_predicatesEE10hipError_tPvRmT2_T3_T4_T5_mT6_T7_P12ihipStream_tbENKUlT_T0_E_clISt17integral_constantIbLb0EESX_IbLb1EEEEDaST_SU_EUlST_E_NS1_11comp_targetILNS1_3genE8ELNS1_11target_archE1030ELNS1_3gpuE2ELNS1_3repE0EEENS1_30default_config_static_selectorELNS0_4arch9wavefront6targetE0EEEvT1_.num_vgpr, 0
	.set _ZN7rocprim17ROCPRIM_400000_NS6detail17trampoline_kernelINS0_14default_configENS1_27scan_by_key_config_selectorIssEEZZNS1_16scan_by_key_implILNS1_25lookback_scan_determinismE0ELb0ES3_N6thrust23THRUST_200600_302600_NS6detail15normal_iteratorINS9_10device_ptrIsEEEESE_SE_sNS9_4plusIsEE19head_flag_predicatesEE10hipError_tPvRmT2_T3_T4_T5_mT6_T7_P12ihipStream_tbENKUlT_T0_E_clISt17integral_constantIbLb0EESX_IbLb1EEEEDaST_SU_EUlST_E_NS1_11comp_targetILNS1_3genE8ELNS1_11target_archE1030ELNS1_3gpuE2ELNS1_3repE0EEENS1_30default_config_static_selectorELNS0_4arch9wavefront6targetE0EEEvT1_.num_agpr, 0
	.set _ZN7rocprim17ROCPRIM_400000_NS6detail17trampoline_kernelINS0_14default_configENS1_27scan_by_key_config_selectorIssEEZZNS1_16scan_by_key_implILNS1_25lookback_scan_determinismE0ELb0ES3_N6thrust23THRUST_200600_302600_NS6detail15normal_iteratorINS9_10device_ptrIsEEEESE_SE_sNS9_4plusIsEE19head_flag_predicatesEE10hipError_tPvRmT2_T3_T4_T5_mT6_T7_P12ihipStream_tbENKUlT_T0_E_clISt17integral_constantIbLb0EESX_IbLb1EEEEDaST_SU_EUlST_E_NS1_11comp_targetILNS1_3genE8ELNS1_11target_archE1030ELNS1_3gpuE2ELNS1_3repE0EEENS1_30default_config_static_selectorELNS0_4arch9wavefront6targetE0EEEvT1_.numbered_sgpr, 0
	.set _ZN7rocprim17ROCPRIM_400000_NS6detail17trampoline_kernelINS0_14default_configENS1_27scan_by_key_config_selectorIssEEZZNS1_16scan_by_key_implILNS1_25lookback_scan_determinismE0ELb0ES3_N6thrust23THRUST_200600_302600_NS6detail15normal_iteratorINS9_10device_ptrIsEEEESE_SE_sNS9_4plusIsEE19head_flag_predicatesEE10hipError_tPvRmT2_T3_T4_T5_mT6_T7_P12ihipStream_tbENKUlT_T0_E_clISt17integral_constantIbLb0EESX_IbLb1EEEEDaST_SU_EUlST_E_NS1_11comp_targetILNS1_3genE8ELNS1_11target_archE1030ELNS1_3gpuE2ELNS1_3repE0EEENS1_30default_config_static_selectorELNS0_4arch9wavefront6targetE0EEEvT1_.num_named_barrier, 0
	.set _ZN7rocprim17ROCPRIM_400000_NS6detail17trampoline_kernelINS0_14default_configENS1_27scan_by_key_config_selectorIssEEZZNS1_16scan_by_key_implILNS1_25lookback_scan_determinismE0ELb0ES3_N6thrust23THRUST_200600_302600_NS6detail15normal_iteratorINS9_10device_ptrIsEEEESE_SE_sNS9_4plusIsEE19head_flag_predicatesEE10hipError_tPvRmT2_T3_T4_T5_mT6_T7_P12ihipStream_tbENKUlT_T0_E_clISt17integral_constantIbLb0EESX_IbLb1EEEEDaST_SU_EUlST_E_NS1_11comp_targetILNS1_3genE8ELNS1_11target_archE1030ELNS1_3gpuE2ELNS1_3repE0EEENS1_30default_config_static_selectorELNS0_4arch9wavefront6targetE0EEEvT1_.private_seg_size, 0
	.set _ZN7rocprim17ROCPRIM_400000_NS6detail17trampoline_kernelINS0_14default_configENS1_27scan_by_key_config_selectorIssEEZZNS1_16scan_by_key_implILNS1_25lookback_scan_determinismE0ELb0ES3_N6thrust23THRUST_200600_302600_NS6detail15normal_iteratorINS9_10device_ptrIsEEEESE_SE_sNS9_4plusIsEE19head_flag_predicatesEE10hipError_tPvRmT2_T3_T4_T5_mT6_T7_P12ihipStream_tbENKUlT_T0_E_clISt17integral_constantIbLb0EESX_IbLb1EEEEDaST_SU_EUlST_E_NS1_11comp_targetILNS1_3genE8ELNS1_11target_archE1030ELNS1_3gpuE2ELNS1_3repE0EEENS1_30default_config_static_selectorELNS0_4arch9wavefront6targetE0EEEvT1_.uses_vcc, 0
	.set _ZN7rocprim17ROCPRIM_400000_NS6detail17trampoline_kernelINS0_14default_configENS1_27scan_by_key_config_selectorIssEEZZNS1_16scan_by_key_implILNS1_25lookback_scan_determinismE0ELb0ES3_N6thrust23THRUST_200600_302600_NS6detail15normal_iteratorINS9_10device_ptrIsEEEESE_SE_sNS9_4plusIsEE19head_flag_predicatesEE10hipError_tPvRmT2_T3_T4_T5_mT6_T7_P12ihipStream_tbENKUlT_T0_E_clISt17integral_constantIbLb0EESX_IbLb1EEEEDaST_SU_EUlST_E_NS1_11comp_targetILNS1_3genE8ELNS1_11target_archE1030ELNS1_3gpuE2ELNS1_3repE0EEENS1_30default_config_static_selectorELNS0_4arch9wavefront6targetE0EEEvT1_.uses_flat_scratch, 0
	.set _ZN7rocprim17ROCPRIM_400000_NS6detail17trampoline_kernelINS0_14default_configENS1_27scan_by_key_config_selectorIssEEZZNS1_16scan_by_key_implILNS1_25lookback_scan_determinismE0ELb0ES3_N6thrust23THRUST_200600_302600_NS6detail15normal_iteratorINS9_10device_ptrIsEEEESE_SE_sNS9_4plusIsEE19head_flag_predicatesEE10hipError_tPvRmT2_T3_T4_T5_mT6_T7_P12ihipStream_tbENKUlT_T0_E_clISt17integral_constantIbLb0EESX_IbLb1EEEEDaST_SU_EUlST_E_NS1_11comp_targetILNS1_3genE8ELNS1_11target_archE1030ELNS1_3gpuE2ELNS1_3repE0EEENS1_30default_config_static_selectorELNS0_4arch9wavefront6targetE0EEEvT1_.has_dyn_sized_stack, 0
	.set _ZN7rocprim17ROCPRIM_400000_NS6detail17trampoline_kernelINS0_14default_configENS1_27scan_by_key_config_selectorIssEEZZNS1_16scan_by_key_implILNS1_25lookback_scan_determinismE0ELb0ES3_N6thrust23THRUST_200600_302600_NS6detail15normal_iteratorINS9_10device_ptrIsEEEESE_SE_sNS9_4plusIsEE19head_flag_predicatesEE10hipError_tPvRmT2_T3_T4_T5_mT6_T7_P12ihipStream_tbENKUlT_T0_E_clISt17integral_constantIbLb0EESX_IbLb1EEEEDaST_SU_EUlST_E_NS1_11comp_targetILNS1_3genE8ELNS1_11target_archE1030ELNS1_3gpuE2ELNS1_3repE0EEENS1_30default_config_static_selectorELNS0_4arch9wavefront6targetE0EEEvT1_.has_recursion, 0
	.set _ZN7rocprim17ROCPRIM_400000_NS6detail17trampoline_kernelINS0_14default_configENS1_27scan_by_key_config_selectorIssEEZZNS1_16scan_by_key_implILNS1_25lookback_scan_determinismE0ELb0ES3_N6thrust23THRUST_200600_302600_NS6detail15normal_iteratorINS9_10device_ptrIsEEEESE_SE_sNS9_4plusIsEE19head_flag_predicatesEE10hipError_tPvRmT2_T3_T4_T5_mT6_T7_P12ihipStream_tbENKUlT_T0_E_clISt17integral_constantIbLb0EESX_IbLb1EEEEDaST_SU_EUlST_E_NS1_11comp_targetILNS1_3genE8ELNS1_11target_archE1030ELNS1_3gpuE2ELNS1_3repE0EEENS1_30default_config_static_selectorELNS0_4arch9wavefront6targetE0EEEvT1_.has_indirect_call, 0
	.section	.AMDGPU.csdata,"",@progbits
; Kernel info:
; codeLenInByte = 0
; TotalNumSgprs: 0
; NumVgprs: 0
; ScratchSize: 0
; MemoryBound: 0
; FloatMode: 240
; IeeeMode: 1
; LDSByteSize: 0 bytes/workgroup (compile time only)
; SGPRBlocks: 0
; VGPRBlocks: 0
; NumSGPRsForWavesPerEU: 1
; NumVGPRsForWavesPerEU: 1
; NamedBarCnt: 0
; Occupancy: 16
; WaveLimiterHint : 0
; COMPUTE_PGM_RSRC2:SCRATCH_EN: 0
; COMPUTE_PGM_RSRC2:USER_SGPR: 2
; COMPUTE_PGM_RSRC2:TRAP_HANDLER: 0
; COMPUTE_PGM_RSRC2:TGID_X_EN: 1
; COMPUTE_PGM_RSRC2:TGID_Y_EN: 0
; COMPUTE_PGM_RSRC2:TGID_Z_EN: 0
; COMPUTE_PGM_RSRC2:TIDIG_COMP_CNT: 0
	.section	.text._ZN7rocprim17ROCPRIM_400000_NS6detail17trampoline_kernelINS0_14default_configENS1_27scan_by_key_config_selectorIssEEZZNS1_16scan_by_key_implILNS1_25lookback_scan_determinismE0ELb1ES3_N6thrust23THRUST_200600_302600_NS6detail15normal_iteratorINS9_10device_ptrIsEEEESE_SE_sNS9_4plusIsEE19head_flag_predicatesEE10hipError_tPvRmT2_T3_T4_T5_mT6_T7_P12ihipStream_tbENKUlT_T0_E_clISt17integral_constantIbLb0EESY_EEDaST_SU_EUlST_E_NS1_11comp_targetILNS1_3genE0ELNS1_11target_archE4294967295ELNS1_3gpuE0ELNS1_3repE0EEENS1_30default_config_static_selectorELNS0_4arch9wavefront6targetE0EEEvT1_,"axG",@progbits,_ZN7rocprim17ROCPRIM_400000_NS6detail17trampoline_kernelINS0_14default_configENS1_27scan_by_key_config_selectorIssEEZZNS1_16scan_by_key_implILNS1_25lookback_scan_determinismE0ELb1ES3_N6thrust23THRUST_200600_302600_NS6detail15normal_iteratorINS9_10device_ptrIsEEEESE_SE_sNS9_4plusIsEE19head_flag_predicatesEE10hipError_tPvRmT2_T3_T4_T5_mT6_T7_P12ihipStream_tbENKUlT_T0_E_clISt17integral_constantIbLb0EESY_EEDaST_SU_EUlST_E_NS1_11comp_targetILNS1_3genE0ELNS1_11target_archE4294967295ELNS1_3gpuE0ELNS1_3repE0EEENS1_30default_config_static_selectorELNS0_4arch9wavefront6targetE0EEEvT1_,comdat
	.protected	_ZN7rocprim17ROCPRIM_400000_NS6detail17trampoline_kernelINS0_14default_configENS1_27scan_by_key_config_selectorIssEEZZNS1_16scan_by_key_implILNS1_25lookback_scan_determinismE0ELb1ES3_N6thrust23THRUST_200600_302600_NS6detail15normal_iteratorINS9_10device_ptrIsEEEESE_SE_sNS9_4plusIsEE19head_flag_predicatesEE10hipError_tPvRmT2_T3_T4_T5_mT6_T7_P12ihipStream_tbENKUlT_T0_E_clISt17integral_constantIbLb0EESY_EEDaST_SU_EUlST_E_NS1_11comp_targetILNS1_3genE0ELNS1_11target_archE4294967295ELNS1_3gpuE0ELNS1_3repE0EEENS1_30default_config_static_selectorELNS0_4arch9wavefront6targetE0EEEvT1_ ; -- Begin function _ZN7rocprim17ROCPRIM_400000_NS6detail17trampoline_kernelINS0_14default_configENS1_27scan_by_key_config_selectorIssEEZZNS1_16scan_by_key_implILNS1_25lookback_scan_determinismE0ELb1ES3_N6thrust23THRUST_200600_302600_NS6detail15normal_iteratorINS9_10device_ptrIsEEEESE_SE_sNS9_4plusIsEE19head_flag_predicatesEE10hipError_tPvRmT2_T3_T4_T5_mT6_T7_P12ihipStream_tbENKUlT_T0_E_clISt17integral_constantIbLb0EESY_EEDaST_SU_EUlST_E_NS1_11comp_targetILNS1_3genE0ELNS1_11target_archE4294967295ELNS1_3gpuE0ELNS1_3repE0EEENS1_30default_config_static_selectorELNS0_4arch9wavefront6targetE0EEEvT1_
	.globl	_ZN7rocprim17ROCPRIM_400000_NS6detail17trampoline_kernelINS0_14default_configENS1_27scan_by_key_config_selectorIssEEZZNS1_16scan_by_key_implILNS1_25lookback_scan_determinismE0ELb1ES3_N6thrust23THRUST_200600_302600_NS6detail15normal_iteratorINS9_10device_ptrIsEEEESE_SE_sNS9_4plusIsEE19head_flag_predicatesEE10hipError_tPvRmT2_T3_T4_T5_mT6_T7_P12ihipStream_tbENKUlT_T0_E_clISt17integral_constantIbLb0EESY_EEDaST_SU_EUlST_E_NS1_11comp_targetILNS1_3genE0ELNS1_11target_archE4294967295ELNS1_3gpuE0ELNS1_3repE0EEENS1_30default_config_static_selectorELNS0_4arch9wavefront6targetE0EEEvT1_
	.p2align	8
	.type	_ZN7rocprim17ROCPRIM_400000_NS6detail17trampoline_kernelINS0_14default_configENS1_27scan_by_key_config_selectorIssEEZZNS1_16scan_by_key_implILNS1_25lookback_scan_determinismE0ELb1ES3_N6thrust23THRUST_200600_302600_NS6detail15normal_iteratorINS9_10device_ptrIsEEEESE_SE_sNS9_4plusIsEE19head_flag_predicatesEE10hipError_tPvRmT2_T3_T4_T5_mT6_T7_P12ihipStream_tbENKUlT_T0_E_clISt17integral_constantIbLb0EESY_EEDaST_SU_EUlST_E_NS1_11comp_targetILNS1_3genE0ELNS1_11target_archE4294967295ELNS1_3gpuE0ELNS1_3repE0EEENS1_30default_config_static_selectorELNS0_4arch9wavefront6targetE0EEEvT1_,@function
_ZN7rocprim17ROCPRIM_400000_NS6detail17trampoline_kernelINS0_14default_configENS1_27scan_by_key_config_selectorIssEEZZNS1_16scan_by_key_implILNS1_25lookback_scan_determinismE0ELb1ES3_N6thrust23THRUST_200600_302600_NS6detail15normal_iteratorINS9_10device_ptrIsEEEESE_SE_sNS9_4plusIsEE19head_flag_predicatesEE10hipError_tPvRmT2_T3_T4_T5_mT6_T7_P12ihipStream_tbENKUlT_T0_E_clISt17integral_constantIbLb0EESY_EEDaST_SU_EUlST_E_NS1_11comp_targetILNS1_3genE0ELNS1_11target_archE4294967295ELNS1_3gpuE0ELNS1_3repE0EEENS1_30default_config_static_selectorELNS0_4arch9wavefront6targetE0EEEvT1_: ; @_ZN7rocprim17ROCPRIM_400000_NS6detail17trampoline_kernelINS0_14default_configENS1_27scan_by_key_config_selectorIssEEZZNS1_16scan_by_key_implILNS1_25lookback_scan_determinismE0ELb1ES3_N6thrust23THRUST_200600_302600_NS6detail15normal_iteratorINS9_10device_ptrIsEEEESE_SE_sNS9_4plusIsEE19head_flag_predicatesEE10hipError_tPvRmT2_T3_T4_T5_mT6_T7_P12ihipStream_tbENKUlT_T0_E_clISt17integral_constantIbLb0EESY_EEDaST_SU_EUlST_E_NS1_11comp_targetILNS1_3genE0ELNS1_11target_archE4294967295ELNS1_3gpuE0ELNS1_3repE0EEENS1_30default_config_static_selectorELNS0_4arch9wavefront6targetE0EEEvT1_
; %bb.0:
	s_clause 0x2
	s_load_b96 s[36:38], s[0:1], 0x38
	s_load_b256 s[16:23], s[0:1], 0x0
	s_load_b128 s[28:31], s[0:1], 0x48
	s_bfe_u32 s4, ttmp6, 0x4000c
	s_delay_alu instid0(SALU_CYCLE_1)
	s_add_co_i32 s4, s4, 1
	s_clause 0x1
	s_load_b32 s42, s[0:1], 0x20
	s_load_b128 s[24:27], s[0:1], 0x28
	s_and_b32 s2, ttmp6, 15
	s_wait_xcnt 0x0
	s_mul_i32 s0, ttmp9, s4
	s_getreg_b32 s5, hwreg(HW_REG_IB_STS2, 6, 4)
	s_add_co_i32 s6, s2, s0
	s_mov_b32 s3, 0
	s_barrier_signal -1
	s_mov_b32 s39, s3
	s_barrier_wait -1
	s_wait_kmcnt 0x0
	s_mov_b32 s2, s38
	s_lshl_b64 s[34:35], s[18:19], 1
	s_cmp_eq_u32 s5, 0
	s_mul_u64 s[4:5], s[36:37], s[2:3]
	s_cselect_b32 s38, ttmp9, s6
	s_add_nc_u64 s[8:9], s[28:29], -1
	s_add_nc_u64 s[4:5], s[4:5], s[38:39]
	s_mul_i32 s2, s38, 0x1400
	v_cmp_ge_u64_e64 s27, s[4:5], s[8:9]
	s_add_nc_u64 s[0:1], s[16:17], s[34:35]
	s_add_nc_u64 s[6:7], s[20:21], s[34:35]
	s_lshl_b64 s[20:21], s[2:3], 1
	s_mul_i32 s33, s8, 0xffffec00
	s_add_nc_u64 s[40:41], s[0:1], s[20:21]
	s_add_nc_u64 s[28:29], s[6:7], s[20:21]
	s_and_b32 vcc_lo, exec_lo, s27
	s_cbranch_vccz .LBB857_106
; %bb.1:
	v_mov_b32_e32 v1, 0
	s_add_co_i32 s39, s33, s26
	s_delay_alu instid0(SALU_CYCLE_1)
	v_cmp_gt_u32_e32 vcc_lo, s39, v0
	flat_load_u16 v2, v1, s[40:41]
	s_wait_loadcnt_dscnt 0x0
	v_mov_b32_e32 v3, v2
	s_and_saveexec_b32 s0, vcc_lo
	s_cbranch_execz .LBB857_3
; %bb.2:
	flat_load_u16 v3, v0, s[40:41] scale_offset
.LBB857_3:
	s_wait_xcnt 0x0
	s_or_b32 exec_lo, exec_lo, s0
	v_or_b32_e32 v1, 0x100, v0
	v_mov_b32_e32 v4, v2
	s_delay_alu instid0(VALU_DEP_2)
	v_cmp_gt_u32_e64 s0, s39, v1
	s_and_saveexec_b32 s1, s0
	s_cbranch_execz .LBB857_5
; %bb.4:
	flat_load_u16 v4, v0, s[40:41] offset:512 scale_offset
.LBB857_5:
	s_wait_xcnt 0x0
	s_or_b32 exec_lo, exec_lo, s1
	v_or_b32_e32 v1, 0x200, v0
	v_mov_b32_e32 v5, v2
	s_delay_alu instid0(VALU_DEP_2)
	v_cmp_gt_u32_e64 s1, s39, v1
	s_and_saveexec_b32 s2, s1
	s_cbranch_execz .LBB857_7
; %bb.6:
	flat_load_u16 v5, v0, s[40:41] offset:1024 scale_offset
.LBB857_7:
	;; [unrolled: 11-line block ×18, first 2 shown]
	s_wait_xcnt 0x0
	s_or_b32 exec_lo, exec_lo, s18
	v_or_b32_e32 v1, 0x1300, v0
	s_delay_alu instid0(VALU_DEP_1) | instskip(SKIP_2) | instid1(SALU_CYCLE_1)
	v_cmp_gt_u32_e64 s18, s39, v1
	v_cmp_le_u32_e64 s19, s39, v1
	s_and_saveexec_b32 s43, s19
	s_xor_b32 s19, exec_lo, s43
	s_delay_alu instid0(SALU_CYCLE_1)
	s_and_not1_saveexec_b32 s19, s19
	s_cbranch_execz .LBB857_41
; %bb.40:
	flat_load_u16 v2, v0, s[40:41] offset:9728 scale_offset
.LBB857_41:
	s_wait_xcnt 0x0
	s_or_b32 exec_lo, exec_lo, s19
	v_lshlrev_b32_e32 v1, 1, v0
	s_mov_b32 s43, exec_lo
	s_wait_loadcnt_dscnt 0x0
	ds_store_b16 v1, v3
	ds_store_b16 v1, v4 offset:512
	ds_store_b16 v1, v5 offset:1024
	;; [unrolled: 1-line block ×19, first 2 shown]
	v_mov_b32_e32 v2, 0
	s_wait_dscnt 0x0
	s_barrier_signal -1
	s_barrier_wait -1
	flat_load_u16 v50, v2, s[40:41]
	v_mad_u32_u24 v51, v0, 38, v1
	ds_load_2addr_b64 v[6:9], v51 offset1:1
	s_wait_xcnt 0x0
	ds_load_2addr_b64 v[2:5], v51 offset0:2 offset1:3
	ds_load_b64 v[14:15], v51 offset:32
	v_mad_i32_i24 v10, 0xffffffda, v0, v51
	s_wait_dscnt 0x2
	ds_store_b16 v10, v6 offset:10752
	s_wait_loadcnt_dscnt 0x0
	s_barrier_signal -1
	s_barrier_wait -1
	v_cmpx_ne_u32_e32 0xff, v0
; %bb.42:
	v_mul_i32_i24_e32 v10, 0xffffffda, v0
	s_delay_alu instid0(VALU_DEP_1)
	v_add_nc_u32_e32 v10, v51, v10
	ds_load_u16 v50, v10 offset:10754
; %bb.43:
	s_or_b32 exec_lo, exec_lo, s43
	s_wait_dscnt 0x0
	s_barrier_signal -1
	s_barrier_wait -1
                                        ; implicit-def: $vgpr10
	s_and_saveexec_b32 s19, vcc_lo
	s_cbranch_execz .LBB857_164
; %bb.44:
	flat_load_u16 v10, v0, s[28:29] scale_offset
	s_wait_xcnt 0x0
	s_or_b32 exec_lo, exec_lo, s19
                                        ; implicit-def: $vgpr11
	s_and_saveexec_b32 s19, s0
	s_cbranch_execnz .LBB857_165
.LBB857_45:
	s_or_b32 exec_lo, exec_lo, s19
                                        ; implicit-def: $vgpr12
	s_and_saveexec_b32 s0, s1
	s_cbranch_execz .LBB857_166
.LBB857_46:
	flat_load_u16 v12, v0, s[28:29] offset:1024 scale_offset
	s_wait_xcnt 0x0
	s_or_b32 exec_lo, exec_lo, s0
                                        ; implicit-def: $vgpr13
	s_and_saveexec_b32 s0, s2
	s_cbranch_execnz .LBB857_167
.LBB857_47:
	s_or_b32 exec_lo, exec_lo, s0
                                        ; implicit-def: $vgpr16
	s_and_saveexec_b32 s0, s3
	s_cbranch_execz .LBB857_168
.LBB857_48:
	flat_load_u16 v16, v0, s[28:29] offset:2048 scale_offset
	s_wait_xcnt 0x0
	s_or_b32 exec_lo, exec_lo, s0
                                        ; implicit-def: $vgpr17
	s_and_saveexec_b32 s0, s4
	s_cbranch_execnz .LBB857_169
.LBB857_49:
	s_or_b32 exec_lo, exec_lo, s0
                                        ; implicit-def: $vgpr18
	s_and_saveexec_b32 s0, s5
	s_cbranch_execz .LBB857_170
.LBB857_50:
	flat_load_u16 v18, v0, s[28:29] offset:3072 scale_offset
	s_wait_xcnt 0x0
	s_or_b32 exec_lo, exec_lo, s0
                                        ; implicit-def: $vgpr19
	s_and_saveexec_b32 s0, s6
	s_cbranch_execnz .LBB857_171
.LBB857_51:
	s_or_b32 exec_lo, exec_lo, s0
                                        ; implicit-def: $vgpr20
	s_and_saveexec_b32 s0, s7
	s_cbranch_execz .LBB857_172
.LBB857_52:
	flat_load_u16 v20, v0, s[28:29] offset:4096 scale_offset
	s_wait_xcnt 0x0
	s_or_b32 exec_lo, exec_lo, s0
                                        ; implicit-def: $vgpr21
	s_and_saveexec_b32 s0, s8
	s_cbranch_execnz .LBB857_173
.LBB857_53:
	s_or_b32 exec_lo, exec_lo, s0
                                        ; implicit-def: $vgpr22
	s_and_saveexec_b32 s0, s9
	s_cbranch_execz .LBB857_174
.LBB857_54:
	flat_load_u16 v22, v0, s[28:29] offset:5120 scale_offset
	s_wait_xcnt 0x0
	s_or_b32 exec_lo, exec_lo, s0
                                        ; implicit-def: $vgpr23
	s_and_saveexec_b32 s0, s10
	s_cbranch_execnz .LBB857_175
.LBB857_55:
	s_or_b32 exec_lo, exec_lo, s0
                                        ; implicit-def: $vgpr24
	s_and_saveexec_b32 s0, s11
	s_cbranch_execz .LBB857_176
.LBB857_56:
	flat_load_u16 v24, v0, s[28:29] offset:6144 scale_offset
	s_wait_xcnt 0x0
	s_or_b32 exec_lo, exec_lo, s0
                                        ; implicit-def: $vgpr25
	s_and_saveexec_b32 s0, s12
	s_cbranch_execnz .LBB857_177
.LBB857_57:
	s_or_b32 exec_lo, exec_lo, s0
                                        ; implicit-def: $vgpr26
	s_and_saveexec_b32 s0, s13
	s_cbranch_execz .LBB857_178
.LBB857_58:
	flat_load_u16 v26, v0, s[28:29] offset:7168 scale_offset
	s_wait_xcnt 0x0
	s_or_b32 exec_lo, exec_lo, s0
                                        ; implicit-def: $vgpr27
	s_and_saveexec_b32 s0, s14
	s_cbranch_execnz .LBB857_179
.LBB857_59:
	s_or_b32 exec_lo, exec_lo, s0
                                        ; implicit-def: $vgpr28
	s_and_saveexec_b32 s0, s15
	s_cbranch_execz .LBB857_180
.LBB857_60:
	flat_load_u16 v28, v0, s[28:29] offset:8192 scale_offset
	s_wait_xcnt 0x0
	s_or_b32 exec_lo, exec_lo, s0
                                        ; implicit-def: $vgpr29
	s_and_saveexec_b32 s0, s16
	s_cbranch_execnz .LBB857_181
.LBB857_61:
	s_or_b32 exec_lo, exec_lo, s0
                                        ; implicit-def: $vgpr30
	s_and_saveexec_b32 s0, s17
	s_cbranch_execz .LBB857_63
.LBB857_62:
	flat_load_u16 v30, v0, s[28:29] offset:9216 scale_offset
.LBB857_63:
	s_wait_xcnt 0x0
	s_or_b32 exec_lo, exec_lo, s0
	v_mul_u32_u24_e32 v54, 20, v0
                                        ; implicit-def: $vgpr31
	s_and_saveexec_b32 s0, s18
	s_cbranch_execz .LBB857_65
; %bb.64:
	flat_load_u16 v31, v0, s[28:29] offset:9728 scale_offset
.LBB857_65:
	s_wait_xcnt 0x0
	s_or_b32 exec_lo, exec_lo, s0
	s_wait_loadcnt_dscnt 0x0
	ds_store_b16 v1, v10
	ds_store_b16 v1, v11 offset:512
	ds_store_b16 v1, v12 offset:1024
	;; [unrolled: 1-line block ×19, first 2 shown]
	v_cmp_gt_u32_e32 vcc_lo, s39, v54
	v_dual_mov_b32 v31, 0 :: v_dual_mov_b32 v39, 0
	v_dual_mov_b32 v55, 0 :: v_dual_mov_b32 v47, 0
	;; [unrolled: 1-line block ×18, first 2 shown]
	v_mov_b32_e32 v1, 0
	s_mov_b32 s1, 0
	s_mov_b32 s3, 0
	s_wait_dscnt 0x0
	s_barrier_signal -1
	s_barrier_wait -1
                                        ; implicit-def: $sgpr5
                                        ; implicit-def: $vgpr44
	s_and_saveexec_b32 s2, vcc_lo
	s_cbranch_execz .LBB857_105
; %bb.66:
	ds_load_u16 v1, v51
	v_dual_mov_b32 v39, 0 :: v_dual_lshrrev_b32 v6, 16, v6
	v_dual_mov_b32 v55, 0 :: v_dual_bitop2_b32 v10, 1, v54 bitop3:0x54
	v_dual_mov_b32 v47, 0 :: v_dual_mov_b32 v53, 0
	s_delay_alu instid0(VALU_DEP_3)
	v_cmp_eq_u16_e32 vcc_lo, 0, v6
	v_dual_mov_b32 v52, 0 :: v_dual_mov_b32 v49, 0
	v_dual_mov_b32 v48, 0 :: v_dual_mov_b32 v46, 0
	;; [unrolled: 1-line block ×6, first 2 shown]
	s_wait_dscnt 0x0
	v_dual_cndmask_b32 v1, s42, v1 :: v_dual_mov_b32 v34, 0
	v_mov_b32_e32 v33, 0
	v_cmp_gt_u32_e64 s0, s39, v10
	v_cndmask_b32_e64 v18, 0x10000, 0, vcc_lo
	s_delay_alu instid0(VALU_DEP_4)
	v_and_b32_e32 v31, 0xffff, v1
	v_dual_mov_b32 v10, 0 :: v_dual_mov_b32 v32, 0
	v_dual_mov_b32 v30, 0 :: v_dual_mov_b32 v29, 0
	;; [unrolled: 1-line block ×8, first 2 shown]
	v_mov_b32_e32 v1, 0
	s_mov_b32 s4, 0
                                        ; implicit-def: $sgpr5
                                        ; implicit-def: $vgpr44
	s_and_saveexec_b32 s3, s0
	s_cbranch_execz .LBB857_104
; %bb.67:
	ds_load_b128 v[10:13], v51 offset:2
	v_cmp_eq_u16_e32 vcc_lo, 0, v7
	v_dual_mov_b32 v55, 0 :: v_dual_bitop2_b32 v1, 2, v54 bitop3:0x54
	v_dual_mov_b32 v47, 0 :: v_dual_mov_b32 v53, 0
	v_dual_mov_b32 v52, 0 :: v_dual_mov_b32 v49, 0
	;; [unrolled: 1-line block ×8, first 2 shown]
	s_wait_dscnt 0x0
	v_dual_cndmask_b32 v6, s42, v10, vcc_lo :: v_dual_mov_b32 v32, 0
	v_dual_mov_b32 v30, 0 :: v_dual_mov_b32 v29, 0
	v_cmp_gt_u32_e64 s0, s39, v1
	v_cndmask_b32_e64 v39, 0x10000, 0, vcc_lo
	s_delay_alu instid0(VALU_DEP_4)
	v_and_b32_e32 v40, 0xffff, v6
	v_dual_mov_b32 v28, 0 :: v_dual_mov_b32 v27, 0
	v_dual_mov_b32 v26, 0 :: v_dual_mov_b32 v25, 0
	;; [unrolled: 1-line block ×6, first 2 shown]
	v_mov_b32_e32 v1, 0
	s_mov_b32 s6, 0
                                        ; implicit-def: $sgpr5
                                        ; implicit-def: $vgpr44
	s_and_saveexec_b32 s4, s0
	s_cbranch_execz .LBB857_103
; %bb.68:
	v_dual_lshrrev_b32 v1, 16, v7 :: v_dual_lshrrev_b32 v6, 16, v10
	v_dual_mov_b32 v47, 0 :: v_dual_bitop2_b32 v7, 3, v54 bitop3:0x54
	v_dual_mov_b32 v52, 0 :: v_dual_mov_b32 v49, 0
	s_delay_alu instid0(VALU_DEP_3) | instskip(NEXT) | instid1(VALU_DEP_3)
	v_cmp_eq_u16_e32 vcc_lo, 0, v1
	v_cmp_gt_u32_e64 s0, s39, v7
	v_dual_mov_b32 v48, 0 :: v_dual_mov_b32 v46, 0
	v_dual_mov_b32 v53, 0 :: v_dual_cndmask_b32 v1, s42, v6, vcc_lo
	v_cndmask_b32_e64 v32, 0x10000, 0, vcc_lo
	v_dual_mov_b32 v45, 0 :: v_dual_mov_b32 v43, 0
	v_dual_mov_b32 v42, 0 :: v_dual_mov_b32 v41, 0
	s_delay_alu instid0(VALU_DEP_4)
	v_and_b32_e32 v10, 0xffff, v1
	v_dual_mov_b32 v38, 0 :: v_dual_mov_b32 v37, 0
	v_dual_mov_b32 v36, 0 :: v_dual_mov_b32 v35, 0
	;; [unrolled: 1-line block ×10, first 2 shown]
	v_mov_b32_e32 v1, 0
	s_mov_b32 s7, 0
                                        ; implicit-def: $sgpr5
                                        ; implicit-def: $vgpr44
	s_and_saveexec_b32 s6, s0
	s_cbranch_execz .LBB857_102
; %bb.69:
	v_cmp_eq_u16_e32 vcc_lo, 0, v8
	v_dual_mov_b32 v53, 0 :: v_dual_mov_b32 v52, 0
	v_dual_mov_b32 v49, 0 :: v_dual_mov_b32 v48, 0
	v_dual_cndmask_b32 v1, s42, v11 :: v_dual_add_nc_u32 v6, 4, v54
	v_cndmask_b32_e64 v47, 0x10000, 0, vcc_lo
	v_dual_mov_b32 v46, 0 :: v_dual_mov_b32 v45, 0
	s_delay_alu instid0(VALU_DEP_3) | instskip(NEXT) | instid1(VALU_DEP_4)
	v_and_b32_e32 v30, 0xffff, v1
	v_cmp_gt_u32_e32 vcc_lo, s39, v6
	v_dual_mov_b32 v43, 0 :: v_dual_mov_b32 v42, 0
	v_dual_mov_b32 v41, 0 :: v_dual_mov_b32 v38, 0
	;; [unrolled: 1-line block ×11, first 2 shown]
	v_mov_b32_e32 v1, 0
	s_mov_b32 s0, 0
                                        ; implicit-def: $sgpr5
                                        ; implicit-def: $vgpr44
	s_and_saveexec_b32 s7, vcc_lo
	s_cbranch_execz .LBB857_101
; %bb.70:
	v_dual_lshrrev_b32 v1, 16, v8 :: v_dual_lshrrev_b32 v6, 16, v11
	v_dual_mov_b32 v52, 0 :: v_dual_add_nc_u32 v7, 5, v54
	v_dual_mov_b32 v48, 0 :: v_dual_mov_b32 v46, 0
	s_delay_alu instid0(VALU_DEP_3) | instskip(NEXT) | instid1(VALU_DEP_3)
	v_cmp_eq_u16_e32 vcc_lo, 0, v1
	v_cmp_gt_u32_e64 s0, s39, v7
	v_dual_mov_b32 v45, 0 :: v_dual_mov_b32 v43, 0
	v_dual_mov_b32 v49, 0 :: v_dual_cndmask_b32 v1, s42, v6, vcc_lo
	v_cndmask_b32_e64 v29, 0x10000, 0, vcc_lo
	v_dual_mov_b32 v42, 0 :: v_dual_mov_b32 v41, 0
	v_dual_mov_b32 v38, 0 :: v_dual_mov_b32 v37, 0
	s_delay_alu instid0(VALU_DEP_4)
	v_and_b32_e32 v11, 0xffff, v1
	v_dual_mov_b32 v36, 0 :: v_dual_mov_b32 v35, 0
	v_dual_mov_b32 v34, 0 :: v_dual_mov_b32 v33, 0
	;; [unrolled: 1-line block ×8, first 2 shown]
	v_mov_b32_e32 v1, 0
	s_mov_b32 s9, 0
                                        ; implicit-def: $sgpr5
                                        ; implicit-def: $vgpr44
	s_and_saveexec_b32 s8, s0
	s_cbranch_execz .LBB857_100
; %bb.71:
	v_cmp_eq_u16_e32 vcc_lo, 0, v9
	v_dual_mov_b32 v49, 0 :: v_dual_mov_b32 v48, 0
	v_dual_mov_b32 v46, 0 :: v_dual_mov_b32 v45, 0
	v_dual_cndmask_b32 v1, s42, v12 :: v_dual_add_nc_u32 v6, 6, v54
	v_cndmask_b32_e64 v52, 0x10000, 0, vcc_lo
	v_dual_mov_b32 v43, 0 :: v_dual_mov_b32 v42, 0
	s_delay_alu instid0(VALU_DEP_3) | instskip(NEXT) | instid1(VALU_DEP_4)
	v_and_b32_e32 v28, 0xffff, v1
	v_cmp_gt_u32_e32 vcc_lo, s39, v6
	v_dual_mov_b32 v41, 0 :: v_dual_mov_b32 v38, 0
	v_dual_mov_b32 v37, 0 :: v_dual_mov_b32 v36, 0
	;; [unrolled: 1-line block ×9, first 2 shown]
	v_mov_b32_e32 v1, 0
	s_mov_b32 s0, 0
                                        ; implicit-def: $sgpr5
                                        ; implicit-def: $vgpr44
	s_and_saveexec_b32 s9, vcc_lo
	s_cbranch_execz .LBB857_99
; %bb.72:
	v_dual_lshrrev_b32 v1, 16, v9 :: v_dual_lshrrev_b32 v6, 16, v12
	v_dual_mov_b32 v48, 0 :: v_dual_add_nc_u32 v7, 7, v54
	v_dual_mov_b32 v45, 0 :: v_dual_mov_b32 v43, 0
	s_delay_alu instid0(VALU_DEP_3) | instskip(NEXT) | instid1(VALU_DEP_3)
	v_cmp_eq_u16_e32 vcc_lo, 0, v1
	v_cmp_gt_u32_e64 s0, s39, v7
	v_dual_mov_b32 v42, 0 :: v_dual_mov_b32 v41, 0
	v_dual_mov_b32 v46, 0 :: v_dual_cndmask_b32 v1, s42, v6
	v_cndmask_b32_e64 v27, 0x10000, 0, vcc_lo
	v_dual_mov_b32 v38, 0 :: v_dual_mov_b32 v37, 0
	v_dual_mov_b32 v36, 0 :: v_dual_mov_b32 v35, 0
	s_delay_alu instid0(VALU_DEP_4)
	v_and_b32_e32 v12, 0xffff, v1
	v_dual_mov_b32 v34, 0 :: v_dual_mov_b32 v33, 0
	v_dual_mov_b32 v26, 0 :: v_dual_mov_b32 v25, 0
	;; [unrolled: 1-line block ×6, first 2 shown]
	v_mov_b32_e32 v1, 0
	s_mov_b32 s11, 0
                                        ; implicit-def: $sgpr5
                                        ; implicit-def: $vgpr44
	s_and_saveexec_b32 s10, s0
	s_cbranch_execz .LBB857_98
; %bb.73:
	v_cmp_eq_u16_e32 vcc_lo, 0, v2
	v_dual_mov_b32 v46, 0 :: v_dual_mov_b32 v45, 0
	v_dual_mov_b32 v43, 0 :: v_dual_mov_b32 v42, 0
	v_dual_cndmask_b32 v1, s42, v13 :: v_dual_add_nc_u32 v6, 8, v54
	v_cndmask_b32_e64 v48, 0x10000, 0, vcc_lo
	v_dual_mov_b32 v41, 0 :: v_dual_mov_b32 v38, 0
	s_delay_alu instid0(VALU_DEP_3) | instskip(NEXT) | instid1(VALU_DEP_4)
	v_and_b32_e32 v26, 0xffff, v1
	v_cmp_gt_u32_e32 vcc_lo, s39, v6
	v_dual_mov_b32 v37, 0 :: v_dual_mov_b32 v36, 0
	v_dual_mov_b32 v35, 0 :: v_dual_mov_b32 v34, 0
	;; [unrolled: 1-line block ×7, first 2 shown]
	v_mov_b32_e32 v1, 0
	s_mov_b32 s0, 0
                                        ; implicit-def: $sgpr5
                                        ; implicit-def: $vgpr44
	s_and_saveexec_b32 s11, vcc_lo
	s_cbranch_execz .LBB857_97
; %bb.74:
	v_dual_lshrrev_b32 v1, 16, v2 :: v_dual_lshrrev_b32 v2, 16, v13
	v_dual_mov_b32 v45, 0 :: v_dual_add_nc_u32 v6, 9, v54
	v_dual_mov_b32 v42, 0 :: v_dual_mov_b32 v41, 0
	s_delay_alu instid0(VALU_DEP_3) | instskip(NEXT) | instid1(VALU_DEP_3)
	v_cmp_eq_u16_e32 vcc_lo, 0, v1
	v_cmp_gt_u32_e64 s0, s39, v6
	v_dual_mov_b32 v38, 0 :: v_dual_mov_b32 v37, 0
	v_dual_mov_b32 v43, 0 :: v_dual_cndmask_b32 v1, s42, v2, vcc_lo
	v_cndmask_b32_e64 v13, 0x10000, 0, vcc_lo
	v_dual_mov_b32 v36, 0 :: v_dual_mov_b32 v35, 0
	v_dual_mov_b32 v34, 0 :: v_dual_mov_b32 v33, 0
	s_delay_alu instid0(VALU_DEP_4)
	v_and_b32_e32 v2, 0xffff, v1
	v_dual_mov_b32 v24, 0 :: v_dual_mov_b32 v23, 0
	v_dual_mov_b32 v22, 0 :: v_dual_mov_b32 v21, 0
	;; [unrolled: 1-line block ×4, first 2 shown]
	v_mov_b32_e32 v1, 0
	s_mov_b32 s13, 0
                                        ; implicit-def: $sgpr5
                                        ; implicit-def: $vgpr44
	s_and_saveexec_b32 s12, s0
	s_cbranch_execz .LBB857_96
; %bb.75:
	ds_load_b128 v[6:9], v51 offset:18
	v_cmp_eq_u16_e32 vcc_lo, 0, v3
	v_dual_mov_b32 v43, 0 :: v_dual_add_nc_u32 v1, 10, v54
	v_dual_mov_b32 v19, 0 :: v_dual_mov_b32 v42, 0
	v_dual_mov_b32 v41, 0 :: v_dual_mov_b32 v38, 0
	;; [unrolled: 1-line block ×7, first 2 shown]
	v_mov_b32_e32 v16, 0
	v_cmp_gt_u32_e64 s0, s39, v1
	s_wait_dscnt 0x0
	v_cndmask_b32_e32 v25, s42, v6, vcc_lo
	v_cndmask_b32_e64 v24, 0x10000, 0, vcc_lo
	v_mov_b32_e32 v1, 0
	s_mov_b32 s14, 0
                                        ; implicit-def: $sgpr5
                                        ; implicit-def: $vgpr44
	s_delay_alu instid0(VALU_DEP_3)
	v_and_b32_e32 v25, 0xffff, v25
	s_and_saveexec_b32 s13, s0
	s_cbranch_execz .LBB857_95
; %bb.76:
	v_dual_lshrrev_b32 v1, 16, v3 :: v_dual_lshrrev_b32 v3, 16, v6
	v_dual_mov_b32 v42, 0 :: v_dual_mov_b32 v41, 0
	v_dual_mov_b32 v38, 0 :: v_dual_mov_b32 v37, 0
	s_delay_alu instid0(VALU_DEP_3) | instskip(SKIP_3) | instid1(VALU_DEP_3)
	v_cmp_eq_u16_e32 vcc_lo, 0, v1
	v_dual_add_nc_u32 v6, 11, v54 :: v_dual_mov_b32 v36, 0
	v_dual_mov_b32 v35, 0 :: v_dual_mov_b32 v34, 0
	v_dual_mov_b32 v33, 0 :: v_dual_cndmask_b32 v1, s42, v3, vcc_lo
	v_cmp_gt_u32_e64 s0, s39, v6
	v_cndmask_b32_e64 v6, 0x10000, 0, vcc_lo
	v_dual_mov_b32 v22, 0 :: v_dual_mov_b32 v21, 0
	s_delay_alu instid0(VALU_DEP_4)
	v_and_b32_e32 v3, 0xffff, v1
	v_dual_mov_b32 v20, 0 :: v_dual_mov_b32 v19, 0
	v_dual_mov_b32 v17, 0 :: v_dual_mov_b32 v16, 0
	v_mov_b32_e32 v1, 0
	s_mov_b32 s15, 0
                                        ; implicit-def: $sgpr5
                                        ; implicit-def: $vgpr44
	s_and_saveexec_b32 s14, s0
	s_cbranch_execz .LBB857_94
; %bb.77:
	v_cmp_eq_u16_e32 vcc_lo, 0, v4
	v_dual_mov_b32 v41, 0 :: v_dual_mov_b32 v38, 0
	v_dual_mov_b32 v37, 0 :: v_dual_mov_b32 v36, 0
	v_dual_cndmask_b32 v1, s42, v7 :: v_dual_add_nc_u32 v16, 12, v54
	v_cndmask_b32_e64 v23, 0x10000, 0, vcc_lo
	v_dual_mov_b32 v35, 0 :: v_dual_mov_b32 v34, 0
	s_delay_alu instid0(VALU_DEP_3) | instskip(NEXT) | instid1(VALU_DEP_4)
	v_and_b32_e32 v22, 0xffff, v1
	v_cmp_gt_u32_e32 vcc_lo, s39, v16
	v_dual_mov_b32 v33, 0 :: v_dual_mov_b32 v21, 0
	v_dual_mov_b32 v20, 0 :: v_dual_mov_b32 v19, 0
	;; [unrolled: 1-line block ×3, first 2 shown]
	v_mov_b32_e32 v1, 0
	s_mov_b32 s0, 0
                                        ; implicit-def: $sgpr5
                                        ; implicit-def: $vgpr44
	s_and_saveexec_b32 s15, vcc_lo
	s_cbranch_execz .LBB857_93
; %bb.78:
	v_dual_lshrrev_b32 v1, 16, v4 :: v_dual_lshrrev_b32 v4, 16, v7
	v_dual_mov_b32 v38, 0 :: v_dual_mov_b32 v37, 0
	v_dual_mov_b32 v36, 0 :: v_dual_mov_b32 v35, 0
	s_delay_alu instid0(VALU_DEP_3) | instskip(SKIP_3) | instid1(VALU_DEP_3)
	v_cmp_eq_u16_e32 vcc_lo, 0, v1
	v_dual_mov_b32 v34, 0 :: v_dual_add_nc_u32 v7, 13, v54
	v_dual_mov_b32 v33, 0 :: v_dual_mov_b32 v20, 0
	v_dual_mov_b32 v19, 0 :: v_dual_cndmask_b32 v1, s42, v4, vcc_lo
	v_cmp_gt_u32_e64 s0, s39, v7
	v_cndmask_b32_e64 v7, 0x10000, 0, vcc_lo
	v_dual_mov_b32 v17, 0 :: v_dual_mov_b32 v16, 0
	s_delay_alu instid0(VALU_DEP_4)
	v_and_b32_e32 v4, 0xffff, v1
	v_mov_b32_e32 v1, 0
	s_mov_b32 s17, 0
                                        ; implicit-def: $sgpr5
                                        ; implicit-def: $vgpr44
	s_and_saveexec_b32 s16, s0
	s_cbranch_execz .LBB857_92
; %bb.79:
	v_cmp_eq_u16_e32 vcc_lo, 0, v5
	v_dual_mov_b32 v37, 0 :: v_dual_mov_b32 v36, 0
	v_dual_mov_b32 v35, 0 :: v_dual_mov_b32 v34, 0
	v_dual_cndmask_b32 v1, s42, v8 :: v_dual_add_nc_u32 v16, 14, v54
	v_cndmask_b32_e64 v21, 0x10000, 0, vcc_lo
	v_dual_mov_b32 v33, 0 :: v_dual_mov_b32 v19, 0
	s_delay_alu instid0(VALU_DEP_3) | instskip(NEXT) | instid1(VALU_DEP_4)
	v_and_b32_e32 v20, 0xffff, v1
	v_cmp_gt_u32_e32 vcc_lo, s39, v16
	v_dual_mov_b32 v17, 0 :: v_dual_mov_b32 v16, 0
	v_mov_b32_e32 v1, 0
	s_mov_b32 s0, 0
                                        ; implicit-def: $sgpr5
                                        ; implicit-def: $vgpr44
	s_and_saveexec_b32 s17, vcc_lo
	s_cbranch_execz .LBB857_91
; %bb.80:
	v_dual_lshrrev_b32 v1, 16, v5 :: v_dual_lshrrev_b32 v5, 16, v8
	v_dual_mov_b32 v36, 0 :: v_dual_mov_b32 v35, 0
	v_dual_mov_b32 v34, 0 :: v_dual_mov_b32 v33, 0
	s_delay_alu instid0(VALU_DEP_3) | instskip(SKIP_4) | instid1(VALU_DEP_3)
	v_cmp_eq_u16_e32 vcc_lo, 0, v1
	v_dual_mov_b32 v17, 0 :: v_dual_add_nc_u32 v8, 15, v54
	v_mov_b32_e32 v16, 0
	s_mov_b32 s19, 0
	v_cndmask_b32_e32 v1, s42, v5, vcc_lo
	v_cmp_gt_u32_e64 s0, s39, v8
	v_cndmask_b32_e64 v8, 0x10000, 0, vcc_lo
                                        ; implicit-def: $sgpr5
                                        ; implicit-def: $vgpr44
	s_delay_alu instid0(VALU_DEP_3)
	v_and_b32_e32 v5, 0xffff, v1
	v_mov_b32_e32 v1, 0
	s_and_saveexec_b32 s18, s0
	s_cbranch_execz .LBB857_90
; %bb.81:
	v_cmp_eq_u16_e32 vcc_lo, 0, v14
	v_dual_mov_b32 v35, 0 :: v_dual_mov_b32 v34, 0
	v_mov_b32_e32 v33, 0
	s_mov_b32 s0, 0
	v_dual_cndmask_b32 v1, s42, v9 :: v_dual_add_nc_u32 v16, 16, v54
	v_cndmask_b32_e64 v19, 0x10000, 0, vcc_lo
                                        ; implicit-def: $sgpr5
                                        ; implicit-def: $vgpr44
	s_delay_alu instid0(VALU_DEP_2) | instskip(NEXT) | instid1(VALU_DEP_3)
	v_and_b32_e32 v17, 0xffff, v1
	v_cmp_gt_u32_e32 vcc_lo, s39, v16
	v_dual_mov_b32 v16, 0 :: v_dual_mov_b32 v1, 0
	s_and_saveexec_b32 s19, vcc_lo
	s_cbranch_execz .LBB857_89
; %bb.82:
	v_dual_lshrrev_b32 v1, 16, v14 :: v_dual_lshrrev_b32 v9, 16, v9
	v_dual_mov_b32 v34, 0 :: v_dual_mov_b32 v33, 0
	s_mov_b32 s44, 0
	s_delay_alu instid0(VALU_DEP_2) | instskip(SKIP_2) | instid1(VALU_DEP_2)
	v_cmp_eq_u16_e32 vcc_lo, 0, v1
	v_add_nc_u32_e32 v14, 17, v54
                                        ; implicit-def: $sgpr5
                                        ; implicit-def: $vgpr44
	v_cndmask_b32_e32 v1, s42, v9, vcc_lo
	v_cmp_gt_u32_e64 s0, s39, v14
	v_cndmask_b32_e64 v14, 0x10000, 0, vcc_lo
	s_delay_alu instid0(VALU_DEP_3)
	v_and_b32_e32 v9, 0xffff, v1
	v_mov_b32_e32 v1, 0
	s_and_saveexec_b32 s43, s0
	s_cbranch_execz .LBB857_88
; %bb.83:
	ds_load_u16 v1, v51 offset:34
	v_cmp_eq_u16_e32 vcc_lo, 0, v15
	v_mov_b32_e32 v33, 0
	s_mov_b32 s0, exec_lo
                                        ; implicit-def: $sgpr5
                                        ; implicit-def: $vgpr44
	s_wait_dscnt 0x0
	v_dual_add_nc_u32 v34, 18, v54 :: v_dual_cndmask_b32 v16, s42, v1, vcc_lo
	v_cndmask_b32_e64 v1, 0x10000, 0, vcc_lo
	s_delay_alu instid0(VALU_DEP_2) | instskip(NEXT) | instid1(VALU_DEP_3)
	v_and_b32_e32 v16, 0xffff, v16
	v_cmpx_gt_u32_e64 s39, v34
	s_cbranch_execz .LBB857_87
; %bb.84:
	ds_load_b32 v34, v51 offset:36
	v_dual_lshrrev_b32 v15, 16, v15 :: v_dual_add_nc_u32 v35, 19, v54
                                        ; implicit-def: $sgpr5
                                        ; implicit-def: $vgpr44
	s_delay_alu instid0(VALU_DEP_1)
	v_cmp_eq_u16_e32 vcc_lo, 0, v15
	v_cndmask_b32_e64 v15, 0x10000, 0, vcc_lo
	s_wait_dscnt 0x0
	v_cndmask_b32_e32 v33, s42, v34, vcc_lo
	v_cmp_gt_u32_e32 vcc_lo, s39, v35
	s_mov_b32 s39, 0
	s_delay_alu instid0(VALU_DEP_2) | instskip(SKIP_1) | instid1(SALU_CYCLE_1)
	v_and_b32_e32 v33, 0xffff, v33
	s_and_saveexec_b32 s44, vcc_lo
	s_xor_b32 s44, exec_lo, s44
; %bb.85:
	v_lshrrev_b32_e32 v34, 16, v34
	v_cmp_ne_u16_e64 s5, 0, v50
	s_mov_b32 s39, exec_lo
	v_cndmask_b32_e64 v44, v34, s42, s5
; %bb.86:
	s_or_b32 exec_lo, exec_lo, s44
	v_or_b32_e32 v33, v15, v33
	s_and_b32 s44, s39, exec_lo
.LBB857_87:
	s_or_b32 exec_lo, exec_lo, s0
	s_delay_alu instid0(VALU_DEP_2) | instskip(NEXT) | instid1(VALU_DEP_2)
	v_or_b32_e32 v34, v1, v16
	v_mov_b32_e32 v1, v33
	s_and_b32 s44, s44, exec_lo
.LBB857_88:
	s_or_b32 exec_lo, exec_lo, s43
	v_or_b32_e32 v35, v14, v9
	v_mov_b32_e32 v16, v34
	s_and_b32 s0, s44, exec_lo
.LBB857_89:
	s_or_b32 exec_lo, exec_lo, s19
	v_or_b32_e32 v36, v19, v17
	v_mov_b32_e32 v17, v35
	s_and_b32 s19, s0, exec_lo
.LBB857_90:
	s_or_b32 exec_lo, exec_lo, s18
	v_or_b32_e32 v37, v8, v5
	v_mov_b32_e32 v19, v36
	s_and_b32 s0, s19, exec_lo
.LBB857_91:
	s_or_b32 exec_lo, exec_lo, s17
	v_or_b32_e32 v38, v21, v20
	v_mov_b32_e32 v20, v37
	s_and_b32 s17, s0, exec_lo
.LBB857_92:
	s_or_b32 exec_lo, exec_lo, s16
	s_delay_alu instid0(VALU_DEP_2)
	v_dual_mov_b32 v21, v38 :: v_dual_bitop2_b32 v41, v7, v4 bitop3:0x54
	s_and_b32 s0, s17, exec_lo
.LBB857_93:
	s_or_b32 exec_lo, exec_lo, s15
	s_delay_alu instid0(VALU_DEP_1)
	v_dual_mov_b32 v22, v41 :: v_dual_bitop2_b32 v42, v23, v22 bitop3:0x54
	s_and_b32 s15, s0, exec_lo
.LBB857_94:
	s_or_b32 exec_lo, exec_lo, s14
	v_or_b32_e32 v43, v6, v3
	s_delay_alu instid0(VALU_DEP_2)
	v_mov_b32_e32 v23, v42
	s_and_b32 s14, s15, exec_lo
.LBB857_95:
	s_or_b32 exec_lo, exec_lo, s13
	s_delay_alu instid0(VALU_DEP_1)
	v_dual_mov_b32 v24, v43 :: v_dual_bitop2_b32 v45, v24, v25 bitop3:0x54
	s_and_b32 s13, s14, exec_lo
.LBB857_96:
	s_or_b32 exec_lo, exec_lo, s12
	v_or_b32_e32 v46, v13, v2
	s_delay_alu instid0(VALU_DEP_2)
	v_mov_b32_e32 v25, v45
	s_and_b32 s0, s13, exec_lo
.LBB857_97:
	s_or_b32 exec_lo, exec_lo, s11
	s_delay_alu instid0(VALU_DEP_2)
	v_dual_mov_b32 v26, v46 :: v_dual_bitop2_b32 v48, v48, v26 bitop3:0x54
	s_and_b32 s11, s0, exec_lo
.LBB857_98:
	s_or_b32 exec_lo, exec_lo, s10
	s_delay_alu instid0(VALU_DEP_1)
	v_dual_mov_b32 v27, v48 :: v_dual_bitop2_b32 v49, v27, v12 bitop3:0x54
	s_and_b32 s0, s11, exec_lo
.LBB857_99:
	s_or_b32 exec_lo, exec_lo, s9
	s_delay_alu instid0(VALU_DEP_1)
	v_dual_mov_b32 v28, v49 :: v_dual_bitop2_b32 v52, v52, v28 bitop3:0x54
	s_and_b32 s9, s0, exec_lo
.LBB857_100:
	s_or_b32 exec_lo, exec_lo, s8
	s_delay_alu instid0(VALU_DEP_1)
	v_dual_mov_b32 v29, v52 :: v_dual_bitop2_b32 v53, v29, v11 bitop3:0x54
	s_and_b32 s0, s9, exec_lo
.LBB857_101:
	s_or_b32 exec_lo, exec_lo, s7
	s_delay_alu instid0(VALU_DEP_1)
	v_dual_mov_b32 v30, v53 :: v_dual_bitop2_b32 v47, v47, v30 bitop3:0x54
	s_and_b32 s7, s0, exec_lo
.LBB857_102:
	s_or_b32 exec_lo, exec_lo, s6
	s_delay_alu instid0(VALU_DEP_1)
	v_dual_mov_b32 v32, v47 :: v_dual_bitop2_b32 v55, v32, v10 bitop3:0x54
	s_and_b32 s6, s7, exec_lo
.LBB857_103:
	s_or_b32 exec_lo, exec_lo, s4
	v_or_b32_e32 v39, v39, v40
	s_delay_alu instid0(VALU_DEP_2)
	v_mov_b32_e32 v10, v55
	s_and_b32 s4, s6, exec_lo
.LBB857_104:
	s_or_b32 exec_lo, exec_lo, s3
	s_delay_alu instid0(VALU_DEP_2)
	v_dual_mov_b32 v11, v39 :: v_dual_bitop2_b32 v31, v18, v31 bitop3:0x54
	s_and_b32 s3, s4, exec_lo
.LBB857_105:
	s_or_b32 exec_lo, exec_lo, s2
	v_lshlrev_b32_e32 v18, 1, v0
	s_and_b32 vcc_lo, exec_lo, s1
	s_cbranch_vccnz .LBB857_107
	s_branch .LBB857_112
.LBB857_106:
                                        ; implicit-def: $sgpr5
                                        ; implicit-def: $vgpr44
                                        ; implicit-def: $vgpr31
                                        ; implicit-def: $vgpr39
                                        ; implicit-def: $vgpr55
                                        ; implicit-def: $vgpr47
                                        ; implicit-def: $vgpr53
                                        ; implicit-def: $vgpr52
                                        ; implicit-def: $vgpr49
                                        ; implicit-def: $vgpr48
                                        ; implicit-def: $vgpr46
                                        ; implicit-def: $vgpr45
                                        ; implicit-def: $vgpr43
                                        ; implicit-def: $vgpr42
                                        ; implicit-def: $vgpr41
                                        ; implicit-def: $vgpr38
                                        ; implicit-def: $vgpr37
                                        ; implicit-def: $vgpr36
                                        ; implicit-def: $vgpr35
                                        ; implicit-def: $vgpr34
                                        ; implicit-def: $vgpr33
                                        ; implicit-def: $vgpr11
                                        ; implicit-def: $vgpr10
                                        ; implicit-def: $vgpr32
                                        ; implicit-def: $vgpr30
                                        ; implicit-def: $vgpr29
                                        ; implicit-def: $vgpr28
                                        ; implicit-def: $vgpr27
                                        ; implicit-def: $vgpr26
                                        ; implicit-def: $vgpr25
                                        ; implicit-def: $vgpr24
                                        ; implicit-def: $vgpr23
                                        ; implicit-def: $vgpr22
                                        ; implicit-def: $vgpr21
                                        ; implicit-def: $vgpr20
                                        ; implicit-def: $vgpr19
                                        ; implicit-def: $vgpr17
                                        ; implicit-def: $vgpr16
                                        ; implicit-def: $vgpr1
	v_lshlrev_b32_e32 v18, 1, v0
	s_cbranch_execz .LBB857_112
.LBB857_107:
	s_clause 0x13
	flat_load_u16 v1, v0, s[40:41] scale_offset
	flat_load_u16 v2, v0, s[40:41] offset:512 scale_offset
	flat_load_u16 v3, v0, s[40:41] offset:1024 scale_offset
	;; [unrolled: 1-line block ×19, first 2 shown]
	v_mov_b32_e32 v22, 0
	v_mad_u32_u24 v23, v0, 38, v18
	s_mov_b32 s0, exec_lo
	s_wait_loadcnt_dscnt 0x1313
	ds_store_b16 v18, v1
	s_wait_loadcnt_dscnt 0x1213
	ds_store_b16 v18, v2 offset:512
	s_wait_loadcnt_dscnt 0x1113
	ds_store_b16 v18, v3 offset:1024
	;; [unrolled: 2-line block ×19, first 2 shown]
	s_wait_dscnt 0x0
	s_barrier_signal -1
	s_barrier_wait -1
	flat_load_u16 v1, v22, s[40:41] offset:10240
	ds_load_2addr_b64 v[6:9], v23 offset1:1
	ds_load_2addr_b64 v[2:5], v23 offset0:2 offset1:3
	ds_load_b64 v[20:21], v23 offset:32
	v_mad_i32_i24 v10, 0xffffffda, v0, v23
	s_wait_dscnt 0x2
	ds_store_b16 v10, v6 offset:10752
	s_wait_loadcnt_dscnt 0x0
	s_barrier_signal -1
	s_barrier_wait -1
	v_cmpx_ne_u32_e32 0xff, v0
; %bb.108:
	v_mul_i32_i24_e32 v1, 0xffffffda, v0
	s_delay_alu instid0(VALU_DEP_1)
	v_add_nc_u32_e32 v1, v23, v1
	ds_load_u16 v1, v1 offset:10754
; %bb.109:
	s_or_b32 exec_lo, exec_lo, s0
	s_wait_dscnt 0x0
	s_barrier_signal -1
	s_barrier_wait -1
	s_clause 0x13
	flat_load_u16 v10, v0, s[28:29] scale_offset
	flat_load_u16 v11, v0, s[28:29] offset:512 scale_offset
	flat_load_u16 v12, v0, s[28:29] offset:1024 scale_offset
	;; [unrolled: 1-line block ×19, first 2 shown]
	v_lshrrev_b32_e32 v6, 16, v6
	s_wait_loadcnt_dscnt 0x1313
	ds_store_b16 v18, v10
	s_wait_loadcnt_dscnt 0x1213
	ds_store_b16 v18, v11 offset:512
	s_wait_loadcnt_dscnt 0x1113
	ds_store_b16 v18, v12 offset:1024
	;; [unrolled: 2-line block ×19, first 2 shown]
	s_wait_dscnt 0x0
	s_barrier_signal -1
	s_barrier_wait -1
	ds_load_b128 v[14:17], v23 offset:2
	ds_load_b128 v[10:13], v23 offset:18
	ds_load_u16 v22, v23 offset:34
	ds_load_b32 v19, v23 offset:36
	v_mov_b32_e32 v24, s42
	v_cmp_eq_u16_e32 vcc_lo, 0, v6
	v_mov_b32_e32 v6, 0x10000
	s_and_saveexec_b32 s0, vcc_lo
; %bb.110:
	ds_load_u16 v24, v23
	v_mov_b32_e32 v6, 0
; %bb.111:
	s_or_b32 exec_lo, exec_lo, s0
	v_dual_lshrrev_b32 v31, 16, v7 :: v_dual_lshrrev_b32 v34, 16, v9
	v_cmp_eq_u16_e32 vcc_lo, 0, v7
	s_wait_dscnt 0x3
	v_dual_lshrrev_b32 v23, 16, v14 :: v_dual_lshrrev_b32 v25, 16, v15
	s_wait_dscnt 0x0
	v_dual_lshrrev_b32 v37, 16, v4 :: v_dual_lshrrev_b32 v40, 16, v19
	v_dual_lshrrev_b32 v33, 16, v8 :: v_dual_cndmask_b32 v7, s42, v14, vcc_lo
	v_cndmask_b32_e64 v38, 0x10000, 0, vcc_lo
	v_cmp_eq_u16_e32 vcc_lo, 0, v31
	v_lshrrev_b32_e32 v50, 16, v21
	v_and_b32_e32 v24, 0xffff, v24
	v_and_b32_e32 v7, 0xffff, v7
	v_cmp_eq_u16_e64 s0, 0, v8
	v_dual_cndmask_b32 v23, s42, v23 :: v_dual_lshrrev_b32 v26, 16, v16
	s_delay_alu instid0(VALU_DEP_4) | instskip(NEXT) | instid1(VALU_DEP_3)
	v_dual_lshrrev_b32 v27, 16, v17 :: v_dual_bitop2_b32 v31, v6, v24 bitop3:0x54
	v_cndmask_b32_e64 v8, s42, v15, s0
	v_or_b32_e32 v39, v38, v7
	s_delay_alu instid0(VALU_DEP_4)
	v_and_b32_e32 v6, 0xffff, v23
	v_cndmask_b32_e64 v7, 0x10000, 0, vcc_lo
	v_cndmask_b32_e64 v15, 0x10000, 0, s0
	v_cmp_eq_u16_e32 vcc_lo, 0, v33
	v_cmp_eq_u16_e64 s0, 0, v9
	v_and_b32_e32 v8, 0xffff, v8
	v_or_b32_e32 v55, v7, v6
	v_dual_lshrrev_b32 v35, 16, v2 :: v_dual_lshrrev_b32 v36, 16, v3
	v_cndmask_b32_e32 v23, s42, v25, vcc_lo
	v_cndmask_b32_e64 v9, s42, v16, s0
	v_cndmask_b32_e64 v7, 0x10000, 0, vcc_lo
	v_cmp_eq_u16_e32 vcc_lo, 0, v34
	v_or_b32_e32 v47, v15, v8
	v_and_b32_e32 v6, 0xffff, v23
	v_and_b32_e32 v8, 0xffff, v9
	v_cndmask_b32_e64 v9, 0x10000, 0, s0
	v_cndmask_b32_e32 v15, s42, v26, vcc_lo
	v_cmp_eq_u16_e64 s0, 0, v2
	v_or_b32_e32 v53, v7, v6
	v_cndmask_b32_e64 v7, 0x10000, 0, vcc_lo
	v_cmp_eq_u16_e32 vcc_lo, 0, v35
	s_delay_alu instid0(VALU_DEP_4)
	v_dual_cndmask_b32 v2, s42, v17, s0 :: v_dual_bitop2_b32 v52, v9, v8 bitop3:0x54
	v_and_b32_e32 v6, 0xffff, v15
	v_cndmask_b32_e64 v8, 0x10000, 0, s0
	v_cmp_eq_u16_e64 s0, 0, v3
	v_dual_lshrrev_b32 v28, 16, v10 :: v_dual_lshrrev_b32 v29, 16, v11
	v_and_b32_e32 v2, 0xffff, v2
	v_cndmask_b32_e32 v9, s42, v27, vcc_lo
	s_delay_alu instid0(VALU_DEP_4)
	v_cndmask_b32_e64 v3, s42, v10, s0
	v_or_b32_e32 v49, v7, v6
	v_cndmask_b32_e64 v7, 0x10000, 0, s0
	v_cmp_eq_u16_e64 s0, 0, v4
	v_or_b32_e32 v48, v8, v2
	v_and_b32_e32 v2, 0xffff, v9
	v_cndmask_b32_e64 v6, 0x10000, 0, vcc_lo
	v_cmp_eq_u16_e32 vcc_lo, 0, v36
	v_dual_cndmask_b32 v4, s42, v11, s0 :: v_dual_lshrrev_b32 v14, 16, v5
	s_delay_alu instid0(VALU_DEP_3) | instskip(SKIP_1) | instid1(VALU_DEP_3)
	v_dual_lshrrev_b32 v44, 16, v20 :: v_dual_bitop2_b32 v46, v6, v2 bitop3:0x54
	v_cndmask_b32_e64 v6, 0x10000, 0, s0
	v_and_b32_e32 v4, 0xffff, v4
	v_cndmask_b32_e32 v8, s42, v28, vcc_lo
	v_cmp_eq_u16_e64 s0, 0, v5
	v_dual_lshrrev_b32 v30, 16, v12 :: v_dual_lshrrev_b32 v32, 16, v13
	s_delay_alu instid0(VALU_DEP_4)
	v_or_b32_e32 v42, v6, v4
	v_and_b32_e32 v3, 0xffff, v3
	v_and_b32_e32 v2, 0xffff, v8
	v_cndmask_b32_e64 v5, s42, v12, s0
	v_cmp_eq_u16_e64 s1, 0, v50
	v_cmp_ne_u16_e64 s5, 0, v1
	v_or_b32_e32 v45, v7, v3
	v_cndmask_b32_e64 v3, 0x10000, 0, vcc_lo
	v_cmp_eq_u16_e32 vcc_lo, 0, v37
	v_and_b32_e32 v4, 0xffff, v5
	v_cndmask_b32_e64 v5, 0x10000, 0, s0
	v_cmp_eq_u16_e64 s0, 0, v20
	v_dual_cndmask_b32 v7, s42, v29, vcc_lo :: v_dual_bitop2_b32 v43, v3, v2 bitop3:0x54
	v_cndmask_b32_e64 v3, 0x10000, 0, vcc_lo
	v_cmp_eq_u16_e32 vcc_lo, 0, v14
	v_or_b32_e32 v38, v5, v4
	v_cndmask_b32_e64 v5, 0x10000, 0, s0
	v_and_b32_e32 v2, 0xffff, v7
	v_cndmask_b32_e64 v7, s42, v13, s0
	v_cndmask_b32_e32 v6, s42, v30, vcc_lo
	v_cmp_eq_u16_e64 s0, 0, v21
	v_cndmask_b32_e64 v11, 0x10000, 0, s1
	v_or_b32_e32 v41, v3, v2
	v_cndmask_b32_e64 v3, 0x10000, 0, vcc_lo
	v_cmp_eq_u16_e32 vcc_lo, 0, v44
	v_and_b32_e32 v2, 0xffff, v6
	v_and_b32_e32 v4, 0xffff, v7
	v_cndmask_b32_e64 v7, s42, v22, s0
	v_cndmask_b32_e64 v8, s42, v19, s1
	v_cndmask_b32_e32 v6, s42, v32, vcc_lo
	v_cndmask_b32_e64 v9, 0x10000, 0, vcc_lo
	v_cndmask_b32_e64 v10, 0x10000, 0, s0
	v_or_b32_e32 v37, v3, v2
	v_and_b32_e32 v8, 0xffff, v8
	v_and_b32_e32 v6, 0xffff, v6
	v_or_b32_e32 v36, v5, v4
	v_and_b32_e32 v7, 0xffff, v7
	v_cndmask_b32_e64 v44, v40, s42, s5
	v_dual_mov_b32 v30, v53 :: v_dual_bitop2_b32 v33, v11, v8 bitop3:0x54
	v_dual_mov_b32 v11, v39 :: v_dual_bitop2_b32 v35, v9, v6 bitop3:0x54
	s_delay_alu instid0(VALU_DEP_4)
	v_dual_mov_b32 v10, v55 :: v_dual_bitop2_b32 v34, v10, v7 bitop3:0x54
	v_dual_mov_b32 v32, v47 :: v_dual_mov_b32 v29, v52
	v_dual_mov_b32 v28, v49 :: v_dual_mov_b32 v27, v48
	;; [unrolled: 1-line block ×7, first 2 shown]
	v_mov_b32_e32 v1, v33
	s_mov_b32 s3, -1
.LBB857_112:
	v_mov_b32_e32 v12, 0
	s_and_saveexec_b32 s0, s3
	s_cbranch_execz .LBB857_114
; %bb.113:
	v_and_b32_e32 v2, 0xffff, v44
	v_cndmask_b32_e64 v3, 0, 0x10000, s5
	v_dual_mov_b32 v1, v33 :: v_dual_mov_b32 v16, v34
	v_dual_mov_b32 v17, v35 :: v_dual_mov_b32 v19, v36
	s_delay_alu instid0(VALU_DEP_3)
	v_dual_mov_b32 v20, v37 :: v_dual_bitop2_b32 v12, v3, v2 bitop3:0x54
	v_dual_mov_b32 v21, v38 :: v_dual_mov_b32 v22, v41
	v_dual_mov_b32 v23, v42 :: v_dual_mov_b32 v24, v43
	;; [unrolled: 1-line block ×6, first 2 shown]
	v_mov_b32_e32 v11, v39
.LBB857_114:
	s_or_b32 exec_lo, exec_lo, s0
	v_dual_lshrrev_b32 v14, 16, v31 :: v_dual_bitop2_b32 v2, v27, v26 bitop3:0x54
	v_dual_lshrrev_b32 v33, 3, v0 :: v_dual_bitop2_b32 v3, v19, v17 bitop3:0x54
	v_or_b32_e32 v13, v16, v1
	v_cmp_gt_u32_e64 s17, 0x10000, v11
	v_cmp_gt_u32_e64 s16, 0x10000, v10
	;; [unrolled: 1-line block ×8, first 2 shown]
	v_or3_b32 v15, v2, v28, v29
	v_cmp_gt_u32_e64 s10, 0x10000, v25
	v_cmp_gt_u32_e64 s8, 0x10000, v24
	v_cmp_gt_u32_e64 s7, 0x10000, v23
	v_cmp_gt_u32_e64 s6, 0x10000, v22
	v_cmp_gt_u32_e64 s5, 0x10000, v21
	v_cmp_gt_u32_e64 s4, 0x10000, v20
	v_cmp_gt_u32_e64 s3, 0x10000, v19
	v_cmp_gt_u32_e64 s1, 0x10000, v17
	v_or3_b32 v34, v3, v20, v21
	v_cmp_gt_u32_e64 s2, 0x10000, v16
	v_cmp_gt_u32_e64 s0, 0x10000, v1
	;; [unrolled: 1-line block ×3, first 2 shown]
	s_cmp_lg_u32 s38, 0
	v_cmp_gt_u32_e32 vcc_lo, 32, v0
	s_barrier_signal -1
	s_barrier_wait -1
	s_cbranch_scc0 .LBB857_182
; %bb.115:
	v_dual_cndmask_b32 v2, 0, v31, s17 :: v_dual_bitop2_b32 v5, 28, v33 bitop3:0x40
	v_or3_b32 v3, v34, v22, v23
	v_or3_b32 v4, v15, v30, v32
	s_delay_alu instid0(VALU_DEP_3) | instskip(NEXT) | instid1(VALU_DEP_3)
	v_add_nc_u16 v2, v2, v11
	v_or3_b32 v3, v3, v24, v25
	s_delay_alu instid0(VALU_DEP_3) | instskip(NEXT) | instid1(VALU_DEP_3)
	v_or3_b32 v4, v4, v10, v11
	v_cndmask_b32_e64 v2, 0, v2, s16
	s_delay_alu instid0(VALU_DEP_3) | instskip(NEXT) | instid1(VALU_DEP_2)
	v_or3_b32 v3, v12, v13, v3
	v_add_nc_u16 v2, v2, v10
	s_delay_alu instid0(VALU_DEP_2) | instskip(SKIP_1) | instid1(VALU_DEP_3)
	v_bitop3_b32 v3, v3, 0xff0000, v4 bitop3:0xc8
	v_lshl_add_u32 v4, v0, 2, v5
	v_cndmask_b32_e64 v2, 0, v2, s15
	s_delay_alu instid0(VALU_DEP_1) | instskip(NEXT) | instid1(VALU_DEP_1)
	v_add_nc_u16 v2, v2, v32
	v_cndmask_b32_e64 v2, 0, v2, s14
	s_delay_alu instid0(VALU_DEP_1) | instskip(NEXT) | instid1(VALU_DEP_1)
	v_add_nc_u16 v2, v2, v30
	;; [unrolled: 3-line block ×16, first 2 shown]
	v_cndmask_b32_e64 v2, 0, v2, s18
	v_cmp_eq_u32_e64 s18, 0, v3
	s_delay_alu instid0(VALU_DEP_2) | instskip(NEXT) | instid1(VALU_DEP_2)
	v_add_nc_u16 v35, v2, v12
	v_cndmask_b32_e64 v36, 1, v14, s18
	ds_store_b16 v4, v35
	ds_store_b8 v4, v36 offset:2
	s_wait_dscnt 0x0
	s_barrier_signal -1
	s_barrier_wait -1
	s_and_saveexec_b32 s19, vcc_lo
	s_cbranch_execz .LBB857_127
; %bb.116:
	v_and_b32_e32 v2, 0xfc, v0
	v_lshlrev_b32_e32 v3, 5, v0
	s_mov_b32 s28, exec_lo
	s_delay_alu instid0(VALU_DEP_1)
	v_add_nc_u32_e32 v2, v2, v3
	ds_load_u8 v4, v2 offset:6
	ds_load_b32 v3, v2
	ds_load_u16 v5, v2 offset:4
	ds_load_u8 v6, v2 offset:10
	ds_load_u16 v7, v2 offset:8
	ds_load_u16 v8, v2 offset:12
	ds_load_u8 v9, v2 offset:14
	ds_load_u16 v37, v2 offset:16
	s_wait_dscnt 0x7
	v_cmp_eq_u16_e64 s18, 0, v4
	s_wait_dscnt 0x4
	s_delay_alu instid0(VALU_DEP_1) | instskip(SKIP_1) | instid1(VALU_DEP_2)
	v_dual_cndmask_b32 v38, 0, v3, s18 :: v_dual_bitop2_b32 v4, v6, v4 bitop3:0x54
	v_cmp_eq_u16_e64 s18, 0, v6
	v_add_nc_u16 v5, v38, v5
	ds_load_u8 v38, v2 offset:18
	v_cndmask_b32_e64 v5, 0, v5, s18
	s_wait_dscnt 0x2
	v_cmp_eq_u16_e64 s18, 0, v9
	s_delay_alu instid0(VALU_DEP_2) | instskip(SKIP_2) | instid1(VALU_DEP_1)
	v_add_nc_u16 v5, v5, v7
	ds_load_u8 v7, v2 offset:22
	v_cndmask_b32_e64 v5, 0, v5, s18
	v_add_nc_u16 v5, v5, v8
	ds_load_u16 v8, v2 offset:20
	ds_load_u16 v39, v2 offset:24
	ds_load_u8 v40, v2 offset:26
	ds_load_u16 v41, v2 offset:28
	ds_load_u8 v42, v2 offset:30
	s_wait_dscnt 0x6
	v_cmp_eq_u16_e64 s18, 0, v38
	v_bitop3_b16 v6, v4, v38, v9 bitop3:0xfe
	v_and_b32_e32 v4, 0x10000, v3
	s_delay_alu instid0(VALU_DEP_3)
	v_cndmask_b32_e64 v5, 0, v5, s18
	s_wait_dscnt 0x5
	v_cmp_eq_u16_e64 s18, 0, v7
	s_wait_dscnt 0x2
	v_bitop3_b16 v6, v6, v40, v7 bitop3:0xfe
	s_wait_dscnt 0x0
	v_and_b32_e32 v7, 1, v42
	v_add_nc_u16 v5, v5, v37
	s_delay_alu instid0(VALU_DEP_1) | instskip(SKIP_1) | instid1(VALU_DEP_2)
	v_cndmask_b32_e64 v5, 0, v5, s18
	v_cmp_eq_u16_e64 s18, 0, v40
	v_add_nc_u16 v5, v5, v8
	s_delay_alu instid0(VALU_DEP_1) | instskip(SKIP_1) | instid1(VALU_DEP_2)
	v_cndmask_b32_e64 v5, 0, v5, s18
	v_cmp_eq_u16_e64 s18, 0, v42
	;; [unrolled: 4-line block ×3, first 2 shown]
	v_add_nc_u16 v6, v5, v41
	s_delay_alu instid0(VALU_DEP_2) | instskip(SKIP_4) | instid1(VALU_DEP_4)
	v_cndmask_b32_e64 v8, 0x10000, v4, s18
	v_cmp_eq_u32_e64 s18, 1, v7
	v_and_b32_e32 v5, 0xff000000, v3
	v_mbcnt_lo_u32_b32 v7, -1, 0
	v_and_b32_e32 v9, 0xffff, v6
	v_cndmask_b32_e64 v8, v8, 0x10000, s18
	s_delay_alu instid0(VALU_DEP_1) | instskip(NEXT) | instid1(VALU_DEP_3)
	v_or_b32_e32 v37, v8, v5
	v_or3_b32 v38, v5, v9, v8
	s_delay_alu instid0(VALU_DEP_2) | instskip(NEXT) | instid1(VALU_DEP_2)
	v_dual_lshrrev_b32 v9, 16, v37 :: v_dual_bitop2_b32 v8, 15, v7 bitop3:0x40
	v_mov_b32_dpp v39, v38 row_shr:1 row_mask:0xf bank_mask:0xf
	s_delay_alu instid0(VALU_DEP_2)
	v_cmpx_ne_u32_e32 0, v8
	s_cbranch_execz .LBB857_118
; %bb.117:
	s_delay_alu instid0(VALU_DEP_2) | instskip(SKIP_1) | instid1(VALU_DEP_2)
	v_dual_lshrrev_b32 v9, 16, v37 :: v_dual_lshrrev_b32 v38, 16, v39
	v_and_b32_e32 v37, 0x10000, v37
	v_and_b32_e32 v9, 0xff, v9
	s_delay_alu instid0(VALU_DEP_1) | instskip(NEXT) | instid1(VALU_DEP_1)
	v_cmp_eq_u16_e64 s18, 0, v9
	v_dual_cndmask_b32 v39, 0, v39, s18 :: v_dual_bitop2_b32 v38, 1, v38 bitop3:0x40
	s_delay_alu instid0(VALU_DEP_4) | instskip(NEXT) | instid1(VALU_DEP_2)
	v_cmp_ne_u32_e64 s18, 0, v37
	v_add_nc_u16 v6, v39, v6
	s_delay_alu instid0(VALU_DEP_2) | instskip(NEXT) | instid1(VALU_DEP_2)
	v_cndmask_b32_e64 v9, v38, 1, s18
	v_and_b32_e32 v38, 0xffff, v6
	s_delay_alu instid0(VALU_DEP_2) | instskip(NEXT) | instid1(VALU_DEP_1)
	v_lshlrev_b32_e32 v37, 16, v9
	v_or3_b32 v38, v37, v38, v5
.LBB857_118:
	s_or_b32 exec_lo, exec_lo, s28
	s_delay_alu instid0(VALU_DEP_1)
	v_lshrrev_b32_e32 v37, 16, v38
	v_mov_b32_dpp v39, v38 row_shr:2 row_mask:0xf bank_mask:0xf
	s_mov_b32 s28, exec_lo
	v_cmpx_lt_u32_e32 1, v8
	s_cbranch_execz .LBB857_120
; %bb.119:
	v_and_b32_e32 v37, 0xff, v37
	v_and_b32_e32 v38, 0x10000, v38
	s_delay_alu instid0(VALU_DEP_2) | instskip(NEXT) | instid1(VALU_DEP_1)
	v_cmp_eq_u16_e64 s18, 0, v37
	v_dual_lshrrev_b32 v9, 16, v39 :: v_dual_cndmask_b32 v37, 0, v39, s18
	s_delay_alu instid0(VALU_DEP_1) | instskip(NEXT) | instid1(VALU_DEP_4)
	v_and_b32_e32 v9, 1, v9
	v_cmp_ne_u32_e64 s18, 0, v38
	s_delay_alu instid0(VALU_DEP_3) | instskip(NEXT) | instid1(VALU_DEP_2)
	v_add_nc_u16 v6, v37, v6
	v_cndmask_b32_e64 v9, v9, 1, s18
	s_delay_alu instid0(VALU_DEP_2) | instskip(NEXT) | instid1(VALU_DEP_2)
	v_and_b32_e32 v38, 0xffff, v6
	v_lshlrev_b32_e32 v37, 16, v9
	s_delay_alu instid0(VALU_DEP_1)
	v_or3_b32 v38, v37, v38, v5
	v_mov_b32_e32 v37, v9
.LBB857_120:
	s_or_b32 exec_lo, exec_lo, s28
	s_delay_alu instid0(VALU_DEP_2)
	v_mov_b32_dpp v39, v38 row_shr:4 row_mask:0xf bank_mask:0xf
	s_mov_b32 s28, exec_lo
	v_cmpx_lt_u32_e32 3, v8
	s_cbranch_execz .LBB857_122
; %bb.121:
	v_and_b32_e32 v38, 0xff, v37
	v_dual_lshrrev_b32 v9, 16, v39 :: v_dual_bitop2_b32 v37, 1, v37 bitop3:0x40
	s_delay_alu instid0(VALU_DEP_2) | instskip(NEXT) | instid1(VALU_DEP_1)
	v_cmp_eq_u16_e64 s18, 0, v38
	v_dual_cndmask_b32 v38, 0, v39, s18 :: v_dual_bitop2_b32 v9, 1, v9 bitop3:0x40
	s_delay_alu instid0(VALU_DEP_3) | instskip(NEXT) | instid1(VALU_DEP_2)
	v_cmp_eq_u32_e64 s18, 1, v37
	v_add_nc_u16 v6, v38, v6
	s_delay_alu instid0(VALU_DEP_2) | instskip(NEXT) | instid1(VALU_DEP_2)
	v_cndmask_b32_e64 v9, v9, 1, s18
	v_and_b32_e32 v38, 0xffff, v6
	s_delay_alu instid0(VALU_DEP_2) | instskip(NEXT) | instid1(VALU_DEP_1)
	v_lshlrev_b32_e32 v37, 16, v9
	v_or3_b32 v38, v37, v38, v5
	v_mov_b32_e32 v37, v9
.LBB857_122:
	s_or_b32 exec_lo, exec_lo, s28
	s_delay_alu instid0(VALU_DEP_2)
	v_mov_b32_dpp v39, v38 row_shr:8 row_mask:0xf bank_mask:0xf
	s_mov_b32 s28, exec_lo
	v_cmpx_lt_u32_e32 7, v8
	s_cbranch_execz .LBB857_124
; %bb.123:
	v_and_b32_e32 v9, 0xff, v37
	v_dual_lshrrev_b32 v8, 16, v39 :: v_dual_bitop2_b32 v37, 1, v37 bitop3:0x40
	s_delay_alu instid0(VALU_DEP_2) | instskip(NEXT) | instid1(VALU_DEP_1)
	v_cmp_eq_u16_e64 s18, 0, v9
	v_dual_cndmask_b32 v38, 0, v39, s18 :: v_dual_bitop2_b32 v8, 1, v8 bitop3:0x40
	s_delay_alu instid0(VALU_DEP_3) | instskip(NEXT) | instid1(VALU_DEP_2)
	v_cmp_eq_u32_e64 s18, 1, v37
	v_add_nc_u16 v6, v38, v6
	s_delay_alu instid0(VALU_DEP_2) | instskip(NEXT) | instid1(VALU_DEP_2)
	v_cndmask_b32_e64 v9, v8, 1, s18
	v_and_b32_e32 v37, 0xffff, v6
	s_delay_alu instid0(VALU_DEP_2) | instskip(NEXT) | instid1(VALU_DEP_1)
	v_lshlrev_b32_e32 v8, 16, v9
	v_or3_b32 v38, v8, v37, v5
	v_mov_b32_e32 v37, v9
.LBB857_124:
	s_or_b32 exec_lo, exec_lo, s28
	ds_swizzle_b32 v8, v38 offset:swizzle(BROADCAST,32,15)
	v_and_b32_e32 v38, 16, v7
	s_mov_b32 s28, exec_lo
	s_delay_alu instid0(VALU_DEP_1)
	v_cmpx_ne_u32_e32 0, v38
	s_cbranch_execz .LBB857_126
; %bb.125:
	v_and_b32_e32 v9, 0xff, v37
	s_delay_alu instid0(VALU_DEP_1) | instskip(SKIP_2) | instid1(VALU_DEP_1)
	v_cmp_eq_u16_e64 s18, 0, v9
	s_wait_dscnt 0x0
	v_dual_lshrrev_b32 v38, 16, v8 :: v_dual_bitop2_b32 v9, 1, v37 bitop3:0x40
	v_dual_cndmask_b32 v8, 0, v8, s18 :: v_dual_bitop2_b32 v37, 1, v38 bitop3:0x40
	s_delay_alu instid0(VALU_DEP_2) | instskip(NEXT) | instid1(VALU_DEP_2)
	v_cmp_eq_u32_e64 s18, 1, v9
	v_add_nc_u16 v6, v8, v6
	s_delay_alu instid0(VALU_DEP_2)
	v_cndmask_b32_e64 v9, v37, 1, s18
.LBB857_126:
	s_or_b32 exec_lo, exec_lo, s28
	s_wait_dscnt 0x0
	s_delay_alu instid0(VALU_DEP_1) | instskip(SKIP_2) | instid1(VALU_DEP_3)
	v_and_b32_e32 v8, 0xff, v9
	v_add_nc_u32_e32 v9, -1, v7
	v_and_b32_e32 v6, 0xffff, v6
	; wave barrier
	v_lshlrev_b32_e32 v8, 16, v8
	s_delay_alu instid0(VALU_DEP_3) | instskip(NEXT) | instid1(VALU_DEP_2)
	v_cmp_gt_i32_e64 s18, 0, v9
	v_or3_b32 v5, v8, v6, v5
	s_delay_alu instid0(VALU_DEP_2) | instskip(NEXT) | instid1(VALU_DEP_1)
	v_cndmask_b32_e64 v7, v9, v7, s18
	v_lshlrev_b32_e32 v6, 2, v7
	ds_bpermute_b32 v5, v6, v5
	v_and_b32_e32 v6, 0xff0000, v3
	s_delay_alu instid0(VALU_DEP_1) | instskip(SKIP_1) | instid1(VALU_DEP_1)
	v_cmp_eq_u32_e64 s18, 0, v6
	s_wait_dscnt 0x0
	v_dual_lshrrev_b32 v7, 16, v5 :: v_dual_cndmask_b32 v5, 0, v5, s18
	v_cmp_eq_u32_e64 s18, 0, v4
	s_delay_alu instid0(VALU_DEP_2) | instskip(NEXT) | instid1(VALU_DEP_3)
	v_and_b32_e32 v6, 1, v7
	v_add_nc_u16 v3, v5, v3
	s_delay_alu instid0(VALU_DEP_2) | instskip(SKIP_1) | instid1(VALU_DEP_1)
	v_cndmask_b32_e64 v4, 1, v6, s18
	v_cmp_eq_u32_e64 s18, 0, v0
	v_dual_cndmask_b32 v3, v3, v35, s18 :: v_dual_cndmask_b32 v4, v4, v36, s18
	ds_store_b16 v2, v3
	ds_store_b8 v2, v4 offset:2
	; wave barrier
	ds_load_u8 v5, v2 offset:6
	ds_load_u16 v6, v2 offset:4
	ds_load_u8 v7, v2 offset:10
	ds_load_u16 v8, v2 offset:8
	ds_load_u16 v9, v2 offset:12
	ds_load_u8 v37, v2 offset:14
	ds_load_u16 v38, v2 offset:16
	ds_load_u8 v39, v2 offset:18
	s_wait_dscnt 0x7
	v_cmp_eq_u16_e64 s18, 0, v5
	s_delay_alu instid0(VALU_DEP_1) | instskip(SKIP_3) | instid1(VALU_DEP_3)
	v_dual_cndmask_b32 v3, 0, v3, s18 :: v_dual_bitop2_b32 v5, 1, v5 bitop3:0x40
	s_wait_dscnt 0x5
	v_cmp_eq_u16_e64 s18, 0, v7
	v_and_b32_e32 v7, 1, v7
	v_add_nc_u16 v3, v3, v6
	s_delay_alu instid0(VALU_DEP_1) | instskip(SKIP_2) | instid1(VALU_DEP_2)
	v_cndmask_b32_e64 v6, 0, v3, s18
	s_wait_dscnt 0x2
	v_cmp_eq_u16_e64 s18, 0, v37
	v_add_nc_u16 v6, v6, v8
	ds_load_u8 v8, v2 offset:22
	ds_load_u16 v41, v2 offset:20
	ds_load_u8 v42, v2 offset:26
	ds_load_u8 v43, v2 offset:30
	v_cndmask_b32_e64 v40, 0, v6, s18
	v_cmp_eq_u32_e64 s18, 1, v5
	v_and_b32_e32 v5, 1, v37
	s_delay_alu instid0(VALU_DEP_3) | instskip(NEXT) | instid1(VALU_DEP_3)
	v_add_nc_u16 v9, v40, v9
	v_cndmask_b32_e64 v4, v4, 1, s18
	s_wait_dscnt 0x4
	v_cmp_eq_u16_e64 s18, 0, v39
	ds_load_u16 v40, v2 offset:24
	ds_load_u16 v44, v2 offset:28
	v_cndmask_b32_e64 v37, 0, v9, s18
	v_cmp_eq_u32_e64 s18, 1, v7
	s_delay_alu instid0(VALU_DEP_2) | instskip(NEXT) | instid1(VALU_DEP_2)
	v_add_nc_u16 v37, v37, v38
	v_cndmask_b32_e64 v7, v4, 1, s18
	v_cmp_eq_u32_e64 s18, 1, v5
	v_and_b32_e32 v38, 1, v39
	s_delay_alu instid0(VALU_DEP_2) | instskip(SKIP_2) | instid1(VALU_DEP_1)
	v_cndmask_b32_e64 v5, v7, 1, s18
	s_wait_dscnt 0x5
	v_cmp_eq_u16_e64 s18, 0, v8
	v_dual_cndmask_b32 v39, 0, v37, s18 :: v_dual_bitop2_b32 v8, 1, v8 bitop3:0x40
	v_cmp_eq_u32_e64 s18, 1, v38
	s_wait_dscnt 0x4
	s_delay_alu instid0(VALU_DEP_2) | instskip(NEXT) | instid1(VALU_DEP_2)
	v_add_nc_u16 v39, v39, v41
	v_cndmask_b32_e64 v38, v5, 1, s18
	v_cmp_eq_u32_e64 s18, 1, v8
	ds_store_b16 v2, v3 offset:4
	ds_store_b8 v2, v4 offset:6
	ds_store_b16 v2, v6 offset:8
	ds_store_b8 v2, v7 offset:10
	;; [unrolled: 2-line block ×4, first 2 shown]
	v_cndmask_b32_e64 v8, v38, 1, s18
	s_wait_dscnt 0xb
	v_cmp_eq_u16_e64 s18, 0, v42
	s_delay_alu instid0(VALU_DEP_1) | instskip(NEXT) | instid1(VALU_DEP_1)
	v_dual_cndmask_b32 v42, 0, v39, s18 :: v_dual_bitop2_b32 v41, 1, v42 bitop3:0x40
	v_cmp_eq_u32_e64 s18, 1, v41
	s_wait_dscnt 0x9
	s_delay_alu instid0(VALU_DEP_2) | instskip(SKIP_1) | instid1(VALU_DEP_3)
	v_add_nc_u16 v40, v42, v40
	v_and_b32_e32 v45, 1, v43
	v_cndmask_b32_e64 v41, v8, 1, s18
	s_delay_alu instid0(VALU_DEP_2) | instskip(NEXT) | instid1(VALU_DEP_1)
	v_cmp_eq_u32_e64 s18, 1, v45
	v_cndmask_b32_e64 v42, v41, 1, s18
	v_cmp_eq_u16_e64 s18, 0, v43
	s_delay_alu instid0(VALU_DEP_1) | instskip(SKIP_1) | instid1(VALU_DEP_1)
	v_cndmask_b32_e64 v43, 0, v40, s18
	s_wait_dscnt 0x8
	v_add_nc_u16 v3, v43, v44
	ds_store_b16 v2, v39 offset:20
	ds_store_b8 v2, v8 offset:22
	ds_store_b16 v2, v40 offset:24
	ds_store_b8 v2, v41 offset:26
	;; [unrolled: 2-line block ×3, first 2 shown]
.LBB857_127:
	s_or_b32 exec_lo, exec_lo, s19
	v_cmp_eq_u32_e64 s18, 0, v0
	s_mov_b32 s28, exec_lo
	s_wait_dscnt 0x0
	s_barrier_signal -1
	s_barrier_wait -1
	v_cmpx_ne_u32_e32 0, v0
	s_cbranch_execz .LBB857_129
; %bb.128:
	v_add_nc_u32_e32 v2, -1, v0
	s_delay_alu instid0(VALU_DEP_1) | instskip(NEXT) | instid1(VALU_DEP_1)
	v_lshrrev_b32_e32 v3, 3, v2
	v_and_b32_e32 v3, 0x1ffffffc, v3
	s_delay_alu instid0(VALU_DEP_1)
	v_lshl_add_u32 v2, v2, 2, v3
	ds_load_u16 v35, v2
	ds_load_u8 v36, v2 offset:2
.LBB857_129:
	s_or_b32 exec_lo, exec_lo, s28
	s_and_saveexec_b32 s28, vcc_lo
	s_cbranch_execz .LBB857_259
; %bb.130:
	v_mov_b32_e32 v9, 0
	v_mbcnt_lo_u32_b32 v37, -1, 0
	ds_load_b32 v2, v9 offset:1048
	v_cmp_eq_u32_e64 s19, 0, v37
	s_and_saveexec_b32 s29, s19
	s_cbranch_execz .LBB857_132
; %bb.131:
	s_add_co_i32 s39, s38, 32
	s_delay_alu instid0(SALU_CYCLE_1)
	v_dual_mov_b32 v3, 1 :: v_dual_mov_b32 v4, s39
	s_wait_dscnt 0x0
	global_store_b64 v4, v[2:3], s[24:25] scale_offset scope:SCOPE_DEV
.LBB857_132:
	s_wait_xcnt 0x0
	s_or_b32 exec_lo, exec_lo, s29
	v_xad_u32 v4, v37, -1, s38
	s_mov_b32 s29, exec_lo
	s_delay_alu instid0(VALU_DEP_1) | instskip(SKIP_4) | instid1(VALU_DEP_1)
	v_add_nc_u32_e32 v8, 32, v4
	global_load_b64 v[6:7], v8, s[24:25] scale_offset scope:SCOPE_DEV
	s_wait_loadcnt 0x0
	v_and_b32_e32 v3, 0xff, v7
	s_wait_xcnt 0x0
	v_cmpx_eq_u16_e32 0, v3
	s_cbranch_execz .LBB857_136
; %bb.133:
	v_lshl_add_u64 v[8:9], v[8:9], 3, s[24:25]
	s_mov_b32 s39, 0
.LBB857_134:                            ; =>This Inner Loop Header: Depth=1
	global_load_b64 v[6:7], v[8:9], off scope:SCOPE_DEV
	s_wait_loadcnt 0x0
	v_and_b32_e32 v3, 0xff, v7
	s_delay_alu instid0(VALU_DEP_1)
	v_cmp_ne_u16_e32 vcc_lo, 0, v3
	s_or_b32 s39, vcc_lo, s39
	s_wait_xcnt 0x0
	s_and_not1_b32 exec_lo, exec_lo, s39
	s_cbranch_execnz .LBB857_134
; %bb.135:
	s_or_b32 exec_lo, exec_lo, s39
.LBB857_136:
	s_delay_alu instid0(SALU_CYCLE_1)
	s_or_b32 exec_lo, exec_lo, s29
	v_cmp_ne_u32_e32 vcc_lo, 31, v37
	v_and_b32_e32 v46, 0xffffff, v6
	v_and_b32_e32 v5, 0xff, v7
	v_lshlrev_b32_e64 v38, v37, -1
	v_bfe_u32 v9, v6, 16, 8
	v_add_co_ci_u32_e64 v3, null, 0, v37, vcc_lo
	s_delay_alu instid0(VALU_DEP_4) | instskip(SKIP_1) | instid1(VALU_DEP_2)
	v_cmp_eq_u16_e32 vcc_lo, 2, v5
	s_mov_b32 s29, exec_lo
	v_dual_lshrrev_b32 v8, 16, v6 :: v_dual_lshlrev_b32 v3, 2, v3
	v_and_or_b32 v5, vcc_lo, v38, 0x80000000
	ds_bpermute_b32 v39, v3, v46
	v_ctz_i32_b32_e32 v5, v5
	s_delay_alu instid0(VALU_DEP_1)
	v_cmpx_lt_u32_e64 v37, v5
	s_cbranch_execz .LBB857_138
; %bb.137:
	v_and_b32_e32 v8, 0xff0000, v6
	s_delay_alu instid0(VALU_DEP_1) | instskip(SKIP_3) | instid1(VALU_DEP_1)
	v_and_b32_e32 v40, 0x10000, v8
	v_cmp_eq_u32_e32 vcc_lo, 0, v8
	s_wait_dscnt 0x0
	v_dual_lshrrev_b32 v9, 16, v39 :: v_dual_cndmask_b32 v39, 0, v39, vcc_lo
	v_and_b32_e32 v9, 1, v9
	v_cmp_ne_u32_e32 vcc_lo, 0, v40
	s_delay_alu instid0(VALU_DEP_3) | instskip(NEXT) | instid1(VALU_DEP_3)
	v_add_nc_u16 v6, v39, v6
	v_cndmask_b32_e64 v8, v9, 1, vcc_lo
	s_delay_alu instid0(VALU_DEP_2) | instskip(NEXT) | instid1(VALU_DEP_2)
	v_and_b32_e32 v39, 0xffff, v6
	v_lshlrev_b32_e32 v9, 16, v8
	s_delay_alu instid0(VALU_DEP_1)
	v_dual_mov_b32 v9, v8 :: v_dual_bitop2_b32 v46, v9, v39 bitop3:0x54
.LBB857_138:
	s_or_b32 exec_lo, exec_lo, s29
	v_cmp_gt_u32_e32 vcc_lo, 30, v37
	v_add_nc_u32_e32 v40, 2, v37
	s_mov_b32 s29, exec_lo
	s_wait_dscnt 0x0
	v_cndmask_b32_e64 v39, 0, 2, vcc_lo
	s_delay_alu instid0(VALU_DEP_1)
	v_add_lshl_u32 v39, v39, v37, 2
	ds_bpermute_b32 v41, v39, v46
	v_cmpx_le_u32_e64 v40, v5
	s_cbranch_execz .LBB857_140
; %bb.139:
	v_cmp_eq_u16_e32 vcc_lo, 0, v9
	s_wait_dscnt 0x0
	v_lshrrev_b32_e32 v8, 16, v41
	v_and_b32_e32 v9, 1, v9
	s_delay_alu instid0(VALU_DEP_2) | instskip(NEXT) | instid1(VALU_DEP_2)
	v_dual_cndmask_b32 v41, 0, v41, vcc_lo :: v_dual_bitop2_b32 v8, 1, v8 bitop3:0x40
	v_cmp_eq_u32_e32 vcc_lo, 1, v9
	s_delay_alu instid0(VALU_DEP_2) | instskip(NEXT) | instid1(VALU_DEP_3)
	v_add_nc_u16 v6, v41, v6
	v_cndmask_b32_e64 v8, v8, 1, vcc_lo
	s_delay_alu instid0(VALU_DEP_2) | instskip(NEXT) | instid1(VALU_DEP_2)
	v_and_b32_e32 v9, 0xffff, v6
	v_lshlrev_b32_e32 v41, 16, v8
	s_delay_alu instid0(VALU_DEP_1)
	v_dual_mov_b32 v9, v8 :: v_dual_bitop2_b32 v46, v41, v9 bitop3:0x54
.LBB857_140:
	s_or_b32 exec_lo, exec_lo, s29
	v_cmp_gt_u32_e32 vcc_lo, 28, v37
	v_add_nc_u32_e32 v42, 4, v37
	s_mov_b32 s29, exec_lo
	s_wait_dscnt 0x0
	v_cndmask_b32_e64 v41, 0, 4, vcc_lo
	s_delay_alu instid0(VALU_DEP_1)
	v_add_lshl_u32 v41, v41, v37, 2
	ds_bpermute_b32 v43, v41, v46
	v_cmpx_le_u32_e64 v42, v5
	s_cbranch_execz .LBB857_142
; %bb.141:
	v_cmp_eq_u16_e32 vcc_lo, 0, v9
	s_wait_dscnt 0x0
	v_dual_lshrrev_b32 v8, 16, v43 :: v_dual_bitop2_b32 v9, 1, v9 bitop3:0x40
	s_delay_alu instid0(VALU_DEP_1) | instskip(NEXT) | instid1(VALU_DEP_2)
	v_dual_cndmask_b32 v43, 0, v43, vcc_lo :: v_dual_bitop2_b32 v8, 1, v8 bitop3:0x40
	v_cmp_eq_u32_e32 vcc_lo, 1, v9
	s_delay_alu instid0(VALU_DEP_2) | instskip(NEXT) | instid1(VALU_DEP_3)
	v_add_nc_u16 v6, v43, v6
	v_cndmask_b32_e64 v8, v8, 1, vcc_lo
	s_delay_alu instid0(VALU_DEP_2) | instskip(NEXT) | instid1(VALU_DEP_2)
	v_and_b32_e32 v9, 0xffff, v6
	v_lshlrev_b32_e32 v43, 16, v8
	s_delay_alu instid0(VALU_DEP_1)
	v_dual_mov_b32 v9, v8 :: v_dual_bitop2_b32 v46, v43, v9 bitop3:0x54
.LBB857_142:
	s_or_b32 exec_lo, exec_lo, s29
	v_cmp_gt_u32_e32 vcc_lo, 24, v37
	v_add_nc_u32_e32 v44, 8, v37
	s_mov_b32 s29, exec_lo
	s_wait_dscnt 0x0
	v_cndmask_b32_e64 v43, 0, 8, vcc_lo
	s_delay_alu instid0(VALU_DEP_1)
	v_add_lshl_u32 v43, v43, v37, 2
	ds_bpermute_b32 v45, v43, v46
	v_cmpx_le_u32_e64 v44, v5
	s_cbranch_execz .LBB857_144
; %bb.143:
	v_cmp_eq_u16_e32 vcc_lo, 0, v9
	s_wait_dscnt 0x0
	v_lshrrev_b32_e32 v8, 16, v45
	v_and_b32_e32 v9, 1, v9
	s_delay_alu instid0(VALU_DEP_2) | instskip(NEXT) | instid1(VALU_DEP_2)
	v_dual_cndmask_b32 v45, 0, v45, vcc_lo :: v_dual_bitop2_b32 v8, 1, v8 bitop3:0x40
	v_cmp_eq_u32_e32 vcc_lo, 1, v9
	s_delay_alu instid0(VALU_DEP_2) | instskip(NEXT) | instid1(VALU_DEP_3)
	v_add_nc_u16 v6, v45, v6
	v_cndmask_b32_e64 v8, v8, 1, vcc_lo
	s_delay_alu instid0(VALU_DEP_2) | instskip(NEXT) | instid1(VALU_DEP_2)
	v_and_b32_e32 v9, 0xffff, v6
	v_lshlrev_b32_e32 v45, 16, v8
	s_delay_alu instid0(VALU_DEP_1)
	v_dual_mov_b32 v9, v8 :: v_dual_bitop2_b32 v46, v45, v9 bitop3:0x54
.LBB857_144:
	s_or_b32 exec_lo, exec_lo, s29
	s_wait_dscnt 0x0
	v_lshl_or_b32 v45, v37, 2, 64
	v_add_nc_u32_e32 v47, 16, v37
	s_mov_b32 s29, exec_lo
	ds_bpermute_b32 v46, v45, v46
	v_cmpx_le_u32_e64 v47, v5
	s_cbranch_execz .LBB857_146
; %bb.145:
	v_cmp_eq_u16_e32 vcc_lo, 0, v9
	s_wait_dscnt 0x0
	v_dual_lshrrev_b32 v5, 16, v46 :: v_dual_bitop2_b32 v9, 1, v9 bitop3:0x40
	s_delay_alu instid0(VALU_DEP_1) | instskip(NEXT) | instid1(VALU_DEP_2)
	v_dual_cndmask_b32 v8, 0, v46, vcc_lo :: v_dual_bitop2_b32 v5, 1, v5 bitop3:0x40
	v_cmp_eq_u32_e32 vcc_lo, 1, v9
	s_delay_alu instid0(VALU_DEP_2) | instskip(NEXT) | instid1(VALU_DEP_3)
	v_add_nc_u16 v6, v8, v6
	v_cndmask_b32_e64 v8, v5, 1, vcc_lo
.LBB857_146:
	s_or_b32 exec_lo, exec_lo, s29
	v_mov_b32_e32 v5, 0
	s_branch .LBB857_149
.LBB857_147:                            ;   in Loop: Header=BB857_149 Depth=1
	s_or_b32 exec_lo, exec_lo, s29
	v_and_b32_e32 v8, 0xff, v46
	v_subrev_nc_u32_e32 v4, 32, v4
	s_mov_b32 s29, 0
	v_and_b32_e32 v9, 1, v9
	s_delay_alu instid0(VALU_DEP_3) | instskip(SKIP_2) | instid1(VALU_DEP_2)
	v_cmp_eq_u16_e32 vcc_lo, 0, v8
	v_and_b32_e32 v8, 1, v46
	v_cndmask_b32_e32 v6, 0, v6, vcc_lo
	v_cmp_eq_u32_e32 vcc_lo, 1, v8
	s_delay_alu instid0(VALU_DEP_2)
	v_add_nc_u16 v6, v6, v48
	v_cndmask_b32_e64 v8, v9, 1, vcc_lo
.LBB857_148:                            ;   in Loop: Header=BB857_149 Depth=1
	s_and_b32 vcc_lo, exec_lo, s29
	s_cbranch_vccnz .LBB857_255
.LBB857_149:                            ; =>This Loop Header: Depth=1
                                        ;     Child Loop BB857_152 Depth 2
	v_and_b32_e32 v7, 0xff, v7
	s_wait_dscnt 0x0
	v_dual_mov_b32 v46, v8 :: v_dual_mov_b32 v48, v6
	s_mov_b32 s29, -1
                                        ; implicit-def: $vgpr8
	s_delay_alu instid0(VALU_DEP_2)
	v_cmp_ne_u16_e32 vcc_lo, 2, v7
                                        ; implicit-def: $vgpr6
	s_cmp_lg_u32 vcc_lo, exec_lo
	s_cbranch_scc1 .LBB857_148
; %bb.150:                              ;   in Loop: Header=BB857_149 Depth=1
	global_load_b64 v[6:7], v4, s[24:25] scale_offset scope:SCOPE_DEV
	s_mov_b32 s29, exec_lo
	s_wait_loadcnt 0x0
	v_and_b32_e32 v8, 0xff, v7
	s_wait_xcnt 0x0
	s_delay_alu instid0(VALU_DEP_1)
	v_cmpx_eq_u16_e32 0, v8
	s_cbranch_execz .LBB857_154
; %bb.151:                              ;   in Loop: Header=BB857_149 Depth=1
	v_lshl_add_u64 v[8:9], v[4:5], 3, s[24:25]
	s_mov_b32 s39, 0
.LBB857_152:                            ;   Parent Loop BB857_149 Depth=1
                                        ; =>  This Inner Loop Header: Depth=2
	global_load_b64 v[6:7], v[8:9], off scope:SCOPE_DEV
	s_wait_loadcnt 0x0
	v_and_b32_e32 v49, 0xff, v7
	s_delay_alu instid0(VALU_DEP_1)
	v_cmp_ne_u16_e32 vcc_lo, 0, v49
	s_or_b32 s39, vcc_lo, s39
	s_wait_xcnt 0x0
	s_and_not1_b32 exec_lo, exec_lo, s39
	s_cbranch_execnz .LBB857_152
; %bb.153:                              ;   in Loop: Header=BB857_149 Depth=1
	s_or_b32 exec_lo, exec_lo, s39
.LBB857_154:                            ;   in Loop: Header=BB857_149 Depth=1
	s_delay_alu instid0(SALU_CYCLE_1)
	s_or_b32 exec_lo, exec_lo, s29
	v_and_b32_e32 v50, 0xffffff, v6
	v_and_b32_e32 v8, 0xff, v7
	v_lshrrev_b32_e32 v9, 16, v6
	v_bfe_u32 v49, v6, 16, 8
	s_mov_b32 s29, exec_lo
	ds_bpermute_b32 v51, v3, v50
	v_cmp_eq_u16_e32 vcc_lo, 2, v8
	v_and_or_b32 v8, vcc_lo, v38, 0x80000000
	s_delay_alu instid0(VALU_DEP_1) | instskip(NEXT) | instid1(VALU_DEP_1)
	v_ctz_i32_b32_e32 v8, v8
	v_cmpx_lt_u32_e64 v37, v8
	s_cbranch_execz .LBB857_156
; %bb.155:                              ;   in Loop: Header=BB857_149 Depth=1
	v_and_b32_e32 v9, 0xff0000, v6
	s_delay_alu instid0(VALU_DEP_1) | instskip(SKIP_3) | instid1(VALU_DEP_1)
	v_and_b32_e32 v50, 0x10000, v9
	v_cmp_eq_u32_e32 vcc_lo, 0, v9
	s_wait_dscnt 0x0
	v_dual_lshrrev_b32 v49, 16, v51 :: v_dual_cndmask_b32 v51, 0, v51, vcc_lo
	v_and_b32_e32 v49, 1, v49
	v_cmp_ne_u32_e32 vcc_lo, 0, v50
	s_delay_alu instid0(VALU_DEP_3) | instskip(NEXT) | instid1(VALU_DEP_3)
	v_add_nc_u16 v6, v51, v6
	v_cndmask_b32_e64 v9, v49, 1, vcc_lo
	s_delay_alu instid0(VALU_DEP_2) | instskip(NEXT) | instid1(VALU_DEP_2)
	v_and_b32_e32 v50, 0xffff, v6
	v_lshlrev_b32_e32 v49, 16, v9
	s_delay_alu instid0(VALU_DEP_1)
	v_or_b32_e32 v50, v49, v50
	v_mov_b32_e32 v49, v9
.LBB857_156:                            ;   in Loop: Header=BB857_149 Depth=1
	s_or_b32 exec_lo, exec_lo, s29
	s_wait_dscnt 0x0
	ds_bpermute_b32 v51, v39, v50
	s_mov_b32 s29, exec_lo
	v_cmpx_le_u32_e64 v40, v8
	s_cbranch_execz .LBB857_158
; %bb.157:                              ;   in Loop: Header=BB857_149 Depth=1
	v_cmp_eq_u16_e32 vcc_lo, 0, v49
	s_wait_dscnt 0x0
	v_dual_lshrrev_b32 v9, 16, v51 :: v_dual_bitop2_b32 v49, 1, v49 bitop3:0x40
	s_delay_alu instid0(VALU_DEP_1) | instskip(NEXT) | instid1(VALU_DEP_2)
	v_dual_cndmask_b32 v50, 0, v51, vcc_lo :: v_dual_bitop2_b32 v9, 1, v9 bitop3:0x40
	v_cmp_eq_u32_e32 vcc_lo, 1, v49
	s_delay_alu instid0(VALU_DEP_2) | instskip(NEXT) | instid1(VALU_DEP_3)
	v_add_nc_u16 v6, v50, v6
	v_cndmask_b32_e64 v9, v9, 1, vcc_lo
	s_delay_alu instid0(VALU_DEP_2) | instskip(NEXT) | instid1(VALU_DEP_2)
	v_and_b32_e32 v49, 0xffff, v6
	v_lshlrev_b32_e32 v50, 16, v9
	s_delay_alu instid0(VALU_DEP_1)
	v_dual_mov_b32 v49, v9 :: v_dual_bitop2_b32 v50, v50, v49 bitop3:0x54
.LBB857_158:                            ;   in Loop: Header=BB857_149 Depth=1
	s_or_b32 exec_lo, exec_lo, s29
	s_wait_dscnt 0x0
	ds_bpermute_b32 v51, v41, v50
	s_mov_b32 s29, exec_lo
	v_cmpx_le_u32_e64 v42, v8
	s_cbranch_execz .LBB857_160
; %bb.159:                              ;   in Loop: Header=BB857_149 Depth=1
	v_cmp_eq_u16_e32 vcc_lo, 0, v49
	s_wait_dscnt 0x0
	v_dual_lshrrev_b32 v9, 16, v51 :: v_dual_bitop2_b32 v49, 1, v49 bitop3:0x40
	s_delay_alu instid0(VALU_DEP_1) | instskip(NEXT) | instid1(VALU_DEP_2)
	v_dual_cndmask_b32 v50, 0, v51, vcc_lo :: v_dual_bitop2_b32 v9, 1, v9 bitop3:0x40
	v_cmp_eq_u32_e32 vcc_lo, 1, v49
	s_delay_alu instid0(VALU_DEP_2) | instskip(NEXT) | instid1(VALU_DEP_3)
	v_add_nc_u16 v6, v50, v6
	v_cndmask_b32_e64 v9, v9, 1, vcc_lo
	s_delay_alu instid0(VALU_DEP_2) | instskip(NEXT) | instid1(VALU_DEP_2)
	v_and_b32_e32 v49, 0xffff, v6
	v_lshlrev_b32_e32 v50, 16, v9
	s_delay_alu instid0(VALU_DEP_1)
	v_dual_mov_b32 v49, v9 :: v_dual_bitop2_b32 v50, v50, v49 bitop3:0x54
.LBB857_160:                            ;   in Loop: Header=BB857_149 Depth=1
	;; [unrolled: 22-line block ×3, first 2 shown]
	s_or_b32 exec_lo, exec_lo, s29
	ds_bpermute_b32 v50, v45, v50
	s_mov_b32 s29, exec_lo
	v_cmpx_le_u32_e64 v47, v8
	s_cbranch_execz .LBB857_147
; %bb.163:                              ;   in Loop: Header=BB857_149 Depth=1
	v_cmp_eq_u16_e32 vcc_lo, 0, v49
	s_wait_dscnt 0x0
	v_dual_lshrrev_b32 v49, 16, v50 :: v_dual_bitop2_b32 v9, 1, v49 bitop3:0x40
	v_cndmask_b32_e32 v8, 0, v50, vcc_lo
	s_delay_alu instid0(VALU_DEP_2) | instskip(NEXT) | instid1(VALU_DEP_2)
	v_cmp_eq_u32_e32 vcc_lo, 1, v9
	v_add_nc_u16 v6, v8, v6
	s_delay_alu instid0(VALU_DEP_4)
	v_cndmask_b32_e64 v9, v49, 1, vcc_lo
	s_branch .LBB857_147
.LBB857_164:
	s_or_b32 exec_lo, exec_lo, s19
                                        ; implicit-def: $vgpr11
	s_and_saveexec_b32 s19, s0
	s_cbranch_execz .LBB857_45
.LBB857_165:
	flat_load_u16 v11, v0, s[28:29] offset:512 scale_offset
	s_wait_xcnt 0x0
	s_or_b32 exec_lo, exec_lo, s19
                                        ; implicit-def: $vgpr12
	s_and_saveexec_b32 s0, s1
	s_cbranch_execnz .LBB857_46
.LBB857_166:
	s_or_b32 exec_lo, exec_lo, s0
                                        ; implicit-def: $vgpr13
	s_and_saveexec_b32 s0, s2
	s_cbranch_execz .LBB857_47
.LBB857_167:
	flat_load_u16 v13, v0, s[28:29] offset:1536 scale_offset
	s_wait_xcnt 0x0
	s_or_b32 exec_lo, exec_lo, s0
                                        ; implicit-def: $vgpr16
	s_and_saveexec_b32 s0, s3
	s_cbranch_execnz .LBB857_48
.LBB857_168:
	s_or_b32 exec_lo, exec_lo, s0
                                        ; implicit-def: $vgpr17
	s_and_saveexec_b32 s0, s4
	s_cbranch_execz .LBB857_49
.LBB857_169:
	flat_load_u16 v17, v0, s[28:29] offset:2560 scale_offset
	s_wait_xcnt 0x0
	s_or_b32 exec_lo, exec_lo, s0
                                        ; implicit-def: $vgpr18
	s_and_saveexec_b32 s0, s5
	s_cbranch_execnz .LBB857_50
.LBB857_170:
	s_or_b32 exec_lo, exec_lo, s0
                                        ; implicit-def: $vgpr19
	s_and_saveexec_b32 s0, s6
	s_cbranch_execz .LBB857_51
.LBB857_171:
	flat_load_u16 v19, v0, s[28:29] offset:3584 scale_offset
	s_wait_xcnt 0x0
	s_or_b32 exec_lo, exec_lo, s0
                                        ; implicit-def: $vgpr20
	s_and_saveexec_b32 s0, s7
	s_cbranch_execnz .LBB857_52
.LBB857_172:
	s_or_b32 exec_lo, exec_lo, s0
                                        ; implicit-def: $vgpr21
	s_and_saveexec_b32 s0, s8
	s_cbranch_execz .LBB857_53
.LBB857_173:
	flat_load_u16 v21, v0, s[28:29] offset:4608 scale_offset
	s_wait_xcnt 0x0
	s_or_b32 exec_lo, exec_lo, s0
                                        ; implicit-def: $vgpr22
	s_and_saveexec_b32 s0, s9
	s_cbranch_execnz .LBB857_54
.LBB857_174:
	s_or_b32 exec_lo, exec_lo, s0
                                        ; implicit-def: $vgpr23
	s_and_saveexec_b32 s0, s10
	s_cbranch_execz .LBB857_55
.LBB857_175:
	flat_load_u16 v23, v0, s[28:29] offset:5632 scale_offset
	s_wait_xcnt 0x0
	s_or_b32 exec_lo, exec_lo, s0
                                        ; implicit-def: $vgpr24
	s_and_saveexec_b32 s0, s11
	s_cbranch_execnz .LBB857_56
.LBB857_176:
	s_or_b32 exec_lo, exec_lo, s0
                                        ; implicit-def: $vgpr25
	s_and_saveexec_b32 s0, s12
	s_cbranch_execz .LBB857_57
.LBB857_177:
	flat_load_u16 v25, v0, s[28:29] offset:6656 scale_offset
	s_wait_xcnt 0x0
	s_or_b32 exec_lo, exec_lo, s0
                                        ; implicit-def: $vgpr26
	s_and_saveexec_b32 s0, s13
	s_cbranch_execnz .LBB857_58
.LBB857_178:
	s_or_b32 exec_lo, exec_lo, s0
                                        ; implicit-def: $vgpr27
	s_and_saveexec_b32 s0, s14
	s_cbranch_execz .LBB857_59
.LBB857_179:
	flat_load_u16 v27, v0, s[28:29] offset:7680 scale_offset
	s_wait_xcnt 0x0
	s_or_b32 exec_lo, exec_lo, s0
                                        ; implicit-def: $vgpr28
	s_and_saveexec_b32 s0, s15
	s_cbranch_execnz .LBB857_60
.LBB857_180:
	s_or_b32 exec_lo, exec_lo, s0
                                        ; implicit-def: $vgpr29
	s_and_saveexec_b32 s0, s16
	s_cbranch_execz .LBB857_61
.LBB857_181:
	flat_load_u16 v29, v0, s[28:29] offset:8704 scale_offset
	s_wait_xcnt 0x0
	s_or_b32 exec_lo, exec_lo, s0
                                        ; implicit-def: $vgpr30
	s_and_saveexec_b32 s0, s17
	s_cbranch_execz .LBB857_63
	s_branch .LBB857_62
.LBB857_182:
                                        ; implicit-def: $vgpr4
                                        ; implicit-def: $vgpr5
                                        ; implicit-def: $vgpr6
                                        ; implicit-def: $vgpr7
                                        ; implicit-def: $vgpr8
                                        ; implicit-def: $vgpr9
                                        ; implicit-def: $vgpr36
                                        ; implicit-def: $vgpr38
                                        ; implicit-def: $vgpr35
                                        ; implicit-def: $vgpr37
                                        ; implicit-def: $vgpr39
                                        ; implicit-def: $vgpr40
                                        ; implicit-def: $vgpr41
                                        ; implicit-def: $vgpr42
                                        ; implicit-def: $vgpr43
                                        ; implicit-def: $vgpr45
                                        ; implicit-def: $vgpr44
                                        ; implicit-def: $vgpr46
                                        ; implicit-def: $vgpr47
                                        ; implicit-def: $vgpr48
	s_cbranch_execnz .LBB857_260
.LBB857_183:
	s_add_nc_u64 s[0:1], s[22:23], s[34:35]
	s_and_b32 vcc_lo, exec_lo, s27
	s_add_nc_u64 s[0:1], s[0:1], s[20:21]
	s_cbranch_vccz .LBB857_279
.LBB857_184:
	v_mul_u32_u24_e32 v1, 20, v0
	s_add_co_i32 s33, s33, s26
	s_mov_b32 s2, exec_lo
	s_delay_alu instid0(VALU_DEP_1)
	v_cmpx_gt_u32_e64 s33, v1
	s_cbranch_execz .LBB857_216
; %bb.185:
	v_or_b32_e32 v2, 1, v1
	s_mov_b32 s3, exec_lo
	s_delay_alu instid0(VALU_DEP_1)
	v_cmpx_gt_u32_e64 s33, v2
	s_cbranch_execz .LBB857_215
; %bb.186:
	v_or_b32_e32 v2, 2, v1
	;; [unrolled: 6-line block ×3, first 2 shown]
	s_mov_b32 s5, exec_lo
	s_delay_alu instid0(VALU_DEP_1)
	v_cmpx_gt_u32_e64 s33, v2
	s_cbranch_execz .LBB857_213
; %bb.188:
	v_add_nc_u32_e32 v2, 4, v1
	s_mov_b32 s6, exec_lo
	s_delay_alu instid0(VALU_DEP_1)
	v_cmpx_gt_u32_e64 s33, v2
	s_cbranch_execz .LBB857_212
; %bb.189:
	v_add_nc_u32_e32 v2, 5, v1
	;; [unrolled: 6-line block ×12, first 2 shown]
	s_mov_b32 s17, exec_lo
	s_delay_alu instid0(VALU_DEP_1)
	v_cmpx_gt_u32_e64 s33, v2
; %bb.200:
	v_add_nc_u32_e32 v2, 16, v1
	s_mov_b32 s18, exec_lo
	s_delay_alu instid0(VALU_DEP_1)
	v_cmpx_gt_u32_e64 s33, v2
	s_or_b32 exec_lo, exec_lo, s18
; %bb.201:
	s_delay_alu instid0(SALU_CYCLE_1)
	s_or_b32 exec_lo, exec_lo, s17
.LBB857_202:
	s_delay_alu instid0(SALU_CYCLE_1)
	s_or_b32 exec_lo, exec_lo, s16
.LBB857_203:
	s_delay_alu instid0(SALU_CYCLE_1)
	s_or_b32 exec_lo, exec_lo, s15
.LBB857_204:
	s_delay_alu instid0(SALU_CYCLE_1)
	s_or_b32 exec_lo, exec_lo, s14
.LBB857_205:
	s_delay_alu instid0(SALU_CYCLE_1)
	s_or_b32 exec_lo, exec_lo, s13
.LBB857_206:
	s_delay_alu instid0(SALU_CYCLE_1)
	s_or_b32 exec_lo, exec_lo, s12
.LBB857_207:
	s_delay_alu instid0(SALU_CYCLE_1)
	s_or_b32 exec_lo, exec_lo, s11
.LBB857_208:
	s_delay_alu instid0(SALU_CYCLE_1)
	s_or_b32 exec_lo, exec_lo, s10
.LBB857_209:
	s_delay_alu instid0(SALU_CYCLE_1)
	s_or_b32 exec_lo, exec_lo, s9
.LBB857_210:
	s_delay_alu instid0(SALU_CYCLE_1)
	s_or_b32 exec_lo, exec_lo, s8
.LBB857_211:
	s_delay_alu instid0(SALU_CYCLE_1)
	s_or_b32 exec_lo, exec_lo, s7
.LBB857_212:
	s_delay_alu instid0(SALU_CYCLE_1)
	s_or_b32 exec_lo, exec_lo, s6
.LBB857_213:
	s_delay_alu instid0(SALU_CYCLE_1)
	s_or_b32 exec_lo, exec_lo, s5
.LBB857_214:
	s_delay_alu instid0(SALU_CYCLE_1)
	s_or_b32 exec_lo, exec_lo, s4
.LBB857_215:
	s_delay_alu instid0(SALU_CYCLE_1)
	s_or_b32 exec_lo, exec_lo, s3
.LBB857_216:
	s_delay_alu instid0(SALU_CYCLE_1)
	s_or_b32 exec_lo, exec_lo, s2
	v_dual_lshlrev_b32 v27, 1, v1 :: v_dual_mov_b32 v19, 0
	v_perm_b32 v3, v38, v36, 0x5040100
	v_perm_b32 v2, v9, v8, 0x5040100
	;; [unrolled: 1-line block ×4, first 2 shown]
	v_mad_i32_i24 v1, 0xffffffda, v0, v27
	v_perm_b32 v13, v45, v43, 0x5040100
	v_perm_b32 v12, v42, v41, 0x5040100
	;; [unrolled: 1-line block ×6, first 2 shown]
	s_wait_storecnt 0x0
	s_barrier_signal -1
	s_barrier_wait -1
	ds_store_2addr_b64 v27, v[10:11], v[2:3] offset1:1
	ds_store_2addr_b64 v27, v[14:15], v[12:13] offset0:2 offset1:3
	ds_store_b64 v27, v[16:17] offset:32
	s_wait_dscnt 0x0
	s_barrier_signal -1
	s_barrier_wait -1
	ds_load_u16 v30, v1 offset:512
	ds_load_u16 v29, v1 offset:1024
	;; [unrolled: 1-line block ×19, first 2 shown]
	v_add_nc_u64_e32 v[2:3], s[0:1], v[18:19]
	s_mov_b32 s2, exec_lo
	v_cmpx_gt_u32_e64 s33, v0
	s_cbranch_execz .LBB857_218
; %bb.217:
	v_mul_i32_i24_e32 v18, 0xffffffda, v0
	s_delay_alu instid0(VALU_DEP_1)
	v_add_nc_u32_e32 v18, v27, v18
	ds_load_u16 v18, v18
	s_wait_dscnt 0x0
	flat_store_b16 v[2:3], v18
.LBB857_218:
	s_wait_xcnt 0x0
	s_or_b32 exec_lo, exec_lo, s2
	v_or_b32_e32 v18, 0x100, v0
	s_mov_b32 s2, exec_lo
	s_delay_alu instid0(VALU_DEP_1)
	v_cmpx_gt_u32_e64 s33, v18
	s_cbranch_execz .LBB857_220
; %bb.219:
	s_wait_dscnt 0x12
	flat_store_b16 v[2:3], v30 offset:512
.LBB857_220:
	s_wait_xcnt 0x0
	s_or_b32 exec_lo, exec_lo, s2
	v_or_b32_e32 v18, 0x200, v0
	s_mov_b32 s2, exec_lo
	s_delay_alu instid0(VALU_DEP_1)
	v_cmpx_gt_u32_e64 s33, v18
	s_cbranch_execz .LBB857_222
; %bb.221:
	s_wait_dscnt 0x11
	flat_store_b16 v[2:3], v29 offset:1024
.LBB857_222:
	;; [unrolled: 11-line block ×11, first 2 shown]
	s_wait_xcnt 0x0
	s_or_b32 exec_lo, exec_lo, s2
	s_wait_dscnt 0x8
	v_or_b32_e32 v17, 0xc00, v0
	s_mov_b32 s2, exec_lo
	s_delay_alu instid0(VALU_DEP_1)
	v_cmpx_gt_u32_e64 s33, v17
	s_cbranch_execz .LBB857_242
; %bb.241:
	s_wait_dscnt 0x7
	flat_store_b16 v[2:3], v16 offset:6144
.LBB857_242:
	s_wait_xcnt 0x0
	s_or_b32 exec_lo, exec_lo, s2
	s_wait_dscnt 0x7
	v_or_b32_e32 v16, 0xd00, v0
	s_mov_b32 s2, exec_lo
	s_delay_alu instid0(VALU_DEP_1)
	v_cmpx_gt_u32_e64 s33, v16
	s_cbranch_execz .LBB857_244
; %bb.243:
	s_wait_dscnt 0x6
	flat_store_b16 v[2:3], v15 offset:6656
.LBB857_244:
	;; [unrolled: 12-line block ×7, first 2 shown]
	s_wait_xcnt 0x0
	s_or_b32 exec_lo, exec_lo, s2
	v_or_b32_e32 v2, 0x1300, v0
	s_delay_alu instid0(VALU_DEP_1)
	v_cmp_gt_u32_e64 s2, s33, v2
	s_branch .LBB857_281
.LBB857_255:
	s_and_saveexec_b32 s29, s19
	s_cbranch_execz .LBB857_257
; %bb.256:
	v_and_b32_e32 v3, 0xff0000, v2
	v_and_b32_e32 v5, 0x10000, v2
	s_add_co_i32 s19, s38, 32
	s_delay_alu instid0(VALU_DEP_2) | instskip(SKIP_1) | instid1(VALU_DEP_1)
	v_cmp_eq_u32_e32 vcc_lo, 0, v3
	v_dual_cndmask_b32 v3, 0, v48, vcc_lo :: v_dual_bitop2_b32 v4, 1, v46 bitop3:0x40
	v_lshlrev_b32_e32 v4, 16, v4
	v_cmp_eq_u32_e32 vcc_lo, 0, v5
	s_delay_alu instid0(VALU_DEP_3) | instskip(NEXT) | instid1(VALU_DEP_3)
	v_add_nc_u16 v2, v3, v2
	v_dual_mov_b32 v3, 2 :: v_dual_cndmask_b32 v4, 0x10000, v4
	s_delay_alu instid0(VALU_DEP_2) | instskip(NEXT) | instid1(VALU_DEP_1)
	v_and_b32_e32 v2, 0xffff, v2
	v_dual_mov_b32 v4, s19 :: v_dual_bitop2_b32 v2, v4, v2 bitop3:0x54
	global_store_b64 v4, v[2:3], s[24:25] scale_offset scope:SCOPE_DEV
.LBB857_257:
	s_wait_xcnt 0x0
	s_or_b32 exec_lo, exec_lo, s29
	s_delay_alu instid0(SALU_CYCLE_1)
	s_and_b32 exec_lo, exec_lo, s18
	s_cbranch_execz .LBB857_259
; %bb.258:
	v_mov_b32_e32 v2, 0
	ds_store_b16 v2, v48
	ds_store_b8 v2, v46 offset:2
.LBB857_259:
	s_or_b32 exec_lo, exec_lo, s28
	v_mov_b32_e32 v2, 0
	s_wait_storecnt_dscnt 0x0
	s_barrier_signal -1
	s_barrier_wait -1
	ds_load_b32 v2, v2
	v_and_b32_e32 v3, 0xff, v36
	v_and_b32_e32 v5, 0xff0000, v31
	s_delay_alu instid0(VALU_DEP_2) | instskip(SKIP_2) | instid1(VALU_DEP_3)
	v_cmp_eq_u16_e32 vcc_lo, 0, v3
	s_wait_dscnt 0x0
	v_cndmask_b32_e32 v3, 0, v2, vcc_lo
	v_cmp_eq_u32_e32 vcc_lo, 0, v5
	s_delay_alu instid0(VALU_DEP_2) | instskip(NEXT) | instid1(VALU_DEP_1)
	v_add_nc_u16 v3, v3, v35
	v_cndmask_b32_e64 v4, v3, v2, s18
	s_delay_alu instid0(VALU_DEP_1) | instskip(NEXT) | instid1(VALU_DEP_1)
	v_cndmask_b32_e32 v2, 0, v4, vcc_lo
	v_add_nc_u16 v5, v2, v31
	s_delay_alu instid0(VALU_DEP_1) | instskip(NEXT) | instid1(VALU_DEP_1)
	v_cndmask_b32_e64 v2, 0, v5, s17
	v_add_nc_u16 v6, v2, v11
	s_delay_alu instid0(VALU_DEP_1) | instskip(NEXT) | instid1(VALU_DEP_1)
	v_cndmask_b32_e64 v2, 0, v6, s16
	;; [unrolled: 3-line block ×18, first 2 shown]
	v_add_nc_u16 v48, v2, v1
	s_branch .LBB857_183
.LBB857_260:
	s_cmp_eq_u64 s[36:37], 0
	v_mov_b32_e32 v2, s42
	s_cselect_b32 s0, -1, 0
	s_cmp_eq_u64 s[30:31], 0
	s_cselect_b32 s1, -1, 0
	s_delay_alu instid0(SALU_CYCLE_1) | instskip(NEXT) | instid1(SALU_CYCLE_1)
	s_or_b32 s0, s0, s1
	s_and_b32 vcc_lo, exec_lo, s0
	s_cbranch_vccnz .LBB857_262
; %bb.261:
	v_mov_b32_e32 v2, 0
	global_load_u16 v2, v2, s[30:31]
.LBB857_262:
	v_cmp_gt_u32_e32 vcc_lo, 0x10000, v11
	v_cmp_gt_u32_e64 s0, 0x10000, v10
	v_cmp_gt_u32_e64 s1, 0x10000, v32
	;; [unrolled: 1-line block ×4, first 2 shown]
	v_dual_cndmask_b32 v3, 0, v31, vcc_lo :: v_dual_bitop2_b32 v6, 28, v33 bitop3:0x40
	v_cmp_gt_u32_e64 s4, 0x10000, v28
	v_cmp_gt_u32_e64 s5, 0x10000, v27
	;; [unrolled: 1-line block ×3, first 2 shown]
	s_delay_alu instid0(VALU_DEP_4)
	v_add_nc_u16 v3, v3, v11
	v_cmp_gt_u32_e64 s7, 0x10000, v25
	v_cmp_gt_u32_e64 s8, 0x10000, v24
	;; [unrolled: 1-line block ×4, first 2 shown]
	v_cndmask_b32_e64 v3, 0, v3, s0
	v_cmp_gt_u32_e64 s11, 0x10000, v21
	v_cmp_gt_u32_e64 s12, 0x10000, v20
	v_cmp_gt_u32_e64 s13, 0x10000, v19
	v_cmp_gt_u32_e64 s14, 0x10000, v17
	v_add_nc_u16 v3, v3, v10
	v_cmp_gt_u32_e64 s15, 0x10000, v16
	v_or3_b32 v4, v34, v22, v23
	v_or3_b32 v5, v15, v30, v32
	v_cmp_gt_u32_e64 s16, 0x10000, v1
	v_cndmask_b32_e64 v3, 0, v3, s1
	v_cmp_gt_u32_e64 s17, 0x10000, v12
	v_or3_b32 v4, v4, v24, v25
	v_or3_b32 v5, v5, v10, v11
	v_lshl_add_u32 v6, v0, 2, v6
	v_add_nc_u16 v3, v3, v32
	s_mov_b32 s18, exec_lo
	v_or3_b32 v4, v12, v13, v4
	s_delay_alu instid0(VALU_DEP_2) | instskip(NEXT) | instid1(VALU_DEP_2)
	v_cndmask_b32_e64 v3, 0, v3, s2
	v_bitop3_b32 v5, v4, 0xff0000, v5 bitop3:0xc8
	s_delay_alu instid0(VALU_DEP_2) | instskip(NEXT) | instid1(VALU_DEP_1)
	v_add_nc_u16 v3, v3, v30
	v_cndmask_b32_e64 v3, 0, v3, s3
	s_delay_alu instid0(VALU_DEP_1) | instskip(NEXT) | instid1(VALU_DEP_1)
	v_add_nc_u16 v3, v3, v29
	v_cndmask_b32_e64 v3, 0, v3, s4
	s_delay_alu instid0(VALU_DEP_1) | instskip(NEXT) | instid1(VALU_DEP_1)
	;; [unrolled: 3-line block ×14, first 2 shown]
	v_add_nc_u16 v3, v3, v1
	v_cndmask_b32_e64 v3, 0, v3, s17
	v_cmp_eq_u32_e64 s17, 0, v5
	s_delay_alu instid0(VALU_DEP_2) | instskip(NEXT) | instid1(VALU_DEP_2)
	v_add_nc_u16 v4, v3, v12
	v_cndmask_b32_e64 v5, 1, v14, s17
	ds_store_b16 v6, v4
	ds_store_b8 v6, v5 offset:2
	s_wait_loadcnt_dscnt 0x0
	s_barrier_signal -1
	s_barrier_wait -1
	v_cmpx_gt_u32_e32 32, v0
	s_cbranch_execz .LBB857_274
; %bb.263:
	v_and_b32_e32 v3, 0xfc, v0
	v_lshlrev_b32_e32 v6, 5, v0
	s_mov_b32 s19, exec_lo
	s_delay_alu instid0(VALU_DEP_1)
	v_add_nc_u32_e32 v3, v3, v6
	ds_load_u8 v7, v3 offset:6
	ds_load_b32 v6, v3
	ds_load_u16 v8, v3 offset:4
	ds_load_u8 v9, v3 offset:10
	ds_load_u16 v12, v3 offset:8
	ds_load_u16 v13, v3 offset:12
	ds_load_u8 v14, v3 offset:14
	ds_load_u16 v15, v3 offset:16
	s_wait_dscnt 0x7
	v_cmp_eq_u16_e64 s17, 0, v7
	s_wait_dscnt 0x4
	s_delay_alu instid0(VALU_DEP_1) | instskip(SKIP_1) | instid1(VALU_DEP_2)
	v_dual_cndmask_b32 v33, 0, v6, s17 :: v_dual_bitop2_b32 v7, v9, v7 bitop3:0x54
	v_cmp_eq_u16_e64 s17, 0, v9
	v_add_nc_u16 v8, v33, v8
	ds_load_u8 v33, v3 offset:18
	v_cndmask_b32_e64 v8, 0, v8, s17
	s_wait_dscnt 0x2
	v_cmp_eq_u16_e64 s17, 0, v14
	s_delay_alu instid0(VALU_DEP_2) | instskip(SKIP_2) | instid1(VALU_DEP_1)
	v_add_nc_u16 v8, v8, v12
	ds_load_u8 v12, v3 offset:22
	v_cndmask_b32_e64 v8, 0, v8, s17
	v_add_nc_u16 v8, v8, v13
	s_wait_dscnt 0x1
	v_cmp_eq_u16_e64 s17, 0, v33
	ds_load_u16 v13, v3 offset:20
	ds_load_u16 v34, v3 offset:24
	ds_load_u8 v35, v3 offset:26
	ds_load_u16 v36, v3 offset:28
	ds_load_u8 v37, v3 offset:30
	v_bitop3_b16 v9, v7, v33, v14 bitop3:0xfe
	v_and_b32_e32 v7, 0x10000, v6
	v_cndmask_b32_e64 v8, 0, v8, s17
	s_delay_alu instid0(VALU_DEP_1) | instskip(SKIP_2) | instid1(VALU_DEP_1)
	v_add_nc_u16 v8, v8, v15
	s_wait_dscnt 0x5
	v_cmp_eq_u16_e64 s17, 0, v12
	v_cndmask_b32_e64 v8, 0, v8, s17
	s_wait_dscnt 0x2
	v_cmp_eq_u16_e64 s17, 0, v35
	v_bitop3_b16 v9, v9, v35, v12 bitop3:0xfe
	s_delay_alu instid0(VALU_DEP_3) | instskip(SKIP_1) | instid1(VALU_DEP_1)
	v_add_nc_u16 v8, v8, v13
	s_wait_dscnt 0x0
	v_dual_cndmask_b32 v8, 0, v8, s17 :: v_dual_bitop2_b32 v12, 1, v37 bitop3:0x40
	v_cmp_eq_u16_e64 s17, 0, v37
	s_delay_alu instid0(VALU_DEP_2) | instskip(NEXT) | instid1(VALU_DEP_1)
	v_add_nc_u16 v8, v8, v34
	v_cndmask_b32_e64 v8, 0, v8, s17
	v_cmp_eq_u16_e64 s17, 0, v9
	s_delay_alu instid0(VALU_DEP_2) | instskip(NEXT) | instid1(VALU_DEP_2)
	v_add_nc_u16 v9, v8, v36
	v_cndmask_b32_e64 v13, 0x10000, v7, s17
	v_cmp_eq_u32_e64 s17, 1, v12
	v_and_b32_e32 v8, 0xff000000, v6
	v_mbcnt_lo_u32_b32 v12, -1, 0
	v_and_b32_e32 v14, 0xffff, v9
	s_delay_alu instid0(VALU_DEP_4) | instskip(NEXT) | instid1(VALU_DEP_1)
	v_cndmask_b32_e64 v13, v13, 0x10000, s17
	v_or_b32_e32 v15, v13, v8
	s_delay_alu instid0(VALU_DEP_3) | instskip(NEXT) | instid1(VALU_DEP_2)
	v_or3_b32 v33, v8, v14, v13
	v_dual_lshrrev_b32 v14, 16, v15 :: v_dual_bitop2_b32 v13, 15, v12 bitop3:0x40
	s_delay_alu instid0(VALU_DEP_2) | instskip(NEXT) | instid1(VALU_DEP_2)
	v_mov_b32_dpp v34, v33 row_shr:1 row_mask:0xf bank_mask:0xf
	v_cmpx_ne_u32_e32 0, v13
	s_cbranch_execz .LBB857_265
; %bb.264:
	s_delay_alu instid0(VALU_DEP_2) | instskip(SKIP_1) | instid1(VALU_DEP_2)
	v_dual_lshrrev_b32 v14, 16, v15 :: v_dual_lshrrev_b32 v33, 16, v34
	v_and_b32_e32 v15, 0x10000, v15
	v_and_b32_e32 v14, 0xff, v14
	s_delay_alu instid0(VALU_DEP_1) | instskip(NEXT) | instid1(VALU_DEP_1)
	v_cmp_eq_u16_e64 s17, 0, v14
	v_dual_cndmask_b32 v34, 0, v34, s17 :: v_dual_bitop2_b32 v33, 1, v33 bitop3:0x40
	s_delay_alu instid0(VALU_DEP_4) | instskip(NEXT) | instid1(VALU_DEP_2)
	v_cmp_ne_u32_e64 s17, 0, v15
	v_add_nc_u16 v9, v34, v9
	s_delay_alu instid0(VALU_DEP_2) | instskip(NEXT) | instid1(VALU_DEP_2)
	v_cndmask_b32_e64 v14, v33, 1, s17
	v_and_b32_e32 v33, 0xffff, v9
	s_delay_alu instid0(VALU_DEP_2) | instskip(NEXT) | instid1(VALU_DEP_1)
	v_lshlrev_b32_e32 v15, 16, v14
	v_or3_b32 v33, v15, v33, v8
.LBB857_265:
	s_or_b32 exec_lo, exec_lo, s19
	s_delay_alu instid0(VALU_DEP_1)
	v_lshrrev_b32_e32 v15, 16, v33
	v_mov_b32_dpp v34, v33 row_shr:2 row_mask:0xf bank_mask:0xf
	s_mov_b32 s19, exec_lo
	v_cmpx_lt_u32_e32 1, v13
	s_cbranch_execz .LBB857_267
; %bb.266:
	v_and_b32_e32 v15, 0xff, v15
	v_and_b32_e32 v33, 0x10000, v33
	s_delay_alu instid0(VALU_DEP_2) | instskip(NEXT) | instid1(VALU_DEP_1)
	v_cmp_eq_u16_e64 s17, 0, v15
	v_dual_lshrrev_b32 v14, 16, v34 :: v_dual_cndmask_b32 v15, 0, v34, s17
	s_delay_alu instid0(VALU_DEP_1) | instskip(NEXT) | instid1(VALU_DEP_4)
	v_and_b32_e32 v14, 1, v14
	v_cmp_ne_u32_e64 s17, 0, v33
	s_delay_alu instid0(VALU_DEP_3) | instskip(NEXT) | instid1(VALU_DEP_2)
	v_add_nc_u16 v9, v15, v9
	v_cndmask_b32_e64 v14, v14, 1, s17
	s_delay_alu instid0(VALU_DEP_2) | instskip(NEXT) | instid1(VALU_DEP_2)
	v_and_b32_e32 v33, 0xffff, v9
	v_lshlrev_b32_e32 v15, 16, v14
	s_delay_alu instid0(VALU_DEP_1)
	v_or3_b32 v33, v15, v33, v8
	v_mov_b32_e32 v15, v14
.LBB857_267:
	s_or_b32 exec_lo, exec_lo, s19
	s_delay_alu instid0(VALU_DEP_2)
	v_mov_b32_dpp v34, v33 row_shr:4 row_mask:0xf bank_mask:0xf
	s_mov_b32 s19, exec_lo
	v_cmpx_lt_u32_e32 3, v13
	s_cbranch_execz .LBB857_269
; %bb.268:
	v_and_b32_e32 v33, 0xff, v15
	v_dual_lshrrev_b32 v14, 16, v34 :: v_dual_bitop2_b32 v15, 1, v15 bitop3:0x40
	s_delay_alu instid0(VALU_DEP_2) | instskip(NEXT) | instid1(VALU_DEP_2)
	v_cmp_eq_u16_e64 s17, 0, v33
	v_and_b32_e32 v14, 1, v14
	s_delay_alu instid0(VALU_DEP_2) | instskip(NEXT) | instid1(VALU_DEP_4)
	v_cndmask_b32_e64 v33, 0, v34, s17
	v_cmp_eq_u32_e64 s17, 1, v15
	s_delay_alu instid0(VALU_DEP_2) | instskip(NEXT) | instid1(VALU_DEP_2)
	v_add_nc_u16 v9, v33, v9
	v_cndmask_b32_e64 v14, v14, 1, s17
	s_delay_alu instid0(VALU_DEP_2) | instskip(NEXT) | instid1(VALU_DEP_2)
	v_and_b32_e32 v33, 0xffff, v9
	v_lshlrev_b32_e32 v15, 16, v14
	s_delay_alu instid0(VALU_DEP_1)
	v_or3_b32 v33, v15, v33, v8
	v_mov_b32_e32 v15, v14
.LBB857_269:
	s_or_b32 exec_lo, exec_lo, s19
	s_delay_alu instid0(VALU_DEP_2)
	v_mov_b32_dpp v34, v33 row_shr:8 row_mask:0xf bank_mask:0xf
	s_mov_b32 s19, exec_lo
	v_cmpx_lt_u32_e32 7, v13
	s_cbranch_execz .LBB857_271
; %bb.270:
	v_and_b32_e32 v14, 0xff, v15
	v_dual_lshrrev_b32 v13, 16, v34 :: v_dual_bitop2_b32 v15, 1, v15 bitop3:0x40
	s_delay_alu instid0(VALU_DEP_2) | instskip(NEXT) | instid1(VALU_DEP_1)
	v_cmp_eq_u16_e64 s17, 0, v14
	v_dual_cndmask_b32 v33, 0, v34, s17 :: v_dual_bitop2_b32 v13, 1, v13 bitop3:0x40
	s_delay_alu instid0(VALU_DEP_3) | instskip(NEXT) | instid1(VALU_DEP_2)
	v_cmp_eq_u32_e64 s17, 1, v15
	v_add_nc_u16 v9, v33, v9
	s_delay_alu instid0(VALU_DEP_2) | instskip(NEXT) | instid1(VALU_DEP_2)
	v_cndmask_b32_e64 v14, v13, 1, s17
	v_and_b32_e32 v15, 0xffff, v9
	s_delay_alu instid0(VALU_DEP_2) | instskip(NEXT) | instid1(VALU_DEP_1)
	v_lshlrev_b32_e32 v13, 16, v14
	v_or3_b32 v33, v13, v15, v8
	v_mov_b32_e32 v15, v14
.LBB857_271:
	s_or_b32 exec_lo, exec_lo, s19
	ds_swizzle_b32 v13, v33 offset:swizzle(BROADCAST,32,15)
	v_and_b32_e32 v33, 16, v12
	s_mov_b32 s19, exec_lo
	s_delay_alu instid0(VALU_DEP_1)
	v_cmpx_ne_u32_e32 0, v33
	s_cbranch_execz .LBB857_273
; %bb.272:
	v_and_b32_e32 v14, 0xff, v15
	s_delay_alu instid0(VALU_DEP_1) | instskip(SKIP_2) | instid1(VALU_DEP_2)
	v_cmp_eq_u16_e64 s17, 0, v14
	s_wait_dscnt 0x0
	v_dual_lshrrev_b32 v33, 16, v13 :: v_dual_bitop2_b32 v14, 1, v15 bitop3:0x40
	v_cndmask_b32_e64 v13, 0, v13, s17
	s_delay_alu instid0(VALU_DEP_2) | instskip(NEXT) | instid1(VALU_DEP_3)
	v_and_b32_e32 v15, 1, v33
	v_cmp_eq_u32_e64 s17, 1, v14
	s_delay_alu instid0(VALU_DEP_3) | instskip(NEXT) | instid1(VALU_DEP_2)
	v_add_nc_u16 v9, v13, v9
	v_cndmask_b32_e64 v14, v15, 1, s17
.LBB857_273:
	s_or_b32 exec_lo, exec_lo, s19
	s_wait_dscnt 0x0
	s_delay_alu instid0(VALU_DEP_1) | instskip(SKIP_2) | instid1(VALU_DEP_3)
	v_and_b32_e32 v13, 0xff, v14
	v_add_nc_u32_e32 v14, -1, v12
	v_and_b32_e32 v9, 0xffff, v9
	; wave barrier
	v_lshlrev_b32_e32 v13, 16, v13
	s_delay_alu instid0(VALU_DEP_3) | instskip(NEXT) | instid1(VALU_DEP_2)
	v_cmp_gt_i32_e64 s17, 0, v14
	v_or3_b32 v8, v13, v9, v8
	s_delay_alu instid0(VALU_DEP_2) | instskip(NEXT) | instid1(VALU_DEP_1)
	v_cndmask_b32_e64 v12, v14, v12, s17
	v_lshlrev_b32_e32 v9, 2, v12
	ds_bpermute_b32 v8, v9, v8
	v_and_b32_e32 v9, 0xff0000, v6
	s_delay_alu instid0(VALU_DEP_1) | instskip(SKIP_1) | instid1(VALU_DEP_1)
	v_cmp_eq_u32_e64 s17, 0, v9
	s_wait_dscnt 0x0
	v_dual_lshrrev_b32 v12, 16, v8 :: v_dual_cndmask_b32 v8, 0, v8, s17
	v_cmp_eq_u32_e64 s17, 0, v7
	s_delay_alu instid0(VALU_DEP_2) | instskip(NEXT) | instid1(VALU_DEP_3)
	v_and_b32_e32 v9, 1, v12
	v_add_nc_u16 v6, v8, v6
	s_delay_alu instid0(VALU_DEP_2) | instskip(SKIP_1) | instid1(VALU_DEP_1)
	v_cndmask_b32_e64 v7, 1, v9, s17
	v_cmp_eq_u32_e64 s17, 0, v0
	v_dual_cndmask_b32 v4, v6, v4, s17 :: v_dual_cndmask_b32 v5, v7, v5, s17
	ds_store_b16 v3, v4
	ds_store_b8 v3, v5 offset:2
	; wave barrier
	ds_load_u8 v6, v3 offset:6
	ds_load_u16 v7, v3 offset:4
	ds_load_u8 v8, v3 offset:10
	ds_load_u16 v9, v3 offset:8
	ds_load_u16 v12, v3 offset:12
	ds_load_u8 v13, v3 offset:14
	ds_load_u16 v14, v3 offset:16
	ds_load_u8 v15, v3 offset:18
	s_wait_dscnt 0x7
	v_cmp_eq_u16_e64 s17, 0, v6
	s_delay_alu instid0(VALU_DEP_1) | instskip(SKIP_2) | instid1(VALU_DEP_2)
	v_dual_cndmask_b32 v4, 0, v4, s17 :: v_dual_bitop2_b32 v6, 1, v6 bitop3:0x40
	s_wait_dscnt 0x5
	v_cmp_eq_u16_e64 s17, 0, v8
	v_add_nc_u16 v4, v4, v7
	s_delay_alu instid0(VALU_DEP_1) | instskip(SKIP_2) | instid1(VALU_DEP_2)
	v_cndmask_b32_e64 v7, 0, v4, s17
	s_wait_dscnt 0x2
	v_cmp_eq_u16_e64 s17, 0, v13
	v_add_nc_u16 v7, v7, v9
	ds_load_u8 v9, v3 offset:22
	ds_load_u16 v34, v3 offset:20
	ds_load_u8 v35, v3 offset:26
	ds_load_u8 v36, v3 offset:30
	v_cndmask_b32_e64 v33, 0, v7, s17
	v_cmp_eq_u32_e64 s17, 1, v6
	v_and_b32_e32 v6, 1, v13
	s_delay_alu instid0(VALU_DEP_3) | instskip(NEXT) | instid1(VALU_DEP_3)
	v_add_nc_u16 v12, v33, v12
	v_cndmask_b32_e64 v5, v5, 1, s17
	s_wait_dscnt 0x4
	v_cmp_eq_u16_e64 s17, 0, v15
	ds_load_u16 v33, v3 offset:24
	ds_load_u16 v37, v3 offset:28
	v_cndmask_b32_e64 v13, 0, v12, s17
	s_delay_alu instid0(VALU_DEP_1) | instskip(SKIP_4) | instid1(VALU_DEP_3)
	v_add_nc_u16 v13, v13, v14
	v_and_b32_e32 v8, 1, v8
	v_and_b32_e32 v14, 1, v15
	s_wait_dscnt 0x2
	v_and_b32_e32 v38, 1, v36
	v_cmp_eq_u32_e64 s17, 1, v8
	s_delay_alu instid0(VALU_DEP_1) | instskip(SKIP_1) | instid1(VALU_DEP_1)
	v_cndmask_b32_e64 v8, v5, 1, s17
	v_cmp_eq_u32_e64 s17, 1, v6
	v_cndmask_b32_e64 v6, v8, 1, s17
	v_cmp_eq_u16_e64 s17, 0, v9
	v_and_b32_e32 v9, 1, v9
	s_delay_alu instid0(VALU_DEP_2) | instskip(SKIP_1) | instid1(VALU_DEP_2)
	v_cndmask_b32_e64 v15, 0, v13, s17
	v_cmp_eq_u32_e64 s17, 1, v14
	v_add_nc_u16 v15, v15, v34
	s_delay_alu instid0(VALU_DEP_2)
	v_cndmask_b32_e64 v14, v6, 1, s17
	v_cmp_eq_u32_e64 s17, 1, v9
	v_and_b32_e32 v34, 1, v35
	ds_store_b16 v3, v4 offset:4
	ds_store_b8 v3, v5 offset:6
	ds_store_b16 v3, v7 offset:8
	ds_store_b8 v3, v8 offset:10
	;; [unrolled: 2-line block ×4, first 2 shown]
	v_cndmask_b32_e64 v9, v14, 1, s17
	v_cmp_eq_u16_e64 s17, 0, v35
	s_delay_alu instid0(VALU_DEP_1) | instskip(SKIP_2) | instid1(VALU_DEP_2)
	v_cndmask_b32_e64 v35, 0, v15, s17
	v_cmp_eq_u32_e64 s17, 1, v34
	s_wait_dscnt 0x9
	v_add_nc_u16 v33, v35, v33
	s_delay_alu instid0(VALU_DEP_2) | instskip(SKIP_1) | instid1(VALU_DEP_1)
	v_cndmask_b32_e64 v34, v9, 1, s17
	v_cmp_eq_u32_e64 s17, 1, v38
	v_cndmask_b32_e64 v35, v34, 1, s17
	v_cmp_eq_u16_e64 s17, 0, v36
	s_delay_alu instid0(VALU_DEP_1) | instskip(SKIP_1) | instid1(VALU_DEP_1)
	v_cndmask_b32_e64 v36, 0, v33, s17
	s_wait_dscnt 0x8
	v_add_nc_u16 v4, v36, v37
	ds_store_b16 v3, v15 offset:20
	ds_store_b8 v3, v9 offset:22
	ds_store_b16 v3, v33 offset:24
	ds_store_b8 v3, v34 offset:26
	;; [unrolled: 2-line block ×3, first 2 shown]
.LBB857_274:
	s_or_b32 exec_lo, exec_lo, s18
	v_cmp_eq_u32_e64 s17, 0, v0
	v_mov_b32_e32 v4, v2
	s_mov_b32 s19, exec_lo
	s_wait_dscnt 0x0
	s_barrier_signal -1
	s_barrier_wait -1
	v_cmpx_ne_u32_e32 0, v0
	s_cbranch_execz .LBB857_276
; %bb.275:
	v_add_nc_u32_e32 v3, -1, v0
	s_delay_alu instid0(VALU_DEP_1) | instskip(NEXT) | instid1(VALU_DEP_1)
	v_lshrrev_b32_e32 v4, 3, v3
	v_and_b32_e32 v4, 0x1ffffffc, v4
	s_delay_alu instid0(VALU_DEP_1) | instskip(SKIP_4) | instid1(VALU_DEP_1)
	v_lshl_add_u32 v3, v3, 2, v4
	ds_load_u8 v4, v3 offset:2
	ds_load_u16 v3, v3
	s_wait_dscnt 0x1
	v_cmp_eq_u16_e64 s18, 0, v4
	v_cndmask_b32_e64 v4, 0, v2, s18
	s_wait_dscnt 0x0
	s_delay_alu instid0(VALU_DEP_1)
	v_add_nc_u16 v4, v4, v3
.LBB857_276:
	s_or_b32 exec_lo, exec_lo, s19
	v_and_b32_e32 v3, 0xff0000, v31
	s_delay_alu instid0(VALU_DEP_1) | instskip(NEXT) | instid1(VALU_DEP_1)
	v_cmp_eq_u32_e64 s18, 0, v3
	v_cndmask_b32_e64 v3, 0, v4, s18
	s_delay_alu instid0(VALU_DEP_1) | instskip(NEXT) | instid1(VALU_DEP_1)
	v_add_nc_u16 v5, v3, v31
	v_cndmask_b32_e32 v3, 0, v5, vcc_lo
	s_delay_alu instid0(VALU_DEP_1) | instskip(NEXT) | instid1(VALU_DEP_1)
	v_add_nc_u16 v6, v3, v11
	v_cndmask_b32_e64 v3, 0, v6, s0
	s_delay_alu instid0(VALU_DEP_1) | instskip(NEXT) | instid1(VALU_DEP_1)
	v_add_nc_u16 v7, v3, v10
	v_cndmask_b32_e64 v3, 0, v7, s1
	s_delay_alu instid0(VALU_DEP_1) | instskip(NEXT) | instid1(VALU_DEP_1)
	v_add_nc_u16 v8, v3, v32
	v_cndmask_b32_e64 v3, 0, v8, s2
	s_delay_alu instid0(VALU_DEP_1) | instskip(NEXT) | instid1(VALU_DEP_1)
	v_add_nc_u16 v9, v3, v30
	v_cndmask_b32_e64 v3, 0, v9, s3
	s_delay_alu instid0(VALU_DEP_1) | instskip(NEXT) | instid1(VALU_DEP_1)
	v_add_nc_u16 v36, v3, v29
	v_cndmask_b32_e64 v3, 0, v36, s4
	s_delay_alu instid0(VALU_DEP_1) | instskip(NEXT) | instid1(VALU_DEP_1)
	v_add_nc_u16 v38, v3, v28
	v_cndmask_b32_e64 v3, 0, v38, s5
	s_delay_alu instid0(VALU_DEP_1) | instskip(NEXT) | instid1(VALU_DEP_1)
	v_add_nc_u16 v35, v3, v27
	v_cndmask_b32_e64 v3, 0, v35, s6
	s_delay_alu instid0(VALU_DEP_1) | instskip(NEXT) | instid1(VALU_DEP_1)
	v_add_nc_u16 v37, v3, v26
	v_cndmask_b32_e64 v3, 0, v37, s7
	s_delay_alu instid0(VALU_DEP_1) | instskip(NEXT) | instid1(VALU_DEP_1)
	v_add_nc_u16 v39, v3, v25
	v_cndmask_b32_e64 v3, 0, v39, s8
	s_delay_alu instid0(VALU_DEP_1) | instskip(NEXT) | instid1(VALU_DEP_1)
	v_add_nc_u16 v40, v3, v24
	v_cndmask_b32_e64 v3, 0, v40, s9
	s_delay_alu instid0(VALU_DEP_1) | instskip(NEXT) | instid1(VALU_DEP_1)
	v_add_nc_u16 v41, v3, v23
	v_cndmask_b32_e64 v3, 0, v41, s10
	s_delay_alu instid0(VALU_DEP_1) | instskip(NEXT) | instid1(VALU_DEP_1)
	v_add_nc_u16 v42, v3, v22
	v_cndmask_b32_e64 v3, 0, v42, s11
	s_delay_alu instid0(VALU_DEP_1) | instskip(NEXT) | instid1(VALU_DEP_1)
	v_add_nc_u16 v43, v3, v21
	v_cndmask_b32_e64 v3, 0, v43, s12
	s_delay_alu instid0(VALU_DEP_1) | instskip(NEXT) | instid1(VALU_DEP_1)
	v_add_nc_u16 v45, v3, v20
	v_cndmask_b32_e64 v3, 0, v45, s13
	s_delay_alu instid0(VALU_DEP_1) | instskip(NEXT) | instid1(VALU_DEP_1)
	v_add_nc_u16 v44, v3, v19
	v_cndmask_b32_e64 v3, 0, v44, s14
	s_delay_alu instid0(VALU_DEP_1) | instskip(NEXT) | instid1(VALU_DEP_1)
	v_add_nc_u16 v46, v3, v17
	v_cndmask_b32_e64 v3, 0, v46, s15
	s_delay_alu instid0(VALU_DEP_1) | instskip(NEXT) | instid1(VALU_DEP_1)
	v_add_nc_u16 v47, v3, v16
	v_cndmask_b32_e64 v3, 0, v47, s16
	s_and_saveexec_b32 s0, s17
	s_cbranch_execz .LBB857_278
; %bb.277:
	v_mov_b32_e32 v12, 0
	ds_load_u8 v10, v12 offset:1050
	ds_load_u16 v11, v12 offset:1048
	s_wait_dscnt 0x1
	v_cmp_eq_u32_e32 vcc_lo, 0, v10
	v_lshlrev_b32_e32 v10, 16, v10
	v_cndmask_b32_e32 v2, 0, v2, vcc_lo
	s_wait_dscnt 0x0
	s_delay_alu instid0(VALU_DEP_1) | instskip(NEXT) | instid1(VALU_DEP_1)
	v_dual_mov_b32 v11, 2 :: v_dual_add_nc_u32 v2, v2, v11
	v_and_b32_e32 v2, 0xffff, v2
	s_delay_alu instid0(VALU_DEP_1)
	v_or_b32_e32 v10, v10, v2
	global_store_b64 v12, v[10:11], s[24:25] offset:256 scope:SCOPE_DEV
.LBB857_278:
	s_wait_xcnt 0x0
	s_or_b32 exec_lo, exec_lo, s0
	v_add_nc_u16 v48, v3, v1
	s_add_nc_u64 s[0:1], s[22:23], s[34:35]
	s_and_b32 vcc_lo, exec_lo, s27
	s_add_nc_u64 s[0:1], s[0:1], s[20:21]
	s_cbranch_vccnz .LBB857_184
.LBB857_279:
	s_mov_b32 s2, 0
                                        ; implicit-def: $vgpr1
	s_cbranch_execz .LBB857_281
; %bb.280:
	s_wait_dscnt 0x0
	v_mul_u32_u24_e32 v1, 40, v0
	v_perm_b32 v3, v38, v36, 0x5040100
	v_perm_b32 v2, v9, v8, 0x5040100
	;; [unrolled: 1-line block ×4, first 2 shown]
	v_mul_i32_i24_e32 v12, 0xffffffda, v0
	v_perm_b32 v5, v45, v43, 0x5040100
	v_perm_b32 v4, v42, v41, 0x5040100
	;; [unrolled: 1-line block ×6, first 2 shown]
	s_wait_storecnt 0x0
	s_barrier_signal -1
	s_barrier_wait -1
	ds_store_2addr_b64 v1, v[6:7], v[2:3] offset1:1
	ds_store_2addr_b64 v1, v[8:9], v[4:5] offset0:2 offset1:3
	ds_store_b64 v1, v[10:11] offset:32
	v_mad_u32_u24 v1, v0, 40, v12
	s_wait_dscnt 0x0
	s_barrier_signal -1
	s_barrier_wait -1
	ds_load_u16 v2, v1
	ds_load_u16 v3, v1 offset:512
	ds_load_u16 v4, v1 offset:1024
	;; [unrolled: 1-line block ×19, first 2 shown]
	s_or_b32 s2, s2, exec_lo
	s_wait_dscnt 0x13
	flat_store_b16 v0, v2, s[0:1] scale_offset
	s_wait_dscnt 0x13
	flat_store_b16 v0, v3, s[0:1] offset:512 scale_offset
	s_wait_dscnt 0x13
	flat_store_b16 v0, v4, s[0:1] offset:1024 scale_offset
	;; [unrolled: 2-line block ×18, first 2 shown]
.LBB857_281:
	s_wait_xcnt 0x0
	s_delay_alu instid0(VALU_DEP_1)
	s_and_saveexec_b32 s3, s2
	s_cbranch_execz .LBB857_283
; %bb.282:
	s_wait_dscnt 0x0
	flat_store_b16 v0, v1, s[0:1] offset:9728 scale_offset
	s_endpgm
.LBB857_283:
	s_endpgm
	.section	.rodata,"a",@progbits
	.p2align	6, 0x0
	.amdhsa_kernel _ZN7rocprim17ROCPRIM_400000_NS6detail17trampoline_kernelINS0_14default_configENS1_27scan_by_key_config_selectorIssEEZZNS1_16scan_by_key_implILNS1_25lookback_scan_determinismE0ELb1ES3_N6thrust23THRUST_200600_302600_NS6detail15normal_iteratorINS9_10device_ptrIsEEEESE_SE_sNS9_4plusIsEE19head_flag_predicatesEE10hipError_tPvRmT2_T3_T4_T5_mT6_T7_P12ihipStream_tbENKUlT_T0_E_clISt17integral_constantIbLb0EESY_EEDaST_SU_EUlST_E_NS1_11comp_targetILNS1_3genE0ELNS1_11target_archE4294967295ELNS1_3gpuE0ELNS1_3repE0EEENS1_30default_config_static_selectorELNS0_4arch9wavefront6targetE0EEEvT1_
		.amdhsa_group_segment_fixed_size 11264
		.amdhsa_private_segment_fixed_size 0
		.amdhsa_kernarg_size 112
		.amdhsa_user_sgpr_count 2
		.amdhsa_user_sgpr_dispatch_ptr 0
		.amdhsa_user_sgpr_queue_ptr 0
		.amdhsa_user_sgpr_kernarg_segment_ptr 1
		.amdhsa_user_sgpr_dispatch_id 0
		.amdhsa_user_sgpr_kernarg_preload_length 0
		.amdhsa_user_sgpr_kernarg_preload_offset 0
		.amdhsa_user_sgpr_private_segment_size 0
		.amdhsa_wavefront_size32 1
		.amdhsa_uses_dynamic_stack 0
		.amdhsa_enable_private_segment 0
		.amdhsa_system_sgpr_workgroup_id_x 1
		.amdhsa_system_sgpr_workgroup_id_y 0
		.amdhsa_system_sgpr_workgroup_id_z 0
		.amdhsa_system_sgpr_workgroup_info 0
		.amdhsa_system_vgpr_workitem_id 0
		.amdhsa_next_free_vgpr 56
		.amdhsa_next_free_sgpr 45
		.amdhsa_named_barrier_count 0
		.amdhsa_reserve_vcc 1
		.amdhsa_float_round_mode_32 0
		.amdhsa_float_round_mode_16_64 0
		.amdhsa_float_denorm_mode_32 3
		.amdhsa_float_denorm_mode_16_64 3
		.amdhsa_fp16_overflow 0
		.amdhsa_memory_ordered 1
		.amdhsa_forward_progress 1
		.amdhsa_inst_pref_size 152
		.amdhsa_round_robin_scheduling 0
		.amdhsa_exception_fp_ieee_invalid_op 0
		.amdhsa_exception_fp_denorm_src 0
		.amdhsa_exception_fp_ieee_div_zero 0
		.amdhsa_exception_fp_ieee_overflow 0
		.amdhsa_exception_fp_ieee_underflow 0
		.amdhsa_exception_fp_ieee_inexact 0
		.amdhsa_exception_int_div_zero 0
	.end_amdhsa_kernel
	.section	.text._ZN7rocprim17ROCPRIM_400000_NS6detail17trampoline_kernelINS0_14default_configENS1_27scan_by_key_config_selectorIssEEZZNS1_16scan_by_key_implILNS1_25lookback_scan_determinismE0ELb1ES3_N6thrust23THRUST_200600_302600_NS6detail15normal_iteratorINS9_10device_ptrIsEEEESE_SE_sNS9_4plusIsEE19head_flag_predicatesEE10hipError_tPvRmT2_T3_T4_T5_mT6_T7_P12ihipStream_tbENKUlT_T0_E_clISt17integral_constantIbLb0EESY_EEDaST_SU_EUlST_E_NS1_11comp_targetILNS1_3genE0ELNS1_11target_archE4294967295ELNS1_3gpuE0ELNS1_3repE0EEENS1_30default_config_static_selectorELNS0_4arch9wavefront6targetE0EEEvT1_,"axG",@progbits,_ZN7rocprim17ROCPRIM_400000_NS6detail17trampoline_kernelINS0_14default_configENS1_27scan_by_key_config_selectorIssEEZZNS1_16scan_by_key_implILNS1_25lookback_scan_determinismE0ELb1ES3_N6thrust23THRUST_200600_302600_NS6detail15normal_iteratorINS9_10device_ptrIsEEEESE_SE_sNS9_4plusIsEE19head_flag_predicatesEE10hipError_tPvRmT2_T3_T4_T5_mT6_T7_P12ihipStream_tbENKUlT_T0_E_clISt17integral_constantIbLb0EESY_EEDaST_SU_EUlST_E_NS1_11comp_targetILNS1_3genE0ELNS1_11target_archE4294967295ELNS1_3gpuE0ELNS1_3repE0EEENS1_30default_config_static_selectorELNS0_4arch9wavefront6targetE0EEEvT1_,comdat
.Lfunc_end857:
	.size	_ZN7rocprim17ROCPRIM_400000_NS6detail17trampoline_kernelINS0_14default_configENS1_27scan_by_key_config_selectorIssEEZZNS1_16scan_by_key_implILNS1_25lookback_scan_determinismE0ELb1ES3_N6thrust23THRUST_200600_302600_NS6detail15normal_iteratorINS9_10device_ptrIsEEEESE_SE_sNS9_4plusIsEE19head_flag_predicatesEE10hipError_tPvRmT2_T3_T4_T5_mT6_T7_P12ihipStream_tbENKUlT_T0_E_clISt17integral_constantIbLb0EESY_EEDaST_SU_EUlST_E_NS1_11comp_targetILNS1_3genE0ELNS1_11target_archE4294967295ELNS1_3gpuE0ELNS1_3repE0EEENS1_30default_config_static_selectorELNS0_4arch9wavefront6targetE0EEEvT1_, .Lfunc_end857-_ZN7rocprim17ROCPRIM_400000_NS6detail17trampoline_kernelINS0_14default_configENS1_27scan_by_key_config_selectorIssEEZZNS1_16scan_by_key_implILNS1_25lookback_scan_determinismE0ELb1ES3_N6thrust23THRUST_200600_302600_NS6detail15normal_iteratorINS9_10device_ptrIsEEEESE_SE_sNS9_4plusIsEE19head_flag_predicatesEE10hipError_tPvRmT2_T3_T4_T5_mT6_T7_P12ihipStream_tbENKUlT_T0_E_clISt17integral_constantIbLb0EESY_EEDaST_SU_EUlST_E_NS1_11comp_targetILNS1_3genE0ELNS1_11target_archE4294967295ELNS1_3gpuE0ELNS1_3repE0EEENS1_30default_config_static_selectorELNS0_4arch9wavefront6targetE0EEEvT1_
                                        ; -- End function
	.set _ZN7rocprim17ROCPRIM_400000_NS6detail17trampoline_kernelINS0_14default_configENS1_27scan_by_key_config_selectorIssEEZZNS1_16scan_by_key_implILNS1_25lookback_scan_determinismE0ELb1ES3_N6thrust23THRUST_200600_302600_NS6detail15normal_iteratorINS9_10device_ptrIsEEEESE_SE_sNS9_4plusIsEE19head_flag_predicatesEE10hipError_tPvRmT2_T3_T4_T5_mT6_T7_P12ihipStream_tbENKUlT_T0_E_clISt17integral_constantIbLb0EESY_EEDaST_SU_EUlST_E_NS1_11comp_targetILNS1_3genE0ELNS1_11target_archE4294967295ELNS1_3gpuE0ELNS1_3repE0EEENS1_30default_config_static_selectorELNS0_4arch9wavefront6targetE0EEEvT1_.num_vgpr, 56
	.set _ZN7rocprim17ROCPRIM_400000_NS6detail17trampoline_kernelINS0_14default_configENS1_27scan_by_key_config_selectorIssEEZZNS1_16scan_by_key_implILNS1_25lookback_scan_determinismE0ELb1ES3_N6thrust23THRUST_200600_302600_NS6detail15normal_iteratorINS9_10device_ptrIsEEEESE_SE_sNS9_4plusIsEE19head_flag_predicatesEE10hipError_tPvRmT2_T3_T4_T5_mT6_T7_P12ihipStream_tbENKUlT_T0_E_clISt17integral_constantIbLb0EESY_EEDaST_SU_EUlST_E_NS1_11comp_targetILNS1_3genE0ELNS1_11target_archE4294967295ELNS1_3gpuE0ELNS1_3repE0EEENS1_30default_config_static_selectorELNS0_4arch9wavefront6targetE0EEEvT1_.num_agpr, 0
	.set _ZN7rocprim17ROCPRIM_400000_NS6detail17trampoline_kernelINS0_14default_configENS1_27scan_by_key_config_selectorIssEEZZNS1_16scan_by_key_implILNS1_25lookback_scan_determinismE0ELb1ES3_N6thrust23THRUST_200600_302600_NS6detail15normal_iteratorINS9_10device_ptrIsEEEESE_SE_sNS9_4plusIsEE19head_flag_predicatesEE10hipError_tPvRmT2_T3_T4_T5_mT6_T7_P12ihipStream_tbENKUlT_T0_E_clISt17integral_constantIbLb0EESY_EEDaST_SU_EUlST_E_NS1_11comp_targetILNS1_3genE0ELNS1_11target_archE4294967295ELNS1_3gpuE0ELNS1_3repE0EEENS1_30default_config_static_selectorELNS0_4arch9wavefront6targetE0EEEvT1_.numbered_sgpr, 45
	.set _ZN7rocprim17ROCPRIM_400000_NS6detail17trampoline_kernelINS0_14default_configENS1_27scan_by_key_config_selectorIssEEZZNS1_16scan_by_key_implILNS1_25lookback_scan_determinismE0ELb1ES3_N6thrust23THRUST_200600_302600_NS6detail15normal_iteratorINS9_10device_ptrIsEEEESE_SE_sNS9_4plusIsEE19head_flag_predicatesEE10hipError_tPvRmT2_T3_T4_T5_mT6_T7_P12ihipStream_tbENKUlT_T0_E_clISt17integral_constantIbLb0EESY_EEDaST_SU_EUlST_E_NS1_11comp_targetILNS1_3genE0ELNS1_11target_archE4294967295ELNS1_3gpuE0ELNS1_3repE0EEENS1_30default_config_static_selectorELNS0_4arch9wavefront6targetE0EEEvT1_.num_named_barrier, 0
	.set _ZN7rocprim17ROCPRIM_400000_NS6detail17trampoline_kernelINS0_14default_configENS1_27scan_by_key_config_selectorIssEEZZNS1_16scan_by_key_implILNS1_25lookback_scan_determinismE0ELb1ES3_N6thrust23THRUST_200600_302600_NS6detail15normal_iteratorINS9_10device_ptrIsEEEESE_SE_sNS9_4plusIsEE19head_flag_predicatesEE10hipError_tPvRmT2_T3_T4_T5_mT6_T7_P12ihipStream_tbENKUlT_T0_E_clISt17integral_constantIbLb0EESY_EEDaST_SU_EUlST_E_NS1_11comp_targetILNS1_3genE0ELNS1_11target_archE4294967295ELNS1_3gpuE0ELNS1_3repE0EEENS1_30default_config_static_selectorELNS0_4arch9wavefront6targetE0EEEvT1_.private_seg_size, 0
	.set _ZN7rocprim17ROCPRIM_400000_NS6detail17trampoline_kernelINS0_14default_configENS1_27scan_by_key_config_selectorIssEEZZNS1_16scan_by_key_implILNS1_25lookback_scan_determinismE0ELb1ES3_N6thrust23THRUST_200600_302600_NS6detail15normal_iteratorINS9_10device_ptrIsEEEESE_SE_sNS9_4plusIsEE19head_flag_predicatesEE10hipError_tPvRmT2_T3_T4_T5_mT6_T7_P12ihipStream_tbENKUlT_T0_E_clISt17integral_constantIbLb0EESY_EEDaST_SU_EUlST_E_NS1_11comp_targetILNS1_3genE0ELNS1_11target_archE4294967295ELNS1_3gpuE0ELNS1_3repE0EEENS1_30default_config_static_selectorELNS0_4arch9wavefront6targetE0EEEvT1_.uses_vcc, 1
	.set _ZN7rocprim17ROCPRIM_400000_NS6detail17trampoline_kernelINS0_14default_configENS1_27scan_by_key_config_selectorIssEEZZNS1_16scan_by_key_implILNS1_25lookback_scan_determinismE0ELb1ES3_N6thrust23THRUST_200600_302600_NS6detail15normal_iteratorINS9_10device_ptrIsEEEESE_SE_sNS9_4plusIsEE19head_flag_predicatesEE10hipError_tPvRmT2_T3_T4_T5_mT6_T7_P12ihipStream_tbENKUlT_T0_E_clISt17integral_constantIbLb0EESY_EEDaST_SU_EUlST_E_NS1_11comp_targetILNS1_3genE0ELNS1_11target_archE4294967295ELNS1_3gpuE0ELNS1_3repE0EEENS1_30default_config_static_selectorELNS0_4arch9wavefront6targetE0EEEvT1_.uses_flat_scratch, 1
	.set _ZN7rocprim17ROCPRIM_400000_NS6detail17trampoline_kernelINS0_14default_configENS1_27scan_by_key_config_selectorIssEEZZNS1_16scan_by_key_implILNS1_25lookback_scan_determinismE0ELb1ES3_N6thrust23THRUST_200600_302600_NS6detail15normal_iteratorINS9_10device_ptrIsEEEESE_SE_sNS9_4plusIsEE19head_flag_predicatesEE10hipError_tPvRmT2_T3_T4_T5_mT6_T7_P12ihipStream_tbENKUlT_T0_E_clISt17integral_constantIbLb0EESY_EEDaST_SU_EUlST_E_NS1_11comp_targetILNS1_3genE0ELNS1_11target_archE4294967295ELNS1_3gpuE0ELNS1_3repE0EEENS1_30default_config_static_selectorELNS0_4arch9wavefront6targetE0EEEvT1_.has_dyn_sized_stack, 0
	.set _ZN7rocprim17ROCPRIM_400000_NS6detail17trampoline_kernelINS0_14default_configENS1_27scan_by_key_config_selectorIssEEZZNS1_16scan_by_key_implILNS1_25lookback_scan_determinismE0ELb1ES3_N6thrust23THRUST_200600_302600_NS6detail15normal_iteratorINS9_10device_ptrIsEEEESE_SE_sNS9_4plusIsEE19head_flag_predicatesEE10hipError_tPvRmT2_T3_T4_T5_mT6_T7_P12ihipStream_tbENKUlT_T0_E_clISt17integral_constantIbLb0EESY_EEDaST_SU_EUlST_E_NS1_11comp_targetILNS1_3genE0ELNS1_11target_archE4294967295ELNS1_3gpuE0ELNS1_3repE0EEENS1_30default_config_static_selectorELNS0_4arch9wavefront6targetE0EEEvT1_.has_recursion, 0
	.set _ZN7rocprim17ROCPRIM_400000_NS6detail17trampoline_kernelINS0_14default_configENS1_27scan_by_key_config_selectorIssEEZZNS1_16scan_by_key_implILNS1_25lookback_scan_determinismE0ELb1ES3_N6thrust23THRUST_200600_302600_NS6detail15normal_iteratorINS9_10device_ptrIsEEEESE_SE_sNS9_4plusIsEE19head_flag_predicatesEE10hipError_tPvRmT2_T3_T4_T5_mT6_T7_P12ihipStream_tbENKUlT_T0_E_clISt17integral_constantIbLb0EESY_EEDaST_SU_EUlST_E_NS1_11comp_targetILNS1_3genE0ELNS1_11target_archE4294967295ELNS1_3gpuE0ELNS1_3repE0EEENS1_30default_config_static_selectorELNS0_4arch9wavefront6targetE0EEEvT1_.has_indirect_call, 0
	.section	.AMDGPU.csdata,"",@progbits
; Kernel info:
; codeLenInByte = 19348
; TotalNumSgprs: 47
; NumVgprs: 56
; ScratchSize: 0
; MemoryBound: 0
; FloatMode: 240
; IeeeMode: 1
; LDSByteSize: 11264 bytes/workgroup (compile time only)
; SGPRBlocks: 0
; VGPRBlocks: 3
; NumSGPRsForWavesPerEU: 47
; NumVGPRsForWavesPerEU: 56
; NamedBarCnt: 0
; Occupancy: 16
; WaveLimiterHint : 1
; COMPUTE_PGM_RSRC2:SCRATCH_EN: 0
; COMPUTE_PGM_RSRC2:USER_SGPR: 2
; COMPUTE_PGM_RSRC2:TRAP_HANDLER: 0
; COMPUTE_PGM_RSRC2:TGID_X_EN: 1
; COMPUTE_PGM_RSRC2:TGID_Y_EN: 0
; COMPUTE_PGM_RSRC2:TGID_Z_EN: 0
; COMPUTE_PGM_RSRC2:TIDIG_COMP_CNT: 0
	.section	.text._ZN7rocprim17ROCPRIM_400000_NS6detail17trampoline_kernelINS0_14default_configENS1_27scan_by_key_config_selectorIssEEZZNS1_16scan_by_key_implILNS1_25lookback_scan_determinismE0ELb1ES3_N6thrust23THRUST_200600_302600_NS6detail15normal_iteratorINS9_10device_ptrIsEEEESE_SE_sNS9_4plusIsEE19head_flag_predicatesEE10hipError_tPvRmT2_T3_T4_T5_mT6_T7_P12ihipStream_tbENKUlT_T0_E_clISt17integral_constantIbLb0EESY_EEDaST_SU_EUlST_E_NS1_11comp_targetILNS1_3genE10ELNS1_11target_archE1201ELNS1_3gpuE5ELNS1_3repE0EEENS1_30default_config_static_selectorELNS0_4arch9wavefront6targetE0EEEvT1_,"axG",@progbits,_ZN7rocprim17ROCPRIM_400000_NS6detail17trampoline_kernelINS0_14default_configENS1_27scan_by_key_config_selectorIssEEZZNS1_16scan_by_key_implILNS1_25lookback_scan_determinismE0ELb1ES3_N6thrust23THRUST_200600_302600_NS6detail15normal_iteratorINS9_10device_ptrIsEEEESE_SE_sNS9_4plusIsEE19head_flag_predicatesEE10hipError_tPvRmT2_T3_T4_T5_mT6_T7_P12ihipStream_tbENKUlT_T0_E_clISt17integral_constantIbLb0EESY_EEDaST_SU_EUlST_E_NS1_11comp_targetILNS1_3genE10ELNS1_11target_archE1201ELNS1_3gpuE5ELNS1_3repE0EEENS1_30default_config_static_selectorELNS0_4arch9wavefront6targetE0EEEvT1_,comdat
	.protected	_ZN7rocprim17ROCPRIM_400000_NS6detail17trampoline_kernelINS0_14default_configENS1_27scan_by_key_config_selectorIssEEZZNS1_16scan_by_key_implILNS1_25lookback_scan_determinismE0ELb1ES3_N6thrust23THRUST_200600_302600_NS6detail15normal_iteratorINS9_10device_ptrIsEEEESE_SE_sNS9_4plusIsEE19head_flag_predicatesEE10hipError_tPvRmT2_T3_T4_T5_mT6_T7_P12ihipStream_tbENKUlT_T0_E_clISt17integral_constantIbLb0EESY_EEDaST_SU_EUlST_E_NS1_11comp_targetILNS1_3genE10ELNS1_11target_archE1201ELNS1_3gpuE5ELNS1_3repE0EEENS1_30default_config_static_selectorELNS0_4arch9wavefront6targetE0EEEvT1_ ; -- Begin function _ZN7rocprim17ROCPRIM_400000_NS6detail17trampoline_kernelINS0_14default_configENS1_27scan_by_key_config_selectorIssEEZZNS1_16scan_by_key_implILNS1_25lookback_scan_determinismE0ELb1ES3_N6thrust23THRUST_200600_302600_NS6detail15normal_iteratorINS9_10device_ptrIsEEEESE_SE_sNS9_4plusIsEE19head_flag_predicatesEE10hipError_tPvRmT2_T3_T4_T5_mT6_T7_P12ihipStream_tbENKUlT_T0_E_clISt17integral_constantIbLb0EESY_EEDaST_SU_EUlST_E_NS1_11comp_targetILNS1_3genE10ELNS1_11target_archE1201ELNS1_3gpuE5ELNS1_3repE0EEENS1_30default_config_static_selectorELNS0_4arch9wavefront6targetE0EEEvT1_
	.globl	_ZN7rocprim17ROCPRIM_400000_NS6detail17trampoline_kernelINS0_14default_configENS1_27scan_by_key_config_selectorIssEEZZNS1_16scan_by_key_implILNS1_25lookback_scan_determinismE0ELb1ES3_N6thrust23THRUST_200600_302600_NS6detail15normal_iteratorINS9_10device_ptrIsEEEESE_SE_sNS9_4plusIsEE19head_flag_predicatesEE10hipError_tPvRmT2_T3_T4_T5_mT6_T7_P12ihipStream_tbENKUlT_T0_E_clISt17integral_constantIbLb0EESY_EEDaST_SU_EUlST_E_NS1_11comp_targetILNS1_3genE10ELNS1_11target_archE1201ELNS1_3gpuE5ELNS1_3repE0EEENS1_30default_config_static_selectorELNS0_4arch9wavefront6targetE0EEEvT1_
	.p2align	8
	.type	_ZN7rocprim17ROCPRIM_400000_NS6detail17trampoline_kernelINS0_14default_configENS1_27scan_by_key_config_selectorIssEEZZNS1_16scan_by_key_implILNS1_25lookback_scan_determinismE0ELb1ES3_N6thrust23THRUST_200600_302600_NS6detail15normal_iteratorINS9_10device_ptrIsEEEESE_SE_sNS9_4plusIsEE19head_flag_predicatesEE10hipError_tPvRmT2_T3_T4_T5_mT6_T7_P12ihipStream_tbENKUlT_T0_E_clISt17integral_constantIbLb0EESY_EEDaST_SU_EUlST_E_NS1_11comp_targetILNS1_3genE10ELNS1_11target_archE1201ELNS1_3gpuE5ELNS1_3repE0EEENS1_30default_config_static_selectorELNS0_4arch9wavefront6targetE0EEEvT1_,@function
_ZN7rocprim17ROCPRIM_400000_NS6detail17trampoline_kernelINS0_14default_configENS1_27scan_by_key_config_selectorIssEEZZNS1_16scan_by_key_implILNS1_25lookback_scan_determinismE0ELb1ES3_N6thrust23THRUST_200600_302600_NS6detail15normal_iteratorINS9_10device_ptrIsEEEESE_SE_sNS9_4plusIsEE19head_flag_predicatesEE10hipError_tPvRmT2_T3_T4_T5_mT6_T7_P12ihipStream_tbENKUlT_T0_E_clISt17integral_constantIbLb0EESY_EEDaST_SU_EUlST_E_NS1_11comp_targetILNS1_3genE10ELNS1_11target_archE1201ELNS1_3gpuE5ELNS1_3repE0EEENS1_30default_config_static_selectorELNS0_4arch9wavefront6targetE0EEEvT1_: ; @_ZN7rocprim17ROCPRIM_400000_NS6detail17trampoline_kernelINS0_14default_configENS1_27scan_by_key_config_selectorIssEEZZNS1_16scan_by_key_implILNS1_25lookback_scan_determinismE0ELb1ES3_N6thrust23THRUST_200600_302600_NS6detail15normal_iteratorINS9_10device_ptrIsEEEESE_SE_sNS9_4plusIsEE19head_flag_predicatesEE10hipError_tPvRmT2_T3_T4_T5_mT6_T7_P12ihipStream_tbENKUlT_T0_E_clISt17integral_constantIbLb0EESY_EEDaST_SU_EUlST_E_NS1_11comp_targetILNS1_3genE10ELNS1_11target_archE1201ELNS1_3gpuE5ELNS1_3repE0EEENS1_30default_config_static_selectorELNS0_4arch9wavefront6targetE0EEEvT1_
; %bb.0:
	.section	.rodata,"a",@progbits
	.p2align	6, 0x0
	.amdhsa_kernel _ZN7rocprim17ROCPRIM_400000_NS6detail17trampoline_kernelINS0_14default_configENS1_27scan_by_key_config_selectorIssEEZZNS1_16scan_by_key_implILNS1_25lookback_scan_determinismE0ELb1ES3_N6thrust23THRUST_200600_302600_NS6detail15normal_iteratorINS9_10device_ptrIsEEEESE_SE_sNS9_4plusIsEE19head_flag_predicatesEE10hipError_tPvRmT2_T3_T4_T5_mT6_T7_P12ihipStream_tbENKUlT_T0_E_clISt17integral_constantIbLb0EESY_EEDaST_SU_EUlST_E_NS1_11comp_targetILNS1_3genE10ELNS1_11target_archE1201ELNS1_3gpuE5ELNS1_3repE0EEENS1_30default_config_static_selectorELNS0_4arch9wavefront6targetE0EEEvT1_
		.amdhsa_group_segment_fixed_size 0
		.amdhsa_private_segment_fixed_size 0
		.amdhsa_kernarg_size 112
		.amdhsa_user_sgpr_count 2
		.amdhsa_user_sgpr_dispatch_ptr 0
		.amdhsa_user_sgpr_queue_ptr 0
		.amdhsa_user_sgpr_kernarg_segment_ptr 1
		.amdhsa_user_sgpr_dispatch_id 0
		.amdhsa_user_sgpr_kernarg_preload_length 0
		.amdhsa_user_sgpr_kernarg_preload_offset 0
		.amdhsa_user_sgpr_private_segment_size 0
		.amdhsa_wavefront_size32 1
		.amdhsa_uses_dynamic_stack 0
		.amdhsa_enable_private_segment 0
		.amdhsa_system_sgpr_workgroup_id_x 1
		.amdhsa_system_sgpr_workgroup_id_y 0
		.amdhsa_system_sgpr_workgroup_id_z 0
		.amdhsa_system_sgpr_workgroup_info 0
		.amdhsa_system_vgpr_workitem_id 0
		.amdhsa_next_free_vgpr 1
		.amdhsa_next_free_sgpr 1
		.amdhsa_named_barrier_count 0
		.amdhsa_reserve_vcc 0
		.amdhsa_float_round_mode_32 0
		.amdhsa_float_round_mode_16_64 0
		.amdhsa_float_denorm_mode_32 3
		.amdhsa_float_denorm_mode_16_64 3
		.amdhsa_fp16_overflow 0
		.amdhsa_memory_ordered 1
		.amdhsa_forward_progress 1
		.amdhsa_inst_pref_size 0
		.amdhsa_round_robin_scheduling 0
		.amdhsa_exception_fp_ieee_invalid_op 0
		.amdhsa_exception_fp_denorm_src 0
		.amdhsa_exception_fp_ieee_div_zero 0
		.amdhsa_exception_fp_ieee_overflow 0
		.amdhsa_exception_fp_ieee_underflow 0
		.amdhsa_exception_fp_ieee_inexact 0
		.amdhsa_exception_int_div_zero 0
	.end_amdhsa_kernel
	.section	.text._ZN7rocprim17ROCPRIM_400000_NS6detail17trampoline_kernelINS0_14default_configENS1_27scan_by_key_config_selectorIssEEZZNS1_16scan_by_key_implILNS1_25lookback_scan_determinismE0ELb1ES3_N6thrust23THRUST_200600_302600_NS6detail15normal_iteratorINS9_10device_ptrIsEEEESE_SE_sNS9_4plusIsEE19head_flag_predicatesEE10hipError_tPvRmT2_T3_T4_T5_mT6_T7_P12ihipStream_tbENKUlT_T0_E_clISt17integral_constantIbLb0EESY_EEDaST_SU_EUlST_E_NS1_11comp_targetILNS1_3genE10ELNS1_11target_archE1201ELNS1_3gpuE5ELNS1_3repE0EEENS1_30default_config_static_selectorELNS0_4arch9wavefront6targetE0EEEvT1_,"axG",@progbits,_ZN7rocprim17ROCPRIM_400000_NS6detail17trampoline_kernelINS0_14default_configENS1_27scan_by_key_config_selectorIssEEZZNS1_16scan_by_key_implILNS1_25lookback_scan_determinismE0ELb1ES3_N6thrust23THRUST_200600_302600_NS6detail15normal_iteratorINS9_10device_ptrIsEEEESE_SE_sNS9_4plusIsEE19head_flag_predicatesEE10hipError_tPvRmT2_T3_T4_T5_mT6_T7_P12ihipStream_tbENKUlT_T0_E_clISt17integral_constantIbLb0EESY_EEDaST_SU_EUlST_E_NS1_11comp_targetILNS1_3genE10ELNS1_11target_archE1201ELNS1_3gpuE5ELNS1_3repE0EEENS1_30default_config_static_selectorELNS0_4arch9wavefront6targetE0EEEvT1_,comdat
.Lfunc_end858:
	.size	_ZN7rocprim17ROCPRIM_400000_NS6detail17trampoline_kernelINS0_14default_configENS1_27scan_by_key_config_selectorIssEEZZNS1_16scan_by_key_implILNS1_25lookback_scan_determinismE0ELb1ES3_N6thrust23THRUST_200600_302600_NS6detail15normal_iteratorINS9_10device_ptrIsEEEESE_SE_sNS9_4plusIsEE19head_flag_predicatesEE10hipError_tPvRmT2_T3_T4_T5_mT6_T7_P12ihipStream_tbENKUlT_T0_E_clISt17integral_constantIbLb0EESY_EEDaST_SU_EUlST_E_NS1_11comp_targetILNS1_3genE10ELNS1_11target_archE1201ELNS1_3gpuE5ELNS1_3repE0EEENS1_30default_config_static_selectorELNS0_4arch9wavefront6targetE0EEEvT1_, .Lfunc_end858-_ZN7rocprim17ROCPRIM_400000_NS6detail17trampoline_kernelINS0_14default_configENS1_27scan_by_key_config_selectorIssEEZZNS1_16scan_by_key_implILNS1_25lookback_scan_determinismE0ELb1ES3_N6thrust23THRUST_200600_302600_NS6detail15normal_iteratorINS9_10device_ptrIsEEEESE_SE_sNS9_4plusIsEE19head_flag_predicatesEE10hipError_tPvRmT2_T3_T4_T5_mT6_T7_P12ihipStream_tbENKUlT_T0_E_clISt17integral_constantIbLb0EESY_EEDaST_SU_EUlST_E_NS1_11comp_targetILNS1_3genE10ELNS1_11target_archE1201ELNS1_3gpuE5ELNS1_3repE0EEENS1_30default_config_static_selectorELNS0_4arch9wavefront6targetE0EEEvT1_
                                        ; -- End function
	.set _ZN7rocprim17ROCPRIM_400000_NS6detail17trampoline_kernelINS0_14default_configENS1_27scan_by_key_config_selectorIssEEZZNS1_16scan_by_key_implILNS1_25lookback_scan_determinismE0ELb1ES3_N6thrust23THRUST_200600_302600_NS6detail15normal_iteratorINS9_10device_ptrIsEEEESE_SE_sNS9_4plusIsEE19head_flag_predicatesEE10hipError_tPvRmT2_T3_T4_T5_mT6_T7_P12ihipStream_tbENKUlT_T0_E_clISt17integral_constantIbLb0EESY_EEDaST_SU_EUlST_E_NS1_11comp_targetILNS1_3genE10ELNS1_11target_archE1201ELNS1_3gpuE5ELNS1_3repE0EEENS1_30default_config_static_selectorELNS0_4arch9wavefront6targetE0EEEvT1_.num_vgpr, 0
	.set _ZN7rocprim17ROCPRIM_400000_NS6detail17trampoline_kernelINS0_14default_configENS1_27scan_by_key_config_selectorIssEEZZNS1_16scan_by_key_implILNS1_25lookback_scan_determinismE0ELb1ES3_N6thrust23THRUST_200600_302600_NS6detail15normal_iteratorINS9_10device_ptrIsEEEESE_SE_sNS9_4plusIsEE19head_flag_predicatesEE10hipError_tPvRmT2_T3_T4_T5_mT6_T7_P12ihipStream_tbENKUlT_T0_E_clISt17integral_constantIbLb0EESY_EEDaST_SU_EUlST_E_NS1_11comp_targetILNS1_3genE10ELNS1_11target_archE1201ELNS1_3gpuE5ELNS1_3repE0EEENS1_30default_config_static_selectorELNS0_4arch9wavefront6targetE0EEEvT1_.num_agpr, 0
	.set _ZN7rocprim17ROCPRIM_400000_NS6detail17trampoline_kernelINS0_14default_configENS1_27scan_by_key_config_selectorIssEEZZNS1_16scan_by_key_implILNS1_25lookback_scan_determinismE0ELb1ES3_N6thrust23THRUST_200600_302600_NS6detail15normal_iteratorINS9_10device_ptrIsEEEESE_SE_sNS9_4plusIsEE19head_flag_predicatesEE10hipError_tPvRmT2_T3_T4_T5_mT6_T7_P12ihipStream_tbENKUlT_T0_E_clISt17integral_constantIbLb0EESY_EEDaST_SU_EUlST_E_NS1_11comp_targetILNS1_3genE10ELNS1_11target_archE1201ELNS1_3gpuE5ELNS1_3repE0EEENS1_30default_config_static_selectorELNS0_4arch9wavefront6targetE0EEEvT1_.numbered_sgpr, 0
	.set _ZN7rocprim17ROCPRIM_400000_NS6detail17trampoline_kernelINS0_14default_configENS1_27scan_by_key_config_selectorIssEEZZNS1_16scan_by_key_implILNS1_25lookback_scan_determinismE0ELb1ES3_N6thrust23THRUST_200600_302600_NS6detail15normal_iteratorINS9_10device_ptrIsEEEESE_SE_sNS9_4plusIsEE19head_flag_predicatesEE10hipError_tPvRmT2_T3_T4_T5_mT6_T7_P12ihipStream_tbENKUlT_T0_E_clISt17integral_constantIbLb0EESY_EEDaST_SU_EUlST_E_NS1_11comp_targetILNS1_3genE10ELNS1_11target_archE1201ELNS1_3gpuE5ELNS1_3repE0EEENS1_30default_config_static_selectorELNS0_4arch9wavefront6targetE0EEEvT1_.num_named_barrier, 0
	.set _ZN7rocprim17ROCPRIM_400000_NS6detail17trampoline_kernelINS0_14default_configENS1_27scan_by_key_config_selectorIssEEZZNS1_16scan_by_key_implILNS1_25lookback_scan_determinismE0ELb1ES3_N6thrust23THRUST_200600_302600_NS6detail15normal_iteratorINS9_10device_ptrIsEEEESE_SE_sNS9_4plusIsEE19head_flag_predicatesEE10hipError_tPvRmT2_T3_T4_T5_mT6_T7_P12ihipStream_tbENKUlT_T0_E_clISt17integral_constantIbLb0EESY_EEDaST_SU_EUlST_E_NS1_11comp_targetILNS1_3genE10ELNS1_11target_archE1201ELNS1_3gpuE5ELNS1_3repE0EEENS1_30default_config_static_selectorELNS0_4arch9wavefront6targetE0EEEvT1_.private_seg_size, 0
	.set _ZN7rocprim17ROCPRIM_400000_NS6detail17trampoline_kernelINS0_14default_configENS1_27scan_by_key_config_selectorIssEEZZNS1_16scan_by_key_implILNS1_25lookback_scan_determinismE0ELb1ES3_N6thrust23THRUST_200600_302600_NS6detail15normal_iteratorINS9_10device_ptrIsEEEESE_SE_sNS9_4plusIsEE19head_flag_predicatesEE10hipError_tPvRmT2_T3_T4_T5_mT6_T7_P12ihipStream_tbENKUlT_T0_E_clISt17integral_constantIbLb0EESY_EEDaST_SU_EUlST_E_NS1_11comp_targetILNS1_3genE10ELNS1_11target_archE1201ELNS1_3gpuE5ELNS1_3repE0EEENS1_30default_config_static_selectorELNS0_4arch9wavefront6targetE0EEEvT1_.uses_vcc, 0
	.set _ZN7rocprim17ROCPRIM_400000_NS6detail17trampoline_kernelINS0_14default_configENS1_27scan_by_key_config_selectorIssEEZZNS1_16scan_by_key_implILNS1_25lookback_scan_determinismE0ELb1ES3_N6thrust23THRUST_200600_302600_NS6detail15normal_iteratorINS9_10device_ptrIsEEEESE_SE_sNS9_4plusIsEE19head_flag_predicatesEE10hipError_tPvRmT2_T3_T4_T5_mT6_T7_P12ihipStream_tbENKUlT_T0_E_clISt17integral_constantIbLb0EESY_EEDaST_SU_EUlST_E_NS1_11comp_targetILNS1_3genE10ELNS1_11target_archE1201ELNS1_3gpuE5ELNS1_3repE0EEENS1_30default_config_static_selectorELNS0_4arch9wavefront6targetE0EEEvT1_.uses_flat_scratch, 0
	.set _ZN7rocprim17ROCPRIM_400000_NS6detail17trampoline_kernelINS0_14default_configENS1_27scan_by_key_config_selectorIssEEZZNS1_16scan_by_key_implILNS1_25lookback_scan_determinismE0ELb1ES3_N6thrust23THRUST_200600_302600_NS6detail15normal_iteratorINS9_10device_ptrIsEEEESE_SE_sNS9_4plusIsEE19head_flag_predicatesEE10hipError_tPvRmT2_T3_T4_T5_mT6_T7_P12ihipStream_tbENKUlT_T0_E_clISt17integral_constantIbLb0EESY_EEDaST_SU_EUlST_E_NS1_11comp_targetILNS1_3genE10ELNS1_11target_archE1201ELNS1_3gpuE5ELNS1_3repE0EEENS1_30default_config_static_selectorELNS0_4arch9wavefront6targetE0EEEvT1_.has_dyn_sized_stack, 0
	.set _ZN7rocprim17ROCPRIM_400000_NS6detail17trampoline_kernelINS0_14default_configENS1_27scan_by_key_config_selectorIssEEZZNS1_16scan_by_key_implILNS1_25lookback_scan_determinismE0ELb1ES3_N6thrust23THRUST_200600_302600_NS6detail15normal_iteratorINS9_10device_ptrIsEEEESE_SE_sNS9_4plusIsEE19head_flag_predicatesEE10hipError_tPvRmT2_T3_T4_T5_mT6_T7_P12ihipStream_tbENKUlT_T0_E_clISt17integral_constantIbLb0EESY_EEDaST_SU_EUlST_E_NS1_11comp_targetILNS1_3genE10ELNS1_11target_archE1201ELNS1_3gpuE5ELNS1_3repE0EEENS1_30default_config_static_selectorELNS0_4arch9wavefront6targetE0EEEvT1_.has_recursion, 0
	.set _ZN7rocprim17ROCPRIM_400000_NS6detail17trampoline_kernelINS0_14default_configENS1_27scan_by_key_config_selectorIssEEZZNS1_16scan_by_key_implILNS1_25lookback_scan_determinismE0ELb1ES3_N6thrust23THRUST_200600_302600_NS6detail15normal_iteratorINS9_10device_ptrIsEEEESE_SE_sNS9_4plusIsEE19head_flag_predicatesEE10hipError_tPvRmT2_T3_T4_T5_mT6_T7_P12ihipStream_tbENKUlT_T0_E_clISt17integral_constantIbLb0EESY_EEDaST_SU_EUlST_E_NS1_11comp_targetILNS1_3genE10ELNS1_11target_archE1201ELNS1_3gpuE5ELNS1_3repE0EEENS1_30default_config_static_selectorELNS0_4arch9wavefront6targetE0EEEvT1_.has_indirect_call, 0
	.section	.AMDGPU.csdata,"",@progbits
; Kernel info:
; codeLenInByte = 0
; TotalNumSgprs: 0
; NumVgprs: 0
; ScratchSize: 0
; MemoryBound: 0
; FloatMode: 240
; IeeeMode: 1
; LDSByteSize: 0 bytes/workgroup (compile time only)
; SGPRBlocks: 0
; VGPRBlocks: 0
; NumSGPRsForWavesPerEU: 1
; NumVGPRsForWavesPerEU: 1
; NamedBarCnt: 0
; Occupancy: 16
; WaveLimiterHint : 0
; COMPUTE_PGM_RSRC2:SCRATCH_EN: 0
; COMPUTE_PGM_RSRC2:USER_SGPR: 2
; COMPUTE_PGM_RSRC2:TRAP_HANDLER: 0
; COMPUTE_PGM_RSRC2:TGID_X_EN: 1
; COMPUTE_PGM_RSRC2:TGID_Y_EN: 0
; COMPUTE_PGM_RSRC2:TGID_Z_EN: 0
; COMPUTE_PGM_RSRC2:TIDIG_COMP_CNT: 0
	.section	.text._ZN7rocprim17ROCPRIM_400000_NS6detail17trampoline_kernelINS0_14default_configENS1_27scan_by_key_config_selectorIssEEZZNS1_16scan_by_key_implILNS1_25lookback_scan_determinismE0ELb1ES3_N6thrust23THRUST_200600_302600_NS6detail15normal_iteratorINS9_10device_ptrIsEEEESE_SE_sNS9_4plusIsEE19head_flag_predicatesEE10hipError_tPvRmT2_T3_T4_T5_mT6_T7_P12ihipStream_tbENKUlT_T0_E_clISt17integral_constantIbLb0EESY_EEDaST_SU_EUlST_E_NS1_11comp_targetILNS1_3genE5ELNS1_11target_archE942ELNS1_3gpuE9ELNS1_3repE0EEENS1_30default_config_static_selectorELNS0_4arch9wavefront6targetE0EEEvT1_,"axG",@progbits,_ZN7rocprim17ROCPRIM_400000_NS6detail17trampoline_kernelINS0_14default_configENS1_27scan_by_key_config_selectorIssEEZZNS1_16scan_by_key_implILNS1_25lookback_scan_determinismE0ELb1ES3_N6thrust23THRUST_200600_302600_NS6detail15normal_iteratorINS9_10device_ptrIsEEEESE_SE_sNS9_4plusIsEE19head_flag_predicatesEE10hipError_tPvRmT2_T3_T4_T5_mT6_T7_P12ihipStream_tbENKUlT_T0_E_clISt17integral_constantIbLb0EESY_EEDaST_SU_EUlST_E_NS1_11comp_targetILNS1_3genE5ELNS1_11target_archE942ELNS1_3gpuE9ELNS1_3repE0EEENS1_30default_config_static_selectorELNS0_4arch9wavefront6targetE0EEEvT1_,comdat
	.protected	_ZN7rocprim17ROCPRIM_400000_NS6detail17trampoline_kernelINS0_14default_configENS1_27scan_by_key_config_selectorIssEEZZNS1_16scan_by_key_implILNS1_25lookback_scan_determinismE0ELb1ES3_N6thrust23THRUST_200600_302600_NS6detail15normal_iteratorINS9_10device_ptrIsEEEESE_SE_sNS9_4plusIsEE19head_flag_predicatesEE10hipError_tPvRmT2_T3_T4_T5_mT6_T7_P12ihipStream_tbENKUlT_T0_E_clISt17integral_constantIbLb0EESY_EEDaST_SU_EUlST_E_NS1_11comp_targetILNS1_3genE5ELNS1_11target_archE942ELNS1_3gpuE9ELNS1_3repE0EEENS1_30default_config_static_selectorELNS0_4arch9wavefront6targetE0EEEvT1_ ; -- Begin function _ZN7rocprim17ROCPRIM_400000_NS6detail17trampoline_kernelINS0_14default_configENS1_27scan_by_key_config_selectorIssEEZZNS1_16scan_by_key_implILNS1_25lookback_scan_determinismE0ELb1ES3_N6thrust23THRUST_200600_302600_NS6detail15normal_iteratorINS9_10device_ptrIsEEEESE_SE_sNS9_4plusIsEE19head_flag_predicatesEE10hipError_tPvRmT2_T3_T4_T5_mT6_T7_P12ihipStream_tbENKUlT_T0_E_clISt17integral_constantIbLb0EESY_EEDaST_SU_EUlST_E_NS1_11comp_targetILNS1_3genE5ELNS1_11target_archE942ELNS1_3gpuE9ELNS1_3repE0EEENS1_30default_config_static_selectorELNS0_4arch9wavefront6targetE0EEEvT1_
	.globl	_ZN7rocprim17ROCPRIM_400000_NS6detail17trampoline_kernelINS0_14default_configENS1_27scan_by_key_config_selectorIssEEZZNS1_16scan_by_key_implILNS1_25lookback_scan_determinismE0ELb1ES3_N6thrust23THRUST_200600_302600_NS6detail15normal_iteratorINS9_10device_ptrIsEEEESE_SE_sNS9_4plusIsEE19head_flag_predicatesEE10hipError_tPvRmT2_T3_T4_T5_mT6_T7_P12ihipStream_tbENKUlT_T0_E_clISt17integral_constantIbLb0EESY_EEDaST_SU_EUlST_E_NS1_11comp_targetILNS1_3genE5ELNS1_11target_archE942ELNS1_3gpuE9ELNS1_3repE0EEENS1_30default_config_static_selectorELNS0_4arch9wavefront6targetE0EEEvT1_
	.p2align	8
	.type	_ZN7rocprim17ROCPRIM_400000_NS6detail17trampoline_kernelINS0_14default_configENS1_27scan_by_key_config_selectorIssEEZZNS1_16scan_by_key_implILNS1_25lookback_scan_determinismE0ELb1ES3_N6thrust23THRUST_200600_302600_NS6detail15normal_iteratorINS9_10device_ptrIsEEEESE_SE_sNS9_4plusIsEE19head_flag_predicatesEE10hipError_tPvRmT2_T3_T4_T5_mT6_T7_P12ihipStream_tbENKUlT_T0_E_clISt17integral_constantIbLb0EESY_EEDaST_SU_EUlST_E_NS1_11comp_targetILNS1_3genE5ELNS1_11target_archE942ELNS1_3gpuE9ELNS1_3repE0EEENS1_30default_config_static_selectorELNS0_4arch9wavefront6targetE0EEEvT1_,@function
_ZN7rocprim17ROCPRIM_400000_NS6detail17trampoline_kernelINS0_14default_configENS1_27scan_by_key_config_selectorIssEEZZNS1_16scan_by_key_implILNS1_25lookback_scan_determinismE0ELb1ES3_N6thrust23THRUST_200600_302600_NS6detail15normal_iteratorINS9_10device_ptrIsEEEESE_SE_sNS9_4plusIsEE19head_flag_predicatesEE10hipError_tPvRmT2_T3_T4_T5_mT6_T7_P12ihipStream_tbENKUlT_T0_E_clISt17integral_constantIbLb0EESY_EEDaST_SU_EUlST_E_NS1_11comp_targetILNS1_3genE5ELNS1_11target_archE942ELNS1_3gpuE9ELNS1_3repE0EEENS1_30default_config_static_selectorELNS0_4arch9wavefront6targetE0EEEvT1_: ; @_ZN7rocprim17ROCPRIM_400000_NS6detail17trampoline_kernelINS0_14default_configENS1_27scan_by_key_config_selectorIssEEZZNS1_16scan_by_key_implILNS1_25lookback_scan_determinismE0ELb1ES3_N6thrust23THRUST_200600_302600_NS6detail15normal_iteratorINS9_10device_ptrIsEEEESE_SE_sNS9_4plusIsEE19head_flag_predicatesEE10hipError_tPvRmT2_T3_T4_T5_mT6_T7_P12ihipStream_tbENKUlT_T0_E_clISt17integral_constantIbLb0EESY_EEDaST_SU_EUlST_E_NS1_11comp_targetILNS1_3genE5ELNS1_11target_archE942ELNS1_3gpuE9ELNS1_3repE0EEENS1_30default_config_static_selectorELNS0_4arch9wavefront6targetE0EEEvT1_
; %bb.0:
	.section	.rodata,"a",@progbits
	.p2align	6, 0x0
	.amdhsa_kernel _ZN7rocprim17ROCPRIM_400000_NS6detail17trampoline_kernelINS0_14default_configENS1_27scan_by_key_config_selectorIssEEZZNS1_16scan_by_key_implILNS1_25lookback_scan_determinismE0ELb1ES3_N6thrust23THRUST_200600_302600_NS6detail15normal_iteratorINS9_10device_ptrIsEEEESE_SE_sNS9_4plusIsEE19head_flag_predicatesEE10hipError_tPvRmT2_T3_T4_T5_mT6_T7_P12ihipStream_tbENKUlT_T0_E_clISt17integral_constantIbLb0EESY_EEDaST_SU_EUlST_E_NS1_11comp_targetILNS1_3genE5ELNS1_11target_archE942ELNS1_3gpuE9ELNS1_3repE0EEENS1_30default_config_static_selectorELNS0_4arch9wavefront6targetE0EEEvT1_
		.amdhsa_group_segment_fixed_size 0
		.amdhsa_private_segment_fixed_size 0
		.amdhsa_kernarg_size 112
		.amdhsa_user_sgpr_count 2
		.amdhsa_user_sgpr_dispatch_ptr 0
		.amdhsa_user_sgpr_queue_ptr 0
		.amdhsa_user_sgpr_kernarg_segment_ptr 1
		.amdhsa_user_sgpr_dispatch_id 0
		.amdhsa_user_sgpr_kernarg_preload_length 0
		.amdhsa_user_sgpr_kernarg_preload_offset 0
		.amdhsa_user_sgpr_private_segment_size 0
		.amdhsa_wavefront_size32 1
		.amdhsa_uses_dynamic_stack 0
		.amdhsa_enable_private_segment 0
		.amdhsa_system_sgpr_workgroup_id_x 1
		.amdhsa_system_sgpr_workgroup_id_y 0
		.amdhsa_system_sgpr_workgroup_id_z 0
		.amdhsa_system_sgpr_workgroup_info 0
		.amdhsa_system_vgpr_workitem_id 0
		.amdhsa_next_free_vgpr 1
		.amdhsa_next_free_sgpr 1
		.amdhsa_named_barrier_count 0
		.amdhsa_reserve_vcc 0
		.amdhsa_float_round_mode_32 0
		.amdhsa_float_round_mode_16_64 0
		.amdhsa_float_denorm_mode_32 3
		.amdhsa_float_denorm_mode_16_64 3
		.amdhsa_fp16_overflow 0
		.amdhsa_memory_ordered 1
		.amdhsa_forward_progress 1
		.amdhsa_inst_pref_size 0
		.amdhsa_round_robin_scheduling 0
		.amdhsa_exception_fp_ieee_invalid_op 0
		.amdhsa_exception_fp_denorm_src 0
		.amdhsa_exception_fp_ieee_div_zero 0
		.amdhsa_exception_fp_ieee_overflow 0
		.amdhsa_exception_fp_ieee_underflow 0
		.amdhsa_exception_fp_ieee_inexact 0
		.amdhsa_exception_int_div_zero 0
	.end_amdhsa_kernel
	.section	.text._ZN7rocprim17ROCPRIM_400000_NS6detail17trampoline_kernelINS0_14default_configENS1_27scan_by_key_config_selectorIssEEZZNS1_16scan_by_key_implILNS1_25lookback_scan_determinismE0ELb1ES3_N6thrust23THRUST_200600_302600_NS6detail15normal_iteratorINS9_10device_ptrIsEEEESE_SE_sNS9_4plusIsEE19head_flag_predicatesEE10hipError_tPvRmT2_T3_T4_T5_mT6_T7_P12ihipStream_tbENKUlT_T0_E_clISt17integral_constantIbLb0EESY_EEDaST_SU_EUlST_E_NS1_11comp_targetILNS1_3genE5ELNS1_11target_archE942ELNS1_3gpuE9ELNS1_3repE0EEENS1_30default_config_static_selectorELNS0_4arch9wavefront6targetE0EEEvT1_,"axG",@progbits,_ZN7rocprim17ROCPRIM_400000_NS6detail17trampoline_kernelINS0_14default_configENS1_27scan_by_key_config_selectorIssEEZZNS1_16scan_by_key_implILNS1_25lookback_scan_determinismE0ELb1ES3_N6thrust23THRUST_200600_302600_NS6detail15normal_iteratorINS9_10device_ptrIsEEEESE_SE_sNS9_4plusIsEE19head_flag_predicatesEE10hipError_tPvRmT2_T3_T4_T5_mT6_T7_P12ihipStream_tbENKUlT_T0_E_clISt17integral_constantIbLb0EESY_EEDaST_SU_EUlST_E_NS1_11comp_targetILNS1_3genE5ELNS1_11target_archE942ELNS1_3gpuE9ELNS1_3repE0EEENS1_30default_config_static_selectorELNS0_4arch9wavefront6targetE0EEEvT1_,comdat
.Lfunc_end859:
	.size	_ZN7rocprim17ROCPRIM_400000_NS6detail17trampoline_kernelINS0_14default_configENS1_27scan_by_key_config_selectorIssEEZZNS1_16scan_by_key_implILNS1_25lookback_scan_determinismE0ELb1ES3_N6thrust23THRUST_200600_302600_NS6detail15normal_iteratorINS9_10device_ptrIsEEEESE_SE_sNS9_4plusIsEE19head_flag_predicatesEE10hipError_tPvRmT2_T3_T4_T5_mT6_T7_P12ihipStream_tbENKUlT_T0_E_clISt17integral_constantIbLb0EESY_EEDaST_SU_EUlST_E_NS1_11comp_targetILNS1_3genE5ELNS1_11target_archE942ELNS1_3gpuE9ELNS1_3repE0EEENS1_30default_config_static_selectorELNS0_4arch9wavefront6targetE0EEEvT1_, .Lfunc_end859-_ZN7rocprim17ROCPRIM_400000_NS6detail17trampoline_kernelINS0_14default_configENS1_27scan_by_key_config_selectorIssEEZZNS1_16scan_by_key_implILNS1_25lookback_scan_determinismE0ELb1ES3_N6thrust23THRUST_200600_302600_NS6detail15normal_iteratorINS9_10device_ptrIsEEEESE_SE_sNS9_4plusIsEE19head_flag_predicatesEE10hipError_tPvRmT2_T3_T4_T5_mT6_T7_P12ihipStream_tbENKUlT_T0_E_clISt17integral_constantIbLb0EESY_EEDaST_SU_EUlST_E_NS1_11comp_targetILNS1_3genE5ELNS1_11target_archE942ELNS1_3gpuE9ELNS1_3repE0EEENS1_30default_config_static_selectorELNS0_4arch9wavefront6targetE0EEEvT1_
                                        ; -- End function
	.set _ZN7rocprim17ROCPRIM_400000_NS6detail17trampoline_kernelINS0_14default_configENS1_27scan_by_key_config_selectorIssEEZZNS1_16scan_by_key_implILNS1_25lookback_scan_determinismE0ELb1ES3_N6thrust23THRUST_200600_302600_NS6detail15normal_iteratorINS9_10device_ptrIsEEEESE_SE_sNS9_4plusIsEE19head_flag_predicatesEE10hipError_tPvRmT2_T3_T4_T5_mT6_T7_P12ihipStream_tbENKUlT_T0_E_clISt17integral_constantIbLb0EESY_EEDaST_SU_EUlST_E_NS1_11comp_targetILNS1_3genE5ELNS1_11target_archE942ELNS1_3gpuE9ELNS1_3repE0EEENS1_30default_config_static_selectorELNS0_4arch9wavefront6targetE0EEEvT1_.num_vgpr, 0
	.set _ZN7rocprim17ROCPRIM_400000_NS6detail17trampoline_kernelINS0_14default_configENS1_27scan_by_key_config_selectorIssEEZZNS1_16scan_by_key_implILNS1_25lookback_scan_determinismE0ELb1ES3_N6thrust23THRUST_200600_302600_NS6detail15normal_iteratorINS9_10device_ptrIsEEEESE_SE_sNS9_4plusIsEE19head_flag_predicatesEE10hipError_tPvRmT2_T3_T4_T5_mT6_T7_P12ihipStream_tbENKUlT_T0_E_clISt17integral_constantIbLb0EESY_EEDaST_SU_EUlST_E_NS1_11comp_targetILNS1_3genE5ELNS1_11target_archE942ELNS1_3gpuE9ELNS1_3repE0EEENS1_30default_config_static_selectorELNS0_4arch9wavefront6targetE0EEEvT1_.num_agpr, 0
	.set _ZN7rocprim17ROCPRIM_400000_NS6detail17trampoline_kernelINS0_14default_configENS1_27scan_by_key_config_selectorIssEEZZNS1_16scan_by_key_implILNS1_25lookback_scan_determinismE0ELb1ES3_N6thrust23THRUST_200600_302600_NS6detail15normal_iteratorINS9_10device_ptrIsEEEESE_SE_sNS9_4plusIsEE19head_flag_predicatesEE10hipError_tPvRmT2_T3_T4_T5_mT6_T7_P12ihipStream_tbENKUlT_T0_E_clISt17integral_constantIbLb0EESY_EEDaST_SU_EUlST_E_NS1_11comp_targetILNS1_3genE5ELNS1_11target_archE942ELNS1_3gpuE9ELNS1_3repE0EEENS1_30default_config_static_selectorELNS0_4arch9wavefront6targetE0EEEvT1_.numbered_sgpr, 0
	.set _ZN7rocprim17ROCPRIM_400000_NS6detail17trampoline_kernelINS0_14default_configENS1_27scan_by_key_config_selectorIssEEZZNS1_16scan_by_key_implILNS1_25lookback_scan_determinismE0ELb1ES3_N6thrust23THRUST_200600_302600_NS6detail15normal_iteratorINS9_10device_ptrIsEEEESE_SE_sNS9_4plusIsEE19head_flag_predicatesEE10hipError_tPvRmT2_T3_T4_T5_mT6_T7_P12ihipStream_tbENKUlT_T0_E_clISt17integral_constantIbLb0EESY_EEDaST_SU_EUlST_E_NS1_11comp_targetILNS1_3genE5ELNS1_11target_archE942ELNS1_3gpuE9ELNS1_3repE0EEENS1_30default_config_static_selectorELNS0_4arch9wavefront6targetE0EEEvT1_.num_named_barrier, 0
	.set _ZN7rocprim17ROCPRIM_400000_NS6detail17trampoline_kernelINS0_14default_configENS1_27scan_by_key_config_selectorIssEEZZNS1_16scan_by_key_implILNS1_25lookback_scan_determinismE0ELb1ES3_N6thrust23THRUST_200600_302600_NS6detail15normal_iteratorINS9_10device_ptrIsEEEESE_SE_sNS9_4plusIsEE19head_flag_predicatesEE10hipError_tPvRmT2_T3_T4_T5_mT6_T7_P12ihipStream_tbENKUlT_T0_E_clISt17integral_constantIbLb0EESY_EEDaST_SU_EUlST_E_NS1_11comp_targetILNS1_3genE5ELNS1_11target_archE942ELNS1_3gpuE9ELNS1_3repE0EEENS1_30default_config_static_selectorELNS0_4arch9wavefront6targetE0EEEvT1_.private_seg_size, 0
	.set _ZN7rocprim17ROCPRIM_400000_NS6detail17trampoline_kernelINS0_14default_configENS1_27scan_by_key_config_selectorIssEEZZNS1_16scan_by_key_implILNS1_25lookback_scan_determinismE0ELb1ES3_N6thrust23THRUST_200600_302600_NS6detail15normal_iteratorINS9_10device_ptrIsEEEESE_SE_sNS9_4plusIsEE19head_flag_predicatesEE10hipError_tPvRmT2_T3_T4_T5_mT6_T7_P12ihipStream_tbENKUlT_T0_E_clISt17integral_constantIbLb0EESY_EEDaST_SU_EUlST_E_NS1_11comp_targetILNS1_3genE5ELNS1_11target_archE942ELNS1_3gpuE9ELNS1_3repE0EEENS1_30default_config_static_selectorELNS0_4arch9wavefront6targetE0EEEvT1_.uses_vcc, 0
	.set _ZN7rocprim17ROCPRIM_400000_NS6detail17trampoline_kernelINS0_14default_configENS1_27scan_by_key_config_selectorIssEEZZNS1_16scan_by_key_implILNS1_25lookback_scan_determinismE0ELb1ES3_N6thrust23THRUST_200600_302600_NS6detail15normal_iteratorINS9_10device_ptrIsEEEESE_SE_sNS9_4plusIsEE19head_flag_predicatesEE10hipError_tPvRmT2_T3_T4_T5_mT6_T7_P12ihipStream_tbENKUlT_T0_E_clISt17integral_constantIbLb0EESY_EEDaST_SU_EUlST_E_NS1_11comp_targetILNS1_3genE5ELNS1_11target_archE942ELNS1_3gpuE9ELNS1_3repE0EEENS1_30default_config_static_selectorELNS0_4arch9wavefront6targetE0EEEvT1_.uses_flat_scratch, 0
	.set _ZN7rocprim17ROCPRIM_400000_NS6detail17trampoline_kernelINS0_14default_configENS1_27scan_by_key_config_selectorIssEEZZNS1_16scan_by_key_implILNS1_25lookback_scan_determinismE0ELb1ES3_N6thrust23THRUST_200600_302600_NS6detail15normal_iteratorINS9_10device_ptrIsEEEESE_SE_sNS9_4plusIsEE19head_flag_predicatesEE10hipError_tPvRmT2_T3_T4_T5_mT6_T7_P12ihipStream_tbENKUlT_T0_E_clISt17integral_constantIbLb0EESY_EEDaST_SU_EUlST_E_NS1_11comp_targetILNS1_3genE5ELNS1_11target_archE942ELNS1_3gpuE9ELNS1_3repE0EEENS1_30default_config_static_selectorELNS0_4arch9wavefront6targetE0EEEvT1_.has_dyn_sized_stack, 0
	.set _ZN7rocprim17ROCPRIM_400000_NS6detail17trampoline_kernelINS0_14default_configENS1_27scan_by_key_config_selectorIssEEZZNS1_16scan_by_key_implILNS1_25lookback_scan_determinismE0ELb1ES3_N6thrust23THRUST_200600_302600_NS6detail15normal_iteratorINS9_10device_ptrIsEEEESE_SE_sNS9_4plusIsEE19head_flag_predicatesEE10hipError_tPvRmT2_T3_T4_T5_mT6_T7_P12ihipStream_tbENKUlT_T0_E_clISt17integral_constantIbLb0EESY_EEDaST_SU_EUlST_E_NS1_11comp_targetILNS1_3genE5ELNS1_11target_archE942ELNS1_3gpuE9ELNS1_3repE0EEENS1_30default_config_static_selectorELNS0_4arch9wavefront6targetE0EEEvT1_.has_recursion, 0
	.set _ZN7rocprim17ROCPRIM_400000_NS6detail17trampoline_kernelINS0_14default_configENS1_27scan_by_key_config_selectorIssEEZZNS1_16scan_by_key_implILNS1_25lookback_scan_determinismE0ELb1ES3_N6thrust23THRUST_200600_302600_NS6detail15normal_iteratorINS9_10device_ptrIsEEEESE_SE_sNS9_4plusIsEE19head_flag_predicatesEE10hipError_tPvRmT2_T3_T4_T5_mT6_T7_P12ihipStream_tbENKUlT_T0_E_clISt17integral_constantIbLb0EESY_EEDaST_SU_EUlST_E_NS1_11comp_targetILNS1_3genE5ELNS1_11target_archE942ELNS1_3gpuE9ELNS1_3repE0EEENS1_30default_config_static_selectorELNS0_4arch9wavefront6targetE0EEEvT1_.has_indirect_call, 0
	.section	.AMDGPU.csdata,"",@progbits
; Kernel info:
; codeLenInByte = 0
; TotalNumSgprs: 0
; NumVgprs: 0
; ScratchSize: 0
; MemoryBound: 0
; FloatMode: 240
; IeeeMode: 1
; LDSByteSize: 0 bytes/workgroup (compile time only)
; SGPRBlocks: 0
; VGPRBlocks: 0
; NumSGPRsForWavesPerEU: 1
; NumVGPRsForWavesPerEU: 1
; NamedBarCnt: 0
; Occupancy: 16
; WaveLimiterHint : 0
; COMPUTE_PGM_RSRC2:SCRATCH_EN: 0
; COMPUTE_PGM_RSRC2:USER_SGPR: 2
; COMPUTE_PGM_RSRC2:TRAP_HANDLER: 0
; COMPUTE_PGM_RSRC2:TGID_X_EN: 1
; COMPUTE_PGM_RSRC2:TGID_Y_EN: 0
; COMPUTE_PGM_RSRC2:TGID_Z_EN: 0
; COMPUTE_PGM_RSRC2:TIDIG_COMP_CNT: 0
	.section	.text._ZN7rocprim17ROCPRIM_400000_NS6detail17trampoline_kernelINS0_14default_configENS1_27scan_by_key_config_selectorIssEEZZNS1_16scan_by_key_implILNS1_25lookback_scan_determinismE0ELb1ES3_N6thrust23THRUST_200600_302600_NS6detail15normal_iteratorINS9_10device_ptrIsEEEESE_SE_sNS9_4plusIsEE19head_flag_predicatesEE10hipError_tPvRmT2_T3_T4_T5_mT6_T7_P12ihipStream_tbENKUlT_T0_E_clISt17integral_constantIbLb0EESY_EEDaST_SU_EUlST_E_NS1_11comp_targetILNS1_3genE4ELNS1_11target_archE910ELNS1_3gpuE8ELNS1_3repE0EEENS1_30default_config_static_selectorELNS0_4arch9wavefront6targetE0EEEvT1_,"axG",@progbits,_ZN7rocprim17ROCPRIM_400000_NS6detail17trampoline_kernelINS0_14default_configENS1_27scan_by_key_config_selectorIssEEZZNS1_16scan_by_key_implILNS1_25lookback_scan_determinismE0ELb1ES3_N6thrust23THRUST_200600_302600_NS6detail15normal_iteratorINS9_10device_ptrIsEEEESE_SE_sNS9_4plusIsEE19head_flag_predicatesEE10hipError_tPvRmT2_T3_T4_T5_mT6_T7_P12ihipStream_tbENKUlT_T0_E_clISt17integral_constantIbLb0EESY_EEDaST_SU_EUlST_E_NS1_11comp_targetILNS1_3genE4ELNS1_11target_archE910ELNS1_3gpuE8ELNS1_3repE0EEENS1_30default_config_static_selectorELNS0_4arch9wavefront6targetE0EEEvT1_,comdat
	.protected	_ZN7rocprim17ROCPRIM_400000_NS6detail17trampoline_kernelINS0_14default_configENS1_27scan_by_key_config_selectorIssEEZZNS1_16scan_by_key_implILNS1_25lookback_scan_determinismE0ELb1ES3_N6thrust23THRUST_200600_302600_NS6detail15normal_iteratorINS9_10device_ptrIsEEEESE_SE_sNS9_4plusIsEE19head_flag_predicatesEE10hipError_tPvRmT2_T3_T4_T5_mT6_T7_P12ihipStream_tbENKUlT_T0_E_clISt17integral_constantIbLb0EESY_EEDaST_SU_EUlST_E_NS1_11comp_targetILNS1_3genE4ELNS1_11target_archE910ELNS1_3gpuE8ELNS1_3repE0EEENS1_30default_config_static_selectorELNS0_4arch9wavefront6targetE0EEEvT1_ ; -- Begin function _ZN7rocprim17ROCPRIM_400000_NS6detail17trampoline_kernelINS0_14default_configENS1_27scan_by_key_config_selectorIssEEZZNS1_16scan_by_key_implILNS1_25lookback_scan_determinismE0ELb1ES3_N6thrust23THRUST_200600_302600_NS6detail15normal_iteratorINS9_10device_ptrIsEEEESE_SE_sNS9_4plusIsEE19head_flag_predicatesEE10hipError_tPvRmT2_T3_T4_T5_mT6_T7_P12ihipStream_tbENKUlT_T0_E_clISt17integral_constantIbLb0EESY_EEDaST_SU_EUlST_E_NS1_11comp_targetILNS1_3genE4ELNS1_11target_archE910ELNS1_3gpuE8ELNS1_3repE0EEENS1_30default_config_static_selectorELNS0_4arch9wavefront6targetE0EEEvT1_
	.globl	_ZN7rocprim17ROCPRIM_400000_NS6detail17trampoline_kernelINS0_14default_configENS1_27scan_by_key_config_selectorIssEEZZNS1_16scan_by_key_implILNS1_25lookback_scan_determinismE0ELb1ES3_N6thrust23THRUST_200600_302600_NS6detail15normal_iteratorINS9_10device_ptrIsEEEESE_SE_sNS9_4plusIsEE19head_flag_predicatesEE10hipError_tPvRmT2_T3_T4_T5_mT6_T7_P12ihipStream_tbENKUlT_T0_E_clISt17integral_constantIbLb0EESY_EEDaST_SU_EUlST_E_NS1_11comp_targetILNS1_3genE4ELNS1_11target_archE910ELNS1_3gpuE8ELNS1_3repE0EEENS1_30default_config_static_selectorELNS0_4arch9wavefront6targetE0EEEvT1_
	.p2align	8
	.type	_ZN7rocprim17ROCPRIM_400000_NS6detail17trampoline_kernelINS0_14default_configENS1_27scan_by_key_config_selectorIssEEZZNS1_16scan_by_key_implILNS1_25lookback_scan_determinismE0ELb1ES3_N6thrust23THRUST_200600_302600_NS6detail15normal_iteratorINS9_10device_ptrIsEEEESE_SE_sNS9_4plusIsEE19head_flag_predicatesEE10hipError_tPvRmT2_T3_T4_T5_mT6_T7_P12ihipStream_tbENKUlT_T0_E_clISt17integral_constantIbLb0EESY_EEDaST_SU_EUlST_E_NS1_11comp_targetILNS1_3genE4ELNS1_11target_archE910ELNS1_3gpuE8ELNS1_3repE0EEENS1_30default_config_static_selectorELNS0_4arch9wavefront6targetE0EEEvT1_,@function
_ZN7rocprim17ROCPRIM_400000_NS6detail17trampoline_kernelINS0_14default_configENS1_27scan_by_key_config_selectorIssEEZZNS1_16scan_by_key_implILNS1_25lookback_scan_determinismE0ELb1ES3_N6thrust23THRUST_200600_302600_NS6detail15normal_iteratorINS9_10device_ptrIsEEEESE_SE_sNS9_4plusIsEE19head_flag_predicatesEE10hipError_tPvRmT2_T3_T4_T5_mT6_T7_P12ihipStream_tbENKUlT_T0_E_clISt17integral_constantIbLb0EESY_EEDaST_SU_EUlST_E_NS1_11comp_targetILNS1_3genE4ELNS1_11target_archE910ELNS1_3gpuE8ELNS1_3repE0EEENS1_30default_config_static_selectorELNS0_4arch9wavefront6targetE0EEEvT1_: ; @_ZN7rocprim17ROCPRIM_400000_NS6detail17trampoline_kernelINS0_14default_configENS1_27scan_by_key_config_selectorIssEEZZNS1_16scan_by_key_implILNS1_25lookback_scan_determinismE0ELb1ES3_N6thrust23THRUST_200600_302600_NS6detail15normal_iteratorINS9_10device_ptrIsEEEESE_SE_sNS9_4plusIsEE19head_flag_predicatesEE10hipError_tPvRmT2_T3_T4_T5_mT6_T7_P12ihipStream_tbENKUlT_T0_E_clISt17integral_constantIbLb0EESY_EEDaST_SU_EUlST_E_NS1_11comp_targetILNS1_3genE4ELNS1_11target_archE910ELNS1_3gpuE8ELNS1_3repE0EEENS1_30default_config_static_selectorELNS0_4arch9wavefront6targetE0EEEvT1_
; %bb.0:
	.section	.rodata,"a",@progbits
	.p2align	6, 0x0
	.amdhsa_kernel _ZN7rocprim17ROCPRIM_400000_NS6detail17trampoline_kernelINS0_14default_configENS1_27scan_by_key_config_selectorIssEEZZNS1_16scan_by_key_implILNS1_25lookback_scan_determinismE0ELb1ES3_N6thrust23THRUST_200600_302600_NS6detail15normal_iteratorINS9_10device_ptrIsEEEESE_SE_sNS9_4plusIsEE19head_flag_predicatesEE10hipError_tPvRmT2_T3_T4_T5_mT6_T7_P12ihipStream_tbENKUlT_T0_E_clISt17integral_constantIbLb0EESY_EEDaST_SU_EUlST_E_NS1_11comp_targetILNS1_3genE4ELNS1_11target_archE910ELNS1_3gpuE8ELNS1_3repE0EEENS1_30default_config_static_selectorELNS0_4arch9wavefront6targetE0EEEvT1_
		.amdhsa_group_segment_fixed_size 0
		.amdhsa_private_segment_fixed_size 0
		.amdhsa_kernarg_size 112
		.amdhsa_user_sgpr_count 2
		.amdhsa_user_sgpr_dispatch_ptr 0
		.amdhsa_user_sgpr_queue_ptr 0
		.amdhsa_user_sgpr_kernarg_segment_ptr 1
		.amdhsa_user_sgpr_dispatch_id 0
		.amdhsa_user_sgpr_kernarg_preload_length 0
		.amdhsa_user_sgpr_kernarg_preload_offset 0
		.amdhsa_user_sgpr_private_segment_size 0
		.amdhsa_wavefront_size32 1
		.amdhsa_uses_dynamic_stack 0
		.amdhsa_enable_private_segment 0
		.amdhsa_system_sgpr_workgroup_id_x 1
		.amdhsa_system_sgpr_workgroup_id_y 0
		.amdhsa_system_sgpr_workgroup_id_z 0
		.amdhsa_system_sgpr_workgroup_info 0
		.amdhsa_system_vgpr_workitem_id 0
		.amdhsa_next_free_vgpr 1
		.amdhsa_next_free_sgpr 1
		.amdhsa_named_barrier_count 0
		.amdhsa_reserve_vcc 0
		.amdhsa_float_round_mode_32 0
		.amdhsa_float_round_mode_16_64 0
		.amdhsa_float_denorm_mode_32 3
		.amdhsa_float_denorm_mode_16_64 3
		.amdhsa_fp16_overflow 0
		.amdhsa_memory_ordered 1
		.amdhsa_forward_progress 1
		.amdhsa_inst_pref_size 0
		.amdhsa_round_robin_scheduling 0
		.amdhsa_exception_fp_ieee_invalid_op 0
		.amdhsa_exception_fp_denorm_src 0
		.amdhsa_exception_fp_ieee_div_zero 0
		.amdhsa_exception_fp_ieee_overflow 0
		.amdhsa_exception_fp_ieee_underflow 0
		.amdhsa_exception_fp_ieee_inexact 0
		.amdhsa_exception_int_div_zero 0
	.end_amdhsa_kernel
	.section	.text._ZN7rocprim17ROCPRIM_400000_NS6detail17trampoline_kernelINS0_14default_configENS1_27scan_by_key_config_selectorIssEEZZNS1_16scan_by_key_implILNS1_25lookback_scan_determinismE0ELb1ES3_N6thrust23THRUST_200600_302600_NS6detail15normal_iteratorINS9_10device_ptrIsEEEESE_SE_sNS9_4plusIsEE19head_flag_predicatesEE10hipError_tPvRmT2_T3_T4_T5_mT6_T7_P12ihipStream_tbENKUlT_T0_E_clISt17integral_constantIbLb0EESY_EEDaST_SU_EUlST_E_NS1_11comp_targetILNS1_3genE4ELNS1_11target_archE910ELNS1_3gpuE8ELNS1_3repE0EEENS1_30default_config_static_selectorELNS0_4arch9wavefront6targetE0EEEvT1_,"axG",@progbits,_ZN7rocprim17ROCPRIM_400000_NS6detail17trampoline_kernelINS0_14default_configENS1_27scan_by_key_config_selectorIssEEZZNS1_16scan_by_key_implILNS1_25lookback_scan_determinismE0ELb1ES3_N6thrust23THRUST_200600_302600_NS6detail15normal_iteratorINS9_10device_ptrIsEEEESE_SE_sNS9_4plusIsEE19head_flag_predicatesEE10hipError_tPvRmT2_T3_T4_T5_mT6_T7_P12ihipStream_tbENKUlT_T0_E_clISt17integral_constantIbLb0EESY_EEDaST_SU_EUlST_E_NS1_11comp_targetILNS1_3genE4ELNS1_11target_archE910ELNS1_3gpuE8ELNS1_3repE0EEENS1_30default_config_static_selectorELNS0_4arch9wavefront6targetE0EEEvT1_,comdat
.Lfunc_end860:
	.size	_ZN7rocprim17ROCPRIM_400000_NS6detail17trampoline_kernelINS0_14default_configENS1_27scan_by_key_config_selectorIssEEZZNS1_16scan_by_key_implILNS1_25lookback_scan_determinismE0ELb1ES3_N6thrust23THRUST_200600_302600_NS6detail15normal_iteratorINS9_10device_ptrIsEEEESE_SE_sNS9_4plusIsEE19head_flag_predicatesEE10hipError_tPvRmT2_T3_T4_T5_mT6_T7_P12ihipStream_tbENKUlT_T0_E_clISt17integral_constantIbLb0EESY_EEDaST_SU_EUlST_E_NS1_11comp_targetILNS1_3genE4ELNS1_11target_archE910ELNS1_3gpuE8ELNS1_3repE0EEENS1_30default_config_static_selectorELNS0_4arch9wavefront6targetE0EEEvT1_, .Lfunc_end860-_ZN7rocprim17ROCPRIM_400000_NS6detail17trampoline_kernelINS0_14default_configENS1_27scan_by_key_config_selectorIssEEZZNS1_16scan_by_key_implILNS1_25lookback_scan_determinismE0ELb1ES3_N6thrust23THRUST_200600_302600_NS6detail15normal_iteratorINS9_10device_ptrIsEEEESE_SE_sNS9_4plusIsEE19head_flag_predicatesEE10hipError_tPvRmT2_T3_T4_T5_mT6_T7_P12ihipStream_tbENKUlT_T0_E_clISt17integral_constantIbLb0EESY_EEDaST_SU_EUlST_E_NS1_11comp_targetILNS1_3genE4ELNS1_11target_archE910ELNS1_3gpuE8ELNS1_3repE0EEENS1_30default_config_static_selectorELNS0_4arch9wavefront6targetE0EEEvT1_
                                        ; -- End function
	.set _ZN7rocprim17ROCPRIM_400000_NS6detail17trampoline_kernelINS0_14default_configENS1_27scan_by_key_config_selectorIssEEZZNS1_16scan_by_key_implILNS1_25lookback_scan_determinismE0ELb1ES3_N6thrust23THRUST_200600_302600_NS6detail15normal_iteratorINS9_10device_ptrIsEEEESE_SE_sNS9_4plusIsEE19head_flag_predicatesEE10hipError_tPvRmT2_T3_T4_T5_mT6_T7_P12ihipStream_tbENKUlT_T0_E_clISt17integral_constantIbLb0EESY_EEDaST_SU_EUlST_E_NS1_11comp_targetILNS1_3genE4ELNS1_11target_archE910ELNS1_3gpuE8ELNS1_3repE0EEENS1_30default_config_static_selectorELNS0_4arch9wavefront6targetE0EEEvT1_.num_vgpr, 0
	.set _ZN7rocprim17ROCPRIM_400000_NS6detail17trampoline_kernelINS0_14default_configENS1_27scan_by_key_config_selectorIssEEZZNS1_16scan_by_key_implILNS1_25lookback_scan_determinismE0ELb1ES3_N6thrust23THRUST_200600_302600_NS6detail15normal_iteratorINS9_10device_ptrIsEEEESE_SE_sNS9_4plusIsEE19head_flag_predicatesEE10hipError_tPvRmT2_T3_T4_T5_mT6_T7_P12ihipStream_tbENKUlT_T0_E_clISt17integral_constantIbLb0EESY_EEDaST_SU_EUlST_E_NS1_11comp_targetILNS1_3genE4ELNS1_11target_archE910ELNS1_3gpuE8ELNS1_3repE0EEENS1_30default_config_static_selectorELNS0_4arch9wavefront6targetE0EEEvT1_.num_agpr, 0
	.set _ZN7rocprim17ROCPRIM_400000_NS6detail17trampoline_kernelINS0_14default_configENS1_27scan_by_key_config_selectorIssEEZZNS1_16scan_by_key_implILNS1_25lookback_scan_determinismE0ELb1ES3_N6thrust23THRUST_200600_302600_NS6detail15normal_iteratorINS9_10device_ptrIsEEEESE_SE_sNS9_4plusIsEE19head_flag_predicatesEE10hipError_tPvRmT2_T3_T4_T5_mT6_T7_P12ihipStream_tbENKUlT_T0_E_clISt17integral_constantIbLb0EESY_EEDaST_SU_EUlST_E_NS1_11comp_targetILNS1_3genE4ELNS1_11target_archE910ELNS1_3gpuE8ELNS1_3repE0EEENS1_30default_config_static_selectorELNS0_4arch9wavefront6targetE0EEEvT1_.numbered_sgpr, 0
	.set _ZN7rocprim17ROCPRIM_400000_NS6detail17trampoline_kernelINS0_14default_configENS1_27scan_by_key_config_selectorIssEEZZNS1_16scan_by_key_implILNS1_25lookback_scan_determinismE0ELb1ES3_N6thrust23THRUST_200600_302600_NS6detail15normal_iteratorINS9_10device_ptrIsEEEESE_SE_sNS9_4plusIsEE19head_flag_predicatesEE10hipError_tPvRmT2_T3_T4_T5_mT6_T7_P12ihipStream_tbENKUlT_T0_E_clISt17integral_constantIbLb0EESY_EEDaST_SU_EUlST_E_NS1_11comp_targetILNS1_3genE4ELNS1_11target_archE910ELNS1_3gpuE8ELNS1_3repE0EEENS1_30default_config_static_selectorELNS0_4arch9wavefront6targetE0EEEvT1_.num_named_barrier, 0
	.set _ZN7rocprim17ROCPRIM_400000_NS6detail17trampoline_kernelINS0_14default_configENS1_27scan_by_key_config_selectorIssEEZZNS1_16scan_by_key_implILNS1_25lookback_scan_determinismE0ELb1ES3_N6thrust23THRUST_200600_302600_NS6detail15normal_iteratorINS9_10device_ptrIsEEEESE_SE_sNS9_4plusIsEE19head_flag_predicatesEE10hipError_tPvRmT2_T3_T4_T5_mT6_T7_P12ihipStream_tbENKUlT_T0_E_clISt17integral_constantIbLb0EESY_EEDaST_SU_EUlST_E_NS1_11comp_targetILNS1_3genE4ELNS1_11target_archE910ELNS1_3gpuE8ELNS1_3repE0EEENS1_30default_config_static_selectorELNS0_4arch9wavefront6targetE0EEEvT1_.private_seg_size, 0
	.set _ZN7rocprim17ROCPRIM_400000_NS6detail17trampoline_kernelINS0_14default_configENS1_27scan_by_key_config_selectorIssEEZZNS1_16scan_by_key_implILNS1_25lookback_scan_determinismE0ELb1ES3_N6thrust23THRUST_200600_302600_NS6detail15normal_iteratorINS9_10device_ptrIsEEEESE_SE_sNS9_4plusIsEE19head_flag_predicatesEE10hipError_tPvRmT2_T3_T4_T5_mT6_T7_P12ihipStream_tbENKUlT_T0_E_clISt17integral_constantIbLb0EESY_EEDaST_SU_EUlST_E_NS1_11comp_targetILNS1_3genE4ELNS1_11target_archE910ELNS1_3gpuE8ELNS1_3repE0EEENS1_30default_config_static_selectorELNS0_4arch9wavefront6targetE0EEEvT1_.uses_vcc, 0
	.set _ZN7rocprim17ROCPRIM_400000_NS6detail17trampoline_kernelINS0_14default_configENS1_27scan_by_key_config_selectorIssEEZZNS1_16scan_by_key_implILNS1_25lookback_scan_determinismE0ELb1ES3_N6thrust23THRUST_200600_302600_NS6detail15normal_iteratorINS9_10device_ptrIsEEEESE_SE_sNS9_4plusIsEE19head_flag_predicatesEE10hipError_tPvRmT2_T3_T4_T5_mT6_T7_P12ihipStream_tbENKUlT_T0_E_clISt17integral_constantIbLb0EESY_EEDaST_SU_EUlST_E_NS1_11comp_targetILNS1_3genE4ELNS1_11target_archE910ELNS1_3gpuE8ELNS1_3repE0EEENS1_30default_config_static_selectorELNS0_4arch9wavefront6targetE0EEEvT1_.uses_flat_scratch, 0
	.set _ZN7rocprim17ROCPRIM_400000_NS6detail17trampoline_kernelINS0_14default_configENS1_27scan_by_key_config_selectorIssEEZZNS1_16scan_by_key_implILNS1_25lookback_scan_determinismE0ELb1ES3_N6thrust23THRUST_200600_302600_NS6detail15normal_iteratorINS9_10device_ptrIsEEEESE_SE_sNS9_4plusIsEE19head_flag_predicatesEE10hipError_tPvRmT2_T3_T4_T5_mT6_T7_P12ihipStream_tbENKUlT_T0_E_clISt17integral_constantIbLb0EESY_EEDaST_SU_EUlST_E_NS1_11comp_targetILNS1_3genE4ELNS1_11target_archE910ELNS1_3gpuE8ELNS1_3repE0EEENS1_30default_config_static_selectorELNS0_4arch9wavefront6targetE0EEEvT1_.has_dyn_sized_stack, 0
	.set _ZN7rocprim17ROCPRIM_400000_NS6detail17trampoline_kernelINS0_14default_configENS1_27scan_by_key_config_selectorIssEEZZNS1_16scan_by_key_implILNS1_25lookback_scan_determinismE0ELb1ES3_N6thrust23THRUST_200600_302600_NS6detail15normal_iteratorINS9_10device_ptrIsEEEESE_SE_sNS9_4plusIsEE19head_flag_predicatesEE10hipError_tPvRmT2_T3_T4_T5_mT6_T7_P12ihipStream_tbENKUlT_T0_E_clISt17integral_constantIbLb0EESY_EEDaST_SU_EUlST_E_NS1_11comp_targetILNS1_3genE4ELNS1_11target_archE910ELNS1_3gpuE8ELNS1_3repE0EEENS1_30default_config_static_selectorELNS0_4arch9wavefront6targetE0EEEvT1_.has_recursion, 0
	.set _ZN7rocprim17ROCPRIM_400000_NS6detail17trampoline_kernelINS0_14default_configENS1_27scan_by_key_config_selectorIssEEZZNS1_16scan_by_key_implILNS1_25lookback_scan_determinismE0ELb1ES3_N6thrust23THRUST_200600_302600_NS6detail15normal_iteratorINS9_10device_ptrIsEEEESE_SE_sNS9_4plusIsEE19head_flag_predicatesEE10hipError_tPvRmT2_T3_T4_T5_mT6_T7_P12ihipStream_tbENKUlT_T0_E_clISt17integral_constantIbLb0EESY_EEDaST_SU_EUlST_E_NS1_11comp_targetILNS1_3genE4ELNS1_11target_archE910ELNS1_3gpuE8ELNS1_3repE0EEENS1_30default_config_static_selectorELNS0_4arch9wavefront6targetE0EEEvT1_.has_indirect_call, 0
	.section	.AMDGPU.csdata,"",@progbits
; Kernel info:
; codeLenInByte = 0
; TotalNumSgprs: 0
; NumVgprs: 0
; ScratchSize: 0
; MemoryBound: 0
; FloatMode: 240
; IeeeMode: 1
; LDSByteSize: 0 bytes/workgroup (compile time only)
; SGPRBlocks: 0
; VGPRBlocks: 0
; NumSGPRsForWavesPerEU: 1
; NumVGPRsForWavesPerEU: 1
; NamedBarCnt: 0
; Occupancy: 16
; WaveLimiterHint : 0
; COMPUTE_PGM_RSRC2:SCRATCH_EN: 0
; COMPUTE_PGM_RSRC2:USER_SGPR: 2
; COMPUTE_PGM_RSRC2:TRAP_HANDLER: 0
; COMPUTE_PGM_RSRC2:TGID_X_EN: 1
; COMPUTE_PGM_RSRC2:TGID_Y_EN: 0
; COMPUTE_PGM_RSRC2:TGID_Z_EN: 0
; COMPUTE_PGM_RSRC2:TIDIG_COMP_CNT: 0
	.section	.text._ZN7rocprim17ROCPRIM_400000_NS6detail17trampoline_kernelINS0_14default_configENS1_27scan_by_key_config_selectorIssEEZZNS1_16scan_by_key_implILNS1_25lookback_scan_determinismE0ELb1ES3_N6thrust23THRUST_200600_302600_NS6detail15normal_iteratorINS9_10device_ptrIsEEEESE_SE_sNS9_4plusIsEE19head_flag_predicatesEE10hipError_tPvRmT2_T3_T4_T5_mT6_T7_P12ihipStream_tbENKUlT_T0_E_clISt17integral_constantIbLb0EESY_EEDaST_SU_EUlST_E_NS1_11comp_targetILNS1_3genE3ELNS1_11target_archE908ELNS1_3gpuE7ELNS1_3repE0EEENS1_30default_config_static_selectorELNS0_4arch9wavefront6targetE0EEEvT1_,"axG",@progbits,_ZN7rocprim17ROCPRIM_400000_NS6detail17trampoline_kernelINS0_14default_configENS1_27scan_by_key_config_selectorIssEEZZNS1_16scan_by_key_implILNS1_25lookback_scan_determinismE0ELb1ES3_N6thrust23THRUST_200600_302600_NS6detail15normal_iteratorINS9_10device_ptrIsEEEESE_SE_sNS9_4plusIsEE19head_flag_predicatesEE10hipError_tPvRmT2_T3_T4_T5_mT6_T7_P12ihipStream_tbENKUlT_T0_E_clISt17integral_constantIbLb0EESY_EEDaST_SU_EUlST_E_NS1_11comp_targetILNS1_3genE3ELNS1_11target_archE908ELNS1_3gpuE7ELNS1_3repE0EEENS1_30default_config_static_selectorELNS0_4arch9wavefront6targetE0EEEvT1_,comdat
	.protected	_ZN7rocprim17ROCPRIM_400000_NS6detail17trampoline_kernelINS0_14default_configENS1_27scan_by_key_config_selectorIssEEZZNS1_16scan_by_key_implILNS1_25lookback_scan_determinismE0ELb1ES3_N6thrust23THRUST_200600_302600_NS6detail15normal_iteratorINS9_10device_ptrIsEEEESE_SE_sNS9_4plusIsEE19head_flag_predicatesEE10hipError_tPvRmT2_T3_T4_T5_mT6_T7_P12ihipStream_tbENKUlT_T0_E_clISt17integral_constantIbLb0EESY_EEDaST_SU_EUlST_E_NS1_11comp_targetILNS1_3genE3ELNS1_11target_archE908ELNS1_3gpuE7ELNS1_3repE0EEENS1_30default_config_static_selectorELNS0_4arch9wavefront6targetE0EEEvT1_ ; -- Begin function _ZN7rocprim17ROCPRIM_400000_NS6detail17trampoline_kernelINS0_14default_configENS1_27scan_by_key_config_selectorIssEEZZNS1_16scan_by_key_implILNS1_25lookback_scan_determinismE0ELb1ES3_N6thrust23THRUST_200600_302600_NS6detail15normal_iteratorINS9_10device_ptrIsEEEESE_SE_sNS9_4plusIsEE19head_flag_predicatesEE10hipError_tPvRmT2_T3_T4_T5_mT6_T7_P12ihipStream_tbENKUlT_T0_E_clISt17integral_constantIbLb0EESY_EEDaST_SU_EUlST_E_NS1_11comp_targetILNS1_3genE3ELNS1_11target_archE908ELNS1_3gpuE7ELNS1_3repE0EEENS1_30default_config_static_selectorELNS0_4arch9wavefront6targetE0EEEvT1_
	.globl	_ZN7rocprim17ROCPRIM_400000_NS6detail17trampoline_kernelINS0_14default_configENS1_27scan_by_key_config_selectorIssEEZZNS1_16scan_by_key_implILNS1_25lookback_scan_determinismE0ELb1ES3_N6thrust23THRUST_200600_302600_NS6detail15normal_iteratorINS9_10device_ptrIsEEEESE_SE_sNS9_4plusIsEE19head_flag_predicatesEE10hipError_tPvRmT2_T3_T4_T5_mT6_T7_P12ihipStream_tbENKUlT_T0_E_clISt17integral_constantIbLb0EESY_EEDaST_SU_EUlST_E_NS1_11comp_targetILNS1_3genE3ELNS1_11target_archE908ELNS1_3gpuE7ELNS1_3repE0EEENS1_30default_config_static_selectorELNS0_4arch9wavefront6targetE0EEEvT1_
	.p2align	8
	.type	_ZN7rocprim17ROCPRIM_400000_NS6detail17trampoline_kernelINS0_14default_configENS1_27scan_by_key_config_selectorIssEEZZNS1_16scan_by_key_implILNS1_25lookback_scan_determinismE0ELb1ES3_N6thrust23THRUST_200600_302600_NS6detail15normal_iteratorINS9_10device_ptrIsEEEESE_SE_sNS9_4plusIsEE19head_flag_predicatesEE10hipError_tPvRmT2_T3_T4_T5_mT6_T7_P12ihipStream_tbENKUlT_T0_E_clISt17integral_constantIbLb0EESY_EEDaST_SU_EUlST_E_NS1_11comp_targetILNS1_3genE3ELNS1_11target_archE908ELNS1_3gpuE7ELNS1_3repE0EEENS1_30default_config_static_selectorELNS0_4arch9wavefront6targetE0EEEvT1_,@function
_ZN7rocprim17ROCPRIM_400000_NS6detail17trampoline_kernelINS0_14default_configENS1_27scan_by_key_config_selectorIssEEZZNS1_16scan_by_key_implILNS1_25lookback_scan_determinismE0ELb1ES3_N6thrust23THRUST_200600_302600_NS6detail15normal_iteratorINS9_10device_ptrIsEEEESE_SE_sNS9_4plusIsEE19head_flag_predicatesEE10hipError_tPvRmT2_T3_T4_T5_mT6_T7_P12ihipStream_tbENKUlT_T0_E_clISt17integral_constantIbLb0EESY_EEDaST_SU_EUlST_E_NS1_11comp_targetILNS1_3genE3ELNS1_11target_archE908ELNS1_3gpuE7ELNS1_3repE0EEENS1_30default_config_static_selectorELNS0_4arch9wavefront6targetE0EEEvT1_: ; @_ZN7rocprim17ROCPRIM_400000_NS6detail17trampoline_kernelINS0_14default_configENS1_27scan_by_key_config_selectorIssEEZZNS1_16scan_by_key_implILNS1_25lookback_scan_determinismE0ELb1ES3_N6thrust23THRUST_200600_302600_NS6detail15normal_iteratorINS9_10device_ptrIsEEEESE_SE_sNS9_4plusIsEE19head_flag_predicatesEE10hipError_tPvRmT2_T3_T4_T5_mT6_T7_P12ihipStream_tbENKUlT_T0_E_clISt17integral_constantIbLb0EESY_EEDaST_SU_EUlST_E_NS1_11comp_targetILNS1_3genE3ELNS1_11target_archE908ELNS1_3gpuE7ELNS1_3repE0EEENS1_30default_config_static_selectorELNS0_4arch9wavefront6targetE0EEEvT1_
; %bb.0:
	.section	.rodata,"a",@progbits
	.p2align	6, 0x0
	.amdhsa_kernel _ZN7rocprim17ROCPRIM_400000_NS6detail17trampoline_kernelINS0_14default_configENS1_27scan_by_key_config_selectorIssEEZZNS1_16scan_by_key_implILNS1_25lookback_scan_determinismE0ELb1ES3_N6thrust23THRUST_200600_302600_NS6detail15normal_iteratorINS9_10device_ptrIsEEEESE_SE_sNS9_4plusIsEE19head_flag_predicatesEE10hipError_tPvRmT2_T3_T4_T5_mT6_T7_P12ihipStream_tbENKUlT_T0_E_clISt17integral_constantIbLb0EESY_EEDaST_SU_EUlST_E_NS1_11comp_targetILNS1_3genE3ELNS1_11target_archE908ELNS1_3gpuE7ELNS1_3repE0EEENS1_30default_config_static_selectorELNS0_4arch9wavefront6targetE0EEEvT1_
		.amdhsa_group_segment_fixed_size 0
		.amdhsa_private_segment_fixed_size 0
		.amdhsa_kernarg_size 112
		.amdhsa_user_sgpr_count 2
		.amdhsa_user_sgpr_dispatch_ptr 0
		.amdhsa_user_sgpr_queue_ptr 0
		.amdhsa_user_sgpr_kernarg_segment_ptr 1
		.amdhsa_user_sgpr_dispatch_id 0
		.amdhsa_user_sgpr_kernarg_preload_length 0
		.amdhsa_user_sgpr_kernarg_preload_offset 0
		.amdhsa_user_sgpr_private_segment_size 0
		.amdhsa_wavefront_size32 1
		.amdhsa_uses_dynamic_stack 0
		.amdhsa_enable_private_segment 0
		.amdhsa_system_sgpr_workgroup_id_x 1
		.amdhsa_system_sgpr_workgroup_id_y 0
		.amdhsa_system_sgpr_workgroup_id_z 0
		.amdhsa_system_sgpr_workgroup_info 0
		.amdhsa_system_vgpr_workitem_id 0
		.amdhsa_next_free_vgpr 1
		.amdhsa_next_free_sgpr 1
		.amdhsa_named_barrier_count 0
		.amdhsa_reserve_vcc 0
		.amdhsa_float_round_mode_32 0
		.amdhsa_float_round_mode_16_64 0
		.amdhsa_float_denorm_mode_32 3
		.amdhsa_float_denorm_mode_16_64 3
		.amdhsa_fp16_overflow 0
		.amdhsa_memory_ordered 1
		.amdhsa_forward_progress 1
		.amdhsa_inst_pref_size 0
		.amdhsa_round_robin_scheduling 0
		.amdhsa_exception_fp_ieee_invalid_op 0
		.amdhsa_exception_fp_denorm_src 0
		.amdhsa_exception_fp_ieee_div_zero 0
		.amdhsa_exception_fp_ieee_overflow 0
		.amdhsa_exception_fp_ieee_underflow 0
		.amdhsa_exception_fp_ieee_inexact 0
		.amdhsa_exception_int_div_zero 0
	.end_amdhsa_kernel
	.section	.text._ZN7rocprim17ROCPRIM_400000_NS6detail17trampoline_kernelINS0_14default_configENS1_27scan_by_key_config_selectorIssEEZZNS1_16scan_by_key_implILNS1_25lookback_scan_determinismE0ELb1ES3_N6thrust23THRUST_200600_302600_NS6detail15normal_iteratorINS9_10device_ptrIsEEEESE_SE_sNS9_4plusIsEE19head_flag_predicatesEE10hipError_tPvRmT2_T3_T4_T5_mT6_T7_P12ihipStream_tbENKUlT_T0_E_clISt17integral_constantIbLb0EESY_EEDaST_SU_EUlST_E_NS1_11comp_targetILNS1_3genE3ELNS1_11target_archE908ELNS1_3gpuE7ELNS1_3repE0EEENS1_30default_config_static_selectorELNS0_4arch9wavefront6targetE0EEEvT1_,"axG",@progbits,_ZN7rocprim17ROCPRIM_400000_NS6detail17trampoline_kernelINS0_14default_configENS1_27scan_by_key_config_selectorIssEEZZNS1_16scan_by_key_implILNS1_25lookback_scan_determinismE0ELb1ES3_N6thrust23THRUST_200600_302600_NS6detail15normal_iteratorINS9_10device_ptrIsEEEESE_SE_sNS9_4plusIsEE19head_flag_predicatesEE10hipError_tPvRmT2_T3_T4_T5_mT6_T7_P12ihipStream_tbENKUlT_T0_E_clISt17integral_constantIbLb0EESY_EEDaST_SU_EUlST_E_NS1_11comp_targetILNS1_3genE3ELNS1_11target_archE908ELNS1_3gpuE7ELNS1_3repE0EEENS1_30default_config_static_selectorELNS0_4arch9wavefront6targetE0EEEvT1_,comdat
.Lfunc_end861:
	.size	_ZN7rocprim17ROCPRIM_400000_NS6detail17trampoline_kernelINS0_14default_configENS1_27scan_by_key_config_selectorIssEEZZNS1_16scan_by_key_implILNS1_25lookback_scan_determinismE0ELb1ES3_N6thrust23THRUST_200600_302600_NS6detail15normal_iteratorINS9_10device_ptrIsEEEESE_SE_sNS9_4plusIsEE19head_flag_predicatesEE10hipError_tPvRmT2_T3_T4_T5_mT6_T7_P12ihipStream_tbENKUlT_T0_E_clISt17integral_constantIbLb0EESY_EEDaST_SU_EUlST_E_NS1_11comp_targetILNS1_3genE3ELNS1_11target_archE908ELNS1_3gpuE7ELNS1_3repE0EEENS1_30default_config_static_selectorELNS0_4arch9wavefront6targetE0EEEvT1_, .Lfunc_end861-_ZN7rocprim17ROCPRIM_400000_NS6detail17trampoline_kernelINS0_14default_configENS1_27scan_by_key_config_selectorIssEEZZNS1_16scan_by_key_implILNS1_25lookback_scan_determinismE0ELb1ES3_N6thrust23THRUST_200600_302600_NS6detail15normal_iteratorINS9_10device_ptrIsEEEESE_SE_sNS9_4plusIsEE19head_flag_predicatesEE10hipError_tPvRmT2_T3_T4_T5_mT6_T7_P12ihipStream_tbENKUlT_T0_E_clISt17integral_constantIbLb0EESY_EEDaST_SU_EUlST_E_NS1_11comp_targetILNS1_3genE3ELNS1_11target_archE908ELNS1_3gpuE7ELNS1_3repE0EEENS1_30default_config_static_selectorELNS0_4arch9wavefront6targetE0EEEvT1_
                                        ; -- End function
	.set _ZN7rocprim17ROCPRIM_400000_NS6detail17trampoline_kernelINS0_14default_configENS1_27scan_by_key_config_selectorIssEEZZNS1_16scan_by_key_implILNS1_25lookback_scan_determinismE0ELb1ES3_N6thrust23THRUST_200600_302600_NS6detail15normal_iteratorINS9_10device_ptrIsEEEESE_SE_sNS9_4plusIsEE19head_flag_predicatesEE10hipError_tPvRmT2_T3_T4_T5_mT6_T7_P12ihipStream_tbENKUlT_T0_E_clISt17integral_constantIbLb0EESY_EEDaST_SU_EUlST_E_NS1_11comp_targetILNS1_3genE3ELNS1_11target_archE908ELNS1_3gpuE7ELNS1_3repE0EEENS1_30default_config_static_selectorELNS0_4arch9wavefront6targetE0EEEvT1_.num_vgpr, 0
	.set _ZN7rocprim17ROCPRIM_400000_NS6detail17trampoline_kernelINS0_14default_configENS1_27scan_by_key_config_selectorIssEEZZNS1_16scan_by_key_implILNS1_25lookback_scan_determinismE0ELb1ES3_N6thrust23THRUST_200600_302600_NS6detail15normal_iteratorINS9_10device_ptrIsEEEESE_SE_sNS9_4plusIsEE19head_flag_predicatesEE10hipError_tPvRmT2_T3_T4_T5_mT6_T7_P12ihipStream_tbENKUlT_T0_E_clISt17integral_constantIbLb0EESY_EEDaST_SU_EUlST_E_NS1_11comp_targetILNS1_3genE3ELNS1_11target_archE908ELNS1_3gpuE7ELNS1_3repE0EEENS1_30default_config_static_selectorELNS0_4arch9wavefront6targetE0EEEvT1_.num_agpr, 0
	.set _ZN7rocprim17ROCPRIM_400000_NS6detail17trampoline_kernelINS0_14default_configENS1_27scan_by_key_config_selectorIssEEZZNS1_16scan_by_key_implILNS1_25lookback_scan_determinismE0ELb1ES3_N6thrust23THRUST_200600_302600_NS6detail15normal_iteratorINS9_10device_ptrIsEEEESE_SE_sNS9_4plusIsEE19head_flag_predicatesEE10hipError_tPvRmT2_T3_T4_T5_mT6_T7_P12ihipStream_tbENKUlT_T0_E_clISt17integral_constantIbLb0EESY_EEDaST_SU_EUlST_E_NS1_11comp_targetILNS1_3genE3ELNS1_11target_archE908ELNS1_3gpuE7ELNS1_3repE0EEENS1_30default_config_static_selectorELNS0_4arch9wavefront6targetE0EEEvT1_.numbered_sgpr, 0
	.set _ZN7rocprim17ROCPRIM_400000_NS6detail17trampoline_kernelINS0_14default_configENS1_27scan_by_key_config_selectorIssEEZZNS1_16scan_by_key_implILNS1_25lookback_scan_determinismE0ELb1ES3_N6thrust23THRUST_200600_302600_NS6detail15normal_iteratorINS9_10device_ptrIsEEEESE_SE_sNS9_4plusIsEE19head_flag_predicatesEE10hipError_tPvRmT2_T3_T4_T5_mT6_T7_P12ihipStream_tbENKUlT_T0_E_clISt17integral_constantIbLb0EESY_EEDaST_SU_EUlST_E_NS1_11comp_targetILNS1_3genE3ELNS1_11target_archE908ELNS1_3gpuE7ELNS1_3repE0EEENS1_30default_config_static_selectorELNS0_4arch9wavefront6targetE0EEEvT1_.num_named_barrier, 0
	.set _ZN7rocprim17ROCPRIM_400000_NS6detail17trampoline_kernelINS0_14default_configENS1_27scan_by_key_config_selectorIssEEZZNS1_16scan_by_key_implILNS1_25lookback_scan_determinismE0ELb1ES3_N6thrust23THRUST_200600_302600_NS6detail15normal_iteratorINS9_10device_ptrIsEEEESE_SE_sNS9_4plusIsEE19head_flag_predicatesEE10hipError_tPvRmT2_T3_T4_T5_mT6_T7_P12ihipStream_tbENKUlT_T0_E_clISt17integral_constantIbLb0EESY_EEDaST_SU_EUlST_E_NS1_11comp_targetILNS1_3genE3ELNS1_11target_archE908ELNS1_3gpuE7ELNS1_3repE0EEENS1_30default_config_static_selectorELNS0_4arch9wavefront6targetE0EEEvT1_.private_seg_size, 0
	.set _ZN7rocprim17ROCPRIM_400000_NS6detail17trampoline_kernelINS0_14default_configENS1_27scan_by_key_config_selectorIssEEZZNS1_16scan_by_key_implILNS1_25lookback_scan_determinismE0ELb1ES3_N6thrust23THRUST_200600_302600_NS6detail15normal_iteratorINS9_10device_ptrIsEEEESE_SE_sNS9_4plusIsEE19head_flag_predicatesEE10hipError_tPvRmT2_T3_T4_T5_mT6_T7_P12ihipStream_tbENKUlT_T0_E_clISt17integral_constantIbLb0EESY_EEDaST_SU_EUlST_E_NS1_11comp_targetILNS1_3genE3ELNS1_11target_archE908ELNS1_3gpuE7ELNS1_3repE0EEENS1_30default_config_static_selectorELNS0_4arch9wavefront6targetE0EEEvT1_.uses_vcc, 0
	.set _ZN7rocprim17ROCPRIM_400000_NS6detail17trampoline_kernelINS0_14default_configENS1_27scan_by_key_config_selectorIssEEZZNS1_16scan_by_key_implILNS1_25lookback_scan_determinismE0ELb1ES3_N6thrust23THRUST_200600_302600_NS6detail15normal_iteratorINS9_10device_ptrIsEEEESE_SE_sNS9_4plusIsEE19head_flag_predicatesEE10hipError_tPvRmT2_T3_T4_T5_mT6_T7_P12ihipStream_tbENKUlT_T0_E_clISt17integral_constantIbLb0EESY_EEDaST_SU_EUlST_E_NS1_11comp_targetILNS1_3genE3ELNS1_11target_archE908ELNS1_3gpuE7ELNS1_3repE0EEENS1_30default_config_static_selectorELNS0_4arch9wavefront6targetE0EEEvT1_.uses_flat_scratch, 0
	.set _ZN7rocprim17ROCPRIM_400000_NS6detail17trampoline_kernelINS0_14default_configENS1_27scan_by_key_config_selectorIssEEZZNS1_16scan_by_key_implILNS1_25lookback_scan_determinismE0ELb1ES3_N6thrust23THRUST_200600_302600_NS6detail15normal_iteratorINS9_10device_ptrIsEEEESE_SE_sNS9_4plusIsEE19head_flag_predicatesEE10hipError_tPvRmT2_T3_T4_T5_mT6_T7_P12ihipStream_tbENKUlT_T0_E_clISt17integral_constantIbLb0EESY_EEDaST_SU_EUlST_E_NS1_11comp_targetILNS1_3genE3ELNS1_11target_archE908ELNS1_3gpuE7ELNS1_3repE0EEENS1_30default_config_static_selectorELNS0_4arch9wavefront6targetE0EEEvT1_.has_dyn_sized_stack, 0
	.set _ZN7rocprim17ROCPRIM_400000_NS6detail17trampoline_kernelINS0_14default_configENS1_27scan_by_key_config_selectorIssEEZZNS1_16scan_by_key_implILNS1_25lookback_scan_determinismE0ELb1ES3_N6thrust23THRUST_200600_302600_NS6detail15normal_iteratorINS9_10device_ptrIsEEEESE_SE_sNS9_4plusIsEE19head_flag_predicatesEE10hipError_tPvRmT2_T3_T4_T5_mT6_T7_P12ihipStream_tbENKUlT_T0_E_clISt17integral_constantIbLb0EESY_EEDaST_SU_EUlST_E_NS1_11comp_targetILNS1_3genE3ELNS1_11target_archE908ELNS1_3gpuE7ELNS1_3repE0EEENS1_30default_config_static_selectorELNS0_4arch9wavefront6targetE0EEEvT1_.has_recursion, 0
	.set _ZN7rocprim17ROCPRIM_400000_NS6detail17trampoline_kernelINS0_14default_configENS1_27scan_by_key_config_selectorIssEEZZNS1_16scan_by_key_implILNS1_25lookback_scan_determinismE0ELb1ES3_N6thrust23THRUST_200600_302600_NS6detail15normal_iteratorINS9_10device_ptrIsEEEESE_SE_sNS9_4plusIsEE19head_flag_predicatesEE10hipError_tPvRmT2_T3_T4_T5_mT6_T7_P12ihipStream_tbENKUlT_T0_E_clISt17integral_constantIbLb0EESY_EEDaST_SU_EUlST_E_NS1_11comp_targetILNS1_3genE3ELNS1_11target_archE908ELNS1_3gpuE7ELNS1_3repE0EEENS1_30default_config_static_selectorELNS0_4arch9wavefront6targetE0EEEvT1_.has_indirect_call, 0
	.section	.AMDGPU.csdata,"",@progbits
; Kernel info:
; codeLenInByte = 0
; TotalNumSgprs: 0
; NumVgprs: 0
; ScratchSize: 0
; MemoryBound: 0
; FloatMode: 240
; IeeeMode: 1
; LDSByteSize: 0 bytes/workgroup (compile time only)
; SGPRBlocks: 0
; VGPRBlocks: 0
; NumSGPRsForWavesPerEU: 1
; NumVGPRsForWavesPerEU: 1
; NamedBarCnt: 0
; Occupancy: 16
; WaveLimiterHint : 0
; COMPUTE_PGM_RSRC2:SCRATCH_EN: 0
; COMPUTE_PGM_RSRC2:USER_SGPR: 2
; COMPUTE_PGM_RSRC2:TRAP_HANDLER: 0
; COMPUTE_PGM_RSRC2:TGID_X_EN: 1
; COMPUTE_PGM_RSRC2:TGID_Y_EN: 0
; COMPUTE_PGM_RSRC2:TGID_Z_EN: 0
; COMPUTE_PGM_RSRC2:TIDIG_COMP_CNT: 0
	.section	.text._ZN7rocprim17ROCPRIM_400000_NS6detail17trampoline_kernelINS0_14default_configENS1_27scan_by_key_config_selectorIssEEZZNS1_16scan_by_key_implILNS1_25lookback_scan_determinismE0ELb1ES3_N6thrust23THRUST_200600_302600_NS6detail15normal_iteratorINS9_10device_ptrIsEEEESE_SE_sNS9_4plusIsEE19head_flag_predicatesEE10hipError_tPvRmT2_T3_T4_T5_mT6_T7_P12ihipStream_tbENKUlT_T0_E_clISt17integral_constantIbLb0EESY_EEDaST_SU_EUlST_E_NS1_11comp_targetILNS1_3genE2ELNS1_11target_archE906ELNS1_3gpuE6ELNS1_3repE0EEENS1_30default_config_static_selectorELNS0_4arch9wavefront6targetE0EEEvT1_,"axG",@progbits,_ZN7rocprim17ROCPRIM_400000_NS6detail17trampoline_kernelINS0_14default_configENS1_27scan_by_key_config_selectorIssEEZZNS1_16scan_by_key_implILNS1_25lookback_scan_determinismE0ELb1ES3_N6thrust23THRUST_200600_302600_NS6detail15normal_iteratorINS9_10device_ptrIsEEEESE_SE_sNS9_4plusIsEE19head_flag_predicatesEE10hipError_tPvRmT2_T3_T4_T5_mT6_T7_P12ihipStream_tbENKUlT_T0_E_clISt17integral_constantIbLb0EESY_EEDaST_SU_EUlST_E_NS1_11comp_targetILNS1_3genE2ELNS1_11target_archE906ELNS1_3gpuE6ELNS1_3repE0EEENS1_30default_config_static_selectorELNS0_4arch9wavefront6targetE0EEEvT1_,comdat
	.protected	_ZN7rocprim17ROCPRIM_400000_NS6detail17trampoline_kernelINS0_14default_configENS1_27scan_by_key_config_selectorIssEEZZNS1_16scan_by_key_implILNS1_25lookback_scan_determinismE0ELb1ES3_N6thrust23THRUST_200600_302600_NS6detail15normal_iteratorINS9_10device_ptrIsEEEESE_SE_sNS9_4plusIsEE19head_flag_predicatesEE10hipError_tPvRmT2_T3_T4_T5_mT6_T7_P12ihipStream_tbENKUlT_T0_E_clISt17integral_constantIbLb0EESY_EEDaST_SU_EUlST_E_NS1_11comp_targetILNS1_3genE2ELNS1_11target_archE906ELNS1_3gpuE6ELNS1_3repE0EEENS1_30default_config_static_selectorELNS0_4arch9wavefront6targetE0EEEvT1_ ; -- Begin function _ZN7rocprim17ROCPRIM_400000_NS6detail17trampoline_kernelINS0_14default_configENS1_27scan_by_key_config_selectorIssEEZZNS1_16scan_by_key_implILNS1_25lookback_scan_determinismE0ELb1ES3_N6thrust23THRUST_200600_302600_NS6detail15normal_iteratorINS9_10device_ptrIsEEEESE_SE_sNS9_4plusIsEE19head_flag_predicatesEE10hipError_tPvRmT2_T3_T4_T5_mT6_T7_P12ihipStream_tbENKUlT_T0_E_clISt17integral_constantIbLb0EESY_EEDaST_SU_EUlST_E_NS1_11comp_targetILNS1_3genE2ELNS1_11target_archE906ELNS1_3gpuE6ELNS1_3repE0EEENS1_30default_config_static_selectorELNS0_4arch9wavefront6targetE0EEEvT1_
	.globl	_ZN7rocprim17ROCPRIM_400000_NS6detail17trampoline_kernelINS0_14default_configENS1_27scan_by_key_config_selectorIssEEZZNS1_16scan_by_key_implILNS1_25lookback_scan_determinismE0ELb1ES3_N6thrust23THRUST_200600_302600_NS6detail15normal_iteratorINS9_10device_ptrIsEEEESE_SE_sNS9_4plusIsEE19head_flag_predicatesEE10hipError_tPvRmT2_T3_T4_T5_mT6_T7_P12ihipStream_tbENKUlT_T0_E_clISt17integral_constantIbLb0EESY_EEDaST_SU_EUlST_E_NS1_11comp_targetILNS1_3genE2ELNS1_11target_archE906ELNS1_3gpuE6ELNS1_3repE0EEENS1_30default_config_static_selectorELNS0_4arch9wavefront6targetE0EEEvT1_
	.p2align	8
	.type	_ZN7rocprim17ROCPRIM_400000_NS6detail17trampoline_kernelINS0_14default_configENS1_27scan_by_key_config_selectorIssEEZZNS1_16scan_by_key_implILNS1_25lookback_scan_determinismE0ELb1ES3_N6thrust23THRUST_200600_302600_NS6detail15normal_iteratorINS9_10device_ptrIsEEEESE_SE_sNS9_4plusIsEE19head_flag_predicatesEE10hipError_tPvRmT2_T3_T4_T5_mT6_T7_P12ihipStream_tbENKUlT_T0_E_clISt17integral_constantIbLb0EESY_EEDaST_SU_EUlST_E_NS1_11comp_targetILNS1_3genE2ELNS1_11target_archE906ELNS1_3gpuE6ELNS1_3repE0EEENS1_30default_config_static_selectorELNS0_4arch9wavefront6targetE0EEEvT1_,@function
_ZN7rocprim17ROCPRIM_400000_NS6detail17trampoline_kernelINS0_14default_configENS1_27scan_by_key_config_selectorIssEEZZNS1_16scan_by_key_implILNS1_25lookback_scan_determinismE0ELb1ES3_N6thrust23THRUST_200600_302600_NS6detail15normal_iteratorINS9_10device_ptrIsEEEESE_SE_sNS9_4plusIsEE19head_flag_predicatesEE10hipError_tPvRmT2_T3_T4_T5_mT6_T7_P12ihipStream_tbENKUlT_T0_E_clISt17integral_constantIbLb0EESY_EEDaST_SU_EUlST_E_NS1_11comp_targetILNS1_3genE2ELNS1_11target_archE906ELNS1_3gpuE6ELNS1_3repE0EEENS1_30default_config_static_selectorELNS0_4arch9wavefront6targetE0EEEvT1_: ; @_ZN7rocprim17ROCPRIM_400000_NS6detail17trampoline_kernelINS0_14default_configENS1_27scan_by_key_config_selectorIssEEZZNS1_16scan_by_key_implILNS1_25lookback_scan_determinismE0ELb1ES3_N6thrust23THRUST_200600_302600_NS6detail15normal_iteratorINS9_10device_ptrIsEEEESE_SE_sNS9_4plusIsEE19head_flag_predicatesEE10hipError_tPvRmT2_T3_T4_T5_mT6_T7_P12ihipStream_tbENKUlT_T0_E_clISt17integral_constantIbLb0EESY_EEDaST_SU_EUlST_E_NS1_11comp_targetILNS1_3genE2ELNS1_11target_archE906ELNS1_3gpuE6ELNS1_3repE0EEENS1_30default_config_static_selectorELNS0_4arch9wavefront6targetE0EEEvT1_
; %bb.0:
	.section	.rodata,"a",@progbits
	.p2align	6, 0x0
	.amdhsa_kernel _ZN7rocprim17ROCPRIM_400000_NS6detail17trampoline_kernelINS0_14default_configENS1_27scan_by_key_config_selectorIssEEZZNS1_16scan_by_key_implILNS1_25lookback_scan_determinismE0ELb1ES3_N6thrust23THRUST_200600_302600_NS6detail15normal_iteratorINS9_10device_ptrIsEEEESE_SE_sNS9_4plusIsEE19head_flag_predicatesEE10hipError_tPvRmT2_T3_T4_T5_mT6_T7_P12ihipStream_tbENKUlT_T0_E_clISt17integral_constantIbLb0EESY_EEDaST_SU_EUlST_E_NS1_11comp_targetILNS1_3genE2ELNS1_11target_archE906ELNS1_3gpuE6ELNS1_3repE0EEENS1_30default_config_static_selectorELNS0_4arch9wavefront6targetE0EEEvT1_
		.amdhsa_group_segment_fixed_size 0
		.amdhsa_private_segment_fixed_size 0
		.amdhsa_kernarg_size 112
		.amdhsa_user_sgpr_count 2
		.amdhsa_user_sgpr_dispatch_ptr 0
		.amdhsa_user_sgpr_queue_ptr 0
		.amdhsa_user_sgpr_kernarg_segment_ptr 1
		.amdhsa_user_sgpr_dispatch_id 0
		.amdhsa_user_sgpr_kernarg_preload_length 0
		.amdhsa_user_sgpr_kernarg_preload_offset 0
		.amdhsa_user_sgpr_private_segment_size 0
		.amdhsa_wavefront_size32 1
		.amdhsa_uses_dynamic_stack 0
		.amdhsa_enable_private_segment 0
		.amdhsa_system_sgpr_workgroup_id_x 1
		.amdhsa_system_sgpr_workgroup_id_y 0
		.amdhsa_system_sgpr_workgroup_id_z 0
		.amdhsa_system_sgpr_workgroup_info 0
		.amdhsa_system_vgpr_workitem_id 0
		.amdhsa_next_free_vgpr 1
		.amdhsa_next_free_sgpr 1
		.amdhsa_named_barrier_count 0
		.amdhsa_reserve_vcc 0
		.amdhsa_float_round_mode_32 0
		.amdhsa_float_round_mode_16_64 0
		.amdhsa_float_denorm_mode_32 3
		.amdhsa_float_denorm_mode_16_64 3
		.amdhsa_fp16_overflow 0
		.amdhsa_memory_ordered 1
		.amdhsa_forward_progress 1
		.amdhsa_inst_pref_size 0
		.amdhsa_round_robin_scheduling 0
		.amdhsa_exception_fp_ieee_invalid_op 0
		.amdhsa_exception_fp_denorm_src 0
		.amdhsa_exception_fp_ieee_div_zero 0
		.amdhsa_exception_fp_ieee_overflow 0
		.amdhsa_exception_fp_ieee_underflow 0
		.amdhsa_exception_fp_ieee_inexact 0
		.amdhsa_exception_int_div_zero 0
	.end_amdhsa_kernel
	.section	.text._ZN7rocprim17ROCPRIM_400000_NS6detail17trampoline_kernelINS0_14default_configENS1_27scan_by_key_config_selectorIssEEZZNS1_16scan_by_key_implILNS1_25lookback_scan_determinismE0ELb1ES3_N6thrust23THRUST_200600_302600_NS6detail15normal_iteratorINS9_10device_ptrIsEEEESE_SE_sNS9_4plusIsEE19head_flag_predicatesEE10hipError_tPvRmT2_T3_T4_T5_mT6_T7_P12ihipStream_tbENKUlT_T0_E_clISt17integral_constantIbLb0EESY_EEDaST_SU_EUlST_E_NS1_11comp_targetILNS1_3genE2ELNS1_11target_archE906ELNS1_3gpuE6ELNS1_3repE0EEENS1_30default_config_static_selectorELNS0_4arch9wavefront6targetE0EEEvT1_,"axG",@progbits,_ZN7rocprim17ROCPRIM_400000_NS6detail17trampoline_kernelINS0_14default_configENS1_27scan_by_key_config_selectorIssEEZZNS1_16scan_by_key_implILNS1_25lookback_scan_determinismE0ELb1ES3_N6thrust23THRUST_200600_302600_NS6detail15normal_iteratorINS9_10device_ptrIsEEEESE_SE_sNS9_4plusIsEE19head_flag_predicatesEE10hipError_tPvRmT2_T3_T4_T5_mT6_T7_P12ihipStream_tbENKUlT_T0_E_clISt17integral_constantIbLb0EESY_EEDaST_SU_EUlST_E_NS1_11comp_targetILNS1_3genE2ELNS1_11target_archE906ELNS1_3gpuE6ELNS1_3repE0EEENS1_30default_config_static_selectorELNS0_4arch9wavefront6targetE0EEEvT1_,comdat
.Lfunc_end862:
	.size	_ZN7rocprim17ROCPRIM_400000_NS6detail17trampoline_kernelINS0_14default_configENS1_27scan_by_key_config_selectorIssEEZZNS1_16scan_by_key_implILNS1_25lookback_scan_determinismE0ELb1ES3_N6thrust23THRUST_200600_302600_NS6detail15normal_iteratorINS9_10device_ptrIsEEEESE_SE_sNS9_4plusIsEE19head_flag_predicatesEE10hipError_tPvRmT2_T3_T4_T5_mT6_T7_P12ihipStream_tbENKUlT_T0_E_clISt17integral_constantIbLb0EESY_EEDaST_SU_EUlST_E_NS1_11comp_targetILNS1_3genE2ELNS1_11target_archE906ELNS1_3gpuE6ELNS1_3repE0EEENS1_30default_config_static_selectorELNS0_4arch9wavefront6targetE0EEEvT1_, .Lfunc_end862-_ZN7rocprim17ROCPRIM_400000_NS6detail17trampoline_kernelINS0_14default_configENS1_27scan_by_key_config_selectorIssEEZZNS1_16scan_by_key_implILNS1_25lookback_scan_determinismE0ELb1ES3_N6thrust23THRUST_200600_302600_NS6detail15normal_iteratorINS9_10device_ptrIsEEEESE_SE_sNS9_4plusIsEE19head_flag_predicatesEE10hipError_tPvRmT2_T3_T4_T5_mT6_T7_P12ihipStream_tbENKUlT_T0_E_clISt17integral_constantIbLb0EESY_EEDaST_SU_EUlST_E_NS1_11comp_targetILNS1_3genE2ELNS1_11target_archE906ELNS1_3gpuE6ELNS1_3repE0EEENS1_30default_config_static_selectorELNS0_4arch9wavefront6targetE0EEEvT1_
                                        ; -- End function
	.set _ZN7rocprim17ROCPRIM_400000_NS6detail17trampoline_kernelINS0_14default_configENS1_27scan_by_key_config_selectorIssEEZZNS1_16scan_by_key_implILNS1_25lookback_scan_determinismE0ELb1ES3_N6thrust23THRUST_200600_302600_NS6detail15normal_iteratorINS9_10device_ptrIsEEEESE_SE_sNS9_4plusIsEE19head_flag_predicatesEE10hipError_tPvRmT2_T3_T4_T5_mT6_T7_P12ihipStream_tbENKUlT_T0_E_clISt17integral_constantIbLb0EESY_EEDaST_SU_EUlST_E_NS1_11comp_targetILNS1_3genE2ELNS1_11target_archE906ELNS1_3gpuE6ELNS1_3repE0EEENS1_30default_config_static_selectorELNS0_4arch9wavefront6targetE0EEEvT1_.num_vgpr, 0
	.set _ZN7rocprim17ROCPRIM_400000_NS6detail17trampoline_kernelINS0_14default_configENS1_27scan_by_key_config_selectorIssEEZZNS1_16scan_by_key_implILNS1_25lookback_scan_determinismE0ELb1ES3_N6thrust23THRUST_200600_302600_NS6detail15normal_iteratorINS9_10device_ptrIsEEEESE_SE_sNS9_4plusIsEE19head_flag_predicatesEE10hipError_tPvRmT2_T3_T4_T5_mT6_T7_P12ihipStream_tbENKUlT_T0_E_clISt17integral_constantIbLb0EESY_EEDaST_SU_EUlST_E_NS1_11comp_targetILNS1_3genE2ELNS1_11target_archE906ELNS1_3gpuE6ELNS1_3repE0EEENS1_30default_config_static_selectorELNS0_4arch9wavefront6targetE0EEEvT1_.num_agpr, 0
	.set _ZN7rocprim17ROCPRIM_400000_NS6detail17trampoline_kernelINS0_14default_configENS1_27scan_by_key_config_selectorIssEEZZNS1_16scan_by_key_implILNS1_25lookback_scan_determinismE0ELb1ES3_N6thrust23THRUST_200600_302600_NS6detail15normal_iteratorINS9_10device_ptrIsEEEESE_SE_sNS9_4plusIsEE19head_flag_predicatesEE10hipError_tPvRmT2_T3_T4_T5_mT6_T7_P12ihipStream_tbENKUlT_T0_E_clISt17integral_constantIbLb0EESY_EEDaST_SU_EUlST_E_NS1_11comp_targetILNS1_3genE2ELNS1_11target_archE906ELNS1_3gpuE6ELNS1_3repE0EEENS1_30default_config_static_selectorELNS0_4arch9wavefront6targetE0EEEvT1_.numbered_sgpr, 0
	.set _ZN7rocprim17ROCPRIM_400000_NS6detail17trampoline_kernelINS0_14default_configENS1_27scan_by_key_config_selectorIssEEZZNS1_16scan_by_key_implILNS1_25lookback_scan_determinismE0ELb1ES3_N6thrust23THRUST_200600_302600_NS6detail15normal_iteratorINS9_10device_ptrIsEEEESE_SE_sNS9_4plusIsEE19head_flag_predicatesEE10hipError_tPvRmT2_T3_T4_T5_mT6_T7_P12ihipStream_tbENKUlT_T0_E_clISt17integral_constantIbLb0EESY_EEDaST_SU_EUlST_E_NS1_11comp_targetILNS1_3genE2ELNS1_11target_archE906ELNS1_3gpuE6ELNS1_3repE0EEENS1_30default_config_static_selectorELNS0_4arch9wavefront6targetE0EEEvT1_.num_named_barrier, 0
	.set _ZN7rocprim17ROCPRIM_400000_NS6detail17trampoline_kernelINS0_14default_configENS1_27scan_by_key_config_selectorIssEEZZNS1_16scan_by_key_implILNS1_25lookback_scan_determinismE0ELb1ES3_N6thrust23THRUST_200600_302600_NS6detail15normal_iteratorINS9_10device_ptrIsEEEESE_SE_sNS9_4plusIsEE19head_flag_predicatesEE10hipError_tPvRmT2_T3_T4_T5_mT6_T7_P12ihipStream_tbENKUlT_T0_E_clISt17integral_constantIbLb0EESY_EEDaST_SU_EUlST_E_NS1_11comp_targetILNS1_3genE2ELNS1_11target_archE906ELNS1_3gpuE6ELNS1_3repE0EEENS1_30default_config_static_selectorELNS0_4arch9wavefront6targetE0EEEvT1_.private_seg_size, 0
	.set _ZN7rocprim17ROCPRIM_400000_NS6detail17trampoline_kernelINS0_14default_configENS1_27scan_by_key_config_selectorIssEEZZNS1_16scan_by_key_implILNS1_25lookback_scan_determinismE0ELb1ES3_N6thrust23THRUST_200600_302600_NS6detail15normal_iteratorINS9_10device_ptrIsEEEESE_SE_sNS9_4plusIsEE19head_flag_predicatesEE10hipError_tPvRmT2_T3_T4_T5_mT6_T7_P12ihipStream_tbENKUlT_T0_E_clISt17integral_constantIbLb0EESY_EEDaST_SU_EUlST_E_NS1_11comp_targetILNS1_3genE2ELNS1_11target_archE906ELNS1_3gpuE6ELNS1_3repE0EEENS1_30default_config_static_selectorELNS0_4arch9wavefront6targetE0EEEvT1_.uses_vcc, 0
	.set _ZN7rocprim17ROCPRIM_400000_NS6detail17trampoline_kernelINS0_14default_configENS1_27scan_by_key_config_selectorIssEEZZNS1_16scan_by_key_implILNS1_25lookback_scan_determinismE0ELb1ES3_N6thrust23THRUST_200600_302600_NS6detail15normal_iteratorINS9_10device_ptrIsEEEESE_SE_sNS9_4plusIsEE19head_flag_predicatesEE10hipError_tPvRmT2_T3_T4_T5_mT6_T7_P12ihipStream_tbENKUlT_T0_E_clISt17integral_constantIbLb0EESY_EEDaST_SU_EUlST_E_NS1_11comp_targetILNS1_3genE2ELNS1_11target_archE906ELNS1_3gpuE6ELNS1_3repE0EEENS1_30default_config_static_selectorELNS0_4arch9wavefront6targetE0EEEvT1_.uses_flat_scratch, 0
	.set _ZN7rocprim17ROCPRIM_400000_NS6detail17trampoline_kernelINS0_14default_configENS1_27scan_by_key_config_selectorIssEEZZNS1_16scan_by_key_implILNS1_25lookback_scan_determinismE0ELb1ES3_N6thrust23THRUST_200600_302600_NS6detail15normal_iteratorINS9_10device_ptrIsEEEESE_SE_sNS9_4plusIsEE19head_flag_predicatesEE10hipError_tPvRmT2_T3_T4_T5_mT6_T7_P12ihipStream_tbENKUlT_T0_E_clISt17integral_constantIbLb0EESY_EEDaST_SU_EUlST_E_NS1_11comp_targetILNS1_3genE2ELNS1_11target_archE906ELNS1_3gpuE6ELNS1_3repE0EEENS1_30default_config_static_selectorELNS0_4arch9wavefront6targetE0EEEvT1_.has_dyn_sized_stack, 0
	.set _ZN7rocprim17ROCPRIM_400000_NS6detail17trampoline_kernelINS0_14default_configENS1_27scan_by_key_config_selectorIssEEZZNS1_16scan_by_key_implILNS1_25lookback_scan_determinismE0ELb1ES3_N6thrust23THRUST_200600_302600_NS6detail15normal_iteratorINS9_10device_ptrIsEEEESE_SE_sNS9_4plusIsEE19head_flag_predicatesEE10hipError_tPvRmT2_T3_T4_T5_mT6_T7_P12ihipStream_tbENKUlT_T0_E_clISt17integral_constantIbLb0EESY_EEDaST_SU_EUlST_E_NS1_11comp_targetILNS1_3genE2ELNS1_11target_archE906ELNS1_3gpuE6ELNS1_3repE0EEENS1_30default_config_static_selectorELNS0_4arch9wavefront6targetE0EEEvT1_.has_recursion, 0
	.set _ZN7rocprim17ROCPRIM_400000_NS6detail17trampoline_kernelINS0_14default_configENS1_27scan_by_key_config_selectorIssEEZZNS1_16scan_by_key_implILNS1_25lookback_scan_determinismE0ELb1ES3_N6thrust23THRUST_200600_302600_NS6detail15normal_iteratorINS9_10device_ptrIsEEEESE_SE_sNS9_4plusIsEE19head_flag_predicatesEE10hipError_tPvRmT2_T3_T4_T5_mT6_T7_P12ihipStream_tbENKUlT_T0_E_clISt17integral_constantIbLb0EESY_EEDaST_SU_EUlST_E_NS1_11comp_targetILNS1_3genE2ELNS1_11target_archE906ELNS1_3gpuE6ELNS1_3repE0EEENS1_30default_config_static_selectorELNS0_4arch9wavefront6targetE0EEEvT1_.has_indirect_call, 0
	.section	.AMDGPU.csdata,"",@progbits
; Kernel info:
; codeLenInByte = 0
; TotalNumSgprs: 0
; NumVgprs: 0
; ScratchSize: 0
; MemoryBound: 0
; FloatMode: 240
; IeeeMode: 1
; LDSByteSize: 0 bytes/workgroup (compile time only)
; SGPRBlocks: 0
; VGPRBlocks: 0
; NumSGPRsForWavesPerEU: 1
; NumVGPRsForWavesPerEU: 1
; NamedBarCnt: 0
; Occupancy: 16
; WaveLimiterHint : 0
; COMPUTE_PGM_RSRC2:SCRATCH_EN: 0
; COMPUTE_PGM_RSRC2:USER_SGPR: 2
; COMPUTE_PGM_RSRC2:TRAP_HANDLER: 0
; COMPUTE_PGM_RSRC2:TGID_X_EN: 1
; COMPUTE_PGM_RSRC2:TGID_Y_EN: 0
; COMPUTE_PGM_RSRC2:TGID_Z_EN: 0
; COMPUTE_PGM_RSRC2:TIDIG_COMP_CNT: 0
	.section	.text._ZN7rocprim17ROCPRIM_400000_NS6detail17trampoline_kernelINS0_14default_configENS1_27scan_by_key_config_selectorIssEEZZNS1_16scan_by_key_implILNS1_25lookback_scan_determinismE0ELb1ES3_N6thrust23THRUST_200600_302600_NS6detail15normal_iteratorINS9_10device_ptrIsEEEESE_SE_sNS9_4plusIsEE19head_flag_predicatesEE10hipError_tPvRmT2_T3_T4_T5_mT6_T7_P12ihipStream_tbENKUlT_T0_E_clISt17integral_constantIbLb0EESY_EEDaST_SU_EUlST_E_NS1_11comp_targetILNS1_3genE10ELNS1_11target_archE1200ELNS1_3gpuE4ELNS1_3repE0EEENS1_30default_config_static_selectorELNS0_4arch9wavefront6targetE0EEEvT1_,"axG",@progbits,_ZN7rocprim17ROCPRIM_400000_NS6detail17trampoline_kernelINS0_14default_configENS1_27scan_by_key_config_selectorIssEEZZNS1_16scan_by_key_implILNS1_25lookback_scan_determinismE0ELb1ES3_N6thrust23THRUST_200600_302600_NS6detail15normal_iteratorINS9_10device_ptrIsEEEESE_SE_sNS9_4plusIsEE19head_flag_predicatesEE10hipError_tPvRmT2_T3_T4_T5_mT6_T7_P12ihipStream_tbENKUlT_T0_E_clISt17integral_constantIbLb0EESY_EEDaST_SU_EUlST_E_NS1_11comp_targetILNS1_3genE10ELNS1_11target_archE1200ELNS1_3gpuE4ELNS1_3repE0EEENS1_30default_config_static_selectorELNS0_4arch9wavefront6targetE0EEEvT1_,comdat
	.protected	_ZN7rocprim17ROCPRIM_400000_NS6detail17trampoline_kernelINS0_14default_configENS1_27scan_by_key_config_selectorIssEEZZNS1_16scan_by_key_implILNS1_25lookback_scan_determinismE0ELb1ES3_N6thrust23THRUST_200600_302600_NS6detail15normal_iteratorINS9_10device_ptrIsEEEESE_SE_sNS9_4plusIsEE19head_flag_predicatesEE10hipError_tPvRmT2_T3_T4_T5_mT6_T7_P12ihipStream_tbENKUlT_T0_E_clISt17integral_constantIbLb0EESY_EEDaST_SU_EUlST_E_NS1_11comp_targetILNS1_3genE10ELNS1_11target_archE1200ELNS1_3gpuE4ELNS1_3repE0EEENS1_30default_config_static_selectorELNS0_4arch9wavefront6targetE0EEEvT1_ ; -- Begin function _ZN7rocprim17ROCPRIM_400000_NS6detail17trampoline_kernelINS0_14default_configENS1_27scan_by_key_config_selectorIssEEZZNS1_16scan_by_key_implILNS1_25lookback_scan_determinismE0ELb1ES3_N6thrust23THRUST_200600_302600_NS6detail15normal_iteratorINS9_10device_ptrIsEEEESE_SE_sNS9_4plusIsEE19head_flag_predicatesEE10hipError_tPvRmT2_T3_T4_T5_mT6_T7_P12ihipStream_tbENKUlT_T0_E_clISt17integral_constantIbLb0EESY_EEDaST_SU_EUlST_E_NS1_11comp_targetILNS1_3genE10ELNS1_11target_archE1200ELNS1_3gpuE4ELNS1_3repE0EEENS1_30default_config_static_selectorELNS0_4arch9wavefront6targetE0EEEvT1_
	.globl	_ZN7rocprim17ROCPRIM_400000_NS6detail17trampoline_kernelINS0_14default_configENS1_27scan_by_key_config_selectorIssEEZZNS1_16scan_by_key_implILNS1_25lookback_scan_determinismE0ELb1ES3_N6thrust23THRUST_200600_302600_NS6detail15normal_iteratorINS9_10device_ptrIsEEEESE_SE_sNS9_4plusIsEE19head_flag_predicatesEE10hipError_tPvRmT2_T3_T4_T5_mT6_T7_P12ihipStream_tbENKUlT_T0_E_clISt17integral_constantIbLb0EESY_EEDaST_SU_EUlST_E_NS1_11comp_targetILNS1_3genE10ELNS1_11target_archE1200ELNS1_3gpuE4ELNS1_3repE0EEENS1_30default_config_static_selectorELNS0_4arch9wavefront6targetE0EEEvT1_
	.p2align	8
	.type	_ZN7rocprim17ROCPRIM_400000_NS6detail17trampoline_kernelINS0_14default_configENS1_27scan_by_key_config_selectorIssEEZZNS1_16scan_by_key_implILNS1_25lookback_scan_determinismE0ELb1ES3_N6thrust23THRUST_200600_302600_NS6detail15normal_iteratorINS9_10device_ptrIsEEEESE_SE_sNS9_4plusIsEE19head_flag_predicatesEE10hipError_tPvRmT2_T3_T4_T5_mT6_T7_P12ihipStream_tbENKUlT_T0_E_clISt17integral_constantIbLb0EESY_EEDaST_SU_EUlST_E_NS1_11comp_targetILNS1_3genE10ELNS1_11target_archE1200ELNS1_3gpuE4ELNS1_3repE0EEENS1_30default_config_static_selectorELNS0_4arch9wavefront6targetE0EEEvT1_,@function
_ZN7rocprim17ROCPRIM_400000_NS6detail17trampoline_kernelINS0_14default_configENS1_27scan_by_key_config_selectorIssEEZZNS1_16scan_by_key_implILNS1_25lookback_scan_determinismE0ELb1ES3_N6thrust23THRUST_200600_302600_NS6detail15normal_iteratorINS9_10device_ptrIsEEEESE_SE_sNS9_4plusIsEE19head_flag_predicatesEE10hipError_tPvRmT2_T3_T4_T5_mT6_T7_P12ihipStream_tbENKUlT_T0_E_clISt17integral_constantIbLb0EESY_EEDaST_SU_EUlST_E_NS1_11comp_targetILNS1_3genE10ELNS1_11target_archE1200ELNS1_3gpuE4ELNS1_3repE0EEENS1_30default_config_static_selectorELNS0_4arch9wavefront6targetE0EEEvT1_: ; @_ZN7rocprim17ROCPRIM_400000_NS6detail17trampoline_kernelINS0_14default_configENS1_27scan_by_key_config_selectorIssEEZZNS1_16scan_by_key_implILNS1_25lookback_scan_determinismE0ELb1ES3_N6thrust23THRUST_200600_302600_NS6detail15normal_iteratorINS9_10device_ptrIsEEEESE_SE_sNS9_4plusIsEE19head_flag_predicatesEE10hipError_tPvRmT2_T3_T4_T5_mT6_T7_P12ihipStream_tbENKUlT_T0_E_clISt17integral_constantIbLb0EESY_EEDaST_SU_EUlST_E_NS1_11comp_targetILNS1_3genE10ELNS1_11target_archE1200ELNS1_3gpuE4ELNS1_3repE0EEENS1_30default_config_static_selectorELNS0_4arch9wavefront6targetE0EEEvT1_
; %bb.0:
	.section	.rodata,"a",@progbits
	.p2align	6, 0x0
	.amdhsa_kernel _ZN7rocprim17ROCPRIM_400000_NS6detail17trampoline_kernelINS0_14default_configENS1_27scan_by_key_config_selectorIssEEZZNS1_16scan_by_key_implILNS1_25lookback_scan_determinismE0ELb1ES3_N6thrust23THRUST_200600_302600_NS6detail15normal_iteratorINS9_10device_ptrIsEEEESE_SE_sNS9_4plusIsEE19head_flag_predicatesEE10hipError_tPvRmT2_T3_T4_T5_mT6_T7_P12ihipStream_tbENKUlT_T0_E_clISt17integral_constantIbLb0EESY_EEDaST_SU_EUlST_E_NS1_11comp_targetILNS1_3genE10ELNS1_11target_archE1200ELNS1_3gpuE4ELNS1_3repE0EEENS1_30default_config_static_selectorELNS0_4arch9wavefront6targetE0EEEvT1_
		.amdhsa_group_segment_fixed_size 0
		.amdhsa_private_segment_fixed_size 0
		.amdhsa_kernarg_size 112
		.amdhsa_user_sgpr_count 2
		.amdhsa_user_sgpr_dispatch_ptr 0
		.amdhsa_user_sgpr_queue_ptr 0
		.amdhsa_user_sgpr_kernarg_segment_ptr 1
		.amdhsa_user_sgpr_dispatch_id 0
		.amdhsa_user_sgpr_kernarg_preload_length 0
		.amdhsa_user_sgpr_kernarg_preload_offset 0
		.amdhsa_user_sgpr_private_segment_size 0
		.amdhsa_wavefront_size32 1
		.amdhsa_uses_dynamic_stack 0
		.amdhsa_enable_private_segment 0
		.amdhsa_system_sgpr_workgroup_id_x 1
		.amdhsa_system_sgpr_workgroup_id_y 0
		.amdhsa_system_sgpr_workgroup_id_z 0
		.amdhsa_system_sgpr_workgroup_info 0
		.amdhsa_system_vgpr_workitem_id 0
		.amdhsa_next_free_vgpr 1
		.amdhsa_next_free_sgpr 1
		.amdhsa_named_barrier_count 0
		.amdhsa_reserve_vcc 0
		.amdhsa_float_round_mode_32 0
		.amdhsa_float_round_mode_16_64 0
		.amdhsa_float_denorm_mode_32 3
		.amdhsa_float_denorm_mode_16_64 3
		.amdhsa_fp16_overflow 0
		.amdhsa_memory_ordered 1
		.amdhsa_forward_progress 1
		.amdhsa_inst_pref_size 0
		.amdhsa_round_robin_scheduling 0
		.amdhsa_exception_fp_ieee_invalid_op 0
		.amdhsa_exception_fp_denorm_src 0
		.amdhsa_exception_fp_ieee_div_zero 0
		.amdhsa_exception_fp_ieee_overflow 0
		.amdhsa_exception_fp_ieee_underflow 0
		.amdhsa_exception_fp_ieee_inexact 0
		.amdhsa_exception_int_div_zero 0
	.end_amdhsa_kernel
	.section	.text._ZN7rocprim17ROCPRIM_400000_NS6detail17trampoline_kernelINS0_14default_configENS1_27scan_by_key_config_selectorIssEEZZNS1_16scan_by_key_implILNS1_25lookback_scan_determinismE0ELb1ES3_N6thrust23THRUST_200600_302600_NS6detail15normal_iteratorINS9_10device_ptrIsEEEESE_SE_sNS9_4plusIsEE19head_flag_predicatesEE10hipError_tPvRmT2_T3_T4_T5_mT6_T7_P12ihipStream_tbENKUlT_T0_E_clISt17integral_constantIbLb0EESY_EEDaST_SU_EUlST_E_NS1_11comp_targetILNS1_3genE10ELNS1_11target_archE1200ELNS1_3gpuE4ELNS1_3repE0EEENS1_30default_config_static_selectorELNS0_4arch9wavefront6targetE0EEEvT1_,"axG",@progbits,_ZN7rocprim17ROCPRIM_400000_NS6detail17trampoline_kernelINS0_14default_configENS1_27scan_by_key_config_selectorIssEEZZNS1_16scan_by_key_implILNS1_25lookback_scan_determinismE0ELb1ES3_N6thrust23THRUST_200600_302600_NS6detail15normal_iteratorINS9_10device_ptrIsEEEESE_SE_sNS9_4plusIsEE19head_flag_predicatesEE10hipError_tPvRmT2_T3_T4_T5_mT6_T7_P12ihipStream_tbENKUlT_T0_E_clISt17integral_constantIbLb0EESY_EEDaST_SU_EUlST_E_NS1_11comp_targetILNS1_3genE10ELNS1_11target_archE1200ELNS1_3gpuE4ELNS1_3repE0EEENS1_30default_config_static_selectorELNS0_4arch9wavefront6targetE0EEEvT1_,comdat
.Lfunc_end863:
	.size	_ZN7rocprim17ROCPRIM_400000_NS6detail17trampoline_kernelINS0_14default_configENS1_27scan_by_key_config_selectorIssEEZZNS1_16scan_by_key_implILNS1_25lookback_scan_determinismE0ELb1ES3_N6thrust23THRUST_200600_302600_NS6detail15normal_iteratorINS9_10device_ptrIsEEEESE_SE_sNS9_4plusIsEE19head_flag_predicatesEE10hipError_tPvRmT2_T3_T4_T5_mT6_T7_P12ihipStream_tbENKUlT_T0_E_clISt17integral_constantIbLb0EESY_EEDaST_SU_EUlST_E_NS1_11comp_targetILNS1_3genE10ELNS1_11target_archE1200ELNS1_3gpuE4ELNS1_3repE0EEENS1_30default_config_static_selectorELNS0_4arch9wavefront6targetE0EEEvT1_, .Lfunc_end863-_ZN7rocprim17ROCPRIM_400000_NS6detail17trampoline_kernelINS0_14default_configENS1_27scan_by_key_config_selectorIssEEZZNS1_16scan_by_key_implILNS1_25lookback_scan_determinismE0ELb1ES3_N6thrust23THRUST_200600_302600_NS6detail15normal_iteratorINS9_10device_ptrIsEEEESE_SE_sNS9_4plusIsEE19head_flag_predicatesEE10hipError_tPvRmT2_T3_T4_T5_mT6_T7_P12ihipStream_tbENKUlT_T0_E_clISt17integral_constantIbLb0EESY_EEDaST_SU_EUlST_E_NS1_11comp_targetILNS1_3genE10ELNS1_11target_archE1200ELNS1_3gpuE4ELNS1_3repE0EEENS1_30default_config_static_selectorELNS0_4arch9wavefront6targetE0EEEvT1_
                                        ; -- End function
	.set _ZN7rocprim17ROCPRIM_400000_NS6detail17trampoline_kernelINS0_14default_configENS1_27scan_by_key_config_selectorIssEEZZNS1_16scan_by_key_implILNS1_25lookback_scan_determinismE0ELb1ES3_N6thrust23THRUST_200600_302600_NS6detail15normal_iteratorINS9_10device_ptrIsEEEESE_SE_sNS9_4plusIsEE19head_flag_predicatesEE10hipError_tPvRmT2_T3_T4_T5_mT6_T7_P12ihipStream_tbENKUlT_T0_E_clISt17integral_constantIbLb0EESY_EEDaST_SU_EUlST_E_NS1_11comp_targetILNS1_3genE10ELNS1_11target_archE1200ELNS1_3gpuE4ELNS1_3repE0EEENS1_30default_config_static_selectorELNS0_4arch9wavefront6targetE0EEEvT1_.num_vgpr, 0
	.set _ZN7rocprim17ROCPRIM_400000_NS6detail17trampoline_kernelINS0_14default_configENS1_27scan_by_key_config_selectorIssEEZZNS1_16scan_by_key_implILNS1_25lookback_scan_determinismE0ELb1ES3_N6thrust23THRUST_200600_302600_NS6detail15normal_iteratorINS9_10device_ptrIsEEEESE_SE_sNS9_4plusIsEE19head_flag_predicatesEE10hipError_tPvRmT2_T3_T4_T5_mT6_T7_P12ihipStream_tbENKUlT_T0_E_clISt17integral_constantIbLb0EESY_EEDaST_SU_EUlST_E_NS1_11comp_targetILNS1_3genE10ELNS1_11target_archE1200ELNS1_3gpuE4ELNS1_3repE0EEENS1_30default_config_static_selectorELNS0_4arch9wavefront6targetE0EEEvT1_.num_agpr, 0
	.set _ZN7rocprim17ROCPRIM_400000_NS6detail17trampoline_kernelINS0_14default_configENS1_27scan_by_key_config_selectorIssEEZZNS1_16scan_by_key_implILNS1_25lookback_scan_determinismE0ELb1ES3_N6thrust23THRUST_200600_302600_NS6detail15normal_iteratorINS9_10device_ptrIsEEEESE_SE_sNS9_4plusIsEE19head_flag_predicatesEE10hipError_tPvRmT2_T3_T4_T5_mT6_T7_P12ihipStream_tbENKUlT_T0_E_clISt17integral_constantIbLb0EESY_EEDaST_SU_EUlST_E_NS1_11comp_targetILNS1_3genE10ELNS1_11target_archE1200ELNS1_3gpuE4ELNS1_3repE0EEENS1_30default_config_static_selectorELNS0_4arch9wavefront6targetE0EEEvT1_.numbered_sgpr, 0
	.set _ZN7rocprim17ROCPRIM_400000_NS6detail17trampoline_kernelINS0_14default_configENS1_27scan_by_key_config_selectorIssEEZZNS1_16scan_by_key_implILNS1_25lookback_scan_determinismE0ELb1ES3_N6thrust23THRUST_200600_302600_NS6detail15normal_iteratorINS9_10device_ptrIsEEEESE_SE_sNS9_4plusIsEE19head_flag_predicatesEE10hipError_tPvRmT2_T3_T4_T5_mT6_T7_P12ihipStream_tbENKUlT_T0_E_clISt17integral_constantIbLb0EESY_EEDaST_SU_EUlST_E_NS1_11comp_targetILNS1_3genE10ELNS1_11target_archE1200ELNS1_3gpuE4ELNS1_3repE0EEENS1_30default_config_static_selectorELNS0_4arch9wavefront6targetE0EEEvT1_.num_named_barrier, 0
	.set _ZN7rocprim17ROCPRIM_400000_NS6detail17trampoline_kernelINS0_14default_configENS1_27scan_by_key_config_selectorIssEEZZNS1_16scan_by_key_implILNS1_25lookback_scan_determinismE0ELb1ES3_N6thrust23THRUST_200600_302600_NS6detail15normal_iteratorINS9_10device_ptrIsEEEESE_SE_sNS9_4plusIsEE19head_flag_predicatesEE10hipError_tPvRmT2_T3_T4_T5_mT6_T7_P12ihipStream_tbENKUlT_T0_E_clISt17integral_constantIbLb0EESY_EEDaST_SU_EUlST_E_NS1_11comp_targetILNS1_3genE10ELNS1_11target_archE1200ELNS1_3gpuE4ELNS1_3repE0EEENS1_30default_config_static_selectorELNS0_4arch9wavefront6targetE0EEEvT1_.private_seg_size, 0
	.set _ZN7rocprim17ROCPRIM_400000_NS6detail17trampoline_kernelINS0_14default_configENS1_27scan_by_key_config_selectorIssEEZZNS1_16scan_by_key_implILNS1_25lookback_scan_determinismE0ELb1ES3_N6thrust23THRUST_200600_302600_NS6detail15normal_iteratorINS9_10device_ptrIsEEEESE_SE_sNS9_4plusIsEE19head_flag_predicatesEE10hipError_tPvRmT2_T3_T4_T5_mT6_T7_P12ihipStream_tbENKUlT_T0_E_clISt17integral_constantIbLb0EESY_EEDaST_SU_EUlST_E_NS1_11comp_targetILNS1_3genE10ELNS1_11target_archE1200ELNS1_3gpuE4ELNS1_3repE0EEENS1_30default_config_static_selectorELNS0_4arch9wavefront6targetE0EEEvT1_.uses_vcc, 0
	.set _ZN7rocprim17ROCPRIM_400000_NS6detail17trampoline_kernelINS0_14default_configENS1_27scan_by_key_config_selectorIssEEZZNS1_16scan_by_key_implILNS1_25lookback_scan_determinismE0ELb1ES3_N6thrust23THRUST_200600_302600_NS6detail15normal_iteratorINS9_10device_ptrIsEEEESE_SE_sNS9_4plusIsEE19head_flag_predicatesEE10hipError_tPvRmT2_T3_T4_T5_mT6_T7_P12ihipStream_tbENKUlT_T0_E_clISt17integral_constantIbLb0EESY_EEDaST_SU_EUlST_E_NS1_11comp_targetILNS1_3genE10ELNS1_11target_archE1200ELNS1_3gpuE4ELNS1_3repE0EEENS1_30default_config_static_selectorELNS0_4arch9wavefront6targetE0EEEvT1_.uses_flat_scratch, 0
	.set _ZN7rocprim17ROCPRIM_400000_NS6detail17trampoline_kernelINS0_14default_configENS1_27scan_by_key_config_selectorIssEEZZNS1_16scan_by_key_implILNS1_25lookback_scan_determinismE0ELb1ES3_N6thrust23THRUST_200600_302600_NS6detail15normal_iteratorINS9_10device_ptrIsEEEESE_SE_sNS9_4plusIsEE19head_flag_predicatesEE10hipError_tPvRmT2_T3_T4_T5_mT6_T7_P12ihipStream_tbENKUlT_T0_E_clISt17integral_constantIbLb0EESY_EEDaST_SU_EUlST_E_NS1_11comp_targetILNS1_3genE10ELNS1_11target_archE1200ELNS1_3gpuE4ELNS1_3repE0EEENS1_30default_config_static_selectorELNS0_4arch9wavefront6targetE0EEEvT1_.has_dyn_sized_stack, 0
	.set _ZN7rocprim17ROCPRIM_400000_NS6detail17trampoline_kernelINS0_14default_configENS1_27scan_by_key_config_selectorIssEEZZNS1_16scan_by_key_implILNS1_25lookback_scan_determinismE0ELb1ES3_N6thrust23THRUST_200600_302600_NS6detail15normal_iteratorINS9_10device_ptrIsEEEESE_SE_sNS9_4plusIsEE19head_flag_predicatesEE10hipError_tPvRmT2_T3_T4_T5_mT6_T7_P12ihipStream_tbENKUlT_T0_E_clISt17integral_constantIbLb0EESY_EEDaST_SU_EUlST_E_NS1_11comp_targetILNS1_3genE10ELNS1_11target_archE1200ELNS1_3gpuE4ELNS1_3repE0EEENS1_30default_config_static_selectorELNS0_4arch9wavefront6targetE0EEEvT1_.has_recursion, 0
	.set _ZN7rocprim17ROCPRIM_400000_NS6detail17trampoline_kernelINS0_14default_configENS1_27scan_by_key_config_selectorIssEEZZNS1_16scan_by_key_implILNS1_25lookback_scan_determinismE0ELb1ES3_N6thrust23THRUST_200600_302600_NS6detail15normal_iteratorINS9_10device_ptrIsEEEESE_SE_sNS9_4plusIsEE19head_flag_predicatesEE10hipError_tPvRmT2_T3_T4_T5_mT6_T7_P12ihipStream_tbENKUlT_T0_E_clISt17integral_constantIbLb0EESY_EEDaST_SU_EUlST_E_NS1_11comp_targetILNS1_3genE10ELNS1_11target_archE1200ELNS1_3gpuE4ELNS1_3repE0EEENS1_30default_config_static_selectorELNS0_4arch9wavefront6targetE0EEEvT1_.has_indirect_call, 0
	.section	.AMDGPU.csdata,"",@progbits
; Kernel info:
; codeLenInByte = 0
; TotalNumSgprs: 0
; NumVgprs: 0
; ScratchSize: 0
; MemoryBound: 0
; FloatMode: 240
; IeeeMode: 1
; LDSByteSize: 0 bytes/workgroup (compile time only)
; SGPRBlocks: 0
; VGPRBlocks: 0
; NumSGPRsForWavesPerEU: 1
; NumVGPRsForWavesPerEU: 1
; NamedBarCnt: 0
; Occupancy: 16
; WaveLimiterHint : 0
; COMPUTE_PGM_RSRC2:SCRATCH_EN: 0
; COMPUTE_PGM_RSRC2:USER_SGPR: 2
; COMPUTE_PGM_RSRC2:TRAP_HANDLER: 0
; COMPUTE_PGM_RSRC2:TGID_X_EN: 1
; COMPUTE_PGM_RSRC2:TGID_Y_EN: 0
; COMPUTE_PGM_RSRC2:TGID_Z_EN: 0
; COMPUTE_PGM_RSRC2:TIDIG_COMP_CNT: 0
	.section	.text._ZN7rocprim17ROCPRIM_400000_NS6detail17trampoline_kernelINS0_14default_configENS1_27scan_by_key_config_selectorIssEEZZNS1_16scan_by_key_implILNS1_25lookback_scan_determinismE0ELb1ES3_N6thrust23THRUST_200600_302600_NS6detail15normal_iteratorINS9_10device_ptrIsEEEESE_SE_sNS9_4plusIsEE19head_flag_predicatesEE10hipError_tPvRmT2_T3_T4_T5_mT6_T7_P12ihipStream_tbENKUlT_T0_E_clISt17integral_constantIbLb0EESY_EEDaST_SU_EUlST_E_NS1_11comp_targetILNS1_3genE9ELNS1_11target_archE1100ELNS1_3gpuE3ELNS1_3repE0EEENS1_30default_config_static_selectorELNS0_4arch9wavefront6targetE0EEEvT1_,"axG",@progbits,_ZN7rocprim17ROCPRIM_400000_NS6detail17trampoline_kernelINS0_14default_configENS1_27scan_by_key_config_selectorIssEEZZNS1_16scan_by_key_implILNS1_25lookback_scan_determinismE0ELb1ES3_N6thrust23THRUST_200600_302600_NS6detail15normal_iteratorINS9_10device_ptrIsEEEESE_SE_sNS9_4plusIsEE19head_flag_predicatesEE10hipError_tPvRmT2_T3_T4_T5_mT6_T7_P12ihipStream_tbENKUlT_T0_E_clISt17integral_constantIbLb0EESY_EEDaST_SU_EUlST_E_NS1_11comp_targetILNS1_3genE9ELNS1_11target_archE1100ELNS1_3gpuE3ELNS1_3repE0EEENS1_30default_config_static_selectorELNS0_4arch9wavefront6targetE0EEEvT1_,comdat
	.protected	_ZN7rocprim17ROCPRIM_400000_NS6detail17trampoline_kernelINS0_14default_configENS1_27scan_by_key_config_selectorIssEEZZNS1_16scan_by_key_implILNS1_25lookback_scan_determinismE0ELb1ES3_N6thrust23THRUST_200600_302600_NS6detail15normal_iteratorINS9_10device_ptrIsEEEESE_SE_sNS9_4plusIsEE19head_flag_predicatesEE10hipError_tPvRmT2_T3_T4_T5_mT6_T7_P12ihipStream_tbENKUlT_T0_E_clISt17integral_constantIbLb0EESY_EEDaST_SU_EUlST_E_NS1_11comp_targetILNS1_3genE9ELNS1_11target_archE1100ELNS1_3gpuE3ELNS1_3repE0EEENS1_30default_config_static_selectorELNS0_4arch9wavefront6targetE0EEEvT1_ ; -- Begin function _ZN7rocprim17ROCPRIM_400000_NS6detail17trampoline_kernelINS0_14default_configENS1_27scan_by_key_config_selectorIssEEZZNS1_16scan_by_key_implILNS1_25lookback_scan_determinismE0ELb1ES3_N6thrust23THRUST_200600_302600_NS6detail15normal_iteratorINS9_10device_ptrIsEEEESE_SE_sNS9_4plusIsEE19head_flag_predicatesEE10hipError_tPvRmT2_T3_T4_T5_mT6_T7_P12ihipStream_tbENKUlT_T0_E_clISt17integral_constantIbLb0EESY_EEDaST_SU_EUlST_E_NS1_11comp_targetILNS1_3genE9ELNS1_11target_archE1100ELNS1_3gpuE3ELNS1_3repE0EEENS1_30default_config_static_selectorELNS0_4arch9wavefront6targetE0EEEvT1_
	.globl	_ZN7rocprim17ROCPRIM_400000_NS6detail17trampoline_kernelINS0_14default_configENS1_27scan_by_key_config_selectorIssEEZZNS1_16scan_by_key_implILNS1_25lookback_scan_determinismE0ELb1ES3_N6thrust23THRUST_200600_302600_NS6detail15normal_iteratorINS9_10device_ptrIsEEEESE_SE_sNS9_4plusIsEE19head_flag_predicatesEE10hipError_tPvRmT2_T3_T4_T5_mT6_T7_P12ihipStream_tbENKUlT_T0_E_clISt17integral_constantIbLb0EESY_EEDaST_SU_EUlST_E_NS1_11comp_targetILNS1_3genE9ELNS1_11target_archE1100ELNS1_3gpuE3ELNS1_3repE0EEENS1_30default_config_static_selectorELNS0_4arch9wavefront6targetE0EEEvT1_
	.p2align	8
	.type	_ZN7rocprim17ROCPRIM_400000_NS6detail17trampoline_kernelINS0_14default_configENS1_27scan_by_key_config_selectorIssEEZZNS1_16scan_by_key_implILNS1_25lookback_scan_determinismE0ELb1ES3_N6thrust23THRUST_200600_302600_NS6detail15normal_iteratorINS9_10device_ptrIsEEEESE_SE_sNS9_4plusIsEE19head_flag_predicatesEE10hipError_tPvRmT2_T3_T4_T5_mT6_T7_P12ihipStream_tbENKUlT_T0_E_clISt17integral_constantIbLb0EESY_EEDaST_SU_EUlST_E_NS1_11comp_targetILNS1_3genE9ELNS1_11target_archE1100ELNS1_3gpuE3ELNS1_3repE0EEENS1_30default_config_static_selectorELNS0_4arch9wavefront6targetE0EEEvT1_,@function
_ZN7rocprim17ROCPRIM_400000_NS6detail17trampoline_kernelINS0_14default_configENS1_27scan_by_key_config_selectorIssEEZZNS1_16scan_by_key_implILNS1_25lookback_scan_determinismE0ELb1ES3_N6thrust23THRUST_200600_302600_NS6detail15normal_iteratorINS9_10device_ptrIsEEEESE_SE_sNS9_4plusIsEE19head_flag_predicatesEE10hipError_tPvRmT2_T3_T4_T5_mT6_T7_P12ihipStream_tbENKUlT_T0_E_clISt17integral_constantIbLb0EESY_EEDaST_SU_EUlST_E_NS1_11comp_targetILNS1_3genE9ELNS1_11target_archE1100ELNS1_3gpuE3ELNS1_3repE0EEENS1_30default_config_static_selectorELNS0_4arch9wavefront6targetE0EEEvT1_: ; @_ZN7rocprim17ROCPRIM_400000_NS6detail17trampoline_kernelINS0_14default_configENS1_27scan_by_key_config_selectorIssEEZZNS1_16scan_by_key_implILNS1_25lookback_scan_determinismE0ELb1ES3_N6thrust23THRUST_200600_302600_NS6detail15normal_iteratorINS9_10device_ptrIsEEEESE_SE_sNS9_4plusIsEE19head_flag_predicatesEE10hipError_tPvRmT2_T3_T4_T5_mT6_T7_P12ihipStream_tbENKUlT_T0_E_clISt17integral_constantIbLb0EESY_EEDaST_SU_EUlST_E_NS1_11comp_targetILNS1_3genE9ELNS1_11target_archE1100ELNS1_3gpuE3ELNS1_3repE0EEENS1_30default_config_static_selectorELNS0_4arch9wavefront6targetE0EEEvT1_
; %bb.0:
	.section	.rodata,"a",@progbits
	.p2align	6, 0x0
	.amdhsa_kernel _ZN7rocprim17ROCPRIM_400000_NS6detail17trampoline_kernelINS0_14default_configENS1_27scan_by_key_config_selectorIssEEZZNS1_16scan_by_key_implILNS1_25lookback_scan_determinismE0ELb1ES3_N6thrust23THRUST_200600_302600_NS6detail15normal_iteratorINS9_10device_ptrIsEEEESE_SE_sNS9_4plusIsEE19head_flag_predicatesEE10hipError_tPvRmT2_T3_T4_T5_mT6_T7_P12ihipStream_tbENKUlT_T0_E_clISt17integral_constantIbLb0EESY_EEDaST_SU_EUlST_E_NS1_11comp_targetILNS1_3genE9ELNS1_11target_archE1100ELNS1_3gpuE3ELNS1_3repE0EEENS1_30default_config_static_selectorELNS0_4arch9wavefront6targetE0EEEvT1_
		.amdhsa_group_segment_fixed_size 0
		.amdhsa_private_segment_fixed_size 0
		.amdhsa_kernarg_size 112
		.amdhsa_user_sgpr_count 2
		.amdhsa_user_sgpr_dispatch_ptr 0
		.amdhsa_user_sgpr_queue_ptr 0
		.amdhsa_user_sgpr_kernarg_segment_ptr 1
		.amdhsa_user_sgpr_dispatch_id 0
		.amdhsa_user_sgpr_kernarg_preload_length 0
		.amdhsa_user_sgpr_kernarg_preload_offset 0
		.amdhsa_user_sgpr_private_segment_size 0
		.amdhsa_wavefront_size32 1
		.amdhsa_uses_dynamic_stack 0
		.amdhsa_enable_private_segment 0
		.amdhsa_system_sgpr_workgroup_id_x 1
		.amdhsa_system_sgpr_workgroup_id_y 0
		.amdhsa_system_sgpr_workgroup_id_z 0
		.amdhsa_system_sgpr_workgroup_info 0
		.amdhsa_system_vgpr_workitem_id 0
		.amdhsa_next_free_vgpr 1
		.amdhsa_next_free_sgpr 1
		.amdhsa_named_barrier_count 0
		.amdhsa_reserve_vcc 0
		.amdhsa_float_round_mode_32 0
		.amdhsa_float_round_mode_16_64 0
		.amdhsa_float_denorm_mode_32 3
		.amdhsa_float_denorm_mode_16_64 3
		.amdhsa_fp16_overflow 0
		.amdhsa_memory_ordered 1
		.amdhsa_forward_progress 1
		.amdhsa_inst_pref_size 0
		.amdhsa_round_robin_scheduling 0
		.amdhsa_exception_fp_ieee_invalid_op 0
		.amdhsa_exception_fp_denorm_src 0
		.amdhsa_exception_fp_ieee_div_zero 0
		.amdhsa_exception_fp_ieee_overflow 0
		.amdhsa_exception_fp_ieee_underflow 0
		.amdhsa_exception_fp_ieee_inexact 0
		.amdhsa_exception_int_div_zero 0
	.end_amdhsa_kernel
	.section	.text._ZN7rocprim17ROCPRIM_400000_NS6detail17trampoline_kernelINS0_14default_configENS1_27scan_by_key_config_selectorIssEEZZNS1_16scan_by_key_implILNS1_25lookback_scan_determinismE0ELb1ES3_N6thrust23THRUST_200600_302600_NS6detail15normal_iteratorINS9_10device_ptrIsEEEESE_SE_sNS9_4plusIsEE19head_flag_predicatesEE10hipError_tPvRmT2_T3_T4_T5_mT6_T7_P12ihipStream_tbENKUlT_T0_E_clISt17integral_constantIbLb0EESY_EEDaST_SU_EUlST_E_NS1_11comp_targetILNS1_3genE9ELNS1_11target_archE1100ELNS1_3gpuE3ELNS1_3repE0EEENS1_30default_config_static_selectorELNS0_4arch9wavefront6targetE0EEEvT1_,"axG",@progbits,_ZN7rocprim17ROCPRIM_400000_NS6detail17trampoline_kernelINS0_14default_configENS1_27scan_by_key_config_selectorIssEEZZNS1_16scan_by_key_implILNS1_25lookback_scan_determinismE0ELb1ES3_N6thrust23THRUST_200600_302600_NS6detail15normal_iteratorINS9_10device_ptrIsEEEESE_SE_sNS9_4plusIsEE19head_flag_predicatesEE10hipError_tPvRmT2_T3_T4_T5_mT6_T7_P12ihipStream_tbENKUlT_T0_E_clISt17integral_constantIbLb0EESY_EEDaST_SU_EUlST_E_NS1_11comp_targetILNS1_3genE9ELNS1_11target_archE1100ELNS1_3gpuE3ELNS1_3repE0EEENS1_30default_config_static_selectorELNS0_4arch9wavefront6targetE0EEEvT1_,comdat
.Lfunc_end864:
	.size	_ZN7rocprim17ROCPRIM_400000_NS6detail17trampoline_kernelINS0_14default_configENS1_27scan_by_key_config_selectorIssEEZZNS1_16scan_by_key_implILNS1_25lookback_scan_determinismE0ELb1ES3_N6thrust23THRUST_200600_302600_NS6detail15normal_iteratorINS9_10device_ptrIsEEEESE_SE_sNS9_4plusIsEE19head_flag_predicatesEE10hipError_tPvRmT2_T3_T4_T5_mT6_T7_P12ihipStream_tbENKUlT_T0_E_clISt17integral_constantIbLb0EESY_EEDaST_SU_EUlST_E_NS1_11comp_targetILNS1_3genE9ELNS1_11target_archE1100ELNS1_3gpuE3ELNS1_3repE0EEENS1_30default_config_static_selectorELNS0_4arch9wavefront6targetE0EEEvT1_, .Lfunc_end864-_ZN7rocprim17ROCPRIM_400000_NS6detail17trampoline_kernelINS0_14default_configENS1_27scan_by_key_config_selectorIssEEZZNS1_16scan_by_key_implILNS1_25lookback_scan_determinismE0ELb1ES3_N6thrust23THRUST_200600_302600_NS6detail15normal_iteratorINS9_10device_ptrIsEEEESE_SE_sNS9_4plusIsEE19head_flag_predicatesEE10hipError_tPvRmT2_T3_T4_T5_mT6_T7_P12ihipStream_tbENKUlT_T0_E_clISt17integral_constantIbLb0EESY_EEDaST_SU_EUlST_E_NS1_11comp_targetILNS1_3genE9ELNS1_11target_archE1100ELNS1_3gpuE3ELNS1_3repE0EEENS1_30default_config_static_selectorELNS0_4arch9wavefront6targetE0EEEvT1_
                                        ; -- End function
	.set _ZN7rocprim17ROCPRIM_400000_NS6detail17trampoline_kernelINS0_14default_configENS1_27scan_by_key_config_selectorIssEEZZNS1_16scan_by_key_implILNS1_25lookback_scan_determinismE0ELb1ES3_N6thrust23THRUST_200600_302600_NS6detail15normal_iteratorINS9_10device_ptrIsEEEESE_SE_sNS9_4plusIsEE19head_flag_predicatesEE10hipError_tPvRmT2_T3_T4_T5_mT6_T7_P12ihipStream_tbENKUlT_T0_E_clISt17integral_constantIbLb0EESY_EEDaST_SU_EUlST_E_NS1_11comp_targetILNS1_3genE9ELNS1_11target_archE1100ELNS1_3gpuE3ELNS1_3repE0EEENS1_30default_config_static_selectorELNS0_4arch9wavefront6targetE0EEEvT1_.num_vgpr, 0
	.set _ZN7rocprim17ROCPRIM_400000_NS6detail17trampoline_kernelINS0_14default_configENS1_27scan_by_key_config_selectorIssEEZZNS1_16scan_by_key_implILNS1_25lookback_scan_determinismE0ELb1ES3_N6thrust23THRUST_200600_302600_NS6detail15normal_iteratorINS9_10device_ptrIsEEEESE_SE_sNS9_4plusIsEE19head_flag_predicatesEE10hipError_tPvRmT2_T3_T4_T5_mT6_T7_P12ihipStream_tbENKUlT_T0_E_clISt17integral_constantIbLb0EESY_EEDaST_SU_EUlST_E_NS1_11comp_targetILNS1_3genE9ELNS1_11target_archE1100ELNS1_3gpuE3ELNS1_3repE0EEENS1_30default_config_static_selectorELNS0_4arch9wavefront6targetE0EEEvT1_.num_agpr, 0
	.set _ZN7rocprim17ROCPRIM_400000_NS6detail17trampoline_kernelINS0_14default_configENS1_27scan_by_key_config_selectorIssEEZZNS1_16scan_by_key_implILNS1_25lookback_scan_determinismE0ELb1ES3_N6thrust23THRUST_200600_302600_NS6detail15normal_iteratorINS9_10device_ptrIsEEEESE_SE_sNS9_4plusIsEE19head_flag_predicatesEE10hipError_tPvRmT2_T3_T4_T5_mT6_T7_P12ihipStream_tbENKUlT_T0_E_clISt17integral_constantIbLb0EESY_EEDaST_SU_EUlST_E_NS1_11comp_targetILNS1_3genE9ELNS1_11target_archE1100ELNS1_3gpuE3ELNS1_3repE0EEENS1_30default_config_static_selectorELNS0_4arch9wavefront6targetE0EEEvT1_.numbered_sgpr, 0
	.set _ZN7rocprim17ROCPRIM_400000_NS6detail17trampoline_kernelINS0_14default_configENS1_27scan_by_key_config_selectorIssEEZZNS1_16scan_by_key_implILNS1_25lookback_scan_determinismE0ELb1ES3_N6thrust23THRUST_200600_302600_NS6detail15normal_iteratorINS9_10device_ptrIsEEEESE_SE_sNS9_4plusIsEE19head_flag_predicatesEE10hipError_tPvRmT2_T3_T4_T5_mT6_T7_P12ihipStream_tbENKUlT_T0_E_clISt17integral_constantIbLb0EESY_EEDaST_SU_EUlST_E_NS1_11comp_targetILNS1_3genE9ELNS1_11target_archE1100ELNS1_3gpuE3ELNS1_3repE0EEENS1_30default_config_static_selectorELNS0_4arch9wavefront6targetE0EEEvT1_.num_named_barrier, 0
	.set _ZN7rocprim17ROCPRIM_400000_NS6detail17trampoline_kernelINS0_14default_configENS1_27scan_by_key_config_selectorIssEEZZNS1_16scan_by_key_implILNS1_25lookback_scan_determinismE0ELb1ES3_N6thrust23THRUST_200600_302600_NS6detail15normal_iteratorINS9_10device_ptrIsEEEESE_SE_sNS9_4plusIsEE19head_flag_predicatesEE10hipError_tPvRmT2_T3_T4_T5_mT6_T7_P12ihipStream_tbENKUlT_T0_E_clISt17integral_constantIbLb0EESY_EEDaST_SU_EUlST_E_NS1_11comp_targetILNS1_3genE9ELNS1_11target_archE1100ELNS1_3gpuE3ELNS1_3repE0EEENS1_30default_config_static_selectorELNS0_4arch9wavefront6targetE0EEEvT1_.private_seg_size, 0
	.set _ZN7rocprim17ROCPRIM_400000_NS6detail17trampoline_kernelINS0_14default_configENS1_27scan_by_key_config_selectorIssEEZZNS1_16scan_by_key_implILNS1_25lookback_scan_determinismE0ELb1ES3_N6thrust23THRUST_200600_302600_NS6detail15normal_iteratorINS9_10device_ptrIsEEEESE_SE_sNS9_4plusIsEE19head_flag_predicatesEE10hipError_tPvRmT2_T3_T4_T5_mT6_T7_P12ihipStream_tbENKUlT_T0_E_clISt17integral_constantIbLb0EESY_EEDaST_SU_EUlST_E_NS1_11comp_targetILNS1_3genE9ELNS1_11target_archE1100ELNS1_3gpuE3ELNS1_3repE0EEENS1_30default_config_static_selectorELNS0_4arch9wavefront6targetE0EEEvT1_.uses_vcc, 0
	.set _ZN7rocprim17ROCPRIM_400000_NS6detail17trampoline_kernelINS0_14default_configENS1_27scan_by_key_config_selectorIssEEZZNS1_16scan_by_key_implILNS1_25lookback_scan_determinismE0ELb1ES3_N6thrust23THRUST_200600_302600_NS6detail15normal_iteratorINS9_10device_ptrIsEEEESE_SE_sNS9_4plusIsEE19head_flag_predicatesEE10hipError_tPvRmT2_T3_T4_T5_mT6_T7_P12ihipStream_tbENKUlT_T0_E_clISt17integral_constantIbLb0EESY_EEDaST_SU_EUlST_E_NS1_11comp_targetILNS1_3genE9ELNS1_11target_archE1100ELNS1_3gpuE3ELNS1_3repE0EEENS1_30default_config_static_selectorELNS0_4arch9wavefront6targetE0EEEvT1_.uses_flat_scratch, 0
	.set _ZN7rocprim17ROCPRIM_400000_NS6detail17trampoline_kernelINS0_14default_configENS1_27scan_by_key_config_selectorIssEEZZNS1_16scan_by_key_implILNS1_25lookback_scan_determinismE0ELb1ES3_N6thrust23THRUST_200600_302600_NS6detail15normal_iteratorINS9_10device_ptrIsEEEESE_SE_sNS9_4plusIsEE19head_flag_predicatesEE10hipError_tPvRmT2_T3_T4_T5_mT6_T7_P12ihipStream_tbENKUlT_T0_E_clISt17integral_constantIbLb0EESY_EEDaST_SU_EUlST_E_NS1_11comp_targetILNS1_3genE9ELNS1_11target_archE1100ELNS1_3gpuE3ELNS1_3repE0EEENS1_30default_config_static_selectorELNS0_4arch9wavefront6targetE0EEEvT1_.has_dyn_sized_stack, 0
	.set _ZN7rocprim17ROCPRIM_400000_NS6detail17trampoline_kernelINS0_14default_configENS1_27scan_by_key_config_selectorIssEEZZNS1_16scan_by_key_implILNS1_25lookback_scan_determinismE0ELb1ES3_N6thrust23THRUST_200600_302600_NS6detail15normal_iteratorINS9_10device_ptrIsEEEESE_SE_sNS9_4plusIsEE19head_flag_predicatesEE10hipError_tPvRmT2_T3_T4_T5_mT6_T7_P12ihipStream_tbENKUlT_T0_E_clISt17integral_constantIbLb0EESY_EEDaST_SU_EUlST_E_NS1_11comp_targetILNS1_3genE9ELNS1_11target_archE1100ELNS1_3gpuE3ELNS1_3repE0EEENS1_30default_config_static_selectorELNS0_4arch9wavefront6targetE0EEEvT1_.has_recursion, 0
	.set _ZN7rocprim17ROCPRIM_400000_NS6detail17trampoline_kernelINS0_14default_configENS1_27scan_by_key_config_selectorIssEEZZNS1_16scan_by_key_implILNS1_25lookback_scan_determinismE0ELb1ES3_N6thrust23THRUST_200600_302600_NS6detail15normal_iteratorINS9_10device_ptrIsEEEESE_SE_sNS9_4plusIsEE19head_flag_predicatesEE10hipError_tPvRmT2_T3_T4_T5_mT6_T7_P12ihipStream_tbENKUlT_T0_E_clISt17integral_constantIbLb0EESY_EEDaST_SU_EUlST_E_NS1_11comp_targetILNS1_3genE9ELNS1_11target_archE1100ELNS1_3gpuE3ELNS1_3repE0EEENS1_30default_config_static_selectorELNS0_4arch9wavefront6targetE0EEEvT1_.has_indirect_call, 0
	.section	.AMDGPU.csdata,"",@progbits
; Kernel info:
; codeLenInByte = 0
; TotalNumSgprs: 0
; NumVgprs: 0
; ScratchSize: 0
; MemoryBound: 0
; FloatMode: 240
; IeeeMode: 1
; LDSByteSize: 0 bytes/workgroup (compile time only)
; SGPRBlocks: 0
; VGPRBlocks: 0
; NumSGPRsForWavesPerEU: 1
; NumVGPRsForWavesPerEU: 1
; NamedBarCnt: 0
; Occupancy: 16
; WaveLimiterHint : 0
; COMPUTE_PGM_RSRC2:SCRATCH_EN: 0
; COMPUTE_PGM_RSRC2:USER_SGPR: 2
; COMPUTE_PGM_RSRC2:TRAP_HANDLER: 0
; COMPUTE_PGM_RSRC2:TGID_X_EN: 1
; COMPUTE_PGM_RSRC2:TGID_Y_EN: 0
; COMPUTE_PGM_RSRC2:TGID_Z_EN: 0
; COMPUTE_PGM_RSRC2:TIDIG_COMP_CNT: 0
	.section	.text._ZN7rocprim17ROCPRIM_400000_NS6detail17trampoline_kernelINS0_14default_configENS1_27scan_by_key_config_selectorIssEEZZNS1_16scan_by_key_implILNS1_25lookback_scan_determinismE0ELb1ES3_N6thrust23THRUST_200600_302600_NS6detail15normal_iteratorINS9_10device_ptrIsEEEESE_SE_sNS9_4plusIsEE19head_flag_predicatesEE10hipError_tPvRmT2_T3_T4_T5_mT6_T7_P12ihipStream_tbENKUlT_T0_E_clISt17integral_constantIbLb0EESY_EEDaST_SU_EUlST_E_NS1_11comp_targetILNS1_3genE8ELNS1_11target_archE1030ELNS1_3gpuE2ELNS1_3repE0EEENS1_30default_config_static_selectorELNS0_4arch9wavefront6targetE0EEEvT1_,"axG",@progbits,_ZN7rocprim17ROCPRIM_400000_NS6detail17trampoline_kernelINS0_14default_configENS1_27scan_by_key_config_selectorIssEEZZNS1_16scan_by_key_implILNS1_25lookback_scan_determinismE0ELb1ES3_N6thrust23THRUST_200600_302600_NS6detail15normal_iteratorINS9_10device_ptrIsEEEESE_SE_sNS9_4plusIsEE19head_flag_predicatesEE10hipError_tPvRmT2_T3_T4_T5_mT6_T7_P12ihipStream_tbENKUlT_T0_E_clISt17integral_constantIbLb0EESY_EEDaST_SU_EUlST_E_NS1_11comp_targetILNS1_3genE8ELNS1_11target_archE1030ELNS1_3gpuE2ELNS1_3repE0EEENS1_30default_config_static_selectorELNS0_4arch9wavefront6targetE0EEEvT1_,comdat
	.protected	_ZN7rocprim17ROCPRIM_400000_NS6detail17trampoline_kernelINS0_14default_configENS1_27scan_by_key_config_selectorIssEEZZNS1_16scan_by_key_implILNS1_25lookback_scan_determinismE0ELb1ES3_N6thrust23THRUST_200600_302600_NS6detail15normal_iteratorINS9_10device_ptrIsEEEESE_SE_sNS9_4plusIsEE19head_flag_predicatesEE10hipError_tPvRmT2_T3_T4_T5_mT6_T7_P12ihipStream_tbENKUlT_T0_E_clISt17integral_constantIbLb0EESY_EEDaST_SU_EUlST_E_NS1_11comp_targetILNS1_3genE8ELNS1_11target_archE1030ELNS1_3gpuE2ELNS1_3repE0EEENS1_30default_config_static_selectorELNS0_4arch9wavefront6targetE0EEEvT1_ ; -- Begin function _ZN7rocprim17ROCPRIM_400000_NS6detail17trampoline_kernelINS0_14default_configENS1_27scan_by_key_config_selectorIssEEZZNS1_16scan_by_key_implILNS1_25lookback_scan_determinismE0ELb1ES3_N6thrust23THRUST_200600_302600_NS6detail15normal_iteratorINS9_10device_ptrIsEEEESE_SE_sNS9_4plusIsEE19head_flag_predicatesEE10hipError_tPvRmT2_T3_T4_T5_mT6_T7_P12ihipStream_tbENKUlT_T0_E_clISt17integral_constantIbLb0EESY_EEDaST_SU_EUlST_E_NS1_11comp_targetILNS1_3genE8ELNS1_11target_archE1030ELNS1_3gpuE2ELNS1_3repE0EEENS1_30default_config_static_selectorELNS0_4arch9wavefront6targetE0EEEvT1_
	.globl	_ZN7rocprim17ROCPRIM_400000_NS6detail17trampoline_kernelINS0_14default_configENS1_27scan_by_key_config_selectorIssEEZZNS1_16scan_by_key_implILNS1_25lookback_scan_determinismE0ELb1ES3_N6thrust23THRUST_200600_302600_NS6detail15normal_iteratorINS9_10device_ptrIsEEEESE_SE_sNS9_4plusIsEE19head_flag_predicatesEE10hipError_tPvRmT2_T3_T4_T5_mT6_T7_P12ihipStream_tbENKUlT_T0_E_clISt17integral_constantIbLb0EESY_EEDaST_SU_EUlST_E_NS1_11comp_targetILNS1_3genE8ELNS1_11target_archE1030ELNS1_3gpuE2ELNS1_3repE0EEENS1_30default_config_static_selectorELNS0_4arch9wavefront6targetE0EEEvT1_
	.p2align	8
	.type	_ZN7rocprim17ROCPRIM_400000_NS6detail17trampoline_kernelINS0_14default_configENS1_27scan_by_key_config_selectorIssEEZZNS1_16scan_by_key_implILNS1_25lookback_scan_determinismE0ELb1ES3_N6thrust23THRUST_200600_302600_NS6detail15normal_iteratorINS9_10device_ptrIsEEEESE_SE_sNS9_4plusIsEE19head_flag_predicatesEE10hipError_tPvRmT2_T3_T4_T5_mT6_T7_P12ihipStream_tbENKUlT_T0_E_clISt17integral_constantIbLb0EESY_EEDaST_SU_EUlST_E_NS1_11comp_targetILNS1_3genE8ELNS1_11target_archE1030ELNS1_3gpuE2ELNS1_3repE0EEENS1_30default_config_static_selectorELNS0_4arch9wavefront6targetE0EEEvT1_,@function
_ZN7rocprim17ROCPRIM_400000_NS6detail17trampoline_kernelINS0_14default_configENS1_27scan_by_key_config_selectorIssEEZZNS1_16scan_by_key_implILNS1_25lookback_scan_determinismE0ELb1ES3_N6thrust23THRUST_200600_302600_NS6detail15normal_iteratorINS9_10device_ptrIsEEEESE_SE_sNS9_4plusIsEE19head_flag_predicatesEE10hipError_tPvRmT2_T3_T4_T5_mT6_T7_P12ihipStream_tbENKUlT_T0_E_clISt17integral_constantIbLb0EESY_EEDaST_SU_EUlST_E_NS1_11comp_targetILNS1_3genE8ELNS1_11target_archE1030ELNS1_3gpuE2ELNS1_3repE0EEENS1_30default_config_static_selectorELNS0_4arch9wavefront6targetE0EEEvT1_: ; @_ZN7rocprim17ROCPRIM_400000_NS6detail17trampoline_kernelINS0_14default_configENS1_27scan_by_key_config_selectorIssEEZZNS1_16scan_by_key_implILNS1_25lookback_scan_determinismE0ELb1ES3_N6thrust23THRUST_200600_302600_NS6detail15normal_iteratorINS9_10device_ptrIsEEEESE_SE_sNS9_4plusIsEE19head_flag_predicatesEE10hipError_tPvRmT2_T3_T4_T5_mT6_T7_P12ihipStream_tbENKUlT_T0_E_clISt17integral_constantIbLb0EESY_EEDaST_SU_EUlST_E_NS1_11comp_targetILNS1_3genE8ELNS1_11target_archE1030ELNS1_3gpuE2ELNS1_3repE0EEENS1_30default_config_static_selectorELNS0_4arch9wavefront6targetE0EEEvT1_
; %bb.0:
	.section	.rodata,"a",@progbits
	.p2align	6, 0x0
	.amdhsa_kernel _ZN7rocprim17ROCPRIM_400000_NS6detail17trampoline_kernelINS0_14default_configENS1_27scan_by_key_config_selectorIssEEZZNS1_16scan_by_key_implILNS1_25lookback_scan_determinismE0ELb1ES3_N6thrust23THRUST_200600_302600_NS6detail15normal_iteratorINS9_10device_ptrIsEEEESE_SE_sNS9_4plusIsEE19head_flag_predicatesEE10hipError_tPvRmT2_T3_T4_T5_mT6_T7_P12ihipStream_tbENKUlT_T0_E_clISt17integral_constantIbLb0EESY_EEDaST_SU_EUlST_E_NS1_11comp_targetILNS1_3genE8ELNS1_11target_archE1030ELNS1_3gpuE2ELNS1_3repE0EEENS1_30default_config_static_selectorELNS0_4arch9wavefront6targetE0EEEvT1_
		.amdhsa_group_segment_fixed_size 0
		.amdhsa_private_segment_fixed_size 0
		.amdhsa_kernarg_size 112
		.amdhsa_user_sgpr_count 2
		.amdhsa_user_sgpr_dispatch_ptr 0
		.amdhsa_user_sgpr_queue_ptr 0
		.amdhsa_user_sgpr_kernarg_segment_ptr 1
		.amdhsa_user_sgpr_dispatch_id 0
		.amdhsa_user_sgpr_kernarg_preload_length 0
		.amdhsa_user_sgpr_kernarg_preload_offset 0
		.amdhsa_user_sgpr_private_segment_size 0
		.amdhsa_wavefront_size32 1
		.amdhsa_uses_dynamic_stack 0
		.amdhsa_enable_private_segment 0
		.amdhsa_system_sgpr_workgroup_id_x 1
		.amdhsa_system_sgpr_workgroup_id_y 0
		.amdhsa_system_sgpr_workgroup_id_z 0
		.amdhsa_system_sgpr_workgroup_info 0
		.amdhsa_system_vgpr_workitem_id 0
		.amdhsa_next_free_vgpr 1
		.amdhsa_next_free_sgpr 1
		.amdhsa_named_barrier_count 0
		.amdhsa_reserve_vcc 0
		.amdhsa_float_round_mode_32 0
		.amdhsa_float_round_mode_16_64 0
		.amdhsa_float_denorm_mode_32 3
		.amdhsa_float_denorm_mode_16_64 3
		.amdhsa_fp16_overflow 0
		.amdhsa_memory_ordered 1
		.amdhsa_forward_progress 1
		.amdhsa_inst_pref_size 0
		.amdhsa_round_robin_scheduling 0
		.amdhsa_exception_fp_ieee_invalid_op 0
		.amdhsa_exception_fp_denorm_src 0
		.amdhsa_exception_fp_ieee_div_zero 0
		.amdhsa_exception_fp_ieee_overflow 0
		.amdhsa_exception_fp_ieee_underflow 0
		.amdhsa_exception_fp_ieee_inexact 0
		.amdhsa_exception_int_div_zero 0
	.end_amdhsa_kernel
	.section	.text._ZN7rocprim17ROCPRIM_400000_NS6detail17trampoline_kernelINS0_14default_configENS1_27scan_by_key_config_selectorIssEEZZNS1_16scan_by_key_implILNS1_25lookback_scan_determinismE0ELb1ES3_N6thrust23THRUST_200600_302600_NS6detail15normal_iteratorINS9_10device_ptrIsEEEESE_SE_sNS9_4plusIsEE19head_flag_predicatesEE10hipError_tPvRmT2_T3_T4_T5_mT6_T7_P12ihipStream_tbENKUlT_T0_E_clISt17integral_constantIbLb0EESY_EEDaST_SU_EUlST_E_NS1_11comp_targetILNS1_3genE8ELNS1_11target_archE1030ELNS1_3gpuE2ELNS1_3repE0EEENS1_30default_config_static_selectorELNS0_4arch9wavefront6targetE0EEEvT1_,"axG",@progbits,_ZN7rocprim17ROCPRIM_400000_NS6detail17trampoline_kernelINS0_14default_configENS1_27scan_by_key_config_selectorIssEEZZNS1_16scan_by_key_implILNS1_25lookback_scan_determinismE0ELb1ES3_N6thrust23THRUST_200600_302600_NS6detail15normal_iteratorINS9_10device_ptrIsEEEESE_SE_sNS9_4plusIsEE19head_flag_predicatesEE10hipError_tPvRmT2_T3_T4_T5_mT6_T7_P12ihipStream_tbENKUlT_T0_E_clISt17integral_constantIbLb0EESY_EEDaST_SU_EUlST_E_NS1_11comp_targetILNS1_3genE8ELNS1_11target_archE1030ELNS1_3gpuE2ELNS1_3repE0EEENS1_30default_config_static_selectorELNS0_4arch9wavefront6targetE0EEEvT1_,comdat
.Lfunc_end865:
	.size	_ZN7rocprim17ROCPRIM_400000_NS6detail17trampoline_kernelINS0_14default_configENS1_27scan_by_key_config_selectorIssEEZZNS1_16scan_by_key_implILNS1_25lookback_scan_determinismE0ELb1ES3_N6thrust23THRUST_200600_302600_NS6detail15normal_iteratorINS9_10device_ptrIsEEEESE_SE_sNS9_4plusIsEE19head_flag_predicatesEE10hipError_tPvRmT2_T3_T4_T5_mT6_T7_P12ihipStream_tbENKUlT_T0_E_clISt17integral_constantIbLb0EESY_EEDaST_SU_EUlST_E_NS1_11comp_targetILNS1_3genE8ELNS1_11target_archE1030ELNS1_3gpuE2ELNS1_3repE0EEENS1_30default_config_static_selectorELNS0_4arch9wavefront6targetE0EEEvT1_, .Lfunc_end865-_ZN7rocprim17ROCPRIM_400000_NS6detail17trampoline_kernelINS0_14default_configENS1_27scan_by_key_config_selectorIssEEZZNS1_16scan_by_key_implILNS1_25lookback_scan_determinismE0ELb1ES3_N6thrust23THRUST_200600_302600_NS6detail15normal_iteratorINS9_10device_ptrIsEEEESE_SE_sNS9_4plusIsEE19head_flag_predicatesEE10hipError_tPvRmT2_T3_T4_T5_mT6_T7_P12ihipStream_tbENKUlT_T0_E_clISt17integral_constantIbLb0EESY_EEDaST_SU_EUlST_E_NS1_11comp_targetILNS1_3genE8ELNS1_11target_archE1030ELNS1_3gpuE2ELNS1_3repE0EEENS1_30default_config_static_selectorELNS0_4arch9wavefront6targetE0EEEvT1_
                                        ; -- End function
	.set _ZN7rocprim17ROCPRIM_400000_NS6detail17trampoline_kernelINS0_14default_configENS1_27scan_by_key_config_selectorIssEEZZNS1_16scan_by_key_implILNS1_25lookback_scan_determinismE0ELb1ES3_N6thrust23THRUST_200600_302600_NS6detail15normal_iteratorINS9_10device_ptrIsEEEESE_SE_sNS9_4plusIsEE19head_flag_predicatesEE10hipError_tPvRmT2_T3_T4_T5_mT6_T7_P12ihipStream_tbENKUlT_T0_E_clISt17integral_constantIbLb0EESY_EEDaST_SU_EUlST_E_NS1_11comp_targetILNS1_3genE8ELNS1_11target_archE1030ELNS1_3gpuE2ELNS1_3repE0EEENS1_30default_config_static_selectorELNS0_4arch9wavefront6targetE0EEEvT1_.num_vgpr, 0
	.set _ZN7rocprim17ROCPRIM_400000_NS6detail17trampoline_kernelINS0_14default_configENS1_27scan_by_key_config_selectorIssEEZZNS1_16scan_by_key_implILNS1_25lookback_scan_determinismE0ELb1ES3_N6thrust23THRUST_200600_302600_NS6detail15normal_iteratorINS9_10device_ptrIsEEEESE_SE_sNS9_4plusIsEE19head_flag_predicatesEE10hipError_tPvRmT2_T3_T4_T5_mT6_T7_P12ihipStream_tbENKUlT_T0_E_clISt17integral_constantIbLb0EESY_EEDaST_SU_EUlST_E_NS1_11comp_targetILNS1_3genE8ELNS1_11target_archE1030ELNS1_3gpuE2ELNS1_3repE0EEENS1_30default_config_static_selectorELNS0_4arch9wavefront6targetE0EEEvT1_.num_agpr, 0
	.set _ZN7rocprim17ROCPRIM_400000_NS6detail17trampoline_kernelINS0_14default_configENS1_27scan_by_key_config_selectorIssEEZZNS1_16scan_by_key_implILNS1_25lookback_scan_determinismE0ELb1ES3_N6thrust23THRUST_200600_302600_NS6detail15normal_iteratorINS9_10device_ptrIsEEEESE_SE_sNS9_4plusIsEE19head_flag_predicatesEE10hipError_tPvRmT2_T3_T4_T5_mT6_T7_P12ihipStream_tbENKUlT_T0_E_clISt17integral_constantIbLb0EESY_EEDaST_SU_EUlST_E_NS1_11comp_targetILNS1_3genE8ELNS1_11target_archE1030ELNS1_3gpuE2ELNS1_3repE0EEENS1_30default_config_static_selectorELNS0_4arch9wavefront6targetE0EEEvT1_.numbered_sgpr, 0
	.set _ZN7rocprim17ROCPRIM_400000_NS6detail17trampoline_kernelINS0_14default_configENS1_27scan_by_key_config_selectorIssEEZZNS1_16scan_by_key_implILNS1_25lookback_scan_determinismE0ELb1ES3_N6thrust23THRUST_200600_302600_NS6detail15normal_iteratorINS9_10device_ptrIsEEEESE_SE_sNS9_4plusIsEE19head_flag_predicatesEE10hipError_tPvRmT2_T3_T4_T5_mT6_T7_P12ihipStream_tbENKUlT_T0_E_clISt17integral_constantIbLb0EESY_EEDaST_SU_EUlST_E_NS1_11comp_targetILNS1_3genE8ELNS1_11target_archE1030ELNS1_3gpuE2ELNS1_3repE0EEENS1_30default_config_static_selectorELNS0_4arch9wavefront6targetE0EEEvT1_.num_named_barrier, 0
	.set _ZN7rocprim17ROCPRIM_400000_NS6detail17trampoline_kernelINS0_14default_configENS1_27scan_by_key_config_selectorIssEEZZNS1_16scan_by_key_implILNS1_25lookback_scan_determinismE0ELb1ES3_N6thrust23THRUST_200600_302600_NS6detail15normal_iteratorINS9_10device_ptrIsEEEESE_SE_sNS9_4plusIsEE19head_flag_predicatesEE10hipError_tPvRmT2_T3_T4_T5_mT6_T7_P12ihipStream_tbENKUlT_T0_E_clISt17integral_constantIbLb0EESY_EEDaST_SU_EUlST_E_NS1_11comp_targetILNS1_3genE8ELNS1_11target_archE1030ELNS1_3gpuE2ELNS1_3repE0EEENS1_30default_config_static_selectorELNS0_4arch9wavefront6targetE0EEEvT1_.private_seg_size, 0
	.set _ZN7rocprim17ROCPRIM_400000_NS6detail17trampoline_kernelINS0_14default_configENS1_27scan_by_key_config_selectorIssEEZZNS1_16scan_by_key_implILNS1_25lookback_scan_determinismE0ELb1ES3_N6thrust23THRUST_200600_302600_NS6detail15normal_iteratorINS9_10device_ptrIsEEEESE_SE_sNS9_4plusIsEE19head_flag_predicatesEE10hipError_tPvRmT2_T3_T4_T5_mT6_T7_P12ihipStream_tbENKUlT_T0_E_clISt17integral_constantIbLb0EESY_EEDaST_SU_EUlST_E_NS1_11comp_targetILNS1_3genE8ELNS1_11target_archE1030ELNS1_3gpuE2ELNS1_3repE0EEENS1_30default_config_static_selectorELNS0_4arch9wavefront6targetE0EEEvT1_.uses_vcc, 0
	.set _ZN7rocprim17ROCPRIM_400000_NS6detail17trampoline_kernelINS0_14default_configENS1_27scan_by_key_config_selectorIssEEZZNS1_16scan_by_key_implILNS1_25lookback_scan_determinismE0ELb1ES3_N6thrust23THRUST_200600_302600_NS6detail15normal_iteratorINS9_10device_ptrIsEEEESE_SE_sNS9_4plusIsEE19head_flag_predicatesEE10hipError_tPvRmT2_T3_T4_T5_mT6_T7_P12ihipStream_tbENKUlT_T0_E_clISt17integral_constantIbLb0EESY_EEDaST_SU_EUlST_E_NS1_11comp_targetILNS1_3genE8ELNS1_11target_archE1030ELNS1_3gpuE2ELNS1_3repE0EEENS1_30default_config_static_selectorELNS0_4arch9wavefront6targetE0EEEvT1_.uses_flat_scratch, 0
	.set _ZN7rocprim17ROCPRIM_400000_NS6detail17trampoline_kernelINS0_14default_configENS1_27scan_by_key_config_selectorIssEEZZNS1_16scan_by_key_implILNS1_25lookback_scan_determinismE0ELb1ES3_N6thrust23THRUST_200600_302600_NS6detail15normal_iteratorINS9_10device_ptrIsEEEESE_SE_sNS9_4plusIsEE19head_flag_predicatesEE10hipError_tPvRmT2_T3_T4_T5_mT6_T7_P12ihipStream_tbENKUlT_T0_E_clISt17integral_constantIbLb0EESY_EEDaST_SU_EUlST_E_NS1_11comp_targetILNS1_3genE8ELNS1_11target_archE1030ELNS1_3gpuE2ELNS1_3repE0EEENS1_30default_config_static_selectorELNS0_4arch9wavefront6targetE0EEEvT1_.has_dyn_sized_stack, 0
	.set _ZN7rocprim17ROCPRIM_400000_NS6detail17trampoline_kernelINS0_14default_configENS1_27scan_by_key_config_selectorIssEEZZNS1_16scan_by_key_implILNS1_25lookback_scan_determinismE0ELb1ES3_N6thrust23THRUST_200600_302600_NS6detail15normal_iteratorINS9_10device_ptrIsEEEESE_SE_sNS9_4plusIsEE19head_flag_predicatesEE10hipError_tPvRmT2_T3_T4_T5_mT6_T7_P12ihipStream_tbENKUlT_T0_E_clISt17integral_constantIbLb0EESY_EEDaST_SU_EUlST_E_NS1_11comp_targetILNS1_3genE8ELNS1_11target_archE1030ELNS1_3gpuE2ELNS1_3repE0EEENS1_30default_config_static_selectorELNS0_4arch9wavefront6targetE0EEEvT1_.has_recursion, 0
	.set _ZN7rocprim17ROCPRIM_400000_NS6detail17trampoline_kernelINS0_14default_configENS1_27scan_by_key_config_selectorIssEEZZNS1_16scan_by_key_implILNS1_25lookback_scan_determinismE0ELb1ES3_N6thrust23THRUST_200600_302600_NS6detail15normal_iteratorINS9_10device_ptrIsEEEESE_SE_sNS9_4plusIsEE19head_flag_predicatesEE10hipError_tPvRmT2_T3_T4_T5_mT6_T7_P12ihipStream_tbENKUlT_T0_E_clISt17integral_constantIbLb0EESY_EEDaST_SU_EUlST_E_NS1_11comp_targetILNS1_3genE8ELNS1_11target_archE1030ELNS1_3gpuE2ELNS1_3repE0EEENS1_30default_config_static_selectorELNS0_4arch9wavefront6targetE0EEEvT1_.has_indirect_call, 0
	.section	.AMDGPU.csdata,"",@progbits
; Kernel info:
; codeLenInByte = 0
; TotalNumSgprs: 0
; NumVgprs: 0
; ScratchSize: 0
; MemoryBound: 0
; FloatMode: 240
; IeeeMode: 1
; LDSByteSize: 0 bytes/workgroup (compile time only)
; SGPRBlocks: 0
; VGPRBlocks: 0
; NumSGPRsForWavesPerEU: 1
; NumVGPRsForWavesPerEU: 1
; NamedBarCnt: 0
; Occupancy: 16
; WaveLimiterHint : 0
; COMPUTE_PGM_RSRC2:SCRATCH_EN: 0
; COMPUTE_PGM_RSRC2:USER_SGPR: 2
; COMPUTE_PGM_RSRC2:TRAP_HANDLER: 0
; COMPUTE_PGM_RSRC2:TGID_X_EN: 1
; COMPUTE_PGM_RSRC2:TGID_Y_EN: 0
; COMPUTE_PGM_RSRC2:TGID_Z_EN: 0
; COMPUTE_PGM_RSRC2:TIDIG_COMP_CNT: 0
	.section	.text._ZN7rocprim17ROCPRIM_400000_NS6detail17trampoline_kernelINS0_14default_configENS1_27scan_by_key_config_selectorIssEEZZNS1_16scan_by_key_implILNS1_25lookback_scan_determinismE0ELb1ES3_N6thrust23THRUST_200600_302600_NS6detail15normal_iteratorINS9_10device_ptrIsEEEESE_SE_sNS9_4plusIsEE19head_flag_predicatesEE10hipError_tPvRmT2_T3_T4_T5_mT6_T7_P12ihipStream_tbENKUlT_T0_E_clISt17integral_constantIbLb1EESY_EEDaST_SU_EUlST_E_NS1_11comp_targetILNS1_3genE0ELNS1_11target_archE4294967295ELNS1_3gpuE0ELNS1_3repE0EEENS1_30default_config_static_selectorELNS0_4arch9wavefront6targetE0EEEvT1_,"axG",@progbits,_ZN7rocprim17ROCPRIM_400000_NS6detail17trampoline_kernelINS0_14default_configENS1_27scan_by_key_config_selectorIssEEZZNS1_16scan_by_key_implILNS1_25lookback_scan_determinismE0ELb1ES3_N6thrust23THRUST_200600_302600_NS6detail15normal_iteratorINS9_10device_ptrIsEEEESE_SE_sNS9_4plusIsEE19head_flag_predicatesEE10hipError_tPvRmT2_T3_T4_T5_mT6_T7_P12ihipStream_tbENKUlT_T0_E_clISt17integral_constantIbLb1EESY_EEDaST_SU_EUlST_E_NS1_11comp_targetILNS1_3genE0ELNS1_11target_archE4294967295ELNS1_3gpuE0ELNS1_3repE0EEENS1_30default_config_static_selectorELNS0_4arch9wavefront6targetE0EEEvT1_,comdat
	.protected	_ZN7rocprim17ROCPRIM_400000_NS6detail17trampoline_kernelINS0_14default_configENS1_27scan_by_key_config_selectorIssEEZZNS1_16scan_by_key_implILNS1_25lookback_scan_determinismE0ELb1ES3_N6thrust23THRUST_200600_302600_NS6detail15normal_iteratorINS9_10device_ptrIsEEEESE_SE_sNS9_4plusIsEE19head_flag_predicatesEE10hipError_tPvRmT2_T3_T4_T5_mT6_T7_P12ihipStream_tbENKUlT_T0_E_clISt17integral_constantIbLb1EESY_EEDaST_SU_EUlST_E_NS1_11comp_targetILNS1_3genE0ELNS1_11target_archE4294967295ELNS1_3gpuE0ELNS1_3repE0EEENS1_30default_config_static_selectorELNS0_4arch9wavefront6targetE0EEEvT1_ ; -- Begin function _ZN7rocprim17ROCPRIM_400000_NS6detail17trampoline_kernelINS0_14default_configENS1_27scan_by_key_config_selectorIssEEZZNS1_16scan_by_key_implILNS1_25lookback_scan_determinismE0ELb1ES3_N6thrust23THRUST_200600_302600_NS6detail15normal_iteratorINS9_10device_ptrIsEEEESE_SE_sNS9_4plusIsEE19head_flag_predicatesEE10hipError_tPvRmT2_T3_T4_T5_mT6_T7_P12ihipStream_tbENKUlT_T0_E_clISt17integral_constantIbLb1EESY_EEDaST_SU_EUlST_E_NS1_11comp_targetILNS1_3genE0ELNS1_11target_archE4294967295ELNS1_3gpuE0ELNS1_3repE0EEENS1_30default_config_static_selectorELNS0_4arch9wavefront6targetE0EEEvT1_
	.globl	_ZN7rocprim17ROCPRIM_400000_NS6detail17trampoline_kernelINS0_14default_configENS1_27scan_by_key_config_selectorIssEEZZNS1_16scan_by_key_implILNS1_25lookback_scan_determinismE0ELb1ES3_N6thrust23THRUST_200600_302600_NS6detail15normal_iteratorINS9_10device_ptrIsEEEESE_SE_sNS9_4plusIsEE19head_flag_predicatesEE10hipError_tPvRmT2_T3_T4_T5_mT6_T7_P12ihipStream_tbENKUlT_T0_E_clISt17integral_constantIbLb1EESY_EEDaST_SU_EUlST_E_NS1_11comp_targetILNS1_3genE0ELNS1_11target_archE4294967295ELNS1_3gpuE0ELNS1_3repE0EEENS1_30default_config_static_selectorELNS0_4arch9wavefront6targetE0EEEvT1_
	.p2align	8
	.type	_ZN7rocprim17ROCPRIM_400000_NS6detail17trampoline_kernelINS0_14default_configENS1_27scan_by_key_config_selectorIssEEZZNS1_16scan_by_key_implILNS1_25lookback_scan_determinismE0ELb1ES3_N6thrust23THRUST_200600_302600_NS6detail15normal_iteratorINS9_10device_ptrIsEEEESE_SE_sNS9_4plusIsEE19head_flag_predicatesEE10hipError_tPvRmT2_T3_T4_T5_mT6_T7_P12ihipStream_tbENKUlT_T0_E_clISt17integral_constantIbLb1EESY_EEDaST_SU_EUlST_E_NS1_11comp_targetILNS1_3genE0ELNS1_11target_archE4294967295ELNS1_3gpuE0ELNS1_3repE0EEENS1_30default_config_static_selectorELNS0_4arch9wavefront6targetE0EEEvT1_,@function
_ZN7rocprim17ROCPRIM_400000_NS6detail17trampoline_kernelINS0_14default_configENS1_27scan_by_key_config_selectorIssEEZZNS1_16scan_by_key_implILNS1_25lookback_scan_determinismE0ELb1ES3_N6thrust23THRUST_200600_302600_NS6detail15normal_iteratorINS9_10device_ptrIsEEEESE_SE_sNS9_4plusIsEE19head_flag_predicatesEE10hipError_tPvRmT2_T3_T4_T5_mT6_T7_P12ihipStream_tbENKUlT_T0_E_clISt17integral_constantIbLb1EESY_EEDaST_SU_EUlST_E_NS1_11comp_targetILNS1_3genE0ELNS1_11target_archE4294967295ELNS1_3gpuE0ELNS1_3repE0EEENS1_30default_config_static_selectorELNS0_4arch9wavefront6targetE0EEEvT1_: ; @_ZN7rocprim17ROCPRIM_400000_NS6detail17trampoline_kernelINS0_14default_configENS1_27scan_by_key_config_selectorIssEEZZNS1_16scan_by_key_implILNS1_25lookback_scan_determinismE0ELb1ES3_N6thrust23THRUST_200600_302600_NS6detail15normal_iteratorINS9_10device_ptrIsEEEESE_SE_sNS9_4plusIsEE19head_flag_predicatesEE10hipError_tPvRmT2_T3_T4_T5_mT6_T7_P12ihipStream_tbENKUlT_T0_E_clISt17integral_constantIbLb1EESY_EEDaST_SU_EUlST_E_NS1_11comp_targetILNS1_3genE0ELNS1_11target_archE4294967295ELNS1_3gpuE0ELNS1_3repE0EEENS1_30default_config_static_selectorELNS0_4arch9wavefront6targetE0EEEvT1_
; %bb.0:
	s_endpgm
	.section	.rodata,"a",@progbits
	.p2align	6, 0x0
	.amdhsa_kernel _ZN7rocprim17ROCPRIM_400000_NS6detail17trampoline_kernelINS0_14default_configENS1_27scan_by_key_config_selectorIssEEZZNS1_16scan_by_key_implILNS1_25lookback_scan_determinismE0ELb1ES3_N6thrust23THRUST_200600_302600_NS6detail15normal_iteratorINS9_10device_ptrIsEEEESE_SE_sNS9_4plusIsEE19head_flag_predicatesEE10hipError_tPvRmT2_T3_T4_T5_mT6_T7_P12ihipStream_tbENKUlT_T0_E_clISt17integral_constantIbLb1EESY_EEDaST_SU_EUlST_E_NS1_11comp_targetILNS1_3genE0ELNS1_11target_archE4294967295ELNS1_3gpuE0ELNS1_3repE0EEENS1_30default_config_static_selectorELNS0_4arch9wavefront6targetE0EEEvT1_
		.amdhsa_group_segment_fixed_size 0
		.amdhsa_private_segment_fixed_size 0
		.amdhsa_kernarg_size 112
		.amdhsa_user_sgpr_count 2
		.amdhsa_user_sgpr_dispatch_ptr 0
		.amdhsa_user_sgpr_queue_ptr 0
		.amdhsa_user_sgpr_kernarg_segment_ptr 1
		.amdhsa_user_sgpr_dispatch_id 0
		.amdhsa_user_sgpr_kernarg_preload_length 0
		.amdhsa_user_sgpr_kernarg_preload_offset 0
		.amdhsa_user_sgpr_private_segment_size 0
		.amdhsa_wavefront_size32 1
		.amdhsa_uses_dynamic_stack 0
		.amdhsa_enable_private_segment 0
		.amdhsa_system_sgpr_workgroup_id_x 1
		.amdhsa_system_sgpr_workgroup_id_y 0
		.amdhsa_system_sgpr_workgroup_id_z 0
		.amdhsa_system_sgpr_workgroup_info 0
		.amdhsa_system_vgpr_workitem_id 0
		.amdhsa_next_free_vgpr 1
		.amdhsa_next_free_sgpr 1
		.amdhsa_named_barrier_count 0
		.amdhsa_reserve_vcc 0
		.amdhsa_float_round_mode_32 0
		.amdhsa_float_round_mode_16_64 0
		.amdhsa_float_denorm_mode_32 3
		.amdhsa_float_denorm_mode_16_64 3
		.amdhsa_fp16_overflow 0
		.amdhsa_memory_ordered 1
		.amdhsa_forward_progress 1
		.amdhsa_inst_pref_size 1
		.amdhsa_round_robin_scheduling 0
		.amdhsa_exception_fp_ieee_invalid_op 0
		.amdhsa_exception_fp_denorm_src 0
		.amdhsa_exception_fp_ieee_div_zero 0
		.amdhsa_exception_fp_ieee_overflow 0
		.amdhsa_exception_fp_ieee_underflow 0
		.amdhsa_exception_fp_ieee_inexact 0
		.amdhsa_exception_int_div_zero 0
	.end_amdhsa_kernel
	.section	.text._ZN7rocprim17ROCPRIM_400000_NS6detail17trampoline_kernelINS0_14default_configENS1_27scan_by_key_config_selectorIssEEZZNS1_16scan_by_key_implILNS1_25lookback_scan_determinismE0ELb1ES3_N6thrust23THRUST_200600_302600_NS6detail15normal_iteratorINS9_10device_ptrIsEEEESE_SE_sNS9_4plusIsEE19head_flag_predicatesEE10hipError_tPvRmT2_T3_T4_T5_mT6_T7_P12ihipStream_tbENKUlT_T0_E_clISt17integral_constantIbLb1EESY_EEDaST_SU_EUlST_E_NS1_11comp_targetILNS1_3genE0ELNS1_11target_archE4294967295ELNS1_3gpuE0ELNS1_3repE0EEENS1_30default_config_static_selectorELNS0_4arch9wavefront6targetE0EEEvT1_,"axG",@progbits,_ZN7rocprim17ROCPRIM_400000_NS6detail17trampoline_kernelINS0_14default_configENS1_27scan_by_key_config_selectorIssEEZZNS1_16scan_by_key_implILNS1_25lookback_scan_determinismE0ELb1ES3_N6thrust23THRUST_200600_302600_NS6detail15normal_iteratorINS9_10device_ptrIsEEEESE_SE_sNS9_4plusIsEE19head_flag_predicatesEE10hipError_tPvRmT2_T3_T4_T5_mT6_T7_P12ihipStream_tbENKUlT_T0_E_clISt17integral_constantIbLb1EESY_EEDaST_SU_EUlST_E_NS1_11comp_targetILNS1_3genE0ELNS1_11target_archE4294967295ELNS1_3gpuE0ELNS1_3repE0EEENS1_30default_config_static_selectorELNS0_4arch9wavefront6targetE0EEEvT1_,comdat
.Lfunc_end866:
	.size	_ZN7rocprim17ROCPRIM_400000_NS6detail17trampoline_kernelINS0_14default_configENS1_27scan_by_key_config_selectorIssEEZZNS1_16scan_by_key_implILNS1_25lookback_scan_determinismE0ELb1ES3_N6thrust23THRUST_200600_302600_NS6detail15normal_iteratorINS9_10device_ptrIsEEEESE_SE_sNS9_4plusIsEE19head_flag_predicatesEE10hipError_tPvRmT2_T3_T4_T5_mT6_T7_P12ihipStream_tbENKUlT_T0_E_clISt17integral_constantIbLb1EESY_EEDaST_SU_EUlST_E_NS1_11comp_targetILNS1_3genE0ELNS1_11target_archE4294967295ELNS1_3gpuE0ELNS1_3repE0EEENS1_30default_config_static_selectorELNS0_4arch9wavefront6targetE0EEEvT1_, .Lfunc_end866-_ZN7rocprim17ROCPRIM_400000_NS6detail17trampoline_kernelINS0_14default_configENS1_27scan_by_key_config_selectorIssEEZZNS1_16scan_by_key_implILNS1_25lookback_scan_determinismE0ELb1ES3_N6thrust23THRUST_200600_302600_NS6detail15normal_iteratorINS9_10device_ptrIsEEEESE_SE_sNS9_4plusIsEE19head_flag_predicatesEE10hipError_tPvRmT2_T3_T4_T5_mT6_T7_P12ihipStream_tbENKUlT_T0_E_clISt17integral_constantIbLb1EESY_EEDaST_SU_EUlST_E_NS1_11comp_targetILNS1_3genE0ELNS1_11target_archE4294967295ELNS1_3gpuE0ELNS1_3repE0EEENS1_30default_config_static_selectorELNS0_4arch9wavefront6targetE0EEEvT1_
                                        ; -- End function
	.set _ZN7rocprim17ROCPRIM_400000_NS6detail17trampoline_kernelINS0_14default_configENS1_27scan_by_key_config_selectorIssEEZZNS1_16scan_by_key_implILNS1_25lookback_scan_determinismE0ELb1ES3_N6thrust23THRUST_200600_302600_NS6detail15normal_iteratorINS9_10device_ptrIsEEEESE_SE_sNS9_4plusIsEE19head_flag_predicatesEE10hipError_tPvRmT2_T3_T4_T5_mT6_T7_P12ihipStream_tbENKUlT_T0_E_clISt17integral_constantIbLb1EESY_EEDaST_SU_EUlST_E_NS1_11comp_targetILNS1_3genE0ELNS1_11target_archE4294967295ELNS1_3gpuE0ELNS1_3repE0EEENS1_30default_config_static_selectorELNS0_4arch9wavefront6targetE0EEEvT1_.num_vgpr, 0
	.set _ZN7rocprim17ROCPRIM_400000_NS6detail17trampoline_kernelINS0_14default_configENS1_27scan_by_key_config_selectorIssEEZZNS1_16scan_by_key_implILNS1_25lookback_scan_determinismE0ELb1ES3_N6thrust23THRUST_200600_302600_NS6detail15normal_iteratorINS9_10device_ptrIsEEEESE_SE_sNS9_4plusIsEE19head_flag_predicatesEE10hipError_tPvRmT2_T3_T4_T5_mT6_T7_P12ihipStream_tbENKUlT_T0_E_clISt17integral_constantIbLb1EESY_EEDaST_SU_EUlST_E_NS1_11comp_targetILNS1_3genE0ELNS1_11target_archE4294967295ELNS1_3gpuE0ELNS1_3repE0EEENS1_30default_config_static_selectorELNS0_4arch9wavefront6targetE0EEEvT1_.num_agpr, 0
	.set _ZN7rocprim17ROCPRIM_400000_NS6detail17trampoline_kernelINS0_14default_configENS1_27scan_by_key_config_selectorIssEEZZNS1_16scan_by_key_implILNS1_25lookback_scan_determinismE0ELb1ES3_N6thrust23THRUST_200600_302600_NS6detail15normal_iteratorINS9_10device_ptrIsEEEESE_SE_sNS9_4plusIsEE19head_flag_predicatesEE10hipError_tPvRmT2_T3_T4_T5_mT6_T7_P12ihipStream_tbENKUlT_T0_E_clISt17integral_constantIbLb1EESY_EEDaST_SU_EUlST_E_NS1_11comp_targetILNS1_3genE0ELNS1_11target_archE4294967295ELNS1_3gpuE0ELNS1_3repE0EEENS1_30default_config_static_selectorELNS0_4arch9wavefront6targetE0EEEvT1_.numbered_sgpr, 0
	.set _ZN7rocprim17ROCPRIM_400000_NS6detail17trampoline_kernelINS0_14default_configENS1_27scan_by_key_config_selectorIssEEZZNS1_16scan_by_key_implILNS1_25lookback_scan_determinismE0ELb1ES3_N6thrust23THRUST_200600_302600_NS6detail15normal_iteratorINS9_10device_ptrIsEEEESE_SE_sNS9_4plusIsEE19head_flag_predicatesEE10hipError_tPvRmT2_T3_T4_T5_mT6_T7_P12ihipStream_tbENKUlT_T0_E_clISt17integral_constantIbLb1EESY_EEDaST_SU_EUlST_E_NS1_11comp_targetILNS1_3genE0ELNS1_11target_archE4294967295ELNS1_3gpuE0ELNS1_3repE0EEENS1_30default_config_static_selectorELNS0_4arch9wavefront6targetE0EEEvT1_.num_named_barrier, 0
	.set _ZN7rocprim17ROCPRIM_400000_NS6detail17trampoline_kernelINS0_14default_configENS1_27scan_by_key_config_selectorIssEEZZNS1_16scan_by_key_implILNS1_25lookback_scan_determinismE0ELb1ES3_N6thrust23THRUST_200600_302600_NS6detail15normal_iteratorINS9_10device_ptrIsEEEESE_SE_sNS9_4plusIsEE19head_flag_predicatesEE10hipError_tPvRmT2_T3_T4_T5_mT6_T7_P12ihipStream_tbENKUlT_T0_E_clISt17integral_constantIbLb1EESY_EEDaST_SU_EUlST_E_NS1_11comp_targetILNS1_3genE0ELNS1_11target_archE4294967295ELNS1_3gpuE0ELNS1_3repE0EEENS1_30default_config_static_selectorELNS0_4arch9wavefront6targetE0EEEvT1_.private_seg_size, 0
	.set _ZN7rocprim17ROCPRIM_400000_NS6detail17trampoline_kernelINS0_14default_configENS1_27scan_by_key_config_selectorIssEEZZNS1_16scan_by_key_implILNS1_25lookback_scan_determinismE0ELb1ES3_N6thrust23THRUST_200600_302600_NS6detail15normal_iteratorINS9_10device_ptrIsEEEESE_SE_sNS9_4plusIsEE19head_flag_predicatesEE10hipError_tPvRmT2_T3_T4_T5_mT6_T7_P12ihipStream_tbENKUlT_T0_E_clISt17integral_constantIbLb1EESY_EEDaST_SU_EUlST_E_NS1_11comp_targetILNS1_3genE0ELNS1_11target_archE4294967295ELNS1_3gpuE0ELNS1_3repE0EEENS1_30default_config_static_selectorELNS0_4arch9wavefront6targetE0EEEvT1_.uses_vcc, 0
	.set _ZN7rocprim17ROCPRIM_400000_NS6detail17trampoline_kernelINS0_14default_configENS1_27scan_by_key_config_selectorIssEEZZNS1_16scan_by_key_implILNS1_25lookback_scan_determinismE0ELb1ES3_N6thrust23THRUST_200600_302600_NS6detail15normal_iteratorINS9_10device_ptrIsEEEESE_SE_sNS9_4plusIsEE19head_flag_predicatesEE10hipError_tPvRmT2_T3_T4_T5_mT6_T7_P12ihipStream_tbENKUlT_T0_E_clISt17integral_constantIbLb1EESY_EEDaST_SU_EUlST_E_NS1_11comp_targetILNS1_3genE0ELNS1_11target_archE4294967295ELNS1_3gpuE0ELNS1_3repE0EEENS1_30default_config_static_selectorELNS0_4arch9wavefront6targetE0EEEvT1_.uses_flat_scratch, 0
	.set _ZN7rocprim17ROCPRIM_400000_NS6detail17trampoline_kernelINS0_14default_configENS1_27scan_by_key_config_selectorIssEEZZNS1_16scan_by_key_implILNS1_25lookback_scan_determinismE0ELb1ES3_N6thrust23THRUST_200600_302600_NS6detail15normal_iteratorINS9_10device_ptrIsEEEESE_SE_sNS9_4plusIsEE19head_flag_predicatesEE10hipError_tPvRmT2_T3_T4_T5_mT6_T7_P12ihipStream_tbENKUlT_T0_E_clISt17integral_constantIbLb1EESY_EEDaST_SU_EUlST_E_NS1_11comp_targetILNS1_3genE0ELNS1_11target_archE4294967295ELNS1_3gpuE0ELNS1_3repE0EEENS1_30default_config_static_selectorELNS0_4arch9wavefront6targetE0EEEvT1_.has_dyn_sized_stack, 0
	.set _ZN7rocprim17ROCPRIM_400000_NS6detail17trampoline_kernelINS0_14default_configENS1_27scan_by_key_config_selectorIssEEZZNS1_16scan_by_key_implILNS1_25lookback_scan_determinismE0ELb1ES3_N6thrust23THRUST_200600_302600_NS6detail15normal_iteratorINS9_10device_ptrIsEEEESE_SE_sNS9_4plusIsEE19head_flag_predicatesEE10hipError_tPvRmT2_T3_T4_T5_mT6_T7_P12ihipStream_tbENKUlT_T0_E_clISt17integral_constantIbLb1EESY_EEDaST_SU_EUlST_E_NS1_11comp_targetILNS1_3genE0ELNS1_11target_archE4294967295ELNS1_3gpuE0ELNS1_3repE0EEENS1_30default_config_static_selectorELNS0_4arch9wavefront6targetE0EEEvT1_.has_recursion, 0
	.set _ZN7rocprim17ROCPRIM_400000_NS6detail17trampoline_kernelINS0_14default_configENS1_27scan_by_key_config_selectorIssEEZZNS1_16scan_by_key_implILNS1_25lookback_scan_determinismE0ELb1ES3_N6thrust23THRUST_200600_302600_NS6detail15normal_iteratorINS9_10device_ptrIsEEEESE_SE_sNS9_4plusIsEE19head_flag_predicatesEE10hipError_tPvRmT2_T3_T4_T5_mT6_T7_P12ihipStream_tbENKUlT_T0_E_clISt17integral_constantIbLb1EESY_EEDaST_SU_EUlST_E_NS1_11comp_targetILNS1_3genE0ELNS1_11target_archE4294967295ELNS1_3gpuE0ELNS1_3repE0EEENS1_30default_config_static_selectorELNS0_4arch9wavefront6targetE0EEEvT1_.has_indirect_call, 0
	.section	.AMDGPU.csdata,"",@progbits
; Kernel info:
; codeLenInByte = 4
; TotalNumSgprs: 0
; NumVgprs: 0
; ScratchSize: 0
; MemoryBound: 0
; FloatMode: 240
; IeeeMode: 1
; LDSByteSize: 0 bytes/workgroup (compile time only)
; SGPRBlocks: 0
; VGPRBlocks: 0
; NumSGPRsForWavesPerEU: 1
; NumVGPRsForWavesPerEU: 1
; NamedBarCnt: 0
; Occupancy: 16
; WaveLimiterHint : 0
; COMPUTE_PGM_RSRC2:SCRATCH_EN: 0
; COMPUTE_PGM_RSRC2:USER_SGPR: 2
; COMPUTE_PGM_RSRC2:TRAP_HANDLER: 0
; COMPUTE_PGM_RSRC2:TGID_X_EN: 1
; COMPUTE_PGM_RSRC2:TGID_Y_EN: 0
; COMPUTE_PGM_RSRC2:TGID_Z_EN: 0
; COMPUTE_PGM_RSRC2:TIDIG_COMP_CNT: 0
	.section	.text._ZN7rocprim17ROCPRIM_400000_NS6detail17trampoline_kernelINS0_14default_configENS1_27scan_by_key_config_selectorIssEEZZNS1_16scan_by_key_implILNS1_25lookback_scan_determinismE0ELb1ES3_N6thrust23THRUST_200600_302600_NS6detail15normal_iteratorINS9_10device_ptrIsEEEESE_SE_sNS9_4plusIsEE19head_flag_predicatesEE10hipError_tPvRmT2_T3_T4_T5_mT6_T7_P12ihipStream_tbENKUlT_T0_E_clISt17integral_constantIbLb1EESY_EEDaST_SU_EUlST_E_NS1_11comp_targetILNS1_3genE10ELNS1_11target_archE1201ELNS1_3gpuE5ELNS1_3repE0EEENS1_30default_config_static_selectorELNS0_4arch9wavefront6targetE0EEEvT1_,"axG",@progbits,_ZN7rocprim17ROCPRIM_400000_NS6detail17trampoline_kernelINS0_14default_configENS1_27scan_by_key_config_selectorIssEEZZNS1_16scan_by_key_implILNS1_25lookback_scan_determinismE0ELb1ES3_N6thrust23THRUST_200600_302600_NS6detail15normal_iteratorINS9_10device_ptrIsEEEESE_SE_sNS9_4plusIsEE19head_flag_predicatesEE10hipError_tPvRmT2_T3_T4_T5_mT6_T7_P12ihipStream_tbENKUlT_T0_E_clISt17integral_constantIbLb1EESY_EEDaST_SU_EUlST_E_NS1_11comp_targetILNS1_3genE10ELNS1_11target_archE1201ELNS1_3gpuE5ELNS1_3repE0EEENS1_30default_config_static_selectorELNS0_4arch9wavefront6targetE0EEEvT1_,comdat
	.protected	_ZN7rocprim17ROCPRIM_400000_NS6detail17trampoline_kernelINS0_14default_configENS1_27scan_by_key_config_selectorIssEEZZNS1_16scan_by_key_implILNS1_25lookback_scan_determinismE0ELb1ES3_N6thrust23THRUST_200600_302600_NS6detail15normal_iteratorINS9_10device_ptrIsEEEESE_SE_sNS9_4plusIsEE19head_flag_predicatesEE10hipError_tPvRmT2_T3_T4_T5_mT6_T7_P12ihipStream_tbENKUlT_T0_E_clISt17integral_constantIbLb1EESY_EEDaST_SU_EUlST_E_NS1_11comp_targetILNS1_3genE10ELNS1_11target_archE1201ELNS1_3gpuE5ELNS1_3repE0EEENS1_30default_config_static_selectorELNS0_4arch9wavefront6targetE0EEEvT1_ ; -- Begin function _ZN7rocprim17ROCPRIM_400000_NS6detail17trampoline_kernelINS0_14default_configENS1_27scan_by_key_config_selectorIssEEZZNS1_16scan_by_key_implILNS1_25lookback_scan_determinismE0ELb1ES3_N6thrust23THRUST_200600_302600_NS6detail15normal_iteratorINS9_10device_ptrIsEEEESE_SE_sNS9_4plusIsEE19head_flag_predicatesEE10hipError_tPvRmT2_T3_T4_T5_mT6_T7_P12ihipStream_tbENKUlT_T0_E_clISt17integral_constantIbLb1EESY_EEDaST_SU_EUlST_E_NS1_11comp_targetILNS1_3genE10ELNS1_11target_archE1201ELNS1_3gpuE5ELNS1_3repE0EEENS1_30default_config_static_selectorELNS0_4arch9wavefront6targetE0EEEvT1_
	.globl	_ZN7rocprim17ROCPRIM_400000_NS6detail17trampoline_kernelINS0_14default_configENS1_27scan_by_key_config_selectorIssEEZZNS1_16scan_by_key_implILNS1_25lookback_scan_determinismE0ELb1ES3_N6thrust23THRUST_200600_302600_NS6detail15normal_iteratorINS9_10device_ptrIsEEEESE_SE_sNS9_4plusIsEE19head_flag_predicatesEE10hipError_tPvRmT2_T3_T4_T5_mT6_T7_P12ihipStream_tbENKUlT_T0_E_clISt17integral_constantIbLb1EESY_EEDaST_SU_EUlST_E_NS1_11comp_targetILNS1_3genE10ELNS1_11target_archE1201ELNS1_3gpuE5ELNS1_3repE0EEENS1_30default_config_static_selectorELNS0_4arch9wavefront6targetE0EEEvT1_
	.p2align	8
	.type	_ZN7rocprim17ROCPRIM_400000_NS6detail17trampoline_kernelINS0_14default_configENS1_27scan_by_key_config_selectorIssEEZZNS1_16scan_by_key_implILNS1_25lookback_scan_determinismE0ELb1ES3_N6thrust23THRUST_200600_302600_NS6detail15normal_iteratorINS9_10device_ptrIsEEEESE_SE_sNS9_4plusIsEE19head_flag_predicatesEE10hipError_tPvRmT2_T3_T4_T5_mT6_T7_P12ihipStream_tbENKUlT_T0_E_clISt17integral_constantIbLb1EESY_EEDaST_SU_EUlST_E_NS1_11comp_targetILNS1_3genE10ELNS1_11target_archE1201ELNS1_3gpuE5ELNS1_3repE0EEENS1_30default_config_static_selectorELNS0_4arch9wavefront6targetE0EEEvT1_,@function
_ZN7rocprim17ROCPRIM_400000_NS6detail17trampoline_kernelINS0_14default_configENS1_27scan_by_key_config_selectorIssEEZZNS1_16scan_by_key_implILNS1_25lookback_scan_determinismE0ELb1ES3_N6thrust23THRUST_200600_302600_NS6detail15normal_iteratorINS9_10device_ptrIsEEEESE_SE_sNS9_4plusIsEE19head_flag_predicatesEE10hipError_tPvRmT2_T3_T4_T5_mT6_T7_P12ihipStream_tbENKUlT_T0_E_clISt17integral_constantIbLb1EESY_EEDaST_SU_EUlST_E_NS1_11comp_targetILNS1_3genE10ELNS1_11target_archE1201ELNS1_3gpuE5ELNS1_3repE0EEENS1_30default_config_static_selectorELNS0_4arch9wavefront6targetE0EEEvT1_: ; @_ZN7rocprim17ROCPRIM_400000_NS6detail17trampoline_kernelINS0_14default_configENS1_27scan_by_key_config_selectorIssEEZZNS1_16scan_by_key_implILNS1_25lookback_scan_determinismE0ELb1ES3_N6thrust23THRUST_200600_302600_NS6detail15normal_iteratorINS9_10device_ptrIsEEEESE_SE_sNS9_4plusIsEE19head_flag_predicatesEE10hipError_tPvRmT2_T3_T4_T5_mT6_T7_P12ihipStream_tbENKUlT_T0_E_clISt17integral_constantIbLb1EESY_EEDaST_SU_EUlST_E_NS1_11comp_targetILNS1_3genE10ELNS1_11target_archE1201ELNS1_3gpuE5ELNS1_3repE0EEENS1_30default_config_static_selectorELNS0_4arch9wavefront6targetE0EEEvT1_
; %bb.0:
	.section	.rodata,"a",@progbits
	.p2align	6, 0x0
	.amdhsa_kernel _ZN7rocprim17ROCPRIM_400000_NS6detail17trampoline_kernelINS0_14default_configENS1_27scan_by_key_config_selectorIssEEZZNS1_16scan_by_key_implILNS1_25lookback_scan_determinismE0ELb1ES3_N6thrust23THRUST_200600_302600_NS6detail15normal_iteratorINS9_10device_ptrIsEEEESE_SE_sNS9_4plusIsEE19head_flag_predicatesEE10hipError_tPvRmT2_T3_T4_T5_mT6_T7_P12ihipStream_tbENKUlT_T0_E_clISt17integral_constantIbLb1EESY_EEDaST_SU_EUlST_E_NS1_11comp_targetILNS1_3genE10ELNS1_11target_archE1201ELNS1_3gpuE5ELNS1_3repE0EEENS1_30default_config_static_selectorELNS0_4arch9wavefront6targetE0EEEvT1_
		.amdhsa_group_segment_fixed_size 0
		.amdhsa_private_segment_fixed_size 0
		.amdhsa_kernarg_size 112
		.amdhsa_user_sgpr_count 2
		.amdhsa_user_sgpr_dispatch_ptr 0
		.amdhsa_user_sgpr_queue_ptr 0
		.amdhsa_user_sgpr_kernarg_segment_ptr 1
		.amdhsa_user_sgpr_dispatch_id 0
		.amdhsa_user_sgpr_kernarg_preload_length 0
		.amdhsa_user_sgpr_kernarg_preload_offset 0
		.amdhsa_user_sgpr_private_segment_size 0
		.amdhsa_wavefront_size32 1
		.amdhsa_uses_dynamic_stack 0
		.amdhsa_enable_private_segment 0
		.amdhsa_system_sgpr_workgroup_id_x 1
		.amdhsa_system_sgpr_workgroup_id_y 0
		.amdhsa_system_sgpr_workgroup_id_z 0
		.amdhsa_system_sgpr_workgroup_info 0
		.amdhsa_system_vgpr_workitem_id 0
		.amdhsa_next_free_vgpr 1
		.amdhsa_next_free_sgpr 1
		.amdhsa_named_barrier_count 0
		.amdhsa_reserve_vcc 0
		.amdhsa_float_round_mode_32 0
		.amdhsa_float_round_mode_16_64 0
		.amdhsa_float_denorm_mode_32 3
		.amdhsa_float_denorm_mode_16_64 3
		.amdhsa_fp16_overflow 0
		.amdhsa_memory_ordered 1
		.amdhsa_forward_progress 1
		.amdhsa_inst_pref_size 0
		.amdhsa_round_robin_scheduling 0
		.amdhsa_exception_fp_ieee_invalid_op 0
		.amdhsa_exception_fp_denorm_src 0
		.amdhsa_exception_fp_ieee_div_zero 0
		.amdhsa_exception_fp_ieee_overflow 0
		.amdhsa_exception_fp_ieee_underflow 0
		.amdhsa_exception_fp_ieee_inexact 0
		.amdhsa_exception_int_div_zero 0
	.end_amdhsa_kernel
	.section	.text._ZN7rocprim17ROCPRIM_400000_NS6detail17trampoline_kernelINS0_14default_configENS1_27scan_by_key_config_selectorIssEEZZNS1_16scan_by_key_implILNS1_25lookback_scan_determinismE0ELb1ES3_N6thrust23THRUST_200600_302600_NS6detail15normal_iteratorINS9_10device_ptrIsEEEESE_SE_sNS9_4plusIsEE19head_flag_predicatesEE10hipError_tPvRmT2_T3_T4_T5_mT6_T7_P12ihipStream_tbENKUlT_T0_E_clISt17integral_constantIbLb1EESY_EEDaST_SU_EUlST_E_NS1_11comp_targetILNS1_3genE10ELNS1_11target_archE1201ELNS1_3gpuE5ELNS1_3repE0EEENS1_30default_config_static_selectorELNS0_4arch9wavefront6targetE0EEEvT1_,"axG",@progbits,_ZN7rocprim17ROCPRIM_400000_NS6detail17trampoline_kernelINS0_14default_configENS1_27scan_by_key_config_selectorIssEEZZNS1_16scan_by_key_implILNS1_25lookback_scan_determinismE0ELb1ES3_N6thrust23THRUST_200600_302600_NS6detail15normal_iteratorINS9_10device_ptrIsEEEESE_SE_sNS9_4plusIsEE19head_flag_predicatesEE10hipError_tPvRmT2_T3_T4_T5_mT6_T7_P12ihipStream_tbENKUlT_T0_E_clISt17integral_constantIbLb1EESY_EEDaST_SU_EUlST_E_NS1_11comp_targetILNS1_3genE10ELNS1_11target_archE1201ELNS1_3gpuE5ELNS1_3repE0EEENS1_30default_config_static_selectorELNS0_4arch9wavefront6targetE0EEEvT1_,comdat
.Lfunc_end867:
	.size	_ZN7rocprim17ROCPRIM_400000_NS6detail17trampoline_kernelINS0_14default_configENS1_27scan_by_key_config_selectorIssEEZZNS1_16scan_by_key_implILNS1_25lookback_scan_determinismE0ELb1ES3_N6thrust23THRUST_200600_302600_NS6detail15normal_iteratorINS9_10device_ptrIsEEEESE_SE_sNS9_4plusIsEE19head_flag_predicatesEE10hipError_tPvRmT2_T3_T4_T5_mT6_T7_P12ihipStream_tbENKUlT_T0_E_clISt17integral_constantIbLb1EESY_EEDaST_SU_EUlST_E_NS1_11comp_targetILNS1_3genE10ELNS1_11target_archE1201ELNS1_3gpuE5ELNS1_3repE0EEENS1_30default_config_static_selectorELNS0_4arch9wavefront6targetE0EEEvT1_, .Lfunc_end867-_ZN7rocprim17ROCPRIM_400000_NS6detail17trampoline_kernelINS0_14default_configENS1_27scan_by_key_config_selectorIssEEZZNS1_16scan_by_key_implILNS1_25lookback_scan_determinismE0ELb1ES3_N6thrust23THRUST_200600_302600_NS6detail15normal_iteratorINS9_10device_ptrIsEEEESE_SE_sNS9_4plusIsEE19head_flag_predicatesEE10hipError_tPvRmT2_T3_T4_T5_mT6_T7_P12ihipStream_tbENKUlT_T0_E_clISt17integral_constantIbLb1EESY_EEDaST_SU_EUlST_E_NS1_11comp_targetILNS1_3genE10ELNS1_11target_archE1201ELNS1_3gpuE5ELNS1_3repE0EEENS1_30default_config_static_selectorELNS0_4arch9wavefront6targetE0EEEvT1_
                                        ; -- End function
	.set _ZN7rocprim17ROCPRIM_400000_NS6detail17trampoline_kernelINS0_14default_configENS1_27scan_by_key_config_selectorIssEEZZNS1_16scan_by_key_implILNS1_25lookback_scan_determinismE0ELb1ES3_N6thrust23THRUST_200600_302600_NS6detail15normal_iteratorINS9_10device_ptrIsEEEESE_SE_sNS9_4plusIsEE19head_flag_predicatesEE10hipError_tPvRmT2_T3_T4_T5_mT6_T7_P12ihipStream_tbENKUlT_T0_E_clISt17integral_constantIbLb1EESY_EEDaST_SU_EUlST_E_NS1_11comp_targetILNS1_3genE10ELNS1_11target_archE1201ELNS1_3gpuE5ELNS1_3repE0EEENS1_30default_config_static_selectorELNS0_4arch9wavefront6targetE0EEEvT1_.num_vgpr, 0
	.set _ZN7rocprim17ROCPRIM_400000_NS6detail17trampoline_kernelINS0_14default_configENS1_27scan_by_key_config_selectorIssEEZZNS1_16scan_by_key_implILNS1_25lookback_scan_determinismE0ELb1ES3_N6thrust23THRUST_200600_302600_NS6detail15normal_iteratorINS9_10device_ptrIsEEEESE_SE_sNS9_4plusIsEE19head_flag_predicatesEE10hipError_tPvRmT2_T3_T4_T5_mT6_T7_P12ihipStream_tbENKUlT_T0_E_clISt17integral_constantIbLb1EESY_EEDaST_SU_EUlST_E_NS1_11comp_targetILNS1_3genE10ELNS1_11target_archE1201ELNS1_3gpuE5ELNS1_3repE0EEENS1_30default_config_static_selectorELNS0_4arch9wavefront6targetE0EEEvT1_.num_agpr, 0
	.set _ZN7rocprim17ROCPRIM_400000_NS6detail17trampoline_kernelINS0_14default_configENS1_27scan_by_key_config_selectorIssEEZZNS1_16scan_by_key_implILNS1_25lookback_scan_determinismE0ELb1ES3_N6thrust23THRUST_200600_302600_NS6detail15normal_iteratorINS9_10device_ptrIsEEEESE_SE_sNS9_4plusIsEE19head_flag_predicatesEE10hipError_tPvRmT2_T3_T4_T5_mT6_T7_P12ihipStream_tbENKUlT_T0_E_clISt17integral_constantIbLb1EESY_EEDaST_SU_EUlST_E_NS1_11comp_targetILNS1_3genE10ELNS1_11target_archE1201ELNS1_3gpuE5ELNS1_3repE0EEENS1_30default_config_static_selectorELNS0_4arch9wavefront6targetE0EEEvT1_.numbered_sgpr, 0
	.set _ZN7rocprim17ROCPRIM_400000_NS6detail17trampoline_kernelINS0_14default_configENS1_27scan_by_key_config_selectorIssEEZZNS1_16scan_by_key_implILNS1_25lookback_scan_determinismE0ELb1ES3_N6thrust23THRUST_200600_302600_NS6detail15normal_iteratorINS9_10device_ptrIsEEEESE_SE_sNS9_4plusIsEE19head_flag_predicatesEE10hipError_tPvRmT2_T3_T4_T5_mT6_T7_P12ihipStream_tbENKUlT_T0_E_clISt17integral_constantIbLb1EESY_EEDaST_SU_EUlST_E_NS1_11comp_targetILNS1_3genE10ELNS1_11target_archE1201ELNS1_3gpuE5ELNS1_3repE0EEENS1_30default_config_static_selectorELNS0_4arch9wavefront6targetE0EEEvT1_.num_named_barrier, 0
	.set _ZN7rocprim17ROCPRIM_400000_NS6detail17trampoline_kernelINS0_14default_configENS1_27scan_by_key_config_selectorIssEEZZNS1_16scan_by_key_implILNS1_25lookback_scan_determinismE0ELb1ES3_N6thrust23THRUST_200600_302600_NS6detail15normal_iteratorINS9_10device_ptrIsEEEESE_SE_sNS9_4plusIsEE19head_flag_predicatesEE10hipError_tPvRmT2_T3_T4_T5_mT6_T7_P12ihipStream_tbENKUlT_T0_E_clISt17integral_constantIbLb1EESY_EEDaST_SU_EUlST_E_NS1_11comp_targetILNS1_3genE10ELNS1_11target_archE1201ELNS1_3gpuE5ELNS1_3repE0EEENS1_30default_config_static_selectorELNS0_4arch9wavefront6targetE0EEEvT1_.private_seg_size, 0
	.set _ZN7rocprim17ROCPRIM_400000_NS6detail17trampoline_kernelINS0_14default_configENS1_27scan_by_key_config_selectorIssEEZZNS1_16scan_by_key_implILNS1_25lookback_scan_determinismE0ELb1ES3_N6thrust23THRUST_200600_302600_NS6detail15normal_iteratorINS9_10device_ptrIsEEEESE_SE_sNS9_4plusIsEE19head_flag_predicatesEE10hipError_tPvRmT2_T3_T4_T5_mT6_T7_P12ihipStream_tbENKUlT_T0_E_clISt17integral_constantIbLb1EESY_EEDaST_SU_EUlST_E_NS1_11comp_targetILNS1_3genE10ELNS1_11target_archE1201ELNS1_3gpuE5ELNS1_3repE0EEENS1_30default_config_static_selectorELNS0_4arch9wavefront6targetE0EEEvT1_.uses_vcc, 0
	.set _ZN7rocprim17ROCPRIM_400000_NS6detail17trampoline_kernelINS0_14default_configENS1_27scan_by_key_config_selectorIssEEZZNS1_16scan_by_key_implILNS1_25lookback_scan_determinismE0ELb1ES3_N6thrust23THRUST_200600_302600_NS6detail15normal_iteratorINS9_10device_ptrIsEEEESE_SE_sNS9_4plusIsEE19head_flag_predicatesEE10hipError_tPvRmT2_T3_T4_T5_mT6_T7_P12ihipStream_tbENKUlT_T0_E_clISt17integral_constantIbLb1EESY_EEDaST_SU_EUlST_E_NS1_11comp_targetILNS1_3genE10ELNS1_11target_archE1201ELNS1_3gpuE5ELNS1_3repE0EEENS1_30default_config_static_selectorELNS0_4arch9wavefront6targetE0EEEvT1_.uses_flat_scratch, 0
	.set _ZN7rocprim17ROCPRIM_400000_NS6detail17trampoline_kernelINS0_14default_configENS1_27scan_by_key_config_selectorIssEEZZNS1_16scan_by_key_implILNS1_25lookback_scan_determinismE0ELb1ES3_N6thrust23THRUST_200600_302600_NS6detail15normal_iteratorINS9_10device_ptrIsEEEESE_SE_sNS9_4plusIsEE19head_flag_predicatesEE10hipError_tPvRmT2_T3_T4_T5_mT6_T7_P12ihipStream_tbENKUlT_T0_E_clISt17integral_constantIbLb1EESY_EEDaST_SU_EUlST_E_NS1_11comp_targetILNS1_3genE10ELNS1_11target_archE1201ELNS1_3gpuE5ELNS1_3repE0EEENS1_30default_config_static_selectorELNS0_4arch9wavefront6targetE0EEEvT1_.has_dyn_sized_stack, 0
	.set _ZN7rocprim17ROCPRIM_400000_NS6detail17trampoline_kernelINS0_14default_configENS1_27scan_by_key_config_selectorIssEEZZNS1_16scan_by_key_implILNS1_25lookback_scan_determinismE0ELb1ES3_N6thrust23THRUST_200600_302600_NS6detail15normal_iteratorINS9_10device_ptrIsEEEESE_SE_sNS9_4plusIsEE19head_flag_predicatesEE10hipError_tPvRmT2_T3_T4_T5_mT6_T7_P12ihipStream_tbENKUlT_T0_E_clISt17integral_constantIbLb1EESY_EEDaST_SU_EUlST_E_NS1_11comp_targetILNS1_3genE10ELNS1_11target_archE1201ELNS1_3gpuE5ELNS1_3repE0EEENS1_30default_config_static_selectorELNS0_4arch9wavefront6targetE0EEEvT1_.has_recursion, 0
	.set _ZN7rocprim17ROCPRIM_400000_NS6detail17trampoline_kernelINS0_14default_configENS1_27scan_by_key_config_selectorIssEEZZNS1_16scan_by_key_implILNS1_25lookback_scan_determinismE0ELb1ES3_N6thrust23THRUST_200600_302600_NS6detail15normal_iteratorINS9_10device_ptrIsEEEESE_SE_sNS9_4plusIsEE19head_flag_predicatesEE10hipError_tPvRmT2_T3_T4_T5_mT6_T7_P12ihipStream_tbENKUlT_T0_E_clISt17integral_constantIbLb1EESY_EEDaST_SU_EUlST_E_NS1_11comp_targetILNS1_3genE10ELNS1_11target_archE1201ELNS1_3gpuE5ELNS1_3repE0EEENS1_30default_config_static_selectorELNS0_4arch9wavefront6targetE0EEEvT1_.has_indirect_call, 0
	.section	.AMDGPU.csdata,"",@progbits
; Kernel info:
; codeLenInByte = 0
; TotalNumSgprs: 0
; NumVgprs: 0
; ScratchSize: 0
; MemoryBound: 0
; FloatMode: 240
; IeeeMode: 1
; LDSByteSize: 0 bytes/workgroup (compile time only)
; SGPRBlocks: 0
; VGPRBlocks: 0
; NumSGPRsForWavesPerEU: 1
; NumVGPRsForWavesPerEU: 1
; NamedBarCnt: 0
; Occupancy: 16
; WaveLimiterHint : 0
; COMPUTE_PGM_RSRC2:SCRATCH_EN: 0
; COMPUTE_PGM_RSRC2:USER_SGPR: 2
; COMPUTE_PGM_RSRC2:TRAP_HANDLER: 0
; COMPUTE_PGM_RSRC2:TGID_X_EN: 1
; COMPUTE_PGM_RSRC2:TGID_Y_EN: 0
; COMPUTE_PGM_RSRC2:TGID_Z_EN: 0
; COMPUTE_PGM_RSRC2:TIDIG_COMP_CNT: 0
	.section	.text._ZN7rocprim17ROCPRIM_400000_NS6detail17trampoline_kernelINS0_14default_configENS1_27scan_by_key_config_selectorIssEEZZNS1_16scan_by_key_implILNS1_25lookback_scan_determinismE0ELb1ES3_N6thrust23THRUST_200600_302600_NS6detail15normal_iteratorINS9_10device_ptrIsEEEESE_SE_sNS9_4plusIsEE19head_flag_predicatesEE10hipError_tPvRmT2_T3_T4_T5_mT6_T7_P12ihipStream_tbENKUlT_T0_E_clISt17integral_constantIbLb1EESY_EEDaST_SU_EUlST_E_NS1_11comp_targetILNS1_3genE5ELNS1_11target_archE942ELNS1_3gpuE9ELNS1_3repE0EEENS1_30default_config_static_selectorELNS0_4arch9wavefront6targetE0EEEvT1_,"axG",@progbits,_ZN7rocprim17ROCPRIM_400000_NS6detail17trampoline_kernelINS0_14default_configENS1_27scan_by_key_config_selectorIssEEZZNS1_16scan_by_key_implILNS1_25lookback_scan_determinismE0ELb1ES3_N6thrust23THRUST_200600_302600_NS6detail15normal_iteratorINS9_10device_ptrIsEEEESE_SE_sNS9_4plusIsEE19head_flag_predicatesEE10hipError_tPvRmT2_T3_T4_T5_mT6_T7_P12ihipStream_tbENKUlT_T0_E_clISt17integral_constantIbLb1EESY_EEDaST_SU_EUlST_E_NS1_11comp_targetILNS1_3genE5ELNS1_11target_archE942ELNS1_3gpuE9ELNS1_3repE0EEENS1_30default_config_static_selectorELNS0_4arch9wavefront6targetE0EEEvT1_,comdat
	.protected	_ZN7rocprim17ROCPRIM_400000_NS6detail17trampoline_kernelINS0_14default_configENS1_27scan_by_key_config_selectorIssEEZZNS1_16scan_by_key_implILNS1_25lookback_scan_determinismE0ELb1ES3_N6thrust23THRUST_200600_302600_NS6detail15normal_iteratorINS9_10device_ptrIsEEEESE_SE_sNS9_4plusIsEE19head_flag_predicatesEE10hipError_tPvRmT2_T3_T4_T5_mT6_T7_P12ihipStream_tbENKUlT_T0_E_clISt17integral_constantIbLb1EESY_EEDaST_SU_EUlST_E_NS1_11comp_targetILNS1_3genE5ELNS1_11target_archE942ELNS1_3gpuE9ELNS1_3repE0EEENS1_30default_config_static_selectorELNS0_4arch9wavefront6targetE0EEEvT1_ ; -- Begin function _ZN7rocprim17ROCPRIM_400000_NS6detail17trampoline_kernelINS0_14default_configENS1_27scan_by_key_config_selectorIssEEZZNS1_16scan_by_key_implILNS1_25lookback_scan_determinismE0ELb1ES3_N6thrust23THRUST_200600_302600_NS6detail15normal_iteratorINS9_10device_ptrIsEEEESE_SE_sNS9_4plusIsEE19head_flag_predicatesEE10hipError_tPvRmT2_T3_T4_T5_mT6_T7_P12ihipStream_tbENKUlT_T0_E_clISt17integral_constantIbLb1EESY_EEDaST_SU_EUlST_E_NS1_11comp_targetILNS1_3genE5ELNS1_11target_archE942ELNS1_3gpuE9ELNS1_3repE0EEENS1_30default_config_static_selectorELNS0_4arch9wavefront6targetE0EEEvT1_
	.globl	_ZN7rocprim17ROCPRIM_400000_NS6detail17trampoline_kernelINS0_14default_configENS1_27scan_by_key_config_selectorIssEEZZNS1_16scan_by_key_implILNS1_25lookback_scan_determinismE0ELb1ES3_N6thrust23THRUST_200600_302600_NS6detail15normal_iteratorINS9_10device_ptrIsEEEESE_SE_sNS9_4plusIsEE19head_flag_predicatesEE10hipError_tPvRmT2_T3_T4_T5_mT6_T7_P12ihipStream_tbENKUlT_T0_E_clISt17integral_constantIbLb1EESY_EEDaST_SU_EUlST_E_NS1_11comp_targetILNS1_3genE5ELNS1_11target_archE942ELNS1_3gpuE9ELNS1_3repE0EEENS1_30default_config_static_selectorELNS0_4arch9wavefront6targetE0EEEvT1_
	.p2align	8
	.type	_ZN7rocprim17ROCPRIM_400000_NS6detail17trampoline_kernelINS0_14default_configENS1_27scan_by_key_config_selectorIssEEZZNS1_16scan_by_key_implILNS1_25lookback_scan_determinismE0ELb1ES3_N6thrust23THRUST_200600_302600_NS6detail15normal_iteratorINS9_10device_ptrIsEEEESE_SE_sNS9_4plusIsEE19head_flag_predicatesEE10hipError_tPvRmT2_T3_T4_T5_mT6_T7_P12ihipStream_tbENKUlT_T0_E_clISt17integral_constantIbLb1EESY_EEDaST_SU_EUlST_E_NS1_11comp_targetILNS1_3genE5ELNS1_11target_archE942ELNS1_3gpuE9ELNS1_3repE0EEENS1_30default_config_static_selectorELNS0_4arch9wavefront6targetE0EEEvT1_,@function
_ZN7rocprim17ROCPRIM_400000_NS6detail17trampoline_kernelINS0_14default_configENS1_27scan_by_key_config_selectorIssEEZZNS1_16scan_by_key_implILNS1_25lookback_scan_determinismE0ELb1ES3_N6thrust23THRUST_200600_302600_NS6detail15normal_iteratorINS9_10device_ptrIsEEEESE_SE_sNS9_4plusIsEE19head_flag_predicatesEE10hipError_tPvRmT2_T3_T4_T5_mT6_T7_P12ihipStream_tbENKUlT_T0_E_clISt17integral_constantIbLb1EESY_EEDaST_SU_EUlST_E_NS1_11comp_targetILNS1_3genE5ELNS1_11target_archE942ELNS1_3gpuE9ELNS1_3repE0EEENS1_30default_config_static_selectorELNS0_4arch9wavefront6targetE0EEEvT1_: ; @_ZN7rocprim17ROCPRIM_400000_NS6detail17trampoline_kernelINS0_14default_configENS1_27scan_by_key_config_selectorIssEEZZNS1_16scan_by_key_implILNS1_25lookback_scan_determinismE0ELb1ES3_N6thrust23THRUST_200600_302600_NS6detail15normal_iteratorINS9_10device_ptrIsEEEESE_SE_sNS9_4plusIsEE19head_flag_predicatesEE10hipError_tPvRmT2_T3_T4_T5_mT6_T7_P12ihipStream_tbENKUlT_T0_E_clISt17integral_constantIbLb1EESY_EEDaST_SU_EUlST_E_NS1_11comp_targetILNS1_3genE5ELNS1_11target_archE942ELNS1_3gpuE9ELNS1_3repE0EEENS1_30default_config_static_selectorELNS0_4arch9wavefront6targetE0EEEvT1_
; %bb.0:
	.section	.rodata,"a",@progbits
	.p2align	6, 0x0
	.amdhsa_kernel _ZN7rocprim17ROCPRIM_400000_NS6detail17trampoline_kernelINS0_14default_configENS1_27scan_by_key_config_selectorIssEEZZNS1_16scan_by_key_implILNS1_25lookback_scan_determinismE0ELb1ES3_N6thrust23THRUST_200600_302600_NS6detail15normal_iteratorINS9_10device_ptrIsEEEESE_SE_sNS9_4plusIsEE19head_flag_predicatesEE10hipError_tPvRmT2_T3_T4_T5_mT6_T7_P12ihipStream_tbENKUlT_T0_E_clISt17integral_constantIbLb1EESY_EEDaST_SU_EUlST_E_NS1_11comp_targetILNS1_3genE5ELNS1_11target_archE942ELNS1_3gpuE9ELNS1_3repE0EEENS1_30default_config_static_selectorELNS0_4arch9wavefront6targetE0EEEvT1_
		.amdhsa_group_segment_fixed_size 0
		.amdhsa_private_segment_fixed_size 0
		.amdhsa_kernarg_size 112
		.amdhsa_user_sgpr_count 2
		.amdhsa_user_sgpr_dispatch_ptr 0
		.amdhsa_user_sgpr_queue_ptr 0
		.amdhsa_user_sgpr_kernarg_segment_ptr 1
		.amdhsa_user_sgpr_dispatch_id 0
		.amdhsa_user_sgpr_kernarg_preload_length 0
		.amdhsa_user_sgpr_kernarg_preload_offset 0
		.amdhsa_user_sgpr_private_segment_size 0
		.amdhsa_wavefront_size32 1
		.amdhsa_uses_dynamic_stack 0
		.amdhsa_enable_private_segment 0
		.amdhsa_system_sgpr_workgroup_id_x 1
		.amdhsa_system_sgpr_workgroup_id_y 0
		.amdhsa_system_sgpr_workgroup_id_z 0
		.amdhsa_system_sgpr_workgroup_info 0
		.amdhsa_system_vgpr_workitem_id 0
		.amdhsa_next_free_vgpr 1
		.amdhsa_next_free_sgpr 1
		.amdhsa_named_barrier_count 0
		.amdhsa_reserve_vcc 0
		.amdhsa_float_round_mode_32 0
		.amdhsa_float_round_mode_16_64 0
		.amdhsa_float_denorm_mode_32 3
		.amdhsa_float_denorm_mode_16_64 3
		.amdhsa_fp16_overflow 0
		.amdhsa_memory_ordered 1
		.amdhsa_forward_progress 1
		.amdhsa_inst_pref_size 0
		.amdhsa_round_robin_scheduling 0
		.amdhsa_exception_fp_ieee_invalid_op 0
		.amdhsa_exception_fp_denorm_src 0
		.amdhsa_exception_fp_ieee_div_zero 0
		.amdhsa_exception_fp_ieee_overflow 0
		.amdhsa_exception_fp_ieee_underflow 0
		.amdhsa_exception_fp_ieee_inexact 0
		.amdhsa_exception_int_div_zero 0
	.end_amdhsa_kernel
	.section	.text._ZN7rocprim17ROCPRIM_400000_NS6detail17trampoline_kernelINS0_14default_configENS1_27scan_by_key_config_selectorIssEEZZNS1_16scan_by_key_implILNS1_25lookback_scan_determinismE0ELb1ES3_N6thrust23THRUST_200600_302600_NS6detail15normal_iteratorINS9_10device_ptrIsEEEESE_SE_sNS9_4plusIsEE19head_flag_predicatesEE10hipError_tPvRmT2_T3_T4_T5_mT6_T7_P12ihipStream_tbENKUlT_T0_E_clISt17integral_constantIbLb1EESY_EEDaST_SU_EUlST_E_NS1_11comp_targetILNS1_3genE5ELNS1_11target_archE942ELNS1_3gpuE9ELNS1_3repE0EEENS1_30default_config_static_selectorELNS0_4arch9wavefront6targetE0EEEvT1_,"axG",@progbits,_ZN7rocprim17ROCPRIM_400000_NS6detail17trampoline_kernelINS0_14default_configENS1_27scan_by_key_config_selectorIssEEZZNS1_16scan_by_key_implILNS1_25lookback_scan_determinismE0ELb1ES3_N6thrust23THRUST_200600_302600_NS6detail15normal_iteratorINS9_10device_ptrIsEEEESE_SE_sNS9_4plusIsEE19head_flag_predicatesEE10hipError_tPvRmT2_T3_T4_T5_mT6_T7_P12ihipStream_tbENKUlT_T0_E_clISt17integral_constantIbLb1EESY_EEDaST_SU_EUlST_E_NS1_11comp_targetILNS1_3genE5ELNS1_11target_archE942ELNS1_3gpuE9ELNS1_3repE0EEENS1_30default_config_static_selectorELNS0_4arch9wavefront6targetE0EEEvT1_,comdat
.Lfunc_end868:
	.size	_ZN7rocprim17ROCPRIM_400000_NS6detail17trampoline_kernelINS0_14default_configENS1_27scan_by_key_config_selectorIssEEZZNS1_16scan_by_key_implILNS1_25lookback_scan_determinismE0ELb1ES3_N6thrust23THRUST_200600_302600_NS6detail15normal_iteratorINS9_10device_ptrIsEEEESE_SE_sNS9_4plusIsEE19head_flag_predicatesEE10hipError_tPvRmT2_T3_T4_T5_mT6_T7_P12ihipStream_tbENKUlT_T0_E_clISt17integral_constantIbLb1EESY_EEDaST_SU_EUlST_E_NS1_11comp_targetILNS1_3genE5ELNS1_11target_archE942ELNS1_3gpuE9ELNS1_3repE0EEENS1_30default_config_static_selectorELNS0_4arch9wavefront6targetE0EEEvT1_, .Lfunc_end868-_ZN7rocprim17ROCPRIM_400000_NS6detail17trampoline_kernelINS0_14default_configENS1_27scan_by_key_config_selectorIssEEZZNS1_16scan_by_key_implILNS1_25lookback_scan_determinismE0ELb1ES3_N6thrust23THRUST_200600_302600_NS6detail15normal_iteratorINS9_10device_ptrIsEEEESE_SE_sNS9_4plusIsEE19head_flag_predicatesEE10hipError_tPvRmT2_T3_T4_T5_mT6_T7_P12ihipStream_tbENKUlT_T0_E_clISt17integral_constantIbLb1EESY_EEDaST_SU_EUlST_E_NS1_11comp_targetILNS1_3genE5ELNS1_11target_archE942ELNS1_3gpuE9ELNS1_3repE0EEENS1_30default_config_static_selectorELNS0_4arch9wavefront6targetE0EEEvT1_
                                        ; -- End function
	.set _ZN7rocprim17ROCPRIM_400000_NS6detail17trampoline_kernelINS0_14default_configENS1_27scan_by_key_config_selectorIssEEZZNS1_16scan_by_key_implILNS1_25lookback_scan_determinismE0ELb1ES3_N6thrust23THRUST_200600_302600_NS6detail15normal_iteratorINS9_10device_ptrIsEEEESE_SE_sNS9_4plusIsEE19head_flag_predicatesEE10hipError_tPvRmT2_T3_T4_T5_mT6_T7_P12ihipStream_tbENKUlT_T0_E_clISt17integral_constantIbLb1EESY_EEDaST_SU_EUlST_E_NS1_11comp_targetILNS1_3genE5ELNS1_11target_archE942ELNS1_3gpuE9ELNS1_3repE0EEENS1_30default_config_static_selectorELNS0_4arch9wavefront6targetE0EEEvT1_.num_vgpr, 0
	.set _ZN7rocprim17ROCPRIM_400000_NS6detail17trampoline_kernelINS0_14default_configENS1_27scan_by_key_config_selectorIssEEZZNS1_16scan_by_key_implILNS1_25lookback_scan_determinismE0ELb1ES3_N6thrust23THRUST_200600_302600_NS6detail15normal_iteratorINS9_10device_ptrIsEEEESE_SE_sNS9_4plusIsEE19head_flag_predicatesEE10hipError_tPvRmT2_T3_T4_T5_mT6_T7_P12ihipStream_tbENKUlT_T0_E_clISt17integral_constantIbLb1EESY_EEDaST_SU_EUlST_E_NS1_11comp_targetILNS1_3genE5ELNS1_11target_archE942ELNS1_3gpuE9ELNS1_3repE0EEENS1_30default_config_static_selectorELNS0_4arch9wavefront6targetE0EEEvT1_.num_agpr, 0
	.set _ZN7rocprim17ROCPRIM_400000_NS6detail17trampoline_kernelINS0_14default_configENS1_27scan_by_key_config_selectorIssEEZZNS1_16scan_by_key_implILNS1_25lookback_scan_determinismE0ELb1ES3_N6thrust23THRUST_200600_302600_NS6detail15normal_iteratorINS9_10device_ptrIsEEEESE_SE_sNS9_4plusIsEE19head_flag_predicatesEE10hipError_tPvRmT2_T3_T4_T5_mT6_T7_P12ihipStream_tbENKUlT_T0_E_clISt17integral_constantIbLb1EESY_EEDaST_SU_EUlST_E_NS1_11comp_targetILNS1_3genE5ELNS1_11target_archE942ELNS1_3gpuE9ELNS1_3repE0EEENS1_30default_config_static_selectorELNS0_4arch9wavefront6targetE0EEEvT1_.numbered_sgpr, 0
	.set _ZN7rocprim17ROCPRIM_400000_NS6detail17trampoline_kernelINS0_14default_configENS1_27scan_by_key_config_selectorIssEEZZNS1_16scan_by_key_implILNS1_25lookback_scan_determinismE0ELb1ES3_N6thrust23THRUST_200600_302600_NS6detail15normal_iteratorINS9_10device_ptrIsEEEESE_SE_sNS9_4plusIsEE19head_flag_predicatesEE10hipError_tPvRmT2_T3_T4_T5_mT6_T7_P12ihipStream_tbENKUlT_T0_E_clISt17integral_constantIbLb1EESY_EEDaST_SU_EUlST_E_NS1_11comp_targetILNS1_3genE5ELNS1_11target_archE942ELNS1_3gpuE9ELNS1_3repE0EEENS1_30default_config_static_selectorELNS0_4arch9wavefront6targetE0EEEvT1_.num_named_barrier, 0
	.set _ZN7rocprim17ROCPRIM_400000_NS6detail17trampoline_kernelINS0_14default_configENS1_27scan_by_key_config_selectorIssEEZZNS1_16scan_by_key_implILNS1_25lookback_scan_determinismE0ELb1ES3_N6thrust23THRUST_200600_302600_NS6detail15normal_iteratorINS9_10device_ptrIsEEEESE_SE_sNS9_4plusIsEE19head_flag_predicatesEE10hipError_tPvRmT2_T3_T4_T5_mT6_T7_P12ihipStream_tbENKUlT_T0_E_clISt17integral_constantIbLb1EESY_EEDaST_SU_EUlST_E_NS1_11comp_targetILNS1_3genE5ELNS1_11target_archE942ELNS1_3gpuE9ELNS1_3repE0EEENS1_30default_config_static_selectorELNS0_4arch9wavefront6targetE0EEEvT1_.private_seg_size, 0
	.set _ZN7rocprim17ROCPRIM_400000_NS6detail17trampoline_kernelINS0_14default_configENS1_27scan_by_key_config_selectorIssEEZZNS1_16scan_by_key_implILNS1_25lookback_scan_determinismE0ELb1ES3_N6thrust23THRUST_200600_302600_NS6detail15normal_iteratorINS9_10device_ptrIsEEEESE_SE_sNS9_4plusIsEE19head_flag_predicatesEE10hipError_tPvRmT2_T3_T4_T5_mT6_T7_P12ihipStream_tbENKUlT_T0_E_clISt17integral_constantIbLb1EESY_EEDaST_SU_EUlST_E_NS1_11comp_targetILNS1_3genE5ELNS1_11target_archE942ELNS1_3gpuE9ELNS1_3repE0EEENS1_30default_config_static_selectorELNS0_4arch9wavefront6targetE0EEEvT1_.uses_vcc, 0
	.set _ZN7rocprim17ROCPRIM_400000_NS6detail17trampoline_kernelINS0_14default_configENS1_27scan_by_key_config_selectorIssEEZZNS1_16scan_by_key_implILNS1_25lookback_scan_determinismE0ELb1ES3_N6thrust23THRUST_200600_302600_NS6detail15normal_iteratorINS9_10device_ptrIsEEEESE_SE_sNS9_4plusIsEE19head_flag_predicatesEE10hipError_tPvRmT2_T3_T4_T5_mT6_T7_P12ihipStream_tbENKUlT_T0_E_clISt17integral_constantIbLb1EESY_EEDaST_SU_EUlST_E_NS1_11comp_targetILNS1_3genE5ELNS1_11target_archE942ELNS1_3gpuE9ELNS1_3repE0EEENS1_30default_config_static_selectorELNS0_4arch9wavefront6targetE0EEEvT1_.uses_flat_scratch, 0
	.set _ZN7rocprim17ROCPRIM_400000_NS6detail17trampoline_kernelINS0_14default_configENS1_27scan_by_key_config_selectorIssEEZZNS1_16scan_by_key_implILNS1_25lookback_scan_determinismE0ELb1ES3_N6thrust23THRUST_200600_302600_NS6detail15normal_iteratorINS9_10device_ptrIsEEEESE_SE_sNS9_4plusIsEE19head_flag_predicatesEE10hipError_tPvRmT2_T3_T4_T5_mT6_T7_P12ihipStream_tbENKUlT_T0_E_clISt17integral_constantIbLb1EESY_EEDaST_SU_EUlST_E_NS1_11comp_targetILNS1_3genE5ELNS1_11target_archE942ELNS1_3gpuE9ELNS1_3repE0EEENS1_30default_config_static_selectorELNS0_4arch9wavefront6targetE0EEEvT1_.has_dyn_sized_stack, 0
	.set _ZN7rocprim17ROCPRIM_400000_NS6detail17trampoline_kernelINS0_14default_configENS1_27scan_by_key_config_selectorIssEEZZNS1_16scan_by_key_implILNS1_25lookback_scan_determinismE0ELb1ES3_N6thrust23THRUST_200600_302600_NS6detail15normal_iteratorINS9_10device_ptrIsEEEESE_SE_sNS9_4plusIsEE19head_flag_predicatesEE10hipError_tPvRmT2_T3_T4_T5_mT6_T7_P12ihipStream_tbENKUlT_T0_E_clISt17integral_constantIbLb1EESY_EEDaST_SU_EUlST_E_NS1_11comp_targetILNS1_3genE5ELNS1_11target_archE942ELNS1_3gpuE9ELNS1_3repE0EEENS1_30default_config_static_selectorELNS0_4arch9wavefront6targetE0EEEvT1_.has_recursion, 0
	.set _ZN7rocprim17ROCPRIM_400000_NS6detail17trampoline_kernelINS0_14default_configENS1_27scan_by_key_config_selectorIssEEZZNS1_16scan_by_key_implILNS1_25lookback_scan_determinismE0ELb1ES3_N6thrust23THRUST_200600_302600_NS6detail15normal_iteratorINS9_10device_ptrIsEEEESE_SE_sNS9_4plusIsEE19head_flag_predicatesEE10hipError_tPvRmT2_T3_T4_T5_mT6_T7_P12ihipStream_tbENKUlT_T0_E_clISt17integral_constantIbLb1EESY_EEDaST_SU_EUlST_E_NS1_11comp_targetILNS1_3genE5ELNS1_11target_archE942ELNS1_3gpuE9ELNS1_3repE0EEENS1_30default_config_static_selectorELNS0_4arch9wavefront6targetE0EEEvT1_.has_indirect_call, 0
	.section	.AMDGPU.csdata,"",@progbits
; Kernel info:
; codeLenInByte = 0
; TotalNumSgprs: 0
; NumVgprs: 0
; ScratchSize: 0
; MemoryBound: 0
; FloatMode: 240
; IeeeMode: 1
; LDSByteSize: 0 bytes/workgroup (compile time only)
; SGPRBlocks: 0
; VGPRBlocks: 0
; NumSGPRsForWavesPerEU: 1
; NumVGPRsForWavesPerEU: 1
; NamedBarCnt: 0
; Occupancy: 16
; WaveLimiterHint : 0
; COMPUTE_PGM_RSRC2:SCRATCH_EN: 0
; COMPUTE_PGM_RSRC2:USER_SGPR: 2
; COMPUTE_PGM_RSRC2:TRAP_HANDLER: 0
; COMPUTE_PGM_RSRC2:TGID_X_EN: 1
; COMPUTE_PGM_RSRC2:TGID_Y_EN: 0
; COMPUTE_PGM_RSRC2:TGID_Z_EN: 0
; COMPUTE_PGM_RSRC2:TIDIG_COMP_CNT: 0
	.section	.text._ZN7rocprim17ROCPRIM_400000_NS6detail17trampoline_kernelINS0_14default_configENS1_27scan_by_key_config_selectorIssEEZZNS1_16scan_by_key_implILNS1_25lookback_scan_determinismE0ELb1ES3_N6thrust23THRUST_200600_302600_NS6detail15normal_iteratorINS9_10device_ptrIsEEEESE_SE_sNS9_4plusIsEE19head_flag_predicatesEE10hipError_tPvRmT2_T3_T4_T5_mT6_T7_P12ihipStream_tbENKUlT_T0_E_clISt17integral_constantIbLb1EESY_EEDaST_SU_EUlST_E_NS1_11comp_targetILNS1_3genE4ELNS1_11target_archE910ELNS1_3gpuE8ELNS1_3repE0EEENS1_30default_config_static_selectorELNS0_4arch9wavefront6targetE0EEEvT1_,"axG",@progbits,_ZN7rocprim17ROCPRIM_400000_NS6detail17trampoline_kernelINS0_14default_configENS1_27scan_by_key_config_selectorIssEEZZNS1_16scan_by_key_implILNS1_25lookback_scan_determinismE0ELb1ES3_N6thrust23THRUST_200600_302600_NS6detail15normal_iteratorINS9_10device_ptrIsEEEESE_SE_sNS9_4plusIsEE19head_flag_predicatesEE10hipError_tPvRmT2_T3_T4_T5_mT6_T7_P12ihipStream_tbENKUlT_T0_E_clISt17integral_constantIbLb1EESY_EEDaST_SU_EUlST_E_NS1_11comp_targetILNS1_3genE4ELNS1_11target_archE910ELNS1_3gpuE8ELNS1_3repE0EEENS1_30default_config_static_selectorELNS0_4arch9wavefront6targetE0EEEvT1_,comdat
	.protected	_ZN7rocprim17ROCPRIM_400000_NS6detail17trampoline_kernelINS0_14default_configENS1_27scan_by_key_config_selectorIssEEZZNS1_16scan_by_key_implILNS1_25lookback_scan_determinismE0ELb1ES3_N6thrust23THRUST_200600_302600_NS6detail15normal_iteratorINS9_10device_ptrIsEEEESE_SE_sNS9_4plusIsEE19head_flag_predicatesEE10hipError_tPvRmT2_T3_T4_T5_mT6_T7_P12ihipStream_tbENKUlT_T0_E_clISt17integral_constantIbLb1EESY_EEDaST_SU_EUlST_E_NS1_11comp_targetILNS1_3genE4ELNS1_11target_archE910ELNS1_3gpuE8ELNS1_3repE0EEENS1_30default_config_static_selectorELNS0_4arch9wavefront6targetE0EEEvT1_ ; -- Begin function _ZN7rocprim17ROCPRIM_400000_NS6detail17trampoline_kernelINS0_14default_configENS1_27scan_by_key_config_selectorIssEEZZNS1_16scan_by_key_implILNS1_25lookback_scan_determinismE0ELb1ES3_N6thrust23THRUST_200600_302600_NS6detail15normal_iteratorINS9_10device_ptrIsEEEESE_SE_sNS9_4plusIsEE19head_flag_predicatesEE10hipError_tPvRmT2_T3_T4_T5_mT6_T7_P12ihipStream_tbENKUlT_T0_E_clISt17integral_constantIbLb1EESY_EEDaST_SU_EUlST_E_NS1_11comp_targetILNS1_3genE4ELNS1_11target_archE910ELNS1_3gpuE8ELNS1_3repE0EEENS1_30default_config_static_selectorELNS0_4arch9wavefront6targetE0EEEvT1_
	.globl	_ZN7rocprim17ROCPRIM_400000_NS6detail17trampoline_kernelINS0_14default_configENS1_27scan_by_key_config_selectorIssEEZZNS1_16scan_by_key_implILNS1_25lookback_scan_determinismE0ELb1ES3_N6thrust23THRUST_200600_302600_NS6detail15normal_iteratorINS9_10device_ptrIsEEEESE_SE_sNS9_4plusIsEE19head_flag_predicatesEE10hipError_tPvRmT2_T3_T4_T5_mT6_T7_P12ihipStream_tbENKUlT_T0_E_clISt17integral_constantIbLb1EESY_EEDaST_SU_EUlST_E_NS1_11comp_targetILNS1_3genE4ELNS1_11target_archE910ELNS1_3gpuE8ELNS1_3repE0EEENS1_30default_config_static_selectorELNS0_4arch9wavefront6targetE0EEEvT1_
	.p2align	8
	.type	_ZN7rocprim17ROCPRIM_400000_NS6detail17trampoline_kernelINS0_14default_configENS1_27scan_by_key_config_selectorIssEEZZNS1_16scan_by_key_implILNS1_25lookback_scan_determinismE0ELb1ES3_N6thrust23THRUST_200600_302600_NS6detail15normal_iteratorINS9_10device_ptrIsEEEESE_SE_sNS9_4plusIsEE19head_flag_predicatesEE10hipError_tPvRmT2_T3_T4_T5_mT6_T7_P12ihipStream_tbENKUlT_T0_E_clISt17integral_constantIbLb1EESY_EEDaST_SU_EUlST_E_NS1_11comp_targetILNS1_3genE4ELNS1_11target_archE910ELNS1_3gpuE8ELNS1_3repE0EEENS1_30default_config_static_selectorELNS0_4arch9wavefront6targetE0EEEvT1_,@function
_ZN7rocprim17ROCPRIM_400000_NS6detail17trampoline_kernelINS0_14default_configENS1_27scan_by_key_config_selectorIssEEZZNS1_16scan_by_key_implILNS1_25lookback_scan_determinismE0ELb1ES3_N6thrust23THRUST_200600_302600_NS6detail15normal_iteratorINS9_10device_ptrIsEEEESE_SE_sNS9_4plusIsEE19head_flag_predicatesEE10hipError_tPvRmT2_T3_T4_T5_mT6_T7_P12ihipStream_tbENKUlT_T0_E_clISt17integral_constantIbLb1EESY_EEDaST_SU_EUlST_E_NS1_11comp_targetILNS1_3genE4ELNS1_11target_archE910ELNS1_3gpuE8ELNS1_3repE0EEENS1_30default_config_static_selectorELNS0_4arch9wavefront6targetE0EEEvT1_: ; @_ZN7rocprim17ROCPRIM_400000_NS6detail17trampoline_kernelINS0_14default_configENS1_27scan_by_key_config_selectorIssEEZZNS1_16scan_by_key_implILNS1_25lookback_scan_determinismE0ELb1ES3_N6thrust23THRUST_200600_302600_NS6detail15normal_iteratorINS9_10device_ptrIsEEEESE_SE_sNS9_4plusIsEE19head_flag_predicatesEE10hipError_tPvRmT2_T3_T4_T5_mT6_T7_P12ihipStream_tbENKUlT_T0_E_clISt17integral_constantIbLb1EESY_EEDaST_SU_EUlST_E_NS1_11comp_targetILNS1_3genE4ELNS1_11target_archE910ELNS1_3gpuE8ELNS1_3repE0EEENS1_30default_config_static_selectorELNS0_4arch9wavefront6targetE0EEEvT1_
; %bb.0:
	.section	.rodata,"a",@progbits
	.p2align	6, 0x0
	.amdhsa_kernel _ZN7rocprim17ROCPRIM_400000_NS6detail17trampoline_kernelINS0_14default_configENS1_27scan_by_key_config_selectorIssEEZZNS1_16scan_by_key_implILNS1_25lookback_scan_determinismE0ELb1ES3_N6thrust23THRUST_200600_302600_NS6detail15normal_iteratorINS9_10device_ptrIsEEEESE_SE_sNS9_4plusIsEE19head_flag_predicatesEE10hipError_tPvRmT2_T3_T4_T5_mT6_T7_P12ihipStream_tbENKUlT_T0_E_clISt17integral_constantIbLb1EESY_EEDaST_SU_EUlST_E_NS1_11comp_targetILNS1_3genE4ELNS1_11target_archE910ELNS1_3gpuE8ELNS1_3repE0EEENS1_30default_config_static_selectorELNS0_4arch9wavefront6targetE0EEEvT1_
		.amdhsa_group_segment_fixed_size 0
		.amdhsa_private_segment_fixed_size 0
		.amdhsa_kernarg_size 112
		.amdhsa_user_sgpr_count 2
		.amdhsa_user_sgpr_dispatch_ptr 0
		.amdhsa_user_sgpr_queue_ptr 0
		.amdhsa_user_sgpr_kernarg_segment_ptr 1
		.amdhsa_user_sgpr_dispatch_id 0
		.amdhsa_user_sgpr_kernarg_preload_length 0
		.amdhsa_user_sgpr_kernarg_preload_offset 0
		.amdhsa_user_sgpr_private_segment_size 0
		.amdhsa_wavefront_size32 1
		.amdhsa_uses_dynamic_stack 0
		.amdhsa_enable_private_segment 0
		.amdhsa_system_sgpr_workgroup_id_x 1
		.amdhsa_system_sgpr_workgroup_id_y 0
		.amdhsa_system_sgpr_workgroup_id_z 0
		.amdhsa_system_sgpr_workgroup_info 0
		.amdhsa_system_vgpr_workitem_id 0
		.amdhsa_next_free_vgpr 1
		.amdhsa_next_free_sgpr 1
		.amdhsa_named_barrier_count 0
		.amdhsa_reserve_vcc 0
		.amdhsa_float_round_mode_32 0
		.amdhsa_float_round_mode_16_64 0
		.amdhsa_float_denorm_mode_32 3
		.amdhsa_float_denorm_mode_16_64 3
		.amdhsa_fp16_overflow 0
		.amdhsa_memory_ordered 1
		.amdhsa_forward_progress 1
		.amdhsa_inst_pref_size 0
		.amdhsa_round_robin_scheduling 0
		.amdhsa_exception_fp_ieee_invalid_op 0
		.amdhsa_exception_fp_denorm_src 0
		.amdhsa_exception_fp_ieee_div_zero 0
		.amdhsa_exception_fp_ieee_overflow 0
		.amdhsa_exception_fp_ieee_underflow 0
		.amdhsa_exception_fp_ieee_inexact 0
		.amdhsa_exception_int_div_zero 0
	.end_amdhsa_kernel
	.section	.text._ZN7rocprim17ROCPRIM_400000_NS6detail17trampoline_kernelINS0_14default_configENS1_27scan_by_key_config_selectorIssEEZZNS1_16scan_by_key_implILNS1_25lookback_scan_determinismE0ELb1ES3_N6thrust23THRUST_200600_302600_NS6detail15normal_iteratorINS9_10device_ptrIsEEEESE_SE_sNS9_4plusIsEE19head_flag_predicatesEE10hipError_tPvRmT2_T3_T4_T5_mT6_T7_P12ihipStream_tbENKUlT_T0_E_clISt17integral_constantIbLb1EESY_EEDaST_SU_EUlST_E_NS1_11comp_targetILNS1_3genE4ELNS1_11target_archE910ELNS1_3gpuE8ELNS1_3repE0EEENS1_30default_config_static_selectorELNS0_4arch9wavefront6targetE0EEEvT1_,"axG",@progbits,_ZN7rocprim17ROCPRIM_400000_NS6detail17trampoline_kernelINS0_14default_configENS1_27scan_by_key_config_selectorIssEEZZNS1_16scan_by_key_implILNS1_25lookback_scan_determinismE0ELb1ES3_N6thrust23THRUST_200600_302600_NS6detail15normal_iteratorINS9_10device_ptrIsEEEESE_SE_sNS9_4plusIsEE19head_flag_predicatesEE10hipError_tPvRmT2_T3_T4_T5_mT6_T7_P12ihipStream_tbENKUlT_T0_E_clISt17integral_constantIbLb1EESY_EEDaST_SU_EUlST_E_NS1_11comp_targetILNS1_3genE4ELNS1_11target_archE910ELNS1_3gpuE8ELNS1_3repE0EEENS1_30default_config_static_selectorELNS0_4arch9wavefront6targetE0EEEvT1_,comdat
.Lfunc_end869:
	.size	_ZN7rocprim17ROCPRIM_400000_NS6detail17trampoline_kernelINS0_14default_configENS1_27scan_by_key_config_selectorIssEEZZNS1_16scan_by_key_implILNS1_25lookback_scan_determinismE0ELb1ES3_N6thrust23THRUST_200600_302600_NS6detail15normal_iteratorINS9_10device_ptrIsEEEESE_SE_sNS9_4plusIsEE19head_flag_predicatesEE10hipError_tPvRmT2_T3_T4_T5_mT6_T7_P12ihipStream_tbENKUlT_T0_E_clISt17integral_constantIbLb1EESY_EEDaST_SU_EUlST_E_NS1_11comp_targetILNS1_3genE4ELNS1_11target_archE910ELNS1_3gpuE8ELNS1_3repE0EEENS1_30default_config_static_selectorELNS0_4arch9wavefront6targetE0EEEvT1_, .Lfunc_end869-_ZN7rocprim17ROCPRIM_400000_NS6detail17trampoline_kernelINS0_14default_configENS1_27scan_by_key_config_selectorIssEEZZNS1_16scan_by_key_implILNS1_25lookback_scan_determinismE0ELb1ES3_N6thrust23THRUST_200600_302600_NS6detail15normal_iteratorINS9_10device_ptrIsEEEESE_SE_sNS9_4plusIsEE19head_flag_predicatesEE10hipError_tPvRmT2_T3_T4_T5_mT6_T7_P12ihipStream_tbENKUlT_T0_E_clISt17integral_constantIbLb1EESY_EEDaST_SU_EUlST_E_NS1_11comp_targetILNS1_3genE4ELNS1_11target_archE910ELNS1_3gpuE8ELNS1_3repE0EEENS1_30default_config_static_selectorELNS0_4arch9wavefront6targetE0EEEvT1_
                                        ; -- End function
	.set _ZN7rocprim17ROCPRIM_400000_NS6detail17trampoline_kernelINS0_14default_configENS1_27scan_by_key_config_selectorIssEEZZNS1_16scan_by_key_implILNS1_25lookback_scan_determinismE0ELb1ES3_N6thrust23THRUST_200600_302600_NS6detail15normal_iteratorINS9_10device_ptrIsEEEESE_SE_sNS9_4plusIsEE19head_flag_predicatesEE10hipError_tPvRmT2_T3_T4_T5_mT6_T7_P12ihipStream_tbENKUlT_T0_E_clISt17integral_constantIbLb1EESY_EEDaST_SU_EUlST_E_NS1_11comp_targetILNS1_3genE4ELNS1_11target_archE910ELNS1_3gpuE8ELNS1_3repE0EEENS1_30default_config_static_selectorELNS0_4arch9wavefront6targetE0EEEvT1_.num_vgpr, 0
	.set _ZN7rocprim17ROCPRIM_400000_NS6detail17trampoline_kernelINS0_14default_configENS1_27scan_by_key_config_selectorIssEEZZNS1_16scan_by_key_implILNS1_25lookback_scan_determinismE0ELb1ES3_N6thrust23THRUST_200600_302600_NS6detail15normal_iteratorINS9_10device_ptrIsEEEESE_SE_sNS9_4plusIsEE19head_flag_predicatesEE10hipError_tPvRmT2_T3_T4_T5_mT6_T7_P12ihipStream_tbENKUlT_T0_E_clISt17integral_constantIbLb1EESY_EEDaST_SU_EUlST_E_NS1_11comp_targetILNS1_3genE4ELNS1_11target_archE910ELNS1_3gpuE8ELNS1_3repE0EEENS1_30default_config_static_selectorELNS0_4arch9wavefront6targetE0EEEvT1_.num_agpr, 0
	.set _ZN7rocprim17ROCPRIM_400000_NS6detail17trampoline_kernelINS0_14default_configENS1_27scan_by_key_config_selectorIssEEZZNS1_16scan_by_key_implILNS1_25lookback_scan_determinismE0ELb1ES3_N6thrust23THRUST_200600_302600_NS6detail15normal_iteratorINS9_10device_ptrIsEEEESE_SE_sNS9_4plusIsEE19head_flag_predicatesEE10hipError_tPvRmT2_T3_T4_T5_mT6_T7_P12ihipStream_tbENKUlT_T0_E_clISt17integral_constantIbLb1EESY_EEDaST_SU_EUlST_E_NS1_11comp_targetILNS1_3genE4ELNS1_11target_archE910ELNS1_3gpuE8ELNS1_3repE0EEENS1_30default_config_static_selectorELNS0_4arch9wavefront6targetE0EEEvT1_.numbered_sgpr, 0
	.set _ZN7rocprim17ROCPRIM_400000_NS6detail17trampoline_kernelINS0_14default_configENS1_27scan_by_key_config_selectorIssEEZZNS1_16scan_by_key_implILNS1_25lookback_scan_determinismE0ELb1ES3_N6thrust23THRUST_200600_302600_NS6detail15normal_iteratorINS9_10device_ptrIsEEEESE_SE_sNS9_4plusIsEE19head_flag_predicatesEE10hipError_tPvRmT2_T3_T4_T5_mT6_T7_P12ihipStream_tbENKUlT_T0_E_clISt17integral_constantIbLb1EESY_EEDaST_SU_EUlST_E_NS1_11comp_targetILNS1_3genE4ELNS1_11target_archE910ELNS1_3gpuE8ELNS1_3repE0EEENS1_30default_config_static_selectorELNS0_4arch9wavefront6targetE0EEEvT1_.num_named_barrier, 0
	.set _ZN7rocprim17ROCPRIM_400000_NS6detail17trampoline_kernelINS0_14default_configENS1_27scan_by_key_config_selectorIssEEZZNS1_16scan_by_key_implILNS1_25lookback_scan_determinismE0ELb1ES3_N6thrust23THRUST_200600_302600_NS6detail15normal_iteratorINS9_10device_ptrIsEEEESE_SE_sNS9_4plusIsEE19head_flag_predicatesEE10hipError_tPvRmT2_T3_T4_T5_mT6_T7_P12ihipStream_tbENKUlT_T0_E_clISt17integral_constantIbLb1EESY_EEDaST_SU_EUlST_E_NS1_11comp_targetILNS1_3genE4ELNS1_11target_archE910ELNS1_3gpuE8ELNS1_3repE0EEENS1_30default_config_static_selectorELNS0_4arch9wavefront6targetE0EEEvT1_.private_seg_size, 0
	.set _ZN7rocprim17ROCPRIM_400000_NS6detail17trampoline_kernelINS0_14default_configENS1_27scan_by_key_config_selectorIssEEZZNS1_16scan_by_key_implILNS1_25lookback_scan_determinismE0ELb1ES3_N6thrust23THRUST_200600_302600_NS6detail15normal_iteratorINS9_10device_ptrIsEEEESE_SE_sNS9_4plusIsEE19head_flag_predicatesEE10hipError_tPvRmT2_T3_T4_T5_mT6_T7_P12ihipStream_tbENKUlT_T0_E_clISt17integral_constantIbLb1EESY_EEDaST_SU_EUlST_E_NS1_11comp_targetILNS1_3genE4ELNS1_11target_archE910ELNS1_3gpuE8ELNS1_3repE0EEENS1_30default_config_static_selectorELNS0_4arch9wavefront6targetE0EEEvT1_.uses_vcc, 0
	.set _ZN7rocprim17ROCPRIM_400000_NS6detail17trampoline_kernelINS0_14default_configENS1_27scan_by_key_config_selectorIssEEZZNS1_16scan_by_key_implILNS1_25lookback_scan_determinismE0ELb1ES3_N6thrust23THRUST_200600_302600_NS6detail15normal_iteratorINS9_10device_ptrIsEEEESE_SE_sNS9_4plusIsEE19head_flag_predicatesEE10hipError_tPvRmT2_T3_T4_T5_mT6_T7_P12ihipStream_tbENKUlT_T0_E_clISt17integral_constantIbLb1EESY_EEDaST_SU_EUlST_E_NS1_11comp_targetILNS1_3genE4ELNS1_11target_archE910ELNS1_3gpuE8ELNS1_3repE0EEENS1_30default_config_static_selectorELNS0_4arch9wavefront6targetE0EEEvT1_.uses_flat_scratch, 0
	.set _ZN7rocprim17ROCPRIM_400000_NS6detail17trampoline_kernelINS0_14default_configENS1_27scan_by_key_config_selectorIssEEZZNS1_16scan_by_key_implILNS1_25lookback_scan_determinismE0ELb1ES3_N6thrust23THRUST_200600_302600_NS6detail15normal_iteratorINS9_10device_ptrIsEEEESE_SE_sNS9_4plusIsEE19head_flag_predicatesEE10hipError_tPvRmT2_T3_T4_T5_mT6_T7_P12ihipStream_tbENKUlT_T0_E_clISt17integral_constantIbLb1EESY_EEDaST_SU_EUlST_E_NS1_11comp_targetILNS1_3genE4ELNS1_11target_archE910ELNS1_3gpuE8ELNS1_3repE0EEENS1_30default_config_static_selectorELNS0_4arch9wavefront6targetE0EEEvT1_.has_dyn_sized_stack, 0
	.set _ZN7rocprim17ROCPRIM_400000_NS6detail17trampoline_kernelINS0_14default_configENS1_27scan_by_key_config_selectorIssEEZZNS1_16scan_by_key_implILNS1_25lookback_scan_determinismE0ELb1ES3_N6thrust23THRUST_200600_302600_NS6detail15normal_iteratorINS9_10device_ptrIsEEEESE_SE_sNS9_4plusIsEE19head_flag_predicatesEE10hipError_tPvRmT2_T3_T4_T5_mT6_T7_P12ihipStream_tbENKUlT_T0_E_clISt17integral_constantIbLb1EESY_EEDaST_SU_EUlST_E_NS1_11comp_targetILNS1_3genE4ELNS1_11target_archE910ELNS1_3gpuE8ELNS1_3repE0EEENS1_30default_config_static_selectorELNS0_4arch9wavefront6targetE0EEEvT1_.has_recursion, 0
	.set _ZN7rocprim17ROCPRIM_400000_NS6detail17trampoline_kernelINS0_14default_configENS1_27scan_by_key_config_selectorIssEEZZNS1_16scan_by_key_implILNS1_25lookback_scan_determinismE0ELb1ES3_N6thrust23THRUST_200600_302600_NS6detail15normal_iteratorINS9_10device_ptrIsEEEESE_SE_sNS9_4plusIsEE19head_flag_predicatesEE10hipError_tPvRmT2_T3_T4_T5_mT6_T7_P12ihipStream_tbENKUlT_T0_E_clISt17integral_constantIbLb1EESY_EEDaST_SU_EUlST_E_NS1_11comp_targetILNS1_3genE4ELNS1_11target_archE910ELNS1_3gpuE8ELNS1_3repE0EEENS1_30default_config_static_selectorELNS0_4arch9wavefront6targetE0EEEvT1_.has_indirect_call, 0
	.section	.AMDGPU.csdata,"",@progbits
; Kernel info:
; codeLenInByte = 0
; TotalNumSgprs: 0
; NumVgprs: 0
; ScratchSize: 0
; MemoryBound: 0
; FloatMode: 240
; IeeeMode: 1
; LDSByteSize: 0 bytes/workgroup (compile time only)
; SGPRBlocks: 0
; VGPRBlocks: 0
; NumSGPRsForWavesPerEU: 1
; NumVGPRsForWavesPerEU: 1
; NamedBarCnt: 0
; Occupancy: 16
; WaveLimiterHint : 0
; COMPUTE_PGM_RSRC2:SCRATCH_EN: 0
; COMPUTE_PGM_RSRC2:USER_SGPR: 2
; COMPUTE_PGM_RSRC2:TRAP_HANDLER: 0
; COMPUTE_PGM_RSRC2:TGID_X_EN: 1
; COMPUTE_PGM_RSRC2:TGID_Y_EN: 0
; COMPUTE_PGM_RSRC2:TGID_Z_EN: 0
; COMPUTE_PGM_RSRC2:TIDIG_COMP_CNT: 0
	.section	.text._ZN7rocprim17ROCPRIM_400000_NS6detail17trampoline_kernelINS0_14default_configENS1_27scan_by_key_config_selectorIssEEZZNS1_16scan_by_key_implILNS1_25lookback_scan_determinismE0ELb1ES3_N6thrust23THRUST_200600_302600_NS6detail15normal_iteratorINS9_10device_ptrIsEEEESE_SE_sNS9_4plusIsEE19head_flag_predicatesEE10hipError_tPvRmT2_T3_T4_T5_mT6_T7_P12ihipStream_tbENKUlT_T0_E_clISt17integral_constantIbLb1EESY_EEDaST_SU_EUlST_E_NS1_11comp_targetILNS1_3genE3ELNS1_11target_archE908ELNS1_3gpuE7ELNS1_3repE0EEENS1_30default_config_static_selectorELNS0_4arch9wavefront6targetE0EEEvT1_,"axG",@progbits,_ZN7rocprim17ROCPRIM_400000_NS6detail17trampoline_kernelINS0_14default_configENS1_27scan_by_key_config_selectorIssEEZZNS1_16scan_by_key_implILNS1_25lookback_scan_determinismE0ELb1ES3_N6thrust23THRUST_200600_302600_NS6detail15normal_iteratorINS9_10device_ptrIsEEEESE_SE_sNS9_4plusIsEE19head_flag_predicatesEE10hipError_tPvRmT2_T3_T4_T5_mT6_T7_P12ihipStream_tbENKUlT_T0_E_clISt17integral_constantIbLb1EESY_EEDaST_SU_EUlST_E_NS1_11comp_targetILNS1_3genE3ELNS1_11target_archE908ELNS1_3gpuE7ELNS1_3repE0EEENS1_30default_config_static_selectorELNS0_4arch9wavefront6targetE0EEEvT1_,comdat
	.protected	_ZN7rocprim17ROCPRIM_400000_NS6detail17trampoline_kernelINS0_14default_configENS1_27scan_by_key_config_selectorIssEEZZNS1_16scan_by_key_implILNS1_25lookback_scan_determinismE0ELb1ES3_N6thrust23THRUST_200600_302600_NS6detail15normal_iteratorINS9_10device_ptrIsEEEESE_SE_sNS9_4plusIsEE19head_flag_predicatesEE10hipError_tPvRmT2_T3_T4_T5_mT6_T7_P12ihipStream_tbENKUlT_T0_E_clISt17integral_constantIbLb1EESY_EEDaST_SU_EUlST_E_NS1_11comp_targetILNS1_3genE3ELNS1_11target_archE908ELNS1_3gpuE7ELNS1_3repE0EEENS1_30default_config_static_selectorELNS0_4arch9wavefront6targetE0EEEvT1_ ; -- Begin function _ZN7rocprim17ROCPRIM_400000_NS6detail17trampoline_kernelINS0_14default_configENS1_27scan_by_key_config_selectorIssEEZZNS1_16scan_by_key_implILNS1_25lookback_scan_determinismE0ELb1ES3_N6thrust23THRUST_200600_302600_NS6detail15normal_iteratorINS9_10device_ptrIsEEEESE_SE_sNS9_4plusIsEE19head_flag_predicatesEE10hipError_tPvRmT2_T3_T4_T5_mT6_T7_P12ihipStream_tbENKUlT_T0_E_clISt17integral_constantIbLb1EESY_EEDaST_SU_EUlST_E_NS1_11comp_targetILNS1_3genE3ELNS1_11target_archE908ELNS1_3gpuE7ELNS1_3repE0EEENS1_30default_config_static_selectorELNS0_4arch9wavefront6targetE0EEEvT1_
	.globl	_ZN7rocprim17ROCPRIM_400000_NS6detail17trampoline_kernelINS0_14default_configENS1_27scan_by_key_config_selectorIssEEZZNS1_16scan_by_key_implILNS1_25lookback_scan_determinismE0ELb1ES3_N6thrust23THRUST_200600_302600_NS6detail15normal_iteratorINS9_10device_ptrIsEEEESE_SE_sNS9_4plusIsEE19head_flag_predicatesEE10hipError_tPvRmT2_T3_T4_T5_mT6_T7_P12ihipStream_tbENKUlT_T0_E_clISt17integral_constantIbLb1EESY_EEDaST_SU_EUlST_E_NS1_11comp_targetILNS1_3genE3ELNS1_11target_archE908ELNS1_3gpuE7ELNS1_3repE0EEENS1_30default_config_static_selectorELNS0_4arch9wavefront6targetE0EEEvT1_
	.p2align	8
	.type	_ZN7rocprim17ROCPRIM_400000_NS6detail17trampoline_kernelINS0_14default_configENS1_27scan_by_key_config_selectorIssEEZZNS1_16scan_by_key_implILNS1_25lookback_scan_determinismE0ELb1ES3_N6thrust23THRUST_200600_302600_NS6detail15normal_iteratorINS9_10device_ptrIsEEEESE_SE_sNS9_4plusIsEE19head_flag_predicatesEE10hipError_tPvRmT2_T3_T4_T5_mT6_T7_P12ihipStream_tbENKUlT_T0_E_clISt17integral_constantIbLb1EESY_EEDaST_SU_EUlST_E_NS1_11comp_targetILNS1_3genE3ELNS1_11target_archE908ELNS1_3gpuE7ELNS1_3repE0EEENS1_30default_config_static_selectorELNS0_4arch9wavefront6targetE0EEEvT1_,@function
_ZN7rocprim17ROCPRIM_400000_NS6detail17trampoline_kernelINS0_14default_configENS1_27scan_by_key_config_selectorIssEEZZNS1_16scan_by_key_implILNS1_25lookback_scan_determinismE0ELb1ES3_N6thrust23THRUST_200600_302600_NS6detail15normal_iteratorINS9_10device_ptrIsEEEESE_SE_sNS9_4plusIsEE19head_flag_predicatesEE10hipError_tPvRmT2_T3_T4_T5_mT6_T7_P12ihipStream_tbENKUlT_T0_E_clISt17integral_constantIbLb1EESY_EEDaST_SU_EUlST_E_NS1_11comp_targetILNS1_3genE3ELNS1_11target_archE908ELNS1_3gpuE7ELNS1_3repE0EEENS1_30default_config_static_selectorELNS0_4arch9wavefront6targetE0EEEvT1_: ; @_ZN7rocprim17ROCPRIM_400000_NS6detail17trampoline_kernelINS0_14default_configENS1_27scan_by_key_config_selectorIssEEZZNS1_16scan_by_key_implILNS1_25lookback_scan_determinismE0ELb1ES3_N6thrust23THRUST_200600_302600_NS6detail15normal_iteratorINS9_10device_ptrIsEEEESE_SE_sNS9_4plusIsEE19head_flag_predicatesEE10hipError_tPvRmT2_T3_T4_T5_mT6_T7_P12ihipStream_tbENKUlT_T0_E_clISt17integral_constantIbLb1EESY_EEDaST_SU_EUlST_E_NS1_11comp_targetILNS1_3genE3ELNS1_11target_archE908ELNS1_3gpuE7ELNS1_3repE0EEENS1_30default_config_static_selectorELNS0_4arch9wavefront6targetE0EEEvT1_
; %bb.0:
	.section	.rodata,"a",@progbits
	.p2align	6, 0x0
	.amdhsa_kernel _ZN7rocprim17ROCPRIM_400000_NS6detail17trampoline_kernelINS0_14default_configENS1_27scan_by_key_config_selectorIssEEZZNS1_16scan_by_key_implILNS1_25lookback_scan_determinismE0ELb1ES3_N6thrust23THRUST_200600_302600_NS6detail15normal_iteratorINS9_10device_ptrIsEEEESE_SE_sNS9_4plusIsEE19head_flag_predicatesEE10hipError_tPvRmT2_T3_T4_T5_mT6_T7_P12ihipStream_tbENKUlT_T0_E_clISt17integral_constantIbLb1EESY_EEDaST_SU_EUlST_E_NS1_11comp_targetILNS1_3genE3ELNS1_11target_archE908ELNS1_3gpuE7ELNS1_3repE0EEENS1_30default_config_static_selectorELNS0_4arch9wavefront6targetE0EEEvT1_
		.amdhsa_group_segment_fixed_size 0
		.amdhsa_private_segment_fixed_size 0
		.amdhsa_kernarg_size 112
		.amdhsa_user_sgpr_count 2
		.amdhsa_user_sgpr_dispatch_ptr 0
		.amdhsa_user_sgpr_queue_ptr 0
		.amdhsa_user_sgpr_kernarg_segment_ptr 1
		.amdhsa_user_sgpr_dispatch_id 0
		.amdhsa_user_sgpr_kernarg_preload_length 0
		.amdhsa_user_sgpr_kernarg_preload_offset 0
		.amdhsa_user_sgpr_private_segment_size 0
		.amdhsa_wavefront_size32 1
		.amdhsa_uses_dynamic_stack 0
		.amdhsa_enable_private_segment 0
		.amdhsa_system_sgpr_workgroup_id_x 1
		.amdhsa_system_sgpr_workgroup_id_y 0
		.amdhsa_system_sgpr_workgroup_id_z 0
		.amdhsa_system_sgpr_workgroup_info 0
		.amdhsa_system_vgpr_workitem_id 0
		.amdhsa_next_free_vgpr 1
		.amdhsa_next_free_sgpr 1
		.amdhsa_named_barrier_count 0
		.amdhsa_reserve_vcc 0
		.amdhsa_float_round_mode_32 0
		.amdhsa_float_round_mode_16_64 0
		.amdhsa_float_denorm_mode_32 3
		.amdhsa_float_denorm_mode_16_64 3
		.amdhsa_fp16_overflow 0
		.amdhsa_memory_ordered 1
		.amdhsa_forward_progress 1
		.amdhsa_inst_pref_size 0
		.amdhsa_round_robin_scheduling 0
		.amdhsa_exception_fp_ieee_invalid_op 0
		.amdhsa_exception_fp_denorm_src 0
		.amdhsa_exception_fp_ieee_div_zero 0
		.amdhsa_exception_fp_ieee_overflow 0
		.amdhsa_exception_fp_ieee_underflow 0
		.amdhsa_exception_fp_ieee_inexact 0
		.amdhsa_exception_int_div_zero 0
	.end_amdhsa_kernel
	.section	.text._ZN7rocprim17ROCPRIM_400000_NS6detail17trampoline_kernelINS0_14default_configENS1_27scan_by_key_config_selectorIssEEZZNS1_16scan_by_key_implILNS1_25lookback_scan_determinismE0ELb1ES3_N6thrust23THRUST_200600_302600_NS6detail15normal_iteratorINS9_10device_ptrIsEEEESE_SE_sNS9_4plusIsEE19head_flag_predicatesEE10hipError_tPvRmT2_T3_T4_T5_mT6_T7_P12ihipStream_tbENKUlT_T0_E_clISt17integral_constantIbLb1EESY_EEDaST_SU_EUlST_E_NS1_11comp_targetILNS1_3genE3ELNS1_11target_archE908ELNS1_3gpuE7ELNS1_3repE0EEENS1_30default_config_static_selectorELNS0_4arch9wavefront6targetE0EEEvT1_,"axG",@progbits,_ZN7rocprim17ROCPRIM_400000_NS6detail17trampoline_kernelINS0_14default_configENS1_27scan_by_key_config_selectorIssEEZZNS1_16scan_by_key_implILNS1_25lookback_scan_determinismE0ELb1ES3_N6thrust23THRUST_200600_302600_NS6detail15normal_iteratorINS9_10device_ptrIsEEEESE_SE_sNS9_4plusIsEE19head_flag_predicatesEE10hipError_tPvRmT2_T3_T4_T5_mT6_T7_P12ihipStream_tbENKUlT_T0_E_clISt17integral_constantIbLb1EESY_EEDaST_SU_EUlST_E_NS1_11comp_targetILNS1_3genE3ELNS1_11target_archE908ELNS1_3gpuE7ELNS1_3repE0EEENS1_30default_config_static_selectorELNS0_4arch9wavefront6targetE0EEEvT1_,comdat
.Lfunc_end870:
	.size	_ZN7rocprim17ROCPRIM_400000_NS6detail17trampoline_kernelINS0_14default_configENS1_27scan_by_key_config_selectorIssEEZZNS1_16scan_by_key_implILNS1_25lookback_scan_determinismE0ELb1ES3_N6thrust23THRUST_200600_302600_NS6detail15normal_iteratorINS9_10device_ptrIsEEEESE_SE_sNS9_4plusIsEE19head_flag_predicatesEE10hipError_tPvRmT2_T3_T4_T5_mT6_T7_P12ihipStream_tbENKUlT_T0_E_clISt17integral_constantIbLb1EESY_EEDaST_SU_EUlST_E_NS1_11comp_targetILNS1_3genE3ELNS1_11target_archE908ELNS1_3gpuE7ELNS1_3repE0EEENS1_30default_config_static_selectorELNS0_4arch9wavefront6targetE0EEEvT1_, .Lfunc_end870-_ZN7rocprim17ROCPRIM_400000_NS6detail17trampoline_kernelINS0_14default_configENS1_27scan_by_key_config_selectorIssEEZZNS1_16scan_by_key_implILNS1_25lookback_scan_determinismE0ELb1ES3_N6thrust23THRUST_200600_302600_NS6detail15normal_iteratorINS9_10device_ptrIsEEEESE_SE_sNS9_4plusIsEE19head_flag_predicatesEE10hipError_tPvRmT2_T3_T4_T5_mT6_T7_P12ihipStream_tbENKUlT_T0_E_clISt17integral_constantIbLb1EESY_EEDaST_SU_EUlST_E_NS1_11comp_targetILNS1_3genE3ELNS1_11target_archE908ELNS1_3gpuE7ELNS1_3repE0EEENS1_30default_config_static_selectorELNS0_4arch9wavefront6targetE0EEEvT1_
                                        ; -- End function
	.set _ZN7rocprim17ROCPRIM_400000_NS6detail17trampoline_kernelINS0_14default_configENS1_27scan_by_key_config_selectorIssEEZZNS1_16scan_by_key_implILNS1_25lookback_scan_determinismE0ELb1ES3_N6thrust23THRUST_200600_302600_NS6detail15normal_iteratorINS9_10device_ptrIsEEEESE_SE_sNS9_4plusIsEE19head_flag_predicatesEE10hipError_tPvRmT2_T3_T4_T5_mT6_T7_P12ihipStream_tbENKUlT_T0_E_clISt17integral_constantIbLb1EESY_EEDaST_SU_EUlST_E_NS1_11comp_targetILNS1_3genE3ELNS1_11target_archE908ELNS1_3gpuE7ELNS1_3repE0EEENS1_30default_config_static_selectorELNS0_4arch9wavefront6targetE0EEEvT1_.num_vgpr, 0
	.set _ZN7rocprim17ROCPRIM_400000_NS6detail17trampoline_kernelINS0_14default_configENS1_27scan_by_key_config_selectorIssEEZZNS1_16scan_by_key_implILNS1_25lookback_scan_determinismE0ELb1ES3_N6thrust23THRUST_200600_302600_NS6detail15normal_iteratorINS9_10device_ptrIsEEEESE_SE_sNS9_4plusIsEE19head_flag_predicatesEE10hipError_tPvRmT2_T3_T4_T5_mT6_T7_P12ihipStream_tbENKUlT_T0_E_clISt17integral_constantIbLb1EESY_EEDaST_SU_EUlST_E_NS1_11comp_targetILNS1_3genE3ELNS1_11target_archE908ELNS1_3gpuE7ELNS1_3repE0EEENS1_30default_config_static_selectorELNS0_4arch9wavefront6targetE0EEEvT1_.num_agpr, 0
	.set _ZN7rocprim17ROCPRIM_400000_NS6detail17trampoline_kernelINS0_14default_configENS1_27scan_by_key_config_selectorIssEEZZNS1_16scan_by_key_implILNS1_25lookback_scan_determinismE0ELb1ES3_N6thrust23THRUST_200600_302600_NS6detail15normal_iteratorINS9_10device_ptrIsEEEESE_SE_sNS9_4plusIsEE19head_flag_predicatesEE10hipError_tPvRmT2_T3_T4_T5_mT6_T7_P12ihipStream_tbENKUlT_T0_E_clISt17integral_constantIbLb1EESY_EEDaST_SU_EUlST_E_NS1_11comp_targetILNS1_3genE3ELNS1_11target_archE908ELNS1_3gpuE7ELNS1_3repE0EEENS1_30default_config_static_selectorELNS0_4arch9wavefront6targetE0EEEvT1_.numbered_sgpr, 0
	.set _ZN7rocprim17ROCPRIM_400000_NS6detail17trampoline_kernelINS0_14default_configENS1_27scan_by_key_config_selectorIssEEZZNS1_16scan_by_key_implILNS1_25lookback_scan_determinismE0ELb1ES3_N6thrust23THRUST_200600_302600_NS6detail15normal_iteratorINS9_10device_ptrIsEEEESE_SE_sNS9_4plusIsEE19head_flag_predicatesEE10hipError_tPvRmT2_T3_T4_T5_mT6_T7_P12ihipStream_tbENKUlT_T0_E_clISt17integral_constantIbLb1EESY_EEDaST_SU_EUlST_E_NS1_11comp_targetILNS1_3genE3ELNS1_11target_archE908ELNS1_3gpuE7ELNS1_3repE0EEENS1_30default_config_static_selectorELNS0_4arch9wavefront6targetE0EEEvT1_.num_named_barrier, 0
	.set _ZN7rocprim17ROCPRIM_400000_NS6detail17trampoline_kernelINS0_14default_configENS1_27scan_by_key_config_selectorIssEEZZNS1_16scan_by_key_implILNS1_25lookback_scan_determinismE0ELb1ES3_N6thrust23THRUST_200600_302600_NS6detail15normal_iteratorINS9_10device_ptrIsEEEESE_SE_sNS9_4plusIsEE19head_flag_predicatesEE10hipError_tPvRmT2_T3_T4_T5_mT6_T7_P12ihipStream_tbENKUlT_T0_E_clISt17integral_constantIbLb1EESY_EEDaST_SU_EUlST_E_NS1_11comp_targetILNS1_3genE3ELNS1_11target_archE908ELNS1_3gpuE7ELNS1_3repE0EEENS1_30default_config_static_selectorELNS0_4arch9wavefront6targetE0EEEvT1_.private_seg_size, 0
	.set _ZN7rocprim17ROCPRIM_400000_NS6detail17trampoline_kernelINS0_14default_configENS1_27scan_by_key_config_selectorIssEEZZNS1_16scan_by_key_implILNS1_25lookback_scan_determinismE0ELb1ES3_N6thrust23THRUST_200600_302600_NS6detail15normal_iteratorINS9_10device_ptrIsEEEESE_SE_sNS9_4plusIsEE19head_flag_predicatesEE10hipError_tPvRmT2_T3_T4_T5_mT6_T7_P12ihipStream_tbENKUlT_T0_E_clISt17integral_constantIbLb1EESY_EEDaST_SU_EUlST_E_NS1_11comp_targetILNS1_3genE3ELNS1_11target_archE908ELNS1_3gpuE7ELNS1_3repE0EEENS1_30default_config_static_selectorELNS0_4arch9wavefront6targetE0EEEvT1_.uses_vcc, 0
	.set _ZN7rocprim17ROCPRIM_400000_NS6detail17trampoline_kernelINS0_14default_configENS1_27scan_by_key_config_selectorIssEEZZNS1_16scan_by_key_implILNS1_25lookback_scan_determinismE0ELb1ES3_N6thrust23THRUST_200600_302600_NS6detail15normal_iteratorINS9_10device_ptrIsEEEESE_SE_sNS9_4plusIsEE19head_flag_predicatesEE10hipError_tPvRmT2_T3_T4_T5_mT6_T7_P12ihipStream_tbENKUlT_T0_E_clISt17integral_constantIbLb1EESY_EEDaST_SU_EUlST_E_NS1_11comp_targetILNS1_3genE3ELNS1_11target_archE908ELNS1_3gpuE7ELNS1_3repE0EEENS1_30default_config_static_selectorELNS0_4arch9wavefront6targetE0EEEvT1_.uses_flat_scratch, 0
	.set _ZN7rocprim17ROCPRIM_400000_NS6detail17trampoline_kernelINS0_14default_configENS1_27scan_by_key_config_selectorIssEEZZNS1_16scan_by_key_implILNS1_25lookback_scan_determinismE0ELb1ES3_N6thrust23THRUST_200600_302600_NS6detail15normal_iteratorINS9_10device_ptrIsEEEESE_SE_sNS9_4plusIsEE19head_flag_predicatesEE10hipError_tPvRmT2_T3_T4_T5_mT6_T7_P12ihipStream_tbENKUlT_T0_E_clISt17integral_constantIbLb1EESY_EEDaST_SU_EUlST_E_NS1_11comp_targetILNS1_3genE3ELNS1_11target_archE908ELNS1_3gpuE7ELNS1_3repE0EEENS1_30default_config_static_selectorELNS0_4arch9wavefront6targetE0EEEvT1_.has_dyn_sized_stack, 0
	.set _ZN7rocprim17ROCPRIM_400000_NS6detail17trampoline_kernelINS0_14default_configENS1_27scan_by_key_config_selectorIssEEZZNS1_16scan_by_key_implILNS1_25lookback_scan_determinismE0ELb1ES3_N6thrust23THRUST_200600_302600_NS6detail15normal_iteratorINS9_10device_ptrIsEEEESE_SE_sNS9_4plusIsEE19head_flag_predicatesEE10hipError_tPvRmT2_T3_T4_T5_mT6_T7_P12ihipStream_tbENKUlT_T0_E_clISt17integral_constantIbLb1EESY_EEDaST_SU_EUlST_E_NS1_11comp_targetILNS1_3genE3ELNS1_11target_archE908ELNS1_3gpuE7ELNS1_3repE0EEENS1_30default_config_static_selectorELNS0_4arch9wavefront6targetE0EEEvT1_.has_recursion, 0
	.set _ZN7rocprim17ROCPRIM_400000_NS6detail17trampoline_kernelINS0_14default_configENS1_27scan_by_key_config_selectorIssEEZZNS1_16scan_by_key_implILNS1_25lookback_scan_determinismE0ELb1ES3_N6thrust23THRUST_200600_302600_NS6detail15normal_iteratorINS9_10device_ptrIsEEEESE_SE_sNS9_4plusIsEE19head_flag_predicatesEE10hipError_tPvRmT2_T3_T4_T5_mT6_T7_P12ihipStream_tbENKUlT_T0_E_clISt17integral_constantIbLb1EESY_EEDaST_SU_EUlST_E_NS1_11comp_targetILNS1_3genE3ELNS1_11target_archE908ELNS1_3gpuE7ELNS1_3repE0EEENS1_30default_config_static_selectorELNS0_4arch9wavefront6targetE0EEEvT1_.has_indirect_call, 0
	.section	.AMDGPU.csdata,"",@progbits
; Kernel info:
; codeLenInByte = 0
; TotalNumSgprs: 0
; NumVgprs: 0
; ScratchSize: 0
; MemoryBound: 0
; FloatMode: 240
; IeeeMode: 1
; LDSByteSize: 0 bytes/workgroup (compile time only)
; SGPRBlocks: 0
; VGPRBlocks: 0
; NumSGPRsForWavesPerEU: 1
; NumVGPRsForWavesPerEU: 1
; NamedBarCnt: 0
; Occupancy: 16
; WaveLimiterHint : 0
; COMPUTE_PGM_RSRC2:SCRATCH_EN: 0
; COMPUTE_PGM_RSRC2:USER_SGPR: 2
; COMPUTE_PGM_RSRC2:TRAP_HANDLER: 0
; COMPUTE_PGM_RSRC2:TGID_X_EN: 1
; COMPUTE_PGM_RSRC2:TGID_Y_EN: 0
; COMPUTE_PGM_RSRC2:TGID_Z_EN: 0
; COMPUTE_PGM_RSRC2:TIDIG_COMP_CNT: 0
	.section	.text._ZN7rocprim17ROCPRIM_400000_NS6detail17trampoline_kernelINS0_14default_configENS1_27scan_by_key_config_selectorIssEEZZNS1_16scan_by_key_implILNS1_25lookback_scan_determinismE0ELb1ES3_N6thrust23THRUST_200600_302600_NS6detail15normal_iteratorINS9_10device_ptrIsEEEESE_SE_sNS9_4plusIsEE19head_flag_predicatesEE10hipError_tPvRmT2_T3_T4_T5_mT6_T7_P12ihipStream_tbENKUlT_T0_E_clISt17integral_constantIbLb1EESY_EEDaST_SU_EUlST_E_NS1_11comp_targetILNS1_3genE2ELNS1_11target_archE906ELNS1_3gpuE6ELNS1_3repE0EEENS1_30default_config_static_selectorELNS0_4arch9wavefront6targetE0EEEvT1_,"axG",@progbits,_ZN7rocprim17ROCPRIM_400000_NS6detail17trampoline_kernelINS0_14default_configENS1_27scan_by_key_config_selectorIssEEZZNS1_16scan_by_key_implILNS1_25lookback_scan_determinismE0ELb1ES3_N6thrust23THRUST_200600_302600_NS6detail15normal_iteratorINS9_10device_ptrIsEEEESE_SE_sNS9_4plusIsEE19head_flag_predicatesEE10hipError_tPvRmT2_T3_T4_T5_mT6_T7_P12ihipStream_tbENKUlT_T0_E_clISt17integral_constantIbLb1EESY_EEDaST_SU_EUlST_E_NS1_11comp_targetILNS1_3genE2ELNS1_11target_archE906ELNS1_3gpuE6ELNS1_3repE0EEENS1_30default_config_static_selectorELNS0_4arch9wavefront6targetE0EEEvT1_,comdat
	.protected	_ZN7rocprim17ROCPRIM_400000_NS6detail17trampoline_kernelINS0_14default_configENS1_27scan_by_key_config_selectorIssEEZZNS1_16scan_by_key_implILNS1_25lookback_scan_determinismE0ELb1ES3_N6thrust23THRUST_200600_302600_NS6detail15normal_iteratorINS9_10device_ptrIsEEEESE_SE_sNS9_4plusIsEE19head_flag_predicatesEE10hipError_tPvRmT2_T3_T4_T5_mT6_T7_P12ihipStream_tbENKUlT_T0_E_clISt17integral_constantIbLb1EESY_EEDaST_SU_EUlST_E_NS1_11comp_targetILNS1_3genE2ELNS1_11target_archE906ELNS1_3gpuE6ELNS1_3repE0EEENS1_30default_config_static_selectorELNS0_4arch9wavefront6targetE0EEEvT1_ ; -- Begin function _ZN7rocprim17ROCPRIM_400000_NS6detail17trampoline_kernelINS0_14default_configENS1_27scan_by_key_config_selectorIssEEZZNS1_16scan_by_key_implILNS1_25lookback_scan_determinismE0ELb1ES3_N6thrust23THRUST_200600_302600_NS6detail15normal_iteratorINS9_10device_ptrIsEEEESE_SE_sNS9_4plusIsEE19head_flag_predicatesEE10hipError_tPvRmT2_T3_T4_T5_mT6_T7_P12ihipStream_tbENKUlT_T0_E_clISt17integral_constantIbLb1EESY_EEDaST_SU_EUlST_E_NS1_11comp_targetILNS1_3genE2ELNS1_11target_archE906ELNS1_3gpuE6ELNS1_3repE0EEENS1_30default_config_static_selectorELNS0_4arch9wavefront6targetE0EEEvT1_
	.globl	_ZN7rocprim17ROCPRIM_400000_NS6detail17trampoline_kernelINS0_14default_configENS1_27scan_by_key_config_selectorIssEEZZNS1_16scan_by_key_implILNS1_25lookback_scan_determinismE0ELb1ES3_N6thrust23THRUST_200600_302600_NS6detail15normal_iteratorINS9_10device_ptrIsEEEESE_SE_sNS9_4plusIsEE19head_flag_predicatesEE10hipError_tPvRmT2_T3_T4_T5_mT6_T7_P12ihipStream_tbENKUlT_T0_E_clISt17integral_constantIbLb1EESY_EEDaST_SU_EUlST_E_NS1_11comp_targetILNS1_3genE2ELNS1_11target_archE906ELNS1_3gpuE6ELNS1_3repE0EEENS1_30default_config_static_selectorELNS0_4arch9wavefront6targetE0EEEvT1_
	.p2align	8
	.type	_ZN7rocprim17ROCPRIM_400000_NS6detail17trampoline_kernelINS0_14default_configENS1_27scan_by_key_config_selectorIssEEZZNS1_16scan_by_key_implILNS1_25lookback_scan_determinismE0ELb1ES3_N6thrust23THRUST_200600_302600_NS6detail15normal_iteratorINS9_10device_ptrIsEEEESE_SE_sNS9_4plusIsEE19head_flag_predicatesEE10hipError_tPvRmT2_T3_T4_T5_mT6_T7_P12ihipStream_tbENKUlT_T0_E_clISt17integral_constantIbLb1EESY_EEDaST_SU_EUlST_E_NS1_11comp_targetILNS1_3genE2ELNS1_11target_archE906ELNS1_3gpuE6ELNS1_3repE0EEENS1_30default_config_static_selectorELNS0_4arch9wavefront6targetE0EEEvT1_,@function
_ZN7rocprim17ROCPRIM_400000_NS6detail17trampoline_kernelINS0_14default_configENS1_27scan_by_key_config_selectorIssEEZZNS1_16scan_by_key_implILNS1_25lookback_scan_determinismE0ELb1ES3_N6thrust23THRUST_200600_302600_NS6detail15normal_iteratorINS9_10device_ptrIsEEEESE_SE_sNS9_4plusIsEE19head_flag_predicatesEE10hipError_tPvRmT2_T3_T4_T5_mT6_T7_P12ihipStream_tbENKUlT_T0_E_clISt17integral_constantIbLb1EESY_EEDaST_SU_EUlST_E_NS1_11comp_targetILNS1_3genE2ELNS1_11target_archE906ELNS1_3gpuE6ELNS1_3repE0EEENS1_30default_config_static_selectorELNS0_4arch9wavefront6targetE0EEEvT1_: ; @_ZN7rocprim17ROCPRIM_400000_NS6detail17trampoline_kernelINS0_14default_configENS1_27scan_by_key_config_selectorIssEEZZNS1_16scan_by_key_implILNS1_25lookback_scan_determinismE0ELb1ES3_N6thrust23THRUST_200600_302600_NS6detail15normal_iteratorINS9_10device_ptrIsEEEESE_SE_sNS9_4plusIsEE19head_flag_predicatesEE10hipError_tPvRmT2_T3_T4_T5_mT6_T7_P12ihipStream_tbENKUlT_T0_E_clISt17integral_constantIbLb1EESY_EEDaST_SU_EUlST_E_NS1_11comp_targetILNS1_3genE2ELNS1_11target_archE906ELNS1_3gpuE6ELNS1_3repE0EEENS1_30default_config_static_selectorELNS0_4arch9wavefront6targetE0EEEvT1_
; %bb.0:
	.section	.rodata,"a",@progbits
	.p2align	6, 0x0
	.amdhsa_kernel _ZN7rocprim17ROCPRIM_400000_NS6detail17trampoline_kernelINS0_14default_configENS1_27scan_by_key_config_selectorIssEEZZNS1_16scan_by_key_implILNS1_25lookback_scan_determinismE0ELb1ES3_N6thrust23THRUST_200600_302600_NS6detail15normal_iteratorINS9_10device_ptrIsEEEESE_SE_sNS9_4plusIsEE19head_flag_predicatesEE10hipError_tPvRmT2_T3_T4_T5_mT6_T7_P12ihipStream_tbENKUlT_T0_E_clISt17integral_constantIbLb1EESY_EEDaST_SU_EUlST_E_NS1_11comp_targetILNS1_3genE2ELNS1_11target_archE906ELNS1_3gpuE6ELNS1_3repE0EEENS1_30default_config_static_selectorELNS0_4arch9wavefront6targetE0EEEvT1_
		.amdhsa_group_segment_fixed_size 0
		.amdhsa_private_segment_fixed_size 0
		.amdhsa_kernarg_size 112
		.amdhsa_user_sgpr_count 2
		.amdhsa_user_sgpr_dispatch_ptr 0
		.amdhsa_user_sgpr_queue_ptr 0
		.amdhsa_user_sgpr_kernarg_segment_ptr 1
		.amdhsa_user_sgpr_dispatch_id 0
		.amdhsa_user_sgpr_kernarg_preload_length 0
		.amdhsa_user_sgpr_kernarg_preload_offset 0
		.amdhsa_user_sgpr_private_segment_size 0
		.amdhsa_wavefront_size32 1
		.amdhsa_uses_dynamic_stack 0
		.amdhsa_enable_private_segment 0
		.amdhsa_system_sgpr_workgroup_id_x 1
		.amdhsa_system_sgpr_workgroup_id_y 0
		.amdhsa_system_sgpr_workgroup_id_z 0
		.amdhsa_system_sgpr_workgroup_info 0
		.amdhsa_system_vgpr_workitem_id 0
		.amdhsa_next_free_vgpr 1
		.amdhsa_next_free_sgpr 1
		.amdhsa_named_barrier_count 0
		.amdhsa_reserve_vcc 0
		.amdhsa_float_round_mode_32 0
		.amdhsa_float_round_mode_16_64 0
		.amdhsa_float_denorm_mode_32 3
		.amdhsa_float_denorm_mode_16_64 3
		.amdhsa_fp16_overflow 0
		.amdhsa_memory_ordered 1
		.amdhsa_forward_progress 1
		.amdhsa_inst_pref_size 0
		.amdhsa_round_robin_scheduling 0
		.amdhsa_exception_fp_ieee_invalid_op 0
		.amdhsa_exception_fp_denorm_src 0
		.amdhsa_exception_fp_ieee_div_zero 0
		.amdhsa_exception_fp_ieee_overflow 0
		.amdhsa_exception_fp_ieee_underflow 0
		.amdhsa_exception_fp_ieee_inexact 0
		.amdhsa_exception_int_div_zero 0
	.end_amdhsa_kernel
	.section	.text._ZN7rocprim17ROCPRIM_400000_NS6detail17trampoline_kernelINS0_14default_configENS1_27scan_by_key_config_selectorIssEEZZNS1_16scan_by_key_implILNS1_25lookback_scan_determinismE0ELb1ES3_N6thrust23THRUST_200600_302600_NS6detail15normal_iteratorINS9_10device_ptrIsEEEESE_SE_sNS9_4plusIsEE19head_flag_predicatesEE10hipError_tPvRmT2_T3_T4_T5_mT6_T7_P12ihipStream_tbENKUlT_T0_E_clISt17integral_constantIbLb1EESY_EEDaST_SU_EUlST_E_NS1_11comp_targetILNS1_3genE2ELNS1_11target_archE906ELNS1_3gpuE6ELNS1_3repE0EEENS1_30default_config_static_selectorELNS0_4arch9wavefront6targetE0EEEvT1_,"axG",@progbits,_ZN7rocprim17ROCPRIM_400000_NS6detail17trampoline_kernelINS0_14default_configENS1_27scan_by_key_config_selectorIssEEZZNS1_16scan_by_key_implILNS1_25lookback_scan_determinismE0ELb1ES3_N6thrust23THRUST_200600_302600_NS6detail15normal_iteratorINS9_10device_ptrIsEEEESE_SE_sNS9_4plusIsEE19head_flag_predicatesEE10hipError_tPvRmT2_T3_T4_T5_mT6_T7_P12ihipStream_tbENKUlT_T0_E_clISt17integral_constantIbLb1EESY_EEDaST_SU_EUlST_E_NS1_11comp_targetILNS1_3genE2ELNS1_11target_archE906ELNS1_3gpuE6ELNS1_3repE0EEENS1_30default_config_static_selectorELNS0_4arch9wavefront6targetE0EEEvT1_,comdat
.Lfunc_end871:
	.size	_ZN7rocprim17ROCPRIM_400000_NS6detail17trampoline_kernelINS0_14default_configENS1_27scan_by_key_config_selectorIssEEZZNS1_16scan_by_key_implILNS1_25lookback_scan_determinismE0ELb1ES3_N6thrust23THRUST_200600_302600_NS6detail15normal_iteratorINS9_10device_ptrIsEEEESE_SE_sNS9_4plusIsEE19head_flag_predicatesEE10hipError_tPvRmT2_T3_T4_T5_mT6_T7_P12ihipStream_tbENKUlT_T0_E_clISt17integral_constantIbLb1EESY_EEDaST_SU_EUlST_E_NS1_11comp_targetILNS1_3genE2ELNS1_11target_archE906ELNS1_3gpuE6ELNS1_3repE0EEENS1_30default_config_static_selectorELNS0_4arch9wavefront6targetE0EEEvT1_, .Lfunc_end871-_ZN7rocprim17ROCPRIM_400000_NS6detail17trampoline_kernelINS0_14default_configENS1_27scan_by_key_config_selectorIssEEZZNS1_16scan_by_key_implILNS1_25lookback_scan_determinismE0ELb1ES3_N6thrust23THRUST_200600_302600_NS6detail15normal_iteratorINS9_10device_ptrIsEEEESE_SE_sNS9_4plusIsEE19head_flag_predicatesEE10hipError_tPvRmT2_T3_T4_T5_mT6_T7_P12ihipStream_tbENKUlT_T0_E_clISt17integral_constantIbLb1EESY_EEDaST_SU_EUlST_E_NS1_11comp_targetILNS1_3genE2ELNS1_11target_archE906ELNS1_3gpuE6ELNS1_3repE0EEENS1_30default_config_static_selectorELNS0_4arch9wavefront6targetE0EEEvT1_
                                        ; -- End function
	.set _ZN7rocprim17ROCPRIM_400000_NS6detail17trampoline_kernelINS0_14default_configENS1_27scan_by_key_config_selectorIssEEZZNS1_16scan_by_key_implILNS1_25lookback_scan_determinismE0ELb1ES3_N6thrust23THRUST_200600_302600_NS6detail15normal_iteratorINS9_10device_ptrIsEEEESE_SE_sNS9_4plusIsEE19head_flag_predicatesEE10hipError_tPvRmT2_T3_T4_T5_mT6_T7_P12ihipStream_tbENKUlT_T0_E_clISt17integral_constantIbLb1EESY_EEDaST_SU_EUlST_E_NS1_11comp_targetILNS1_3genE2ELNS1_11target_archE906ELNS1_3gpuE6ELNS1_3repE0EEENS1_30default_config_static_selectorELNS0_4arch9wavefront6targetE0EEEvT1_.num_vgpr, 0
	.set _ZN7rocprim17ROCPRIM_400000_NS6detail17trampoline_kernelINS0_14default_configENS1_27scan_by_key_config_selectorIssEEZZNS1_16scan_by_key_implILNS1_25lookback_scan_determinismE0ELb1ES3_N6thrust23THRUST_200600_302600_NS6detail15normal_iteratorINS9_10device_ptrIsEEEESE_SE_sNS9_4plusIsEE19head_flag_predicatesEE10hipError_tPvRmT2_T3_T4_T5_mT6_T7_P12ihipStream_tbENKUlT_T0_E_clISt17integral_constantIbLb1EESY_EEDaST_SU_EUlST_E_NS1_11comp_targetILNS1_3genE2ELNS1_11target_archE906ELNS1_3gpuE6ELNS1_3repE0EEENS1_30default_config_static_selectorELNS0_4arch9wavefront6targetE0EEEvT1_.num_agpr, 0
	.set _ZN7rocprim17ROCPRIM_400000_NS6detail17trampoline_kernelINS0_14default_configENS1_27scan_by_key_config_selectorIssEEZZNS1_16scan_by_key_implILNS1_25lookback_scan_determinismE0ELb1ES3_N6thrust23THRUST_200600_302600_NS6detail15normal_iteratorINS9_10device_ptrIsEEEESE_SE_sNS9_4plusIsEE19head_flag_predicatesEE10hipError_tPvRmT2_T3_T4_T5_mT6_T7_P12ihipStream_tbENKUlT_T0_E_clISt17integral_constantIbLb1EESY_EEDaST_SU_EUlST_E_NS1_11comp_targetILNS1_3genE2ELNS1_11target_archE906ELNS1_3gpuE6ELNS1_3repE0EEENS1_30default_config_static_selectorELNS0_4arch9wavefront6targetE0EEEvT1_.numbered_sgpr, 0
	.set _ZN7rocprim17ROCPRIM_400000_NS6detail17trampoline_kernelINS0_14default_configENS1_27scan_by_key_config_selectorIssEEZZNS1_16scan_by_key_implILNS1_25lookback_scan_determinismE0ELb1ES3_N6thrust23THRUST_200600_302600_NS6detail15normal_iteratorINS9_10device_ptrIsEEEESE_SE_sNS9_4plusIsEE19head_flag_predicatesEE10hipError_tPvRmT2_T3_T4_T5_mT6_T7_P12ihipStream_tbENKUlT_T0_E_clISt17integral_constantIbLb1EESY_EEDaST_SU_EUlST_E_NS1_11comp_targetILNS1_3genE2ELNS1_11target_archE906ELNS1_3gpuE6ELNS1_3repE0EEENS1_30default_config_static_selectorELNS0_4arch9wavefront6targetE0EEEvT1_.num_named_barrier, 0
	.set _ZN7rocprim17ROCPRIM_400000_NS6detail17trampoline_kernelINS0_14default_configENS1_27scan_by_key_config_selectorIssEEZZNS1_16scan_by_key_implILNS1_25lookback_scan_determinismE0ELb1ES3_N6thrust23THRUST_200600_302600_NS6detail15normal_iteratorINS9_10device_ptrIsEEEESE_SE_sNS9_4plusIsEE19head_flag_predicatesEE10hipError_tPvRmT2_T3_T4_T5_mT6_T7_P12ihipStream_tbENKUlT_T0_E_clISt17integral_constantIbLb1EESY_EEDaST_SU_EUlST_E_NS1_11comp_targetILNS1_3genE2ELNS1_11target_archE906ELNS1_3gpuE6ELNS1_3repE0EEENS1_30default_config_static_selectorELNS0_4arch9wavefront6targetE0EEEvT1_.private_seg_size, 0
	.set _ZN7rocprim17ROCPRIM_400000_NS6detail17trampoline_kernelINS0_14default_configENS1_27scan_by_key_config_selectorIssEEZZNS1_16scan_by_key_implILNS1_25lookback_scan_determinismE0ELb1ES3_N6thrust23THRUST_200600_302600_NS6detail15normal_iteratorINS9_10device_ptrIsEEEESE_SE_sNS9_4plusIsEE19head_flag_predicatesEE10hipError_tPvRmT2_T3_T4_T5_mT6_T7_P12ihipStream_tbENKUlT_T0_E_clISt17integral_constantIbLb1EESY_EEDaST_SU_EUlST_E_NS1_11comp_targetILNS1_3genE2ELNS1_11target_archE906ELNS1_3gpuE6ELNS1_3repE0EEENS1_30default_config_static_selectorELNS0_4arch9wavefront6targetE0EEEvT1_.uses_vcc, 0
	.set _ZN7rocprim17ROCPRIM_400000_NS6detail17trampoline_kernelINS0_14default_configENS1_27scan_by_key_config_selectorIssEEZZNS1_16scan_by_key_implILNS1_25lookback_scan_determinismE0ELb1ES3_N6thrust23THRUST_200600_302600_NS6detail15normal_iteratorINS9_10device_ptrIsEEEESE_SE_sNS9_4plusIsEE19head_flag_predicatesEE10hipError_tPvRmT2_T3_T4_T5_mT6_T7_P12ihipStream_tbENKUlT_T0_E_clISt17integral_constantIbLb1EESY_EEDaST_SU_EUlST_E_NS1_11comp_targetILNS1_3genE2ELNS1_11target_archE906ELNS1_3gpuE6ELNS1_3repE0EEENS1_30default_config_static_selectorELNS0_4arch9wavefront6targetE0EEEvT1_.uses_flat_scratch, 0
	.set _ZN7rocprim17ROCPRIM_400000_NS6detail17trampoline_kernelINS0_14default_configENS1_27scan_by_key_config_selectorIssEEZZNS1_16scan_by_key_implILNS1_25lookback_scan_determinismE0ELb1ES3_N6thrust23THRUST_200600_302600_NS6detail15normal_iteratorINS9_10device_ptrIsEEEESE_SE_sNS9_4plusIsEE19head_flag_predicatesEE10hipError_tPvRmT2_T3_T4_T5_mT6_T7_P12ihipStream_tbENKUlT_T0_E_clISt17integral_constantIbLb1EESY_EEDaST_SU_EUlST_E_NS1_11comp_targetILNS1_3genE2ELNS1_11target_archE906ELNS1_3gpuE6ELNS1_3repE0EEENS1_30default_config_static_selectorELNS0_4arch9wavefront6targetE0EEEvT1_.has_dyn_sized_stack, 0
	.set _ZN7rocprim17ROCPRIM_400000_NS6detail17trampoline_kernelINS0_14default_configENS1_27scan_by_key_config_selectorIssEEZZNS1_16scan_by_key_implILNS1_25lookback_scan_determinismE0ELb1ES3_N6thrust23THRUST_200600_302600_NS6detail15normal_iteratorINS9_10device_ptrIsEEEESE_SE_sNS9_4plusIsEE19head_flag_predicatesEE10hipError_tPvRmT2_T3_T4_T5_mT6_T7_P12ihipStream_tbENKUlT_T0_E_clISt17integral_constantIbLb1EESY_EEDaST_SU_EUlST_E_NS1_11comp_targetILNS1_3genE2ELNS1_11target_archE906ELNS1_3gpuE6ELNS1_3repE0EEENS1_30default_config_static_selectorELNS0_4arch9wavefront6targetE0EEEvT1_.has_recursion, 0
	.set _ZN7rocprim17ROCPRIM_400000_NS6detail17trampoline_kernelINS0_14default_configENS1_27scan_by_key_config_selectorIssEEZZNS1_16scan_by_key_implILNS1_25lookback_scan_determinismE0ELb1ES3_N6thrust23THRUST_200600_302600_NS6detail15normal_iteratorINS9_10device_ptrIsEEEESE_SE_sNS9_4plusIsEE19head_flag_predicatesEE10hipError_tPvRmT2_T3_T4_T5_mT6_T7_P12ihipStream_tbENKUlT_T0_E_clISt17integral_constantIbLb1EESY_EEDaST_SU_EUlST_E_NS1_11comp_targetILNS1_3genE2ELNS1_11target_archE906ELNS1_3gpuE6ELNS1_3repE0EEENS1_30default_config_static_selectorELNS0_4arch9wavefront6targetE0EEEvT1_.has_indirect_call, 0
	.section	.AMDGPU.csdata,"",@progbits
; Kernel info:
; codeLenInByte = 0
; TotalNumSgprs: 0
; NumVgprs: 0
; ScratchSize: 0
; MemoryBound: 0
; FloatMode: 240
; IeeeMode: 1
; LDSByteSize: 0 bytes/workgroup (compile time only)
; SGPRBlocks: 0
; VGPRBlocks: 0
; NumSGPRsForWavesPerEU: 1
; NumVGPRsForWavesPerEU: 1
; NamedBarCnt: 0
; Occupancy: 16
; WaveLimiterHint : 0
; COMPUTE_PGM_RSRC2:SCRATCH_EN: 0
; COMPUTE_PGM_RSRC2:USER_SGPR: 2
; COMPUTE_PGM_RSRC2:TRAP_HANDLER: 0
; COMPUTE_PGM_RSRC2:TGID_X_EN: 1
; COMPUTE_PGM_RSRC2:TGID_Y_EN: 0
; COMPUTE_PGM_RSRC2:TGID_Z_EN: 0
; COMPUTE_PGM_RSRC2:TIDIG_COMP_CNT: 0
	.section	.text._ZN7rocprim17ROCPRIM_400000_NS6detail17trampoline_kernelINS0_14default_configENS1_27scan_by_key_config_selectorIssEEZZNS1_16scan_by_key_implILNS1_25lookback_scan_determinismE0ELb1ES3_N6thrust23THRUST_200600_302600_NS6detail15normal_iteratorINS9_10device_ptrIsEEEESE_SE_sNS9_4plusIsEE19head_flag_predicatesEE10hipError_tPvRmT2_T3_T4_T5_mT6_T7_P12ihipStream_tbENKUlT_T0_E_clISt17integral_constantIbLb1EESY_EEDaST_SU_EUlST_E_NS1_11comp_targetILNS1_3genE10ELNS1_11target_archE1200ELNS1_3gpuE4ELNS1_3repE0EEENS1_30default_config_static_selectorELNS0_4arch9wavefront6targetE0EEEvT1_,"axG",@progbits,_ZN7rocprim17ROCPRIM_400000_NS6detail17trampoline_kernelINS0_14default_configENS1_27scan_by_key_config_selectorIssEEZZNS1_16scan_by_key_implILNS1_25lookback_scan_determinismE0ELb1ES3_N6thrust23THRUST_200600_302600_NS6detail15normal_iteratorINS9_10device_ptrIsEEEESE_SE_sNS9_4plusIsEE19head_flag_predicatesEE10hipError_tPvRmT2_T3_T4_T5_mT6_T7_P12ihipStream_tbENKUlT_T0_E_clISt17integral_constantIbLb1EESY_EEDaST_SU_EUlST_E_NS1_11comp_targetILNS1_3genE10ELNS1_11target_archE1200ELNS1_3gpuE4ELNS1_3repE0EEENS1_30default_config_static_selectorELNS0_4arch9wavefront6targetE0EEEvT1_,comdat
	.protected	_ZN7rocprim17ROCPRIM_400000_NS6detail17trampoline_kernelINS0_14default_configENS1_27scan_by_key_config_selectorIssEEZZNS1_16scan_by_key_implILNS1_25lookback_scan_determinismE0ELb1ES3_N6thrust23THRUST_200600_302600_NS6detail15normal_iteratorINS9_10device_ptrIsEEEESE_SE_sNS9_4plusIsEE19head_flag_predicatesEE10hipError_tPvRmT2_T3_T4_T5_mT6_T7_P12ihipStream_tbENKUlT_T0_E_clISt17integral_constantIbLb1EESY_EEDaST_SU_EUlST_E_NS1_11comp_targetILNS1_3genE10ELNS1_11target_archE1200ELNS1_3gpuE4ELNS1_3repE0EEENS1_30default_config_static_selectorELNS0_4arch9wavefront6targetE0EEEvT1_ ; -- Begin function _ZN7rocprim17ROCPRIM_400000_NS6detail17trampoline_kernelINS0_14default_configENS1_27scan_by_key_config_selectorIssEEZZNS1_16scan_by_key_implILNS1_25lookback_scan_determinismE0ELb1ES3_N6thrust23THRUST_200600_302600_NS6detail15normal_iteratorINS9_10device_ptrIsEEEESE_SE_sNS9_4plusIsEE19head_flag_predicatesEE10hipError_tPvRmT2_T3_T4_T5_mT6_T7_P12ihipStream_tbENKUlT_T0_E_clISt17integral_constantIbLb1EESY_EEDaST_SU_EUlST_E_NS1_11comp_targetILNS1_3genE10ELNS1_11target_archE1200ELNS1_3gpuE4ELNS1_3repE0EEENS1_30default_config_static_selectorELNS0_4arch9wavefront6targetE0EEEvT1_
	.globl	_ZN7rocprim17ROCPRIM_400000_NS6detail17trampoline_kernelINS0_14default_configENS1_27scan_by_key_config_selectorIssEEZZNS1_16scan_by_key_implILNS1_25lookback_scan_determinismE0ELb1ES3_N6thrust23THRUST_200600_302600_NS6detail15normal_iteratorINS9_10device_ptrIsEEEESE_SE_sNS9_4plusIsEE19head_flag_predicatesEE10hipError_tPvRmT2_T3_T4_T5_mT6_T7_P12ihipStream_tbENKUlT_T0_E_clISt17integral_constantIbLb1EESY_EEDaST_SU_EUlST_E_NS1_11comp_targetILNS1_3genE10ELNS1_11target_archE1200ELNS1_3gpuE4ELNS1_3repE0EEENS1_30default_config_static_selectorELNS0_4arch9wavefront6targetE0EEEvT1_
	.p2align	8
	.type	_ZN7rocprim17ROCPRIM_400000_NS6detail17trampoline_kernelINS0_14default_configENS1_27scan_by_key_config_selectorIssEEZZNS1_16scan_by_key_implILNS1_25lookback_scan_determinismE0ELb1ES3_N6thrust23THRUST_200600_302600_NS6detail15normal_iteratorINS9_10device_ptrIsEEEESE_SE_sNS9_4plusIsEE19head_flag_predicatesEE10hipError_tPvRmT2_T3_T4_T5_mT6_T7_P12ihipStream_tbENKUlT_T0_E_clISt17integral_constantIbLb1EESY_EEDaST_SU_EUlST_E_NS1_11comp_targetILNS1_3genE10ELNS1_11target_archE1200ELNS1_3gpuE4ELNS1_3repE0EEENS1_30default_config_static_selectorELNS0_4arch9wavefront6targetE0EEEvT1_,@function
_ZN7rocprim17ROCPRIM_400000_NS6detail17trampoline_kernelINS0_14default_configENS1_27scan_by_key_config_selectorIssEEZZNS1_16scan_by_key_implILNS1_25lookback_scan_determinismE0ELb1ES3_N6thrust23THRUST_200600_302600_NS6detail15normal_iteratorINS9_10device_ptrIsEEEESE_SE_sNS9_4plusIsEE19head_flag_predicatesEE10hipError_tPvRmT2_T3_T4_T5_mT6_T7_P12ihipStream_tbENKUlT_T0_E_clISt17integral_constantIbLb1EESY_EEDaST_SU_EUlST_E_NS1_11comp_targetILNS1_3genE10ELNS1_11target_archE1200ELNS1_3gpuE4ELNS1_3repE0EEENS1_30default_config_static_selectorELNS0_4arch9wavefront6targetE0EEEvT1_: ; @_ZN7rocprim17ROCPRIM_400000_NS6detail17trampoline_kernelINS0_14default_configENS1_27scan_by_key_config_selectorIssEEZZNS1_16scan_by_key_implILNS1_25lookback_scan_determinismE0ELb1ES3_N6thrust23THRUST_200600_302600_NS6detail15normal_iteratorINS9_10device_ptrIsEEEESE_SE_sNS9_4plusIsEE19head_flag_predicatesEE10hipError_tPvRmT2_T3_T4_T5_mT6_T7_P12ihipStream_tbENKUlT_T0_E_clISt17integral_constantIbLb1EESY_EEDaST_SU_EUlST_E_NS1_11comp_targetILNS1_3genE10ELNS1_11target_archE1200ELNS1_3gpuE4ELNS1_3repE0EEENS1_30default_config_static_selectorELNS0_4arch9wavefront6targetE0EEEvT1_
; %bb.0:
	.section	.rodata,"a",@progbits
	.p2align	6, 0x0
	.amdhsa_kernel _ZN7rocprim17ROCPRIM_400000_NS6detail17trampoline_kernelINS0_14default_configENS1_27scan_by_key_config_selectorIssEEZZNS1_16scan_by_key_implILNS1_25lookback_scan_determinismE0ELb1ES3_N6thrust23THRUST_200600_302600_NS6detail15normal_iteratorINS9_10device_ptrIsEEEESE_SE_sNS9_4plusIsEE19head_flag_predicatesEE10hipError_tPvRmT2_T3_T4_T5_mT6_T7_P12ihipStream_tbENKUlT_T0_E_clISt17integral_constantIbLb1EESY_EEDaST_SU_EUlST_E_NS1_11comp_targetILNS1_3genE10ELNS1_11target_archE1200ELNS1_3gpuE4ELNS1_3repE0EEENS1_30default_config_static_selectorELNS0_4arch9wavefront6targetE0EEEvT1_
		.amdhsa_group_segment_fixed_size 0
		.amdhsa_private_segment_fixed_size 0
		.amdhsa_kernarg_size 112
		.amdhsa_user_sgpr_count 2
		.amdhsa_user_sgpr_dispatch_ptr 0
		.amdhsa_user_sgpr_queue_ptr 0
		.amdhsa_user_sgpr_kernarg_segment_ptr 1
		.amdhsa_user_sgpr_dispatch_id 0
		.amdhsa_user_sgpr_kernarg_preload_length 0
		.amdhsa_user_sgpr_kernarg_preload_offset 0
		.amdhsa_user_sgpr_private_segment_size 0
		.amdhsa_wavefront_size32 1
		.amdhsa_uses_dynamic_stack 0
		.amdhsa_enable_private_segment 0
		.amdhsa_system_sgpr_workgroup_id_x 1
		.amdhsa_system_sgpr_workgroup_id_y 0
		.amdhsa_system_sgpr_workgroup_id_z 0
		.amdhsa_system_sgpr_workgroup_info 0
		.amdhsa_system_vgpr_workitem_id 0
		.amdhsa_next_free_vgpr 1
		.amdhsa_next_free_sgpr 1
		.amdhsa_named_barrier_count 0
		.amdhsa_reserve_vcc 0
		.amdhsa_float_round_mode_32 0
		.amdhsa_float_round_mode_16_64 0
		.amdhsa_float_denorm_mode_32 3
		.amdhsa_float_denorm_mode_16_64 3
		.amdhsa_fp16_overflow 0
		.amdhsa_memory_ordered 1
		.amdhsa_forward_progress 1
		.amdhsa_inst_pref_size 0
		.amdhsa_round_robin_scheduling 0
		.amdhsa_exception_fp_ieee_invalid_op 0
		.amdhsa_exception_fp_denorm_src 0
		.amdhsa_exception_fp_ieee_div_zero 0
		.amdhsa_exception_fp_ieee_overflow 0
		.amdhsa_exception_fp_ieee_underflow 0
		.amdhsa_exception_fp_ieee_inexact 0
		.amdhsa_exception_int_div_zero 0
	.end_amdhsa_kernel
	.section	.text._ZN7rocprim17ROCPRIM_400000_NS6detail17trampoline_kernelINS0_14default_configENS1_27scan_by_key_config_selectorIssEEZZNS1_16scan_by_key_implILNS1_25lookback_scan_determinismE0ELb1ES3_N6thrust23THRUST_200600_302600_NS6detail15normal_iteratorINS9_10device_ptrIsEEEESE_SE_sNS9_4plusIsEE19head_flag_predicatesEE10hipError_tPvRmT2_T3_T4_T5_mT6_T7_P12ihipStream_tbENKUlT_T0_E_clISt17integral_constantIbLb1EESY_EEDaST_SU_EUlST_E_NS1_11comp_targetILNS1_3genE10ELNS1_11target_archE1200ELNS1_3gpuE4ELNS1_3repE0EEENS1_30default_config_static_selectorELNS0_4arch9wavefront6targetE0EEEvT1_,"axG",@progbits,_ZN7rocprim17ROCPRIM_400000_NS6detail17trampoline_kernelINS0_14default_configENS1_27scan_by_key_config_selectorIssEEZZNS1_16scan_by_key_implILNS1_25lookback_scan_determinismE0ELb1ES3_N6thrust23THRUST_200600_302600_NS6detail15normal_iteratorINS9_10device_ptrIsEEEESE_SE_sNS9_4plusIsEE19head_flag_predicatesEE10hipError_tPvRmT2_T3_T4_T5_mT6_T7_P12ihipStream_tbENKUlT_T0_E_clISt17integral_constantIbLb1EESY_EEDaST_SU_EUlST_E_NS1_11comp_targetILNS1_3genE10ELNS1_11target_archE1200ELNS1_3gpuE4ELNS1_3repE0EEENS1_30default_config_static_selectorELNS0_4arch9wavefront6targetE0EEEvT1_,comdat
.Lfunc_end872:
	.size	_ZN7rocprim17ROCPRIM_400000_NS6detail17trampoline_kernelINS0_14default_configENS1_27scan_by_key_config_selectorIssEEZZNS1_16scan_by_key_implILNS1_25lookback_scan_determinismE0ELb1ES3_N6thrust23THRUST_200600_302600_NS6detail15normal_iteratorINS9_10device_ptrIsEEEESE_SE_sNS9_4plusIsEE19head_flag_predicatesEE10hipError_tPvRmT2_T3_T4_T5_mT6_T7_P12ihipStream_tbENKUlT_T0_E_clISt17integral_constantIbLb1EESY_EEDaST_SU_EUlST_E_NS1_11comp_targetILNS1_3genE10ELNS1_11target_archE1200ELNS1_3gpuE4ELNS1_3repE0EEENS1_30default_config_static_selectorELNS0_4arch9wavefront6targetE0EEEvT1_, .Lfunc_end872-_ZN7rocprim17ROCPRIM_400000_NS6detail17trampoline_kernelINS0_14default_configENS1_27scan_by_key_config_selectorIssEEZZNS1_16scan_by_key_implILNS1_25lookback_scan_determinismE0ELb1ES3_N6thrust23THRUST_200600_302600_NS6detail15normal_iteratorINS9_10device_ptrIsEEEESE_SE_sNS9_4plusIsEE19head_flag_predicatesEE10hipError_tPvRmT2_T3_T4_T5_mT6_T7_P12ihipStream_tbENKUlT_T0_E_clISt17integral_constantIbLb1EESY_EEDaST_SU_EUlST_E_NS1_11comp_targetILNS1_3genE10ELNS1_11target_archE1200ELNS1_3gpuE4ELNS1_3repE0EEENS1_30default_config_static_selectorELNS0_4arch9wavefront6targetE0EEEvT1_
                                        ; -- End function
	.set _ZN7rocprim17ROCPRIM_400000_NS6detail17trampoline_kernelINS0_14default_configENS1_27scan_by_key_config_selectorIssEEZZNS1_16scan_by_key_implILNS1_25lookback_scan_determinismE0ELb1ES3_N6thrust23THRUST_200600_302600_NS6detail15normal_iteratorINS9_10device_ptrIsEEEESE_SE_sNS9_4plusIsEE19head_flag_predicatesEE10hipError_tPvRmT2_T3_T4_T5_mT6_T7_P12ihipStream_tbENKUlT_T0_E_clISt17integral_constantIbLb1EESY_EEDaST_SU_EUlST_E_NS1_11comp_targetILNS1_3genE10ELNS1_11target_archE1200ELNS1_3gpuE4ELNS1_3repE0EEENS1_30default_config_static_selectorELNS0_4arch9wavefront6targetE0EEEvT1_.num_vgpr, 0
	.set _ZN7rocprim17ROCPRIM_400000_NS6detail17trampoline_kernelINS0_14default_configENS1_27scan_by_key_config_selectorIssEEZZNS1_16scan_by_key_implILNS1_25lookback_scan_determinismE0ELb1ES3_N6thrust23THRUST_200600_302600_NS6detail15normal_iteratorINS9_10device_ptrIsEEEESE_SE_sNS9_4plusIsEE19head_flag_predicatesEE10hipError_tPvRmT2_T3_T4_T5_mT6_T7_P12ihipStream_tbENKUlT_T0_E_clISt17integral_constantIbLb1EESY_EEDaST_SU_EUlST_E_NS1_11comp_targetILNS1_3genE10ELNS1_11target_archE1200ELNS1_3gpuE4ELNS1_3repE0EEENS1_30default_config_static_selectorELNS0_4arch9wavefront6targetE0EEEvT1_.num_agpr, 0
	.set _ZN7rocprim17ROCPRIM_400000_NS6detail17trampoline_kernelINS0_14default_configENS1_27scan_by_key_config_selectorIssEEZZNS1_16scan_by_key_implILNS1_25lookback_scan_determinismE0ELb1ES3_N6thrust23THRUST_200600_302600_NS6detail15normal_iteratorINS9_10device_ptrIsEEEESE_SE_sNS9_4plusIsEE19head_flag_predicatesEE10hipError_tPvRmT2_T3_T4_T5_mT6_T7_P12ihipStream_tbENKUlT_T0_E_clISt17integral_constantIbLb1EESY_EEDaST_SU_EUlST_E_NS1_11comp_targetILNS1_3genE10ELNS1_11target_archE1200ELNS1_3gpuE4ELNS1_3repE0EEENS1_30default_config_static_selectorELNS0_4arch9wavefront6targetE0EEEvT1_.numbered_sgpr, 0
	.set _ZN7rocprim17ROCPRIM_400000_NS6detail17trampoline_kernelINS0_14default_configENS1_27scan_by_key_config_selectorIssEEZZNS1_16scan_by_key_implILNS1_25lookback_scan_determinismE0ELb1ES3_N6thrust23THRUST_200600_302600_NS6detail15normal_iteratorINS9_10device_ptrIsEEEESE_SE_sNS9_4plusIsEE19head_flag_predicatesEE10hipError_tPvRmT2_T3_T4_T5_mT6_T7_P12ihipStream_tbENKUlT_T0_E_clISt17integral_constantIbLb1EESY_EEDaST_SU_EUlST_E_NS1_11comp_targetILNS1_3genE10ELNS1_11target_archE1200ELNS1_3gpuE4ELNS1_3repE0EEENS1_30default_config_static_selectorELNS0_4arch9wavefront6targetE0EEEvT1_.num_named_barrier, 0
	.set _ZN7rocprim17ROCPRIM_400000_NS6detail17trampoline_kernelINS0_14default_configENS1_27scan_by_key_config_selectorIssEEZZNS1_16scan_by_key_implILNS1_25lookback_scan_determinismE0ELb1ES3_N6thrust23THRUST_200600_302600_NS6detail15normal_iteratorINS9_10device_ptrIsEEEESE_SE_sNS9_4plusIsEE19head_flag_predicatesEE10hipError_tPvRmT2_T3_T4_T5_mT6_T7_P12ihipStream_tbENKUlT_T0_E_clISt17integral_constantIbLb1EESY_EEDaST_SU_EUlST_E_NS1_11comp_targetILNS1_3genE10ELNS1_11target_archE1200ELNS1_3gpuE4ELNS1_3repE0EEENS1_30default_config_static_selectorELNS0_4arch9wavefront6targetE0EEEvT1_.private_seg_size, 0
	.set _ZN7rocprim17ROCPRIM_400000_NS6detail17trampoline_kernelINS0_14default_configENS1_27scan_by_key_config_selectorIssEEZZNS1_16scan_by_key_implILNS1_25lookback_scan_determinismE0ELb1ES3_N6thrust23THRUST_200600_302600_NS6detail15normal_iteratorINS9_10device_ptrIsEEEESE_SE_sNS9_4plusIsEE19head_flag_predicatesEE10hipError_tPvRmT2_T3_T4_T5_mT6_T7_P12ihipStream_tbENKUlT_T0_E_clISt17integral_constantIbLb1EESY_EEDaST_SU_EUlST_E_NS1_11comp_targetILNS1_3genE10ELNS1_11target_archE1200ELNS1_3gpuE4ELNS1_3repE0EEENS1_30default_config_static_selectorELNS0_4arch9wavefront6targetE0EEEvT1_.uses_vcc, 0
	.set _ZN7rocprim17ROCPRIM_400000_NS6detail17trampoline_kernelINS0_14default_configENS1_27scan_by_key_config_selectorIssEEZZNS1_16scan_by_key_implILNS1_25lookback_scan_determinismE0ELb1ES3_N6thrust23THRUST_200600_302600_NS6detail15normal_iteratorINS9_10device_ptrIsEEEESE_SE_sNS9_4plusIsEE19head_flag_predicatesEE10hipError_tPvRmT2_T3_T4_T5_mT6_T7_P12ihipStream_tbENKUlT_T0_E_clISt17integral_constantIbLb1EESY_EEDaST_SU_EUlST_E_NS1_11comp_targetILNS1_3genE10ELNS1_11target_archE1200ELNS1_3gpuE4ELNS1_3repE0EEENS1_30default_config_static_selectorELNS0_4arch9wavefront6targetE0EEEvT1_.uses_flat_scratch, 0
	.set _ZN7rocprim17ROCPRIM_400000_NS6detail17trampoline_kernelINS0_14default_configENS1_27scan_by_key_config_selectorIssEEZZNS1_16scan_by_key_implILNS1_25lookback_scan_determinismE0ELb1ES3_N6thrust23THRUST_200600_302600_NS6detail15normal_iteratorINS9_10device_ptrIsEEEESE_SE_sNS9_4plusIsEE19head_flag_predicatesEE10hipError_tPvRmT2_T3_T4_T5_mT6_T7_P12ihipStream_tbENKUlT_T0_E_clISt17integral_constantIbLb1EESY_EEDaST_SU_EUlST_E_NS1_11comp_targetILNS1_3genE10ELNS1_11target_archE1200ELNS1_3gpuE4ELNS1_3repE0EEENS1_30default_config_static_selectorELNS0_4arch9wavefront6targetE0EEEvT1_.has_dyn_sized_stack, 0
	.set _ZN7rocprim17ROCPRIM_400000_NS6detail17trampoline_kernelINS0_14default_configENS1_27scan_by_key_config_selectorIssEEZZNS1_16scan_by_key_implILNS1_25lookback_scan_determinismE0ELb1ES3_N6thrust23THRUST_200600_302600_NS6detail15normal_iteratorINS9_10device_ptrIsEEEESE_SE_sNS9_4plusIsEE19head_flag_predicatesEE10hipError_tPvRmT2_T3_T4_T5_mT6_T7_P12ihipStream_tbENKUlT_T0_E_clISt17integral_constantIbLb1EESY_EEDaST_SU_EUlST_E_NS1_11comp_targetILNS1_3genE10ELNS1_11target_archE1200ELNS1_3gpuE4ELNS1_3repE0EEENS1_30default_config_static_selectorELNS0_4arch9wavefront6targetE0EEEvT1_.has_recursion, 0
	.set _ZN7rocprim17ROCPRIM_400000_NS6detail17trampoline_kernelINS0_14default_configENS1_27scan_by_key_config_selectorIssEEZZNS1_16scan_by_key_implILNS1_25lookback_scan_determinismE0ELb1ES3_N6thrust23THRUST_200600_302600_NS6detail15normal_iteratorINS9_10device_ptrIsEEEESE_SE_sNS9_4plusIsEE19head_flag_predicatesEE10hipError_tPvRmT2_T3_T4_T5_mT6_T7_P12ihipStream_tbENKUlT_T0_E_clISt17integral_constantIbLb1EESY_EEDaST_SU_EUlST_E_NS1_11comp_targetILNS1_3genE10ELNS1_11target_archE1200ELNS1_3gpuE4ELNS1_3repE0EEENS1_30default_config_static_selectorELNS0_4arch9wavefront6targetE0EEEvT1_.has_indirect_call, 0
	.section	.AMDGPU.csdata,"",@progbits
; Kernel info:
; codeLenInByte = 0
; TotalNumSgprs: 0
; NumVgprs: 0
; ScratchSize: 0
; MemoryBound: 0
; FloatMode: 240
; IeeeMode: 1
; LDSByteSize: 0 bytes/workgroup (compile time only)
; SGPRBlocks: 0
; VGPRBlocks: 0
; NumSGPRsForWavesPerEU: 1
; NumVGPRsForWavesPerEU: 1
; NamedBarCnt: 0
; Occupancy: 16
; WaveLimiterHint : 0
; COMPUTE_PGM_RSRC2:SCRATCH_EN: 0
; COMPUTE_PGM_RSRC2:USER_SGPR: 2
; COMPUTE_PGM_RSRC2:TRAP_HANDLER: 0
; COMPUTE_PGM_RSRC2:TGID_X_EN: 1
; COMPUTE_PGM_RSRC2:TGID_Y_EN: 0
; COMPUTE_PGM_RSRC2:TGID_Z_EN: 0
; COMPUTE_PGM_RSRC2:TIDIG_COMP_CNT: 0
	.section	.text._ZN7rocprim17ROCPRIM_400000_NS6detail17trampoline_kernelINS0_14default_configENS1_27scan_by_key_config_selectorIssEEZZNS1_16scan_by_key_implILNS1_25lookback_scan_determinismE0ELb1ES3_N6thrust23THRUST_200600_302600_NS6detail15normal_iteratorINS9_10device_ptrIsEEEESE_SE_sNS9_4plusIsEE19head_flag_predicatesEE10hipError_tPvRmT2_T3_T4_T5_mT6_T7_P12ihipStream_tbENKUlT_T0_E_clISt17integral_constantIbLb1EESY_EEDaST_SU_EUlST_E_NS1_11comp_targetILNS1_3genE9ELNS1_11target_archE1100ELNS1_3gpuE3ELNS1_3repE0EEENS1_30default_config_static_selectorELNS0_4arch9wavefront6targetE0EEEvT1_,"axG",@progbits,_ZN7rocprim17ROCPRIM_400000_NS6detail17trampoline_kernelINS0_14default_configENS1_27scan_by_key_config_selectorIssEEZZNS1_16scan_by_key_implILNS1_25lookback_scan_determinismE0ELb1ES3_N6thrust23THRUST_200600_302600_NS6detail15normal_iteratorINS9_10device_ptrIsEEEESE_SE_sNS9_4plusIsEE19head_flag_predicatesEE10hipError_tPvRmT2_T3_T4_T5_mT6_T7_P12ihipStream_tbENKUlT_T0_E_clISt17integral_constantIbLb1EESY_EEDaST_SU_EUlST_E_NS1_11comp_targetILNS1_3genE9ELNS1_11target_archE1100ELNS1_3gpuE3ELNS1_3repE0EEENS1_30default_config_static_selectorELNS0_4arch9wavefront6targetE0EEEvT1_,comdat
	.protected	_ZN7rocprim17ROCPRIM_400000_NS6detail17trampoline_kernelINS0_14default_configENS1_27scan_by_key_config_selectorIssEEZZNS1_16scan_by_key_implILNS1_25lookback_scan_determinismE0ELb1ES3_N6thrust23THRUST_200600_302600_NS6detail15normal_iteratorINS9_10device_ptrIsEEEESE_SE_sNS9_4plusIsEE19head_flag_predicatesEE10hipError_tPvRmT2_T3_T4_T5_mT6_T7_P12ihipStream_tbENKUlT_T0_E_clISt17integral_constantIbLb1EESY_EEDaST_SU_EUlST_E_NS1_11comp_targetILNS1_3genE9ELNS1_11target_archE1100ELNS1_3gpuE3ELNS1_3repE0EEENS1_30default_config_static_selectorELNS0_4arch9wavefront6targetE0EEEvT1_ ; -- Begin function _ZN7rocprim17ROCPRIM_400000_NS6detail17trampoline_kernelINS0_14default_configENS1_27scan_by_key_config_selectorIssEEZZNS1_16scan_by_key_implILNS1_25lookback_scan_determinismE0ELb1ES3_N6thrust23THRUST_200600_302600_NS6detail15normal_iteratorINS9_10device_ptrIsEEEESE_SE_sNS9_4plusIsEE19head_flag_predicatesEE10hipError_tPvRmT2_T3_T4_T5_mT6_T7_P12ihipStream_tbENKUlT_T0_E_clISt17integral_constantIbLb1EESY_EEDaST_SU_EUlST_E_NS1_11comp_targetILNS1_3genE9ELNS1_11target_archE1100ELNS1_3gpuE3ELNS1_3repE0EEENS1_30default_config_static_selectorELNS0_4arch9wavefront6targetE0EEEvT1_
	.globl	_ZN7rocprim17ROCPRIM_400000_NS6detail17trampoline_kernelINS0_14default_configENS1_27scan_by_key_config_selectorIssEEZZNS1_16scan_by_key_implILNS1_25lookback_scan_determinismE0ELb1ES3_N6thrust23THRUST_200600_302600_NS6detail15normal_iteratorINS9_10device_ptrIsEEEESE_SE_sNS9_4plusIsEE19head_flag_predicatesEE10hipError_tPvRmT2_T3_T4_T5_mT6_T7_P12ihipStream_tbENKUlT_T0_E_clISt17integral_constantIbLb1EESY_EEDaST_SU_EUlST_E_NS1_11comp_targetILNS1_3genE9ELNS1_11target_archE1100ELNS1_3gpuE3ELNS1_3repE0EEENS1_30default_config_static_selectorELNS0_4arch9wavefront6targetE0EEEvT1_
	.p2align	8
	.type	_ZN7rocprim17ROCPRIM_400000_NS6detail17trampoline_kernelINS0_14default_configENS1_27scan_by_key_config_selectorIssEEZZNS1_16scan_by_key_implILNS1_25lookback_scan_determinismE0ELb1ES3_N6thrust23THRUST_200600_302600_NS6detail15normal_iteratorINS9_10device_ptrIsEEEESE_SE_sNS9_4plusIsEE19head_flag_predicatesEE10hipError_tPvRmT2_T3_T4_T5_mT6_T7_P12ihipStream_tbENKUlT_T0_E_clISt17integral_constantIbLb1EESY_EEDaST_SU_EUlST_E_NS1_11comp_targetILNS1_3genE9ELNS1_11target_archE1100ELNS1_3gpuE3ELNS1_3repE0EEENS1_30default_config_static_selectorELNS0_4arch9wavefront6targetE0EEEvT1_,@function
_ZN7rocprim17ROCPRIM_400000_NS6detail17trampoline_kernelINS0_14default_configENS1_27scan_by_key_config_selectorIssEEZZNS1_16scan_by_key_implILNS1_25lookback_scan_determinismE0ELb1ES3_N6thrust23THRUST_200600_302600_NS6detail15normal_iteratorINS9_10device_ptrIsEEEESE_SE_sNS9_4plusIsEE19head_flag_predicatesEE10hipError_tPvRmT2_T3_T4_T5_mT6_T7_P12ihipStream_tbENKUlT_T0_E_clISt17integral_constantIbLb1EESY_EEDaST_SU_EUlST_E_NS1_11comp_targetILNS1_3genE9ELNS1_11target_archE1100ELNS1_3gpuE3ELNS1_3repE0EEENS1_30default_config_static_selectorELNS0_4arch9wavefront6targetE0EEEvT1_: ; @_ZN7rocprim17ROCPRIM_400000_NS6detail17trampoline_kernelINS0_14default_configENS1_27scan_by_key_config_selectorIssEEZZNS1_16scan_by_key_implILNS1_25lookback_scan_determinismE0ELb1ES3_N6thrust23THRUST_200600_302600_NS6detail15normal_iteratorINS9_10device_ptrIsEEEESE_SE_sNS9_4plusIsEE19head_flag_predicatesEE10hipError_tPvRmT2_T3_T4_T5_mT6_T7_P12ihipStream_tbENKUlT_T0_E_clISt17integral_constantIbLb1EESY_EEDaST_SU_EUlST_E_NS1_11comp_targetILNS1_3genE9ELNS1_11target_archE1100ELNS1_3gpuE3ELNS1_3repE0EEENS1_30default_config_static_selectorELNS0_4arch9wavefront6targetE0EEEvT1_
; %bb.0:
	.section	.rodata,"a",@progbits
	.p2align	6, 0x0
	.amdhsa_kernel _ZN7rocprim17ROCPRIM_400000_NS6detail17trampoline_kernelINS0_14default_configENS1_27scan_by_key_config_selectorIssEEZZNS1_16scan_by_key_implILNS1_25lookback_scan_determinismE0ELb1ES3_N6thrust23THRUST_200600_302600_NS6detail15normal_iteratorINS9_10device_ptrIsEEEESE_SE_sNS9_4plusIsEE19head_flag_predicatesEE10hipError_tPvRmT2_T3_T4_T5_mT6_T7_P12ihipStream_tbENKUlT_T0_E_clISt17integral_constantIbLb1EESY_EEDaST_SU_EUlST_E_NS1_11comp_targetILNS1_3genE9ELNS1_11target_archE1100ELNS1_3gpuE3ELNS1_3repE0EEENS1_30default_config_static_selectorELNS0_4arch9wavefront6targetE0EEEvT1_
		.amdhsa_group_segment_fixed_size 0
		.amdhsa_private_segment_fixed_size 0
		.amdhsa_kernarg_size 112
		.amdhsa_user_sgpr_count 2
		.amdhsa_user_sgpr_dispatch_ptr 0
		.amdhsa_user_sgpr_queue_ptr 0
		.amdhsa_user_sgpr_kernarg_segment_ptr 1
		.amdhsa_user_sgpr_dispatch_id 0
		.amdhsa_user_sgpr_kernarg_preload_length 0
		.amdhsa_user_sgpr_kernarg_preload_offset 0
		.amdhsa_user_sgpr_private_segment_size 0
		.amdhsa_wavefront_size32 1
		.amdhsa_uses_dynamic_stack 0
		.amdhsa_enable_private_segment 0
		.amdhsa_system_sgpr_workgroup_id_x 1
		.amdhsa_system_sgpr_workgroup_id_y 0
		.amdhsa_system_sgpr_workgroup_id_z 0
		.amdhsa_system_sgpr_workgroup_info 0
		.amdhsa_system_vgpr_workitem_id 0
		.amdhsa_next_free_vgpr 1
		.amdhsa_next_free_sgpr 1
		.amdhsa_named_barrier_count 0
		.amdhsa_reserve_vcc 0
		.amdhsa_float_round_mode_32 0
		.amdhsa_float_round_mode_16_64 0
		.amdhsa_float_denorm_mode_32 3
		.amdhsa_float_denorm_mode_16_64 3
		.amdhsa_fp16_overflow 0
		.amdhsa_memory_ordered 1
		.amdhsa_forward_progress 1
		.amdhsa_inst_pref_size 0
		.amdhsa_round_robin_scheduling 0
		.amdhsa_exception_fp_ieee_invalid_op 0
		.amdhsa_exception_fp_denorm_src 0
		.amdhsa_exception_fp_ieee_div_zero 0
		.amdhsa_exception_fp_ieee_overflow 0
		.amdhsa_exception_fp_ieee_underflow 0
		.amdhsa_exception_fp_ieee_inexact 0
		.amdhsa_exception_int_div_zero 0
	.end_amdhsa_kernel
	.section	.text._ZN7rocprim17ROCPRIM_400000_NS6detail17trampoline_kernelINS0_14default_configENS1_27scan_by_key_config_selectorIssEEZZNS1_16scan_by_key_implILNS1_25lookback_scan_determinismE0ELb1ES3_N6thrust23THRUST_200600_302600_NS6detail15normal_iteratorINS9_10device_ptrIsEEEESE_SE_sNS9_4plusIsEE19head_flag_predicatesEE10hipError_tPvRmT2_T3_T4_T5_mT6_T7_P12ihipStream_tbENKUlT_T0_E_clISt17integral_constantIbLb1EESY_EEDaST_SU_EUlST_E_NS1_11comp_targetILNS1_3genE9ELNS1_11target_archE1100ELNS1_3gpuE3ELNS1_3repE0EEENS1_30default_config_static_selectorELNS0_4arch9wavefront6targetE0EEEvT1_,"axG",@progbits,_ZN7rocprim17ROCPRIM_400000_NS6detail17trampoline_kernelINS0_14default_configENS1_27scan_by_key_config_selectorIssEEZZNS1_16scan_by_key_implILNS1_25lookback_scan_determinismE0ELb1ES3_N6thrust23THRUST_200600_302600_NS6detail15normal_iteratorINS9_10device_ptrIsEEEESE_SE_sNS9_4plusIsEE19head_flag_predicatesEE10hipError_tPvRmT2_T3_T4_T5_mT6_T7_P12ihipStream_tbENKUlT_T0_E_clISt17integral_constantIbLb1EESY_EEDaST_SU_EUlST_E_NS1_11comp_targetILNS1_3genE9ELNS1_11target_archE1100ELNS1_3gpuE3ELNS1_3repE0EEENS1_30default_config_static_selectorELNS0_4arch9wavefront6targetE0EEEvT1_,comdat
.Lfunc_end873:
	.size	_ZN7rocprim17ROCPRIM_400000_NS6detail17trampoline_kernelINS0_14default_configENS1_27scan_by_key_config_selectorIssEEZZNS1_16scan_by_key_implILNS1_25lookback_scan_determinismE0ELb1ES3_N6thrust23THRUST_200600_302600_NS6detail15normal_iteratorINS9_10device_ptrIsEEEESE_SE_sNS9_4plusIsEE19head_flag_predicatesEE10hipError_tPvRmT2_T3_T4_T5_mT6_T7_P12ihipStream_tbENKUlT_T0_E_clISt17integral_constantIbLb1EESY_EEDaST_SU_EUlST_E_NS1_11comp_targetILNS1_3genE9ELNS1_11target_archE1100ELNS1_3gpuE3ELNS1_3repE0EEENS1_30default_config_static_selectorELNS0_4arch9wavefront6targetE0EEEvT1_, .Lfunc_end873-_ZN7rocprim17ROCPRIM_400000_NS6detail17trampoline_kernelINS0_14default_configENS1_27scan_by_key_config_selectorIssEEZZNS1_16scan_by_key_implILNS1_25lookback_scan_determinismE0ELb1ES3_N6thrust23THRUST_200600_302600_NS6detail15normal_iteratorINS9_10device_ptrIsEEEESE_SE_sNS9_4plusIsEE19head_flag_predicatesEE10hipError_tPvRmT2_T3_T4_T5_mT6_T7_P12ihipStream_tbENKUlT_T0_E_clISt17integral_constantIbLb1EESY_EEDaST_SU_EUlST_E_NS1_11comp_targetILNS1_3genE9ELNS1_11target_archE1100ELNS1_3gpuE3ELNS1_3repE0EEENS1_30default_config_static_selectorELNS0_4arch9wavefront6targetE0EEEvT1_
                                        ; -- End function
	.set _ZN7rocprim17ROCPRIM_400000_NS6detail17trampoline_kernelINS0_14default_configENS1_27scan_by_key_config_selectorIssEEZZNS1_16scan_by_key_implILNS1_25lookback_scan_determinismE0ELb1ES3_N6thrust23THRUST_200600_302600_NS6detail15normal_iteratorINS9_10device_ptrIsEEEESE_SE_sNS9_4plusIsEE19head_flag_predicatesEE10hipError_tPvRmT2_T3_T4_T5_mT6_T7_P12ihipStream_tbENKUlT_T0_E_clISt17integral_constantIbLb1EESY_EEDaST_SU_EUlST_E_NS1_11comp_targetILNS1_3genE9ELNS1_11target_archE1100ELNS1_3gpuE3ELNS1_3repE0EEENS1_30default_config_static_selectorELNS0_4arch9wavefront6targetE0EEEvT1_.num_vgpr, 0
	.set _ZN7rocprim17ROCPRIM_400000_NS6detail17trampoline_kernelINS0_14default_configENS1_27scan_by_key_config_selectorIssEEZZNS1_16scan_by_key_implILNS1_25lookback_scan_determinismE0ELb1ES3_N6thrust23THRUST_200600_302600_NS6detail15normal_iteratorINS9_10device_ptrIsEEEESE_SE_sNS9_4plusIsEE19head_flag_predicatesEE10hipError_tPvRmT2_T3_T4_T5_mT6_T7_P12ihipStream_tbENKUlT_T0_E_clISt17integral_constantIbLb1EESY_EEDaST_SU_EUlST_E_NS1_11comp_targetILNS1_3genE9ELNS1_11target_archE1100ELNS1_3gpuE3ELNS1_3repE0EEENS1_30default_config_static_selectorELNS0_4arch9wavefront6targetE0EEEvT1_.num_agpr, 0
	.set _ZN7rocprim17ROCPRIM_400000_NS6detail17trampoline_kernelINS0_14default_configENS1_27scan_by_key_config_selectorIssEEZZNS1_16scan_by_key_implILNS1_25lookback_scan_determinismE0ELb1ES3_N6thrust23THRUST_200600_302600_NS6detail15normal_iteratorINS9_10device_ptrIsEEEESE_SE_sNS9_4plusIsEE19head_flag_predicatesEE10hipError_tPvRmT2_T3_T4_T5_mT6_T7_P12ihipStream_tbENKUlT_T0_E_clISt17integral_constantIbLb1EESY_EEDaST_SU_EUlST_E_NS1_11comp_targetILNS1_3genE9ELNS1_11target_archE1100ELNS1_3gpuE3ELNS1_3repE0EEENS1_30default_config_static_selectorELNS0_4arch9wavefront6targetE0EEEvT1_.numbered_sgpr, 0
	.set _ZN7rocprim17ROCPRIM_400000_NS6detail17trampoline_kernelINS0_14default_configENS1_27scan_by_key_config_selectorIssEEZZNS1_16scan_by_key_implILNS1_25lookback_scan_determinismE0ELb1ES3_N6thrust23THRUST_200600_302600_NS6detail15normal_iteratorINS9_10device_ptrIsEEEESE_SE_sNS9_4plusIsEE19head_flag_predicatesEE10hipError_tPvRmT2_T3_T4_T5_mT6_T7_P12ihipStream_tbENKUlT_T0_E_clISt17integral_constantIbLb1EESY_EEDaST_SU_EUlST_E_NS1_11comp_targetILNS1_3genE9ELNS1_11target_archE1100ELNS1_3gpuE3ELNS1_3repE0EEENS1_30default_config_static_selectorELNS0_4arch9wavefront6targetE0EEEvT1_.num_named_barrier, 0
	.set _ZN7rocprim17ROCPRIM_400000_NS6detail17trampoline_kernelINS0_14default_configENS1_27scan_by_key_config_selectorIssEEZZNS1_16scan_by_key_implILNS1_25lookback_scan_determinismE0ELb1ES3_N6thrust23THRUST_200600_302600_NS6detail15normal_iteratorINS9_10device_ptrIsEEEESE_SE_sNS9_4plusIsEE19head_flag_predicatesEE10hipError_tPvRmT2_T3_T4_T5_mT6_T7_P12ihipStream_tbENKUlT_T0_E_clISt17integral_constantIbLb1EESY_EEDaST_SU_EUlST_E_NS1_11comp_targetILNS1_3genE9ELNS1_11target_archE1100ELNS1_3gpuE3ELNS1_3repE0EEENS1_30default_config_static_selectorELNS0_4arch9wavefront6targetE0EEEvT1_.private_seg_size, 0
	.set _ZN7rocprim17ROCPRIM_400000_NS6detail17trampoline_kernelINS0_14default_configENS1_27scan_by_key_config_selectorIssEEZZNS1_16scan_by_key_implILNS1_25lookback_scan_determinismE0ELb1ES3_N6thrust23THRUST_200600_302600_NS6detail15normal_iteratorINS9_10device_ptrIsEEEESE_SE_sNS9_4plusIsEE19head_flag_predicatesEE10hipError_tPvRmT2_T3_T4_T5_mT6_T7_P12ihipStream_tbENKUlT_T0_E_clISt17integral_constantIbLb1EESY_EEDaST_SU_EUlST_E_NS1_11comp_targetILNS1_3genE9ELNS1_11target_archE1100ELNS1_3gpuE3ELNS1_3repE0EEENS1_30default_config_static_selectorELNS0_4arch9wavefront6targetE0EEEvT1_.uses_vcc, 0
	.set _ZN7rocprim17ROCPRIM_400000_NS6detail17trampoline_kernelINS0_14default_configENS1_27scan_by_key_config_selectorIssEEZZNS1_16scan_by_key_implILNS1_25lookback_scan_determinismE0ELb1ES3_N6thrust23THRUST_200600_302600_NS6detail15normal_iteratorINS9_10device_ptrIsEEEESE_SE_sNS9_4plusIsEE19head_flag_predicatesEE10hipError_tPvRmT2_T3_T4_T5_mT6_T7_P12ihipStream_tbENKUlT_T0_E_clISt17integral_constantIbLb1EESY_EEDaST_SU_EUlST_E_NS1_11comp_targetILNS1_3genE9ELNS1_11target_archE1100ELNS1_3gpuE3ELNS1_3repE0EEENS1_30default_config_static_selectorELNS0_4arch9wavefront6targetE0EEEvT1_.uses_flat_scratch, 0
	.set _ZN7rocprim17ROCPRIM_400000_NS6detail17trampoline_kernelINS0_14default_configENS1_27scan_by_key_config_selectorIssEEZZNS1_16scan_by_key_implILNS1_25lookback_scan_determinismE0ELb1ES3_N6thrust23THRUST_200600_302600_NS6detail15normal_iteratorINS9_10device_ptrIsEEEESE_SE_sNS9_4plusIsEE19head_flag_predicatesEE10hipError_tPvRmT2_T3_T4_T5_mT6_T7_P12ihipStream_tbENKUlT_T0_E_clISt17integral_constantIbLb1EESY_EEDaST_SU_EUlST_E_NS1_11comp_targetILNS1_3genE9ELNS1_11target_archE1100ELNS1_3gpuE3ELNS1_3repE0EEENS1_30default_config_static_selectorELNS0_4arch9wavefront6targetE0EEEvT1_.has_dyn_sized_stack, 0
	.set _ZN7rocprim17ROCPRIM_400000_NS6detail17trampoline_kernelINS0_14default_configENS1_27scan_by_key_config_selectorIssEEZZNS1_16scan_by_key_implILNS1_25lookback_scan_determinismE0ELb1ES3_N6thrust23THRUST_200600_302600_NS6detail15normal_iteratorINS9_10device_ptrIsEEEESE_SE_sNS9_4plusIsEE19head_flag_predicatesEE10hipError_tPvRmT2_T3_T4_T5_mT6_T7_P12ihipStream_tbENKUlT_T0_E_clISt17integral_constantIbLb1EESY_EEDaST_SU_EUlST_E_NS1_11comp_targetILNS1_3genE9ELNS1_11target_archE1100ELNS1_3gpuE3ELNS1_3repE0EEENS1_30default_config_static_selectorELNS0_4arch9wavefront6targetE0EEEvT1_.has_recursion, 0
	.set _ZN7rocprim17ROCPRIM_400000_NS6detail17trampoline_kernelINS0_14default_configENS1_27scan_by_key_config_selectorIssEEZZNS1_16scan_by_key_implILNS1_25lookback_scan_determinismE0ELb1ES3_N6thrust23THRUST_200600_302600_NS6detail15normal_iteratorINS9_10device_ptrIsEEEESE_SE_sNS9_4plusIsEE19head_flag_predicatesEE10hipError_tPvRmT2_T3_T4_T5_mT6_T7_P12ihipStream_tbENKUlT_T0_E_clISt17integral_constantIbLb1EESY_EEDaST_SU_EUlST_E_NS1_11comp_targetILNS1_3genE9ELNS1_11target_archE1100ELNS1_3gpuE3ELNS1_3repE0EEENS1_30default_config_static_selectorELNS0_4arch9wavefront6targetE0EEEvT1_.has_indirect_call, 0
	.section	.AMDGPU.csdata,"",@progbits
; Kernel info:
; codeLenInByte = 0
; TotalNumSgprs: 0
; NumVgprs: 0
; ScratchSize: 0
; MemoryBound: 0
; FloatMode: 240
; IeeeMode: 1
; LDSByteSize: 0 bytes/workgroup (compile time only)
; SGPRBlocks: 0
; VGPRBlocks: 0
; NumSGPRsForWavesPerEU: 1
; NumVGPRsForWavesPerEU: 1
; NamedBarCnt: 0
; Occupancy: 16
; WaveLimiterHint : 0
; COMPUTE_PGM_RSRC2:SCRATCH_EN: 0
; COMPUTE_PGM_RSRC2:USER_SGPR: 2
; COMPUTE_PGM_RSRC2:TRAP_HANDLER: 0
; COMPUTE_PGM_RSRC2:TGID_X_EN: 1
; COMPUTE_PGM_RSRC2:TGID_Y_EN: 0
; COMPUTE_PGM_RSRC2:TGID_Z_EN: 0
; COMPUTE_PGM_RSRC2:TIDIG_COMP_CNT: 0
	.section	.text._ZN7rocprim17ROCPRIM_400000_NS6detail17trampoline_kernelINS0_14default_configENS1_27scan_by_key_config_selectorIssEEZZNS1_16scan_by_key_implILNS1_25lookback_scan_determinismE0ELb1ES3_N6thrust23THRUST_200600_302600_NS6detail15normal_iteratorINS9_10device_ptrIsEEEESE_SE_sNS9_4plusIsEE19head_flag_predicatesEE10hipError_tPvRmT2_T3_T4_T5_mT6_T7_P12ihipStream_tbENKUlT_T0_E_clISt17integral_constantIbLb1EESY_EEDaST_SU_EUlST_E_NS1_11comp_targetILNS1_3genE8ELNS1_11target_archE1030ELNS1_3gpuE2ELNS1_3repE0EEENS1_30default_config_static_selectorELNS0_4arch9wavefront6targetE0EEEvT1_,"axG",@progbits,_ZN7rocprim17ROCPRIM_400000_NS6detail17trampoline_kernelINS0_14default_configENS1_27scan_by_key_config_selectorIssEEZZNS1_16scan_by_key_implILNS1_25lookback_scan_determinismE0ELb1ES3_N6thrust23THRUST_200600_302600_NS6detail15normal_iteratorINS9_10device_ptrIsEEEESE_SE_sNS9_4plusIsEE19head_flag_predicatesEE10hipError_tPvRmT2_T3_T4_T5_mT6_T7_P12ihipStream_tbENKUlT_T0_E_clISt17integral_constantIbLb1EESY_EEDaST_SU_EUlST_E_NS1_11comp_targetILNS1_3genE8ELNS1_11target_archE1030ELNS1_3gpuE2ELNS1_3repE0EEENS1_30default_config_static_selectorELNS0_4arch9wavefront6targetE0EEEvT1_,comdat
	.protected	_ZN7rocprim17ROCPRIM_400000_NS6detail17trampoline_kernelINS0_14default_configENS1_27scan_by_key_config_selectorIssEEZZNS1_16scan_by_key_implILNS1_25lookback_scan_determinismE0ELb1ES3_N6thrust23THRUST_200600_302600_NS6detail15normal_iteratorINS9_10device_ptrIsEEEESE_SE_sNS9_4plusIsEE19head_flag_predicatesEE10hipError_tPvRmT2_T3_T4_T5_mT6_T7_P12ihipStream_tbENKUlT_T0_E_clISt17integral_constantIbLb1EESY_EEDaST_SU_EUlST_E_NS1_11comp_targetILNS1_3genE8ELNS1_11target_archE1030ELNS1_3gpuE2ELNS1_3repE0EEENS1_30default_config_static_selectorELNS0_4arch9wavefront6targetE0EEEvT1_ ; -- Begin function _ZN7rocprim17ROCPRIM_400000_NS6detail17trampoline_kernelINS0_14default_configENS1_27scan_by_key_config_selectorIssEEZZNS1_16scan_by_key_implILNS1_25lookback_scan_determinismE0ELb1ES3_N6thrust23THRUST_200600_302600_NS6detail15normal_iteratorINS9_10device_ptrIsEEEESE_SE_sNS9_4plusIsEE19head_flag_predicatesEE10hipError_tPvRmT2_T3_T4_T5_mT6_T7_P12ihipStream_tbENKUlT_T0_E_clISt17integral_constantIbLb1EESY_EEDaST_SU_EUlST_E_NS1_11comp_targetILNS1_3genE8ELNS1_11target_archE1030ELNS1_3gpuE2ELNS1_3repE0EEENS1_30default_config_static_selectorELNS0_4arch9wavefront6targetE0EEEvT1_
	.globl	_ZN7rocprim17ROCPRIM_400000_NS6detail17trampoline_kernelINS0_14default_configENS1_27scan_by_key_config_selectorIssEEZZNS1_16scan_by_key_implILNS1_25lookback_scan_determinismE0ELb1ES3_N6thrust23THRUST_200600_302600_NS6detail15normal_iteratorINS9_10device_ptrIsEEEESE_SE_sNS9_4plusIsEE19head_flag_predicatesEE10hipError_tPvRmT2_T3_T4_T5_mT6_T7_P12ihipStream_tbENKUlT_T0_E_clISt17integral_constantIbLb1EESY_EEDaST_SU_EUlST_E_NS1_11comp_targetILNS1_3genE8ELNS1_11target_archE1030ELNS1_3gpuE2ELNS1_3repE0EEENS1_30default_config_static_selectorELNS0_4arch9wavefront6targetE0EEEvT1_
	.p2align	8
	.type	_ZN7rocprim17ROCPRIM_400000_NS6detail17trampoline_kernelINS0_14default_configENS1_27scan_by_key_config_selectorIssEEZZNS1_16scan_by_key_implILNS1_25lookback_scan_determinismE0ELb1ES3_N6thrust23THRUST_200600_302600_NS6detail15normal_iteratorINS9_10device_ptrIsEEEESE_SE_sNS9_4plusIsEE19head_flag_predicatesEE10hipError_tPvRmT2_T3_T4_T5_mT6_T7_P12ihipStream_tbENKUlT_T0_E_clISt17integral_constantIbLb1EESY_EEDaST_SU_EUlST_E_NS1_11comp_targetILNS1_3genE8ELNS1_11target_archE1030ELNS1_3gpuE2ELNS1_3repE0EEENS1_30default_config_static_selectorELNS0_4arch9wavefront6targetE0EEEvT1_,@function
_ZN7rocprim17ROCPRIM_400000_NS6detail17trampoline_kernelINS0_14default_configENS1_27scan_by_key_config_selectorIssEEZZNS1_16scan_by_key_implILNS1_25lookback_scan_determinismE0ELb1ES3_N6thrust23THRUST_200600_302600_NS6detail15normal_iteratorINS9_10device_ptrIsEEEESE_SE_sNS9_4plusIsEE19head_flag_predicatesEE10hipError_tPvRmT2_T3_T4_T5_mT6_T7_P12ihipStream_tbENKUlT_T0_E_clISt17integral_constantIbLb1EESY_EEDaST_SU_EUlST_E_NS1_11comp_targetILNS1_3genE8ELNS1_11target_archE1030ELNS1_3gpuE2ELNS1_3repE0EEENS1_30default_config_static_selectorELNS0_4arch9wavefront6targetE0EEEvT1_: ; @_ZN7rocprim17ROCPRIM_400000_NS6detail17trampoline_kernelINS0_14default_configENS1_27scan_by_key_config_selectorIssEEZZNS1_16scan_by_key_implILNS1_25lookback_scan_determinismE0ELb1ES3_N6thrust23THRUST_200600_302600_NS6detail15normal_iteratorINS9_10device_ptrIsEEEESE_SE_sNS9_4plusIsEE19head_flag_predicatesEE10hipError_tPvRmT2_T3_T4_T5_mT6_T7_P12ihipStream_tbENKUlT_T0_E_clISt17integral_constantIbLb1EESY_EEDaST_SU_EUlST_E_NS1_11comp_targetILNS1_3genE8ELNS1_11target_archE1030ELNS1_3gpuE2ELNS1_3repE0EEENS1_30default_config_static_selectorELNS0_4arch9wavefront6targetE0EEEvT1_
; %bb.0:
	.section	.rodata,"a",@progbits
	.p2align	6, 0x0
	.amdhsa_kernel _ZN7rocprim17ROCPRIM_400000_NS6detail17trampoline_kernelINS0_14default_configENS1_27scan_by_key_config_selectorIssEEZZNS1_16scan_by_key_implILNS1_25lookback_scan_determinismE0ELb1ES3_N6thrust23THRUST_200600_302600_NS6detail15normal_iteratorINS9_10device_ptrIsEEEESE_SE_sNS9_4plusIsEE19head_flag_predicatesEE10hipError_tPvRmT2_T3_T4_T5_mT6_T7_P12ihipStream_tbENKUlT_T0_E_clISt17integral_constantIbLb1EESY_EEDaST_SU_EUlST_E_NS1_11comp_targetILNS1_3genE8ELNS1_11target_archE1030ELNS1_3gpuE2ELNS1_3repE0EEENS1_30default_config_static_selectorELNS0_4arch9wavefront6targetE0EEEvT1_
		.amdhsa_group_segment_fixed_size 0
		.amdhsa_private_segment_fixed_size 0
		.amdhsa_kernarg_size 112
		.amdhsa_user_sgpr_count 2
		.amdhsa_user_sgpr_dispatch_ptr 0
		.amdhsa_user_sgpr_queue_ptr 0
		.amdhsa_user_sgpr_kernarg_segment_ptr 1
		.amdhsa_user_sgpr_dispatch_id 0
		.amdhsa_user_sgpr_kernarg_preload_length 0
		.amdhsa_user_sgpr_kernarg_preload_offset 0
		.amdhsa_user_sgpr_private_segment_size 0
		.amdhsa_wavefront_size32 1
		.amdhsa_uses_dynamic_stack 0
		.amdhsa_enable_private_segment 0
		.amdhsa_system_sgpr_workgroup_id_x 1
		.amdhsa_system_sgpr_workgroup_id_y 0
		.amdhsa_system_sgpr_workgroup_id_z 0
		.amdhsa_system_sgpr_workgroup_info 0
		.amdhsa_system_vgpr_workitem_id 0
		.amdhsa_next_free_vgpr 1
		.amdhsa_next_free_sgpr 1
		.amdhsa_named_barrier_count 0
		.amdhsa_reserve_vcc 0
		.amdhsa_float_round_mode_32 0
		.amdhsa_float_round_mode_16_64 0
		.amdhsa_float_denorm_mode_32 3
		.amdhsa_float_denorm_mode_16_64 3
		.amdhsa_fp16_overflow 0
		.amdhsa_memory_ordered 1
		.amdhsa_forward_progress 1
		.amdhsa_inst_pref_size 0
		.amdhsa_round_robin_scheduling 0
		.amdhsa_exception_fp_ieee_invalid_op 0
		.amdhsa_exception_fp_denorm_src 0
		.amdhsa_exception_fp_ieee_div_zero 0
		.amdhsa_exception_fp_ieee_overflow 0
		.amdhsa_exception_fp_ieee_underflow 0
		.amdhsa_exception_fp_ieee_inexact 0
		.amdhsa_exception_int_div_zero 0
	.end_amdhsa_kernel
	.section	.text._ZN7rocprim17ROCPRIM_400000_NS6detail17trampoline_kernelINS0_14default_configENS1_27scan_by_key_config_selectorIssEEZZNS1_16scan_by_key_implILNS1_25lookback_scan_determinismE0ELb1ES3_N6thrust23THRUST_200600_302600_NS6detail15normal_iteratorINS9_10device_ptrIsEEEESE_SE_sNS9_4plusIsEE19head_flag_predicatesEE10hipError_tPvRmT2_T3_T4_T5_mT6_T7_P12ihipStream_tbENKUlT_T0_E_clISt17integral_constantIbLb1EESY_EEDaST_SU_EUlST_E_NS1_11comp_targetILNS1_3genE8ELNS1_11target_archE1030ELNS1_3gpuE2ELNS1_3repE0EEENS1_30default_config_static_selectorELNS0_4arch9wavefront6targetE0EEEvT1_,"axG",@progbits,_ZN7rocprim17ROCPRIM_400000_NS6detail17trampoline_kernelINS0_14default_configENS1_27scan_by_key_config_selectorIssEEZZNS1_16scan_by_key_implILNS1_25lookback_scan_determinismE0ELb1ES3_N6thrust23THRUST_200600_302600_NS6detail15normal_iteratorINS9_10device_ptrIsEEEESE_SE_sNS9_4plusIsEE19head_flag_predicatesEE10hipError_tPvRmT2_T3_T4_T5_mT6_T7_P12ihipStream_tbENKUlT_T0_E_clISt17integral_constantIbLb1EESY_EEDaST_SU_EUlST_E_NS1_11comp_targetILNS1_3genE8ELNS1_11target_archE1030ELNS1_3gpuE2ELNS1_3repE0EEENS1_30default_config_static_selectorELNS0_4arch9wavefront6targetE0EEEvT1_,comdat
.Lfunc_end874:
	.size	_ZN7rocprim17ROCPRIM_400000_NS6detail17trampoline_kernelINS0_14default_configENS1_27scan_by_key_config_selectorIssEEZZNS1_16scan_by_key_implILNS1_25lookback_scan_determinismE0ELb1ES3_N6thrust23THRUST_200600_302600_NS6detail15normal_iteratorINS9_10device_ptrIsEEEESE_SE_sNS9_4plusIsEE19head_flag_predicatesEE10hipError_tPvRmT2_T3_T4_T5_mT6_T7_P12ihipStream_tbENKUlT_T0_E_clISt17integral_constantIbLb1EESY_EEDaST_SU_EUlST_E_NS1_11comp_targetILNS1_3genE8ELNS1_11target_archE1030ELNS1_3gpuE2ELNS1_3repE0EEENS1_30default_config_static_selectorELNS0_4arch9wavefront6targetE0EEEvT1_, .Lfunc_end874-_ZN7rocprim17ROCPRIM_400000_NS6detail17trampoline_kernelINS0_14default_configENS1_27scan_by_key_config_selectorIssEEZZNS1_16scan_by_key_implILNS1_25lookback_scan_determinismE0ELb1ES3_N6thrust23THRUST_200600_302600_NS6detail15normal_iteratorINS9_10device_ptrIsEEEESE_SE_sNS9_4plusIsEE19head_flag_predicatesEE10hipError_tPvRmT2_T3_T4_T5_mT6_T7_P12ihipStream_tbENKUlT_T0_E_clISt17integral_constantIbLb1EESY_EEDaST_SU_EUlST_E_NS1_11comp_targetILNS1_3genE8ELNS1_11target_archE1030ELNS1_3gpuE2ELNS1_3repE0EEENS1_30default_config_static_selectorELNS0_4arch9wavefront6targetE0EEEvT1_
                                        ; -- End function
	.set _ZN7rocprim17ROCPRIM_400000_NS6detail17trampoline_kernelINS0_14default_configENS1_27scan_by_key_config_selectorIssEEZZNS1_16scan_by_key_implILNS1_25lookback_scan_determinismE0ELb1ES3_N6thrust23THRUST_200600_302600_NS6detail15normal_iteratorINS9_10device_ptrIsEEEESE_SE_sNS9_4plusIsEE19head_flag_predicatesEE10hipError_tPvRmT2_T3_T4_T5_mT6_T7_P12ihipStream_tbENKUlT_T0_E_clISt17integral_constantIbLb1EESY_EEDaST_SU_EUlST_E_NS1_11comp_targetILNS1_3genE8ELNS1_11target_archE1030ELNS1_3gpuE2ELNS1_3repE0EEENS1_30default_config_static_selectorELNS0_4arch9wavefront6targetE0EEEvT1_.num_vgpr, 0
	.set _ZN7rocprim17ROCPRIM_400000_NS6detail17trampoline_kernelINS0_14default_configENS1_27scan_by_key_config_selectorIssEEZZNS1_16scan_by_key_implILNS1_25lookback_scan_determinismE0ELb1ES3_N6thrust23THRUST_200600_302600_NS6detail15normal_iteratorINS9_10device_ptrIsEEEESE_SE_sNS9_4plusIsEE19head_flag_predicatesEE10hipError_tPvRmT2_T3_T4_T5_mT6_T7_P12ihipStream_tbENKUlT_T0_E_clISt17integral_constantIbLb1EESY_EEDaST_SU_EUlST_E_NS1_11comp_targetILNS1_3genE8ELNS1_11target_archE1030ELNS1_3gpuE2ELNS1_3repE0EEENS1_30default_config_static_selectorELNS0_4arch9wavefront6targetE0EEEvT1_.num_agpr, 0
	.set _ZN7rocprim17ROCPRIM_400000_NS6detail17trampoline_kernelINS0_14default_configENS1_27scan_by_key_config_selectorIssEEZZNS1_16scan_by_key_implILNS1_25lookback_scan_determinismE0ELb1ES3_N6thrust23THRUST_200600_302600_NS6detail15normal_iteratorINS9_10device_ptrIsEEEESE_SE_sNS9_4plusIsEE19head_flag_predicatesEE10hipError_tPvRmT2_T3_T4_T5_mT6_T7_P12ihipStream_tbENKUlT_T0_E_clISt17integral_constantIbLb1EESY_EEDaST_SU_EUlST_E_NS1_11comp_targetILNS1_3genE8ELNS1_11target_archE1030ELNS1_3gpuE2ELNS1_3repE0EEENS1_30default_config_static_selectorELNS0_4arch9wavefront6targetE0EEEvT1_.numbered_sgpr, 0
	.set _ZN7rocprim17ROCPRIM_400000_NS6detail17trampoline_kernelINS0_14default_configENS1_27scan_by_key_config_selectorIssEEZZNS1_16scan_by_key_implILNS1_25lookback_scan_determinismE0ELb1ES3_N6thrust23THRUST_200600_302600_NS6detail15normal_iteratorINS9_10device_ptrIsEEEESE_SE_sNS9_4plusIsEE19head_flag_predicatesEE10hipError_tPvRmT2_T3_T4_T5_mT6_T7_P12ihipStream_tbENKUlT_T0_E_clISt17integral_constantIbLb1EESY_EEDaST_SU_EUlST_E_NS1_11comp_targetILNS1_3genE8ELNS1_11target_archE1030ELNS1_3gpuE2ELNS1_3repE0EEENS1_30default_config_static_selectorELNS0_4arch9wavefront6targetE0EEEvT1_.num_named_barrier, 0
	.set _ZN7rocprim17ROCPRIM_400000_NS6detail17trampoline_kernelINS0_14default_configENS1_27scan_by_key_config_selectorIssEEZZNS1_16scan_by_key_implILNS1_25lookback_scan_determinismE0ELb1ES3_N6thrust23THRUST_200600_302600_NS6detail15normal_iteratorINS9_10device_ptrIsEEEESE_SE_sNS9_4plusIsEE19head_flag_predicatesEE10hipError_tPvRmT2_T3_T4_T5_mT6_T7_P12ihipStream_tbENKUlT_T0_E_clISt17integral_constantIbLb1EESY_EEDaST_SU_EUlST_E_NS1_11comp_targetILNS1_3genE8ELNS1_11target_archE1030ELNS1_3gpuE2ELNS1_3repE0EEENS1_30default_config_static_selectorELNS0_4arch9wavefront6targetE0EEEvT1_.private_seg_size, 0
	.set _ZN7rocprim17ROCPRIM_400000_NS6detail17trampoline_kernelINS0_14default_configENS1_27scan_by_key_config_selectorIssEEZZNS1_16scan_by_key_implILNS1_25lookback_scan_determinismE0ELb1ES3_N6thrust23THRUST_200600_302600_NS6detail15normal_iteratorINS9_10device_ptrIsEEEESE_SE_sNS9_4plusIsEE19head_flag_predicatesEE10hipError_tPvRmT2_T3_T4_T5_mT6_T7_P12ihipStream_tbENKUlT_T0_E_clISt17integral_constantIbLb1EESY_EEDaST_SU_EUlST_E_NS1_11comp_targetILNS1_3genE8ELNS1_11target_archE1030ELNS1_3gpuE2ELNS1_3repE0EEENS1_30default_config_static_selectorELNS0_4arch9wavefront6targetE0EEEvT1_.uses_vcc, 0
	.set _ZN7rocprim17ROCPRIM_400000_NS6detail17trampoline_kernelINS0_14default_configENS1_27scan_by_key_config_selectorIssEEZZNS1_16scan_by_key_implILNS1_25lookback_scan_determinismE0ELb1ES3_N6thrust23THRUST_200600_302600_NS6detail15normal_iteratorINS9_10device_ptrIsEEEESE_SE_sNS9_4plusIsEE19head_flag_predicatesEE10hipError_tPvRmT2_T3_T4_T5_mT6_T7_P12ihipStream_tbENKUlT_T0_E_clISt17integral_constantIbLb1EESY_EEDaST_SU_EUlST_E_NS1_11comp_targetILNS1_3genE8ELNS1_11target_archE1030ELNS1_3gpuE2ELNS1_3repE0EEENS1_30default_config_static_selectorELNS0_4arch9wavefront6targetE0EEEvT1_.uses_flat_scratch, 0
	.set _ZN7rocprim17ROCPRIM_400000_NS6detail17trampoline_kernelINS0_14default_configENS1_27scan_by_key_config_selectorIssEEZZNS1_16scan_by_key_implILNS1_25lookback_scan_determinismE0ELb1ES3_N6thrust23THRUST_200600_302600_NS6detail15normal_iteratorINS9_10device_ptrIsEEEESE_SE_sNS9_4plusIsEE19head_flag_predicatesEE10hipError_tPvRmT2_T3_T4_T5_mT6_T7_P12ihipStream_tbENKUlT_T0_E_clISt17integral_constantIbLb1EESY_EEDaST_SU_EUlST_E_NS1_11comp_targetILNS1_3genE8ELNS1_11target_archE1030ELNS1_3gpuE2ELNS1_3repE0EEENS1_30default_config_static_selectorELNS0_4arch9wavefront6targetE0EEEvT1_.has_dyn_sized_stack, 0
	.set _ZN7rocprim17ROCPRIM_400000_NS6detail17trampoline_kernelINS0_14default_configENS1_27scan_by_key_config_selectorIssEEZZNS1_16scan_by_key_implILNS1_25lookback_scan_determinismE0ELb1ES3_N6thrust23THRUST_200600_302600_NS6detail15normal_iteratorINS9_10device_ptrIsEEEESE_SE_sNS9_4plusIsEE19head_flag_predicatesEE10hipError_tPvRmT2_T3_T4_T5_mT6_T7_P12ihipStream_tbENKUlT_T0_E_clISt17integral_constantIbLb1EESY_EEDaST_SU_EUlST_E_NS1_11comp_targetILNS1_3genE8ELNS1_11target_archE1030ELNS1_3gpuE2ELNS1_3repE0EEENS1_30default_config_static_selectorELNS0_4arch9wavefront6targetE0EEEvT1_.has_recursion, 0
	.set _ZN7rocprim17ROCPRIM_400000_NS6detail17trampoline_kernelINS0_14default_configENS1_27scan_by_key_config_selectorIssEEZZNS1_16scan_by_key_implILNS1_25lookback_scan_determinismE0ELb1ES3_N6thrust23THRUST_200600_302600_NS6detail15normal_iteratorINS9_10device_ptrIsEEEESE_SE_sNS9_4plusIsEE19head_flag_predicatesEE10hipError_tPvRmT2_T3_T4_T5_mT6_T7_P12ihipStream_tbENKUlT_T0_E_clISt17integral_constantIbLb1EESY_EEDaST_SU_EUlST_E_NS1_11comp_targetILNS1_3genE8ELNS1_11target_archE1030ELNS1_3gpuE2ELNS1_3repE0EEENS1_30default_config_static_selectorELNS0_4arch9wavefront6targetE0EEEvT1_.has_indirect_call, 0
	.section	.AMDGPU.csdata,"",@progbits
; Kernel info:
; codeLenInByte = 0
; TotalNumSgprs: 0
; NumVgprs: 0
; ScratchSize: 0
; MemoryBound: 0
; FloatMode: 240
; IeeeMode: 1
; LDSByteSize: 0 bytes/workgroup (compile time only)
; SGPRBlocks: 0
; VGPRBlocks: 0
; NumSGPRsForWavesPerEU: 1
; NumVGPRsForWavesPerEU: 1
; NamedBarCnt: 0
; Occupancy: 16
; WaveLimiterHint : 0
; COMPUTE_PGM_RSRC2:SCRATCH_EN: 0
; COMPUTE_PGM_RSRC2:USER_SGPR: 2
; COMPUTE_PGM_RSRC2:TRAP_HANDLER: 0
; COMPUTE_PGM_RSRC2:TGID_X_EN: 1
; COMPUTE_PGM_RSRC2:TGID_Y_EN: 0
; COMPUTE_PGM_RSRC2:TGID_Z_EN: 0
; COMPUTE_PGM_RSRC2:TIDIG_COMP_CNT: 0
	.section	.text._ZN7rocprim17ROCPRIM_400000_NS6detail17trampoline_kernelINS0_14default_configENS1_27scan_by_key_config_selectorIssEEZZNS1_16scan_by_key_implILNS1_25lookback_scan_determinismE0ELb1ES3_N6thrust23THRUST_200600_302600_NS6detail15normal_iteratorINS9_10device_ptrIsEEEESE_SE_sNS9_4plusIsEE19head_flag_predicatesEE10hipError_tPvRmT2_T3_T4_T5_mT6_T7_P12ihipStream_tbENKUlT_T0_E_clISt17integral_constantIbLb1EESX_IbLb0EEEEDaST_SU_EUlST_E_NS1_11comp_targetILNS1_3genE0ELNS1_11target_archE4294967295ELNS1_3gpuE0ELNS1_3repE0EEENS1_30default_config_static_selectorELNS0_4arch9wavefront6targetE0EEEvT1_,"axG",@progbits,_ZN7rocprim17ROCPRIM_400000_NS6detail17trampoline_kernelINS0_14default_configENS1_27scan_by_key_config_selectorIssEEZZNS1_16scan_by_key_implILNS1_25lookback_scan_determinismE0ELb1ES3_N6thrust23THRUST_200600_302600_NS6detail15normal_iteratorINS9_10device_ptrIsEEEESE_SE_sNS9_4plusIsEE19head_flag_predicatesEE10hipError_tPvRmT2_T3_T4_T5_mT6_T7_P12ihipStream_tbENKUlT_T0_E_clISt17integral_constantIbLb1EESX_IbLb0EEEEDaST_SU_EUlST_E_NS1_11comp_targetILNS1_3genE0ELNS1_11target_archE4294967295ELNS1_3gpuE0ELNS1_3repE0EEENS1_30default_config_static_selectorELNS0_4arch9wavefront6targetE0EEEvT1_,comdat
	.protected	_ZN7rocprim17ROCPRIM_400000_NS6detail17trampoline_kernelINS0_14default_configENS1_27scan_by_key_config_selectorIssEEZZNS1_16scan_by_key_implILNS1_25lookback_scan_determinismE0ELb1ES3_N6thrust23THRUST_200600_302600_NS6detail15normal_iteratorINS9_10device_ptrIsEEEESE_SE_sNS9_4plusIsEE19head_flag_predicatesEE10hipError_tPvRmT2_T3_T4_T5_mT6_T7_P12ihipStream_tbENKUlT_T0_E_clISt17integral_constantIbLb1EESX_IbLb0EEEEDaST_SU_EUlST_E_NS1_11comp_targetILNS1_3genE0ELNS1_11target_archE4294967295ELNS1_3gpuE0ELNS1_3repE0EEENS1_30default_config_static_selectorELNS0_4arch9wavefront6targetE0EEEvT1_ ; -- Begin function _ZN7rocprim17ROCPRIM_400000_NS6detail17trampoline_kernelINS0_14default_configENS1_27scan_by_key_config_selectorIssEEZZNS1_16scan_by_key_implILNS1_25lookback_scan_determinismE0ELb1ES3_N6thrust23THRUST_200600_302600_NS6detail15normal_iteratorINS9_10device_ptrIsEEEESE_SE_sNS9_4plusIsEE19head_flag_predicatesEE10hipError_tPvRmT2_T3_T4_T5_mT6_T7_P12ihipStream_tbENKUlT_T0_E_clISt17integral_constantIbLb1EESX_IbLb0EEEEDaST_SU_EUlST_E_NS1_11comp_targetILNS1_3genE0ELNS1_11target_archE4294967295ELNS1_3gpuE0ELNS1_3repE0EEENS1_30default_config_static_selectorELNS0_4arch9wavefront6targetE0EEEvT1_
	.globl	_ZN7rocprim17ROCPRIM_400000_NS6detail17trampoline_kernelINS0_14default_configENS1_27scan_by_key_config_selectorIssEEZZNS1_16scan_by_key_implILNS1_25lookback_scan_determinismE0ELb1ES3_N6thrust23THRUST_200600_302600_NS6detail15normal_iteratorINS9_10device_ptrIsEEEESE_SE_sNS9_4plusIsEE19head_flag_predicatesEE10hipError_tPvRmT2_T3_T4_T5_mT6_T7_P12ihipStream_tbENKUlT_T0_E_clISt17integral_constantIbLb1EESX_IbLb0EEEEDaST_SU_EUlST_E_NS1_11comp_targetILNS1_3genE0ELNS1_11target_archE4294967295ELNS1_3gpuE0ELNS1_3repE0EEENS1_30default_config_static_selectorELNS0_4arch9wavefront6targetE0EEEvT1_
	.p2align	8
	.type	_ZN7rocprim17ROCPRIM_400000_NS6detail17trampoline_kernelINS0_14default_configENS1_27scan_by_key_config_selectorIssEEZZNS1_16scan_by_key_implILNS1_25lookback_scan_determinismE0ELb1ES3_N6thrust23THRUST_200600_302600_NS6detail15normal_iteratorINS9_10device_ptrIsEEEESE_SE_sNS9_4plusIsEE19head_flag_predicatesEE10hipError_tPvRmT2_T3_T4_T5_mT6_T7_P12ihipStream_tbENKUlT_T0_E_clISt17integral_constantIbLb1EESX_IbLb0EEEEDaST_SU_EUlST_E_NS1_11comp_targetILNS1_3genE0ELNS1_11target_archE4294967295ELNS1_3gpuE0ELNS1_3repE0EEENS1_30default_config_static_selectorELNS0_4arch9wavefront6targetE0EEEvT1_,@function
_ZN7rocprim17ROCPRIM_400000_NS6detail17trampoline_kernelINS0_14default_configENS1_27scan_by_key_config_selectorIssEEZZNS1_16scan_by_key_implILNS1_25lookback_scan_determinismE0ELb1ES3_N6thrust23THRUST_200600_302600_NS6detail15normal_iteratorINS9_10device_ptrIsEEEESE_SE_sNS9_4plusIsEE19head_flag_predicatesEE10hipError_tPvRmT2_T3_T4_T5_mT6_T7_P12ihipStream_tbENKUlT_T0_E_clISt17integral_constantIbLb1EESX_IbLb0EEEEDaST_SU_EUlST_E_NS1_11comp_targetILNS1_3genE0ELNS1_11target_archE4294967295ELNS1_3gpuE0ELNS1_3repE0EEENS1_30default_config_static_selectorELNS0_4arch9wavefront6targetE0EEEvT1_: ; @_ZN7rocprim17ROCPRIM_400000_NS6detail17trampoline_kernelINS0_14default_configENS1_27scan_by_key_config_selectorIssEEZZNS1_16scan_by_key_implILNS1_25lookback_scan_determinismE0ELb1ES3_N6thrust23THRUST_200600_302600_NS6detail15normal_iteratorINS9_10device_ptrIsEEEESE_SE_sNS9_4plusIsEE19head_flag_predicatesEE10hipError_tPvRmT2_T3_T4_T5_mT6_T7_P12ihipStream_tbENKUlT_T0_E_clISt17integral_constantIbLb1EESX_IbLb0EEEEDaST_SU_EUlST_E_NS1_11comp_targetILNS1_3genE0ELNS1_11target_archE4294967295ELNS1_3gpuE0ELNS1_3repE0EEENS1_30default_config_static_selectorELNS0_4arch9wavefront6targetE0EEEvT1_
; %bb.0:
	s_endpgm
	.section	.rodata,"a",@progbits
	.p2align	6, 0x0
	.amdhsa_kernel _ZN7rocprim17ROCPRIM_400000_NS6detail17trampoline_kernelINS0_14default_configENS1_27scan_by_key_config_selectorIssEEZZNS1_16scan_by_key_implILNS1_25lookback_scan_determinismE0ELb1ES3_N6thrust23THRUST_200600_302600_NS6detail15normal_iteratorINS9_10device_ptrIsEEEESE_SE_sNS9_4plusIsEE19head_flag_predicatesEE10hipError_tPvRmT2_T3_T4_T5_mT6_T7_P12ihipStream_tbENKUlT_T0_E_clISt17integral_constantIbLb1EESX_IbLb0EEEEDaST_SU_EUlST_E_NS1_11comp_targetILNS1_3genE0ELNS1_11target_archE4294967295ELNS1_3gpuE0ELNS1_3repE0EEENS1_30default_config_static_selectorELNS0_4arch9wavefront6targetE0EEEvT1_
		.amdhsa_group_segment_fixed_size 0
		.amdhsa_private_segment_fixed_size 0
		.amdhsa_kernarg_size 112
		.amdhsa_user_sgpr_count 2
		.amdhsa_user_sgpr_dispatch_ptr 0
		.amdhsa_user_sgpr_queue_ptr 0
		.amdhsa_user_sgpr_kernarg_segment_ptr 1
		.amdhsa_user_sgpr_dispatch_id 0
		.amdhsa_user_sgpr_kernarg_preload_length 0
		.amdhsa_user_sgpr_kernarg_preload_offset 0
		.amdhsa_user_sgpr_private_segment_size 0
		.amdhsa_wavefront_size32 1
		.amdhsa_uses_dynamic_stack 0
		.amdhsa_enable_private_segment 0
		.amdhsa_system_sgpr_workgroup_id_x 1
		.amdhsa_system_sgpr_workgroup_id_y 0
		.amdhsa_system_sgpr_workgroup_id_z 0
		.amdhsa_system_sgpr_workgroup_info 0
		.amdhsa_system_vgpr_workitem_id 0
		.amdhsa_next_free_vgpr 1
		.amdhsa_next_free_sgpr 1
		.amdhsa_named_barrier_count 0
		.amdhsa_reserve_vcc 0
		.amdhsa_float_round_mode_32 0
		.amdhsa_float_round_mode_16_64 0
		.amdhsa_float_denorm_mode_32 3
		.amdhsa_float_denorm_mode_16_64 3
		.amdhsa_fp16_overflow 0
		.amdhsa_memory_ordered 1
		.amdhsa_forward_progress 1
		.amdhsa_inst_pref_size 1
		.amdhsa_round_robin_scheduling 0
		.amdhsa_exception_fp_ieee_invalid_op 0
		.amdhsa_exception_fp_denorm_src 0
		.amdhsa_exception_fp_ieee_div_zero 0
		.amdhsa_exception_fp_ieee_overflow 0
		.amdhsa_exception_fp_ieee_underflow 0
		.amdhsa_exception_fp_ieee_inexact 0
		.amdhsa_exception_int_div_zero 0
	.end_amdhsa_kernel
	.section	.text._ZN7rocprim17ROCPRIM_400000_NS6detail17trampoline_kernelINS0_14default_configENS1_27scan_by_key_config_selectorIssEEZZNS1_16scan_by_key_implILNS1_25lookback_scan_determinismE0ELb1ES3_N6thrust23THRUST_200600_302600_NS6detail15normal_iteratorINS9_10device_ptrIsEEEESE_SE_sNS9_4plusIsEE19head_flag_predicatesEE10hipError_tPvRmT2_T3_T4_T5_mT6_T7_P12ihipStream_tbENKUlT_T0_E_clISt17integral_constantIbLb1EESX_IbLb0EEEEDaST_SU_EUlST_E_NS1_11comp_targetILNS1_3genE0ELNS1_11target_archE4294967295ELNS1_3gpuE0ELNS1_3repE0EEENS1_30default_config_static_selectorELNS0_4arch9wavefront6targetE0EEEvT1_,"axG",@progbits,_ZN7rocprim17ROCPRIM_400000_NS6detail17trampoline_kernelINS0_14default_configENS1_27scan_by_key_config_selectorIssEEZZNS1_16scan_by_key_implILNS1_25lookback_scan_determinismE0ELb1ES3_N6thrust23THRUST_200600_302600_NS6detail15normal_iteratorINS9_10device_ptrIsEEEESE_SE_sNS9_4plusIsEE19head_flag_predicatesEE10hipError_tPvRmT2_T3_T4_T5_mT6_T7_P12ihipStream_tbENKUlT_T0_E_clISt17integral_constantIbLb1EESX_IbLb0EEEEDaST_SU_EUlST_E_NS1_11comp_targetILNS1_3genE0ELNS1_11target_archE4294967295ELNS1_3gpuE0ELNS1_3repE0EEENS1_30default_config_static_selectorELNS0_4arch9wavefront6targetE0EEEvT1_,comdat
.Lfunc_end875:
	.size	_ZN7rocprim17ROCPRIM_400000_NS6detail17trampoline_kernelINS0_14default_configENS1_27scan_by_key_config_selectorIssEEZZNS1_16scan_by_key_implILNS1_25lookback_scan_determinismE0ELb1ES3_N6thrust23THRUST_200600_302600_NS6detail15normal_iteratorINS9_10device_ptrIsEEEESE_SE_sNS9_4plusIsEE19head_flag_predicatesEE10hipError_tPvRmT2_T3_T4_T5_mT6_T7_P12ihipStream_tbENKUlT_T0_E_clISt17integral_constantIbLb1EESX_IbLb0EEEEDaST_SU_EUlST_E_NS1_11comp_targetILNS1_3genE0ELNS1_11target_archE4294967295ELNS1_3gpuE0ELNS1_3repE0EEENS1_30default_config_static_selectorELNS0_4arch9wavefront6targetE0EEEvT1_, .Lfunc_end875-_ZN7rocprim17ROCPRIM_400000_NS6detail17trampoline_kernelINS0_14default_configENS1_27scan_by_key_config_selectorIssEEZZNS1_16scan_by_key_implILNS1_25lookback_scan_determinismE0ELb1ES3_N6thrust23THRUST_200600_302600_NS6detail15normal_iteratorINS9_10device_ptrIsEEEESE_SE_sNS9_4plusIsEE19head_flag_predicatesEE10hipError_tPvRmT2_T3_T4_T5_mT6_T7_P12ihipStream_tbENKUlT_T0_E_clISt17integral_constantIbLb1EESX_IbLb0EEEEDaST_SU_EUlST_E_NS1_11comp_targetILNS1_3genE0ELNS1_11target_archE4294967295ELNS1_3gpuE0ELNS1_3repE0EEENS1_30default_config_static_selectorELNS0_4arch9wavefront6targetE0EEEvT1_
                                        ; -- End function
	.set _ZN7rocprim17ROCPRIM_400000_NS6detail17trampoline_kernelINS0_14default_configENS1_27scan_by_key_config_selectorIssEEZZNS1_16scan_by_key_implILNS1_25lookback_scan_determinismE0ELb1ES3_N6thrust23THRUST_200600_302600_NS6detail15normal_iteratorINS9_10device_ptrIsEEEESE_SE_sNS9_4plusIsEE19head_flag_predicatesEE10hipError_tPvRmT2_T3_T4_T5_mT6_T7_P12ihipStream_tbENKUlT_T0_E_clISt17integral_constantIbLb1EESX_IbLb0EEEEDaST_SU_EUlST_E_NS1_11comp_targetILNS1_3genE0ELNS1_11target_archE4294967295ELNS1_3gpuE0ELNS1_3repE0EEENS1_30default_config_static_selectorELNS0_4arch9wavefront6targetE0EEEvT1_.num_vgpr, 0
	.set _ZN7rocprim17ROCPRIM_400000_NS6detail17trampoline_kernelINS0_14default_configENS1_27scan_by_key_config_selectorIssEEZZNS1_16scan_by_key_implILNS1_25lookback_scan_determinismE0ELb1ES3_N6thrust23THRUST_200600_302600_NS6detail15normal_iteratorINS9_10device_ptrIsEEEESE_SE_sNS9_4plusIsEE19head_flag_predicatesEE10hipError_tPvRmT2_T3_T4_T5_mT6_T7_P12ihipStream_tbENKUlT_T0_E_clISt17integral_constantIbLb1EESX_IbLb0EEEEDaST_SU_EUlST_E_NS1_11comp_targetILNS1_3genE0ELNS1_11target_archE4294967295ELNS1_3gpuE0ELNS1_3repE0EEENS1_30default_config_static_selectorELNS0_4arch9wavefront6targetE0EEEvT1_.num_agpr, 0
	.set _ZN7rocprim17ROCPRIM_400000_NS6detail17trampoline_kernelINS0_14default_configENS1_27scan_by_key_config_selectorIssEEZZNS1_16scan_by_key_implILNS1_25lookback_scan_determinismE0ELb1ES3_N6thrust23THRUST_200600_302600_NS6detail15normal_iteratorINS9_10device_ptrIsEEEESE_SE_sNS9_4plusIsEE19head_flag_predicatesEE10hipError_tPvRmT2_T3_T4_T5_mT6_T7_P12ihipStream_tbENKUlT_T0_E_clISt17integral_constantIbLb1EESX_IbLb0EEEEDaST_SU_EUlST_E_NS1_11comp_targetILNS1_3genE0ELNS1_11target_archE4294967295ELNS1_3gpuE0ELNS1_3repE0EEENS1_30default_config_static_selectorELNS0_4arch9wavefront6targetE0EEEvT1_.numbered_sgpr, 0
	.set _ZN7rocprim17ROCPRIM_400000_NS6detail17trampoline_kernelINS0_14default_configENS1_27scan_by_key_config_selectorIssEEZZNS1_16scan_by_key_implILNS1_25lookback_scan_determinismE0ELb1ES3_N6thrust23THRUST_200600_302600_NS6detail15normal_iteratorINS9_10device_ptrIsEEEESE_SE_sNS9_4plusIsEE19head_flag_predicatesEE10hipError_tPvRmT2_T3_T4_T5_mT6_T7_P12ihipStream_tbENKUlT_T0_E_clISt17integral_constantIbLb1EESX_IbLb0EEEEDaST_SU_EUlST_E_NS1_11comp_targetILNS1_3genE0ELNS1_11target_archE4294967295ELNS1_3gpuE0ELNS1_3repE0EEENS1_30default_config_static_selectorELNS0_4arch9wavefront6targetE0EEEvT1_.num_named_barrier, 0
	.set _ZN7rocprim17ROCPRIM_400000_NS6detail17trampoline_kernelINS0_14default_configENS1_27scan_by_key_config_selectorIssEEZZNS1_16scan_by_key_implILNS1_25lookback_scan_determinismE0ELb1ES3_N6thrust23THRUST_200600_302600_NS6detail15normal_iteratorINS9_10device_ptrIsEEEESE_SE_sNS9_4plusIsEE19head_flag_predicatesEE10hipError_tPvRmT2_T3_T4_T5_mT6_T7_P12ihipStream_tbENKUlT_T0_E_clISt17integral_constantIbLb1EESX_IbLb0EEEEDaST_SU_EUlST_E_NS1_11comp_targetILNS1_3genE0ELNS1_11target_archE4294967295ELNS1_3gpuE0ELNS1_3repE0EEENS1_30default_config_static_selectorELNS0_4arch9wavefront6targetE0EEEvT1_.private_seg_size, 0
	.set _ZN7rocprim17ROCPRIM_400000_NS6detail17trampoline_kernelINS0_14default_configENS1_27scan_by_key_config_selectorIssEEZZNS1_16scan_by_key_implILNS1_25lookback_scan_determinismE0ELb1ES3_N6thrust23THRUST_200600_302600_NS6detail15normal_iteratorINS9_10device_ptrIsEEEESE_SE_sNS9_4plusIsEE19head_flag_predicatesEE10hipError_tPvRmT2_T3_T4_T5_mT6_T7_P12ihipStream_tbENKUlT_T0_E_clISt17integral_constantIbLb1EESX_IbLb0EEEEDaST_SU_EUlST_E_NS1_11comp_targetILNS1_3genE0ELNS1_11target_archE4294967295ELNS1_3gpuE0ELNS1_3repE0EEENS1_30default_config_static_selectorELNS0_4arch9wavefront6targetE0EEEvT1_.uses_vcc, 0
	.set _ZN7rocprim17ROCPRIM_400000_NS6detail17trampoline_kernelINS0_14default_configENS1_27scan_by_key_config_selectorIssEEZZNS1_16scan_by_key_implILNS1_25lookback_scan_determinismE0ELb1ES3_N6thrust23THRUST_200600_302600_NS6detail15normal_iteratorINS9_10device_ptrIsEEEESE_SE_sNS9_4plusIsEE19head_flag_predicatesEE10hipError_tPvRmT2_T3_T4_T5_mT6_T7_P12ihipStream_tbENKUlT_T0_E_clISt17integral_constantIbLb1EESX_IbLb0EEEEDaST_SU_EUlST_E_NS1_11comp_targetILNS1_3genE0ELNS1_11target_archE4294967295ELNS1_3gpuE0ELNS1_3repE0EEENS1_30default_config_static_selectorELNS0_4arch9wavefront6targetE0EEEvT1_.uses_flat_scratch, 0
	.set _ZN7rocprim17ROCPRIM_400000_NS6detail17trampoline_kernelINS0_14default_configENS1_27scan_by_key_config_selectorIssEEZZNS1_16scan_by_key_implILNS1_25lookback_scan_determinismE0ELb1ES3_N6thrust23THRUST_200600_302600_NS6detail15normal_iteratorINS9_10device_ptrIsEEEESE_SE_sNS9_4plusIsEE19head_flag_predicatesEE10hipError_tPvRmT2_T3_T4_T5_mT6_T7_P12ihipStream_tbENKUlT_T0_E_clISt17integral_constantIbLb1EESX_IbLb0EEEEDaST_SU_EUlST_E_NS1_11comp_targetILNS1_3genE0ELNS1_11target_archE4294967295ELNS1_3gpuE0ELNS1_3repE0EEENS1_30default_config_static_selectorELNS0_4arch9wavefront6targetE0EEEvT1_.has_dyn_sized_stack, 0
	.set _ZN7rocprim17ROCPRIM_400000_NS6detail17trampoline_kernelINS0_14default_configENS1_27scan_by_key_config_selectorIssEEZZNS1_16scan_by_key_implILNS1_25lookback_scan_determinismE0ELb1ES3_N6thrust23THRUST_200600_302600_NS6detail15normal_iteratorINS9_10device_ptrIsEEEESE_SE_sNS9_4plusIsEE19head_flag_predicatesEE10hipError_tPvRmT2_T3_T4_T5_mT6_T7_P12ihipStream_tbENKUlT_T0_E_clISt17integral_constantIbLb1EESX_IbLb0EEEEDaST_SU_EUlST_E_NS1_11comp_targetILNS1_3genE0ELNS1_11target_archE4294967295ELNS1_3gpuE0ELNS1_3repE0EEENS1_30default_config_static_selectorELNS0_4arch9wavefront6targetE0EEEvT1_.has_recursion, 0
	.set _ZN7rocprim17ROCPRIM_400000_NS6detail17trampoline_kernelINS0_14default_configENS1_27scan_by_key_config_selectorIssEEZZNS1_16scan_by_key_implILNS1_25lookback_scan_determinismE0ELb1ES3_N6thrust23THRUST_200600_302600_NS6detail15normal_iteratorINS9_10device_ptrIsEEEESE_SE_sNS9_4plusIsEE19head_flag_predicatesEE10hipError_tPvRmT2_T3_T4_T5_mT6_T7_P12ihipStream_tbENKUlT_T0_E_clISt17integral_constantIbLb1EESX_IbLb0EEEEDaST_SU_EUlST_E_NS1_11comp_targetILNS1_3genE0ELNS1_11target_archE4294967295ELNS1_3gpuE0ELNS1_3repE0EEENS1_30default_config_static_selectorELNS0_4arch9wavefront6targetE0EEEvT1_.has_indirect_call, 0
	.section	.AMDGPU.csdata,"",@progbits
; Kernel info:
; codeLenInByte = 4
; TotalNumSgprs: 0
; NumVgprs: 0
; ScratchSize: 0
; MemoryBound: 0
; FloatMode: 240
; IeeeMode: 1
; LDSByteSize: 0 bytes/workgroup (compile time only)
; SGPRBlocks: 0
; VGPRBlocks: 0
; NumSGPRsForWavesPerEU: 1
; NumVGPRsForWavesPerEU: 1
; NamedBarCnt: 0
; Occupancy: 16
; WaveLimiterHint : 0
; COMPUTE_PGM_RSRC2:SCRATCH_EN: 0
; COMPUTE_PGM_RSRC2:USER_SGPR: 2
; COMPUTE_PGM_RSRC2:TRAP_HANDLER: 0
; COMPUTE_PGM_RSRC2:TGID_X_EN: 1
; COMPUTE_PGM_RSRC2:TGID_Y_EN: 0
; COMPUTE_PGM_RSRC2:TGID_Z_EN: 0
; COMPUTE_PGM_RSRC2:TIDIG_COMP_CNT: 0
	.section	.text._ZN7rocprim17ROCPRIM_400000_NS6detail17trampoline_kernelINS0_14default_configENS1_27scan_by_key_config_selectorIssEEZZNS1_16scan_by_key_implILNS1_25lookback_scan_determinismE0ELb1ES3_N6thrust23THRUST_200600_302600_NS6detail15normal_iteratorINS9_10device_ptrIsEEEESE_SE_sNS9_4plusIsEE19head_flag_predicatesEE10hipError_tPvRmT2_T3_T4_T5_mT6_T7_P12ihipStream_tbENKUlT_T0_E_clISt17integral_constantIbLb1EESX_IbLb0EEEEDaST_SU_EUlST_E_NS1_11comp_targetILNS1_3genE10ELNS1_11target_archE1201ELNS1_3gpuE5ELNS1_3repE0EEENS1_30default_config_static_selectorELNS0_4arch9wavefront6targetE0EEEvT1_,"axG",@progbits,_ZN7rocprim17ROCPRIM_400000_NS6detail17trampoline_kernelINS0_14default_configENS1_27scan_by_key_config_selectorIssEEZZNS1_16scan_by_key_implILNS1_25lookback_scan_determinismE0ELb1ES3_N6thrust23THRUST_200600_302600_NS6detail15normal_iteratorINS9_10device_ptrIsEEEESE_SE_sNS9_4plusIsEE19head_flag_predicatesEE10hipError_tPvRmT2_T3_T4_T5_mT6_T7_P12ihipStream_tbENKUlT_T0_E_clISt17integral_constantIbLb1EESX_IbLb0EEEEDaST_SU_EUlST_E_NS1_11comp_targetILNS1_3genE10ELNS1_11target_archE1201ELNS1_3gpuE5ELNS1_3repE0EEENS1_30default_config_static_selectorELNS0_4arch9wavefront6targetE0EEEvT1_,comdat
	.protected	_ZN7rocprim17ROCPRIM_400000_NS6detail17trampoline_kernelINS0_14default_configENS1_27scan_by_key_config_selectorIssEEZZNS1_16scan_by_key_implILNS1_25lookback_scan_determinismE0ELb1ES3_N6thrust23THRUST_200600_302600_NS6detail15normal_iteratorINS9_10device_ptrIsEEEESE_SE_sNS9_4plusIsEE19head_flag_predicatesEE10hipError_tPvRmT2_T3_T4_T5_mT6_T7_P12ihipStream_tbENKUlT_T0_E_clISt17integral_constantIbLb1EESX_IbLb0EEEEDaST_SU_EUlST_E_NS1_11comp_targetILNS1_3genE10ELNS1_11target_archE1201ELNS1_3gpuE5ELNS1_3repE0EEENS1_30default_config_static_selectorELNS0_4arch9wavefront6targetE0EEEvT1_ ; -- Begin function _ZN7rocprim17ROCPRIM_400000_NS6detail17trampoline_kernelINS0_14default_configENS1_27scan_by_key_config_selectorIssEEZZNS1_16scan_by_key_implILNS1_25lookback_scan_determinismE0ELb1ES3_N6thrust23THRUST_200600_302600_NS6detail15normal_iteratorINS9_10device_ptrIsEEEESE_SE_sNS9_4plusIsEE19head_flag_predicatesEE10hipError_tPvRmT2_T3_T4_T5_mT6_T7_P12ihipStream_tbENKUlT_T0_E_clISt17integral_constantIbLb1EESX_IbLb0EEEEDaST_SU_EUlST_E_NS1_11comp_targetILNS1_3genE10ELNS1_11target_archE1201ELNS1_3gpuE5ELNS1_3repE0EEENS1_30default_config_static_selectorELNS0_4arch9wavefront6targetE0EEEvT1_
	.globl	_ZN7rocprim17ROCPRIM_400000_NS6detail17trampoline_kernelINS0_14default_configENS1_27scan_by_key_config_selectorIssEEZZNS1_16scan_by_key_implILNS1_25lookback_scan_determinismE0ELb1ES3_N6thrust23THRUST_200600_302600_NS6detail15normal_iteratorINS9_10device_ptrIsEEEESE_SE_sNS9_4plusIsEE19head_flag_predicatesEE10hipError_tPvRmT2_T3_T4_T5_mT6_T7_P12ihipStream_tbENKUlT_T0_E_clISt17integral_constantIbLb1EESX_IbLb0EEEEDaST_SU_EUlST_E_NS1_11comp_targetILNS1_3genE10ELNS1_11target_archE1201ELNS1_3gpuE5ELNS1_3repE0EEENS1_30default_config_static_selectorELNS0_4arch9wavefront6targetE0EEEvT1_
	.p2align	8
	.type	_ZN7rocprim17ROCPRIM_400000_NS6detail17trampoline_kernelINS0_14default_configENS1_27scan_by_key_config_selectorIssEEZZNS1_16scan_by_key_implILNS1_25lookback_scan_determinismE0ELb1ES3_N6thrust23THRUST_200600_302600_NS6detail15normal_iteratorINS9_10device_ptrIsEEEESE_SE_sNS9_4plusIsEE19head_flag_predicatesEE10hipError_tPvRmT2_T3_T4_T5_mT6_T7_P12ihipStream_tbENKUlT_T0_E_clISt17integral_constantIbLb1EESX_IbLb0EEEEDaST_SU_EUlST_E_NS1_11comp_targetILNS1_3genE10ELNS1_11target_archE1201ELNS1_3gpuE5ELNS1_3repE0EEENS1_30default_config_static_selectorELNS0_4arch9wavefront6targetE0EEEvT1_,@function
_ZN7rocprim17ROCPRIM_400000_NS6detail17trampoline_kernelINS0_14default_configENS1_27scan_by_key_config_selectorIssEEZZNS1_16scan_by_key_implILNS1_25lookback_scan_determinismE0ELb1ES3_N6thrust23THRUST_200600_302600_NS6detail15normal_iteratorINS9_10device_ptrIsEEEESE_SE_sNS9_4plusIsEE19head_flag_predicatesEE10hipError_tPvRmT2_T3_T4_T5_mT6_T7_P12ihipStream_tbENKUlT_T0_E_clISt17integral_constantIbLb1EESX_IbLb0EEEEDaST_SU_EUlST_E_NS1_11comp_targetILNS1_3genE10ELNS1_11target_archE1201ELNS1_3gpuE5ELNS1_3repE0EEENS1_30default_config_static_selectorELNS0_4arch9wavefront6targetE0EEEvT1_: ; @_ZN7rocprim17ROCPRIM_400000_NS6detail17trampoline_kernelINS0_14default_configENS1_27scan_by_key_config_selectorIssEEZZNS1_16scan_by_key_implILNS1_25lookback_scan_determinismE0ELb1ES3_N6thrust23THRUST_200600_302600_NS6detail15normal_iteratorINS9_10device_ptrIsEEEESE_SE_sNS9_4plusIsEE19head_flag_predicatesEE10hipError_tPvRmT2_T3_T4_T5_mT6_T7_P12ihipStream_tbENKUlT_T0_E_clISt17integral_constantIbLb1EESX_IbLb0EEEEDaST_SU_EUlST_E_NS1_11comp_targetILNS1_3genE10ELNS1_11target_archE1201ELNS1_3gpuE5ELNS1_3repE0EEENS1_30default_config_static_selectorELNS0_4arch9wavefront6targetE0EEEvT1_
; %bb.0:
	.section	.rodata,"a",@progbits
	.p2align	6, 0x0
	.amdhsa_kernel _ZN7rocprim17ROCPRIM_400000_NS6detail17trampoline_kernelINS0_14default_configENS1_27scan_by_key_config_selectorIssEEZZNS1_16scan_by_key_implILNS1_25lookback_scan_determinismE0ELb1ES3_N6thrust23THRUST_200600_302600_NS6detail15normal_iteratorINS9_10device_ptrIsEEEESE_SE_sNS9_4plusIsEE19head_flag_predicatesEE10hipError_tPvRmT2_T3_T4_T5_mT6_T7_P12ihipStream_tbENKUlT_T0_E_clISt17integral_constantIbLb1EESX_IbLb0EEEEDaST_SU_EUlST_E_NS1_11comp_targetILNS1_3genE10ELNS1_11target_archE1201ELNS1_3gpuE5ELNS1_3repE0EEENS1_30default_config_static_selectorELNS0_4arch9wavefront6targetE0EEEvT1_
		.amdhsa_group_segment_fixed_size 0
		.amdhsa_private_segment_fixed_size 0
		.amdhsa_kernarg_size 112
		.amdhsa_user_sgpr_count 2
		.amdhsa_user_sgpr_dispatch_ptr 0
		.amdhsa_user_sgpr_queue_ptr 0
		.amdhsa_user_sgpr_kernarg_segment_ptr 1
		.amdhsa_user_sgpr_dispatch_id 0
		.amdhsa_user_sgpr_kernarg_preload_length 0
		.amdhsa_user_sgpr_kernarg_preload_offset 0
		.amdhsa_user_sgpr_private_segment_size 0
		.amdhsa_wavefront_size32 1
		.amdhsa_uses_dynamic_stack 0
		.amdhsa_enable_private_segment 0
		.amdhsa_system_sgpr_workgroup_id_x 1
		.amdhsa_system_sgpr_workgroup_id_y 0
		.amdhsa_system_sgpr_workgroup_id_z 0
		.amdhsa_system_sgpr_workgroup_info 0
		.amdhsa_system_vgpr_workitem_id 0
		.amdhsa_next_free_vgpr 1
		.amdhsa_next_free_sgpr 1
		.amdhsa_named_barrier_count 0
		.amdhsa_reserve_vcc 0
		.amdhsa_float_round_mode_32 0
		.amdhsa_float_round_mode_16_64 0
		.amdhsa_float_denorm_mode_32 3
		.amdhsa_float_denorm_mode_16_64 3
		.amdhsa_fp16_overflow 0
		.amdhsa_memory_ordered 1
		.amdhsa_forward_progress 1
		.amdhsa_inst_pref_size 0
		.amdhsa_round_robin_scheduling 0
		.amdhsa_exception_fp_ieee_invalid_op 0
		.amdhsa_exception_fp_denorm_src 0
		.amdhsa_exception_fp_ieee_div_zero 0
		.amdhsa_exception_fp_ieee_overflow 0
		.amdhsa_exception_fp_ieee_underflow 0
		.amdhsa_exception_fp_ieee_inexact 0
		.amdhsa_exception_int_div_zero 0
	.end_amdhsa_kernel
	.section	.text._ZN7rocprim17ROCPRIM_400000_NS6detail17trampoline_kernelINS0_14default_configENS1_27scan_by_key_config_selectorIssEEZZNS1_16scan_by_key_implILNS1_25lookback_scan_determinismE0ELb1ES3_N6thrust23THRUST_200600_302600_NS6detail15normal_iteratorINS9_10device_ptrIsEEEESE_SE_sNS9_4plusIsEE19head_flag_predicatesEE10hipError_tPvRmT2_T3_T4_T5_mT6_T7_P12ihipStream_tbENKUlT_T0_E_clISt17integral_constantIbLb1EESX_IbLb0EEEEDaST_SU_EUlST_E_NS1_11comp_targetILNS1_3genE10ELNS1_11target_archE1201ELNS1_3gpuE5ELNS1_3repE0EEENS1_30default_config_static_selectorELNS0_4arch9wavefront6targetE0EEEvT1_,"axG",@progbits,_ZN7rocprim17ROCPRIM_400000_NS6detail17trampoline_kernelINS0_14default_configENS1_27scan_by_key_config_selectorIssEEZZNS1_16scan_by_key_implILNS1_25lookback_scan_determinismE0ELb1ES3_N6thrust23THRUST_200600_302600_NS6detail15normal_iteratorINS9_10device_ptrIsEEEESE_SE_sNS9_4plusIsEE19head_flag_predicatesEE10hipError_tPvRmT2_T3_T4_T5_mT6_T7_P12ihipStream_tbENKUlT_T0_E_clISt17integral_constantIbLb1EESX_IbLb0EEEEDaST_SU_EUlST_E_NS1_11comp_targetILNS1_3genE10ELNS1_11target_archE1201ELNS1_3gpuE5ELNS1_3repE0EEENS1_30default_config_static_selectorELNS0_4arch9wavefront6targetE0EEEvT1_,comdat
.Lfunc_end876:
	.size	_ZN7rocprim17ROCPRIM_400000_NS6detail17trampoline_kernelINS0_14default_configENS1_27scan_by_key_config_selectorIssEEZZNS1_16scan_by_key_implILNS1_25lookback_scan_determinismE0ELb1ES3_N6thrust23THRUST_200600_302600_NS6detail15normal_iteratorINS9_10device_ptrIsEEEESE_SE_sNS9_4plusIsEE19head_flag_predicatesEE10hipError_tPvRmT2_T3_T4_T5_mT6_T7_P12ihipStream_tbENKUlT_T0_E_clISt17integral_constantIbLb1EESX_IbLb0EEEEDaST_SU_EUlST_E_NS1_11comp_targetILNS1_3genE10ELNS1_11target_archE1201ELNS1_3gpuE5ELNS1_3repE0EEENS1_30default_config_static_selectorELNS0_4arch9wavefront6targetE0EEEvT1_, .Lfunc_end876-_ZN7rocprim17ROCPRIM_400000_NS6detail17trampoline_kernelINS0_14default_configENS1_27scan_by_key_config_selectorIssEEZZNS1_16scan_by_key_implILNS1_25lookback_scan_determinismE0ELb1ES3_N6thrust23THRUST_200600_302600_NS6detail15normal_iteratorINS9_10device_ptrIsEEEESE_SE_sNS9_4plusIsEE19head_flag_predicatesEE10hipError_tPvRmT2_T3_T4_T5_mT6_T7_P12ihipStream_tbENKUlT_T0_E_clISt17integral_constantIbLb1EESX_IbLb0EEEEDaST_SU_EUlST_E_NS1_11comp_targetILNS1_3genE10ELNS1_11target_archE1201ELNS1_3gpuE5ELNS1_3repE0EEENS1_30default_config_static_selectorELNS0_4arch9wavefront6targetE0EEEvT1_
                                        ; -- End function
	.set _ZN7rocprim17ROCPRIM_400000_NS6detail17trampoline_kernelINS0_14default_configENS1_27scan_by_key_config_selectorIssEEZZNS1_16scan_by_key_implILNS1_25lookback_scan_determinismE0ELb1ES3_N6thrust23THRUST_200600_302600_NS6detail15normal_iteratorINS9_10device_ptrIsEEEESE_SE_sNS9_4plusIsEE19head_flag_predicatesEE10hipError_tPvRmT2_T3_T4_T5_mT6_T7_P12ihipStream_tbENKUlT_T0_E_clISt17integral_constantIbLb1EESX_IbLb0EEEEDaST_SU_EUlST_E_NS1_11comp_targetILNS1_3genE10ELNS1_11target_archE1201ELNS1_3gpuE5ELNS1_3repE0EEENS1_30default_config_static_selectorELNS0_4arch9wavefront6targetE0EEEvT1_.num_vgpr, 0
	.set _ZN7rocprim17ROCPRIM_400000_NS6detail17trampoline_kernelINS0_14default_configENS1_27scan_by_key_config_selectorIssEEZZNS1_16scan_by_key_implILNS1_25lookback_scan_determinismE0ELb1ES3_N6thrust23THRUST_200600_302600_NS6detail15normal_iteratorINS9_10device_ptrIsEEEESE_SE_sNS9_4plusIsEE19head_flag_predicatesEE10hipError_tPvRmT2_T3_T4_T5_mT6_T7_P12ihipStream_tbENKUlT_T0_E_clISt17integral_constantIbLb1EESX_IbLb0EEEEDaST_SU_EUlST_E_NS1_11comp_targetILNS1_3genE10ELNS1_11target_archE1201ELNS1_3gpuE5ELNS1_3repE0EEENS1_30default_config_static_selectorELNS0_4arch9wavefront6targetE0EEEvT1_.num_agpr, 0
	.set _ZN7rocprim17ROCPRIM_400000_NS6detail17trampoline_kernelINS0_14default_configENS1_27scan_by_key_config_selectorIssEEZZNS1_16scan_by_key_implILNS1_25lookback_scan_determinismE0ELb1ES3_N6thrust23THRUST_200600_302600_NS6detail15normal_iteratorINS9_10device_ptrIsEEEESE_SE_sNS9_4plusIsEE19head_flag_predicatesEE10hipError_tPvRmT2_T3_T4_T5_mT6_T7_P12ihipStream_tbENKUlT_T0_E_clISt17integral_constantIbLb1EESX_IbLb0EEEEDaST_SU_EUlST_E_NS1_11comp_targetILNS1_3genE10ELNS1_11target_archE1201ELNS1_3gpuE5ELNS1_3repE0EEENS1_30default_config_static_selectorELNS0_4arch9wavefront6targetE0EEEvT1_.numbered_sgpr, 0
	.set _ZN7rocprim17ROCPRIM_400000_NS6detail17trampoline_kernelINS0_14default_configENS1_27scan_by_key_config_selectorIssEEZZNS1_16scan_by_key_implILNS1_25lookback_scan_determinismE0ELb1ES3_N6thrust23THRUST_200600_302600_NS6detail15normal_iteratorINS9_10device_ptrIsEEEESE_SE_sNS9_4plusIsEE19head_flag_predicatesEE10hipError_tPvRmT2_T3_T4_T5_mT6_T7_P12ihipStream_tbENKUlT_T0_E_clISt17integral_constantIbLb1EESX_IbLb0EEEEDaST_SU_EUlST_E_NS1_11comp_targetILNS1_3genE10ELNS1_11target_archE1201ELNS1_3gpuE5ELNS1_3repE0EEENS1_30default_config_static_selectorELNS0_4arch9wavefront6targetE0EEEvT1_.num_named_barrier, 0
	.set _ZN7rocprim17ROCPRIM_400000_NS6detail17trampoline_kernelINS0_14default_configENS1_27scan_by_key_config_selectorIssEEZZNS1_16scan_by_key_implILNS1_25lookback_scan_determinismE0ELb1ES3_N6thrust23THRUST_200600_302600_NS6detail15normal_iteratorINS9_10device_ptrIsEEEESE_SE_sNS9_4plusIsEE19head_flag_predicatesEE10hipError_tPvRmT2_T3_T4_T5_mT6_T7_P12ihipStream_tbENKUlT_T0_E_clISt17integral_constantIbLb1EESX_IbLb0EEEEDaST_SU_EUlST_E_NS1_11comp_targetILNS1_3genE10ELNS1_11target_archE1201ELNS1_3gpuE5ELNS1_3repE0EEENS1_30default_config_static_selectorELNS0_4arch9wavefront6targetE0EEEvT1_.private_seg_size, 0
	.set _ZN7rocprim17ROCPRIM_400000_NS6detail17trampoline_kernelINS0_14default_configENS1_27scan_by_key_config_selectorIssEEZZNS1_16scan_by_key_implILNS1_25lookback_scan_determinismE0ELb1ES3_N6thrust23THRUST_200600_302600_NS6detail15normal_iteratorINS9_10device_ptrIsEEEESE_SE_sNS9_4plusIsEE19head_flag_predicatesEE10hipError_tPvRmT2_T3_T4_T5_mT6_T7_P12ihipStream_tbENKUlT_T0_E_clISt17integral_constantIbLb1EESX_IbLb0EEEEDaST_SU_EUlST_E_NS1_11comp_targetILNS1_3genE10ELNS1_11target_archE1201ELNS1_3gpuE5ELNS1_3repE0EEENS1_30default_config_static_selectorELNS0_4arch9wavefront6targetE0EEEvT1_.uses_vcc, 0
	.set _ZN7rocprim17ROCPRIM_400000_NS6detail17trampoline_kernelINS0_14default_configENS1_27scan_by_key_config_selectorIssEEZZNS1_16scan_by_key_implILNS1_25lookback_scan_determinismE0ELb1ES3_N6thrust23THRUST_200600_302600_NS6detail15normal_iteratorINS9_10device_ptrIsEEEESE_SE_sNS9_4plusIsEE19head_flag_predicatesEE10hipError_tPvRmT2_T3_T4_T5_mT6_T7_P12ihipStream_tbENKUlT_T0_E_clISt17integral_constantIbLb1EESX_IbLb0EEEEDaST_SU_EUlST_E_NS1_11comp_targetILNS1_3genE10ELNS1_11target_archE1201ELNS1_3gpuE5ELNS1_3repE0EEENS1_30default_config_static_selectorELNS0_4arch9wavefront6targetE0EEEvT1_.uses_flat_scratch, 0
	.set _ZN7rocprim17ROCPRIM_400000_NS6detail17trampoline_kernelINS0_14default_configENS1_27scan_by_key_config_selectorIssEEZZNS1_16scan_by_key_implILNS1_25lookback_scan_determinismE0ELb1ES3_N6thrust23THRUST_200600_302600_NS6detail15normal_iteratorINS9_10device_ptrIsEEEESE_SE_sNS9_4plusIsEE19head_flag_predicatesEE10hipError_tPvRmT2_T3_T4_T5_mT6_T7_P12ihipStream_tbENKUlT_T0_E_clISt17integral_constantIbLb1EESX_IbLb0EEEEDaST_SU_EUlST_E_NS1_11comp_targetILNS1_3genE10ELNS1_11target_archE1201ELNS1_3gpuE5ELNS1_3repE0EEENS1_30default_config_static_selectorELNS0_4arch9wavefront6targetE0EEEvT1_.has_dyn_sized_stack, 0
	.set _ZN7rocprim17ROCPRIM_400000_NS6detail17trampoline_kernelINS0_14default_configENS1_27scan_by_key_config_selectorIssEEZZNS1_16scan_by_key_implILNS1_25lookback_scan_determinismE0ELb1ES3_N6thrust23THRUST_200600_302600_NS6detail15normal_iteratorINS9_10device_ptrIsEEEESE_SE_sNS9_4plusIsEE19head_flag_predicatesEE10hipError_tPvRmT2_T3_T4_T5_mT6_T7_P12ihipStream_tbENKUlT_T0_E_clISt17integral_constantIbLb1EESX_IbLb0EEEEDaST_SU_EUlST_E_NS1_11comp_targetILNS1_3genE10ELNS1_11target_archE1201ELNS1_3gpuE5ELNS1_3repE0EEENS1_30default_config_static_selectorELNS0_4arch9wavefront6targetE0EEEvT1_.has_recursion, 0
	.set _ZN7rocprim17ROCPRIM_400000_NS6detail17trampoline_kernelINS0_14default_configENS1_27scan_by_key_config_selectorIssEEZZNS1_16scan_by_key_implILNS1_25lookback_scan_determinismE0ELb1ES3_N6thrust23THRUST_200600_302600_NS6detail15normal_iteratorINS9_10device_ptrIsEEEESE_SE_sNS9_4plusIsEE19head_flag_predicatesEE10hipError_tPvRmT2_T3_T4_T5_mT6_T7_P12ihipStream_tbENKUlT_T0_E_clISt17integral_constantIbLb1EESX_IbLb0EEEEDaST_SU_EUlST_E_NS1_11comp_targetILNS1_3genE10ELNS1_11target_archE1201ELNS1_3gpuE5ELNS1_3repE0EEENS1_30default_config_static_selectorELNS0_4arch9wavefront6targetE0EEEvT1_.has_indirect_call, 0
	.section	.AMDGPU.csdata,"",@progbits
; Kernel info:
; codeLenInByte = 0
; TotalNumSgprs: 0
; NumVgprs: 0
; ScratchSize: 0
; MemoryBound: 0
; FloatMode: 240
; IeeeMode: 1
; LDSByteSize: 0 bytes/workgroup (compile time only)
; SGPRBlocks: 0
; VGPRBlocks: 0
; NumSGPRsForWavesPerEU: 1
; NumVGPRsForWavesPerEU: 1
; NamedBarCnt: 0
; Occupancy: 16
; WaveLimiterHint : 0
; COMPUTE_PGM_RSRC2:SCRATCH_EN: 0
; COMPUTE_PGM_RSRC2:USER_SGPR: 2
; COMPUTE_PGM_RSRC2:TRAP_HANDLER: 0
; COMPUTE_PGM_RSRC2:TGID_X_EN: 1
; COMPUTE_PGM_RSRC2:TGID_Y_EN: 0
; COMPUTE_PGM_RSRC2:TGID_Z_EN: 0
; COMPUTE_PGM_RSRC2:TIDIG_COMP_CNT: 0
	.section	.text._ZN7rocprim17ROCPRIM_400000_NS6detail17trampoline_kernelINS0_14default_configENS1_27scan_by_key_config_selectorIssEEZZNS1_16scan_by_key_implILNS1_25lookback_scan_determinismE0ELb1ES3_N6thrust23THRUST_200600_302600_NS6detail15normal_iteratorINS9_10device_ptrIsEEEESE_SE_sNS9_4plusIsEE19head_flag_predicatesEE10hipError_tPvRmT2_T3_T4_T5_mT6_T7_P12ihipStream_tbENKUlT_T0_E_clISt17integral_constantIbLb1EESX_IbLb0EEEEDaST_SU_EUlST_E_NS1_11comp_targetILNS1_3genE5ELNS1_11target_archE942ELNS1_3gpuE9ELNS1_3repE0EEENS1_30default_config_static_selectorELNS0_4arch9wavefront6targetE0EEEvT1_,"axG",@progbits,_ZN7rocprim17ROCPRIM_400000_NS6detail17trampoline_kernelINS0_14default_configENS1_27scan_by_key_config_selectorIssEEZZNS1_16scan_by_key_implILNS1_25lookback_scan_determinismE0ELb1ES3_N6thrust23THRUST_200600_302600_NS6detail15normal_iteratorINS9_10device_ptrIsEEEESE_SE_sNS9_4plusIsEE19head_flag_predicatesEE10hipError_tPvRmT2_T3_T4_T5_mT6_T7_P12ihipStream_tbENKUlT_T0_E_clISt17integral_constantIbLb1EESX_IbLb0EEEEDaST_SU_EUlST_E_NS1_11comp_targetILNS1_3genE5ELNS1_11target_archE942ELNS1_3gpuE9ELNS1_3repE0EEENS1_30default_config_static_selectorELNS0_4arch9wavefront6targetE0EEEvT1_,comdat
	.protected	_ZN7rocprim17ROCPRIM_400000_NS6detail17trampoline_kernelINS0_14default_configENS1_27scan_by_key_config_selectorIssEEZZNS1_16scan_by_key_implILNS1_25lookback_scan_determinismE0ELb1ES3_N6thrust23THRUST_200600_302600_NS6detail15normal_iteratorINS9_10device_ptrIsEEEESE_SE_sNS9_4plusIsEE19head_flag_predicatesEE10hipError_tPvRmT2_T3_T4_T5_mT6_T7_P12ihipStream_tbENKUlT_T0_E_clISt17integral_constantIbLb1EESX_IbLb0EEEEDaST_SU_EUlST_E_NS1_11comp_targetILNS1_3genE5ELNS1_11target_archE942ELNS1_3gpuE9ELNS1_3repE0EEENS1_30default_config_static_selectorELNS0_4arch9wavefront6targetE0EEEvT1_ ; -- Begin function _ZN7rocprim17ROCPRIM_400000_NS6detail17trampoline_kernelINS0_14default_configENS1_27scan_by_key_config_selectorIssEEZZNS1_16scan_by_key_implILNS1_25lookback_scan_determinismE0ELb1ES3_N6thrust23THRUST_200600_302600_NS6detail15normal_iteratorINS9_10device_ptrIsEEEESE_SE_sNS9_4plusIsEE19head_flag_predicatesEE10hipError_tPvRmT2_T3_T4_T5_mT6_T7_P12ihipStream_tbENKUlT_T0_E_clISt17integral_constantIbLb1EESX_IbLb0EEEEDaST_SU_EUlST_E_NS1_11comp_targetILNS1_3genE5ELNS1_11target_archE942ELNS1_3gpuE9ELNS1_3repE0EEENS1_30default_config_static_selectorELNS0_4arch9wavefront6targetE0EEEvT1_
	.globl	_ZN7rocprim17ROCPRIM_400000_NS6detail17trampoline_kernelINS0_14default_configENS1_27scan_by_key_config_selectorIssEEZZNS1_16scan_by_key_implILNS1_25lookback_scan_determinismE0ELb1ES3_N6thrust23THRUST_200600_302600_NS6detail15normal_iteratorINS9_10device_ptrIsEEEESE_SE_sNS9_4plusIsEE19head_flag_predicatesEE10hipError_tPvRmT2_T3_T4_T5_mT6_T7_P12ihipStream_tbENKUlT_T0_E_clISt17integral_constantIbLb1EESX_IbLb0EEEEDaST_SU_EUlST_E_NS1_11comp_targetILNS1_3genE5ELNS1_11target_archE942ELNS1_3gpuE9ELNS1_3repE0EEENS1_30default_config_static_selectorELNS0_4arch9wavefront6targetE0EEEvT1_
	.p2align	8
	.type	_ZN7rocprim17ROCPRIM_400000_NS6detail17trampoline_kernelINS0_14default_configENS1_27scan_by_key_config_selectorIssEEZZNS1_16scan_by_key_implILNS1_25lookback_scan_determinismE0ELb1ES3_N6thrust23THRUST_200600_302600_NS6detail15normal_iteratorINS9_10device_ptrIsEEEESE_SE_sNS9_4plusIsEE19head_flag_predicatesEE10hipError_tPvRmT2_T3_T4_T5_mT6_T7_P12ihipStream_tbENKUlT_T0_E_clISt17integral_constantIbLb1EESX_IbLb0EEEEDaST_SU_EUlST_E_NS1_11comp_targetILNS1_3genE5ELNS1_11target_archE942ELNS1_3gpuE9ELNS1_3repE0EEENS1_30default_config_static_selectorELNS0_4arch9wavefront6targetE0EEEvT1_,@function
_ZN7rocprim17ROCPRIM_400000_NS6detail17trampoline_kernelINS0_14default_configENS1_27scan_by_key_config_selectorIssEEZZNS1_16scan_by_key_implILNS1_25lookback_scan_determinismE0ELb1ES3_N6thrust23THRUST_200600_302600_NS6detail15normal_iteratorINS9_10device_ptrIsEEEESE_SE_sNS9_4plusIsEE19head_flag_predicatesEE10hipError_tPvRmT2_T3_T4_T5_mT6_T7_P12ihipStream_tbENKUlT_T0_E_clISt17integral_constantIbLb1EESX_IbLb0EEEEDaST_SU_EUlST_E_NS1_11comp_targetILNS1_3genE5ELNS1_11target_archE942ELNS1_3gpuE9ELNS1_3repE0EEENS1_30default_config_static_selectorELNS0_4arch9wavefront6targetE0EEEvT1_: ; @_ZN7rocprim17ROCPRIM_400000_NS6detail17trampoline_kernelINS0_14default_configENS1_27scan_by_key_config_selectorIssEEZZNS1_16scan_by_key_implILNS1_25lookback_scan_determinismE0ELb1ES3_N6thrust23THRUST_200600_302600_NS6detail15normal_iteratorINS9_10device_ptrIsEEEESE_SE_sNS9_4plusIsEE19head_flag_predicatesEE10hipError_tPvRmT2_T3_T4_T5_mT6_T7_P12ihipStream_tbENKUlT_T0_E_clISt17integral_constantIbLb1EESX_IbLb0EEEEDaST_SU_EUlST_E_NS1_11comp_targetILNS1_3genE5ELNS1_11target_archE942ELNS1_3gpuE9ELNS1_3repE0EEENS1_30default_config_static_selectorELNS0_4arch9wavefront6targetE0EEEvT1_
; %bb.0:
	.section	.rodata,"a",@progbits
	.p2align	6, 0x0
	.amdhsa_kernel _ZN7rocprim17ROCPRIM_400000_NS6detail17trampoline_kernelINS0_14default_configENS1_27scan_by_key_config_selectorIssEEZZNS1_16scan_by_key_implILNS1_25lookback_scan_determinismE0ELb1ES3_N6thrust23THRUST_200600_302600_NS6detail15normal_iteratorINS9_10device_ptrIsEEEESE_SE_sNS9_4plusIsEE19head_flag_predicatesEE10hipError_tPvRmT2_T3_T4_T5_mT6_T7_P12ihipStream_tbENKUlT_T0_E_clISt17integral_constantIbLb1EESX_IbLb0EEEEDaST_SU_EUlST_E_NS1_11comp_targetILNS1_3genE5ELNS1_11target_archE942ELNS1_3gpuE9ELNS1_3repE0EEENS1_30default_config_static_selectorELNS0_4arch9wavefront6targetE0EEEvT1_
		.amdhsa_group_segment_fixed_size 0
		.amdhsa_private_segment_fixed_size 0
		.amdhsa_kernarg_size 112
		.amdhsa_user_sgpr_count 2
		.amdhsa_user_sgpr_dispatch_ptr 0
		.amdhsa_user_sgpr_queue_ptr 0
		.amdhsa_user_sgpr_kernarg_segment_ptr 1
		.amdhsa_user_sgpr_dispatch_id 0
		.amdhsa_user_sgpr_kernarg_preload_length 0
		.amdhsa_user_sgpr_kernarg_preload_offset 0
		.amdhsa_user_sgpr_private_segment_size 0
		.amdhsa_wavefront_size32 1
		.amdhsa_uses_dynamic_stack 0
		.amdhsa_enable_private_segment 0
		.amdhsa_system_sgpr_workgroup_id_x 1
		.amdhsa_system_sgpr_workgroup_id_y 0
		.amdhsa_system_sgpr_workgroup_id_z 0
		.amdhsa_system_sgpr_workgroup_info 0
		.amdhsa_system_vgpr_workitem_id 0
		.amdhsa_next_free_vgpr 1
		.amdhsa_next_free_sgpr 1
		.amdhsa_named_barrier_count 0
		.amdhsa_reserve_vcc 0
		.amdhsa_float_round_mode_32 0
		.amdhsa_float_round_mode_16_64 0
		.amdhsa_float_denorm_mode_32 3
		.amdhsa_float_denorm_mode_16_64 3
		.amdhsa_fp16_overflow 0
		.amdhsa_memory_ordered 1
		.amdhsa_forward_progress 1
		.amdhsa_inst_pref_size 0
		.amdhsa_round_robin_scheduling 0
		.amdhsa_exception_fp_ieee_invalid_op 0
		.amdhsa_exception_fp_denorm_src 0
		.amdhsa_exception_fp_ieee_div_zero 0
		.amdhsa_exception_fp_ieee_overflow 0
		.amdhsa_exception_fp_ieee_underflow 0
		.amdhsa_exception_fp_ieee_inexact 0
		.amdhsa_exception_int_div_zero 0
	.end_amdhsa_kernel
	.section	.text._ZN7rocprim17ROCPRIM_400000_NS6detail17trampoline_kernelINS0_14default_configENS1_27scan_by_key_config_selectorIssEEZZNS1_16scan_by_key_implILNS1_25lookback_scan_determinismE0ELb1ES3_N6thrust23THRUST_200600_302600_NS6detail15normal_iteratorINS9_10device_ptrIsEEEESE_SE_sNS9_4plusIsEE19head_flag_predicatesEE10hipError_tPvRmT2_T3_T4_T5_mT6_T7_P12ihipStream_tbENKUlT_T0_E_clISt17integral_constantIbLb1EESX_IbLb0EEEEDaST_SU_EUlST_E_NS1_11comp_targetILNS1_3genE5ELNS1_11target_archE942ELNS1_3gpuE9ELNS1_3repE0EEENS1_30default_config_static_selectorELNS0_4arch9wavefront6targetE0EEEvT1_,"axG",@progbits,_ZN7rocprim17ROCPRIM_400000_NS6detail17trampoline_kernelINS0_14default_configENS1_27scan_by_key_config_selectorIssEEZZNS1_16scan_by_key_implILNS1_25lookback_scan_determinismE0ELb1ES3_N6thrust23THRUST_200600_302600_NS6detail15normal_iteratorINS9_10device_ptrIsEEEESE_SE_sNS9_4plusIsEE19head_flag_predicatesEE10hipError_tPvRmT2_T3_T4_T5_mT6_T7_P12ihipStream_tbENKUlT_T0_E_clISt17integral_constantIbLb1EESX_IbLb0EEEEDaST_SU_EUlST_E_NS1_11comp_targetILNS1_3genE5ELNS1_11target_archE942ELNS1_3gpuE9ELNS1_3repE0EEENS1_30default_config_static_selectorELNS0_4arch9wavefront6targetE0EEEvT1_,comdat
.Lfunc_end877:
	.size	_ZN7rocprim17ROCPRIM_400000_NS6detail17trampoline_kernelINS0_14default_configENS1_27scan_by_key_config_selectorIssEEZZNS1_16scan_by_key_implILNS1_25lookback_scan_determinismE0ELb1ES3_N6thrust23THRUST_200600_302600_NS6detail15normal_iteratorINS9_10device_ptrIsEEEESE_SE_sNS9_4plusIsEE19head_flag_predicatesEE10hipError_tPvRmT2_T3_T4_T5_mT6_T7_P12ihipStream_tbENKUlT_T0_E_clISt17integral_constantIbLb1EESX_IbLb0EEEEDaST_SU_EUlST_E_NS1_11comp_targetILNS1_3genE5ELNS1_11target_archE942ELNS1_3gpuE9ELNS1_3repE0EEENS1_30default_config_static_selectorELNS0_4arch9wavefront6targetE0EEEvT1_, .Lfunc_end877-_ZN7rocprim17ROCPRIM_400000_NS6detail17trampoline_kernelINS0_14default_configENS1_27scan_by_key_config_selectorIssEEZZNS1_16scan_by_key_implILNS1_25lookback_scan_determinismE0ELb1ES3_N6thrust23THRUST_200600_302600_NS6detail15normal_iteratorINS9_10device_ptrIsEEEESE_SE_sNS9_4plusIsEE19head_flag_predicatesEE10hipError_tPvRmT2_T3_T4_T5_mT6_T7_P12ihipStream_tbENKUlT_T0_E_clISt17integral_constantIbLb1EESX_IbLb0EEEEDaST_SU_EUlST_E_NS1_11comp_targetILNS1_3genE5ELNS1_11target_archE942ELNS1_3gpuE9ELNS1_3repE0EEENS1_30default_config_static_selectorELNS0_4arch9wavefront6targetE0EEEvT1_
                                        ; -- End function
	.set _ZN7rocprim17ROCPRIM_400000_NS6detail17trampoline_kernelINS0_14default_configENS1_27scan_by_key_config_selectorIssEEZZNS1_16scan_by_key_implILNS1_25lookback_scan_determinismE0ELb1ES3_N6thrust23THRUST_200600_302600_NS6detail15normal_iteratorINS9_10device_ptrIsEEEESE_SE_sNS9_4plusIsEE19head_flag_predicatesEE10hipError_tPvRmT2_T3_T4_T5_mT6_T7_P12ihipStream_tbENKUlT_T0_E_clISt17integral_constantIbLb1EESX_IbLb0EEEEDaST_SU_EUlST_E_NS1_11comp_targetILNS1_3genE5ELNS1_11target_archE942ELNS1_3gpuE9ELNS1_3repE0EEENS1_30default_config_static_selectorELNS0_4arch9wavefront6targetE0EEEvT1_.num_vgpr, 0
	.set _ZN7rocprim17ROCPRIM_400000_NS6detail17trampoline_kernelINS0_14default_configENS1_27scan_by_key_config_selectorIssEEZZNS1_16scan_by_key_implILNS1_25lookback_scan_determinismE0ELb1ES3_N6thrust23THRUST_200600_302600_NS6detail15normal_iteratorINS9_10device_ptrIsEEEESE_SE_sNS9_4plusIsEE19head_flag_predicatesEE10hipError_tPvRmT2_T3_T4_T5_mT6_T7_P12ihipStream_tbENKUlT_T0_E_clISt17integral_constantIbLb1EESX_IbLb0EEEEDaST_SU_EUlST_E_NS1_11comp_targetILNS1_3genE5ELNS1_11target_archE942ELNS1_3gpuE9ELNS1_3repE0EEENS1_30default_config_static_selectorELNS0_4arch9wavefront6targetE0EEEvT1_.num_agpr, 0
	.set _ZN7rocprim17ROCPRIM_400000_NS6detail17trampoline_kernelINS0_14default_configENS1_27scan_by_key_config_selectorIssEEZZNS1_16scan_by_key_implILNS1_25lookback_scan_determinismE0ELb1ES3_N6thrust23THRUST_200600_302600_NS6detail15normal_iteratorINS9_10device_ptrIsEEEESE_SE_sNS9_4plusIsEE19head_flag_predicatesEE10hipError_tPvRmT2_T3_T4_T5_mT6_T7_P12ihipStream_tbENKUlT_T0_E_clISt17integral_constantIbLb1EESX_IbLb0EEEEDaST_SU_EUlST_E_NS1_11comp_targetILNS1_3genE5ELNS1_11target_archE942ELNS1_3gpuE9ELNS1_3repE0EEENS1_30default_config_static_selectorELNS0_4arch9wavefront6targetE0EEEvT1_.numbered_sgpr, 0
	.set _ZN7rocprim17ROCPRIM_400000_NS6detail17trampoline_kernelINS0_14default_configENS1_27scan_by_key_config_selectorIssEEZZNS1_16scan_by_key_implILNS1_25lookback_scan_determinismE0ELb1ES3_N6thrust23THRUST_200600_302600_NS6detail15normal_iteratorINS9_10device_ptrIsEEEESE_SE_sNS9_4plusIsEE19head_flag_predicatesEE10hipError_tPvRmT2_T3_T4_T5_mT6_T7_P12ihipStream_tbENKUlT_T0_E_clISt17integral_constantIbLb1EESX_IbLb0EEEEDaST_SU_EUlST_E_NS1_11comp_targetILNS1_3genE5ELNS1_11target_archE942ELNS1_3gpuE9ELNS1_3repE0EEENS1_30default_config_static_selectorELNS0_4arch9wavefront6targetE0EEEvT1_.num_named_barrier, 0
	.set _ZN7rocprim17ROCPRIM_400000_NS6detail17trampoline_kernelINS0_14default_configENS1_27scan_by_key_config_selectorIssEEZZNS1_16scan_by_key_implILNS1_25lookback_scan_determinismE0ELb1ES3_N6thrust23THRUST_200600_302600_NS6detail15normal_iteratorINS9_10device_ptrIsEEEESE_SE_sNS9_4plusIsEE19head_flag_predicatesEE10hipError_tPvRmT2_T3_T4_T5_mT6_T7_P12ihipStream_tbENKUlT_T0_E_clISt17integral_constantIbLb1EESX_IbLb0EEEEDaST_SU_EUlST_E_NS1_11comp_targetILNS1_3genE5ELNS1_11target_archE942ELNS1_3gpuE9ELNS1_3repE0EEENS1_30default_config_static_selectorELNS0_4arch9wavefront6targetE0EEEvT1_.private_seg_size, 0
	.set _ZN7rocprim17ROCPRIM_400000_NS6detail17trampoline_kernelINS0_14default_configENS1_27scan_by_key_config_selectorIssEEZZNS1_16scan_by_key_implILNS1_25lookback_scan_determinismE0ELb1ES3_N6thrust23THRUST_200600_302600_NS6detail15normal_iteratorINS9_10device_ptrIsEEEESE_SE_sNS9_4plusIsEE19head_flag_predicatesEE10hipError_tPvRmT2_T3_T4_T5_mT6_T7_P12ihipStream_tbENKUlT_T0_E_clISt17integral_constantIbLb1EESX_IbLb0EEEEDaST_SU_EUlST_E_NS1_11comp_targetILNS1_3genE5ELNS1_11target_archE942ELNS1_3gpuE9ELNS1_3repE0EEENS1_30default_config_static_selectorELNS0_4arch9wavefront6targetE0EEEvT1_.uses_vcc, 0
	.set _ZN7rocprim17ROCPRIM_400000_NS6detail17trampoline_kernelINS0_14default_configENS1_27scan_by_key_config_selectorIssEEZZNS1_16scan_by_key_implILNS1_25lookback_scan_determinismE0ELb1ES3_N6thrust23THRUST_200600_302600_NS6detail15normal_iteratorINS9_10device_ptrIsEEEESE_SE_sNS9_4plusIsEE19head_flag_predicatesEE10hipError_tPvRmT2_T3_T4_T5_mT6_T7_P12ihipStream_tbENKUlT_T0_E_clISt17integral_constantIbLb1EESX_IbLb0EEEEDaST_SU_EUlST_E_NS1_11comp_targetILNS1_3genE5ELNS1_11target_archE942ELNS1_3gpuE9ELNS1_3repE0EEENS1_30default_config_static_selectorELNS0_4arch9wavefront6targetE0EEEvT1_.uses_flat_scratch, 0
	.set _ZN7rocprim17ROCPRIM_400000_NS6detail17trampoline_kernelINS0_14default_configENS1_27scan_by_key_config_selectorIssEEZZNS1_16scan_by_key_implILNS1_25lookback_scan_determinismE0ELb1ES3_N6thrust23THRUST_200600_302600_NS6detail15normal_iteratorINS9_10device_ptrIsEEEESE_SE_sNS9_4plusIsEE19head_flag_predicatesEE10hipError_tPvRmT2_T3_T4_T5_mT6_T7_P12ihipStream_tbENKUlT_T0_E_clISt17integral_constantIbLb1EESX_IbLb0EEEEDaST_SU_EUlST_E_NS1_11comp_targetILNS1_3genE5ELNS1_11target_archE942ELNS1_3gpuE9ELNS1_3repE0EEENS1_30default_config_static_selectorELNS0_4arch9wavefront6targetE0EEEvT1_.has_dyn_sized_stack, 0
	.set _ZN7rocprim17ROCPRIM_400000_NS6detail17trampoline_kernelINS0_14default_configENS1_27scan_by_key_config_selectorIssEEZZNS1_16scan_by_key_implILNS1_25lookback_scan_determinismE0ELb1ES3_N6thrust23THRUST_200600_302600_NS6detail15normal_iteratorINS9_10device_ptrIsEEEESE_SE_sNS9_4plusIsEE19head_flag_predicatesEE10hipError_tPvRmT2_T3_T4_T5_mT6_T7_P12ihipStream_tbENKUlT_T0_E_clISt17integral_constantIbLb1EESX_IbLb0EEEEDaST_SU_EUlST_E_NS1_11comp_targetILNS1_3genE5ELNS1_11target_archE942ELNS1_3gpuE9ELNS1_3repE0EEENS1_30default_config_static_selectorELNS0_4arch9wavefront6targetE0EEEvT1_.has_recursion, 0
	.set _ZN7rocprim17ROCPRIM_400000_NS6detail17trampoline_kernelINS0_14default_configENS1_27scan_by_key_config_selectorIssEEZZNS1_16scan_by_key_implILNS1_25lookback_scan_determinismE0ELb1ES3_N6thrust23THRUST_200600_302600_NS6detail15normal_iteratorINS9_10device_ptrIsEEEESE_SE_sNS9_4plusIsEE19head_flag_predicatesEE10hipError_tPvRmT2_T3_T4_T5_mT6_T7_P12ihipStream_tbENKUlT_T0_E_clISt17integral_constantIbLb1EESX_IbLb0EEEEDaST_SU_EUlST_E_NS1_11comp_targetILNS1_3genE5ELNS1_11target_archE942ELNS1_3gpuE9ELNS1_3repE0EEENS1_30default_config_static_selectorELNS0_4arch9wavefront6targetE0EEEvT1_.has_indirect_call, 0
	.section	.AMDGPU.csdata,"",@progbits
; Kernel info:
; codeLenInByte = 0
; TotalNumSgprs: 0
; NumVgprs: 0
; ScratchSize: 0
; MemoryBound: 0
; FloatMode: 240
; IeeeMode: 1
; LDSByteSize: 0 bytes/workgroup (compile time only)
; SGPRBlocks: 0
; VGPRBlocks: 0
; NumSGPRsForWavesPerEU: 1
; NumVGPRsForWavesPerEU: 1
; NamedBarCnt: 0
; Occupancy: 16
; WaveLimiterHint : 0
; COMPUTE_PGM_RSRC2:SCRATCH_EN: 0
; COMPUTE_PGM_RSRC2:USER_SGPR: 2
; COMPUTE_PGM_RSRC2:TRAP_HANDLER: 0
; COMPUTE_PGM_RSRC2:TGID_X_EN: 1
; COMPUTE_PGM_RSRC2:TGID_Y_EN: 0
; COMPUTE_PGM_RSRC2:TGID_Z_EN: 0
; COMPUTE_PGM_RSRC2:TIDIG_COMP_CNT: 0
	.section	.text._ZN7rocprim17ROCPRIM_400000_NS6detail17trampoline_kernelINS0_14default_configENS1_27scan_by_key_config_selectorIssEEZZNS1_16scan_by_key_implILNS1_25lookback_scan_determinismE0ELb1ES3_N6thrust23THRUST_200600_302600_NS6detail15normal_iteratorINS9_10device_ptrIsEEEESE_SE_sNS9_4plusIsEE19head_flag_predicatesEE10hipError_tPvRmT2_T3_T4_T5_mT6_T7_P12ihipStream_tbENKUlT_T0_E_clISt17integral_constantIbLb1EESX_IbLb0EEEEDaST_SU_EUlST_E_NS1_11comp_targetILNS1_3genE4ELNS1_11target_archE910ELNS1_3gpuE8ELNS1_3repE0EEENS1_30default_config_static_selectorELNS0_4arch9wavefront6targetE0EEEvT1_,"axG",@progbits,_ZN7rocprim17ROCPRIM_400000_NS6detail17trampoline_kernelINS0_14default_configENS1_27scan_by_key_config_selectorIssEEZZNS1_16scan_by_key_implILNS1_25lookback_scan_determinismE0ELb1ES3_N6thrust23THRUST_200600_302600_NS6detail15normal_iteratorINS9_10device_ptrIsEEEESE_SE_sNS9_4plusIsEE19head_flag_predicatesEE10hipError_tPvRmT2_T3_T4_T5_mT6_T7_P12ihipStream_tbENKUlT_T0_E_clISt17integral_constantIbLb1EESX_IbLb0EEEEDaST_SU_EUlST_E_NS1_11comp_targetILNS1_3genE4ELNS1_11target_archE910ELNS1_3gpuE8ELNS1_3repE0EEENS1_30default_config_static_selectorELNS0_4arch9wavefront6targetE0EEEvT1_,comdat
	.protected	_ZN7rocprim17ROCPRIM_400000_NS6detail17trampoline_kernelINS0_14default_configENS1_27scan_by_key_config_selectorIssEEZZNS1_16scan_by_key_implILNS1_25lookback_scan_determinismE0ELb1ES3_N6thrust23THRUST_200600_302600_NS6detail15normal_iteratorINS9_10device_ptrIsEEEESE_SE_sNS9_4plusIsEE19head_flag_predicatesEE10hipError_tPvRmT2_T3_T4_T5_mT6_T7_P12ihipStream_tbENKUlT_T0_E_clISt17integral_constantIbLb1EESX_IbLb0EEEEDaST_SU_EUlST_E_NS1_11comp_targetILNS1_3genE4ELNS1_11target_archE910ELNS1_3gpuE8ELNS1_3repE0EEENS1_30default_config_static_selectorELNS0_4arch9wavefront6targetE0EEEvT1_ ; -- Begin function _ZN7rocprim17ROCPRIM_400000_NS6detail17trampoline_kernelINS0_14default_configENS1_27scan_by_key_config_selectorIssEEZZNS1_16scan_by_key_implILNS1_25lookback_scan_determinismE0ELb1ES3_N6thrust23THRUST_200600_302600_NS6detail15normal_iteratorINS9_10device_ptrIsEEEESE_SE_sNS9_4plusIsEE19head_flag_predicatesEE10hipError_tPvRmT2_T3_T4_T5_mT6_T7_P12ihipStream_tbENKUlT_T0_E_clISt17integral_constantIbLb1EESX_IbLb0EEEEDaST_SU_EUlST_E_NS1_11comp_targetILNS1_3genE4ELNS1_11target_archE910ELNS1_3gpuE8ELNS1_3repE0EEENS1_30default_config_static_selectorELNS0_4arch9wavefront6targetE0EEEvT1_
	.globl	_ZN7rocprim17ROCPRIM_400000_NS6detail17trampoline_kernelINS0_14default_configENS1_27scan_by_key_config_selectorIssEEZZNS1_16scan_by_key_implILNS1_25lookback_scan_determinismE0ELb1ES3_N6thrust23THRUST_200600_302600_NS6detail15normal_iteratorINS9_10device_ptrIsEEEESE_SE_sNS9_4plusIsEE19head_flag_predicatesEE10hipError_tPvRmT2_T3_T4_T5_mT6_T7_P12ihipStream_tbENKUlT_T0_E_clISt17integral_constantIbLb1EESX_IbLb0EEEEDaST_SU_EUlST_E_NS1_11comp_targetILNS1_3genE4ELNS1_11target_archE910ELNS1_3gpuE8ELNS1_3repE0EEENS1_30default_config_static_selectorELNS0_4arch9wavefront6targetE0EEEvT1_
	.p2align	8
	.type	_ZN7rocprim17ROCPRIM_400000_NS6detail17trampoline_kernelINS0_14default_configENS1_27scan_by_key_config_selectorIssEEZZNS1_16scan_by_key_implILNS1_25lookback_scan_determinismE0ELb1ES3_N6thrust23THRUST_200600_302600_NS6detail15normal_iteratorINS9_10device_ptrIsEEEESE_SE_sNS9_4plusIsEE19head_flag_predicatesEE10hipError_tPvRmT2_T3_T4_T5_mT6_T7_P12ihipStream_tbENKUlT_T0_E_clISt17integral_constantIbLb1EESX_IbLb0EEEEDaST_SU_EUlST_E_NS1_11comp_targetILNS1_3genE4ELNS1_11target_archE910ELNS1_3gpuE8ELNS1_3repE0EEENS1_30default_config_static_selectorELNS0_4arch9wavefront6targetE0EEEvT1_,@function
_ZN7rocprim17ROCPRIM_400000_NS6detail17trampoline_kernelINS0_14default_configENS1_27scan_by_key_config_selectorIssEEZZNS1_16scan_by_key_implILNS1_25lookback_scan_determinismE0ELb1ES3_N6thrust23THRUST_200600_302600_NS6detail15normal_iteratorINS9_10device_ptrIsEEEESE_SE_sNS9_4plusIsEE19head_flag_predicatesEE10hipError_tPvRmT2_T3_T4_T5_mT6_T7_P12ihipStream_tbENKUlT_T0_E_clISt17integral_constantIbLb1EESX_IbLb0EEEEDaST_SU_EUlST_E_NS1_11comp_targetILNS1_3genE4ELNS1_11target_archE910ELNS1_3gpuE8ELNS1_3repE0EEENS1_30default_config_static_selectorELNS0_4arch9wavefront6targetE0EEEvT1_: ; @_ZN7rocprim17ROCPRIM_400000_NS6detail17trampoline_kernelINS0_14default_configENS1_27scan_by_key_config_selectorIssEEZZNS1_16scan_by_key_implILNS1_25lookback_scan_determinismE0ELb1ES3_N6thrust23THRUST_200600_302600_NS6detail15normal_iteratorINS9_10device_ptrIsEEEESE_SE_sNS9_4plusIsEE19head_flag_predicatesEE10hipError_tPvRmT2_T3_T4_T5_mT6_T7_P12ihipStream_tbENKUlT_T0_E_clISt17integral_constantIbLb1EESX_IbLb0EEEEDaST_SU_EUlST_E_NS1_11comp_targetILNS1_3genE4ELNS1_11target_archE910ELNS1_3gpuE8ELNS1_3repE0EEENS1_30default_config_static_selectorELNS0_4arch9wavefront6targetE0EEEvT1_
; %bb.0:
	.section	.rodata,"a",@progbits
	.p2align	6, 0x0
	.amdhsa_kernel _ZN7rocprim17ROCPRIM_400000_NS6detail17trampoline_kernelINS0_14default_configENS1_27scan_by_key_config_selectorIssEEZZNS1_16scan_by_key_implILNS1_25lookback_scan_determinismE0ELb1ES3_N6thrust23THRUST_200600_302600_NS6detail15normal_iteratorINS9_10device_ptrIsEEEESE_SE_sNS9_4plusIsEE19head_flag_predicatesEE10hipError_tPvRmT2_T3_T4_T5_mT6_T7_P12ihipStream_tbENKUlT_T0_E_clISt17integral_constantIbLb1EESX_IbLb0EEEEDaST_SU_EUlST_E_NS1_11comp_targetILNS1_3genE4ELNS1_11target_archE910ELNS1_3gpuE8ELNS1_3repE0EEENS1_30default_config_static_selectorELNS0_4arch9wavefront6targetE0EEEvT1_
		.amdhsa_group_segment_fixed_size 0
		.amdhsa_private_segment_fixed_size 0
		.amdhsa_kernarg_size 112
		.amdhsa_user_sgpr_count 2
		.amdhsa_user_sgpr_dispatch_ptr 0
		.amdhsa_user_sgpr_queue_ptr 0
		.amdhsa_user_sgpr_kernarg_segment_ptr 1
		.amdhsa_user_sgpr_dispatch_id 0
		.amdhsa_user_sgpr_kernarg_preload_length 0
		.amdhsa_user_sgpr_kernarg_preload_offset 0
		.amdhsa_user_sgpr_private_segment_size 0
		.amdhsa_wavefront_size32 1
		.amdhsa_uses_dynamic_stack 0
		.amdhsa_enable_private_segment 0
		.amdhsa_system_sgpr_workgroup_id_x 1
		.amdhsa_system_sgpr_workgroup_id_y 0
		.amdhsa_system_sgpr_workgroup_id_z 0
		.amdhsa_system_sgpr_workgroup_info 0
		.amdhsa_system_vgpr_workitem_id 0
		.amdhsa_next_free_vgpr 1
		.amdhsa_next_free_sgpr 1
		.amdhsa_named_barrier_count 0
		.amdhsa_reserve_vcc 0
		.amdhsa_float_round_mode_32 0
		.amdhsa_float_round_mode_16_64 0
		.amdhsa_float_denorm_mode_32 3
		.amdhsa_float_denorm_mode_16_64 3
		.amdhsa_fp16_overflow 0
		.amdhsa_memory_ordered 1
		.amdhsa_forward_progress 1
		.amdhsa_inst_pref_size 0
		.amdhsa_round_robin_scheduling 0
		.amdhsa_exception_fp_ieee_invalid_op 0
		.amdhsa_exception_fp_denorm_src 0
		.amdhsa_exception_fp_ieee_div_zero 0
		.amdhsa_exception_fp_ieee_overflow 0
		.amdhsa_exception_fp_ieee_underflow 0
		.amdhsa_exception_fp_ieee_inexact 0
		.amdhsa_exception_int_div_zero 0
	.end_amdhsa_kernel
	.section	.text._ZN7rocprim17ROCPRIM_400000_NS6detail17trampoline_kernelINS0_14default_configENS1_27scan_by_key_config_selectorIssEEZZNS1_16scan_by_key_implILNS1_25lookback_scan_determinismE0ELb1ES3_N6thrust23THRUST_200600_302600_NS6detail15normal_iteratorINS9_10device_ptrIsEEEESE_SE_sNS9_4plusIsEE19head_flag_predicatesEE10hipError_tPvRmT2_T3_T4_T5_mT6_T7_P12ihipStream_tbENKUlT_T0_E_clISt17integral_constantIbLb1EESX_IbLb0EEEEDaST_SU_EUlST_E_NS1_11comp_targetILNS1_3genE4ELNS1_11target_archE910ELNS1_3gpuE8ELNS1_3repE0EEENS1_30default_config_static_selectorELNS0_4arch9wavefront6targetE0EEEvT1_,"axG",@progbits,_ZN7rocprim17ROCPRIM_400000_NS6detail17trampoline_kernelINS0_14default_configENS1_27scan_by_key_config_selectorIssEEZZNS1_16scan_by_key_implILNS1_25lookback_scan_determinismE0ELb1ES3_N6thrust23THRUST_200600_302600_NS6detail15normal_iteratorINS9_10device_ptrIsEEEESE_SE_sNS9_4plusIsEE19head_flag_predicatesEE10hipError_tPvRmT2_T3_T4_T5_mT6_T7_P12ihipStream_tbENKUlT_T0_E_clISt17integral_constantIbLb1EESX_IbLb0EEEEDaST_SU_EUlST_E_NS1_11comp_targetILNS1_3genE4ELNS1_11target_archE910ELNS1_3gpuE8ELNS1_3repE0EEENS1_30default_config_static_selectorELNS0_4arch9wavefront6targetE0EEEvT1_,comdat
.Lfunc_end878:
	.size	_ZN7rocprim17ROCPRIM_400000_NS6detail17trampoline_kernelINS0_14default_configENS1_27scan_by_key_config_selectorIssEEZZNS1_16scan_by_key_implILNS1_25lookback_scan_determinismE0ELb1ES3_N6thrust23THRUST_200600_302600_NS6detail15normal_iteratorINS9_10device_ptrIsEEEESE_SE_sNS9_4plusIsEE19head_flag_predicatesEE10hipError_tPvRmT2_T3_T4_T5_mT6_T7_P12ihipStream_tbENKUlT_T0_E_clISt17integral_constantIbLb1EESX_IbLb0EEEEDaST_SU_EUlST_E_NS1_11comp_targetILNS1_3genE4ELNS1_11target_archE910ELNS1_3gpuE8ELNS1_3repE0EEENS1_30default_config_static_selectorELNS0_4arch9wavefront6targetE0EEEvT1_, .Lfunc_end878-_ZN7rocprim17ROCPRIM_400000_NS6detail17trampoline_kernelINS0_14default_configENS1_27scan_by_key_config_selectorIssEEZZNS1_16scan_by_key_implILNS1_25lookback_scan_determinismE0ELb1ES3_N6thrust23THRUST_200600_302600_NS6detail15normal_iteratorINS9_10device_ptrIsEEEESE_SE_sNS9_4plusIsEE19head_flag_predicatesEE10hipError_tPvRmT2_T3_T4_T5_mT6_T7_P12ihipStream_tbENKUlT_T0_E_clISt17integral_constantIbLb1EESX_IbLb0EEEEDaST_SU_EUlST_E_NS1_11comp_targetILNS1_3genE4ELNS1_11target_archE910ELNS1_3gpuE8ELNS1_3repE0EEENS1_30default_config_static_selectorELNS0_4arch9wavefront6targetE0EEEvT1_
                                        ; -- End function
	.set _ZN7rocprim17ROCPRIM_400000_NS6detail17trampoline_kernelINS0_14default_configENS1_27scan_by_key_config_selectorIssEEZZNS1_16scan_by_key_implILNS1_25lookback_scan_determinismE0ELb1ES3_N6thrust23THRUST_200600_302600_NS6detail15normal_iteratorINS9_10device_ptrIsEEEESE_SE_sNS9_4plusIsEE19head_flag_predicatesEE10hipError_tPvRmT2_T3_T4_T5_mT6_T7_P12ihipStream_tbENKUlT_T0_E_clISt17integral_constantIbLb1EESX_IbLb0EEEEDaST_SU_EUlST_E_NS1_11comp_targetILNS1_3genE4ELNS1_11target_archE910ELNS1_3gpuE8ELNS1_3repE0EEENS1_30default_config_static_selectorELNS0_4arch9wavefront6targetE0EEEvT1_.num_vgpr, 0
	.set _ZN7rocprim17ROCPRIM_400000_NS6detail17trampoline_kernelINS0_14default_configENS1_27scan_by_key_config_selectorIssEEZZNS1_16scan_by_key_implILNS1_25lookback_scan_determinismE0ELb1ES3_N6thrust23THRUST_200600_302600_NS6detail15normal_iteratorINS9_10device_ptrIsEEEESE_SE_sNS9_4plusIsEE19head_flag_predicatesEE10hipError_tPvRmT2_T3_T4_T5_mT6_T7_P12ihipStream_tbENKUlT_T0_E_clISt17integral_constantIbLb1EESX_IbLb0EEEEDaST_SU_EUlST_E_NS1_11comp_targetILNS1_3genE4ELNS1_11target_archE910ELNS1_3gpuE8ELNS1_3repE0EEENS1_30default_config_static_selectorELNS0_4arch9wavefront6targetE0EEEvT1_.num_agpr, 0
	.set _ZN7rocprim17ROCPRIM_400000_NS6detail17trampoline_kernelINS0_14default_configENS1_27scan_by_key_config_selectorIssEEZZNS1_16scan_by_key_implILNS1_25lookback_scan_determinismE0ELb1ES3_N6thrust23THRUST_200600_302600_NS6detail15normal_iteratorINS9_10device_ptrIsEEEESE_SE_sNS9_4plusIsEE19head_flag_predicatesEE10hipError_tPvRmT2_T3_T4_T5_mT6_T7_P12ihipStream_tbENKUlT_T0_E_clISt17integral_constantIbLb1EESX_IbLb0EEEEDaST_SU_EUlST_E_NS1_11comp_targetILNS1_3genE4ELNS1_11target_archE910ELNS1_3gpuE8ELNS1_3repE0EEENS1_30default_config_static_selectorELNS0_4arch9wavefront6targetE0EEEvT1_.numbered_sgpr, 0
	.set _ZN7rocprim17ROCPRIM_400000_NS6detail17trampoline_kernelINS0_14default_configENS1_27scan_by_key_config_selectorIssEEZZNS1_16scan_by_key_implILNS1_25lookback_scan_determinismE0ELb1ES3_N6thrust23THRUST_200600_302600_NS6detail15normal_iteratorINS9_10device_ptrIsEEEESE_SE_sNS9_4plusIsEE19head_flag_predicatesEE10hipError_tPvRmT2_T3_T4_T5_mT6_T7_P12ihipStream_tbENKUlT_T0_E_clISt17integral_constantIbLb1EESX_IbLb0EEEEDaST_SU_EUlST_E_NS1_11comp_targetILNS1_3genE4ELNS1_11target_archE910ELNS1_3gpuE8ELNS1_3repE0EEENS1_30default_config_static_selectorELNS0_4arch9wavefront6targetE0EEEvT1_.num_named_barrier, 0
	.set _ZN7rocprim17ROCPRIM_400000_NS6detail17trampoline_kernelINS0_14default_configENS1_27scan_by_key_config_selectorIssEEZZNS1_16scan_by_key_implILNS1_25lookback_scan_determinismE0ELb1ES3_N6thrust23THRUST_200600_302600_NS6detail15normal_iteratorINS9_10device_ptrIsEEEESE_SE_sNS9_4plusIsEE19head_flag_predicatesEE10hipError_tPvRmT2_T3_T4_T5_mT6_T7_P12ihipStream_tbENKUlT_T0_E_clISt17integral_constantIbLb1EESX_IbLb0EEEEDaST_SU_EUlST_E_NS1_11comp_targetILNS1_3genE4ELNS1_11target_archE910ELNS1_3gpuE8ELNS1_3repE0EEENS1_30default_config_static_selectorELNS0_4arch9wavefront6targetE0EEEvT1_.private_seg_size, 0
	.set _ZN7rocprim17ROCPRIM_400000_NS6detail17trampoline_kernelINS0_14default_configENS1_27scan_by_key_config_selectorIssEEZZNS1_16scan_by_key_implILNS1_25lookback_scan_determinismE0ELb1ES3_N6thrust23THRUST_200600_302600_NS6detail15normal_iteratorINS9_10device_ptrIsEEEESE_SE_sNS9_4plusIsEE19head_flag_predicatesEE10hipError_tPvRmT2_T3_T4_T5_mT6_T7_P12ihipStream_tbENKUlT_T0_E_clISt17integral_constantIbLb1EESX_IbLb0EEEEDaST_SU_EUlST_E_NS1_11comp_targetILNS1_3genE4ELNS1_11target_archE910ELNS1_3gpuE8ELNS1_3repE0EEENS1_30default_config_static_selectorELNS0_4arch9wavefront6targetE0EEEvT1_.uses_vcc, 0
	.set _ZN7rocprim17ROCPRIM_400000_NS6detail17trampoline_kernelINS0_14default_configENS1_27scan_by_key_config_selectorIssEEZZNS1_16scan_by_key_implILNS1_25lookback_scan_determinismE0ELb1ES3_N6thrust23THRUST_200600_302600_NS6detail15normal_iteratorINS9_10device_ptrIsEEEESE_SE_sNS9_4plusIsEE19head_flag_predicatesEE10hipError_tPvRmT2_T3_T4_T5_mT6_T7_P12ihipStream_tbENKUlT_T0_E_clISt17integral_constantIbLb1EESX_IbLb0EEEEDaST_SU_EUlST_E_NS1_11comp_targetILNS1_3genE4ELNS1_11target_archE910ELNS1_3gpuE8ELNS1_3repE0EEENS1_30default_config_static_selectorELNS0_4arch9wavefront6targetE0EEEvT1_.uses_flat_scratch, 0
	.set _ZN7rocprim17ROCPRIM_400000_NS6detail17trampoline_kernelINS0_14default_configENS1_27scan_by_key_config_selectorIssEEZZNS1_16scan_by_key_implILNS1_25lookback_scan_determinismE0ELb1ES3_N6thrust23THRUST_200600_302600_NS6detail15normal_iteratorINS9_10device_ptrIsEEEESE_SE_sNS9_4plusIsEE19head_flag_predicatesEE10hipError_tPvRmT2_T3_T4_T5_mT6_T7_P12ihipStream_tbENKUlT_T0_E_clISt17integral_constantIbLb1EESX_IbLb0EEEEDaST_SU_EUlST_E_NS1_11comp_targetILNS1_3genE4ELNS1_11target_archE910ELNS1_3gpuE8ELNS1_3repE0EEENS1_30default_config_static_selectorELNS0_4arch9wavefront6targetE0EEEvT1_.has_dyn_sized_stack, 0
	.set _ZN7rocprim17ROCPRIM_400000_NS6detail17trampoline_kernelINS0_14default_configENS1_27scan_by_key_config_selectorIssEEZZNS1_16scan_by_key_implILNS1_25lookback_scan_determinismE0ELb1ES3_N6thrust23THRUST_200600_302600_NS6detail15normal_iteratorINS9_10device_ptrIsEEEESE_SE_sNS9_4plusIsEE19head_flag_predicatesEE10hipError_tPvRmT2_T3_T4_T5_mT6_T7_P12ihipStream_tbENKUlT_T0_E_clISt17integral_constantIbLb1EESX_IbLb0EEEEDaST_SU_EUlST_E_NS1_11comp_targetILNS1_3genE4ELNS1_11target_archE910ELNS1_3gpuE8ELNS1_3repE0EEENS1_30default_config_static_selectorELNS0_4arch9wavefront6targetE0EEEvT1_.has_recursion, 0
	.set _ZN7rocprim17ROCPRIM_400000_NS6detail17trampoline_kernelINS0_14default_configENS1_27scan_by_key_config_selectorIssEEZZNS1_16scan_by_key_implILNS1_25lookback_scan_determinismE0ELb1ES3_N6thrust23THRUST_200600_302600_NS6detail15normal_iteratorINS9_10device_ptrIsEEEESE_SE_sNS9_4plusIsEE19head_flag_predicatesEE10hipError_tPvRmT2_T3_T4_T5_mT6_T7_P12ihipStream_tbENKUlT_T0_E_clISt17integral_constantIbLb1EESX_IbLb0EEEEDaST_SU_EUlST_E_NS1_11comp_targetILNS1_3genE4ELNS1_11target_archE910ELNS1_3gpuE8ELNS1_3repE0EEENS1_30default_config_static_selectorELNS0_4arch9wavefront6targetE0EEEvT1_.has_indirect_call, 0
	.section	.AMDGPU.csdata,"",@progbits
; Kernel info:
; codeLenInByte = 0
; TotalNumSgprs: 0
; NumVgprs: 0
; ScratchSize: 0
; MemoryBound: 0
; FloatMode: 240
; IeeeMode: 1
; LDSByteSize: 0 bytes/workgroup (compile time only)
; SGPRBlocks: 0
; VGPRBlocks: 0
; NumSGPRsForWavesPerEU: 1
; NumVGPRsForWavesPerEU: 1
; NamedBarCnt: 0
; Occupancy: 16
; WaveLimiterHint : 0
; COMPUTE_PGM_RSRC2:SCRATCH_EN: 0
; COMPUTE_PGM_RSRC2:USER_SGPR: 2
; COMPUTE_PGM_RSRC2:TRAP_HANDLER: 0
; COMPUTE_PGM_RSRC2:TGID_X_EN: 1
; COMPUTE_PGM_RSRC2:TGID_Y_EN: 0
; COMPUTE_PGM_RSRC2:TGID_Z_EN: 0
; COMPUTE_PGM_RSRC2:TIDIG_COMP_CNT: 0
	.section	.text._ZN7rocprim17ROCPRIM_400000_NS6detail17trampoline_kernelINS0_14default_configENS1_27scan_by_key_config_selectorIssEEZZNS1_16scan_by_key_implILNS1_25lookback_scan_determinismE0ELb1ES3_N6thrust23THRUST_200600_302600_NS6detail15normal_iteratorINS9_10device_ptrIsEEEESE_SE_sNS9_4plusIsEE19head_flag_predicatesEE10hipError_tPvRmT2_T3_T4_T5_mT6_T7_P12ihipStream_tbENKUlT_T0_E_clISt17integral_constantIbLb1EESX_IbLb0EEEEDaST_SU_EUlST_E_NS1_11comp_targetILNS1_3genE3ELNS1_11target_archE908ELNS1_3gpuE7ELNS1_3repE0EEENS1_30default_config_static_selectorELNS0_4arch9wavefront6targetE0EEEvT1_,"axG",@progbits,_ZN7rocprim17ROCPRIM_400000_NS6detail17trampoline_kernelINS0_14default_configENS1_27scan_by_key_config_selectorIssEEZZNS1_16scan_by_key_implILNS1_25lookback_scan_determinismE0ELb1ES3_N6thrust23THRUST_200600_302600_NS6detail15normal_iteratorINS9_10device_ptrIsEEEESE_SE_sNS9_4plusIsEE19head_flag_predicatesEE10hipError_tPvRmT2_T3_T4_T5_mT6_T7_P12ihipStream_tbENKUlT_T0_E_clISt17integral_constantIbLb1EESX_IbLb0EEEEDaST_SU_EUlST_E_NS1_11comp_targetILNS1_3genE3ELNS1_11target_archE908ELNS1_3gpuE7ELNS1_3repE0EEENS1_30default_config_static_selectorELNS0_4arch9wavefront6targetE0EEEvT1_,comdat
	.protected	_ZN7rocprim17ROCPRIM_400000_NS6detail17trampoline_kernelINS0_14default_configENS1_27scan_by_key_config_selectorIssEEZZNS1_16scan_by_key_implILNS1_25lookback_scan_determinismE0ELb1ES3_N6thrust23THRUST_200600_302600_NS6detail15normal_iteratorINS9_10device_ptrIsEEEESE_SE_sNS9_4plusIsEE19head_flag_predicatesEE10hipError_tPvRmT2_T3_T4_T5_mT6_T7_P12ihipStream_tbENKUlT_T0_E_clISt17integral_constantIbLb1EESX_IbLb0EEEEDaST_SU_EUlST_E_NS1_11comp_targetILNS1_3genE3ELNS1_11target_archE908ELNS1_3gpuE7ELNS1_3repE0EEENS1_30default_config_static_selectorELNS0_4arch9wavefront6targetE0EEEvT1_ ; -- Begin function _ZN7rocprim17ROCPRIM_400000_NS6detail17trampoline_kernelINS0_14default_configENS1_27scan_by_key_config_selectorIssEEZZNS1_16scan_by_key_implILNS1_25lookback_scan_determinismE0ELb1ES3_N6thrust23THRUST_200600_302600_NS6detail15normal_iteratorINS9_10device_ptrIsEEEESE_SE_sNS9_4plusIsEE19head_flag_predicatesEE10hipError_tPvRmT2_T3_T4_T5_mT6_T7_P12ihipStream_tbENKUlT_T0_E_clISt17integral_constantIbLb1EESX_IbLb0EEEEDaST_SU_EUlST_E_NS1_11comp_targetILNS1_3genE3ELNS1_11target_archE908ELNS1_3gpuE7ELNS1_3repE0EEENS1_30default_config_static_selectorELNS0_4arch9wavefront6targetE0EEEvT1_
	.globl	_ZN7rocprim17ROCPRIM_400000_NS6detail17trampoline_kernelINS0_14default_configENS1_27scan_by_key_config_selectorIssEEZZNS1_16scan_by_key_implILNS1_25lookback_scan_determinismE0ELb1ES3_N6thrust23THRUST_200600_302600_NS6detail15normal_iteratorINS9_10device_ptrIsEEEESE_SE_sNS9_4plusIsEE19head_flag_predicatesEE10hipError_tPvRmT2_T3_T4_T5_mT6_T7_P12ihipStream_tbENKUlT_T0_E_clISt17integral_constantIbLb1EESX_IbLb0EEEEDaST_SU_EUlST_E_NS1_11comp_targetILNS1_3genE3ELNS1_11target_archE908ELNS1_3gpuE7ELNS1_3repE0EEENS1_30default_config_static_selectorELNS0_4arch9wavefront6targetE0EEEvT1_
	.p2align	8
	.type	_ZN7rocprim17ROCPRIM_400000_NS6detail17trampoline_kernelINS0_14default_configENS1_27scan_by_key_config_selectorIssEEZZNS1_16scan_by_key_implILNS1_25lookback_scan_determinismE0ELb1ES3_N6thrust23THRUST_200600_302600_NS6detail15normal_iteratorINS9_10device_ptrIsEEEESE_SE_sNS9_4plusIsEE19head_flag_predicatesEE10hipError_tPvRmT2_T3_T4_T5_mT6_T7_P12ihipStream_tbENKUlT_T0_E_clISt17integral_constantIbLb1EESX_IbLb0EEEEDaST_SU_EUlST_E_NS1_11comp_targetILNS1_3genE3ELNS1_11target_archE908ELNS1_3gpuE7ELNS1_3repE0EEENS1_30default_config_static_selectorELNS0_4arch9wavefront6targetE0EEEvT1_,@function
_ZN7rocprim17ROCPRIM_400000_NS6detail17trampoline_kernelINS0_14default_configENS1_27scan_by_key_config_selectorIssEEZZNS1_16scan_by_key_implILNS1_25lookback_scan_determinismE0ELb1ES3_N6thrust23THRUST_200600_302600_NS6detail15normal_iteratorINS9_10device_ptrIsEEEESE_SE_sNS9_4plusIsEE19head_flag_predicatesEE10hipError_tPvRmT2_T3_T4_T5_mT6_T7_P12ihipStream_tbENKUlT_T0_E_clISt17integral_constantIbLb1EESX_IbLb0EEEEDaST_SU_EUlST_E_NS1_11comp_targetILNS1_3genE3ELNS1_11target_archE908ELNS1_3gpuE7ELNS1_3repE0EEENS1_30default_config_static_selectorELNS0_4arch9wavefront6targetE0EEEvT1_: ; @_ZN7rocprim17ROCPRIM_400000_NS6detail17trampoline_kernelINS0_14default_configENS1_27scan_by_key_config_selectorIssEEZZNS1_16scan_by_key_implILNS1_25lookback_scan_determinismE0ELb1ES3_N6thrust23THRUST_200600_302600_NS6detail15normal_iteratorINS9_10device_ptrIsEEEESE_SE_sNS9_4plusIsEE19head_flag_predicatesEE10hipError_tPvRmT2_T3_T4_T5_mT6_T7_P12ihipStream_tbENKUlT_T0_E_clISt17integral_constantIbLb1EESX_IbLb0EEEEDaST_SU_EUlST_E_NS1_11comp_targetILNS1_3genE3ELNS1_11target_archE908ELNS1_3gpuE7ELNS1_3repE0EEENS1_30default_config_static_selectorELNS0_4arch9wavefront6targetE0EEEvT1_
; %bb.0:
	.section	.rodata,"a",@progbits
	.p2align	6, 0x0
	.amdhsa_kernel _ZN7rocprim17ROCPRIM_400000_NS6detail17trampoline_kernelINS0_14default_configENS1_27scan_by_key_config_selectorIssEEZZNS1_16scan_by_key_implILNS1_25lookback_scan_determinismE0ELb1ES3_N6thrust23THRUST_200600_302600_NS6detail15normal_iteratorINS9_10device_ptrIsEEEESE_SE_sNS9_4plusIsEE19head_flag_predicatesEE10hipError_tPvRmT2_T3_T4_T5_mT6_T7_P12ihipStream_tbENKUlT_T0_E_clISt17integral_constantIbLb1EESX_IbLb0EEEEDaST_SU_EUlST_E_NS1_11comp_targetILNS1_3genE3ELNS1_11target_archE908ELNS1_3gpuE7ELNS1_3repE0EEENS1_30default_config_static_selectorELNS0_4arch9wavefront6targetE0EEEvT1_
		.amdhsa_group_segment_fixed_size 0
		.amdhsa_private_segment_fixed_size 0
		.amdhsa_kernarg_size 112
		.amdhsa_user_sgpr_count 2
		.amdhsa_user_sgpr_dispatch_ptr 0
		.amdhsa_user_sgpr_queue_ptr 0
		.amdhsa_user_sgpr_kernarg_segment_ptr 1
		.amdhsa_user_sgpr_dispatch_id 0
		.amdhsa_user_sgpr_kernarg_preload_length 0
		.amdhsa_user_sgpr_kernarg_preload_offset 0
		.amdhsa_user_sgpr_private_segment_size 0
		.amdhsa_wavefront_size32 1
		.amdhsa_uses_dynamic_stack 0
		.amdhsa_enable_private_segment 0
		.amdhsa_system_sgpr_workgroup_id_x 1
		.amdhsa_system_sgpr_workgroup_id_y 0
		.amdhsa_system_sgpr_workgroup_id_z 0
		.amdhsa_system_sgpr_workgroup_info 0
		.amdhsa_system_vgpr_workitem_id 0
		.amdhsa_next_free_vgpr 1
		.amdhsa_next_free_sgpr 1
		.amdhsa_named_barrier_count 0
		.amdhsa_reserve_vcc 0
		.amdhsa_float_round_mode_32 0
		.amdhsa_float_round_mode_16_64 0
		.amdhsa_float_denorm_mode_32 3
		.amdhsa_float_denorm_mode_16_64 3
		.amdhsa_fp16_overflow 0
		.amdhsa_memory_ordered 1
		.amdhsa_forward_progress 1
		.amdhsa_inst_pref_size 0
		.amdhsa_round_robin_scheduling 0
		.amdhsa_exception_fp_ieee_invalid_op 0
		.amdhsa_exception_fp_denorm_src 0
		.amdhsa_exception_fp_ieee_div_zero 0
		.amdhsa_exception_fp_ieee_overflow 0
		.amdhsa_exception_fp_ieee_underflow 0
		.amdhsa_exception_fp_ieee_inexact 0
		.amdhsa_exception_int_div_zero 0
	.end_amdhsa_kernel
	.section	.text._ZN7rocprim17ROCPRIM_400000_NS6detail17trampoline_kernelINS0_14default_configENS1_27scan_by_key_config_selectorIssEEZZNS1_16scan_by_key_implILNS1_25lookback_scan_determinismE0ELb1ES3_N6thrust23THRUST_200600_302600_NS6detail15normal_iteratorINS9_10device_ptrIsEEEESE_SE_sNS9_4plusIsEE19head_flag_predicatesEE10hipError_tPvRmT2_T3_T4_T5_mT6_T7_P12ihipStream_tbENKUlT_T0_E_clISt17integral_constantIbLb1EESX_IbLb0EEEEDaST_SU_EUlST_E_NS1_11comp_targetILNS1_3genE3ELNS1_11target_archE908ELNS1_3gpuE7ELNS1_3repE0EEENS1_30default_config_static_selectorELNS0_4arch9wavefront6targetE0EEEvT1_,"axG",@progbits,_ZN7rocprim17ROCPRIM_400000_NS6detail17trampoline_kernelINS0_14default_configENS1_27scan_by_key_config_selectorIssEEZZNS1_16scan_by_key_implILNS1_25lookback_scan_determinismE0ELb1ES3_N6thrust23THRUST_200600_302600_NS6detail15normal_iteratorINS9_10device_ptrIsEEEESE_SE_sNS9_4plusIsEE19head_flag_predicatesEE10hipError_tPvRmT2_T3_T4_T5_mT6_T7_P12ihipStream_tbENKUlT_T0_E_clISt17integral_constantIbLb1EESX_IbLb0EEEEDaST_SU_EUlST_E_NS1_11comp_targetILNS1_3genE3ELNS1_11target_archE908ELNS1_3gpuE7ELNS1_3repE0EEENS1_30default_config_static_selectorELNS0_4arch9wavefront6targetE0EEEvT1_,comdat
.Lfunc_end879:
	.size	_ZN7rocprim17ROCPRIM_400000_NS6detail17trampoline_kernelINS0_14default_configENS1_27scan_by_key_config_selectorIssEEZZNS1_16scan_by_key_implILNS1_25lookback_scan_determinismE0ELb1ES3_N6thrust23THRUST_200600_302600_NS6detail15normal_iteratorINS9_10device_ptrIsEEEESE_SE_sNS9_4plusIsEE19head_flag_predicatesEE10hipError_tPvRmT2_T3_T4_T5_mT6_T7_P12ihipStream_tbENKUlT_T0_E_clISt17integral_constantIbLb1EESX_IbLb0EEEEDaST_SU_EUlST_E_NS1_11comp_targetILNS1_3genE3ELNS1_11target_archE908ELNS1_3gpuE7ELNS1_3repE0EEENS1_30default_config_static_selectorELNS0_4arch9wavefront6targetE0EEEvT1_, .Lfunc_end879-_ZN7rocprim17ROCPRIM_400000_NS6detail17trampoline_kernelINS0_14default_configENS1_27scan_by_key_config_selectorIssEEZZNS1_16scan_by_key_implILNS1_25lookback_scan_determinismE0ELb1ES3_N6thrust23THRUST_200600_302600_NS6detail15normal_iteratorINS9_10device_ptrIsEEEESE_SE_sNS9_4plusIsEE19head_flag_predicatesEE10hipError_tPvRmT2_T3_T4_T5_mT6_T7_P12ihipStream_tbENKUlT_T0_E_clISt17integral_constantIbLb1EESX_IbLb0EEEEDaST_SU_EUlST_E_NS1_11comp_targetILNS1_3genE3ELNS1_11target_archE908ELNS1_3gpuE7ELNS1_3repE0EEENS1_30default_config_static_selectorELNS0_4arch9wavefront6targetE0EEEvT1_
                                        ; -- End function
	.set _ZN7rocprim17ROCPRIM_400000_NS6detail17trampoline_kernelINS0_14default_configENS1_27scan_by_key_config_selectorIssEEZZNS1_16scan_by_key_implILNS1_25lookback_scan_determinismE0ELb1ES3_N6thrust23THRUST_200600_302600_NS6detail15normal_iteratorINS9_10device_ptrIsEEEESE_SE_sNS9_4plusIsEE19head_flag_predicatesEE10hipError_tPvRmT2_T3_T4_T5_mT6_T7_P12ihipStream_tbENKUlT_T0_E_clISt17integral_constantIbLb1EESX_IbLb0EEEEDaST_SU_EUlST_E_NS1_11comp_targetILNS1_3genE3ELNS1_11target_archE908ELNS1_3gpuE7ELNS1_3repE0EEENS1_30default_config_static_selectorELNS0_4arch9wavefront6targetE0EEEvT1_.num_vgpr, 0
	.set _ZN7rocprim17ROCPRIM_400000_NS6detail17trampoline_kernelINS0_14default_configENS1_27scan_by_key_config_selectorIssEEZZNS1_16scan_by_key_implILNS1_25lookback_scan_determinismE0ELb1ES3_N6thrust23THRUST_200600_302600_NS6detail15normal_iteratorINS9_10device_ptrIsEEEESE_SE_sNS9_4plusIsEE19head_flag_predicatesEE10hipError_tPvRmT2_T3_T4_T5_mT6_T7_P12ihipStream_tbENKUlT_T0_E_clISt17integral_constantIbLb1EESX_IbLb0EEEEDaST_SU_EUlST_E_NS1_11comp_targetILNS1_3genE3ELNS1_11target_archE908ELNS1_3gpuE7ELNS1_3repE0EEENS1_30default_config_static_selectorELNS0_4arch9wavefront6targetE0EEEvT1_.num_agpr, 0
	.set _ZN7rocprim17ROCPRIM_400000_NS6detail17trampoline_kernelINS0_14default_configENS1_27scan_by_key_config_selectorIssEEZZNS1_16scan_by_key_implILNS1_25lookback_scan_determinismE0ELb1ES3_N6thrust23THRUST_200600_302600_NS6detail15normal_iteratorINS9_10device_ptrIsEEEESE_SE_sNS9_4plusIsEE19head_flag_predicatesEE10hipError_tPvRmT2_T3_T4_T5_mT6_T7_P12ihipStream_tbENKUlT_T0_E_clISt17integral_constantIbLb1EESX_IbLb0EEEEDaST_SU_EUlST_E_NS1_11comp_targetILNS1_3genE3ELNS1_11target_archE908ELNS1_3gpuE7ELNS1_3repE0EEENS1_30default_config_static_selectorELNS0_4arch9wavefront6targetE0EEEvT1_.numbered_sgpr, 0
	.set _ZN7rocprim17ROCPRIM_400000_NS6detail17trampoline_kernelINS0_14default_configENS1_27scan_by_key_config_selectorIssEEZZNS1_16scan_by_key_implILNS1_25lookback_scan_determinismE0ELb1ES3_N6thrust23THRUST_200600_302600_NS6detail15normal_iteratorINS9_10device_ptrIsEEEESE_SE_sNS9_4plusIsEE19head_flag_predicatesEE10hipError_tPvRmT2_T3_T4_T5_mT6_T7_P12ihipStream_tbENKUlT_T0_E_clISt17integral_constantIbLb1EESX_IbLb0EEEEDaST_SU_EUlST_E_NS1_11comp_targetILNS1_3genE3ELNS1_11target_archE908ELNS1_3gpuE7ELNS1_3repE0EEENS1_30default_config_static_selectorELNS0_4arch9wavefront6targetE0EEEvT1_.num_named_barrier, 0
	.set _ZN7rocprim17ROCPRIM_400000_NS6detail17trampoline_kernelINS0_14default_configENS1_27scan_by_key_config_selectorIssEEZZNS1_16scan_by_key_implILNS1_25lookback_scan_determinismE0ELb1ES3_N6thrust23THRUST_200600_302600_NS6detail15normal_iteratorINS9_10device_ptrIsEEEESE_SE_sNS9_4plusIsEE19head_flag_predicatesEE10hipError_tPvRmT2_T3_T4_T5_mT6_T7_P12ihipStream_tbENKUlT_T0_E_clISt17integral_constantIbLb1EESX_IbLb0EEEEDaST_SU_EUlST_E_NS1_11comp_targetILNS1_3genE3ELNS1_11target_archE908ELNS1_3gpuE7ELNS1_3repE0EEENS1_30default_config_static_selectorELNS0_4arch9wavefront6targetE0EEEvT1_.private_seg_size, 0
	.set _ZN7rocprim17ROCPRIM_400000_NS6detail17trampoline_kernelINS0_14default_configENS1_27scan_by_key_config_selectorIssEEZZNS1_16scan_by_key_implILNS1_25lookback_scan_determinismE0ELb1ES3_N6thrust23THRUST_200600_302600_NS6detail15normal_iteratorINS9_10device_ptrIsEEEESE_SE_sNS9_4plusIsEE19head_flag_predicatesEE10hipError_tPvRmT2_T3_T4_T5_mT6_T7_P12ihipStream_tbENKUlT_T0_E_clISt17integral_constantIbLb1EESX_IbLb0EEEEDaST_SU_EUlST_E_NS1_11comp_targetILNS1_3genE3ELNS1_11target_archE908ELNS1_3gpuE7ELNS1_3repE0EEENS1_30default_config_static_selectorELNS0_4arch9wavefront6targetE0EEEvT1_.uses_vcc, 0
	.set _ZN7rocprim17ROCPRIM_400000_NS6detail17trampoline_kernelINS0_14default_configENS1_27scan_by_key_config_selectorIssEEZZNS1_16scan_by_key_implILNS1_25lookback_scan_determinismE0ELb1ES3_N6thrust23THRUST_200600_302600_NS6detail15normal_iteratorINS9_10device_ptrIsEEEESE_SE_sNS9_4plusIsEE19head_flag_predicatesEE10hipError_tPvRmT2_T3_T4_T5_mT6_T7_P12ihipStream_tbENKUlT_T0_E_clISt17integral_constantIbLb1EESX_IbLb0EEEEDaST_SU_EUlST_E_NS1_11comp_targetILNS1_3genE3ELNS1_11target_archE908ELNS1_3gpuE7ELNS1_3repE0EEENS1_30default_config_static_selectorELNS0_4arch9wavefront6targetE0EEEvT1_.uses_flat_scratch, 0
	.set _ZN7rocprim17ROCPRIM_400000_NS6detail17trampoline_kernelINS0_14default_configENS1_27scan_by_key_config_selectorIssEEZZNS1_16scan_by_key_implILNS1_25lookback_scan_determinismE0ELb1ES3_N6thrust23THRUST_200600_302600_NS6detail15normal_iteratorINS9_10device_ptrIsEEEESE_SE_sNS9_4plusIsEE19head_flag_predicatesEE10hipError_tPvRmT2_T3_T4_T5_mT6_T7_P12ihipStream_tbENKUlT_T0_E_clISt17integral_constantIbLb1EESX_IbLb0EEEEDaST_SU_EUlST_E_NS1_11comp_targetILNS1_3genE3ELNS1_11target_archE908ELNS1_3gpuE7ELNS1_3repE0EEENS1_30default_config_static_selectorELNS0_4arch9wavefront6targetE0EEEvT1_.has_dyn_sized_stack, 0
	.set _ZN7rocprim17ROCPRIM_400000_NS6detail17trampoline_kernelINS0_14default_configENS1_27scan_by_key_config_selectorIssEEZZNS1_16scan_by_key_implILNS1_25lookback_scan_determinismE0ELb1ES3_N6thrust23THRUST_200600_302600_NS6detail15normal_iteratorINS9_10device_ptrIsEEEESE_SE_sNS9_4plusIsEE19head_flag_predicatesEE10hipError_tPvRmT2_T3_T4_T5_mT6_T7_P12ihipStream_tbENKUlT_T0_E_clISt17integral_constantIbLb1EESX_IbLb0EEEEDaST_SU_EUlST_E_NS1_11comp_targetILNS1_3genE3ELNS1_11target_archE908ELNS1_3gpuE7ELNS1_3repE0EEENS1_30default_config_static_selectorELNS0_4arch9wavefront6targetE0EEEvT1_.has_recursion, 0
	.set _ZN7rocprim17ROCPRIM_400000_NS6detail17trampoline_kernelINS0_14default_configENS1_27scan_by_key_config_selectorIssEEZZNS1_16scan_by_key_implILNS1_25lookback_scan_determinismE0ELb1ES3_N6thrust23THRUST_200600_302600_NS6detail15normal_iteratorINS9_10device_ptrIsEEEESE_SE_sNS9_4plusIsEE19head_flag_predicatesEE10hipError_tPvRmT2_T3_T4_T5_mT6_T7_P12ihipStream_tbENKUlT_T0_E_clISt17integral_constantIbLb1EESX_IbLb0EEEEDaST_SU_EUlST_E_NS1_11comp_targetILNS1_3genE3ELNS1_11target_archE908ELNS1_3gpuE7ELNS1_3repE0EEENS1_30default_config_static_selectorELNS0_4arch9wavefront6targetE0EEEvT1_.has_indirect_call, 0
	.section	.AMDGPU.csdata,"",@progbits
; Kernel info:
; codeLenInByte = 0
; TotalNumSgprs: 0
; NumVgprs: 0
; ScratchSize: 0
; MemoryBound: 0
; FloatMode: 240
; IeeeMode: 1
; LDSByteSize: 0 bytes/workgroup (compile time only)
; SGPRBlocks: 0
; VGPRBlocks: 0
; NumSGPRsForWavesPerEU: 1
; NumVGPRsForWavesPerEU: 1
; NamedBarCnt: 0
; Occupancy: 16
; WaveLimiterHint : 0
; COMPUTE_PGM_RSRC2:SCRATCH_EN: 0
; COMPUTE_PGM_RSRC2:USER_SGPR: 2
; COMPUTE_PGM_RSRC2:TRAP_HANDLER: 0
; COMPUTE_PGM_RSRC2:TGID_X_EN: 1
; COMPUTE_PGM_RSRC2:TGID_Y_EN: 0
; COMPUTE_PGM_RSRC2:TGID_Z_EN: 0
; COMPUTE_PGM_RSRC2:TIDIG_COMP_CNT: 0
	.section	.text._ZN7rocprim17ROCPRIM_400000_NS6detail17trampoline_kernelINS0_14default_configENS1_27scan_by_key_config_selectorIssEEZZNS1_16scan_by_key_implILNS1_25lookback_scan_determinismE0ELb1ES3_N6thrust23THRUST_200600_302600_NS6detail15normal_iteratorINS9_10device_ptrIsEEEESE_SE_sNS9_4plusIsEE19head_flag_predicatesEE10hipError_tPvRmT2_T3_T4_T5_mT6_T7_P12ihipStream_tbENKUlT_T0_E_clISt17integral_constantIbLb1EESX_IbLb0EEEEDaST_SU_EUlST_E_NS1_11comp_targetILNS1_3genE2ELNS1_11target_archE906ELNS1_3gpuE6ELNS1_3repE0EEENS1_30default_config_static_selectorELNS0_4arch9wavefront6targetE0EEEvT1_,"axG",@progbits,_ZN7rocprim17ROCPRIM_400000_NS6detail17trampoline_kernelINS0_14default_configENS1_27scan_by_key_config_selectorIssEEZZNS1_16scan_by_key_implILNS1_25lookback_scan_determinismE0ELb1ES3_N6thrust23THRUST_200600_302600_NS6detail15normal_iteratorINS9_10device_ptrIsEEEESE_SE_sNS9_4plusIsEE19head_flag_predicatesEE10hipError_tPvRmT2_T3_T4_T5_mT6_T7_P12ihipStream_tbENKUlT_T0_E_clISt17integral_constantIbLb1EESX_IbLb0EEEEDaST_SU_EUlST_E_NS1_11comp_targetILNS1_3genE2ELNS1_11target_archE906ELNS1_3gpuE6ELNS1_3repE0EEENS1_30default_config_static_selectorELNS0_4arch9wavefront6targetE0EEEvT1_,comdat
	.protected	_ZN7rocprim17ROCPRIM_400000_NS6detail17trampoline_kernelINS0_14default_configENS1_27scan_by_key_config_selectorIssEEZZNS1_16scan_by_key_implILNS1_25lookback_scan_determinismE0ELb1ES3_N6thrust23THRUST_200600_302600_NS6detail15normal_iteratorINS9_10device_ptrIsEEEESE_SE_sNS9_4plusIsEE19head_flag_predicatesEE10hipError_tPvRmT2_T3_T4_T5_mT6_T7_P12ihipStream_tbENKUlT_T0_E_clISt17integral_constantIbLb1EESX_IbLb0EEEEDaST_SU_EUlST_E_NS1_11comp_targetILNS1_3genE2ELNS1_11target_archE906ELNS1_3gpuE6ELNS1_3repE0EEENS1_30default_config_static_selectorELNS0_4arch9wavefront6targetE0EEEvT1_ ; -- Begin function _ZN7rocprim17ROCPRIM_400000_NS6detail17trampoline_kernelINS0_14default_configENS1_27scan_by_key_config_selectorIssEEZZNS1_16scan_by_key_implILNS1_25lookback_scan_determinismE0ELb1ES3_N6thrust23THRUST_200600_302600_NS6detail15normal_iteratorINS9_10device_ptrIsEEEESE_SE_sNS9_4plusIsEE19head_flag_predicatesEE10hipError_tPvRmT2_T3_T4_T5_mT6_T7_P12ihipStream_tbENKUlT_T0_E_clISt17integral_constantIbLb1EESX_IbLb0EEEEDaST_SU_EUlST_E_NS1_11comp_targetILNS1_3genE2ELNS1_11target_archE906ELNS1_3gpuE6ELNS1_3repE0EEENS1_30default_config_static_selectorELNS0_4arch9wavefront6targetE0EEEvT1_
	.globl	_ZN7rocprim17ROCPRIM_400000_NS6detail17trampoline_kernelINS0_14default_configENS1_27scan_by_key_config_selectorIssEEZZNS1_16scan_by_key_implILNS1_25lookback_scan_determinismE0ELb1ES3_N6thrust23THRUST_200600_302600_NS6detail15normal_iteratorINS9_10device_ptrIsEEEESE_SE_sNS9_4plusIsEE19head_flag_predicatesEE10hipError_tPvRmT2_T3_T4_T5_mT6_T7_P12ihipStream_tbENKUlT_T0_E_clISt17integral_constantIbLb1EESX_IbLb0EEEEDaST_SU_EUlST_E_NS1_11comp_targetILNS1_3genE2ELNS1_11target_archE906ELNS1_3gpuE6ELNS1_3repE0EEENS1_30default_config_static_selectorELNS0_4arch9wavefront6targetE0EEEvT1_
	.p2align	8
	.type	_ZN7rocprim17ROCPRIM_400000_NS6detail17trampoline_kernelINS0_14default_configENS1_27scan_by_key_config_selectorIssEEZZNS1_16scan_by_key_implILNS1_25lookback_scan_determinismE0ELb1ES3_N6thrust23THRUST_200600_302600_NS6detail15normal_iteratorINS9_10device_ptrIsEEEESE_SE_sNS9_4plusIsEE19head_flag_predicatesEE10hipError_tPvRmT2_T3_T4_T5_mT6_T7_P12ihipStream_tbENKUlT_T0_E_clISt17integral_constantIbLb1EESX_IbLb0EEEEDaST_SU_EUlST_E_NS1_11comp_targetILNS1_3genE2ELNS1_11target_archE906ELNS1_3gpuE6ELNS1_3repE0EEENS1_30default_config_static_selectorELNS0_4arch9wavefront6targetE0EEEvT1_,@function
_ZN7rocprim17ROCPRIM_400000_NS6detail17trampoline_kernelINS0_14default_configENS1_27scan_by_key_config_selectorIssEEZZNS1_16scan_by_key_implILNS1_25lookback_scan_determinismE0ELb1ES3_N6thrust23THRUST_200600_302600_NS6detail15normal_iteratorINS9_10device_ptrIsEEEESE_SE_sNS9_4plusIsEE19head_flag_predicatesEE10hipError_tPvRmT2_T3_T4_T5_mT6_T7_P12ihipStream_tbENKUlT_T0_E_clISt17integral_constantIbLb1EESX_IbLb0EEEEDaST_SU_EUlST_E_NS1_11comp_targetILNS1_3genE2ELNS1_11target_archE906ELNS1_3gpuE6ELNS1_3repE0EEENS1_30default_config_static_selectorELNS0_4arch9wavefront6targetE0EEEvT1_: ; @_ZN7rocprim17ROCPRIM_400000_NS6detail17trampoline_kernelINS0_14default_configENS1_27scan_by_key_config_selectorIssEEZZNS1_16scan_by_key_implILNS1_25lookback_scan_determinismE0ELb1ES3_N6thrust23THRUST_200600_302600_NS6detail15normal_iteratorINS9_10device_ptrIsEEEESE_SE_sNS9_4plusIsEE19head_flag_predicatesEE10hipError_tPvRmT2_T3_T4_T5_mT6_T7_P12ihipStream_tbENKUlT_T0_E_clISt17integral_constantIbLb1EESX_IbLb0EEEEDaST_SU_EUlST_E_NS1_11comp_targetILNS1_3genE2ELNS1_11target_archE906ELNS1_3gpuE6ELNS1_3repE0EEENS1_30default_config_static_selectorELNS0_4arch9wavefront6targetE0EEEvT1_
; %bb.0:
	.section	.rodata,"a",@progbits
	.p2align	6, 0x0
	.amdhsa_kernel _ZN7rocprim17ROCPRIM_400000_NS6detail17trampoline_kernelINS0_14default_configENS1_27scan_by_key_config_selectorIssEEZZNS1_16scan_by_key_implILNS1_25lookback_scan_determinismE0ELb1ES3_N6thrust23THRUST_200600_302600_NS6detail15normal_iteratorINS9_10device_ptrIsEEEESE_SE_sNS9_4plusIsEE19head_flag_predicatesEE10hipError_tPvRmT2_T3_T4_T5_mT6_T7_P12ihipStream_tbENKUlT_T0_E_clISt17integral_constantIbLb1EESX_IbLb0EEEEDaST_SU_EUlST_E_NS1_11comp_targetILNS1_3genE2ELNS1_11target_archE906ELNS1_3gpuE6ELNS1_3repE0EEENS1_30default_config_static_selectorELNS0_4arch9wavefront6targetE0EEEvT1_
		.amdhsa_group_segment_fixed_size 0
		.amdhsa_private_segment_fixed_size 0
		.amdhsa_kernarg_size 112
		.amdhsa_user_sgpr_count 2
		.amdhsa_user_sgpr_dispatch_ptr 0
		.amdhsa_user_sgpr_queue_ptr 0
		.amdhsa_user_sgpr_kernarg_segment_ptr 1
		.amdhsa_user_sgpr_dispatch_id 0
		.amdhsa_user_sgpr_kernarg_preload_length 0
		.amdhsa_user_sgpr_kernarg_preload_offset 0
		.amdhsa_user_sgpr_private_segment_size 0
		.amdhsa_wavefront_size32 1
		.amdhsa_uses_dynamic_stack 0
		.amdhsa_enable_private_segment 0
		.amdhsa_system_sgpr_workgroup_id_x 1
		.amdhsa_system_sgpr_workgroup_id_y 0
		.amdhsa_system_sgpr_workgroup_id_z 0
		.amdhsa_system_sgpr_workgroup_info 0
		.amdhsa_system_vgpr_workitem_id 0
		.amdhsa_next_free_vgpr 1
		.amdhsa_next_free_sgpr 1
		.amdhsa_named_barrier_count 0
		.amdhsa_reserve_vcc 0
		.amdhsa_float_round_mode_32 0
		.amdhsa_float_round_mode_16_64 0
		.amdhsa_float_denorm_mode_32 3
		.amdhsa_float_denorm_mode_16_64 3
		.amdhsa_fp16_overflow 0
		.amdhsa_memory_ordered 1
		.amdhsa_forward_progress 1
		.amdhsa_inst_pref_size 0
		.amdhsa_round_robin_scheduling 0
		.amdhsa_exception_fp_ieee_invalid_op 0
		.amdhsa_exception_fp_denorm_src 0
		.amdhsa_exception_fp_ieee_div_zero 0
		.amdhsa_exception_fp_ieee_overflow 0
		.amdhsa_exception_fp_ieee_underflow 0
		.amdhsa_exception_fp_ieee_inexact 0
		.amdhsa_exception_int_div_zero 0
	.end_amdhsa_kernel
	.section	.text._ZN7rocprim17ROCPRIM_400000_NS6detail17trampoline_kernelINS0_14default_configENS1_27scan_by_key_config_selectorIssEEZZNS1_16scan_by_key_implILNS1_25lookback_scan_determinismE0ELb1ES3_N6thrust23THRUST_200600_302600_NS6detail15normal_iteratorINS9_10device_ptrIsEEEESE_SE_sNS9_4plusIsEE19head_flag_predicatesEE10hipError_tPvRmT2_T3_T4_T5_mT6_T7_P12ihipStream_tbENKUlT_T0_E_clISt17integral_constantIbLb1EESX_IbLb0EEEEDaST_SU_EUlST_E_NS1_11comp_targetILNS1_3genE2ELNS1_11target_archE906ELNS1_3gpuE6ELNS1_3repE0EEENS1_30default_config_static_selectorELNS0_4arch9wavefront6targetE0EEEvT1_,"axG",@progbits,_ZN7rocprim17ROCPRIM_400000_NS6detail17trampoline_kernelINS0_14default_configENS1_27scan_by_key_config_selectorIssEEZZNS1_16scan_by_key_implILNS1_25lookback_scan_determinismE0ELb1ES3_N6thrust23THRUST_200600_302600_NS6detail15normal_iteratorINS9_10device_ptrIsEEEESE_SE_sNS9_4plusIsEE19head_flag_predicatesEE10hipError_tPvRmT2_T3_T4_T5_mT6_T7_P12ihipStream_tbENKUlT_T0_E_clISt17integral_constantIbLb1EESX_IbLb0EEEEDaST_SU_EUlST_E_NS1_11comp_targetILNS1_3genE2ELNS1_11target_archE906ELNS1_3gpuE6ELNS1_3repE0EEENS1_30default_config_static_selectorELNS0_4arch9wavefront6targetE0EEEvT1_,comdat
.Lfunc_end880:
	.size	_ZN7rocprim17ROCPRIM_400000_NS6detail17trampoline_kernelINS0_14default_configENS1_27scan_by_key_config_selectorIssEEZZNS1_16scan_by_key_implILNS1_25lookback_scan_determinismE0ELb1ES3_N6thrust23THRUST_200600_302600_NS6detail15normal_iteratorINS9_10device_ptrIsEEEESE_SE_sNS9_4plusIsEE19head_flag_predicatesEE10hipError_tPvRmT2_T3_T4_T5_mT6_T7_P12ihipStream_tbENKUlT_T0_E_clISt17integral_constantIbLb1EESX_IbLb0EEEEDaST_SU_EUlST_E_NS1_11comp_targetILNS1_3genE2ELNS1_11target_archE906ELNS1_3gpuE6ELNS1_3repE0EEENS1_30default_config_static_selectorELNS0_4arch9wavefront6targetE0EEEvT1_, .Lfunc_end880-_ZN7rocprim17ROCPRIM_400000_NS6detail17trampoline_kernelINS0_14default_configENS1_27scan_by_key_config_selectorIssEEZZNS1_16scan_by_key_implILNS1_25lookback_scan_determinismE0ELb1ES3_N6thrust23THRUST_200600_302600_NS6detail15normal_iteratorINS9_10device_ptrIsEEEESE_SE_sNS9_4plusIsEE19head_flag_predicatesEE10hipError_tPvRmT2_T3_T4_T5_mT6_T7_P12ihipStream_tbENKUlT_T0_E_clISt17integral_constantIbLb1EESX_IbLb0EEEEDaST_SU_EUlST_E_NS1_11comp_targetILNS1_3genE2ELNS1_11target_archE906ELNS1_3gpuE6ELNS1_3repE0EEENS1_30default_config_static_selectorELNS0_4arch9wavefront6targetE0EEEvT1_
                                        ; -- End function
	.set _ZN7rocprim17ROCPRIM_400000_NS6detail17trampoline_kernelINS0_14default_configENS1_27scan_by_key_config_selectorIssEEZZNS1_16scan_by_key_implILNS1_25lookback_scan_determinismE0ELb1ES3_N6thrust23THRUST_200600_302600_NS6detail15normal_iteratorINS9_10device_ptrIsEEEESE_SE_sNS9_4plusIsEE19head_flag_predicatesEE10hipError_tPvRmT2_T3_T4_T5_mT6_T7_P12ihipStream_tbENKUlT_T0_E_clISt17integral_constantIbLb1EESX_IbLb0EEEEDaST_SU_EUlST_E_NS1_11comp_targetILNS1_3genE2ELNS1_11target_archE906ELNS1_3gpuE6ELNS1_3repE0EEENS1_30default_config_static_selectorELNS0_4arch9wavefront6targetE0EEEvT1_.num_vgpr, 0
	.set _ZN7rocprim17ROCPRIM_400000_NS6detail17trampoline_kernelINS0_14default_configENS1_27scan_by_key_config_selectorIssEEZZNS1_16scan_by_key_implILNS1_25lookback_scan_determinismE0ELb1ES3_N6thrust23THRUST_200600_302600_NS6detail15normal_iteratorINS9_10device_ptrIsEEEESE_SE_sNS9_4plusIsEE19head_flag_predicatesEE10hipError_tPvRmT2_T3_T4_T5_mT6_T7_P12ihipStream_tbENKUlT_T0_E_clISt17integral_constantIbLb1EESX_IbLb0EEEEDaST_SU_EUlST_E_NS1_11comp_targetILNS1_3genE2ELNS1_11target_archE906ELNS1_3gpuE6ELNS1_3repE0EEENS1_30default_config_static_selectorELNS0_4arch9wavefront6targetE0EEEvT1_.num_agpr, 0
	.set _ZN7rocprim17ROCPRIM_400000_NS6detail17trampoline_kernelINS0_14default_configENS1_27scan_by_key_config_selectorIssEEZZNS1_16scan_by_key_implILNS1_25lookback_scan_determinismE0ELb1ES3_N6thrust23THRUST_200600_302600_NS6detail15normal_iteratorINS9_10device_ptrIsEEEESE_SE_sNS9_4plusIsEE19head_flag_predicatesEE10hipError_tPvRmT2_T3_T4_T5_mT6_T7_P12ihipStream_tbENKUlT_T0_E_clISt17integral_constantIbLb1EESX_IbLb0EEEEDaST_SU_EUlST_E_NS1_11comp_targetILNS1_3genE2ELNS1_11target_archE906ELNS1_3gpuE6ELNS1_3repE0EEENS1_30default_config_static_selectorELNS0_4arch9wavefront6targetE0EEEvT1_.numbered_sgpr, 0
	.set _ZN7rocprim17ROCPRIM_400000_NS6detail17trampoline_kernelINS0_14default_configENS1_27scan_by_key_config_selectorIssEEZZNS1_16scan_by_key_implILNS1_25lookback_scan_determinismE0ELb1ES3_N6thrust23THRUST_200600_302600_NS6detail15normal_iteratorINS9_10device_ptrIsEEEESE_SE_sNS9_4plusIsEE19head_flag_predicatesEE10hipError_tPvRmT2_T3_T4_T5_mT6_T7_P12ihipStream_tbENKUlT_T0_E_clISt17integral_constantIbLb1EESX_IbLb0EEEEDaST_SU_EUlST_E_NS1_11comp_targetILNS1_3genE2ELNS1_11target_archE906ELNS1_3gpuE6ELNS1_3repE0EEENS1_30default_config_static_selectorELNS0_4arch9wavefront6targetE0EEEvT1_.num_named_barrier, 0
	.set _ZN7rocprim17ROCPRIM_400000_NS6detail17trampoline_kernelINS0_14default_configENS1_27scan_by_key_config_selectorIssEEZZNS1_16scan_by_key_implILNS1_25lookback_scan_determinismE0ELb1ES3_N6thrust23THRUST_200600_302600_NS6detail15normal_iteratorINS9_10device_ptrIsEEEESE_SE_sNS9_4plusIsEE19head_flag_predicatesEE10hipError_tPvRmT2_T3_T4_T5_mT6_T7_P12ihipStream_tbENKUlT_T0_E_clISt17integral_constantIbLb1EESX_IbLb0EEEEDaST_SU_EUlST_E_NS1_11comp_targetILNS1_3genE2ELNS1_11target_archE906ELNS1_3gpuE6ELNS1_3repE0EEENS1_30default_config_static_selectorELNS0_4arch9wavefront6targetE0EEEvT1_.private_seg_size, 0
	.set _ZN7rocprim17ROCPRIM_400000_NS6detail17trampoline_kernelINS0_14default_configENS1_27scan_by_key_config_selectorIssEEZZNS1_16scan_by_key_implILNS1_25lookback_scan_determinismE0ELb1ES3_N6thrust23THRUST_200600_302600_NS6detail15normal_iteratorINS9_10device_ptrIsEEEESE_SE_sNS9_4plusIsEE19head_flag_predicatesEE10hipError_tPvRmT2_T3_T4_T5_mT6_T7_P12ihipStream_tbENKUlT_T0_E_clISt17integral_constantIbLb1EESX_IbLb0EEEEDaST_SU_EUlST_E_NS1_11comp_targetILNS1_3genE2ELNS1_11target_archE906ELNS1_3gpuE6ELNS1_3repE0EEENS1_30default_config_static_selectorELNS0_4arch9wavefront6targetE0EEEvT1_.uses_vcc, 0
	.set _ZN7rocprim17ROCPRIM_400000_NS6detail17trampoline_kernelINS0_14default_configENS1_27scan_by_key_config_selectorIssEEZZNS1_16scan_by_key_implILNS1_25lookback_scan_determinismE0ELb1ES3_N6thrust23THRUST_200600_302600_NS6detail15normal_iteratorINS9_10device_ptrIsEEEESE_SE_sNS9_4plusIsEE19head_flag_predicatesEE10hipError_tPvRmT2_T3_T4_T5_mT6_T7_P12ihipStream_tbENKUlT_T0_E_clISt17integral_constantIbLb1EESX_IbLb0EEEEDaST_SU_EUlST_E_NS1_11comp_targetILNS1_3genE2ELNS1_11target_archE906ELNS1_3gpuE6ELNS1_3repE0EEENS1_30default_config_static_selectorELNS0_4arch9wavefront6targetE0EEEvT1_.uses_flat_scratch, 0
	.set _ZN7rocprim17ROCPRIM_400000_NS6detail17trampoline_kernelINS0_14default_configENS1_27scan_by_key_config_selectorIssEEZZNS1_16scan_by_key_implILNS1_25lookback_scan_determinismE0ELb1ES3_N6thrust23THRUST_200600_302600_NS6detail15normal_iteratorINS9_10device_ptrIsEEEESE_SE_sNS9_4plusIsEE19head_flag_predicatesEE10hipError_tPvRmT2_T3_T4_T5_mT6_T7_P12ihipStream_tbENKUlT_T0_E_clISt17integral_constantIbLb1EESX_IbLb0EEEEDaST_SU_EUlST_E_NS1_11comp_targetILNS1_3genE2ELNS1_11target_archE906ELNS1_3gpuE6ELNS1_3repE0EEENS1_30default_config_static_selectorELNS0_4arch9wavefront6targetE0EEEvT1_.has_dyn_sized_stack, 0
	.set _ZN7rocprim17ROCPRIM_400000_NS6detail17trampoline_kernelINS0_14default_configENS1_27scan_by_key_config_selectorIssEEZZNS1_16scan_by_key_implILNS1_25lookback_scan_determinismE0ELb1ES3_N6thrust23THRUST_200600_302600_NS6detail15normal_iteratorINS9_10device_ptrIsEEEESE_SE_sNS9_4plusIsEE19head_flag_predicatesEE10hipError_tPvRmT2_T3_T4_T5_mT6_T7_P12ihipStream_tbENKUlT_T0_E_clISt17integral_constantIbLb1EESX_IbLb0EEEEDaST_SU_EUlST_E_NS1_11comp_targetILNS1_3genE2ELNS1_11target_archE906ELNS1_3gpuE6ELNS1_3repE0EEENS1_30default_config_static_selectorELNS0_4arch9wavefront6targetE0EEEvT1_.has_recursion, 0
	.set _ZN7rocprim17ROCPRIM_400000_NS6detail17trampoline_kernelINS0_14default_configENS1_27scan_by_key_config_selectorIssEEZZNS1_16scan_by_key_implILNS1_25lookback_scan_determinismE0ELb1ES3_N6thrust23THRUST_200600_302600_NS6detail15normal_iteratorINS9_10device_ptrIsEEEESE_SE_sNS9_4plusIsEE19head_flag_predicatesEE10hipError_tPvRmT2_T3_T4_T5_mT6_T7_P12ihipStream_tbENKUlT_T0_E_clISt17integral_constantIbLb1EESX_IbLb0EEEEDaST_SU_EUlST_E_NS1_11comp_targetILNS1_3genE2ELNS1_11target_archE906ELNS1_3gpuE6ELNS1_3repE0EEENS1_30default_config_static_selectorELNS0_4arch9wavefront6targetE0EEEvT1_.has_indirect_call, 0
	.section	.AMDGPU.csdata,"",@progbits
; Kernel info:
; codeLenInByte = 0
; TotalNumSgprs: 0
; NumVgprs: 0
; ScratchSize: 0
; MemoryBound: 0
; FloatMode: 240
; IeeeMode: 1
; LDSByteSize: 0 bytes/workgroup (compile time only)
; SGPRBlocks: 0
; VGPRBlocks: 0
; NumSGPRsForWavesPerEU: 1
; NumVGPRsForWavesPerEU: 1
; NamedBarCnt: 0
; Occupancy: 16
; WaveLimiterHint : 0
; COMPUTE_PGM_RSRC2:SCRATCH_EN: 0
; COMPUTE_PGM_RSRC2:USER_SGPR: 2
; COMPUTE_PGM_RSRC2:TRAP_HANDLER: 0
; COMPUTE_PGM_RSRC2:TGID_X_EN: 1
; COMPUTE_PGM_RSRC2:TGID_Y_EN: 0
; COMPUTE_PGM_RSRC2:TGID_Z_EN: 0
; COMPUTE_PGM_RSRC2:TIDIG_COMP_CNT: 0
	.section	.text._ZN7rocprim17ROCPRIM_400000_NS6detail17trampoline_kernelINS0_14default_configENS1_27scan_by_key_config_selectorIssEEZZNS1_16scan_by_key_implILNS1_25lookback_scan_determinismE0ELb1ES3_N6thrust23THRUST_200600_302600_NS6detail15normal_iteratorINS9_10device_ptrIsEEEESE_SE_sNS9_4plusIsEE19head_flag_predicatesEE10hipError_tPvRmT2_T3_T4_T5_mT6_T7_P12ihipStream_tbENKUlT_T0_E_clISt17integral_constantIbLb1EESX_IbLb0EEEEDaST_SU_EUlST_E_NS1_11comp_targetILNS1_3genE10ELNS1_11target_archE1200ELNS1_3gpuE4ELNS1_3repE0EEENS1_30default_config_static_selectorELNS0_4arch9wavefront6targetE0EEEvT1_,"axG",@progbits,_ZN7rocprim17ROCPRIM_400000_NS6detail17trampoline_kernelINS0_14default_configENS1_27scan_by_key_config_selectorIssEEZZNS1_16scan_by_key_implILNS1_25lookback_scan_determinismE0ELb1ES3_N6thrust23THRUST_200600_302600_NS6detail15normal_iteratorINS9_10device_ptrIsEEEESE_SE_sNS9_4plusIsEE19head_flag_predicatesEE10hipError_tPvRmT2_T3_T4_T5_mT6_T7_P12ihipStream_tbENKUlT_T0_E_clISt17integral_constantIbLb1EESX_IbLb0EEEEDaST_SU_EUlST_E_NS1_11comp_targetILNS1_3genE10ELNS1_11target_archE1200ELNS1_3gpuE4ELNS1_3repE0EEENS1_30default_config_static_selectorELNS0_4arch9wavefront6targetE0EEEvT1_,comdat
	.protected	_ZN7rocprim17ROCPRIM_400000_NS6detail17trampoline_kernelINS0_14default_configENS1_27scan_by_key_config_selectorIssEEZZNS1_16scan_by_key_implILNS1_25lookback_scan_determinismE0ELb1ES3_N6thrust23THRUST_200600_302600_NS6detail15normal_iteratorINS9_10device_ptrIsEEEESE_SE_sNS9_4plusIsEE19head_flag_predicatesEE10hipError_tPvRmT2_T3_T4_T5_mT6_T7_P12ihipStream_tbENKUlT_T0_E_clISt17integral_constantIbLb1EESX_IbLb0EEEEDaST_SU_EUlST_E_NS1_11comp_targetILNS1_3genE10ELNS1_11target_archE1200ELNS1_3gpuE4ELNS1_3repE0EEENS1_30default_config_static_selectorELNS0_4arch9wavefront6targetE0EEEvT1_ ; -- Begin function _ZN7rocprim17ROCPRIM_400000_NS6detail17trampoline_kernelINS0_14default_configENS1_27scan_by_key_config_selectorIssEEZZNS1_16scan_by_key_implILNS1_25lookback_scan_determinismE0ELb1ES3_N6thrust23THRUST_200600_302600_NS6detail15normal_iteratorINS9_10device_ptrIsEEEESE_SE_sNS9_4plusIsEE19head_flag_predicatesEE10hipError_tPvRmT2_T3_T4_T5_mT6_T7_P12ihipStream_tbENKUlT_T0_E_clISt17integral_constantIbLb1EESX_IbLb0EEEEDaST_SU_EUlST_E_NS1_11comp_targetILNS1_3genE10ELNS1_11target_archE1200ELNS1_3gpuE4ELNS1_3repE0EEENS1_30default_config_static_selectorELNS0_4arch9wavefront6targetE0EEEvT1_
	.globl	_ZN7rocprim17ROCPRIM_400000_NS6detail17trampoline_kernelINS0_14default_configENS1_27scan_by_key_config_selectorIssEEZZNS1_16scan_by_key_implILNS1_25lookback_scan_determinismE0ELb1ES3_N6thrust23THRUST_200600_302600_NS6detail15normal_iteratorINS9_10device_ptrIsEEEESE_SE_sNS9_4plusIsEE19head_flag_predicatesEE10hipError_tPvRmT2_T3_T4_T5_mT6_T7_P12ihipStream_tbENKUlT_T0_E_clISt17integral_constantIbLb1EESX_IbLb0EEEEDaST_SU_EUlST_E_NS1_11comp_targetILNS1_3genE10ELNS1_11target_archE1200ELNS1_3gpuE4ELNS1_3repE0EEENS1_30default_config_static_selectorELNS0_4arch9wavefront6targetE0EEEvT1_
	.p2align	8
	.type	_ZN7rocprim17ROCPRIM_400000_NS6detail17trampoline_kernelINS0_14default_configENS1_27scan_by_key_config_selectorIssEEZZNS1_16scan_by_key_implILNS1_25lookback_scan_determinismE0ELb1ES3_N6thrust23THRUST_200600_302600_NS6detail15normal_iteratorINS9_10device_ptrIsEEEESE_SE_sNS9_4plusIsEE19head_flag_predicatesEE10hipError_tPvRmT2_T3_T4_T5_mT6_T7_P12ihipStream_tbENKUlT_T0_E_clISt17integral_constantIbLb1EESX_IbLb0EEEEDaST_SU_EUlST_E_NS1_11comp_targetILNS1_3genE10ELNS1_11target_archE1200ELNS1_3gpuE4ELNS1_3repE0EEENS1_30default_config_static_selectorELNS0_4arch9wavefront6targetE0EEEvT1_,@function
_ZN7rocprim17ROCPRIM_400000_NS6detail17trampoline_kernelINS0_14default_configENS1_27scan_by_key_config_selectorIssEEZZNS1_16scan_by_key_implILNS1_25lookback_scan_determinismE0ELb1ES3_N6thrust23THRUST_200600_302600_NS6detail15normal_iteratorINS9_10device_ptrIsEEEESE_SE_sNS9_4plusIsEE19head_flag_predicatesEE10hipError_tPvRmT2_T3_T4_T5_mT6_T7_P12ihipStream_tbENKUlT_T0_E_clISt17integral_constantIbLb1EESX_IbLb0EEEEDaST_SU_EUlST_E_NS1_11comp_targetILNS1_3genE10ELNS1_11target_archE1200ELNS1_3gpuE4ELNS1_3repE0EEENS1_30default_config_static_selectorELNS0_4arch9wavefront6targetE0EEEvT1_: ; @_ZN7rocprim17ROCPRIM_400000_NS6detail17trampoline_kernelINS0_14default_configENS1_27scan_by_key_config_selectorIssEEZZNS1_16scan_by_key_implILNS1_25lookback_scan_determinismE0ELb1ES3_N6thrust23THRUST_200600_302600_NS6detail15normal_iteratorINS9_10device_ptrIsEEEESE_SE_sNS9_4plusIsEE19head_flag_predicatesEE10hipError_tPvRmT2_T3_T4_T5_mT6_T7_P12ihipStream_tbENKUlT_T0_E_clISt17integral_constantIbLb1EESX_IbLb0EEEEDaST_SU_EUlST_E_NS1_11comp_targetILNS1_3genE10ELNS1_11target_archE1200ELNS1_3gpuE4ELNS1_3repE0EEENS1_30default_config_static_selectorELNS0_4arch9wavefront6targetE0EEEvT1_
; %bb.0:
	.section	.rodata,"a",@progbits
	.p2align	6, 0x0
	.amdhsa_kernel _ZN7rocprim17ROCPRIM_400000_NS6detail17trampoline_kernelINS0_14default_configENS1_27scan_by_key_config_selectorIssEEZZNS1_16scan_by_key_implILNS1_25lookback_scan_determinismE0ELb1ES3_N6thrust23THRUST_200600_302600_NS6detail15normal_iteratorINS9_10device_ptrIsEEEESE_SE_sNS9_4plusIsEE19head_flag_predicatesEE10hipError_tPvRmT2_T3_T4_T5_mT6_T7_P12ihipStream_tbENKUlT_T0_E_clISt17integral_constantIbLb1EESX_IbLb0EEEEDaST_SU_EUlST_E_NS1_11comp_targetILNS1_3genE10ELNS1_11target_archE1200ELNS1_3gpuE4ELNS1_3repE0EEENS1_30default_config_static_selectorELNS0_4arch9wavefront6targetE0EEEvT1_
		.amdhsa_group_segment_fixed_size 0
		.amdhsa_private_segment_fixed_size 0
		.amdhsa_kernarg_size 112
		.amdhsa_user_sgpr_count 2
		.amdhsa_user_sgpr_dispatch_ptr 0
		.amdhsa_user_sgpr_queue_ptr 0
		.amdhsa_user_sgpr_kernarg_segment_ptr 1
		.amdhsa_user_sgpr_dispatch_id 0
		.amdhsa_user_sgpr_kernarg_preload_length 0
		.amdhsa_user_sgpr_kernarg_preload_offset 0
		.amdhsa_user_sgpr_private_segment_size 0
		.amdhsa_wavefront_size32 1
		.amdhsa_uses_dynamic_stack 0
		.amdhsa_enable_private_segment 0
		.amdhsa_system_sgpr_workgroup_id_x 1
		.amdhsa_system_sgpr_workgroup_id_y 0
		.amdhsa_system_sgpr_workgroup_id_z 0
		.amdhsa_system_sgpr_workgroup_info 0
		.amdhsa_system_vgpr_workitem_id 0
		.amdhsa_next_free_vgpr 1
		.amdhsa_next_free_sgpr 1
		.amdhsa_named_barrier_count 0
		.amdhsa_reserve_vcc 0
		.amdhsa_float_round_mode_32 0
		.amdhsa_float_round_mode_16_64 0
		.amdhsa_float_denorm_mode_32 3
		.amdhsa_float_denorm_mode_16_64 3
		.amdhsa_fp16_overflow 0
		.amdhsa_memory_ordered 1
		.amdhsa_forward_progress 1
		.amdhsa_inst_pref_size 0
		.amdhsa_round_robin_scheduling 0
		.amdhsa_exception_fp_ieee_invalid_op 0
		.amdhsa_exception_fp_denorm_src 0
		.amdhsa_exception_fp_ieee_div_zero 0
		.amdhsa_exception_fp_ieee_overflow 0
		.amdhsa_exception_fp_ieee_underflow 0
		.amdhsa_exception_fp_ieee_inexact 0
		.amdhsa_exception_int_div_zero 0
	.end_amdhsa_kernel
	.section	.text._ZN7rocprim17ROCPRIM_400000_NS6detail17trampoline_kernelINS0_14default_configENS1_27scan_by_key_config_selectorIssEEZZNS1_16scan_by_key_implILNS1_25lookback_scan_determinismE0ELb1ES3_N6thrust23THRUST_200600_302600_NS6detail15normal_iteratorINS9_10device_ptrIsEEEESE_SE_sNS9_4plusIsEE19head_flag_predicatesEE10hipError_tPvRmT2_T3_T4_T5_mT6_T7_P12ihipStream_tbENKUlT_T0_E_clISt17integral_constantIbLb1EESX_IbLb0EEEEDaST_SU_EUlST_E_NS1_11comp_targetILNS1_3genE10ELNS1_11target_archE1200ELNS1_3gpuE4ELNS1_3repE0EEENS1_30default_config_static_selectorELNS0_4arch9wavefront6targetE0EEEvT1_,"axG",@progbits,_ZN7rocprim17ROCPRIM_400000_NS6detail17trampoline_kernelINS0_14default_configENS1_27scan_by_key_config_selectorIssEEZZNS1_16scan_by_key_implILNS1_25lookback_scan_determinismE0ELb1ES3_N6thrust23THRUST_200600_302600_NS6detail15normal_iteratorINS9_10device_ptrIsEEEESE_SE_sNS9_4plusIsEE19head_flag_predicatesEE10hipError_tPvRmT2_T3_T4_T5_mT6_T7_P12ihipStream_tbENKUlT_T0_E_clISt17integral_constantIbLb1EESX_IbLb0EEEEDaST_SU_EUlST_E_NS1_11comp_targetILNS1_3genE10ELNS1_11target_archE1200ELNS1_3gpuE4ELNS1_3repE0EEENS1_30default_config_static_selectorELNS0_4arch9wavefront6targetE0EEEvT1_,comdat
.Lfunc_end881:
	.size	_ZN7rocprim17ROCPRIM_400000_NS6detail17trampoline_kernelINS0_14default_configENS1_27scan_by_key_config_selectorIssEEZZNS1_16scan_by_key_implILNS1_25lookback_scan_determinismE0ELb1ES3_N6thrust23THRUST_200600_302600_NS6detail15normal_iteratorINS9_10device_ptrIsEEEESE_SE_sNS9_4plusIsEE19head_flag_predicatesEE10hipError_tPvRmT2_T3_T4_T5_mT6_T7_P12ihipStream_tbENKUlT_T0_E_clISt17integral_constantIbLb1EESX_IbLb0EEEEDaST_SU_EUlST_E_NS1_11comp_targetILNS1_3genE10ELNS1_11target_archE1200ELNS1_3gpuE4ELNS1_3repE0EEENS1_30default_config_static_selectorELNS0_4arch9wavefront6targetE0EEEvT1_, .Lfunc_end881-_ZN7rocprim17ROCPRIM_400000_NS6detail17trampoline_kernelINS0_14default_configENS1_27scan_by_key_config_selectorIssEEZZNS1_16scan_by_key_implILNS1_25lookback_scan_determinismE0ELb1ES3_N6thrust23THRUST_200600_302600_NS6detail15normal_iteratorINS9_10device_ptrIsEEEESE_SE_sNS9_4plusIsEE19head_flag_predicatesEE10hipError_tPvRmT2_T3_T4_T5_mT6_T7_P12ihipStream_tbENKUlT_T0_E_clISt17integral_constantIbLb1EESX_IbLb0EEEEDaST_SU_EUlST_E_NS1_11comp_targetILNS1_3genE10ELNS1_11target_archE1200ELNS1_3gpuE4ELNS1_3repE0EEENS1_30default_config_static_selectorELNS0_4arch9wavefront6targetE0EEEvT1_
                                        ; -- End function
	.set _ZN7rocprim17ROCPRIM_400000_NS6detail17trampoline_kernelINS0_14default_configENS1_27scan_by_key_config_selectorIssEEZZNS1_16scan_by_key_implILNS1_25lookback_scan_determinismE0ELb1ES3_N6thrust23THRUST_200600_302600_NS6detail15normal_iteratorINS9_10device_ptrIsEEEESE_SE_sNS9_4plusIsEE19head_flag_predicatesEE10hipError_tPvRmT2_T3_T4_T5_mT6_T7_P12ihipStream_tbENKUlT_T0_E_clISt17integral_constantIbLb1EESX_IbLb0EEEEDaST_SU_EUlST_E_NS1_11comp_targetILNS1_3genE10ELNS1_11target_archE1200ELNS1_3gpuE4ELNS1_3repE0EEENS1_30default_config_static_selectorELNS0_4arch9wavefront6targetE0EEEvT1_.num_vgpr, 0
	.set _ZN7rocprim17ROCPRIM_400000_NS6detail17trampoline_kernelINS0_14default_configENS1_27scan_by_key_config_selectorIssEEZZNS1_16scan_by_key_implILNS1_25lookback_scan_determinismE0ELb1ES3_N6thrust23THRUST_200600_302600_NS6detail15normal_iteratorINS9_10device_ptrIsEEEESE_SE_sNS9_4plusIsEE19head_flag_predicatesEE10hipError_tPvRmT2_T3_T4_T5_mT6_T7_P12ihipStream_tbENKUlT_T0_E_clISt17integral_constantIbLb1EESX_IbLb0EEEEDaST_SU_EUlST_E_NS1_11comp_targetILNS1_3genE10ELNS1_11target_archE1200ELNS1_3gpuE4ELNS1_3repE0EEENS1_30default_config_static_selectorELNS0_4arch9wavefront6targetE0EEEvT1_.num_agpr, 0
	.set _ZN7rocprim17ROCPRIM_400000_NS6detail17trampoline_kernelINS0_14default_configENS1_27scan_by_key_config_selectorIssEEZZNS1_16scan_by_key_implILNS1_25lookback_scan_determinismE0ELb1ES3_N6thrust23THRUST_200600_302600_NS6detail15normal_iteratorINS9_10device_ptrIsEEEESE_SE_sNS9_4plusIsEE19head_flag_predicatesEE10hipError_tPvRmT2_T3_T4_T5_mT6_T7_P12ihipStream_tbENKUlT_T0_E_clISt17integral_constantIbLb1EESX_IbLb0EEEEDaST_SU_EUlST_E_NS1_11comp_targetILNS1_3genE10ELNS1_11target_archE1200ELNS1_3gpuE4ELNS1_3repE0EEENS1_30default_config_static_selectorELNS0_4arch9wavefront6targetE0EEEvT1_.numbered_sgpr, 0
	.set _ZN7rocprim17ROCPRIM_400000_NS6detail17trampoline_kernelINS0_14default_configENS1_27scan_by_key_config_selectorIssEEZZNS1_16scan_by_key_implILNS1_25lookback_scan_determinismE0ELb1ES3_N6thrust23THRUST_200600_302600_NS6detail15normal_iteratorINS9_10device_ptrIsEEEESE_SE_sNS9_4plusIsEE19head_flag_predicatesEE10hipError_tPvRmT2_T3_T4_T5_mT6_T7_P12ihipStream_tbENKUlT_T0_E_clISt17integral_constantIbLb1EESX_IbLb0EEEEDaST_SU_EUlST_E_NS1_11comp_targetILNS1_3genE10ELNS1_11target_archE1200ELNS1_3gpuE4ELNS1_3repE0EEENS1_30default_config_static_selectorELNS0_4arch9wavefront6targetE0EEEvT1_.num_named_barrier, 0
	.set _ZN7rocprim17ROCPRIM_400000_NS6detail17trampoline_kernelINS0_14default_configENS1_27scan_by_key_config_selectorIssEEZZNS1_16scan_by_key_implILNS1_25lookback_scan_determinismE0ELb1ES3_N6thrust23THRUST_200600_302600_NS6detail15normal_iteratorINS9_10device_ptrIsEEEESE_SE_sNS9_4plusIsEE19head_flag_predicatesEE10hipError_tPvRmT2_T3_T4_T5_mT6_T7_P12ihipStream_tbENKUlT_T0_E_clISt17integral_constantIbLb1EESX_IbLb0EEEEDaST_SU_EUlST_E_NS1_11comp_targetILNS1_3genE10ELNS1_11target_archE1200ELNS1_3gpuE4ELNS1_3repE0EEENS1_30default_config_static_selectorELNS0_4arch9wavefront6targetE0EEEvT1_.private_seg_size, 0
	.set _ZN7rocprim17ROCPRIM_400000_NS6detail17trampoline_kernelINS0_14default_configENS1_27scan_by_key_config_selectorIssEEZZNS1_16scan_by_key_implILNS1_25lookback_scan_determinismE0ELb1ES3_N6thrust23THRUST_200600_302600_NS6detail15normal_iteratorINS9_10device_ptrIsEEEESE_SE_sNS9_4plusIsEE19head_flag_predicatesEE10hipError_tPvRmT2_T3_T4_T5_mT6_T7_P12ihipStream_tbENKUlT_T0_E_clISt17integral_constantIbLb1EESX_IbLb0EEEEDaST_SU_EUlST_E_NS1_11comp_targetILNS1_3genE10ELNS1_11target_archE1200ELNS1_3gpuE4ELNS1_3repE0EEENS1_30default_config_static_selectorELNS0_4arch9wavefront6targetE0EEEvT1_.uses_vcc, 0
	.set _ZN7rocprim17ROCPRIM_400000_NS6detail17trampoline_kernelINS0_14default_configENS1_27scan_by_key_config_selectorIssEEZZNS1_16scan_by_key_implILNS1_25lookback_scan_determinismE0ELb1ES3_N6thrust23THRUST_200600_302600_NS6detail15normal_iteratorINS9_10device_ptrIsEEEESE_SE_sNS9_4plusIsEE19head_flag_predicatesEE10hipError_tPvRmT2_T3_T4_T5_mT6_T7_P12ihipStream_tbENKUlT_T0_E_clISt17integral_constantIbLb1EESX_IbLb0EEEEDaST_SU_EUlST_E_NS1_11comp_targetILNS1_3genE10ELNS1_11target_archE1200ELNS1_3gpuE4ELNS1_3repE0EEENS1_30default_config_static_selectorELNS0_4arch9wavefront6targetE0EEEvT1_.uses_flat_scratch, 0
	.set _ZN7rocprim17ROCPRIM_400000_NS6detail17trampoline_kernelINS0_14default_configENS1_27scan_by_key_config_selectorIssEEZZNS1_16scan_by_key_implILNS1_25lookback_scan_determinismE0ELb1ES3_N6thrust23THRUST_200600_302600_NS6detail15normal_iteratorINS9_10device_ptrIsEEEESE_SE_sNS9_4plusIsEE19head_flag_predicatesEE10hipError_tPvRmT2_T3_T4_T5_mT6_T7_P12ihipStream_tbENKUlT_T0_E_clISt17integral_constantIbLb1EESX_IbLb0EEEEDaST_SU_EUlST_E_NS1_11comp_targetILNS1_3genE10ELNS1_11target_archE1200ELNS1_3gpuE4ELNS1_3repE0EEENS1_30default_config_static_selectorELNS0_4arch9wavefront6targetE0EEEvT1_.has_dyn_sized_stack, 0
	.set _ZN7rocprim17ROCPRIM_400000_NS6detail17trampoline_kernelINS0_14default_configENS1_27scan_by_key_config_selectorIssEEZZNS1_16scan_by_key_implILNS1_25lookback_scan_determinismE0ELb1ES3_N6thrust23THRUST_200600_302600_NS6detail15normal_iteratorINS9_10device_ptrIsEEEESE_SE_sNS9_4plusIsEE19head_flag_predicatesEE10hipError_tPvRmT2_T3_T4_T5_mT6_T7_P12ihipStream_tbENKUlT_T0_E_clISt17integral_constantIbLb1EESX_IbLb0EEEEDaST_SU_EUlST_E_NS1_11comp_targetILNS1_3genE10ELNS1_11target_archE1200ELNS1_3gpuE4ELNS1_3repE0EEENS1_30default_config_static_selectorELNS0_4arch9wavefront6targetE0EEEvT1_.has_recursion, 0
	.set _ZN7rocprim17ROCPRIM_400000_NS6detail17trampoline_kernelINS0_14default_configENS1_27scan_by_key_config_selectorIssEEZZNS1_16scan_by_key_implILNS1_25lookback_scan_determinismE0ELb1ES3_N6thrust23THRUST_200600_302600_NS6detail15normal_iteratorINS9_10device_ptrIsEEEESE_SE_sNS9_4plusIsEE19head_flag_predicatesEE10hipError_tPvRmT2_T3_T4_T5_mT6_T7_P12ihipStream_tbENKUlT_T0_E_clISt17integral_constantIbLb1EESX_IbLb0EEEEDaST_SU_EUlST_E_NS1_11comp_targetILNS1_3genE10ELNS1_11target_archE1200ELNS1_3gpuE4ELNS1_3repE0EEENS1_30default_config_static_selectorELNS0_4arch9wavefront6targetE0EEEvT1_.has_indirect_call, 0
	.section	.AMDGPU.csdata,"",@progbits
; Kernel info:
; codeLenInByte = 0
; TotalNumSgprs: 0
; NumVgprs: 0
; ScratchSize: 0
; MemoryBound: 0
; FloatMode: 240
; IeeeMode: 1
; LDSByteSize: 0 bytes/workgroup (compile time only)
; SGPRBlocks: 0
; VGPRBlocks: 0
; NumSGPRsForWavesPerEU: 1
; NumVGPRsForWavesPerEU: 1
; NamedBarCnt: 0
; Occupancy: 16
; WaveLimiterHint : 0
; COMPUTE_PGM_RSRC2:SCRATCH_EN: 0
; COMPUTE_PGM_RSRC2:USER_SGPR: 2
; COMPUTE_PGM_RSRC2:TRAP_HANDLER: 0
; COMPUTE_PGM_RSRC2:TGID_X_EN: 1
; COMPUTE_PGM_RSRC2:TGID_Y_EN: 0
; COMPUTE_PGM_RSRC2:TGID_Z_EN: 0
; COMPUTE_PGM_RSRC2:TIDIG_COMP_CNT: 0
	.section	.text._ZN7rocprim17ROCPRIM_400000_NS6detail17trampoline_kernelINS0_14default_configENS1_27scan_by_key_config_selectorIssEEZZNS1_16scan_by_key_implILNS1_25lookback_scan_determinismE0ELb1ES3_N6thrust23THRUST_200600_302600_NS6detail15normal_iteratorINS9_10device_ptrIsEEEESE_SE_sNS9_4plusIsEE19head_flag_predicatesEE10hipError_tPvRmT2_T3_T4_T5_mT6_T7_P12ihipStream_tbENKUlT_T0_E_clISt17integral_constantIbLb1EESX_IbLb0EEEEDaST_SU_EUlST_E_NS1_11comp_targetILNS1_3genE9ELNS1_11target_archE1100ELNS1_3gpuE3ELNS1_3repE0EEENS1_30default_config_static_selectorELNS0_4arch9wavefront6targetE0EEEvT1_,"axG",@progbits,_ZN7rocprim17ROCPRIM_400000_NS6detail17trampoline_kernelINS0_14default_configENS1_27scan_by_key_config_selectorIssEEZZNS1_16scan_by_key_implILNS1_25lookback_scan_determinismE0ELb1ES3_N6thrust23THRUST_200600_302600_NS6detail15normal_iteratorINS9_10device_ptrIsEEEESE_SE_sNS9_4plusIsEE19head_flag_predicatesEE10hipError_tPvRmT2_T3_T4_T5_mT6_T7_P12ihipStream_tbENKUlT_T0_E_clISt17integral_constantIbLb1EESX_IbLb0EEEEDaST_SU_EUlST_E_NS1_11comp_targetILNS1_3genE9ELNS1_11target_archE1100ELNS1_3gpuE3ELNS1_3repE0EEENS1_30default_config_static_selectorELNS0_4arch9wavefront6targetE0EEEvT1_,comdat
	.protected	_ZN7rocprim17ROCPRIM_400000_NS6detail17trampoline_kernelINS0_14default_configENS1_27scan_by_key_config_selectorIssEEZZNS1_16scan_by_key_implILNS1_25lookback_scan_determinismE0ELb1ES3_N6thrust23THRUST_200600_302600_NS6detail15normal_iteratorINS9_10device_ptrIsEEEESE_SE_sNS9_4plusIsEE19head_flag_predicatesEE10hipError_tPvRmT2_T3_T4_T5_mT6_T7_P12ihipStream_tbENKUlT_T0_E_clISt17integral_constantIbLb1EESX_IbLb0EEEEDaST_SU_EUlST_E_NS1_11comp_targetILNS1_3genE9ELNS1_11target_archE1100ELNS1_3gpuE3ELNS1_3repE0EEENS1_30default_config_static_selectorELNS0_4arch9wavefront6targetE0EEEvT1_ ; -- Begin function _ZN7rocprim17ROCPRIM_400000_NS6detail17trampoline_kernelINS0_14default_configENS1_27scan_by_key_config_selectorIssEEZZNS1_16scan_by_key_implILNS1_25lookback_scan_determinismE0ELb1ES3_N6thrust23THRUST_200600_302600_NS6detail15normal_iteratorINS9_10device_ptrIsEEEESE_SE_sNS9_4plusIsEE19head_flag_predicatesEE10hipError_tPvRmT2_T3_T4_T5_mT6_T7_P12ihipStream_tbENKUlT_T0_E_clISt17integral_constantIbLb1EESX_IbLb0EEEEDaST_SU_EUlST_E_NS1_11comp_targetILNS1_3genE9ELNS1_11target_archE1100ELNS1_3gpuE3ELNS1_3repE0EEENS1_30default_config_static_selectorELNS0_4arch9wavefront6targetE0EEEvT1_
	.globl	_ZN7rocprim17ROCPRIM_400000_NS6detail17trampoline_kernelINS0_14default_configENS1_27scan_by_key_config_selectorIssEEZZNS1_16scan_by_key_implILNS1_25lookback_scan_determinismE0ELb1ES3_N6thrust23THRUST_200600_302600_NS6detail15normal_iteratorINS9_10device_ptrIsEEEESE_SE_sNS9_4plusIsEE19head_flag_predicatesEE10hipError_tPvRmT2_T3_T4_T5_mT6_T7_P12ihipStream_tbENKUlT_T0_E_clISt17integral_constantIbLb1EESX_IbLb0EEEEDaST_SU_EUlST_E_NS1_11comp_targetILNS1_3genE9ELNS1_11target_archE1100ELNS1_3gpuE3ELNS1_3repE0EEENS1_30default_config_static_selectorELNS0_4arch9wavefront6targetE0EEEvT1_
	.p2align	8
	.type	_ZN7rocprim17ROCPRIM_400000_NS6detail17trampoline_kernelINS0_14default_configENS1_27scan_by_key_config_selectorIssEEZZNS1_16scan_by_key_implILNS1_25lookback_scan_determinismE0ELb1ES3_N6thrust23THRUST_200600_302600_NS6detail15normal_iteratorINS9_10device_ptrIsEEEESE_SE_sNS9_4plusIsEE19head_flag_predicatesEE10hipError_tPvRmT2_T3_T4_T5_mT6_T7_P12ihipStream_tbENKUlT_T0_E_clISt17integral_constantIbLb1EESX_IbLb0EEEEDaST_SU_EUlST_E_NS1_11comp_targetILNS1_3genE9ELNS1_11target_archE1100ELNS1_3gpuE3ELNS1_3repE0EEENS1_30default_config_static_selectorELNS0_4arch9wavefront6targetE0EEEvT1_,@function
_ZN7rocprim17ROCPRIM_400000_NS6detail17trampoline_kernelINS0_14default_configENS1_27scan_by_key_config_selectorIssEEZZNS1_16scan_by_key_implILNS1_25lookback_scan_determinismE0ELb1ES3_N6thrust23THRUST_200600_302600_NS6detail15normal_iteratorINS9_10device_ptrIsEEEESE_SE_sNS9_4plusIsEE19head_flag_predicatesEE10hipError_tPvRmT2_T3_T4_T5_mT6_T7_P12ihipStream_tbENKUlT_T0_E_clISt17integral_constantIbLb1EESX_IbLb0EEEEDaST_SU_EUlST_E_NS1_11comp_targetILNS1_3genE9ELNS1_11target_archE1100ELNS1_3gpuE3ELNS1_3repE0EEENS1_30default_config_static_selectorELNS0_4arch9wavefront6targetE0EEEvT1_: ; @_ZN7rocprim17ROCPRIM_400000_NS6detail17trampoline_kernelINS0_14default_configENS1_27scan_by_key_config_selectorIssEEZZNS1_16scan_by_key_implILNS1_25lookback_scan_determinismE0ELb1ES3_N6thrust23THRUST_200600_302600_NS6detail15normal_iteratorINS9_10device_ptrIsEEEESE_SE_sNS9_4plusIsEE19head_flag_predicatesEE10hipError_tPvRmT2_T3_T4_T5_mT6_T7_P12ihipStream_tbENKUlT_T0_E_clISt17integral_constantIbLb1EESX_IbLb0EEEEDaST_SU_EUlST_E_NS1_11comp_targetILNS1_3genE9ELNS1_11target_archE1100ELNS1_3gpuE3ELNS1_3repE0EEENS1_30default_config_static_selectorELNS0_4arch9wavefront6targetE0EEEvT1_
; %bb.0:
	.section	.rodata,"a",@progbits
	.p2align	6, 0x0
	.amdhsa_kernel _ZN7rocprim17ROCPRIM_400000_NS6detail17trampoline_kernelINS0_14default_configENS1_27scan_by_key_config_selectorIssEEZZNS1_16scan_by_key_implILNS1_25lookback_scan_determinismE0ELb1ES3_N6thrust23THRUST_200600_302600_NS6detail15normal_iteratorINS9_10device_ptrIsEEEESE_SE_sNS9_4plusIsEE19head_flag_predicatesEE10hipError_tPvRmT2_T3_T4_T5_mT6_T7_P12ihipStream_tbENKUlT_T0_E_clISt17integral_constantIbLb1EESX_IbLb0EEEEDaST_SU_EUlST_E_NS1_11comp_targetILNS1_3genE9ELNS1_11target_archE1100ELNS1_3gpuE3ELNS1_3repE0EEENS1_30default_config_static_selectorELNS0_4arch9wavefront6targetE0EEEvT1_
		.amdhsa_group_segment_fixed_size 0
		.amdhsa_private_segment_fixed_size 0
		.amdhsa_kernarg_size 112
		.amdhsa_user_sgpr_count 2
		.amdhsa_user_sgpr_dispatch_ptr 0
		.amdhsa_user_sgpr_queue_ptr 0
		.amdhsa_user_sgpr_kernarg_segment_ptr 1
		.amdhsa_user_sgpr_dispatch_id 0
		.amdhsa_user_sgpr_kernarg_preload_length 0
		.amdhsa_user_sgpr_kernarg_preload_offset 0
		.amdhsa_user_sgpr_private_segment_size 0
		.amdhsa_wavefront_size32 1
		.amdhsa_uses_dynamic_stack 0
		.amdhsa_enable_private_segment 0
		.amdhsa_system_sgpr_workgroup_id_x 1
		.amdhsa_system_sgpr_workgroup_id_y 0
		.amdhsa_system_sgpr_workgroup_id_z 0
		.amdhsa_system_sgpr_workgroup_info 0
		.amdhsa_system_vgpr_workitem_id 0
		.amdhsa_next_free_vgpr 1
		.amdhsa_next_free_sgpr 1
		.amdhsa_named_barrier_count 0
		.amdhsa_reserve_vcc 0
		.amdhsa_float_round_mode_32 0
		.amdhsa_float_round_mode_16_64 0
		.amdhsa_float_denorm_mode_32 3
		.amdhsa_float_denorm_mode_16_64 3
		.amdhsa_fp16_overflow 0
		.amdhsa_memory_ordered 1
		.amdhsa_forward_progress 1
		.amdhsa_inst_pref_size 0
		.amdhsa_round_robin_scheduling 0
		.amdhsa_exception_fp_ieee_invalid_op 0
		.amdhsa_exception_fp_denorm_src 0
		.amdhsa_exception_fp_ieee_div_zero 0
		.amdhsa_exception_fp_ieee_overflow 0
		.amdhsa_exception_fp_ieee_underflow 0
		.amdhsa_exception_fp_ieee_inexact 0
		.amdhsa_exception_int_div_zero 0
	.end_amdhsa_kernel
	.section	.text._ZN7rocprim17ROCPRIM_400000_NS6detail17trampoline_kernelINS0_14default_configENS1_27scan_by_key_config_selectorIssEEZZNS1_16scan_by_key_implILNS1_25lookback_scan_determinismE0ELb1ES3_N6thrust23THRUST_200600_302600_NS6detail15normal_iteratorINS9_10device_ptrIsEEEESE_SE_sNS9_4plusIsEE19head_flag_predicatesEE10hipError_tPvRmT2_T3_T4_T5_mT6_T7_P12ihipStream_tbENKUlT_T0_E_clISt17integral_constantIbLb1EESX_IbLb0EEEEDaST_SU_EUlST_E_NS1_11comp_targetILNS1_3genE9ELNS1_11target_archE1100ELNS1_3gpuE3ELNS1_3repE0EEENS1_30default_config_static_selectorELNS0_4arch9wavefront6targetE0EEEvT1_,"axG",@progbits,_ZN7rocprim17ROCPRIM_400000_NS6detail17trampoline_kernelINS0_14default_configENS1_27scan_by_key_config_selectorIssEEZZNS1_16scan_by_key_implILNS1_25lookback_scan_determinismE0ELb1ES3_N6thrust23THRUST_200600_302600_NS6detail15normal_iteratorINS9_10device_ptrIsEEEESE_SE_sNS9_4plusIsEE19head_flag_predicatesEE10hipError_tPvRmT2_T3_T4_T5_mT6_T7_P12ihipStream_tbENKUlT_T0_E_clISt17integral_constantIbLb1EESX_IbLb0EEEEDaST_SU_EUlST_E_NS1_11comp_targetILNS1_3genE9ELNS1_11target_archE1100ELNS1_3gpuE3ELNS1_3repE0EEENS1_30default_config_static_selectorELNS0_4arch9wavefront6targetE0EEEvT1_,comdat
.Lfunc_end882:
	.size	_ZN7rocprim17ROCPRIM_400000_NS6detail17trampoline_kernelINS0_14default_configENS1_27scan_by_key_config_selectorIssEEZZNS1_16scan_by_key_implILNS1_25lookback_scan_determinismE0ELb1ES3_N6thrust23THRUST_200600_302600_NS6detail15normal_iteratorINS9_10device_ptrIsEEEESE_SE_sNS9_4plusIsEE19head_flag_predicatesEE10hipError_tPvRmT2_T3_T4_T5_mT6_T7_P12ihipStream_tbENKUlT_T0_E_clISt17integral_constantIbLb1EESX_IbLb0EEEEDaST_SU_EUlST_E_NS1_11comp_targetILNS1_3genE9ELNS1_11target_archE1100ELNS1_3gpuE3ELNS1_3repE0EEENS1_30default_config_static_selectorELNS0_4arch9wavefront6targetE0EEEvT1_, .Lfunc_end882-_ZN7rocprim17ROCPRIM_400000_NS6detail17trampoline_kernelINS0_14default_configENS1_27scan_by_key_config_selectorIssEEZZNS1_16scan_by_key_implILNS1_25lookback_scan_determinismE0ELb1ES3_N6thrust23THRUST_200600_302600_NS6detail15normal_iteratorINS9_10device_ptrIsEEEESE_SE_sNS9_4plusIsEE19head_flag_predicatesEE10hipError_tPvRmT2_T3_T4_T5_mT6_T7_P12ihipStream_tbENKUlT_T0_E_clISt17integral_constantIbLb1EESX_IbLb0EEEEDaST_SU_EUlST_E_NS1_11comp_targetILNS1_3genE9ELNS1_11target_archE1100ELNS1_3gpuE3ELNS1_3repE0EEENS1_30default_config_static_selectorELNS0_4arch9wavefront6targetE0EEEvT1_
                                        ; -- End function
	.set _ZN7rocprim17ROCPRIM_400000_NS6detail17trampoline_kernelINS0_14default_configENS1_27scan_by_key_config_selectorIssEEZZNS1_16scan_by_key_implILNS1_25lookback_scan_determinismE0ELb1ES3_N6thrust23THRUST_200600_302600_NS6detail15normal_iteratorINS9_10device_ptrIsEEEESE_SE_sNS9_4plusIsEE19head_flag_predicatesEE10hipError_tPvRmT2_T3_T4_T5_mT6_T7_P12ihipStream_tbENKUlT_T0_E_clISt17integral_constantIbLb1EESX_IbLb0EEEEDaST_SU_EUlST_E_NS1_11comp_targetILNS1_3genE9ELNS1_11target_archE1100ELNS1_3gpuE3ELNS1_3repE0EEENS1_30default_config_static_selectorELNS0_4arch9wavefront6targetE0EEEvT1_.num_vgpr, 0
	.set _ZN7rocprim17ROCPRIM_400000_NS6detail17trampoline_kernelINS0_14default_configENS1_27scan_by_key_config_selectorIssEEZZNS1_16scan_by_key_implILNS1_25lookback_scan_determinismE0ELb1ES3_N6thrust23THRUST_200600_302600_NS6detail15normal_iteratorINS9_10device_ptrIsEEEESE_SE_sNS9_4plusIsEE19head_flag_predicatesEE10hipError_tPvRmT2_T3_T4_T5_mT6_T7_P12ihipStream_tbENKUlT_T0_E_clISt17integral_constantIbLb1EESX_IbLb0EEEEDaST_SU_EUlST_E_NS1_11comp_targetILNS1_3genE9ELNS1_11target_archE1100ELNS1_3gpuE3ELNS1_3repE0EEENS1_30default_config_static_selectorELNS0_4arch9wavefront6targetE0EEEvT1_.num_agpr, 0
	.set _ZN7rocprim17ROCPRIM_400000_NS6detail17trampoline_kernelINS0_14default_configENS1_27scan_by_key_config_selectorIssEEZZNS1_16scan_by_key_implILNS1_25lookback_scan_determinismE0ELb1ES3_N6thrust23THRUST_200600_302600_NS6detail15normal_iteratorINS9_10device_ptrIsEEEESE_SE_sNS9_4plusIsEE19head_flag_predicatesEE10hipError_tPvRmT2_T3_T4_T5_mT6_T7_P12ihipStream_tbENKUlT_T0_E_clISt17integral_constantIbLb1EESX_IbLb0EEEEDaST_SU_EUlST_E_NS1_11comp_targetILNS1_3genE9ELNS1_11target_archE1100ELNS1_3gpuE3ELNS1_3repE0EEENS1_30default_config_static_selectorELNS0_4arch9wavefront6targetE0EEEvT1_.numbered_sgpr, 0
	.set _ZN7rocprim17ROCPRIM_400000_NS6detail17trampoline_kernelINS0_14default_configENS1_27scan_by_key_config_selectorIssEEZZNS1_16scan_by_key_implILNS1_25lookback_scan_determinismE0ELb1ES3_N6thrust23THRUST_200600_302600_NS6detail15normal_iteratorINS9_10device_ptrIsEEEESE_SE_sNS9_4plusIsEE19head_flag_predicatesEE10hipError_tPvRmT2_T3_T4_T5_mT6_T7_P12ihipStream_tbENKUlT_T0_E_clISt17integral_constantIbLb1EESX_IbLb0EEEEDaST_SU_EUlST_E_NS1_11comp_targetILNS1_3genE9ELNS1_11target_archE1100ELNS1_3gpuE3ELNS1_3repE0EEENS1_30default_config_static_selectorELNS0_4arch9wavefront6targetE0EEEvT1_.num_named_barrier, 0
	.set _ZN7rocprim17ROCPRIM_400000_NS6detail17trampoline_kernelINS0_14default_configENS1_27scan_by_key_config_selectorIssEEZZNS1_16scan_by_key_implILNS1_25lookback_scan_determinismE0ELb1ES3_N6thrust23THRUST_200600_302600_NS6detail15normal_iteratorINS9_10device_ptrIsEEEESE_SE_sNS9_4plusIsEE19head_flag_predicatesEE10hipError_tPvRmT2_T3_T4_T5_mT6_T7_P12ihipStream_tbENKUlT_T0_E_clISt17integral_constantIbLb1EESX_IbLb0EEEEDaST_SU_EUlST_E_NS1_11comp_targetILNS1_3genE9ELNS1_11target_archE1100ELNS1_3gpuE3ELNS1_3repE0EEENS1_30default_config_static_selectorELNS0_4arch9wavefront6targetE0EEEvT1_.private_seg_size, 0
	.set _ZN7rocprim17ROCPRIM_400000_NS6detail17trampoline_kernelINS0_14default_configENS1_27scan_by_key_config_selectorIssEEZZNS1_16scan_by_key_implILNS1_25lookback_scan_determinismE0ELb1ES3_N6thrust23THRUST_200600_302600_NS6detail15normal_iteratorINS9_10device_ptrIsEEEESE_SE_sNS9_4plusIsEE19head_flag_predicatesEE10hipError_tPvRmT2_T3_T4_T5_mT6_T7_P12ihipStream_tbENKUlT_T0_E_clISt17integral_constantIbLb1EESX_IbLb0EEEEDaST_SU_EUlST_E_NS1_11comp_targetILNS1_3genE9ELNS1_11target_archE1100ELNS1_3gpuE3ELNS1_3repE0EEENS1_30default_config_static_selectorELNS0_4arch9wavefront6targetE0EEEvT1_.uses_vcc, 0
	.set _ZN7rocprim17ROCPRIM_400000_NS6detail17trampoline_kernelINS0_14default_configENS1_27scan_by_key_config_selectorIssEEZZNS1_16scan_by_key_implILNS1_25lookback_scan_determinismE0ELb1ES3_N6thrust23THRUST_200600_302600_NS6detail15normal_iteratorINS9_10device_ptrIsEEEESE_SE_sNS9_4plusIsEE19head_flag_predicatesEE10hipError_tPvRmT2_T3_T4_T5_mT6_T7_P12ihipStream_tbENKUlT_T0_E_clISt17integral_constantIbLb1EESX_IbLb0EEEEDaST_SU_EUlST_E_NS1_11comp_targetILNS1_3genE9ELNS1_11target_archE1100ELNS1_3gpuE3ELNS1_3repE0EEENS1_30default_config_static_selectorELNS0_4arch9wavefront6targetE0EEEvT1_.uses_flat_scratch, 0
	.set _ZN7rocprim17ROCPRIM_400000_NS6detail17trampoline_kernelINS0_14default_configENS1_27scan_by_key_config_selectorIssEEZZNS1_16scan_by_key_implILNS1_25lookback_scan_determinismE0ELb1ES3_N6thrust23THRUST_200600_302600_NS6detail15normal_iteratorINS9_10device_ptrIsEEEESE_SE_sNS9_4plusIsEE19head_flag_predicatesEE10hipError_tPvRmT2_T3_T4_T5_mT6_T7_P12ihipStream_tbENKUlT_T0_E_clISt17integral_constantIbLb1EESX_IbLb0EEEEDaST_SU_EUlST_E_NS1_11comp_targetILNS1_3genE9ELNS1_11target_archE1100ELNS1_3gpuE3ELNS1_3repE0EEENS1_30default_config_static_selectorELNS0_4arch9wavefront6targetE0EEEvT1_.has_dyn_sized_stack, 0
	.set _ZN7rocprim17ROCPRIM_400000_NS6detail17trampoline_kernelINS0_14default_configENS1_27scan_by_key_config_selectorIssEEZZNS1_16scan_by_key_implILNS1_25lookback_scan_determinismE0ELb1ES3_N6thrust23THRUST_200600_302600_NS6detail15normal_iteratorINS9_10device_ptrIsEEEESE_SE_sNS9_4plusIsEE19head_flag_predicatesEE10hipError_tPvRmT2_T3_T4_T5_mT6_T7_P12ihipStream_tbENKUlT_T0_E_clISt17integral_constantIbLb1EESX_IbLb0EEEEDaST_SU_EUlST_E_NS1_11comp_targetILNS1_3genE9ELNS1_11target_archE1100ELNS1_3gpuE3ELNS1_3repE0EEENS1_30default_config_static_selectorELNS0_4arch9wavefront6targetE0EEEvT1_.has_recursion, 0
	.set _ZN7rocprim17ROCPRIM_400000_NS6detail17trampoline_kernelINS0_14default_configENS1_27scan_by_key_config_selectorIssEEZZNS1_16scan_by_key_implILNS1_25lookback_scan_determinismE0ELb1ES3_N6thrust23THRUST_200600_302600_NS6detail15normal_iteratorINS9_10device_ptrIsEEEESE_SE_sNS9_4plusIsEE19head_flag_predicatesEE10hipError_tPvRmT2_T3_T4_T5_mT6_T7_P12ihipStream_tbENKUlT_T0_E_clISt17integral_constantIbLb1EESX_IbLb0EEEEDaST_SU_EUlST_E_NS1_11comp_targetILNS1_3genE9ELNS1_11target_archE1100ELNS1_3gpuE3ELNS1_3repE0EEENS1_30default_config_static_selectorELNS0_4arch9wavefront6targetE0EEEvT1_.has_indirect_call, 0
	.section	.AMDGPU.csdata,"",@progbits
; Kernel info:
; codeLenInByte = 0
; TotalNumSgprs: 0
; NumVgprs: 0
; ScratchSize: 0
; MemoryBound: 0
; FloatMode: 240
; IeeeMode: 1
; LDSByteSize: 0 bytes/workgroup (compile time only)
; SGPRBlocks: 0
; VGPRBlocks: 0
; NumSGPRsForWavesPerEU: 1
; NumVGPRsForWavesPerEU: 1
; NamedBarCnt: 0
; Occupancy: 16
; WaveLimiterHint : 0
; COMPUTE_PGM_RSRC2:SCRATCH_EN: 0
; COMPUTE_PGM_RSRC2:USER_SGPR: 2
; COMPUTE_PGM_RSRC2:TRAP_HANDLER: 0
; COMPUTE_PGM_RSRC2:TGID_X_EN: 1
; COMPUTE_PGM_RSRC2:TGID_Y_EN: 0
; COMPUTE_PGM_RSRC2:TGID_Z_EN: 0
; COMPUTE_PGM_RSRC2:TIDIG_COMP_CNT: 0
	.section	.text._ZN7rocprim17ROCPRIM_400000_NS6detail17trampoline_kernelINS0_14default_configENS1_27scan_by_key_config_selectorIssEEZZNS1_16scan_by_key_implILNS1_25lookback_scan_determinismE0ELb1ES3_N6thrust23THRUST_200600_302600_NS6detail15normal_iteratorINS9_10device_ptrIsEEEESE_SE_sNS9_4plusIsEE19head_flag_predicatesEE10hipError_tPvRmT2_T3_T4_T5_mT6_T7_P12ihipStream_tbENKUlT_T0_E_clISt17integral_constantIbLb1EESX_IbLb0EEEEDaST_SU_EUlST_E_NS1_11comp_targetILNS1_3genE8ELNS1_11target_archE1030ELNS1_3gpuE2ELNS1_3repE0EEENS1_30default_config_static_selectorELNS0_4arch9wavefront6targetE0EEEvT1_,"axG",@progbits,_ZN7rocprim17ROCPRIM_400000_NS6detail17trampoline_kernelINS0_14default_configENS1_27scan_by_key_config_selectorIssEEZZNS1_16scan_by_key_implILNS1_25lookback_scan_determinismE0ELb1ES3_N6thrust23THRUST_200600_302600_NS6detail15normal_iteratorINS9_10device_ptrIsEEEESE_SE_sNS9_4plusIsEE19head_flag_predicatesEE10hipError_tPvRmT2_T3_T4_T5_mT6_T7_P12ihipStream_tbENKUlT_T0_E_clISt17integral_constantIbLb1EESX_IbLb0EEEEDaST_SU_EUlST_E_NS1_11comp_targetILNS1_3genE8ELNS1_11target_archE1030ELNS1_3gpuE2ELNS1_3repE0EEENS1_30default_config_static_selectorELNS0_4arch9wavefront6targetE0EEEvT1_,comdat
	.protected	_ZN7rocprim17ROCPRIM_400000_NS6detail17trampoline_kernelINS0_14default_configENS1_27scan_by_key_config_selectorIssEEZZNS1_16scan_by_key_implILNS1_25lookback_scan_determinismE0ELb1ES3_N6thrust23THRUST_200600_302600_NS6detail15normal_iteratorINS9_10device_ptrIsEEEESE_SE_sNS9_4plusIsEE19head_flag_predicatesEE10hipError_tPvRmT2_T3_T4_T5_mT6_T7_P12ihipStream_tbENKUlT_T0_E_clISt17integral_constantIbLb1EESX_IbLb0EEEEDaST_SU_EUlST_E_NS1_11comp_targetILNS1_3genE8ELNS1_11target_archE1030ELNS1_3gpuE2ELNS1_3repE0EEENS1_30default_config_static_selectorELNS0_4arch9wavefront6targetE0EEEvT1_ ; -- Begin function _ZN7rocprim17ROCPRIM_400000_NS6detail17trampoline_kernelINS0_14default_configENS1_27scan_by_key_config_selectorIssEEZZNS1_16scan_by_key_implILNS1_25lookback_scan_determinismE0ELb1ES3_N6thrust23THRUST_200600_302600_NS6detail15normal_iteratorINS9_10device_ptrIsEEEESE_SE_sNS9_4plusIsEE19head_flag_predicatesEE10hipError_tPvRmT2_T3_T4_T5_mT6_T7_P12ihipStream_tbENKUlT_T0_E_clISt17integral_constantIbLb1EESX_IbLb0EEEEDaST_SU_EUlST_E_NS1_11comp_targetILNS1_3genE8ELNS1_11target_archE1030ELNS1_3gpuE2ELNS1_3repE0EEENS1_30default_config_static_selectorELNS0_4arch9wavefront6targetE0EEEvT1_
	.globl	_ZN7rocprim17ROCPRIM_400000_NS6detail17trampoline_kernelINS0_14default_configENS1_27scan_by_key_config_selectorIssEEZZNS1_16scan_by_key_implILNS1_25lookback_scan_determinismE0ELb1ES3_N6thrust23THRUST_200600_302600_NS6detail15normal_iteratorINS9_10device_ptrIsEEEESE_SE_sNS9_4plusIsEE19head_flag_predicatesEE10hipError_tPvRmT2_T3_T4_T5_mT6_T7_P12ihipStream_tbENKUlT_T0_E_clISt17integral_constantIbLb1EESX_IbLb0EEEEDaST_SU_EUlST_E_NS1_11comp_targetILNS1_3genE8ELNS1_11target_archE1030ELNS1_3gpuE2ELNS1_3repE0EEENS1_30default_config_static_selectorELNS0_4arch9wavefront6targetE0EEEvT1_
	.p2align	8
	.type	_ZN7rocprim17ROCPRIM_400000_NS6detail17trampoline_kernelINS0_14default_configENS1_27scan_by_key_config_selectorIssEEZZNS1_16scan_by_key_implILNS1_25lookback_scan_determinismE0ELb1ES3_N6thrust23THRUST_200600_302600_NS6detail15normal_iteratorINS9_10device_ptrIsEEEESE_SE_sNS9_4plusIsEE19head_flag_predicatesEE10hipError_tPvRmT2_T3_T4_T5_mT6_T7_P12ihipStream_tbENKUlT_T0_E_clISt17integral_constantIbLb1EESX_IbLb0EEEEDaST_SU_EUlST_E_NS1_11comp_targetILNS1_3genE8ELNS1_11target_archE1030ELNS1_3gpuE2ELNS1_3repE0EEENS1_30default_config_static_selectorELNS0_4arch9wavefront6targetE0EEEvT1_,@function
_ZN7rocprim17ROCPRIM_400000_NS6detail17trampoline_kernelINS0_14default_configENS1_27scan_by_key_config_selectorIssEEZZNS1_16scan_by_key_implILNS1_25lookback_scan_determinismE0ELb1ES3_N6thrust23THRUST_200600_302600_NS6detail15normal_iteratorINS9_10device_ptrIsEEEESE_SE_sNS9_4plusIsEE19head_flag_predicatesEE10hipError_tPvRmT2_T3_T4_T5_mT6_T7_P12ihipStream_tbENKUlT_T0_E_clISt17integral_constantIbLb1EESX_IbLb0EEEEDaST_SU_EUlST_E_NS1_11comp_targetILNS1_3genE8ELNS1_11target_archE1030ELNS1_3gpuE2ELNS1_3repE0EEENS1_30default_config_static_selectorELNS0_4arch9wavefront6targetE0EEEvT1_: ; @_ZN7rocprim17ROCPRIM_400000_NS6detail17trampoline_kernelINS0_14default_configENS1_27scan_by_key_config_selectorIssEEZZNS1_16scan_by_key_implILNS1_25lookback_scan_determinismE0ELb1ES3_N6thrust23THRUST_200600_302600_NS6detail15normal_iteratorINS9_10device_ptrIsEEEESE_SE_sNS9_4plusIsEE19head_flag_predicatesEE10hipError_tPvRmT2_T3_T4_T5_mT6_T7_P12ihipStream_tbENKUlT_T0_E_clISt17integral_constantIbLb1EESX_IbLb0EEEEDaST_SU_EUlST_E_NS1_11comp_targetILNS1_3genE8ELNS1_11target_archE1030ELNS1_3gpuE2ELNS1_3repE0EEENS1_30default_config_static_selectorELNS0_4arch9wavefront6targetE0EEEvT1_
; %bb.0:
	.section	.rodata,"a",@progbits
	.p2align	6, 0x0
	.amdhsa_kernel _ZN7rocprim17ROCPRIM_400000_NS6detail17trampoline_kernelINS0_14default_configENS1_27scan_by_key_config_selectorIssEEZZNS1_16scan_by_key_implILNS1_25lookback_scan_determinismE0ELb1ES3_N6thrust23THRUST_200600_302600_NS6detail15normal_iteratorINS9_10device_ptrIsEEEESE_SE_sNS9_4plusIsEE19head_flag_predicatesEE10hipError_tPvRmT2_T3_T4_T5_mT6_T7_P12ihipStream_tbENKUlT_T0_E_clISt17integral_constantIbLb1EESX_IbLb0EEEEDaST_SU_EUlST_E_NS1_11comp_targetILNS1_3genE8ELNS1_11target_archE1030ELNS1_3gpuE2ELNS1_3repE0EEENS1_30default_config_static_selectorELNS0_4arch9wavefront6targetE0EEEvT1_
		.amdhsa_group_segment_fixed_size 0
		.amdhsa_private_segment_fixed_size 0
		.amdhsa_kernarg_size 112
		.amdhsa_user_sgpr_count 2
		.amdhsa_user_sgpr_dispatch_ptr 0
		.amdhsa_user_sgpr_queue_ptr 0
		.amdhsa_user_sgpr_kernarg_segment_ptr 1
		.amdhsa_user_sgpr_dispatch_id 0
		.amdhsa_user_sgpr_kernarg_preload_length 0
		.amdhsa_user_sgpr_kernarg_preload_offset 0
		.amdhsa_user_sgpr_private_segment_size 0
		.amdhsa_wavefront_size32 1
		.amdhsa_uses_dynamic_stack 0
		.amdhsa_enable_private_segment 0
		.amdhsa_system_sgpr_workgroup_id_x 1
		.amdhsa_system_sgpr_workgroup_id_y 0
		.amdhsa_system_sgpr_workgroup_id_z 0
		.amdhsa_system_sgpr_workgroup_info 0
		.amdhsa_system_vgpr_workitem_id 0
		.amdhsa_next_free_vgpr 1
		.amdhsa_next_free_sgpr 1
		.amdhsa_named_barrier_count 0
		.amdhsa_reserve_vcc 0
		.amdhsa_float_round_mode_32 0
		.amdhsa_float_round_mode_16_64 0
		.amdhsa_float_denorm_mode_32 3
		.amdhsa_float_denorm_mode_16_64 3
		.amdhsa_fp16_overflow 0
		.amdhsa_memory_ordered 1
		.amdhsa_forward_progress 1
		.amdhsa_inst_pref_size 0
		.amdhsa_round_robin_scheduling 0
		.amdhsa_exception_fp_ieee_invalid_op 0
		.amdhsa_exception_fp_denorm_src 0
		.amdhsa_exception_fp_ieee_div_zero 0
		.amdhsa_exception_fp_ieee_overflow 0
		.amdhsa_exception_fp_ieee_underflow 0
		.amdhsa_exception_fp_ieee_inexact 0
		.amdhsa_exception_int_div_zero 0
	.end_amdhsa_kernel
	.section	.text._ZN7rocprim17ROCPRIM_400000_NS6detail17trampoline_kernelINS0_14default_configENS1_27scan_by_key_config_selectorIssEEZZNS1_16scan_by_key_implILNS1_25lookback_scan_determinismE0ELb1ES3_N6thrust23THRUST_200600_302600_NS6detail15normal_iteratorINS9_10device_ptrIsEEEESE_SE_sNS9_4plusIsEE19head_flag_predicatesEE10hipError_tPvRmT2_T3_T4_T5_mT6_T7_P12ihipStream_tbENKUlT_T0_E_clISt17integral_constantIbLb1EESX_IbLb0EEEEDaST_SU_EUlST_E_NS1_11comp_targetILNS1_3genE8ELNS1_11target_archE1030ELNS1_3gpuE2ELNS1_3repE0EEENS1_30default_config_static_selectorELNS0_4arch9wavefront6targetE0EEEvT1_,"axG",@progbits,_ZN7rocprim17ROCPRIM_400000_NS6detail17trampoline_kernelINS0_14default_configENS1_27scan_by_key_config_selectorIssEEZZNS1_16scan_by_key_implILNS1_25lookback_scan_determinismE0ELb1ES3_N6thrust23THRUST_200600_302600_NS6detail15normal_iteratorINS9_10device_ptrIsEEEESE_SE_sNS9_4plusIsEE19head_flag_predicatesEE10hipError_tPvRmT2_T3_T4_T5_mT6_T7_P12ihipStream_tbENKUlT_T0_E_clISt17integral_constantIbLb1EESX_IbLb0EEEEDaST_SU_EUlST_E_NS1_11comp_targetILNS1_3genE8ELNS1_11target_archE1030ELNS1_3gpuE2ELNS1_3repE0EEENS1_30default_config_static_selectorELNS0_4arch9wavefront6targetE0EEEvT1_,comdat
.Lfunc_end883:
	.size	_ZN7rocprim17ROCPRIM_400000_NS6detail17trampoline_kernelINS0_14default_configENS1_27scan_by_key_config_selectorIssEEZZNS1_16scan_by_key_implILNS1_25lookback_scan_determinismE0ELb1ES3_N6thrust23THRUST_200600_302600_NS6detail15normal_iteratorINS9_10device_ptrIsEEEESE_SE_sNS9_4plusIsEE19head_flag_predicatesEE10hipError_tPvRmT2_T3_T4_T5_mT6_T7_P12ihipStream_tbENKUlT_T0_E_clISt17integral_constantIbLb1EESX_IbLb0EEEEDaST_SU_EUlST_E_NS1_11comp_targetILNS1_3genE8ELNS1_11target_archE1030ELNS1_3gpuE2ELNS1_3repE0EEENS1_30default_config_static_selectorELNS0_4arch9wavefront6targetE0EEEvT1_, .Lfunc_end883-_ZN7rocprim17ROCPRIM_400000_NS6detail17trampoline_kernelINS0_14default_configENS1_27scan_by_key_config_selectorIssEEZZNS1_16scan_by_key_implILNS1_25lookback_scan_determinismE0ELb1ES3_N6thrust23THRUST_200600_302600_NS6detail15normal_iteratorINS9_10device_ptrIsEEEESE_SE_sNS9_4plusIsEE19head_flag_predicatesEE10hipError_tPvRmT2_T3_T4_T5_mT6_T7_P12ihipStream_tbENKUlT_T0_E_clISt17integral_constantIbLb1EESX_IbLb0EEEEDaST_SU_EUlST_E_NS1_11comp_targetILNS1_3genE8ELNS1_11target_archE1030ELNS1_3gpuE2ELNS1_3repE0EEENS1_30default_config_static_selectorELNS0_4arch9wavefront6targetE0EEEvT1_
                                        ; -- End function
	.set _ZN7rocprim17ROCPRIM_400000_NS6detail17trampoline_kernelINS0_14default_configENS1_27scan_by_key_config_selectorIssEEZZNS1_16scan_by_key_implILNS1_25lookback_scan_determinismE0ELb1ES3_N6thrust23THRUST_200600_302600_NS6detail15normal_iteratorINS9_10device_ptrIsEEEESE_SE_sNS9_4plusIsEE19head_flag_predicatesEE10hipError_tPvRmT2_T3_T4_T5_mT6_T7_P12ihipStream_tbENKUlT_T0_E_clISt17integral_constantIbLb1EESX_IbLb0EEEEDaST_SU_EUlST_E_NS1_11comp_targetILNS1_3genE8ELNS1_11target_archE1030ELNS1_3gpuE2ELNS1_3repE0EEENS1_30default_config_static_selectorELNS0_4arch9wavefront6targetE0EEEvT1_.num_vgpr, 0
	.set _ZN7rocprim17ROCPRIM_400000_NS6detail17trampoline_kernelINS0_14default_configENS1_27scan_by_key_config_selectorIssEEZZNS1_16scan_by_key_implILNS1_25lookback_scan_determinismE0ELb1ES3_N6thrust23THRUST_200600_302600_NS6detail15normal_iteratorINS9_10device_ptrIsEEEESE_SE_sNS9_4plusIsEE19head_flag_predicatesEE10hipError_tPvRmT2_T3_T4_T5_mT6_T7_P12ihipStream_tbENKUlT_T0_E_clISt17integral_constantIbLb1EESX_IbLb0EEEEDaST_SU_EUlST_E_NS1_11comp_targetILNS1_3genE8ELNS1_11target_archE1030ELNS1_3gpuE2ELNS1_3repE0EEENS1_30default_config_static_selectorELNS0_4arch9wavefront6targetE0EEEvT1_.num_agpr, 0
	.set _ZN7rocprim17ROCPRIM_400000_NS6detail17trampoline_kernelINS0_14default_configENS1_27scan_by_key_config_selectorIssEEZZNS1_16scan_by_key_implILNS1_25lookback_scan_determinismE0ELb1ES3_N6thrust23THRUST_200600_302600_NS6detail15normal_iteratorINS9_10device_ptrIsEEEESE_SE_sNS9_4plusIsEE19head_flag_predicatesEE10hipError_tPvRmT2_T3_T4_T5_mT6_T7_P12ihipStream_tbENKUlT_T0_E_clISt17integral_constantIbLb1EESX_IbLb0EEEEDaST_SU_EUlST_E_NS1_11comp_targetILNS1_3genE8ELNS1_11target_archE1030ELNS1_3gpuE2ELNS1_3repE0EEENS1_30default_config_static_selectorELNS0_4arch9wavefront6targetE0EEEvT1_.numbered_sgpr, 0
	.set _ZN7rocprim17ROCPRIM_400000_NS6detail17trampoline_kernelINS0_14default_configENS1_27scan_by_key_config_selectorIssEEZZNS1_16scan_by_key_implILNS1_25lookback_scan_determinismE0ELb1ES3_N6thrust23THRUST_200600_302600_NS6detail15normal_iteratorINS9_10device_ptrIsEEEESE_SE_sNS9_4plusIsEE19head_flag_predicatesEE10hipError_tPvRmT2_T3_T4_T5_mT6_T7_P12ihipStream_tbENKUlT_T0_E_clISt17integral_constantIbLb1EESX_IbLb0EEEEDaST_SU_EUlST_E_NS1_11comp_targetILNS1_3genE8ELNS1_11target_archE1030ELNS1_3gpuE2ELNS1_3repE0EEENS1_30default_config_static_selectorELNS0_4arch9wavefront6targetE0EEEvT1_.num_named_barrier, 0
	.set _ZN7rocprim17ROCPRIM_400000_NS6detail17trampoline_kernelINS0_14default_configENS1_27scan_by_key_config_selectorIssEEZZNS1_16scan_by_key_implILNS1_25lookback_scan_determinismE0ELb1ES3_N6thrust23THRUST_200600_302600_NS6detail15normal_iteratorINS9_10device_ptrIsEEEESE_SE_sNS9_4plusIsEE19head_flag_predicatesEE10hipError_tPvRmT2_T3_T4_T5_mT6_T7_P12ihipStream_tbENKUlT_T0_E_clISt17integral_constantIbLb1EESX_IbLb0EEEEDaST_SU_EUlST_E_NS1_11comp_targetILNS1_3genE8ELNS1_11target_archE1030ELNS1_3gpuE2ELNS1_3repE0EEENS1_30default_config_static_selectorELNS0_4arch9wavefront6targetE0EEEvT1_.private_seg_size, 0
	.set _ZN7rocprim17ROCPRIM_400000_NS6detail17trampoline_kernelINS0_14default_configENS1_27scan_by_key_config_selectorIssEEZZNS1_16scan_by_key_implILNS1_25lookback_scan_determinismE0ELb1ES3_N6thrust23THRUST_200600_302600_NS6detail15normal_iteratorINS9_10device_ptrIsEEEESE_SE_sNS9_4plusIsEE19head_flag_predicatesEE10hipError_tPvRmT2_T3_T4_T5_mT6_T7_P12ihipStream_tbENKUlT_T0_E_clISt17integral_constantIbLb1EESX_IbLb0EEEEDaST_SU_EUlST_E_NS1_11comp_targetILNS1_3genE8ELNS1_11target_archE1030ELNS1_3gpuE2ELNS1_3repE0EEENS1_30default_config_static_selectorELNS0_4arch9wavefront6targetE0EEEvT1_.uses_vcc, 0
	.set _ZN7rocprim17ROCPRIM_400000_NS6detail17trampoline_kernelINS0_14default_configENS1_27scan_by_key_config_selectorIssEEZZNS1_16scan_by_key_implILNS1_25lookback_scan_determinismE0ELb1ES3_N6thrust23THRUST_200600_302600_NS6detail15normal_iteratorINS9_10device_ptrIsEEEESE_SE_sNS9_4plusIsEE19head_flag_predicatesEE10hipError_tPvRmT2_T3_T4_T5_mT6_T7_P12ihipStream_tbENKUlT_T0_E_clISt17integral_constantIbLb1EESX_IbLb0EEEEDaST_SU_EUlST_E_NS1_11comp_targetILNS1_3genE8ELNS1_11target_archE1030ELNS1_3gpuE2ELNS1_3repE0EEENS1_30default_config_static_selectorELNS0_4arch9wavefront6targetE0EEEvT1_.uses_flat_scratch, 0
	.set _ZN7rocprim17ROCPRIM_400000_NS6detail17trampoline_kernelINS0_14default_configENS1_27scan_by_key_config_selectorIssEEZZNS1_16scan_by_key_implILNS1_25lookback_scan_determinismE0ELb1ES3_N6thrust23THRUST_200600_302600_NS6detail15normal_iteratorINS9_10device_ptrIsEEEESE_SE_sNS9_4plusIsEE19head_flag_predicatesEE10hipError_tPvRmT2_T3_T4_T5_mT6_T7_P12ihipStream_tbENKUlT_T0_E_clISt17integral_constantIbLb1EESX_IbLb0EEEEDaST_SU_EUlST_E_NS1_11comp_targetILNS1_3genE8ELNS1_11target_archE1030ELNS1_3gpuE2ELNS1_3repE0EEENS1_30default_config_static_selectorELNS0_4arch9wavefront6targetE0EEEvT1_.has_dyn_sized_stack, 0
	.set _ZN7rocprim17ROCPRIM_400000_NS6detail17trampoline_kernelINS0_14default_configENS1_27scan_by_key_config_selectorIssEEZZNS1_16scan_by_key_implILNS1_25lookback_scan_determinismE0ELb1ES3_N6thrust23THRUST_200600_302600_NS6detail15normal_iteratorINS9_10device_ptrIsEEEESE_SE_sNS9_4plusIsEE19head_flag_predicatesEE10hipError_tPvRmT2_T3_T4_T5_mT6_T7_P12ihipStream_tbENKUlT_T0_E_clISt17integral_constantIbLb1EESX_IbLb0EEEEDaST_SU_EUlST_E_NS1_11comp_targetILNS1_3genE8ELNS1_11target_archE1030ELNS1_3gpuE2ELNS1_3repE0EEENS1_30default_config_static_selectorELNS0_4arch9wavefront6targetE0EEEvT1_.has_recursion, 0
	.set _ZN7rocprim17ROCPRIM_400000_NS6detail17trampoline_kernelINS0_14default_configENS1_27scan_by_key_config_selectorIssEEZZNS1_16scan_by_key_implILNS1_25lookback_scan_determinismE0ELb1ES3_N6thrust23THRUST_200600_302600_NS6detail15normal_iteratorINS9_10device_ptrIsEEEESE_SE_sNS9_4plusIsEE19head_flag_predicatesEE10hipError_tPvRmT2_T3_T4_T5_mT6_T7_P12ihipStream_tbENKUlT_T0_E_clISt17integral_constantIbLb1EESX_IbLb0EEEEDaST_SU_EUlST_E_NS1_11comp_targetILNS1_3genE8ELNS1_11target_archE1030ELNS1_3gpuE2ELNS1_3repE0EEENS1_30default_config_static_selectorELNS0_4arch9wavefront6targetE0EEEvT1_.has_indirect_call, 0
	.section	.AMDGPU.csdata,"",@progbits
; Kernel info:
; codeLenInByte = 0
; TotalNumSgprs: 0
; NumVgprs: 0
; ScratchSize: 0
; MemoryBound: 0
; FloatMode: 240
; IeeeMode: 1
; LDSByteSize: 0 bytes/workgroup (compile time only)
; SGPRBlocks: 0
; VGPRBlocks: 0
; NumSGPRsForWavesPerEU: 1
; NumVGPRsForWavesPerEU: 1
; NamedBarCnt: 0
; Occupancy: 16
; WaveLimiterHint : 0
; COMPUTE_PGM_RSRC2:SCRATCH_EN: 0
; COMPUTE_PGM_RSRC2:USER_SGPR: 2
; COMPUTE_PGM_RSRC2:TRAP_HANDLER: 0
; COMPUTE_PGM_RSRC2:TGID_X_EN: 1
; COMPUTE_PGM_RSRC2:TGID_Y_EN: 0
; COMPUTE_PGM_RSRC2:TGID_Z_EN: 0
; COMPUTE_PGM_RSRC2:TIDIG_COMP_CNT: 0
	.section	.text._ZN7rocprim17ROCPRIM_400000_NS6detail17trampoline_kernelINS0_14default_configENS1_27scan_by_key_config_selectorIssEEZZNS1_16scan_by_key_implILNS1_25lookback_scan_determinismE0ELb1ES3_N6thrust23THRUST_200600_302600_NS6detail15normal_iteratorINS9_10device_ptrIsEEEESE_SE_sNS9_4plusIsEE19head_flag_predicatesEE10hipError_tPvRmT2_T3_T4_T5_mT6_T7_P12ihipStream_tbENKUlT_T0_E_clISt17integral_constantIbLb0EESX_IbLb1EEEEDaST_SU_EUlST_E_NS1_11comp_targetILNS1_3genE0ELNS1_11target_archE4294967295ELNS1_3gpuE0ELNS1_3repE0EEENS1_30default_config_static_selectorELNS0_4arch9wavefront6targetE0EEEvT1_,"axG",@progbits,_ZN7rocprim17ROCPRIM_400000_NS6detail17trampoline_kernelINS0_14default_configENS1_27scan_by_key_config_selectorIssEEZZNS1_16scan_by_key_implILNS1_25lookback_scan_determinismE0ELb1ES3_N6thrust23THRUST_200600_302600_NS6detail15normal_iteratorINS9_10device_ptrIsEEEESE_SE_sNS9_4plusIsEE19head_flag_predicatesEE10hipError_tPvRmT2_T3_T4_T5_mT6_T7_P12ihipStream_tbENKUlT_T0_E_clISt17integral_constantIbLb0EESX_IbLb1EEEEDaST_SU_EUlST_E_NS1_11comp_targetILNS1_3genE0ELNS1_11target_archE4294967295ELNS1_3gpuE0ELNS1_3repE0EEENS1_30default_config_static_selectorELNS0_4arch9wavefront6targetE0EEEvT1_,comdat
	.protected	_ZN7rocprim17ROCPRIM_400000_NS6detail17trampoline_kernelINS0_14default_configENS1_27scan_by_key_config_selectorIssEEZZNS1_16scan_by_key_implILNS1_25lookback_scan_determinismE0ELb1ES3_N6thrust23THRUST_200600_302600_NS6detail15normal_iteratorINS9_10device_ptrIsEEEESE_SE_sNS9_4plusIsEE19head_flag_predicatesEE10hipError_tPvRmT2_T3_T4_T5_mT6_T7_P12ihipStream_tbENKUlT_T0_E_clISt17integral_constantIbLb0EESX_IbLb1EEEEDaST_SU_EUlST_E_NS1_11comp_targetILNS1_3genE0ELNS1_11target_archE4294967295ELNS1_3gpuE0ELNS1_3repE0EEENS1_30default_config_static_selectorELNS0_4arch9wavefront6targetE0EEEvT1_ ; -- Begin function _ZN7rocprim17ROCPRIM_400000_NS6detail17trampoline_kernelINS0_14default_configENS1_27scan_by_key_config_selectorIssEEZZNS1_16scan_by_key_implILNS1_25lookback_scan_determinismE0ELb1ES3_N6thrust23THRUST_200600_302600_NS6detail15normal_iteratorINS9_10device_ptrIsEEEESE_SE_sNS9_4plusIsEE19head_flag_predicatesEE10hipError_tPvRmT2_T3_T4_T5_mT6_T7_P12ihipStream_tbENKUlT_T0_E_clISt17integral_constantIbLb0EESX_IbLb1EEEEDaST_SU_EUlST_E_NS1_11comp_targetILNS1_3genE0ELNS1_11target_archE4294967295ELNS1_3gpuE0ELNS1_3repE0EEENS1_30default_config_static_selectorELNS0_4arch9wavefront6targetE0EEEvT1_
	.globl	_ZN7rocprim17ROCPRIM_400000_NS6detail17trampoline_kernelINS0_14default_configENS1_27scan_by_key_config_selectorIssEEZZNS1_16scan_by_key_implILNS1_25lookback_scan_determinismE0ELb1ES3_N6thrust23THRUST_200600_302600_NS6detail15normal_iteratorINS9_10device_ptrIsEEEESE_SE_sNS9_4plusIsEE19head_flag_predicatesEE10hipError_tPvRmT2_T3_T4_T5_mT6_T7_P12ihipStream_tbENKUlT_T0_E_clISt17integral_constantIbLb0EESX_IbLb1EEEEDaST_SU_EUlST_E_NS1_11comp_targetILNS1_3genE0ELNS1_11target_archE4294967295ELNS1_3gpuE0ELNS1_3repE0EEENS1_30default_config_static_selectorELNS0_4arch9wavefront6targetE0EEEvT1_
	.p2align	8
	.type	_ZN7rocprim17ROCPRIM_400000_NS6detail17trampoline_kernelINS0_14default_configENS1_27scan_by_key_config_selectorIssEEZZNS1_16scan_by_key_implILNS1_25lookback_scan_determinismE0ELb1ES3_N6thrust23THRUST_200600_302600_NS6detail15normal_iteratorINS9_10device_ptrIsEEEESE_SE_sNS9_4plusIsEE19head_flag_predicatesEE10hipError_tPvRmT2_T3_T4_T5_mT6_T7_P12ihipStream_tbENKUlT_T0_E_clISt17integral_constantIbLb0EESX_IbLb1EEEEDaST_SU_EUlST_E_NS1_11comp_targetILNS1_3genE0ELNS1_11target_archE4294967295ELNS1_3gpuE0ELNS1_3repE0EEENS1_30default_config_static_selectorELNS0_4arch9wavefront6targetE0EEEvT1_,@function
_ZN7rocprim17ROCPRIM_400000_NS6detail17trampoline_kernelINS0_14default_configENS1_27scan_by_key_config_selectorIssEEZZNS1_16scan_by_key_implILNS1_25lookback_scan_determinismE0ELb1ES3_N6thrust23THRUST_200600_302600_NS6detail15normal_iteratorINS9_10device_ptrIsEEEESE_SE_sNS9_4plusIsEE19head_flag_predicatesEE10hipError_tPvRmT2_T3_T4_T5_mT6_T7_P12ihipStream_tbENKUlT_T0_E_clISt17integral_constantIbLb0EESX_IbLb1EEEEDaST_SU_EUlST_E_NS1_11comp_targetILNS1_3genE0ELNS1_11target_archE4294967295ELNS1_3gpuE0ELNS1_3repE0EEENS1_30default_config_static_selectorELNS0_4arch9wavefront6targetE0EEEvT1_: ; @_ZN7rocprim17ROCPRIM_400000_NS6detail17trampoline_kernelINS0_14default_configENS1_27scan_by_key_config_selectorIssEEZZNS1_16scan_by_key_implILNS1_25lookback_scan_determinismE0ELb1ES3_N6thrust23THRUST_200600_302600_NS6detail15normal_iteratorINS9_10device_ptrIsEEEESE_SE_sNS9_4plusIsEE19head_flag_predicatesEE10hipError_tPvRmT2_T3_T4_T5_mT6_T7_P12ihipStream_tbENKUlT_T0_E_clISt17integral_constantIbLb0EESX_IbLb1EEEEDaST_SU_EUlST_E_NS1_11comp_targetILNS1_3genE0ELNS1_11target_archE4294967295ELNS1_3gpuE0ELNS1_3repE0EEENS1_30default_config_static_selectorELNS0_4arch9wavefront6targetE0EEEvT1_
; %bb.0:
	s_clause 0x2
	s_load_b32 s33, s[0:1], 0x20
	s_load_b128 s[28:31], s[0:1], 0x28
	s_load_b64 s[40:41], s[0:1], 0x38
	v_cmp_ne_u32_e64 s3, 0, v0
	v_cmp_eq_u32_e64 s2, 0, v0
	s_and_saveexec_b32 s4, s2
	s_cbranch_execz .LBB884_4
; %bb.1:
	s_mov_b32 s6, exec_lo
	s_mov_b32 s5, exec_lo
	v_mbcnt_lo_u32_b32 v1, s6, 0
                                        ; implicit-def: $vgpr2
	s_delay_alu instid0(VALU_DEP_1)
	v_cmpx_eq_u32_e32 0, v1
	s_cbranch_execz .LBB884_3
; %bb.2:
	s_load_b64 s[8:9], s[0:1], 0x68
	s_bcnt1_i32_b32 s6, s6
	s_delay_alu instid0(SALU_CYCLE_1)
	v_dual_mov_b32 v2, 0 :: v_dual_mov_b32 v3, s6
	s_wait_xcnt 0x0
	s_wait_kmcnt 0x0
	global_atomic_add_u32 v2, v2, v3, s[8:9] th:TH_ATOMIC_RETURN scope:SCOPE_DEV
.LBB884_3:
	s_wait_xcnt 0x0
	s_or_b32 exec_lo, exec_lo, s5
	s_wait_loadcnt 0x0
	v_readfirstlane_b32 s5, v2
	s_delay_alu instid0(VALU_DEP_1)
	v_dual_mov_b32 v2, 0 :: v_dual_add_nc_u32 v1, s5, v1
	ds_store_b32 v2, v1
.LBB884_4:
	s_or_b32 exec_lo, exec_lo, s4
	v_mov_b32_e32 v19, 0
	s_clause 0x2
	s_load_b256 s[20:27], s[0:1], 0x0
	s_load_b32 s4, s[0:1], 0x40
	s_load_b128 s[36:39], s[0:1], 0x48
	s_wait_dscnt 0x0
	s_barrier_signal -1
	s_barrier_wait -1
	ds_load_b32 v18, v19
	s_mov_b32 s5, 0
	s_wait_dscnt 0x0
	s_barrier_signal -1
	s_barrier_wait -1
	s_barrier_signal -1
	s_barrier_wait -1
	s_wait_kmcnt 0x0
	s_lshl_b64 s[34:35], s[22:23], 1
	s_mul_u64 s[0:1], s[40:41], s[4:5]
	s_add_nc_u64 s[10:11], s[36:37], -1
	s_add_nc_u64 s[6:7], s[20:21], s[34:35]
	s_add_nc_u64 s[8:9], s[24:25], s[34:35]
	s_mul_i32 s23, s10, 0xffffec00
	v_add_nc_u64_e32 v[2:3], s[0:1], v[18:19]
	v_readfirstlane_b32 s1, v18
	s_mul_i32 s4, s1, 0x1400
	v_cmp_le_u64_e64 s0, s[10:11], v[2:3]
	s_lshl_b64 s[24:25], s[4:5], 1
	s_delay_alu instid0(SALU_CYCLE_1)
	s_add_nc_u64 s[42:43], s[6:7], s[24:25]
	s_add_nc_u64 s[36:37], s[8:9], s[24:25]
	s_and_b32 vcc_lo, exec_lo, s0
	s_cbranch_vccz .LBB884_110
; %bb.5:
	flat_load_u16 v2, v19, s[42:43]
	s_add_co_i32 s31, s23, s30
	s_delay_alu instid0(SALU_CYCLE_1)
	v_cmp_gt_u32_e32 vcc_lo, s31, v0
	s_wait_loadcnt_dscnt 0x0
	v_mov_b32_e32 v3, v2
	s_and_saveexec_b32 s1, vcc_lo
	s_cbranch_execz .LBB884_7
; %bb.6:
	flat_load_u16 v3, v0, s[42:43] scale_offset
.LBB884_7:
	s_wait_xcnt 0x0
	s_or_b32 exec_lo, exec_lo, s1
	v_or_b32_e32 v1, 0x100, v0
	v_mov_b32_e32 v4, v2
	s_delay_alu instid0(VALU_DEP_2)
	v_cmp_gt_u32_e64 s1, s31, v1
	s_and_saveexec_b32 s4, s1
	s_cbranch_execz .LBB884_9
; %bb.8:
	flat_load_u16 v4, v0, s[42:43] offset:512 scale_offset
.LBB884_9:
	s_wait_xcnt 0x0
	s_or_b32 exec_lo, exec_lo, s4
	v_or_b32_e32 v1, 0x200, v0
	v_mov_b32_e32 v5, v2
	s_delay_alu instid0(VALU_DEP_2)
	v_cmp_gt_u32_e64 s4, s31, v1
	s_and_saveexec_b32 s5, s4
	s_cbranch_execz .LBB884_11
; %bb.10:
	flat_load_u16 v5, v0, s[42:43] offset:1024 scale_offset
.LBB884_11:
	;; [unrolled: 11-line block ×18, first 2 shown]
	s_wait_xcnt 0x0
	s_or_b32 exec_lo, exec_lo, s21
	v_or_b32_e32 v1, 0x1300, v0
	s_delay_alu instid0(VALU_DEP_1) | instskip(SKIP_2) | instid1(SALU_CYCLE_1)
	v_cmp_gt_u32_e64 s21, s31, v1
	v_cmp_le_u32_e64 s22, s31, v1
	s_and_saveexec_b32 s44, s22
	s_xor_b32 s22, exec_lo, s44
	s_delay_alu instid0(SALU_CYCLE_1)
	s_and_not1_saveexec_b32 s22, s22
	s_cbranch_execz .LBB884_45
; %bb.44:
	flat_load_u16 v2, v0, s[42:43] offset:9728 scale_offset
.LBB884_45:
	s_wait_xcnt 0x0
	s_or_b32 exec_lo, exec_lo, s22
	v_lshlrev_b32_e32 v1, 1, v0
	s_mov_b32 s44, exec_lo
	s_wait_loadcnt_dscnt 0x0
	ds_store_b16 v1, v3
	ds_store_b16 v1, v4 offset:512
	ds_store_b16 v1, v5 offset:1024
	;; [unrolled: 1-line block ×19, first 2 shown]
	v_mov_b32_e32 v2, 0
	s_wait_dscnt 0x0
	s_barrier_signal -1
	s_barrier_wait -1
	flat_load_u16 v51, v2, s[42:43]
	v_mad_u32_u24 v52, v0, 38, v1
	ds_load_2addr_b64 v[6:9], v52 offset1:1
	s_wait_xcnt 0x0
	ds_load_2addr_b64 v[2:5], v52 offset0:2 offset1:3
	ds_load_b64 v[14:15], v52 offset:32
	v_mad_i32_i24 v10, 0xffffffda, v0, v52
	s_wait_dscnt 0x2
	ds_store_b16 v10, v6 offset:10752
	s_wait_loadcnt_dscnt 0x0
	s_barrier_signal -1
	s_barrier_wait -1
	v_cmpx_ne_u32_e32 0xff, v0
; %bb.46:
	v_mul_i32_i24_e32 v10, 0xffffffda, v0
	s_delay_alu instid0(VALU_DEP_1)
	v_add_nc_u32_e32 v10, v52, v10
	ds_load_u16 v51, v10 offset:10754
; %bb.47:
	s_or_b32 exec_lo, exec_lo, s44
	s_wait_dscnt 0x0
	s_barrier_signal -1
	s_barrier_wait -1
                                        ; implicit-def: $vgpr10
	s_and_saveexec_b32 s22, vcc_lo
	s_cbranch_execz .LBB884_168
; %bb.48:
	flat_load_u16 v10, v0, s[36:37] scale_offset
	s_wait_xcnt 0x0
	s_or_b32 exec_lo, exec_lo, s22
                                        ; implicit-def: $vgpr11
	s_and_saveexec_b32 s22, s1
	s_cbranch_execnz .LBB884_169
.LBB884_49:
	s_or_b32 exec_lo, exec_lo, s22
                                        ; implicit-def: $vgpr12
	s_and_saveexec_b32 s1, s4
	s_cbranch_execz .LBB884_170
.LBB884_50:
	flat_load_u16 v12, v0, s[36:37] offset:1024 scale_offset
	s_wait_xcnt 0x0
	s_or_b32 exec_lo, exec_lo, s1
                                        ; implicit-def: $vgpr13
	s_and_saveexec_b32 s1, s5
	s_cbranch_execnz .LBB884_171
.LBB884_51:
	s_or_b32 exec_lo, exec_lo, s1
                                        ; implicit-def: $vgpr16
	s_and_saveexec_b32 s1, s6
	s_cbranch_execz .LBB884_172
.LBB884_52:
	flat_load_u16 v16, v0, s[36:37] offset:2048 scale_offset
	s_wait_xcnt 0x0
	s_or_b32 exec_lo, exec_lo, s1
                                        ; implicit-def: $vgpr17
	s_and_saveexec_b32 s1, s7
	s_cbranch_execnz .LBB884_173
.LBB884_53:
	s_or_b32 exec_lo, exec_lo, s1
                                        ; implicit-def: $vgpr19
	s_and_saveexec_b32 s1, s8
	s_cbranch_execz .LBB884_174
.LBB884_54:
	flat_load_u16 v19, v0, s[36:37] offset:3072 scale_offset
	s_wait_xcnt 0x0
	s_or_b32 exec_lo, exec_lo, s1
                                        ; implicit-def: $vgpr20
	s_and_saveexec_b32 s1, s9
	s_cbranch_execnz .LBB884_175
.LBB884_55:
	s_or_b32 exec_lo, exec_lo, s1
                                        ; implicit-def: $vgpr21
	s_and_saveexec_b32 s1, s10
	s_cbranch_execz .LBB884_176
.LBB884_56:
	flat_load_u16 v21, v0, s[36:37] offset:4096 scale_offset
	s_wait_xcnt 0x0
	s_or_b32 exec_lo, exec_lo, s1
                                        ; implicit-def: $vgpr22
	s_and_saveexec_b32 s1, s11
	s_cbranch_execnz .LBB884_177
.LBB884_57:
	s_or_b32 exec_lo, exec_lo, s1
                                        ; implicit-def: $vgpr23
	s_and_saveexec_b32 s1, s12
	s_cbranch_execz .LBB884_178
.LBB884_58:
	flat_load_u16 v23, v0, s[36:37] offset:5120 scale_offset
	s_wait_xcnt 0x0
	s_or_b32 exec_lo, exec_lo, s1
                                        ; implicit-def: $vgpr24
	s_and_saveexec_b32 s1, s13
	s_cbranch_execnz .LBB884_179
.LBB884_59:
	s_or_b32 exec_lo, exec_lo, s1
                                        ; implicit-def: $vgpr25
	s_and_saveexec_b32 s1, s14
	s_cbranch_execz .LBB884_180
.LBB884_60:
	flat_load_u16 v25, v0, s[36:37] offset:6144 scale_offset
	s_wait_xcnt 0x0
	s_or_b32 exec_lo, exec_lo, s1
                                        ; implicit-def: $vgpr26
	s_and_saveexec_b32 s1, s15
	s_cbranch_execnz .LBB884_181
.LBB884_61:
	s_or_b32 exec_lo, exec_lo, s1
                                        ; implicit-def: $vgpr27
	s_and_saveexec_b32 s1, s16
	s_cbranch_execz .LBB884_182
.LBB884_62:
	flat_load_u16 v27, v0, s[36:37] offset:7168 scale_offset
	s_wait_xcnt 0x0
	s_or_b32 exec_lo, exec_lo, s1
                                        ; implicit-def: $vgpr28
	s_and_saveexec_b32 s1, s17
	s_cbranch_execnz .LBB884_183
.LBB884_63:
	s_or_b32 exec_lo, exec_lo, s1
                                        ; implicit-def: $vgpr29
	s_and_saveexec_b32 s1, s18
	s_cbranch_execz .LBB884_184
.LBB884_64:
	flat_load_u16 v29, v0, s[36:37] offset:8192 scale_offset
	s_wait_xcnt 0x0
	s_or_b32 exec_lo, exec_lo, s1
                                        ; implicit-def: $vgpr30
	s_and_saveexec_b32 s1, s19
	s_cbranch_execnz .LBB884_185
.LBB884_65:
	s_or_b32 exec_lo, exec_lo, s1
                                        ; implicit-def: $vgpr31
	s_and_saveexec_b32 s1, s20
	s_cbranch_execz .LBB884_67
.LBB884_66:
	flat_load_u16 v31, v0, s[36:37] offset:9216 scale_offset
.LBB884_67:
	s_wait_xcnt 0x0
	s_or_b32 exec_lo, exec_lo, s1
	v_mul_u32_u24_e32 v55, 20, v0
                                        ; implicit-def: $vgpr32
	s_and_saveexec_b32 s1, s21
	s_cbranch_execz .LBB884_69
; %bb.68:
	flat_load_u16 v32, v0, s[36:37] offset:9728 scale_offset
.LBB884_69:
	s_wait_xcnt 0x0
	s_or_b32 exec_lo, exec_lo, s1
	s_wait_loadcnt_dscnt 0x0
	ds_store_b16 v1, v10
	ds_store_b16 v1, v11 offset:512
	ds_store_b16 v1, v12 offset:1024
	ds_store_b16 v1, v13 offset:1536
	ds_store_b16 v1, v16 offset:2048
	ds_store_b16 v1, v17 offset:2560
	ds_store_b16 v1, v19 offset:3072
	ds_store_b16 v1, v20 offset:3584
	ds_store_b16 v1, v21 offset:4096
	ds_store_b16 v1, v22 offset:4608
	ds_store_b16 v1, v23 offset:5120
	ds_store_b16 v1, v24 offset:5632
	ds_store_b16 v1, v25 offset:6144
	ds_store_b16 v1, v26 offset:6656
	ds_store_b16 v1, v27 offset:7168
	ds_store_b16 v1, v28 offset:7680
	ds_store_b16 v1, v29 offset:8192
	ds_store_b16 v1, v30 offset:8704
	ds_store_b16 v1, v31 offset:9216
	ds_store_b16 v1, v32 offset:9728
	v_cmp_gt_u32_e32 vcc_lo, s31, v55
	v_dual_mov_b32 v32, 0 :: v_dual_mov_b32 v40, 0
	v_dual_mov_b32 v56, 0 :: v_dual_mov_b32 v48, 0
	v_dual_mov_b32 v54, 0 :: v_dual_mov_b32 v53, 0
	v_dual_mov_b32 v50, 0 :: v_dual_mov_b32 v49, 0
	v_dual_mov_b32 v47, 0 :: v_dual_mov_b32 v46, 0
	v_dual_mov_b32 v44, 0 :: v_dual_mov_b32 v43, 0
	v_dual_mov_b32 v42, 0 :: v_dual_mov_b32 v39, 0
	v_dual_mov_b32 v38, 0 :: v_dual_mov_b32 v37, 0
	v_dual_mov_b32 v36, 0 :: v_dual_mov_b32 v35, 0
	v_dual_mov_b32 v34, 0 :: v_dual_mov_b32 v11, 0
	v_dual_mov_b32 v10, 0 :: v_dual_mov_b32 v33, 0
	v_dual_mov_b32 v31, 0 :: v_dual_mov_b32 v30, 0
	v_dual_mov_b32 v29, 0 :: v_dual_mov_b32 v28, 0
	v_dual_mov_b32 v27, 0 :: v_dual_mov_b32 v26, 0
	v_dual_mov_b32 v25, 0 :: v_dual_mov_b32 v24, 0
	v_dual_mov_b32 v23, 0 :: v_dual_mov_b32 v22, 0
	v_dual_mov_b32 v21, 0 :: v_dual_mov_b32 v19, 0
	v_dual_mov_b32 v17, 0 :: v_dual_mov_b32 v16, 0
	v_mov_b32_e32 v1, 0
	s_mov_b32 s4, 0
	s_mov_b32 s5, 0
	s_wait_dscnt 0x0
	s_barrier_signal -1
	s_barrier_wait -1
                                        ; implicit-def: $sgpr8
                                        ; implicit-def: $vgpr45
	s_and_saveexec_b32 s6, vcc_lo
	s_cbranch_execz .LBB884_109
; %bb.70:
	ds_load_u16 v1, v52
	v_dual_lshrrev_b32 v6, 16, v6 :: v_dual_mov_b32 v40, 0
	v_dual_mov_b32 v56, 0 :: v_dual_bitop2_b32 v10, 1, v55 bitop3:0x54
	v_dual_mov_b32 v48, 0 :: v_dual_mov_b32 v54, 0
	s_delay_alu instid0(VALU_DEP_3)
	v_cmp_eq_u16_e32 vcc_lo, 0, v6
	v_dual_mov_b32 v53, 0 :: v_dual_mov_b32 v50, 0
	v_dual_mov_b32 v49, 0 :: v_dual_mov_b32 v47, 0
	;; [unrolled: 1-line block ×6, first 2 shown]
	s_wait_dscnt 0x0
	v_dual_cndmask_b32 v1, s33, v1, vcc_lo :: v_dual_mov_b32 v35, 0
	v_mov_b32_e32 v34, 0
	v_cmp_gt_u32_e64 s1, s31, v10
	v_cndmask_b32_e64 v20, 0x10000, 0, vcc_lo
	s_delay_alu instid0(VALU_DEP_4)
	v_and_b32_e32 v32, 0xffff, v1
	v_dual_mov_b32 v10, 0 :: v_dual_mov_b32 v33, 0
	v_dual_mov_b32 v31, 0 :: v_dual_mov_b32 v30, 0
	;; [unrolled: 1-line block ×8, first 2 shown]
	v_mov_b32_e32 v1, 0
	s_mov_b32 s7, 0
                                        ; implicit-def: $sgpr8
                                        ; implicit-def: $vgpr45
	s_and_saveexec_b32 s5, s1
	s_cbranch_execz .LBB884_108
; %bb.71:
	ds_load_b128 v[10:13], v52 offset:2
	v_cmp_eq_u16_e32 vcc_lo, 0, v7
	v_dual_mov_b32 v56, 0 :: v_dual_bitop2_b32 v1, 2, v55 bitop3:0x54
	v_dual_mov_b32 v48, 0 :: v_dual_mov_b32 v54, 0
	v_dual_mov_b32 v53, 0 :: v_dual_mov_b32 v50, 0
	;; [unrolled: 1-line block ×8, first 2 shown]
	s_wait_dscnt 0x0
	v_dual_cndmask_b32 v6, s33, v10 :: v_dual_mov_b32 v33, 0
	v_dual_mov_b32 v31, 0 :: v_dual_mov_b32 v30, 0
	v_cmp_gt_u32_e64 s1, s31, v1
	v_cndmask_b32_e64 v40, 0x10000, 0, vcc_lo
	s_delay_alu instid0(VALU_DEP_4)
	v_and_b32_e32 v41, 0xffff, v6
	v_dual_mov_b32 v29, 0 :: v_dual_mov_b32 v28, 0
	v_dual_mov_b32 v27, 0 :: v_dual_mov_b32 v26, 0
	;; [unrolled: 1-line block ×6, first 2 shown]
	v_mov_b32_e32 v1, 0
	s_mov_b32 s9, 0
                                        ; implicit-def: $sgpr8
                                        ; implicit-def: $vgpr45
	s_and_saveexec_b32 s7, s1
	s_cbranch_execz .LBB884_107
; %bb.72:
	v_dual_lshrrev_b32 v1, 16, v7 :: v_dual_lshrrev_b32 v6, 16, v10
	v_dual_mov_b32 v48, 0 :: v_dual_mov_b32 v54, 0
	v_dual_mov_b32 v53, 0 :: v_dual_mov_b32 v50, 0
	s_delay_alu instid0(VALU_DEP_3) | instskip(SKIP_3) | instid1(VALU_DEP_3)
	v_cmp_eq_u16_e32 vcc_lo, 0, v1
	v_dual_mov_b32 v49, 0 :: v_dual_bitop2_b32 v7, 3, v55 bitop3:0x54
	v_dual_mov_b32 v47, 0 :: v_dual_mov_b32 v46, 0
	v_dual_mov_b32 v44, 0 :: v_dual_cndmask_b32 v1, s33, v6
	v_cmp_gt_u32_e64 s1, s31, v7
	v_cndmask_b32_e64 v33, 0x10000, 0, vcc_lo
	v_dual_mov_b32 v43, 0 :: v_dual_mov_b32 v42, 0
	s_delay_alu instid0(VALU_DEP_4)
	v_and_b32_e32 v10, 0xffff, v1
	v_dual_mov_b32 v39, 0 :: v_dual_mov_b32 v38, 0
	v_dual_mov_b32 v37, 0 :: v_dual_mov_b32 v36, 0
	;; [unrolled: 1-line block ×10, first 2 shown]
	v_mov_b32_e32 v1, 0
	s_mov_b32 s10, 0
                                        ; implicit-def: $sgpr8
                                        ; implicit-def: $vgpr45
	s_and_saveexec_b32 s9, s1
	s_cbranch_execz .LBB884_106
; %bb.73:
	v_cmp_eq_u16_e32 vcc_lo, 0, v8
	v_dual_mov_b32 v53, 0 :: v_dual_add_nc_u32 v6, 4, v55
	v_dual_mov_b32 v50, 0 :: v_dual_mov_b32 v49, 0
	v_dual_cndmask_b32 v1, s33, v11 :: v_dual_mov_b32 v54, 0
	v_cndmask_b32_e64 v48, 0x10000, 0, vcc_lo
	s_delay_alu instid0(VALU_DEP_4) | instskip(SKIP_1) | instid1(VALU_DEP_4)
	v_cmp_gt_u32_e32 vcc_lo, s31, v6
	v_dual_mov_b32 v47, 0 :: v_dual_mov_b32 v46, 0
	v_and_b32_e32 v31, 0xffff, v1
	v_dual_mov_b32 v44, 0 :: v_dual_mov_b32 v43, 0
	v_dual_mov_b32 v42, 0 :: v_dual_mov_b32 v39, 0
	v_dual_mov_b32 v38, 0 :: v_dual_mov_b32 v37, 0
	v_dual_mov_b32 v36, 0 :: v_dual_mov_b32 v35, 0
	v_dual_mov_b32 v34, 0 :: v_dual_mov_b32 v30, 0
	v_dual_mov_b32 v29, 0 :: v_dual_mov_b32 v28, 0
	v_dual_mov_b32 v27, 0 :: v_dual_mov_b32 v26, 0
	v_dual_mov_b32 v25, 0 :: v_dual_mov_b32 v24, 0
	v_dual_mov_b32 v23, 0 :: v_dual_mov_b32 v22, 0
	v_dual_mov_b32 v21, 0 :: v_dual_mov_b32 v19, 0
	v_dual_mov_b32 v17, 0 :: v_dual_mov_b32 v16, 0
	v_mov_b32_e32 v1, 0
	s_mov_b32 s1, 0
                                        ; implicit-def: $sgpr8
                                        ; implicit-def: $vgpr45
	s_and_saveexec_b32 s10, vcc_lo
	s_cbranch_execz .LBB884_105
; %bb.74:
	v_dual_lshrrev_b32 v1, 16, v8 :: v_dual_lshrrev_b32 v6, 16, v11
	v_dual_mov_b32 v53, 0 :: v_dual_mov_b32 v50, 0
	v_dual_mov_b32 v49, 0 :: v_dual_mov_b32 v47, 0
	s_delay_alu instid0(VALU_DEP_3) | instskip(SKIP_3) | instid1(VALU_DEP_3)
	v_cmp_eq_u16_e32 vcc_lo, 0, v1
	v_dual_mov_b32 v46, 0 :: v_dual_add_nc_u32 v7, 5, v55
	v_dual_mov_b32 v44, 0 :: v_dual_mov_b32 v43, 0
	v_dual_mov_b32 v42, 0 :: v_dual_cndmask_b32 v1, s33, v6
	v_cmp_gt_u32_e64 s1, s31, v7
	v_cndmask_b32_e64 v30, 0x10000, 0, vcc_lo
	v_dual_mov_b32 v39, 0 :: v_dual_mov_b32 v38, 0
	s_delay_alu instid0(VALU_DEP_4)
	v_and_b32_e32 v11, 0xffff, v1
	v_dual_mov_b32 v37, 0 :: v_dual_mov_b32 v36, 0
	v_dual_mov_b32 v35, 0 :: v_dual_mov_b32 v34, 0
	v_dual_mov_b32 v29, 0 :: v_dual_mov_b32 v28, 0
	v_dual_mov_b32 v27, 0 :: v_dual_mov_b32 v26, 0
	v_dual_mov_b32 v25, 0 :: v_dual_mov_b32 v24, 0
	v_dual_mov_b32 v23, 0 :: v_dual_mov_b32 v22, 0
	v_dual_mov_b32 v21, 0 :: v_dual_mov_b32 v19, 0
	v_dual_mov_b32 v17, 0 :: v_dual_mov_b32 v16, 0
	v_mov_b32_e32 v1, 0
	s_mov_b32 s12, 0
                                        ; implicit-def: $sgpr8
                                        ; implicit-def: $vgpr45
	s_and_saveexec_b32 s11, s1
	s_cbranch_execz .LBB884_104
; %bb.75:
	v_cmp_eq_u16_e32 vcc_lo, 0, v9
	v_dual_mov_b32 v50, 0 :: v_dual_mov_b32 v49, 0
	v_dual_mov_b32 v47, 0 :: v_dual_mov_b32 v46, 0
	v_dual_cndmask_b32 v1, s33, v12 :: v_dual_add_nc_u32 v6, 6, v55
	v_cndmask_b32_e64 v53, 0x10000, 0, vcc_lo
	v_dual_mov_b32 v44, 0 :: v_dual_mov_b32 v43, 0
	s_delay_alu instid0(VALU_DEP_3) | instskip(NEXT) | instid1(VALU_DEP_4)
	v_and_b32_e32 v29, 0xffff, v1
	v_cmp_gt_u32_e32 vcc_lo, s31, v6
	v_dual_mov_b32 v42, 0 :: v_dual_mov_b32 v39, 0
	v_dual_mov_b32 v38, 0 :: v_dual_mov_b32 v37, 0
	v_dual_mov_b32 v36, 0 :: v_dual_mov_b32 v35, 0
	v_dual_mov_b32 v34, 0 :: v_dual_mov_b32 v28, 0
	v_dual_mov_b32 v27, 0 :: v_dual_mov_b32 v26, 0
	v_dual_mov_b32 v25, 0 :: v_dual_mov_b32 v24, 0
	v_dual_mov_b32 v23, 0 :: v_dual_mov_b32 v22, 0
	v_dual_mov_b32 v21, 0 :: v_dual_mov_b32 v19, 0
	v_dual_mov_b32 v17, 0 :: v_dual_mov_b32 v16, 0
	v_mov_b32_e32 v1, 0
	s_mov_b32 s1, 0
                                        ; implicit-def: $sgpr8
                                        ; implicit-def: $vgpr45
	s_and_saveexec_b32 s12, vcc_lo
	s_cbranch_execz .LBB884_103
; %bb.76:
	v_dual_lshrrev_b32 v1, 16, v9 :: v_dual_lshrrev_b32 v6, 16, v12
	v_dual_mov_b32 v49, 0 :: v_dual_mov_b32 v47, 0
	v_dual_mov_b32 v46, 0 :: v_dual_mov_b32 v44, 0
	s_delay_alu instid0(VALU_DEP_3) | instskip(SKIP_3) | instid1(VALU_DEP_3)
	v_cmp_eq_u16_e32 vcc_lo, 0, v1
	v_dual_add_nc_u32 v7, 7, v55 :: v_dual_mov_b32 v43, 0
	v_dual_mov_b32 v42, 0 :: v_dual_mov_b32 v39, 0
	v_dual_mov_b32 v38, 0 :: v_dual_cndmask_b32 v1, s33, v6
	v_cmp_gt_u32_e64 s1, s31, v7
	v_cndmask_b32_e64 v28, 0x10000, 0, vcc_lo
	v_dual_mov_b32 v37, 0 :: v_dual_mov_b32 v36, 0
	s_delay_alu instid0(VALU_DEP_4)
	v_and_b32_e32 v12, 0xffff, v1
	v_dual_mov_b32 v35, 0 :: v_dual_mov_b32 v34, 0
	v_dual_mov_b32 v27, 0 :: v_dual_mov_b32 v26, 0
	;; [unrolled: 1-line block ×6, first 2 shown]
	v_mov_b32_e32 v1, 0
	s_mov_b32 s14, 0
                                        ; implicit-def: $sgpr8
                                        ; implicit-def: $vgpr45
	s_and_saveexec_b32 s13, s1
	s_cbranch_execz .LBB884_102
; %bb.77:
	v_cmp_eq_u16_e32 vcc_lo, 0, v2
	v_dual_mov_b32 v47, 0 :: v_dual_mov_b32 v46, 0
	v_dual_mov_b32 v44, 0 :: v_dual_mov_b32 v43, 0
	v_dual_cndmask_b32 v1, s33, v13 :: v_dual_add_nc_u32 v6, 8, v55
	v_cndmask_b32_e64 v49, 0x10000, 0, vcc_lo
	v_dual_mov_b32 v42, 0 :: v_dual_mov_b32 v39, 0
	s_delay_alu instid0(VALU_DEP_3) | instskip(NEXT) | instid1(VALU_DEP_4)
	v_and_b32_e32 v27, 0xffff, v1
	v_cmp_gt_u32_e32 vcc_lo, s31, v6
	v_dual_mov_b32 v38, 0 :: v_dual_mov_b32 v37, 0
	v_dual_mov_b32 v36, 0 :: v_dual_mov_b32 v35, 0
	;; [unrolled: 1-line block ×7, first 2 shown]
	v_mov_b32_e32 v1, 0
	s_mov_b32 s1, 0
                                        ; implicit-def: $sgpr8
                                        ; implicit-def: $vgpr45
	s_and_saveexec_b32 s14, vcc_lo
	s_cbranch_execz .LBB884_101
; %bb.78:
	v_dual_lshrrev_b32 v1, 16, v2 :: v_dual_lshrrev_b32 v2, 16, v13
	v_dual_mov_b32 v46, 0 :: v_dual_mov_b32 v44, 0
	v_dual_mov_b32 v43, 0 :: v_dual_mov_b32 v42, 0
	s_delay_alu instid0(VALU_DEP_3) | instskip(SKIP_3) | instid1(VALU_DEP_3)
	v_cmp_eq_u16_e32 vcc_lo, 0, v1
	v_dual_mov_b32 v39, 0 :: v_dual_add_nc_u32 v6, 9, v55
	v_dual_mov_b32 v38, 0 :: v_dual_mov_b32 v37, 0
	v_dual_mov_b32 v36, 0 :: v_dual_cndmask_b32 v1, s33, v2
	v_cmp_gt_u32_e64 s1, s31, v6
	v_cndmask_b32_e64 v13, 0x10000, 0, vcc_lo
	v_dual_mov_b32 v35, 0 :: v_dual_mov_b32 v34, 0
	s_delay_alu instid0(VALU_DEP_4)
	v_and_b32_e32 v2, 0xffff, v1
	v_dual_mov_b32 v25, 0 :: v_dual_mov_b32 v24, 0
	v_dual_mov_b32 v23, 0 :: v_dual_mov_b32 v22, 0
	;; [unrolled: 1-line block ×4, first 2 shown]
	v_mov_b32_e32 v1, 0
	s_mov_b32 s16, 0
                                        ; implicit-def: $sgpr8
                                        ; implicit-def: $vgpr45
	s_and_saveexec_b32 s15, s1
	s_cbranch_execz .LBB884_100
; %bb.79:
	ds_load_b128 v[6:9], v52 offset:18
	v_cmp_eq_u16_e32 vcc_lo, 0, v3
	v_dual_mov_b32 v44, 0 :: v_dual_add_nc_u32 v1, 10, v55
	v_dual_mov_b32 v19, 0 :: v_dual_mov_b32 v43, 0
	v_dual_mov_b32 v42, 0 :: v_dual_mov_b32 v39, 0
	;; [unrolled: 1-line block ×7, first 2 shown]
	v_mov_b32_e32 v16, 0
	v_cmp_gt_u32_e64 s1, s31, v1
	s_wait_dscnt 0x0
	v_cndmask_b32_e32 v26, s33, v6, vcc_lo
	v_cndmask_b32_e64 v25, 0x10000, 0, vcc_lo
	v_mov_b32_e32 v1, 0
	s_mov_b32 s17, 0
                                        ; implicit-def: $sgpr8
                                        ; implicit-def: $vgpr45
	s_delay_alu instid0(VALU_DEP_3)
	v_and_b32_e32 v26, 0xffff, v26
	s_and_saveexec_b32 s16, s1
	s_cbranch_execz .LBB884_99
; %bb.80:
	v_dual_lshrrev_b32 v1, 16, v3 :: v_dual_lshrrev_b32 v3, 16, v6
	v_dual_mov_b32 v43, 0 :: v_dual_add_nc_u32 v6, 11, v55
	v_dual_mov_b32 v39, 0 :: v_dual_mov_b32 v38, 0
	s_delay_alu instid0(VALU_DEP_3) | instskip(NEXT) | instid1(VALU_DEP_3)
	v_cmp_eq_u16_e32 vcc_lo, 0, v1
	v_cmp_gt_u32_e64 s1, s31, v6
	v_dual_mov_b32 v37, 0 :: v_dual_mov_b32 v36, 0
	v_dual_mov_b32 v42, 0 :: v_dual_cndmask_b32 v1, s33, v3
	v_cndmask_b32_e64 v6, 0x10000, 0, vcc_lo
	v_dual_mov_b32 v35, 0 :: v_dual_mov_b32 v34, 0
	v_dual_mov_b32 v23, 0 :: v_dual_mov_b32 v22, 0
	s_delay_alu instid0(VALU_DEP_4)
	v_and_b32_e32 v3, 0xffff, v1
	v_dual_mov_b32 v21, 0 :: v_dual_mov_b32 v19, 0
	v_dual_mov_b32 v17, 0 :: v_dual_mov_b32 v16, 0
	v_mov_b32_e32 v1, 0
	s_mov_b32 s18, 0
                                        ; implicit-def: $sgpr8
                                        ; implicit-def: $vgpr45
	s_and_saveexec_b32 s17, s1
	s_cbranch_execz .LBB884_98
; %bb.81:
	v_cmp_eq_u16_e32 vcc_lo, 0, v4
	v_dual_mov_b32 v39, 0 :: v_dual_add_nc_u32 v16, 12, v55
	v_dual_mov_b32 v38, 0 :: v_dual_mov_b32 v37, 0
	v_dual_cndmask_b32 v1, s33, v7 :: v_dual_mov_b32 v42, 0
	v_cndmask_b32_e64 v24, 0x10000, 0, vcc_lo
	s_delay_alu instid0(VALU_DEP_4) | instskip(SKIP_1) | instid1(VALU_DEP_4)
	v_cmp_gt_u32_e32 vcc_lo, s31, v16
	v_dual_mov_b32 v36, 0 :: v_dual_mov_b32 v35, 0
	v_and_b32_e32 v23, 0xffff, v1
	v_dual_mov_b32 v34, 0 :: v_dual_mov_b32 v22, 0
	v_dual_mov_b32 v21, 0 :: v_dual_mov_b32 v19, 0
	;; [unrolled: 1-line block ×3, first 2 shown]
	v_mov_b32_e32 v1, 0
	s_mov_b32 s1, 0
                                        ; implicit-def: $sgpr8
                                        ; implicit-def: $vgpr45
	s_and_saveexec_b32 s18, vcc_lo
	s_cbranch_execz .LBB884_97
; %bb.82:
	v_dual_lshrrev_b32 v1, 16, v4 :: v_dual_lshrrev_b32 v4, 16, v7
	v_dual_mov_b32 v39, 0 :: v_dual_mov_b32 v38, 0
	v_dual_mov_b32 v37, 0 :: v_dual_mov_b32 v36, 0
	s_delay_alu instid0(VALU_DEP_3) | instskip(SKIP_3) | instid1(VALU_DEP_3)
	v_cmp_eq_u16_e32 vcc_lo, 0, v1
	v_dual_add_nc_u32 v7, 13, v55 :: v_dual_mov_b32 v35, 0
	v_dual_mov_b32 v34, 0 :: v_dual_mov_b32 v21, 0
	v_dual_mov_b32 v19, 0 :: v_dual_cndmask_b32 v1, s33, v4, vcc_lo
	v_cmp_gt_u32_e64 s1, s31, v7
	v_cndmask_b32_e64 v7, 0x10000, 0, vcc_lo
	v_dual_mov_b32 v17, 0 :: v_dual_mov_b32 v16, 0
	s_delay_alu instid0(VALU_DEP_4)
	v_and_b32_e32 v4, 0xffff, v1
	v_mov_b32_e32 v1, 0
	s_mov_b32 s20, 0
                                        ; implicit-def: $sgpr8
                                        ; implicit-def: $vgpr45
	s_and_saveexec_b32 s19, s1
	s_cbranch_execz .LBB884_96
; %bb.83:
	v_cmp_eq_u16_e32 vcc_lo, 0, v5
	v_dual_mov_b32 v38, 0 :: v_dual_mov_b32 v37, 0
	v_dual_mov_b32 v36, 0 :: v_dual_mov_b32 v35, 0
	v_dual_cndmask_b32 v1, s33, v8 :: v_dual_add_nc_u32 v16, 14, v55
	v_cndmask_b32_e64 v22, 0x10000, 0, vcc_lo
	v_dual_mov_b32 v34, 0 :: v_dual_mov_b32 v19, 0
	s_delay_alu instid0(VALU_DEP_3) | instskip(NEXT) | instid1(VALU_DEP_4)
	v_and_b32_e32 v21, 0xffff, v1
	v_cmp_gt_u32_e32 vcc_lo, s31, v16
	v_dual_mov_b32 v17, 0 :: v_dual_mov_b32 v16, 0
	v_mov_b32_e32 v1, 0
	s_mov_b32 s1, 0
                                        ; implicit-def: $sgpr8
                                        ; implicit-def: $vgpr45
	s_and_saveexec_b32 s20, vcc_lo
	s_cbranch_execz .LBB884_95
; %bb.84:
	v_dual_lshrrev_b32 v1, 16, v5 :: v_dual_lshrrev_b32 v5, 16, v8
	v_dual_mov_b32 v37, 0 :: v_dual_mov_b32 v36, 0
	v_dual_mov_b32 v35, 0 :: v_dual_mov_b32 v34, 0
	s_delay_alu instid0(VALU_DEP_3) | instskip(SKIP_4) | instid1(VALU_DEP_3)
	v_cmp_eq_u16_e32 vcc_lo, 0, v1
	v_dual_mov_b32 v17, 0 :: v_dual_add_nc_u32 v8, 15, v55
	v_mov_b32_e32 v16, 0
	s_mov_b32 s22, 0
	v_cndmask_b32_e32 v1, s33, v5, vcc_lo
	v_cmp_gt_u32_e64 s1, s31, v8
	v_cndmask_b32_e64 v8, 0x10000, 0, vcc_lo
                                        ; implicit-def: $sgpr8
                                        ; implicit-def: $vgpr45
	s_delay_alu instid0(VALU_DEP_3)
	v_and_b32_e32 v5, 0xffff, v1
	v_mov_b32_e32 v1, 0
	s_and_saveexec_b32 s21, s1
	s_cbranch_execz .LBB884_94
; %bb.85:
	v_cmp_eq_u16_e32 vcc_lo, 0, v14
	v_dual_mov_b32 v36, 0 :: v_dual_mov_b32 v35, 0
	v_mov_b32_e32 v34, 0
	s_mov_b32 s1, 0
	v_dual_cndmask_b32 v1, s33, v9 :: v_dual_add_nc_u32 v16, 16, v55
	v_cndmask_b32_e64 v19, 0x10000, 0, vcc_lo
                                        ; implicit-def: $sgpr8
                                        ; implicit-def: $vgpr45
	s_delay_alu instid0(VALU_DEP_2) | instskip(NEXT) | instid1(VALU_DEP_3)
	v_and_b32_e32 v17, 0xffff, v1
	v_cmp_gt_u32_e32 vcc_lo, s31, v16
	v_dual_mov_b32 v16, 0 :: v_dual_mov_b32 v1, 0
	s_and_saveexec_b32 s22, vcc_lo
	s_cbranch_execz .LBB884_93
; %bb.86:
	v_dual_lshrrev_b32 v1, 16, v14 :: v_dual_lshrrev_b32 v9, 16, v9
	v_dual_mov_b32 v35, 0 :: v_dual_mov_b32 v34, 0
	s_mov_b32 s45, 0
	s_delay_alu instid0(VALU_DEP_2) | instskip(SKIP_2) | instid1(VALU_DEP_2)
	v_cmp_eq_u16_e32 vcc_lo, 0, v1
	v_add_nc_u32_e32 v14, 17, v55
                                        ; implicit-def: $sgpr8
                                        ; implicit-def: $vgpr45
	v_cndmask_b32_e32 v1, s33, v9, vcc_lo
	v_cmp_gt_u32_e64 s1, s31, v14
	v_cndmask_b32_e64 v14, 0x10000, 0, vcc_lo
	s_delay_alu instid0(VALU_DEP_3)
	v_and_b32_e32 v9, 0xffff, v1
	v_mov_b32_e32 v1, 0
	s_and_saveexec_b32 s44, s1
	s_cbranch_execz .LBB884_92
; %bb.87:
	ds_load_u16 v1, v52 offset:34
	v_cmp_eq_u16_e32 vcc_lo, 0, v15
	v_mov_b32_e32 v34, 0
	s_mov_b32 s1, exec_lo
                                        ; implicit-def: $sgpr8
                                        ; implicit-def: $vgpr45
	s_wait_dscnt 0x0
	v_dual_cndmask_b32 v16, s33, v1 :: v_dual_add_nc_u32 v35, 18, v55
	v_cndmask_b32_e64 v1, 0x10000, 0, vcc_lo
	s_delay_alu instid0(VALU_DEP_2) | instskip(NEXT) | instid1(VALU_DEP_3)
	v_and_b32_e32 v16, 0xffff, v16
	v_cmpx_gt_u32_e64 s31, v35
	s_cbranch_execz .LBB884_91
; %bb.88:
	ds_load_b32 v35, v52 offset:36
	v_lshrrev_b32_e32 v15, 16, v15
	v_add_nc_u32_e32 v36, 19, v55
                                        ; implicit-def: $sgpr8
                                        ; implicit-def: $vgpr45
	s_delay_alu instid0(VALU_DEP_2)
	v_cmp_eq_u16_e32 vcc_lo, 0, v15
	v_cndmask_b32_e64 v15, 0x10000, 0, vcc_lo
	s_wait_dscnt 0x0
	v_cndmask_b32_e32 v34, s33, v35, vcc_lo
	v_cmp_gt_u32_e32 vcc_lo, s31, v36
	s_mov_b32 s31, 0
	s_delay_alu instid0(VALU_DEP_2) | instskip(SKIP_1) | instid1(SALU_CYCLE_1)
	v_and_b32_e32 v34, 0xffff, v34
	s_and_saveexec_b32 s45, vcc_lo
	s_xor_b32 s45, exec_lo, s45
; %bb.89:
	v_lshrrev_b32_e32 v35, 16, v35
	v_cmp_ne_u16_e64 s8, 0, v51
	s_mov_b32 s31, exec_lo
	v_cndmask_b32_e64 v45, v35, s33, s8
; %bb.90:
	s_or_b32 exec_lo, exec_lo, s45
	v_or_b32_e32 v34, v15, v34
	s_and_b32 s45, s31, exec_lo
.LBB884_91:
	s_or_b32 exec_lo, exec_lo, s1
	s_delay_alu instid0(VALU_DEP_1)
	v_dual_mov_b32 v1, v34 :: v_dual_bitop2_b32 v35, v1, v16 bitop3:0x54
	s_and_b32 s45, s45, exec_lo
.LBB884_92:
	s_or_b32 exec_lo, exec_lo, s44
	s_delay_alu instid0(VALU_DEP_1)
	v_dual_mov_b32 v16, v35 :: v_dual_bitop2_b32 v36, v14, v9 bitop3:0x54
	s_and_b32 s1, s45, exec_lo
.LBB884_93:
	s_or_b32 exec_lo, exec_lo, s22
	s_delay_alu instid0(VALU_DEP_1)
	v_dual_mov_b32 v17, v36 :: v_dual_bitop2_b32 v37, v19, v17 bitop3:0x54
	s_and_b32 s22, s1, exec_lo
.LBB884_94:
	s_or_b32 exec_lo, exec_lo, s21
	s_delay_alu instid0(VALU_DEP_1)
	v_dual_mov_b32 v19, v37 :: v_dual_bitop2_b32 v38, v8, v5 bitop3:0x54
	s_and_b32 s1, s22, exec_lo
.LBB884_95:
	s_or_b32 exec_lo, exec_lo, s20
	v_or_b32_e32 v39, v22, v21
	s_delay_alu instid0(VALU_DEP_2)
	v_mov_b32_e32 v21, v38
	s_and_b32 s20, s1, exec_lo
.LBB884_96:
	s_or_b32 exec_lo, exec_lo, s19
	v_or_b32_e32 v42, v7, v4
	v_mov_b32_e32 v22, v39
	s_and_b32 s1, s20, exec_lo
.LBB884_97:
	s_or_b32 exec_lo, exec_lo, s18
	s_delay_alu instid0(VALU_DEP_2)
	v_dual_mov_b32 v23, v42 :: v_dual_bitop2_b32 v43, v24, v23 bitop3:0x54
	s_and_b32 s18, s1, exec_lo
.LBB884_98:
	s_or_b32 exec_lo, exec_lo, s17
	s_delay_alu instid0(VALU_DEP_1)
	v_dual_mov_b32 v24, v43 :: v_dual_bitop2_b32 v44, v6, v3 bitop3:0x54
	s_and_b32 s17, s18, exec_lo
.LBB884_99:
	s_or_b32 exec_lo, exec_lo, s16
	s_delay_alu instid0(VALU_DEP_1)
	v_dual_mov_b32 v25, v44 :: v_dual_bitop2_b32 v46, v25, v26 bitop3:0x54
	s_and_b32 s16, s17, exec_lo
.LBB884_100:
	s_or_b32 exec_lo, exec_lo, s15
	s_delay_alu instid0(VALU_DEP_1)
	v_dual_mov_b32 v26, v46 :: v_dual_bitop2_b32 v47, v13, v2 bitop3:0x54
	s_and_b32 s1, s16, exec_lo
.LBB884_101:
	s_or_b32 exec_lo, exec_lo, s14
	s_delay_alu instid0(VALU_DEP_1)
	v_dual_mov_b32 v27, v47 :: v_dual_bitop2_b32 v49, v49, v27 bitop3:0x54
	s_and_b32 s14, s1, exec_lo
.LBB884_102:
	s_or_b32 exec_lo, exec_lo, s13
	s_delay_alu instid0(VALU_DEP_1)
	v_dual_mov_b32 v28, v49 :: v_dual_bitop2_b32 v50, v28, v12 bitop3:0x54
	s_and_b32 s1, s14, exec_lo
.LBB884_103:
	s_or_b32 exec_lo, exec_lo, s12
	s_delay_alu instid0(VALU_DEP_1)
	v_dual_mov_b32 v29, v50 :: v_dual_bitop2_b32 v53, v53, v29 bitop3:0x54
	s_and_b32 s12, s1, exec_lo
.LBB884_104:
	s_or_b32 exec_lo, exec_lo, s11
	s_delay_alu instid0(VALU_DEP_1)
	v_dual_mov_b32 v30, v53 :: v_dual_bitop2_b32 v54, v30, v11 bitop3:0x54
	s_and_b32 s1, s12, exec_lo
.LBB884_105:
	s_or_b32 exec_lo, exec_lo, s10
	s_delay_alu instid0(VALU_DEP_1)
	v_dual_mov_b32 v31, v54 :: v_dual_bitop2_b32 v48, v48, v31 bitop3:0x54
	s_and_b32 s10, s1, exec_lo
.LBB884_106:
	s_or_b32 exec_lo, exec_lo, s9
	s_delay_alu instid0(VALU_DEP_1)
	v_dual_mov_b32 v33, v48 :: v_dual_bitop2_b32 v56, v33, v10 bitop3:0x54
	s_and_b32 s9, s10, exec_lo
.LBB884_107:
	s_or_b32 exec_lo, exec_lo, s7
	v_or_b32_e32 v40, v40, v41
	s_delay_alu instid0(VALU_DEP_2)
	v_mov_b32_e32 v10, v56
	s_and_b32 s7, s9, exec_lo
.LBB884_108:
	s_or_b32 exec_lo, exec_lo, s5
	v_or_b32_e32 v32, v20, v32
	v_mov_b32_e32 v11, v40
	s_and_b32 s5, s7, exec_lo
.LBB884_109:
	s_or_b32 exec_lo, exec_lo, s6
	v_lshlrev_b32_e32 v20, 1, v0
	s_and_b32 vcc_lo, exec_lo, s4
	s_cbranch_vccnz .LBB884_111
	s_branch .LBB884_116
.LBB884_110:
                                        ; implicit-def: $sgpr8
                                        ; implicit-def: $vgpr45
                                        ; implicit-def: $vgpr32
                                        ; implicit-def: $vgpr40
                                        ; implicit-def: $vgpr56
                                        ; implicit-def: $vgpr48
                                        ; implicit-def: $vgpr54
                                        ; implicit-def: $vgpr53
                                        ; implicit-def: $vgpr50
                                        ; implicit-def: $vgpr49
                                        ; implicit-def: $vgpr47
                                        ; implicit-def: $vgpr46
                                        ; implicit-def: $vgpr44
                                        ; implicit-def: $vgpr43
                                        ; implicit-def: $vgpr42
                                        ; implicit-def: $vgpr39
                                        ; implicit-def: $vgpr38
                                        ; implicit-def: $vgpr37
                                        ; implicit-def: $vgpr36
                                        ; implicit-def: $vgpr35
                                        ; implicit-def: $vgpr34
                                        ; implicit-def: $vgpr11
                                        ; implicit-def: $vgpr10
                                        ; implicit-def: $vgpr33
                                        ; implicit-def: $vgpr31
                                        ; implicit-def: $vgpr30
                                        ; implicit-def: $vgpr29
                                        ; implicit-def: $vgpr28
                                        ; implicit-def: $vgpr27
                                        ; implicit-def: $vgpr26
                                        ; implicit-def: $vgpr25
                                        ; implicit-def: $vgpr24
                                        ; implicit-def: $vgpr23
                                        ; implicit-def: $vgpr22
                                        ; implicit-def: $vgpr21
                                        ; implicit-def: $vgpr19
                                        ; implicit-def: $vgpr17
                                        ; implicit-def: $vgpr16
                                        ; implicit-def: $vgpr1
	v_lshlrev_b32_e32 v20, 1, v0
	s_cbranch_execz .LBB884_116
.LBB884_111:
	s_clause 0x13
	flat_load_u16 v1, v0, s[42:43] scale_offset
	flat_load_u16 v2, v0, s[42:43] offset:512 scale_offset
	flat_load_u16 v3, v0, s[42:43] offset:1024 scale_offset
	;; [unrolled: 1-line block ×19, first 2 shown]
	v_mov_b32_e32 v23, 0
	v_mad_u32_u24 v24, v0, 38, v20
	s_mov_b32 s1, exec_lo
	s_wait_loadcnt_dscnt 0x1313
	ds_store_b16 v20, v1
	s_wait_loadcnt_dscnt 0x1213
	ds_store_b16 v20, v2 offset:512
	s_wait_loadcnt_dscnt 0x1113
	ds_store_b16 v20, v3 offset:1024
	;; [unrolled: 2-line block ×19, first 2 shown]
	s_wait_dscnt 0x0
	s_barrier_signal -1
	s_barrier_wait -1
	flat_load_u16 v1, v23, s[42:43] offset:10240
	ds_load_2addr_b64 v[6:9], v24 offset1:1
	ds_load_2addr_b64 v[2:5], v24 offset0:2 offset1:3
	s_wait_xcnt 0x0
	ds_load_b64 v[22:23], v24 offset:32
	v_mad_i32_i24 v10, 0xffffffda, v0, v24
	s_wait_dscnt 0x2
	ds_store_b16 v10, v6 offset:10752
	s_wait_loadcnt_dscnt 0x0
	s_barrier_signal -1
	s_barrier_wait -1
	v_cmpx_ne_u32_e32 0xff, v0
; %bb.112:
	v_mul_i32_i24_e32 v1, 0xffffffda, v0
	s_delay_alu instid0(VALU_DEP_1)
	v_add_nc_u32_e32 v1, v24, v1
	ds_load_u16 v1, v1 offset:10754
; %bb.113:
	s_or_b32 exec_lo, exec_lo, s1
	s_wait_dscnt 0x0
	s_barrier_signal -1
	s_barrier_wait -1
	s_clause 0x13
	flat_load_u16 v10, v0, s[36:37] scale_offset
	flat_load_u16 v11, v0, s[36:37] offset:512 scale_offset
	flat_load_u16 v12, v0, s[36:37] offset:1024 scale_offset
	;; [unrolled: 1-line block ×19, first 2 shown]
	v_lshrrev_b32_e32 v6, 16, v6
	s_wait_loadcnt_dscnt 0x1313
	ds_store_b16 v20, v10
	s_wait_loadcnt_dscnt 0x1213
	ds_store_b16 v20, v11 offset:512
	s_wait_loadcnt_dscnt 0x1113
	ds_store_b16 v20, v12 offset:1024
	;; [unrolled: 2-line block ×19, first 2 shown]
	s_wait_dscnt 0x0
	s_barrier_signal -1
	s_barrier_wait -1
	ds_load_b128 v[14:17], v24 offset:2
	ds_load_b128 v[10:13], v24 offset:18
	ds_load_u16 v21, v24 offset:34
	ds_load_b32 v19, v24 offset:36
	v_mov_b32_e32 v25, s33
	v_cmp_eq_u16_e32 vcc_lo, 0, v6
	v_mov_b32_e32 v6, 0x10000
	s_and_saveexec_b32 s1, vcc_lo
; %bb.114:
	ds_load_u16 v25, v24
	v_mov_b32_e32 v6, 0
; %bb.115:
	s_or_b32 exec_lo, exec_lo, s1
	v_cmp_eq_u16_e32 vcc_lo, 0, v7
	v_dual_lshrrev_b32 v32, 16, v7 :: v_dual_lshrrev_b32 v35, 16, v9
	s_wait_dscnt 0x3
	v_dual_lshrrev_b32 v38, 16, v4 :: v_dual_lshrrev_b32 v24, 16, v14
	v_dual_cndmask_b32 v7, s33, v14 :: v_dual_lshrrev_b32 v26, 16, v15
	s_wait_dscnt 0x0
	v_dual_lshrrev_b32 v41, 16, v19 :: v_dual_lshrrev_b32 v34, 16, v8
	v_cndmask_b32_e64 v39, 0x10000, 0, vcc_lo
	v_cmp_eq_u16_e32 vcc_lo, 0, v32
	v_and_b32_e32 v7, 0xffff, v7
	v_cmp_eq_u16_e64 s1, 0, v8
	v_lshrrev_b32_e32 v51, 16, v23
	v_and_b32_e32 v25, 0xffff, v25
	s_delay_alu instid0(VALU_DEP_4) | instskip(NEXT) | instid1(VALU_DEP_4)
	v_dual_cndmask_b32 v24, s33, v24, vcc_lo :: v_dual_bitop2_b32 v40, v39, v7 bitop3:0x54
	v_cndmask_b32_e64 v8, s33, v15, s1
	v_cndmask_b32_e64 v7, 0x10000, 0, vcc_lo
	v_cndmask_b32_e64 v15, 0x10000, 0, s1
	v_cmp_eq_u16_e32 vcc_lo, 0, v34
	v_cmp_eq_u16_e64 s1, 0, v9
	v_or_b32_e32 v32, v6, v25
	v_and_b32_e32 v6, 0xffff, v24
	v_and_b32_e32 v8, 0xffff, v8
	v_cndmask_b32_e32 v24, s33, v26, vcc_lo
	v_dual_cndmask_b32 v9, s33, v16, s1 :: v_dual_lshrrev_b32 v27, 16, v16
	v_dual_lshrrev_b32 v28, 16, v17 :: v_dual_lshrrev_b32 v36, 16, v2
	v_dual_lshrrev_b32 v37, 16, v3 :: v_dual_bitop2_b32 v56, v7, v6 bitop3:0x54
	s_delay_alu instid0(VALU_DEP_4)
	v_and_b32_e32 v6, 0xffff, v24
	v_cndmask_b32_e64 v7, 0x10000, 0, vcc_lo
	v_cmp_eq_u16_e32 vcc_lo, 0, v35
	v_or_b32_e32 v48, v15, v8
	v_and_b32_e32 v8, 0xffff, v9
	v_cndmask_b32_e64 v9, 0x10000, 0, s1
	v_cmp_eq_u16_e64 s1, 0, v2
	v_dual_cndmask_b32 v15, s33, v27, vcc_lo :: v_dual_bitop2_b32 v54, v7, v6 bitop3:0x54
	v_cndmask_b32_e64 v7, 0x10000, 0, vcc_lo
	s_delay_alu instid0(VALU_DEP_3)
	v_dual_cndmask_b32 v2, s33, v17, s1 :: v_dual_bitop2_b32 v53, v9, v8 bitop3:0x54
	v_cndmask_b32_e64 v8, 0x10000, 0, s1
	v_cmp_eq_u16_e32 vcc_lo, 0, v36
	v_cmp_eq_u16_e64 s1, 0, v3
	v_and_b32_e32 v6, 0xffff, v15
	v_and_b32_e32 v2, 0xffff, v2
	v_dual_lshrrev_b32 v29, 16, v10 :: v_dual_lshrrev_b32 v30, 16, v11
	s_delay_alu instid0(VALU_DEP_3)
	v_dual_cndmask_b32 v9, s33, v28, vcc_lo :: v_dual_bitop2_b32 v50, v7, v6 bitop3:0x54
	v_cndmask_b32_e64 v3, s33, v10, s1
	v_cndmask_b32_e64 v6, 0x10000, 0, vcc_lo
	v_cndmask_b32_e64 v7, 0x10000, 0, s1
	v_cmp_eq_u16_e32 vcc_lo, 0, v37
	v_or_b32_e32 v49, v8, v2
	v_and_b32_e32 v2, 0xffff, v9
	v_and_b32_e32 v3, 0xffff, v3
	v_cmp_eq_u16_e64 s1, 0, v4
	v_cndmask_b32_e32 v8, s33, v29, vcc_lo
	v_dual_lshrrev_b32 v14, 16, v5 :: v_dual_lshrrev_b32 v45, 16, v22
	s_delay_alu instid0(VALU_DEP_3)
	v_dual_cndmask_b32 v4, s33, v11, s1 :: v_dual_bitop2_b32 v47, v6, v2 bitop3:0x54
	v_or_b32_e32 v46, v7, v3
	v_cndmask_b32_e64 v3, 0x10000, 0, vcc_lo
	v_cndmask_b32_e64 v6, 0x10000, 0, s1
	v_cmp_eq_u16_e32 vcc_lo, 0, v38
	v_cmp_eq_u16_e64 s1, 0, v5
	v_and_b32_e32 v2, 0xffff, v8
	v_and_b32_e32 v4, 0xffff, v4
	v_dual_lshrrev_b32 v31, 16, v12 :: v_dual_lshrrev_b32 v33, 16, v13
	v_cndmask_b32_e32 v7, s33, v30, vcc_lo
	s_delay_alu instid0(VALU_DEP_4)
	v_dual_cndmask_b32 v5, s33, v12, s1 :: v_dual_bitop2_b32 v44, v3, v2 bitop3:0x54
	v_cndmask_b32_e64 v3, 0x10000, 0, vcc_lo
	v_cmp_eq_u16_e32 vcc_lo, 0, v14
	v_or_b32_e32 v43, v6, v4
	v_and_b32_e32 v2, 0xffff, v7
	v_and_b32_e32 v4, 0xffff, v5
	v_cndmask_b32_e64 v5, 0x10000, 0, s1
	v_cmp_eq_u16_e64 s1, 0, v22
	s_delay_alu instid0(VALU_DEP_4) | instskip(SKIP_2) | instid1(VALU_DEP_4)
	v_dual_cndmask_b32 v6, s33, v31, vcc_lo :: v_dual_bitop2_b32 v42, v3, v2 bitop3:0x54
	v_cndmask_b32_e64 v3, 0x10000, 0, vcc_lo
	v_cmp_eq_u16_e32 vcc_lo, 0, v45
	v_dual_cndmask_b32 v7, s33, v13, s1 :: v_dual_bitop2_b32 v39, v5, v4 bitop3:0x54
	v_cndmask_b32_e64 v5, 0x10000, 0, s1
	v_cmp_eq_u16_e64 s1, 0, v23
	v_cmp_eq_u16_e64 s4, 0, v51
	v_and_b32_e32 v2, 0xffff, v6
	v_and_b32_e32 v4, 0xffff, v7
	v_cndmask_b32_e32 v6, s33, v33, vcc_lo
	v_cndmask_b32_e64 v7, s33, v21, s1
	v_cndmask_b32_e64 v8, s33, v19, s4
	v_cndmask_b32_e64 v9, 0x10000, 0, vcc_lo
	v_cndmask_b32_e64 v10, 0x10000, 0, s1
	v_and_b32_e32 v6, 0xffff, v6
	v_cndmask_b32_e64 v11, 0x10000, 0, s4
	v_or_b32_e32 v38, v3, v2
	v_and_b32_e32 v7, 0xffff, v7
	v_or_b32_e32 v37, v5, v4
	v_and_b32_e32 v8, 0xffff, v8
	v_or_b32_e32 v36, v9, v6
	v_cmp_ne_u16_e64 s8, 0, v1
	v_dual_mov_b32 v10, v56 :: v_dual_bitop2_b32 v35, v10, v7 bitop3:0x54
	s_delay_alu instid0(VALU_DEP_4) | instskip(NEXT) | instid1(VALU_DEP_3)
	v_dual_mov_b32 v33, v48 :: v_dual_bitop2_b32 v34, v11, v8 bitop3:0x54
	v_cndmask_b32_e64 v45, v41, s33, s8
	v_dual_mov_b32 v11, v40 :: v_dual_mov_b32 v31, v54
	v_dual_mov_b32 v30, v53 :: v_dual_mov_b32 v29, v50
	;; [unrolled: 1-line block ×8, first 2 shown]
	s_mov_b32 s5, -1
.LBB884_116:
	v_mov_b32_e32 v12, 0
	s_and_saveexec_b32 s1, s5
	s_cbranch_execz .LBB884_118
; %bb.117:
	v_and_b32_e32 v2, 0xffff, v45
	v_cndmask_b32_e64 v3, 0, 0x10000, s8
	v_dual_mov_b32 v1, v34 :: v_dual_mov_b32 v16, v35
	v_dual_mov_b32 v17, v36 :: v_dual_mov_b32 v19, v37
	s_delay_alu instid0(VALU_DEP_3)
	v_dual_mov_b32 v21, v38 :: v_dual_bitop2_b32 v12, v3, v2 bitop3:0x54
	v_dual_mov_b32 v22, v39 :: v_dual_mov_b32 v23, v42
	v_dual_mov_b32 v24, v43 :: v_dual_mov_b32 v25, v44
	;; [unrolled: 1-line block ×6, first 2 shown]
	v_mov_b32_e32 v11, v40
.LBB884_118:
	s_or_b32 exec_lo, exec_lo, s1
	v_dual_lshrrev_b32 v14, 16, v32 :: v_dual_bitop2_b32 v2, v28, v27 bitop3:0x54
	v_dual_lshrrev_b32 v34, 3, v0 :: v_dual_bitop2_b32 v3, v19, v17 bitop3:0x54
	v_cmp_ne_u32_e32 vcc_lo, 0, v18
	v_or_b32_e32 v13, v16, v1
	v_cmp_gt_u32_e64 s20, 0x10000, v11
	v_cmp_gt_u32_e64 s19, 0x10000, v10
	v_cmp_gt_u32_e64 s18, 0x10000, v33
	v_cmp_gt_u32_e64 s17, 0x10000, v31
	v_cmp_gt_u32_e64 s16, 0x10000, v30
	v_cmp_gt_u32_e64 s15, 0x10000, v29
	v_cmp_gt_u32_e64 s14, 0x10000, v28
	v_cmp_gt_u32_e64 s12, 0x10000, v27
	v_or3_b32 v15, v2, v29, v30
	v_cmp_gt_u32_e64 s13, 0x10000, v26
	v_cmp_gt_u32_e64 s11, 0x10000, v25
	;; [unrolled: 1-line block ×8, first 2 shown]
	v_or3_b32 v35, v3, v21, v22
	v_cmp_gt_u32_e64 s5, 0x10000, v16
	v_cmp_gt_u32_e64 s1, 0x10000, v1
	;; [unrolled: 1-line block ×4, first 2 shown]
	s_barrier_signal -1
	s_barrier_wait -1
	s_cbranch_vccz .LBB884_186
; %bb.119:
	v_dual_cndmask_b32 v2, 0, v32, s20 :: v_dual_bitop2_b32 v5, 28, v34 bitop3:0x40
	v_or3_b32 v3, v35, v23, v24
	v_or3_b32 v4, v15, v31, v33
	s_delay_alu instid0(VALU_DEP_3) | instskip(NEXT) | instid1(VALU_DEP_3)
	v_add_nc_u16 v2, v2, v11
	v_or3_b32 v3, v3, v25, v26
	s_delay_alu instid0(VALU_DEP_3) | instskip(NEXT) | instid1(VALU_DEP_3)
	v_or3_b32 v4, v4, v10, v11
	v_cndmask_b32_e64 v2, 0, v2, s19
	s_delay_alu instid0(VALU_DEP_3) | instskip(NEXT) | instid1(VALU_DEP_2)
	v_or3_b32 v3, v12, v13, v3
	v_add_nc_u16 v2, v2, v10
	s_delay_alu instid0(VALU_DEP_2) | instskip(SKIP_1) | instid1(VALU_DEP_3)
	v_bitop3_b32 v3, v3, 0xff0000, v4 bitop3:0xc8
	v_lshl_add_u32 v4, v0, 2, v5
	v_cndmask_b32_e64 v2, 0, v2, s18
	s_delay_alu instid0(VALU_DEP_3) | instskip(NEXT) | instid1(VALU_DEP_2)
	v_cmp_eq_u32_e32 vcc_lo, 0, v3
	v_add_nc_u16 v2, v2, v33
	v_cndmask_b32_e32 v37, 1, v14, vcc_lo
	s_delay_alu instid0(VALU_DEP_2) | instskip(NEXT) | instid1(VALU_DEP_1)
	v_cndmask_b32_e64 v2, 0, v2, s17
	v_add_nc_u16 v2, v2, v31
	s_delay_alu instid0(VALU_DEP_1) | instskip(NEXT) | instid1(VALU_DEP_1)
	v_cndmask_b32_e64 v2, 0, v2, s16
	v_add_nc_u16 v2, v2, v30
	s_delay_alu instid0(VALU_DEP_1) | instskip(NEXT) | instid1(VALU_DEP_1)
	;; [unrolled: 3-line block ×15, first 2 shown]
	v_cndmask_b32_e64 v2, 0, v2, s22
	v_add_nc_u16 v36, v2, v12
	ds_store_b16 v4, v36
	ds_store_b8 v4, v37 offset:2
	s_wait_dscnt 0x0
	s_barrier_signal -1
	s_barrier_wait -1
	s_and_saveexec_b32 s22, s21
	s_cbranch_execz .LBB884_131
; %bb.120:
	v_and_b32_e32 v2, 0xfc, v0
	v_lshlrev_b32_e32 v3, 5, v0
	s_mov_b32 s31, exec_lo
	s_delay_alu instid0(VALU_DEP_1)
	v_add_nc_u32_e32 v2, v2, v3
	ds_load_u8 v4, v2 offset:6
	ds_load_b32 v3, v2
	ds_load_u16 v5, v2 offset:4
	ds_load_u8 v6, v2 offset:10
	ds_load_u16 v7, v2 offset:8
	ds_load_u16 v8, v2 offset:12
	ds_load_u8 v9, v2 offset:14
	ds_load_u16 v38, v2 offset:16
	s_wait_dscnt 0x7
	v_cmp_eq_u16_e32 vcc_lo, 0, v4
	s_wait_dscnt 0x4
	v_dual_cndmask_b32 v39, 0, v3, vcc_lo :: v_dual_bitop2_b32 v4, v6, v4 bitop3:0x54
	v_cmp_eq_u16_e32 vcc_lo, 0, v6
	s_delay_alu instid0(VALU_DEP_2) | instskip(SKIP_4) | instid1(VALU_DEP_2)
	v_add_nc_u16 v5, v39, v5
	ds_load_u8 v39, v2 offset:18
	v_cndmask_b32_e32 v5, 0, v5, vcc_lo
	s_wait_dscnt 0x2
	v_cmp_eq_u16_e32 vcc_lo, 0, v9
	v_add_nc_u16 v5, v5, v7
	ds_load_u8 v7, v2 offset:22
	v_cndmask_b32_e32 v5, 0, v5, vcc_lo
	s_delay_alu instid0(VALU_DEP_1)
	v_add_nc_u16 v5, v5, v8
	ds_load_u16 v8, v2 offset:20
	ds_load_u16 v40, v2 offset:24
	ds_load_u8 v41, v2 offset:26
	ds_load_u16 v42, v2 offset:28
	ds_load_u8 v43, v2 offset:30
	s_wait_dscnt 0x6
	v_cmp_eq_u16_e32 vcc_lo, 0, v39
	v_bitop3_b16 v6, v4, v39, v9 bitop3:0xfe
	v_and_b32_e32 v4, 0x10000, v3
	v_cndmask_b32_e32 v5, 0, v5, vcc_lo
	s_wait_dscnt 0x5
	v_cmp_eq_u16_e32 vcc_lo, 0, v7
	s_wait_dscnt 0x2
	v_bitop3_b16 v6, v6, v41, v7 bitop3:0xfe
	s_wait_dscnt 0x0
	v_and_b32_e32 v7, 1, v43
	v_add_nc_u16 v5, v5, v38
	s_delay_alu instid0(VALU_DEP_1) | instskip(SKIP_1) | instid1(VALU_DEP_2)
	v_cndmask_b32_e32 v5, 0, v5, vcc_lo
	v_cmp_eq_u16_e32 vcc_lo, 0, v41
	v_add_nc_u16 v5, v5, v8
	s_delay_alu instid0(VALU_DEP_1) | instskip(SKIP_1) | instid1(VALU_DEP_2)
	v_cndmask_b32_e32 v5, 0, v5, vcc_lo
	v_cmp_eq_u16_e32 vcc_lo, 0, v43
	;; [unrolled: 4-line block ×3, first 2 shown]
	v_add_nc_u16 v6, v5, v42
	v_cndmask_b32_e32 v8, 0x10000, v4, vcc_lo
	v_cmp_eq_u32_e32 vcc_lo, 1, v7
	v_and_b32_e32 v5, 0xff000000, v3
	v_mbcnt_lo_u32_b32 v7, -1, 0
	v_and_b32_e32 v9, 0xffff, v6
	v_cndmask_b32_e64 v8, v8, 0x10000, vcc_lo
	s_delay_alu instid0(VALU_DEP_1) | instskip(NEXT) | instid1(VALU_DEP_3)
	v_or_b32_e32 v38, v8, v5
	v_or3_b32 v39, v5, v9, v8
	s_delay_alu instid0(VALU_DEP_2) | instskip(NEXT) | instid1(VALU_DEP_2)
	v_dual_lshrrev_b32 v9, 16, v38 :: v_dual_bitop2_b32 v8, 15, v7 bitop3:0x40
	v_mov_b32_dpp v40, v39 row_shr:1 row_mask:0xf bank_mask:0xf
	s_delay_alu instid0(VALU_DEP_2)
	v_cmpx_ne_u32_e32 0, v8
	s_cbranch_execz .LBB884_122
; %bb.121:
	s_delay_alu instid0(VALU_DEP_2) | instskip(SKIP_1) | instid1(VALU_DEP_2)
	v_dual_lshrrev_b32 v9, 16, v38 :: v_dual_lshrrev_b32 v39, 16, v40
	v_and_b32_e32 v38, 0x10000, v38
	v_and_b32_e32 v9, 0xff, v9
	s_delay_alu instid0(VALU_DEP_1) | instskip(NEXT) | instid1(VALU_DEP_4)
	v_cmp_eq_u16_e32 vcc_lo, 0, v9
	v_dual_cndmask_b32 v40, 0, v40, vcc_lo :: v_dual_bitop2_b32 v39, 1, v39 bitop3:0x40
	s_delay_alu instid0(VALU_DEP_4) | instskip(NEXT) | instid1(VALU_DEP_2)
	v_cmp_ne_u32_e32 vcc_lo, 0, v38
	v_add_nc_u16 v6, v40, v6
	s_delay_alu instid0(VALU_DEP_3) | instskip(NEXT) | instid1(VALU_DEP_2)
	v_cndmask_b32_e64 v9, v39, 1, vcc_lo
	v_and_b32_e32 v39, 0xffff, v6
	s_delay_alu instid0(VALU_DEP_2) | instskip(NEXT) | instid1(VALU_DEP_1)
	v_lshlrev_b32_e32 v38, 16, v9
	v_or3_b32 v39, v38, v39, v5
.LBB884_122:
	s_or_b32 exec_lo, exec_lo, s31
	s_delay_alu instid0(VALU_DEP_1)
	v_lshrrev_b32_e32 v38, 16, v39
	v_mov_b32_dpp v40, v39 row_shr:2 row_mask:0xf bank_mask:0xf
	s_mov_b32 s31, exec_lo
	v_cmpx_lt_u32_e32 1, v8
	s_cbranch_execz .LBB884_124
; %bb.123:
	v_and_b32_e32 v38, 0xff, v38
	v_and_b32_e32 v39, 0x10000, v39
	s_delay_alu instid0(VALU_DEP_2) | instskip(SKIP_1) | instid1(VALU_DEP_1)
	v_cmp_eq_u16_e32 vcc_lo, 0, v38
	v_dual_cndmask_b32 v38, 0, v40 :: v_dual_lshrrev_b32 v9, 16, v40
	v_and_b32_e32 v9, 1, v9
	s_delay_alu instid0(VALU_DEP_4) | instskip(NEXT) | instid1(VALU_DEP_3)
	v_cmp_ne_u32_e32 vcc_lo, 0, v39
	v_add_nc_u16 v6, v38, v6
	s_delay_alu instid0(VALU_DEP_3) | instskip(NEXT) | instid1(VALU_DEP_2)
	v_cndmask_b32_e64 v9, v9, 1, vcc_lo
	v_and_b32_e32 v39, 0xffff, v6
	s_delay_alu instid0(VALU_DEP_2) | instskip(NEXT) | instid1(VALU_DEP_1)
	v_lshlrev_b32_e32 v38, 16, v9
	v_or3_b32 v39, v38, v39, v5
	v_mov_b32_e32 v38, v9
.LBB884_124:
	s_or_b32 exec_lo, exec_lo, s31
	s_delay_alu instid0(VALU_DEP_2)
	v_mov_b32_dpp v40, v39 row_shr:4 row_mask:0xf bank_mask:0xf
	s_mov_b32 s31, exec_lo
	v_cmpx_lt_u32_e32 3, v8
	s_cbranch_execz .LBB884_126
; %bb.125:
	v_and_b32_e32 v39, 0xff, v38
	v_dual_lshrrev_b32 v9, 16, v40 :: v_dual_bitop2_b32 v38, 1, v38 bitop3:0x40
	s_delay_alu instid0(VALU_DEP_2) | instskip(NEXT) | instid1(VALU_DEP_2)
	v_cmp_eq_u16_e32 vcc_lo, 0, v39
	v_dual_cndmask_b32 v39, 0, v40, vcc_lo :: v_dual_bitop2_b32 v9, 1, v9 bitop3:0x40
	s_delay_alu instid0(VALU_DEP_3) | instskip(NEXT) | instid1(VALU_DEP_2)
	v_cmp_eq_u32_e32 vcc_lo, 1, v38
	v_add_nc_u16 v6, v39, v6
	s_delay_alu instid0(VALU_DEP_3) | instskip(NEXT) | instid1(VALU_DEP_2)
	v_cndmask_b32_e64 v9, v9, 1, vcc_lo
	v_and_b32_e32 v39, 0xffff, v6
	s_delay_alu instid0(VALU_DEP_2) | instskip(NEXT) | instid1(VALU_DEP_1)
	v_lshlrev_b32_e32 v38, 16, v9
	v_or3_b32 v39, v38, v39, v5
	v_mov_b32_e32 v38, v9
.LBB884_126:
	s_or_b32 exec_lo, exec_lo, s31
	s_delay_alu instid0(VALU_DEP_2)
	v_mov_b32_dpp v40, v39 row_shr:8 row_mask:0xf bank_mask:0xf
	s_mov_b32 s31, exec_lo
	v_cmpx_lt_u32_e32 7, v8
	s_cbranch_execz .LBB884_128
; %bb.127:
	v_and_b32_e32 v9, 0xff, v38
	v_dual_lshrrev_b32 v8, 16, v40 :: v_dual_bitop2_b32 v38, 1, v38 bitop3:0x40
	s_delay_alu instid0(VALU_DEP_2) | instskip(NEXT) | instid1(VALU_DEP_2)
	v_cmp_eq_u16_e32 vcc_lo, 0, v9
	v_and_b32_e32 v8, 1, v8
	v_cndmask_b32_e32 v39, 0, v40, vcc_lo
	s_delay_alu instid0(VALU_DEP_4) | instskip(NEXT) | instid1(VALU_DEP_3)
	v_cmp_eq_u32_e32 vcc_lo, 1, v38
	v_cndmask_b32_e64 v9, v8, 1, vcc_lo
	s_delay_alu instid0(VALU_DEP_1) | instskip(NEXT) | instid1(VALU_DEP_4)
	v_lshlrev_b32_e32 v8, 16, v9
	v_add_nc_u16 v6, v39, v6
	s_delay_alu instid0(VALU_DEP_1) | instskip(NEXT) | instid1(VALU_DEP_1)
	v_and_b32_e32 v38, 0xffff, v6
	v_or3_b32 v39, v8, v38, v5
	v_mov_b32_e32 v38, v9
.LBB884_128:
	s_or_b32 exec_lo, exec_lo, s31
	ds_swizzle_b32 v8, v39 offset:swizzle(BROADCAST,32,15)
	v_and_b32_e32 v39, 16, v7
	s_mov_b32 s31, exec_lo
	s_delay_alu instid0(VALU_DEP_1)
	v_cmpx_ne_u32_e32 0, v39
	s_cbranch_execz .LBB884_130
; %bb.129:
	v_and_b32_e32 v9, 0xff, v38
	s_delay_alu instid0(VALU_DEP_1) | instskip(SKIP_2) | instid1(VALU_DEP_1)
	v_cmp_eq_u16_e32 vcc_lo, 0, v9
	s_wait_dscnt 0x0
	v_dual_lshrrev_b32 v39, 16, v8 :: v_dual_bitop2_b32 v9, 1, v38 bitop3:0x40
	v_dual_cndmask_b32 v8, 0, v8, vcc_lo :: v_dual_bitop2_b32 v38, 1, v39 bitop3:0x40
	s_delay_alu instid0(VALU_DEP_2) | instskip(NEXT) | instid1(VALU_DEP_2)
	v_cmp_eq_u32_e32 vcc_lo, 1, v9
	v_add_nc_u16 v6, v8, v6
	s_delay_alu instid0(VALU_DEP_3)
	v_cndmask_b32_e64 v9, v38, 1, vcc_lo
.LBB884_130:
	s_or_b32 exec_lo, exec_lo, s31
	s_wait_dscnt 0x0
	s_delay_alu instid0(VALU_DEP_1) | instskip(SKIP_2) | instid1(VALU_DEP_3)
	v_and_b32_e32 v8, 0xff, v9
	v_add_nc_u32_e32 v9, -1, v7
	v_and_b32_e32 v6, 0xffff, v6
	; wave barrier
	v_lshlrev_b32_e32 v8, 16, v8
	s_delay_alu instid0(VALU_DEP_3) | instskip(NEXT) | instid1(VALU_DEP_2)
	v_cmp_gt_i32_e32 vcc_lo, 0, v9
	v_or3_b32 v5, v8, v6, v5
	v_cndmask_b32_e32 v7, v9, v7, vcc_lo
	s_delay_alu instid0(VALU_DEP_1) | instskip(SKIP_2) | instid1(VALU_DEP_1)
	v_lshlrev_b32_e32 v6, 2, v7
	ds_bpermute_b32 v5, v6, v5
	v_and_b32_e32 v6, 0xff0000, v3
	v_cmp_eq_u32_e32 vcc_lo, 0, v6
	s_wait_dscnt 0x0
	v_dual_lshrrev_b32 v7, 16, v5 :: v_dual_cndmask_b32 v5, 0, v5, vcc_lo
	v_cmp_eq_u32_e32 vcc_lo, 0, v4
	s_delay_alu instid0(VALU_DEP_2) | instskip(NEXT) | instid1(VALU_DEP_1)
	v_add_nc_u16 v3, v5, v3
	v_dual_cndmask_b32 v3, v3, v36, s2 :: v_dual_bitop2_b32 v6, 1, v7 bitop3:0x40
	s_delay_alu instid0(VALU_DEP_1) | instskip(NEXT) | instid1(VALU_DEP_1)
	v_cndmask_b32_e32 v4, 1, v6, vcc_lo
	v_cndmask_b32_e64 v4, v4, v37, s2
	ds_store_b16 v2, v3
	ds_store_b8 v2, v4 offset:2
	; wave barrier
	ds_load_u8 v5, v2 offset:6
	ds_load_u16 v6, v2 offset:4
	ds_load_u8 v7, v2 offset:10
	ds_load_u16 v8, v2 offset:8
	ds_load_u16 v9, v2 offset:12
	ds_load_u8 v38, v2 offset:14
	ds_load_u16 v39, v2 offset:16
	ds_load_u8 v40, v2 offset:18
	s_wait_dscnt 0x7
	v_cmp_eq_u16_e32 vcc_lo, 0, v5
	v_cndmask_b32_e32 v3, 0, v3, vcc_lo
	s_wait_dscnt 0x5
	v_cmp_eq_u16_e32 vcc_lo, 0, v7
	s_delay_alu instid0(VALU_DEP_2) | instskip(NEXT) | instid1(VALU_DEP_1)
	v_add_nc_u16 v3, v3, v6
	v_cndmask_b32_e32 v6, 0, v3, vcc_lo
	s_wait_dscnt 0x2
	v_cmp_eq_u16_e32 vcc_lo, 0, v38
	s_delay_alu instid0(VALU_DEP_2)
	v_add_nc_u16 v6, v6, v8
	v_and_b32_e32 v5, 1, v5
	ds_load_u8 v8, v2 offset:22
	ds_load_u16 v42, v2 offset:20
	ds_load_u8 v43, v2 offset:26
	ds_load_u8 v44, v2 offset:30
	v_cndmask_b32_e32 v41, 0, v6, vcc_lo
	v_cmp_eq_u32_e32 vcc_lo, 1, v5
	v_and_b32_e32 v5, 1, v38
	s_delay_alu instid0(VALU_DEP_3)
	v_add_nc_u16 v9, v41, v9
	v_cndmask_b32_e64 v4, v4, 1, vcc_lo
	s_wait_dscnt 0x4
	v_cmp_eq_u16_e32 vcc_lo, 0, v40
	v_and_b32_e32 v7, 1, v7
	ds_load_u16 v41, v2 offset:24
	ds_load_u16 v45, v2 offset:28
	v_cndmask_b32_e32 v38, 0, v9, vcc_lo
	v_cmp_eq_u32_e32 vcc_lo, 1, v7
	s_delay_alu instid0(VALU_DEP_2)
	v_add_nc_u16 v38, v38, v39
	v_cndmask_b32_e64 v7, v4, 1, vcc_lo
	v_cmp_eq_u32_e32 vcc_lo, 1, v5
	v_and_b32_e32 v39, 1, v40
	s_wait_dscnt 0x2
	v_and_b32_e32 v46, 1, v44
	v_cndmask_b32_e64 v5, v7, 1, vcc_lo
	v_cmp_eq_u16_e32 vcc_lo, 0, v8
	v_dual_cndmask_b32 v40, 0, v38, vcc_lo :: v_dual_bitop2_b32 v8, 1, v8 bitop3:0x40
	v_cmp_eq_u32_e32 vcc_lo, 1, v39
	s_delay_alu instid0(VALU_DEP_2) | instskip(SKIP_1) | instid1(VALU_DEP_4)
	v_add_nc_u16 v40, v40, v42
	v_cndmask_b32_e64 v39, v5, 1, vcc_lo
	v_cmp_eq_u32_e32 vcc_lo, 1, v8
	v_and_b32_e32 v42, 1, v43
	ds_store_b16 v2, v3 offset:4
	ds_store_b8 v2, v4 offset:6
	ds_store_b16 v2, v6 offset:8
	ds_store_b8 v2, v7 offset:10
	ds_store_b16 v2, v9 offset:12
	ds_store_b8 v2, v5 offset:14
	ds_store_b16 v2, v38 offset:16
	ds_store_b8 v2, v39 offset:18
	v_cndmask_b32_e64 v8, v39, 1, vcc_lo
	v_cmp_eq_u16_e32 vcc_lo, 0, v43
	v_cndmask_b32_e32 v43, 0, v40, vcc_lo
	v_cmp_eq_u32_e32 vcc_lo, 1, v42
	s_wait_dscnt 0x9
	s_delay_alu instid0(VALU_DEP_2) | instskip(SKIP_2) | instid1(VALU_DEP_2)
	v_add_nc_u16 v41, v43, v41
	v_cndmask_b32_e64 v42, v8, 1, vcc_lo
	v_cmp_eq_u32_e32 vcc_lo, 1, v46
	v_cndmask_b32_e64 v43, v42, 1, vcc_lo
	v_cmp_eq_u16_e32 vcc_lo, 0, v44
	v_cndmask_b32_e32 v44, 0, v41, vcc_lo
	s_wait_dscnt 0x8
	s_delay_alu instid0(VALU_DEP_1)
	v_add_nc_u16 v3, v44, v45
	ds_store_b16 v2, v40 offset:20
	ds_store_b8 v2, v8 offset:22
	ds_store_b16 v2, v41 offset:24
	ds_store_b8 v2, v42 offset:26
	ds_store_b16 v2, v3 offset:28
	ds_store_b8 v2, v43 offset:30
.LBB884_131:
	s_or_b32 exec_lo, exec_lo, s22
	s_wait_dscnt 0x0
	s_barrier_signal -1
	s_barrier_wait -1
	s_and_saveexec_b32 s22, s3
	s_cbranch_execz .LBB884_133
; %bb.132:
	v_add_nc_u32_e32 v2, -1, v0
	s_delay_alu instid0(VALU_DEP_1) | instskip(NEXT) | instid1(VALU_DEP_1)
	v_lshrrev_b32_e32 v3, 3, v2
	v_and_b32_e32 v3, 0x1ffffffc, v3
	s_delay_alu instid0(VALU_DEP_1)
	v_lshl_add_u32 v2, v2, 2, v3
	ds_load_u16 v36, v2
	ds_load_u8 v37, v2 offset:2
.LBB884_133:
	s_or_b32 exec_lo, exec_lo, s22
	s_and_saveexec_b32 s22, s21
	s_cbranch_execz .LBB884_263
; %bb.134:
	v_dual_mov_b32 v9, 0 :: v_dual_add_nc_u32 v38, 32, v18
	v_mbcnt_lo_u32_b32 v39, -1, 0
	ds_load_b32 v2, v9 offset:1048
	v_cmp_eq_u32_e64 s21, 0, v39
	s_and_saveexec_b32 s31, s21
	s_cbranch_execz .LBB884_136
; %bb.135:
	v_mov_b32_e32 v3, 1
	s_wait_dscnt 0x0
	global_store_b64 v38, v[2:3], s[28:29] scale_offset scope:SCOPE_DEV
.LBB884_136:
	s_wait_xcnt 0x0
	s_or_b32 exec_lo, exec_lo, s31
	v_xad_u32 v4, v39, -1, v18
	s_mov_b32 s31, exec_lo
	s_delay_alu instid0(VALU_DEP_1) | instskip(SKIP_4) | instid1(VALU_DEP_1)
	v_add_nc_u32_e32 v8, 32, v4
	global_load_b64 v[6:7], v8, s[28:29] scale_offset scope:SCOPE_DEV
	s_wait_loadcnt 0x0
	v_and_b32_e32 v3, 0xff, v7
	s_wait_xcnt 0x0
	v_cmpx_eq_u16_e32 0, v3
	s_cbranch_execz .LBB884_140
; %bb.137:
	v_lshl_add_u64 v[8:9], v[8:9], 3, s[28:29]
	s_mov_b32 s36, 0
.LBB884_138:                            ; =>This Inner Loop Header: Depth=1
	global_load_b64 v[6:7], v[8:9], off scope:SCOPE_DEV
	s_wait_loadcnt 0x0
	v_and_b32_e32 v3, 0xff, v7
	s_delay_alu instid0(VALU_DEP_1)
	v_cmp_ne_u16_e32 vcc_lo, 0, v3
	s_or_b32 s36, vcc_lo, s36
	s_wait_xcnt 0x0
	s_and_not1_b32 exec_lo, exec_lo, s36
	s_cbranch_execnz .LBB884_138
; %bb.139:
	s_or_b32 exec_lo, exec_lo, s36
.LBB884_140:
	s_delay_alu instid0(SALU_CYCLE_1)
	s_or_b32 exec_lo, exec_lo, s31
	v_cmp_ne_u32_e32 vcc_lo, 31, v39
	v_and_b32_e32 v47, 0xffffff, v6
	v_and_b32_e32 v5, 0xff, v7
	v_lshlrev_b32_e64 v18, v39, -1
	v_bfe_u32 v9, v6, 16, 8
	v_add_co_ci_u32_e64 v3, null, 0, v39, vcc_lo
	s_delay_alu instid0(VALU_DEP_4) | instskip(SKIP_1) | instid1(VALU_DEP_2)
	v_cmp_eq_u16_e32 vcc_lo, 2, v5
	s_mov_b32 s31, exec_lo
	v_dual_lshrrev_b32 v8, 16, v6 :: v_dual_lshlrev_b32 v3, 2, v3
	v_and_or_b32 v5, vcc_lo, v18, 0x80000000
	ds_bpermute_b32 v40, v3, v47
	v_ctz_i32_b32_e32 v5, v5
	s_delay_alu instid0(VALU_DEP_1)
	v_cmpx_lt_u32_e64 v39, v5
	s_cbranch_execz .LBB884_142
; %bb.141:
	v_and_b32_e32 v8, 0xff0000, v6
	s_delay_alu instid0(VALU_DEP_1) | instskip(SKIP_3) | instid1(VALU_DEP_1)
	v_and_b32_e32 v41, 0x10000, v8
	v_cmp_eq_u32_e32 vcc_lo, 0, v8
	s_wait_dscnt 0x0
	v_dual_cndmask_b32 v40, 0, v40 :: v_dual_lshrrev_b32 v9, 16, v40
	v_and_b32_e32 v9, 1, v9
	v_cmp_ne_u32_e32 vcc_lo, 0, v41
	s_delay_alu instid0(VALU_DEP_3) | instskip(NEXT) | instid1(VALU_DEP_3)
	v_add_nc_u16 v6, v40, v6
	v_cndmask_b32_e64 v8, v9, 1, vcc_lo
	s_delay_alu instid0(VALU_DEP_2) | instskip(NEXT) | instid1(VALU_DEP_2)
	v_and_b32_e32 v40, 0xffff, v6
	v_lshlrev_b32_e32 v9, 16, v8
	s_delay_alu instid0(VALU_DEP_1)
	v_dual_mov_b32 v9, v8 :: v_dual_bitop2_b32 v47, v9, v40 bitop3:0x54
.LBB884_142:
	s_or_b32 exec_lo, exec_lo, s31
	v_cmp_gt_u32_e32 vcc_lo, 30, v39
	v_add_nc_u32_e32 v41, 2, v39
	s_mov_b32 s31, exec_lo
	s_wait_dscnt 0x0
	v_cndmask_b32_e64 v40, 0, 2, vcc_lo
	s_delay_alu instid0(VALU_DEP_1)
	v_add_lshl_u32 v40, v40, v39, 2
	ds_bpermute_b32 v42, v40, v47
	v_cmpx_le_u32_e64 v41, v5
	s_cbranch_execz .LBB884_144
; %bb.143:
	v_cmp_eq_u16_e32 vcc_lo, 0, v9
	s_wait_dscnt 0x0
	v_dual_lshrrev_b32 v8, 16, v42 :: v_dual_bitop2_b32 v9, 1, v9 bitop3:0x40
	s_delay_alu instid0(VALU_DEP_1) | instskip(NEXT) | instid1(VALU_DEP_2)
	v_dual_cndmask_b32 v42, 0, v42, vcc_lo :: v_dual_bitop2_b32 v8, 1, v8 bitop3:0x40
	v_cmp_eq_u32_e32 vcc_lo, 1, v9
	s_delay_alu instid0(VALU_DEP_2) | instskip(NEXT) | instid1(VALU_DEP_3)
	v_add_nc_u16 v6, v42, v6
	v_cndmask_b32_e64 v8, v8, 1, vcc_lo
	s_delay_alu instid0(VALU_DEP_2) | instskip(NEXT) | instid1(VALU_DEP_2)
	v_and_b32_e32 v9, 0xffff, v6
	v_lshlrev_b32_e32 v42, 16, v8
	s_delay_alu instid0(VALU_DEP_1)
	v_dual_mov_b32 v9, v8 :: v_dual_bitop2_b32 v47, v42, v9 bitop3:0x54
.LBB884_144:
	s_or_b32 exec_lo, exec_lo, s31
	v_cmp_gt_u32_e32 vcc_lo, 28, v39
	v_add_nc_u32_e32 v43, 4, v39
	s_mov_b32 s31, exec_lo
	s_wait_dscnt 0x0
	v_cndmask_b32_e64 v42, 0, 4, vcc_lo
	s_delay_alu instid0(VALU_DEP_1)
	v_add_lshl_u32 v42, v42, v39, 2
	ds_bpermute_b32 v44, v42, v47
	v_cmpx_le_u32_e64 v43, v5
	s_cbranch_execz .LBB884_146
; %bb.145:
	v_cmp_eq_u16_e32 vcc_lo, 0, v9
	s_wait_dscnt 0x0
	v_dual_lshrrev_b32 v8, 16, v44 :: v_dual_bitop2_b32 v9, 1, v9 bitop3:0x40
	v_cndmask_b32_e32 v44, 0, v44, vcc_lo
	s_delay_alu instid0(VALU_DEP_2) | instskip(NEXT) | instid1(VALU_DEP_3)
	v_and_b32_e32 v8, 1, v8
	v_cmp_eq_u32_e32 vcc_lo, 1, v9
	s_delay_alu instid0(VALU_DEP_3) | instskip(NEXT) | instid1(VALU_DEP_3)
	v_add_nc_u16 v6, v44, v6
	v_cndmask_b32_e64 v8, v8, 1, vcc_lo
	s_delay_alu instid0(VALU_DEP_2) | instskip(NEXT) | instid1(VALU_DEP_2)
	v_and_b32_e32 v9, 0xffff, v6
	v_lshlrev_b32_e32 v44, 16, v8
	s_delay_alu instid0(VALU_DEP_1)
	v_or_b32_e32 v47, v44, v9
	v_mov_b32_e32 v9, v8
.LBB884_146:
	s_or_b32 exec_lo, exec_lo, s31
	v_cmp_gt_u32_e32 vcc_lo, 24, v39
	v_add_nc_u32_e32 v45, 8, v39
	s_mov_b32 s31, exec_lo
	s_wait_dscnt 0x0
	v_cndmask_b32_e64 v44, 0, 8, vcc_lo
	s_delay_alu instid0(VALU_DEP_1)
	v_add_lshl_u32 v44, v44, v39, 2
	ds_bpermute_b32 v46, v44, v47
	v_cmpx_le_u32_e64 v45, v5
	s_cbranch_execz .LBB884_148
; %bb.147:
	v_cmp_eq_u16_e32 vcc_lo, 0, v9
	s_wait_dscnt 0x0
	v_dual_lshrrev_b32 v8, 16, v46 :: v_dual_bitop2_b32 v9, 1, v9 bitop3:0x40
	s_delay_alu instid0(VALU_DEP_1) | instskip(NEXT) | instid1(VALU_DEP_2)
	v_dual_cndmask_b32 v46, 0, v46, vcc_lo :: v_dual_bitop2_b32 v8, 1, v8 bitop3:0x40
	v_cmp_eq_u32_e32 vcc_lo, 1, v9
	s_delay_alu instid0(VALU_DEP_2) | instskip(NEXT) | instid1(VALU_DEP_3)
	v_add_nc_u16 v6, v46, v6
	v_cndmask_b32_e64 v8, v8, 1, vcc_lo
	s_delay_alu instid0(VALU_DEP_2) | instskip(NEXT) | instid1(VALU_DEP_2)
	v_and_b32_e32 v9, 0xffff, v6
	v_lshlrev_b32_e32 v46, 16, v8
	s_delay_alu instid0(VALU_DEP_1)
	v_dual_mov_b32 v9, v8 :: v_dual_bitop2_b32 v47, v46, v9 bitop3:0x54
.LBB884_148:
	s_or_b32 exec_lo, exec_lo, s31
	s_wait_dscnt 0x0
	v_lshl_or_b32 v46, v39, 2, 64
	s_mov_b32 s31, exec_lo
	ds_bpermute_b32 v48, v46, v47
	v_add_nc_u32_e32 v47, 16, v39
	s_delay_alu instid0(VALU_DEP_1)
	v_cmpx_le_u32_e64 v47, v5
	s_cbranch_execz .LBB884_150
; %bb.149:
	v_cmp_eq_u16_e32 vcc_lo, 0, v9
	s_wait_dscnt 0x0
	v_dual_lshrrev_b32 v5, 16, v48 :: v_dual_bitop2_b32 v9, 1, v9 bitop3:0x40
	s_delay_alu instid0(VALU_DEP_1) | instskip(NEXT) | instid1(VALU_DEP_2)
	v_dual_cndmask_b32 v8, 0, v48, vcc_lo :: v_dual_bitop2_b32 v5, 1, v5 bitop3:0x40
	v_cmp_eq_u32_e32 vcc_lo, 1, v9
	s_delay_alu instid0(VALU_DEP_2) | instskip(NEXT) | instid1(VALU_DEP_3)
	v_add_nc_u16 v6, v8, v6
	v_cndmask_b32_e64 v8, v5, 1, vcc_lo
.LBB884_150:
	s_or_b32 exec_lo, exec_lo, s31
	v_mov_b32_e32 v5, 0
	s_branch .LBB884_153
.LBB884_151:                            ;   in Loop: Header=BB884_153 Depth=1
	s_or_b32 exec_lo, exec_lo, s31
	v_and_b32_e32 v8, 0xff, v48
	s_delay_alu instid0(VALU_DEP_2) | instskip(SKIP_2) | instid1(VALU_DEP_3)
	v_and_b32_e32 v9, 1, v9
	v_subrev_nc_u32_e32 v4, 32, v4
	s_mov_b32 s31, 0
	v_cmp_eq_u16_e32 vcc_lo, 0, v8
	v_dual_cndmask_b32 v6, 0, v6, vcc_lo :: v_dual_bitop2_b32 v8, 1, v48 bitop3:0x40
	s_delay_alu instid0(VALU_DEP_1) | instskip(NEXT) | instid1(VALU_DEP_2)
	v_cmp_eq_u32_e32 vcc_lo, 1, v8
	v_add_nc_u16 v6, v6, v49
	v_cndmask_b32_e64 v8, v9, 1, vcc_lo
.LBB884_152:                            ;   in Loop: Header=BB884_153 Depth=1
	s_and_b32 vcc_lo, exec_lo, s31
	s_cbranch_vccnz .LBB884_259
.LBB884_153:                            ; =>This Loop Header: Depth=1
                                        ;     Child Loop BB884_156 Depth 2
	v_and_b32_e32 v7, 0xff, v7
	s_wait_dscnt 0x0
	v_dual_mov_b32 v48, v8 :: v_dual_mov_b32 v49, v6
	s_mov_b32 s31, -1
                                        ; implicit-def: $vgpr8
	s_delay_alu instid0(VALU_DEP_2)
	v_cmp_ne_u16_e32 vcc_lo, 2, v7
                                        ; implicit-def: $vgpr6
	s_cmp_lg_u32 vcc_lo, exec_lo
	s_cbranch_scc1 .LBB884_152
; %bb.154:                              ;   in Loop: Header=BB884_153 Depth=1
	global_load_b64 v[6:7], v4, s[28:29] scale_offset scope:SCOPE_DEV
	s_mov_b32 s31, exec_lo
	s_wait_loadcnt 0x0
	v_and_b32_e32 v8, 0xff, v7
	s_wait_xcnt 0x0
	s_delay_alu instid0(VALU_DEP_1)
	v_cmpx_eq_u16_e32 0, v8
	s_cbranch_execz .LBB884_158
; %bb.155:                              ;   in Loop: Header=BB884_153 Depth=1
	v_lshl_add_u64 v[8:9], v[4:5], 3, s[28:29]
	s_mov_b32 s36, 0
.LBB884_156:                            ;   Parent Loop BB884_153 Depth=1
                                        ; =>  This Inner Loop Header: Depth=2
	global_load_b64 v[6:7], v[8:9], off scope:SCOPE_DEV
	s_wait_loadcnt 0x0
	v_and_b32_e32 v50, 0xff, v7
	s_delay_alu instid0(VALU_DEP_1)
	v_cmp_ne_u16_e32 vcc_lo, 0, v50
	s_or_b32 s36, vcc_lo, s36
	s_wait_xcnt 0x0
	s_and_not1_b32 exec_lo, exec_lo, s36
	s_cbranch_execnz .LBB884_156
; %bb.157:                              ;   in Loop: Header=BB884_153 Depth=1
	s_or_b32 exec_lo, exec_lo, s36
.LBB884_158:                            ;   in Loop: Header=BB884_153 Depth=1
	s_delay_alu instid0(SALU_CYCLE_1)
	s_or_b32 exec_lo, exec_lo, s31
	v_and_b32_e32 v51, 0xffffff, v6
	v_and_b32_e32 v8, 0xff, v7
	v_lshrrev_b32_e32 v9, 16, v6
	v_bfe_u32 v50, v6, 16, 8
	s_mov_b32 s31, exec_lo
	ds_bpermute_b32 v52, v3, v51
	v_cmp_eq_u16_e32 vcc_lo, 2, v8
	v_and_or_b32 v8, vcc_lo, v18, 0x80000000
	s_delay_alu instid0(VALU_DEP_1) | instskip(NEXT) | instid1(VALU_DEP_1)
	v_ctz_i32_b32_e32 v8, v8
	v_cmpx_lt_u32_e64 v39, v8
	s_cbranch_execz .LBB884_160
; %bb.159:                              ;   in Loop: Header=BB884_153 Depth=1
	v_and_b32_e32 v9, 0xff0000, v6
	s_delay_alu instid0(VALU_DEP_1) | instskip(SKIP_3) | instid1(VALU_DEP_1)
	v_and_b32_e32 v51, 0x10000, v9
	v_cmp_eq_u32_e32 vcc_lo, 0, v9
	s_wait_dscnt 0x0
	v_dual_lshrrev_b32 v50, 16, v52 :: v_dual_cndmask_b32 v52, 0, v52, vcc_lo
	v_and_b32_e32 v50, 1, v50
	v_cmp_ne_u32_e32 vcc_lo, 0, v51
	s_delay_alu instid0(VALU_DEP_3) | instskip(NEXT) | instid1(VALU_DEP_3)
	v_add_nc_u16 v6, v52, v6
	v_cndmask_b32_e64 v9, v50, 1, vcc_lo
	s_delay_alu instid0(VALU_DEP_2) | instskip(NEXT) | instid1(VALU_DEP_2)
	v_and_b32_e32 v51, 0xffff, v6
	v_lshlrev_b32_e32 v50, 16, v9
	s_delay_alu instid0(VALU_DEP_1)
	v_dual_mov_b32 v50, v9 :: v_dual_bitop2_b32 v51, v50, v51 bitop3:0x54
.LBB884_160:                            ;   in Loop: Header=BB884_153 Depth=1
	s_or_b32 exec_lo, exec_lo, s31
	s_wait_dscnt 0x0
	ds_bpermute_b32 v52, v40, v51
	s_mov_b32 s31, exec_lo
	v_cmpx_le_u32_e64 v41, v8
	s_cbranch_execz .LBB884_162
; %bb.161:                              ;   in Loop: Header=BB884_153 Depth=1
	v_cmp_eq_u16_e32 vcc_lo, 0, v50
	s_wait_dscnt 0x0
	v_dual_lshrrev_b32 v9, 16, v52 :: v_dual_bitop2_b32 v50, 1, v50 bitop3:0x40
	s_delay_alu instid0(VALU_DEP_1) | instskip(NEXT) | instid1(VALU_DEP_2)
	v_dual_cndmask_b32 v51, 0, v52, vcc_lo :: v_dual_bitop2_b32 v9, 1, v9 bitop3:0x40
	v_cmp_eq_u32_e32 vcc_lo, 1, v50
	s_delay_alu instid0(VALU_DEP_2) | instskip(NEXT) | instid1(VALU_DEP_3)
	v_add_nc_u16 v6, v51, v6
	v_cndmask_b32_e64 v9, v9, 1, vcc_lo
	s_delay_alu instid0(VALU_DEP_2) | instskip(NEXT) | instid1(VALU_DEP_2)
	v_and_b32_e32 v50, 0xffff, v6
	v_lshlrev_b32_e32 v51, 16, v9
	s_delay_alu instid0(VALU_DEP_1)
	v_dual_mov_b32 v50, v9 :: v_dual_bitop2_b32 v51, v51, v50 bitop3:0x54
.LBB884_162:                            ;   in Loop: Header=BB884_153 Depth=1
	s_or_b32 exec_lo, exec_lo, s31
	s_wait_dscnt 0x0
	ds_bpermute_b32 v52, v42, v51
	s_mov_b32 s31, exec_lo
	v_cmpx_le_u32_e64 v43, v8
	s_cbranch_execz .LBB884_164
; %bb.163:                              ;   in Loop: Header=BB884_153 Depth=1
	v_cmp_eq_u16_e32 vcc_lo, 0, v50
	s_wait_dscnt 0x0
	v_dual_lshrrev_b32 v9, 16, v52 :: v_dual_bitop2_b32 v50, 1, v50 bitop3:0x40
	s_delay_alu instid0(VALU_DEP_1) | instskip(NEXT) | instid1(VALU_DEP_2)
	v_dual_cndmask_b32 v51, 0, v52, vcc_lo :: v_dual_bitop2_b32 v9, 1, v9 bitop3:0x40
	v_cmp_eq_u32_e32 vcc_lo, 1, v50
	s_delay_alu instid0(VALU_DEP_2) | instskip(NEXT) | instid1(VALU_DEP_3)
	v_add_nc_u16 v6, v51, v6
	v_cndmask_b32_e64 v9, v9, 1, vcc_lo
	s_delay_alu instid0(VALU_DEP_2) | instskip(NEXT) | instid1(VALU_DEP_2)
	v_and_b32_e32 v50, 0xffff, v6
	v_lshlrev_b32_e32 v51, 16, v9
	s_delay_alu instid0(VALU_DEP_1)
	v_dual_mov_b32 v50, v9 :: v_dual_bitop2_b32 v51, v51, v50 bitop3:0x54
.LBB884_164:                            ;   in Loop: Header=BB884_153 Depth=1
	;; [unrolled: 22-line block ×3, first 2 shown]
	s_or_b32 exec_lo, exec_lo, s31
	ds_bpermute_b32 v51, v46, v51
	s_mov_b32 s31, exec_lo
	v_cmpx_le_u32_e64 v47, v8
	s_cbranch_execz .LBB884_151
; %bb.167:                              ;   in Loop: Header=BB884_153 Depth=1
	v_cmp_eq_u16_e32 vcc_lo, 0, v50
	s_wait_dscnt 0x0
	v_dual_lshrrev_b32 v50, 16, v51 :: v_dual_bitop2_b32 v9, 1, v50 bitop3:0x40
	v_cndmask_b32_e32 v8, 0, v51, vcc_lo
	s_delay_alu instid0(VALU_DEP_2) | instskip(NEXT) | instid1(VALU_DEP_2)
	v_cmp_eq_u32_e32 vcc_lo, 1, v9
	v_add_nc_u16 v6, v8, v6
	s_delay_alu instid0(VALU_DEP_4)
	v_cndmask_b32_e64 v9, v50, 1, vcc_lo
	s_branch .LBB884_151
.LBB884_168:
	s_or_b32 exec_lo, exec_lo, s22
                                        ; implicit-def: $vgpr11
	s_and_saveexec_b32 s22, s1
	s_cbranch_execz .LBB884_49
.LBB884_169:
	flat_load_u16 v11, v0, s[36:37] offset:512 scale_offset
	s_wait_xcnt 0x0
	s_or_b32 exec_lo, exec_lo, s22
                                        ; implicit-def: $vgpr12
	s_and_saveexec_b32 s1, s4
	s_cbranch_execnz .LBB884_50
.LBB884_170:
	s_or_b32 exec_lo, exec_lo, s1
                                        ; implicit-def: $vgpr13
	s_and_saveexec_b32 s1, s5
	s_cbranch_execz .LBB884_51
.LBB884_171:
	flat_load_u16 v13, v0, s[36:37] offset:1536 scale_offset
	s_wait_xcnt 0x0
	s_or_b32 exec_lo, exec_lo, s1
                                        ; implicit-def: $vgpr16
	s_and_saveexec_b32 s1, s6
	s_cbranch_execnz .LBB884_52
.LBB884_172:
	s_or_b32 exec_lo, exec_lo, s1
                                        ; implicit-def: $vgpr17
	s_and_saveexec_b32 s1, s7
	s_cbranch_execz .LBB884_53
.LBB884_173:
	flat_load_u16 v17, v0, s[36:37] offset:2560 scale_offset
	s_wait_xcnt 0x0
	s_or_b32 exec_lo, exec_lo, s1
                                        ; implicit-def: $vgpr19
	s_and_saveexec_b32 s1, s8
	s_cbranch_execnz .LBB884_54
.LBB884_174:
	s_or_b32 exec_lo, exec_lo, s1
                                        ; implicit-def: $vgpr20
	s_and_saveexec_b32 s1, s9
	s_cbranch_execz .LBB884_55
.LBB884_175:
	flat_load_u16 v20, v0, s[36:37] offset:3584 scale_offset
	s_wait_xcnt 0x0
	s_or_b32 exec_lo, exec_lo, s1
                                        ; implicit-def: $vgpr21
	s_and_saveexec_b32 s1, s10
	s_cbranch_execnz .LBB884_56
.LBB884_176:
	s_or_b32 exec_lo, exec_lo, s1
                                        ; implicit-def: $vgpr22
	s_and_saveexec_b32 s1, s11
	s_cbranch_execz .LBB884_57
.LBB884_177:
	flat_load_u16 v22, v0, s[36:37] offset:4608 scale_offset
	s_wait_xcnt 0x0
	s_or_b32 exec_lo, exec_lo, s1
                                        ; implicit-def: $vgpr23
	s_and_saveexec_b32 s1, s12
	s_cbranch_execnz .LBB884_58
.LBB884_178:
	s_or_b32 exec_lo, exec_lo, s1
                                        ; implicit-def: $vgpr24
	s_and_saveexec_b32 s1, s13
	s_cbranch_execz .LBB884_59
.LBB884_179:
	flat_load_u16 v24, v0, s[36:37] offset:5632 scale_offset
	s_wait_xcnt 0x0
	s_or_b32 exec_lo, exec_lo, s1
                                        ; implicit-def: $vgpr25
	s_and_saveexec_b32 s1, s14
	s_cbranch_execnz .LBB884_60
.LBB884_180:
	s_or_b32 exec_lo, exec_lo, s1
                                        ; implicit-def: $vgpr26
	s_and_saveexec_b32 s1, s15
	s_cbranch_execz .LBB884_61
.LBB884_181:
	flat_load_u16 v26, v0, s[36:37] offset:6656 scale_offset
	s_wait_xcnt 0x0
	s_or_b32 exec_lo, exec_lo, s1
                                        ; implicit-def: $vgpr27
	s_and_saveexec_b32 s1, s16
	s_cbranch_execnz .LBB884_62
.LBB884_182:
	s_or_b32 exec_lo, exec_lo, s1
                                        ; implicit-def: $vgpr28
	s_and_saveexec_b32 s1, s17
	s_cbranch_execz .LBB884_63
.LBB884_183:
	flat_load_u16 v28, v0, s[36:37] offset:7680 scale_offset
	s_wait_xcnt 0x0
	s_or_b32 exec_lo, exec_lo, s1
                                        ; implicit-def: $vgpr29
	s_and_saveexec_b32 s1, s18
	s_cbranch_execnz .LBB884_64
.LBB884_184:
	s_or_b32 exec_lo, exec_lo, s1
                                        ; implicit-def: $vgpr30
	s_and_saveexec_b32 s1, s19
	s_cbranch_execz .LBB884_65
.LBB884_185:
	flat_load_u16 v30, v0, s[36:37] offset:8704 scale_offset
	s_wait_xcnt 0x0
	s_or_b32 exec_lo, exec_lo, s1
                                        ; implicit-def: $vgpr31
	s_and_saveexec_b32 s1, s20
	s_cbranch_execz .LBB884_67
	s_branch .LBB884_66
.LBB884_186:
                                        ; implicit-def: $vgpr4
                                        ; implicit-def: $vgpr5
                                        ; implicit-def: $vgpr6
                                        ; implicit-def: $vgpr7
                                        ; implicit-def: $vgpr8
                                        ; implicit-def: $vgpr9
                                        ; implicit-def: $vgpr36
                                        ; implicit-def: $vgpr38
                                        ; implicit-def: $vgpr18
                                        ; implicit-def: $vgpr37
                                        ; implicit-def: $vgpr39
                                        ; implicit-def: $vgpr40
                                        ; implicit-def: $vgpr41
                                        ; implicit-def: $vgpr42
                                        ; implicit-def: $vgpr43
                                        ; implicit-def: $vgpr45
                                        ; implicit-def: $vgpr44
                                        ; implicit-def: $vgpr46
                                        ; implicit-def: $vgpr47
                                        ; implicit-def: $vgpr48
	s_cbranch_execnz .LBB884_264
.LBB884_187:
	s_add_nc_u64 s[2:3], s[26:27], s[34:35]
	s_and_b32 vcc_lo, exec_lo, s0
	s_add_nc_u64 s[0:1], s[2:3], s[24:25]
	s_cbranch_vccz .LBB884_283
.LBB884_188:
	v_mul_u32_u24_e32 v1, 20, v0
	s_add_co_i32 s23, s23, s30
	s_mov_b32 s2, exec_lo
	s_delay_alu instid0(VALU_DEP_1)
	v_cmpx_gt_u32_e64 s23, v1
	s_cbranch_execz .LBB884_220
; %bb.189:
	v_or_b32_e32 v2, 1, v1
	s_mov_b32 s3, exec_lo
	s_delay_alu instid0(VALU_DEP_1)
	v_cmpx_gt_u32_e64 s23, v2
	s_cbranch_execz .LBB884_219
; %bb.190:
	v_or_b32_e32 v2, 2, v1
	;; [unrolled: 6-line block ×3, first 2 shown]
	s_mov_b32 s5, exec_lo
	s_delay_alu instid0(VALU_DEP_1)
	v_cmpx_gt_u32_e64 s23, v2
	s_cbranch_execz .LBB884_217
; %bb.192:
	v_add_nc_u32_e32 v2, 4, v1
	s_mov_b32 s6, exec_lo
	s_delay_alu instid0(VALU_DEP_1)
	v_cmpx_gt_u32_e64 s23, v2
	s_cbranch_execz .LBB884_216
; %bb.193:
	v_add_nc_u32_e32 v2, 5, v1
	;; [unrolled: 6-line block ×12, first 2 shown]
	s_mov_b32 s17, exec_lo
	s_delay_alu instid0(VALU_DEP_1)
	v_cmpx_gt_u32_e64 s23, v2
; %bb.204:
	v_add_nc_u32_e32 v2, 16, v1
	s_mov_b32 s18, exec_lo
	s_delay_alu instid0(VALU_DEP_1)
	v_cmpx_gt_u32_e64 s23, v2
	s_or_b32 exec_lo, exec_lo, s18
; %bb.205:
	s_delay_alu instid0(SALU_CYCLE_1)
	s_or_b32 exec_lo, exec_lo, s17
.LBB884_206:
	s_delay_alu instid0(SALU_CYCLE_1)
	s_or_b32 exec_lo, exec_lo, s16
.LBB884_207:
	s_delay_alu instid0(SALU_CYCLE_1)
	s_or_b32 exec_lo, exec_lo, s15
.LBB884_208:
	s_delay_alu instid0(SALU_CYCLE_1)
	s_or_b32 exec_lo, exec_lo, s14
.LBB884_209:
	s_delay_alu instid0(SALU_CYCLE_1)
	s_or_b32 exec_lo, exec_lo, s13
.LBB884_210:
	s_delay_alu instid0(SALU_CYCLE_1)
	s_or_b32 exec_lo, exec_lo, s12
.LBB884_211:
	s_delay_alu instid0(SALU_CYCLE_1)
	s_or_b32 exec_lo, exec_lo, s11
.LBB884_212:
	s_delay_alu instid0(SALU_CYCLE_1)
	s_or_b32 exec_lo, exec_lo, s10
.LBB884_213:
	s_delay_alu instid0(SALU_CYCLE_1)
	s_or_b32 exec_lo, exec_lo, s9
.LBB884_214:
	s_delay_alu instid0(SALU_CYCLE_1)
	s_or_b32 exec_lo, exec_lo, s8
.LBB884_215:
	s_delay_alu instid0(SALU_CYCLE_1)
	s_or_b32 exec_lo, exec_lo, s7
.LBB884_216:
	s_delay_alu instid0(SALU_CYCLE_1)
	s_or_b32 exec_lo, exec_lo, s6
.LBB884_217:
	s_delay_alu instid0(SALU_CYCLE_1)
	s_or_b32 exec_lo, exec_lo, s5
.LBB884_218:
	s_delay_alu instid0(SALU_CYCLE_1)
	s_or_b32 exec_lo, exec_lo, s4
.LBB884_219:
	s_delay_alu instid0(SALU_CYCLE_1)
	s_or_b32 exec_lo, exec_lo, s3
.LBB884_220:
	s_delay_alu instid0(SALU_CYCLE_1)
	s_or_b32 exec_lo, exec_lo, s2
	v_dual_mov_b32 v21, 0 :: v_dual_lshlrev_b32 v28, 1, v1
	v_perm_b32 v3, v38, v36, 0x5040100
	v_perm_b32 v2, v9, v8, 0x5040100
	;; [unrolled: 1-line block ×4, first 2 shown]
	v_mad_i32_i24 v1, 0xffffffda, v0, v28
	v_perm_b32 v13, v45, v43, 0x5040100
	v_perm_b32 v12, v42, v41, 0x5040100
	v_perm_b32 v15, v40, v39, 0x5040100
	v_perm_b32 v14, v37, v18, 0x5040100
	v_perm_b32 v17, v48, v47, 0x5040100
	v_perm_b32 v16, v46, v44, 0x5040100
	s_wait_storecnt 0x0
	s_barrier_signal -1
	s_barrier_wait -1
	ds_store_2addr_b64 v28, v[10:11], v[2:3] offset1:1
	ds_store_2addr_b64 v28, v[14:15], v[12:13] offset0:2 offset1:3
	ds_store_b64 v28, v[16:17] offset:32
	s_wait_dscnt 0x0
	s_barrier_signal -1
	s_barrier_wait -1
	ds_load_u16 v31, v1 offset:512
	ds_load_u16 v30, v1 offset:1024
	;; [unrolled: 1-line block ×19, first 2 shown]
	v_add_nc_u64_e32 v[2:3], s[0:1], v[20:21]
	s_mov_b32 s2, exec_lo
	v_cmpx_gt_u32_e64 s23, v0
	s_cbranch_execz .LBB884_222
; %bb.221:
	v_mul_i32_i24_e32 v20, 0xffffffda, v0
	s_delay_alu instid0(VALU_DEP_1)
	v_add_nc_u32_e32 v20, v28, v20
	ds_load_u16 v20, v20
	s_wait_dscnt 0x0
	flat_store_b16 v[2:3], v20
.LBB884_222:
	s_wait_xcnt 0x0
	s_or_b32 exec_lo, exec_lo, s2
	v_or_b32_e32 v20, 0x100, v0
	s_mov_b32 s2, exec_lo
	s_delay_alu instid0(VALU_DEP_1)
	v_cmpx_gt_u32_e64 s23, v20
	s_cbranch_execz .LBB884_224
; %bb.223:
	s_wait_dscnt 0x12
	flat_store_b16 v[2:3], v31 offset:512
.LBB884_224:
	s_wait_xcnt 0x0
	s_or_b32 exec_lo, exec_lo, s2
	v_or_b32_e32 v20, 0x200, v0
	s_mov_b32 s2, exec_lo
	s_delay_alu instid0(VALU_DEP_1)
	v_cmpx_gt_u32_e64 s23, v20
	s_cbranch_execz .LBB884_226
; %bb.225:
	s_wait_dscnt 0x11
	flat_store_b16 v[2:3], v30 offset:1024
.LBB884_226:
	;; [unrolled: 11-line block ×10, first 2 shown]
	s_wait_xcnt 0x0
	s_or_b32 exec_lo, exec_lo, s2
	s_wait_dscnt 0x9
	v_or_b32_e32 v19, 0xb00, v0
	s_mov_b32 s2, exec_lo
	s_delay_alu instid0(VALU_DEP_1)
	v_cmpx_gt_u32_e64 s23, v19
	s_cbranch_execz .LBB884_244
; %bb.243:
	s_wait_dscnt 0x8
	flat_store_b16 v[2:3], v17 offset:5632
.LBB884_244:
	s_wait_xcnt 0x0
	s_or_b32 exec_lo, exec_lo, s2
	s_wait_dscnt 0x8
	v_or_b32_e32 v17, 0xc00, v0
	s_mov_b32 s2, exec_lo
	s_delay_alu instid0(VALU_DEP_1)
	v_cmpx_gt_u32_e64 s23, v17
	s_cbranch_execz .LBB884_246
; %bb.245:
	s_wait_dscnt 0x7
	flat_store_b16 v[2:3], v16 offset:6144
.LBB884_246:
	;; [unrolled: 12-line block ×8, first 2 shown]
	s_wait_xcnt 0x0
	s_or_b32 exec_lo, exec_lo, s2
	v_or_b32_e32 v2, 0x1300, v0
	s_delay_alu instid0(VALU_DEP_1)
	v_cmp_gt_u32_e64 s2, s23, v2
	s_branch .LBB884_285
.LBB884_259:
	s_and_saveexec_b32 s31, s21
	s_cbranch_execz .LBB884_261
; %bb.260:
	v_and_b32_e32 v3, 0xff0000, v2
	v_and_b32_e32 v5, 0x10000, v2
	s_delay_alu instid0(VALU_DEP_2) | instskip(SKIP_1) | instid1(VALU_DEP_3)
	v_cmp_eq_u32_e32 vcc_lo, 0, v3
	v_dual_cndmask_b32 v3, 0, v49, vcc_lo :: v_dual_bitop2_b32 v4, 1, v48 bitop3:0x40
	v_cmp_eq_u32_e32 vcc_lo, 0, v5
	s_delay_alu instid0(VALU_DEP_2) | instskip(NEXT) | instid1(VALU_DEP_1)
	v_add_nc_u16 v2, v3, v2
	v_and_b32_e32 v2, 0xffff, v2
	s_delay_alu instid0(VALU_DEP_4) | instskip(NEXT) | instid1(VALU_DEP_1)
	v_lshlrev_b32_e32 v4, 16, v4
	v_cndmask_b32_e32 v3, 0x10000, v4, vcc_lo
	s_delay_alu instid0(VALU_DEP_1)
	v_dual_mov_b32 v3, 2 :: v_dual_bitop2_b32 v2, v3, v2 bitop3:0x54
	global_store_b64 v38, v[2:3], s[28:29] scale_offset scope:SCOPE_DEV
.LBB884_261:
	s_wait_xcnt 0x0
	s_or_b32 exec_lo, exec_lo, s31
	s_delay_alu instid0(SALU_CYCLE_1)
	s_and_b32 exec_lo, exec_lo, s2
	s_cbranch_execz .LBB884_263
; %bb.262:
	v_mov_b32_e32 v2, 0
	ds_store_b16 v2, v49
	ds_store_b8 v2, v48 offset:2
.LBB884_263:
	s_or_b32 exec_lo, exec_lo, s22
	v_mov_b32_e32 v2, 0
	s_wait_storecnt_dscnt 0x0
	s_barrier_signal -1
	s_barrier_wait -1
	ds_load_b32 v2, v2
	v_and_b32_e32 v3, 0xff, v37
	v_and_b32_e32 v5, 0xff0000, v32
	s_delay_alu instid0(VALU_DEP_2) | instskip(SKIP_2) | instid1(VALU_DEP_3)
	v_cmp_eq_u16_e32 vcc_lo, 0, v3
	s_wait_dscnt 0x0
	v_cndmask_b32_e32 v3, 0, v2, vcc_lo
	v_cmp_eq_u32_e32 vcc_lo, 0, v5
	s_delay_alu instid0(VALU_DEP_2) | instskip(NEXT) | instid1(VALU_DEP_1)
	v_add_nc_u16 v3, v3, v36
	v_cndmask_b32_e64 v4, v3, v2, s2
	s_delay_alu instid0(VALU_DEP_1) | instskip(NEXT) | instid1(VALU_DEP_1)
	v_cndmask_b32_e32 v2, 0, v4, vcc_lo
	v_add_nc_u16 v5, v2, v32
	s_delay_alu instid0(VALU_DEP_1) | instskip(NEXT) | instid1(VALU_DEP_1)
	v_cndmask_b32_e64 v2, 0, v5, s20
	v_add_nc_u16 v6, v2, v11
	s_delay_alu instid0(VALU_DEP_1) | instskip(NEXT) | instid1(VALU_DEP_1)
	v_cndmask_b32_e64 v2, 0, v6, s19
	;; [unrolled: 3-line block ×18, first 2 shown]
	v_add_nc_u16 v48, v2, v1
	s_branch .LBB884_187
.LBB884_264:
	s_cmp_eq_u64 s[40:41], 0
	v_mov_b32_e32 v2, s33
	s_cselect_b32 s1, -1, 0
	s_cmp_eq_u64 s[38:39], 0
	s_cselect_b32 s4, -1, 0
	s_delay_alu instid0(SALU_CYCLE_1) | instskip(NEXT) | instid1(SALU_CYCLE_1)
	s_or_b32 s1, s1, s4
	s_and_b32 vcc_lo, exec_lo, s1
	s_cbranch_vccnz .LBB884_266
; %bb.265:
	v_mov_b32_e32 v2, 0
	global_load_u16 v2, v2, s[38:39]
.LBB884_266:
	v_cmp_gt_u32_e32 vcc_lo, 0x10000, v11
	v_cmp_gt_u32_e64 s1, 0x10000, v10
	v_cmp_gt_u32_e64 s4, 0x10000, v33
	;; [unrolled: 1-line block ×4, first 2 shown]
	v_dual_cndmask_b32 v3, 0, v32, vcc_lo :: v_dual_bitop2_b32 v6, 28, v34 bitop3:0x40
	v_cmp_gt_u32_e64 s7, 0x10000, v29
	v_cmp_gt_u32_e64 s8, 0x10000, v28
	;; [unrolled: 1-line block ×3, first 2 shown]
	s_delay_alu instid0(VALU_DEP_4)
	v_add_nc_u16 v3, v3, v11
	v_cmp_gt_u32_e64 s10, 0x10000, v26
	v_cmp_gt_u32_e64 s11, 0x10000, v25
	;; [unrolled: 1-line block ×4, first 2 shown]
	v_cndmask_b32_e64 v3, 0, v3, s1
	v_cmp_gt_u32_e64 s14, 0x10000, v22
	v_cmp_gt_u32_e64 s15, 0x10000, v21
	;; [unrolled: 1-line block ×4, first 2 shown]
	v_add_nc_u16 v3, v3, v10
	v_cmp_gt_u32_e64 s18, 0x10000, v16
	v_or3_b32 v4, v35, v23, v24
	v_or3_b32 v5, v15, v31, v33
	v_cmp_gt_u32_e64 s19, 0x10000, v1
	v_cndmask_b32_e64 v3, 0, v3, s4
	v_cmp_gt_u32_e64 s20, 0x10000, v12
	v_or3_b32 v4, v4, v25, v26
	v_or3_b32 v5, v5, v10, v11
	v_lshl_add_u32 v6, v0, 2, v6
	v_add_nc_u16 v3, v3, v33
	s_mov_b32 s21, exec_lo
	v_or3_b32 v4, v12, v13, v4
	s_delay_alu instid0(VALU_DEP_2) | instskip(NEXT) | instid1(VALU_DEP_2)
	v_cndmask_b32_e64 v3, 0, v3, s5
	v_bitop3_b32 v5, v4, 0xff0000, v5 bitop3:0xc8
	s_delay_alu instid0(VALU_DEP_2) | instskip(NEXT) | instid1(VALU_DEP_1)
	v_add_nc_u16 v3, v3, v31
	v_cndmask_b32_e64 v3, 0, v3, s6
	s_delay_alu instid0(VALU_DEP_1) | instskip(NEXT) | instid1(VALU_DEP_1)
	v_add_nc_u16 v3, v3, v30
	v_cndmask_b32_e64 v3, 0, v3, s7
	s_delay_alu instid0(VALU_DEP_1) | instskip(NEXT) | instid1(VALU_DEP_1)
	;; [unrolled: 3-line block ×14, first 2 shown]
	v_add_nc_u16 v3, v3, v1
	v_cndmask_b32_e64 v3, 0, v3, s20
	v_cmp_eq_u32_e64 s20, 0, v5
	s_delay_alu instid0(VALU_DEP_2) | instskip(NEXT) | instid1(VALU_DEP_2)
	v_add_nc_u16 v4, v3, v12
	v_cndmask_b32_e64 v5, 1, v14, s20
	ds_store_b16 v6, v4
	ds_store_b8 v6, v5 offset:2
	s_wait_loadcnt_dscnt 0x0
	s_barrier_signal -1
	s_barrier_wait -1
	v_cmpx_gt_u32_e32 32, v0
	s_cbranch_execz .LBB884_278
; %bb.267:
	v_and_b32_e32 v3, 0xfc, v0
	v_lshlrev_b32_e32 v6, 5, v0
	s_mov_b32 s22, exec_lo
	s_delay_alu instid0(VALU_DEP_1)
	v_add_nc_u32_e32 v3, v3, v6
	ds_load_u8 v7, v3 offset:6
	ds_load_b32 v6, v3
	ds_load_u16 v8, v3 offset:4
	ds_load_u8 v9, v3 offset:10
	ds_load_u16 v12, v3 offset:8
	ds_load_u16 v13, v3 offset:12
	ds_load_u8 v14, v3 offset:14
	ds_load_u16 v15, v3 offset:16
	s_wait_dscnt 0x7
	v_cmp_eq_u16_e64 s20, 0, v7
	s_wait_dscnt 0x4
	s_delay_alu instid0(VALU_DEP_1) | instskip(SKIP_1) | instid1(VALU_DEP_2)
	v_dual_cndmask_b32 v18, 0, v6, s20 :: v_dual_bitop2_b32 v7, v9, v7 bitop3:0x54
	v_cmp_eq_u16_e64 s20, 0, v9
	v_add_nc_u16 v8, v18, v8
	ds_load_u8 v18, v3 offset:18
	v_cndmask_b32_e64 v8, 0, v8, s20
	s_wait_dscnt 0x2
	v_cmp_eq_u16_e64 s20, 0, v14
	s_delay_alu instid0(VALU_DEP_2) | instskip(SKIP_2) | instid1(VALU_DEP_1)
	v_add_nc_u16 v8, v8, v12
	ds_load_u8 v12, v3 offset:22
	v_cndmask_b32_e64 v8, 0, v8, s20
	v_add_nc_u16 v8, v8, v13
	s_wait_dscnt 0x1
	v_cmp_eq_u16_e64 s20, 0, v18
	ds_load_u16 v13, v3 offset:20
	ds_load_u16 v34, v3 offset:24
	ds_load_u8 v35, v3 offset:26
	ds_load_u16 v36, v3 offset:28
	ds_load_u8 v37, v3 offset:30
	v_bitop3_b16 v9, v7, v18, v14 bitop3:0xfe
	v_and_b32_e32 v7, 0x10000, v6
	v_cndmask_b32_e64 v8, 0, v8, s20
	s_delay_alu instid0(VALU_DEP_1) | instskip(SKIP_2) | instid1(VALU_DEP_1)
	v_add_nc_u16 v8, v8, v15
	s_wait_dscnt 0x5
	v_cmp_eq_u16_e64 s20, 0, v12
	v_cndmask_b32_e64 v8, 0, v8, s20
	s_wait_dscnt 0x2
	v_cmp_eq_u16_e64 s20, 0, v35
	v_bitop3_b16 v9, v9, v35, v12 bitop3:0xfe
	s_delay_alu instid0(VALU_DEP_3) | instskip(SKIP_1) | instid1(VALU_DEP_1)
	v_add_nc_u16 v8, v8, v13
	s_wait_dscnt 0x0
	v_dual_cndmask_b32 v8, 0, v8, s20 :: v_dual_bitop2_b32 v12, 1, v37 bitop3:0x40
	v_cmp_eq_u16_e64 s20, 0, v37
	s_delay_alu instid0(VALU_DEP_2) | instskip(NEXT) | instid1(VALU_DEP_1)
	v_add_nc_u16 v8, v8, v34
	v_cndmask_b32_e64 v8, 0, v8, s20
	v_cmp_eq_u16_e64 s20, 0, v9
	s_delay_alu instid0(VALU_DEP_2) | instskip(NEXT) | instid1(VALU_DEP_2)
	v_add_nc_u16 v9, v8, v36
	v_cndmask_b32_e64 v13, 0x10000, v7, s20
	v_cmp_eq_u32_e64 s20, 1, v12
	v_and_b32_e32 v8, 0xff000000, v6
	v_mbcnt_lo_u32_b32 v12, -1, 0
	v_and_b32_e32 v14, 0xffff, v9
	s_delay_alu instid0(VALU_DEP_4) | instskip(NEXT) | instid1(VALU_DEP_1)
	v_cndmask_b32_e64 v13, v13, 0x10000, s20
	v_or_b32_e32 v15, v13, v8
	s_delay_alu instid0(VALU_DEP_3) | instskip(NEXT) | instid1(VALU_DEP_2)
	v_or3_b32 v18, v8, v14, v13
	v_dual_lshrrev_b32 v14, 16, v15 :: v_dual_bitop2_b32 v13, 15, v12 bitop3:0x40
	s_delay_alu instid0(VALU_DEP_2) | instskip(NEXT) | instid1(VALU_DEP_2)
	v_mov_b32_dpp v34, v18 row_shr:1 row_mask:0xf bank_mask:0xf
	v_cmpx_ne_u32_e32 0, v13
	s_cbranch_execz .LBB884_269
; %bb.268:
	s_delay_alu instid0(VALU_DEP_2) | instskip(SKIP_1) | instid1(VALU_DEP_2)
	v_dual_lshrrev_b32 v14, 16, v15 :: v_dual_lshrrev_b32 v18, 16, v34
	v_and_b32_e32 v15, 0x10000, v15
	v_and_b32_e32 v14, 0xff, v14
	s_delay_alu instid0(VALU_DEP_3) | instskip(NEXT) | instid1(VALU_DEP_2)
	v_and_b32_e32 v18, 1, v18
	v_cmp_eq_u16_e64 s20, 0, v14
	s_delay_alu instid0(VALU_DEP_1) | instskip(SKIP_1) | instid1(VALU_DEP_2)
	v_cndmask_b32_e64 v34, 0, v34, s20
	v_cmp_ne_u32_e64 s20, 0, v15
	v_add_nc_u16 v9, v34, v9
	s_delay_alu instid0(VALU_DEP_2) | instskip(NEXT) | instid1(VALU_DEP_2)
	v_cndmask_b32_e64 v14, v18, 1, s20
	v_and_b32_e32 v18, 0xffff, v9
	s_delay_alu instid0(VALU_DEP_2) | instskip(NEXT) | instid1(VALU_DEP_1)
	v_lshlrev_b32_e32 v15, 16, v14
	v_or3_b32 v18, v15, v18, v8
.LBB884_269:
	s_or_b32 exec_lo, exec_lo, s22
	s_delay_alu instid0(VALU_DEP_1)
	v_lshrrev_b32_e32 v15, 16, v18
	v_mov_b32_dpp v34, v18 row_shr:2 row_mask:0xf bank_mask:0xf
	s_mov_b32 s22, exec_lo
	v_cmpx_lt_u32_e32 1, v13
	s_cbranch_execz .LBB884_271
; %bb.270:
	v_and_b32_e32 v15, 0xff, v15
	v_and_b32_e32 v18, 0x10000, v18
	s_delay_alu instid0(VALU_DEP_2) | instskip(NEXT) | instid1(VALU_DEP_1)
	v_cmp_eq_u16_e64 s20, 0, v15
	v_dual_lshrrev_b32 v14, 16, v34 :: v_dual_cndmask_b32 v15, 0, v34, s20
	s_delay_alu instid0(VALU_DEP_1) | instskip(NEXT) | instid1(VALU_DEP_4)
	v_and_b32_e32 v14, 1, v14
	v_cmp_ne_u32_e64 s20, 0, v18
	s_delay_alu instid0(VALU_DEP_3) | instskip(NEXT) | instid1(VALU_DEP_2)
	v_add_nc_u16 v9, v15, v9
	v_cndmask_b32_e64 v14, v14, 1, s20
	s_delay_alu instid0(VALU_DEP_2) | instskip(NEXT) | instid1(VALU_DEP_2)
	v_and_b32_e32 v18, 0xffff, v9
	v_lshlrev_b32_e32 v15, 16, v14
	s_delay_alu instid0(VALU_DEP_1)
	v_or3_b32 v18, v15, v18, v8
	v_mov_b32_e32 v15, v14
.LBB884_271:
	s_or_b32 exec_lo, exec_lo, s22
	s_delay_alu instid0(VALU_DEP_2)
	v_mov_b32_dpp v34, v18 row_shr:4 row_mask:0xf bank_mask:0xf
	s_mov_b32 s22, exec_lo
	v_cmpx_lt_u32_e32 3, v13
	s_cbranch_execz .LBB884_273
; %bb.272:
	v_and_b32_e32 v18, 0xff, v15
	v_dual_lshrrev_b32 v14, 16, v34 :: v_dual_bitop2_b32 v15, 1, v15 bitop3:0x40
	s_delay_alu instid0(VALU_DEP_2) | instskip(NEXT) | instid1(VALU_DEP_2)
	v_cmp_eq_u16_e64 s20, 0, v18
	v_and_b32_e32 v14, 1, v14
	s_delay_alu instid0(VALU_DEP_2) | instskip(NEXT) | instid1(VALU_DEP_4)
	v_cndmask_b32_e64 v18, 0, v34, s20
	v_cmp_eq_u32_e64 s20, 1, v15
	s_delay_alu instid0(VALU_DEP_2) | instskip(NEXT) | instid1(VALU_DEP_2)
	v_add_nc_u16 v9, v18, v9
	v_cndmask_b32_e64 v14, v14, 1, s20
	s_delay_alu instid0(VALU_DEP_2) | instskip(NEXT) | instid1(VALU_DEP_2)
	v_and_b32_e32 v18, 0xffff, v9
	v_lshlrev_b32_e32 v15, 16, v14
	s_delay_alu instid0(VALU_DEP_1)
	v_or3_b32 v18, v15, v18, v8
	v_mov_b32_e32 v15, v14
.LBB884_273:
	s_or_b32 exec_lo, exec_lo, s22
	s_delay_alu instid0(VALU_DEP_2)
	v_mov_b32_dpp v34, v18 row_shr:8 row_mask:0xf bank_mask:0xf
	s_mov_b32 s22, exec_lo
	v_cmpx_lt_u32_e32 7, v13
	s_cbranch_execz .LBB884_275
; %bb.274:
	v_and_b32_e32 v14, 0xff, v15
	v_dual_lshrrev_b32 v13, 16, v34 :: v_dual_bitop2_b32 v15, 1, v15 bitop3:0x40
	s_delay_alu instid0(VALU_DEP_2) | instskip(NEXT) | instid1(VALU_DEP_1)
	v_cmp_eq_u16_e64 s20, 0, v14
	v_dual_cndmask_b32 v18, 0, v34, s20 :: v_dual_bitop2_b32 v13, 1, v13 bitop3:0x40
	s_delay_alu instid0(VALU_DEP_3) | instskip(NEXT) | instid1(VALU_DEP_2)
	v_cmp_eq_u32_e64 s20, 1, v15
	v_add_nc_u16 v9, v18, v9
	s_delay_alu instid0(VALU_DEP_2) | instskip(NEXT) | instid1(VALU_DEP_2)
	v_cndmask_b32_e64 v14, v13, 1, s20
	v_and_b32_e32 v15, 0xffff, v9
	s_delay_alu instid0(VALU_DEP_2) | instskip(NEXT) | instid1(VALU_DEP_1)
	v_lshlrev_b32_e32 v13, 16, v14
	v_or3_b32 v18, v13, v15, v8
	v_mov_b32_e32 v15, v14
.LBB884_275:
	s_or_b32 exec_lo, exec_lo, s22
	ds_swizzle_b32 v13, v18 offset:swizzle(BROADCAST,32,15)
	v_and_b32_e32 v18, 16, v12
	s_mov_b32 s22, exec_lo
	s_delay_alu instid0(VALU_DEP_1)
	v_cmpx_ne_u32_e32 0, v18
	s_cbranch_execz .LBB884_277
; %bb.276:
	v_and_b32_e32 v14, 0xff, v15
	s_delay_alu instid0(VALU_DEP_1) | instskip(SKIP_2) | instid1(VALU_DEP_1)
	v_cmp_eq_u16_e64 s20, 0, v14
	s_wait_dscnt 0x0
	v_dual_lshrrev_b32 v18, 16, v13 :: v_dual_bitop2_b32 v14, 1, v15 bitop3:0x40
	v_dual_cndmask_b32 v13, 0, v13, s20 :: v_dual_bitop2_b32 v15, 1, v18 bitop3:0x40
	s_delay_alu instid0(VALU_DEP_2) | instskip(NEXT) | instid1(VALU_DEP_2)
	v_cmp_eq_u32_e64 s20, 1, v14
	v_add_nc_u16 v9, v13, v9
	s_delay_alu instid0(VALU_DEP_2)
	v_cndmask_b32_e64 v14, v15, 1, s20
.LBB884_277:
	s_or_b32 exec_lo, exec_lo, s22
	s_wait_dscnt 0x0
	s_delay_alu instid0(VALU_DEP_1) | instskip(SKIP_2) | instid1(VALU_DEP_3)
	v_and_b32_e32 v13, 0xff, v14
	v_add_nc_u32_e32 v14, -1, v12
	v_and_b32_e32 v9, 0xffff, v9
	; wave barrier
	v_lshlrev_b32_e32 v13, 16, v13
	s_delay_alu instid0(VALU_DEP_3) | instskip(NEXT) | instid1(VALU_DEP_2)
	v_cmp_gt_i32_e64 s20, 0, v14
	v_or3_b32 v8, v13, v9, v8
	s_delay_alu instid0(VALU_DEP_2) | instskip(NEXT) | instid1(VALU_DEP_1)
	v_cndmask_b32_e64 v12, v14, v12, s20
	v_lshlrev_b32_e32 v9, 2, v12
	ds_bpermute_b32 v8, v9, v8
	v_and_b32_e32 v9, 0xff0000, v6
	s_delay_alu instid0(VALU_DEP_1) | instskip(SKIP_1) | instid1(VALU_DEP_1)
	v_cmp_eq_u32_e64 s20, 0, v9
	s_wait_dscnt 0x0
	v_dual_lshrrev_b32 v12, 16, v8 :: v_dual_cndmask_b32 v8, 0, v8, s20
	v_cmp_eq_u32_e64 s20, 0, v7
	s_delay_alu instid0(VALU_DEP_2) | instskip(NEXT) | instid1(VALU_DEP_3)
	v_and_b32_e32 v9, 1, v12
	v_add_nc_u16 v6, v8, v6
	s_delay_alu instid0(VALU_DEP_1) | instskip(NEXT) | instid1(VALU_DEP_1)
	v_dual_cndmask_b32 v7, 1, v9, s20 :: v_dual_cndmask_b32 v4, v6, v4, s2
	v_cndmask_b32_e64 v5, v7, v5, s2
	ds_store_b16 v3, v4
	ds_store_b8 v3, v5 offset:2
	; wave barrier
	ds_load_u8 v6, v3 offset:6
	ds_load_u16 v7, v3 offset:4
	ds_load_u8 v8, v3 offset:10
	ds_load_u16 v9, v3 offset:8
	ds_load_u16 v12, v3 offset:12
	ds_load_u8 v13, v3 offset:14
	ds_load_u16 v14, v3 offset:16
	ds_load_u8 v15, v3 offset:18
	s_wait_dscnt 0x7
	v_cmp_eq_u16_e64 s20, 0, v6
	s_delay_alu instid0(VALU_DEP_1) | instskip(SKIP_2) | instid1(VALU_DEP_2)
	v_dual_cndmask_b32 v4, 0, v4, s20 :: v_dual_bitop2_b32 v6, 1, v6 bitop3:0x40
	s_wait_dscnt 0x5
	v_cmp_eq_u16_e64 s20, 0, v8
	v_add_nc_u16 v4, v4, v7
	s_delay_alu instid0(VALU_DEP_1) | instskip(SKIP_2) | instid1(VALU_DEP_2)
	v_cndmask_b32_e64 v7, 0, v4, s20
	s_wait_dscnt 0x2
	v_cmp_eq_u16_e64 s20, 0, v13
	v_add_nc_u16 v7, v7, v9
	ds_load_u8 v9, v3 offset:22
	ds_load_u16 v34, v3 offset:20
	ds_load_u8 v35, v3 offset:26
	ds_load_u8 v36, v3 offset:30
	v_cndmask_b32_e64 v18, 0, v7, s20
	v_cmp_eq_u32_e64 s20, 1, v6
	v_and_b32_e32 v6, 1, v13
	s_delay_alu instid0(VALU_DEP_3) | instskip(NEXT) | instid1(VALU_DEP_3)
	v_add_nc_u16 v12, v18, v12
	v_cndmask_b32_e64 v5, v5, 1, s20
	s_wait_dscnt 0x4
	v_cmp_eq_u16_e64 s20, 0, v15
	ds_load_u16 v18, v3 offset:24
	ds_load_u16 v37, v3 offset:28
	v_cndmask_b32_e64 v13, 0, v12, s20
	s_delay_alu instid0(VALU_DEP_1) | instskip(SKIP_4) | instid1(VALU_DEP_3)
	v_add_nc_u16 v13, v13, v14
	v_and_b32_e32 v8, 1, v8
	v_and_b32_e32 v14, 1, v15
	s_wait_dscnt 0x2
	v_and_b32_e32 v38, 1, v36
	v_cmp_eq_u32_e64 s20, 1, v8
	s_delay_alu instid0(VALU_DEP_1) | instskip(SKIP_1) | instid1(VALU_DEP_1)
	v_cndmask_b32_e64 v8, v5, 1, s20
	v_cmp_eq_u32_e64 s20, 1, v6
	v_cndmask_b32_e64 v6, v8, 1, s20
	v_cmp_eq_u16_e64 s20, 0, v9
	v_and_b32_e32 v9, 1, v9
	s_delay_alu instid0(VALU_DEP_2) | instskip(SKIP_1) | instid1(VALU_DEP_2)
	v_cndmask_b32_e64 v15, 0, v13, s20
	v_cmp_eq_u32_e64 s20, 1, v14
	v_add_nc_u16 v15, v15, v34
	s_delay_alu instid0(VALU_DEP_2)
	v_cndmask_b32_e64 v14, v6, 1, s20
	v_cmp_eq_u32_e64 s20, 1, v9
	v_and_b32_e32 v34, 1, v35
	ds_store_b16 v3, v4 offset:4
	ds_store_b8 v3, v5 offset:6
	ds_store_b16 v3, v7 offset:8
	ds_store_b8 v3, v8 offset:10
	;; [unrolled: 2-line block ×4, first 2 shown]
	v_cndmask_b32_e64 v9, v14, 1, s20
	v_cmp_eq_u16_e64 s20, 0, v35
	s_delay_alu instid0(VALU_DEP_1) | instskip(SKIP_2) | instid1(VALU_DEP_2)
	v_cndmask_b32_e64 v35, 0, v15, s20
	v_cmp_eq_u32_e64 s20, 1, v34
	s_wait_dscnt 0x9
	v_add_nc_u16 v18, v35, v18
	s_delay_alu instid0(VALU_DEP_2) | instskip(SKIP_1) | instid1(VALU_DEP_1)
	v_cndmask_b32_e64 v34, v9, 1, s20
	v_cmp_eq_u32_e64 s20, 1, v38
	v_cndmask_b32_e64 v35, v34, 1, s20
	v_cmp_eq_u16_e64 s20, 0, v36
	s_delay_alu instid0(VALU_DEP_1) | instskip(SKIP_1) | instid1(VALU_DEP_1)
	v_cndmask_b32_e64 v36, 0, v18, s20
	s_wait_dscnt 0x8
	v_add_nc_u16 v4, v36, v37
	ds_store_b16 v3, v15 offset:20
	ds_store_b8 v3, v9 offset:22
	ds_store_b16 v3, v18 offset:24
	ds_store_b8 v3, v34 offset:26
	;; [unrolled: 2-line block ×3, first 2 shown]
.LBB884_278:
	s_or_b32 exec_lo, exec_lo, s21
	v_mov_b32_e32 v4, v2
	s_wait_dscnt 0x0
	s_barrier_signal -1
	s_barrier_wait -1
	s_and_saveexec_b32 s20, s3
	s_cbranch_execz .LBB884_280
; %bb.279:
	v_add_nc_u32_e32 v3, -1, v0
	s_delay_alu instid0(VALU_DEP_1) | instskip(NEXT) | instid1(VALU_DEP_1)
	v_lshrrev_b32_e32 v4, 3, v3
	v_and_b32_e32 v4, 0x1ffffffc, v4
	s_delay_alu instid0(VALU_DEP_1) | instskip(SKIP_4) | instid1(VALU_DEP_1)
	v_lshl_add_u32 v3, v3, 2, v4
	ds_load_u8 v4, v3 offset:2
	ds_load_u16 v3, v3
	s_wait_dscnt 0x1
	v_cmp_eq_u16_e64 s3, 0, v4
	v_cndmask_b32_e64 v4, 0, v2, s3
	s_wait_dscnt 0x0
	s_delay_alu instid0(VALU_DEP_1)
	v_add_nc_u16 v4, v4, v3
.LBB884_280:
	s_or_b32 exec_lo, exec_lo, s20
	v_and_b32_e32 v3, 0xff0000, v32
	s_delay_alu instid0(VALU_DEP_1) | instskip(NEXT) | instid1(VALU_DEP_1)
	v_cmp_eq_u32_e64 s3, 0, v3
	v_cndmask_b32_e64 v3, 0, v4, s3
	s_delay_alu instid0(VALU_DEP_1) | instskip(NEXT) | instid1(VALU_DEP_1)
	v_add_nc_u16 v5, v3, v32
	v_cndmask_b32_e32 v3, 0, v5, vcc_lo
	s_delay_alu instid0(VALU_DEP_1) | instskip(NEXT) | instid1(VALU_DEP_1)
	v_add_nc_u16 v6, v3, v11
	v_cndmask_b32_e64 v3, 0, v6, s1
	s_delay_alu instid0(VALU_DEP_1) | instskip(NEXT) | instid1(VALU_DEP_1)
	v_add_nc_u16 v7, v3, v10
	v_cndmask_b32_e64 v3, 0, v7, s4
	;; [unrolled: 3-line block ×17, first 2 shown]
	s_and_saveexec_b32 s1, s2
	s_cbranch_execz .LBB884_282
; %bb.281:
	v_mov_b32_e32 v12, 0
	ds_load_u8 v10, v12 offset:1050
	ds_load_u16 v11, v12 offset:1048
	s_wait_dscnt 0x1
	v_cmp_eq_u32_e32 vcc_lo, 0, v10
	v_lshlrev_b32_e32 v10, 16, v10
	v_cndmask_b32_e32 v2, 0, v2, vcc_lo
	s_wait_dscnt 0x0
	s_delay_alu instid0(VALU_DEP_1) | instskip(NEXT) | instid1(VALU_DEP_1)
	v_dual_mov_b32 v11, 2 :: v_dual_add_nc_u32 v2, v2, v11
	v_and_b32_e32 v2, 0xffff, v2
	s_delay_alu instid0(VALU_DEP_1)
	v_or_b32_e32 v10, v10, v2
	global_store_b64 v12, v[10:11], s[28:29] offset:256 scope:SCOPE_DEV
.LBB884_282:
	s_wait_xcnt 0x0
	s_or_b32 exec_lo, exec_lo, s1
	v_add_nc_u16 v48, v3, v1
	s_add_nc_u64 s[2:3], s[26:27], s[34:35]
	s_and_b32 vcc_lo, exec_lo, s0
	s_add_nc_u64 s[0:1], s[2:3], s[24:25]
	s_cbranch_vccnz .LBB884_188
.LBB884_283:
	s_mov_b32 s2, 0
                                        ; implicit-def: $vgpr1
	s_cbranch_execz .LBB884_285
; %bb.284:
	s_wait_dscnt 0x0
	v_mul_u32_u24_e32 v1, 40, v0
	v_perm_b32 v3, v38, v36, 0x5040100
	v_perm_b32 v2, v9, v8, 0x5040100
	;; [unrolled: 1-line block ×4, first 2 shown]
	v_mul_i32_i24_e32 v12, 0xffffffda, v0
	v_perm_b32 v5, v45, v43, 0x5040100
	v_perm_b32 v4, v42, v41, 0x5040100
	;; [unrolled: 1-line block ×6, first 2 shown]
	s_wait_storecnt 0x0
	s_barrier_signal -1
	s_barrier_wait -1
	ds_store_2addr_b64 v1, v[6:7], v[2:3] offset1:1
	ds_store_2addr_b64 v1, v[8:9], v[4:5] offset0:2 offset1:3
	ds_store_b64 v1, v[10:11] offset:32
	v_mad_u32_u24 v1, v0, 40, v12
	s_wait_dscnt 0x0
	s_barrier_signal -1
	s_barrier_wait -1
	ds_load_u16 v2, v1
	ds_load_u16 v3, v1 offset:512
	ds_load_u16 v4, v1 offset:1024
	;; [unrolled: 1-line block ×19, first 2 shown]
	s_or_b32 s2, s2, exec_lo
	s_wait_dscnt 0x13
	flat_store_b16 v0, v2, s[0:1] scale_offset
	s_wait_dscnt 0x13
	flat_store_b16 v0, v3, s[0:1] offset:512 scale_offset
	s_wait_dscnt 0x13
	flat_store_b16 v0, v4, s[0:1] offset:1024 scale_offset
	;; [unrolled: 2-line block ×18, first 2 shown]
.LBB884_285:
	s_wait_xcnt 0x0
	s_delay_alu instid0(VALU_DEP_1)
	s_and_saveexec_b32 s3, s2
	s_cbranch_execz .LBB884_287
; %bb.286:
	s_wait_dscnt 0x0
	flat_store_b16 v0, v1, s[0:1] offset:9728 scale_offset
	s_endpgm
.LBB884_287:
	s_endpgm
	.section	.rodata,"a",@progbits
	.p2align	6, 0x0
	.amdhsa_kernel _ZN7rocprim17ROCPRIM_400000_NS6detail17trampoline_kernelINS0_14default_configENS1_27scan_by_key_config_selectorIssEEZZNS1_16scan_by_key_implILNS1_25lookback_scan_determinismE0ELb1ES3_N6thrust23THRUST_200600_302600_NS6detail15normal_iteratorINS9_10device_ptrIsEEEESE_SE_sNS9_4plusIsEE19head_flag_predicatesEE10hipError_tPvRmT2_T3_T4_T5_mT6_T7_P12ihipStream_tbENKUlT_T0_E_clISt17integral_constantIbLb0EESX_IbLb1EEEEDaST_SU_EUlST_E_NS1_11comp_targetILNS1_3genE0ELNS1_11target_archE4294967295ELNS1_3gpuE0ELNS1_3repE0EEENS1_30default_config_static_selectorELNS0_4arch9wavefront6targetE0EEEvT1_
		.amdhsa_group_segment_fixed_size 11264
		.amdhsa_private_segment_fixed_size 0
		.amdhsa_kernarg_size 112
		.amdhsa_user_sgpr_count 2
		.amdhsa_user_sgpr_dispatch_ptr 0
		.amdhsa_user_sgpr_queue_ptr 0
		.amdhsa_user_sgpr_kernarg_segment_ptr 1
		.amdhsa_user_sgpr_dispatch_id 0
		.amdhsa_user_sgpr_kernarg_preload_length 0
		.amdhsa_user_sgpr_kernarg_preload_offset 0
		.amdhsa_user_sgpr_private_segment_size 0
		.amdhsa_wavefront_size32 1
		.amdhsa_uses_dynamic_stack 0
		.amdhsa_enable_private_segment 0
		.amdhsa_system_sgpr_workgroup_id_x 1
		.amdhsa_system_sgpr_workgroup_id_y 0
		.amdhsa_system_sgpr_workgroup_id_z 0
		.amdhsa_system_sgpr_workgroup_info 0
		.amdhsa_system_vgpr_workitem_id 0
		.amdhsa_next_free_vgpr 57
		.amdhsa_next_free_sgpr 46
		.amdhsa_named_barrier_count 0
		.amdhsa_reserve_vcc 1
		.amdhsa_float_round_mode_32 0
		.amdhsa_float_round_mode_16_64 0
		.amdhsa_float_denorm_mode_32 3
		.amdhsa_float_denorm_mode_16_64 3
		.amdhsa_fp16_overflow 0
		.amdhsa_memory_ordered 1
		.amdhsa_forward_progress 1
		.amdhsa_inst_pref_size 151
		.amdhsa_round_robin_scheduling 0
		.amdhsa_exception_fp_ieee_invalid_op 0
		.amdhsa_exception_fp_denorm_src 0
		.amdhsa_exception_fp_ieee_div_zero 0
		.amdhsa_exception_fp_ieee_overflow 0
		.amdhsa_exception_fp_ieee_underflow 0
		.amdhsa_exception_fp_ieee_inexact 0
		.amdhsa_exception_int_div_zero 0
	.end_amdhsa_kernel
	.section	.text._ZN7rocprim17ROCPRIM_400000_NS6detail17trampoline_kernelINS0_14default_configENS1_27scan_by_key_config_selectorIssEEZZNS1_16scan_by_key_implILNS1_25lookback_scan_determinismE0ELb1ES3_N6thrust23THRUST_200600_302600_NS6detail15normal_iteratorINS9_10device_ptrIsEEEESE_SE_sNS9_4plusIsEE19head_flag_predicatesEE10hipError_tPvRmT2_T3_T4_T5_mT6_T7_P12ihipStream_tbENKUlT_T0_E_clISt17integral_constantIbLb0EESX_IbLb1EEEEDaST_SU_EUlST_E_NS1_11comp_targetILNS1_3genE0ELNS1_11target_archE4294967295ELNS1_3gpuE0ELNS1_3repE0EEENS1_30default_config_static_selectorELNS0_4arch9wavefront6targetE0EEEvT1_,"axG",@progbits,_ZN7rocprim17ROCPRIM_400000_NS6detail17trampoline_kernelINS0_14default_configENS1_27scan_by_key_config_selectorIssEEZZNS1_16scan_by_key_implILNS1_25lookback_scan_determinismE0ELb1ES3_N6thrust23THRUST_200600_302600_NS6detail15normal_iteratorINS9_10device_ptrIsEEEESE_SE_sNS9_4plusIsEE19head_flag_predicatesEE10hipError_tPvRmT2_T3_T4_T5_mT6_T7_P12ihipStream_tbENKUlT_T0_E_clISt17integral_constantIbLb0EESX_IbLb1EEEEDaST_SU_EUlST_E_NS1_11comp_targetILNS1_3genE0ELNS1_11target_archE4294967295ELNS1_3gpuE0ELNS1_3repE0EEENS1_30default_config_static_selectorELNS0_4arch9wavefront6targetE0EEEvT1_,comdat
.Lfunc_end884:
	.size	_ZN7rocprim17ROCPRIM_400000_NS6detail17trampoline_kernelINS0_14default_configENS1_27scan_by_key_config_selectorIssEEZZNS1_16scan_by_key_implILNS1_25lookback_scan_determinismE0ELb1ES3_N6thrust23THRUST_200600_302600_NS6detail15normal_iteratorINS9_10device_ptrIsEEEESE_SE_sNS9_4plusIsEE19head_flag_predicatesEE10hipError_tPvRmT2_T3_T4_T5_mT6_T7_P12ihipStream_tbENKUlT_T0_E_clISt17integral_constantIbLb0EESX_IbLb1EEEEDaST_SU_EUlST_E_NS1_11comp_targetILNS1_3genE0ELNS1_11target_archE4294967295ELNS1_3gpuE0ELNS1_3repE0EEENS1_30default_config_static_selectorELNS0_4arch9wavefront6targetE0EEEvT1_, .Lfunc_end884-_ZN7rocprim17ROCPRIM_400000_NS6detail17trampoline_kernelINS0_14default_configENS1_27scan_by_key_config_selectorIssEEZZNS1_16scan_by_key_implILNS1_25lookback_scan_determinismE0ELb1ES3_N6thrust23THRUST_200600_302600_NS6detail15normal_iteratorINS9_10device_ptrIsEEEESE_SE_sNS9_4plusIsEE19head_flag_predicatesEE10hipError_tPvRmT2_T3_T4_T5_mT6_T7_P12ihipStream_tbENKUlT_T0_E_clISt17integral_constantIbLb0EESX_IbLb1EEEEDaST_SU_EUlST_E_NS1_11comp_targetILNS1_3genE0ELNS1_11target_archE4294967295ELNS1_3gpuE0ELNS1_3repE0EEENS1_30default_config_static_selectorELNS0_4arch9wavefront6targetE0EEEvT1_
                                        ; -- End function
	.set _ZN7rocprim17ROCPRIM_400000_NS6detail17trampoline_kernelINS0_14default_configENS1_27scan_by_key_config_selectorIssEEZZNS1_16scan_by_key_implILNS1_25lookback_scan_determinismE0ELb1ES3_N6thrust23THRUST_200600_302600_NS6detail15normal_iteratorINS9_10device_ptrIsEEEESE_SE_sNS9_4plusIsEE19head_flag_predicatesEE10hipError_tPvRmT2_T3_T4_T5_mT6_T7_P12ihipStream_tbENKUlT_T0_E_clISt17integral_constantIbLb0EESX_IbLb1EEEEDaST_SU_EUlST_E_NS1_11comp_targetILNS1_3genE0ELNS1_11target_archE4294967295ELNS1_3gpuE0ELNS1_3repE0EEENS1_30default_config_static_selectorELNS0_4arch9wavefront6targetE0EEEvT1_.num_vgpr, 57
	.set _ZN7rocprim17ROCPRIM_400000_NS6detail17trampoline_kernelINS0_14default_configENS1_27scan_by_key_config_selectorIssEEZZNS1_16scan_by_key_implILNS1_25lookback_scan_determinismE0ELb1ES3_N6thrust23THRUST_200600_302600_NS6detail15normal_iteratorINS9_10device_ptrIsEEEESE_SE_sNS9_4plusIsEE19head_flag_predicatesEE10hipError_tPvRmT2_T3_T4_T5_mT6_T7_P12ihipStream_tbENKUlT_T0_E_clISt17integral_constantIbLb0EESX_IbLb1EEEEDaST_SU_EUlST_E_NS1_11comp_targetILNS1_3genE0ELNS1_11target_archE4294967295ELNS1_3gpuE0ELNS1_3repE0EEENS1_30default_config_static_selectorELNS0_4arch9wavefront6targetE0EEEvT1_.num_agpr, 0
	.set _ZN7rocprim17ROCPRIM_400000_NS6detail17trampoline_kernelINS0_14default_configENS1_27scan_by_key_config_selectorIssEEZZNS1_16scan_by_key_implILNS1_25lookback_scan_determinismE0ELb1ES3_N6thrust23THRUST_200600_302600_NS6detail15normal_iteratorINS9_10device_ptrIsEEEESE_SE_sNS9_4plusIsEE19head_flag_predicatesEE10hipError_tPvRmT2_T3_T4_T5_mT6_T7_P12ihipStream_tbENKUlT_T0_E_clISt17integral_constantIbLb0EESX_IbLb1EEEEDaST_SU_EUlST_E_NS1_11comp_targetILNS1_3genE0ELNS1_11target_archE4294967295ELNS1_3gpuE0ELNS1_3repE0EEENS1_30default_config_static_selectorELNS0_4arch9wavefront6targetE0EEEvT1_.numbered_sgpr, 46
	.set _ZN7rocprim17ROCPRIM_400000_NS6detail17trampoline_kernelINS0_14default_configENS1_27scan_by_key_config_selectorIssEEZZNS1_16scan_by_key_implILNS1_25lookback_scan_determinismE0ELb1ES3_N6thrust23THRUST_200600_302600_NS6detail15normal_iteratorINS9_10device_ptrIsEEEESE_SE_sNS9_4plusIsEE19head_flag_predicatesEE10hipError_tPvRmT2_T3_T4_T5_mT6_T7_P12ihipStream_tbENKUlT_T0_E_clISt17integral_constantIbLb0EESX_IbLb1EEEEDaST_SU_EUlST_E_NS1_11comp_targetILNS1_3genE0ELNS1_11target_archE4294967295ELNS1_3gpuE0ELNS1_3repE0EEENS1_30default_config_static_selectorELNS0_4arch9wavefront6targetE0EEEvT1_.num_named_barrier, 0
	.set _ZN7rocprim17ROCPRIM_400000_NS6detail17trampoline_kernelINS0_14default_configENS1_27scan_by_key_config_selectorIssEEZZNS1_16scan_by_key_implILNS1_25lookback_scan_determinismE0ELb1ES3_N6thrust23THRUST_200600_302600_NS6detail15normal_iteratorINS9_10device_ptrIsEEEESE_SE_sNS9_4plusIsEE19head_flag_predicatesEE10hipError_tPvRmT2_T3_T4_T5_mT6_T7_P12ihipStream_tbENKUlT_T0_E_clISt17integral_constantIbLb0EESX_IbLb1EEEEDaST_SU_EUlST_E_NS1_11comp_targetILNS1_3genE0ELNS1_11target_archE4294967295ELNS1_3gpuE0ELNS1_3repE0EEENS1_30default_config_static_selectorELNS0_4arch9wavefront6targetE0EEEvT1_.private_seg_size, 0
	.set _ZN7rocprim17ROCPRIM_400000_NS6detail17trampoline_kernelINS0_14default_configENS1_27scan_by_key_config_selectorIssEEZZNS1_16scan_by_key_implILNS1_25lookback_scan_determinismE0ELb1ES3_N6thrust23THRUST_200600_302600_NS6detail15normal_iteratorINS9_10device_ptrIsEEEESE_SE_sNS9_4plusIsEE19head_flag_predicatesEE10hipError_tPvRmT2_T3_T4_T5_mT6_T7_P12ihipStream_tbENKUlT_T0_E_clISt17integral_constantIbLb0EESX_IbLb1EEEEDaST_SU_EUlST_E_NS1_11comp_targetILNS1_3genE0ELNS1_11target_archE4294967295ELNS1_3gpuE0ELNS1_3repE0EEENS1_30default_config_static_selectorELNS0_4arch9wavefront6targetE0EEEvT1_.uses_vcc, 1
	.set _ZN7rocprim17ROCPRIM_400000_NS6detail17trampoline_kernelINS0_14default_configENS1_27scan_by_key_config_selectorIssEEZZNS1_16scan_by_key_implILNS1_25lookback_scan_determinismE0ELb1ES3_N6thrust23THRUST_200600_302600_NS6detail15normal_iteratorINS9_10device_ptrIsEEEESE_SE_sNS9_4plusIsEE19head_flag_predicatesEE10hipError_tPvRmT2_T3_T4_T5_mT6_T7_P12ihipStream_tbENKUlT_T0_E_clISt17integral_constantIbLb0EESX_IbLb1EEEEDaST_SU_EUlST_E_NS1_11comp_targetILNS1_3genE0ELNS1_11target_archE4294967295ELNS1_3gpuE0ELNS1_3repE0EEENS1_30default_config_static_selectorELNS0_4arch9wavefront6targetE0EEEvT1_.uses_flat_scratch, 1
	.set _ZN7rocprim17ROCPRIM_400000_NS6detail17trampoline_kernelINS0_14default_configENS1_27scan_by_key_config_selectorIssEEZZNS1_16scan_by_key_implILNS1_25lookback_scan_determinismE0ELb1ES3_N6thrust23THRUST_200600_302600_NS6detail15normal_iteratorINS9_10device_ptrIsEEEESE_SE_sNS9_4plusIsEE19head_flag_predicatesEE10hipError_tPvRmT2_T3_T4_T5_mT6_T7_P12ihipStream_tbENKUlT_T0_E_clISt17integral_constantIbLb0EESX_IbLb1EEEEDaST_SU_EUlST_E_NS1_11comp_targetILNS1_3genE0ELNS1_11target_archE4294967295ELNS1_3gpuE0ELNS1_3repE0EEENS1_30default_config_static_selectorELNS0_4arch9wavefront6targetE0EEEvT1_.has_dyn_sized_stack, 0
	.set _ZN7rocprim17ROCPRIM_400000_NS6detail17trampoline_kernelINS0_14default_configENS1_27scan_by_key_config_selectorIssEEZZNS1_16scan_by_key_implILNS1_25lookback_scan_determinismE0ELb1ES3_N6thrust23THRUST_200600_302600_NS6detail15normal_iteratorINS9_10device_ptrIsEEEESE_SE_sNS9_4plusIsEE19head_flag_predicatesEE10hipError_tPvRmT2_T3_T4_T5_mT6_T7_P12ihipStream_tbENKUlT_T0_E_clISt17integral_constantIbLb0EESX_IbLb1EEEEDaST_SU_EUlST_E_NS1_11comp_targetILNS1_3genE0ELNS1_11target_archE4294967295ELNS1_3gpuE0ELNS1_3repE0EEENS1_30default_config_static_selectorELNS0_4arch9wavefront6targetE0EEEvT1_.has_recursion, 0
	.set _ZN7rocprim17ROCPRIM_400000_NS6detail17trampoline_kernelINS0_14default_configENS1_27scan_by_key_config_selectorIssEEZZNS1_16scan_by_key_implILNS1_25lookback_scan_determinismE0ELb1ES3_N6thrust23THRUST_200600_302600_NS6detail15normal_iteratorINS9_10device_ptrIsEEEESE_SE_sNS9_4plusIsEE19head_flag_predicatesEE10hipError_tPvRmT2_T3_T4_T5_mT6_T7_P12ihipStream_tbENKUlT_T0_E_clISt17integral_constantIbLb0EESX_IbLb1EEEEDaST_SU_EUlST_E_NS1_11comp_targetILNS1_3genE0ELNS1_11target_archE4294967295ELNS1_3gpuE0ELNS1_3repE0EEENS1_30default_config_static_selectorELNS0_4arch9wavefront6targetE0EEEvT1_.has_indirect_call, 0
	.section	.AMDGPU.csdata,"",@progbits
; Kernel info:
; codeLenInByte = 19244
; TotalNumSgprs: 48
; NumVgprs: 57
; ScratchSize: 0
; MemoryBound: 0
; FloatMode: 240
; IeeeMode: 1
; LDSByteSize: 11264 bytes/workgroup (compile time only)
; SGPRBlocks: 0
; VGPRBlocks: 3
; NumSGPRsForWavesPerEU: 48
; NumVGPRsForWavesPerEU: 57
; NamedBarCnt: 0
; Occupancy: 16
; WaveLimiterHint : 1
; COMPUTE_PGM_RSRC2:SCRATCH_EN: 0
; COMPUTE_PGM_RSRC2:USER_SGPR: 2
; COMPUTE_PGM_RSRC2:TRAP_HANDLER: 0
; COMPUTE_PGM_RSRC2:TGID_X_EN: 1
; COMPUTE_PGM_RSRC2:TGID_Y_EN: 0
; COMPUTE_PGM_RSRC2:TGID_Z_EN: 0
; COMPUTE_PGM_RSRC2:TIDIG_COMP_CNT: 0
	.section	.text._ZN7rocprim17ROCPRIM_400000_NS6detail17trampoline_kernelINS0_14default_configENS1_27scan_by_key_config_selectorIssEEZZNS1_16scan_by_key_implILNS1_25lookback_scan_determinismE0ELb1ES3_N6thrust23THRUST_200600_302600_NS6detail15normal_iteratorINS9_10device_ptrIsEEEESE_SE_sNS9_4plusIsEE19head_flag_predicatesEE10hipError_tPvRmT2_T3_T4_T5_mT6_T7_P12ihipStream_tbENKUlT_T0_E_clISt17integral_constantIbLb0EESX_IbLb1EEEEDaST_SU_EUlST_E_NS1_11comp_targetILNS1_3genE10ELNS1_11target_archE1201ELNS1_3gpuE5ELNS1_3repE0EEENS1_30default_config_static_selectorELNS0_4arch9wavefront6targetE0EEEvT1_,"axG",@progbits,_ZN7rocprim17ROCPRIM_400000_NS6detail17trampoline_kernelINS0_14default_configENS1_27scan_by_key_config_selectorIssEEZZNS1_16scan_by_key_implILNS1_25lookback_scan_determinismE0ELb1ES3_N6thrust23THRUST_200600_302600_NS6detail15normal_iteratorINS9_10device_ptrIsEEEESE_SE_sNS9_4plusIsEE19head_flag_predicatesEE10hipError_tPvRmT2_T3_T4_T5_mT6_T7_P12ihipStream_tbENKUlT_T0_E_clISt17integral_constantIbLb0EESX_IbLb1EEEEDaST_SU_EUlST_E_NS1_11comp_targetILNS1_3genE10ELNS1_11target_archE1201ELNS1_3gpuE5ELNS1_3repE0EEENS1_30default_config_static_selectorELNS0_4arch9wavefront6targetE0EEEvT1_,comdat
	.protected	_ZN7rocprim17ROCPRIM_400000_NS6detail17trampoline_kernelINS0_14default_configENS1_27scan_by_key_config_selectorIssEEZZNS1_16scan_by_key_implILNS1_25lookback_scan_determinismE0ELb1ES3_N6thrust23THRUST_200600_302600_NS6detail15normal_iteratorINS9_10device_ptrIsEEEESE_SE_sNS9_4plusIsEE19head_flag_predicatesEE10hipError_tPvRmT2_T3_T4_T5_mT6_T7_P12ihipStream_tbENKUlT_T0_E_clISt17integral_constantIbLb0EESX_IbLb1EEEEDaST_SU_EUlST_E_NS1_11comp_targetILNS1_3genE10ELNS1_11target_archE1201ELNS1_3gpuE5ELNS1_3repE0EEENS1_30default_config_static_selectorELNS0_4arch9wavefront6targetE0EEEvT1_ ; -- Begin function _ZN7rocprim17ROCPRIM_400000_NS6detail17trampoline_kernelINS0_14default_configENS1_27scan_by_key_config_selectorIssEEZZNS1_16scan_by_key_implILNS1_25lookback_scan_determinismE0ELb1ES3_N6thrust23THRUST_200600_302600_NS6detail15normal_iteratorINS9_10device_ptrIsEEEESE_SE_sNS9_4plusIsEE19head_flag_predicatesEE10hipError_tPvRmT2_T3_T4_T5_mT6_T7_P12ihipStream_tbENKUlT_T0_E_clISt17integral_constantIbLb0EESX_IbLb1EEEEDaST_SU_EUlST_E_NS1_11comp_targetILNS1_3genE10ELNS1_11target_archE1201ELNS1_3gpuE5ELNS1_3repE0EEENS1_30default_config_static_selectorELNS0_4arch9wavefront6targetE0EEEvT1_
	.globl	_ZN7rocprim17ROCPRIM_400000_NS6detail17trampoline_kernelINS0_14default_configENS1_27scan_by_key_config_selectorIssEEZZNS1_16scan_by_key_implILNS1_25lookback_scan_determinismE0ELb1ES3_N6thrust23THRUST_200600_302600_NS6detail15normal_iteratorINS9_10device_ptrIsEEEESE_SE_sNS9_4plusIsEE19head_flag_predicatesEE10hipError_tPvRmT2_T3_T4_T5_mT6_T7_P12ihipStream_tbENKUlT_T0_E_clISt17integral_constantIbLb0EESX_IbLb1EEEEDaST_SU_EUlST_E_NS1_11comp_targetILNS1_3genE10ELNS1_11target_archE1201ELNS1_3gpuE5ELNS1_3repE0EEENS1_30default_config_static_selectorELNS0_4arch9wavefront6targetE0EEEvT1_
	.p2align	8
	.type	_ZN7rocprim17ROCPRIM_400000_NS6detail17trampoline_kernelINS0_14default_configENS1_27scan_by_key_config_selectorIssEEZZNS1_16scan_by_key_implILNS1_25lookback_scan_determinismE0ELb1ES3_N6thrust23THRUST_200600_302600_NS6detail15normal_iteratorINS9_10device_ptrIsEEEESE_SE_sNS9_4plusIsEE19head_flag_predicatesEE10hipError_tPvRmT2_T3_T4_T5_mT6_T7_P12ihipStream_tbENKUlT_T0_E_clISt17integral_constantIbLb0EESX_IbLb1EEEEDaST_SU_EUlST_E_NS1_11comp_targetILNS1_3genE10ELNS1_11target_archE1201ELNS1_3gpuE5ELNS1_3repE0EEENS1_30default_config_static_selectorELNS0_4arch9wavefront6targetE0EEEvT1_,@function
_ZN7rocprim17ROCPRIM_400000_NS6detail17trampoline_kernelINS0_14default_configENS1_27scan_by_key_config_selectorIssEEZZNS1_16scan_by_key_implILNS1_25lookback_scan_determinismE0ELb1ES3_N6thrust23THRUST_200600_302600_NS6detail15normal_iteratorINS9_10device_ptrIsEEEESE_SE_sNS9_4plusIsEE19head_flag_predicatesEE10hipError_tPvRmT2_T3_T4_T5_mT6_T7_P12ihipStream_tbENKUlT_T0_E_clISt17integral_constantIbLb0EESX_IbLb1EEEEDaST_SU_EUlST_E_NS1_11comp_targetILNS1_3genE10ELNS1_11target_archE1201ELNS1_3gpuE5ELNS1_3repE0EEENS1_30default_config_static_selectorELNS0_4arch9wavefront6targetE0EEEvT1_: ; @_ZN7rocprim17ROCPRIM_400000_NS6detail17trampoline_kernelINS0_14default_configENS1_27scan_by_key_config_selectorIssEEZZNS1_16scan_by_key_implILNS1_25lookback_scan_determinismE0ELb1ES3_N6thrust23THRUST_200600_302600_NS6detail15normal_iteratorINS9_10device_ptrIsEEEESE_SE_sNS9_4plusIsEE19head_flag_predicatesEE10hipError_tPvRmT2_T3_T4_T5_mT6_T7_P12ihipStream_tbENKUlT_T0_E_clISt17integral_constantIbLb0EESX_IbLb1EEEEDaST_SU_EUlST_E_NS1_11comp_targetILNS1_3genE10ELNS1_11target_archE1201ELNS1_3gpuE5ELNS1_3repE0EEENS1_30default_config_static_selectorELNS0_4arch9wavefront6targetE0EEEvT1_
; %bb.0:
	.section	.rodata,"a",@progbits
	.p2align	6, 0x0
	.amdhsa_kernel _ZN7rocprim17ROCPRIM_400000_NS6detail17trampoline_kernelINS0_14default_configENS1_27scan_by_key_config_selectorIssEEZZNS1_16scan_by_key_implILNS1_25lookback_scan_determinismE0ELb1ES3_N6thrust23THRUST_200600_302600_NS6detail15normal_iteratorINS9_10device_ptrIsEEEESE_SE_sNS9_4plusIsEE19head_flag_predicatesEE10hipError_tPvRmT2_T3_T4_T5_mT6_T7_P12ihipStream_tbENKUlT_T0_E_clISt17integral_constantIbLb0EESX_IbLb1EEEEDaST_SU_EUlST_E_NS1_11comp_targetILNS1_3genE10ELNS1_11target_archE1201ELNS1_3gpuE5ELNS1_3repE0EEENS1_30default_config_static_selectorELNS0_4arch9wavefront6targetE0EEEvT1_
		.amdhsa_group_segment_fixed_size 0
		.amdhsa_private_segment_fixed_size 0
		.amdhsa_kernarg_size 112
		.amdhsa_user_sgpr_count 2
		.amdhsa_user_sgpr_dispatch_ptr 0
		.amdhsa_user_sgpr_queue_ptr 0
		.amdhsa_user_sgpr_kernarg_segment_ptr 1
		.amdhsa_user_sgpr_dispatch_id 0
		.amdhsa_user_sgpr_kernarg_preload_length 0
		.amdhsa_user_sgpr_kernarg_preload_offset 0
		.amdhsa_user_sgpr_private_segment_size 0
		.amdhsa_wavefront_size32 1
		.amdhsa_uses_dynamic_stack 0
		.amdhsa_enable_private_segment 0
		.amdhsa_system_sgpr_workgroup_id_x 1
		.amdhsa_system_sgpr_workgroup_id_y 0
		.amdhsa_system_sgpr_workgroup_id_z 0
		.amdhsa_system_sgpr_workgroup_info 0
		.amdhsa_system_vgpr_workitem_id 0
		.amdhsa_next_free_vgpr 1
		.amdhsa_next_free_sgpr 1
		.amdhsa_named_barrier_count 0
		.amdhsa_reserve_vcc 0
		.amdhsa_float_round_mode_32 0
		.amdhsa_float_round_mode_16_64 0
		.amdhsa_float_denorm_mode_32 3
		.amdhsa_float_denorm_mode_16_64 3
		.amdhsa_fp16_overflow 0
		.amdhsa_memory_ordered 1
		.amdhsa_forward_progress 1
		.amdhsa_inst_pref_size 0
		.amdhsa_round_robin_scheduling 0
		.amdhsa_exception_fp_ieee_invalid_op 0
		.amdhsa_exception_fp_denorm_src 0
		.amdhsa_exception_fp_ieee_div_zero 0
		.amdhsa_exception_fp_ieee_overflow 0
		.amdhsa_exception_fp_ieee_underflow 0
		.amdhsa_exception_fp_ieee_inexact 0
		.amdhsa_exception_int_div_zero 0
	.end_amdhsa_kernel
	.section	.text._ZN7rocprim17ROCPRIM_400000_NS6detail17trampoline_kernelINS0_14default_configENS1_27scan_by_key_config_selectorIssEEZZNS1_16scan_by_key_implILNS1_25lookback_scan_determinismE0ELb1ES3_N6thrust23THRUST_200600_302600_NS6detail15normal_iteratorINS9_10device_ptrIsEEEESE_SE_sNS9_4plusIsEE19head_flag_predicatesEE10hipError_tPvRmT2_T3_T4_T5_mT6_T7_P12ihipStream_tbENKUlT_T0_E_clISt17integral_constantIbLb0EESX_IbLb1EEEEDaST_SU_EUlST_E_NS1_11comp_targetILNS1_3genE10ELNS1_11target_archE1201ELNS1_3gpuE5ELNS1_3repE0EEENS1_30default_config_static_selectorELNS0_4arch9wavefront6targetE0EEEvT1_,"axG",@progbits,_ZN7rocprim17ROCPRIM_400000_NS6detail17trampoline_kernelINS0_14default_configENS1_27scan_by_key_config_selectorIssEEZZNS1_16scan_by_key_implILNS1_25lookback_scan_determinismE0ELb1ES3_N6thrust23THRUST_200600_302600_NS6detail15normal_iteratorINS9_10device_ptrIsEEEESE_SE_sNS9_4plusIsEE19head_flag_predicatesEE10hipError_tPvRmT2_T3_T4_T5_mT6_T7_P12ihipStream_tbENKUlT_T0_E_clISt17integral_constantIbLb0EESX_IbLb1EEEEDaST_SU_EUlST_E_NS1_11comp_targetILNS1_3genE10ELNS1_11target_archE1201ELNS1_3gpuE5ELNS1_3repE0EEENS1_30default_config_static_selectorELNS0_4arch9wavefront6targetE0EEEvT1_,comdat
.Lfunc_end885:
	.size	_ZN7rocprim17ROCPRIM_400000_NS6detail17trampoline_kernelINS0_14default_configENS1_27scan_by_key_config_selectorIssEEZZNS1_16scan_by_key_implILNS1_25lookback_scan_determinismE0ELb1ES3_N6thrust23THRUST_200600_302600_NS6detail15normal_iteratorINS9_10device_ptrIsEEEESE_SE_sNS9_4plusIsEE19head_flag_predicatesEE10hipError_tPvRmT2_T3_T4_T5_mT6_T7_P12ihipStream_tbENKUlT_T0_E_clISt17integral_constantIbLb0EESX_IbLb1EEEEDaST_SU_EUlST_E_NS1_11comp_targetILNS1_3genE10ELNS1_11target_archE1201ELNS1_3gpuE5ELNS1_3repE0EEENS1_30default_config_static_selectorELNS0_4arch9wavefront6targetE0EEEvT1_, .Lfunc_end885-_ZN7rocprim17ROCPRIM_400000_NS6detail17trampoline_kernelINS0_14default_configENS1_27scan_by_key_config_selectorIssEEZZNS1_16scan_by_key_implILNS1_25lookback_scan_determinismE0ELb1ES3_N6thrust23THRUST_200600_302600_NS6detail15normal_iteratorINS9_10device_ptrIsEEEESE_SE_sNS9_4plusIsEE19head_flag_predicatesEE10hipError_tPvRmT2_T3_T4_T5_mT6_T7_P12ihipStream_tbENKUlT_T0_E_clISt17integral_constantIbLb0EESX_IbLb1EEEEDaST_SU_EUlST_E_NS1_11comp_targetILNS1_3genE10ELNS1_11target_archE1201ELNS1_3gpuE5ELNS1_3repE0EEENS1_30default_config_static_selectorELNS0_4arch9wavefront6targetE0EEEvT1_
                                        ; -- End function
	.set _ZN7rocprim17ROCPRIM_400000_NS6detail17trampoline_kernelINS0_14default_configENS1_27scan_by_key_config_selectorIssEEZZNS1_16scan_by_key_implILNS1_25lookback_scan_determinismE0ELb1ES3_N6thrust23THRUST_200600_302600_NS6detail15normal_iteratorINS9_10device_ptrIsEEEESE_SE_sNS9_4plusIsEE19head_flag_predicatesEE10hipError_tPvRmT2_T3_T4_T5_mT6_T7_P12ihipStream_tbENKUlT_T0_E_clISt17integral_constantIbLb0EESX_IbLb1EEEEDaST_SU_EUlST_E_NS1_11comp_targetILNS1_3genE10ELNS1_11target_archE1201ELNS1_3gpuE5ELNS1_3repE0EEENS1_30default_config_static_selectorELNS0_4arch9wavefront6targetE0EEEvT1_.num_vgpr, 0
	.set _ZN7rocprim17ROCPRIM_400000_NS6detail17trampoline_kernelINS0_14default_configENS1_27scan_by_key_config_selectorIssEEZZNS1_16scan_by_key_implILNS1_25lookback_scan_determinismE0ELb1ES3_N6thrust23THRUST_200600_302600_NS6detail15normal_iteratorINS9_10device_ptrIsEEEESE_SE_sNS9_4plusIsEE19head_flag_predicatesEE10hipError_tPvRmT2_T3_T4_T5_mT6_T7_P12ihipStream_tbENKUlT_T0_E_clISt17integral_constantIbLb0EESX_IbLb1EEEEDaST_SU_EUlST_E_NS1_11comp_targetILNS1_3genE10ELNS1_11target_archE1201ELNS1_3gpuE5ELNS1_3repE0EEENS1_30default_config_static_selectorELNS0_4arch9wavefront6targetE0EEEvT1_.num_agpr, 0
	.set _ZN7rocprim17ROCPRIM_400000_NS6detail17trampoline_kernelINS0_14default_configENS1_27scan_by_key_config_selectorIssEEZZNS1_16scan_by_key_implILNS1_25lookback_scan_determinismE0ELb1ES3_N6thrust23THRUST_200600_302600_NS6detail15normal_iteratorINS9_10device_ptrIsEEEESE_SE_sNS9_4plusIsEE19head_flag_predicatesEE10hipError_tPvRmT2_T3_T4_T5_mT6_T7_P12ihipStream_tbENKUlT_T0_E_clISt17integral_constantIbLb0EESX_IbLb1EEEEDaST_SU_EUlST_E_NS1_11comp_targetILNS1_3genE10ELNS1_11target_archE1201ELNS1_3gpuE5ELNS1_3repE0EEENS1_30default_config_static_selectorELNS0_4arch9wavefront6targetE0EEEvT1_.numbered_sgpr, 0
	.set _ZN7rocprim17ROCPRIM_400000_NS6detail17trampoline_kernelINS0_14default_configENS1_27scan_by_key_config_selectorIssEEZZNS1_16scan_by_key_implILNS1_25lookback_scan_determinismE0ELb1ES3_N6thrust23THRUST_200600_302600_NS6detail15normal_iteratorINS9_10device_ptrIsEEEESE_SE_sNS9_4plusIsEE19head_flag_predicatesEE10hipError_tPvRmT2_T3_T4_T5_mT6_T7_P12ihipStream_tbENKUlT_T0_E_clISt17integral_constantIbLb0EESX_IbLb1EEEEDaST_SU_EUlST_E_NS1_11comp_targetILNS1_3genE10ELNS1_11target_archE1201ELNS1_3gpuE5ELNS1_3repE0EEENS1_30default_config_static_selectorELNS0_4arch9wavefront6targetE0EEEvT1_.num_named_barrier, 0
	.set _ZN7rocprim17ROCPRIM_400000_NS6detail17trampoline_kernelINS0_14default_configENS1_27scan_by_key_config_selectorIssEEZZNS1_16scan_by_key_implILNS1_25lookback_scan_determinismE0ELb1ES3_N6thrust23THRUST_200600_302600_NS6detail15normal_iteratorINS9_10device_ptrIsEEEESE_SE_sNS9_4plusIsEE19head_flag_predicatesEE10hipError_tPvRmT2_T3_T4_T5_mT6_T7_P12ihipStream_tbENKUlT_T0_E_clISt17integral_constantIbLb0EESX_IbLb1EEEEDaST_SU_EUlST_E_NS1_11comp_targetILNS1_3genE10ELNS1_11target_archE1201ELNS1_3gpuE5ELNS1_3repE0EEENS1_30default_config_static_selectorELNS0_4arch9wavefront6targetE0EEEvT1_.private_seg_size, 0
	.set _ZN7rocprim17ROCPRIM_400000_NS6detail17trampoline_kernelINS0_14default_configENS1_27scan_by_key_config_selectorIssEEZZNS1_16scan_by_key_implILNS1_25lookback_scan_determinismE0ELb1ES3_N6thrust23THRUST_200600_302600_NS6detail15normal_iteratorINS9_10device_ptrIsEEEESE_SE_sNS9_4plusIsEE19head_flag_predicatesEE10hipError_tPvRmT2_T3_T4_T5_mT6_T7_P12ihipStream_tbENKUlT_T0_E_clISt17integral_constantIbLb0EESX_IbLb1EEEEDaST_SU_EUlST_E_NS1_11comp_targetILNS1_3genE10ELNS1_11target_archE1201ELNS1_3gpuE5ELNS1_3repE0EEENS1_30default_config_static_selectorELNS0_4arch9wavefront6targetE0EEEvT1_.uses_vcc, 0
	.set _ZN7rocprim17ROCPRIM_400000_NS6detail17trampoline_kernelINS0_14default_configENS1_27scan_by_key_config_selectorIssEEZZNS1_16scan_by_key_implILNS1_25lookback_scan_determinismE0ELb1ES3_N6thrust23THRUST_200600_302600_NS6detail15normal_iteratorINS9_10device_ptrIsEEEESE_SE_sNS9_4plusIsEE19head_flag_predicatesEE10hipError_tPvRmT2_T3_T4_T5_mT6_T7_P12ihipStream_tbENKUlT_T0_E_clISt17integral_constantIbLb0EESX_IbLb1EEEEDaST_SU_EUlST_E_NS1_11comp_targetILNS1_3genE10ELNS1_11target_archE1201ELNS1_3gpuE5ELNS1_3repE0EEENS1_30default_config_static_selectorELNS0_4arch9wavefront6targetE0EEEvT1_.uses_flat_scratch, 0
	.set _ZN7rocprim17ROCPRIM_400000_NS6detail17trampoline_kernelINS0_14default_configENS1_27scan_by_key_config_selectorIssEEZZNS1_16scan_by_key_implILNS1_25lookback_scan_determinismE0ELb1ES3_N6thrust23THRUST_200600_302600_NS6detail15normal_iteratorINS9_10device_ptrIsEEEESE_SE_sNS9_4plusIsEE19head_flag_predicatesEE10hipError_tPvRmT2_T3_T4_T5_mT6_T7_P12ihipStream_tbENKUlT_T0_E_clISt17integral_constantIbLb0EESX_IbLb1EEEEDaST_SU_EUlST_E_NS1_11comp_targetILNS1_3genE10ELNS1_11target_archE1201ELNS1_3gpuE5ELNS1_3repE0EEENS1_30default_config_static_selectorELNS0_4arch9wavefront6targetE0EEEvT1_.has_dyn_sized_stack, 0
	.set _ZN7rocprim17ROCPRIM_400000_NS6detail17trampoline_kernelINS0_14default_configENS1_27scan_by_key_config_selectorIssEEZZNS1_16scan_by_key_implILNS1_25lookback_scan_determinismE0ELb1ES3_N6thrust23THRUST_200600_302600_NS6detail15normal_iteratorINS9_10device_ptrIsEEEESE_SE_sNS9_4plusIsEE19head_flag_predicatesEE10hipError_tPvRmT2_T3_T4_T5_mT6_T7_P12ihipStream_tbENKUlT_T0_E_clISt17integral_constantIbLb0EESX_IbLb1EEEEDaST_SU_EUlST_E_NS1_11comp_targetILNS1_3genE10ELNS1_11target_archE1201ELNS1_3gpuE5ELNS1_3repE0EEENS1_30default_config_static_selectorELNS0_4arch9wavefront6targetE0EEEvT1_.has_recursion, 0
	.set _ZN7rocprim17ROCPRIM_400000_NS6detail17trampoline_kernelINS0_14default_configENS1_27scan_by_key_config_selectorIssEEZZNS1_16scan_by_key_implILNS1_25lookback_scan_determinismE0ELb1ES3_N6thrust23THRUST_200600_302600_NS6detail15normal_iteratorINS9_10device_ptrIsEEEESE_SE_sNS9_4plusIsEE19head_flag_predicatesEE10hipError_tPvRmT2_T3_T4_T5_mT6_T7_P12ihipStream_tbENKUlT_T0_E_clISt17integral_constantIbLb0EESX_IbLb1EEEEDaST_SU_EUlST_E_NS1_11comp_targetILNS1_3genE10ELNS1_11target_archE1201ELNS1_3gpuE5ELNS1_3repE0EEENS1_30default_config_static_selectorELNS0_4arch9wavefront6targetE0EEEvT1_.has_indirect_call, 0
	.section	.AMDGPU.csdata,"",@progbits
; Kernel info:
; codeLenInByte = 0
; TotalNumSgprs: 0
; NumVgprs: 0
; ScratchSize: 0
; MemoryBound: 0
; FloatMode: 240
; IeeeMode: 1
; LDSByteSize: 0 bytes/workgroup (compile time only)
; SGPRBlocks: 0
; VGPRBlocks: 0
; NumSGPRsForWavesPerEU: 1
; NumVGPRsForWavesPerEU: 1
; NamedBarCnt: 0
; Occupancy: 16
; WaveLimiterHint : 0
; COMPUTE_PGM_RSRC2:SCRATCH_EN: 0
; COMPUTE_PGM_RSRC2:USER_SGPR: 2
; COMPUTE_PGM_RSRC2:TRAP_HANDLER: 0
; COMPUTE_PGM_RSRC2:TGID_X_EN: 1
; COMPUTE_PGM_RSRC2:TGID_Y_EN: 0
; COMPUTE_PGM_RSRC2:TGID_Z_EN: 0
; COMPUTE_PGM_RSRC2:TIDIG_COMP_CNT: 0
	.section	.text._ZN7rocprim17ROCPRIM_400000_NS6detail17trampoline_kernelINS0_14default_configENS1_27scan_by_key_config_selectorIssEEZZNS1_16scan_by_key_implILNS1_25lookback_scan_determinismE0ELb1ES3_N6thrust23THRUST_200600_302600_NS6detail15normal_iteratorINS9_10device_ptrIsEEEESE_SE_sNS9_4plusIsEE19head_flag_predicatesEE10hipError_tPvRmT2_T3_T4_T5_mT6_T7_P12ihipStream_tbENKUlT_T0_E_clISt17integral_constantIbLb0EESX_IbLb1EEEEDaST_SU_EUlST_E_NS1_11comp_targetILNS1_3genE5ELNS1_11target_archE942ELNS1_3gpuE9ELNS1_3repE0EEENS1_30default_config_static_selectorELNS0_4arch9wavefront6targetE0EEEvT1_,"axG",@progbits,_ZN7rocprim17ROCPRIM_400000_NS6detail17trampoline_kernelINS0_14default_configENS1_27scan_by_key_config_selectorIssEEZZNS1_16scan_by_key_implILNS1_25lookback_scan_determinismE0ELb1ES3_N6thrust23THRUST_200600_302600_NS6detail15normal_iteratorINS9_10device_ptrIsEEEESE_SE_sNS9_4plusIsEE19head_flag_predicatesEE10hipError_tPvRmT2_T3_T4_T5_mT6_T7_P12ihipStream_tbENKUlT_T0_E_clISt17integral_constantIbLb0EESX_IbLb1EEEEDaST_SU_EUlST_E_NS1_11comp_targetILNS1_3genE5ELNS1_11target_archE942ELNS1_3gpuE9ELNS1_3repE0EEENS1_30default_config_static_selectorELNS0_4arch9wavefront6targetE0EEEvT1_,comdat
	.protected	_ZN7rocprim17ROCPRIM_400000_NS6detail17trampoline_kernelINS0_14default_configENS1_27scan_by_key_config_selectorIssEEZZNS1_16scan_by_key_implILNS1_25lookback_scan_determinismE0ELb1ES3_N6thrust23THRUST_200600_302600_NS6detail15normal_iteratorINS9_10device_ptrIsEEEESE_SE_sNS9_4plusIsEE19head_flag_predicatesEE10hipError_tPvRmT2_T3_T4_T5_mT6_T7_P12ihipStream_tbENKUlT_T0_E_clISt17integral_constantIbLb0EESX_IbLb1EEEEDaST_SU_EUlST_E_NS1_11comp_targetILNS1_3genE5ELNS1_11target_archE942ELNS1_3gpuE9ELNS1_3repE0EEENS1_30default_config_static_selectorELNS0_4arch9wavefront6targetE0EEEvT1_ ; -- Begin function _ZN7rocprim17ROCPRIM_400000_NS6detail17trampoline_kernelINS0_14default_configENS1_27scan_by_key_config_selectorIssEEZZNS1_16scan_by_key_implILNS1_25lookback_scan_determinismE0ELb1ES3_N6thrust23THRUST_200600_302600_NS6detail15normal_iteratorINS9_10device_ptrIsEEEESE_SE_sNS9_4plusIsEE19head_flag_predicatesEE10hipError_tPvRmT2_T3_T4_T5_mT6_T7_P12ihipStream_tbENKUlT_T0_E_clISt17integral_constantIbLb0EESX_IbLb1EEEEDaST_SU_EUlST_E_NS1_11comp_targetILNS1_3genE5ELNS1_11target_archE942ELNS1_3gpuE9ELNS1_3repE0EEENS1_30default_config_static_selectorELNS0_4arch9wavefront6targetE0EEEvT1_
	.globl	_ZN7rocprim17ROCPRIM_400000_NS6detail17trampoline_kernelINS0_14default_configENS1_27scan_by_key_config_selectorIssEEZZNS1_16scan_by_key_implILNS1_25lookback_scan_determinismE0ELb1ES3_N6thrust23THRUST_200600_302600_NS6detail15normal_iteratorINS9_10device_ptrIsEEEESE_SE_sNS9_4plusIsEE19head_flag_predicatesEE10hipError_tPvRmT2_T3_T4_T5_mT6_T7_P12ihipStream_tbENKUlT_T0_E_clISt17integral_constantIbLb0EESX_IbLb1EEEEDaST_SU_EUlST_E_NS1_11comp_targetILNS1_3genE5ELNS1_11target_archE942ELNS1_3gpuE9ELNS1_3repE0EEENS1_30default_config_static_selectorELNS0_4arch9wavefront6targetE0EEEvT1_
	.p2align	8
	.type	_ZN7rocprim17ROCPRIM_400000_NS6detail17trampoline_kernelINS0_14default_configENS1_27scan_by_key_config_selectorIssEEZZNS1_16scan_by_key_implILNS1_25lookback_scan_determinismE0ELb1ES3_N6thrust23THRUST_200600_302600_NS6detail15normal_iteratorINS9_10device_ptrIsEEEESE_SE_sNS9_4plusIsEE19head_flag_predicatesEE10hipError_tPvRmT2_T3_T4_T5_mT6_T7_P12ihipStream_tbENKUlT_T0_E_clISt17integral_constantIbLb0EESX_IbLb1EEEEDaST_SU_EUlST_E_NS1_11comp_targetILNS1_3genE5ELNS1_11target_archE942ELNS1_3gpuE9ELNS1_3repE0EEENS1_30default_config_static_selectorELNS0_4arch9wavefront6targetE0EEEvT1_,@function
_ZN7rocprim17ROCPRIM_400000_NS6detail17trampoline_kernelINS0_14default_configENS1_27scan_by_key_config_selectorIssEEZZNS1_16scan_by_key_implILNS1_25lookback_scan_determinismE0ELb1ES3_N6thrust23THRUST_200600_302600_NS6detail15normal_iteratorINS9_10device_ptrIsEEEESE_SE_sNS9_4plusIsEE19head_flag_predicatesEE10hipError_tPvRmT2_T3_T4_T5_mT6_T7_P12ihipStream_tbENKUlT_T0_E_clISt17integral_constantIbLb0EESX_IbLb1EEEEDaST_SU_EUlST_E_NS1_11comp_targetILNS1_3genE5ELNS1_11target_archE942ELNS1_3gpuE9ELNS1_3repE0EEENS1_30default_config_static_selectorELNS0_4arch9wavefront6targetE0EEEvT1_: ; @_ZN7rocprim17ROCPRIM_400000_NS6detail17trampoline_kernelINS0_14default_configENS1_27scan_by_key_config_selectorIssEEZZNS1_16scan_by_key_implILNS1_25lookback_scan_determinismE0ELb1ES3_N6thrust23THRUST_200600_302600_NS6detail15normal_iteratorINS9_10device_ptrIsEEEESE_SE_sNS9_4plusIsEE19head_flag_predicatesEE10hipError_tPvRmT2_T3_T4_T5_mT6_T7_P12ihipStream_tbENKUlT_T0_E_clISt17integral_constantIbLb0EESX_IbLb1EEEEDaST_SU_EUlST_E_NS1_11comp_targetILNS1_3genE5ELNS1_11target_archE942ELNS1_3gpuE9ELNS1_3repE0EEENS1_30default_config_static_selectorELNS0_4arch9wavefront6targetE0EEEvT1_
; %bb.0:
	.section	.rodata,"a",@progbits
	.p2align	6, 0x0
	.amdhsa_kernel _ZN7rocprim17ROCPRIM_400000_NS6detail17trampoline_kernelINS0_14default_configENS1_27scan_by_key_config_selectorIssEEZZNS1_16scan_by_key_implILNS1_25lookback_scan_determinismE0ELb1ES3_N6thrust23THRUST_200600_302600_NS6detail15normal_iteratorINS9_10device_ptrIsEEEESE_SE_sNS9_4plusIsEE19head_flag_predicatesEE10hipError_tPvRmT2_T3_T4_T5_mT6_T7_P12ihipStream_tbENKUlT_T0_E_clISt17integral_constantIbLb0EESX_IbLb1EEEEDaST_SU_EUlST_E_NS1_11comp_targetILNS1_3genE5ELNS1_11target_archE942ELNS1_3gpuE9ELNS1_3repE0EEENS1_30default_config_static_selectorELNS0_4arch9wavefront6targetE0EEEvT1_
		.amdhsa_group_segment_fixed_size 0
		.amdhsa_private_segment_fixed_size 0
		.amdhsa_kernarg_size 112
		.amdhsa_user_sgpr_count 2
		.amdhsa_user_sgpr_dispatch_ptr 0
		.amdhsa_user_sgpr_queue_ptr 0
		.amdhsa_user_sgpr_kernarg_segment_ptr 1
		.amdhsa_user_sgpr_dispatch_id 0
		.amdhsa_user_sgpr_kernarg_preload_length 0
		.amdhsa_user_sgpr_kernarg_preload_offset 0
		.amdhsa_user_sgpr_private_segment_size 0
		.amdhsa_wavefront_size32 1
		.amdhsa_uses_dynamic_stack 0
		.amdhsa_enable_private_segment 0
		.amdhsa_system_sgpr_workgroup_id_x 1
		.amdhsa_system_sgpr_workgroup_id_y 0
		.amdhsa_system_sgpr_workgroup_id_z 0
		.amdhsa_system_sgpr_workgroup_info 0
		.amdhsa_system_vgpr_workitem_id 0
		.amdhsa_next_free_vgpr 1
		.amdhsa_next_free_sgpr 1
		.amdhsa_named_barrier_count 0
		.amdhsa_reserve_vcc 0
		.amdhsa_float_round_mode_32 0
		.amdhsa_float_round_mode_16_64 0
		.amdhsa_float_denorm_mode_32 3
		.amdhsa_float_denorm_mode_16_64 3
		.amdhsa_fp16_overflow 0
		.amdhsa_memory_ordered 1
		.amdhsa_forward_progress 1
		.amdhsa_inst_pref_size 0
		.amdhsa_round_robin_scheduling 0
		.amdhsa_exception_fp_ieee_invalid_op 0
		.amdhsa_exception_fp_denorm_src 0
		.amdhsa_exception_fp_ieee_div_zero 0
		.amdhsa_exception_fp_ieee_overflow 0
		.amdhsa_exception_fp_ieee_underflow 0
		.amdhsa_exception_fp_ieee_inexact 0
		.amdhsa_exception_int_div_zero 0
	.end_amdhsa_kernel
	.section	.text._ZN7rocprim17ROCPRIM_400000_NS6detail17trampoline_kernelINS0_14default_configENS1_27scan_by_key_config_selectorIssEEZZNS1_16scan_by_key_implILNS1_25lookback_scan_determinismE0ELb1ES3_N6thrust23THRUST_200600_302600_NS6detail15normal_iteratorINS9_10device_ptrIsEEEESE_SE_sNS9_4plusIsEE19head_flag_predicatesEE10hipError_tPvRmT2_T3_T4_T5_mT6_T7_P12ihipStream_tbENKUlT_T0_E_clISt17integral_constantIbLb0EESX_IbLb1EEEEDaST_SU_EUlST_E_NS1_11comp_targetILNS1_3genE5ELNS1_11target_archE942ELNS1_3gpuE9ELNS1_3repE0EEENS1_30default_config_static_selectorELNS0_4arch9wavefront6targetE0EEEvT1_,"axG",@progbits,_ZN7rocprim17ROCPRIM_400000_NS6detail17trampoline_kernelINS0_14default_configENS1_27scan_by_key_config_selectorIssEEZZNS1_16scan_by_key_implILNS1_25lookback_scan_determinismE0ELb1ES3_N6thrust23THRUST_200600_302600_NS6detail15normal_iteratorINS9_10device_ptrIsEEEESE_SE_sNS9_4plusIsEE19head_flag_predicatesEE10hipError_tPvRmT2_T3_T4_T5_mT6_T7_P12ihipStream_tbENKUlT_T0_E_clISt17integral_constantIbLb0EESX_IbLb1EEEEDaST_SU_EUlST_E_NS1_11comp_targetILNS1_3genE5ELNS1_11target_archE942ELNS1_3gpuE9ELNS1_3repE0EEENS1_30default_config_static_selectorELNS0_4arch9wavefront6targetE0EEEvT1_,comdat
.Lfunc_end886:
	.size	_ZN7rocprim17ROCPRIM_400000_NS6detail17trampoline_kernelINS0_14default_configENS1_27scan_by_key_config_selectorIssEEZZNS1_16scan_by_key_implILNS1_25lookback_scan_determinismE0ELb1ES3_N6thrust23THRUST_200600_302600_NS6detail15normal_iteratorINS9_10device_ptrIsEEEESE_SE_sNS9_4plusIsEE19head_flag_predicatesEE10hipError_tPvRmT2_T3_T4_T5_mT6_T7_P12ihipStream_tbENKUlT_T0_E_clISt17integral_constantIbLb0EESX_IbLb1EEEEDaST_SU_EUlST_E_NS1_11comp_targetILNS1_3genE5ELNS1_11target_archE942ELNS1_3gpuE9ELNS1_3repE0EEENS1_30default_config_static_selectorELNS0_4arch9wavefront6targetE0EEEvT1_, .Lfunc_end886-_ZN7rocprim17ROCPRIM_400000_NS6detail17trampoline_kernelINS0_14default_configENS1_27scan_by_key_config_selectorIssEEZZNS1_16scan_by_key_implILNS1_25lookback_scan_determinismE0ELb1ES3_N6thrust23THRUST_200600_302600_NS6detail15normal_iteratorINS9_10device_ptrIsEEEESE_SE_sNS9_4plusIsEE19head_flag_predicatesEE10hipError_tPvRmT2_T3_T4_T5_mT6_T7_P12ihipStream_tbENKUlT_T0_E_clISt17integral_constantIbLb0EESX_IbLb1EEEEDaST_SU_EUlST_E_NS1_11comp_targetILNS1_3genE5ELNS1_11target_archE942ELNS1_3gpuE9ELNS1_3repE0EEENS1_30default_config_static_selectorELNS0_4arch9wavefront6targetE0EEEvT1_
                                        ; -- End function
	.set _ZN7rocprim17ROCPRIM_400000_NS6detail17trampoline_kernelINS0_14default_configENS1_27scan_by_key_config_selectorIssEEZZNS1_16scan_by_key_implILNS1_25lookback_scan_determinismE0ELb1ES3_N6thrust23THRUST_200600_302600_NS6detail15normal_iteratorINS9_10device_ptrIsEEEESE_SE_sNS9_4plusIsEE19head_flag_predicatesEE10hipError_tPvRmT2_T3_T4_T5_mT6_T7_P12ihipStream_tbENKUlT_T0_E_clISt17integral_constantIbLb0EESX_IbLb1EEEEDaST_SU_EUlST_E_NS1_11comp_targetILNS1_3genE5ELNS1_11target_archE942ELNS1_3gpuE9ELNS1_3repE0EEENS1_30default_config_static_selectorELNS0_4arch9wavefront6targetE0EEEvT1_.num_vgpr, 0
	.set _ZN7rocprim17ROCPRIM_400000_NS6detail17trampoline_kernelINS0_14default_configENS1_27scan_by_key_config_selectorIssEEZZNS1_16scan_by_key_implILNS1_25lookback_scan_determinismE0ELb1ES3_N6thrust23THRUST_200600_302600_NS6detail15normal_iteratorINS9_10device_ptrIsEEEESE_SE_sNS9_4plusIsEE19head_flag_predicatesEE10hipError_tPvRmT2_T3_T4_T5_mT6_T7_P12ihipStream_tbENKUlT_T0_E_clISt17integral_constantIbLb0EESX_IbLb1EEEEDaST_SU_EUlST_E_NS1_11comp_targetILNS1_3genE5ELNS1_11target_archE942ELNS1_3gpuE9ELNS1_3repE0EEENS1_30default_config_static_selectorELNS0_4arch9wavefront6targetE0EEEvT1_.num_agpr, 0
	.set _ZN7rocprim17ROCPRIM_400000_NS6detail17trampoline_kernelINS0_14default_configENS1_27scan_by_key_config_selectorIssEEZZNS1_16scan_by_key_implILNS1_25lookback_scan_determinismE0ELb1ES3_N6thrust23THRUST_200600_302600_NS6detail15normal_iteratorINS9_10device_ptrIsEEEESE_SE_sNS9_4plusIsEE19head_flag_predicatesEE10hipError_tPvRmT2_T3_T4_T5_mT6_T7_P12ihipStream_tbENKUlT_T0_E_clISt17integral_constantIbLb0EESX_IbLb1EEEEDaST_SU_EUlST_E_NS1_11comp_targetILNS1_3genE5ELNS1_11target_archE942ELNS1_3gpuE9ELNS1_3repE0EEENS1_30default_config_static_selectorELNS0_4arch9wavefront6targetE0EEEvT1_.numbered_sgpr, 0
	.set _ZN7rocprim17ROCPRIM_400000_NS6detail17trampoline_kernelINS0_14default_configENS1_27scan_by_key_config_selectorIssEEZZNS1_16scan_by_key_implILNS1_25lookback_scan_determinismE0ELb1ES3_N6thrust23THRUST_200600_302600_NS6detail15normal_iteratorINS9_10device_ptrIsEEEESE_SE_sNS9_4plusIsEE19head_flag_predicatesEE10hipError_tPvRmT2_T3_T4_T5_mT6_T7_P12ihipStream_tbENKUlT_T0_E_clISt17integral_constantIbLb0EESX_IbLb1EEEEDaST_SU_EUlST_E_NS1_11comp_targetILNS1_3genE5ELNS1_11target_archE942ELNS1_3gpuE9ELNS1_3repE0EEENS1_30default_config_static_selectorELNS0_4arch9wavefront6targetE0EEEvT1_.num_named_barrier, 0
	.set _ZN7rocprim17ROCPRIM_400000_NS6detail17trampoline_kernelINS0_14default_configENS1_27scan_by_key_config_selectorIssEEZZNS1_16scan_by_key_implILNS1_25lookback_scan_determinismE0ELb1ES3_N6thrust23THRUST_200600_302600_NS6detail15normal_iteratorINS9_10device_ptrIsEEEESE_SE_sNS9_4plusIsEE19head_flag_predicatesEE10hipError_tPvRmT2_T3_T4_T5_mT6_T7_P12ihipStream_tbENKUlT_T0_E_clISt17integral_constantIbLb0EESX_IbLb1EEEEDaST_SU_EUlST_E_NS1_11comp_targetILNS1_3genE5ELNS1_11target_archE942ELNS1_3gpuE9ELNS1_3repE0EEENS1_30default_config_static_selectorELNS0_4arch9wavefront6targetE0EEEvT1_.private_seg_size, 0
	.set _ZN7rocprim17ROCPRIM_400000_NS6detail17trampoline_kernelINS0_14default_configENS1_27scan_by_key_config_selectorIssEEZZNS1_16scan_by_key_implILNS1_25lookback_scan_determinismE0ELb1ES3_N6thrust23THRUST_200600_302600_NS6detail15normal_iteratorINS9_10device_ptrIsEEEESE_SE_sNS9_4plusIsEE19head_flag_predicatesEE10hipError_tPvRmT2_T3_T4_T5_mT6_T7_P12ihipStream_tbENKUlT_T0_E_clISt17integral_constantIbLb0EESX_IbLb1EEEEDaST_SU_EUlST_E_NS1_11comp_targetILNS1_3genE5ELNS1_11target_archE942ELNS1_3gpuE9ELNS1_3repE0EEENS1_30default_config_static_selectorELNS0_4arch9wavefront6targetE0EEEvT1_.uses_vcc, 0
	.set _ZN7rocprim17ROCPRIM_400000_NS6detail17trampoline_kernelINS0_14default_configENS1_27scan_by_key_config_selectorIssEEZZNS1_16scan_by_key_implILNS1_25lookback_scan_determinismE0ELb1ES3_N6thrust23THRUST_200600_302600_NS6detail15normal_iteratorINS9_10device_ptrIsEEEESE_SE_sNS9_4plusIsEE19head_flag_predicatesEE10hipError_tPvRmT2_T3_T4_T5_mT6_T7_P12ihipStream_tbENKUlT_T0_E_clISt17integral_constantIbLb0EESX_IbLb1EEEEDaST_SU_EUlST_E_NS1_11comp_targetILNS1_3genE5ELNS1_11target_archE942ELNS1_3gpuE9ELNS1_3repE0EEENS1_30default_config_static_selectorELNS0_4arch9wavefront6targetE0EEEvT1_.uses_flat_scratch, 0
	.set _ZN7rocprim17ROCPRIM_400000_NS6detail17trampoline_kernelINS0_14default_configENS1_27scan_by_key_config_selectorIssEEZZNS1_16scan_by_key_implILNS1_25lookback_scan_determinismE0ELb1ES3_N6thrust23THRUST_200600_302600_NS6detail15normal_iteratorINS9_10device_ptrIsEEEESE_SE_sNS9_4plusIsEE19head_flag_predicatesEE10hipError_tPvRmT2_T3_T4_T5_mT6_T7_P12ihipStream_tbENKUlT_T0_E_clISt17integral_constantIbLb0EESX_IbLb1EEEEDaST_SU_EUlST_E_NS1_11comp_targetILNS1_3genE5ELNS1_11target_archE942ELNS1_3gpuE9ELNS1_3repE0EEENS1_30default_config_static_selectorELNS0_4arch9wavefront6targetE0EEEvT1_.has_dyn_sized_stack, 0
	.set _ZN7rocprim17ROCPRIM_400000_NS6detail17trampoline_kernelINS0_14default_configENS1_27scan_by_key_config_selectorIssEEZZNS1_16scan_by_key_implILNS1_25lookback_scan_determinismE0ELb1ES3_N6thrust23THRUST_200600_302600_NS6detail15normal_iteratorINS9_10device_ptrIsEEEESE_SE_sNS9_4plusIsEE19head_flag_predicatesEE10hipError_tPvRmT2_T3_T4_T5_mT6_T7_P12ihipStream_tbENKUlT_T0_E_clISt17integral_constantIbLb0EESX_IbLb1EEEEDaST_SU_EUlST_E_NS1_11comp_targetILNS1_3genE5ELNS1_11target_archE942ELNS1_3gpuE9ELNS1_3repE0EEENS1_30default_config_static_selectorELNS0_4arch9wavefront6targetE0EEEvT1_.has_recursion, 0
	.set _ZN7rocprim17ROCPRIM_400000_NS6detail17trampoline_kernelINS0_14default_configENS1_27scan_by_key_config_selectorIssEEZZNS1_16scan_by_key_implILNS1_25lookback_scan_determinismE0ELb1ES3_N6thrust23THRUST_200600_302600_NS6detail15normal_iteratorINS9_10device_ptrIsEEEESE_SE_sNS9_4plusIsEE19head_flag_predicatesEE10hipError_tPvRmT2_T3_T4_T5_mT6_T7_P12ihipStream_tbENKUlT_T0_E_clISt17integral_constantIbLb0EESX_IbLb1EEEEDaST_SU_EUlST_E_NS1_11comp_targetILNS1_3genE5ELNS1_11target_archE942ELNS1_3gpuE9ELNS1_3repE0EEENS1_30default_config_static_selectorELNS0_4arch9wavefront6targetE0EEEvT1_.has_indirect_call, 0
	.section	.AMDGPU.csdata,"",@progbits
; Kernel info:
; codeLenInByte = 0
; TotalNumSgprs: 0
; NumVgprs: 0
; ScratchSize: 0
; MemoryBound: 0
; FloatMode: 240
; IeeeMode: 1
; LDSByteSize: 0 bytes/workgroup (compile time only)
; SGPRBlocks: 0
; VGPRBlocks: 0
; NumSGPRsForWavesPerEU: 1
; NumVGPRsForWavesPerEU: 1
; NamedBarCnt: 0
; Occupancy: 16
; WaveLimiterHint : 0
; COMPUTE_PGM_RSRC2:SCRATCH_EN: 0
; COMPUTE_PGM_RSRC2:USER_SGPR: 2
; COMPUTE_PGM_RSRC2:TRAP_HANDLER: 0
; COMPUTE_PGM_RSRC2:TGID_X_EN: 1
; COMPUTE_PGM_RSRC2:TGID_Y_EN: 0
; COMPUTE_PGM_RSRC2:TGID_Z_EN: 0
; COMPUTE_PGM_RSRC2:TIDIG_COMP_CNT: 0
	.section	.text._ZN7rocprim17ROCPRIM_400000_NS6detail17trampoline_kernelINS0_14default_configENS1_27scan_by_key_config_selectorIssEEZZNS1_16scan_by_key_implILNS1_25lookback_scan_determinismE0ELb1ES3_N6thrust23THRUST_200600_302600_NS6detail15normal_iteratorINS9_10device_ptrIsEEEESE_SE_sNS9_4plusIsEE19head_flag_predicatesEE10hipError_tPvRmT2_T3_T4_T5_mT6_T7_P12ihipStream_tbENKUlT_T0_E_clISt17integral_constantIbLb0EESX_IbLb1EEEEDaST_SU_EUlST_E_NS1_11comp_targetILNS1_3genE4ELNS1_11target_archE910ELNS1_3gpuE8ELNS1_3repE0EEENS1_30default_config_static_selectorELNS0_4arch9wavefront6targetE0EEEvT1_,"axG",@progbits,_ZN7rocprim17ROCPRIM_400000_NS6detail17trampoline_kernelINS0_14default_configENS1_27scan_by_key_config_selectorIssEEZZNS1_16scan_by_key_implILNS1_25lookback_scan_determinismE0ELb1ES3_N6thrust23THRUST_200600_302600_NS6detail15normal_iteratorINS9_10device_ptrIsEEEESE_SE_sNS9_4plusIsEE19head_flag_predicatesEE10hipError_tPvRmT2_T3_T4_T5_mT6_T7_P12ihipStream_tbENKUlT_T0_E_clISt17integral_constantIbLb0EESX_IbLb1EEEEDaST_SU_EUlST_E_NS1_11comp_targetILNS1_3genE4ELNS1_11target_archE910ELNS1_3gpuE8ELNS1_3repE0EEENS1_30default_config_static_selectorELNS0_4arch9wavefront6targetE0EEEvT1_,comdat
	.protected	_ZN7rocprim17ROCPRIM_400000_NS6detail17trampoline_kernelINS0_14default_configENS1_27scan_by_key_config_selectorIssEEZZNS1_16scan_by_key_implILNS1_25lookback_scan_determinismE0ELb1ES3_N6thrust23THRUST_200600_302600_NS6detail15normal_iteratorINS9_10device_ptrIsEEEESE_SE_sNS9_4plusIsEE19head_flag_predicatesEE10hipError_tPvRmT2_T3_T4_T5_mT6_T7_P12ihipStream_tbENKUlT_T0_E_clISt17integral_constantIbLb0EESX_IbLb1EEEEDaST_SU_EUlST_E_NS1_11comp_targetILNS1_3genE4ELNS1_11target_archE910ELNS1_3gpuE8ELNS1_3repE0EEENS1_30default_config_static_selectorELNS0_4arch9wavefront6targetE0EEEvT1_ ; -- Begin function _ZN7rocprim17ROCPRIM_400000_NS6detail17trampoline_kernelINS0_14default_configENS1_27scan_by_key_config_selectorIssEEZZNS1_16scan_by_key_implILNS1_25lookback_scan_determinismE0ELb1ES3_N6thrust23THRUST_200600_302600_NS6detail15normal_iteratorINS9_10device_ptrIsEEEESE_SE_sNS9_4plusIsEE19head_flag_predicatesEE10hipError_tPvRmT2_T3_T4_T5_mT6_T7_P12ihipStream_tbENKUlT_T0_E_clISt17integral_constantIbLb0EESX_IbLb1EEEEDaST_SU_EUlST_E_NS1_11comp_targetILNS1_3genE4ELNS1_11target_archE910ELNS1_3gpuE8ELNS1_3repE0EEENS1_30default_config_static_selectorELNS0_4arch9wavefront6targetE0EEEvT1_
	.globl	_ZN7rocprim17ROCPRIM_400000_NS6detail17trampoline_kernelINS0_14default_configENS1_27scan_by_key_config_selectorIssEEZZNS1_16scan_by_key_implILNS1_25lookback_scan_determinismE0ELb1ES3_N6thrust23THRUST_200600_302600_NS6detail15normal_iteratorINS9_10device_ptrIsEEEESE_SE_sNS9_4plusIsEE19head_flag_predicatesEE10hipError_tPvRmT2_T3_T4_T5_mT6_T7_P12ihipStream_tbENKUlT_T0_E_clISt17integral_constantIbLb0EESX_IbLb1EEEEDaST_SU_EUlST_E_NS1_11comp_targetILNS1_3genE4ELNS1_11target_archE910ELNS1_3gpuE8ELNS1_3repE0EEENS1_30default_config_static_selectorELNS0_4arch9wavefront6targetE0EEEvT1_
	.p2align	8
	.type	_ZN7rocprim17ROCPRIM_400000_NS6detail17trampoline_kernelINS0_14default_configENS1_27scan_by_key_config_selectorIssEEZZNS1_16scan_by_key_implILNS1_25lookback_scan_determinismE0ELb1ES3_N6thrust23THRUST_200600_302600_NS6detail15normal_iteratorINS9_10device_ptrIsEEEESE_SE_sNS9_4plusIsEE19head_flag_predicatesEE10hipError_tPvRmT2_T3_T4_T5_mT6_T7_P12ihipStream_tbENKUlT_T0_E_clISt17integral_constantIbLb0EESX_IbLb1EEEEDaST_SU_EUlST_E_NS1_11comp_targetILNS1_3genE4ELNS1_11target_archE910ELNS1_3gpuE8ELNS1_3repE0EEENS1_30default_config_static_selectorELNS0_4arch9wavefront6targetE0EEEvT1_,@function
_ZN7rocprim17ROCPRIM_400000_NS6detail17trampoline_kernelINS0_14default_configENS1_27scan_by_key_config_selectorIssEEZZNS1_16scan_by_key_implILNS1_25lookback_scan_determinismE0ELb1ES3_N6thrust23THRUST_200600_302600_NS6detail15normal_iteratorINS9_10device_ptrIsEEEESE_SE_sNS9_4plusIsEE19head_flag_predicatesEE10hipError_tPvRmT2_T3_T4_T5_mT6_T7_P12ihipStream_tbENKUlT_T0_E_clISt17integral_constantIbLb0EESX_IbLb1EEEEDaST_SU_EUlST_E_NS1_11comp_targetILNS1_3genE4ELNS1_11target_archE910ELNS1_3gpuE8ELNS1_3repE0EEENS1_30default_config_static_selectorELNS0_4arch9wavefront6targetE0EEEvT1_: ; @_ZN7rocprim17ROCPRIM_400000_NS6detail17trampoline_kernelINS0_14default_configENS1_27scan_by_key_config_selectorIssEEZZNS1_16scan_by_key_implILNS1_25lookback_scan_determinismE0ELb1ES3_N6thrust23THRUST_200600_302600_NS6detail15normal_iteratorINS9_10device_ptrIsEEEESE_SE_sNS9_4plusIsEE19head_flag_predicatesEE10hipError_tPvRmT2_T3_T4_T5_mT6_T7_P12ihipStream_tbENKUlT_T0_E_clISt17integral_constantIbLb0EESX_IbLb1EEEEDaST_SU_EUlST_E_NS1_11comp_targetILNS1_3genE4ELNS1_11target_archE910ELNS1_3gpuE8ELNS1_3repE0EEENS1_30default_config_static_selectorELNS0_4arch9wavefront6targetE0EEEvT1_
; %bb.0:
	.section	.rodata,"a",@progbits
	.p2align	6, 0x0
	.amdhsa_kernel _ZN7rocprim17ROCPRIM_400000_NS6detail17trampoline_kernelINS0_14default_configENS1_27scan_by_key_config_selectorIssEEZZNS1_16scan_by_key_implILNS1_25lookback_scan_determinismE0ELb1ES3_N6thrust23THRUST_200600_302600_NS6detail15normal_iteratorINS9_10device_ptrIsEEEESE_SE_sNS9_4plusIsEE19head_flag_predicatesEE10hipError_tPvRmT2_T3_T4_T5_mT6_T7_P12ihipStream_tbENKUlT_T0_E_clISt17integral_constantIbLb0EESX_IbLb1EEEEDaST_SU_EUlST_E_NS1_11comp_targetILNS1_3genE4ELNS1_11target_archE910ELNS1_3gpuE8ELNS1_3repE0EEENS1_30default_config_static_selectorELNS0_4arch9wavefront6targetE0EEEvT1_
		.amdhsa_group_segment_fixed_size 0
		.amdhsa_private_segment_fixed_size 0
		.amdhsa_kernarg_size 112
		.amdhsa_user_sgpr_count 2
		.amdhsa_user_sgpr_dispatch_ptr 0
		.amdhsa_user_sgpr_queue_ptr 0
		.amdhsa_user_sgpr_kernarg_segment_ptr 1
		.amdhsa_user_sgpr_dispatch_id 0
		.amdhsa_user_sgpr_kernarg_preload_length 0
		.amdhsa_user_sgpr_kernarg_preload_offset 0
		.amdhsa_user_sgpr_private_segment_size 0
		.amdhsa_wavefront_size32 1
		.amdhsa_uses_dynamic_stack 0
		.amdhsa_enable_private_segment 0
		.amdhsa_system_sgpr_workgroup_id_x 1
		.amdhsa_system_sgpr_workgroup_id_y 0
		.amdhsa_system_sgpr_workgroup_id_z 0
		.amdhsa_system_sgpr_workgroup_info 0
		.amdhsa_system_vgpr_workitem_id 0
		.amdhsa_next_free_vgpr 1
		.amdhsa_next_free_sgpr 1
		.amdhsa_named_barrier_count 0
		.amdhsa_reserve_vcc 0
		.amdhsa_float_round_mode_32 0
		.amdhsa_float_round_mode_16_64 0
		.amdhsa_float_denorm_mode_32 3
		.amdhsa_float_denorm_mode_16_64 3
		.amdhsa_fp16_overflow 0
		.amdhsa_memory_ordered 1
		.amdhsa_forward_progress 1
		.amdhsa_inst_pref_size 0
		.amdhsa_round_robin_scheduling 0
		.amdhsa_exception_fp_ieee_invalid_op 0
		.amdhsa_exception_fp_denorm_src 0
		.amdhsa_exception_fp_ieee_div_zero 0
		.amdhsa_exception_fp_ieee_overflow 0
		.amdhsa_exception_fp_ieee_underflow 0
		.amdhsa_exception_fp_ieee_inexact 0
		.amdhsa_exception_int_div_zero 0
	.end_amdhsa_kernel
	.section	.text._ZN7rocprim17ROCPRIM_400000_NS6detail17trampoline_kernelINS0_14default_configENS1_27scan_by_key_config_selectorIssEEZZNS1_16scan_by_key_implILNS1_25lookback_scan_determinismE0ELb1ES3_N6thrust23THRUST_200600_302600_NS6detail15normal_iteratorINS9_10device_ptrIsEEEESE_SE_sNS9_4plusIsEE19head_flag_predicatesEE10hipError_tPvRmT2_T3_T4_T5_mT6_T7_P12ihipStream_tbENKUlT_T0_E_clISt17integral_constantIbLb0EESX_IbLb1EEEEDaST_SU_EUlST_E_NS1_11comp_targetILNS1_3genE4ELNS1_11target_archE910ELNS1_3gpuE8ELNS1_3repE0EEENS1_30default_config_static_selectorELNS0_4arch9wavefront6targetE0EEEvT1_,"axG",@progbits,_ZN7rocprim17ROCPRIM_400000_NS6detail17trampoline_kernelINS0_14default_configENS1_27scan_by_key_config_selectorIssEEZZNS1_16scan_by_key_implILNS1_25lookback_scan_determinismE0ELb1ES3_N6thrust23THRUST_200600_302600_NS6detail15normal_iteratorINS9_10device_ptrIsEEEESE_SE_sNS9_4plusIsEE19head_flag_predicatesEE10hipError_tPvRmT2_T3_T4_T5_mT6_T7_P12ihipStream_tbENKUlT_T0_E_clISt17integral_constantIbLb0EESX_IbLb1EEEEDaST_SU_EUlST_E_NS1_11comp_targetILNS1_3genE4ELNS1_11target_archE910ELNS1_3gpuE8ELNS1_3repE0EEENS1_30default_config_static_selectorELNS0_4arch9wavefront6targetE0EEEvT1_,comdat
.Lfunc_end887:
	.size	_ZN7rocprim17ROCPRIM_400000_NS6detail17trampoline_kernelINS0_14default_configENS1_27scan_by_key_config_selectorIssEEZZNS1_16scan_by_key_implILNS1_25lookback_scan_determinismE0ELb1ES3_N6thrust23THRUST_200600_302600_NS6detail15normal_iteratorINS9_10device_ptrIsEEEESE_SE_sNS9_4plusIsEE19head_flag_predicatesEE10hipError_tPvRmT2_T3_T4_T5_mT6_T7_P12ihipStream_tbENKUlT_T0_E_clISt17integral_constantIbLb0EESX_IbLb1EEEEDaST_SU_EUlST_E_NS1_11comp_targetILNS1_3genE4ELNS1_11target_archE910ELNS1_3gpuE8ELNS1_3repE0EEENS1_30default_config_static_selectorELNS0_4arch9wavefront6targetE0EEEvT1_, .Lfunc_end887-_ZN7rocprim17ROCPRIM_400000_NS6detail17trampoline_kernelINS0_14default_configENS1_27scan_by_key_config_selectorIssEEZZNS1_16scan_by_key_implILNS1_25lookback_scan_determinismE0ELb1ES3_N6thrust23THRUST_200600_302600_NS6detail15normal_iteratorINS9_10device_ptrIsEEEESE_SE_sNS9_4plusIsEE19head_flag_predicatesEE10hipError_tPvRmT2_T3_T4_T5_mT6_T7_P12ihipStream_tbENKUlT_T0_E_clISt17integral_constantIbLb0EESX_IbLb1EEEEDaST_SU_EUlST_E_NS1_11comp_targetILNS1_3genE4ELNS1_11target_archE910ELNS1_3gpuE8ELNS1_3repE0EEENS1_30default_config_static_selectorELNS0_4arch9wavefront6targetE0EEEvT1_
                                        ; -- End function
	.set _ZN7rocprim17ROCPRIM_400000_NS6detail17trampoline_kernelINS0_14default_configENS1_27scan_by_key_config_selectorIssEEZZNS1_16scan_by_key_implILNS1_25lookback_scan_determinismE0ELb1ES3_N6thrust23THRUST_200600_302600_NS6detail15normal_iteratorINS9_10device_ptrIsEEEESE_SE_sNS9_4plusIsEE19head_flag_predicatesEE10hipError_tPvRmT2_T3_T4_T5_mT6_T7_P12ihipStream_tbENKUlT_T0_E_clISt17integral_constantIbLb0EESX_IbLb1EEEEDaST_SU_EUlST_E_NS1_11comp_targetILNS1_3genE4ELNS1_11target_archE910ELNS1_3gpuE8ELNS1_3repE0EEENS1_30default_config_static_selectorELNS0_4arch9wavefront6targetE0EEEvT1_.num_vgpr, 0
	.set _ZN7rocprim17ROCPRIM_400000_NS6detail17trampoline_kernelINS0_14default_configENS1_27scan_by_key_config_selectorIssEEZZNS1_16scan_by_key_implILNS1_25lookback_scan_determinismE0ELb1ES3_N6thrust23THRUST_200600_302600_NS6detail15normal_iteratorINS9_10device_ptrIsEEEESE_SE_sNS9_4plusIsEE19head_flag_predicatesEE10hipError_tPvRmT2_T3_T4_T5_mT6_T7_P12ihipStream_tbENKUlT_T0_E_clISt17integral_constantIbLb0EESX_IbLb1EEEEDaST_SU_EUlST_E_NS1_11comp_targetILNS1_3genE4ELNS1_11target_archE910ELNS1_3gpuE8ELNS1_3repE0EEENS1_30default_config_static_selectorELNS0_4arch9wavefront6targetE0EEEvT1_.num_agpr, 0
	.set _ZN7rocprim17ROCPRIM_400000_NS6detail17trampoline_kernelINS0_14default_configENS1_27scan_by_key_config_selectorIssEEZZNS1_16scan_by_key_implILNS1_25lookback_scan_determinismE0ELb1ES3_N6thrust23THRUST_200600_302600_NS6detail15normal_iteratorINS9_10device_ptrIsEEEESE_SE_sNS9_4plusIsEE19head_flag_predicatesEE10hipError_tPvRmT2_T3_T4_T5_mT6_T7_P12ihipStream_tbENKUlT_T0_E_clISt17integral_constantIbLb0EESX_IbLb1EEEEDaST_SU_EUlST_E_NS1_11comp_targetILNS1_3genE4ELNS1_11target_archE910ELNS1_3gpuE8ELNS1_3repE0EEENS1_30default_config_static_selectorELNS0_4arch9wavefront6targetE0EEEvT1_.numbered_sgpr, 0
	.set _ZN7rocprim17ROCPRIM_400000_NS6detail17trampoline_kernelINS0_14default_configENS1_27scan_by_key_config_selectorIssEEZZNS1_16scan_by_key_implILNS1_25lookback_scan_determinismE0ELb1ES3_N6thrust23THRUST_200600_302600_NS6detail15normal_iteratorINS9_10device_ptrIsEEEESE_SE_sNS9_4plusIsEE19head_flag_predicatesEE10hipError_tPvRmT2_T3_T4_T5_mT6_T7_P12ihipStream_tbENKUlT_T0_E_clISt17integral_constantIbLb0EESX_IbLb1EEEEDaST_SU_EUlST_E_NS1_11comp_targetILNS1_3genE4ELNS1_11target_archE910ELNS1_3gpuE8ELNS1_3repE0EEENS1_30default_config_static_selectorELNS0_4arch9wavefront6targetE0EEEvT1_.num_named_barrier, 0
	.set _ZN7rocprim17ROCPRIM_400000_NS6detail17trampoline_kernelINS0_14default_configENS1_27scan_by_key_config_selectorIssEEZZNS1_16scan_by_key_implILNS1_25lookback_scan_determinismE0ELb1ES3_N6thrust23THRUST_200600_302600_NS6detail15normal_iteratorINS9_10device_ptrIsEEEESE_SE_sNS9_4plusIsEE19head_flag_predicatesEE10hipError_tPvRmT2_T3_T4_T5_mT6_T7_P12ihipStream_tbENKUlT_T0_E_clISt17integral_constantIbLb0EESX_IbLb1EEEEDaST_SU_EUlST_E_NS1_11comp_targetILNS1_3genE4ELNS1_11target_archE910ELNS1_3gpuE8ELNS1_3repE0EEENS1_30default_config_static_selectorELNS0_4arch9wavefront6targetE0EEEvT1_.private_seg_size, 0
	.set _ZN7rocprim17ROCPRIM_400000_NS6detail17trampoline_kernelINS0_14default_configENS1_27scan_by_key_config_selectorIssEEZZNS1_16scan_by_key_implILNS1_25lookback_scan_determinismE0ELb1ES3_N6thrust23THRUST_200600_302600_NS6detail15normal_iteratorINS9_10device_ptrIsEEEESE_SE_sNS9_4plusIsEE19head_flag_predicatesEE10hipError_tPvRmT2_T3_T4_T5_mT6_T7_P12ihipStream_tbENKUlT_T0_E_clISt17integral_constantIbLb0EESX_IbLb1EEEEDaST_SU_EUlST_E_NS1_11comp_targetILNS1_3genE4ELNS1_11target_archE910ELNS1_3gpuE8ELNS1_3repE0EEENS1_30default_config_static_selectorELNS0_4arch9wavefront6targetE0EEEvT1_.uses_vcc, 0
	.set _ZN7rocprim17ROCPRIM_400000_NS6detail17trampoline_kernelINS0_14default_configENS1_27scan_by_key_config_selectorIssEEZZNS1_16scan_by_key_implILNS1_25lookback_scan_determinismE0ELb1ES3_N6thrust23THRUST_200600_302600_NS6detail15normal_iteratorINS9_10device_ptrIsEEEESE_SE_sNS9_4plusIsEE19head_flag_predicatesEE10hipError_tPvRmT2_T3_T4_T5_mT6_T7_P12ihipStream_tbENKUlT_T0_E_clISt17integral_constantIbLb0EESX_IbLb1EEEEDaST_SU_EUlST_E_NS1_11comp_targetILNS1_3genE4ELNS1_11target_archE910ELNS1_3gpuE8ELNS1_3repE0EEENS1_30default_config_static_selectorELNS0_4arch9wavefront6targetE0EEEvT1_.uses_flat_scratch, 0
	.set _ZN7rocprim17ROCPRIM_400000_NS6detail17trampoline_kernelINS0_14default_configENS1_27scan_by_key_config_selectorIssEEZZNS1_16scan_by_key_implILNS1_25lookback_scan_determinismE0ELb1ES3_N6thrust23THRUST_200600_302600_NS6detail15normal_iteratorINS9_10device_ptrIsEEEESE_SE_sNS9_4plusIsEE19head_flag_predicatesEE10hipError_tPvRmT2_T3_T4_T5_mT6_T7_P12ihipStream_tbENKUlT_T0_E_clISt17integral_constantIbLb0EESX_IbLb1EEEEDaST_SU_EUlST_E_NS1_11comp_targetILNS1_3genE4ELNS1_11target_archE910ELNS1_3gpuE8ELNS1_3repE0EEENS1_30default_config_static_selectorELNS0_4arch9wavefront6targetE0EEEvT1_.has_dyn_sized_stack, 0
	.set _ZN7rocprim17ROCPRIM_400000_NS6detail17trampoline_kernelINS0_14default_configENS1_27scan_by_key_config_selectorIssEEZZNS1_16scan_by_key_implILNS1_25lookback_scan_determinismE0ELb1ES3_N6thrust23THRUST_200600_302600_NS6detail15normal_iteratorINS9_10device_ptrIsEEEESE_SE_sNS9_4plusIsEE19head_flag_predicatesEE10hipError_tPvRmT2_T3_T4_T5_mT6_T7_P12ihipStream_tbENKUlT_T0_E_clISt17integral_constantIbLb0EESX_IbLb1EEEEDaST_SU_EUlST_E_NS1_11comp_targetILNS1_3genE4ELNS1_11target_archE910ELNS1_3gpuE8ELNS1_3repE0EEENS1_30default_config_static_selectorELNS0_4arch9wavefront6targetE0EEEvT1_.has_recursion, 0
	.set _ZN7rocprim17ROCPRIM_400000_NS6detail17trampoline_kernelINS0_14default_configENS1_27scan_by_key_config_selectorIssEEZZNS1_16scan_by_key_implILNS1_25lookback_scan_determinismE0ELb1ES3_N6thrust23THRUST_200600_302600_NS6detail15normal_iteratorINS9_10device_ptrIsEEEESE_SE_sNS9_4plusIsEE19head_flag_predicatesEE10hipError_tPvRmT2_T3_T4_T5_mT6_T7_P12ihipStream_tbENKUlT_T0_E_clISt17integral_constantIbLb0EESX_IbLb1EEEEDaST_SU_EUlST_E_NS1_11comp_targetILNS1_3genE4ELNS1_11target_archE910ELNS1_3gpuE8ELNS1_3repE0EEENS1_30default_config_static_selectorELNS0_4arch9wavefront6targetE0EEEvT1_.has_indirect_call, 0
	.section	.AMDGPU.csdata,"",@progbits
; Kernel info:
; codeLenInByte = 0
; TotalNumSgprs: 0
; NumVgprs: 0
; ScratchSize: 0
; MemoryBound: 0
; FloatMode: 240
; IeeeMode: 1
; LDSByteSize: 0 bytes/workgroup (compile time only)
; SGPRBlocks: 0
; VGPRBlocks: 0
; NumSGPRsForWavesPerEU: 1
; NumVGPRsForWavesPerEU: 1
; NamedBarCnt: 0
; Occupancy: 16
; WaveLimiterHint : 0
; COMPUTE_PGM_RSRC2:SCRATCH_EN: 0
; COMPUTE_PGM_RSRC2:USER_SGPR: 2
; COMPUTE_PGM_RSRC2:TRAP_HANDLER: 0
; COMPUTE_PGM_RSRC2:TGID_X_EN: 1
; COMPUTE_PGM_RSRC2:TGID_Y_EN: 0
; COMPUTE_PGM_RSRC2:TGID_Z_EN: 0
; COMPUTE_PGM_RSRC2:TIDIG_COMP_CNT: 0
	.section	.text._ZN7rocprim17ROCPRIM_400000_NS6detail17trampoline_kernelINS0_14default_configENS1_27scan_by_key_config_selectorIssEEZZNS1_16scan_by_key_implILNS1_25lookback_scan_determinismE0ELb1ES3_N6thrust23THRUST_200600_302600_NS6detail15normal_iteratorINS9_10device_ptrIsEEEESE_SE_sNS9_4plusIsEE19head_flag_predicatesEE10hipError_tPvRmT2_T3_T4_T5_mT6_T7_P12ihipStream_tbENKUlT_T0_E_clISt17integral_constantIbLb0EESX_IbLb1EEEEDaST_SU_EUlST_E_NS1_11comp_targetILNS1_3genE3ELNS1_11target_archE908ELNS1_3gpuE7ELNS1_3repE0EEENS1_30default_config_static_selectorELNS0_4arch9wavefront6targetE0EEEvT1_,"axG",@progbits,_ZN7rocprim17ROCPRIM_400000_NS6detail17trampoline_kernelINS0_14default_configENS1_27scan_by_key_config_selectorIssEEZZNS1_16scan_by_key_implILNS1_25lookback_scan_determinismE0ELb1ES3_N6thrust23THRUST_200600_302600_NS6detail15normal_iteratorINS9_10device_ptrIsEEEESE_SE_sNS9_4plusIsEE19head_flag_predicatesEE10hipError_tPvRmT2_T3_T4_T5_mT6_T7_P12ihipStream_tbENKUlT_T0_E_clISt17integral_constantIbLb0EESX_IbLb1EEEEDaST_SU_EUlST_E_NS1_11comp_targetILNS1_3genE3ELNS1_11target_archE908ELNS1_3gpuE7ELNS1_3repE0EEENS1_30default_config_static_selectorELNS0_4arch9wavefront6targetE0EEEvT1_,comdat
	.protected	_ZN7rocprim17ROCPRIM_400000_NS6detail17trampoline_kernelINS0_14default_configENS1_27scan_by_key_config_selectorIssEEZZNS1_16scan_by_key_implILNS1_25lookback_scan_determinismE0ELb1ES3_N6thrust23THRUST_200600_302600_NS6detail15normal_iteratorINS9_10device_ptrIsEEEESE_SE_sNS9_4plusIsEE19head_flag_predicatesEE10hipError_tPvRmT2_T3_T4_T5_mT6_T7_P12ihipStream_tbENKUlT_T0_E_clISt17integral_constantIbLb0EESX_IbLb1EEEEDaST_SU_EUlST_E_NS1_11comp_targetILNS1_3genE3ELNS1_11target_archE908ELNS1_3gpuE7ELNS1_3repE0EEENS1_30default_config_static_selectorELNS0_4arch9wavefront6targetE0EEEvT1_ ; -- Begin function _ZN7rocprim17ROCPRIM_400000_NS6detail17trampoline_kernelINS0_14default_configENS1_27scan_by_key_config_selectorIssEEZZNS1_16scan_by_key_implILNS1_25lookback_scan_determinismE0ELb1ES3_N6thrust23THRUST_200600_302600_NS6detail15normal_iteratorINS9_10device_ptrIsEEEESE_SE_sNS9_4plusIsEE19head_flag_predicatesEE10hipError_tPvRmT2_T3_T4_T5_mT6_T7_P12ihipStream_tbENKUlT_T0_E_clISt17integral_constantIbLb0EESX_IbLb1EEEEDaST_SU_EUlST_E_NS1_11comp_targetILNS1_3genE3ELNS1_11target_archE908ELNS1_3gpuE7ELNS1_3repE0EEENS1_30default_config_static_selectorELNS0_4arch9wavefront6targetE0EEEvT1_
	.globl	_ZN7rocprim17ROCPRIM_400000_NS6detail17trampoline_kernelINS0_14default_configENS1_27scan_by_key_config_selectorIssEEZZNS1_16scan_by_key_implILNS1_25lookback_scan_determinismE0ELb1ES3_N6thrust23THRUST_200600_302600_NS6detail15normal_iteratorINS9_10device_ptrIsEEEESE_SE_sNS9_4plusIsEE19head_flag_predicatesEE10hipError_tPvRmT2_T3_T4_T5_mT6_T7_P12ihipStream_tbENKUlT_T0_E_clISt17integral_constantIbLb0EESX_IbLb1EEEEDaST_SU_EUlST_E_NS1_11comp_targetILNS1_3genE3ELNS1_11target_archE908ELNS1_3gpuE7ELNS1_3repE0EEENS1_30default_config_static_selectorELNS0_4arch9wavefront6targetE0EEEvT1_
	.p2align	8
	.type	_ZN7rocprim17ROCPRIM_400000_NS6detail17trampoline_kernelINS0_14default_configENS1_27scan_by_key_config_selectorIssEEZZNS1_16scan_by_key_implILNS1_25lookback_scan_determinismE0ELb1ES3_N6thrust23THRUST_200600_302600_NS6detail15normal_iteratorINS9_10device_ptrIsEEEESE_SE_sNS9_4plusIsEE19head_flag_predicatesEE10hipError_tPvRmT2_T3_T4_T5_mT6_T7_P12ihipStream_tbENKUlT_T0_E_clISt17integral_constantIbLb0EESX_IbLb1EEEEDaST_SU_EUlST_E_NS1_11comp_targetILNS1_3genE3ELNS1_11target_archE908ELNS1_3gpuE7ELNS1_3repE0EEENS1_30default_config_static_selectorELNS0_4arch9wavefront6targetE0EEEvT1_,@function
_ZN7rocprim17ROCPRIM_400000_NS6detail17trampoline_kernelINS0_14default_configENS1_27scan_by_key_config_selectorIssEEZZNS1_16scan_by_key_implILNS1_25lookback_scan_determinismE0ELb1ES3_N6thrust23THRUST_200600_302600_NS6detail15normal_iteratorINS9_10device_ptrIsEEEESE_SE_sNS9_4plusIsEE19head_flag_predicatesEE10hipError_tPvRmT2_T3_T4_T5_mT6_T7_P12ihipStream_tbENKUlT_T0_E_clISt17integral_constantIbLb0EESX_IbLb1EEEEDaST_SU_EUlST_E_NS1_11comp_targetILNS1_3genE3ELNS1_11target_archE908ELNS1_3gpuE7ELNS1_3repE0EEENS1_30default_config_static_selectorELNS0_4arch9wavefront6targetE0EEEvT1_: ; @_ZN7rocprim17ROCPRIM_400000_NS6detail17trampoline_kernelINS0_14default_configENS1_27scan_by_key_config_selectorIssEEZZNS1_16scan_by_key_implILNS1_25lookback_scan_determinismE0ELb1ES3_N6thrust23THRUST_200600_302600_NS6detail15normal_iteratorINS9_10device_ptrIsEEEESE_SE_sNS9_4plusIsEE19head_flag_predicatesEE10hipError_tPvRmT2_T3_T4_T5_mT6_T7_P12ihipStream_tbENKUlT_T0_E_clISt17integral_constantIbLb0EESX_IbLb1EEEEDaST_SU_EUlST_E_NS1_11comp_targetILNS1_3genE3ELNS1_11target_archE908ELNS1_3gpuE7ELNS1_3repE0EEENS1_30default_config_static_selectorELNS0_4arch9wavefront6targetE0EEEvT1_
; %bb.0:
	.section	.rodata,"a",@progbits
	.p2align	6, 0x0
	.amdhsa_kernel _ZN7rocprim17ROCPRIM_400000_NS6detail17trampoline_kernelINS0_14default_configENS1_27scan_by_key_config_selectorIssEEZZNS1_16scan_by_key_implILNS1_25lookback_scan_determinismE0ELb1ES3_N6thrust23THRUST_200600_302600_NS6detail15normal_iteratorINS9_10device_ptrIsEEEESE_SE_sNS9_4plusIsEE19head_flag_predicatesEE10hipError_tPvRmT2_T3_T4_T5_mT6_T7_P12ihipStream_tbENKUlT_T0_E_clISt17integral_constantIbLb0EESX_IbLb1EEEEDaST_SU_EUlST_E_NS1_11comp_targetILNS1_3genE3ELNS1_11target_archE908ELNS1_3gpuE7ELNS1_3repE0EEENS1_30default_config_static_selectorELNS0_4arch9wavefront6targetE0EEEvT1_
		.amdhsa_group_segment_fixed_size 0
		.amdhsa_private_segment_fixed_size 0
		.amdhsa_kernarg_size 112
		.amdhsa_user_sgpr_count 2
		.amdhsa_user_sgpr_dispatch_ptr 0
		.amdhsa_user_sgpr_queue_ptr 0
		.amdhsa_user_sgpr_kernarg_segment_ptr 1
		.amdhsa_user_sgpr_dispatch_id 0
		.amdhsa_user_sgpr_kernarg_preload_length 0
		.amdhsa_user_sgpr_kernarg_preload_offset 0
		.amdhsa_user_sgpr_private_segment_size 0
		.amdhsa_wavefront_size32 1
		.amdhsa_uses_dynamic_stack 0
		.amdhsa_enable_private_segment 0
		.amdhsa_system_sgpr_workgroup_id_x 1
		.amdhsa_system_sgpr_workgroup_id_y 0
		.amdhsa_system_sgpr_workgroup_id_z 0
		.amdhsa_system_sgpr_workgroup_info 0
		.amdhsa_system_vgpr_workitem_id 0
		.amdhsa_next_free_vgpr 1
		.amdhsa_next_free_sgpr 1
		.amdhsa_named_barrier_count 0
		.amdhsa_reserve_vcc 0
		.amdhsa_float_round_mode_32 0
		.amdhsa_float_round_mode_16_64 0
		.amdhsa_float_denorm_mode_32 3
		.amdhsa_float_denorm_mode_16_64 3
		.amdhsa_fp16_overflow 0
		.amdhsa_memory_ordered 1
		.amdhsa_forward_progress 1
		.amdhsa_inst_pref_size 0
		.amdhsa_round_robin_scheduling 0
		.amdhsa_exception_fp_ieee_invalid_op 0
		.amdhsa_exception_fp_denorm_src 0
		.amdhsa_exception_fp_ieee_div_zero 0
		.amdhsa_exception_fp_ieee_overflow 0
		.amdhsa_exception_fp_ieee_underflow 0
		.amdhsa_exception_fp_ieee_inexact 0
		.amdhsa_exception_int_div_zero 0
	.end_amdhsa_kernel
	.section	.text._ZN7rocprim17ROCPRIM_400000_NS6detail17trampoline_kernelINS0_14default_configENS1_27scan_by_key_config_selectorIssEEZZNS1_16scan_by_key_implILNS1_25lookback_scan_determinismE0ELb1ES3_N6thrust23THRUST_200600_302600_NS6detail15normal_iteratorINS9_10device_ptrIsEEEESE_SE_sNS9_4plusIsEE19head_flag_predicatesEE10hipError_tPvRmT2_T3_T4_T5_mT6_T7_P12ihipStream_tbENKUlT_T0_E_clISt17integral_constantIbLb0EESX_IbLb1EEEEDaST_SU_EUlST_E_NS1_11comp_targetILNS1_3genE3ELNS1_11target_archE908ELNS1_3gpuE7ELNS1_3repE0EEENS1_30default_config_static_selectorELNS0_4arch9wavefront6targetE0EEEvT1_,"axG",@progbits,_ZN7rocprim17ROCPRIM_400000_NS6detail17trampoline_kernelINS0_14default_configENS1_27scan_by_key_config_selectorIssEEZZNS1_16scan_by_key_implILNS1_25lookback_scan_determinismE0ELb1ES3_N6thrust23THRUST_200600_302600_NS6detail15normal_iteratorINS9_10device_ptrIsEEEESE_SE_sNS9_4plusIsEE19head_flag_predicatesEE10hipError_tPvRmT2_T3_T4_T5_mT6_T7_P12ihipStream_tbENKUlT_T0_E_clISt17integral_constantIbLb0EESX_IbLb1EEEEDaST_SU_EUlST_E_NS1_11comp_targetILNS1_3genE3ELNS1_11target_archE908ELNS1_3gpuE7ELNS1_3repE0EEENS1_30default_config_static_selectorELNS0_4arch9wavefront6targetE0EEEvT1_,comdat
.Lfunc_end888:
	.size	_ZN7rocprim17ROCPRIM_400000_NS6detail17trampoline_kernelINS0_14default_configENS1_27scan_by_key_config_selectorIssEEZZNS1_16scan_by_key_implILNS1_25lookback_scan_determinismE0ELb1ES3_N6thrust23THRUST_200600_302600_NS6detail15normal_iteratorINS9_10device_ptrIsEEEESE_SE_sNS9_4plusIsEE19head_flag_predicatesEE10hipError_tPvRmT2_T3_T4_T5_mT6_T7_P12ihipStream_tbENKUlT_T0_E_clISt17integral_constantIbLb0EESX_IbLb1EEEEDaST_SU_EUlST_E_NS1_11comp_targetILNS1_3genE3ELNS1_11target_archE908ELNS1_3gpuE7ELNS1_3repE0EEENS1_30default_config_static_selectorELNS0_4arch9wavefront6targetE0EEEvT1_, .Lfunc_end888-_ZN7rocprim17ROCPRIM_400000_NS6detail17trampoline_kernelINS0_14default_configENS1_27scan_by_key_config_selectorIssEEZZNS1_16scan_by_key_implILNS1_25lookback_scan_determinismE0ELb1ES3_N6thrust23THRUST_200600_302600_NS6detail15normal_iteratorINS9_10device_ptrIsEEEESE_SE_sNS9_4plusIsEE19head_flag_predicatesEE10hipError_tPvRmT2_T3_T4_T5_mT6_T7_P12ihipStream_tbENKUlT_T0_E_clISt17integral_constantIbLb0EESX_IbLb1EEEEDaST_SU_EUlST_E_NS1_11comp_targetILNS1_3genE3ELNS1_11target_archE908ELNS1_3gpuE7ELNS1_3repE0EEENS1_30default_config_static_selectorELNS0_4arch9wavefront6targetE0EEEvT1_
                                        ; -- End function
	.set _ZN7rocprim17ROCPRIM_400000_NS6detail17trampoline_kernelINS0_14default_configENS1_27scan_by_key_config_selectorIssEEZZNS1_16scan_by_key_implILNS1_25lookback_scan_determinismE0ELb1ES3_N6thrust23THRUST_200600_302600_NS6detail15normal_iteratorINS9_10device_ptrIsEEEESE_SE_sNS9_4plusIsEE19head_flag_predicatesEE10hipError_tPvRmT2_T3_T4_T5_mT6_T7_P12ihipStream_tbENKUlT_T0_E_clISt17integral_constantIbLb0EESX_IbLb1EEEEDaST_SU_EUlST_E_NS1_11comp_targetILNS1_3genE3ELNS1_11target_archE908ELNS1_3gpuE7ELNS1_3repE0EEENS1_30default_config_static_selectorELNS0_4arch9wavefront6targetE0EEEvT1_.num_vgpr, 0
	.set _ZN7rocprim17ROCPRIM_400000_NS6detail17trampoline_kernelINS0_14default_configENS1_27scan_by_key_config_selectorIssEEZZNS1_16scan_by_key_implILNS1_25lookback_scan_determinismE0ELb1ES3_N6thrust23THRUST_200600_302600_NS6detail15normal_iteratorINS9_10device_ptrIsEEEESE_SE_sNS9_4plusIsEE19head_flag_predicatesEE10hipError_tPvRmT2_T3_T4_T5_mT6_T7_P12ihipStream_tbENKUlT_T0_E_clISt17integral_constantIbLb0EESX_IbLb1EEEEDaST_SU_EUlST_E_NS1_11comp_targetILNS1_3genE3ELNS1_11target_archE908ELNS1_3gpuE7ELNS1_3repE0EEENS1_30default_config_static_selectorELNS0_4arch9wavefront6targetE0EEEvT1_.num_agpr, 0
	.set _ZN7rocprim17ROCPRIM_400000_NS6detail17trampoline_kernelINS0_14default_configENS1_27scan_by_key_config_selectorIssEEZZNS1_16scan_by_key_implILNS1_25lookback_scan_determinismE0ELb1ES3_N6thrust23THRUST_200600_302600_NS6detail15normal_iteratorINS9_10device_ptrIsEEEESE_SE_sNS9_4plusIsEE19head_flag_predicatesEE10hipError_tPvRmT2_T3_T4_T5_mT6_T7_P12ihipStream_tbENKUlT_T0_E_clISt17integral_constantIbLb0EESX_IbLb1EEEEDaST_SU_EUlST_E_NS1_11comp_targetILNS1_3genE3ELNS1_11target_archE908ELNS1_3gpuE7ELNS1_3repE0EEENS1_30default_config_static_selectorELNS0_4arch9wavefront6targetE0EEEvT1_.numbered_sgpr, 0
	.set _ZN7rocprim17ROCPRIM_400000_NS6detail17trampoline_kernelINS0_14default_configENS1_27scan_by_key_config_selectorIssEEZZNS1_16scan_by_key_implILNS1_25lookback_scan_determinismE0ELb1ES3_N6thrust23THRUST_200600_302600_NS6detail15normal_iteratorINS9_10device_ptrIsEEEESE_SE_sNS9_4plusIsEE19head_flag_predicatesEE10hipError_tPvRmT2_T3_T4_T5_mT6_T7_P12ihipStream_tbENKUlT_T0_E_clISt17integral_constantIbLb0EESX_IbLb1EEEEDaST_SU_EUlST_E_NS1_11comp_targetILNS1_3genE3ELNS1_11target_archE908ELNS1_3gpuE7ELNS1_3repE0EEENS1_30default_config_static_selectorELNS0_4arch9wavefront6targetE0EEEvT1_.num_named_barrier, 0
	.set _ZN7rocprim17ROCPRIM_400000_NS6detail17trampoline_kernelINS0_14default_configENS1_27scan_by_key_config_selectorIssEEZZNS1_16scan_by_key_implILNS1_25lookback_scan_determinismE0ELb1ES3_N6thrust23THRUST_200600_302600_NS6detail15normal_iteratorINS9_10device_ptrIsEEEESE_SE_sNS9_4plusIsEE19head_flag_predicatesEE10hipError_tPvRmT2_T3_T4_T5_mT6_T7_P12ihipStream_tbENKUlT_T0_E_clISt17integral_constantIbLb0EESX_IbLb1EEEEDaST_SU_EUlST_E_NS1_11comp_targetILNS1_3genE3ELNS1_11target_archE908ELNS1_3gpuE7ELNS1_3repE0EEENS1_30default_config_static_selectorELNS0_4arch9wavefront6targetE0EEEvT1_.private_seg_size, 0
	.set _ZN7rocprim17ROCPRIM_400000_NS6detail17trampoline_kernelINS0_14default_configENS1_27scan_by_key_config_selectorIssEEZZNS1_16scan_by_key_implILNS1_25lookback_scan_determinismE0ELb1ES3_N6thrust23THRUST_200600_302600_NS6detail15normal_iteratorINS9_10device_ptrIsEEEESE_SE_sNS9_4plusIsEE19head_flag_predicatesEE10hipError_tPvRmT2_T3_T4_T5_mT6_T7_P12ihipStream_tbENKUlT_T0_E_clISt17integral_constantIbLb0EESX_IbLb1EEEEDaST_SU_EUlST_E_NS1_11comp_targetILNS1_3genE3ELNS1_11target_archE908ELNS1_3gpuE7ELNS1_3repE0EEENS1_30default_config_static_selectorELNS0_4arch9wavefront6targetE0EEEvT1_.uses_vcc, 0
	.set _ZN7rocprim17ROCPRIM_400000_NS6detail17trampoline_kernelINS0_14default_configENS1_27scan_by_key_config_selectorIssEEZZNS1_16scan_by_key_implILNS1_25lookback_scan_determinismE0ELb1ES3_N6thrust23THRUST_200600_302600_NS6detail15normal_iteratorINS9_10device_ptrIsEEEESE_SE_sNS9_4plusIsEE19head_flag_predicatesEE10hipError_tPvRmT2_T3_T4_T5_mT6_T7_P12ihipStream_tbENKUlT_T0_E_clISt17integral_constantIbLb0EESX_IbLb1EEEEDaST_SU_EUlST_E_NS1_11comp_targetILNS1_3genE3ELNS1_11target_archE908ELNS1_3gpuE7ELNS1_3repE0EEENS1_30default_config_static_selectorELNS0_4arch9wavefront6targetE0EEEvT1_.uses_flat_scratch, 0
	.set _ZN7rocprim17ROCPRIM_400000_NS6detail17trampoline_kernelINS0_14default_configENS1_27scan_by_key_config_selectorIssEEZZNS1_16scan_by_key_implILNS1_25lookback_scan_determinismE0ELb1ES3_N6thrust23THRUST_200600_302600_NS6detail15normal_iteratorINS9_10device_ptrIsEEEESE_SE_sNS9_4plusIsEE19head_flag_predicatesEE10hipError_tPvRmT2_T3_T4_T5_mT6_T7_P12ihipStream_tbENKUlT_T0_E_clISt17integral_constantIbLb0EESX_IbLb1EEEEDaST_SU_EUlST_E_NS1_11comp_targetILNS1_3genE3ELNS1_11target_archE908ELNS1_3gpuE7ELNS1_3repE0EEENS1_30default_config_static_selectorELNS0_4arch9wavefront6targetE0EEEvT1_.has_dyn_sized_stack, 0
	.set _ZN7rocprim17ROCPRIM_400000_NS6detail17trampoline_kernelINS0_14default_configENS1_27scan_by_key_config_selectorIssEEZZNS1_16scan_by_key_implILNS1_25lookback_scan_determinismE0ELb1ES3_N6thrust23THRUST_200600_302600_NS6detail15normal_iteratorINS9_10device_ptrIsEEEESE_SE_sNS9_4plusIsEE19head_flag_predicatesEE10hipError_tPvRmT2_T3_T4_T5_mT6_T7_P12ihipStream_tbENKUlT_T0_E_clISt17integral_constantIbLb0EESX_IbLb1EEEEDaST_SU_EUlST_E_NS1_11comp_targetILNS1_3genE3ELNS1_11target_archE908ELNS1_3gpuE7ELNS1_3repE0EEENS1_30default_config_static_selectorELNS0_4arch9wavefront6targetE0EEEvT1_.has_recursion, 0
	.set _ZN7rocprim17ROCPRIM_400000_NS6detail17trampoline_kernelINS0_14default_configENS1_27scan_by_key_config_selectorIssEEZZNS1_16scan_by_key_implILNS1_25lookback_scan_determinismE0ELb1ES3_N6thrust23THRUST_200600_302600_NS6detail15normal_iteratorINS9_10device_ptrIsEEEESE_SE_sNS9_4plusIsEE19head_flag_predicatesEE10hipError_tPvRmT2_T3_T4_T5_mT6_T7_P12ihipStream_tbENKUlT_T0_E_clISt17integral_constantIbLb0EESX_IbLb1EEEEDaST_SU_EUlST_E_NS1_11comp_targetILNS1_3genE3ELNS1_11target_archE908ELNS1_3gpuE7ELNS1_3repE0EEENS1_30default_config_static_selectorELNS0_4arch9wavefront6targetE0EEEvT1_.has_indirect_call, 0
	.section	.AMDGPU.csdata,"",@progbits
; Kernel info:
; codeLenInByte = 0
; TotalNumSgprs: 0
; NumVgprs: 0
; ScratchSize: 0
; MemoryBound: 0
; FloatMode: 240
; IeeeMode: 1
; LDSByteSize: 0 bytes/workgroup (compile time only)
; SGPRBlocks: 0
; VGPRBlocks: 0
; NumSGPRsForWavesPerEU: 1
; NumVGPRsForWavesPerEU: 1
; NamedBarCnt: 0
; Occupancy: 16
; WaveLimiterHint : 0
; COMPUTE_PGM_RSRC2:SCRATCH_EN: 0
; COMPUTE_PGM_RSRC2:USER_SGPR: 2
; COMPUTE_PGM_RSRC2:TRAP_HANDLER: 0
; COMPUTE_PGM_RSRC2:TGID_X_EN: 1
; COMPUTE_PGM_RSRC2:TGID_Y_EN: 0
; COMPUTE_PGM_RSRC2:TGID_Z_EN: 0
; COMPUTE_PGM_RSRC2:TIDIG_COMP_CNT: 0
	.section	.text._ZN7rocprim17ROCPRIM_400000_NS6detail17trampoline_kernelINS0_14default_configENS1_27scan_by_key_config_selectorIssEEZZNS1_16scan_by_key_implILNS1_25lookback_scan_determinismE0ELb1ES3_N6thrust23THRUST_200600_302600_NS6detail15normal_iteratorINS9_10device_ptrIsEEEESE_SE_sNS9_4plusIsEE19head_flag_predicatesEE10hipError_tPvRmT2_T3_T4_T5_mT6_T7_P12ihipStream_tbENKUlT_T0_E_clISt17integral_constantIbLb0EESX_IbLb1EEEEDaST_SU_EUlST_E_NS1_11comp_targetILNS1_3genE2ELNS1_11target_archE906ELNS1_3gpuE6ELNS1_3repE0EEENS1_30default_config_static_selectorELNS0_4arch9wavefront6targetE0EEEvT1_,"axG",@progbits,_ZN7rocprim17ROCPRIM_400000_NS6detail17trampoline_kernelINS0_14default_configENS1_27scan_by_key_config_selectorIssEEZZNS1_16scan_by_key_implILNS1_25lookback_scan_determinismE0ELb1ES3_N6thrust23THRUST_200600_302600_NS6detail15normal_iteratorINS9_10device_ptrIsEEEESE_SE_sNS9_4plusIsEE19head_flag_predicatesEE10hipError_tPvRmT2_T3_T4_T5_mT6_T7_P12ihipStream_tbENKUlT_T0_E_clISt17integral_constantIbLb0EESX_IbLb1EEEEDaST_SU_EUlST_E_NS1_11comp_targetILNS1_3genE2ELNS1_11target_archE906ELNS1_3gpuE6ELNS1_3repE0EEENS1_30default_config_static_selectorELNS0_4arch9wavefront6targetE0EEEvT1_,comdat
	.protected	_ZN7rocprim17ROCPRIM_400000_NS6detail17trampoline_kernelINS0_14default_configENS1_27scan_by_key_config_selectorIssEEZZNS1_16scan_by_key_implILNS1_25lookback_scan_determinismE0ELb1ES3_N6thrust23THRUST_200600_302600_NS6detail15normal_iteratorINS9_10device_ptrIsEEEESE_SE_sNS9_4plusIsEE19head_flag_predicatesEE10hipError_tPvRmT2_T3_T4_T5_mT6_T7_P12ihipStream_tbENKUlT_T0_E_clISt17integral_constantIbLb0EESX_IbLb1EEEEDaST_SU_EUlST_E_NS1_11comp_targetILNS1_3genE2ELNS1_11target_archE906ELNS1_3gpuE6ELNS1_3repE0EEENS1_30default_config_static_selectorELNS0_4arch9wavefront6targetE0EEEvT1_ ; -- Begin function _ZN7rocprim17ROCPRIM_400000_NS6detail17trampoline_kernelINS0_14default_configENS1_27scan_by_key_config_selectorIssEEZZNS1_16scan_by_key_implILNS1_25lookback_scan_determinismE0ELb1ES3_N6thrust23THRUST_200600_302600_NS6detail15normal_iteratorINS9_10device_ptrIsEEEESE_SE_sNS9_4plusIsEE19head_flag_predicatesEE10hipError_tPvRmT2_T3_T4_T5_mT6_T7_P12ihipStream_tbENKUlT_T0_E_clISt17integral_constantIbLb0EESX_IbLb1EEEEDaST_SU_EUlST_E_NS1_11comp_targetILNS1_3genE2ELNS1_11target_archE906ELNS1_3gpuE6ELNS1_3repE0EEENS1_30default_config_static_selectorELNS0_4arch9wavefront6targetE0EEEvT1_
	.globl	_ZN7rocprim17ROCPRIM_400000_NS6detail17trampoline_kernelINS0_14default_configENS1_27scan_by_key_config_selectorIssEEZZNS1_16scan_by_key_implILNS1_25lookback_scan_determinismE0ELb1ES3_N6thrust23THRUST_200600_302600_NS6detail15normal_iteratorINS9_10device_ptrIsEEEESE_SE_sNS9_4plusIsEE19head_flag_predicatesEE10hipError_tPvRmT2_T3_T4_T5_mT6_T7_P12ihipStream_tbENKUlT_T0_E_clISt17integral_constantIbLb0EESX_IbLb1EEEEDaST_SU_EUlST_E_NS1_11comp_targetILNS1_3genE2ELNS1_11target_archE906ELNS1_3gpuE6ELNS1_3repE0EEENS1_30default_config_static_selectorELNS0_4arch9wavefront6targetE0EEEvT1_
	.p2align	8
	.type	_ZN7rocprim17ROCPRIM_400000_NS6detail17trampoline_kernelINS0_14default_configENS1_27scan_by_key_config_selectorIssEEZZNS1_16scan_by_key_implILNS1_25lookback_scan_determinismE0ELb1ES3_N6thrust23THRUST_200600_302600_NS6detail15normal_iteratorINS9_10device_ptrIsEEEESE_SE_sNS9_4plusIsEE19head_flag_predicatesEE10hipError_tPvRmT2_T3_T4_T5_mT6_T7_P12ihipStream_tbENKUlT_T0_E_clISt17integral_constantIbLb0EESX_IbLb1EEEEDaST_SU_EUlST_E_NS1_11comp_targetILNS1_3genE2ELNS1_11target_archE906ELNS1_3gpuE6ELNS1_3repE0EEENS1_30default_config_static_selectorELNS0_4arch9wavefront6targetE0EEEvT1_,@function
_ZN7rocprim17ROCPRIM_400000_NS6detail17trampoline_kernelINS0_14default_configENS1_27scan_by_key_config_selectorIssEEZZNS1_16scan_by_key_implILNS1_25lookback_scan_determinismE0ELb1ES3_N6thrust23THRUST_200600_302600_NS6detail15normal_iteratorINS9_10device_ptrIsEEEESE_SE_sNS9_4plusIsEE19head_flag_predicatesEE10hipError_tPvRmT2_T3_T4_T5_mT6_T7_P12ihipStream_tbENKUlT_T0_E_clISt17integral_constantIbLb0EESX_IbLb1EEEEDaST_SU_EUlST_E_NS1_11comp_targetILNS1_3genE2ELNS1_11target_archE906ELNS1_3gpuE6ELNS1_3repE0EEENS1_30default_config_static_selectorELNS0_4arch9wavefront6targetE0EEEvT1_: ; @_ZN7rocprim17ROCPRIM_400000_NS6detail17trampoline_kernelINS0_14default_configENS1_27scan_by_key_config_selectorIssEEZZNS1_16scan_by_key_implILNS1_25lookback_scan_determinismE0ELb1ES3_N6thrust23THRUST_200600_302600_NS6detail15normal_iteratorINS9_10device_ptrIsEEEESE_SE_sNS9_4plusIsEE19head_flag_predicatesEE10hipError_tPvRmT2_T3_T4_T5_mT6_T7_P12ihipStream_tbENKUlT_T0_E_clISt17integral_constantIbLb0EESX_IbLb1EEEEDaST_SU_EUlST_E_NS1_11comp_targetILNS1_3genE2ELNS1_11target_archE906ELNS1_3gpuE6ELNS1_3repE0EEENS1_30default_config_static_selectorELNS0_4arch9wavefront6targetE0EEEvT1_
; %bb.0:
	.section	.rodata,"a",@progbits
	.p2align	6, 0x0
	.amdhsa_kernel _ZN7rocprim17ROCPRIM_400000_NS6detail17trampoline_kernelINS0_14default_configENS1_27scan_by_key_config_selectorIssEEZZNS1_16scan_by_key_implILNS1_25lookback_scan_determinismE0ELb1ES3_N6thrust23THRUST_200600_302600_NS6detail15normal_iteratorINS9_10device_ptrIsEEEESE_SE_sNS9_4plusIsEE19head_flag_predicatesEE10hipError_tPvRmT2_T3_T4_T5_mT6_T7_P12ihipStream_tbENKUlT_T0_E_clISt17integral_constantIbLb0EESX_IbLb1EEEEDaST_SU_EUlST_E_NS1_11comp_targetILNS1_3genE2ELNS1_11target_archE906ELNS1_3gpuE6ELNS1_3repE0EEENS1_30default_config_static_selectorELNS0_4arch9wavefront6targetE0EEEvT1_
		.amdhsa_group_segment_fixed_size 0
		.amdhsa_private_segment_fixed_size 0
		.amdhsa_kernarg_size 112
		.amdhsa_user_sgpr_count 2
		.amdhsa_user_sgpr_dispatch_ptr 0
		.amdhsa_user_sgpr_queue_ptr 0
		.amdhsa_user_sgpr_kernarg_segment_ptr 1
		.amdhsa_user_sgpr_dispatch_id 0
		.amdhsa_user_sgpr_kernarg_preload_length 0
		.amdhsa_user_sgpr_kernarg_preload_offset 0
		.amdhsa_user_sgpr_private_segment_size 0
		.amdhsa_wavefront_size32 1
		.amdhsa_uses_dynamic_stack 0
		.amdhsa_enable_private_segment 0
		.amdhsa_system_sgpr_workgroup_id_x 1
		.amdhsa_system_sgpr_workgroup_id_y 0
		.amdhsa_system_sgpr_workgroup_id_z 0
		.amdhsa_system_sgpr_workgroup_info 0
		.amdhsa_system_vgpr_workitem_id 0
		.amdhsa_next_free_vgpr 1
		.amdhsa_next_free_sgpr 1
		.amdhsa_named_barrier_count 0
		.amdhsa_reserve_vcc 0
		.amdhsa_float_round_mode_32 0
		.amdhsa_float_round_mode_16_64 0
		.amdhsa_float_denorm_mode_32 3
		.amdhsa_float_denorm_mode_16_64 3
		.amdhsa_fp16_overflow 0
		.amdhsa_memory_ordered 1
		.amdhsa_forward_progress 1
		.amdhsa_inst_pref_size 0
		.amdhsa_round_robin_scheduling 0
		.amdhsa_exception_fp_ieee_invalid_op 0
		.amdhsa_exception_fp_denorm_src 0
		.amdhsa_exception_fp_ieee_div_zero 0
		.amdhsa_exception_fp_ieee_overflow 0
		.amdhsa_exception_fp_ieee_underflow 0
		.amdhsa_exception_fp_ieee_inexact 0
		.amdhsa_exception_int_div_zero 0
	.end_amdhsa_kernel
	.section	.text._ZN7rocprim17ROCPRIM_400000_NS6detail17trampoline_kernelINS0_14default_configENS1_27scan_by_key_config_selectorIssEEZZNS1_16scan_by_key_implILNS1_25lookback_scan_determinismE0ELb1ES3_N6thrust23THRUST_200600_302600_NS6detail15normal_iteratorINS9_10device_ptrIsEEEESE_SE_sNS9_4plusIsEE19head_flag_predicatesEE10hipError_tPvRmT2_T3_T4_T5_mT6_T7_P12ihipStream_tbENKUlT_T0_E_clISt17integral_constantIbLb0EESX_IbLb1EEEEDaST_SU_EUlST_E_NS1_11comp_targetILNS1_3genE2ELNS1_11target_archE906ELNS1_3gpuE6ELNS1_3repE0EEENS1_30default_config_static_selectorELNS0_4arch9wavefront6targetE0EEEvT1_,"axG",@progbits,_ZN7rocprim17ROCPRIM_400000_NS6detail17trampoline_kernelINS0_14default_configENS1_27scan_by_key_config_selectorIssEEZZNS1_16scan_by_key_implILNS1_25lookback_scan_determinismE0ELb1ES3_N6thrust23THRUST_200600_302600_NS6detail15normal_iteratorINS9_10device_ptrIsEEEESE_SE_sNS9_4plusIsEE19head_flag_predicatesEE10hipError_tPvRmT2_T3_T4_T5_mT6_T7_P12ihipStream_tbENKUlT_T0_E_clISt17integral_constantIbLb0EESX_IbLb1EEEEDaST_SU_EUlST_E_NS1_11comp_targetILNS1_3genE2ELNS1_11target_archE906ELNS1_3gpuE6ELNS1_3repE0EEENS1_30default_config_static_selectorELNS0_4arch9wavefront6targetE0EEEvT1_,comdat
.Lfunc_end889:
	.size	_ZN7rocprim17ROCPRIM_400000_NS6detail17trampoline_kernelINS0_14default_configENS1_27scan_by_key_config_selectorIssEEZZNS1_16scan_by_key_implILNS1_25lookback_scan_determinismE0ELb1ES3_N6thrust23THRUST_200600_302600_NS6detail15normal_iteratorINS9_10device_ptrIsEEEESE_SE_sNS9_4plusIsEE19head_flag_predicatesEE10hipError_tPvRmT2_T3_T4_T5_mT6_T7_P12ihipStream_tbENKUlT_T0_E_clISt17integral_constantIbLb0EESX_IbLb1EEEEDaST_SU_EUlST_E_NS1_11comp_targetILNS1_3genE2ELNS1_11target_archE906ELNS1_3gpuE6ELNS1_3repE0EEENS1_30default_config_static_selectorELNS0_4arch9wavefront6targetE0EEEvT1_, .Lfunc_end889-_ZN7rocprim17ROCPRIM_400000_NS6detail17trampoline_kernelINS0_14default_configENS1_27scan_by_key_config_selectorIssEEZZNS1_16scan_by_key_implILNS1_25lookback_scan_determinismE0ELb1ES3_N6thrust23THRUST_200600_302600_NS6detail15normal_iteratorINS9_10device_ptrIsEEEESE_SE_sNS9_4plusIsEE19head_flag_predicatesEE10hipError_tPvRmT2_T3_T4_T5_mT6_T7_P12ihipStream_tbENKUlT_T0_E_clISt17integral_constantIbLb0EESX_IbLb1EEEEDaST_SU_EUlST_E_NS1_11comp_targetILNS1_3genE2ELNS1_11target_archE906ELNS1_3gpuE6ELNS1_3repE0EEENS1_30default_config_static_selectorELNS0_4arch9wavefront6targetE0EEEvT1_
                                        ; -- End function
	.set _ZN7rocprim17ROCPRIM_400000_NS6detail17trampoline_kernelINS0_14default_configENS1_27scan_by_key_config_selectorIssEEZZNS1_16scan_by_key_implILNS1_25lookback_scan_determinismE0ELb1ES3_N6thrust23THRUST_200600_302600_NS6detail15normal_iteratorINS9_10device_ptrIsEEEESE_SE_sNS9_4plusIsEE19head_flag_predicatesEE10hipError_tPvRmT2_T3_T4_T5_mT6_T7_P12ihipStream_tbENKUlT_T0_E_clISt17integral_constantIbLb0EESX_IbLb1EEEEDaST_SU_EUlST_E_NS1_11comp_targetILNS1_3genE2ELNS1_11target_archE906ELNS1_3gpuE6ELNS1_3repE0EEENS1_30default_config_static_selectorELNS0_4arch9wavefront6targetE0EEEvT1_.num_vgpr, 0
	.set _ZN7rocprim17ROCPRIM_400000_NS6detail17trampoline_kernelINS0_14default_configENS1_27scan_by_key_config_selectorIssEEZZNS1_16scan_by_key_implILNS1_25lookback_scan_determinismE0ELb1ES3_N6thrust23THRUST_200600_302600_NS6detail15normal_iteratorINS9_10device_ptrIsEEEESE_SE_sNS9_4plusIsEE19head_flag_predicatesEE10hipError_tPvRmT2_T3_T4_T5_mT6_T7_P12ihipStream_tbENKUlT_T0_E_clISt17integral_constantIbLb0EESX_IbLb1EEEEDaST_SU_EUlST_E_NS1_11comp_targetILNS1_3genE2ELNS1_11target_archE906ELNS1_3gpuE6ELNS1_3repE0EEENS1_30default_config_static_selectorELNS0_4arch9wavefront6targetE0EEEvT1_.num_agpr, 0
	.set _ZN7rocprim17ROCPRIM_400000_NS6detail17trampoline_kernelINS0_14default_configENS1_27scan_by_key_config_selectorIssEEZZNS1_16scan_by_key_implILNS1_25lookback_scan_determinismE0ELb1ES3_N6thrust23THRUST_200600_302600_NS6detail15normal_iteratorINS9_10device_ptrIsEEEESE_SE_sNS9_4plusIsEE19head_flag_predicatesEE10hipError_tPvRmT2_T3_T4_T5_mT6_T7_P12ihipStream_tbENKUlT_T0_E_clISt17integral_constantIbLb0EESX_IbLb1EEEEDaST_SU_EUlST_E_NS1_11comp_targetILNS1_3genE2ELNS1_11target_archE906ELNS1_3gpuE6ELNS1_3repE0EEENS1_30default_config_static_selectorELNS0_4arch9wavefront6targetE0EEEvT1_.numbered_sgpr, 0
	.set _ZN7rocprim17ROCPRIM_400000_NS6detail17trampoline_kernelINS0_14default_configENS1_27scan_by_key_config_selectorIssEEZZNS1_16scan_by_key_implILNS1_25lookback_scan_determinismE0ELb1ES3_N6thrust23THRUST_200600_302600_NS6detail15normal_iteratorINS9_10device_ptrIsEEEESE_SE_sNS9_4plusIsEE19head_flag_predicatesEE10hipError_tPvRmT2_T3_T4_T5_mT6_T7_P12ihipStream_tbENKUlT_T0_E_clISt17integral_constantIbLb0EESX_IbLb1EEEEDaST_SU_EUlST_E_NS1_11comp_targetILNS1_3genE2ELNS1_11target_archE906ELNS1_3gpuE6ELNS1_3repE0EEENS1_30default_config_static_selectorELNS0_4arch9wavefront6targetE0EEEvT1_.num_named_barrier, 0
	.set _ZN7rocprim17ROCPRIM_400000_NS6detail17trampoline_kernelINS0_14default_configENS1_27scan_by_key_config_selectorIssEEZZNS1_16scan_by_key_implILNS1_25lookback_scan_determinismE0ELb1ES3_N6thrust23THRUST_200600_302600_NS6detail15normal_iteratorINS9_10device_ptrIsEEEESE_SE_sNS9_4plusIsEE19head_flag_predicatesEE10hipError_tPvRmT2_T3_T4_T5_mT6_T7_P12ihipStream_tbENKUlT_T0_E_clISt17integral_constantIbLb0EESX_IbLb1EEEEDaST_SU_EUlST_E_NS1_11comp_targetILNS1_3genE2ELNS1_11target_archE906ELNS1_3gpuE6ELNS1_3repE0EEENS1_30default_config_static_selectorELNS0_4arch9wavefront6targetE0EEEvT1_.private_seg_size, 0
	.set _ZN7rocprim17ROCPRIM_400000_NS6detail17trampoline_kernelINS0_14default_configENS1_27scan_by_key_config_selectorIssEEZZNS1_16scan_by_key_implILNS1_25lookback_scan_determinismE0ELb1ES3_N6thrust23THRUST_200600_302600_NS6detail15normal_iteratorINS9_10device_ptrIsEEEESE_SE_sNS9_4plusIsEE19head_flag_predicatesEE10hipError_tPvRmT2_T3_T4_T5_mT6_T7_P12ihipStream_tbENKUlT_T0_E_clISt17integral_constantIbLb0EESX_IbLb1EEEEDaST_SU_EUlST_E_NS1_11comp_targetILNS1_3genE2ELNS1_11target_archE906ELNS1_3gpuE6ELNS1_3repE0EEENS1_30default_config_static_selectorELNS0_4arch9wavefront6targetE0EEEvT1_.uses_vcc, 0
	.set _ZN7rocprim17ROCPRIM_400000_NS6detail17trampoline_kernelINS0_14default_configENS1_27scan_by_key_config_selectorIssEEZZNS1_16scan_by_key_implILNS1_25lookback_scan_determinismE0ELb1ES3_N6thrust23THRUST_200600_302600_NS6detail15normal_iteratorINS9_10device_ptrIsEEEESE_SE_sNS9_4plusIsEE19head_flag_predicatesEE10hipError_tPvRmT2_T3_T4_T5_mT6_T7_P12ihipStream_tbENKUlT_T0_E_clISt17integral_constantIbLb0EESX_IbLb1EEEEDaST_SU_EUlST_E_NS1_11comp_targetILNS1_3genE2ELNS1_11target_archE906ELNS1_3gpuE6ELNS1_3repE0EEENS1_30default_config_static_selectorELNS0_4arch9wavefront6targetE0EEEvT1_.uses_flat_scratch, 0
	.set _ZN7rocprim17ROCPRIM_400000_NS6detail17trampoline_kernelINS0_14default_configENS1_27scan_by_key_config_selectorIssEEZZNS1_16scan_by_key_implILNS1_25lookback_scan_determinismE0ELb1ES3_N6thrust23THRUST_200600_302600_NS6detail15normal_iteratorINS9_10device_ptrIsEEEESE_SE_sNS9_4plusIsEE19head_flag_predicatesEE10hipError_tPvRmT2_T3_T4_T5_mT6_T7_P12ihipStream_tbENKUlT_T0_E_clISt17integral_constantIbLb0EESX_IbLb1EEEEDaST_SU_EUlST_E_NS1_11comp_targetILNS1_3genE2ELNS1_11target_archE906ELNS1_3gpuE6ELNS1_3repE0EEENS1_30default_config_static_selectorELNS0_4arch9wavefront6targetE0EEEvT1_.has_dyn_sized_stack, 0
	.set _ZN7rocprim17ROCPRIM_400000_NS6detail17trampoline_kernelINS0_14default_configENS1_27scan_by_key_config_selectorIssEEZZNS1_16scan_by_key_implILNS1_25lookback_scan_determinismE0ELb1ES3_N6thrust23THRUST_200600_302600_NS6detail15normal_iteratorINS9_10device_ptrIsEEEESE_SE_sNS9_4plusIsEE19head_flag_predicatesEE10hipError_tPvRmT2_T3_T4_T5_mT6_T7_P12ihipStream_tbENKUlT_T0_E_clISt17integral_constantIbLb0EESX_IbLb1EEEEDaST_SU_EUlST_E_NS1_11comp_targetILNS1_3genE2ELNS1_11target_archE906ELNS1_3gpuE6ELNS1_3repE0EEENS1_30default_config_static_selectorELNS0_4arch9wavefront6targetE0EEEvT1_.has_recursion, 0
	.set _ZN7rocprim17ROCPRIM_400000_NS6detail17trampoline_kernelINS0_14default_configENS1_27scan_by_key_config_selectorIssEEZZNS1_16scan_by_key_implILNS1_25lookback_scan_determinismE0ELb1ES3_N6thrust23THRUST_200600_302600_NS6detail15normal_iteratorINS9_10device_ptrIsEEEESE_SE_sNS9_4plusIsEE19head_flag_predicatesEE10hipError_tPvRmT2_T3_T4_T5_mT6_T7_P12ihipStream_tbENKUlT_T0_E_clISt17integral_constantIbLb0EESX_IbLb1EEEEDaST_SU_EUlST_E_NS1_11comp_targetILNS1_3genE2ELNS1_11target_archE906ELNS1_3gpuE6ELNS1_3repE0EEENS1_30default_config_static_selectorELNS0_4arch9wavefront6targetE0EEEvT1_.has_indirect_call, 0
	.section	.AMDGPU.csdata,"",@progbits
; Kernel info:
; codeLenInByte = 0
; TotalNumSgprs: 0
; NumVgprs: 0
; ScratchSize: 0
; MemoryBound: 0
; FloatMode: 240
; IeeeMode: 1
; LDSByteSize: 0 bytes/workgroup (compile time only)
; SGPRBlocks: 0
; VGPRBlocks: 0
; NumSGPRsForWavesPerEU: 1
; NumVGPRsForWavesPerEU: 1
; NamedBarCnt: 0
; Occupancy: 16
; WaveLimiterHint : 0
; COMPUTE_PGM_RSRC2:SCRATCH_EN: 0
; COMPUTE_PGM_RSRC2:USER_SGPR: 2
; COMPUTE_PGM_RSRC2:TRAP_HANDLER: 0
; COMPUTE_PGM_RSRC2:TGID_X_EN: 1
; COMPUTE_PGM_RSRC2:TGID_Y_EN: 0
; COMPUTE_PGM_RSRC2:TGID_Z_EN: 0
; COMPUTE_PGM_RSRC2:TIDIG_COMP_CNT: 0
	.section	.text._ZN7rocprim17ROCPRIM_400000_NS6detail17trampoline_kernelINS0_14default_configENS1_27scan_by_key_config_selectorIssEEZZNS1_16scan_by_key_implILNS1_25lookback_scan_determinismE0ELb1ES3_N6thrust23THRUST_200600_302600_NS6detail15normal_iteratorINS9_10device_ptrIsEEEESE_SE_sNS9_4plusIsEE19head_flag_predicatesEE10hipError_tPvRmT2_T3_T4_T5_mT6_T7_P12ihipStream_tbENKUlT_T0_E_clISt17integral_constantIbLb0EESX_IbLb1EEEEDaST_SU_EUlST_E_NS1_11comp_targetILNS1_3genE10ELNS1_11target_archE1200ELNS1_3gpuE4ELNS1_3repE0EEENS1_30default_config_static_selectorELNS0_4arch9wavefront6targetE0EEEvT1_,"axG",@progbits,_ZN7rocprim17ROCPRIM_400000_NS6detail17trampoline_kernelINS0_14default_configENS1_27scan_by_key_config_selectorIssEEZZNS1_16scan_by_key_implILNS1_25lookback_scan_determinismE0ELb1ES3_N6thrust23THRUST_200600_302600_NS6detail15normal_iteratorINS9_10device_ptrIsEEEESE_SE_sNS9_4plusIsEE19head_flag_predicatesEE10hipError_tPvRmT2_T3_T4_T5_mT6_T7_P12ihipStream_tbENKUlT_T0_E_clISt17integral_constantIbLb0EESX_IbLb1EEEEDaST_SU_EUlST_E_NS1_11comp_targetILNS1_3genE10ELNS1_11target_archE1200ELNS1_3gpuE4ELNS1_3repE0EEENS1_30default_config_static_selectorELNS0_4arch9wavefront6targetE0EEEvT1_,comdat
	.protected	_ZN7rocprim17ROCPRIM_400000_NS6detail17trampoline_kernelINS0_14default_configENS1_27scan_by_key_config_selectorIssEEZZNS1_16scan_by_key_implILNS1_25lookback_scan_determinismE0ELb1ES3_N6thrust23THRUST_200600_302600_NS6detail15normal_iteratorINS9_10device_ptrIsEEEESE_SE_sNS9_4plusIsEE19head_flag_predicatesEE10hipError_tPvRmT2_T3_T4_T5_mT6_T7_P12ihipStream_tbENKUlT_T0_E_clISt17integral_constantIbLb0EESX_IbLb1EEEEDaST_SU_EUlST_E_NS1_11comp_targetILNS1_3genE10ELNS1_11target_archE1200ELNS1_3gpuE4ELNS1_3repE0EEENS1_30default_config_static_selectorELNS0_4arch9wavefront6targetE0EEEvT1_ ; -- Begin function _ZN7rocprim17ROCPRIM_400000_NS6detail17trampoline_kernelINS0_14default_configENS1_27scan_by_key_config_selectorIssEEZZNS1_16scan_by_key_implILNS1_25lookback_scan_determinismE0ELb1ES3_N6thrust23THRUST_200600_302600_NS6detail15normal_iteratorINS9_10device_ptrIsEEEESE_SE_sNS9_4plusIsEE19head_flag_predicatesEE10hipError_tPvRmT2_T3_T4_T5_mT6_T7_P12ihipStream_tbENKUlT_T0_E_clISt17integral_constantIbLb0EESX_IbLb1EEEEDaST_SU_EUlST_E_NS1_11comp_targetILNS1_3genE10ELNS1_11target_archE1200ELNS1_3gpuE4ELNS1_3repE0EEENS1_30default_config_static_selectorELNS0_4arch9wavefront6targetE0EEEvT1_
	.globl	_ZN7rocprim17ROCPRIM_400000_NS6detail17trampoline_kernelINS0_14default_configENS1_27scan_by_key_config_selectorIssEEZZNS1_16scan_by_key_implILNS1_25lookback_scan_determinismE0ELb1ES3_N6thrust23THRUST_200600_302600_NS6detail15normal_iteratorINS9_10device_ptrIsEEEESE_SE_sNS9_4plusIsEE19head_flag_predicatesEE10hipError_tPvRmT2_T3_T4_T5_mT6_T7_P12ihipStream_tbENKUlT_T0_E_clISt17integral_constantIbLb0EESX_IbLb1EEEEDaST_SU_EUlST_E_NS1_11comp_targetILNS1_3genE10ELNS1_11target_archE1200ELNS1_3gpuE4ELNS1_3repE0EEENS1_30default_config_static_selectorELNS0_4arch9wavefront6targetE0EEEvT1_
	.p2align	8
	.type	_ZN7rocprim17ROCPRIM_400000_NS6detail17trampoline_kernelINS0_14default_configENS1_27scan_by_key_config_selectorIssEEZZNS1_16scan_by_key_implILNS1_25lookback_scan_determinismE0ELb1ES3_N6thrust23THRUST_200600_302600_NS6detail15normal_iteratorINS9_10device_ptrIsEEEESE_SE_sNS9_4plusIsEE19head_flag_predicatesEE10hipError_tPvRmT2_T3_T4_T5_mT6_T7_P12ihipStream_tbENKUlT_T0_E_clISt17integral_constantIbLb0EESX_IbLb1EEEEDaST_SU_EUlST_E_NS1_11comp_targetILNS1_3genE10ELNS1_11target_archE1200ELNS1_3gpuE4ELNS1_3repE0EEENS1_30default_config_static_selectorELNS0_4arch9wavefront6targetE0EEEvT1_,@function
_ZN7rocprim17ROCPRIM_400000_NS6detail17trampoline_kernelINS0_14default_configENS1_27scan_by_key_config_selectorIssEEZZNS1_16scan_by_key_implILNS1_25lookback_scan_determinismE0ELb1ES3_N6thrust23THRUST_200600_302600_NS6detail15normal_iteratorINS9_10device_ptrIsEEEESE_SE_sNS9_4plusIsEE19head_flag_predicatesEE10hipError_tPvRmT2_T3_T4_T5_mT6_T7_P12ihipStream_tbENKUlT_T0_E_clISt17integral_constantIbLb0EESX_IbLb1EEEEDaST_SU_EUlST_E_NS1_11comp_targetILNS1_3genE10ELNS1_11target_archE1200ELNS1_3gpuE4ELNS1_3repE0EEENS1_30default_config_static_selectorELNS0_4arch9wavefront6targetE0EEEvT1_: ; @_ZN7rocprim17ROCPRIM_400000_NS6detail17trampoline_kernelINS0_14default_configENS1_27scan_by_key_config_selectorIssEEZZNS1_16scan_by_key_implILNS1_25lookback_scan_determinismE0ELb1ES3_N6thrust23THRUST_200600_302600_NS6detail15normal_iteratorINS9_10device_ptrIsEEEESE_SE_sNS9_4plusIsEE19head_flag_predicatesEE10hipError_tPvRmT2_T3_T4_T5_mT6_T7_P12ihipStream_tbENKUlT_T0_E_clISt17integral_constantIbLb0EESX_IbLb1EEEEDaST_SU_EUlST_E_NS1_11comp_targetILNS1_3genE10ELNS1_11target_archE1200ELNS1_3gpuE4ELNS1_3repE0EEENS1_30default_config_static_selectorELNS0_4arch9wavefront6targetE0EEEvT1_
; %bb.0:
	.section	.rodata,"a",@progbits
	.p2align	6, 0x0
	.amdhsa_kernel _ZN7rocprim17ROCPRIM_400000_NS6detail17trampoline_kernelINS0_14default_configENS1_27scan_by_key_config_selectorIssEEZZNS1_16scan_by_key_implILNS1_25lookback_scan_determinismE0ELb1ES3_N6thrust23THRUST_200600_302600_NS6detail15normal_iteratorINS9_10device_ptrIsEEEESE_SE_sNS9_4plusIsEE19head_flag_predicatesEE10hipError_tPvRmT2_T3_T4_T5_mT6_T7_P12ihipStream_tbENKUlT_T0_E_clISt17integral_constantIbLb0EESX_IbLb1EEEEDaST_SU_EUlST_E_NS1_11comp_targetILNS1_3genE10ELNS1_11target_archE1200ELNS1_3gpuE4ELNS1_3repE0EEENS1_30default_config_static_selectorELNS0_4arch9wavefront6targetE0EEEvT1_
		.amdhsa_group_segment_fixed_size 0
		.amdhsa_private_segment_fixed_size 0
		.amdhsa_kernarg_size 112
		.amdhsa_user_sgpr_count 2
		.amdhsa_user_sgpr_dispatch_ptr 0
		.amdhsa_user_sgpr_queue_ptr 0
		.amdhsa_user_sgpr_kernarg_segment_ptr 1
		.amdhsa_user_sgpr_dispatch_id 0
		.amdhsa_user_sgpr_kernarg_preload_length 0
		.amdhsa_user_sgpr_kernarg_preload_offset 0
		.amdhsa_user_sgpr_private_segment_size 0
		.amdhsa_wavefront_size32 1
		.amdhsa_uses_dynamic_stack 0
		.amdhsa_enable_private_segment 0
		.amdhsa_system_sgpr_workgroup_id_x 1
		.amdhsa_system_sgpr_workgroup_id_y 0
		.amdhsa_system_sgpr_workgroup_id_z 0
		.amdhsa_system_sgpr_workgroup_info 0
		.amdhsa_system_vgpr_workitem_id 0
		.amdhsa_next_free_vgpr 1
		.amdhsa_next_free_sgpr 1
		.amdhsa_named_barrier_count 0
		.amdhsa_reserve_vcc 0
		.amdhsa_float_round_mode_32 0
		.amdhsa_float_round_mode_16_64 0
		.amdhsa_float_denorm_mode_32 3
		.amdhsa_float_denorm_mode_16_64 3
		.amdhsa_fp16_overflow 0
		.amdhsa_memory_ordered 1
		.amdhsa_forward_progress 1
		.amdhsa_inst_pref_size 0
		.amdhsa_round_robin_scheduling 0
		.amdhsa_exception_fp_ieee_invalid_op 0
		.amdhsa_exception_fp_denorm_src 0
		.amdhsa_exception_fp_ieee_div_zero 0
		.amdhsa_exception_fp_ieee_overflow 0
		.amdhsa_exception_fp_ieee_underflow 0
		.amdhsa_exception_fp_ieee_inexact 0
		.amdhsa_exception_int_div_zero 0
	.end_amdhsa_kernel
	.section	.text._ZN7rocprim17ROCPRIM_400000_NS6detail17trampoline_kernelINS0_14default_configENS1_27scan_by_key_config_selectorIssEEZZNS1_16scan_by_key_implILNS1_25lookback_scan_determinismE0ELb1ES3_N6thrust23THRUST_200600_302600_NS6detail15normal_iteratorINS9_10device_ptrIsEEEESE_SE_sNS9_4plusIsEE19head_flag_predicatesEE10hipError_tPvRmT2_T3_T4_T5_mT6_T7_P12ihipStream_tbENKUlT_T0_E_clISt17integral_constantIbLb0EESX_IbLb1EEEEDaST_SU_EUlST_E_NS1_11comp_targetILNS1_3genE10ELNS1_11target_archE1200ELNS1_3gpuE4ELNS1_3repE0EEENS1_30default_config_static_selectorELNS0_4arch9wavefront6targetE0EEEvT1_,"axG",@progbits,_ZN7rocprim17ROCPRIM_400000_NS6detail17trampoline_kernelINS0_14default_configENS1_27scan_by_key_config_selectorIssEEZZNS1_16scan_by_key_implILNS1_25lookback_scan_determinismE0ELb1ES3_N6thrust23THRUST_200600_302600_NS6detail15normal_iteratorINS9_10device_ptrIsEEEESE_SE_sNS9_4plusIsEE19head_flag_predicatesEE10hipError_tPvRmT2_T3_T4_T5_mT6_T7_P12ihipStream_tbENKUlT_T0_E_clISt17integral_constantIbLb0EESX_IbLb1EEEEDaST_SU_EUlST_E_NS1_11comp_targetILNS1_3genE10ELNS1_11target_archE1200ELNS1_3gpuE4ELNS1_3repE0EEENS1_30default_config_static_selectorELNS0_4arch9wavefront6targetE0EEEvT1_,comdat
.Lfunc_end890:
	.size	_ZN7rocprim17ROCPRIM_400000_NS6detail17trampoline_kernelINS0_14default_configENS1_27scan_by_key_config_selectorIssEEZZNS1_16scan_by_key_implILNS1_25lookback_scan_determinismE0ELb1ES3_N6thrust23THRUST_200600_302600_NS6detail15normal_iteratorINS9_10device_ptrIsEEEESE_SE_sNS9_4plusIsEE19head_flag_predicatesEE10hipError_tPvRmT2_T3_T4_T5_mT6_T7_P12ihipStream_tbENKUlT_T0_E_clISt17integral_constantIbLb0EESX_IbLb1EEEEDaST_SU_EUlST_E_NS1_11comp_targetILNS1_3genE10ELNS1_11target_archE1200ELNS1_3gpuE4ELNS1_3repE0EEENS1_30default_config_static_selectorELNS0_4arch9wavefront6targetE0EEEvT1_, .Lfunc_end890-_ZN7rocprim17ROCPRIM_400000_NS6detail17trampoline_kernelINS0_14default_configENS1_27scan_by_key_config_selectorIssEEZZNS1_16scan_by_key_implILNS1_25lookback_scan_determinismE0ELb1ES3_N6thrust23THRUST_200600_302600_NS6detail15normal_iteratorINS9_10device_ptrIsEEEESE_SE_sNS9_4plusIsEE19head_flag_predicatesEE10hipError_tPvRmT2_T3_T4_T5_mT6_T7_P12ihipStream_tbENKUlT_T0_E_clISt17integral_constantIbLb0EESX_IbLb1EEEEDaST_SU_EUlST_E_NS1_11comp_targetILNS1_3genE10ELNS1_11target_archE1200ELNS1_3gpuE4ELNS1_3repE0EEENS1_30default_config_static_selectorELNS0_4arch9wavefront6targetE0EEEvT1_
                                        ; -- End function
	.set _ZN7rocprim17ROCPRIM_400000_NS6detail17trampoline_kernelINS0_14default_configENS1_27scan_by_key_config_selectorIssEEZZNS1_16scan_by_key_implILNS1_25lookback_scan_determinismE0ELb1ES3_N6thrust23THRUST_200600_302600_NS6detail15normal_iteratorINS9_10device_ptrIsEEEESE_SE_sNS9_4plusIsEE19head_flag_predicatesEE10hipError_tPvRmT2_T3_T4_T5_mT6_T7_P12ihipStream_tbENKUlT_T0_E_clISt17integral_constantIbLb0EESX_IbLb1EEEEDaST_SU_EUlST_E_NS1_11comp_targetILNS1_3genE10ELNS1_11target_archE1200ELNS1_3gpuE4ELNS1_3repE0EEENS1_30default_config_static_selectorELNS0_4arch9wavefront6targetE0EEEvT1_.num_vgpr, 0
	.set _ZN7rocprim17ROCPRIM_400000_NS6detail17trampoline_kernelINS0_14default_configENS1_27scan_by_key_config_selectorIssEEZZNS1_16scan_by_key_implILNS1_25lookback_scan_determinismE0ELb1ES3_N6thrust23THRUST_200600_302600_NS6detail15normal_iteratorINS9_10device_ptrIsEEEESE_SE_sNS9_4plusIsEE19head_flag_predicatesEE10hipError_tPvRmT2_T3_T4_T5_mT6_T7_P12ihipStream_tbENKUlT_T0_E_clISt17integral_constantIbLb0EESX_IbLb1EEEEDaST_SU_EUlST_E_NS1_11comp_targetILNS1_3genE10ELNS1_11target_archE1200ELNS1_3gpuE4ELNS1_3repE0EEENS1_30default_config_static_selectorELNS0_4arch9wavefront6targetE0EEEvT1_.num_agpr, 0
	.set _ZN7rocprim17ROCPRIM_400000_NS6detail17trampoline_kernelINS0_14default_configENS1_27scan_by_key_config_selectorIssEEZZNS1_16scan_by_key_implILNS1_25lookback_scan_determinismE0ELb1ES3_N6thrust23THRUST_200600_302600_NS6detail15normal_iteratorINS9_10device_ptrIsEEEESE_SE_sNS9_4plusIsEE19head_flag_predicatesEE10hipError_tPvRmT2_T3_T4_T5_mT6_T7_P12ihipStream_tbENKUlT_T0_E_clISt17integral_constantIbLb0EESX_IbLb1EEEEDaST_SU_EUlST_E_NS1_11comp_targetILNS1_3genE10ELNS1_11target_archE1200ELNS1_3gpuE4ELNS1_3repE0EEENS1_30default_config_static_selectorELNS0_4arch9wavefront6targetE0EEEvT1_.numbered_sgpr, 0
	.set _ZN7rocprim17ROCPRIM_400000_NS6detail17trampoline_kernelINS0_14default_configENS1_27scan_by_key_config_selectorIssEEZZNS1_16scan_by_key_implILNS1_25lookback_scan_determinismE0ELb1ES3_N6thrust23THRUST_200600_302600_NS6detail15normal_iteratorINS9_10device_ptrIsEEEESE_SE_sNS9_4plusIsEE19head_flag_predicatesEE10hipError_tPvRmT2_T3_T4_T5_mT6_T7_P12ihipStream_tbENKUlT_T0_E_clISt17integral_constantIbLb0EESX_IbLb1EEEEDaST_SU_EUlST_E_NS1_11comp_targetILNS1_3genE10ELNS1_11target_archE1200ELNS1_3gpuE4ELNS1_3repE0EEENS1_30default_config_static_selectorELNS0_4arch9wavefront6targetE0EEEvT1_.num_named_barrier, 0
	.set _ZN7rocprim17ROCPRIM_400000_NS6detail17trampoline_kernelINS0_14default_configENS1_27scan_by_key_config_selectorIssEEZZNS1_16scan_by_key_implILNS1_25lookback_scan_determinismE0ELb1ES3_N6thrust23THRUST_200600_302600_NS6detail15normal_iteratorINS9_10device_ptrIsEEEESE_SE_sNS9_4plusIsEE19head_flag_predicatesEE10hipError_tPvRmT2_T3_T4_T5_mT6_T7_P12ihipStream_tbENKUlT_T0_E_clISt17integral_constantIbLb0EESX_IbLb1EEEEDaST_SU_EUlST_E_NS1_11comp_targetILNS1_3genE10ELNS1_11target_archE1200ELNS1_3gpuE4ELNS1_3repE0EEENS1_30default_config_static_selectorELNS0_4arch9wavefront6targetE0EEEvT1_.private_seg_size, 0
	.set _ZN7rocprim17ROCPRIM_400000_NS6detail17trampoline_kernelINS0_14default_configENS1_27scan_by_key_config_selectorIssEEZZNS1_16scan_by_key_implILNS1_25lookback_scan_determinismE0ELb1ES3_N6thrust23THRUST_200600_302600_NS6detail15normal_iteratorINS9_10device_ptrIsEEEESE_SE_sNS9_4plusIsEE19head_flag_predicatesEE10hipError_tPvRmT2_T3_T4_T5_mT6_T7_P12ihipStream_tbENKUlT_T0_E_clISt17integral_constantIbLb0EESX_IbLb1EEEEDaST_SU_EUlST_E_NS1_11comp_targetILNS1_3genE10ELNS1_11target_archE1200ELNS1_3gpuE4ELNS1_3repE0EEENS1_30default_config_static_selectorELNS0_4arch9wavefront6targetE0EEEvT1_.uses_vcc, 0
	.set _ZN7rocprim17ROCPRIM_400000_NS6detail17trampoline_kernelINS0_14default_configENS1_27scan_by_key_config_selectorIssEEZZNS1_16scan_by_key_implILNS1_25lookback_scan_determinismE0ELb1ES3_N6thrust23THRUST_200600_302600_NS6detail15normal_iteratorINS9_10device_ptrIsEEEESE_SE_sNS9_4plusIsEE19head_flag_predicatesEE10hipError_tPvRmT2_T3_T4_T5_mT6_T7_P12ihipStream_tbENKUlT_T0_E_clISt17integral_constantIbLb0EESX_IbLb1EEEEDaST_SU_EUlST_E_NS1_11comp_targetILNS1_3genE10ELNS1_11target_archE1200ELNS1_3gpuE4ELNS1_3repE0EEENS1_30default_config_static_selectorELNS0_4arch9wavefront6targetE0EEEvT1_.uses_flat_scratch, 0
	.set _ZN7rocprim17ROCPRIM_400000_NS6detail17trampoline_kernelINS0_14default_configENS1_27scan_by_key_config_selectorIssEEZZNS1_16scan_by_key_implILNS1_25lookback_scan_determinismE0ELb1ES3_N6thrust23THRUST_200600_302600_NS6detail15normal_iteratorINS9_10device_ptrIsEEEESE_SE_sNS9_4plusIsEE19head_flag_predicatesEE10hipError_tPvRmT2_T3_T4_T5_mT6_T7_P12ihipStream_tbENKUlT_T0_E_clISt17integral_constantIbLb0EESX_IbLb1EEEEDaST_SU_EUlST_E_NS1_11comp_targetILNS1_3genE10ELNS1_11target_archE1200ELNS1_3gpuE4ELNS1_3repE0EEENS1_30default_config_static_selectorELNS0_4arch9wavefront6targetE0EEEvT1_.has_dyn_sized_stack, 0
	.set _ZN7rocprim17ROCPRIM_400000_NS6detail17trampoline_kernelINS0_14default_configENS1_27scan_by_key_config_selectorIssEEZZNS1_16scan_by_key_implILNS1_25lookback_scan_determinismE0ELb1ES3_N6thrust23THRUST_200600_302600_NS6detail15normal_iteratorINS9_10device_ptrIsEEEESE_SE_sNS9_4plusIsEE19head_flag_predicatesEE10hipError_tPvRmT2_T3_T4_T5_mT6_T7_P12ihipStream_tbENKUlT_T0_E_clISt17integral_constantIbLb0EESX_IbLb1EEEEDaST_SU_EUlST_E_NS1_11comp_targetILNS1_3genE10ELNS1_11target_archE1200ELNS1_3gpuE4ELNS1_3repE0EEENS1_30default_config_static_selectorELNS0_4arch9wavefront6targetE0EEEvT1_.has_recursion, 0
	.set _ZN7rocprim17ROCPRIM_400000_NS6detail17trampoline_kernelINS0_14default_configENS1_27scan_by_key_config_selectorIssEEZZNS1_16scan_by_key_implILNS1_25lookback_scan_determinismE0ELb1ES3_N6thrust23THRUST_200600_302600_NS6detail15normal_iteratorINS9_10device_ptrIsEEEESE_SE_sNS9_4plusIsEE19head_flag_predicatesEE10hipError_tPvRmT2_T3_T4_T5_mT6_T7_P12ihipStream_tbENKUlT_T0_E_clISt17integral_constantIbLb0EESX_IbLb1EEEEDaST_SU_EUlST_E_NS1_11comp_targetILNS1_3genE10ELNS1_11target_archE1200ELNS1_3gpuE4ELNS1_3repE0EEENS1_30default_config_static_selectorELNS0_4arch9wavefront6targetE0EEEvT1_.has_indirect_call, 0
	.section	.AMDGPU.csdata,"",@progbits
; Kernel info:
; codeLenInByte = 0
; TotalNumSgprs: 0
; NumVgprs: 0
; ScratchSize: 0
; MemoryBound: 0
; FloatMode: 240
; IeeeMode: 1
; LDSByteSize: 0 bytes/workgroup (compile time only)
; SGPRBlocks: 0
; VGPRBlocks: 0
; NumSGPRsForWavesPerEU: 1
; NumVGPRsForWavesPerEU: 1
; NamedBarCnt: 0
; Occupancy: 16
; WaveLimiterHint : 0
; COMPUTE_PGM_RSRC2:SCRATCH_EN: 0
; COMPUTE_PGM_RSRC2:USER_SGPR: 2
; COMPUTE_PGM_RSRC2:TRAP_HANDLER: 0
; COMPUTE_PGM_RSRC2:TGID_X_EN: 1
; COMPUTE_PGM_RSRC2:TGID_Y_EN: 0
; COMPUTE_PGM_RSRC2:TGID_Z_EN: 0
; COMPUTE_PGM_RSRC2:TIDIG_COMP_CNT: 0
	.section	.text._ZN7rocprim17ROCPRIM_400000_NS6detail17trampoline_kernelINS0_14default_configENS1_27scan_by_key_config_selectorIssEEZZNS1_16scan_by_key_implILNS1_25lookback_scan_determinismE0ELb1ES3_N6thrust23THRUST_200600_302600_NS6detail15normal_iteratorINS9_10device_ptrIsEEEESE_SE_sNS9_4plusIsEE19head_flag_predicatesEE10hipError_tPvRmT2_T3_T4_T5_mT6_T7_P12ihipStream_tbENKUlT_T0_E_clISt17integral_constantIbLb0EESX_IbLb1EEEEDaST_SU_EUlST_E_NS1_11comp_targetILNS1_3genE9ELNS1_11target_archE1100ELNS1_3gpuE3ELNS1_3repE0EEENS1_30default_config_static_selectorELNS0_4arch9wavefront6targetE0EEEvT1_,"axG",@progbits,_ZN7rocprim17ROCPRIM_400000_NS6detail17trampoline_kernelINS0_14default_configENS1_27scan_by_key_config_selectorIssEEZZNS1_16scan_by_key_implILNS1_25lookback_scan_determinismE0ELb1ES3_N6thrust23THRUST_200600_302600_NS6detail15normal_iteratorINS9_10device_ptrIsEEEESE_SE_sNS9_4plusIsEE19head_flag_predicatesEE10hipError_tPvRmT2_T3_T4_T5_mT6_T7_P12ihipStream_tbENKUlT_T0_E_clISt17integral_constantIbLb0EESX_IbLb1EEEEDaST_SU_EUlST_E_NS1_11comp_targetILNS1_3genE9ELNS1_11target_archE1100ELNS1_3gpuE3ELNS1_3repE0EEENS1_30default_config_static_selectorELNS0_4arch9wavefront6targetE0EEEvT1_,comdat
	.protected	_ZN7rocprim17ROCPRIM_400000_NS6detail17trampoline_kernelINS0_14default_configENS1_27scan_by_key_config_selectorIssEEZZNS1_16scan_by_key_implILNS1_25lookback_scan_determinismE0ELb1ES3_N6thrust23THRUST_200600_302600_NS6detail15normal_iteratorINS9_10device_ptrIsEEEESE_SE_sNS9_4plusIsEE19head_flag_predicatesEE10hipError_tPvRmT2_T3_T4_T5_mT6_T7_P12ihipStream_tbENKUlT_T0_E_clISt17integral_constantIbLb0EESX_IbLb1EEEEDaST_SU_EUlST_E_NS1_11comp_targetILNS1_3genE9ELNS1_11target_archE1100ELNS1_3gpuE3ELNS1_3repE0EEENS1_30default_config_static_selectorELNS0_4arch9wavefront6targetE0EEEvT1_ ; -- Begin function _ZN7rocprim17ROCPRIM_400000_NS6detail17trampoline_kernelINS0_14default_configENS1_27scan_by_key_config_selectorIssEEZZNS1_16scan_by_key_implILNS1_25lookback_scan_determinismE0ELb1ES3_N6thrust23THRUST_200600_302600_NS6detail15normal_iteratorINS9_10device_ptrIsEEEESE_SE_sNS9_4plusIsEE19head_flag_predicatesEE10hipError_tPvRmT2_T3_T4_T5_mT6_T7_P12ihipStream_tbENKUlT_T0_E_clISt17integral_constantIbLb0EESX_IbLb1EEEEDaST_SU_EUlST_E_NS1_11comp_targetILNS1_3genE9ELNS1_11target_archE1100ELNS1_3gpuE3ELNS1_3repE0EEENS1_30default_config_static_selectorELNS0_4arch9wavefront6targetE0EEEvT1_
	.globl	_ZN7rocprim17ROCPRIM_400000_NS6detail17trampoline_kernelINS0_14default_configENS1_27scan_by_key_config_selectorIssEEZZNS1_16scan_by_key_implILNS1_25lookback_scan_determinismE0ELb1ES3_N6thrust23THRUST_200600_302600_NS6detail15normal_iteratorINS9_10device_ptrIsEEEESE_SE_sNS9_4plusIsEE19head_flag_predicatesEE10hipError_tPvRmT2_T3_T4_T5_mT6_T7_P12ihipStream_tbENKUlT_T0_E_clISt17integral_constantIbLb0EESX_IbLb1EEEEDaST_SU_EUlST_E_NS1_11comp_targetILNS1_3genE9ELNS1_11target_archE1100ELNS1_3gpuE3ELNS1_3repE0EEENS1_30default_config_static_selectorELNS0_4arch9wavefront6targetE0EEEvT1_
	.p2align	8
	.type	_ZN7rocprim17ROCPRIM_400000_NS6detail17trampoline_kernelINS0_14default_configENS1_27scan_by_key_config_selectorIssEEZZNS1_16scan_by_key_implILNS1_25lookback_scan_determinismE0ELb1ES3_N6thrust23THRUST_200600_302600_NS6detail15normal_iteratorINS9_10device_ptrIsEEEESE_SE_sNS9_4plusIsEE19head_flag_predicatesEE10hipError_tPvRmT2_T3_T4_T5_mT6_T7_P12ihipStream_tbENKUlT_T0_E_clISt17integral_constantIbLb0EESX_IbLb1EEEEDaST_SU_EUlST_E_NS1_11comp_targetILNS1_3genE9ELNS1_11target_archE1100ELNS1_3gpuE3ELNS1_3repE0EEENS1_30default_config_static_selectorELNS0_4arch9wavefront6targetE0EEEvT1_,@function
_ZN7rocprim17ROCPRIM_400000_NS6detail17trampoline_kernelINS0_14default_configENS1_27scan_by_key_config_selectorIssEEZZNS1_16scan_by_key_implILNS1_25lookback_scan_determinismE0ELb1ES3_N6thrust23THRUST_200600_302600_NS6detail15normal_iteratorINS9_10device_ptrIsEEEESE_SE_sNS9_4plusIsEE19head_flag_predicatesEE10hipError_tPvRmT2_T3_T4_T5_mT6_T7_P12ihipStream_tbENKUlT_T0_E_clISt17integral_constantIbLb0EESX_IbLb1EEEEDaST_SU_EUlST_E_NS1_11comp_targetILNS1_3genE9ELNS1_11target_archE1100ELNS1_3gpuE3ELNS1_3repE0EEENS1_30default_config_static_selectorELNS0_4arch9wavefront6targetE0EEEvT1_: ; @_ZN7rocprim17ROCPRIM_400000_NS6detail17trampoline_kernelINS0_14default_configENS1_27scan_by_key_config_selectorIssEEZZNS1_16scan_by_key_implILNS1_25lookback_scan_determinismE0ELb1ES3_N6thrust23THRUST_200600_302600_NS6detail15normal_iteratorINS9_10device_ptrIsEEEESE_SE_sNS9_4plusIsEE19head_flag_predicatesEE10hipError_tPvRmT2_T3_T4_T5_mT6_T7_P12ihipStream_tbENKUlT_T0_E_clISt17integral_constantIbLb0EESX_IbLb1EEEEDaST_SU_EUlST_E_NS1_11comp_targetILNS1_3genE9ELNS1_11target_archE1100ELNS1_3gpuE3ELNS1_3repE0EEENS1_30default_config_static_selectorELNS0_4arch9wavefront6targetE0EEEvT1_
; %bb.0:
	.section	.rodata,"a",@progbits
	.p2align	6, 0x0
	.amdhsa_kernel _ZN7rocprim17ROCPRIM_400000_NS6detail17trampoline_kernelINS0_14default_configENS1_27scan_by_key_config_selectorIssEEZZNS1_16scan_by_key_implILNS1_25lookback_scan_determinismE0ELb1ES3_N6thrust23THRUST_200600_302600_NS6detail15normal_iteratorINS9_10device_ptrIsEEEESE_SE_sNS9_4plusIsEE19head_flag_predicatesEE10hipError_tPvRmT2_T3_T4_T5_mT6_T7_P12ihipStream_tbENKUlT_T0_E_clISt17integral_constantIbLb0EESX_IbLb1EEEEDaST_SU_EUlST_E_NS1_11comp_targetILNS1_3genE9ELNS1_11target_archE1100ELNS1_3gpuE3ELNS1_3repE0EEENS1_30default_config_static_selectorELNS0_4arch9wavefront6targetE0EEEvT1_
		.amdhsa_group_segment_fixed_size 0
		.amdhsa_private_segment_fixed_size 0
		.amdhsa_kernarg_size 112
		.amdhsa_user_sgpr_count 2
		.amdhsa_user_sgpr_dispatch_ptr 0
		.amdhsa_user_sgpr_queue_ptr 0
		.amdhsa_user_sgpr_kernarg_segment_ptr 1
		.amdhsa_user_sgpr_dispatch_id 0
		.amdhsa_user_sgpr_kernarg_preload_length 0
		.amdhsa_user_sgpr_kernarg_preload_offset 0
		.amdhsa_user_sgpr_private_segment_size 0
		.amdhsa_wavefront_size32 1
		.amdhsa_uses_dynamic_stack 0
		.amdhsa_enable_private_segment 0
		.amdhsa_system_sgpr_workgroup_id_x 1
		.amdhsa_system_sgpr_workgroup_id_y 0
		.amdhsa_system_sgpr_workgroup_id_z 0
		.amdhsa_system_sgpr_workgroup_info 0
		.amdhsa_system_vgpr_workitem_id 0
		.amdhsa_next_free_vgpr 1
		.amdhsa_next_free_sgpr 1
		.amdhsa_named_barrier_count 0
		.amdhsa_reserve_vcc 0
		.amdhsa_float_round_mode_32 0
		.amdhsa_float_round_mode_16_64 0
		.amdhsa_float_denorm_mode_32 3
		.amdhsa_float_denorm_mode_16_64 3
		.amdhsa_fp16_overflow 0
		.amdhsa_memory_ordered 1
		.amdhsa_forward_progress 1
		.amdhsa_inst_pref_size 0
		.amdhsa_round_robin_scheduling 0
		.amdhsa_exception_fp_ieee_invalid_op 0
		.amdhsa_exception_fp_denorm_src 0
		.amdhsa_exception_fp_ieee_div_zero 0
		.amdhsa_exception_fp_ieee_overflow 0
		.amdhsa_exception_fp_ieee_underflow 0
		.amdhsa_exception_fp_ieee_inexact 0
		.amdhsa_exception_int_div_zero 0
	.end_amdhsa_kernel
	.section	.text._ZN7rocprim17ROCPRIM_400000_NS6detail17trampoline_kernelINS0_14default_configENS1_27scan_by_key_config_selectorIssEEZZNS1_16scan_by_key_implILNS1_25lookback_scan_determinismE0ELb1ES3_N6thrust23THRUST_200600_302600_NS6detail15normal_iteratorINS9_10device_ptrIsEEEESE_SE_sNS9_4plusIsEE19head_flag_predicatesEE10hipError_tPvRmT2_T3_T4_T5_mT6_T7_P12ihipStream_tbENKUlT_T0_E_clISt17integral_constantIbLb0EESX_IbLb1EEEEDaST_SU_EUlST_E_NS1_11comp_targetILNS1_3genE9ELNS1_11target_archE1100ELNS1_3gpuE3ELNS1_3repE0EEENS1_30default_config_static_selectorELNS0_4arch9wavefront6targetE0EEEvT1_,"axG",@progbits,_ZN7rocprim17ROCPRIM_400000_NS6detail17trampoline_kernelINS0_14default_configENS1_27scan_by_key_config_selectorIssEEZZNS1_16scan_by_key_implILNS1_25lookback_scan_determinismE0ELb1ES3_N6thrust23THRUST_200600_302600_NS6detail15normal_iteratorINS9_10device_ptrIsEEEESE_SE_sNS9_4plusIsEE19head_flag_predicatesEE10hipError_tPvRmT2_T3_T4_T5_mT6_T7_P12ihipStream_tbENKUlT_T0_E_clISt17integral_constantIbLb0EESX_IbLb1EEEEDaST_SU_EUlST_E_NS1_11comp_targetILNS1_3genE9ELNS1_11target_archE1100ELNS1_3gpuE3ELNS1_3repE0EEENS1_30default_config_static_selectorELNS0_4arch9wavefront6targetE0EEEvT1_,comdat
.Lfunc_end891:
	.size	_ZN7rocprim17ROCPRIM_400000_NS6detail17trampoline_kernelINS0_14default_configENS1_27scan_by_key_config_selectorIssEEZZNS1_16scan_by_key_implILNS1_25lookback_scan_determinismE0ELb1ES3_N6thrust23THRUST_200600_302600_NS6detail15normal_iteratorINS9_10device_ptrIsEEEESE_SE_sNS9_4plusIsEE19head_flag_predicatesEE10hipError_tPvRmT2_T3_T4_T5_mT6_T7_P12ihipStream_tbENKUlT_T0_E_clISt17integral_constantIbLb0EESX_IbLb1EEEEDaST_SU_EUlST_E_NS1_11comp_targetILNS1_3genE9ELNS1_11target_archE1100ELNS1_3gpuE3ELNS1_3repE0EEENS1_30default_config_static_selectorELNS0_4arch9wavefront6targetE0EEEvT1_, .Lfunc_end891-_ZN7rocprim17ROCPRIM_400000_NS6detail17trampoline_kernelINS0_14default_configENS1_27scan_by_key_config_selectorIssEEZZNS1_16scan_by_key_implILNS1_25lookback_scan_determinismE0ELb1ES3_N6thrust23THRUST_200600_302600_NS6detail15normal_iteratorINS9_10device_ptrIsEEEESE_SE_sNS9_4plusIsEE19head_flag_predicatesEE10hipError_tPvRmT2_T3_T4_T5_mT6_T7_P12ihipStream_tbENKUlT_T0_E_clISt17integral_constantIbLb0EESX_IbLb1EEEEDaST_SU_EUlST_E_NS1_11comp_targetILNS1_3genE9ELNS1_11target_archE1100ELNS1_3gpuE3ELNS1_3repE0EEENS1_30default_config_static_selectorELNS0_4arch9wavefront6targetE0EEEvT1_
                                        ; -- End function
	.set _ZN7rocprim17ROCPRIM_400000_NS6detail17trampoline_kernelINS0_14default_configENS1_27scan_by_key_config_selectorIssEEZZNS1_16scan_by_key_implILNS1_25lookback_scan_determinismE0ELb1ES3_N6thrust23THRUST_200600_302600_NS6detail15normal_iteratorINS9_10device_ptrIsEEEESE_SE_sNS9_4plusIsEE19head_flag_predicatesEE10hipError_tPvRmT2_T3_T4_T5_mT6_T7_P12ihipStream_tbENKUlT_T0_E_clISt17integral_constantIbLb0EESX_IbLb1EEEEDaST_SU_EUlST_E_NS1_11comp_targetILNS1_3genE9ELNS1_11target_archE1100ELNS1_3gpuE3ELNS1_3repE0EEENS1_30default_config_static_selectorELNS0_4arch9wavefront6targetE0EEEvT1_.num_vgpr, 0
	.set _ZN7rocprim17ROCPRIM_400000_NS6detail17trampoline_kernelINS0_14default_configENS1_27scan_by_key_config_selectorIssEEZZNS1_16scan_by_key_implILNS1_25lookback_scan_determinismE0ELb1ES3_N6thrust23THRUST_200600_302600_NS6detail15normal_iteratorINS9_10device_ptrIsEEEESE_SE_sNS9_4plusIsEE19head_flag_predicatesEE10hipError_tPvRmT2_T3_T4_T5_mT6_T7_P12ihipStream_tbENKUlT_T0_E_clISt17integral_constantIbLb0EESX_IbLb1EEEEDaST_SU_EUlST_E_NS1_11comp_targetILNS1_3genE9ELNS1_11target_archE1100ELNS1_3gpuE3ELNS1_3repE0EEENS1_30default_config_static_selectorELNS0_4arch9wavefront6targetE0EEEvT1_.num_agpr, 0
	.set _ZN7rocprim17ROCPRIM_400000_NS6detail17trampoline_kernelINS0_14default_configENS1_27scan_by_key_config_selectorIssEEZZNS1_16scan_by_key_implILNS1_25lookback_scan_determinismE0ELb1ES3_N6thrust23THRUST_200600_302600_NS6detail15normal_iteratorINS9_10device_ptrIsEEEESE_SE_sNS9_4plusIsEE19head_flag_predicatesEE10hipError_tPvRmT2_T3_T4_T5_mT6_T7_P12ihipStream_tbENKUlT_T0_E_clISt17integral_constantIbLb0EESX_IbLb1EEEEDaST_SU_EUlST_E_NS1_11comp_targetILNS1_3genE9ELNS1_11target_archE1100ELNS1_3gpuE3ELNS1_3repE0EEENS1_30default_config_static_selectorELNS0_4arch9wavefront6targetE0EEEvT1_.numbered_sgpr, 0
	.set _ZN7rocprim17ROCPRIM_400000_NS6detail17trampoline_kernelINS0_14default_configENS1_27scan_by_key_config_selectorIssEEZZNS1_16scan_by_key_implILNS1_25lookback_scan_determinismE0ELb1ES3_N6thrust23THRUST_200600_302600_NS6detail15normal_iteratorINS9_10device_ptrIsEEEESE_SE_sNS9_4plusIsEE19head_flag_predicatesEE10hipError_tPvRmT2_T3_T4_T5_mT6_T7_P12ihipStream_tbENKUlT_T0_E_clISt17integral_constantIbLb0EESX_IbLb1EEEEDaST_SU_EUlST_E_NS1_11comp_targetILNS1_3genE9ELNS1_11target_archE1100ELNS1_3gpuE3ELNS1_3repE0EEENS1_30default_config_static_selectorELNS0_4arch9wavefront6targetE0EEEvT1_.num_named_barrier, 0
	.set _ZN7rocprim17ROCPRIM_400000_NS6detail17trampoline_kernelINS0_14default_configENS1_27scan_by_key_config_selectorIssEEZZNS1_16scan_by_key_implILNS1_25lookback_scan_determinismE0ELb1ES3_N6thrust23THRUST_200600_302600_NS6detail15normal_iteratorINS9_10device_ptrIsEEEESE_SE_sNS9_4plusIsEE19head_flag_predicatesEE10hipError_tPvRmT2_T3_T4_T5_mT6_T7_P12ihipStream_tbENKUlT_T0_E_clISt17integral_constantIbLb0EESX_IbLb1EEEEDaST_SU_EUlST_E_NS1_11comp_targetILNS1_3genE9ELNS1_11target_archE1100ELNS1_3gpuE3ELNS1_3repE0EEENS1_30default_config_static_selectorELNS0_4arch9wavefront6targetE0EEEvT1_.private_seg_size, 0
	.set _ZN7rocprim17ROCPRIM_400000_NS6detail17trampoline_kernelINS0_14default_configENS1_27scan_by_key_config_selectorIssEEZZNS1_16scan_by_key_implILNS1_25lookback_scan_determinismE0ELb1ES3_N6thrust23THRUST_200600_302600_NS6detail15normal_iteratorINS9_10device_ptrIsEEEESE_SE_sNS9_4plusIsEE19head_flag_predicatesEE10hipError_tPvRmT2_T3_T4_T5_mT6_T7_P12ihipStream_tbENKUlT_T0_E_clISt17integral_constantIbLb0EESX_IbLb1EEEEDaST_SU_EUlST_E_NS1_11comp_targetILNS1_3genE9ELNS1_11target_archE1100ELNS1_3gpuE3ELNS1_3repE0EEENS1_30default_config_static_selectorELNS0_4arch9wavefront6targetE0EEEvT1_.uses_vcc, 0
	.set _ZN7rocprim17ROCPRIM_400000_NS6detail17trampoline_kernelINS0_14default_configENS1_27scan_by_key_config_selectorIssEEZZNS1_16scan_by_key_implILNS1_25lookback_scan_determinismE0ELb1ES3_N6thrust23THRUST_200600_302600_NS6detail15normal_iteratorINS9_10device_ptrIsEEEESE_SE_sNS9_4plusIsEE19head_flag_predicatesEE10hipError_tPvRmT2_T3_T4_T5_mT6_T7_P12ihipStream_tbENKUlT_T0_E_clISt17integral_constantIbLb0EESX_IbLb1EEEEDaST_SU_EUlST_E_NS1_11comp_targetILNS1_3genE9ELNS1_11target_archE1100ELNS1_3gpuE3ELNS1_3repE0EEENS1_30default_config_static_selectorELNS0_4arch9wavefront6targetE0EEEvT1_.uses_flat_scratch, 0
	.set _ZN7rocprim17ROCPRIM_400000_NS6detail17trampoline_kernelINS0_14default_configENS1_27scan_by_key_config_selectorIssEEZZNS1_16scan_by_key_implILNS1_25lookback_scan_determinismE0ELb1ES3_N6thrust23THRUST_200600_302600_NS6detail15normal_iteratorINS9_10device_ptrIsEEEESE_SE_sNS9_4plusIsEE19head_flag_predicatesEE10hipError_tPvRmT2_T3_T4_T5_mT6_T7_P12ihipStream_tbENKUlT_T0_E_clISt17integral_constantIbLb0EESX_IbLb1EEEEDaST_SU_EUlST_E_NS1_11comp_targetILNS1_3genE9ELNS1_11target_archE1100ELNS1_3gpuE3ELNS1_3repE0EEENS1_30default_config_static_selectorELNS0_4arch9wavefront6targetE0EEEvT1_.has_dyn_sized_stack, 0
	.set _ZN7rocprim17ROCPRIM_400000_NS6detail17trampoline_kernelINS0_14default_configENS1_27scan_by_key_config_selectorIssEEZZNS1_16scan_by_key_implILNS1_25lookback_scan_determinismE0ELb1ES3_N6thrust23THRUST_200600_302600_NS6detail15normal_iteratorINS9_10device_ptrIsEEEESE_SE_sNS9_4plusIsEE19head_flag_predicatesEE10hipError_tPvRmT2_T3_T4_T5_mT6_T7_P12ihipStream_tbENKUlT_T0_E_clISt17integral_constantIbLb0EESX_IbLb1EEEEDaST_SU_EUlST_E_NS1_11comp_targetILNS1_3genE9ELNS1_11target_archE1100ELNS1_3gpuE3ELNS1_3repE0EEENS1_30default_config_static_selectorELNS0_4arch9wavefront6targetE0EEEvT1_.has_recursion, 0
	.set _ZN7rocprim17ROCPRIM_400000_NS6detail17trampoline_kernelINS0_14default_configENS1_27scan_by_key_config_selectorIssEEZZNS1_16scan_by_key_implILNS1_25lookback_scan_determinismE0ELb1ES3_N6thrust23THRUST_200600_302600_NS6detail15normal_iteratorINS9_10device_ptrIsEEEESE_SE_sNS9_4plusIsEE19head_flag_predicatesEE10hipError_tPvRmT2_T3_T4_T5_mT6_T7_P12ihipStream_tbENKUlT_T0_E_clISt17integral_constantIbLb0EESX_IbLb1EEEEDaST_SU_EUlST_E_NS1_11comp_targetILNS1_3genE9ELNS1_11target_archE1100ELNS1_3gpuE3ELNS1_3repE0EEENS1_30default_config_static_selectorELNS0_4arch9wavefront6targetE0EEEvT1_.has_indirect_call, 0
	.section	.AMDGPU.csdata,"",@progbits
; Kernel info:
; codeLenInByte = 0
; TotalNumSgprs: 0
; NumVgprs: 0
; ScratchSize: 0
; MemoryBound: 0
; FloatMode: 240
; IeeeMode: 1
; LDSByteSize: 0 bytes/workgroup (compile time only)
; SGPRBlocks: 0
; VGPRBlocks: 0
; NumSGPRsForWavesPerEU: 1
; NumVGPRsForWavesPerEU: 1
; NamedBarCnt: 0
; Occupancy: 16
; WaveLimiterHint : 0
; COMPUTE_PGM_RSRC2:SCRATCH_EN: 0
; COMPUTE_PGM_RSRC2:USER_SGPR: 2
; COMPUTE_PGM_RSRC2:TRAP_HANDLER: 0
; COMPUTE_PGM_RSRC2:TGID_X_EN: 1
; COMPUTE_PGM_RSRC2:TGID_Y_EN: 0
; COMPUTE_PGM_RSRC2:TGID_Z_EN: 0
; COMPUTE_PGM_RSRC2:TIDIG_COMP_CNT: 0
	.section	.text._ZN7rocprim17ROCPRIM_400000_NS6detail17trampoline_kernelINS0_14default_configENS1_27scan_by_key_config_selectorIssEEZZNS1_16scan_by_key_implILNS1_25lookback_scan_determinismE0ELb1ES3_N6thrust23THRUST_200600_302600_NS6detail15normal_iteratorINS9_10device_ptrIsEEEESE_SE_sNS9_4plusIsEE19head_flag_predicatesEE10hipError_tPvRmT2_T3_T4_T5_mT6_T7_P12ihipStream_tbENKUlT_T0_E_clISt17integral_constantIbLb0EESX_IbLb1EEEEDaST_SU_EUlST_E_NS1_11comp_targetILNS1_3genE8ELNS1_11target_archE1030ELNS1_3gpuE2ELNS1_3repE0EEENS1_30default_config_static_selectorELNS0_4arch9wavefront6targetE0EEEvT1_,"axG",@progbits,_ZN7rocprim17ROCPRIM_400000_NS6detail17trampoline_kernelINS0_14default_configENS1_27scan_by_key_config_selectorIssEEZZNS1_16scan_by_key_implILNS1_25lookback_scan_determinismE0ELb1ES3_N6thrust23THRUST_200600_302600_NS6detail15normal_iteratorINS9_10device_ptrIsEEEESE_SE_sNS9_4plusIsEE19head_flag_predicatesEE10hipError_tPvRmT2_T3_T4_T5_mT6_T7_P12ihipStream_tbENKUlT_T0_E_clISt17integral_constantIbLb0EESX_IbLb1EEEEDaST_SU_EUlST_E_NS1_11comp_targetILNS1_3genE8ELNS1_11target_archE1030ELNS1_3gpuE2ELNS1_3repE0EEENS1_30default_config_static_selectorELNS0_4arch9wavefront6targetE0EEEvT1_,comdat
	.protected	_ZN7rocprim17ROCPRIM_400000_NS6detail17trampoline_kernelINS0_14default_configENS1_27scan_by_key_config_selectorIssEEZZNS1_16scan_by_key_implILNS1_25lookback_scan_determinismE0ELb1ES3_N6thrust23THRUST_200600_302600_NS6detail15normal_iteratorINS9_10device_ptrIsEEEESE_SE_sNS9_4plusIsEE19head_flag_predicatesEE10hipError_tPvRmT2_T3_T4_T5_mT6_T7_P12ihipStream_tbENKUlT_T0_E_clISt17integral_constantIbLb0EESX_IbLb1EEEEDaST_SU_EUlST_E_NS1_11comp_targetILNS1_3genE8ELNS1_11target_archE1030ELNS1_3gpuE2ELNS1_3repE0EEENS1_30default_config_static_selectorELNS0_4arch9wavefront6targetE0EEEvT1_ ; -- Begin function _ZN7rocprim17ROCPRIM_400000_NS6detail17trampoline_kernelINS0_14default_configENS1_27scan_by_key_config_selectorIssEEZZNS1_16scan_by_key_implILNS1_25lookback_scan_determinismE0ELb1ES3_N6thrust23THRUST_200600_302600_NS6detail15normal_iteratorINS9_10device_ptrIsEEEESE_SE_sNS9_4plusIsEE19head_flag_predicatesEE10hipError_tPvRmT2_T3_T4_T5_mT6_T7_P12ihipStream_tbENKUlT_T0_E_clISt17integral_constantIbLb0EESX_IbLb1EEEEDaST_SU_EUlST_E_NS1_11comp_targetILNS1_3genE8ELNS1_11target_archE1030ELNS1_3gpuE2ELNS1_3repE0EEENS1_30default_config_static_selectorELNS0_4arch9wavefront6targetE0EEEvT1_
	.globl	_ZN7rocprim17ROCPRIM_400000_NS6detail17trampoline_kernelINS0_14default_configENS1_27scan_by_key_config_selectorIssEEZZNS1_16scan_by_key_implILNS1_25lookback_scan_determinismE0ELb1ES3_N6thrust23THRUST_200600_302600_NS6detail15normal_iteratorINS9_10device_ptrIsEEEESE_SE_sNS9_4plusIsEE19head_flag_predicatesEE10hipError_tPvRmT2_T3_T4_T5_mT6_T7_P12ihipStream_tbENKUlT_T0_E_clISt17integral_constantIbLb0EESX_IbLb1EEEEDaST_SU_EUlST_E_NS1_11comp_targetILNS1_3genE8ELNS1_11target_archE1030ELNS1_3gpuE2ELNS1_3repE0EEENS1_30default_config_static_selectorELNS0_4arch9wavefront6targetE0EEEvT1_
	.p2align	8
	.type	_ZN7rocprim17ROCPRIM_400000_NS6detail17trampoline_kernelINS0_14default_configENS1_27scan_by_key_config_selectorIssEEZZNS1_16scan_by_key_implILNS1_25lookback_scan_determinismE0ELb1ES3_N6thrust23THRUST_200600_302600_NS6detail15normal_iteratorINS9_10device_ptrIsEEEESE_SE_sNS9_4plusIsEE19head_flag_predicatesEE10hipError_tPvRmT2_T3_T4_T5_mT6_T7_P12ihipStream_tbENKUlT_T0_E_clISt17integral_constantIbLb0EESX_IbLb1EEEEDaST_SU_EUlST_E_NS1_11comp_targetILNS1_3genE8ELNS1_11target_archE1030ELNS1_3gpuE2ELNS1_3repE0EEENS1_30default_config_static_selectorELNS0_4arch9wavefront6targetE0EEEvT1_,@function
_ZN7rocprim17ROCPRIM_400000_NS6detail17trampoline_kernelINS0_14default_configENS1_27scan_by_key_config_selectorIssEEZZNS1_16scan_by_key_implILNS1_25lookback_scan_determinismE0ELb1ES3_N6thrust23THRUST_200600_302600_NS6detail15normal_iteratorINS9_10device_ptrIsEEEESE_SE_sNS9_4plusIsEE19head_flag_predicatesEE10hipError_tPvRmT2_T3_T4_T5_mT6_T7_P12ihipStream_tbENKUlT_T0_E_clISt17integral_constantIbLb0EESX_IbLb1EEEEDaST_SU_EUlST_E_NS1_11comp_targetILNS1_3genE8ELNS1_11target_archE1030ELNS1_3gpuE2ELNS1_3repE0EEENS1_30default_config_static_selectorELNS0_4arch9wavefront6targetE0EEEvT1_: ; @_ZN7rocprim17ROCPRIM_400000_NS6detail17trampoline_kernelINS0_14default_configENS1_27scan_by_key_config_selectorIssEEZZNS1_16scan_by_key_implILNS1_25lookback_scan_determinismE0ELb1ES3_N6thrust23THRUST_200600_302600_NS6detail15normal_iteratorINS9_10device_ptrIsEEEESE_SE_sNS9_4plusIsEE19head_flag_predicatesEE10hipError_tPvRmT2_T3_T4_T5_mT6_T7_P12ihipStream_tbENKUlT_T0_E_clISt17integral_constantIbLb0EESX_IbLb1EEEEDaST_SU_EUlST_E_NS1_11comp_targetILNS1_3genE8ELNS1_11target_archE1030ELNS1_3gpuE2ELNS1_3repE0EEENS1_30default_config_static_selectorELNS0_4arch9wavefront6targetE0EEEvT1_
; %bb.0:
	.section	.rodata,"a",@progbits
	.p2align	6, 0x0
	.amdhsa_kernel _ZN7rocprim17ROCPRIM_400000_NS6detail17trampoline_kernelINS0_14default_configENS1_27scan_by_key_config_selectorIssEEZZNS1_16scan_by_key_implILNS1_25lookback_scan_determinismE0ELb1ES3_N6thrust23THRUST_200600_302600_NS6detail15normal_iteratorINS9_10device_ptrIsEEEESE_SE_sNS9_4plusIsEE19head_flag_predicatesEE10hipError_tPvRmT2_T3_T4_T5_mT6_T7_P12ihipStream_tbENKUlT_T0_E_clISt17integral_constantIbLb0EESX_IbLb1EEEEDaST_SU_EUlST_E_NS1_11comp_targetILNS1_3genE8ELNS1_11target_archE1030ELNS1_3gpuE2ELNS1_3repE0EEENS1_30default_config_static_selectorELNS0_4arch9wavefront6targetE0EEEvT1_
		.amdhsa_group_segment_fixed_size 0
		.amdhsa_private_segment_fixed_size 0
		.amdhsa_kernarg_size 112
		.amdhsa_user_sgpr_count 2
		.amdhsa_user_sgpr_dispatch_ptr 0
		.amdhsa_user_sgpr_queue_ptr 0
		.amdhsa_user_sgpr_kernarg_segment_ptr 1
		.amdhsa_user_sgpr_dispatch_id 0
		.amdhsa_user_sgpr_kernarg_preload_length 0
		.amdhsa_user_sgpr_kernarg_preload_offset 0
		.amdhsa_user_sgpr_private_segment_size 0
		.amdhsa_wavefront_size32 1
		.amdhsa_uses_dynamic_stack 0
		.amdhsa_enable_private_segment 0
		.amdhsa_system_sgpr_workgroup_id_x 1
		.amdhsa_system_sgpr_workgroup_id_y 0
		.amdhsa_system_sgpr_workgroup_id_z 0
		.amdhsa_system_sgpr_workgroup_info 0
		.amdhsa_system_vgpr_workitem_id 0
		.amdhsa_next_free_vgpr 1
		.amdhsa_next_free_sgpr 1
		.amdhsa_named_barrier_count 0
		.amdhsa_reserve_vcc 0
		.amdhsa_float_round_mode_32 0
		.amdhsa_float_round_mode_16_64 0
		.amdhsa_float_denorm_mode_32 3
		.amdhsa_float_denorm_mode_16_64 3
		.amdhsa_fp16_overflow 0
		.amdhsa_memory_ordered 1
		.amdhsa_forward_progress 1
		.amdhsa_inst_pref_size 0
		.amdhsa_round_robin_scheduling 0
		.amdhsa_exception_fp_ieee_invalid_op 0
		.amdhsa_exception_fp_denorm_src 0
		.amdhsa_exception_fp_ieee_div_zero 0
		.amdhsa_exception_fp_ieee_overflow 0
		.amdhsa_exception_fp_ieee_underflow 0
		.amdhsa_exception_fp_ieee_inexact 0
		.amdhsa_exception_int_div_zero 0
	.end_amdhsa_kernel
	.section	.text._ZN7rocprim17ROCPRIM_400000_NS6detail17trampoline_kernelINS0_14default_configENS1_27scan_by_key_config_selectorIssEEZZNS1_16scan_by_key_implILNS1_25lookback_scan_determinismE0ELb1ES3_N6thrust23THRUST_200600_302600_NS6detail15normal_iteratorINS9_10device_ptrIsEEEESE_SE_sNS9_4plusIsEE19head_flag_predicatesEE10hipError_tPvRmT2_T3_T4_T5_mT6_T7_P12ihipStream_tbENKUlT_T0_E_clISt17integral_constantIbLb0EESX_IbLb1EEEEDaST_SU_EUlST_E_NS1_11comp_targetILNS1_3genE8ELNS1_11target_archE1030ELNS1_3gpuE2ELNS1_3repE0EEENS1_30default_config_static_selectorELNS0_4arch9wavefront6targetE0EEEvT1_,"axG",@progbits,_ZN7rocprim17ROCPRIM_400000_NS6detail17trampoline_kernelINS0_14default_configENS1_27scan_by_key_config_selectorIssEEZZNS1_16scan_by_key_implILNS1_25lookback_scan_determinismE0ELb1ES3_N6thrust23THRUST_200600_302600_NS6detail15normal_iteratorINS9_10device_ptrIsEEEESE_SE_sNS9_4plusIsEE19head_flag_predicatesEE10hipError_tPvRmT2_T3_T4_T5_mT6_T7_P12ihipStream_tbENKUlT_T0_E_clISt17integral_constantIbLb0EESX_IbLb1EEEEDaST_SU_EUlST_E_NS1_11comp_targetILNS1_3genE8ELNS1_11target_archE1030ELNS1_3gpuE2ELNS1_3repE0EEENS1_30default_config_static_selectorELNS0_4arch9wavefront6targetE0EEEvT1_,comdat
.Lfunc_end892:
	.size	_ZN7rocprim17ROCPRIM_400000_NS6detail17trampoline_kernelINS0_14default_configENS1_27scan_by_key_config_selectorIssEEZZNS1_16scan_by_key_implILNS1_25lookback_scan_determinismE0ELb1ES3_N6thrust23THRUST_200600_302600_NS6detail15normal_iteratorINS9_10device_ptrIsEEEESE_SE_sNS9_4plusIsEE19head_flag_predicatesEE10hipError_tPvRmT2_T3_T4_T5_mT6_T7_P12ihipStream_tbENKUlT_T0_E_clISt17integral_constantIbLb0EESX_IbLb1EEEEDaST_SU_EUlST_E_NS1_11comp_targetILNS1_3genE8ELNS1_11target_archE1030ELNS1_3gpuE2ELNS1_3repE0EEENS1_30default_config_static_selectorELNS0_4arch9wavefront6targetE0EEEvT1_, .Lfunc_end892-_ZN7rocprim17ROCPRIM_400000_NS6detail17trampoline_kernelINS0_14default_configENS1_27scan_by_key_config_selectorIssEEZZNS1_16scan_by_key_implILNS1_25lookback_scan_determinismE0ELb1ES3_N6thrust23THRUST_200600_302600_NS6detail15normal_iteratorINS9_10device_ptrIsEEEESE_SE_sNS9_4plusIsEE19head_flag_predicatesEE10hipError_tPvRmT2_T3_T4_T5_mT6_T7_P12ihipStream_tbENKUlT_T0_E_clISt17integral_constantIbLb0EESX_IbLb1EEEEDaST_SU_EUlST_E_NS1_11comp_targetILNS1_3genE8ELNS1_11target_archE1030ELNS1_3gpuE2ELNS1_3repE0EEENS1_30default_config_static_selectorELNS0_4arch9wavefront6targetE0EEEvT1_
                                        ; -- End function
	.set _ZN7rocprim17ROCPRIM_400000_NS6detail17trampoline_kernelINS0_14default_configENS1_27scan_by_key_config_selectorIssEEZZNS1_16scan_by_key_implILNS1_25lookback_scan_determinismE0ELb1ES3_N6thrust23THRUST_200600_302600_NS6detail15normal_iteratorINS9_10device_ptrIsEEEESE_SE_sNS9_4plusIsEE19head_flag_predicatesEE10hipError_tPvRmT2_T3_T4_T5_mT6_T7_P12ihipStream_tbENKUlT_T0_E_clISt17integral_constantIbLb0EESX_IbLb1EEEEDaST_SU_EUlST_E_NS1_11comp_targetILNS1_3genE8ELNS1_11target_archE1030ELNS1_3gpuE2ELNS1_3repE0EEENS1_30default_config_static_selectorELNS0_4arch9wavefront6targetE0EEEvT1_.num_vgpr, 0
	.set _ZN7rocprim17ROCPRIM_400000_NS6detail17trampoline_kernelINS0_14default_configENS1_27scan_by_key_config_selectorIssEEZZNS1_16scan_by_key_implILNS1_25lookback_scan_determinismE0ELb1ES3_N6thrust23THRUST_200600_302600_NS6detail15normal_iteratorINS9_10device_ptrIsEEEESE_SE_sNS9_4plusIsEE19head_flag_predicatesEE10hipError_tPvRmT2_T3_T4_T5_mT6_T7_P12ihipStream_tbENKUlT_T0_E_clISt17integral_constantIbLb0EESX_IbLb1EEEEDaST_SU_EUlST_E_NS1_11comp_targetILNS1_3genE8ELNS1_11target_archE1030ELNS1_3gpuE2ELNS1_3repE0EEENS1_30default_config_static_selectorELNS0_4arch9wavefront6targetE0EEEvT1_.num_agpr, 0
	.set _ZN7rocprim17ROCPRIM_400000_NS6detail17trampoline_kernelINS0_14default_configENS1_27scan_by_key_config_selectorIssEEZZNS1_16scan_by_key_implILNS1_25lookback_scan_determinismE0ELb1ES3_N6thrust23THRUST_200600_302600_NS6detail15normal_iteratorINS9_10device_ptrIsEEEESE_SE_sNS9_4plusIsEE19head_flag_predicatesEE10hipError_tPvRmT2_T3_T4_T5_mT6_T7_P12ihipStream_tbENKUlT_T0_E_clISt17integral_constantIbLb0EESX_IbLb1EEEEDaST_SU_EUlST_E_NS1_11comp_targetILNS1_3genE8ELNS1_11target_archE1030ELNS1_3gpuE2ELNS1_3repE0EEENS1_30default_config_static_selectorELNS0_4arch9wavefront6targetE0EEEvT1_.numbered_sgpr, 0
	.set _ZN7rocprim17ROCPRIM_400000_NS6detail17trampoline_kernelINS0_14default_configENS1_27scan_by_key_config_selectorIssEEZZNS1_16scan_by_key_implILNS1_25lookback_scan_determinismE0ELb1ES3_N6thrust23THRUST_200600_302600_NS6detail15normal_iteratorINS9_10device_ptrIsEEEESE_SE_sNS9_4plusIsEE19head_flag_predicatesEE10hipError_tPvRmT2_T3_T4_T5_mT6_T7_P12ihipStream_tbENKUlT_T0_E_clISt17integral_constantIbLb0EESX_IbLb1EEEEDaST_SU_EUlST_E_NS1_11comp_targetILNS1_3genE8ELNS1_11target_archE1030ELNS1_3gpuE2ELNS1_3repE0EEENS1_30default_config_static_selectorELNS0_4arch9wavefront6targetE0EEEvT1_.num_named_barrier, 0
	.set _ZN7rocprim17ROCPRIM_400000_NS6detail17trampoline_kernelINS0_14default_configENS1_27scan_by_key_config_selectorIssEEZZNS1_16scan_by_key_implILNS1_25lookback_scan_determinismE0ELb1ES3_N6thrust23THRUST_200600_302600_NS6detail15normal_iteratorINS9_10device_ptrIsEEEESE_SE_sNS9_4plusIsEE19head_flag_predicatesEE10hipError_tPvRmT2_T3_T4_T5_mT6_T7_P12ihipStream_tbENKUlT_T0_E_clISt17integral_constantIbLb0EESX_IbLb1EEEEDaST_SU_EUlST_E_NS1_11comp_targetILNS1_3genE8ELNS1_11target_archE1030ELNS1_3gpuE2ELNS1_3repE0EEENS1_30default_config_static_selectorELNS0_4arch9wavefront6targetE0EEEvT1_.private_seg_size, 0
	.set _ZN7rocprim17ROCPRIM_400000_NS6detail17trampoline_kernelINS0_14default_configENS1_27scan_by_key_config_selectorIssEEZZNS1_16scan_by_key_implILNS1_25lookback_scan_determinismE0ELb1ES3_N6thrust23THRUST_200600_302600_NS6detail15normal_iteratorINS9_10device_ptrIsEEEESE_SE_sNS9_4plusIsEE19head_flag_predicatesEE10hipError_tPvRmT2_T3_T4_T5_mT6_T7_P12ihipStream_tbENKUlT_T0_E_clISt17integral_constantIbLb0EESX_IbLb1EEEEDaST_SU_EUlST_E_NS1_11comp_targetILNS1_3genE8ELNS1_11target_archE1030ELNS1_3gpuE2ELNS1_3repE0EEENS1_30default_config_static_selectorELNS0_4arch9wavefront6targetE0EEEvT1_.uses_vcc, 0
	.set _ZN7rocprim17ROCPRIM_400000_NS6detail17trampoline_kernelINS0_14default_configENS1_27scan_by_key_config_selectorIssEEZZNS1_16scan_by_key_implILNS1_25lookback_scan_determinismE0ELb1ES3_N6thrust23THRUST_200600_302600_NS6detail15normal_iteratorINS9_10device_ptrIsEEEESE_SE_sNS9_4plusIsEE19head_flag_predicatesEE10hipError_tPvRmT2_T3_T4_T5_mT6_T7_P12ihipStream_tbENKUlT_T0_E_clISt17integral_constantIbLb0EESX_IbLb1EEEEDaST_SU_EUlST_E_NS1_11comp_targetILNS1_3genE8ELNS1_11target_archE1030ELNS1_3gpuE2ELNS1_3repE0EEENS1_30default_config_static_selectorELNS0_4arch9wavefront6targetE0EEEvT1_.uses_flat_scratch, 0
	.set _ZN7rocprim17ROCPRIM_400000_NS6detail17trampoline_kernelINS0_14default_configENS1_27scan_by_key_config_selectorIssEEZZNS1_16scan_by_key_implILNS1_25lookback_scan_determinismE0ELb1ES3_N6thrust23THRUST_200600_302600_NS6detail15normal_iteratorINS9_10device_ptrIsEEEESE_SE_sNS9_4plusIsEE19head_flag_predicatesEE10hipError_tPvRmT2_T3_T4_T5_mT6_T7_P12ihipStream_tbENKUlT_T0_E_clISt17integral_constantIbLb0EESX_IbLb1EEEEDaST_SU_EUlST_E_NS1_11comp_targetILNS1_3genE8ELNS1_11target_archE1030ELNS1_3gpuE2ELNS1_3repE0EEENS1_30default_config_static_selectorELNS0_4arch9wavefront6targetE0EEEvT1_.has_dyn_sized_stack, 0
	.set _ZN7rocprim17ROCPRIM_400000_NS6detail17trampoline_kernelINS0_14default_configENS1_27scan_by_key_config_selectorIssEEZZNS1_16scan_by_key_implILNS1_25lookback_scan_determinismE0ELb1ES3_N6thrust23THRUST_200600_302600_NS6detail15normal_iteratorINS9_10device_ptrIsEEEESE_SE_sNS9_4plusIsEE19head_flag_predicatesEE10hipError_tPvRmT2_T3_T4_T5_mT6_T7_P12ihipStream_tbENKUlT_T0_E_clISt17integral_constantIbLb0EESX_IbLb1EEEEDaST_SU_EUlST_E_NS1_11comp_targetILNS1_3genE8ELNS1_11target_archE1030ELNS1_3gpuE2ELNS1_3repE0EEENS1_30default_config_static_selectorELNS0_4arch9wavefront6targetE0EEEvT1_.has_recursion, 0
	.set _ZN7rocprim17ROCPRIM_400000_NS6detail17trampoline_kernelINS0_14default_configENS1_27scan_by_key_config_selectorIssEEZZNS1_16scan_by_key_implILNS1_25lookback_scan_determinismE0ELb1ES3_N6thrust23THRUST_200600_302600_NS6detail15normal_iteratorINS9_10device_ptrIsEEEESE_SE_sNS9_4plusIsEE19head_flag_predicatesEE10hipError_tPvRmT2_T3_T4_T5_mT6_T7_P12ihipStream_tbENKUlT_T0_E_clISt17integral_constantIbLb0EESX_IbLb1EEEEDaST_SU_EUlST_E_NS1_11comp_targetILNS1_3genE8ELNS1_11target_archE1030ELNS1_3gpuE2ELNS1_3repE0EEENS1_30default_config_static_selectorELNS0_4arch9wavefront6targetE0EEEvT1_.has_indirect_call, 0
	.section	.AMDGPU.csdata,"",@progbits
; Kernel info:
; codeLenInByte = 0
; TotalNumSgprs: 0
; NumVgprs: 0
; ScratchSize: 0
; MemoryBound: 0
; FloatMode: 240
; IeeeMode: 1
; LDSByteSize: 0 bytes/workgroup (compile time only)
; SGPRBlocks: 0
; VGPRBlocks: 0
; NumSGPRsForWavesPerEU: 1
; NumVGPRsForWavesPerEU: 1
; NamedBarCnt: 0
; Occupancy: 16
; WaveLimiterHint : 0
; COMPUTE_PGM_RSRC2:SCRATCH_EN: 0
; COMPUTE_PGM_RSRC2:USER_SGPR: 2
; COMPUTE_PGM_RSRC2:TRAP_HANDLER: 0
; COMPUTE_PGM_RSRC2:TGID_X_EN: 1
; COMPUTE_PGM_RSRC2:TGID_Y_EN: 0
; COMPUTE_PGM_RSRC2:TGID_Z_EN: 0
; COMPUTE_PGM_RSRC2:TIDIG_COMP_CNT: 0
	.section	.text._ZN7rocprim17ROCPRIM_400000_NS6detail17trampoline_kernelINS0_14default_configENS1_27scan_by_key_config_selectorIxxEEZZNS1_16scan_by_key_implILNS1_25lookback_scan_determinismE0ELb0ES3_N6thrust23THRUST_200600_302600_NS6detail15normal_iteratorINS9_10device_ptrIxEEEENS9_18transform_iteratorINS9_6negateIxEESE_NS9_11use_defaultESI_EESE_xNS9_4plusIvEENS9_8equal_toIvEExEE10hipError_tPvRmT2_T3_T4_T5_mT6_T7_P12ihipStream_tbENKUlT_T0_E_clISt17integral_constantIbLb0EES14_EEDaSZ_S10_EUlSZ_E_NS1_11comp_targetILNS1_3genE0ELNS1_11target_archE4294967295ELNS1_3gpuE0ELNS1_3repE0EEENS1_30default_config_static_selectorELNS0_4arch9wavefront6targetE0EEEvT1_,"axG",@progbits,_ZN7rocprim17ROCPRIM_400000_NS6detail17trampoline_kernelINS0_14default_configENS1_27scan_by_key_config_selectorIxxEEZZNS1_16scan_by_key_implILNS1_25lookback_scan_determinismE0ELb0ES3_N6thrust23THRUST_200600_302600_NS6detail15normal_iteratorINS9_10device_ptrIxEEEENS9_18transform_iteratorINS9_6negateIxEESE_NS9_11use_defaultESI_EESE_xNS9_4plusIvEENS9_8equal_toIvEExEE10hipError_tPvRmT2_T3_T4_T5_mT6_T7_P12ihipStream_tbENKUlT_T0_E_clISt17integral_constantIbLb0EES14_EEDaSZ_S10_EUlSZ_E_NS1_11comp_targetILNS1_3genE0ELNS1_11target_archE4294967295ELNS1_3gpuE0ELNS1_3repE0EEENS1_30default_config_static_selectorELNS0_4arch9wavefront6targetE0EEEvT1_,comdat
	.protected	_ZN7rocprim17ROCPRIM_400000_NS6detail17trampoline_kernelINS0_14default_configENS1_27scan_by_key_config_selectorIxxEEZZNS1_16scan_by_key_implILNS1_25lookback_scan_determinismE0ELb0ES3_N6thrust23THRUST_200600_302600_NS6detail15normal_iteratorINS9_10device_ptrIxEEEENS9_18transform_iteratorINS9_6negateIxEESE_NS9_11use_defaultESI_EESE_xNS9_4plusIvEENS9_8equal_toIvEExEE10hipError_tPvRmT2_T3_T4_T5_mT6_T7_P12ihipStream_tbENKUlT_T0_E_clISt17integral_constantIbLb0EES14_EEDaSZ_S10_EUlSZ_E_NS1_11comp_targetILNS1_3genE0ELNS1_11target_archE4294967295ELNS1_3gpuE0ELNS1_3repE0EEENS1_30default_config_static_selectorELNS0_4arch9wavefront6targetE0EEEvT1_ ; -- Begin function _ZN7rocprim17ROCPRIM_400000_NS6detail17trampoline_kernelINS0_14default_configENS1_27scan_by_key_config_selectorIxxEEZZNS1_16scan_by_key_implILNS1_25lookback_scan_determinismE0ELb0ES3_N6thrust23THRUST_200600_302600_NS6detail15normal_iteratorINS9_10device_ptrIxEEEENS9_18transform_iteratorINS9_6negateIxEESE_NS9_11use_defaultESI_EESE_xNS9_4plusIvEENS9_8equal_toIvEExEE10hipError_tPvRmT2_T3_T4_T5_mT6_T7_P12ihipStream_tbENKUlT_T0_E_clISt17integral_constantIbLb0EES14_EEDaSZ_S10_EUlSZ_E_NS1_11comp_targetILNS1_3genE0ELNS1_11target_archE4294967295ELNS1_3gpuE0ELNS1_3repE0EEENS1_30default_config_static_selectorELNS0_4arch9wavefront6targetE0EEEvT1_
	.globl	_ZN7rocprim17ROCPRIM_400000_NS6detail17trampoline_kernelINS0_14default_configENS1_27scan_by_key_config_selectorIxxEEZZNS1_16scan_by_key_implILNS1_25lookback_scan_determinismE0ELb0ES3_N6thrust23THRUST_200600_302600_NS6detail15normal_iteratorINS9_10device_ptrIxEEEENS9_18transform_iteratorINS9_6negateIxEESE_NS9_11use_defaultESI_EESE_xNS9_4plusIvEENS9_8equal_toIvEExEE10hipError_tPvRmT2_T3_T4_T5_mT6_T7_P12ihipStream_tbENKUlT_T0_E_clISt17integral_constantIbLb0EES14_EEDaSZ_S10_EUlSZ_E_NS1_11comp_targetILNS1_3genE0ELNS1_11target_archE4294967295ELNS1_3gpuE0ELNS1_3repE0EEENS1_30default_config_static_selectorELNS0_4arch9wavefront6targetE0EEEvT1_
	.p2align	8
	.type	_ZN7rocprim17ROCPRIM_400000_NS6detail17trampoline_kernelINS0_14default_configENS1_27scan_by_key_config_selectorIxxEEZZNS1_16scan_by_key_implILNS1_25lookback_scan_determinismE0ELb0ES3_N6thrust23THRUST_200600_302600_NS6detail15normal_iteratorINS9_10device_ptrIxEEEENS9_18transform_iteratorINS9_6negateIxEESE_NS9_11use_defaultESI_EESE_xNS9_4plusIvEENS9_8equal_toIvEExEE10hipError_tPvRmT2_T3_T4_T5_mT6_T7_P12ihipStream_tbENKUlT_T0_E_clISt17integral_constantIbLb0EES14_EEDaSZ_S10_EUlSZ_E_NS1_11comp_targetILNS1_3genE0ELNS1_11target_archE4294967295ELNS1_3gpuE0ELNS1_3repE0EEENS1_30default_config_static_selectorELNS0_4arch9wavefront6targetE0EEEvT1_,@function
_ZN7rocprim17ROCPRIM_400000_NS6detail17trampoline_kernelINS0_14default_configENS1_27scan_by_key_config_selectorIxxEEZZNS1_16scan_by_key_implILNS1_25lookback_scan_determinismE0ELb0ES3_N6thrust23THRUST_200600_302600_NS6detail15normal_iteratorINS9_10device_ptrIxEEEENS9_18transform_iteratorINS9_6negateIxEESE_NS9_11use_defaultESI_EESE_xNS9_4plusIvEENS9_8equal_toIvEExEE10hipError_tPvRmT2_T3_T4_T5_mT6_T7_P12ihipStream_tbENKUlT_T0_E_clISt17integral_constantIbLb0EES14_EEDaSZ_S10_EUlSZ_E_NS1_11comp_targetILNS1_3genE0ELNS1_11target_archE4294967295ELNS1_3gpuE0ELNS1_3repE0EEENS1_30default_config_static_selectorELNS0_4arch9wavefront6targetE0EEEvT1_: ; @_ZN7rocprim17ROCPRIM_400000_NS6detail17trampoline_kernelINS0_14default_configENS1_27scan_by_key_config_selectorIxxEEZZNS1_16scan_by_key_implILNS1_25lookback_scan_determinismE0ELb0ES3_N6thrust23THRUST_200600_302600_NS6detail15normal_iteratorINS9_10device_ptrIxEEEENS9_18transform_iteratorINS9_6negateIxEESE_NS9_11use_defaultESI_EESE_xNS9_4plusIvEENS9_8equal_toIvEExEE10hipError_tPvRmT2_T3_T4_T5_mT6_T7_P12ihipStream_tbENKUlT_T0_E_clISt17integral_constantIbLb0EES14_EEDaSZ_S10_EUlSZ_E_NS1_11comp_targetILNS1_3genE0ELNS1_11target_archE4294967295ELNS1_3gpuE0ELNS1_3repE0EEENS1_30default_config_static_selectorELNS0_4arch9wavefront6targetE0EEEvT1_
; %bb.0:
	s_clause 0x4
	s_load_b128 s[4:7], s[0:1], 0x0
	s_load_b256 s[36:43], s[0:1], 0x68
	s_load_b96 s[44:46], s[0:1], 0x58
	s_load_b64 s[8:9], s[0:1], 0x10
	s_load_b256 s[24:31], s[0:1], 0x38
	s_getreg_b32 s10, hwreg(HW_REG_IB_STS2, 6, 4)
	s_mov_b32 s3, 0
	s_barrier_signal -1
	s_barrier_wait -1
	s_wait_kmcnt 0x0
	s_lshl_b64 s[34:35], s[6:7], 3
	s_cmp_lg_u64 s[40:41], 0
	s_mov_b32 s2, s46
	s_cselect_b32 s47, -1, 0
	s_bfe_u32 s6, ttmp6, 0x4000c
	s_and_b32 s7, ttmp6, 15
	s_add_co_i32 s6, s6, 1
	s_mov_b32 s41, s3
	s_mul_i32 s6, ttmp9, s6
	s_add_nc_u64 s[4:5], s[4:5], s[34:35]
	s_add_co_i32 s11, s7, s6
	s_cmp_eq_u32 s10, 0
	s_mul_u64 s[6:7], s[44:45], s[2:3]
	s_cselect_b32 s40, ttmp9, s11
	s_add_nc_u64 s[8:9], s[8:9], s[34:35]
	s_add_nc_u64 s[20:21], s[6:7], s[40:41]
	s_add_nc_u64 s[6:7], s[36:37], -1
	s_mul_i32 s2, s40, 0xe00
	v_cmp_ge_u64_e64 s31, s[20:21], s[6:7]
	s_lshl_b64 s[36:37], s[2:3], 3
	s_mul_i32 s33, s6, 0xfffff200
	s_add_nc_u64 s[18:19], s[4:5], s[36:37]
	s_add_nc_u64 s[16:17], s[8:9], s[36:37]
	s_and_b32 vcc_lo, exec_lo, s31
	s_cbranch_vccz .LBB893_32
; %bb.1:
	v_mov_b32_e32 v1, 0
	s_add_co_i32 s41, s33, s30
	s_delay_alu instid0(SALU_CYCLE_1)
	v_cmp_gt_u32_e64 s2, s41, v0
	flat_load_b64 v[2:3], v1, s[18:19]
	s_wait_loadcnt_dscnt 0x0
	v_mov_b64_e32 v[4:5], v[2:3]
	s_and_saveexec_b32 s3, s2
	s_cbranch_execz .LBB893_3
; %bb.2:
	flat_load_b64 v[4:5], v0, s[18:19] scale_offset
.LBB893_3:
	s_wait_xcnt 0x0
	s_or_b32 exec_lo, exec_lo, s3
	v_or_b32_e32 v1, 0x100, v0
	v_mov_b64_e32 v[6:7], v[2:3]
	s_delay_alu instid0(VALU_DEP_2)
	v_cmp_gt_u32_e64 s3, s41, v1
	s_and_saveexec_b32 s4, s3
	s_cbranch_execz .LBB893_5
; %bb.4:
	flat_load_b64 v[6:7], v0, s[18:19] offset:2048 scale_offset
.LBB893_5:
	s_wait_xcnt 0x0
	s_or_b32 exec_lo, exec_lo, s4
	v_or_b32_e32 v1, 0x200, v0
	v_mov_b64_e32 v[8:9], v[2:3]
	s_delay_alu instid0(VALU_DEP_2)
	v_cmp_gt_u32_e64 s4, s41, v1
	s_and_saveexec_b32 s5, s4
	s_cbranch_execz .LBB893_7
; %bb.6:
	flat_load_b64 v[8:9], v0, s[18:19] offset:4096 scale_offset
.LBB893_7:
	;; [unrolled: 11-line block ×12, first 2 shown]
	s_wait_xcnt 0x0
	s_or_b32 exec_lo, exec_lo, s15
	v_or_b32_e32 v1, 0xd00, v0
	s_mov_b32 s22, exec_lo
	s_delay_alu instid0(VALU_DEP_1) | instskip(SKIP_2) | instid1(SALU_CYCLE_1)
	v_cmp_gt_u32_e64 s15, s41, v1
	v_cmpx_le_u32_e64 s41, v1
	s_xor_b32 s22, exec_lo, s22
	s_and_not1_saveexec_b32 s22, s22
	s_cbranch_execz .LBB893_29
; %bb.28:
	flat_load_b64 v[2:3], v0, s[18:19] offset:26624 scale_offset
.LBB893_29:
	s_wait_xcnt 0x0
	s_or_b32 exec_lo, exec_lo, s22
	v_lshlrev_b32_e32 v1, 3, v0
	s_cmp_eq_u64 s[20:21], 0
	s_mov_b64 s[22:23], s[18:19]
	s_wait_loadcnt_dscnt 0x0
	ds_store_2addr_stride64_b64 v1, v[4:5], v[6:7] offset1:4
	ds_store_2addr_stride64_b64 v1, v[8:9], v[10:11] offset0:8 offset1:12
	ds_store_2addr_stride64_b64 v1, v[12:13], v[14:15] offset0:16 offset1:20
	;; [unrolled: 1-line block ×6, first 2 shown]
	v_mad_u32_u24 v103, 0x68, v0, v1
	s_wait_dscnt 0x0
	s_barrier_signal -1
	s_barrier_wait -1
	ds_load_b128 v[76:79], v103 offset:16
	ds_load_2addr_b64 v[64:67], v103 offset0:3 offset1:4
	ds_load_b128 v[72:75], v103
	ds_load_2addr_b64 v[80:83], v103 offset0:1 offset1:2
	ds_load_2addr_b64 v[52:55], v103 offset0:7 offset1:8
	;; [unrolled: 1-line block ×5, first 2 shown]
	ds_load_b64 v[86:87], v103 offset:104
	s_cbranch_scc1 .LBB893_35
; %bb.30:
	s_and_not1_b32 vcc_lo, exec_lo, s47
	s_cbranch_vccnz .LBB893_33
; %bb.31:
	s_lshl_b64 s[22:23], s[20:21], 3
	s_mov_b32 s46, 0
	s_add_nc_u64 s[22:23], s[42:43], s[22:23]
	s_delay_alu instid0(SALU_CYCLE_1)
	s_add_nc_u64 s[22:23], s[22:23], -8
	s_branch .LBB893_34
.LBB893_32:
                                        ; implicit-def: $sgpr6
                                        ; implicit-def: $vgpr97
                                        ; implicit-def: $vgpr90
                                        ; implicit-def: $vgpr96
                                        ; implicit-def: $vgpr95
                                        ; implicit-def: $vgpr108
                                        ; implicit-def: $vgpr89
                                        ; implicit-def: $vgpr104
                                        ; implicit-def: $vgpr101
                                        ; implicit-def: $vgpr20_vgpr21
                                        ; implicit-def: $vgpr34_vgpr35
                                        ; implicit-def: $vgpr38_vgpr39
                                        ; implicit-def: $vgpr42_vgpr43
                                        ; implicit-def: $vgpr46_vgpr47
                                        ; implicit-def: $vgpr62_vgpr63
                                        ; implicit-def: $vgpr4_vgpr5
                                        ; implicit-def: $vgpr110
                                        ; implicit-def: $vgpr93
                                        ; implicit-def: $vgpr91
                                        ; implicit-def: $vgpr92
                                        ; implicit-def: $vgpr94
                                        ; implicit-def: $vgpr102
                                        ; implicit-def: $vgpr100
                                        ; implicit-def: $vgpr98
                                        ; implicit-def: $vgpr99
                                        ; implicit-def: $vgpr88
                                        ; implicit-def: $vgpr109
                                        ; implicit-def: $vgpr106
                                        ; implicit-def: $vgpr105
                                        ; implicit-def: $vgpr84_vgpr85
                                        ; implicit-def: $vgpr28_vgpr29
                                        ; implicit-def: $vgpr24_vgpr25
                                        ; implicit-def: $vgpr16_vgpr17
                                        ; implicit-def: $vgpr12_vgpr13
                                        ; implicit-def: $vgpr1
                                        ; implicit-def: $vgpr30_vgpr31
                                        ; implicit-def: $vgpr26_vgpr27
                                        ; implicit-def: $vgpr22_vgpr23
                                        ; implicit-def: $vgpr14_vgpr15
                                        ; implicit-def: $vgpr10_vgpr11
                                        ; implicit-def: $vgpr6_vgpr7
	v_lshlrev_b32_e32 v64, 3, v0
	s_cbranch_execnz .LBB893_79
	s_branch .LBB893_100
.LBB893_33:
	s_add_nc_u64 s[22:23], s[18:19], -8
	s_mov_b32 s46, -1
.LBB893_34:
	s_delay_alu instid0(SALU_CYCLE_1)
	s_and_not1_b32 vcc_lo, exec_lo, s46
.LBB893_35:
	v_mov_b32_e32 v2, 0
	flat_load_b64 v[8:9], v2, s[22:23]
	s_wait_xcnt 0x0
	v_mad_i32_i24 v2, 0xffffff98, v0, v103
	s_mov_b32 s22, exec_lo
	s_wait_dscnt 0x1
	ds_store_b64 v2, v[86:87] offset:28672
	s_wait_loadcnt_dscnt 0x0
	s_barrier_signal -1
	s_barrier_wait -1
	v_cmpx_ne_u32_e32 0, v0
; %bb.36:
	v_mul_i32_i24_e32 v2, 0xffffff98, v0
	s_delay_alu instid0(VALU_DEP_1)
	v_add_nc_u32_e32 v2, v103, v2
	ds_load_b64 v[8:9], v2 offset:28664
; %bb.37:
	s_or_b32 exec_lo, exec_lo, s22
	s_wait_dscnt 0x0
	s_barrier_signal -1
	s_barrier_wait -1
                                        ; implicit-def: $vgpr2_vgpr3
	s_and_saveexec_b32 s22, s2
	s_cbranch_execnz .LBB893_82
; %bb.38:
	s_or_b32 exec_lo, exec_lo, s22
                                        ; implicit-def: $vgpr4_vgpr5
	s_and_saveexec_b32 s2, s3
	s_cbranch_execnz .LBB893_83
.LBB893_39:
	s_or_b32 exec_lo, exec_lo, s2
                                        ; implicit-def: $vgpr6_vgpr7
	s_and_saveexec_b32 s2, s4
	s_cbranch_execnz .LBB893_84
.LBB893_40:
	s_or_b32 exec_lo, exec_lo, s2
                                        ; implicit-def: $vgpr10_vgpr11
	s_and_saveexec_b32 s2, s5
	s_cbranch_execnz .LBB893_85
.LBB893_41:
	s_or_b32 exec_lo, exec_lo, s2
                                        ; implicit-def: $vgpr12_vgpr13
	s_and_saveexec_b32 s2, s6
	s_cbranch_execnz .LBB893_86
.LBB893_42:
	s_or_b32 exec_lo, exec_lo, s2
                                        ; implicit-def: $vgpr14_vgpr15
	s_and_saveexec_b32 s2, s7
	s_cbranch_execnz .LBB893_87
.LBB893_43:
	s_or_b32 exec_lo, exec_lo, s2
                                        ; implicit-def: $vgpr16_vgpr17
	s_and_saveexec_b32 s2, s8
	s_cbranch_execnz .LBB893_88
.LBB893_44:
	s_or_b32 exec_lo, exec_lo, s2
                                        ; implicit-def: $vgpr18_vgpr19
	s_and_saveexec_b32 s2, s9
	s_cbranch_execnz .LBB893_89
.LBB893_45:
	s_or_b32 exec_lo, exec_lo, s2
                                        ; implicit-def: $vgpr20_vgpr21
	s_and_saveexec_b32 s2, s10
	s_cbranch_execnz .LBB893_90
.LBB893_46:
	s_or_b32 exec_lo, exec_lo, s2
                                        ; implicit-def: $vgpr22_vgpr23
	s_and_saveexec_b32 s2, s11
	s_cbranch_execnz .LBB893_91
.LBB893_47:
	s_or_b32 exec_lo, exec_lo, s2
                                        ; implicit-def: $vgpr24_vgpr25
	s_and_saveexec_b32 s2, s12
	s_cbranch_execnz .LBB893_92
.LBB893_48:
	s_or_b32 exec_lo, exec_lo, s2
                                        ; implicit-def: $vgpr26_vgpr27
	s_and_saveexec_b32 s2, s13
	s_cbranch_execnz .LBB893_93
.LBB893_49:
	s_or_b32 exec_lo, exec_lo, s2
                                        ; implicit-def: $vgpr28_vgpr29
	s_and_saveexec_b32 s2, s14
	s_cbranch_execnz .LBB893_94
.LBB893_50:
	s_or_b32 exec_lo, exec_lo, s2
                                        ; implicit-def: $vgpr30_vgpr31
	s_and_saveexec_b32 s2, s15
	s_cbranch_execz .LBB893_52
.LBB893_51:
	global_load_b64 v[30:31], v0, s[16:17] offset:26624 scale_offset
	s_wait_loadcnt 0x0
	v_sub_nc_u64_e32 v[30:31], 0, v[30:31]
.LBB893_52:
	s_or_b32 exec_lo, exec_lo, s2
	v_mul_u32_u24_e32 v107, 14, v0
	ds_store_2addr_stride64_b64 v1, v[2:3], v[4:5] offset1:4
	ds_store_2addr_stride64_b64 v1, v[6:7], v[10:11] offset0:8 offset1:12
	ds_store_2addr_stride64_b64 v1, v[12:13], v[14:15] offset0:16 offset1:20
	;; [unrolled: 1-line block ×6, first 2 shown]
	v_mov_b64_e32 v[34:35], 0
	v_mov_b64_e32 v[32:33], 0
	;; [unrolled: 1-line block ×24, first 2 shown]
	v_cmp_gt_u32_e32 vcc_lo, s41, v107
	v_dual_mov_b32 v97, 0 :: v_dual_mov_b32 v90, 0
	v_dual_mov_b32 v96, 0 :: v_dual_mov_b32 v95, 0
	;; [unrolled: 1-line block ×11, first 2 shown]
	s_mov_b32 s5, 0
	s_mov_b32 s3, 0
	s_wait_dscnt 0x0
	s_barrier_signal -1
	s_barrier_wait -1
                                        ; implicit-def: $sgpr6
	s_and_saveexec_b32 s7, vcc_lo
	s_cbranch_execz .LBB893_78
; %bb.53:
	ds_load_b64 v[2:3], v103
	v_dual_mov_b32 v97, 0 :: v_dual_bitop2_b32 v1, 1, v107 bitop3:0x54
	v_mov_b64_e32 v[34:35], 0
	v_mov_b64_e32 v[32:33], 0
	;; [unrolled: 1-line block ×23, first 2 shown]
	v_cmp_gt_u32_e64 s2, s41, v1
	v_dual_mov_b32 v90, 0 :: v_dual_mov_b32 v96, 0
	v_dual_mov_b32 v95, 0 :: v_dual_mov_b32 v108, 0
	;; [unrolled: 1-line block ×9, first 2 shown]
	v_mov_b32_e32 v105, 0
	v_cmp_ne_u64_e32 vcc_lo, v[8:9], v[72:73]
                                        ; implicit-def: $sgpr6
	s_and_saveexec_b32 s8, s2
	s_cbranch_execz .LBB893_77
; %bb.54:
	ds_load_2addr_b64 v[6:9], v103 offset0:1 offset1:2
	v_cmp_ne_u64_e64 s2, v[74:75], v[82:83]
	v_cmp_ne_u64_e64 s4, v[72:73], v[80:81]
	v_dual_add_nc_u32 v5, 2, v107 :: v_dual_mov_b32 v97, 0
	v_cmp_ne_u64_e64 s3, v[78:79], v[66:67]
	v_mov_b64_e32 v[34:35], 0
	v_mov_b64_e32 v[32:33], 0
	v_cndmask_b32_e64 v1, 0, 1, s2
	v_cmp_ne_u64_e64 s2, v[76:77], v[64:65]
	v_mov_b64_e32 v[38:39], 0
	v_mov_b64_e32 v[36:37], 0
	;; [unrolled: 1-line block ×19, first 2 shown]
	v_lshlrev_b16 v1, 8, v1
	v_cndmask_b32_e64 v4, 0, 1, s4
	v_cmp_gt_u32_e64 s4, s41, v5
	v_dual_mov_b32 v90, 0 :: v_dual_mov_b32 v96, 0
	v_dual_mov_b32 v95, 0 :: v_dual_mov_b32 v89, 0
	;; [unrolled: 1-line block ×8, first 2 shown]
	v_mov_b32_e32 v105, 0
	s_mov_b32 s10, 0
                                        ; implicit-def: $sgpr6
	s_and_saveexec_b32 s9, s4
	s_cbranch_execz .LBB893_76
; %bb.55:
	v_cndmask_b32_e64 v5, 0, 1, s3
	v_cndmask_b32_e64 v10, 0, 1, s2
	v_and_b32_e32 v11, 0xffff, v1
	v_dual_mov_b32 v97, 0 :: v_dual_add_nc_u32 v12, 3, v107
	s_delay_alu instid0(VALU_DEP_4)
	v_lshlrev_b16 v5, 8, v5
	v_mov_b32_e32 v95, 0
	v_mov_b64_e32 v[34:35], 0
	v_mov_b64_e32 v[32:33], 0
	;; [unrolled: 1-line block ×3, first 2 shown]
	v_or_b32_e32 v5, v10, v5
	v_mov_b64_e32 v[36:37], 0
	v_mov_b64_e32 v[42:43], 0
	;; [unrolled: 1-line block ×4, first 2 shown]
	v_dual_mov_b32 v93, 0 :: v_dual_lshlrev_b32 v60, 16, v5
	v_mov_b64_e32 v[44:45], 0
	v_mov_b64_e32 v[62:63], 0
	;; [unrolled: 1-line block ×3, first 2 shown]
	s_delay_alu instid0(VALU_DEP_4) | instskip(SKIP_3) | instid1(VALU_DEP_4)
	v_dual_mov_b32 v91, 0 :: v_dual_bitop2_b32 v10, v11, v60 bitop3:0x54
	v_mov_b64_e32 v[30:31], 0
	v_mov_b64_e32 v[84:85], 0
	;; [unrolled: 1-line block ×3, first 2 shown]
	v_dual_mov_b32 v92, 0 :: v_dual_lshrrev_b32 v89, 8, v10
	v_mov_b64_e32 v[28:29], 0
	v_mov_b64_e32 v[22:23], 0
	;; [unrolled: 1-line block ×6, first 2 shown]
	v_dual_mov_b32 v90, 0 :: v_dual_mov_b32 v96, 0
	v_dual_mov_b32 v104, 0 :: v_dual_mov_b32 v101, 0
	v_cmp_gt_u32_e64 s2, s41, v12
	v_dual_mov_b32 v94, 0 :: v_dual_mov_b32 v102, 0
	v_dual_mov_b32 v100, 0 :: v_dual_mov_b32 v98, 0
	;; [unrolled: 1-line block ×3, first 2 shown]
	v_mov_b32_e32 v105, 0
	s_mov_b32 s3, 0
                                        ; implicit-def: $sgpr6
	s_and_saveexec_b32 s10, s2
	s_cbranch_execz .LBB893_75
; %bb.56:
	ds_load_2addr_b64 v[10:13], v103 offset0:3 offset1:4
	v_dual_mov_b32 v97, 0 :: v_dual_add_nc_u32 v14, 4, v107
	v_mov_b64_e32 v[34:35], 0
	v_mov_b64_e32 v[32:33], 0
	;; [unrolled: 1-line block ×3, first 2 shown]
	s_delay_alu instid0(VALU_DEP_4)
	v_cmp_gt_u32_e64 s2, s41, v14
	v_mov_b64_e32 v[36:37], 0
	v_mov_b64_e32 v[42:43], 0
	;; [unrolled: 1-line block ×14, first 2 shown]
	v_dual_mov_b32 v90, 0 :: v_dual_mov_b32 v96, 0
	v_dual_mov_b32 v95, 0 :: v_dual_mov_b32 v101, 0
	;; [unrolled: 1-line block ×6, first 2 shown]
	v_mov_b32_e32 v105, 0
                                        ; implicit-def: $sgpr6
	s_and_saveexec_b32 s11, s2
	s_cbranch_execz .LBB893_74
; %bb.57:
	v_dual_mov_b32 v97, 0 :: v_dual_add_nc_u32 v14, 5, v107
	v_mov_b64_e32 v[34:35], 0
	v_mov_b64_e32 v[32:33], 0
	v_mov_b64_e32 v[38:39], 0
	s_delay_alu instid0(VALU_DEP_4)
	v_cmp_gt_u32_e64 s2, s41, v14
	v_mov_b64_e32 v[36:37], 0
	v_mov_b64_e32 v[42:43], 0
	;; [unrolled: 1-line block ×12, first 2 shown]
	v_dual_mov_b32 v90, 0 :: v_dual_mov_b32 v96, 0
	v_dual_mov_b32 v95, 0 :: v_dual_mov_b32 v93, 0
	;; [unrolled: 1-line block ×5, first 2 shown]
                                        ; implicit-def: $sgpr6
	s_and_saveexec_b32 s12, s2
	s_cbranch_execz .LBB893_73
; %bb.58:
	ds_load_2addr_b64 v[14:17], v103 offset0:5 offset1:6
	v_cmp_ne_u64_e64 s2, v[68:69], v[70:71]
	v_cmp_ne_u64_e64 s4, v[66:67], v[68:69]
	v_dual_mov_b32 v90, 0 :: v_dual_add_nc_u32 v19, 6, v107
	v_cmp_ne_u64_e64 s3, v[52:53], v[54:55]
	v_mov_b64_e32 v[34:35], 0
	v_mov_b64_e32 v[32:33], 0
	v_cndmask_b32_e64 v18, 0, 1, s2
	v_cmp_ne_u64_e64 s2, v[70:71], v[52:53]
	v_cndmask_b32_e64 v45, 0, 1, s4
	v_cmp_gt_u32_e64 s4, s41, v19
	v_mov_b64_e32 v[38:39], 0
	v_lshlrev_b16 v44, 8, v18
	v_mov_b64_e32 v[36:37], 0
	v_mov_b64_e32 v[42:43], 0
	;; [unrolled: 1-line block ×10, first 2 shown]
	v_dual_mov_b32 v96, 0 :: v_dual_mov_b32 v95, 0
	v_dual_mov_b32 v93, 0 :: v_dual_mov_b32 v91, 0
	;; [unrolled: 1-line block ×4, first 2 shown]
	v_mov_b32_e32 v99, 0
	s_mov_b32 s14, 0
                                        ; implicit-def: $sgpr6
	s_and_saveexec_b32 s13, s4
	s_cbranch_execz .LBB893_72
; %bb.59:
	v_cndmask_b32_e64 v18, 0, 1, s3
	v_cndmask_b32_e64 v19, 0, 1, s2
	v_and_b32_e32 v20, 0xffff, v44
	v_mov_b64_e32 v[34:35], 0
	v_mov_b64_e32 v[32:33], 0
	v_lshlrev_b16 v18, 8, v18
	v_mov_b32_e32 v95, 0
	v_mov_b64_e32 v[38:39], 0
	v_mov_b64_e32 v[36:37], 0
	;; [unrolled: 1-line block ×3, first 2 shown]
	v_or_b32_e32 v40, v19, v18
	v_mov_b64_e32 v[18:19], 0
	v_mov_b64_e32 v[30:31], 0
	;; [unrolled: 1-line block ×4, first 2 shown]
	v_dual_mov_b32 v92, 0 :: v_dual_lshlrev_b32 v41, 16, v40
	v_mov_b64_e32 v[28:29], 0
	v_mov_b64_e32 v[22:23], 0
	v_dual_mov_b32 v96, 0 :: v_dual_add_nc_u32 v21, 7, v107
	s_delay_alu instid0(VALU_DEP_4) | instskip(SKIP_1) | instid1(VALU_DEP_2)
	v_dual_mov_b32 v94, 0 :: v_dual_bitop2_b32 v20, v20, v41 bitop3:0x54
	v_dual_mov_b32 v93, 0 :: v_dual_mov_b32 v91, 0
	v_dual_mov_b32 v99, 0 :: v_dual_lshrrev_b32 v90, 8, v20
	s_mov_b32 s3, 0
	s_mov_b32 s14, exec_lo
                                        ; implicit-def: $sgpr6
	v_cmpx_gt_u32_e64 s41, v21
	s_cbranch_execz .LBB893_71
; %bb.60:
	ds_load_2addr_b64 v[22:25], v103 offset0:7 offset1:8
	v_dual_mov_b32 v95, 0 :: v_dual_add_nc_u32 v18, 8, v107
	v_mov_b64_e32 v[34:35], 0
	v_mov_b64_e32 v[32:33], 0
	;; [unrolled: 1-line block ×3, first 2 shown]
	s_delay_alu instid0(VALU_DEP_4)
	v_cmp_gt_u32_e64 s2, s41, v18
	v_mov_b64_e32 v[36:37], 0
	v_mov_b64_e32 v[18:19], 0
	;; [unrolled: 1-line block ×6, first 2 shown]
	v_dual_mov_b32 v93, 0 :: v_dual_mov_b32 v91, 0
	v_dual_mov_b32 v92, 0 :: v_dual_mov_b32 v94, 0
                                        ; implicit-def: $sgpr6
	s_and_saveexec_b32 s15, s2
	s_cbranch_execz .LBB893_70
; %bb.61:
	v_dual_mov_b32 v93, 0 :: v_dual_add_nc_u32 v18, 9, v107
	v_mov_b64_e32 v[34:35], 0
	v_mov_b64_e32 v[32:33], 0
	v_mov_b64_e32 v[38:39], 0
	s_delay_alu instid0(VALU_DEP_4)
	v_cmp_gt_u32_e64 s2, s41, v18
	v_mov_b64_e32 v[18:19], 0
	v_mov_b64_e32 v[30:31], 0
	;; [unrolled: 1-line block ×4, first 2 shown]
	v_dual_mov_b32 v91, 0 :: v_dual_mov_b32 v92, 0
	v_mov_b32_e32 v94, 0
                                        ; implicit-def: $sgpr6
	s_and_saveexec_b32 s22, s2
	s_cbranch_execz .LBB893_69
; %bb.62:
	ds_load_2addr_b64 v[26:29], v103 offset0:9 offset1:10
	v_cmp_ne_u64_e64 s2, v[56:57], v[58:59]
	v_cmp_ne_u64_e64 s4, v[54:55], v[56:57]
	v_dual_add_nc_u32 v19, 10, v107 :: v_dual_mov_b32 v91, 0
	v_cmp_ne_u64_e64 s3, v[48:49], v[50:51]
	v_mov_b64_e32 v[34:35], 0
	v_mov_b64_e32 v[32:33], 0
	v_cndmask_b32_e64 v18, 0, 1, s2
	v_cmp_ne_u64_e64 s2, v[58:59], v[48:49]
	v_cndmask_b32_e64 v37, 0, 1, s4
	v_cmp_gt_u32_e64 s4, s41, v19
	v_mov_b64_e32 v[30:31], 0
	v_lshlrev_b16 v36, 8, v18
	v_mov_b64_e32 v[18:19], 0
	v_mov_b64_e32 v[84:85], 0
	v_dual_mov_b32 v92, 0 :: v_dual_mov_b32 v94, 0
	s_mov_b32 s46, 0
                                        ; implicit-def: $sgpr6
	s_and_saveexec_b32 s23, s4
	s_cbranch_execz .LBB893_68
; %bb.63:
	v_cndmask_b32_e64 v18, 0, 1, s3
	v_cndmask_b32_e64 v19, 0, 1, s2
	v_mov_b64_e32 v[30:31], 0
	s_mov_b32 s4, 0
	s_mov_b32 s3, exec_lo
	v_lshlrev_b16 v18, 8, v18
                                        ; implicit-def: $sgpr6
	v_dual_add_nc_u32 v20, 11, v107 :: v_dual_mov_b32 v92, 0
	s_delay_alu instid0(VALU_DEP_2) | instskip(SKIP_1) | instid1(VALU_DEP_2)
	v_dual_mov_b32 v94, 0 :: v_dual_bitop2_b32 v34, v19, v18 bitop3:0x54
	v_and_b32_e32 v18, 0xffff, v36
	v_lshlrev_b32_e32 v35, 16, v34
	s_delay_alu instid0(VALU_DEP_1) | instskip(SKIP_1) | instid1(VALU_DEP_2)
	v_or_b32_e32 v21, v18, v35
	v_mov_b64_e32 v[18:19], 0
	v_lshrrev_b32_e32 v91, 8, v21
	v_cmpx_gt_u32_e64 s41, v20
	s_cbranch_execz .LBB893_67
; %bb.64:
	ds_load_2addr_b64 v[30:33], v103 offset0:11 offset1:12
	v_mov_b64_e32 v[18:19], 0
	v_dual_add_nc_u32 v20, 12, v107 :: v_dual_mov_b32 v94, 0
	s_mov_b32 s46, exec_lo
                                        ; implicit-def: $sgpr6
	s_delay_alu instid0(VALU_DEP_1)
	v_cmpx_gt_u32_e64 s41, v20
	s_xor_b32 s46, exec_lo, s46
	s_cbranch_execz .LBB893_66
; %bb.65:
	ds_load_b64 v[20:21], v103 offset:104
	v_add_nc_u32_e32 v18, 13, v107
	v_cmp_ne_u64_e64 s6, v[50:51], v[86:87]
	v_lshrrev_b32_e32 v94, 24, v35
	s_delay_alu instid0(VALU_DEP_3)
	v_cmp_gt_u32_e64 s2, s41, v18
	s_wait_dscnt 0x1
	v_mov_b64_e32 v[18:19], v[32:33]
	s_and_b32 s4, s2, exec_lo
.LBB893_66:
	s_or_b32 exec_lo, exec_lo, s46
	v_mov_b32_e32 v92, v34
	s_and_b32 s4, s4, exec_lo
.LBB893_67:
	s_or_b32 exec_lo, exec_lo, s3
	s_wait_dscnt 0x0
	v_mov_b64_e32 v[34:35], v[30:31]
	v_mov_b64_e32 v[32:33], v[28:29]
	;; [unrolled: 1-line block ×3, first 2 shown]
	s_and_b32 s46, s4, exec_lo
.LBB893_68:
	s_or_b32 exec_lo, exec_lo, s23
	s_wait_dscnt 0x0
	v_mov_b64_e32 v[38:39], v[26:27]
	v_or_b32_e32 v93, v37, v36
	s_and_b32 s3, s46, exec_lo
.LBB893_69:
	s_or_b32 exec_lo, exec_lo, s22
	s_wait_dscnt 0x0
	v_mov_b64_e32 v[36:37], v[24:25]
	v_mov_b64_e32 v[28:29], v[24:25]
	v_lshrrev_b32_e32 v95, 24, v41
	s_and_b32 s3, s3, exec_lo
.LBB893_70:
	s_or_b32 exec_lo, exec_lo, s15
	s_wait_dscnt 0x0
	v_mov_b64_e32 v[42:43], v[22:23]
	v_dual_mov_b32 v96, v40 :: v_dual_mov_b32 v99, v95
	s_and_b32 s3, s3, exec_lo
.LBB893_71:
	s_or_b32 exec_lo, exec_lo, s14
	s_wait_dscnt 0x0
	v_mov_b64_e32 v[40:41], v[16:17]
	v_mov_b64_e32 v[24:25], v[16:17]
	v_dual_mov_b32 v100, v90 :: v_dual_mov_b32 v98, v96
	s_and_b32 s14, s3, exec_lo
.LBB893_72:
	s_or_b32 exec_lo, exec_lo, s13
	s_wait_dscnt 0x0
	v_mov_b64_e32 v[46:47], v[14:15]
	v_or_b32_e32 v97, v45, v44
	s_and_b32 s3, s14, exec_lo
.LBB893_73:
	s_or_b32 exec_lo, exec_lo, s12
	s_delay_alu instid0(VALU_DEP_1)
	v_dual_mov_b32 v102, v97 :: v_dual_lshrrev_b32 v101, 24, v60
	s_wait_dscnt 0x0
	v_mov_b64_e32 v[44:45], v[12:13]
	v_mov_b64_e32 v[16:17], v[12:13]
	s_and_b32 s3, s3, exec_lo
	v_mov_b32_e32 v105, v101
.LBB893_74:
	s_or_b32 exec_lo, exec_lo, s11
	s_wait_dscnt 0x0
	v_mov_b64_e32 v[62:63], v[10:11]
	v_dual_mov_b32 v104, v5 :: v_dual_mov_b32 v106, v5
	s_and_b32 s3, s3, exec_lo
.LBB893_75:
	s_or_b32 exec_lo, exec_lo, s10
	s_wait_dscnt 0x0
	v_mov_b64_e32 v[60:61], v[8:9]
	v_mov_b64_e32 v[12:13], v[8:9]
	v_mov_b32_e32 v109, v89
	s_and_b32 s10, s3, exec_lo
.LBB893_76:
	s_or_b32 exec_lo, exec_lo, s9
	v_or_b32_e32 v108, v4, v1
	s_wait_dscnt 0x0
	v_mov_b64_e32 v[4:5], v[6:7]
	s_and_b32 s3, s10, exec_lo
	s_delay_alu instid0(VALU_DEP_2)
	v_mov_b32_e32 v88, v108
.LBB893_77:
	s_or_b32 exec_lo, exec_lo, s8
	v_cndmask_b32_e64 v110, 0, 1, vcc_lo
	s_and_b32 s3, s3, exec_lo
	s_delay_alu instid0(VALU_DEP_1)
	v_mov_b32_e32 v1, v110
.LBB893_78:
	s_or_b32 exec_lo, exec_lo, s7
	v_lshlrev_b32_e32 v64, 3, v0
	s_and_b32 vcc_lo, exec_lo, s5
	s_cbranch_vccz .LBB893_100
.LBB893_79:
	s_wait_dscnt 0x0
	s_clause 0xd
	flat_load_b64 v[2:3], v0, s[18:19] scale_offset
	flat_load_b64 v[4:5], v0, s[18:19] offset:2048 scale_offset
	flat_load_b64 v[6:7], v0, s[18:19] offset:4096 scale_offset
	;; [unrolled: 1-line block ×13, first 2 shown]
	v_mad_u32_u24 v48, 0x68, v0, v64
	v_mov_b32_e32 v1, 0
	s_cmp_eq_u64 s[20:21], 0
	s_wait_loadcnt_dscnt 0xc0c
	ds_store_2addr_stride64_b64 v64, v[2:3], v[4:5] offset1:4
	s_wait_loadcnt_dscnt 0xa0b
	ds_store_2addr_stride64_b64 v64, v[6:7], v[8:9] offset0:8 offset1:12
	s_wait_loadcnt_dscnt 0x80a
	ds_store_2addr_stride64_b64 v64, v[10:11], v[12:13] offset0:16 offset1:20
	;; [unrolled: 2-line block ×6, first 2 shown]
	s_wait_dscnt 0x0
	s_barrier_signal -1
	s_barrier_wait -1
	ds_load_b128 v[6:9], v48 offset:16
	ds_load_2addr_b64 v[10:13], v48 offset0:3 offset1:4
	ds_load_b128 v[2:5], v48
	ds_load_2addr_b64 v[14:17], v48 offset0:1 offset1:2
	ds_load_2addr_b64 v[18:21], v48 offset0:7 offset1:8
	;; [unrolled: 1-line block ×5, first 2 shown]
	ds_load_b64 v[34:35], v48 offset:104
	s_cbranch_scc1 .LBB893_97
; %bb.80:
	s_and_not1_b32 vcc_lo, exec_lo, s47
	s_cbranch_vccnz .LBB893_95
; %bb.81:
	s_lshl_b64 s[2:3], s[20:21], 3
	s_delay_alu instid0(SALU_CYCLE_1) | instskip(NEXT) | instid1(SALU_CYCLE_1)
	s_add_nc_u64 s[2:3], s[42:43], s[2:3]
	s_add_nc_u64 s[18:19], s[2:3], -8
	s_mov_b32 s2, 0
	s_branch .LBB893_96
.LBB893_82:
	global_load_b64 v[2:3], v0, s[16:17] scale_offset
	s_wait_loadcnt 0x0
	v_sub_nc_u64_e32 v[2:3], 0, v[2:3]
	s_or_b32 exec_lo, exec_lo, s22
                                        ; implicit-def: $vgpr4_vgpr5
	s_and_saveexec_b32 s2, s3
	s_cbranch_execz .LBB893_39
.LBB893_83:
	global_load_b64 v[4:5], v0, s[16:17] offset:2048 scale_offset
	s_wait_loadcnt 0x0
	v_sub_nc_u64_e32 v[4:5], 0, v[4:5]
	s_or_b32 exec_lo, exec_lo, s2
                                        ; implicit-def: $vgpr6_vgpr7
	s_and_saveexec_b32 s2, s4
	s_cbranch_execz .LBB893_40
.LBB893_84:
	global_load_b64 v[6:7], v0, s[16:17] offset:4096 scale_offset
	s_wait_loadcnt 0x0
	v_sub_nc_u64_e32 v[6:7], 0, v[6:7]
	s_or_b32 exec_lo, exec_lo, s2
                                        ; implicit-def: $vgpr10_vgpr11
	s_and_saveexec_b32 s2, s5
	s_cbranch_execz .LBB893_41
.LBB893_85:
	global_load_b64 v[10:11], v0, s[16:17] offset:6144 scale_offset
	s_wait_loadcnt 0x0
	v_sub_nc_u64_e32 v[10:11], 0, v[10:11]
	s_or_b32 exec_lo, exec_lo, s2
                                        ; implicit-def: $vgpr12_vgpr13
	s_and_saveexec_b32 s2, s6
	s_cbranch_execz .LBB893_42
.LBB893_86:
	global_load_b64 v[12:13], v0, s[16:17] offset:8192 scale_offset
	s_wait_loadcnt 0x0
	v_sub_nc_u64_e32 v[12:13], 0, v[12:13]
	s_or_b32 exec_lo, exec_lo, s2
                                        ; implicit-def: $vgpr14_vgpr15
	s_and_saveexec_b32 s2, s7
	s_cbranch_execz .LBB893_43
.LBB893_87:
	global_load_b64 v[14:15], v0, s[16:17] offset:10240 scale_offset
	s_wait_loadcnt 0x0
	v_sub_nc_u64_e32 v[14:15], 0, v[14:15]
	s_or_b32 exec_lo, exec_lo, s2
                                        ; implicit-def: $vgpr16_vgpr17
	s_and_saveexec_b32 s2, s8
	s_cbranch_execz .LBB893_44
.LBB893_88:
	global_load_b64 v[16:17], v0, s[16:17] offset:12288 scale_offset
	s_wait_loadcnt 0x0
	v_sub_nc_u64_e32 v[16:17], 0, v[16:17]
	s_or_b32 exec_lo, exec_lo, s2
                                        ; implicit-def: $vgpr18_vgpr19
	s_and_saveexec_b32 s2, s9
	s_cbranch_execz .LBB893_45
.LBB893_89:
	global_load_b64 v[18:19], v0, s[16:17] offset:14336 scale_offset
	s_wait_loadcnt 0x0
	v_sub_nc_u64_e32 v[18:19], 0, v[18:19]
	s_or_b32 exec_lo, exec_lo, s2
                                        ; implicit-def: $vgpr20_vgpr21
	s_and_saveexec_b32 s2, s10
	s_cbranch_execz .LBB893_46
.LBB893_90:
	global_load_b64 v[20:21], v0, s[16:17] offset:16384 scale_offset
	s_wait_loadcnt 0x0
	v_sub_nc_u64_e32 v[20:21], 0, v[20:21]
	s_or_b32 exec_lo, exec_lo, s2
                                        ; implicit-def: $vgpr22_vgpr23
	s_and_saveexec_b32 s2, s11
	s_cbranch_execz .LBB893_47
.LBB893_91:
	global_load_b64 v[22:23], v0, s[16:17] offset:18432 scale_offset
	s_wait_loadcnt 0x0
	v_sub_nc_u64_e32 v[22:23], 0, v[22:23]
	s_or_b32 exec_lo, exec_lo, s2
                                        ; implicit-def: $vgpr24_vgpr25
	s_and_saveexec_b32 s2, s12
	s_cbranch_execz .LBB893_48
.LBB893_92:
	global_load_b64 v[24:25], v0, s[16:17] offset:20480 scale_offset
	s_wait_loadcnt 0x0
	v_sub_nc_u64_e32 v[24:25], 0, v[24:25]
	s_or_b32 exec_lo, exec_lo, s2
                                        ; implicit-def: $vgpr26_vgpr27
	s_and_saveexec_b32 s2, s13
	s_cbranch_execz .LBB893_49
.LBB893_93:
	global_load_b64 v[26:27], v0, s[16:17] offset:22528 scale_offset
	s_wait_loadcnt 0x0
	v_sub_nc_u64_e32 v[26:27], 0, v[26:27]
	s_or_b32 exec_lo, exec_lo, s2
                                        ; implicit-def: $vgpr28_vgpr29
	s_and_saveexec_b32 s2, s14
	s_cbranch_execz .LBB893_50
.LBB893_94:
	global_load_b64 v[28:29], v0, s[16:17] offset:24576 scale_offset
	s_wait_loadcnt 0x0
	v_sub_nc_u64_e32 v[28:29], 0, v[28:29]
	s_or_b32 exec_lo, exec_lo, s2
                                        ; implicit-def: $vgpr30_vgpr31
	s_and_saveexec_b32 s2, s15
	s_cbranch_execnz .LBB893_51
	s_branch .LBB893_52
.LBB893_95:
	s_add_nc_u64 s[18:19], s[18:19], -8
	s_mov_b32 s2, -1
.LBB893_96:
	s_delay_alu instid0(SALU_CYCLE_1)
	s_and_not1_b32 vcc_lo, exec_lo, s2
.LBB893_97:
	flat_load_b64 v[36:37], v1, s[18:19]
	s_wait_xcnt 0x0
	v_mad_i32_i24 v1, 0xffffff98, v0, v48
	s_mov_b32 s2, exec_lo
	s_wait_dscnt 0x1
	ds_store_b64 v1, v[34:35] offset:28672
	s_wait_loadcnt_dscnt 0x0
	s_barrier_signal -1
	s_barrier_wait -1
	v_cmpx_ne_u32_e32 0, v0
; %bb.98:
	v_mul_i32_i24_e32 v1, 0xffffff98, v0
	s_delay_alu instid0(VALU_DEP_1)
	v_add_nc_u32_e32 v1, v48, v1
	ds_load_b64 v[36:37], v1 offset:28664
; %bb.99:
	s_or_b32 exec_lo, exec_lo, s2
	s_wait_dscnt 0x0
	s_barrier_signal -1
	s_barrier_wait -1
	s_clause 0xd
	global_load_b64 v[38:39], v0, s[16:17] scale_offset
	global_load_b64 v[40:41], v0, s[16:17] offset:2048 scale_offset
	global_load_b64 v[42:43], v0, s[16:17] offset:4096 scale_offset
	;; [unrolled: 1-line block ×13, first 2 shown]
	v_cmp_ne_u64_e32 vcc_lo, v[30:31], v[32:33]
	v_cmp_ne_u64_e64 s6, v[28:29], v[34:35]
	s_mov_b32 s3, -1
	v_cndmask_b32_e64 v1, 0, 1, vcc_lo
	v_cmp_ne_u64_e32 vcc_lo, v[20:21], v[30:31]
	v_cndmask_b32_e64 v30, 0, 1, vcc_lo
	v_cmp_ne_u64_e32 vcc_lo, v[26:27], v[28:29]
	;; [unrolled: 2-line block ×9, first 2 shown]
	s_delay_alu instid0(VALU_DEP_2) | instskip(SKIP_3) | instid1(VALU_DEP_4)
	v_lshlrev_b16 v4, 8, v4
	v_cndmask_b32_e64 v5, 0, 1, vcc_lo
	v_cmp_ne_u64_e32 vcc_lo, v[8:9], v[12:13]
	v_lshlrev_b16 v9, 8, v20
	v_and_b32_e32 v49, 0xffff, v4
	s_delay_alu instid0(VALU_DEP_4) | instskip(SKIP_3) | instid1(VALU_DEP_3)
	v_or_b32_e32 v108, v5, v4
	v_cndmask_b32_e64 v8, 0, 1, vcc_lo
	v_cmp_ne_u64_e32 vcc_lo, v[6:7], v[10:11]
	v_lshlrev_b16 v7, 8, v27
	v_lshlrev_b16 v8, 8, v8
	s_delay_alu instid0(VALU_DEP_2) | instskip(SKIP_4) | instid1(VALU_DEP_4)
	v_and_b32_e32 v31, 0xffff, v7
	v_cndmask_b32_e64 v6, 0, 1, vcc_lo
	v_cmp_ne_u64_e32 vcc_lo, v[36:37], v[2:3]
	v_lshlrev_b16 v2, 8, v1
	v_lshlrev_b16 v3, 8, v28
	v_or_b32_e32 v104, v6, v8
	v_or_b32_e32 v97, v22, v7
	v_cndmask_b32_e64 v110, 0, 1, vcc_lo
	s_delay_alu instid0(VALU_DEP_3) | instskip(NEXT) | instid1(VALU_DEP_2)
	v_dual_lshlrev_b32 v71, 16, v104 :: v_dual_bitop2_b32 v96, v18, v9 bitop3:0x54
	v_dual_mov_b32 v102, v97 :: v_dual_mov_b32 v1, v110
	v_or_b32_e32 v92, v26, v3
	s_delay_alu instid0(VALU_DEP_3) | instskip(SKIP_2) | instid1(VALU_DEP_4)
	v_dual_lshrrev_b32 v101, 24, v71 :: v_dual_lshlrev_b32 v70, 16, v96
	v_or_b32_e32 v93, v30, v2
	v_and_b32_e32 v30, 0xffff, v2
	v_dual_mov_b32 v98, v96 :: v_dual_lshlrev_b32 v65, 16, v92
	s_delay_alu instid0(VALU_DEP_4) | instskip(NEXT) | instid1(VALU_DEP_2)
	v_dual_mov_b32 v88, v108 :: v_dual_lshrrev_b32 v95, 24, v70
	v_dual_mov_b32 v106, v104 :: v_dual_lshrrev_b32 v94, 24, v65
	s_delay_alu instid0(VALU_DEP_2)
	v_mov_b32_e32 v99, v95
	s_wait_loadcnt 0xd
	v_sub_nc_u64_e32 v[2:3], 0, v[38:39]
	s_wait_loadcnt 0xc
	v_sub_nc_u64_e32 v[4:5], 0, v[40:41]
	;; [unrolled: 2-line block ×14, first 2 shown]
	ds_store_2addr_stride64_b64 v64, v[2:3], v[4:5] offset1:4
	ds_store_2addr_stride64_b64 v64, v[6:7], v[8:9] offset0:8 offset1:12
	ds_store_2addr_stride64_b64 v64, v[10:11], v[12:13] offset0:16 offset1:20
	;; [unrolled: 1-line block ×6, first 2 shown]
	s_wait_dscnt 0x0
	s_barrier_signal -1
	s_barrier_wait -1
	ds_load_b128 v[36:39], v48 offset:64
	ds_load_b128 v[32:35], v48 offset:80
	;; [unrolled: 1-line block ×4, first 2 shown]
	ds_load_b128 v[2:5], v48
	ds_load_b128 v[60:63], v48 offset:16
	ds_load_b128 v[18:21], v48 offset:96
	v_or_b32_e32 v6, v30, v65
	v_or_b32_e32 v7, v31, v70
	s_delay_alu instid0(VALU_DEP_2) | instskip(NEXT) | instid1(VALU_DEP_1)
	v_dual_lshrrev_b32 v91, 8, v6 :: v_dual_bitop2_b32 v8, v49, v71 bitop3:0x54
	v_dual_lshrrev_b32 v90, 8, v7 :: v_dual_lshrrev_b32 v89, 8, v8
	s_delay_alu instid0(VALU_DEP_1) | instskip(NEXT) | instid1(VALU_DEP_2)
	v_dual_mov_b32 v105, v101 :: v_dual_mov_b32 v100, v90
	v_mov_b32_e32 v109, v89
	s_wait_dscnt 0x6
	v_mov_b64_e32 v[26:27], v[38:39]
	s_wait_dscnt 0x5
	v_mov_b64_e32 v[30:31], v[34:35]
	v_mov_b64_e32 v[84:85], v[32:33]
	v_mov_b64_e32 v[28:29], v[36:37]
	s_wait_dscnt 0x3
	v_mov_b64_e32 v[22:23], v[42:43]
	v_mov_b64_e32 v[24:25], v[40:41]
	;; [unrolled: 4-line block ×3, first 2 shown]
	v_mov_b64_e32 v[10:11], v[62:63]
	v_mov_b64_e32 v[6:7], v[4:5]
.LBB893_100:
	v_mov_b64_e32 v[8:9], 0
	v_mov_b32_e32 v65, 0
	s_and_saveexec_b32 s2, s3
	s_cbranch_execz .LBB893_102
; %bb.101:
	v_mov_b64_e32 v[6:7], v[4:5]
	v_mov_b64_e32 v[12:13], v[60:61]
	;; [unrolled: 1-line block ×11, first 2 shown]
	s_wait_dscnt 0x0
	v_mov_b64_e32 v[8:9], v[20:21]
	v_cndmask_b32_e64 v65, 0, 1, s6
	v_dual_mov_b32 v1, v110 :: v_dual_mov_b32 v88, v108
	v_dual_mov_b32 v109, v89 :: v_dual_mov_b32 v106, v104
	;; [unrolled: 1-line block ×4, first 2 shown]
	v_mov_b32_e32 v99, v95
.LBB893_102:
	s_or_b32 exec_lo, exec_lo, s2
	v_dual_lshrrev_b32 v63, 1, v0 :: v_dual_bitop2_b32 v66, 1, v109 bitop3:0x40
	v_and_b32_e32 v62, 1, v102
	s_delay_alu instid0(VALU_DEP_3)
	v_and_b32_e32 v61, 1, v99
	v_and_b32_e32 v60, 1, v92
	;; [unrolled: 1-line block ×6, first 2 shown]
	v_cmp_eq_u32_e64 s15, 1, v66
	v_bitop3_b16 v68, v105, 0xff, v106 bitop3:0xc8
	v_and_b32_e32 v74, 0xff, v99
	v_and_b32_e32 v76, 0xff, v98
	;; [unrolled: 1-line block ×4, first 2 shown]
	v_cmp_eq_u32_e64 s16, 1, v62
	v_bitop3_b16 v69, v98, 0xff, v100 bitop3:0xc8
	v_cmp_eq_u32_e64 s17, 1, v61
	v_and_b32_e32 v71, 0xff, v94
	v_and_b32_e32 v72, 0xff, v92
	;; [unrolled: 1-line block ×4, first 2 shown]
	v_bitop3_b16 v70, v91, 0xff, v93 bitop3:0xc8
	v_cmp_eq_u32_e64 s18, 1, v60
	v_cmp_eq_u16_e64 s2, 0, v65
	v_bitop3_b16 v67, v65, 0xff, v94 bitop3:0xc8
	s_cmp_lg_u32 s40, 0
	s_wait_dscnt 0x0
	v_cmp_gt_u32_e32 vcc_lo, 32, v0
	s_barrier_signal -1
	s_barrier_wait -1
	s_cbranch_scc0 .LBB893_152
; %bb.103:
	v_cmp_eq_u16_e64 s3, 0, v82
	v_cmp_eq_u16_e64 s4, 0, v81
	;; [unrolled: 1-line block ×5, first 2 shown]
	v_dual_cndmask_b32 v5, 0, v3, s3 :: v_dual_cndmask_b32 v4, 0, v2, s3
	v_cmp_eq_u16_e64 s8, 0, v77
	v_cmp_eq_u16_e64 s9, 0, v76
	;; [unrolled: 1-line block ×4, first 2 shown]
	v_add_nc_u64_e32 v[4:5], v[4:5], v[6:7]
	v_cmp_eq_u16_e64 s12, 0, v73
	v_cmp_eq_u16_e64 s13, 0, v72
	;; [unrolled: 1-line block ×3, first 2 shown]
	v_cmp_ne_u16_e64 s21, 0, v70
	v_bitop3_b16 v20, v88, 0xff, v1 bitop3:0xc8
	v_cmp_ne_u16_e64 s20, 0, v69
	v_dual_cndmask_b32 v5, 0, v5, s4 :: v_dual_cndmask_b32 v4, 0, v4, s4
	v_cmp_ne_u16_e64 s22, 0, v67
	v_cmp_ne_u16_e64 s19, 0, v68
	s_or_b32 s18, s21, s18
	v_cmp_ne_u16_e64 s23, 0, v20
	v_add_nc_u64_e32 v[4:5], v[4:5], v[12:13]
	s_or_b32 s17, s20, s17
	s_or_b32 s18, s22, s18
	;; [unrolled: 1-line block ×4, first 2 shown]
	v_and_b32_e32 v21, 0x70, v63
	s_or_b32 s15, s23, s15
	v_dual_cndmask_b32 v5, 0, v5, s5 :: v_dual_cndmask_b32 v4, 0, v4, s5
	s_or_b32 s16, s17, s16
	s_delay_alu instid0(VALU_DEP_2) | instskip(SKIP_1) | instid1(VALU_DEP_2)
	v_lshl_add_u32 v20, v0, 4, v21
	s_or_b32 s20, s16, s15
	v_add_nc_u64_e32 v[4:5], v[4:5], v[10:11]
	v_cndmask_b32_e64 v35, 0, 1, s20
	s_delay_alu instid0(VALU_DEP_2) | instskip(NEXT) | instid1(VALU_DEP_1)
	v_dual_cndmask_b32 v5, 0, v5, s6 :: v_dual_cndmask_b32 v4, 0, v4, s6
	v_add_nc_u64_e32 v[4:5], v[4:5], v[16:17]
	s_delay_alu instid0(VALU_DEP_1) | instskip(NEXT) | instid1(VALU_DEP_1)
	v_dual_cndmask_b32 v5, 0, v5, s7 :: v_dual_cndmask_b32 v4, 0, v4, s7
	v_add_nc_u64_e32 v[4:5], v[4:5], v[14:15]
	s_delay_alu instid0(VALU_DEP_1) | instskip(NEXT) | instid1(VALU_DEP_1)
	;; [unrolled: 3-line block ×9, first 2 shown]
	v_dual_cndmask_b32 v5, 0, v5, s2 :: v_dual_cndmask_b32 v4, 0, v4, s2
	v_add_nc_u64_e32 v[4:5], v[4:5], v[8:9]
	ds_store_b64 v20, v[4:5]
	ds_store_b8 v20, v35 offset:8
	s_wait_dscnt 0x0
	s_barrier_signal -1
	s_barrier_wait -1
	s_and_saveexec_b32 s18, vcc_lo
	s_cbranch_execz .LBB893_115
; %bb.104:
	v_dual_lshlrev_b32 v20, 2, v0 :: v_dual_lshlrev_b32 v21, 7, v0
	s_delay_alu instid0(VALU_DEP_1) | instskip(NEXT) | instid1(VALU_DEP_1)
	v_and_b32_e32 v20, 0x3f0, v20
	v_add_nc_u32_e32 v34, v20, v21
	ds_load_u8 v37, v34 offset:24
	ds_load_b64 v[20:21], v34
	ds_load_2addr_b64 v[38:41], v34 offset0:2 offset1:4
	ds_load_u8 v46, v34 offset:40
	ds_load_b32 v36, v34 offset:8
	ds_load_u8 v47, v34 offset:56
	ds_load_u8 v48, v34 offset:72
	;; [unrolled: 1-line block ×4, first 2 shown]
	s_wait_dscnt 0x8
	v_cmp_eq_u16_e64 s15, 0, v37
	s_wait_dscnt 0x7
	s_delay_alu instid0(VALU_DEP_1)
	v_dual_cndmask_b32 v33, 0, v21, s15 :: v_dual_cndmask_b32 v32, 0, v20, s15
	s_wait_dscnt 0x5
	v_cmp_eq_u16_e64 s15, 0, v46
	ds_load_2addr_b64 v[42:45], v34 offset0:6 offset1:8
	s_wait_dscnt 0x4
	v_bitop3_b16 v37, v46, v47, v37 bitop3:0xfe
	v_add_nc_u64_e32 v[32:33], v[32:33], v[38:39]
	s_delay_alu instid0(VALU_DEP_1) | instskip(SKIP_1) | instid1(VALU_DEP_2)
	v_dual_cndmask_b32 v33, 0, v33, s15 :: v_dual_cndmask_b32 v32, 0, v32, s15
	v_cmp_eq_u16_e64 s15, 0, v47
	v_add_nc_u64_e32 v[32:33], v[32:33], v[40:41]
	ds_load_2addr_b64 v[38:41], v34 offset0:10 offset1:12
	ds_load_u8 v51, v34 offset:120
	v_dual_cndmask_b32 v33, 0, v33, s15 :: v_dual_cndmask_b32 v32, 0, v32, s15
	s_wait_dscnt 0x5
	v_cmp_eq_u16_e64 s15, 0, v48
	s_wait_dscnt 0x2
	s_delay_alu instid0(VALU_DEP_2) | instskip(SKIP_1) | instid1(VALU_DEP_2)
	v_add_nc_u64_e32 v[32:33], v[32:33], v[42:43]
	v_bitop3_b16 v42, v49, v50, v48 bitop3:0xfe
	v_dual_cndmask_b32 v33, 0, v33, s15 :: v_dual_cndmask_b32 v32, 0, v32, s15
	v_cmp_eq_u16_e64 s15, 0, v49
	s_wait_dscnt 0x0
	s_delay_alu instid0(VALU_DEP_3) | instskip(SKIP_3) | instid1(VALU_DEP_1)
	v_bitop3_b16 v37, v51, v37, v42 bitop3:0xfe
	ds_load_b64 v[42:43], v34 offset:112
	v_cmp_eq_u16_e64 s17, 0, v51
	v_add_nc_u64_e32 v[32:33], v[32:33], v[44:45]
	v_dual_cndmask_b32 v32, 0, v32, s15 :: v_dual_bitop2_b32 v37, 1, v37 bitop3:0x40
	s_delay_alu instid0(VALU_DEP_2) | instskip(SKIP_1) | instid1(VALU_DEP_3)
	v_cndmask_b32_e64 v33, 0, v33, s15
	v_cmp_eq_u16_e64 s15, 0, v50
	v_cmp_eq_u32_e64 s16, 1, v37
	v_and_b32_e32 v37, 0xffffff00, v36
	s_delay_alu instid0(VALU_DEP_4) | instskip(NEXT) | instid1(VALU_DEP_1)
	v_add_nc_u64_e32 v[32:33], v[32:33], v[38:39]
	v_dual_cndmask_b32 v33, 0, v33, s15 :: v_dual_bitop2_b32 v38, 1, v36 bitop3:0x40
	s_delay_alu instid0(VALU_DEP_2) | instskip(NEXT) | instid1(VALU_DEP_2)
	v_cndmask_b32_e64 v32, 0, v32, s15
	v_cmp_eq_u32_e64 s15, 1, v38
	v_mbcnt_lo_u32_b32 v38, -1, 0
	s_delay_alu instid0(VALU_DEP_3) | instskip(SKIP_1) | instid1(SALU_CYCLE_1)
	v_add_nc_u64_e32 v[32:33], v[32:33], v[40:41]
	s_or_b32 s16, s16, s15
	v_cndmask_b32_e64 v40, 0, 1, s16
	v_cndmask_b32_e64 v39, 0, 1, s16
	s_delay_alu instid0(VALU_DEP_3) | instskip(NEXT) | instid1(VALU_DEP_3)
	v_dual_cndmask_b32 v33, 0, v33, s17 :: v_dual_cndmask_b32 v32, 0, v32, s17
	v_or_b32_e32 v41, v37, v40
	v_and_b32_e32 v40, 15, v38
	s_mov_b32 s17, exec_lo
	s_wait_dscnt 0x0
	v_add_nc_u64_e32 v[32:33], v[32:33], v[42:43]
	v_mov_b32_dpp v43, v41 row_shr:1 row_mask:0xf bank_mask:0xf
	s_delay_alu instid0(VALU_DEP_2) | instskip(NEXT) | instid1(VALU_DEP_3)
	v_mov_b32_dpp v42, v32 row_shr:1 row_mask:0xf bank_mask:0xf
	v_mov_b32_dpp v44, v33 row_shr:1 row_mask:0xf bank_mask:0xf
	v_cmpx_ne_u32_e32 0, v40
; %bb.105:
	s_delay_alu instid0(VALU_DEP_4) | instskip(NEXT) | instid1(VALU_DEP_3)
	v_bitop3_b16 v39, v43, v39, 1 bitop3:0xec
	v_cndmask_b32_e64 v43, v44, 0, s16
	v_cndmask_b32_e64 v42, v42, 0, s16
	s_delay_alu instid0(VALU_DEP_3) | instskip(NEXT) | instid1(VALU_DEP_2)
	v_and_b32_e32 v41, 0xffff, v39
	v_add_nc_u64_e32 v[32:33], v[42:43], v[32:33]
	s_delay_alu instid0(VALU_DEP_2)
	v_or_b32_e32 v41, v37, v41
; %bb.106:
	s_or_b32 exec_lo, exec_lo, s17
	s_delay_alu instid0(VALU_DEP_2) | instskip(NEXT) | instid1(VALU_DEP_3)
	v_mov_b32_dpp v42, v32 row_shr:2 row_mask:0xf bank_mask:0xf
	v_mov_b32_dpp v43, v33 row_shr:2 row_mask:0xf bank_mask:0xf
	s_delay_alu instid0(VALU_DEP_3)
	v_mov_b32_dpp v44, v41 row_shr:2 row_mask:0xf bank_mask:0xf
	s_mov_b32 s19, exec_lo
	v_cmpx_lt_u32_e32 1, v40
	s_cbranch_execz .LBB893_108
; %bb.107:
	v_cmp_eq_u16_e64 s15, 0, v39
	v_and_b32_e32 v41, 1, v39
	s_delay_alu instid0(VALU_DEP_2) | instskip(SKIP_1) | instid1(VALU_DEP_3)
	v_dual_cndmask_b32 v43, 0, v43, s15 :: v_dual_bitop2_b32 v44, 1, v44 bitop3:0x40
	v_cndmask_b32_e64 v42, 0, v42, s15
	v_cmp_eq_u32_e64 s16, 1, v41
	s_delay_alu instid0(VALU_DEP_3) | instskip(NEXT) | instid1(VALU_DEP_3)
	v_cmp_eq_u32_e64 s17, 1, v44
	v_add_nc_u64_e32 v[32:33], v[42:43], v[32:33]
	s_or_b32 s15, s16, s17
	s_delay_alu instid0(SALU_CYCLE_1) | instskip(SKIP_1) | instid1(VALU_DEP_2)
	v_cndmask_b32_e64 v41, 0, 1, s15
	v_cndmask_b32_e64 v39, 0, 1, s15
	v_or_b32_e32 v41, v37, v41
.LBB893_108:
	s_or_b32 exec_lo, exec_lo, s19
	s_delay_alu instid0(VALU_DEP_4) | instskip(SKIP_1) | instid1(VALU_DEP_3)
	v_mov_b32_dpp v42, v32 row_shr:4 row_mask:0xf bank_mask:0xf
	v_mov_b32_dpp v43, v33 row_shr:4 row_mask:0xf bank_mask:0xf
	;; [unrolled: 1-line block ×3, first 2 shown]
	s_mov_b32 s19, exec_lo
	v_cmpx_lt_u32_e32 3, v40
	s_cbranch_execz .LBB893_110
; %bb.109:
	v_cmp_eq_u16_e64 s15, 0, v39
	v_and_b32_e32 v41, 1, v39
	s_delay_alu instid0(VALU_DEP_2) | instskip(SKIP_1) | instid1(VALU_DEP_3)
	v_dual_cndmask_b32 v43, 0, v43, s15 :: v_dual_bitop2_b32 v44, 1, v44 bitop3:0x40
	v_cndmask_b32_e64 v42, 0, v42, s15
	v_cmp_eq_u32_e64 s16, 1, v41
	s_delay_alu instid0(VALU_DEP_3) | instskip(NEXT) | instid1(VALU_DEP_3)
	v_cmp_eq_u32_e64 s17, 1, v44
	v_add_nc_u64_e32 v[32:33], v[42:43], v[32:33]
	s_or_b32 s15, s16, s17
	s_delay_alu instid0(SALU_CYCLE_1) | instskip(SKIP_1) | instid1(VALU_DEP_2)
	v_cndmask_b32_e64 v41, 0, 1, s15
	v_cndmask_b32_e64 v39, 0, 1, s15
	v_or_b32_e32 v41, v37, v41
.LBB893_110:
	s_or_b32 exec_lo, exec_lo, s19
	s_delay_alu instid0(VALU_DEP_4) | instskip(SKIP_1) | instid1(VALU_DEP_3)
	v_mov_b32_dpp v42, v32 row_shr:8 row_mask:0xf bank_mask:0xf
	v_mov_b32_dpp v43, v33 row_shr:8 row_mask:0xf bank_mask:0xf
	;; [unrolled: 1-line block ×3, first 2 shown]
	s_mov_b32 s19, exec_lo
	v_cmpx_lt_u32_e32 7, v40
	s_cbranch_execz .LBB893_112
; %bb.111:
	v_and_b32_e32 v40, 1, v39
	v_cmp_eq_u16_e64 s15, 0, v39
	v_and_b32_e32 v41, 1, v44
	s_delay_alu instid0(VALU_DEP_3) | instskip(NEXT) | instid1(VALU_DEP_3)
	v_cmp_eq_u32_e64 s16, 1, v40
	v_cndmask_b32_e64 v40, 0, v42, s15
	s_delay_alu instid0(VALU_DEP_3) | instskip(SKIP_2) | instid1(VALU_DEP_1)
	v_cmp_eq_u32_e64 s17, 1, v41
	v_cndmask_b32_e64 v41, 0, v43, s15
	s_or_b32 s15, s16, s17
	v_add_nc_u64_e32 v[32:33], v[40:41], v[32:33]
	v_cndmask_b32_e64 v42, 0, 1, s15
	v_cndmask_b32_e64 v39, 0, 1, s15
	s_delay_alu instid0(VALU_DEP_2)
	v_or_b32_e32 v41, v37, v42
.LBB893_112:
	s_or_b32 exec_lo, exec_lo, s19
	ds_swizzle_b32 v40, v32 offset:swizzle(BROADCAST,32,15)
	ds_swizzle_b32 v42, v33 offset:swizzle(BROADCAST,32,15)
	;; [unrolled: 1-line block ×3, first 2 shown]
	v_and_b32_e32 v43, 16, v38
	s_mov_b32 s17, exec_lo
	s_delay_alu instid0(VALU_DEP_1)
	v_cmpx_ne_u32_e32 0, v43
	s_cbranch_execz .LBB893_114
; %bb.113:
	v_cmp_eq_u16_e64 s15, 0, v39
	v_and_b32_e32 v39, 1, v39
	s_wait_dscnt 0x0
	s_delay_alu instid0(VALU_DEP_2) | instskip(SKIP_1) | instid1(VALU_DEP_3)
	v_dual_cndmask_b32 v40, 0, v40, s15 :: v_dual_bitop2_b32 v43, 1, v41 bitop3:0x40
	v_cndmask_b32_e64 v41, 0, v42, s15
	v_cmp_eq_u32_e64 s15, 1, v39
	s_delay_alu instid0(VALU_DEP_3) | instskip(NEXT) | instid1(VALU_DEP_3)
	v_cmp_eq_u32_e64 s16, 1, v43
	v_add_nc_u64_e32 v[32:33], v[40:41], v[32:33]
	s_or_b32 s15, s15, s16
	s_delay_alu instid0(SALU_CYCLE_1)
	v_cndmask_b32_e64 v39, 0, 1, s15
.LBB893_114:
	s_or_b32 exec_lo, exec_lo, s17
	s_wait_dscnt 0x2
	v_add_nc_u32_e32 v40, -1, v38
	s_delay_alu instid0(VALU_DEP_2) | instskip(NEXT) | instid1(VALU_DEP_2)
	v_and_b32_e32 v39, 0xffff, v39
	; wave barrier
	v_cmp_gt_i32_e64 s15, 0, v40
	s_delay_alu instid0(VALU_DEP_1) | instskip(NEXT) | instid1(VALU_DEP_1)
	v_dual_cndmask_b32 v38, v40, v38, s15 :: v_dual_bitop2_b32 v37, v37, v39 bitop3:0x54
	v_lshlrev_b32_e32 v38, 2, v38
	ds_bpermute_b32 v33, v38, v33
	ds_bpermute_b32 v32, v38, v32
	;; [unrolled: 1-line block ×3, first 2 shown]
	v_and_b32_e32 v38, 0xff, v36
	s_delay_alu instid0(VALU_DEP_1) | instskip(SKIP_1) | instid1(VALU_DEP_1)
	v_cmp_eq_u32_e64 s15, 0, v38
	s_wait_dscnt 0x1
	v_dual_cndmask_b32 v33, 0, v33, s15 :: v_dual_cndmask_b32 v32, 0, v32, s15
	v_cmp_eq_u32_e64 s15, 0, v0
	s_wait_dscnt 0x0
	v_or_b32_e32 v36, v37, v36
	s_delay_alu instid0(VALU_DEP_3) | instskip(NEXT) | instid1(VALU_DEP_1)
	v_add_nc_u64_e32 v[20:21], v[32:33], v[20:21]
	v_dual_cndmask_b32 v21, v21, v5, s15 :: v_dual_bitop2_b32 v32, 1, v36 bitop3:0x40
	s_delay_alu instid0(VALU_DEP_2) | instskip(NEXT) | instid1(VALU_DEP_2)
	v_cndmask_b32_e64 v20, v20, v4, s15
	v_cndmask_b32_e64 v35, v32, v35, s15
	ds_store_b64 v34, v[20:21]
	ds_store_b8 v34, v35 offset:8
	; wave barrier
	ds_load_u8 v48, v34 offset:24
	ds_load_2addr_b64 v[36:39], v34 offset0:2 offset1:4
	ds_load_u8 v49, v34 offset:40
	ds_load_u8 v50, v34 offset:56
	;; [unrolled: 1-line block ×5, first 2 shown]
	ds_load_b64 v[32:33], v34 offset:112
	ds_load_u8 v54, v34 offset:120
	s_wait_dscnt 0x8
	v_and_b32_e32 v40, 0xff, v48
	v_bitop3_b16 v56, v48, 1, v35 bitop3:0xc8
	s_wait_dscnt 0x5
	v_and_b32_e32 v46, 0xff, v50
	s_delay_alu instid0(VALU_DEP_3) | instskip(SKIP_3) | instid1(VALU_DEP_3)
	v_cmp_eq_u16_e64 s15, 0, v40
	v_and_b32_e32 v40, 0xff, v49
	s_wait_dscnt 0x3
	v_and_b32_e32 v55, 0xff, v52
	v_dual_cndmask_b32 v21, 0, v21, s15 :: v_dual_cndmask_b32 v20, 0, v20, s15
	s_delay_alu instid0(VALU_DEP_3) | instskip(SKIP_2) | instid1(VALU_DEP_1)
	v_cmp_eq_u16_e64 s15, 0, v40
	ds_load_2addr_b64 v[40:43], v34 offset0:6 offset1:8
	v_add_nc_u64_e32 v[20:21], v[20:21], v[36:37]
	v_dual_cndmask_b32 v37, 0, v21, s15 :: v_dual_cndmask_b32 v36, 0, v20, s15
	v_cmp_eq_u16_e64 s15, 0, v46
	s_delay_alu instid0(VALU_DEP_2) | instskip(SKIP_1) | instid1(VALU_DEP_2)
	v_add_nc_u64_e32 v[44:45], v[36:37], v[38:39]
	v_and_b32_e32 v38, 0xff, v51
	v_dual_cndmask_b32 v37, 0, v45, s15 :: v_dual_cndmask_b32 v36, 0, v44, s15
	s_delay_alu instid0(VALU_DEP_2) | instskip(SKIP_1) | instid1(VALU_DEP_2)
	v_cmp_eq_u16_e64 s15, 0, v38
	s_wait_dscnt 0x0
	v_add_nc_u64_e32 v[40:41], v[36:37], v[40:41]
	ds_load_2addr_b64 v[36:39], v34 offset0:10 offset1:12
	v_dual_cndmask_b32 v47, 0, v41, s15 :: v_dual_cndmask_b32 v46, 0, v40, s15
	v_cmp_eq_u16_e64 s15, 0, v55
	v_and_b32_e32 v55, 0xff, v53
	s_delay_alu instid0(VALU_DEP_3) | instskip(NEXT) | instid1(VALU_DEP_1)
	v_add_nc_u64_e32 v[42:43], v[46:47], v[42:43]
	v_dual_cndmask_b32 v47, 0, v43, s15 :: v_dual_cndmask_b32 v46, 0, v42, s15
	s_delay_alu instid0(VALU_DEP_3) | instskip(SKIP_4) | instid1(VALU_DEP_3)
	v_cmp_eq_u16_e64 s15, 0, v55
	v_or_b32_e32 v55, v48, v35
	v_bitop3_b16 v35, v49, v48, v35 bitop3:0xfe
	s_wait_dscnt 0x0
	v_add_nc_u64_e32 v[36:37], v[46:47], v[36:37]
	v_bitop3_b16 v48, v50, v49, v55 bitop3:0xfe
	v_bitop3_b16 v49, v49, 1, v55 bitop3:0xc8
	;; [unrolled: 1-line block ×4, first 2 shown]
	v_dual_cndmask_b32 v47, 0, v37, s15 :: v_dual_cndmask_b32 v46, 0, v36, s15
	v_cmp_eq_u16_e64 s15, 0, v54
	s_delay_alu instid0(VALU_DEP_3) | instskip(SKIP_1) | instid1(VALU_DEP_4)
	v_bitop3_b16 v50, v53, v52, v35 bitop3:0xfe
	v_bitop3_b16 v35, v52, 1, v35 bitop3:0xc8
	v_add_nc_u64_e32 v[38:39], v[46:47], v[38:39]
	v_bitop3_b16 v46, v52, v51, v48 bitop3:0xfe
	v_bitop3_b16 v48, v51, 1, v48 bitop3:0xc8
	ds_store_2addr_b64 v34, v[20:21], v[44:45] offset0:2 offset1:4
	ds_store_2addr_b64 v34, v[40:41], v[42:43] offset0:6 offset1:8
	;; [unrolled: 1-line block ×3, first 2 shown]
	v_bitop3_b16 v51, v53, 1, v46 bitop3:0xc8
	v_dual_cndmask_b32 v47, 0, v39, s15 :: v_dual_cndmask_b32 v46, 0, v38, s15
	v_bitop3_b16 v50, v54, 1, v50 bitop3:0xc8
	s_delay_alu instid0(VALU_DEP_2)
	v_add_nc_u64_e32 v[20:21], v[46:47], v[32:33]
	ds_store_b8 v34, v56 offset:24
	ds_store_b8 v34, v49 offset:40
	;; [unrolled: 1-line block ×6, first 2 shown]
	ds_store_b64 v34, v[20:21] offset:112
	ds_store_b8 v34, v50 offset:120
.LBB893_115:
	s_or_b32 exec_lo, exec_lo, s18
	v_cmp_eq_u32_e64 s15, 0, v0
	s_mov_b32 s17, exec_lo
	s_wait_dscnt 0x0
	s_barrier_signal -1
	s_barrier_wait -1
	v_cmpx_ne_u32_e32 0, v0
	s_cbranch_execz .LBB893_117
; %bb.116:
	v_add_nc_u32_e32 v4, -1, v0
	s_and_not1_b32 s18, s20, exec_lo
	s_delay_alu instid0(VALU_DEP_1) | instskip(NEXT) | instid1(VALU_DEP_1)
	v_lshrrev_b32_e32 v5, 1, v4
	v_and_b32_e32 v5, 0x7ffffff0, v5
	s_delay_alu instid0(VALU_DEP_1) | instskip(SKIP_4) | instid1(VALU_DEP_1)
	v_lshl_add_u32 v4, v4, 4, v5
	ds_load_u8 v20, v4 offset:8
	ds_load_b64 v[4:5], v4
	s_wait_dscnt 0x1
	v_and_b32_e32 v20, 1, v20
	v_cmp_eq_u32_e64 s16, 1, v20
	s_and_b32 s16, s16, exec_lo
	s_delay_alu instid0(SALU_CYCLE_1)
	s_or_b32 s20, s18, s16
.LBB893_117:
	s_or_b32 exec_lo, exec_lo, s17
	s_and_saveexec_b32 s21, vcc_lo
	s_cbranch_execz .LBB893_157
; %bb.118:
	v_mov_b32_e32 v35, 0
	v_mbcnt_lo_u32_b32 v39, -1, 0
	s_mov_b32 s19, 0
	ds_load_b64 v[20:21], v35 offset:4192
	ds_load_u8 v38, v35 offset:4200
	v_cmp_eq_u32_e64 s16, 0, v39
	s_and_saveexec_b32 s17, s16
	s_cbranch_execz .LBB893_120
; %bb.119:
	s_add_co_i32 s18, s40, 32
	s_delay_alu instid0(SALU_CYCLE_1) | instskip(SKIP_1) | instid1(SALU_CYCLE_1)
	v_dual_mov_b32 v32, 1 :: v_dual_mov_b32 v33, s18
	s_lshl_b64 s[22:23], s[18:19], 4
	s_add_nc_u64 s[18:19], s[24:25], s[22:23]
	s_wait_dscnt 0x1
	global_store_b64 v35, v[20:21], s[18:19]
	s_wait_dscnt 0x0
	global_store_b8 v35, v38, s[18:19] offset:8
	global_wb scope:SCOPE_DEV
	s_wait_storecnt 0x0
	global_inv scope:SCOPE_DEV
	s_wait_xcnt 0x0
	global_store_b8 v33, v32, s[28:29] scope:SCOPE_DEV
.LBB893_120:
	s_wait_xcnt 0x0
	s_or_b32 exec_lo, exec_lo, s17
	v_xad_u32 v32, v39, -1, s40
	s_mov_b32 s17, exec_lo
	s_delay_alu instid0(VALU_DEP_1)
	v_add_nc_u32_e32 v34, 32, v32
	global_load_u8 v40, v34, s[28:29] scope:SCOPE_DEV
	s_wait_loadcnt 0x0
	v_cmpx_eq_u16_e32 0, v40
	s_cbranch_execz .LBB893_124
; %bb.121:
	v_add_nc_u64_e32 v[36:37], s[28:29], v[34:35]
	s_mov_b32 s18, 0
.LBB893_122:                            ; =>This Inner Loop Header: Depth=1
	global_load_u8 v40, v[36:37], off scope:SCOPE_DEV
	s_wait_loadcnt 0x0
	v_cmp_ne_u16_e32 vcc_lo, 0, v40
	s_or_b32 s18, vcc_lo, s18
	s_wait_xcnt 0x0
	s_and_not1_b32 exec_lo, exec_lo, s18
	s_cbranch_execnz .LBB893_122
; %bb.123:
	s_or_b32 exec_lo, exec_lo, s18
.LBB893_124:
	s_delay_alu instid0(SALU_CYCLE_1)
	s_or_b32 exec_lo, exec_lo, s17
	v_dual_mov_b32 v33, s25 :: v_dual_mov_b32 v36, s24
	v_cmp_eq_u16_e32 vcc_lo, 1, v40
	global_wb scope:SCOPE_DEV
	s_wait_storecnt_dscnt 0x0
	global_inv scope:SCOPE_DEV
	v_lshlrev_b32_e64 v42, v39, -1
	s_mov_b32 s17, exec_lo
	v_cndmask_b32_e32 v37, s27, v33, vcc_lo
	v_cndmask_b32_e32 v36, s26, v36, vcc_lo
	v_cmp_ne_u32_e32 vcc_lo, 31, v39
	v_add_co_ci_u32_e64 v33, null, 0, v39, vcc_lo
	v_cmp_eq_u16_e32 vcc_lo, 2, v40
	s_delay_alu instid0(VALU_DEP_2)
	v_lshlrev_b32_e32 v41, 2, v33
	v_lshl_add_u64 v[34:35], v[34:35], 4, v[36:37]
	s_clause 0x1
	global_load_u8 v52, v[34:35], off offset:8
	global_load_b64 v[36:37], v[34:35], off
	v_and_or_b32 v33, vcc_lo, v42, 0x80000000
	s_delay_alu instid0(VALU_DEP_1)
	v_ctz_i32_b32_e32 v33, v33
	s_wait_loadcnt 0x1
	s_wait_xcnt 0x0
	v_and_b32_e32 v34, 1, v52
	s_wait_loadcnt 0x0
	ds_bpermute_b32 v43, v41, v36
	ds_bpermute_b32 v44, v41, v37
	;; [unrolled: 1-line block ×3, first 2 shown]
	v_cmpx_lt_u32_e64 v39, v33
	s_cbranch_execz .LBB893_126
; %bb.125:
	v_and_b32_e32 v34, 0xff, v52
	s_wait_dscnt 0x0
	v_bitop3_b16 v52, v35, v52, 1 bitop3:0xec
	s_delay_alu instid0(VALU_DEP_2) | instskip(NEXT) | instid1(VALU_DEP_2)
	v_cmp_eq_u16_e32 vcc_lo, 0, v34
	v_and_b32_e32 v34, 0xff, v52
	v_dual_cndmask_b32 v45, 0, v44 :: v_dual_cndmask_b32 v44, 0, v43
	s_delay_alu instid0(VALU_DEP_1)
	v_add_nc_u64_e32 v[36:37], v[44:45], v[36:37]
.LBB893_126:
	s_or_b32 exec_lo, exec_lo, s17
	v_cmp_gt_u32_e32 vcc_lo, 30, v39
	s_wait_dscnt 0x1
	v_add_nc_u32_e32 v44, 2, v39
	s_mov_b32 s18, exec_lo
	s_wait_dscnt 0x0
	v_cndmask_b32_e64 v35, 0, 2, vcc_lo
	s_delay_alu instid0(VALU_DEP_1)
	v_add_lshl_u32 v43, v35, v39, 2
	ds_bpermute_b32 v35, v43, v36
	ds_bpermute_b32 v45, v43, v37
	;; [unrolled: 1-line block ×3, first 2 shown]
	v_cmpx_le_u32_e64 v44, v33
	s_cbranch_execz .LBB893_128
; %bb.127:
	v_and_b32_e32 v34, 0xff, v52
	s_delay_alu instid0(VALU_DEP_1) | instskip(SKIP_4) | instid1(VALU_DEP_3)
	v_cmp_eq_u16_e32 vcc_lo, 0, v34
	v_and_b32_e32 v48, 1, v52
	s_wait_dscnt 0x0
	v_dual_cndmask_b32 v46, 0, v35, vcc_lo :: v_dual_bitop2_b32 v34, 1, v46 bitop3:0x40
	v_cndmask_b32_e32 v47, 0, v45, vcc_lo
	v_cmp_eq_u32_e64 s17, 1, v48
	s_delay_alu instid0(VALU_DEP_3) | instskip(NEXT) | instid1(VALU_DEP_3)
	v_cmp_eq_u32_e32 vcc_lo, 1, v34
	v_add_nc_u64_e32 v[36:37], v[46:47], v[36:37]
	s_or_b32 s17, s17, vcc_lo
	s_delay_alu instid0(SALU_CYCLE_1)
	v_cndmask_b32_e64 v52, 0, 1, s17
	v_cndmask_b32_e64 v34, 0, 1, s17
.LBB893_128:
	s_or_b32 exec_lo, exec_lo, s18
	v_cmp_gt_u32_e32 vcc_lo, 28, v39
	s_wait_dscnt 0x0
	v_add_nc_u32_e32 v46, 4, v39
	s_mov_b32 s18, exec_lo
	v_cndmask_b32_e64 v35, 0, 4, vcc_lo
	s_delay_alu instid0(VALU_DEP_1)
	v_add_lshl_u32 v45, v35, v39, 2
	ds_bpermute_b32 v35, v45, v36
	ds_bpermute_b32 v47, v45, v37
	;; [unrolled: 1-line block ×3, first 2 shown]
	v_cmpx_le_u32_e64 v46, v33
	s_cbranch_execz .LBB893_130
; %bb.129:
	v_and_b32_e32 v34, 0xff, v52
	s_delay_alu instid0(VALU_DEP_1) | instskip(SKIP_4) | instid1(VALU_DEP_3)
	v_cmp_eq_u16_e32 vcc_lo, 0, v34
	v_and_b32_e32 v50, 1, v52
	s_wait_dscnt 0x0
	v_dual_cndmask_b32 v48, 0, v35, vcc_lo :: v_dual_bitop2_b32 v34, 1, v48 bitop3:0x40
	v_cndmask_b32_e32 v49, 0, v47, vcc_lo
	v_cmp_eq_u32_e64 s17, 1, v50
	s_delay_alu instid0(VALU_DEP_3) | instskip(NEXT) | instid1(VALU_DEP_3)
	v_cmp_eq_u32_e32 vcc_lo, 1, v34
	v_add_nc_u64_e32 v[36:37], v[48:49], v[36:37]
	s_or_b32 s17, s17, vcc_lo
	s_delay_alu instid0(SALU_CYCLE_1)
	v_cndmask_b32_e64 v52, 0, 1, s17
	v_cndmask_b32_e64 v34, 0, 1, s17
.LBB893_130:
	s_or_b32 exec_lo, exec_lo, s18
	v_cmp_gt_u32_e32 vcc_lo, 24, v39
	s_wait_dscnt 0x0
	v_add_nc_u32_e32 v48, 8, v39
	s_mov_b32 s18, exec_lo
	v_cndmask_b32_e64 v35, 0, 8, vcc_lo
	s_delay_alu instid0(VALU_DEP_1)
	v_add_lshl_u32 v47, v35, v39, 2
	ds_bpermute_b32 v35, v47, v36
	ds_bpermute_b32 v49, v47, v37
	;; [unrolled: 1-line block ×3, first 2 shown]
	v_cmpx_le_u32_e64 v48, v33
	s_cbranch_execz .LBB893_132
; %bb.131:
	v_and_b32_e32 v34, 0xff, v52
	s_delay_alu instid0(VALU_DEP_1) | instskip(SKIP_4) | instid1(VALU_DEP_3)
	v_cmp_eq_u16_e32 vcc_lo, 0, v34
	v_and_b32_e32 v52, 1, v52
	s_wait_dscnt 0x0
	v_dual_cndmask_b32 v50, 0, v35, vcc_lo :: v_dual_bitop2_b32 v34, 1, v50 bitop3:0x40
	v_cndmask_b32_e32 v51, 0, v49, vcc_lo
	v_cmp_eq_u32_e64 s17, 1, v52
	s_delay_alu instid0(VALU_DEP_3) | instskip(NEXT) | instid1(VALU_DEP_3)
	v_cmp_eq_u32_e32 vcc_lo, 1, v34
	v_add_nc_u64_e32 v[36:37], v[50:51], v[36:37]
	s_or_b32 s17, s17, vcc_lo
	s_delay_alu instid0(SALU_CYCLE_1)
	v_cndmask_b32_e64 v52, 0, 1, s17
	v_cndmask_b32_e64 v34, 0, 1, s17
.LBB893_132:
	s_or_b32 exec_lo, exec_lo, s18
	s_wait_dscnt 0x1
	v_lshl_or_b32 v49, v39, 2, 64
	v_add_nc_u32_e32 v51, 16, v39
	s_mov_b32 s18, exec_lo
	ds_bpermute_b32 v35, v49, v36
	s_wait_dscnt 0x1
	ds_bpermute_b32 v50, v49, v37
	ds_bpermute_b32 v34, v49, v34
	v_cmpx_le_u32_e64 v51, v33
	s_cbranch_execz .LBB893_134
; %bb.133:
	v_and_b32_e32 v33, 0xff, v52
	s_delay_alu instid0(VALU_DEP_1) | instskip(SKIP_4) | instid1(VALU_DEP_3)
	v_cmp_eq_u16_e32 vcc_lo, 0, v33
	v_and_b32_e32 v33, 1, v52
	s_wait_dscnt 0x0
	v_dual_cndmask_b32 v52, 0, v35, vcc_lo :: v_dual_bitop2_b32 v34, 1, v34 bitop3:0x40
	v_cndmask_b32_e32 v53, 0, v50, vcc_lo
	v_cmp_eq_u32_e32 vcc_lo, 1, v33
	s_delay_alu instid0(VALU_DEP_3) | instskip(NEXT) | instid1(VALU_DEP_3)
	v_cmp_eq_u32_e64 s17, 1, v34
	v_add_nc_u64_e32 v[36:37], v[52:53], v[36:37]
	s_or_b32 s17, vcc_lo, s17
	s_delay_alu instid0(SALU_CYCLE_1)
	v_cndmask_b32_e64 v52, 0, 1, s17
.LBB893_134:
	s_or_b32 exec_lo, exec_lo, s18
	v_mov_b32_e32 v33, 0
	s_branch .LBB893_137
.LBB893_135:                            ;   in Loop: Header=BB893_137 Depth=1
	s_or_b32 exec_lo, exec_lo, s19
	v_and_b32_e32 v52, 0xff, v50
	v_subrev_nc_u32_e32 v32, 32, v32
	s_delay_alu instid0(VALU_DEP_2) | instskip(SKIP_2) | instid1(VALU_DEP_2)
	v_cmp_eq_u16_e32 vcc_lo, 0, v52
	v_dual_cndmask_b32 v37, 0, v37, vcc_lo :: v_dual_bitop2_b32 v52, 1, v50 bitop3:0x40
	v_cndmask_b32_e32 v36, 0, v36, vcc_lo
	v_cmp_eq_u32_e32 vcc_lo, 1, v52
	s_delay_alu instid0(VALU_DEP_2) | instskip(SKIP_1) | instid1(SALU_CYCLE_1)
	v_add_nc_u64_e32 v[36:37], v[36:37], v[34:35]
	s_or_b32 s17, vcc_lo, s18
	v_cndmask_b32_e64 v52, 0, 1, s17
	s_mov_b32 s17, 0
.LBB893_136:                            ;   in Loop: Header=BB893_137 Depth=1
	s_delay_alu instid0(SALU_CYCLE_1)
	s_and_b32 vcc_lo, exec_lo, s17
	s_cbranch_vccnz .LBB893_153
.LBB893_137:                            ; =>This Loop Header: Depth=1
                                        ;     Child Loop BB893_140 Depth 2
	s_wait_dscnt 0x0
	v_and_b32_e32 v34, 0xff, v40
	v_mov_b32_e32 v50, v52
	s_mov_b32 s17, -1
                                        ; implicit-def: $vgpr52
                                        ; implicit-def: $vgpr40
	s_delay_alu instid0(VALU_DEP_2)
	v_cmp_ne_u16_e32 vcc_lo, 2, v34
	v_mov_b64_e32 v[34:35], v[36:37]
                                        ; implicit-def: $vgpr36_vgpr37
	s_cmp_lg_u32 vcc_lo, exec_lo
	s_cbranch_scc1 .LBB893_136
; %bb.138:                              ;   in Loop: Header=BB893_137 Depth=1
	global_load_u8 v40, v32, s[28:29] scope:SCOPE_DEV
	s_mov_b32 s17, exec_lo
	s_wait_loadcnt 0x0
	v_cmpx_eq_u16_e32 0, v40
	s_cbranch_execz .LBB893_142
; %bb.139:                              ;   in Loop: Header=BB893_137 Depth=1
	v_add_nc_u64_e32 v[36:37], s[28:29], v[32:33]
	s_mov_b32 s18, 0
.LBB893_140:                            ;   Parent Loop BB893_137 Depth=1
                                        ; =>  This Inner Loop Header: Depth=2
	global_load_u8 v40, v[36:37], off scope:SCOPE_DEV
	s_wait_loadcnt 0x0
	v_cmp_ne_u16_e32 vcc_lo, 0, v40
	s_or_b32 s18, vcc_lo, s18
	s_delay_alu instid0(SALU_CYCLE_1)
	s_and_not1_b32 exec_lo, exec_lo, s18
	s_cbranch_execnz .LBB893_140
; %bb.141:                              ;   in Loop: Header=BB893_137 Depth=1
	s_or_b32 exec_lo, exec_lo, s18
.LBB893_142:                            ;   in Loop: Header=BB893_137 Depth=1
	s_delay_alu instid0(SALU_CYCLE_1)
	s_or_b32 exec_lo, exec_lo, s17
	v_dual_mov_b32 v36, s25 :: v_dual_mov_b32 v52, s24
	v_cmp_eq_u16_e32 vcc_lo, 1, v40
	global_wb scope:SCOPE_DEV
	s_wait_storecnt 0x0
	global_inv scope:SCOPE_DEV
	s_mov_b32 s17, exec_lo
	v_cndmask_b32_e32 v37, s27, v36, vcc_lo
	v_cndmask_b32_e32 v36, s26, v52, vcc_lo
	v_cmp_eq_u16_e32 vcc_lo, 2, v40
	s_delay_alu instid0(VALU_DEP_2)
	v_lshl_add_u64 v[54:55], v[32:33], 4, v[36:37]
	v_and_or_b32 v52, vcc_lo, v42, 0x80000000
	s_clause 0x1
	global_load_u8 v53, v[54:55], off offset:8
	global_load_b64 v[36:37], v[54:55], off
	v_ctz_i32_b32_e32 v52, v52
	s_wait_loadcnt 0x1
	s_wait_xcnt 0x0
	v_and_b32_e32 v54, 1, v53
	s_wait_loadcnt 0x0
	ds_bpermute_b32 v56, v41, v36
	ds_bpermute_b32 v57, v41, v37
	ds_bpermute_b32 v55, v41, v54
	v_cmpx_lt_u32_e64 v39, v52
	s_cbranch_execz .LBB893_144
; %bb.143:                              ;   in Loop: Header=BB893_137 Depth=1
	v_and_b32_e32 v54, 0xff, v53
	s_wait_dscnt 0x0
	v_bitop3_b16 v53, v55, v53, 1 bitop3:0xec
	s_delay_alu instid0(VALU_DEP_2) | instskip(NEXT) | instid1(VALU_DEP_2)
	v_cmp_eq_u16_e32 vcc_lo, 0, v54
	v_and_b32_e32 v54, 0xff, v53
	v_dual_cndmask_b32 v57, 0, v57 :: v_dual_cndmask_b32 v56, 0, v56
	s_delay_alu instid0(VALU_DEP_1)
	v_add_nc_u64_e32 v[36:37], v[56:57], v[36:37]
.LBB893_144:                            ;   in Loop: Header=BB893_137 Depth=1
	s_or_b32 exec_lo, exec_lo, s17
	s_wait_dscnt 0x0
	ds_bpermute_b32 v55, v43, v36
	ds_bpermute_b32 v56, v43, v37
	;; [unrolled: 1-line block ×3, first 2 shown]
	v_and_b32_e32 v58, 1, v53
	s_mov_b32 s17, exec_lo
	s_delay_alu instid0(VALU_DEP_1)
	v_cmp_eq_u32_e64 s18, 1, v58
	v_cmpx_le_u32_e64 v44, v52
	s_cbranch_execz .LBB893_146
; %bb.145:                              ;   in Loop: Header=BB893_137 Depth=1
	v_and_b32_e32 v53, 0xff, v53
	s_delay_alu instid0(VALU_DEP_1) | instskip(SKIP_3) | instid1(VALU_DEP_2)
	v_cmp_eq_u16_e32 vcc_lo, 0, v53
	s_wait_dscnt 0x0
	v_dual_cndmask_b32 v57, 0, v56, vcc_lo :: v_dual_bitop2_b32 v53, 1, v57 bitop3:0x40
	v_cndmask_b32_e32 v56, 0, v55, vcc_lo
	v_cmp_eq_u32_e32 vcc_lo, 1, v53
	s_delay_alu instid0(VALU_DEP_2)
	v_add_nc_u64_e32 v[36:37], v[56:57], v[36:37]
	s_or_b32 s19, s18, vcc_lo
	s_and_not1_b32 s18, s18, exec_lo
	v_cndmask_b32_e64 v53, 0, 1, s19
	v_cndmask_b32_e64 v54, 0, 1, s19
	s_and_b32 s19, s19, exec_lo
	s_delay_alu instid0(SALU_CYCLE_1)
	s_or_b32 s18, s18, s19
.LBB893_146:                            ;   in Loop: Header=BB893_137 Depth=1
	s_or_b32 exec_lo, exec_lo, s17
	s_wait_dscnt 0x2
	ds_bpermute_b32 v55, v45, v36
	s_wait_dscnt 0x2
	ds_bpermute_b32 v56, v45, v37
	;; [unrolled: 2-line block ×3, first 2 shown]
	s_mov_b32 s19, exec_lo
	v_cmpx_le_u32_e64 v46, v52
	s_cbranch_execz .LBB893_148
; %bb.147:                              ;   in Loop: Header=BB893_137 Depth=1
	v_and_b32_e32 v54, 0xff, v53
	s_and_not1_b32 s18, s18, exec_lo
	s_delay_alu instid0(VALU_DEP_1) | instskip(SKIP_3) | instid1(VALU_DEP_2)
	v_cmp_eq_u16_e32 vcc_lo, 0, v54
	v_and_b32_e32 v53, 1, v53
	s_wait_dscnt 0x0
	v_dual_cndmask_b32 v57, 0, v56, vcc_lo :: v_dual_bitop2_b32 v54, 1, v57 bitop3:0x40
	v_cmp_eq_u32_e64 s17, 1, v53
	v_cndmask_b32_e32 v56, 0, v55, vcc_lo
	s_delay_alu instid0(VALU_DEP_3) | instskip(NEXT) | instid1(VALU_DEP_2)
	v_cmp_eq_u32_e32 vcc_lo, 1, v54
	v_add_nc_u64_e32 v[36:37], v[56:57], v[36:37]
	s_or_b32 s17, s17, vcc_lo
	s_delay_alu instid0(SALU_CYCLE_1) | instskip(SKIP_2) | instid1(SALU_CYCLE_1)
	v_cndmask_b32_e64 v53, 0, 1, s17
	v_cndmask_b32_e64 v54, 0, 1, s17
	s_and_b32 s17, s17, exec_lo
	s_or_b32 s18, s18, s17
.LBB893_148:                            ;   in Loop: Header=BB893_137 Depth=1
	s_or_b32 exec_lo, exec_lo, s19
	s_wait_dscnt 0x2
	ds_bpermute_b32 v55, v47, v36
	s_wait_dscnt 0x2
	ds_bpermute_b32 v56, v47, v37
	;; [unrolled: 2-line block ×3, first 2 shown]
	s_mov_b32 s19, exec_lo
	v_cmpx_le_u32_e64 v48, v52
	s_cbranch_execz .LBB893_150
; %bb.149:                              ;   in Loop: Header=BB893_137 Depth=1
	v_and_b32_e32 v54, 0xff, v53
	s_and_not1_b32 s18, s18, exec_lo
	s_delay_alu instid0(VALU_DEP_1) | instskip(SKIP_3) | instid1(VALU_DEP_2)
	v_cmp_eq_u16_e32 vcc_lo, 0, v54
	v_and_b32_e32 v53, 1, v53
	s_wait_dscnt 0x0
	v_dual_cndmask_b32 v57, 0, v56, vcc_lo :: v_dual_bitop2_b32 v54, 1, v57 bitop3:0x40
	v_cmp_eq_u32_e64 s17, 1, v53
	v_cndmask_b32_e32 v56, 0, v55, vcc_lo
	s_delay_alu instid0(VALU_DEP_3) | instskip(NEXT) | instid1(VALU_DEP_2)
	v_cmp_eq_u32_e32 vcc_lo, 1, v54
	v_add_nc_u64_e32 v[36:37], v[56:57], v[36:37]
	s_or_b32 s17, s17, vcc_lo
	s_delay_alu instid0(SALU_CYCLE_1) | instskip(SKIP_2) | instid1(SALU_CYCLE_1)
	v_cndmask_b32_e64 v53, 0, 1, s17
	v_cndmask_b32_e64 v54, 0, 1, s17
	s_and_b32 s17, s17, exec_lo
	s_or_b32 s18, s18, s17
.LBB893_150:                            ;   in Loop: Header=BB893_137 Depth=1
	s_or_b32 exec_lo, exec_lo, s19
	s_wait_dscnt 0x2
	ds_bpermute_b32 v55, v49, v36
	s_wait_dscnt 0x2
	ds_bpermute_b32 v56, v49, v37
	ds_bpermute_b32 v54, v49, v54
	s_mov_b32 s19, exec_lo
	v_cmpx_le_u32_e64 v51, v52
	s_cbranch_execz .LBB893_135
; %bb.151:                              ;   in Loop: Header=BB893_137 Depth=1
	v_and_b32_e32 v52, 0xff, v53
	s_and_not1_b32 s18, s18, exec_lo
	s_delay_alu instid0(VALU_DEP_1)
	v_cmp_eq_u16_e32 vcc_lo, 0, v52
	s_wait_dscnt 0x3
	v_and_b32_e32 v57, 1, v53
	s_wait_dscnt 0x0
	v_dual_cndmask_b32 v52, 0, v55, vcc_lo :: v_dual_bitop2_b32 v54, 1, v54 bitop3:0x40
	v_cndmask_b32_e32 v53, 0, v56, vcc_lo
	s_delay_alu instid0(VALU_DEP_3) | instskip(NEXT) | instid1(VALU_DEP_3)
	v_cmp_eq_u32_e32 vcc_lo, 1, v57
	v_cmp_eq_u32_e64 s17, 1, v54
	s_delay_alu instid0(VALU_DEP_3) | instskip(SKIP_1) | instid1(SALU_CYCLE_1)
	v_add_nc_u64_e32 v[36:37], v[52:53], v[36:37]
	s_or_b32 s17, vcc_lo, s17
	s_and_b32 s17, s17, exec_lo
	s_delay_alu instid0(SALU_CYCLE_1)
	s_or_b32 s18, s18, s17
	s_branch .LBB893_135
.LBB893_152:
                                        ; implicit-def: $vgpr58_vgpr59
                                        ; implicit-def: $vgpr54_vgpr55
                                        ; implicit-def: $vgpr50_vgpr51
                                        ; implicit-def: $vgpr46_vgpr47
                                        ; implicit-def: $vgpr42_vgpr43
                                        ; implicit-def: $vgpr38_vgpr39
                                        ; implicit-def: $vgpr34_vgpr35
	s_cbranch_execnz .LBB893_158
	s_branch .LBB893_177
.LBB893_153:
	s_and_saveexec_b32 s17, s16
	s_cbranch_execz .LBB893_155
; %bb.154:
	v_and_b32_e32 v32, 0xff, v38
	s_add_co_i32 s18, s40, 32
	s_mov_b32 s19, 0
	v_mov_b32_e32 v37, s18
	v_bitop3_b16 v36, v38, 1, v50 bitop3:0xc8
	v_cmp_eq_u32_e32 vcc_lo, 0, v32
	s_lshl_b64 s[22:23], s[18:19], 4
	s_delay_alu instid0(SALU_CYCLE_1) | instskip(SKIP_1) | instid1(VALU_DEP_1)
	s_add_nc_u64 s[18:19], s[26:27], s[22:23]
	v_dual_cndmask_b32 v33, 0, v35 :: v_dual_cndmask_b32 v32, 0, v34
	v_add_nc_u64_e32 v[20:21], v[32:33], v[20:21]
	v_dual_mov_b32 v32, 0 :: v_dual_mov_b32 v33, 2
	s_clause 0x1
	global_store_b64 v32, v[20:21], s[18:19]
	global_store_b8 v32, v36, s[18:19] offset:8
	global_wb scope:SCOPE_DEV
	s_wait_storecnt_dscnt 0x0
	global_inv scope:SCOPE_DEV
	s_wait_xcnt 0x0
	global_store_b8 v37, v33, s[28:29] scope:SCOPE_DEV
.LBB893_155:
	s_wait_xcnt 0x0
	s_or_b32 exec_lo, exec_lo, s17
	s_delay_alu instid0(SALU_CYCLE_1)
	s_and_b32 exec_lo, exec_lo, s15
	s_cbranch_execz .LBB893_157
; %bb.156:
	v_mov_b32_e32 v20, 0
	ds_store_b64 v20, v[34:35]
	ds_store_b8 v20, v50 offset:8
.LBB893_157:
	s_or_b32 exec_lo, exec_lo, s21
	v_dual_mov_b32 v21, 0 :: v_dual_bitop2_b32 v20, 1, v1 bitop3:0x40
	s_wait_storecnt 0x0
	s_wait_loadcnt_dscnt 0x0
	s_barrier_signal -1
	s_barrier_wait -1
	v_cmp_eq_u32_e32 vcc_lo, 1, v20
	v_and_b32_e32 v32, 0xff, v1
	ds_load_b64 v[20:21], v21
	s_or_b32 s16, vcc_lo, s20
	v_cmp_eq_u16_e32 vcc_lo, 0, v32
	v_cndmask_b32_e64 v33, 0, 1, s16
	v_cndmask_b32_e32 v5, 0, v5, vcc_lo
	s_delay_alu instid0(VALU_DEP_2) | instskip(NEXT) | instid1(VALU_DEP_1)
	v_dual_cndmask_b32 v32, v33, v1, s15 :: v_dual_cndmask_b32 v4, 0, v4, vcc_lo
	v_and_b32_e32 v32, 0xff, v32
	s_delay_alu instid0(VALU_DEP_2) | instskip(NEXT) | instid1(VALU_DEP_2)
	v_cndmask_b32_e64 v4, v4, 0, s15
	v_cmp_eq_u16_e32 vcc_lo, 0, v32
	s_wait_dscnt 0x0
	v_cndmask_b32_e32 v20, 0, v20, vcc_lo
	v_cndmask_b32_e64 v5, v5, 0, s15
	v_cndmask_b32_e32 v21, 0, v21, vcc_lo
	s_delay_alu instid0(VALU_DEP_2) | instskip(NEXT) | instid1(VALU_DEP_1)
	v_add_nc_u64_e32 v[4:5], v[4:5], v[2:3]
	v_add_nc_u64_e32 v[32:33], v[4:5], v[20:21]
	s_delay_alu instid0(VALU_DEP_1) | instskip(NEXT) | instid1(VALU_DEP_1)
	v_dual_cndmask_b32 v5, 0, v33, s3 :: v_dual_cndmask_b32 v4, 0, v32, s3
	v_add_nc_u64_e32 v[34:35], v[4:5], v[6:7]
	s_delay_alu instid0(VALU_DEP_1) | instskip(NEXT) | instid1(VALU_DEP_1)
	v_dual_cndmask_b32 v5, 0, v35, s4 :: v_dual_cndmask_b32 v4, 0, v34, s4
	;; [unrolled: 3-line block ×13, first 2 shown]
	v_add_nc_u64_e32 v[58:59], v[4:5], v[8:9]
	s_branch .LBB893_177
.LBB893_158:
	s_cmp_lg_u64 s[44:45], 0
	v_cmp_eq_u32_e32 vcc_lo, 0, v0
	s_cselect_b32 s3, -1, 0
	s_cmp_lg_u64 s[38:39], 0
	v_cmp_ne_u32_e64 s2, 0, v0
	s_cselect_b32 s4, -1, 0
	s_delay_alu instid0(SALU_CYCLE_1) | instskip(NEXT) | instid1(SALU_CYCLE_1)
	s_and_b32 s3, s3, s4
	s_and_b32 s3, vcc_lo, s3
	s_delay_alu instid0(SALU_CYCLE_1)
	s_and_saveexec_b32 s4, s3
	s_cbranch_execz .LBB893_160
; %bb.159:
	v_mov_b32_e32 v20, 0
	s_clause 0x1
	global_load_b64 v[4:5], v20, s[38:39]
	global_load_u8 v21, v20, s[38:39] offset:8
	s_wait_xcnt 0x0
	v_and_b32_e32 v20, 0xff, v1
	s_delay_alu instid0(VALU_DEP_1) | instskip(SKIP_1) | instid1(VALU_DEP_1)
	v_cmp_eq_u16_e64 s3, 0, v20
	s_wait_loadcnt 0x1
	v_dual_cndmask_b32 v5, 0, v5, s3 :: v_dual_cndmask_b32 v4, 0, v4, s3
	s_wait_loadcnt 0x0
	v_bitop3_b16 v1, v1, 1, v21 bitop3:0xc8
	s_delay_alu instid0(VALU_DEP_2)
	v_add_nc_u64_e32 v[2:3], v[4:5], v[2:3]
.LBB893_160:
	s_or_b32 exec_lo, exec_lo, s4
	v_cmp_eq_u16_e64 s3, 0, v82
	v_cmp_eq_u16_e64 s4, 0, v81
	;; [unrolled: 1-line block ×5, first 2 shown]
	v_dual_cndmask_b32 v5, 0, v3, s3 :: v_dual_cndmask_b32 v4, 0, v2, s3
	v_cmp_eq_u16_e64 s8, 0, v77
	v_cmp_eq_u16_e64 s9, 0, v76
	;; [unrolled: 1-line block ×4, first 2 shown]
	v_add_nc_u64_e32 v[34:35], v[4:5], v[6:7]
	v_cmp_eq_u16_e64 s12, 0, v73
	v_cmp_eq_u16_e64 s13, 0, v72
	;; [unrolled: 1-line block ×3, first 2 shown]
	v_cmp_ne_u16_e64 s21, 0, v70
	v_cmp_eq_u32_e64 s22, 1, v60
	v_bitop3_b16 v20, v1, 0xff, v88 bitop3:0xc8
	v_dual_cndmask_b32 v5, 0, v35, s4 :: v_dual_cndmask_b32 v4, 0, v34, s4
	v_cmp_ne_u16_e64 s19, 0, v69
	v_cmp_eq_u32_e64 s20, 1, v61
	v_cmp_ne_u16_e64 s23, 0, v67
	v_cmp_eq_u16_e64 s15, 0, v65
	v_add_nc_u64_e32 v[36:37], v[4:5], v[12:13]
	v_cmp_ne_u16_e64 s17, 0, v68
	v_cmp_eq_u32_e64 s18, 1, v62
	s_or_b32 s21, s21, s22
	v_cmp_eq_u32_e64 s16, 1, v66
	v_cmp_ne_u16_e64 s24, 0, v20
	s_or_b32 s19, s19, s20
	v_dual_cndmask_b32 v5, 0, v37, s5 :: v_dual_cndmask_b32 v4, 0, v36, s5
	s_or_b32 s20, s23, s21
	s_or_b32 s17, s17, s18
	;; [unrolled: 1-line block ×3, first 2 shown]
	v_and_b32_e32 v21, 0x70, v63
	v_add_nc_u64_e32 v[38:39], v[4:5], v[10:11]
	s_or_b32 s16, s24, s16
	s_or_b32 s17, s18, s17
	s_mov_b32 s19, exec_lo
	s_or_b32 s16, s17, s16
	s_delay_alu instid0(SALU_CYCLE_1) | instskip(NEXT) | instid1(VALU_DEP_2)
	v_cndmask_b32_e64 v33, 0, 1, s16
	v_dual_cndmask_b32 v5, 0, v39, s6 :: v_dual_cndmask_b32 v4, 0, v38, s6
	s_delay_alu instid0(VALU_DEP_1) | instskip(NEXT) | instid1(VALU_DEP_1)
	v_add_nc_u64_e32 v[40:41], v[4:5], v[16:17]
	v_dual_cndmask_b32 v5, 0, v41, s7 :: v_dual_cndmask_b32 v4, 0, v40, s7
	s_delay_alu instid0(VALU_DEP_1) | instskip(NEXT) | instid1(VALU_DEP_1)
	v_add_nc_u64_e32 v[42:43], v[4:5], v[14:15]
	;; [unrolled: 3-line block ×9, first 2 shown]
	v_dual_cndmask_b32 v5, 0, v57, s15 :: v_dual_cndmask_b32 v4, 0, v56, s15
	s_delay_alu instid0(VALU_DEP_1)
	v_add_nc_u64_e32 v[58:59], v[4:5], v[8:9]
	v_lshl_add_u32 v4, v0, 4, v21
	ds_store_b64 v4, v[58:59]
	ds_store_b8 v4, v33 offset:8
	s_wait_dscnt 0x0
	s_barrier_signal -1
	s_barrier_wait -1
	v_cmpx_gt_u32_e32 32, v0
	s_cbranch_execz .LBB893_172
; %bb.161:
	v_dual_lshlrev_b32 v4, 2, v0 :: v_dual_lshlrev_b32 v5, 7, v0
	s_delay_alu instid0(VALU_DEP_1) | instskip(NEXT) | instid1(VALU_DEP_1)
	v_and_b32_e32 v4, 0x3f0, v4
	v_add_nc_u32_e32 v32, v4, v5
	ds_load_u8 v61, v32 offset:24
	ds_load_b64 v[4:5], v32
	ds_load_2addr_b64 v[66:69], v32 offset0:2 offset1:4
	ds_load_u8 v62, v32 offset:40
	ds_load_b32 v60, v32 offset:8
	ds_load_u8 v63, v32 offset:56
	ds_load_u8 v65, v32 offset:72
	;; [unrolled: 1-line block ×4, first 2 shown]
	s_wait_dscnt 0x8
	v_cmp_eq_u16_e64 s16, 0, v61
	s_wait_dscnt 0x7
	s_delay_alu instid0(VALU_DEP_1)
	v_dual_cndmask_b32 v21, 0, v5, s16 :: v_dual_cndmask_b32 v20, 0, v4, s16
	s_wait_dscnt 0x5
	v_cmp_eq_u16_e64 s16, 0, v62
	ds_load_2addr_b64 v[70:73], v32 offset0:6 offset1:8
	s_wait_dscnt 0x4
	v_bitop3_b16 v61, v62, v63, v61 bitop3:0xfe
	s_wait_dscnt 0x1
	v_bitop3_b16 v62, v74, v75, v65 bitop3:0xfe
	v_add_nc_u64_e32 v[20:21], v[20:21], v[66:67]
	s_delay_alu instid0(VALU_DEP_1) | instskip(SKIP_1) | instid1(VALU_DEP_2)
	v_dual_cndmask_b32 v21, 0, v21, s16 :: v_dual_cndmask_b32 v20, 0, v20, s16
	v_cmp_eq_u16_e64 s16, 0, v63
	v_add_nc_u64_e32 v[20:21], v[20:21], v[68:69]
	s_delay_alu instid0(VALU_DEP_1) | instskip(SKIP_2) | instid1(VALU_DEP_2)
	v_dual_cndmask_b32 v21, 0, v21, s16 :: v_dual_cndmask_b32 v20, 0, v20, s16
	v_cmp_eq_u16_e64 s16, 0, v65
	s_wait_dscnt 0x0
	v_add_nc_u64_e32 v[20:21], v[20:21], v[70:71]
	ds_load_2addr_b64 v[66:69], v32 offset0:10 offset1:12
	ds_load_u8 v70, v32 offset:120
	v_dual_cndmask_b32 v21, 0, v21, s16 :: v_dual_cndmask_b32 v20, 0, v20, s16
	v_cmp_eq_u16_e64 s16, 0, v74
	s_delay_alu instid0(VALU_DEP_2) | instskip(NEXT) | instid1(VALU_DEP_1)
	v_add_nc_u64_e32 v[20:21], v[20:21], v[72:73]
	v_cndmask_b32_e64 v21, 0, v21, s16
	s_wait_dscnt 0x0
	v_bitop3_b16 v61, v70, v61, v62 bitop3:0xfe
	s_delay_alu instid0(VALU_DEP_3) | instskip(SKIP_2) | instid1(VALU_DEP_4)
	v_cndmask_b32_e64 v20, 0, v20, s16
	v_cmp_eq_u16_e64 s16, 0, v75
	v_cmp_eq_u16_e64 s18, 0, v70
	v_and_b32_e32 v61, 1, v61
	s_delay_alu instid0(VALU_DEP_4)
	v_add_nc_u64_e32 v[20:21], v[20:21], v[66:67]
	ds_load_b64 v[66:67], v32 offset:112
	v_and_b32_e32 v62, 1, v60
	v_cmp_eq_u32_e64 s17, 1, v61
	v_and_b32_e32 v61, 0xffffff00, v60
	v_dual_cndmask_b32 v21, 0, v21, s16 :: v_dual_cndmask_b32 v20, 0, v20, s16
	s_delay_alu instid0(VALU_DEP_4) | instskip(SKIP_1) | instid1(VALU_DEP_3)
	v_cmp_eq_u32_e64 s16, 1, v62
	v_mbcnt_lo_u32_b32 v62, -1, 0
	v_add_nc_u64_e32 v[20:21], v[20:21], v[68:69]
	s_or_b32 s17, s17, s16
	s_delay_alu instid0(SALU_CYCLE_1) | instskip(SKIP_1) | instid1(VALU_DEP_3)
	v_cndmask_b32_e64 v65, 0, 1, s17
	v_cndmask_b32_e64 v63, 0, 1, s17
	v_dual_cndmask_b32 v21, 0, v21, s18 :: v_dual_cndmask_b32 v20, 0, v20, s18
	s_mov_b32 s18, exec_lo
	s_wait_dscnt 0x0
	s_delay_alu instid0(VALU_DEP_1) | instskip(SKIP_2) | instid1(VALU_DEP_2)
	v_add_nc_u64_e32 v[20:21], v[20:21], v[66:67]
	v_or_b32_e32 v66, v61, v65
	v_and_b32_e32 v65, 15, v62
	v_mov_b32_dpp v68, v66 row_shr:1 row_mask:0xf bank_mask:0xf
	s_delay_alu instid0(VALU_DEP_4) | instskip(SKIP_1) | instid1(VALU_DEP_4)
	v_mov_b32_dpp v67, v20 row_shr:1 row_mask:0xf bank_mask:0xf
	v_mov_b32_dpp v69, v21 row_shr:1 row_mask:0xf bank_mask:0xf
	v_cmpx_ne_u32_e32 0, v65
; %bb.162:
	s_delay_alu instid0(VALU_DEP_4) | instskip(NEXT) | instid1(VALU_DEP_3)
	v_bitop3_b16 v63, v68, v63, 1 bitop3:0xec
	v_cndmask_b32_e64 v69, v69, 0, s17
	v_cndmask_b32_e64 v68, v67, 0, s17
	s_delay_alu instid0(VALU_DEP_3) | instskip(NEXT) | instid1(VALU_DEP_2)
	v_and_b32_e32 v66, 0xffff, v63
	v_add_nc_u64_e32 v[20:21], v[68:69], v[20:21]
	s_delay_alu instid0(VALU_DEP_2)
	v_or_b32_e32 v66, v61, v66
; %bb.163:
	s_or_b32 exec_lo, exec_lo, s18
	s_delay_alu instid0(VALU_DEP_2) | instskip(NEXT) | instid1(VALU_DEP_3)
	v_mov_b32_dpp v67, v20 row_shr:2 row_mask:0xf bank_mask:0xf
	v_mov_b32_dpp v68, v21 row_shr:2 row_mask:0xf bank_mask:0xf
	s_delay_alu instid0(VALU_DEP_3)
	v_mov_b32_dpp v69, v66 row_shr:2 row_mask:0xf bank_mask:0xf
	s_mov_b32 s20, exec_lo
	v_cmpx_lt_u32_e32 1, v65
	s_cbranch_execz .LBB893_165
; %bb.164:
	v_cmp_eq_u16_e64 s16, 0, v63
	v_and_b32_e32 v66, 1, v63
	v_and_b32_e32 v69, 1, v69
	s_delay_alu instid0(VALU_DEP_1) | instskip(NEXT) | instid1(VALU_DEP_4)
	v_cmp_eq_u32_e64 s18, 1, v69
	v_cndmask_b32_e64 v69, 0, v68, s16
	s_delay_alu instid0(VALU_DEP_4) | instskip(SKIP_2) | instid1(VALU_DEP_1)
	v_cmp_eq_u32_e64 s17, 1, v66
	v_cndmask_b32_e64 v68, 0, v67, s16
	s_or_b32 s16, s17, s18
	v_add_nc_u64_e32 v[20:21], v[68:69], v[20:21]
	v_cndmask_b32_e64 v66, 0, 1, s16
	v_cndmask_b32_e64 v63, 0, 1, s16
	s_delay_alu instid0(VALU_DEP_2)
	v_or_b32_e32 v66, v61, v66
.LBB893_165:
	s_or_b32 exec_lo, exec_lo, s20
	s_delay_alu instid0(VALU_DEP_4) | instskip(SKIP_1) | instid1(VALU_DEP_3)
	v_mov_b32_dpp v67, v20 row_shr:4 row_mask:0xf bank_mask:0xf
	v_mov_b32_dpp v68, v21 row_shr:4 row_mask:0xf bank_mask:0xf
	;; [unrolled: 1-line block ×3, first 2 shown]
	s_mov_b32 s20, exec_lo
	v_cmpx_lt_u32_e32 3, v65
	s_cbranch_execz .LBB893_167
; %bb.166:
	v_cmp_eq_u16_e64 s16, 0, v63
	v_and_b32_e32 v66, 1, v63
	v_and_b32_e32 v69, 1, v69
	s_delay_alu instid0(VALU_DEP_1) | instskip(NEXT) | instid1(VALU_DEP_4)
	v_cmp_eq_u32_e64 s18, 1, v69
	v_cndmask_b32_e64 v69, 0, v68, s16
	s_delay_alu instid0(VALU_DEP_4) | instskip(SKIP_2) | instid1(VALU_DEP_1)
	v_cmp_eq_u32_e64 s17, 1, v66
	v_cndmask_b32_e64 v68, 0, v67, s16
	s_or_b32 s16, s17, s18
	v_add_nc_u64_e32 v[20:21], v[68:69], v[20:21]
	v_cndmask_b32_e64 v66, 0, 1, s16
	v_cndmask_b32_e64 v63, 0, 1, s16
	s_delay_alu instid0(VALU_DEP_2)
	v_or_b32_e32 v66, v61, v66
.LBB893_167:
	s_or_b32 exec_lo, exec_lo, s20
	s_delay_alu instid0(VALU_DEP_4) | instskip(SKIP_1) | instid1(VALU_DEP_3)
	v_mov_b32_dpp v67, v20 row_shr:8 row_mask:0xf bank_mask:0xf
	v_mov_b32_dpp v68, v21 row_shr:8 row_mask:0xf bank_mask:0xf
	;; [unrolled: 1-line block ×3, first 2 shown]
	s_mov_b32 s20, exec_lo
	v_cmpx_lt_u32_e32 7, v65
	s_cbranch_execz .LBB893_169
; %bb.168:
	v_cmp_eq_u16_e64 s16, 0, v63
	v_and_b32_e32 v65, 1, v63
	s_delay_alu instid0(VALU_DEP_2) | instskip(NEXT) | instid1(VALU_DEP_2)
	v_dual_cndmask_b32 v69, 0, v68, s16 :: v_dual_bitop2_b32 v66, 1, v69 bitop3:0x40
	v_cmp_eq_u32_e64 s17, 1, v65
	v_cndmask_b32_e64 v68, 0, v67, s16
	s_delay_alu instid0(VALU_DEP_3) | instskip(NEXT) | instid1(VALU_DEP_2)
	v_cmp_eq_u32_e64 s18, 1, v66
	v_add_nc_u64_e32 v[20:21], v[68:69], v[20:21]
	s_or_b32 s16, s17, s18
	s_delay_alu instid0(SALU_CYCLE_1) | instskip(SKIP_1) | instid1(VALU_DEP_2)
	v_cndmask_b32_e64 v65, 0, 1, s16
	v_cndmask_b32_e64 v63, 0, 1, s16
	v_or_b32_e32 v66, v61, v65
.LBB893_169:
	s_or_b32 exec_lo, exec_lo, s20
	ds_swizzle_b32 v65, v20 offset:swizzle(BROADCAST,32,15)
	ds_swizzle_b32 v67, v21 offset:swizzle(BROADCAST,32,15)
	;; [unrolled: 1-line block ×3, first 2 shown]
	v_and_b32_e32 v68, 16, v62
	s_mov_b32 s18, exec_lo
	s_delay_alu instid0(VALU_DEP_1)
	v_cmpx_ne_u32_e32 0, v68
	s_cbranch_execz .LBB893_171
; %bb.170:
	v_cmp_eq_u16_e64 s16, 0, v63
	v_and_b32_e32 v63, 1, v63
	s_wait_dscnt 0x0
	s_delay_alu instid0(VALU_DEP_2) | instskip(SKIP_1) | instid1(VALU_DEP_3)
	v_dual_cndmask_b32 v67, 0, v67, s16 :: v_dual_bitop2_b32 v68, 1, v66 bitop3:0x40
	v_cndmask_b32_e64 v66, 0, v65, s16
	v_cmp_eq_u32_e64 s16, 1, v63
	s_delay_alu instid0(VALU_DEP_3) | instskip(NEXT) | instid1(VALU_DEP_3)
	v_cmp_eq_u32_e64 s17, 1, v68
	v_add_nc_u64_e32 v[20:21], v[66:67], v[20:21]
	s_or_b32 s16, s16, s17
	s_delay_alu instid0(SALU_CYCLE_1)
	v_cndmask_b32_e64 v63, 0, 1, s16
.LBB893_171:
	s_or_b32 exec_lo, exec_lo, s18
	s_wait_dscnt 0x2
	v_add_nc_u32_e32 v65, -1, v62
	s_delay_alu instid0(VALU_DEP_2) | instskip(NEXT) | instid1(VALU_DEP_2)
	v_and_b32_e32 v63, 0xffff, v63
	; wave barrier
	v_cmp_gt_i32_e64 s16, 0, v65
	s_delay_alu instid0(VALU_DEP_1) | instskip(NEXT) | instid1(VALU_DEP_1)
	v_cndmask_b32_e64 v62, v65, v62, s16
	v_lshlrev_b32_e32 v62, 2, v62
	ds_bpermute_b32 v21, v62, v21
	ds_bpermute_b32 v20, v62, v20
	v_or_b32_e32 v61, v61, v63
	ds_bpermute_b32 v61, v62, v61
	v_and_b32_e32 v62, 0xff, v60
	s_delay_alu instid0(VALU_DEP_1) | instskip(SKIP_1) | instid1(VALU_DEP_1)
	v_cmp_eq_u32_e64 s16, 0, v62
	s_wait_dscnt 0x1
	v_dual_cndmask_b32 v21, 0, v21, s16 :: v_dual_cndmask_b32 v20, 0, v20, s16
	s_delay_alu instid0(VALU_DEP_1) | instskip(SKIP_1) | instid1(VALU_DEP_1)
	v_add_nc_u64_e32 v[4:5], v[20:21], v[4:5]
	s_wait_dscnt 0x0
	v_dual_cndmask_b32 v4, v4, v58, vcc_lo :: v_dual_bitop2_b32 v60, v61, v60 bitop3:0x54
	s_delay_alu instid0(VALU_DEP_1) | instskip(NEXT) | instid1(VALU_DEP_1)
	v_dual_cndmask_b32 v5, v5, v59, vcc_lo :: v_dual_bitop2_b32 v20, 1, v60 bitop3:0x40
	v_cndmask_b32_e32 v33, v20, v33, vcc_lo
	ds_store_b64 v32, v[4:5]
	ds_store_b8 v32, v33 offset:8
	; wave barrier
	ds_load_u8 v65, v32 offset:24
	ds_load_2addr_b64 v[60:63], v32 offset0:2 offset1:4
	ds_load_u8 v74, v32 offset:40
	ds_load_u8 v75, v32 offset:56
	;; [unrolled: 1-line block ×5, first 2 shown]
	ds_load_b64 v[20:21], v32 offset:112
	ds_load_u8 v79, v32 offset:120
	s_wait_dscnt 0x8
	v_and_b32_e32 v66, 0xff, v65
	s_wait_dscnt 0x5
	v_and_b32_e32 v72, 0xff, v75
	s_delay_alu instid0(VALU_DEP_2) | instskip(SKIP_3) | instid1(VALU_DEP_3)
	v_cmp_eq_u16_e64 s16, 0, v66
	v_and_b32_e32 v66, 0xff, v74
	s_wait_dscnt 0x3
	v_and_b32_e32 v80, 0xff, v77
	v_dual_cndmask_b32 v5, 0, v5, s16 :: v_dual_cndmask_b32 v4, 0, v4, s16
	s_delay_alu instid0(VALU_DEP_3) | instskip(SKIP_3) | instid1(VALU_DEP_1)
	v_cmp_eq_u16_e64 s16, 0, v66
	ds_load_2addr_b64 v[66:69], v32 offset0:6 offset1:8
	v_bitop3_b16 v81, v65, 1, v33 bitop3:0xc8
	v_add_nc_u64_e32 v[4:5], v[4:5], v[60:61]
	v_dual_cndmask_b32 v61, 0, v5, s16 :: v_dual_cndmask_b32 v60, 0, v4, s16
	v_cmp_eq_u16_e64 s16, 0, v72
	s_delay_alu instid0(VALU_DEP_2) | instskip(SKIP_1) | instid1(VALU_DEP_2)
	v_add_nc_u64_e32 v[70:71], v[60:61], v[62:63]
	v_and_b32_e32 v62, 0xff, v76
	v_dual_cndmask_b32 v61, 0, v71, s16 :: v_dual_cndmask_b32 v60, 0, v70, s16
	s_delay_alu instid0(VALU_DEP_2) | instskip(SKIP_1) | instid1(VALU_DEP_2)
	v_cmp_eq_u16_e64 s16, 0, v62
	s_wait_dscnt 0x0
	v_add_nc_u64_e32 v[66:67], v[60:61], v[66:67]
	ds_load_2addr_b64 v[60:63], v32 offset0:10 offset1:12
	v_dual_cndmask_b32 v73, 0, v67, s16 :: v_dual_cndmask_b32 v72, 0, v66, s16
	v_cmp_eq_u16_e64 s16, 0, v80
	v_and_b32_e32 v80, 0xff, v78
	s_delay_alu instid0(VALU_DEP_3) | instskip(NEXT) | instid1(VALU_DEP_1)
	v_add_nc_u64_e32 v[68:69], v[72:73], v[68:69]
	v_dual_cndmask_b32 v73, 0, v69, s16 :: v_dual_cndmask_b32 v72, 0, v68, s16
	s_delay_alu instid0(VALU_DEP_3) | instskip(SKIP_1) | instid1(VALU_DEP_2)
	v_cmp_eq_u16_e64 s16, 0, v80
	s_wait_dscnt 0x0
	v_add_nc_u64_e32 v[60:61], v[72:73], v[60:61]
	s_delay_alu instid0(VALU_DEP_1) | instskip(SKIP_1) | instid1(VALU_DEP_2)
	v_dual_cndmask_b32 v73, 0, v61, s16 :: v_dual_cndmask_b32 v72, 0, v60, s16
	v_cmp_eq_u16_e64 s16, 0, v79
	v_add_nc_u64_e32 v[62:63], v[72:73], v[62:63]
	v_or_b32_e32 v80, v65, v33
	v_bitop3_b16 v33, v74, v65, v33 bitop3:0xfe
	ds_store_2addr_b64 v32, v[4:5], v[70:71] offset0:2 offset1:4
	ds_store_2addr_b64 v32, v[66:67], v[68:69] offset0:6 offset1:8
	;; [unrolled: 1-line block ×3, first 2 shown]
	v_cndmask_b32_e64 v73, 0, v63, s16
	v_bitop3_b16 v65, v75, v74, v80 bitop3:0xfe
	v_bitop3_b16 v74, v74, 1, v80 bitop3:0xc8
	;; [unrolled: 1-line block ×4, first 2 shown]
	s_delay_alu instid0(VALU_DEP_4) | instskip(SKIP_1) | instid1(VALU_DEP_3)
	v_bitop3_b16 v72, v77, v76, v65 bitop3:0xfe
	v_bitop3_b16 v65, v76, 1, v65 bitop3:0xc8
	;; [unrolled: 1-line block ×4, first 2 shown]
	s_delay_alu instid0(VALU_DEP_4) | instskip(SKIP_1) | instid1(VALU_DEP_4)
	v_bitop3_b16 v76, v78, 1, v72 bitop3:0xc8
	v_cndmask_b32_e64 v72, 0, v62, s16
	v_bitop3_b16 v75, v79, 1, v75 bitop3:0xc8
	s_delay_alu instid0(VALU_DEP_2)
	v_add_nc_u64_e32 v[4:5], v[72:73], v[20:21]
	ds_store_b8 v32, v81 offset:24
	ds_store_b8 v32, v74 offset:40
	;; [unrolled: 1-line block ×6, first 2 shown]
	ds_store_b64 v32, v[4:5] offset:112
	ds_store_b8 v32, v75 offset:120
.LBB893_172:
	s_or_b32 exec_lo, exec_lo, s19
	s_wait_dscnt 0x0
	s_barrier_signal -1
	s_barrier_wait -1
	s_and_saveexec_b32 s16, s2
	s_cbranch_execz .LBB893_174
; %bb.173:
	v_and_b32_e32 v1, 0xff, v1
	s_delay_alu instid0(VALU_DEP_1) | instskip(SKIP_1) | instid1(VALU_DEP_1)
	v_cmp_eq_u16_e64 s2, 0, v1
	v_add_nc_u32_e32 v4, -1, v0
	v_lshrrev_b32_e32 v5, 1, v4
	s_delay_alu instid0(VALU_DEP_1) | instskip(NEXT) | instid1(VALU_DEP_1)
	v_and_b32_e32 v5, 0x7ffffff0, v5
	v_lshl_add_u32 v4, v4, 4, v5
	ds_load_b64 v[4:5], v4
	;;#ASMSTART
	;;#ASMEND
	s_wait_dscnt 0x0
	v_dual_cndmask_b32 v5, 0, v5, s2 :: v_dual_cndmask_b32 v4, 0, v4, s2
	s_delay_alu instid0(VALU_DEP_1) | instskip(NEXT) | instid1(VALU_DEP_1)
	v_add_nc_u64_e32 v[2:3], v[4:5], v[2:3]
	v_dual_cndmask_b32 v5, 0, v3, s3 :: v_dual_cndmask_b32 v4, 0, v2, s3
	s_delay_alu instid0(VALU_DEP_1) | instskip(NEXT) | instid1(VALU_DEP_1)
	v_add_nc_u64_e32 v[34:35], v[4:5], v[6:7]
	;; [unrolled: 3-line block ×13, first 2 shown]
	v_dual_cndmask_b32 v5, 0, v57, s15 :: v_dual_cndmask_b32 v4, 0, v56, s15
	s_delay_alu instid0(VALU_DEP_1)
	v_add_nc_u64_e32 v[58:59], v[4:5], v[8:9]
.LBB893_174:
	s_or_b32 exec_lo, exec_lo, s16
	s_and_saveexec_b32 s2, vcc_lo
	s_cbranch_execz .LBB893_176
; %bb.175:
	v_dual_mov_b32 v1, 0 :: v_dual_mov_b32 v7, 2
	ds_load_b64 v[4:5], v1 offset:4192
	ds_load_u8 v6, v1 offset:4200
	s_wait_dscnt 0x1
	global_store_b64 v1, v[4:5], s[26:27] offset:512
	s_wait_dscnt 0x0
	global_store_b8 v1, v6, s[26:27] offset:520
	global_wb scope:SCOPE_DEV
	s_wait_storecnt 0x0
	global_inv scope:SCOPE_DEV
	s_wait_xcnt 0x0
	global_store_b8 v1, v7, s[28:29] offset:32 scope:SCOPE_DEV
.LBB893_176:
	s_wait_xcnt 0x0
	s_or_b32 exec_lo, exec_lo, s2
	v_mov_b64_e32 v[32:33], v[2:3]
.LBB893_177:
	s_load_b64 s[0:1], s[0:1], 0x20
	s_and_b32 vcc_lo, exec_lo, s31
	s_wait_kmcnt 0x0
	s_add_nc_u64 s[0:1], s[0:1], s[34:35]
	s_delay_alu instid0(SALU_CYCLE_1)
	s_add_nc_u64 s[0:1], s[0:1], s[36:37]
	s_cbranch_vccz .LBB893_225
; %bb.178:
	v_mul_u32_u24_e32 v1, 14, v0
	s_add_co_i32 s33, s33, s30
	s_mov_b32 s2, exec_lo
	s_delay_alu instid0(VALU_DEP_1)
	v_cmpx_gt_u32_e64 s33, v1
	s_cbranch_execz .LBB893_198
; %bb.179:
	v_or_b32_e32 v2, 1, v1
	s_mov_b32 s3, exec_lo
	s_delay_alu instid0(VALU_DEP_1)
	v_cmpx_gt_u32_e64 s33, v2
	s_cbranch_execz .LBB893_197
; %bb.180:
	v_add_nc_u32_e32 v2, 2, v1
	s_mov_b32 s4, exec_lo
	s_delay_alu instid0(VALU_DEP_1)
	v_cmpx_gt_u32_e64 s33, v2
	s_cbranch_execz .LBB893_196
; %bb.181:
	v_add_nc_u32_e32 v2, 3, v1
	;; [unrolled: 6-line block ×8, first 2 shown]
	s_mov_b32 s11, exec_lo
	s_delay_alu instid0(VALU_DEP_1)
	v_cmpx_gt_u32_e64 s33, v2
; %bb.188:
	v_add_nc_u32_e32 v2, 10, v1
	s_mov_b32 s12, exec_lo
	s_delay_alu instid0(VALU_DEP_1)
	v_cmpx_gt_u32_e64 s33, v2
	s_or_b32 exec_lo, exec_lo, s12
; %bb.189:
	s_delay_alu instid0(SALU_CYCLE_1)
	s_or_b32 exec_lo, exec_lo, s11
.LBB893_190:
	s_delay_alu instid0(SALU_CYCLE_1)
	s_or_b32 exec_lo, exec_lo, s10
.LBB893_191:
	s_delay_alu instid0(SALU_CYCLE_1)
	s_or_b32 exec_lo, exec_lo, s9
.LBB893_192:
	s_delay_alu instid0(SALU_CYCLE_1)
	s_or_b32 exec_lo, exec_lo, s8
.LBB893_193:
	s_delay_alu instid0(SALU_CYCLE_1)
	s_or_b32 exec_lo, exec_lo, s7
.LBB893_194:
	s_delay_alu instid0(SALU_CYCLE_1)
	s_or_b32 exec_lo, exec_lo, s6
.LBB893_195:
	s_delay_alu instid0(SALU_CYCLE_1)
	s_or_b32 exec_lo, exec_lo, s5
.LBB893_196:
	s_delay_alu instid0(SALU_CYCLE_1)
	s_or_b32 exec_lo, exec_lo, s4
.LBB893_197:
	s_delay_alu instid0(SALU_CYCLE_1)
	s_or_b32 exec_lo, exec_lo, s3
.LBB893_198:
	s_delay_alu instid0(SALU_CYCLE_1)
	s_or_b32 exec_lo, exec_lo, s2
	v_dual_lshlrev_b32 v1, 3, v1 :: v_dual_mov_b32 v65, 0
	s_wait_loadcnt 0x0
	s_wait_storecnt 0x0
	s_barrier_signal -1
	s_barrier_wait -1
	v_mad_i32_i24 v2, 0xffffff98, v0, v1
	ds_store_b128 v1, v[32:35]
	ds_store_b128 v1, v[36:39] offset:16
	ds_store_b128 v1, v[40:43] offset:32
	;; [unrolled: 1-line block ×6, first 2 shown]
	s_wait_dscnt 0x0
	s_barrier_signal -1
	s_barrier_wait -1
	ds_load_2addr_stride64_b64 v[26:29], v2 offset0:4 offset1:8
	ds_load_2addr_stride64_b64 v[22:25], v2 offset0:12 offset1:16
	;; [unrolled: 1-line block ×6, first 2 shown]
	ds_load_b64 v[4:5], v2 offset:26624
	v_add_nc_u64_e32 v[2:3], s[0:1], v[64:65]
	s_mov_b32 s2, exec_lo
	v_cmpx_gt_u32_e64 s33, v0
	s_cbranch_execz .LBB893_200
; %bb.199:
	v_mul_i32_i24_e32 v30, 0xffffff98, v0
	s_delay_alu instid0(VALU_DEP_1)
	v_add_nc_u32_e32 v1, v1, v30
	ds_load_b64 v[30:31], v1
	s_wait_dscnt 0x0
	flat_store_b64 v[2:3], v[30:31]
.LBB893_200:
	s_wait_xcnt 0x0
	s_or_b32 exec_lo, exec_lo, s2
	v_or_b32_e32 v1, 0x100, v0
	s_mov_b32 s2, exec_lo
	s_delay_alu instid0(VALU_DEP_1)
	v_cmpx_gt_u32_e64 s33, v1
	s_cbranch_execz .LBB893_202
; %bb.201:
	s_wait_dscnt 0x6
	flat_store_b64 v[2:3], v[26:27] offset:2048
.LBB893_202:
	s_wait_xcnt 0x0
	s_or_b32 exec_lo, exec_lo, s2
	v_or_b32_e32 v1, 0x200, v0
	s_mov_b32 s2, exec_lo
	s_delay_alu instid0(VALU_DEP_1)
	v_cmpx_gt_u32_e64 s33, v1
	s_cbranch_execz .LBB893_204
; %bb.203:
	s_wait_dscnt 0x6
	flat_store_b64 v[2:3], v[28:29] offset:4096
.LBB893_204:
	;; [unrolled: 11-line block ×12, first 2 shown]
	s_wait_xcnt 0x0
	s_or_b32 exec_lo, exec_lo, s2
	v_or_b32_e32 v1, 0xd00, v0
	s_delay_alu instid0(VALU_DEP_1)
	v_cmp_gt_u32_e64 s2, s33, v1
	s_branch .LBB893_227
.LBB893_225:
	s_mov_b32 s2, 0
                                        ; implicit-def: $vgpr4_vgpr5
	s_cbranch_execz .LBB893_227
; %bb.226:
	v_mul_u32_u24_e32 v1, 0x70, v0
	v_mul_i32_i24_e32 v2, 0xffffff98, v0
	s_wait_storecnt 0x0
	s_wait_loadcnt_dscnt 0x0
	s_barrier_signal -1
	s_barrier_wait -1
	ds_store_b128 v1, v[32:35]
	ds_store_b128 v1, v[36:39] offset:16
	ds_store_b128 v1, v[40:43] offset:32
	ds_store_b128 v1, v[44:47] offset:48
	ds_store_b128 v1, v[48:51] offset:64
	ds_store_b128 v1, v[52:55] offset:80
	ds_store_b128 v1, v[56:59] offset:96
	v_mad_u32_u24 v1, 0x70, v0, v2
	s_wait_dscnt 0x0
	s_barrier_signal -1
	s_barrier_wait -1
	ds_load_2addr_stride64_b64 v[6:9], v1 offset1:4
	ds_load_2addr_stride64_b64 v[10:13], v1 offset0:8 offset1:12
	ds_load_2addr_stride64_b64 v[14:17], v1 offset0:16 offset1:20
	;; [unrolled: 1-line block ×6, first 2 shown]
	s_or_b32 s2, s2, exec_lo
	s_wait_dscnt 0x6
	s_clause 0x1
	flat_store_b64 v0, v[6:7], s[0:1] scale_offset
	flat_store_b64 v0, v[8:9], s[0:1] offset:2048 scale_offset
	s_wait_dscnt 0x7
	s_clause 0x1
	flat_store_b64 v0, v[10:11], s[0:1] offset:4096 scale_offset
	flat_store_b64 v0, v[12:13], s[0:1] offset:6144 scale_offset
	s_wait_dscnt 0x8
	s_clause 0x1
	flat_store_b64 v0, v[14:15], s[0:1] offset:8192 scale_offset
	;; [unrolled: 4-line block ×5, first 2 shown]
	flat_store_b64 v0, v[28:29], s[0:1] offset:22528 scale_offset
	s_wait_dscnt 0xc
	flat_store_b64 v0, v[2:3], s[0:1] offset:24576 scale_offset
.LBB893_227:
	s_wait_xcnt 0x0
	s_delay_alu instid0(VALU_DEP_1)
	s_and_saveexec_b32 s3, s2
	s_cbranch_execnz .LBB893_229
; %bb.228:
	s_sendmsg sendmsg(MSG_DEALLOC_VGPRS)
	s_endpgm
.LBB893_229:
	s_wait_dscnt 0x0
	flat_store_b64 v0, v[4:5], s[0:1] offset:26624 scale_offset
	s_sendmsg sendmsg(MSG_DEALLOC_VGPRS)
	s_endpgm
	.section	.rodata,"a",@progbits
	.p2align	6, 0x0
	.amdhsa_kernel _ZN7rocprim17ROCPRIM_400000_NS6detail17trampoline_kernelINS0_14default_configENS1_27scan_by_key_config_selectorIxxEEZZNS1_16scan_by_key_implILNS1_25lookback_scan_determinismE0ELb0ES3_N6thrust23THRUST_200600_302600_NS6detail15normal_iteratorINS9_10device_ptrIxEEEENS9_18transform_iteratorINS9_6negateIxEESE_NS9_11use_defaultESI_EESE_xNS9_4plusIvEENS9_8equal_toIvEExEE10hipError_tPvRmT2_T3_T4_T5_mT6_T7_P12ihipStream_tbENKUlT_T0_E_clISt17integral_constantIbLb0EES14_EEDaSZ_S10_EUlSZ_E_NS1_11comp_targetILNS1_3genE0ELNS1_11target_archE4294967295ELNS1_3gpuE0ELNS1_3repE0EEENS1_30default_config_static_selectorELNS0_4arch9wavefront6targetE0EEEvT1_
		.amdhsa_group_segment_fixed_size 32768
		.amdhsa_private_segment_fixed_size 0
		.amdhsa_kernarg_size 144
		.amdhsa_user_sgpr_count 2
		.amdhsa_user_sgpr_dispatch_ptr 0
		.amdhsa_user_sgpr_queue_ptr 0
		.amdhsa_user_sgpr_kernarg_segment_ptr 1
		.amdhsa_user_sgpr_dispatch_id 0
		.amdhsa_user_sgpr_kernarg_preload_length 0
		.amdhsa_user_sgpr_kernarg_preload_offset 0
		.amdhsa_user_sgpr_private_segment_size 0
		.amdhsa_wavefront_size32 1
		.amdhsa_uses_dynamic_stack 0
		.amdhsa_enable_private_segment 0
		.amdhsa_system_sgpr_workgroup_id_x 1
		.amdhsa_system_sgpr_workgroup_id_y 0
		.amdhsa_system_sgpr_workgroup_id_z 0
		.amdhsa_system_sgpr_workgroup_info 0
		.amdhsa_system_vgpr_workitem_id 0
		.amdhsa_next_free_vgpr 111
		.amdhsa_next_free_sgpr 48
		.amdhsa_named_barrier_count 0
		.amdhsa_reserve_vcc 1
		.amdhsa_float_round_mode_32 0
		.amdhsa_float_round_mode_16_64 0
		.amdhsa_float_denorm_mode_32 3
		.amdhsa_float_denorm_mode_16_64 3
		.amdhsa_fp16_overflow 0
		.amdhsa_memory_ordered 1
		.amdhsa_forward_progress 1
		.amdhsa_inst_pref_size 125
		.amdhsa_round_robin_scheduling 0
		.amdhsa_exception_fp_ieee_invalid_op 0
		.amdhsa_exception_fp_denorm_src 0
		.amdhsa_exception_fp_ieee_div_zero 0
		.amdhsa_exception_fp_ieee_overflow 0
		.amdhsa_exception_fp_ieee_underflow 0
		.amdhsa_exception_fp_ieee_inexact 0
		.amdhsa_exception_int_div_zero 0
	.end_amdhsa_kernel
	.section	.text._ZN7rocprim17ROCPRIM_400000_NS6detail17trampoline_kernelINS0_14default_configENS1_27scan_by_key_config_selectorIxxEEZZNS1_16scan_by_key_implILNS1_25lookback_scan_determinismE0ELb0ES3_N6thrust23THRUST_200600_302600_NS6detail15normal_iteratorINS9_10device_ptrIxEEEENS9_18transform_iteratorINS9_6negateIxEESE_NS9_11use_defaultESI_EESE_xNS9_4plusIvEENS9_8equal_toIvEExEE10hipError_tPvRmT2_T3_T4_T5_mT6_T7_P12ihipStream_tbENKUlT_T0_E_clISt17integral_constantIbLb0EES14_EEDaSZ_S10_EUlSZ_E_NS1_11comp_targetILNS1_3genE0ELNS1_11target_archE4294967295ELNS1_3gpuE0ELNS1_3repE0EEENS1_30default_config_static_selectorELNS0_4arch9wavefront6targetE0EEEvT1_,"axG",@progbits,_ZN7rocprim17ROCPRIM_400000_NS6detail17trampoline_kernelINS0_14default_configENS1_27scan_by_key_config_selectorIxxEEZZNS1_16scan_by_key_implILNS1_25lookback_scan_determinismE0ELb0ES3_N6thrust23THRUST_200600_302600_NS6detail15normal_iteratorINS9_10device_ptrIxEEEENS9_18transform_iteratorINS9_6negateIxEESE_NS9_11use_defaultESI_EESE_xNS9_4plusIvEENS9_8equal_toIvEExEE10hipError_tPvRmT2_T3_T4_T5_mT6_T7_P12ihipStream_tbENKUlT_T0_E_clISt17integral_constantIbLb0EES14_EEDaSZ_S10_EUlSZ_E_NS1_11comp_targetILNS1_3genE0ELNS1_11target_archE4294967295ELNS1_3gpuE0ELNS1_3repE0EEENS1_30default_config_static_selectorELNS0_4arch9wavefront6targetE0EEEvT1_,comdat
.Lfunc_end893:
	.size	_ZN7rocprim17ROCPRIM_400000_NS6detail17trampoline_kernelINS0_14default_configENS1_27scan_by_key_config_selectorIxxEEZZNS1_16scan_by_key_implILNS1_25lookback_scan_determinismE0ELb0ES3_N6thrust23THRUST_200600_302600_NS6detail15normal_iteratorINS9_10device_ptrIxEEEENS9_18transform_iteratorINS9_6negateIxEESE_NS9_11use_defaultESI_EESE_xNS9_4plusIvEENS9_8equal_toIvEExEE10hipError_tPvRmT2_T3_T4_T5_mT6_T7_P12ihipStream_tbENKUlT_T0_E_clISt17integral_constantIbLb0EES14_EEDaSZ_S10_EUlSZ_E_NS1_11comp_targetILNS1_3genE0ELNS1_11target_archE4294967295ELNS1_3gpuE0ELNS1_3repE0EEENS1_30default_config_static_selectorELNS0_4arch9wavefront6targetE0EEEvT1_, .Lfunc_end893-_ZN7rocprim17ROCPRIM_400000_NS6detail17trampoline_kernelINS0_14default_configENS1_27scan_by_key_config_selectorIxxEEZZNS1_16scan_by_key_implILNS1_25lookback_scan_determinismE0ELb0ES3_N6thrust23THRUST_200600_302600_NS6detail15normal_iteratorINS9_10device_ptrIxEEEENS9_18transform_iteratorINS9_6negateIxEESE_NS9_11use_defaultESI_EESE_xNS9_4plusIvEENS9_8equal_toIvEExEE10hipError_tPvRmT2_T3_T4_T5_mT6_T7_P12ihipStream_tbENKUlT_T0_E_clISt17integral_constantIbLb0EES14_EEDaSZ_S10_EUlSZ_E_NS1_11comp_targetILNS1_3genE0ELNS1_11target_archE4294967295ELNS1_3gpuE0ELNS1_3repE0EEENS1_30default_config_static_selectorELNS0_4arch9wavefront6targetE0EEEvT1_
                                        ; -- End function
	.set _ZN7rocprim17ROCPRIM_400000_NS6detail17trampoline_kernelINS0_14default_configENS1_27scan_by_key_config_selectorIxxEEZZNS1_16scan_by_key_implILNS1_25lookback_scan_determinismE0ELb0ES3_N6thrust23THRUST_200600_302600_NS6detail15normal_iteratorINS9_10device_ptrIxEEEENS9_18transform_iteratorINS9_6negateIxEESE_NS9_11use_defaultESI_EESE_xNS9_4plusIvEENS9_8equal_toIvEExEE10hipError_tPvRmT2_T3_T4_T5_mT6_T7_P12ihipStream_tbENKUlT_T0_E_clISt17integral_constantIbLb0EES14_EEDaSZ_S10_EUlSZ_E_NS1_11comp_targetILNS1_3genE0ELNS1_11target_archE4294967295ELNS1_3gpuE0ELNS1_3repE0EEENS1_30default_config_static_selectorELNS0_4arch9wavefront6targetE0EEEvT1_.num_vgpr, 111
	.set _ZN7rocprim17ROCPRIM_400000_NS6detail17trampoline_kernelINS0_14default_configENS1_27scan_by_key_config_selectorIxxEEZZNS1_16scan_by_key_implILNS1_25lookback_scan_determinismE0ELb0ES3_N6thrust23THRUST_200600_302600_NS6detail15normal_iteratorINS9_10device_ptrIxEEEENS9_18transform_iteratorINS9_6negateIxEESE_NS9_11use_defaultESI_EESE_xNS9_4plusIvEENS9_8equal_toIvEExEE10hipError_tPvRmT2_T3_T4_T5_mT6_T7_P12ihipStream_tbENKUlT_T0_E_clISt17integral_constantIbLb0EES14_EEDaSZ_S10_EUlSZ_E_NS1_11comp_targetILNS1_3genE0ELNS1_11target_archE4294967295ELNS1_3gpuE0ELNS1_3repE0EEENS1_30default_config_static_selectorELNS0_4arch9wavefront6targetE0EEEvT1_.num_agpr, 0
	.set _ZN7rocprim17ROCPRIM_400000_NS6detail17trampoline_kernelINS0_14default_configENS1_27scan_by_key_config_selectorIxxEEZZNS1_16scan_by_key_implILNS1_25lookback_scan_determinismE0ELb0ES3_N6thrust23THRUST_200600_302600_NS6detail15normal_iteratorINS9_10device_ptrIxEEEENS9_18transform_iteratorINS9_6negateIxEESE_NS9_11use_defaultESI_EESE_xNS9_4plusIvEENS9_8equal_toIvEExEE10hipError_tPvRmT2_T3_T4_T5_mT6_T7_P12ihipStream_tbENKUlT_T0_E_clISt17integral_constantIbLb0EES14_EEDaSZ_S10_EUlSZ_E_NS1_11comp_targetILNS1_3genE0ELNS1_11target_archE4294967295ELNS1_3gpuE0ELNS1_3repE0EEENS1_30default_config_static_selectorELNS0_4arch9wavefront6targetE0EEEvT1_.numbered_sgpr, 48
	.set _ZN7rocprim17ROCPRIM_400000_NS6detail17trampoline_kernelINS0_14default_configENS1_27scan_by_key_config_selectorIxxEEZZNS1_16scan_by_key_implILNS1_25lookback_scan_determinismE0ELb0ES3_N6thrust23THRUST_200600_302600_NS6detail15normal_iteratorINS9_10device_ptrIxEEEENS9_18transform_iteratorINS9_6negateIxEESE_NS9_11use_defaultESI_EESE_xNS9_4plusIvEENS9_8equal_toIvEExEE10hipError_tPvRmT2_T3_T4_T5_mT6_T7_P12ihipStream_tbENKUlT_T0_E_clISt17integral_constantIbLb0EES14_EEDaSZ_S10_EUlSZ_E_NS1_11comp_targetILNS1_3genE0ELNS1_11target_archE4294967295ELNS1_3gpuE0ELNS1_3repE0EEENS1_30default_config_static_selectorELNS0_4arch9wavefront6targetE0EEEvT1_.num_named_barrier, 0
	.set _ZN7rocprim17ROCPRIM_400000_NS6detail17trampoline_kernelINS0_14default_configENS1_27scan_by_key_config_selectorIxxEEZZNS1_16scan_by_key_implILNS1_25lookback_scan_determinismE0ELb0ES3_N6thrust23THRUST_200600_302600_NS6detail15normal_iteratorINS9_10device_ptrIxEEEENS9_18transform_iteratorINS9_6negateIxEESE_NS9_11use_defaultESI_EESE_xNS9_4plusIvEENS9_8equal_toIvEExEE10hipError_tPvRmT2_T3_T4_T5_mT6_T7_P12ihipStream_tbENKUlT_T0_E_clISt17integral_constantIbLb0EES14_EEDaSZ_S10_EUlSZ_E_NS1_11comp_targetILNS1_3genE0ELNS1_11target_archE4294967295ELNS1_3gpuE0ELNS1_3repE0EEENS1_30default_config_static_selectorELNS0_4arch9wavefront6targetE0EEEvT1_.private_seg_size, 0
	.set _ZN7rocprim17ROCPRIM_400000_NS6detail17trampoline_kernelINS0_14default_configENS1_27scan_by_key_config_selectorIxxEEZZNS1_16scan_by_key_implILNS1_25lookback_scan_determinismE0ELb0ES3_N6thrust23THRUST_200600_302600_NS6detail15normal_iteratorINS9_10device_ptrIxEEEENS9_18transform_iteratorINS9_6negateIxEESE_NS9_11use_defaultESI_EESE_xNS9_4plusIvEENS9_8equal_toIvEExEE10hipError_tPvRmT2_T3_T4_T5_mT6_T7_P12ihipStream_tbENKUlT_T0_E_clISt17integral_constantIbLb0EES14_EEDaSZ_S10_EUlSZ_E_NS1_11comp_targetILNS1_3genE0ELNS1_11target_archE4294967295ELNS1_3gpuE0ELNS1_3repE0EEENS1_30default_config_static_selectorELNS0_4arch9wavefront6targetE0EEEvT1_.uses_vcc, 1
	.set _ZN7rocprim17ROCPRIM_400000_NS6detail17trampoline_kernelINS0_14default_configENS1_27scan_by_key_config_selectorIxxEEZZNS1_16scan_by_key_implILNS1_25lookback_scan_determinismE0ELb0ES3_N6thrust23THRUST_200600_302600_NS6detail15normal_iteratorINS9_10device_ptrIxEEEENS9_18transform_iteratorINS9_6negateIxEESE_NS9_11use_defaultESI_EESE_xNS9_4plusIvEENS9_8equal_toIvEExEE10hipError_tPvRmT2_T3_T4_T5_mT6_T7_P12ihipStream_tbENKUlT_T0_E_clISt17integral_constantIbLb0EES14_EEDaSZ_S10_EUlSZ_E_NS1_11comp_targetILNS1_3genE0ELNS1_11target_archE4294967295ELNS1_3gpuE0ELNS1_3repE0EEENS1_30default_config_static_selectorELNS0_4arch9wavefront6targetE0EEEvT1_.uses_flat_scratch, 1
	.set _ZN7rocprim17ROCPRIM_400000_NS6detail17trampoline_kernelINS0_14default_configENS1_27scan_by_key_config_selectorIxxEEZZNS1_16scan_by_key_implILNS1_25lookback_scan_determinismE0ELb0ES3_N6thrust23THRUST_200600_302600_NS6detail15normal_iteratorINS9_10device_ptrIxEEEENS9_18transform_iteratorINS9_6negateIxEESE_NS9_11use_defaultESI_EESE_xNS9_4plusIvEENS9_8equal_toIvEExEE10hipError_tPvRmT2_T3_T4_T5_mT6_T7_P12ihipStream_tbENKUlT_T0_E_clISt17integral_constantIbLb0EES14_EEDaSZ_S10_EUlSZ_E_NS1_11comp_targetILNS1_3genE0ELNS1_11target_archE4294967295ELNS1_3gpuE0ELNS1_3repE0EEENS1_30default_config_static_selectorELNS0_4arch9wavefront6targetE0EEEvT1_.has_dyn_sized_stack, 0
	.set _ZN7rocprim17ROCPRIM_400000_NS6detail17trampoline_kernelINS0_14default_configENS1_27scan_by_key_config_selectorIxxEEZZNS1_16scan_by_key_implILNS1_25lookback_scan_determinismE0ELb0ES3_N6thrust23THRUST_200600_302600_NS6detail15normal_iteratorINS9_10device_ptrIxEEEENS9_18transform_iteratorINS9_6negateIxEESE_NS9_11use_defaultESI_EESE_xNS9_4plusIvEENS9_8equal_toIvEExEE10hipError_tPvRmT2_T3_T4_T5_mT6_T7_P12ihipStream_tbENKUlT_T0_E_clISt17integral_constantIbLb0EES14_EEDaSZ_S10_EUlSZ_E_NS1_11comp_targetILNS1_3genE0ELNS1_11target_archE4294967295ELNS1_3gpuE0ELNS1_3repE0EEENS1_30default_config_static_selectorELNS0_4arch9wavefront6targetE0EEEvT1_.has_recursion, 0
	.set _ZN7rocprim17ROCPRIM_400000_NS6detail17trampoline_kernelINS0_14default_configENS1_27scan_by_key_config_selectorIxxEEZZNS1_16scan_by_key_implILNS1_25lookback_scan_determinismE0ELb0ES3_N6thrust23THRUST_200600_302600_NS6detail15normal_iteratorINS9_10device_ptrIxEEEENS9_18transform_iteratorINS9_6negateIxEESE_NS9_11use_defaultESI_EESE_xNS9_4plusIvEENS9_8equal_toIvEExEE10hipError_tPvRmT2_T3_T4_T5_mT6_T7_P12ihipStream_tbENKUlT_T0_E_clISt17integral_constantIbLb0EES14_EEDaSZ_S10_EUlSZ_E_NS1_11comp_targetILNS1_3genE0ELNS1_11target_archE4294967295ELNS1_3gpuE0ELNS1_3repE0EEENS1_30default_config_static_selectorELNS0_4arch9wavefront6targetE0EEEvT1_.has_indirect_call, 0
	.section	.AMDGPU.csdata,"",@progbits
; Kernel info:
; codeLenInByte = 15972
; TotalNumSgprs: 50
; NumVgprs: 111
; ScratchSize: 0
; MemoryBound: 0
; FloatMode: 240
; IeeeMode: 1
; LDSByteSize: 32768 bytes/workgroup (compile time only)
; SGPRBlocks: 0
; VGPRBlocks: 6
; NumSGPRsForWavesPerEU: 50
; NumVGPRsForWavesPerEU: 111
; NamedBarCnt: 0
; Occupancy: 9
; WaveLimiterHint : 1
; COMPUTE_PGM_RSRC2:SCRATCH_EN: 0
; COMPUTE_PGM_RSRC2:USER_SGPR: 2
; COMPUTE_PGM_RSRC2:TRAP_HANDLER: 0
; COMPUTE_PGM_RSRC2:TGID_X_EN: 1
; COMPUTE_PGM_RSRC2:TGID_Y_EN: 0
; COMPUTE_PGM_RSRC2:TGID_Z_EN: 0
; COMPUTE_PGM_RSRC2:TIDIG_COMP_CNT: 0
	.section	.text._ZN7rocprim17ROCPRIM_400000_NS6detail17trampoline_kernelINS0_14default_configENS1_27scan_by_key_config_selectorIxxEEZZNS1_16scan_by_key_implILNS1_25lookback_scan_determinismE0ELb0ES3_N6thrust23THRUST_200600_302600_NS6detail15normal_iteratorINS9_10device_ptrIxEEEENS9_18transform_iteratorINS9_6negateIxEESE_NS9_11use_defaultESI_EESE_xNS9_4plusIvEENS9_8equal_toIvEExEE10hipError_tPvRmT2_T3_T4_T5_mT6_T7_P12ihipStream_tbENKUlT_T0_E_clISt17integral_constantIbLb0EES14_EEDaSZ_S10_EUlSZ_E_NS1_11comp_targetILNS1_3genE10ELNS1_11target_archE1201ELNS1_3gpuE5ELNS1_3repE0EEENS1_30default_config_static_selectorELNS0_4arch9wavefront6targetE0EEEvT1_,"axG",@progbits,_ZN7rocprim17ROCPRIM_400000_NS6detail17trampoline_kernelINS0_14default_configENS1_27scan_by_key_config_selectorIxxEEZZNS1_16scan_by_key_implILNS1_25lookback_scan_determinismE0ELb0ES3_N6thrust23THRUST_200600_302600_NS6detail15normal_iteratorINS9_10device_ptrIxEEEENS9_18transform_iteratorINS9_6negateIxEESE_NS9_11use_defaultESI_EESE_xNS9_4plusIvEENS9_8equal_toIvEExEE10hipError_tPvRmT2_T3_T4_T5_mT6_T7_P12ihipStream_tbENKUlT_T0_E_clISt17integral_constantIbLb0EES14_EEDaSZ_S10_EUlSZ_E_NS1_11comp_targetILNS1_3genE10ELNS1_11target_archE1201ELNS1_3gpuE5ELNS1_3repE0EEENS1_30default_config_static_selectorELNS0_4arch9wavefront6targetE0EEEvT1_,comdat
	.protected	_ZN7rocprim17ROCPRIM_400000_NS6detail17trampoline_kernelINS0_14default_configENS1_27scan_by_key_config_selectorIxxEEZZNS1_16scan_by_key_implILNS1_25lookback_scan_determinismE0ELb0ES3_N6thrust23THRUST_200600_302600_NS6detail15normal_iteratorINS9_10device_ptrIxEEEENS9_18transform_iteratorINS9_6negateIxEESE_NS9_11use_defaultESI_EESE_xNS9_4plusIvEENS9_8equal_toIvEExEE10hipError_tPvRmT2_T3_T4_T5_mT6_T7_P12ihipStream_tbENKUlT_T0_E_clISt17integral_constantIbLb0EES14_EEDaSZ_S10_EUlSZ_E_NS1_11comp_targetILNS1_3genE10ELNS1_11target_archE1201ELNS1_3gpuE5ELNS1_3repE0EEENS1_30default_config_static_selectorELNS0_4arch9wavefront6targetE0EEEvT1_ ; -- Begin function _ZN7rocprim17ROCPRIM_400000_NS6detail17trampoline_kernelINS0_14default_configENS1_27scan_by_key_config_selectorIxxEEZZNS1_16scan_by_key_implILNS1_25lookback_scan_determinismE0ELb0ES3_N6thrust23THRUST_200600_302600_NS6detail15normal_iteratorINS9_10device_ptrIxEEEENS9_18transform_iteratorINS9_6negateIxEESE_NS9_11use_defaultESI_EESE_xNS9_4plusIvEENS9_8equal_toIvEExEE10hipError_tPvRmT2_T3_T4_T5_mT6_T7_P12ihipStream_tbENKUlT_T0_E_clISt17integral_constantIbLb0EES14_EEDaSZ_S10_EUlSZ_E_NS1_11comp_targetILNS1_3genE10ELNS1_11target_archE1201ELNS1_3gpuE5ELNS1_3repE0EEENS1_30default_config_static_selectorELNS0_4arch9wavefront6targetE0EEEvT1_
	.globl	_ZN7rocprim17ROCPRIM_400000_NS6detail17trampoline_kernelINS0_14default_configENS1_27scan_by_key_config_selectorIxxEEZZNS1_16scan_by_key_implILNS1_25lookback_scan_determinismE0ELb0ES3_N6thrust23THRUST_200600_302600_NS6detail15normal_iteratorINS9_10device_ptrIxEEEENS9_18transform_iteratorINS9_6negateIxEESE_NS9_11use_defaultESI_EESE_xNS9_4plusIvEENS9_8equal_toIvEExEE10hipError_tPvRmT2_T3_T4_T5_mT6_T7_P12ihipStream_tbENKUlT_T0_E_clISt17integral_constantIbLb0EES14_EEDaSZ_S10_EUlSZ_E_NS1_11comp_targetILNS1_3genE10ELNS1_11target_archE1201ELNS1_3gpuE5ELNS1_3repE0EEENS1_30default_config_static_selectorELNS0_4arch9wavefront6targetE0EEEvT1_
	.p2align	8
	.type	_ZN7rocprim17ROCPRIM_400000_NS6detail17trampoline_kernelINS0_14default_configENS1_27scan_by_key_config_selectorIxxEEZZNS1_16scan_by_key_implILNS1_25lookback_scan_determinismE0ELb0ES3_N6thrust23THRUST_200600_302600_NS6detail15normal_iteratorINS9_10device_ptrIxEEEENS9_18transform_iteratorINS9_6negateIxEESE_NS9_11use_defaultESI_EESE_xNS9_4plusIvEENS9_8equal_toIvEExEE10hipError_tPvRmT2_T3_T4_T5_mT6_T7_P12ihipStream_tbENKUlT_T0_E_clISt17integral_constantIbLb0EES14_EEDaSZ_S10_EUlSZ_E_NS1_11comp_targetILNS1_3genE10ELNS1_11target_archE1201ELNS1_3gpuE5ELNS1_3repE0EEENS1_30default_config_static_selectorELNS0_4arch9wavefront6targetE0EEEvT1_,@function
_ZN7rocprim17ROCPRIM_400000_NS6detail17trampoline_kernelINS0_14default_configENS1_27scan_by_key_config_selectorIxxEEZZNS1_16scan_by_key_implILNS1_25lookback_scan_determinismE0ELb0ES3_N6thrust23THRUST_200600_302600_NS6detail15normal_iteratorINS9_10device_ptrIxEEEENS9_18transform_iteratorINS9_6negateIxEESE_NS9_11use_defaultESI_EESE_xNS9_4plusIvEENS9_8equal_toIvEExEE10hipError_tPvRmT2_T3_T4_T5_mT6_T7_P12ihipStream_tbENKUlT_T0_E_clISt17integral_constantIbLb0EES14_EEDaSZ_S10_EUlSZ_E_NS1_11comp_targetILNS1_3genE10ELNS1_11target_archE1201ELNS1_3gpuE5ELNS1_3repE0EEENS1_30default_config_static_selectorELNS0_4arch9wavefront6targetE0EEEvT1_: ; @_ZN7rocprim17ROCPRIM_400000_NS6detail17trampoline_kernelINS0_14default_configENS1_27scan_by_key_config_selectorIxxEEZZNS1_16scan_by_key_implILNS1_25lookback_scan_determinismE0ELb0ES3_N6thrust23THRUST_200600_302600_NS6detail15normal_iteratorINS9_10device_ptrIxEEEENS9_18transform_iteratorINS9_6negateIxEESE_NS9_11use_defaultESI_EESE_xNS9_4plusIvEENS9_8equal_toIvEExEE10hipError_tPvRmT2_T3_T4_T5_mT6_T7_P12ihipStream_tbENKUlT_T0_E_clISt17integral_constantIbLb0EES14_EEDaSZ_S10_EUlSZ_E_NS1_11comp_targetILNS1_3genE10ELNS1_11target_archE1201ELNS1_3gpuE5ELNS1_3repE0EEENS1_30default_config_static_selectorELNS0_4arch9wavefront6targetE0EEEvT1_
; %bb.0:
	.section	.rodata,"a",@progbits
	.p2align	6, 0x0
	.amdhsa_kernel _ZN7rocprim17ROCPRIM_400000_NS6detail17trampoline_kernelINS0_14default_configENS1_27scan_by_key_config_selectorIxxEEZZNS1_16scan_by_key_implILNS1_25lookback_scan_determinismE0ELb0ES3_N6thrust23THRUST_200600_302600_NS6detail15normal_iteratorINS9_10device_ptrIxEEEENS9_18transform_iteratorINS9_6negateIxEESE_NS9_11use_defaultESI_EESE_xNS9_4plusIvEENS9_8equal_toIvEExEE10hipError_tPvRmT2_T3_T4_T5_mT6_T7_P12ihipStream_tbENKUlT_T0_E_clISt17integral_constantIbLb0EES14_EEDaSZ_S10_EUlSZ_E_NS1_11comp_targetILNS1_3genE10ELNS1_11target_archE1201ELNS1_3gpuE5ELNS1_3repE0EEENS1_30default_config_static_selectorELNS0_4arch9wavefront6targetE0EEEvT1_
		.amdhsa_group_segment_fixed_size 0
		.amdhsa_private_segment_fixed_size 0
		.amdhsa_kernarg_size 144
		.amdhsa_user_sgpr_count 2
		.amdhsa_user_sgpr_dispatch_ptr 0
		.amdhsa_user_sgpr_queue_ptr 0
		.amdhsa_user_sgpr_kernarg_segment_ptr 1
		.amdhsa_user_sgpr_dispatch_id 0
		.amdhsa_user_sgpr_kernarg_preload_length 0
		.amdhsa_user_sgpr_kernarg_preload_offset 0
		.amdhsa_user_sgpr_private_segment_size 0
		.amdhsa_wavefront_size32 1
		.amdhsa_uses_dynamic_stack 0
		.amdhsa_enable_private_segment 0
		.amdhsa_system_sgpr_workgroup_id_x 1
		.amdhsa_system_sgpr_workgroup_id_y 0
		.amdhsa_system_sgpr_workgroup_id_z 0
		.amdhsa_system_sgpr_workgroup_info 0
		.amdhsa_system_vgpr_workitem_id 0
		.amdhsa_next_free_vgpr 1
		.amdhsa_next_free_sgpr 1
		.amdhsa_named_barrier_count 0
		.amdhsa_reserve_vcc 0
		.amdhsa_float_round_mode_32 0
		.amdhsa_float_round_mode_16_64 0
		.amdhsa_float_denorm_mode_32 3
		.amdhsa_float_denorm_mode_16_64 3
		.amdhsa_fp16_overflow 0
		.amdhsa_memory_ordered 1
		.amdhsa_forward_progress 1
		.amdhsa_inst_pref_size 0
		.amdhsa_round_robin_scheduling 0
		.amdhsa_exception_fp_ieee_invalid_op 0
		.amdhsa_exception_fp_denorm_src 0
		.amdhsa_exception_fp_ieee_div_zero 0
		.amdhsa_exception_fp_ieee_overflow 0
		.amdhsa_exception_fp_ieee_underflow 0
		.amdhsa_exception_fp_ieee_inexact 0
		.amdhsa_exception_int_div_zero 0
	.end_amdhsa_kernel
	.section	.text._ZN7rocprim17ROCPRIM_400000_NS6detail17trampoline_kernelINS0_14default_configENS1_27scan_by_key_config_selectorIxxEEZZNS1_16scan_by_key_implILNS1_25lookback_scan_determinismE0ELb0ES3_N6thrust23THRUST_200600_302600_NS6detail15normal_iteratorINS9_10device_ptrIxEEEENS9_18transform_iteratorINS9_6negateIxEESE_NS9_11use_defaultESI_EESE_xNS9_4plusIvEENS9_8equal_toIvEExEE10hipError_tPvRmT2_T3_T4_T5_mT6_T7_P12ihipStream_tbENKUlT_T0_E_clISt17integral_constantIbLb0EES14_EEDaSZ_S10_EUlSZ_E_NS1_11comp_targetILNS1_3genE10ELNS1_11target_archE1201ELNS1_3gpuE5ELNS1_3repE0EEENS1_30default_config_static_selectorELNS0_4arch9wavefront6targetE0EEEvT1_,"axG",@progbits,_ZN7rocprim17ROCPRIM_400000_NS6detail17trampoline_kernelINS0_14default_configENS1_27scan_by_key_config_selectorIxxEEZZNS1_16scan_by_key_implILNS1_25lookback_scan_determinismE0ELb0ES3_N6thrust23THRUST_200600_302600_NS6detail15normal_iteratorINS9_10device_ptrIxEEEENS9_18transform_iteratorINS9_6negateIxEESE_NS9_11use_defaultESI_EESE_xNS9_4plusIvEENS9_8equal_toIvEExEE10hipError_tPvRmT2_T3_T4_T5_mT6_T7_P12ihipStream_tbENKUlT_T0_E_clISt17integral_constantIbLb0EES14_EEDaSZ_S10_EUlSZ_E_NS1_11comp_targetILNS1_3genE10ELNS1_11target_archE1201ELNS1_3gpuE5ELNS1_3repE0EEENS1_30default_config_static_selectorELNS0_4arch9wavefront6targetE0EEEvT1_,comdat
.Lfunc_end894:
	.size	_ZN7rocprim17ROCPRIM_400000_NS6detail17trampoline_kernelINS0_14default_configENS1_27scan_by_key_config_selectorIxxEEZZNS1_16scan_by_key_implILNS1_25lookback_scan_determinismE0ELb0ES3_N6thrust23THRUST_200600_302600_NS6detail15normal_iteratorINS9_10device_ptrIxEEEENS9_18transform_iteratorINS9_6negateIxEESE_NS9_11use_defaultESI_EESE_xNS9_4plusIvEENS9_8equal_toIvEExEE10hipError_tPvRmT2_T3_T4_T5_mT6_T7_P12ihipStream_tbENKUlT_T0_E_clISt17integral_constantIbLb0EES14_EEDaSZ_S10_EUlSZ_E_NS1_11comp_targetILNS1_3genE10ELNS1_11target_archE1201ELNS1_3gpuE5ELNS1_3repE0EEENS1_30default_config_static_selectorELNS0_4arch9wavefront6targetE0EEEvT1_, .Lfunc_end894-_ZN7rocprim17ROCPRIM_400000_NS6detail17trampoline_kernelINS0_14default_configENS1_27scan_by_key_config_selectorIxxEEZZNS1_16scan_by_key_implILNS1_25lookback_scan_determinismE0ELb0ES3_N6thrust23THRUST_200600_302600_NS6detail15normal_iteratorINS9_10device_ptrIxEEEENS9_18transform_iteratorINS9_6negateIxEESE_NS9_11use_defaultESI_EESE_xNS9_4plusIvEENS9_8equal_toIvEExEE10hipError_tPvRmT2_T3_T4_T5_mT6_T7_P12ihipStream_tbENKUlT_T0_E_clISt17integral_constantIbLb0EES14_EEDaSZ_S10_EUlSZ_E_NS1_11comp_targetILNS1_3genE10ELNS1_11target_archE1201ELNS1_3gpuE5ELNS1_3repE0EEENS1_30default_config_static_selectorELNS0_4arch9wavefront6targetE0EEEvT1_
                                        ; -- End function
	.set _ZN7rocprim17ROCPRIM_400000_NS6detail17trampoline_kernelINS0_14default_configENS1_27scan_by_key_config_selectorIxxEEZZNS1_16scan_by_key_implILNS1_25lookback_scan_determinismE0ELb0ES3_N6thrust23THRUST_200600_302600_NS6detail15normal_iteratorINS9_10device_ptrIxEEEENS9_18transform_iteratorINS9_6negateIxEESE_NS9_11use_defaultESI_EESE_xNS9_4plusIvEENS9_8equal_toIvEExEE10hipError_tPvRmT2_T3_T4_T5_mT6_T7_P12ihipStream_tbENKUlT_T0_E_clISt17integral_constantIbLb0EES14_EEDaSZ_S10_EUlSZ_E_NS1_11comp_targetILNS1_3genE10ELNS1_11target_archE1201ELNS1_3gpuE5ELNS1_3repE0EEENS1_30default_config_static_selectorELNS0_4arch9wavefront6targetE0EEEvT1_.num_vgpr, 0
	.set _ZN7rocprim17ROCPRIM_400000_NS6detail17trampoline_kernelINS0_14default_configENS1_27scan_by_key_config_selectorIxxEEZZNS1_16scan_by_key_implILNS1_25lookback_scan_determinismE0ELb0ES3_N6thrust23THRUST_200600_302600_NS6detail15normal_iteratorINS9_10device_ptrIxEEEENS9_18transform_iteratorINS9_6negateIxEESE_NS9_11use_defaultESI_EESE_xNS9_4plusIvEENS9_8equal_toIvEExEE10hipError_tPvRmT2_T3_T4_T5_mT6_T7_P12ihipStream_tbENKUlT_T0_E_clISt17integral_constantIbLb0EES14_EEDaSZ_S10_EUlSZ_E_NS1_11comp_targetILNS1_3genE10ELNS1_11target_archE1201ELNS1_3gpuE5ELNS1_3repE0EEENS1_30default_config_static_selectorELNS0_4arch9wavefront6targetE0EEEvT1_.num_agpr, 0
	.set _ZN7rocprim17ROCPRIM_400000_NS6detail17trampoline_kernelINS0_14default_configENS1_27scan_by_key_config_selectorIxxEEZZNS1_16scan_by_key_implILNS1_25lookback_scan_determinismE0ELb0ES3_N6thrust23THRUST_200600_302600_NS6detail15normal_iteratorINS9_10device_ptrIxEEEENS9_18transform_iteratorINS9_6negateIxEESE_NS9_11use_defaultESI_EESE_xNS9_4plusIvEENS9_8equal_toIvEExEE10hipError_tPvRmT2_T3_T4_T5_mT6_T7_P12ihipStream_tbENKUlT_T0_E_clISt17integral_constantIbLb0EES14_EEDaSZ_S10_EUlSZ_E_NS1_11comp_targetILNS1_3genE10ELNS1_11target_archE1201ELNS1_3gpuE5ELNS1_3repE0EEENS1_30default_config_static_selectorELNS0_4arch9wavefront6targetE0EEEvT1_.numbered_sgpr, 0
	.set _ZN7rocprim17ROCPRIM_400000_NS6detail17trampoline_kernelINS0_14default_configENS1_27scan_by_key_config_selectorIxxEEZZNS1_16scan_by_key_implILNS1_25lookback_scan_determinismE0ELb0ES3_N6thrust23THRUST_200600_302600_NS6detail15normal_iteratorINS9_10device_ptrIxEEEENS9_18transform_iteratorINS9_6negateIxEESE_NS9_11use_defaultESI_EESE_xNS9_4plusIvEENS9_8equal_toIvEExEE10hipError_tPvRmT2_T3_T4_T5_mT6_T7_P12ihipStream_tbENKUlT_T0_E_clISt17integral_constantIbLb0EES14_EEDaSZ_S10_EUlSZ_E_NS1_11comp_targetILNS1_3genE10ELNS1_11target_archE1201ELNS1_3gpuE5ELNS1_3repE0EEENS1_30default_config_static_selectorELNS0_4arch9wavefront6targetE0EEEvT1_.num_named_barrier, 0
	.set _ZN7rocprim17ROCPRIM_400000_NS6detail17trampoline_kernelINS0_14default_configENS1_27scan_by_key_config_selectorIxxEEZZNS1_16scan_by_key_implILNS1_25lookback_scan_determinismE0ELb0ES3_N6thrust23THRUST_200600_302600_NS6detail15normal_iteratorINS9_10device_ptrIxEEEENS9_18transform_iteratorINS9_6negateIxEESE_NS9_11use_defaultESI_EESE_xNS9_4plusIvEENS9_8equal_toIvEExEE10hipError_tPvRmT2_T3_T4_T5_mT6_T7_P12ihipStream_tbENKUlT_T0_E_clISt17integral_constantIbLb0EES14_EEDaSZ_S10_EUlSZ_E_NS1_11comp_targetILNS1_3genE10ELNS1_11target_archE1201ELNS1_3gpuE5ELNS1_3repE0EEENS1_30default_config_static_selectorELNS0_4arch9wavefront6targetE0EEEvT1_.private_seg_size, 0
	.set _ZN7rocprim17ROCPRIM_400000_NS6detail17trampoline_kernelINS0_14default_configENS1_27scan_by_key_config_selectorIxxEEZZNS1_16scan_by_key_implILNS1_25lookback_scan_determinismE0ELb0ES3_N6thrust23THRUST_200600_302600_NS6detail15normal_iteratorINS9_10device_ptrIxEEEENS9_18transform_iteratorINS9_6negateIxEESE_NS9_11use_defaultESI_EESE_xNS9_4plusIvEENS9_8equal_toIvEExEE10hipError_tPvRmT2_T3_T4_T5_mT6_T7_P12ihipStream_tbENKUlT_T0_E_clISt17integral_constantIbLb0EES14_EEDaSZ_S10_EUlSZ_E_NS1_11comp_targetILNS1_3genE10ELNS1_11target_archE1201ELNS1_3gpuE5ELNS1_3repE0EEENS1_30default_config_static_selectorELNS0_4arch9wavefront6targetE0EEEvT1_.uses_vcc, 0
	.set _ZN7rocprim17ROCPRIM_400000_NS6detail17trampoline_kernelINS0_14default_configENS1_27scan_by_key_config_selectorIxxEEZZNS1_16scan_by_key_implILNS1_25lookback_scan_determinismE0ELb0ES3_N6thrust23THRUST_200600_302600_NS6detail15normal_iteratorINS9_10device_ptrIxEEEENS9_18transform_iteratorINS9_6negateIxEESE_NS9_11use_defaultESI_EESE_xNS9_4plusIvEENS9_8equal_toIvEExEE10hipError_tPvRmT2_T3_T4_T5_mT6_T7_P12ihipStream_tbENKUlT_T0_E_clISt17integral_constantIbLb0EES14_EEDaSZ_S10_EUlSZ_E_NS1_11comp_targetILNS1_3genE10ELNS1_11target_archE1201ELNS1_3gpuE5ELNS1_3repE0EEENS1_30default_config_static_selectorELNS0_4arch9wavefront6targetE0EEEvT1_.uses_flat_scratch, 0
	.set _ZN7rocprim17ROCPRIM_400000_NS6detail17trampoline_kernelINS0_14default_configENS1_27scan_by_key_config_selectorIxxEEZZNS1_16scan_by_key_implILNS1_25lookback_scan_determinismE0ELb0ES3_N6thrust23THRUST_200600_302600_NS6detail15normal_iteratorINS9_10device_ptrIxEEEENS9_18transform_iteratorINS9_6negateIxEESE_NS9_11use_defaultESI_EESE_xNS9_4plusIvEENS9_8equal_toIvEExEE10hipError_tPvRmT2_T3_T4_T5_mT6_T7_P12ihipStream_tbENKUlT_T0_E_clISt17integral_constantIbLb0EES14_EEDaSZ_S10_EUlSZ_E_NS1_11comp_targetILNS1_3genE10ELNS1_11target_archE1201ELNS1_3gpuE5ELNS1_3repE0EEENS1_30default_config_static_selectorELNS0_4arch9wavefront6targetE0EEEvT1_.has_dyn_sized_stack, 0
	.set _ZN7rocprim17ROCPRIM_400000_NS6detail17trampoline_kernelINS0_14default_configENS1_27scan_by_key_config_selectorIxxEEZZNS1_16scan_by_key_implILNS1_25lookback_scan_determinismE0ELb0ES3_N6thrust23THRUST_200600_302600_NS6detail15normal_iteratorINS9_10device_ptrIxEEEENS9_18transform_iteratorINS9_6negateIxEESE_NS9_11use_defaultESI_EESE_xNS9_4plusIvEENS9_8equal_toIvEExEE10hipError_tPvRmT2_T3_T4_T5_mT6_T7_P12ihipStream_tbENKUlT_T0_E_clISt17integral_constantIbLb0EES14_EEDaSZ_S10_EUlSZ_E_NS1_11comp_targetILNS1_3genE10ELNS1_11target_archE1201ELNS1_3gpuE5ELNS1_3repE0EEENS1_30default_config_static_selectorELNS0_4arch9wavefront6targetE0EEEvT1_.has_recursion, 0
	.set _ZN7rocprim17ROCPRIM_400000_NS6detail17trampoline_kernelINS0_14default_configENS1_27scan_by_key_config_selectorIxxEEZZNS1_16scan_by_key_implILNS1_25lookback_scan_determinismE0ELb0ES3_N6thrust23THRUST_200600_302600_NS6detail15normal_iteratorINS9_10device_ptrIxEEEENS9_18transform_iteratorINS9_6negateIxEESE_NS9_11use_defaultESI_EESE_xNS9_4plusIvEENS9_8equal_toIvEExEE10hipError_tPvRmT2_T3_T4_T5_mT6_T7_P12ihipStream_tbENKUlT_T0_E_clISt17integral_constantIbLb0EES14_EEDaSZ_S10_EUlSZ_E_NS1_11comp_targetILNS1_3genE10ELNS1_11target_archE1201ELNS1_3gpuE5ELNS1_3repE0EEENS1_30default_config_static_selectorELNS0_4arch9wavefront6targetE0EEEvT1_.has_indirect_call, 0
	.section	.AMDGPU.csdata,"",@progbits
; Kernel info:
; codeLenInByte = 0
; TotalNumSgprs: 0
; NumVgprs: 0
; ScratchSize: 0
; MemoryBound: 0
; FloatMode: 240
; IeeeMode: 1
; LDSByteSize: 0 bytes/workgroup (compile time only)
; SGPRBlocks: 0
; VGPRBlocks: 0
; NumSGPRsForWavesPerEU: 1
; NumVGPRsForWavesPerEU: 1
; NamedBarCnt: 0
; Occupancy: 16
; WaveLimiterHint : 0
; COMPUTE_PGM_RSRC2:SCRATCH_EN: 0
; COMPUTE_PGM_RSRC2:USER_SGPR: 2
; COMPUTE_PGM_RSRC2:TRAP_HANDLER: 0
; COMPUTE_PGM_RSRC2:TGID_X_EN: 1
; COMPUTE_PGM_RSRC2:TGID_Y_EN: 0
; COMPUTE_PGM_RSRC2:TGID_Z_EN: 0
; COMPUTE_PGM_RSRC2:TIDIG_COMP_CNT: 0
	.section	.text._ZN7rocprim17ROCPRIM_400000_NS6detail17trampoline_kernelINS0_14default_configENS1_27scan_by_key_config_selectorIxxEEZZNS1_16scan_by_key_implILNS1_25lookback_scan_determinismE0ELb0ES3_N6thrust23THRUST_200600_302600_NS6detail15normal_iteratorINS9_10device_ptrIxEEEENS9_18transform_iteratorINS9_6negateIxEESE_NS9_11use_defaultESI_EESE_xNS9_4plusIvEENS9_8equal_toIvEExEE10hipError_tPvRmT2_T3_T4_T5_mT6_T7_P12ihipStream_tbENKUlT_T0_E_clISt17integral_constantIbLb0EES14_EEDaSZ_S10_EUlSZ_E_NS1_11comp_targetILNS1_3genE5ELNS1_11target_archE942ELNS1_3gpuE9ELNS1_3repE0EEENS1_30default_config_static_selectorELNS0_4arch9wavefront6targetE0EEEvT1_,"axG",@progbits,_ZN7rocprim17ROCPRIM_400000_NS6detail17trampoline_kernelINS0_14default_configENS1_27scan_by_key_config_selectorIxxEEZZNS1_16scan_by_key_implILNS1_25lookback_scan_determinismE0ELb0ES3_N6thrust23THRUST_200600_302600_NS6detail15normal_iteratorINS9_10device_ptrIxEEEENS9_18transform_iteratorINS9_6negateIxEESE_NS9_11use_defaultESI_EESE_xNS9_4plusIvEENS9_8equal_toIvEExEE10hipError_tPvRmT2_T3_T4_T5_mT6_T7_P12ihipStream_tbENKUlT_T0_E_clISt17integral_constantIbLb0EES14_EEDaSZ_S10_EUlSZ_E_NS1_11comp_targetILNS1_3genE5ELNS1_11target_archE942ELNS1_3gpuE9ELNS1_3repE0EEENS1_30default_config_static_selectorELNS0_4arch9wavefront6targetE0EEEvT1_,comdat
	.protected	_ZN7rocprim17ROCPRIM_400000_NS6detail17trampoline_kernelINS0_14default_configENS1_27scan_by_key_config_selectorIxxEEZZNS1_16scan_by_key_implILNS1_25lookback_scan_determinismE0ELb0ES3_N6thrust23THRUST_200600_302600_NS6detail15normal_iteratorINS9_10device_ptrIxEEEENS9_18transform_iteratorINS9_6negateIxEESE_NS9_11use_defaultESI_EESE_xNS9_4plusIvEENS9_8equal_toIvEExEE10hipError_tPvRmT2_T3_T4_T5_mT6_T7_P12ihipStream_tbENKUlT_T0_E_clISt17integral_constantIbLb0EES14_EEDaSZ_S10_EUlSZ_E_NS1_11comp_targetILNS1_3genE5ELNS1_11target_archE942ELNS1_3gpuE9ELNS1_3repE0EEENS1_30default_config_static_selectorELNS0_4arch9wavefront6targetE0EEEvT1_ ; -- Begin function _ZN7rocprim17ROCPRIM_400000_NS6detail17trampoline_kernelINS0_14default_configENS1_27scan_by_key_config_selectorIxxEEZZNS1_16scan_by_key_implILNS1_25lookback_scan_determinismE0ELb0ES3_N6thrust23THRUST_200600_302600_NS6detail15normal_iteratorINS9_10device_ptrIxEEEENS9_18transform_iteratorINS9_6negateIxEESE_NS9_11use_defaultESI_EESE_xNS9_4plusIvEENS9_8equal_toIvEExEE10hipError_tPvRmT2_T3_T4_T5_mT6_T7_P12ihipStream_tbENKUlT_T0_E_clISt17integral_constantIbLb0EES14_EEDaSZ_S10_EUlSZ_E_NS1_11comp_targetILNS1_3genE5ELNS1_11target_archE942ELNS1_3gpuE9ELNS1_3repE0EEENS1_30default_config_static_selectorELNS0_4arch9wavefront6targetE0EEEvT1_
	.globl	_ZN7rocprim17ROCPRIM_400000_NS6detail17trampoline_kernelINS0_14default_configENS1_27scan_by_key_config_selectorIxxEEZZNS1_16scan_by_key_implILNS1_25lookback_scan_determinismE0ELb0ES3_N6thrust23THRUST_200600_302600_NS6detail15normal_iteratorINS9_10device_ptrIxEEEENS9_18transform_iteratorINS9_6negateIxEESE_NS9_11use_defaultESI_EESE_xNS9_4plusIvEENS9_8equal_toIvEExEE10hipError_tPvRmT2_T3_T4_T5_mT6_T7_P12ihipStream_tbENKUlT_T0_E_clISt17integral_constantIbLb0EES14_EEDaSZ_S10_EUlSZ_E_NS1_11comp_targetILNS1_3genE5ELNS1_11target_archE942ELNS1_3gpuE9ELNS1_3repE0EEENS1_30default_config_static_selectorELNS0_4arch9wavefront6targetE0EEEvT1_
	.p2align	8
	.type	_ZN7rocprim17ROCPRIM_400000_NS6detail17trampoline_kernelINS0_14default_configENS1_27scan_by_key_config_selectorIxxEEZZNS1_16scan_by_key_implILNS1_25lookback_scan_determinismE0ELb0ES3_N6thrust23THRUST_200600_302600_NS6detail15normal_iteratorINS9_10device_ptrIxEEEENS9_18transform_iteratorINS9_6negateIxEESE_NS9_11use_defaultESI_EESE_xNS9_4plusIvEENS9_8equal_toIvEExEE10hipError_tPvRmT2_T3_T4_T5_mT6_T7_P12ihipStream_tbENKUlT_T0_E_clISt17integral_constantIbLb0EES14_EEDaSZ_S10_EUlSZ_E_NS1_11comp_targetILNS1_3genE5ELNS1_11target_archE942ELNS1_3gpuE9ELNS1_3repE0EEENS1_30default_config_static_selectorELNS0_4arch9wavefront6targetE0EEEvT1_,@function
_ZN7rocprim17ROCPRIM_400000_NS6detail17trampoline_kernelINS0_14default_configENS1_27scan_by_key_config_selectorIxxEEZZNS1_16scan_by_key_implILNS1_25lookback_scan_determinismE0ELb0ES3_N6thrust23THRUST_200600_302600_NS6detail15normal_iteratorINS9_10device_ptrIxEEEENS9_18transform_iteratorINS9_6negateIxEESE_NS9_11use_defaultESI_EESE_xNS9_4plusIvEENS9_8equal_toIvEExEE10hipError_tPvRmT2_T3_T4_T5_mT6_T7_P12ihipStream_tbENKUlT_T0_E_clISt17integral_constantIbLb0EES14_EEDaSZ_S10_EUlSZ_E_NS1_11comp_targetILNS1_3genE5ELNS1_11target_archE942ELNS1_3gpuE9ELNS1_3repE0EEENS1_30default_config_static_selectorELNS0_4arch9wavefront6targetE0EEEvT1_: ; @_ZN7rocprim17ROCPRIM_400000_NS6detail17trampoline_kernelINS0_14default_configENS1_27scan_by_key_config_selectorIxxEEZZNS1_16scan_by_key_implILNS1_25lookback_scan_determinismE0ELb0ES3_N6thrust23THRUST_200600_302600_NS6detail15normal_iteratorINS9_10device_ptrIxEEEENS9_18transform_iteratorINS9_6negateIxEESE_NS9_11use_defaultESI_EESE_xNS9_4plusIvEENS9_8equal_toIvEExEE10hipError_tPvRmT2_T3_T4_T5_mT6_T7_P12ihipStream_tbENKUlT_T0_E_clISt17integral_constantIbLb0EES14_EEDaSZ_S10_EUlSZ_E_NS1_11comp_targetILNS1_3genE5ELNS1_11target_archE942ELNS1_3gpuE9ELNS1_3repE0EEENS1_30default_config_static_selectorELNS0_4arch9wavefront6targetE0EEEvT1_
; %bb.0:
	.section	.rodata,"a",@progbits
	.p2align	6, 0x0
	.amdhsa_kernel _ZN7rocprim17ROCPRIM_400000_NS6detail17trampoline_kernelINS0_14default_configENS1_27scan_by_key_config_selectorIxxEEZZNS1_16scan_by_key_implILNS1_25lookback_scan_determinismE0ELb0ES3_N6thrust23THRUST_200600_302600_NS6detail15normal_iteratorINS9_10device_ptrIxEEEENS9_18transform_iteratorINS9_6negateIxEESE_NS9_11use_defaultESI_EESE_xNS9_4plusIvEENS9_8equal_toIvEExEE10hipError_tPvRmT2_T3_T4_T5_mT6_T7_P12ihipStream_tbENKUlT_T0_E_clISt17integral_constantIbLb0EES14_EEDaSZ_S10_EUlSZ_E_NS1_11comp_targetILNS1_3genE5ELNS1_11target_archE942ELNS1_3gpuE9ELNS1_3repE0EEENS1_30default_config_static_selectorELNS0_4arch9wavefront6targetE0EEEvT1_
		.amdhsa_group_segment_fixed_size 0
		.amdhsa_private_segment_fixed_size 0
		.amdhsa_kernarg_size 144
		.amdhsa_user_sgpr_count 2
		.amdhsa_user_sgpr_dispatch_ptr 0
		.amdhsa_user_sgpr_queue_ptr 0
		.amdhsa_user_sgpr_kernarg_segment_ptr 1
		.amdhsa_user_sgpr_dispatch_id 0
		.amdhsa_user_sgpr_kernarg_preload_length 0
		.amdhsa_user_sgpr_kernarg_preload_offset 0
		.amdhsa_user_sgpr_private_segment_size 0
		.amdhsa_wavefront_size32 1
		.amdhsa_uses_dynamic_stack 0
		.amdhsa_enable_private_segment 0
		.amdhsa_system_sgpr_workgroup_id_x 1
		.amdhsa_system_sgpr_workgroup_id_y 0
		.amdhsa_system_sgpr_workgroup_id_z 0
		.amdhsa_system_sgpr_workgroup_info 0
		.amdhsa_system_vgpr_workitem_id 0
		.amdhsa_next_free_vgpr 1
		.amdhsa_next_free_sgpr 1
		.amdhsa_named_barrier_count 0
		.amdhsa_reserve_vcc 0
		.amdhsa_float_round_mode_32 0
		.amdhsa_float_round_mode_16_64 0
		.amdhsa_float_denorm_mode_32 3
		.amdhsa_float_denorm_mode_16_64 3
		.amdhsa_fp16_overflow 0
		.amdhsa_memory_ordered 1
		.amdhsa_forward_progress 1
		.amdhsa_inst_pref_size 0
		.amdhsa_round_robin_scheduling 0
		.amdhsa_exception_fp_ieee_invalid_op 0
		.amdhsa_exception_fp_denorm_src 0
		.amdhsa_exception_fp_ieee_div_zero 0
		.amdhsa_exception_fp_ieee_overflow 0
		.amdhsa_exception_fp_ieee_underflow 0
		.amdhsa_exception_fp_ieee_inexact 0
		.amdhsa_exception_int_div_zero 0
	.end_amdhsa_kernel
	.section	.text._ZN7rocprim17ROCPRIM_400000_NS6detail17trampoline_kernelINS0_14default_configENS1_27scan_by_key_config_selectorIxxEEZZNS1_16scan_by_key_implILNS1_25lookback_scan_determinismE0ELb0ES3_N6thrust23THRUST_200600_302600_NS6detail15normal_iteratorINS9_10device_ptrIxEEEENS9_18transform_iteratorINS9_6negateIxEESE_NS9_11use_defaultESI_EESE_xNS9_4plusIvEENS9_8equal_toIvEExEE10hipError_tPvRmT2_T3_T4_T5_mT6_T7_P12ihipStream_tbENKUlT_T0_E_clISt17integral_constantIbLb0EES14_EEDaSZ_S10_EUlSZ_E_NS1_11comp_targetILNS1_3genE5ELNS1_11target_archE942ELNS1_3gpuE9ELNS1_3repE0EEENS1_30default_config_static_selectorELNS0_4arch9wavefront6targetE0EEEvT1_,"axG",@progbits,_ZN7rocprim17ROCPRIM_400000_NS6detail17trampoline_kernelINS0_14default_configENS1_27scan_by_key_config_selectorIxxEEZZNS1_16scan_by_key_implILNS1_25lookback_scan_determinismE0ELb0ES3_N6thrust23THRUST_200600_302600_NS6detail15normal_iteratorINS9_10device_ptrIxEEEENS9_18transform_iteratorINS9_6negateIxEESE_NS9_11use_defaultESI_EESE_xNS9_4plusIvEENS9_8equal_toIvEExEE10hipError_tPvRmT2_T3_T4_T5_mT6_T7_P12ihipStream_tbENKUlT_T0_E_clISt17integral_constantIbLb0EES14_EEDaSZ_S10_EUlSZ_E_NS1_11comp_targetILNS1_3genE5ELNS1_11target_archE942ELNS1_3gpuE9ELNS1_3repE0EEENS1_30default_config_static_selectorELNS0_4arch9wavefront6targetE0EEEvT1_,comdat
.Lfunc_end895:
	.size	_ZN7rocprim17ROCPRIM_400000_NS6detail17trampoline_kernelINS0_14default_configENS1_27scan_by_key_config_selectorIxxEEZZNS1_16scan_by_key_implILNS1_25lookback_scan_determinismE0ELb0ES3_N6thrust23THRUST_200600_302600_NS6detail15normal_iteratorINS9_10device_ptrIxEEEENS9_18transform_iteratorINS9_6negateIxEESE_NS9_11use_defaultESI_EESE_xNS9_4plusIvEENS9_8equal_toIvEExEE10hipError_tPvRmT2_T3_T4_T5_mT6_T7_P12ihipStream_tbENKUlT_T0_E_clISt17integral_constantIbLb0EES14_EEDaSZ_S10_EUlSZ_E_NS1_11comp_targetILNS1_3genE5ELNS1_11target_archE942ELNS1_3gpuE9ELNS1_3repE0EEENS1_30default_config_static_selectorELNS0_4arch9wavefront6targetE0EEEvT1_, .Lfunc_end895-_ZN7rocprim17ROCPRIM_400000_NS6detail17trampoline_kernelINS0_14default_configENS1_27scan_by_key_config_selectorIxxEEZZNS1_16scan_by_key_implILNS1_25lookback_scan_determinismE0ELb0ES3_N6thrust23THRUST_200600_302600_NS6detail15normal_iteratorINS9_10device_ptrIxEEEENS9_18transform_iteratorINS9_6negateIxEESE_NS9_11use_defaultESI_EESE_xNS9_4plusIvEENS9_8equal_toIvEExEE10hipError_tPvRmT2_T3_T4_T5_mT6_T7_P12ihipStream_tbENKUlT_T0_E_clISt17integral_constantIbLb0EES14_EEDaSZ_S10_EUlSZ_E_NS1_11comp_targetILNS1_3genE5ELNS1_11target_archE942ELNS1_3gpuE9ELNS1_3repE0EEENS1_30default_config_static_selectorELNS0_4arch9wavefront6targetE0EEEvT1_
                                        ; -- End function
	.set _ZN7rocprim17ROCPRIM_400000_NS6detail17trampoline_kernelINS0_14default_configENS1_27scan_by_key_config_selectorIxxEEZZNS1_16scan_by_key_implILNS1_25lookback_scan_determinismE0ELb0ES3_N6thrust23THRUST_200600_302600_NS6detail15normal_iteratorINS9_10device_ptrIxEEEENS9_18transform_iteratorINS9_6negateIxEESE_NS9_11use_defaultESI_EESE_xNS9_4plusIvEENS9_8equal_toIvEExEE10hipError_tPvRmT2_T3_T4_T5_mT6_T7_P12ihipStream_tbENKUlT_T0_E_clISt17integral_constantIbLb0EES14_EEDaSZ_S10_EUlSZ_E_NS1_11comp_targetILNS1_3genE5ELNS1_11target_archE942ELNS1_3gpuE9ELNS1_3repE0EEENS1_30default_config_static_selectorELNS0_4arch9wavefront6targetE0EEEvT1_.num_vgpr, 0
	.set _ZN7rocprim17ROCPRIM_400000_NS6detail17trampoline_kernelINS0_14default_configENS1_27scan_by_key_config_selectorIxxEEZZNS1_16scan_by_key_implILNS1_25lookback_scan_determinismE0ELb0ES3_N6thrust23THRUST_200600_302600_NS6detail15normal_iteratorINS9_10device_ptrIxEEEENS9_18transform_iteratorINS9_6negateIxEESE_NS9_11use_defaultESI_EESE_xNS9_4plusIvEENS9_8equal_toIvEExEE10hipError_tPvRmT2_T3_T4_T5_mT6_T7_P12ihipStream_tbENKUlT_T0_E_clISt17integral_constantIbLb0EES14_EEDaSZ_S10_EUlSZ_E_NS1_11comp_targetILNS1_3genE5ELNS1_11target_archE942ELNS1_3gpuE9ELNS1_3repE0EEENS1_30default_config_static_selectorELNS0_4arch9wavefront6targetE0EEEvT1_.num_agpr, 0
	.set _ZN7rocprim17ROCPRIM_400000_NS6detail17trampoline_kernelINS0_14default_configENS1_27scan_by_key_config_selectorIxxEEZZNS1_16scan_by_key_implILNS1_25lookback_scan_determinismE0ELb0ES3_N6thrust23THRUST_200600_302600_NS6detail15normal_iteratorINS9_10device_ptrIxEEEENS9_18transform_iteratorINS9_6negateIxEESE_NS9_11use_defaultESI_EESE_xNS9_4plusIvEENS9_8equal_toIvEExEE10hipError_tPvRmT2_T3_T4_T5_mT6_T7_P12ihipStream_tbENKUlT_T0_E_clISt17integral_constantIbLb0EES14_EEDaSZ_S10_EUlSZ_E_NS1_11comp_targetILNS1_3genE5ELNS1_11target_archE942ELNS1_3gpuE9ELNS1_3repE0EEENS1_30default_config_static_selectorELNS0_4arch9wavefront6targetE0EEEvT1_.numbered_sgpr, 0
	.set _ZN7rocprim17ROCPRIM_400000_NS6detail17trampoline_kernelINS0_14default_configENS1_27scan_by_key_config_selectorIxxEEZZNS1_16scan_by_key_implILNS1_25lookback_scan_determinismE0ELb0ES3_N6thrust23THRUST_200600_302600_NS6detail15normal_iteratorINS9_10device_ptrIxEEEENS9_18transform_iteratorINS9_6negateIxEESE_NS9_11use_defaultESI_EESE_xNS9_4plusIvEENS9_8equal_toIvEExEE10hipError_tPvRmT2_T3_T4_T5_mT6_T7_P12ihipStream_tbENKUlT_T0_E_clISt17integral_constantIbLb0EES14_EEDaSZ_S10_EUlSZ_E_NS1_11comp_targetILNS1_3genE5ELNS1_11target_archE942ELNS1_3gpuE9ELNS1_3repE0EEENS1_30default_config_static_selectorELNS0_4arch9wavefront6targetE0EEEvT1_.num_named_barrier, 0
	.set _ZN7rocprim17ROCPRIM_400000_NS6detail17trampoline_kernelINS0_14default_configENS1_27scan_by_key_config_selectorIxxEEZZNS1_16scan_by_key_implILNS1_25lookback_scan_determinismE0ELb0ES3_N6thrust23THRUST_200600_302600_NS6detail15normal_iteratorINS9_10device_ptrIxEEEENS9_18transform_iteratorINS9_6negateIxEESE_NS9_11use_defaultESI_EESE_xNS9_4plusIvEENS9_8equal_toIvEExEE10hipError_tPvRmT2_T3_T4_T5_mT6_T7_P12ihipStream_tbENKUlT_T0_E_clISt17integral_constantIbLb0EES14_EEDaSZ_S10_EUlSZ_E_NS1_11comp_targetILNS1_3genE5ELNS1_11target_archE942ELNS1_3gpuE9ELNS1_3repE0EEENS1_30default_config_static_selectorELNS0_4arch9wavefront6targetE0EEEvT1_.private_seg_size, 0
	.set _ZN7rocprim17ROCPRIM_400000_NS6detail17trampoline_kernelINS0_14default_configENS1_27scan_by_key_config_selectorIxxEEZZNS1_16scan_by_key_implILNS1_25lookback_scan_determinismE0ELb0ES3_N6thrust23THRUST_200600_302600_NS6detail15normal_iteratorINS9_10device_ptrIxEEEENS9_18transform_iteratorINS9_6negateIxEESE_NS9_11use_defaultESI_EESE_xNS9_4plusIvEENS9_8equal_toIvEExEE10hipError_tPvRmT2_T3_T4_T5_mT6_T7_P12ihipStream_tbENKUlT_T0_E_clISt17integral_constantIbLb0EES14_EEDaSZ_S10_EUlSZ_E_NS1_11comp_targetILNS1_3genE5ELNS1_11target_archE942ELNS1_3gpuE9ELNS1_3repE0EEENS1_30default_config_static_selectorELNS0_4arch9wavefront6targetE0EEEvT1_.uses_vcc, 0
	.set _ZN7rocprim17ROCPRIM_400000_NS6detail17trampoline_kernelINS0_14default_configENS1_27scan_by_key_config_selectorIxxEEZZNS1_16scan_by_key_implILNS1_25lookback_scan_determinismE0ELb0ES3_N6thrust23THRUST_200600_302600_NS6detail15normal_iteratorINS9_10device_ptrIxEEEENS9_18transform_iteratorINS9_6negateIxEESE_NS9_11use_defaultESI_EESE_xNS9_4plusIvEENS9_8equal_toIvEExEE10hipError_tPvRmT2_T3_T4_T5_mT6_T7_P12ihipStream_tbENKUlT_T0_E_clISt17integral_constantIbLb0EES14_EEDaSZ_S10_EUlSZ_E_NS1_11comp_targetILNS1_3genE5ELNS1_11target_archE942ELNS1_3gpuE9ELNS1_3repE0EEENS1_30default_config_static_selectorELNS0_4arch9wavefront6targetE0EEEvT1_.uses_flat_scratch, 0
	.set _ZN7rocprim17ROCPRIM_400000_NS6detail17trampoline_kernelINS0_14default_configENS1_27scan_by_key_config_selectorIxxEEZZNS1_16scan_by_key_implILNS1_25lookback_scan_determinismE0ELb0ES3_N6thrust23THRUST_200600_302600_NS6detail15normal_iteratorINS9_10device_ptrIxEEEENS9_18transform_iteratorINS9_6negateIxEESE_NS9_11use_defaultESI_EESE_xNS9_4plusIvEENS9_8equal_toIvEExEE10hipError_tPvRmT2_T3_T4_T5_mT6_T7_P12ihipStream_tbENKUlT_T0_E_clISt17integral_constantIbLb0EES14_EEDaSZ_S10_EUlSZ_E_NS1_11comp_targetILNS1_3genE5ELNS1_11target_archE942ELNS1_3gpuE9ELNS1_3repE0EEENS1_30default_config_static_selectorELNS0_4arch9wavefront6targetE0EEEvT1_.has_dyn_sized_stack, 0
	.set _ZN7rocprim17ROCPRIM_400000_NS6detail17trampoline_kernelINS0_14default_configENS1_27scan_by_key_config_selectorIxxEEZZNS1_16scan_by_key_implILNS1_25lookback_scan_determinismE0ELb0ES3_N6thrust23THRUST_200600_302600_NS6detail15normal_iteratorINS9_10device_ptrIxEEEENS9_18transform_iteratorINS9_6negateIxEESE_NS9_11use_defaultESI_EESE_xNS9_4plusIvEENS9_8equal_toIvEExEE10hipError_tPvRmT2_T3_T4_T5_mT6_T7_P12ihipStream_tbENKUlT_T0_E_clISt17integral_constantIbLb0EES14_EEDaSZ_S10_EUlSZ_E_NS1_11comp_targetILNS1_3genE5ELNS1_11target_archE942ELNS1_3gpuE9ELNS1_3repE0EEENS1_30default_config_static_selectorELNS0_4arch9wavefront6targetE0EEEvT1_.has_recursion, 0
	.set _ZN7rocprim17ROCPRIM_400000_NS6detail17trampoline_kernelINS0_14default_configENS1_27scan_by_key_config_selectorIxxEEZZNS1_16scan_by_key_implILNS1_25lookback_scan_determinismE0ELb0ES3_N6thrust23THRUST_200600_302600_NS6detail15normal_iteratorINS9_10device_ptrIxEEEENS9_18transform_iteratorINS9_6negateIxEESE_NS9_11use_defaultESI_EESE_xNS9_4plusIvEENS9_8equal_toIvEExEE10hipError_tPvRmT2_T3_T4_T5_mT6_T7_P12ihipStream_tbENKUlT_T0_E_clISt17integral_constantIbLb0EES14_EEDaSZ_S10_EUlSZ_E_NS1_11comp_targetILNS1_3genE5ELNS1_11target_archE942ELNS1_3gpuE9ELNS1_3repE0EEENS1_30default_config_static_selectorELNS0_4arch9wavefront6targetE0EEEvT1_.has_indirect_call, 0
	.section	.AMDGPU.csdata,"",@progbits
; Kernel info:
; codeLenInByte = 0
; TotalNumSgprs: 0
; NumVgprs: 0
; ScratchSize: 0
; MemoryBound: 0
; FloatMode: 240
; IeeeMode: 1
; LDSByteSize: 0 bytes/workgroup (compile time only)
; SGPRBlocks: 0
; VGPRBlocks: 0
; NumSGPRsForWavesPerEU: 1
; NumVGPRsForWavesPerEU: 1
; NamedBarCnt: 0
; Occupancy: 16
; WaveLimiterHint : 0
; COMPUTE_PGM_RSRC2:SCRATCH_EN: 0
; COMPUTE_PGM_RSRC2:USER_SGPR: 2
; COMPUTE_PGM_RSRC2:TRAP_HANDLER: 0
; COMPUTE_PGM_RSRC2:TGID_X_EN: 1
; COMPUTE_PGM_RSRC2:TGID_Y_EN: 0
; COMPUTE_PGM_RSRC2:TGID_Z_EN: 0
; COMPUTE_PGM_RSRC2:TIDIG_COMP_CNT: 0
	.section	.text._ZN7rocprim17ROCPRIM_400000_NS6detail17trampoline_kernelINS0_14default_configENS1_27scan_by_key_config_selectorIxxEEZZNS1_16scan_by_key_implILNS1_25lookback_scan_determinismE0ELb0ES3_N6thrust23THRUST_200600_302600_NS6detail15normal_iteratorINS9_10device_ptrIxEEEENS9_18transform_iteratorINS9_6negateIxEESE_NS9_11use_defaultESI_EESE_xNS9_4plusIvEENS9_8equal_toIvEExEE10hipError_tPvRmT2_T3_T4_T5_mT6_T7_P12ihipStream_tbENKUlT_T0_E_clISt17integral_constantIbLb0EES14_EEDaSZ_S10_EUlSZ_E_NS1_11comp_targetILNS1_3genE4ELNS1_11target_archE910ELNS1_3gpuE8ELNS1_3repE0EEENS1_30default_config_static_selectorELNS0_4arch9wavefront6targetE0EEEvT1_,"axG",@progbits,_ZN7rocprim17ROCPRIM_400000_NS6detail17trampoline_kernelINS0_14default_configENS1_27scan_by_key_config_selectorIxxEEZZNS1_16scan_by_key_implILNS1_25lookback_scan_determinismE0ELb0ES3_N6thrust23THRUST_200600_302600_NS6detail15normal_iteratorINS9_10device_ptrIxEEEENS9_18transform_iteratorINS9_6negateIxEESE_NS9_11use_defaultESI_EESE_xNS9_4plusIvEENS9_8equal_toIvEExEE10hipError_tPvRmT2_T3_T4_T5_mT6_T7_P12ihipStream_tbENKUlT_T0_E_clISt17integral_constantIbLb0EES14_EEDaSZ_S10_EUlSZ_E_NS1_11comp_targetILNS1_3genE4ELNS1_11target_archE910ELNS1_3gpuE8ELNS1_3repE0EEENS1_30default_config_static_selectorELNS0_4arch9wavefront6targetE0EEEvT1_,comdat
	.protected	_ZN7rocprim17ROCPRIM_400000_NS6detail17trampoline_kernelINS0_14default_configENS1_27scan_by_key_config_selectorIxxEEZZNS1_16scan_by_key_implILNS1_25lookback_scan_determinismE0ELb0ES3_N6thrust23THRUST_200600_302600_NS6detail15normal_iteratorINS9_10device_ptrIxEEEENS9_18transform_iteratorINS9_6negateIxEESE_NS9_11use_defaultESI_EESE_xNS9_4plusIvEENS9_8equal_toIvEExEE10hipError_tPvRmT2_T3_T4_T5_mT6_T7_P12ihipStream_tbENKUlT_T0_E_clISt17integral_constantIbLb0EES14_EEDaSZ_S10_EUlSZ_E_NS1_11comp_targetILNS1_3genE4ELNS1_11target_archE910ELNS1_3gpuE8ELNS1_3repE0EEENS1_30default_config_static_selectorELNS0_4arch9wavefront6targetE0EEEvT1_ ; -- Begin function _ZN7rocprim17ROCPRIM_400000_NS6detail17trampoline_kernelINS0_14default_configENS1_27scan_by_key_config_selectorIxxEEZZNS1_16scan_by_key_implILNS1_25lookback_scan_determinismE0ELb0ES3_N6thrust23THRUST_200600_302600_NS6detail15normal_iteratorINS9_10device_ptrIxEEEENS9_18transform_iteratorINS9_6negateIxEESE_NS9_11use_defaultESI_EESE_xNS9_4plusIvEENS9_8equal_toIvEExEE10hipError_tPvRmT2_T3_T4_T5_mT6_T7_P12ihipStream_tbENKUlT_T0_E_clISt17integral_constantIbLb0EES14_EEDaSZ_S10_EUlSZ_E_NS1_11comp_targetILNS1_3genE4ELNS1_11target_archE910ELNS1_3gpuE8ELNS1_3repE0EEENS1_30default_config_static_selectorELNS0_4arch9wavefront6targetE0EEEvT1_
	.globl	_ZN7rocprim17ROCPRIM_400000_NS6detail17trampoline_kernelINS0_14default_configENS1_27scan_by_key_config_selectorIxxEEZZNS1_16scan_by_key_implILNS1_25lookback_scan_determinismE0ELb0ES3_N6thrust23THRUST_200600_302600_NS6detail15normal_iteratorINS9_10device_ptrIxEEEENS9_18transform_iteratorINS9_6negateIxEESE_NS9_11use_defaultESI_EESE_xNS9_4plusIvEENS9_8equal_toIvEExEE10hipError_tPvRmT2_T3_T4_T5_mT6_T7_P12ihipStream_tbENKUlT_T0_E_clISt17integral_constantIbLb0EES14_EEDaSZ_S10_EUlSZ_E_NS1_11comp_targetILNS1_3genE4ELNS1_11target_archE910ELNS1_3gpuE8ELNS1_3repE0EEENS1_30default_config_static_selectorELNS0_4arch9wavefront6targetE0EEEvT1_
	.p2align	8
	.type	_ZN7rocprim17ROCPRIM_400000_NS6detail17trampoline_kernelINS0_14default_configENS1_27scan_by_key_config_selectorIxxEEZZNS1_16scan_by_key_implILNS1_25lookback_scan_determinismE0ELb0ES3_N6thrust23THRUST_200600_302600_NS6detail15normal_iteratorINS9_10device_ptrIxEEEENS9_18transform_iteratorINS9_6negateIxEESE_NS9_11use_defaultESI_EESE_xNS9_4plusIvEENS9_8equal_toIvEExEE10hipError_tPvRmT2_T3_T4_T5_mT6_T7_P12ihipStream_tbENKUlT_T0_E_clISt17integral_constantIbLb0EES14_EEDaSZ_S10_EUlSZ_E_NS1_11comp_targetILNS1_3genE4ELNS1_11target_archE910ELNS1_3gpuE8ELNS1_3repE0EEENS1_30default_config_static_selectorELNS0_4arch9wavefront6targetE0EEEvT1_,@function
_ZN7rocprim17ROCPRIM_400000_NS6detail17trampoline_kernelINS0_14default_configENS1_27scan_by_key_config_selectorIxxEEZZNS1_16scan_by_key_implILNS1_25lookback_scan_determinismE0ELb0ES3_N6thrust23THRUST_200600_302600_NS6detail15normal_iteratorINS9_10device_ptrIxEEEENS9_18transform_iteratorINS9_6negateIxEESE_NS9_11use_defaultESI_EESE_xNS9_4plusIvEENS9_8equal_toIvEExEE10hipError_tPvRmT2_T3_T4_T5_mT6_T7_P12ihipStream_tbENKUlT_T0_E_clISt17integral_constantIbLb0EES14_EEDaSZ_S10_EUlSZ_E_NS1_11comp_targetILNS1_3genE4ELNS1_11target_archE910ELNS1_3gpuE8ELNS1_3repE0EEENS1_30default_config_static_selectorELNS0_4arch9wavefront6targetE0EEEvT1_: ; @_ZN7rocprim17ROCPRIM_400000_NS6detail17trampoline_kernelINS0_14default_configENS1_27scan_by_key_config_selectorIxxEEZZNS1_16scan_by_key_implILNS1_25lookback_scan_determinismE0ELb0ES3_N6thrust23THRUST_200600_302600_NS6detail15normal_iteratorINS9_10device_ptrIxEEEENS9_18transform_iteratorINS9_6negateIxEESE_NS9_11use_defaultESI_EESE_xNS9_4plusIvEENS9_8equal_toIvEExEE10hipError_tPvRmT2_T3_T4_T5_mT6_T7_P12ihipStream_tbENKUlT_T0_E_clISt17integral_constantIbLb0EES14_EEDaSZ_S10_EUlSZ_E_NS1_11comp_targetILNS1_3genE4ELNS1_11target_archE910ELNS1_3gpuE8ELNS1_3repE0EEENS1_30default_config_static_selectorELNS0_4arch9wavefront6targetE0EEEvT1_
; %bb.0:
	.section	.rodata,"a",@progbits
	.p2align	6, 0x0
	.amdhsa_kernel _ZN7rocprim17ROCPRIM_400000_NS6detail17trampoline_kernelINS0_14default_configENS1_27scan_by_key_config_selectorIxxEEZZNS1_16scan_by_key_implILNS1_25lookback_scan_determinismE0ELb0ES3_N6thrust23THRUST_200600_302600_NS6detail15normal_iteratorINS9_10device_ptrIxEEEENS9_18transform_iteratorINS9_6negateIxEESE_NS9_11use_defaultESI_EESE_xNS9_4plusIvEENS9_8equal_toIvEExEE10hipError_tPvRmT2_T3_T4_T5_mT6_T7_P12ihipStream_tbENKUlT_T0_E_clISt17integral_constantIbLb0EES14_EEDaSZ_S10_EUlSZ_E_NS1_11comp_targetILNS1_3genE4ELNS1_11target_archE910ELNS1_3gpuE8ELNS1_3repE0EEENS1_30default_config_static_selectorELNS0_4arch9wavefront6targetE0EEEvT1_
		.amdhsa_group_segment_fixed_size 0
		.amdhsa_private_segment_fixed_size 0
		.amdhsa_kernarg_size 144
		.amdhsa_user_sgpr_count 2
		.amdhsa_user_sgpr_dispatch_ptr 0
		.amdhsa_user_sgpr_queue_ptr 0
		.amdhsa_user_sgpr_kernarg_segment_ptr 1
		.amdhsa_user_sgpr_dispatch_id 0
		.amdhsa_user_sgpr_kernarg_preload_length 0
		.amdhsa_user_sgpr_kernarg_preload_offset 0
		.amdhsa_user_sgpr_private_segment_size 0
		.amdhsa_wavefront_size32 1
		.amdhsa_uses_dynamic_stack 0
		.amdhsa_enable_private_segment 0
		.amdhsa_system_sgpr_workgroup_id_x 1
		.amdhsa_system_sgpr_workgroup_id_y 0
		.amdhsa_system_sgpr_workgroup_id_z 0
		.amdhsa_system_sgpr_workgroup_info 0
		.amdhsa_system_vgpr_workitem_id 0
		.amdhsa_next_free_vgpr 1
		.amdhsa_next_free_sgpr 1
		.amdhsa_named_barrier_count 0
		.amdhsa_reserve_vcc 0
		.amdhsa_float_round_mode_32 0
		.amdhsa_float_round_mode_16_64 0
		.amdhsa_float_denorm_mode_32 3
		.amdhsa_float_denorm_mode_16_64 3
		.amdhsa_fp16_overflow 0
		.amdhsa_memory_ordered 1
		.amdhsa_forward_progress 1
		.amdhsa_inst_pref_size 0
		.amdhsa_round_robin_scheduling 0
		.amdhsa_exception_fp_ieee_invalid_op 0
		.amdhsa_exception_fp_denorm_src 0
		.amdhsa_exception_fp_ieee_div_zero 0
		.amdhsa_exception_fp_ieee_overflow 0
		.amdhsa_exception_fp_ieee_underflow 0
		.amdhsa_exception_fp_ieee_inexact 0
		.amdhsa_exception_int_div_zero 0
	.end_amdhsa_kernel
	.section	.text._ZN7rocprim17ROCPRIM_400000_NS6detail17trampoline_kernelINS0_14default_configENS1_27scan_by_key_config_selectorIxxEEZZNS1_16scan_by_key_implILNS1_25lookback_scan_determinismE0ELb0ES3_N6thrust23THRUST_200600_302600_NS6detail15normal_iteratorINS9_10device_ptrIxEEEENS9_18transform_iteratorINS9_6negateIxEESE_NS9_11use_defaultESI_EESE_xNS9_4plusIvEENS9_8equal_toIvEExEE10hipError_tPvRmT2_T3_T4_T5_mT6_T7_P12ihipStream_tbENKUlT_T0_E_clISt17integral_constantIbLb0EES14_EEDaSZ_S10_EUlSZ_E_NS1_11comp_targetILNS1_3genE4ELNS1_11target_archE910ELNS1_3gpuE8ELNS1_3repE0EEENS1_30default_config_static_selectorELNS0_4arch9wavefront6targetE0EEEvT1_,"axG",@progbits,_ZN7rocprim17ROCPRIM_400000_NS6detail17trampoline_kernelINS0_14default_configENS1_27scan_by_key_config_selectorIxxEEZZNS1_16scan_by_key_implILNS1_25lookback_scan_determinismE0ELb0ES3_N6thrust23THRUST_200600_302600_NS6detail15normal_iteratorINS9_10device_ptrIxEEEENS9_18transform_iteratorINS9_6negateIxEESE_NS9_11use_defaultESI_EESE_xNS9_4plusIvEENS9_8equal_toIvEExEE10hipError_tPvRmT2_T3_T4_T5_mT6_T7_P12ihipStream_tbENKUlT_T0_E_clISt17integral_constantIbLb0EES14_EEDaSZ_S10_EUlSZ_E_NS1_11comp_targetILNS1_3genE4ELNS1_11target_archE910ELNS1_3gpuE8ELNS1_3repE0EEENS1_30default_config_static_selectorELNS0_4arch9wavefront6targetE0EEEvT1_,comdat
.Lfunc_end896:
	.size	_ZN7rocprim17ROCPRIM_400000_NS6detail17trampoline_kernelINS0_14default_configENS1_27scan_by_key_config_selectorIxxEEZZNS1_16scan_by_key_implILNS1_25lookback_scan_determinismE0ELb0ES3_N6thrust23THRUST_200600_302600_NS6detail15normal_iteratorINS9_10device_ptrIxEEEENS9_18transform_iteratorINS9_6negateIxEESE_NS9_11use_defaultESI_EESE_xNS9_4plusIvEENS9_8equal_toIvEExEE10hipError_tPvRmT2_T3_T4_T5_mT6_T7_P12ihipStream_tbENKUlT_T0_E_clISt17integral_constantIbLb0EES14_EEDaSZ_S10_EUlSZ_E_NS1_11comp_targetILNS1_3genE4ELNS1_11target_archE910ELNS1_3gpuE8ELNS1_3repE0EEENS1_30default_config_static_selectorELNS0_4arch9wavefront6targetE0EEEvT1_, .Lfunc_end896-_ZN7rocprim17ROCPRIM_400000_NS6detail17trampoline_kernelINS0_14default_configENS1_27scan_by_key_config_selectorIxxEEZZNS1_16scan_by_key_implILNS1_25lookback_scan_determinismE0ELb0ES3_N6thrust23THRUST_200600_302600_NS6detail15normal_iteratorINS9_10device_ptrIxEEEENS9_18transform_iteratorINS9_6negateIxEESE_NS9_11use_defaultESI_EESE_xNS9_4plusIvEENS9_8equal_toIvEExEE10hipError_tPvRmT2_T3_T4_T5_mT6_T7_P12ihipStream_tbENKUlT_T0_E_clISt17integral_constantIbLb0EES14_EEDaSZ_S10_EUlSZ_E_NS1_11comp_targetILNS1_3genE4ELNS1_11target_archE910ELNS1_3gpuE8ELNS1_3repE0EEENS1_30default_config_static_selectorELNS0_4arch9wavefront6targetE0EEEvT1_
                                        ; -- End function
	.set _ZN7rocprim17ROCPRIM_400000_NS6detail17trampoline_kernelINS0_14default_configENS1_27scan_by_key_config_selectorIxxEEZZNS1_16scan_by_key_implILNS1_25lookback_scan_determinismE0ELb0ES3_N6thrust23THRUST_200600_302600_NS6detail15normal_iteratorINS9_10device_ptrIxEEEENS9_18transform_iteratorINS9_6negateIxEESE_NS9_11use_defaultESI_EESE_xNS9_4plusIvEENS9_8equal_toIvEExEE10hipError_tPvRmT2_T3_T4_T5_mT6_T7_P12ihipStream_tbENKUlT_T0_E_clISt17integral_constantIbLb0EES14_EEDaSZ_S10_EUlSZ_E_NS1_11comp_targetILNS1_3genE4ELNS1_11target_archE910ELNS1_3gpuE8ELNS1_3repE0EEENS1_30default_config_static_selectorELNS0_4arch9wavefront6targetE0EEEvT1_.num_vgpr, 0
	.set _ZN7rocprim17ROCPRIM_400000_NS6detail17trampoline_kernelINS0_14default_configENS1_27scan_by_key_config_selectorIxxEEZZNS1_16scan_by_key_implILNS1_25lookback_scan_determinismE0ELb0ES3_N6thrust23THRUST_200600_302600_NS6detail15normal_iteratorINS9_10device_ptrIxEEEENS9_18transform_iteratorINS9_6negateIxEESE_NS9_11use_defaultESI_EESE_xNS9_4plusIvEENS9_8equal_toIvEExEE10hipError_tPvRmT2_T3_T4_T5_mT6_T7_P12ihipStream_tbENKUlT_T0_E_clISt17integral_constantIbLb0EES14_EEDaSZ_S10_EUlSZ_E_NS1_11comp_targetILNS1_3genE4ELNS1_11target_archE910ELNS1_3gpuE8ELNS1_3repE0EEENS1_30default_config_static_selectorELNS0_4arch9wavefront6targetE0EEEvT1_.num_agpr, 0
	.set _ZN7rocprim17ROCPRIM_400000_NS6detail17trampoline_kernelINS0_14default_configENS1_27scan_by_key_config_selectorIxxEEZZNS1_16scan_by_key_implILNS1_25lookback_scan_determinismE0ELb0ES3_N6thrust23THRUST_200600_302600_NS6detail15normal_iteratorINS9_10device_ptrIxEEEENS9_18transform_iteratorINS9_6negateIxEESE_NS9_11use_defaultESI_EESE_xNS9_4plusIvEENS9_8equal_toIvEExEE10hipError_tPvRmT2_T3_T4_T5_mT6_T7_P12ihipStream_tbENKUlT_T0_E_clISt17integral_constantIbLb0EES14_EEDaSZ_S10_EUlSZ_E_NS1_11comp_targetILNS1_3genE4ELNS1_11target_archE910ELNS1_3gpuE8ELNS1_3repE0EEENS1_30default_config_static_selectorELNS0_4arch9wavefront6targetE0EEEvT1_.numbered_sgpr, 0
	.set _ZN7rocprim17ROCPRIM_400000_NS6detail17trampoline_kernelINS0_14default_configENS1_27scan_by_key_config_selectorIxxEEZZNS1_16scan_by_key_implILNS1_25lookback_scan_determinismE0ELb0ES3_N6thrust23THRUST_200600_302600_NS6detail15normal_iteratorINS9_10device_ptrIxEEEENS9_18transform_iteratorINS9_6negateIxEESE_NS9_11use_defaultESI_EESE_xNS9_4plusIvEENS9_8equal_toIvEExEE10hipError_tPvRmT2_T3_T4_T5_mT6_T7_P12ihipStream_tbENKUlT_T0_E_clISt17integral_constantIbLb0EES14_EEDaSZ_S10_EUlSZ_E_NS1_11comp_targetILNS1_3genE4ELNS1_11target_archE910ELNS1_3gpuE8ELNS1_3repE0EEENS1_30default_config_static_selectorELNS0_4arch9wavefront6targetE0EEEvT1_.num_named_barrier, 0
	.set _ZN7rocprim17ROCPRIM_400000_NS6detail17trampoline_kernelINS0_14default_configENS1_27scan_by_key_config_selectorIxxEEZZNS1_16scan_by_key_implILNS1_25lookback_scan_determinismE0ELb0ES3_N6thrust23THRUST_200600_302600_NS6detail15normal_iteratorINS9_10device_ptrIxEEEENS9_18transform_iteratorINS9_6negateIxEESE_NS9_11use_defaultESI_EESE_xNS9_4plusIvEENS9_8equal_toIvEExEE10hipError_tPvRmT2_T3_T4_T5_mT6_T7_P12ihipStream_tbENKUlT_T0_E_clISt17integral_constantIbLb0EES14_EEDaSZ_S10_EUlSZ_E_NS1_11comp_targetILNS1_3genE4ELNS1_11target_archE910ELNS1_3gpuE8ELNS1_3repE0EEENS1_30default_config_static_selectorELNS0_4arch9wavefront6targetE0EEEvT1_.private_seg_size, 0
	.set _ZN7rocprim17ROCPRIM_400000_NS6detail17trampoline_kernelINS0_14default_configENS1_27scan_by_key_config_selectorIxxEEZZNS1_16scan_by_key_implILNS1_25lookback_scan_determinismE0ELb0ES3_N6thrust23THRUST_200600_302600_NS6detail15normal_iteratorINS9_10device_ptrIxEEEENS9_18transform_iteratorINS9_6negateIxEESE_NS9_11use_defaultESI_EESE_xNS9_4plusIvEENS9_8equal_toIvEExEE10hipError_tPvRmT2_T3_T4_T5_mT6_T7_P12ihipStream_tbENKUlT_T0_E_clISt17integral_constantIbLb0EES14_EEDaSZ_S10_EUlSZ_E_NS1_11comp_targetILNS1_3genE4ELNS1_11target_archE910ELNS1_3gpuE8ELNS1_3repE0EEENS1_30default_config_static_selectorELNS0_4arch9wavefront6targetE0EEEvT1_.uses_vcc, 0
	.set _ZN7rocprim17ROCPRIM_400000_NS6detail17trampoline_kernelINS0_14default_configENS1_27scan_by_key_config_selectorIxxEEZZNS1_16scan_by_key_implILNS1_25lookback_scan_determinismE0ELb0ES3_N6thrust23THRUST_200600_302600_NS6detail15normal_iteratorINS9_10device_ptrIxEEEENS9_18transform_iteratorINS9_6negateIxEESE_NS9_11use_defaultESI_EESE_xNS9_4plusIvEENS9_8equal_toIvEExEE10hipError_tPvRmT2_T3_T4_T5_mT6_T7_P12ihipStream_tbENKUlT_T0_E_clISt17integral_constantIbLb0EES14_EEDaSZ_S10_EUlSZ_E_NS1_11comp_targetILNS1_3genE4ELNS1_11target_archE910ELNS1_3gpuE8ELNS1_3repE0EEENS1_30default_config_static_selectorELNS0_4arch9wavefront6targetE0EEEvT1_.uses_flat_scratch, 0
	.set _ZN7rocprim17ROCPRIM_400000_NS6detail17trampoline_kernelINS0_14default_configENS1_27scan_by_key_config_selectorIxxEEZZNS1_16scan_by_key_implILNS1_25lookback_scan_determinismE0ELb0ES3_N6thrust23THRUST_200600_302600_NS6detail15normal_iteratorINS9_10device_ptrIxEEEENS9_18transform_iteratorINS9_6negateIxEESE_NS9_11use_defaultESI_EESE_xNS9_4plusIvEENS9_8equal_toIvEExEE10hipError_tPvRmT2_T3_T4_T5_mT6_T7_P12ihipStream_tbENKUlT_T0_E_clISt17integral_constantIbLb0EES14_EEDaSZ_S10_EUlSZ_E_NS1_11comp_targetILNS1_3genE4ELNS1_11target_archE910ELNS1_3gpuE8ELNS1_3repE0EEENS1_30default_config_static_selectorELNS0_4arch9wavefront6targetE0EEEvT1_.has_dyn_sized_stack, 0
	.set _ZN7rocprim17ROCPRIM_400000_NS6detail17trampoline_kernelINS0_14default_configENS1_27scan_by_key_config_selectorIxxEEZZNS1_16scan_by_key_implILNS1_25lookback_scan_determinismE0ELb0ES3_N6thrust23THRUST_200600_302600_NS6detail15normal_iteratorINS9_10device_ptrIxEEEENS9_18transform_iteratorINS9_6negateIxEESE_NS9_11use_defaultESI_EESE_xNS9_4plusIvEENS9_8equal_toIvEExEE10hipError_tPvRmT2_T3_T4_T5_mT6_T7_P12ihipStream_tbENKUlT_T0_E_clISt17integral_constantIbLb0EES14_EEDaSZ_S10_EUlSZ_E_NS1_11comp_targetILNS1_3genE4ELNS1_11target_archE910ELNS1_3gpuE8ELNS1_3repE0EEENS1_30default_config_static_selectorELNS0_4arch9wavefront6targetE0EEEvT1_.has_recursion, 0
	.set _ZN7rocprim17ROCPRIM_400000_NS6detail17trampoline_kernelINS0_14default_configENS1_27scan_by_key_config_selectorIxxEEZZNS1_16scan_by_key_implILNS1_25lookback_scan_determinismE0ELb0ES3_N6thrust23THRUST_200600_302600_NS6detail15normal_iteratorINS9_10device_ptrIxEEEENS9_18transform_iteratorINS9_6negateIxEESE_NS9_11use_defaultESI_EESE_xNS9_4plusIvEENS9_8equal_toIvEExEE10hipError_tPvRmT2_T3_T4_T5_mT6_T7_P12ihipStream_tbENKUlT_T0_E_clISt17integral_constantIbLb0EES14_EEDaSZ_S10_EUlSZ_E_NS1_11comp_targetILNS1_3genE4ELNS1_11target_archE910ELNS1_3gpuE8ELNS1_3repE0EEENS1_30default_config_static_selectorELNS0_4arch9wavefront6targetE0EEEvT1_.has_indirect_call, 0
	.section	.AMDGPU.csdata,"",@progbits
; Kernel info:
; codeLenInByte = 0
; TotalNumSgprs: 0
; NumVgprs: 0
; ScratchSize: 0
; MemoryBound: 0
; FloatMode: 240
; IeeeMode: 1
; LDSByteSize: 0 bytes/workgroup (compile time only)
; SGPRBlocks: 0
; VGPRBlocks: 0
; NumSGPRsForWavesPerEU: 1
; NumVGPRsForWavesPerEU: 1
; NamedBarCnt: 0
; Occupancy: 16
; WaveLimiterHint : 0
; COMPUTE_PGM_RSRC2:SCRATCH_EN: 0
; COMPUTE_PGM_RSRC2:USER_SGPR: 2
; COMPUTE_PGM_RSRC2:TRAP_HANDLER: 0
; COMPUTE_PGM_RSRC2:TGID_X_EN: 1
; COMPUTE_PGM_RSRC2:TGID_Y_EN: 0
; COMPUTE_PGM_RSRC2:TGID_Z_EN: 0
; COMPUTE_PGM_RSRC2:TIDIG_COMP_CNT: 0
	.section	.text._ZN7rocprim17ROCPRIM_400000_NS6detail17trampoline_kernelINS0_14default_configENS1_27scan_by_key_config_selectorIxxEEZZNS1_16scan_by_key_implILNS1_25lookback_scan_determinismE0ELb0ES3_N6thrust23THRUST_200600_302600_NS6detail15normal_iteratorINS9_10device_ptrIxEEEENS9_18transform_iteratorINS9_6negateIxEESE_NS9_11use_defaultESI_EESE_xNS9_4plusIvEENS9_8equal_toIvEExEE10hipError_tPvRmT2_T3_T4_T5_mT6_T7_P12ihipStream_tbENKUlT_T0_E_clISt17integral_constantIbLb0EES14_EEDaSZ_S10_EUlSZ_E_NS1_11comp_targetILNS1_3genE3ELNS1_11target_archE908ELNS1_3gpuE7ELNS1_3repE0EEENS1_30default_config_static_selectorELNS0_4arch9wavefront6targetE0EEEvT1_,"axG",@progbits,_ZN7rocprim17ROCPRIM_400000_NS6detail17trampoline_kernelINS0_14default_configENS1_27scan_by_key_config_selectorIxxEEZZNS1_16scan_by_key_implILNS1_25lookback_scan_determinismE0ELb0ES3_N6thrust23THRUST_200600_302600_NS6detail15normal_iteratorINS9_10device_ptrIxEEEENS9_18transform_iteratorINS9_6negateIxEESE_NS9_11use_defaultESI_EESE_xNS9_4plusIvEENS9_8equal_toIvEExEE10hipError_tPvRmT2_T3_T4_T5_mT6_T7_P12ihipStream_tbENKUlT_T0_E_clISt17integral_constantIbLb0EES14_EEDaSZ_S10_EUlSZ_E_NS1_11comp_targetILNS1_3genE3ELNS1_11target_archE908ELNS1_3gpuE7ELNS1_3repE0EEENS1_30default_config_static_selectorELNS0_4arch9wavefront6targetE0EEEvT1_,comdat
	.protected	_ZN7rocprim17ROCPRIM_400000_NS6detail17trampoline_kernelINS0_14default_configENS1_27scan_by_key_config_selectorIxxEEZZNS1_16scan_by_key_implILNS1_25lookback_scan_determinismE0ELb0ES3_N6thrust23THRUST_200600_302600_NS6detail15normal_iteratorINS9_10device_ptrIxEEEENS9_18transform_iteratorINS9_6negateIxEESE_NS9_11use_defaultESI_EESE_xNS9_4plusIvEENS9_8equal_toIvEExEE10hipError_tPvRmT2_T3_T4_T5_mT6_T7_P12ihipStream_tbENKUlT_T0_E_clISt17integral_constantIbLb0EES14_EEDaSZ_S10_EUlSZ_E_NS1_11comp_targetILNS1_3genE3ELNS1_11target_archE908ELNS1_3gpuE7ELNS1_3repE0EEENS1_30default_config_static_selectorELNS0_4arch9wavefront6targetE0EEEvT1_ ; -- Begin function _ZN7rocprim17ROCPRIM_400000_NS6detail17trampoline_kernelINS0_14default_configENS1_27scan_by_key_config_selectorIxxEEZZNS1_16scan_by_key_implILNS1_25lookback_scan_determinismE0ELb0ES3_N6thrust23THRUST_200600_302600_NS6detail15normal_iteratorINS9_10device_ptrIxEEEENS9_18transform_iteratorINS9_6negateIxEESE_NS9_11use_defaultESI_EESE_xNS9_4plusIvEENS9_8equal_toIvEExEE10hipError_tPvRmT2_T3_T4_T5_mT6_T7_P12ihipStream_tbENKUlT_T0_E_clISt17integral_constantIbLb0EES14_EEDaSZ_S10_EUlSZ_E_NS1_11comp_targetILNS1_3genE3ELNS1_11target_archE908ELNS1_3gpuE7ELNS1_3repE0EEENS1_30default_config_static_selectorELNS0_4arch9wavefront6targetE0EEEvT1_
	.globl	_ZN7rocprim17ROCPRIM_400000_NS6detail17trampoline_kernelINS0_14default_configENS1_27scan_by_key_config_selectorIxxEEZZNS1_16scan_by_key_implILNS1_25lookback_scan_determinismE0ELb0ES3_N6thrust23THRUST_200600_302600_NS6detail15normal_iteratorINS9_10device_ptrIxEEEENS9_18transform_iteratorINS9_6negateIxEESE_NS9_11use_defaultESI_EESE_xNS9_4plusIvEENS9_8equal_toIvEExEE10hipError_tPvRmT2_T3_T4_T5_mT6_T7_P12ihipStream_tbENKUlT_T0_E_clISt17integral_constantIbLb0EES14_EEDaSZ_S10_EUlSZ_E_NS1_11comp_targetILNS1_3genE3ELNS1_11target_archE908ELNS1_3gpuE7ELNS1_3repE0EEENS1_30default_config_static_selectorELNS0_4arch9wavefront6targetE0EEEvT1_
	.p2align	8
	.type	_ZN7rocprim17ROCPRIM_400000_NS6detail17trampoline_kernelINS0_14default_configENS1_27scan_by_key_config_selectorIxxEEZZNS1_16scan_by_key_implILNS1_25lookback_scan_determinismE0ELb0ES3_N6thrust23THRUST_200600_302600_NS6detail15normal_iteratorINS9_10device_ptrIxEEEENS9_18transform_iteratorINS9_6negateIxEESE_NS9_11use_defaultESI_EESE_xNS9_4plusIvEENS9_8equal_toIvEExEE10hipError_tPvRmT2_T3_T4_T5_mT6_T7_P12ihipStream_tbENKUlT_T0_E_clISt17integral_constantIbLb0EES14_EEDaSZ_S10_EUlSZ_E_NS1_11comp_targetILNS1_3genE3ELNS1_11target_archE908ELNS1_3gpuE7ELNS1_3repE0EEENS1_30default_config_static_selectorELNS0_4arch9wavefront6targetE0EEEvT1_,@function
_ZN7rocprim17ROCPRIM_400000_NS6detail17trampoline_kernelINS0_14default_configENS1_27scan_by_key_config_selectorIxxEEZZNS1_16scan_by_key_implILNS1_25lookback_scan_determinismE0ELb0ES3_N6thrust23THRUST_200600_302600_NS6detail15normal_iteratorINS9_10device_ptrIxEEEENS9_18transform_iteratorINS9_6negateIxEESE_NS9_11use_defaultESI_EESE_xNS9_4plusIvEENS9_8equal_toIvEExEE10hipError_tPvRmT2_T3_T4_T5_mT6_T7_P12ihipStream_tbENKUlT_T0_E_clISt17integral_constantIbLb0EES14_EEDaSZ_S10_EUlSZ_E_NS1_11comp_targetILNS1_3genE3ELNS1_11target_archE908ELNS1_3gpuE7ELNS1_3repE0EEENS1_30default_config_static_selectorELNS0_4arch9wavefront6targetE0EEEvT1_: ; @_ZN7rocprim17ROCPRIM_400000_NS6detail17trampoline_kernelINS0_14default_configENS1_27scan_by_key_config_selectorIxxEEZZNS1_16scan_by_key_implILNS1_25lookback_scan_determinismE0ELb0ES3_N6thrust23THRUST_200600_302600_NS6detail15normal_iteratorINS9_10device_ptrIxEEEENS9_18transform_iteratorINS9_6negateIxEESE_NS9_11use_defaultESI_EESE_xNS9_4plusIvEENS9_8equal_toIvEExEE10hipError_tPvRmT2_T3_T4_T5_mT6_T7_P12ihipStream_tbENKUlT_T0_E_clISt17integral_constantIbLb0EES14_EEDaSZ_S10_EUlSZ_E_NS1_11comp_targetILNS1_3genE3ELNS1_11target_archE908ELNS1_3gpuE7ELNS1_3repE0EEENS1_30default_config_static_selectorELNS0_4arch9wavefront6targetE0EEEvT1_
; %bb.0:
	.section	.rodata,"a",@progbits
	.p2align	6, 0x0
	.amdhsa_kernel _ZN7rocprim17ROCPRIM_400000_NS6detail17trampoline_kernelINS0_14default_configENS1_27scan_by_key_config_selectorIxxEEZZNS1_16scan_by_key_implILNS1_25lookback_scan_determinismE0ELb0ES3_N6thrust23THRUST_200600_302600_NS6detail15normal_iteratorINS9_10device_ptrIxEEEENS9_18transform_iteratorINS9_6negateIxEESE_NS9_11use_defaultESI_EESE_xNS9_4plusIvEENS9_8equal_toIvEExEE10hipError_tPvRmT2_T3_T4_T5_mT6_T7_P12ihipStream_tbENKUlT_T0_E_clISt17integral_constantIbLb0EES14_EEDaSZ_S10_EUlSZ_E_NS1_11comp_targetILNS1_3genE3ELNS1_11target_archE908ELNS1_3gpuE7ELNS1_3repE0EEENS1_30default_config_static_selectorELNS0_4arch9wavefront6targetE0EEEvT1_
		.amdhsa_group_segment_fixed_size 0
		.amdhsa_private_segment_fixed_size 0
		.amdhsa_kernarg_size 144
		.amdhsa_user_sgpr_count 2
		.amdhsa_user_sgpr_dispatch_ptr 0
		.amdhsa_user_sgpr_queue_ptr 0
		.amdhsa_user_sgpr_kernarg_segment_ptr 1
		.amdhsa_user_sgpr_dispatch_id 0
		.amdhsa_user_sgpr_kernarg_preload_length 0
		.amdhsa_user_sgpr_kernarg_preload_offset 0
		.amdhsa_user_sgpr_private_segment_size 0
		.amdhsa_wavefront_size32 1
		.amdhsa_uses_dynamic_stack 0
		.amdhsa_enable_private_segment 0
		.amdhsa_system_sgpr_workgroup_id_x 1
		.amdhsa_system_sgpr_workgroup_id_y 0
		.amdhsa_system_sgpr_workgroup_id_z 0
		.amdhsa_system_sgpr_workgroup_info 0
		.amdhsa_system_vgpr_workitem_id 0
		.amdhsa_next_free_vgpr 1
		.amdhsa_next_free_sgpr 1
		.amdhsa_named_barrier_count 0
		.amdhsa_reserve_vcc 0
		.amdhsa_float_round_mode_32 0
		.amdhsa_float_round_mode_16_64 0
		.amdhsa_float_denorm_mode_32 3
		.amdhsa_float_denorm_mode_16_64 3
		.amdhsa_fp16_overflow 0
		.amdhsa_memory_ordered 1
		.amdhsa_forward_progress 1
		.amdhsa_inst_pref_size 0
		.amdhsa_round_robin_scheduling 0
		.amdhsa_exception_fp_ieee_invalid_op 0
		.amdhsa_exception_fp_denorm_src 0
		.amdhsa_exception_fp_ieee_div_zero 0
		.amdhsa_exception_fp_ieee_overflow 0
		.amdhsa_exception_fp_ieee_underflow 0
		.amdhsa_exception_fp_ieee_inexact 0
		.amdhsa_exception_int_div_zero 0
	.end_amdhsa_kernel
	.section	.text._ZN7rocprim17ROCPRIM_400000_NS6detail17trampoline_kernelINS0_14default_configENS1_27scan_by_key_config_selectorIxxEEZZNS1_16scan_by_key_implILNS1_25lookback_scan_determinismE0ELb0ES3_N6thrust23THRUST_200600_302600_NS6detail15normal_iteratorINS9_10device_ptrIxEEEENS9_18transform_iteratorINS9_6negateIxEESE_NS9_11use_defaultESI_EESE_xNS9_4plusIvEENS9_8equal_toIvEExEE10hipError_tPvRmT2_T3_T4_T5_mT6_T7_P12ihipStream_tbENKUlT_T0_E_clISt17integral_constantIbLb0EES14_EEDaSZ_S10_EUlSZ_E_NS1_11comp_targetILNS1_3genE3ELNS1_11target_archE908ELNS1_3gpuE7ELNS1_3repE0EEENS1_30default_config_static_selectorELNS0_4arch9wavefront6targetE0EEEvT1_,"axG",@progbits,_ZN7rocprim17ROCPRIM_400000_NS6detail17trampoline_kernelINS0_14default_configENS1_27scan_by_key_config_selectorIxxEEZZNS1_16scan_by_key_implILNS1_25lookback_scan_determinismE0ELb0ES3_N6thrust23THRUST_200600_302600_NS6detail15normal_iteratorINS9_10device_ptrIxEEEENS9_18transform_iteratorINS9_6negateIxEESE_NS9_11use_defaultESI_EESE_xNS9_4plusIvEENS9_8equal_toIvEExEE10hipError_tPvRmT2_T3_T4_T5_mT6_T7_P12ihipStream_tbENKUlT_T0_E_clISt17integral_constantIbLb0EES14_EEDaSZ_S10_EUlSZ_E_NS1_11comp_targetILNS1_3genE3ELNS1_11target_archE908ELNS1_3gpuE7ELNS1_3repE0EEENS1_30default_config_static_selectorELNS0_4arch9wavefront6targetE0EEEvT1_,comdat
.Lfunc_end897:
	.size	_ZN7rocprim17ROCPRIM_400000_NS6detail17trampoline_kernelINS0_14default_configENS1_27scan_by_key_config_selectorIxxEEZZNS1_16scan_by_key_implILNS1_25lookback_scan_determinismE0ELb0ES3_N6thrust23THRUST_200600_302600_NS6detail15normal_iteratorINS9_10device_ptrIxEEEENS9_18transform_iteratorINS9_6negateIxEESE_NS9_11use_defaultESI_EESE_xNS9_4plusIvEENS9_8equal_toIvEExEE10hipError_tPvRmT2_T3_T4_T5_mT6_T7_P12ihipStream_tbENKUlT_T0_E_clISt17integral_constantIbLb0EES14_EEDaSZ_S10_EUlSZ_E_NS1_11comp_targetILNS1_3genE3ELNS1_11target_archE908ELNS1_3gpuE7ELNS1_3repE0EEENS1_30default_config_static_selectorELNS0_4arch9wavefront6targetE0EEEvT1_, .Lfunc_end897-_ZN7rocprim17ROCPRIM_400000_NS6detail17trampoline_kernelINS0_14default_configENS1_27scan_by_key_config_selectorIxxEEZZNS1_16scan_by_key_implILNS1_25lookback_scan_determinismE0ELb0ES3_N6thrust23THRUST_200600_302600_NS6detail15normal_iteratorINS9_10device_ptrIxEEEENS9_18transform_iteratorINS9_6negateIxEESE_NS9_11use_defaultESI_EESE_xNS9_4plusIvEENS9_8equal_toIvEExEE10hipError_tPvRmT2_T3_T4_T5_mT6_T7_P12ihipStream_tbENKUlT_T0_E_clISt17integral_constantIbLb0EES14_EEDaSZ_S10_EUlSZ_E_NS1_11comp_targetILNS1_3genE3ELNS1_11target_archE908ELNS1_3gpuE7ELNS1_3repE0EEENS1_30default_config_static_selectorELNS0_4arch9wavefront6targetE0EEEvT1_
                                        ; -- End function
	.set _ZN7rocprim17ROCPRIM_400000_NS6detail17trampoline_kernelINS0_14default_configENS1_27scan_by_key_config_selectorIxxEEZZNS1_16scan_by_key_implILNS1_25lookback_scan_determinismE0ELb0ES3_N6thrust23THRUST_200600_302600_NS6detail15normal_iteratorINS9_10device_ptrIxEEEENS9_18transform_iteratorINS9_6negateIxEESE_NS9_11use_defaultESI_EESE_xNS9_4plusIvEENS9_8equal_toIvEExEE10hipError_tPvRmT2_T3_T4_T5_mT6_T7_P12ihipStream_tbENKUlT_T0_E_clISt17integral_constantIbLb0EES14_EEDaSZ_S10_EUlSZ_E_NS1_11comp_targetILNS1_3genE3ELNS1_11target_archE908ELNS1_3gpuE7ELNS1_3repE0EEENS1_30default_config_static_selectorELNS0_4arch9wavefront6targetE0EEEvT1_.num_vgpr, 0
	.set _ZN7rocprim17ROCPRIM_400000_NS6detail17trampoline_kernelINS0_14default_configENS1_27scan_by_key_config_selectorIxxEEZZNS1_16scan_by_key_implILNS1_25lookback_scan_determinismE0ELb0ES3_N6thrust23THRUST_200600_302600_NS6detail15normal_iteratorINS9_10device_ptrIxEEEENS9_18transform_iteratorINS9_6negateIxEESE_NS9_11use_defaultESI_EESE_xNS9_4plusIvEENS9_8equal_toIvEExEE10hipError_tPvRmT2_T3_T4_T5_mT6_T7_P12ihipStream_tbENKUlT_T0_E_clISt17integral_constantIbLb0EES14_EEDaSZ_S10_EUlSZ_E_NS1_11comp_targetILNS1_3genE3ELNS1_11target_archE908ELNS1_3gpuE7ELNS1_3repE0EEENS1_30default_config_static_selectorELNS0_4arch9wavefront6targetE0EEEvT1_.num_agpr, 0
	.set _ZN7rocprim17ROCPRIM_400000_NS6detail17trampoline_kernelINS0_14default_configENS1_27scan_by_key_config_selectorIxxEEZZNS1_16scan_by_key_implILNS1_25lookback_scan_determinismE0ELb0ES3_N6thrust23THRUST_200600_302600_NS6detail15normal_iteratorINS9_10device_ptrIxEEEENS9_18transform_iteratorINS9_6negateIxEESE_NS9_11use_defaultESI_EESE_xNS9_4plusIvEENS9_8equal_toIvEExEE10hipError_tPvRmT2_T3_T4_T5_mT6_T7_P12ihipStream_tbENKUlT_T0_E_clISt17integral_constantIbLb0EES14_EEDaSZ_S10_EUlSZ_E_NS1_11comp_targetILNS1_3genE3ELNS1_11target_archE908ELNS1_3gpuE7ELNS1_3repE0EEENS1_30default_config_static_selectorELNS0_4arch9wavefront6targetE0EEEvT1_.numbered_sgpr, 0
	.set _ZN7rocprim17ROCPRIM_400000_NS6detail17trampoline_kernelINS0_14default_configENS1_27scan_by_key_config_selectorIxxEEZZNS1_16scan_by_key_implILNS1_25lookback_scan_determinismE0ELb0ES3_N6thrust23THRUST_200600_302600_NS6detail15normal_iteratorINS9_10device_ptrIxEEEENS9_18transform_iteratorINS9_6negateIxEESE_NS9_11use_defaultESI_EESE_xNS9_4plusIvEENS9_8equal_toIvEExEE10hipError_tPvRmT2_T3_T4_T5_mT6_T7_P12ihipStream_tbENKUlT_T0_E_clISt17integral_constantIbLb0EES14_EEDaSZ_S10_EUlSZ_E_NS1_11comp_targetILNS1_3genE3ELNS1_11target_archE908ELNS1_3gpuE7ELNS1_3repE0EEENS1_30default_config_static_selectorELNS0_4arch9wavefront6targetE0EEEvT1_.num_named_barrier, 0
	.set _ZN7rocprim17ROCPRIM_400000_NS6detail17trampoline_kernelINS0_14default_configENS1_27scan_by_key_config_selectorIxxEEZZNS1_16scan_by_key_implILNS1_25lookback_scan_determinismE0ELb0ES3_N6thrust23THRUST_200600_302600_NS6detail15normal_iteratorINS9_10device_ptrIxEEEENS9_18transform_iteratorINS9_6negateIxEESE_NS9_11use_defaultESI_EESE_xNS9_4plusIvEENS9_8equal_toIvEExEE10hipError_tPvRmT2_T3_T4_T5_mT6_T7_P12ihipStream_tbENKUlT_T0_E_clISt17integral_constantIbLb0EES14_EEDaSZ_S10_EUlSZ_E_NS1_11comp_targetILNS1_3genE3ELNS1_11target_archE908ELNS1_3gpuE7ELNS1_3repE0EEENS1_30default_config_static_selectorELNS0_4arch9wavefront6targetE0EEEvT1_.private_seg_size, 0
	.set _ZN7rocprim17ROCPRIM_400000_NS6detail17trampoline_kernelINS0_14default_configENS1_27scan_by_key_config_selectorIxxEEZZNS1_16scan_by_key_implILNS1_25lookback_scan_determinismE0ELb0ES3_N6thrust23THRUST_200600_302600_NS6detail15normal_iteratorINS9_10device_ptrIxEEEENS9_18transform_iteratorINS9_6negateIxEESE_NS9_11use_defaultESI_EESE_xNS9_4plusIvEENS9_8equal_toIvEExEE10hipError_tPvRmT2_T3_T4_T5_mT6_T7_P12ihipStream_tbENKUlT_T0_E_clISt17integral_constantIbLb0EES14_EEDaSZ_S10_EUlSZ_E_NS1_11comp_targetILNS1_3genE3ELNS1_11target_archE908ELNS1_3gpuE7ELNS1_3repE0EEENS1_30default_config_static_selectorELNS0_4arch9wavefront6targetE0EEEvT1_.uses_vcc, 0
	.set _ZN7rocprim17ROCPRIM_400000_NS6detail17trampoline_kernelINS0_14default_configENS1_27scan_by_key_config_selectorIxxEEZZNS1_16scan_by_key_implILNS1_25lookback_scan_determinismE0ELb0ES3_N6thrust23THRUST_200600_302600_NS6detail15normal_iteratorINS9_10device_ptrIxEEEENS9_18transform_iteratorINS9_6negateIxEESE_NS9_11use_defaultESI_EESE_xNS9_4plusIvEENS9_8equal_toIvEExEE10hipError_tPvRmT2_T3_T4_T5_mT6_T7_P12ihipStream_tbENKUlT_T0_E_clISt17integral_constantIbLb0EES14_EEDaSZ_S10_EUlSZ_E_NS1_11comp_targetILNS1_3genE3ELNS1_11target_archE908ELNS1_3gpuE7ELNS1_3repE0EEENS1_30default_config_static_selectorELNS0_4arch9wavefront6targetE0EEEvT1_.uses_flat_scratch, 0
	.set _ZN7rocprim17ROCPRIM_400000_NS6detail17trampoline_kernelINS0_14default_configENS1_27scan_by_key_config_selectorIxxEEZZNS1_16scan_by_key_implILNS1_25lookback_scan_determinismE0ELb0ES3_N6thrust23THRUST_200600_302600_NS6detail15normal_iteratorINS9_10device_ptrIxEEEENS9_18transform_iteratorINS9_6negateIxEESE_NS9_11use_defaultESI_EESE_xNS9_4plusIvEENS9_8equal_toIvEExEE10hipError_tPvRmT2_T3_T4_T5_mT6_T7_P12ihipStream_tbENKUlT_T0_E_clISt17integral_constantIbLb0EES14_EEDaSZ_S10_EUlSZ_E_NS1_11comp_targetILNS1_3genE3ELNS1_11target_archE908ELNS1_3gpuE7ELNS1_3repE0EEENS1_30default_config_static_selectorELNS0_4arch9wavefront6targetE0EEEvT1_.has_dyn_sized_stack, 0
	.set _ZN7rocprim17ROCPRIM_400000_NS6detail17trampoline_kernelINS0_14default_configENS1_27scan_by_key_config_selectorIxxEEZZNS1_16scan_by_key_implILNS1_25lookback_scan_determinismE0ELb0ES3_N6thrust23THRUST_200600_302600_NS6detail15normal_iteratorINS9_10device_ptrIxEEEENS9_18transform_iteratorINS9_6negateIxEESE_NS9_11use_defaultESI_EESE_xNS9_4plusIvEENS9_8equal_toIvEExEE10hipError_tPvRmT2_T3_T4_T5_mT6_T7_P12ihipStream_tbENKUlT_T0_E_clISt17integral_constantIbLb0EES14_EEDaSZ_S10_EUlSZ_E_NS1_11comp_targetILNS1_3genE3ELNS1_11target_archE908ELNS1_3gpuE7ELNS1_3repE0EEENS1_30default_config_static_selectorELNS0_4arch9wavefront6targetE0EEEvT1_.has_recursion, 0
	.set _ZN7rocprim17ROCPRIM_400000_NS6detail17trampoline_kernelINS0_14default_configENS1_27scan_by_key_config_selectorIxxEEZZNS1_16scan_by_key_implILNS1_25lookback_scan_determinismE0ELb0ES3_N6thrust23THRUST_200600_302600_NS6detail15normal_iteratorINS9_10device_ptrIxEEEENS9_18transform_iteratorINS9_6negateIxEESE_NS9_11use_defaultESI_EESE_xNS9_4plusIvEENS9_8equal_toIvEExEE10hipError_tPvRmT2_T3_T4_T5_mT6_T7_P12ihipStream_tbENKUlT_T0_E_clISt17integral_constantIbLb0EES14_EEDaSZ_S10_EUlSZ_E_NS1_11comp_targetILNS1_3genE3ELNS1_11target_archE908ELNS1_3gpuE7ELNS1_3repE0EEENS1_30default_config_static_selectorELNS0_4arch9wavefront6targetE0EEEvT1_.has_indirect_call, 0
	.section	.AMDGPU.csdata,"",@progbits
; Kernel info:
; codeLenInByte = 0
; TotalNumSgprs: 0
; NumVgprs: 0
; ScratchSize: 0
; MemoryBound: 0
; FloatMode: 240
; IeeeMode: 1
; LDSByteSize: 0 bytes/workgroup (compile time only)
; SGPRBlocks: 0
; VGPRBlocks: 0
; NumSGPRsForWavesPerEU: 1
; NumVGPRsForWavesPerEU: 1
; NamedBarCnt: 0
; Occupancy: 16
; WaveLimiterHint : 0
; COMPUTE_PGM_RSRC2:SCRATCH_EN: 0
; COMPUTE_PGM_RSRC2:USER_SGPR: 2
; COMPUTE_PGM_RSRC2:TRAP_HANDLER: 0
; COMPUTE_PGM_RSRC2:TGID_X_EN: 1
; COMPUTE_PGM_RSRC2:TGID_Y_EN: 0
; COMPUTE_PGM_RSRC2:TGID_Z_EN: 0
; COMPUTE_PGM_RSRC2:TIDIG_COMP_CNT: 0
	.section	.text._ZN7rocprim17ROCPRIM_400000_NS6detail17trampoline_kernelINS0_14default_configENS1_27scan_by_key_config_selectorIxxEEZZNS1_16scan_by_key_implILNS1_25lookback_scan_determinismE0ELb0ES3_N6thrust23THRUST_200600_302600_NS6detail15normal_iteratorINS9_10device_ptrIxEEEENS9_18transform_iteratorINS9_6negateIxEESE_NS9_11use_defaultESI_EESE_xNS9_4plusIvEENS9_8equal_toIvEExEE10hipError_tPvRmT2_T3_T4_T5_mT6_T7_P12ihipStream_tbENKUlT_T0_E_clISt17integral_constantIbLb0EES14_EEDaSZ_S10_EUlSZ_E_NS1_11comp_targetILNS1_3genE2ELNS1_11target_archE906ELNS1_3gpuE6ELNS1_3repE0EEENS1_30default_config_static_selectorELNS0_4arch9wavefront6targetE0EEEvT1_,"axG",@progbits,_ZN7rocprim17ROCPRIM_400000_NS6detail17trampoline_kernelINS0_14default_configENS1_27scan_by_key_config_selectorIxxEEZZNS1_16scan_by_key_implILNS1_25lookback_scan_determinismE0ELb0ES3_N6thrust23THRUST_200600_302600_NS6detail15normal_iteratorINS9_10device_ptrIxEEEENS9_18transform_iteratorINS9_6negateIxEESE_NS9_11use_defaultESI_EESE_xNS9_4plusIvEENS9_8equal_toIvEExEE10hipError_tPvRmT2_T3_T4_T5_mT6_T7_P12ihipStream_tbENKUlT_T0_E_clISt17integral_constantIbLb0EES14_EEDaSZ_S10_EUlSZ_E_NS1_11comp_targetILNS1_3genE2ELNS1_11target_archE906ELNS1_3gpuE6ELNS1_3repE0EEENS1_30default_config_static_selectorELNS0_4arch9wavefront6targetE0EEEvT1_,comdat
	.protected	_ZN7rocprim17ROCPRIM_400000_NS6detail17trampoline_kernelINS0_14default_configENS1_27scan_by_key_config_selectorIxxEEZZNS1_16scan_by_key_implILNS1_25lookback_scan_determinismE0ELb0ES3_N6thrust23THRUST_200600_302600_NS6detail15normal_iteratorINS9_10device_ptrIxEEEENS9_18transform_iteratorINS9_6negateIxEESE_NS9_11use_defaultESI_EESE_xNS9_4plusIvEENS9_8equal_toIvEExEE10hipError_tPvRmT2_T3_T4_T5_mT6_T7_P12ihipStream_tbENKUlT_T0_E_clISt17integral_constantIbLb0EES14_EEDaSZ_S10_EUlSZ_E_NS1_11comp_targetILNS1_3genE2ELNS1_11target_archE906ELNS1_3gpuE6ELNS1_3repE0EEENS1_30default_config_static_selectorELNS0_4arch9wavefront6targetE0EEEvT1_ ; -- Begin function _ZN7rocprim17ROCPRIM_400000_NS6detail17trampoline_kernelINS0_14default_configENS1_27scan_by_key_config_selectorIxxEEZZNS1_16scan_by_key_implILNS1_25lookback_scan_determinismE0ELb0ES3_N6thrust23THRUST_200600_302600_NS6detail15normal_iteratorINS9_10device_ptrIxEEEENS9_18transform_iteratorINS9_6negateIxEESE_NS9_11use_defaultESI_EESE_xNS9_4plusIvEENS9_8equal_toIvEExEE10hipError_tPvRmT2_T3_T4_T5_mT6_T7_P12ihipStream_tbENKUlT_T0_E_clISt17integral_constantIbLb0EES14_EEDaSZ_S10_EUlSZ_E_NS1_11comp_targetILNS1_3genE2ELNS1_11target_archE906ELNS1_3gpuE6ELNS1_3repE0EEENS1_30default_config_static_selectorELNS0_4arch9wavefront6targetE0EEEvT1_
	.globl	_ZN7rocprim17ROCPRIM_400000_NS6detail17trampoline_kernelINS0_14default_configENS1_27scan_by_key_config_selectorIxxEEZZNS1_16scan_by_key_implILNS1_25lookback_scan_determinismE0ELb0ES3_N6thrust23THRUST_200600_302600_NS6detail15normal_iteratorINS9_10device_ptrIxEEEENS9_18transform_iteratorINS9_6negateIxEESE_NS9_11use_defaultESI_EESE_xNS9_4plusIvEENS9_8equal_toIvEExEE10hipError_tPvRmT2_T3_T4_T5_mT6_T7_P12ihipStream_tbENKUlT_T0_E_clISt17integral_constantIbLb0EES14_EEDaSZ_S10_EUlSZ_E_NS1_11comp_targetILNS1_3genE2ELNS1_11target_archE906ELNS1_3gpuE6ELNS1_3repE0EEENS1_30default_config_static_selectorELNS0_4arch9wavefront6targetE0EEEvT1_
	.p2align	8
	.type	_ZN7rocprim17ROCPRIM_400000_NS6detail17trampoline_kernelINS0_14default_configENS1_27scan_by_key_config_selectorIxxEEZZNS1_16scan_by_key_implILNS1_25lookback_scan_determinismE0ELb0ES3_N6thrust23THRUST_200600_302600_NS6detail15normal_iteratorINS9_10device_ptrIxEEEENS9_18transform_iteratorINS9_6negateIxEESE_NS9_11use_defaultESI_EESE_xNS9_4plusIvEENS9_8equal_toIvEExEE10hipError_tPvRmT2_T3_T4_T5_mT6_T7_P12ihipStream_tbENKUlT_T0_E_clISt17integral_constantIbLb0EES14_EEDaSZ_S10_EUlSZ_E_NS1_11comp_targetILNS1_3genE2ELNS1_11target_archE906ELNS1_3gpuE6ELNS1_3repE0EEENS1_30default_config_static_selectorELNS0_4arch9wavefront6targetE0EEEvT1_,@function
_ZN7rocprim17ROCPRIM_400000_NS6detail17trampoline_kernelINS0_14default_configENS1_27scan_by_key_config_selectorIxxEEZZNS1_16scan_by_key_implILNS1_25lookback_scan_determinismE0ELb0ES3_N6thrust23THRUST_200600_302600_NS6detail15normal_iteratorINS9_10device_ptrIxEEEENS9_18transform_iteratorINS9_6negateIxEESE_NS9_11use_defaultESI_EESE_xNS9_4plusIvEENS9_8equal_toIvEExEE10hipError_tPvRmT2_T3_T4_T5_mT6_T7_P12ihipStream_tbENKUlT_T0_E_clISt17integral_constantIbLb0EES14_EEDaSZ_S10_EUlSZ_E_NS1_11comp_targetILNS1_3genE2ELNS1_11target_archE906ELNS1_3gpuE6ELNS1_3repE0EEENS1_30default_config_static_selectorELNS0_4arch9wavefront6targetE0EEEvT1_: ; @_ZN7rocprim17ROCPRIM_400000_NS6detail17trampoline_kernelINS0_14default_configENS1_27scan_by_key_config_selectorIxxEEZZNS1_16scan_by_key_implILNS1_25lookback_scan_determinismE0ELb0ES3_N6thrust23THRUST_200600_302600_NS6detail15normal_iteratorINS9_10device_ptrIxEEEENS9_18transform_iteratorINS9_6negateIxEESE_NS9_11use_defaultESI_EESE_xNS9_4plusIvEENS9_8equal_toIvEExEE10hipError_tPvRmT2_T3_T4_T5_mT6_T7_P12ihipStream_tbENKUlT_T0_E_clISt17integral_constantIbLb0EES14_EEDaSZ_S10_EUlSZ_E_NS1_11comp_targetILNS1_3genE2ELNS1_11target_archE906ELNS1_3gpuE6ELNS1_3repE0EEENS1_30default_config_static_selectorELNS0_4arch9wavefront6targetE0EEEvT1_
; %bb.0:
	.section	.rodata,"a",@progbits
	.p2align	6, 0x0
	.amdhsa_kernel _ZN7rocprim17ROCPRIM_400000_NS6detail17trampoline_kernelINS0_14default_configENS1_27scan_by_key_config_selectorIxxEEZZNS1_16scan_by_key_implILNS1_25lookback_scan_determinismE0ELb0ES3_N6thrust23THRUST_200600_302600_NS6detail15normal_iteratorINS9_10device_ptrIxEEEENS9_18transform_iteratorINS9_6negateIxEESE_NS9_11use_defaultESI_EESE_xNS9_4plusIvEENS9_8equal_toIvEExEE10hipError_tPvRmT2_T3_T4_T5_mT6_T7_P12ihipStream_tbENKUlT_T0_E_clISt17integral_constantIbLb0EES14_EEDaSZ_S10_EUlSZ_E_NS1_11comp_targetILNS1_3genE2ELNS1_11target_archE906ELNS1_3gpuE6ELNS1_3repE0EEENS1_30default_config_static_selectorELNS0_4arch9wavefront6targetE0EEEvT1_
		.amdhsa_group_segment_fixed_size 0
		.amdhsa_private_segment_fixed_size 0
		.amdhsa_kernarg_size 144
		.amdhsa_user_sgpr_count 2
		.amdhsa_user_sgpr_dispatch_ptr 0
		.amdhsa_user_sgpr_queue_ptr 0
		.amdhsa_user_sgpr_kernarg_segment_ptr 1
		.amdhsa_user_sgpr_dispatch_id 0
		.amdhsa_user_sgpr_kernarg_preload_length 0
		.amdhsa_user_sgpr_kernarg_preload_offset 0
		.amdhsa_user_sgpr_private_segment_size 0
		.amdhsa_wavefront_size32 1
		.amdhsa_uses_dynamic_stack 0
		.amdhsa_enable_private_segment 0
		.amdhsa_system_sgpr_workgroup_id_x 1
		.amdhsa_system_sgpr_workgroup_id_y 0
		.amdhsa_system_sgpr_workgroup_id_z 0
		.amdhsa_system_sgpr_workgroup_info 0
		.amdhsa_system_vgpr_workitem_id 0
		.amdhsa_next_free_vgpr 1
		.amdhsa_next_free_sgpr 1
		.amdhsa_named_barrier_count 0
		.amdhsa_reserve_vcc 0
		.amdhsa_float_round_mode_32 0
		.amdhsa_float_round_mode_16_64 0
		.amdhsa_float_denorm_mode_32 3
		.amdhsa_float_denorm_mode_16_64 3
		.amdhsa_fp16_overflow 0
		.amdhsa_memory_ordered 1
		.amdhsa_forward_progress 1
		.amdhsa_inst_pref_size 0
		.amdhsa_round_robin_scheduling 0
		.amdhsa_exception_fp_ieee_invalid_op 0
		.amdhsa_exception_fp_denorm_src 0
		.amdhsa_exception_fp_ieee_div_zero 0
		.amdhsa_exception_fp_ieee_overflow 0
		.amdhsa_exception_fp_ieee_underflow 0
		.amdhsa_exception_fp_ieee_inexact 0
		.amdhsa_exception_int_div_zero 0
	.end_amdhsa_kernel
	.section	.text._ZN7rocprim17ROCPRIM_400000_NS6detail17trampoline_kernelINS0_14default_configENS1_27scan_by_key_config_selectorIxxEEZZNS1_16scan_by_key_implILNS1_25lookback_scan_determinismE0ELb0ES3_N6thrust23THRUST_200600_302600_NS6detail15normal_iteratorINS9_10device_ptrIxEEEENS9_18transform_iteratorINS9_6negateIxEESE_NS9_11use_defaultESI_EESE_xNS9_4plusIvEENS9_8equal_toIvEExEE10hipError_tPvRmT2_T3_T4_T5_mT6_T7_P12ihipStream_tbENKUlT_T0_E_clISt17integral_constantIbLb0EES14_EEDaSZ_S10_EUlSZ_E_NS1_11comp_targetILNS1_3genE2ELNS1_11target_archE906ELNS1_3gpuE6ELNS1_3repE0EEENS1_30default_config_static_selectorELNS0_4arch9wavefront6targetE0EEEvT1_,"axG",@progbits,_ZN7rocprim17ROCPRIM_400000_NS6detail17trampoline_kernelINS0_14default_configENS1_27scan_by_key_config_selectorIxxEEZZNS1_16scan_by_key_implILNS1_25lookback_scan_determinismE0ELb0ES3_N6thrust23THRUST_200600_302600_NS6detail15normal_iteratorINS9_10device_ptrIxEEEENS9_18transform_iteratorINS9_6negateIxEESE_NS9_11use_defaultESI_EESE_xNS9_4plusIvEENS9_8equal_toIvEExEE10hipError_tPvRmT2_T3_T4_T5_mT6_T7_P12ihipStream_tbENKUlT_T0_E_clISt17integral_constantIbLb0EES14_EEDaSZ_S10_EUlSZ_E_NS1_11comp_targetILNS1_3genE2ELNS1_11target_archE906ELNS1_3gpuE6ELNS1_3repE0EEENS1_30default_config_static_selectorELNS0_4arch9wavefront6targetE0EEEvT1_,comdat
.Lfunc_end898:
	.size	_ZN7rocprim17ROCPRIM_400000_NS6detail17trampoline_kernelINS0_14default_configENS1_27scan_by_key_config_selectorIxxEEZZNS1_16scan_by_key_implILNS1_25lookback_scan_determinismE0ELb0ES3_N6thrust23THRUST_200600_302600_NS6detail15normal_iteratorINS9_10device_ptrIxEEEENS9_18transform_iteratorINS9_6negateIxEESE_NS9_11use_defaultESI_EESE_xNS9_4plusIvEENS9_8equal_toIvEExEE10hipError_tPvRmT2_T3_T4_T5_mT6_T7_P12ihipStream_tbENKUlT_T0_E_clISt17integral_constantIbLb0EES14_EEDaSZ_S10_EUlSZ_E_NS1_11comp_targetILNS1_3genE2ELNS1_11target_archE906ELNS1_3gpuE6ELNS1_3repE0EEENS1_30default_config_static_selectorELNS0_4arch9wavefront6targetE0EEEvT1_, .Lfunc_end898-_ZN7rocprim17ROCPRIM_400000_NS6detail17trampoline_kernelINS0_14default_configENS1_27scan_by_key_config_selectorIxxEEZZNS1_16scan_by_key_implILNS1_25lookback_scan_determinismE0ELb0ES3_N6thrust23THRUST_200600_302600_NS6detail15normal_iteratorINS9_10device_ptrIxEEEENS9_18transform_iteratorINS9_6negateIxEESE_NS9_11use_defaultESI_EESE_xNS9_4plusIvEENS9_8equal_toIvEExEE10hipError_tPvRmT2_T3_T4_T5_mT6_T7_P12ihipStream_tbENKUlT_T0_E_clISt17integral_constantIbLb0EES14_EEDaSZ_S10_EUlSZ_E_NS1_11comp_targetILNS1_3genE2ELNS1_11target_archE906ELNS1_3gpuE6ELNS1_3repE0EEENS1_30default_config_static_selectorELNS0_4arch9wavefront6targetE0EEEvT1_
                                        ; -- End function
	.set _ZN7rocprim17ROCPRIM_400000_NS6detail17trampoline_kernelINS0_14default_configENS1_27scan_by_key_config_selectorIxxEEZZNS1_16scan_by_key_implILNS1_25lookback_scan_determinismE0ELb0ES3_N6thrust23THRUST_200600_302600_NS6detail15normal_iteratorINS9_10device_ptrIxEEEENS9_18transform_iteratorINS9_6negateIxEESE_NS9_11use_defaultESI_EESE_xNS9_4plusIvEENS9_8equal_toIvEExEE10hipError_tPvRmT2_T3_T4_T5_mT6_T7_P12ihipStream_tbENKUlT_T0_E_clISt17integral_constantIbLb0EES14_EEDaSZ_S10_EUlSZ_E_NS1_11comp_targetILNS1_3genE2ELNS1_11target_archE906ELNS1_3gpuE6ELNS1_3repE0EEENS1_30default_config_static_selectorELNS0_4arch9wavefront6targetE0EEEvT1_.num_vgpr, 0
	.set _ZN7rocprim17ROCPRIM_400000_NS6detail17trampoline_kernelINS0_14default_configENS1_27scan_by_key_config_selectorIxxEEZZNS1_16scan_by_key_implILNS1_25lookback_scan_determinismE0ELb0ES3_N6thrust23THRUST_200600_302600_NS6detail15normal_iteratorINS9_10device_ptrIxEEEENS9_18transform_iteratorINS9_6negateIxEESE_NS9_11use_defaultESI_EESE_xNS9_4plusIvEENS9_8equal_toIvEExEE10hipError_tPvRmT2_T3_T4_T5_mT6_T7_P12ihipStream_tbENKUlT_T0_E_clISt17integral_constantIbLb0EES14_EEDaSZ_S10_EUlSZ_E_NS1_11comp_targetILNS1_3genE2ELNS1_11target_archE906ELNS1_3gpuE6ELNS1_3repE0EEENS1_30default_config_static_selectorELNS0_4arch9wavefront6targetE0EEEvT1_.num_agpr, 0
	.set _ZN7rocprim17ROCPRIM_400000_NS6detail17trampoline_kernelINS0_14default_configENS1_27scan_by_key_config_selectorIxxEEZZNS1_16scan_by_key_implILNS1_25lookback_scan_determinismE0ELb0ES3_N6thrust23THRUST_200600_302600_NS6detail15normal_iteratorINS9_10device_ptrIxEEEENS9_18transform_iteratorINS9_6negateIxEESE_NS9_11use_defaultESI_EESE_xNS9_4plusIvEENS9_8equal_toIvEExEE10hipError_tPvRmT2_T3_T4_T5_mT6_T7_P12ihipStream_tbENKUlT_T0_E_clISt17integral_constantIbLb0EES14_EEDaSZ_S10_EUlSZ_E_NS1_11comp_targetILNS1_3genE2ELNS1_11target_archE906ELNS1_3gpuE6ELNS1_3repE0EEENS1_30default_config_static_selectorELNS0_4arch9wavefront6targetE0EEEvT1_.numbered_sgpr, 0
	.set _ZN7rocprim17ROCPRIM_400000_NS6detail17trampoline_kernelINS0_14default_configENS1_27scan_by_key_config_selectorIxxEEZZNS1_16scan_by_key_implILNS1_25lookback_scan_determinismE0ELb0ES3_N6thrust23THRUST_200600_302600_NS6detail15normal_iteratorINS9_10device_ptrIxEEEENS9_18transform_iteratorINS9_6negateIxEESE_NS9_11use_defaultESI_EESE_xNS9_4plusIvEENS9_8equal_toIvEExEE10hipError_tPvRmT2_T3_T4_T5_mT6_T7_P12ihipStream_tbENKUlT_T0_E_clISt17integral_constantIbLb0EES14_EEDaSZ_S10_EUlSZ_E_NS1_11comp_targetILNS1_3genE2ELNS1_11target_archE906ELNS1_3gpuE6ELNS1_3repE0EEENS1_30default_config_static_selectorELNS0_4arch9wavefront6targetE0EEEvT1_.num_named_barrier, 0
	.set _ZN7rocprim17ROCPRIM_400000_NS6detail17trampoline_kernelINS0_14default_configENS1_27scan_by_key_config_selectorIxxEEZZNS1_16scan_by_key_implILNS1_25lookback_scan_determinismE0ELb0ES3_N6thrust23THRUST_200600_302600_NS6detail15normal_iteratorINS9_10device_ptrIxEEEENS9_18transform_iteratorINS9_6negateIxEESE_NS9_11use_defaultESI_EESE_xNS9_4plusIvEENS9_8equal_toIvEExEE10hipError_tPvRmT2_T3_T4_T5_mT6_T7_P12ihipStream_tbENKUlT_T0_E_clISt17integral_constantIbLb0EES14_EEDaSZ_S10_EUlSZ_E_NS1_11comp_targetILNS1_3genE2ELNS1_11target_archE906ELNS1_3gpuE6ELNS1_3repE0EEENS1_30default_config_static_selectorELNS0_4arch9wavefront6targetE0EEEvT1_.private_seg_size, 0
	.set _ZN7rocprim17ROCPRIM_400000_NS6detail17trampoline_kernelINS0_14default_configENS1_27scan_by_key_config_selectorIxxEEZZNS1_16scan_by_key_implILNS1_25lookback_scan_determinismE0ELb0ES3_N6thrust23THRUST_200600_302600_NS6detail15normal_iteratorINS9_10device_ptrIxEEEENS9_18transform_iteratorINS9_6negateIxEESE_NS9_11use_defaultESI_EESE_xNS9_4plusIvEENS9_8equal_toIvEExEE10hipError_tPvRmT2_T3_T4_T5_mT6_T7_P12ihipStream_tbENKUlT_T0_E_clISt17integral_constantIbLb0EES14_EEDaSZ_S10_EUlSZ_E_NS1_11comp_targetILNS1_3genE2ELNS1_11target_archE906ELNS1_3gpuE6ELNS1_3repE0EEENS1_30default_config_static_selectorELNS0_4arch9wavefront6targetE0EEEvT1_.uses_vcc, 0
	.set _ZN7rocprim17ROCPRIM_400000_NS6detail17trampoline_kernelINS0_14default_configENS1_27scan_by_key_config_selectorIxxEEZZNS1_16scan_by_key_implILNS1_25lookback_scan_determinismE0ELb0ES3_N6thrust23THRUST_200600_302600_NS6detail15normal_iteratorINS9_10device_ptrIxEEEENS9_18transform_iteratorINS9_6negateIxEESE_NS9_11use_defaultESI_EESE_xNS9_4plusIvEENS9_8equal_toIvEExEE10hipError_tPvRmT2_T3_T4_T5_mT6_T7_P12ihipStream_tbENKUlT_T0_E_clISt17integral_constantIbLb0EES14_EEDaSZ_S10_EUlSZ_E_NS1_11comp_targetILNS1_3genE2ELNS1_11target_archE906ELNS1_3gpuE6ELNS1_3repE0EEENS1_30default_config_static_selectorELNS0_4arch9wavefront6targetE0EEEvT1_.uses_flat_scratch, 0
	.set _ZN7rocprim17ROCPRIM_400000_NS6detail17trampoline_kernelINS0_14default_configENS1_27scan_by_key_config_selectorIxxEEZZNS1_16scan_by_key_implILNS1_25lookback_scan_determinismE0ELb0ES3_N6thrust23THRUST_200600_302600_NS6detail15normal_iteratorINS9_10device_ptrIxEEEENS9_18transform_iteratorINS9_6negateIxEESE_NS9_11use_defaultESI_EESE_xNS9_4plusIvEENS9_8equal_toIvEExEE10hipError_tPvRmT2_T3_T4_T5_mT6_T7_P12ihipStream_tbENKUlT_T0_E_clISt17integral_constantIbLb0EES14_EEDaSZ_S10_EUlSZ_E_NS1_11comp_targetILNS1_3genE2ELNS1_11target_archE906ELNS1_3gpuE6ELNS1_3repE0EEENS1_30default_config_static_selectorELNS0_4arch9wavefront6targetE0EEEvT1_.has_dyn_sized_stack, 0
	.set _ZN7rocprim17ROCPRIM_400000_NS6detail17trampoline_kernelINS0_14default_configENS1_27scan_by_key_config_selectorIxxEEZZNS1_16scan_by_key_implILNS1_25lookback_scan_determinismE0ELb0ES3_N6thrust23THRUST_200600_302600_NS6detail15normal_iteratorINS9_10device_ptrIxEEEENS9_18transform_iteratorINS9_6negateIxEESE_NS9_11use_defaultESI_EESE_xNS9_4plusIvEENS9_8equal_toIvEExEE10hipError_tPvRmT2_T3_T4_T5_mT6_T7_P12ihipStream_tbENKUlT_T0_E_clISt17integral_constantIbLb0EES14_EEDaSZ_S10_EUlSZ_E_NS1_11comp_targetILNS1_3genE2ELNS1_11target_archE906ELNS1_3gpuE6ELNS1_3repE0EEENS1_30default_config_static_selectorELNS0_4arch9wavefront6targetE0EEEvT1_.has_recursion, 0
	.set _ZN7rocprim17ROCPRIM_400000_NS6detail17trampoline_kernelINS0_14default_configENS1_27scan_by_key_config_selectorIxxEEZZNS1_16scan_by_key_implILNS1_25lookback_scan_determinismE0ELb0ES3_N6thrust23THRUST_200600_302600_NS6detail15normal_iteratorINS9_10device_ptrIxEEEENS9_18transform_iteratorINS9_6negateIxEESE_NS9_11use_defaultESI_EESE_xNS9_4plusIvEENS9_8equal_toIvEExEE10hipError_tPvRmT2_T3_T4_T5_mT6_T7_P12ihipStream_tbENKUlT_T0_E_clISt17integral_constantIbLb0EES14_EEDaSZ_S10_EUlSZ_E_NS1_11comp_targetILNS1_3genE2ELNS1_11target_archE906ELNS1_3gpuE6ELNS1_3repE0EEENS1_30default_config_static_selectorELNS0_4arch9wavefront6targetE0EEEvT1_.has_indirect_call, 0
	.section	.AMDGPU.csdata,"",@progbits
; Kernel info:
; codeLenInByte = 0
; TotalNumSgprs: 0
; NumVgprs: 0
; ScratchSize: 0
; MemoryBound: 0
; FloatMode: 240
; IeeeMode: 1
; LDSByteSize: 0 bytes/workgroup (compile time only)
; SGPRBlocks: 0
; VGPRBlocks: 0
; NumSGPRsForWavesPerEU: 1
; NumVGPRsForWavesPerEU: 1
; NamedBarCnt: 0
; Occupancy: 16
; WaveLimiterHint : 0
; COMPUTE_PGM_RSRC2:SCRATCH_EN: 0
; COMPUTE_PGM_RSRC2:USER_SGPR: 2
; COMPUTE_PGM_RSRC2:TRAP_HANDLER: 0
; COMPUTE_PGM_RSRC2:TGID_X_EN: 1
; COMPUTE_PGM_RSRC2:TGID_Y_EN: 0
; COMPUTE_PGM_RSRC2:TGID_Z_EN: 0
; COMPUTE_PGM_RSRC2:TIDIG_COMP_CNT: 0
	.section	.text._ZN7rocprim17ROCPRIM_400000_NS6detail17trampoline_kernelINS0_14default_configENS1_27scan_by_key_config_selectorIxxEEZZNS1_16scan_by_key_implILNS1_25lookback_scan_determinismE0ELb0ES3_N6thrust23THRUST_200600_302600_NS6detail15normal_iteratorINS9_10device_ptrIxEEEENS9_18transform_iteratorINS9_6negateIxEESE_NS9_11use_defaultESI_EESE_xNS9_4plusIvEENS9_8equal_toIvEExEE10hipError_tPvRmT2_T3_T4_T5_mT6_T7_P12ihipStream_tbENKUlT_T0_E_clISt17integral_constantIbLb0EES14_EEDaSZ_S10_EUlSZ_E_NS1_11comp_targetILNS1_3genE10ELNS1_11target_archE1200ELNS1_3gpuE4ELNS1_3repE0EEENS1_30default_config_static_selectorELNS0_4arch9wavefront6targetE0EEEvT1_,"axG",@progbits,_ZN7rocprim17ROCPRIM_400000_NS6detail17trampoline_kernelINS0_14default_configENS1_27scan_by_key_config_selectorIxxEEZZNS1_16scan_by_key_implILNS1_25lookback_scan_determinismE0ELb0ES3_N6thrust23THRUST_200600_302600_NS6detail15normal_iteratorINS9_10device_ptrIxEEEENS9_18transform_iteratorINS9_6negateIxEESE_NS9_11use_defaultESI_EESE_xNS9_4plusIvEENS9_8equal_toIvEExEE10hipError_tPvRmT2_T3_T4_T5_mT6_T7_P12ihipStream_tbENKUlT_T0_E_clISt17integral_constantIbLb0EES14_EEDaSZ_S10_EUlSZ_E_NS1_11comp_targetILNS1_3genE10ELNS1_11target_archE1200ELNS1_3gpuE4ELNS1_3repE0EEENS1_30default_config_static_selectorELNS0_4arch9wavefront6targetE0EEEvT1_,comdat
	.protected	_ZN7rocprim17ROCPRIM_400000_NS6detail17trampoline_kernelINS0_14default_configENS1_27scan_by_key_config_selectorIxxEEZZNS1_16scan_by_key_implILNS1_25lookback_scan_determinismE0ELb0ES3_N6thrust23THRUST_200600_302600_NS6detail15normal_iteratorINS9_10device_ptrIxEEEENS9_18transform_iteratorINS9_6negateIxEESE_NS9_11use_defaultESI_EESE_xNS9_4plusIvEENS9_8equal_toIvEExEE10hipError_tPvRmT2_T3_T4_T5_mT6_T7_P12ihipStream_tbENKUlT_T0_E_clISt17integral_constantIbLb0EES14_EEDaSZ_S10_EUlSZ_E_NS1_11comp_targetILNS1_3genE10ELNS1_11target_archE1200ELNS1_3gpuE4ELNS1_3repE0EEENS1_30default_config_static_selectorELNS0_4arch9wavefront6targetE0EEEvT1_ ; -- Begin function _ZN7rocprim17ROCPRIM_400000_NS6detail17trampoline_kernelINS0_14default_configENS1_27scan_by_key_config_selectorIxxEEZZNS1_16scan_by_key_implILNS1_25lookback_scan_determinismE0ELb0ES3_N6thrust23THRUST_200600_302600_NS6detail15normal_iteratorINS9_10device_ptrIxEEEENS9_18transform_iteratorINS9_6negateIxEESE_NS9_11use_defaultESI_EESE_xNS9_4plusIvEENS9_8equal_toIvEExEE10hipError_tPvRmT2_T3_T4_T5_mT6_T7_P12ihipStream_tbENKUlT_T0_E_clISt17integral_constantIbLb0EES14_EEDaSZ_S10_EUlSZ_E_NS1_11comp_targetILNS1_3genE10ELNS1_11target_archE1200ELNS1_3gpuE4ELNS1_3repE0EEENS1_30default_config_static_selectorELNS0_4arch9wavefront6targetE0EEEvT1_
	.globl	_ZN7rocprim17ROCPRIM_400000_NS6detail17trampoline_kernelINS0_14default_configENS1_27scan_by_key_config_selectorIxxEEZZNS1_16scan_by_key_implILNS1_25lookback_scan_determinismE0ELb0ES3_N6thrust23THRUST_200600_302600_NS6detail15normal_iteratorINS9_10device_ptrIxEEEENS9_18transform_iteratorINS9_6negateIxEESE_NS9_11use_defaultESI_EESE_xNS9_4plusIvEENS9_8equal_toIvEExEE10hipError_tPvRmT2_T3_T4_T5_mT6_T7_P12ihipStream_tbENKUlT_T0_E_clISt17integral_constantIbLb0EES14_EEDaSZ_S10_EUlSZ_E_NS1_11comp_targetILNS1_3genE10ELNS1_11target_archE1200ELNS1_3gpuE4ELNS1_3repE0EEENS1_30default_config_static_selectorELNS0_4arch9wavefront6targetE0EEEvT1_
	.p2align	8
	.type	_ZN7rocprim17ROCPRIM_400000_NS6detail17trampoline_kernelINS0_14default_configENS1_27scan_by_key_config_selectorIxxEEZZNS1_16scan_by_key_implILNS1_25lookback_scan_determinismE0ELb0ES3_N6thrust23THRUST_200600_302600_NS6detail15normal_iteratorINS9_10device_ptrIxEEEENS9_18transform_iteratorINS9_6negateIxEESE_NS9_11use_defaultESI_EESE_xNS9_4plusIvEENS9_8equal_toIvEExEE10hipError_tPvRmT2_T3_T4_T5_mT6_T7_P12ihipStream_tbENKUlT_T0_E_clISt17integral_constantIbLb0EES14_EEDaSZ_S10_EUlSZ_E_NS1_11comp_targetILNS1_3genE10ELNS1_11target_archE1200ELNS1_3gpuE4ELNS1_3repE0EEENS1_30default_config_static_selectorELNS0_4arch9wavefront6targetE0EEEvT1_,@function
_ZN7rocprim17ROCPRIM_400000_NS6detail17trampoline_kernelINS0_14default_configENS1_27scan_by_key_config_selectorIxxEEZZNS1_16scan_by_key_implILNS1_25lookback_scan_determinismE0ELb0ES3_N6thrust23THRUST_200600_302600_NS6detail15normal_iteratorINS9_10device_ptrIxEEEENS9_18transform_iteratorINS9_6negateIxEESE_NS9_11use_defaultESI_EESE_xNS9_4plusIvEENS9_8equal_toIvEExEE10hipError_tPvRmT2_T3_T4_T5_mT6_T7_P12ihipStream_tbENKUlT_T0_E_clISt17integral_constantIbLb0EES14_EEDaSZ_S10_EUlSZ_E_NS1_11comp_targetILNS1_3genE10ELNS1_11target_archE1200ELNS1_3gpuE4ELNS1_3repE0EEENS1_30default_config_static_selectorELNS0_4arch9wavefront6targetE0EEEvT1_: ; @_ZN7rocprim17ROCPRIM_400000_NS6detail17trampoline_kernelINS0_14default_configENS1_27scan_by_key_config_selectorIxxEEZZNS1_16scan_by_key_implILNS1_25lookback_scan_determinismE0ELb0ES3_N6thrust23THRUST_200600_302600_NS6detail15normal_iteratorINS9_10device_ptrIxEEEENS9_18transform_iteratorINS9_6negateIxEESE_NS9_11use_defaultESI_EESE_xNS9_4plusIvEENS9_8equal_toIvEExEE10hipError_tPvRmT2_T3_T4_T5_mT6_T7_P12ihipStream_tbENKUlT_T0_E_clISt17integral_constantIbLb0EES14_EEDaSZ_S10_EUlSZ_E_NS1_11comp_targetILNS1_3genE10ELNS1_11target_archE1200ELNS1_3gpuE4ELNS1_3repE0EEENS1_30default_config_static_selectorELNS0_4arch9wavefront6targetE0EEEvT1_
; %bb.0:
	.section	.rodata,"a",@progbits
	.p2align	6, 0x0
	.amdhsa_kernel _ZN7rocprim17ROCPRIM_400000_NS6detail17trampoline_kernelINS0_14default_configENS1_27scan_by_key_config_selectorIxxEEZZNS1_16scan_by_key_implILNS1_25lookback_scan_determinismE0ELb0ES3_N6thrust23THRUST_200600_302600_NS6detail15normal_iteratorINS9_10device_ptrIxEEEENS9_18transform_iteratorINS9_6negateIxEESE_NS9_11use_defaultESI_EESE_xNS9_4plusIvEENS9_8equal_toIvEExEE10hipError_tPvRmT2_T3_T4_T5_mT6_T7_P12ihipStream_tbENKUlT_T0_E_clISt17integral_constantIbLb0EES14_EEDaSZ_S10_EUlSZ_E_NS1_11comp_targetILNS1_3genE10ELNS1_11target_archE1200ELNS1_3gpuE4ELNS1_3repE0EEENS1_30default_config_static_selectorELNS0_4arch9wavefront6targetE0EEEvT1_
		.amdhsa_group_segment_fixed_size 0
		.amdhsa_private_segment_fixed_size 0
		.amdhsa_kernarg_size 144
		.amdhsa_user_sgpr_count 2
		.amdhsa_user_sgpr_dispatch_ptr 0
		.amdhsa_user_sgpr_queue_ptr 0
		.amdhsa_user_sgpr_kernarg_segment_ptr 1
		.amdhsa_user_sgpr_dispatch_id 0
		.amdhsa_user_sgpr_kernarg_preload_length 0
		.amdhsa_user_sgpr_kernarg_preload_offset 0
		.amdhsa_user_sgpr_private_segment_size 0
		.amdhsa_wavefront_size32 1
		.amdhsa_uses_dynamic_stack 0
		.amdhsa_enable_private_segment 0
		.amdhsa_system_sgpr_workgroup_id_x 1
		.amdhsa_system_sgpr_workgroup_id_y 0
		.amdhsa_system_sgpr_workgroup_id_z 0
		.amdhsa_system_sgpr_workgroup_info 0
		.amdhsa_system_vgpr_workitem_id 0
		.amdhsa_next_free_vgpr 1
		.amdhsa_next_free_sgpr 1
		.amdhsa_named_barrier_count 0
		.amdhsa_reserve_vcc 0
		.amdhsa_float_round_mode_32 0
		.amdhsa_float_round_mode_16_64 0
		.amdhsa_float_denorm_mode_32 3
		.amdhsa_float_denorm_mode_16_64 3
		.amdhsa_fp16_overflow 0
		.amdhsa_memory_ordered 1
		.amdhsa_forward_progress 1
		.amdhsa_inst_pref_size 0
		.amdhsa_round_robin_scheduling 0
		.amdhsa_exception_fp_ieee_invalid_op 0
		.amdhsa_exception_fp_denorm_src 0
		.amdhsa_exception_fp_ieee_div_zero 0
		.amdhsa_exception_fp_ieee_overflow 0
		.amdhsa_exception_fp_ieee_underflow 0
		.amdhsa_exception_fp_ieee_inexact 0
		.amdhsa_exception_int_div_zero 0
	.end_amdhsa_kernel
	.section	.text._ZN7rocprim17ROCPRIM_400000_NS6detail17trampoline_kernelINS0_14default_configENS1_27scan_by_key_config_selectorIxxEEZZNS1_16scan_by_key_implILNS1_25lookback_scan_determinismE0ELb0ES3_N6thrust23THRUST_200600_302600_NS6detail15normal_iteratorINS9_10device_ptrIxEEEENS9_18transform_iteratorINS9_6negateIxEESE_NS9_11use_defaultESI_EESE_xNS9_4plusIvEENS9_8equal_toIvEExEE10hipError_tPvRmT2_T3_T4_T5_mT6_T7_P12ihipStream_tbENKUlT_T0_E_clISt17integral_constantIbLb0EES14_EEDaSZ_S10_EUlSZ_E_NS1_11comp_targetILNS1_3genE10ELNS1_11target_archE1200ELNS1_3gpuE4ELNS1_3repE0EEENS1_30default_config_static_selectorELNS0_4arch9wavefront6targetE0EEEvT1_,"axG",@progbits,_ZN7rocprim17ROCPRIM_400000_NS6detail17trampoline_kernelINS0_14default_configENS1_27scan_by_key_config_selectorIxxEEZZNS1_16scan_by_key_implILNS1_25lookback_scan_determinismE0ELb0ES3_N6thrust23THRUST_200600_302600_NS6detail15normal_iteratorINS9_10device_ptrIxEEEENS9_18transform_iteratorINS9_6negateIxEESE_NS9_11use_defaultESI_EESE_xNS9_4plusIvEENS9_8equal_toIvEExEE10hipError_tPvRmT2_T3_T4_T5_mT6_T7_P12ihipStream_tbENKUlT_T0_E_clISt17integral_constantIbLb0EES14_EEDaSZ_S10_EUlSZ_E_NS1_11comp_targetILNS1_3genE10ELNS1_11target_archE1200ELNS1_3gpuE4ELNS1_3repE0EEENS1_30default_config_static_selectorELNS0_4arch9wavefront6targetE0EEEvT1_,comdat
.Lfunc_end899:
	.size	_ZN7rocprim17ROCPRIM_400000_NS6detail17trampoline_kernelINS0_14default_configENS1_27scan_by_key_config_selectorIxxEEZZNS1_16scan_by_key_implILNS1_25lookback_scan_determinismE0ELb0ES3_N6thrust23THRUST_200600_302600_NS6detail15normal_iteratorINS9_10device_ptrIxEEEENS9_18transform_iteratorINS9_6negateIxEESE_NS9_11use_defaultESI_EESE_xNS9_4plusIvEENS9_8equal_toIvEExEE10hipError_tPvRmT2_T3_T4_T5_mT6_T7_P12ihipStream_tbENKUlT_T0_E_clISt17integral_constantIbLb0EES14_EEDaSZ_S10_EUlSZ_E_NS1_11comp_targetILNS1_3genE10ELNS1_11target_archE1200ELNS1_3gpuE4ELNS1_3repE0EEENS1_30default_config_static_selectorELNS0_4arch9wavefront6targetE0EEEvT1_, .Lfunc_end899-_ZN7rocprim17ROCPRIM_400000_NS6detail17trampoline_kernelINS0_14default_configENS1_27scan_by_key_config_selectorIxxEEZZNS1_16scan_by_key_implILNS1_25lookback_scan_determinismE0ELb0ES3_N6thrust23THRUST_200600_302600_NS6detail15normal_iteratorINS9_10device_ptrIxEEEENS9_18transform_iteratorINS9_6negateIxEESE_NS9_11use_defaultESI_EESE_xNS9_4plusIvEENS9_8equal_toIvEExEE10hipError_tPvRmT2_T3_T4_T5_mT6_T7_P12ihipStream_tbENKUlT_T0_E_clISt17integral_constantIbLb0EES14_EEDaSZ_S10_EUlSZ_E_NS1_11comp_targetILNS1_3genE10ELNS1_11target_archE1200ELNS1_3gpuE4ELNS1_3repE0EEENS1_30default_config_static_selectorELNS0_4arch9wavefront6targetE0EEEvT1_
                                        ; -- End function
	.set _ZN7rocprim17ROCPRIM_400000_NS6detail17trampoline_kernelINS0_14default_configENS1_27scan_by_key_config_selectorIxxEEZZNS1_16scan_by_key_implILNS1_25lookback_scan_determinismE0ELb0ES3_N6thrust23THRUST_200600_302600_NS6detail15normal_iteratorINS9_10device_ptrIxEEEENS9_18transform_iteratorINS9_6negateIxEESE_NS9_11use_defaultESI_EESE_xNS9_4plusIvEENS9_8equal_toIvEExEE10hipError_tPvRmT2_T3_T4_T5_mT6_T7_P12ihipStream_tbENKUlT_T0_E_clISt17integral_constantIbLb0EES14_EEDaSZ_S10_EUlSZ_E_NS1_11comp_targetILNS1_3genE10ELNS1_11target_archE1200ELNS1_3gpuE4ELNS1_3repE0EEENS1_30default_config_static_selectorELNS0_4arch9wavefront6targetE0EEEvT1_.num_vgpr, 0
	.set _ZN7rocprim17ROCPRIM_400000_NS6detail17trampoline_kernelINS0_14default_configENS1_27scan_by_key_config_selectorIxxEEZZNS1_16scan_by_key_implILNS1_25lookback_scan_determinismE0ELb0ES3_N6thrust23THRUST_200600_302600_NS6detail15normal_iteratorINS9_10device_ptrIxEEEENS9_18transform_iteratorINS9_6negateIxEESE_NS9_11use_defaultESI_EESE_xNS9_4plusIvEENS9_8equal_toIvEExEE10hipError_tPvRmT2_T3_T4_T5_mT6_T7_P12ihipStream_tbENKUlT_T0_E_clISt17integral_constantIbLb0EES14_EEDaSZ_S10_EUlSZ_E_NS1_11comp_targetILNS1_3genE10ELNS1_11target_archE1200ELNS1_3gpuE4ELNS1_3repE0EEENS1_30default_config_static_selectorELNS0_4arch9wavefront6targetE0EEEvT1_.num_agpr, 0
	.set _ZN7rocprim17ROCPRIM_400000_NS6detail17trampoline_kernelINS0_14default_configENS1_27scan_by_key_config_selectorIxxEEZZNS1_16scan_by_key_implILNS1_25lookback_scan_determinismE0ELb0ES3_N6thrust23THRUST_200600_302600_NS6detail15normal_iteratorINS9_10device_ptrIxEEEENS9_18transform_iteratorINS9_6negateIxEESE_NS9_11use_defaultESI_EESE_xNS9_4plusIvEENS9_8equal_toIvEExEE10hipError_tPvRmT2_T3_T4_T5_mT6_T7_P12ihipStream_tbENKUlT_T0_E_clISt17integral_constantIbLb0EES14_EEDaSZ_S10_EUlSZ_E_NS1_11comp_targetILNS1_3genE10ELNS1_11target_archE1200ELNS1_3gpuE4ELNS1_3repE0EEENS1_30default_config_static_selectorELNS0_4arch9wavefront6targetE0EEEvT1_.numbered_sgpr, 0
	.set _ZN7rocprim17ROCPRIM_400000_NS6detail17trampoline_kernelINS0_14default_configENS1_27scan_by_key_config_selectorIxxEEZZNS1_16scan_by_key_implILNS1_25lookback_scan_determinismE0ELb0ES3_N6thrust23THRUST_200600_302600_NS6detail15normal_iteratorINS9_10device_ptrIxEEEENS9_18transform_iteratorINS9_6negateIxEESE_NS9_11use_defaultESI_EESE_xNS9_4plusIvEENS9_8equal_toIvEExEE10hipError_tPvRmT2_T3_T4_T5_mT6_T7_P12ihipStream_tbENKUlT_T0_E_clISt17integral_constantIbLb0EES14_EEDaSZ_S10_EUlSZ_E_NS1_11comp_targetILNS1_3genE10ELNS1_11target_archE1200ELNS1_3gpuE4ELNS1_3repE0EEENS1_30default_config_static_selectorELNS0_4arch9wavefront6targetE0EEEvT1_.num_named_barrier, 0
	.set _ZN7rocprim17ROCPRIM_400000_NS6detail17trampoline_kernelINS0_14default_configENS1_27scan_by_key_config_selectorIxxEEZZNS1_16scan_by_key_implILNS1_25lookback_scan_determinismE0ELb0ES3_N6thrust23THRUST_200600_302600_NS6detail15normal_iteratorINS9_10device_ptrIxEEEENS9_18transform_iteratorINS9_6negateIxEESE_NS9_11use_defaultESI_EESE_xNS9_4plusIvEENS9_8equal_toIvEExEE10hipError_tPvRmT2_T3_T4_T5_mT6_T7_P12ihipStream_tbENKUlT_T0_E_clISt17integral_constantIbLb0EES14_EEDaSZ_S10_EUlSZ_E_NS1_11comp_targetILNS1_3genE10ELNS1_11target_archE1200ELNS1_3gpuE4ELNS1_3repE0EEENS1_30default_config_static_selectorELNS0_4arch9wavefront6targetE0EEEvT1_.private_seg_size, 0
	.set _ZN7rocprim17ROCPRIM_400000_NS6detail17trampoline_kernelINS0_14default_configENS1_27scan_by_key_config_selectorIxxEEZZNS1_16scan_by_key_implILNS1_25lookback_scan_determinismE0ELb0ES3_N6thrust23THRUST_200600_302600_NS6detail15normal_iteratorINS9_10device_ptrIxEEEENS9_18transform_iteratorINS9_6negateIxEESE_NS9_11use_defaultESI_EESE_xNS9_4plusIvEENS9_8equal_toIvEExEE10hipError_tPvRmT2_T3_T4_T5_mT6_T7_P12ihipStream_tbENKUlT_T0_E_clISt17integral_constantIbLb0EES14_EEDaSZ_S10_EUlSZ_E_NS1_11comp_targetILNS1_3genE10ELNS1_11target_archE1200ELNS1_3gpuE4ELNS1_3repE0EEENS1_30default_config_static_selectorELNS0_4arch9wavefront6targetE0EEEvT1_.uses_vcc, 0
	.set _ZN7rocprim17ROCPRIM_400000_NS6detail17trampoline_kernelINS0_14default_configENS1_27scan_by_key_config_selectorIxxEEZZNS1_16scan_by_key_implILNS1_25lookback_scan_determinismE0ELb0ES3_N6thrust23THRUST_200600_302600_NS6detail15normal_iteratorINS9_10device_ptrIxEEEENS9_18transform_iteratorINS9_6negateIxEESE_NS9_11use_defaultESI_EESE_xNS9_4plusIvEENS9_8equal_toIvEExEE10hipError_tPvRmT2_T3_T4_T5_mT6_T7_P12ihipStream_tbENKUlT_T0_E_clISt17integral_constantIbLb0EES14_EEDaSZ_S10_EUlSZ_E_NS1_11comp_targetILNS1_3genE10ELNS1_11target_archE1200ELNS1_3gpuE4ELNS1_3repE0EEENS1_30default_config_static_selectorELNS0_4arch9wavefront6targetE0EEEvT1_.uses_flat_scratch, 0
	.set _ZN7rocprim17ROCPRIM_400000_NS6detail17trampoline_kernelINS0_14default_configENS1_27scan_by_key_config_selectorIxxEEZZNS1_16scan_by_key_implILNS1_25lookback_scan_determinismE0ELb0ES3_N6thrust23THRUST_200600_302600_NS6detail15normal_iteratorINS9_10device_ptrIxEEEENS9_18transform_iteratorINS9_6negateIxEESE_NS9_11use_defaultESI_EESE_xNS9_4plusIvEENS9_8equal_toIvEExEE10hipError_tPvRmT2_T3_T4_T5_mT6_T7_P12ihipStream_tbENKUlT_T0_E_clISt17integral_constantIbLb0EES14_EEDaSZ_S10_EUlSZ_E_NS1_11comp_targetILNS1_3genE10ELNS1_11target_archE1200ELNS1_3gpuE4ELNS1_3repE0EEENS1_30default_config_static_selectorELNS0_4arch9wavefront6targetE0EEEvT1_.has_dyn_sized_stack, 0
	.set _ZN7rocprim17ROCPRIM_400000_NS6detail17trampoline_kernelINS0_14default_configENS1_27scan_by_key_config_selectorIxxEEZZNS1_16scan_by_key_implILNS1_25lookback_scan_determinismE0ELb0ES3_N6thrust23THRUST_200600_302600_NS6detail15normal_iteratorINS9_10device_ptrIxEEEENS9_18transform_iteratorINS9_6negateIxEESE_NS9_11use_defaultESI_EESE_xNS9_4plusIvEENS9_8equal_toIvEExEE10hipError_tPvRmT2_T3_T4_T5_mT6_T7_P12ihipStream_tbENKUlT_T0_E_clISt17integral_constantIbLb0EES14_EEDaSZ_S10_EUlSZ_E_NS1_11comp_targetILNS1_3genE10ELNS1_11target_archE1200ELNS1_3gpuE4ELNS1_3repE0EEENS1_30default_config_static_selectorELNS0_4arch9wavefront6targetE0EEEvT1_.has_recursion, 0
	.set _ZN7rocprim17ROCPRIM_400000_NS6detail17trampoline_kernelINS0_14default_configENS1_27scan_by_key_config_selectorIxxEEZZNS1_16scan_by_key_implILNS1_25lookback_scan_determinismE0ELb0ES3_N6thrust23THRUST_200600_302600_NS6detail15normal_iteratorINS9_10device_ptrIxEEEENS9_18transform_iteratorINS9_6negateIxEESE_NS9_11use_defaultESI_EESE_xNS9_4plusIvEENS9_8equal_toIvEExEE10hipError_tPvRmT2_T3_T4_T5_mT6_T7_P12ihipStream_tbENKUlT_T0_E_clISt17integral_constantIbLb0EES14_EEDaSZ_S10_EUlSZ_E_NS1_11comp_targetILNS1_3genE10ELNS1_11target_archE1200ELNS1_3gpuE4ELNS1_3repE0EEENS1_30default_config_static_selectorELNS0_4arch9wavefront6targetE0EEEvT1_.has_indirect_call, 0
	.section	.AMDGPU.csdata,"",@progbits
; Kernel info:
; codeLenInByte = 0
; TotalNumSgprs: 0
; NumVgprs: 0
; ScratchSize: 0
; MemoryBound: 0
; FloatMode: 240
; IeeeMode: 1
; LDSByteSize: 0 bytes/workgroup (compile time only)
; SGPRBlocks: 0
; VGPRBlocks: 0
; NumSGPRsForWavesPerEU: 1
; NumVGPRsForWavesPerEU: 1
; NamedBarCnt: 0
; Occupancy: 16
; WaveLimiterHint : 0
; COMPUTE_PGM_RSRC2:SCRATCH_EN: 0
; COMPUTE_PGM_RSRC2:USER_SGPR: 2
; COMPUTE_PGM_RSRC2:TRAP_HANDLER: 0
; COMPUTE_PGM_RSRC2:TGID_X_EN: 1
; COMPUTE_PGM_RSRC2:TGID_Y_EN: 0
; COMPUTE_PGM_RSRC2:TGID_Z_EN: 0
; COMPUTE_PGM_RSRC2:TIDIG_COMP_CNT: 0
	.section	.text._ZN7rocprim17ROCPRIM_400000_NS6detail17trampoline_kernelINS0_14default_configENS1_27scan_by_key_config_selectorIxxEEZZNS1_16scan_by_key_implILNS1_25lookback_scan_determinismE0ELb0ES3_N6thrust23THRUST_200600_302600_NS6detail15normal_iteratorINS9_10device_ptrIxEEEENS9_18transform_iteratorINS9_6negateIxEESE_NS9_11use_defaultESI_EESE_xNS9_4plusIvEENS9_8equal_toIvEExEE10hipError_tPvRmT2_T3_T4_T5_mT6_T7_P12ihipStream_tbENKUlT_T0_E_clISt17integral_constantIbLb0EES14_EEDaSZ_S10_EUlSZ_E_NS1_11comp_targetILNS1_3genE9ELNS1_11target_archE1100ELNS1_3gpuE3ELNS1_3repE0EEENS1_30default_config_static_selectorELNS0_4arch9wavefront6targetE0EEEvT1_,"axG",@progbits,_ZN7rocprim17ROCPRIM_400000_NS6detail17trampoline_kernelINS0_14default_configENS1_27scan_by_key_config_selectorIxxEEZZNS1_16scan_by_key_implILNS1_25lookback_scan_determinismE0ELb0ES3_N6thrust23THRUST_200600_302600_NS6detail15normal_iteratorINS9_10device_ptrIxEEEENS9_18transform_iteratorINS9_6negateIxEESE_NS9_11use_defaultESI_EESE_xNS9_4plusIvEENS9_8equal_toIvEExEE10hipError_tPvRmT2_T3_T4_T5_mT6_T7_P12ihipStream_tbENKUlT_T0_E_clISt17integral_constantIbLb0EES14_EEDaSZ_S10_EUlSZ_E_NS1_11comp_targetILNS1_3genE9ELNS1_11target_archE1100ELNS1_3gpuE3ELNS1_3repE0EEENS1_30default_config_static_selectorELNS0_4arch9wavefront6targetE0EEEvT1_,comdat
	.protected	_ZN7rocprim17ROCPRIM_400000_NS6detail17trampoline_kernelINS0_14default_configENS1_27scan_by_key_config_selectorIxxEEZZNS1_16scan_by_key_implILNS1_25lookback_scan_determinismE0ELb0ES3_N6thrust23THRUST_200600_302600_NS6detail15normal_iteratorINS9_10device_ptrIxEEEENS9_18transform_iteratorINS9_6negateIxEESE_NS9_11use_defaultESI_EESE_xNS9_4plusIvEENS9_8equal_toIvEExEE10hipError_tPvRmT2_T3_T4_T5_mT6_T7_P12ihipStream_tbENKUlT_T0_E_clISt17integral_constantIbLb0EES14_EEDaSZ_S10_EUlSZ_E_NS1_11comp_targetILNS1_3genE9ELNS1_11target_archE1100ELNS1_3gpuE3ELNS1_3repE0EEENS1_30default_config_static_selectorELNS0_4arch9wavefront6targetE0EEEvT1_ ; -- Begin function _ZN7rocprim17ROCPRIM_400000_NS6detail17trampoline_kernelINS0_14default_configENS1_27scan_by_key_config_selectorIxxEEZZNS1_16scan_by_key_implILNS1_25lookback_scan_determinismE0ELb0ES3_N6thrust23THRUST_200600_302600_NS6detail15normal_iteratorINS9_10device_ptrIxEEEENS9_18transform_iteratorINS9_6negateIxEESE_NS9_11use_defaultESI_EESE_xNS9_4plusIvEENS9_8equal_toIvEExEE10hipError_tPvRmT2_T3_T4_T5_mT6_T7_P12ihipStream_tbENKUlT_T0_E_clISt17integral_constantIbLb0EES14_EEDaSZ_S10_EUlSZ_E_NS1_11comp_targetILNS1_3genE9ELNS1_11target_archE1100ELNS1_3gpuE3ELNS1_3repE0EEENS1_30default_config_static_selectorELNS0_4arch9wavefront6targetE0EEEvT1_
	.globl	_ZN7rocprim17ROCPRIM_400000_NS6detail17trampoline_kernelINS0_14default_configENS1_27scan_by_key_config_selectorIxxEEZZNS1_16scan_by_key_implILNS1_25lookback_scan_determinismE0ELb0ES3_N6thrust23THRUST_200600_302600_NS6detail15normal_iteratorINS9_10device_ptrIxEEEENS9_18transform_iteratorINS9_6negateIxEESE_NS9_11use_defaultESI_EESE_xNS9_4plusIvEENS9_8equal_toIvEExEE10hipError_tPvRmT2_T3_T4_T5_mT6_T7_P12ihipStream_tbENKUlT_T0_E_clISt17integral_constantIbLb0EES14_EEDaSZ_S10_EUlSZ_E_NS1_11comp_targetILNS1_3genE9ELNS1_11target_archE1100ELNS1_3gpuE3ELNS1_3repE0EEENS1_30default_config_static_selectorELNS0_4arch9wavefront6targetE0EEEvT1_
	.p2align	8
	.type	_ZN7rocprim17ROCPRIM_400000_NS6detail17trampoline_kernelINS0_14default_configENS1_27scan_by_key_config_selectorIxxEEZZNS1_16scan_by_key_implILNS1_25lookback_scan_determinismE0ELb0ES3_N6thrust23THRUST_200600_302600_NS6detail15normal_iteratorINS9_10device_ptrIxEEEENS9_18transform_iteratorINS9_6negateIxEESE_NS9_11use_defaultESI_EESE_xNS9_4plusIvEENS9_8equal_toIvEExEE10hipError_tPvRmT2_T3_T4_T5_mT6_T7_P12ihipStream_tbENKUlT_T0_E_clISt17integral_constantIbLb0EES14_EEDaSZ_S10_EUlSZ_E_NS1_11comp_targetILNS1_3genE9ELNS1_11target_archE1100ELNS1_3gpuE3ELNS1_3repE0EEENS1_30default_config_static_selectorELNS0_4arch9wavefront6targetE0EEEvT1_,@function
_ZN7rocprim17ROCPRIM_400000_NS6detail17trampoline_kernelINS0_14default_configENS1_27scan_by_key_config_selectorIxxEEZZNS1_16scan_by_key_implILNS1_25lookback_scan_determinismE0ELb0ES3_N6thrust23THRUST_200600_302600_NS6detail15normal_iteratorINS9_10device_ptrIxEEEENS9_18transform_iteratorINS9_6negateIxEESE_NS9_11use_defaultESI_EESE_xNS9_4plusIvEENS9_8equal_toIvEExEE10hipError_tPvRmT2_T3_T4_T5_mT6_T7_P12ihipStream_tbENKUlT_T0_E_clISt17integral_constantIbLb0EES14_EEDaSZ_S10_EUlSZ_E_NS1_11comp_targetILNS1_3genE9ELNS1_11target_archE1100ELNS1_3gpuE3ELNS1_3repE0EEENS1_30default_config_static_selectorELNS0_4arch9wavefront6targetE0EEEvT1_: ; @_ZN7rocprim17ROCPRIM_400000_NS6detail17trampoline_kernelINS0_14default_configENS1_27scan_by_key_config_selectorIxxEEZZNS1_16scan_by_key_implILNS1_25lookback_scan_determinismE0ELb0ES3_N6thrust23THRUST_200600_302600_NS6detail15normal_iteratorINS9_10device_ptrIxEEEENS9_18transform_iteratorINS9_6negateIxEESE_NS9_11use_defaultESI_EESE_xNS9_4plusIvEENS9_8equal_toIvEExEE10hipError_tPvRmT2_T3_T4_T5_mT6_T7_P12ihipStream_tbENKUlT_T0_E_clISt17integral_constantIbLb0EES14_EEDaSZ_S10_EUlSZ_E_NS1_11comp_targetILNS1_3genE9ELNS1_11target_archE1100ELNS1_3gpuE3ELNS1_3repE0EEENS1_30default_config_static_selectorELNS0_4arch9wavefront6targetE0EEEvT1_
; %bb.0:
	.section	.rodata,"a",@progbits
	.p2align	6, 0x0
	.amdhsa_kernel _ZN7rocprim17ROCPRIM_400000_NS6detail17trampoline_kernelINS0_14default_configENS1_27scan_by_key_config_selectorIxxEEZZNS1_16scan_by_key_implILNS1_25lookback_scan_determinismE0ELb0ES3_N6thrust23THRUST_200600_302600_NS6detail15normal_iteratorINS9_10device_ptrIxEEEENS9_18transform_iteratorINS9_6negateIxEESE_NS9_11use_defaultESI_EESE_xNS9_4plusIvEENS9_8equal_toIvEExEE10hipError_tPvRmT2_T3_T4_T5_mT6_T7_P12ihipStream_tbENKUlT_T0_E_clISt17integral_constantIbLb0EES14_EEDaSZ_S10_EUlSZ_E_NS1_11comp_targetILNS1_3genE9ELNS1_11target_archE1100ELNS1_3gpuE3ELNS1_3repE0EEENS1_30default_config_static_selectorELNS0_4arch9wavefront6targetE0EEEvT1_
		.amdhsa_group_segment_fixed_size 0
		.amdhsa_private_segment_fixed_size 0
		.amdhsa_kernarg_size 144
		.amdhsa_user_sgpr_count 2
		.amdhsa_user_sgpr_dispatch_ptr 0
		.amdhsa_user_sgpr_queue_ptr 0
		.amdhsa_user_sgpr_kernarg_segment_ptr 1
		.amdhsa_user_sgpr_dispatch_id 0
		.amdhsa_user_sgpr_kernarg_preload_length 0
		.amdhsa_user_sgpr_kernarg_preload_offset 0
		.amdhsa_user_sgpr_private_segment_size 0
		.amdhsa_wavefront_size32 1
		.amdhsa_uses_dynamic_stack 0
		.amdhsa_enable_private_segment 0
		.amdhsa_system_sgpr_workgroup_id_x 1
		.amdhsa_system_sgpr_workgroup_id_y 0
		.amdhsa_system_sgpr_workgroup_id_z 0
		.amdhsa_system_sgpr_workgroup_info 0
		.amdhsa_system_vgpr_workitem_id 0
		.amdhsa_next_free_vgpr 1
		.amdhsa_next_free_sgpr 1
		.amdhsa_named_barrier_count 0
		.amdhsa_reserve_vcc 0
		.amdhsa_float_round_mode_32 0
		.amdhsa_float_round_mode_16_64 0
		.amdhsa_float_denorm_mode_32 3
		.amdhsa_float_denorm_mode_16_64 3
		.amdhsa_fp16_overflow 0
		.amdhsa_memory_ordered 1
		.amdhsa_forward_progress 1
		.amdhsa_inst_pref_size 0
		.amdhsa_round_robin_scheduling 0
		.amdhsa_exception_fp_ieee_invalid_op 0
		.amdhsa_exception_fp_denorm_src 0
		.amdhsa_exception_fp_ieee_div_zero 0
		.amdhsa_exception_fp_ieee_overflow 0
		.amdhsa_exception_fp_ieee_underflow 0
		.amdhsa_exception_fp_ieee_inexact 0
		.amdhsa_exception_int_div_zero 0
	.end_amdhsa_kernel
	.section	.text._ZN7rocprim17ROCPRIM_400000_NS6detail17trampoline_kernelINS0_14default_configENS1_27scan_by_key_config_selectorIxxEEZZNS1_16scan_by_key_implILNS1_25lookback_scan_determinismE0ELb0ES3_N6thrust23THRUST_200600_302600_NS6detail15normal_iteratorINS9_10device_ptrIxEEEENS9_18transform_iteratorINS9_6negateIxEESE_NS9_11use_defaultESI_EESE_xNS9_4plusIvEENS9_8equal_toIvEExEE10hipError_tPvRmT2_T3_T4_T5_mT6_T7_P12ihipStream_tbENKUlT_T0_E_clISt17integral_constantIbLb0EES14_EEDaSZ_S10_EUlSZ_E_NS1_11comp_targetILNS1_3genE9ELNS1_11target_archE1100ELNS1_3gpuE3ELNS1_3repE0EEENS1_30default_config_static_selectorELNS0_4arch9wavefront6targetE0EEEvT1_,"axG",@progbits,_ZN7rocprim17ROCPRIM_400000_NS6detail17trampoline_kernelINS0_14default_configENS1_27scan_by_key_config_selectorIxxEEZZNS1_16scan_by_key_implILNS1_25lookback_scan_determinismE0ELb0ES3_N6thrust23THRUST_200600_302600_NS6detail15normal_iteratorINS9_10device_ptrIxEEEENS9_18transform_iteratorINS9_6negateIxEESE_NS9_11use_defaultESI_EESE_xNS9_4plusIvEENS9_8equal_toIvEExEE10hipError_tPvRmT2_T3_T4_T5_mT6_T7_P12ihipStream_tbENKUlT_T0_E_clISt17integral_constantIbLb0EES14_EEDaSZ_S10_EUlSZ_E_NS1_11comp_targetILNS1_3genE9ELNS1_11target_archE1100ELNS1_3gpuE3ELNS1_3repE0EEENS1_30default_config_static_selectorELNS0_4arch9wavefront6targetE0EEEvT1_,comdat
.Lfunc_end900:
	.size	_ZN7rocprim17ROCPRIM_400000_NS6detail17trampoline_kernelINS0_14default_configENS1_27scan_by_key_config_selectorIxxEEZZNS1_16scan_by_key_implILNS1_25lookback_scan_determinismE0ELb0ES3_N6thrust23THRUST_200600_302600_NS6detail15normal_iteratorINS9_10device_ptrIxEEEENS9_18transform_iteratorINS9_6negateIxEESE_NS9_11use_defaultESI_EESE_xNS9_4plusIvEENS9_8equal_toIvEExEE10hipError_tPvRmT2_T3_T4_T5_mT6_T7_P12ihipStream_tbENKUlT_T0_E_clISt17integral_constantIbLb0EES14_EEDaSZ_S10_EUlSZ_E_NS1_11comp_targetILNS1_3genE9ELNS1_11target_archE1100ELNS1_3gpuE3ELNS1_3repE0EEENS1_30default_config_static_selectorELNS0_4arch9wavefront6targetE0EEEvT1_, .Lfunc_end900-_ZN7rocprim17ROCPRIM_400000_NS6detail17trampoline_kernelINS0_14default_configENS1_27scan_by_key_config_selectorIxxEEZZNS1_16scan_by_key_implILNS1_25lookback_scan_determinismE0ELb0ES3_N6thrust23THRUST_200600_302600_NS6detail15normal_iteratorINS9_10device_ptrIxEEEENS9_18transform_iteratorINS9_6negateIxEESE_NS9_11use_defaultESI_EESE_xNS9_4plusIvEENS9_8equal_toIvEExEE10hipError_tPvRmT2_T3_T4_T5_mT6_T7_P12ihipStream_tbENKUlT_T0_E_clISt17integral_constantIbLb0EES14_EEDaSZ_S10_EUlSZ_E_NS1_11comp_targetILNS1_3genE9ELNS1_11target_archE1100ELNS1_3gpuE3ELNS1_3repE0EEENS1_30default_config_static_selectorELNS0_4arch9wavefront6targetE0EEEvT1_
                                        ; -- End function
	.set _ZN7rocprim17ROCPRIM_400000_NS6detail17trampoline_kernelINS0_14default_configENS1_27scan_by_key_config_selectorIxxEEZZNS1_16scan_by_key_implILNS1_25lookback_scan_determinismE0ELb0ES3_N6thrust23THRUST_200600_302600_NS6detail15normal_iteratorINS9_10device_ptrIxEEEENS9_18transform_iteratorINS9_6negateIxEESE_NS9_11use_defaultESI_EESE_xNS9_4plusIvEENS9_8equal_toIvEExEE10hipError_tPvRmT2_T3_T4_T5_mT6_T7_P12ihipStream_tbENKUlT_T0_E_clISt17integral_constantIbLb0EES14_EEDaSZ_S10_EUlSZ_E_NS1_11comp_targetILNS1_3genE9ELNS1_11target_archE1100ELNS1_3gpuE3ELNS1_3repE0EEENS1_30default_config_static_selectorELNS0_4arch9wavefront6targetE0EEEvT1_.num_vgpr, 0
	.set _ZN7rocprim17ROCPRIM_400000_NS6detail17trampoline_kernelINS0_14default_configENS1_27scan_by_key_config_selectorIxxEEZZNS1_16scan_by_key_implILNS1_25lookback_scan_determinismE0ELb0ES3_N6thrust23THRUST_200600_302600_NS6detail15normal_iteratorINS9_10device_ptrIxEEEENS9_18transform_iteratorINS9_6negateIxEESE_NS9_11use_defaultESI_EESE_xNS9_4plusIvEENS9_8equal_toIvEExEE10hipError_tPvRmT2_T3_T4_T5_mT6_T7_P12ihipStream_tbENKUlT_T0_E_clISt17integral_constantIbLb0EES14_EEDaSZ_S10_EUlSZ_E_NS1_11comp_targetILNS1_3genE9ELNS1_11target_archE1100ELNS1_3gpuE3ELNS1_3repE0EEENS1_30default_config_static_selectorELNS0_4arch9wavefront6targetE0EEEvT1_.num_agpr, 0
	.set _ZN7rocprim17ROCPRIM_400000_NS6detail17trampoline_kernelINS0_14default_configENS1_27scan_by_key_config_selectorIxxEEZZNS1_16scan_by_key_implILNS1_25lookback_scan_determinismE0ELb0ES3_N6thrust23THRUST_200600_302600_NS6detail15normal_iteratorINS9_10device_ptrIxEEEENS9_18transform_iteratorINS9_6negateIxEESE_NS9_11use_defaultESI_EESE_xNS9_4plusIvEENS9_8equal_toIvEExEE10hipError_tPvRmT2_T3_T4_T5_mT6_T7_P12ihipStream_tbENKUlT_T0_E_clISt17integral_constantIbLb0EES14_EEDaSZ_S10_EUlSZ_E_NS1_11comp_targetILNS1_3genE9ELNS1_11target_archE1100ELNS1_3gpuE3ELNS1_3repE0EEENS1_30default_config_static_selectorELNS0_4arch9wavefront6targetE0EEEvT1_.numbered_sgpr, 0
	.set _ZN7rocprim17ROCPRIM_400000_NS6detail17trampoline_kernelINS0_14default_configENS1_27scan_by_key_config_selectorIxxEEZZNS1_16scan_by_key_implILNS1_25lookback_scan_determinismE0ELb0ES3_N6thrust23THRUST_200600_302600_NS6detail15normal_iteratorINS9_10device_ptrIxEEEENS9_18transform_iteratorINS9_6negateIxEESE_NS9_11use_defaultESI_EESE_xNS9_4plusIvEENS9_8equal_toIvEExEE10hipError_tPvRmT2_T3_T4_T5_mT6_T7_P12ihipStream_tbENKUlT_T0_E_clISt17integral_constantIbLb0EES14_EEDaSZ_S10_EUlSZ_E_NS1_11comp_targetILNS1_3genE9ELNS1_11target_archE1100ELNS1_3gpuE3ELNS1_3repE0EEENS1_30default_config_static_selectorELNS0_4arch9wavefront6targetE0EEEvT1_.num_named_barrier, 0
	.set _ZN7rocprim17ROCPRIM_400000_NS6detail17trampoline_kernelINS0_14default_configENS1_27scan_by_key_config_selectorIxxEEZZNS1_16scan_by_key_implILNS1_25lookback_scan_determinismE0ELb0ES3_N6thrust23THRUST_200600_302600_NS6detail15normal_iteratorINS9_10device_ptrIxEEEENS9_18transform_iteratorINS9_6negateIxEESE_NS9_11use_defaultESI_EESE_xNS9_4plusIvEENS9_8equal_toIvEExEE10hipError_tPvRmT2_T3_T4_T5_mT6_T7_P12ihipStream_tbENKUlT_T0_E_clISt17integral_constantIbLb0EES14_EEDaSZ_S10_EUlSZ_E_NS1_11comp_targetILNS1_3genE9ELNS1_11target_archE1100ELNS1_3gpuE3ELNS1_3repE0EEENS1_30default_config_static_selectorELNS0_4arch9wavefront6targetE0EEEvT1_.private_seg_size, 0
	.set _ZN7rocprim17ROCPRIM_400000_NS6detail17trampoline_kernelINS0_14default_configENS1_27scan_by_key_config_selectorIxxEEZZNS1_16scan_by_key_implILNS1_25lookback_scan_determinismE0ELb0ES3_N6thrust23THRUST_200600_302600_NS6detail15normal_iteratorINS9_10device_ptrIxEEEENS9_18transform_iteratorINS9_6negateIxEESE_NS9_11use_defaultESI_EESE_xNS9_4plusIvEENS9_8equal_toIvEExEE10hipError_tPvRmT2_T3_T4_T5_mT6_T7_P12ihipStream_tbENKUlT_T0_E_clISt17integral_constantIbLb0EES14_EEDaSZ_S10_EUlSZ_E_NS1_11comp_targetILNS1_3genE9ELNS1_11target_archE1100ELNS1_3gpuE3ELNS1_3repE0EEENS1_30default_config_static_selectorELNS0_4arch9wavefront6targetE0EEEvT1_.uses_vcc, 0
	.set _ZN7rocprim17ROCPRIM_400000_NS6detail17trampoline_kernelINS0_14default_configENS1_27scan_by_key_config_selectorIxxEEZZNS1_16scan_by_key_implILNS1_25lookback_scan_determinismE0ELb0ES3_N6thrust23THRUST_200600_302600_NS6detail15normal_iteratorINS9_10device_ptrIxEEEENS9_18transform_iteratorINS9_6negateIxEESE_NS9_11use_defaultESI_EESE_xNS9_4plusIvEENS9_8equal_toIvEExEE10hipError_tPvRmT2_T3_T4_T5_mT6_T7_P12ihipStream_tbENKUlT_T0_E_clISt17integral_constantIbLb0EES14_EEDaSZ_S10_EUlSZ_E_NS1_11comp_targetILNS1_3genE9ELNS1_11target_archE1100ELNS1_3gpuE3ELNS1_3repE0EEENS1_30default_config_static_selectorELNS0_4arch9wavefront6targetE0EEEvT1_.uses_flat_scratch, 0
	.set _ZN7rocprim17ROCPRIM_400000_NS6detail17trampoline_kernelINS0_14default_configENS1_27scan_by_key_config_selectorIxxEEZZNS1_16scan_by_key_implILNS1_25lookback_scan_determinismE0ELb0ES3_N6thrust23THRUST_200600_302600_NS6detail15normal_iteratorINS9_10device_ptrIxEEEENS9_18transform_iteratorINS9_6negateIxEESE_NS9_11use_defaultESI_EESE_xNS9_4plusIvEENS9_8equal_toIvEExEE10hipError_tPvRmT2_T3_T4_T5_mT6_T7_P12ihipStream_tbENKUlT_T0_E_clISt17integral_constantIbLb0EES14_EEDaSZ_S10_EUlSZ_E_NS1_11comp_targetILNS1_3genE9ELNS1_11target_archE1100ELNS1_3gpuE3ELNS1_3repE0EEENS1_30default_config_static_selectorELNS0_4arch9wavefront6targetE0EEEvT1_.has_dyn_sized_stack, 0
	.set _ZN7rocprim17ROCPRIM_400000_NS6detail17trampoline_kernelINS0_14default_configENS1_27scan_by_key_config_selectorIxxEEZZNS1_16scan_by_key_implILNS1_25lookback_scan_determinismE0ELb0ES3_N6thrust23THRUST_200600_302600_NS6detail15normal_iteratorINS9_10device_ptrIxEEEENS9_18transform_iteratorINS9_6negateIxEESE_NS9_11use_defaultESI_EESE_xNS9_4plusIvEENS9_8equal_toIvEExEE10hipError_tPvRmT2_T3_T4_T5_mT6_T7_P12ihipStream_tbENKUlT_T0_E_clISt17integral_constantIbLb0EES14_EEDaSZ_S10_EUlSZ_E_NS1_11comp_targetILNS1_3genE9ELNS1_11target_archE1100ELNS1_3gpuE3ELNS1_3repE0EEENS1_30default_config_static_selectorELNS0_4arch9wavefront6targetE0EEEvT1_.has_recursion, 0
	.set _ZN7rocprim17ROCPRIM_400000_NS6detail17trampoline_kernelINS0_14default_configENS1_27scan_by_key_config_selectorIxxEEZZNS1_16scan_by_key_implILNS1_25lookback_scan_determinismE0ELb0ES3_N6thrust23THRUST_200600_302600_NS6detail15normal_iteratorINS9_10device_ptrIxEEEENS9_18transform_iteratorINS9_6negateIxEESE_NS9_11use_defaultESI_EESE_xNS9_4plusIvEENS9_8equal_toIvEExEE10hipError_tPvRmT2_T3_T4_T5_mT6_T7_P12ihipStream_tbENKUlT_T0_E_clISt17integral_constantIbLb0EES14_EEDaSZ_S10_EUlSZ_E_NS1_11comp_targetILNS1_3genE9ELNS1_11target_archE1100ELNS1_3gpuE3ELNS1_3repE0EEENS1_30default_config_static_selectorELNS0_4arch9wavefront6targetE0EEEvT1_.has_indirect_call, 0
	.section	.AMDGPU.csdata,"",@progbits
; Kernel info:
; codeLenInByte = 0
; TotalNumSgprs: 0
; NumVgprs: 0
; ScratchSize: 0
; MemoryBound: 0
; FloatMode: 240
; IeeeMode: 1
; LDSByteSize: 0 bytes/workgroup (compile time only)
; SGPRBlocks: 0
; VGPRBlocks: 0
; NumSGPRsForWavesPerEU: 1
; NumVGPRsForWavesPerEU: 1
; NamedBarCnt: 0
; Occupancy: 16
; WaveLimiterHint : 0
; COMPUTE_PGM_RSRC2:SCRATCH_EN: 0
; COMPUTE_PGM_RSRC2:USER_SGPR: 2
; COMPUTE_PGM_RSRC2:TRAP_HANDLER: 0
; COMPUTE_PGM_RSRC2:TGID_X_EN: 1
; COMPUTE_PGM_RSRC2:TGID_Y_EN: 0
; COMPUTE_PGM_RSRC2:TGID_Z_EN: 0
; COMPUTE_PGM_RSRC2:TIDIG_COMP_CNT: 0
	.section	.text._ZN7rocprim17ROCPRIM_400000_NS6detail17trampoline_kernelINS0_14default_configENS1_27scan_by_key_config_selectorIxxEEZZNS1_16scan_by_key_implILNS1_25lookback_scan_determinismE0ELb0ES3_N6thrust23THRUST_200600_302600_NS6detail15normal_iteratorINS9_10device_ptrIxEEEENS9_18transform_iteratorINS9_6negateIxEESE_NS9_11use_defaultESI_EESE_xNS9_4plusIvEENS9_8equal_toIvEExEE10hipError_tPvRmT2_T3_T4_T5_mT6_T7_P12ihipStream_tbENKUlT_T0_E_clISt17integral_constantIbLb0EES14_EEDaSZ_S10_EUlSZ_E_NS1_11comp_targetILNS1_3genE8ELNS1_11target_archE1030ELNS1_3gpuE2ELNS1_3repE0EEENS1_30default_config_static_selectorELNS0_4arch9wavefront6targetE0EEEvT1_,"axG",@progbits,_ZN7rocprim17ROCPRIM_400000_NS6detail17trampoline_kernelINS0_14default_configENS1_27scan_by_key_config_selectorIxxEEZZNS1_16scan_by_key_implILNS1_25lookback_scan_determinismE0ELb0ES3_N6thrust23THRUST_200600_302600_NS6detail15normal_iteratorINS9_10device_ptrIxEEEENS9_18transform_iteratorINS9_6negateIxEESE_NS9_11use_defaultESI_EESE_xNS9_4plusIvEENS9_8equal_toIvEExEE10hipError_tPvRmT2_T3_T4_T5_mT6_T7_P12ihipStream_tbENKUlT_T0_E_clISt17integral_constantIbLb0EES14_EEDaSZ_S10_EUlSZ_E_NS1_11comp_targetILNS1_3genE8ELNS1_11target_archE1030ELNS1_3gpuE2ELNS1_3repE0EEENS1_30default_config_static_selectorELNS0_4arch9wavefront6targetE0EEEvT1_,comdat
	.protected	_ZN7rocprim17ROCPRIM_400000_NS6detail17trampoline_kernelINS0_14default_configENS1_27scan_by_key_config_selectorIxxEEZZNS1_16scan_by_key_implILNS1_25lookback_scan_determinismE0ELb0ES3_N6thrust23THRUST_200600_302600_NS6detail15normal_iteratorINS9_10device_ptrIxEEEENS9_18transform_iteratorINS9_6negateIxEESE_NS9_11use_defaultESI_EESE_xNS9_4plusIvEENS9_8equal_toIvEExEE10hipError_tPvRmT2_T3_T4_T5_mT6_T7_P12ihipStream_tbENKUlT_T0_E_clISt17integral_constantIbLb0EES14_EEDaSZ_S10_EUlSZ_E_NS1_11comp_targetILNS1_3genE8ELNS1_11target_archE1030ELNS1_3gpuE2ELNS1_3repE0EEENS1_30default_config_static_selectorELNS0_4arch9wavefront6targetE0EEEvT1_ ; -- Begin function _ZN7rocprim17ROCPRIM_400000_NS6detail17trampoline_kernelINS0_14default_configENS1_27scan_by_key_config_selectorIxxEEZZNS1_16scan_by_key_implILNS1_25lookback_scan_determinismE0ELb0ES3_N6thrust23THRUST_200600_302600_NS6detail15normal_iteratorINS9_10device_ptrIxEEEENS9_18transform_iteratorINS9_6negateIxEESE_NS9_11use_defaultESI_EESE_xNS9_4plusIvEENS9_8equal_toIvEExEE10hipError_tPvRmT2_T3_T4_T5_mT6_T7_P12ihipStream_tbENKUlT_T0_E_clISt17integral_constantIbLb0EES14_EEDaSZ_S10_EUlSZ_E_NS1_11comp_targetILNS1_3genE8ELNS1_11target_archE1030ELNS1_3gpuE2ELNS1_3repE0EEENS1_30default_config_static_selectorELNS0_4arch9wavefront6targetE0EEEvT1_
	.globl	_ZN7rocprim17ROCPRIM_400000_NS6detail17trampoline_kernelINS0_14default_configENS1_27scan_by_key_config_selectorIxxEEZZNS1_16scan_by_key_implILNS1_25lookback_scan_determinismE0ELb0ES3_N6thrust23THRUST_200600_302600_NS6detail15normal_iteratorINS9_10device_ptrIxEEEENS9_18transform_iteratorINS9_6negateIxEESE_NS9_11use_defaultESI_EESE_xNS9_4plusIvEENS9_8equal_toIvEExEE10hipError_tPvRmT2_T3_T4_T5_mT6_T7_P12ihipStream_tbENKUlT_T0_E_clISt17integral_constantIbLb0EES14_EEDaSZ_S10_EUlSZ_E_NS1_11comp_targetILNS1_3genE8ELNS1_11target_archE1030ELNS1_3gpuE2ELNS1_3repE0EEENS1_30default_config_static_selectorELNS0_4arch9wavefront6targetE0EEEvT1_
	.p2align	8
	.type	_ZN7rocprim17ROCPRIM_400000_NS6detail17trampoline_kernelINS0_14default_configENS1_27scan_by_key_config_selectorIxxEEZZNS1_16scan_by_key_implILNS1_25lookback_scan_determinismE0ELb0ES3_N6thrust23THRUST_200600_302600_NS6detail15normal_iteratorINS9_10device_ptrIxEEEENS9_18transform_iteratorINS9_6negateIxEESE_NS9_11use_defaultESI_EESE_xNS9_4plusIvEENS9_8equal_toIvEExEE10hipError_tPvRmT2_T3_T4_T5_mT6_T7_P12ihipStream_tbENKUlT_T0_E_clISt17integral_constantIbLb0EES14_EEDaSZ_S10_EUlSZ_E_NS1_11comp_targetILNS1_3genE8ELNS1_11target_archE1030ELNS1_3gpuE2ELNS1_3repE0EEENS1_30default_config_static_selectorELNS0_4arch9wavefront6targetE0EEEvT1_,@function
_ZN7rocprim17ROCPRIM_400000_NS6detail17trampoline_kernelINS0_14default_configENS1_27scan_by_key_config_selectorIxxEEZZNS1_16scan_by_key_implILNS1_25lookback_scan_determinismE0ELb0ES3_N6thrust23THRUST_200600_302600_NS6detail15normal_iteratorINS9_10device_ptrIxEEEENS9_18transform_iteratorINS9_6negateIxEESE_NS9_11use_defaultESI_EESE_xNS9_4plusIvEENS9_8equal_toIvEExEE10hipError_tPvRmT2_T3_T4_T5_mT6_T7_P12ihipStream_tbENKUlT_T0_E_clISt17integral_constantIbLb0EES14_EEDaSZ_S10_EUlSZ_E_NS1_11comp_targetILNS1_3genE8ELNS1_11target_archE1030ELNS1_3gpuE2ELNS1_3repE0EEENS1_30default_config_static_selectorELNS0_4arch9wavefront6targetE0EEEvT1_: ; @_ZN7rocprim17ROCPRIM_400000_NS6detail17trampoline_kernelINS0_14default_configENS1_27scan_by_key_config_selectorIxxEEZZNS1_16scan_by_key_implILNS1_25lookback_scan_determinismE0ELb0ES3_N6thrust23THRUST_200600_302600_NS6detail15normal_iteratorINS9_10device_ptrIxEEEENS9_18transform_iteratorINS9_6negateIxEESE_NS9_11use_defaultESI_EESE_xNS9_4plusIvEENS9_8equal_toIvEExEE10hipError_tPvRmT2_T3_T4_T5_mT6_T7_P12ihipStream_tbENKUlT_T0_E_clISt17integral_constantIbLb0EES14_EEDaSZ_S10_EUlSZ_E_NS1_11comp_targetILNS1_3genE8ELNS1_11target_archE1030ELNS1_3gpuE2ELNS1_3repE0EEENS1_30default_config_static_selectorELNS0_4arch9wavefront6targetE0EEEvT1_
; %bb.0:
	.section	.rodata,"a",@progbits
	.p2align	6, 0x0
	.amdhsa_kernel _ZN7rocprim17ROCPRIM_400000_NS6detail17trampoline_kernelINS0_14default_configENS1_27scan_by_key_config_selectorIxxEEZZNS1_16scan_by_key_implILNS1_25lookback_scan_determinismE0ELb0ES3_N6thrust23THRUST_200600_302600_NS6detail15normal_iteratorINS9_10device_ptrIxEEEENS9_18transform_iteratorINS9_6negateIxEESE_NS9_11use_defaultESI_EESE_xNS9_4plusIvEENS9_8equal_toIvEExEE10hipError_tPvRmT2_T3_T4_T5_mT6_T7_P12ihipStream_tbENKUlT_T0_E_clISt17integral_constantIbLb0EES14_EEDaSZ_S10_EUlSZ_E_NS1_11comp_targetILNS1_3genE8ELNS1_11target_archE1030ELNS1_3gpuE2ELNS1_3repE0EEENS1_30default_config_static_selectorELNS0_4arch9wavefront6targetE0EEEvT1_
		.amdhsa_group_segment_fixed_size 0
		.amdhsa_private_segment_fixed_size 0
		.amdhsa_kernarg_size 144
		.amdhsa_user_sgpr_count 2
		.amdhsa_user_sgpr_dispatch_ptr 0
		.amdhsa_user_sgpr_queue_ptr 0
		.amdhsa_user_sgpr_kernarg_segment_ptr 1
		.amdhsa_user_sgpr_dispatch_id 0
		.amdhsa_user_sgpr_kernarg_preload_length 0
		.amdhsa_user_sgpr_kernarg_preload_offset 0
		.amdhsa_user_sgpr_private_segment_size 0
		.amdhsa_wavefront_size32 1
		.amdhsa_uses_dynamic_stack 0
		.amdhsa_enable_private_segment 0
		.amdhsa_system_sgpr_workgroup_id_x 1
		.amdhsa_system_sgpr_workgroup_id_y 0
		.amdhsa_system_sgpr_workgroup_id_z 0
		.amdhsa_system_sgpr_workgroup_info 0
		.amdhsa_system_vgpr_workitem_id 0
		.amdhsa_next_free_vgpr 1
		.amdhsa_next_free_sgpr 1
		.amdhsa_named_barrier_count 0
		.amdhsa_reserve_vcc 0
		.amdhsa_float_round_mode_32 0
		.amdhsa_float_round_mode_16_64 0
		.amdhsa_float_denorm_mode_32 3
		.amdhsa_float_denorm_mode_16_64 3
		.amdhsa_fp16_overflow 0
		.amdhsa_memory_ordered 1
		.amdhsa_forward_progress 1
		.amdhsa_inst_pref_size 0
		.amdhsa_round_robin_scheduling 0
		.amdhsa_exception_fp_ieee_invalid_op 0
		.amdhsa_exception_fp_denorm_src 0
		.amdhsa_exception_fp_ieee_div_zero 0
		.amdhsa_exception_fp_ieee_overflow 0
		.amdhsa_exception_fp_ieee_underflow 0
		.amdhsa_exception_fp_ieee_inexact 0
		.amdhsa_exception_int_div_zero 0
	.end_amdhsa_kernel
	.section	.text._ZN7rocprim17ROCPRIM_400000_NS6detail17trampoline_kernelINS0_14default_configENS1_27scan_by_key_config_selectorIxxEEZZNS1_16scan_by_key_implILNS1_25lookback_scan_determinismE0ELb0ES3_N6thrust23THRUST_200600_302600_NS6detail15normal_iteratorINS9_10device_ptrIxEEEENS9_18transform_iteratorINS9_6negateIxEESE_NS9_11use_defaultESI_EESE_xNS9_4plusIvEENS9_8equal_toIvEExEE10hipError_tPvRmT2_T3_T4_T5_mT6_T7_P12ihipStream_tbENKUlT_T0_E_clISt17integral_constantIbLb0EES14_EEDaSZ_S10_EUlSZ_E_NS1_11comp_targetILNS1_3genE8ELNS1_11target_archE1030ELNS1_3gpuE2ELNS1_3repE0EEENS1_30default_config_static_selectorELNS0_4arch9wavefront6targetE0EEEvT1_,"axG",@progbits,_ZN7rocprim17ROCPRIM_400000_NS6detail17trampoline_kernelINS0_14default_configENS1_27scan_by_key_config_selectorIxxEEZZNS1_16scan_by_key_implILNS1_25lookback_scan_determinismE0ELb0ES3_N6thrust23THRUST_200600_302600_NS6detail15normal_iteratorINS9_10device_ptrIxEEEENS9_18transform_iteratorINS9_6negateIxEESE_NS9_11use_defaultESI_EESE_xNS9_4plusIvEENS9_8equal_toIvEExEE10hipError_tPvRmT2_T3_T4_T5_mT6_T7_P12ihipStream_tbENKUlT_T0_E_clISt17integral_constantIbLb0EES14_EEDaSZ_S10_EUlSZ_E_NS1_11comp_targetILNS1_3genE8ELNS1_11target_archE1030ELNS1_3gpuE2ELNS1_3repE0EEENS1_30default_config_static_selectorELNS0_4arch9wavefront6targetE0EEEvT1_,comdat
.Lfunc_end901:
	.size	_ZN7rocprim17ROCPRIM_400000_NS6detail17trampoline_kernelINS0_14default_configENS1_27scan_by_key_config_selectorIxxEEZZNS1_16scan_by_key_implILNS1_25lookback_scan_determinismE0ELb0ES3_N6thrust23THRUST_200600_302600_NS6detail15normal_iteratorINS9_10device_ptrIxEEEENS9_18transform_iteratorINS9_6negateIxEESE_NS9_11use_defaultESI_EESE_xNS9_4plusIvEENS9_8equal_toIvEExEE10hipError_tPvRmT2_T3_T4_T5_mT6_T7_P12ihipStream_tbENKUlT_T0_E_clISt17integral_constantIbLb0EES14_EEDaSZ_S10_EUlSZ_E_NS1_11comp_targetILNS1_3genE8ELNS1_11target_archE1030ELNS1_3gpuE2ELNS1_3repE0EEENS1_30default_config_static_selectorELNS0_4arch9wavefront6targetE0EEEvT1_, .Lfunc_end901-_ZN7rocprim17ROCPRIM_400000_NS6detail17trampoline_kernelINS0_14default_configENS1_27scan_by_key_config_selectorIxxEEZZNS1_16scan_by_key_implILNS1_25lookback_scan_determinismE0ELb0ES3_N6thrust23THRUST_200600_302600_NS6detail15normal_iteratorINS9_10device_ptrIxEEEENS9_18transform_iteratorINS9_6negateIxEESE_NS9_11use_defaultESI_EESE_xNS9_4plusIvEENS9_8equal_toIvEExEE10hipError_tPvRmT2_T3_T4_T5_mT6_T7_P12ihipStream_tbENKUlT_T0_E_clISt17integral_constantIbLb0EES14_EEDaSZ_S10_EUlSZ_E_NS1_11comp_targetILNS1_3genE8ELNS1_11target_archE1030ELNS1_3gpuE2ELNS1_3repE0EEENS1_30default_config_static_selectorELNS0_4arch9wavefront6targetE0EEEvT1_
                                        ; -- End function
	.set _ZN7rocprim17ROCPRIM_400000_NS6detail17trampoline_kernelINS0_14default_configENS1_27scan_by_key_config_selectorIxxEEZZNS1_16scan_by_key_implILNS1_25lookback_scan_determinismE0ELb0ES3_N6thrust23THRUST_200600_302600_NS6detail15normal_iteratorINS9_10device_ptrIxEEEENS9_18transform_iteratorINS9_6negateIxEESE_NS9_11use_defaultESI_EESE_xNS9_4plusIvEENS9_8equal_toIvEExEE10hipError_tPvRmT2_T3_T4_T5_mT6_T7_P12ihipStream_tbENKUlT_T0_E_clISt17integral_constantIbLb0EES14_EEDaSZ_S10_EUlSZ_E_NS1_11comp_targetILNS1_3genE8ELNS1_11target_archE1030ELNS1_3gpuE2ELNS1_3repE0EEENS1_30default_config_static_selectorELNS0_4arch9wavefront6targetE0EEEvT1_.num_vgpr, 0
	.set _ZN7rocprim17ROCPRIM_400000_NS6detail17trampoline_kernelINS0_14default_configENS1_27scan_by_key_config_selectorIxxEEZZNS1_16scan_by_key_implILNS1_25lookback_scan_determinismE0ELb0ES3_N6thrust23THRUST_200600_302600_NS6detail15normal_iteratorINS9_10device_ptrIxEEEENS9_18transform_iteratorINS9_6negateIxEESE_NS9_11use_defaultESI_EESE_xNS9_4plusIvEENS9_8equal_toIvEExEE10hipError_tPvRmT2_T3_T4_T5_mT6_T7_P12ihipStream_tbENKUlT_T0_E_clISt17integral_constantIbLb0EES14_EEDaSZ_S10_EUlSZ_E_NS1_11comp_targetILNS1_3genE8ELNS1_11target_archE1030ELNS1_3gpuE2ELNS1_3repE0EEENS1_30default_config_static_selectorELNS0_4arch9wavefront6targetE0EEEvT1_.num_agpr, 0
	.set _ZN7rocprim17ROCPRIM_400000_NS6detail17trampoline_kernelINS0_14default_configENS1_27scan_by_key_config_selectorIxxEEZZNS1_16scan_by_key_implILNS1_25lookback_scan_determinismE0ELb0ES3_N6thrust23THRUST_200600_302600_NS6detail15normal_iteratorINS9_10device_ptrIxEEEENS9_18transform_iteratorINS9_6negateIxEESE_NS9_11use_defaultESI_EESE_xNS9_4plusIvEENS9_8equal_toIvEExEE10hipError_tPvRmT2_T3_T4_T5_mT6_T7_P12ihipStream_tbENKUlT_T0_E_clISt17integral_constantIbLb0EES14_EEDaSZ_S10_EUlSZ_E_NS1_11comp_targetILNS1_3genE8ELNS1_11target_archE1030ELNS1_3gpuE2ELNS1_3repE0EEENS1_30default_config_static_selectorELNS0_4arch9wavefront6targetE0EEEvT1_.numbered_sgpr, 0
	.set _ZN7rocprim17ROCPRIM_400000_NS6detail17trampoline_kernelINS0_14default_configENS1_27scan_by_key_config_selectorIxxEEZZNS1_16scan_by_key_implILNS1_25lookback_scan_determinismE0ELb0ES3_N6thrust23THRUST_200600_302600_NS6detail15normal_iteratorINS9_10device_ptrIxEEEENS9_18transform_iteratorINS9_6negateIxEESE_NS9_11use_defaultESI_EESE_xNS9_4plusIvEENS9_8equal_toIvEExEE10hipError_tPvRmT2_T3_T4_T5_mT6_T7_P12ihipStream_tbENKUlT_T0_E_clISt17integral_constantIbLb0EES14_EEDaSZ_S10_EUlSZ_E_NS1_11comp_targetILNS1_3genE8ELNS1_11target_archE1030ELNS1_3gpuE2ELNS1_3repE0EEENS1_30default_config_static_selectorELNS0_4arch9wavefront6targetE0EEEvT1_.num_named_barrier, 0
	.set _ZN7rocprim17ROCPRIM_400000_NS6detail17trampoline_kernelINS0_14default_configENS1_27scan_by_key_config_selectorIxxEEZZNS1_16scan_by_key_implILNS1_25lookback_scan_determinismE0ELb0ES3_N6thrust23THRUST_200600_302600_NS6detail15normal_iteratorINS9_10device_ptrIxEEEENS9_18transform_iteratorINS9_6negateIxEESE_NS9_11use_defaultESI_EESE_xNS9_4plusIvEENS9_8equal_toIvEExEE10hipError_tPvRmT2_T3_T4_T5_mT6_T7_P12ihipStream_tbENKUlT_T0_E_clISt17integral_constantIbLb0EES14_EEDaSZ_S10_EUlSZ_E_NS1_11comp_targetILNS1_3genE8ELNS1_11target_archE1030ELNS1_3gpuE2ELNS1_3repE0EEENS1_30default_config_static_selectorELNS0_4arch9wavefront6targetE0EEEvT1_.private_seg_size, 0
	.set _ZN7rocprim17ROCPRIM_400000_NS6detail17trampoline_kernelINS0_14default_configENS1_27scan_by_key_config_selectorIxxEEZZNS1_16scan_by_key_implILNS1_25lookback_scan_determinismE0ELb0ES3_N6thrust23THRUST_200600_302600_NS6detail15normal_iteratorINS9_10device_ptrIxEEEENS9_18transform_iteratorINS9_6negateIxEESE_NS9_11use_defaultESI_EESE_xNS9_4plusIvEENS9_8equal_toIvEExEE10hipError_tPvRmT2_T3_T4_T5_mT6_T7_P12ihipStream_tbENKUlT_T0_E_clISt17integral_constantIbLb0EES14_EEDaSZ_S10_EUlSZ_E_NS1_11comp_targetILNS1_3genE8ELNS1_11target_archE1030ELNS1_3gpuE2ELNS1_3repE0EEENS1_30default_config_static_selectorELNS0_4arch9wavefront6targetE0EEEvT1_.uses_vcc, 0
	.set _ZN7rocprim17ROCPRIM_400000_NS6detail17trampoline_kernelINS0_14default_configENS1_27scan_by_key_config_selectorIxxEEZZNS1_16scan_by_key_implILNS1_25lookback_scan_determinismE0ELb0ES3_N6thrust23THRUST_200600_302600_NS6detail15normal_iteratorINS9_10device_ptrIxEEEENS9_18transform_iteratorINS9_6negateIxEESE_NS9_11use_defaultESI_EESE_xNS9_4plusIvEENS9_8equal_toIvEExEE10hipError_tPvRmT2_T3_T4_T5_mT6_T7_P12ihipStream_tbENKUlT_T0_E_clISt17integral_constantIbLb0EES14_EEDaSZ_S10_EUlSZ_E_NS1_11comp_targetILNS1_3genE8ELNS1_11target_archE1030ELNS1_3gpuE2ELNS1_3repE0EEENS1_30default_config_static_selectorELNS0_4arch9wavefront6targetE0EEEvT1_.uses_flat_scratch, 0
	.set _ZN7rocprim17ROCPRIM_400000_NS6detail17trampoline_kernelINS0_14default_configENS1_27scan_by_key_config_selectorIxxEEZZNS1_16scan_by_key_implILNS1_25lookback_scan_determinismE0ELb0ES3_N6thrust23THRUST_200600_302600_NS6detail15normal_iteratorINS9_10device_ptrIxEEEENS9_18transform_iteratorINS9_6negateIxEESE_NS9_11use_defaultESI_EESE_xNS9_4plusIvEENS9_8equal_toIvEExEE10hipError_tPvRmT2_T3_T4_T5_mT6_T7_P12ihipStream_tbENKUlT_T0_E_clISt17integral_constantIbLb0EES14_EEDaSZ_S10_EUlSZ_E_NS1_11comp_targetILNS1_3genE8ELNS1_11target_archE1030ELNS1_3gpuE2ELNS1_3repE0EEENS1_30default_config_static_selectorELNS0_4arch9wavefront6targetE0EEEvT1_.has_dyn_sized_stack, 0
	.set _ZN7rocprim17ROCPRIM_400000_NS6detail17trampoline_kernelINS0_14default_configENS1_27scan_by_key_config_selectorIxxEEZZNS1_16scan_by_key_implILNS1_25lookback_scan_determinismE0ELb0ES3_N6thrust23THRUST_200600_302600_NS6detail15normal_iteratorINS9_10device_ptrIxEEEENS9_18transform_iteratorINS9_6negateIxEESE_NS9_11use_defaultESI_EESE_xNS9_4plusIvEENS9_8equal_toIvEExEE10hipError_tPvRmT2_T3_T4_T5_mT6_T7_P12ihipStream_tbENKUlT_T0_E_clISt17integral_constantIbLb0EES14_EEDaSZ_S10_EUlSZ_E_NS1_11comp_targetILNS1_3genE8ELNS1_11target_archE1030ELNS1_3gpuE2ELNS1_3repE0EEENS1_30default_config_static_selectorELNS0_4arch9wavefront6targetE0EEEvT1_.has_recursion, 0
	.set _ZN7rocprim17ROCPRIM_400000_NS6detail17trampoline_kernelINS0_14default_configENS1_27scan_by_key_config_selectorIxxEEZZNS1_16scan_by_key_implILNS1_25lookback_scan_determinismE0ELb0ES3_N6thrust23THRUST_200600_302600_NS6detail15normal_iteratorINS9_10device_ptrIxEEEENS9_18transform_iteratorINS9_6negateIxEESE_NS9_11use_defaultESI_EESE_xNS9_4plusIvEENS9_8equal_toIvEExEE10hipError_tPvRmT2_T3_T4_T5_mT6_T7_P12ihipStream_tbENKUlT_T0_E_clISt17integral_constantIbLb0EES14_EEDaSZ_S10_EUlSZ_E_NS1_11comp_targetILNS1_3genE8ELNS1_11target_archE1030ELNS1_3gpuE2ELNS1_3repE0EEENS1_30default_config_static_selectorELNS0_4arch9wavefront6targetE0EEEvT1_.has_indirect_call, 0
	.section	.AMDGPU.csdata,"",@progbits
; Kernel info:
; codeLenInByte = 0
; TotalNumSgprs: 0
; NumVgprs: 0
; ScratchSize: 0
; MemoryBound: 0
; FloatMode: 240
; IeeeMode: 1
; LDSByteSize: 0 bytes/workgroup (compile time only)
; SGPRBlocks: 0
; VGPRBlocks: 0
; NumSGPRsForWavesPerEU: 1
; NumVGPRsForWavesPerEU: 1
; NamedBarCnt: 0
; Occupancy: 16
; WaveLimiterHint : 0
; COMPUTE_PGM_RSRC2:SCRATCH_EN: 0
; COMPUTE_PGM_RSRC2:USER_SGPR: 2
; COMPUTE_PGM_RSRC2:TRAP_HANDLER: 0
; COMPUTE_PGM_RSRC2:TGID_X_EN: 1
; COMPUTE_PGM_RSRC2:TGID_Y_EN: 0
; COMPUTE_PGM_RSRC2:TGID_Z_EN: 0
; COMPUTE_PGM_RSRC2:TIDIG_COMP_CNT: 0
	.section	.text._ZN7rocprim17ROCPRIM_400000_NS6detail17trampoline_kernelINS0_14default_configENS1_27scan_by_key_config_selectorIxxEEZZNS1_16scan_by_key_implILNS1_25lookback_scan_determinismE0ELb0ES3_N6thrust23THRUST_200600_302600_NS6detail15normal_iteratorINS9_10device_ptrIxEEEENS9_18transform_iteratorINS9_6negateIxEESE_NS9_11use_defaultESI_EESE_xNS9_4plusIvEENS9_8equal_toIvEExEE10hipError_tPvRmT2_T3_T4_T5_mT6_T7_P12ihipStream_tbENKUlT_T0_E_clISt17integral_constantIbLb1EES14_EEDaSZ_S10_EUlSZ_E_NS1_11comp_targetILNS1_3genE0ELNS1_11target_archE4294967295ELNS1_3gpuE0ELNS1_3repE0EEENS1_30default_config_static_selectorELNS0_4arch9wavefront6targetE0EEEvT1_,"axG",@progbits,_ZN7rocprim17ROCPRIM_400000_NS6detail17trampoline_kernelINS0_14default_configENS1_27scan_by_key_config_selectorIxxEEZZNS1_16scan_by_key_implILNS1_25lookback_scan_determinismE0ELb0ES3_N6thrust23THRUST_200600_302600_NS6detail15normal_iteratorINS9_10device_ptrIxEEEENS9_18transform_iteratorINS9_6negateIxEESE_NS9_11use_defaultESI_EESE_xNS9_4plusIvEENS9_8equal_toIvEExEE10hipError_tPvRmT2_T3_T4_T5_mT6_T7_P12ihipStream_tbENKUlT_T0_E_clISt17integral_constantIbLb1EES14_EEDaSZ_S10_EUlSZ_E_NS1_11comp_targetILNS1_3genE0ELNS1_11target_archE4294967295ELNS1_3gpuE0ELNS1_3repE0EEENS1_30default_config_static_selectorELNS0_4arch9wavefront6targetE0EEEvT1_,comdat
	.protected	_ZN7rocprim17ROCPRIM_400000_NS6detail17trampoline_kernelINS0_14default_configENS1_27scan_by_key_config_selectorIxxEEZZNS1_16scan_by_key_implILNS1_25lookback_scan_determinismE0ELb0ES3_N6thrust23THRUST_200600_302600_NS6detail15normal_iteratorINS9_10device_ptrIxEEEENS9_18transform_iteratorINS9_6negateIxEESE_NS9_11use_defaultESI_EESE_xNS9_4plusIvEENS9_8equal_toIvEExEE10hipError_tPvRmT2_T3_T4_T5_mT6_T7_P12ihipStream_tbENKUlT_T0_E_clISt17integral_constantIbLb1EES14_EEDaSZ_S10_EUlSZ_E_NS1_11comp_targetILNS1_3genE0ELNS1_11target_archE4294967295ELNS1_3gpuE0ELNS1_3repE0EEENS1_30default_config_static_selectorELNS0_4arch9wavefront6targetE0EEEvT1_ ; -- Begin function _ZN7rocprim17ROCPRIM_400000_NS6detail17trampoline_kernelINS0_14default_configENS1_27scan_by_key_config_selectorIxxEEZZNS1_16scan_by_key_implILNS1_25lookback_scan_determinismE0ELb0ES3_N6thrust23THRUST_200600_302600_NS6detail15normal_iteratorINS9_10device_ptrIxEEEENS9_18transform_iteratorINS9_6negateIxEESE_NS9_11use_defaultESI_EESE_xNS9_4plusIvEENS9_8equal_toIvEExEE10hipError_tPvRmT2_T3_T4_T5_mT6_T7_P12ihipStream_tbENKUlT_T0_E_clISt17integral_constantIbLb1EES14_EEDaSZ_S10_EUlSZ_E_NS1_11comp_targetILNS1_3genE0ELNS1_11target_archE4294967295ELNS1_3gpuE0ELNS1_3repE0EEENS1_30default_config_static_selectorELNS0_4arch9wavefront6targetE0EEEvT1_
	.globl	_ZN7rocprim17ROCPRIM_400000_NS6detail17trampoline_kernelINS0_14default_configENS1_27scan_by_key_config_selectorIxxEEZZNS1_16scan_by_key_implILNS1_25lookback_scan_determinismE0ELb0ES3_N6thrust23THRUST_200600_302600_NS6detail15normal_iteratorINS9_10device_ptrIxEEEENS9_18transform_iteratorINS9_6negateIxEESE_NS9_11use_defaultESI_EESE_xNS9_4plusIvEENS9_8equal_toIvEExEE10hipError_tPvRmT2_T3_T4_T5_mT6_T7_P12ihipStream_tbENKUlT_T0_E_clISt17integral_constantIbLb1EES14_EEDaSZ_S10_EUlSZ_E_NS1_11comp_targetILNS1_3genE0ELNS1_11target_archE4294967295ELNS1_3gpuE0ELNS1_3repE0EEENS1_30default_config_static_selectorELNS0_4arch9wavefront6targetE0EEEvT1_
	.p2align	8
	.type	_ZN7rocprim17ROCPRIM_400000_NS6detail17trampoline_kernelINS0_14default_configENS1_27scan_by_key_config_selectorIxxEEZZNS1_16scan_by_key_implILNS1_25lookback_scan_determinismE0ELb0ES3_N6thrust23THRUST_200600_302600_NS6detail15normal_iteratorINS9_10device_ptrIxEEEENS9_18transform_iteratorINS9_6negateIxEESE_NS9_11use_defaultESI_EESE_xNS9_4plusIvEENS9_8equal_toIvEExEE10hipError_tPvRmT2_T3_T4_T5_mT6_T7_P12ihipStream_tbENKUlT_T0_E_clISt17integral_constantIbLb1EES14_EEDaSZ_S10_EUlSZ_E_NS1_11comp_targetILNS1_3genE0ELNS1_11target_archE4294967295ELNS1_3gpuE0ELNS1_3repE0EEENS1_30default_config_static_selectorELNS0_4arch9wavefront6targetE0EEEvT1_,@function
_ZN7rocprim17ROCPRIM_400000_NS6detail17trampoline_kernelINS0_14default_configENS1_27scan_by_key_config_selectorIxxEEZZNS1_16scan_by_key_implILNS1_25lookback_scan_determinismE0ELb0ES3_N6thrust23THRUST_200600_302600_NS6detail15normal_iteratorINS9_10device_ptrIxEEEENS9_18transform_iteratorINS9_6negateIxEESE_NS9_11use_defaultESI_EESE_xNS9_4plusIvEENS9_8equal_toIvEExEE10hipError_tPvRmT2_T3_T4_T5_mT6_T7_P12ihipStream_tbENKUlT_T0_E_clISt17integral_constantIbLb1EES14_EEDaSZ_S10_EUlSZ_E_NS1_11comp_targetILNS1_3genE0ELNS1_11target_archE4294967295ELNS1_3gpuE0ELNS1_3repE0EEENS1_30default_config_static_selectorELNS0_4arch9wavefront6targetE0EEEvT1_: ; @_ZN7rocprim17ROCPRIM_400000_NS6detail17trampoline_kernelINS0_14default_configENS1_27scan_by_key_config_selectorIxxEEZZNS1_16scan_by_key_implILNS1_25lookback_scan_determinismE0ELb0ES3_N6thrust23THRUST_200600_302600_NS6detail15normal_iteratorINS9_10device_ptrIxEEEENS9_18transform_iteratorINS9_6negateIxEESE_NS9_11use_defaultESI_EESE_xNS9_4plusIvEENS9_8equal_toIvEExEE10hipError_tPvRmT2_T3_T4_T5_mT6_T7_P12ihipStream_tbENKUlT_T0_E_clISt17integral_constantIbLb1EES14_EEDaSZ_S10_EUlSZ_E_NS1_11comp_targetILNS1_3genE0ELNS1_11target_archE4294967295ELNS1_3gpuE0ELNS1_3repE0EEENS1_30default_config_static_selectorELNS0_4arch9wavefront6targetE0EEEvT1_
; %bb.0:
	s_endpgm
	.section	.rodata,"a",@progbits
	.p2align	6, 0x0
	.amdhsa_kernel _ZN7rocprim17ROCPRIM_400000_NS6detail17trampoline_kernelINS0_14default_configENS1_27scan_by_key_config_selectorIxxEEZZNS1_16scan_by_key_implILNS1_25lookback_scan_determinismE0ELb0ES3_N6thrust23THRUST_200600_302600_NS6detail15normal_iteratorINS9_10device_ptrIxEEEENS9_18transform_iteratorINS9_6negateIxEESE_NS9_11use_defaultESI_EESE_xNS9_4plusIvEENS9_8equal_toIvEExEE10hipError_tPvRmT2_T3_T4_T5_mT6_T7_P12ihipStream_tbENKUlT_T0_E_clISt17integral_constantIbLb1EES14_EEDaSZ_S10_EUlSZ_E_NS1_11comp_targetILNS1_3genE0ELNS1_11target_archE4294967295ELNS1_3gpuE0ELNS1_3repE0EEENS1_30default_config_static_selectorELNS0_4arch9wavefront6targetE0EEEvT1_
		.amdhsa_group_segment_fixed_size 0
		.amdhsa_private_segment_fixed_size 0
		.amdhsa_kernarg_size 144
		.amdhsa_user_sgpr_count 2
		.amdhsa_user_sgpr_dispatch_ptr 0
		.amdhsa_user_sgpr_queue_ptr 0
		.amdhsa_user_sgpr_kernarg_segment_ptr 1
		.amdhsa_user_sgpr_dispatch_id 0
		.amdhsa_user_sgpr_kernarg_preload_length 0
		.amdhsa_user_sgpr_kernarg_preload_offset 0
		.amdhsa_user_sgpr_private_segment_size 0
		.amdhsa_wavefront_size32 1
		.amdhsa_uses_dynamic_stack 0
		.amdhsa_enable_private_segment 0
		.amdhsa_system_sgpr_workgroup_id_x 1
		.amdhsa_system_sgpr_workgroup_id_y 0
		.amdhsa_system_sgpr_workgroup_id_z 0
		.amdhsa_system_sgpr_workgroup_info 0
		.amdhsa_system_vgpr_workitem_id 0
		.amdhsa_next_free_vgpr 1
		.amdhsa_next_free_sgpr 1
		.amdhsa_named_barrier_count 0
		.amdhsa_reserve_vcc 0
		.amdhsa_float_round_mode_32 0
		.amdhsa_float_round_mode_16_64 0
		.amdhsa_float_denorm_mode_32 3
		.amdhsa_float_denorm_mode_16_64 3
		.amdhsa_fp16_overflow 0
		.amdhsa_memory_ordered 1
		.amdhsa_forward_progress 1
		.amdhsa_inst_pref_size 1
		.amdhsa_round_robin_scheduling 0
		.amdhsa_exception_fp_ieee_invalid_op 0
		.amdhsa_exception_fp_denorm_src 0
		.amdhsa_exception_fp_ieee_div_zero 0
		.amdhsa_exception_fp_ieee_overflow 0
		.amdhsa_exception_fp_ieee_underflow 0
		.amdhsa_exception_fp_ieee_inexact 0
		.amdhsa_exception_int_div_zero 0
	.end_amdhsa_kernel
	.section	.text._ZN7rocprim17ROCPRIM_400000_NS6detail17trampoline_kernelINS0_14default_configENS1_27scan_by_key_config_selectorIxxEEZZNS1_16scan_by_key_implILNS1_25lookback_scan_determinismE0ELb0ES3_N6thrust23THRUST_200600_302600_NS6detail15normal_iteratorINS9_10device_ptrIxEEEENS9_18transform_iteratorINS9_6negateIxEESE_NS9_11use_defaultESI_EESE_xNS9_4plusIvEENS9_8equal_toIvEExEE10hipError_tPvRmT2_T3_T4_T5_mT6_T7_P12ihipStream_tbENKUlT_T0_E_clISt17integral_constantIbLb1EES14_EEDaSZ_S10_EUlSZ_E_NS1_11comp_targetILNS1_3genE0ELNS1_11target_archE4294967295ELNS1_3gpuE0ELNS1_3repE0EEENS1_30default_config_static_selectorELNS0_4arch9wavefront6targetE0EEEvT1_,"axG",@progbits,_ZN7rocprim17ROCPRIM_400000_NS6detail17trampoline_kernelINS0_14default_configENS1_27scan_by_key_config_selectorIxxEEZZNS1_16scan_by_key_implILNS1_25lookback_scan_determinismE0ELb0ES3_N6thrust23THRUST_200600_302600_NS6detail15normal_iteratorINS9_10device_ptrIxEEEENS9_18transform_iteratorINS9_6negateIxEESE_NS9_11use_defaultESI_EESE_xNS9_4plusIvEENS9_8equal_toIvEExEE10hipError_tPvRmT2_T3_T4_T5_mT6_T7_P12ihipStream_tbENKUlT_T0_E_clISt17integral_constantIbLb1EES14_EEDaSZ_S10_EUlSZ_E_NS1_11comp_targetILNS1_3genE0ELNS1_11target_archE4294967295ELNS1_3gpuE0ELNS1_3repE0EEENS1_30default_config_static_selectorELNS0_4arch9wavefront6targetE0EEEvT1_,comdat
.Lfunc_end902:
	.size	_ZN7rocprim17ROCPRIM_400000_NS6detail17trampoline_kernelINS0_14default_configENS1_27scan_by_key_config_selectorIxxEEZZNS1_16scan_by_key_implILNS1_25lookback_scan_determinismE0ELb0ES3_N6thrust23THRUST_200600_302600_NS6detail15normal_iteratorINS9_10device_ptrIxEEEENS9_18transform_iteratorINS9_6negateIxEESE_NS9_11use_defaultESI_EESE_xNS9_4plusIvEENS9_8equal_toIvEExEE10hipError_tPvRmT2_T3_T4_T5_mT6_T7_P12ihipStream_tbENKUlT_T0_E_clISt17integral_constantIbLb1EES14_EEDaSZ_S10_EUlSZ_E_NS1_11comp_targetILNS1_3genE0ELNS1_11target_archE4294967295ELNS1_3gpuE0ELNS1_3repE0EEENS1_30default_config_static_selectorELNS0_4arch9wavefront6targetE0EEEvT1_, .Lfunc_end902-_ZN7rocprim17ROCPRIM_400000_NS6detail17trampoline_kernelINS0_14default_configENS1_27scan_by_key_config_selectorIxxEEZZNS1_16scan_by_key_implILNS1_25lookback_scan_determinismE0ELb0ES3_N6thrust23THRUST_200600_302600_NS6detail15normal_iteratorINS9_10device_ptrIxEEEENS9_18transform_iteratorINS9_6negateIxEESE_NS9_11use_defaultESI_EESE_xNS9_4plusIvEENS9_8equal_toIvEExEE10hipError_tPvRmT2_T3_T4_T5_mT6_T7_P12ihipStream_tbENKUlT_T0_E_clISt17integral_constantIbLb1EES14_EEDaSZ_S10_EUlSZ_E_NS1_11comp_targetILNS1_3genE0ELNS1_11target_archE4294967295ELNS1_3gpuE0ELNS1_3repE0EEENS1_30default_config_static_selectorELNS0_4arch9wavefront6targetE0EEEvT1_
                                        ; -- End function
	.set _ZN7rocprim17ROCPRIM_400000_NS6detail17trampoline_kernelINS0_14default_configENS1_27scan_by_key_config_selectorIxxEEZZNS1_16scan_by_key_implILNS1_25lookback_scan_determinismE0ELb0ES3_N6thrust23THRUST_200600_302600_NS6detail15normal_iteratorINS9_10device_ptrIxEEEENS9_18transform_iteratorINS9_6negateIxEESE_NS9_11use_defaultESI_EESE_xNS9_4plusIvEENS9_8equal_toIvEExEE10hipError_tPvRmT2_T3_T4_T5_mT6_T7_P12ihipStream_tbENKUlT_T0_E_clISt17integral_constantIbLb1EES14_EEDaSZ_S10_EUlSZ_E_NS1_11comp_targetILNS1_3genE0ELNS1_11target_archE4294967295ELNS1_3gpuE0ELNS1_3repE0EEENS1_30default_config_static_selectorELNS0_4arch9wavefront6targetE0EEEvT1_.num_vgpr, 0
	.set _ZN7rocprim17ROCPRIM_400000_NS6detail17trampoline_kernelINS0_14default_configENS1_27scan_by_key_config_selectorIxxEEZZNS1_16scan_by_key_implILNS1_25lookback_scan_determinismE0ELb0ES3_N6thrust23THRUST_200600_302600_NS6detail15normal_iteratorINS9_10device_ptrIxEEEENS9_18transform_iteratorINS9_6negateIxEESE_NS9_11use_defaultESI_EESE_xNS9_4plusIvEENS9_8equal_toIvEExEE10hipError_tPvRmT2_T3_T4_T5_mT6_T7_P12ihipStream_tbENKUlT_T0_E_clISt17integral_constantIbLb1EES14_EEDaSZ_S10_EUlSZ_E_NS1_11comp_targetILNS1_3genE0ELNS1_11target_archE4294967295ELNS1_3gpuE0ELNS1_3repE0EEENS1_30default_config_static_selectorELNS0_4arch9wavefront6targetE0EEEvT1_.num_agpr, 0
	.set _ZN7rocprim17ROCPRIM_400000_NS6detail17trampoline_kernelINS0_14default_configENS1_27scan_by_key_config_selectorIxxEEZZNS1_16scan_by_key_implILNS1_25lookback_scan_determinismE0ELb0ES3_N6thrust23THRUST_200600_302600_NS6detail15normal_iteratorINS9_10device_ptrIxEEEENS9_18transform_iteratorINS9_6negateIxEESE_NS9_11use_defaultESI_EESE_xNS9_4plusIvEENS9_8equal_toIvEExEE10hipError_tPvRmT2_T3_T4_T5_mT6_T7_P12ihipStream_tbENKUlT_T0_E_clISt17integral_constantIbLb1EES14_EEDaSZ_S10_EUlSZ_E_NS1_11comp_targetILNS1_3genE0ELNS1_11target_archE4294967295ELNS1_3gpuE0ELNS1_3repE0EEENS1_30default_config_static_selectorELNS0_4arch9wavefront6targetE0EEEvT1_.numbered_sgpr, 0
	.set _ZN7rocprim17ROCPRIM_400000_NS6detail17trampoline_kernelINS0_14default_configENS1_27scan_by_key_config_selectorIxxEEZZNS1_16scan_by_key_implILNS1_25lookback_scan_determinismE0ELb0ES3_N6thrust23THRUST_200600_302600_NS6detail15normal_iteratorINS9_10device_ptrIxEEEENS9_18transform_iteratorINS9_6negateIxEESE_NS9_11use_defaultESI_EESE_xNS9_4plusIvEENS9_8equal_toIvEExEE10hipError_tPvRmT2_T3_T4_T5_mT6_T7_P12ihipStream_tbENKUlT_T0_E_clISt17integral_constantIbLb1EES14_EEDaSZ_S10_EUlSZ_E_NS1_11comp_targetILNS1_3genE0ELNS1_11target_archE4294967295ELNS1_3gpuE0ELNS1_3repE0EEENS1_30default_config_static_selectorELNS0_4arch9wavefront6targetE0EEEvT1_.num_named_barrier, 0
	.set _ZN7rocprim17ROCPRIM_400000_NS6detail17trampoline_kernelINS0_14default_configENS1_27scan_by_key_config_selectorIxxEEZZNS1_16scan_by_key_implILNS1_25lookback_scan_determinismE0ELb0ES3_N6thrust23THRUST_200600_302600_NS6detail15normal_iteratorINS9_10device_ptrIxEEEENS9_18transform_iteratorINS9_6negateIxEESE_NS9_11use_defaultESI_EESE_xNS9_4plusIvEENS9_8equal_toIvEExEE10hipError_tPvRmT2_T3_T4_T5_mT6_T7_P12ihipStream_tbENKUlT_T0_E_clISt17integral_constantIbLb1EES14_EEDaSZ_S10_EUlSZ_E_NS1_11comp_targetILNS1_3genE0ELNS1_11target_archE4294967295ELNS1_3gpuE0ELNS1_3repE0EEENS1_30default_config_static_selectorELNS0_4arch9wavefront6targetE0EEEvT1_.private_seg_size, 0
	.set _ZN7rocprim17ROCPRIM_400000_NS6detail17trampoline_kernelINS0_14default_configENS1_27scan_by_key_config_selectorIxxEEZZNS1_16scan_by_key_implILNS1_25lookback_scan_determinismE0ELb0ES3_N6thrust23THRUST_200600_302600_NS6detail15normal_iteratorINS9_10device_ptrIxEEEENS9_18transform_iteratorINS9_6negateIxEESE_NS9_11use_defaultESI_EESE_xNS9_4plusIvEENS9_8equal_toIvEExEE10hipError_tPvRmT2_T3_T4_T5_mT6_T7_P12ihipStream_tbENKUlT_T0_E_clISt17integral_constantIbLb1EES14_EEDaSZ_S10_EUlSZ_E_NS1_11comp_targetILNS1_3genE0ELNS1_11target_archE4294967295ELNS1_3gpuE0ELNS1_3repE0EEENS1_30default_config_static_selectorELNS0_4arch9wavefront6targetE0EEEvT1_.uses_vcc, 0
	.set _ZN7rocprim17ROCPRIM_400000_NS6detail17trampoline_kernelINS0_14default_configENS1_27scan_by_key_config_selectorIxxEEZZNS1_16scan_by_key_implILNS1_25lookback_scan_determinismE0ELb0ES3_N6thrust23THRUST_200600_302600_NS6detail15normal_iteratorINS9_10device_ptrIxEEEENS9_18transform_iteratorINS9_6negateIxEESE_NS9_11use_defaultESI_EESE_xNS9_4plusIvEENS9_8equal_toIvEExEE10hipError_tPvRmT2_T3_T4_T5_mT6_T7_P12ihipStream_tbENKUlT_T0_E_clISt17integral_constantIbLb1EES14_EEDaSZ_S10_EUlSZ_E_NS1_11comp_targetILNS1_3genE0ELNS1_11target_archE4294967295ELNS1_3gpuE0ELNS1_3repE0EEENS1_30default_config_static_selectorELNS0_4arch9wavefront6targetE0EEEvT1_.uses_flat_scratch, 0
	.set _ZN7rocprim17ROCPRIM_400000_NS6detail17trampoline_kernelINS0_14default_configENS1_27scan_by_key_config_selectorIxxEEZZNS1_16scan_by_key_implILNS1_25lookback_scan_determinismE0ELb0ES3_N6thrust23THRUST_200600_302600_NS6detail15normal_iteratorINS9_10device_ptrIxEEEENS9_18transform_iteratorINS9_6negateIxEESE_NS9_11use_defaultESI_EESE_xNS9_4plusIvEENS9_8equal_toIvEExEE10hipError_tPvRmT2_T3_T4_T5_mT6_T7_P12ihipStream_tbENKUlT_T0_E_clISt17integral_constantIbLb1EES14_EEDaSZ_S10_EUlSZ_E_NS1_11comp_targetILNS1_3genE0ELNS1_11target_archE4294967295ELNS1_3gpuE0ELNS1_3repE0EEENS1_30default_config_static_selectorELNS0_4arch9wavefront6targetE0EEEvT1_.has_dyn_sized_stack, 0
	.set _ZN7rocprim17ROCPRIM_400000_NS6detail17trampoline_kernelINS0_14default_configENS1_27scan_by_key_config_selectorIxxEEZZNS1_16scan_by_key_implILNS1_25lookback_scan_determinismE0ELb0ES3_N6thrust23THRUST_200600_302600_NS6detail15normal_iteratorINS9_10device_ptrIxEEEENS9_18transform_iteratorINS9_6negateIxEESE_NS9_11use_defaultESI_EESE_xNS9_4plusIvEENS9_8equal_toIvEExEE10hipError_tPvRmT2_T3_T4_T5_mT6_T7_P12ihipStream_tbENKUlT_T0_E_clISt17integral_constantIbLb1EES14_EEDaSZ_S10_EUlSZ_E_NS1_11comp_targetILNS1_3genE0ELNS1_11target_archE4294967295ELNS1_3gpuE0ELNS1_3repE0EEENS1_30default_config_static_selectorELNS0_4arch9wavefront6targetE0EEEvT1_.has_recursion, 0
	.set _ZN7rocprim17ROCPRIM_400000_NS6detail17trampoline_kernelINS0_14default_configENS1_27scan_by_key_config_selectorIxxEEZZNS1_16scan_by_key_implILNS1_25lookback_scan_determinismE0ELb0ES3_N6thrust23THRUST_200600_302600_NS6detail15normal_iteratorINS9_10device_ptrIxEEEENS9_18transform_iteratorINS9_6negateIxEESE_NS9_11use_defaultESI_EESE_xNS9_4plusIvEENS9_8equal_toIvEExEE10hipError_tPvRmT2_T3_T4_T5_mT6_T7_P12ihipStream_tbENKUlT_T0_E_clISt17integral_constantIbLb1EES14_EEDaSZ_S10_EUlSZ_E_NS1_11comp_targetILNS1_3genE0ELNS1_11target_archE4294967295ELNS1_3gpuE0ELNS1_3repE0EEENS1_30default_config_static_selectorELNS0_4arch9wavefront6targetE0EEEvT1_.has_indirect_call, 0
	.section	.AMDGPU.csdata,"",@progbits
; Kernel info:
; codeLenInByte = 4
; TotalNumSgprs: 0
; NumVgprs: 0
; ScratchSize: 0
; MemoryBound: 0
; FloatMode: 240
; IeeeMode: 1
; LDSByteSize: 0 bytes/workgroup (compile time only)
; SGPRBlocks: 0
; VGPRBlocks: 0
; NumSGPRsForWavesPerEU: 1
; NumVGPRsForWavesPerEU: 1
; NamedBarCnt: 0
; Occupancy: 16
; WaveLimiterHint : 0
; COMPUTE_PGM_RSRC2:SCRATCH_EN: 0
; COMPUTE_PGM_RSRC2:USER_SGPR: 2
; COMPUTE_PGM_RSRC2:TRAP_HANDLER: 0
; COMPUTE_PGM_RSRC2:TGID_X_EN: 1
; COMPUTE_PGM_RSRC2:TGID_Y_EN: 0
; COMPUTE_PGM_RSRC2:TGID_Z_EN: 0
; COMPUTE_PGM_RSRC2:TIDIG_COMP_CNT: 0
	.section	.text._ZN7rocprim17ROCPRIM_400000_NS6detail17trampoline_kernelINS0_14default_configENS1_27scan_by_key_config_selectorIxxEEZZNS1_16scan_by_key_implILNS1_25lookback_scan_determinismE0ELb0ES3_N6thrust23THRUST_200600_302600_NS6detail15normal_iteratorINS9_10device_ptrIxEEEENS9_18transform_iteratorINS9_6negateIxEESE_NS9_11use_defaultESI_EESE_xNS9_4plusIvEENS9_8equal_toIvEExEE10hipError_tPvRmT2_T3_T4_T5_mT6_T7_P12ihipStream_tbENKUlT_T0_E_clISt17integral_constantIbLb1EES14_EEDaSZ_S10_EUlSZ_E_NS1_11comp_targetILNS1_3genE10ELNS1_11target_archE1201ELNS1_3gpuE5ELNS1_3repE0EEENS1_30default_config_static_selectorELNS0_4arch9wavefront6targetE0EEEvT1_,"axG",@progbits,_ZN7rocprim17ROCPRIM_400000_NS6detail17trampoline_kernelINS0_14default_configENS1_27scan_by_key_config_selectorIxxEEZZNS1_16scan_by_key_implILNS1_25lookback_scan_determinismE0ELb0ES3_N6thrust23THRUST_200600_302600_NS6detail15normal_iteratorINS9_10device_ptrIxEEEENS9_18transform_iteratorINS9_6negateIxEESE_NS9_11use_defaultESI_EESE_xNS9_4plusIvEENS9_8equal_toIvEExEE10hipError_tPvRmT2_T3_T4_T5_mT6_T7_P12ihipStream_tbENKUlT_T0_E_clISt17integral_constantIbLb1EES14_EEDaSZ_S10_EUlSZ_E_NS1_11comp_targetILNS1_3genE10ELNS1_11target_archE1201ELNS1_3gpuE5ELNS1_3repE0EEENS1_30default_config_static_selectorELNS0_4arch9wavefront6targetE0EEEvT1_,comdat
	.protected	_ZN7rocprim17ROCPRIM_400000_NS6detail17trampoline_kernelINS0_14default_configENS1_27scan_by_key_config_selectorIxxEEZZNS1_16scan_by_key_implILNS1_25lookback_scan_determinismE0ELb0ES3_N6thrust23THRUST_200600_302600_NS6detail15normal_iteratorINS9_10device_ptrIxEEEENS9_18transform_iteratorINS9_6negateIxEESE_NS9_11use_defaultESI_EESE_xNS9_4plusIvEENS9_8equal_toIvEExEE10hipError_tPvRmT2_T3_T4_T5_mT6_T7_P12ihipStream_tbENKUlT_T0_E_clISt17integral_constantIbLb1EES14_EEDaSZ_S10_EUlSZ_E_NS1_11comp_targetILNS1_3genE10ELNS1_11target_archE1201ELNS1_3gpuE5ELNS1_3repE0EEENS1_30default_config_static_selectorELNS0_4arch9wavefront6targetE0EEEvT1_ ; -- Begin function _ZN7rocprim17ROCPRIM_400000_NS6detail17trampoline_kernelINS0_14default_configENS1_27scan_by_key_config_selectorIxxEEZZNS1_16scan_by_key_implILNS1_25lookback_scan_determinismE0ELb0ES3_N6thrust23THRUST_200600_302600_NS6detail15normal_iteratorINS9_10device_ptrIxEEEENS9_18transform_iteratorINS9_6negateIxEESE_NS9_11use_defaultESI_EESE_xNS9_4plusIvEENS9_8equal_toIvEExEE10hipError_tPvRmT2_T3_T4_T5_mT6_T7_P12ihipStream_tbENKUlT_T0_E_clISt17integral_constantIbLb1EES14_EEDaSZ_S10_EUlSZ_E_NS1_11comp_targetILNS1_3genE10ELNS1_11target_archE1201ELNS1_3gpuE5ELNS1_3repE0EEENS1_30default_config_static_selectorELNS0_4arch9wavefront6targetE0EEEvT1_
	.globl	_ZN7rocprim17ROCPRIM_400000_NS6detail17trampoline_kernelINS0_14default_configENS1_27scan_by_key_config_selectorIxxEEZZNS1_16scan_by_key_implILNS1_25lookback_scan_determinismE0ELb0ES3_N6thrust23THRUST_200600_302600_NS6detail15normal_iteratorINS9_10device_ptrIxEEEENS9_18transform_iteratorINS9_6negateIxEESE_NS9_11use_defaultESI_EESE_xNS9_4plusIvEENS9_8equal_toIvEExEE10hipError_tPvRmT2_T3_T4_T5_mT6_T7_P12ihipStream_tbENKUlT_T0_E_clISt17integral_constantIbLb1EES14_EEDaSZ_S10_EUlSZ_E_NS1_11comp_targetILNS1_3genE10ELNS1_11target_archE1201ELNS1_3gpuE5ELNS1_3repE0EEENS1_30default_config_static_selectorELNS0_4arch9wavefront6targetE0EEEvT1_
	.p2align	8
	.type	_ZN7rocprim17ROCPRIM_400000_NS6detail17trampoline_kernelINS0_14default_configENS1_27scan_by_key_config_selectorIxxEEZZNS1_16scan_by_key_implILNS1_25lookback_scan_determinismE0ELb0ES3_N6thrust23THRUST_200600_302600_NS6detail15normal_iteratorINS9_10device_ptrIxEEEENS9_18transform_iteratorINS9_6negateIxEESE_NS9_11use_defaultESI_EESE_xNS9_4plusIvEENS9_8equal_toIvEExEE10hipError_tPvRmT2_T3_T4_T5_mT6_T7_P12ihipStream_tbENKUlT_T0_E_clISt17integral_constantIbLb1EES14_EEDaSZ_S10_EUlSZ_E_NS1_11comp_targetILNS1_3genE10ELNS1_11target_archE1201ELNS1_3gpuE5ELNS1_3repE0EEENS1_30default_config_static_selectorELNS0_4arch9wavefront6targetE0EEEvT1_,@function
_ZN7rocprim17ROCPRIM_400000_NS6detail17trampoline_kernelINS0_14default_configENS1_27scan_by_key_config_selectorIxxEEZZNS1_16scan_by_key_implILNS1_25lookback_scan_determinismE0ELb0ES3_N6thrust23THRUST_200600_302600_NS6detail15normal_iteratorINS9_10device_ptrIxEEEENS9_18transform_iteratorINS9_6negateIxEESE_NS9_11use_defaultESI_EESE_xNS9_4plusIvEENS9_8equal_toIvEExEE10hipError_tPvRmT2_T3_T4_T5_mT6_T7_P12ihipStream_tbENKUlT_T0_E_clISt17integral_constantIbLb1EES14_EEDaSZ_S10_EUlSZ_E_NS1_11comp_targetILNS1_3genE10ELNS1_11target_archE1201ELNS1_3gpuE5ELNS1_3repE0EEENS1_30default_config_static_selectorELNS0_4arch9wavefront6targetE0EEEvT1_: ; @_ZN7rocprim17ROCPRIM_400000_NS6detail17trampoline_kernelINS0_14default_configENS1_27scan_by_key_config_selectorIxxEEZZNS1_16scan_by_key_implILNS1_25lookback_scan_determinismE0ELb0ES3_N6thrust23THRUST_200600_302600_NS6detail15normal_iteratorINS9_10device_ptrIxEEEENS9_18transform_iteratorINS9_6negateIxEESE_NS9_11use_defaultESI_EESE_xNS9_4plusIvEENS9_8equal_toIvEExEE10hipError_tPvRmT2_T3_T4_T5_mT6_T7_P12ihipStream_tbENKUlT_T0_E_clISt17integral_constantIbLb1EES14_EEDaSZ_S10_EUlSZ_E_NS1_11comp_targetILNS1_3genE10ELNS1_11target_archE1201ELNS1_3gpuE5ELNS1_3repE0EEENS1_30default_config_static_selectorELNS0_4arch9wavefront6targetE0EEEvT1_
; %bb.0:
	.section	.rodata,"a",@progbits
	.p2align	6, 0x0
	.amdhsa_kernel _ZN7rocprim17ROCPRIM_400000_NS6detail17trampoline_kernelINS0_14default_configENS1_27scan_by_key_config_selectorIxxEEZZNS1_16scan_by_key_implILNS1_25lookback_scan_determinismE0ELb0ES3_N6thrust23THRUST_200600_302600_NS6detail15normal_iteratorINS9_10device_ptrIxEEEENS9_18transform_iteratorINS9_6negateIxEESE_NS9_11use_defaultESI_EESE_xNS9_4plusIvEENS9_8equal_toIvEExEE10hipError_tPvRmT2_T3_T4_T5_mT6_T7_P12ihipStream_tbENKUlT_T0_E_clISt17integral_constantIbLb1EES14_EEDaSZ_S10_EUlSZ_E_NS1_11comp_targetILNS1_3genE10ELNS1_11target_archE1201ELNS1_3gpuE5ELNS1_3repE0EEENS1_30default_config_static_selectorELNS0_4arch9wavefront6targetE0EEEvT1_
		.amdhsa_group_segment_fixed_size 0
		.amdhsa_private_segment_fixed_size 0
		.amdhsa_kernarg_size 144
		.amdhsa_user_sgpr_count 2
		.amdhsa_user_sgpr_dispatch_ptr 0
		.amdhsa_user_sgpr_queue_ptr 0
		.amdhsa_user_sgpr_kernarg_segment_ptr 1
		.amdhsa_user_sgpr_dispatch_id 0
		.amdhsa_user_sgpr_kernarg_preload_length 0
		.amdhsa_user_sgpr_kernarg_preload_offset 0
		.amdhsa_user_sgpr_private_segment_size 0
		.amdhsa_wavefront_size32 1
		.amdhsa_uses_dynamic_stack 0
		.amdhsa_enable_private_segment 0
		.amdhsa_system_sgpr_workgroup_id_x 1
		.amdhsa_system_sgpr_workgroup_id_y 0
		.amdhsa_system_sgpr_workgroup_id_z 0
		.amdhsa_system_sgpr_workgroup_info 0
		.amdhsa_system_vgpr_workitem_id 0
		.amdhsa_next_free_vgpr 1
		.amdhsa_next_free_sgpr 1
		.amdhsa_named_barrier_count 0
		.amdhsa_reserve_vcc 0
		.amdhsa_float_round_mode_32 0
		.amdhsa_float_round_mode_16_64 0
		.amdhsa_float_denorm_mode_32 3
		.amdhsa_float_denorm_mode_16_64 3
		.amdhsa_fp16_overflow 0
		.amdhsa_memory_ordered 1
		.amdhsa_forward_progress 1
		.amdhsa_inst_pref_size 0
		.amdhsa_round_robin_scheduling 0
		.amdhsa_exception_fp_ieee_invalid_op 0
		.amdhsa_exception_fp_denorm_src 0
		.amdhsa_exception_fp_ieee_div_zero 0
		.amdhsa_exception_fp_ieee_overflow 0
		.amdhsa_exception_fp_ieee_underflow 0
		.amdhsa_exception_fp_ieee_inexact 0
		.amdhsa_exception_int_div_zero 0
	.end_amdhsa_kernel
	.section	.text._ZN7rocprim17ROCPRIM_400000_NS6detail17trampoline_kernelINS0_14default_configENS1_27scan_by_key_config_selectorIxxEEZZNS1_16scan_by_key_implILNS1_25lookback_scan_determinismE0ELb0ES3_N6thrust23THRUST_200600_302600_NS6detail15normal_iteratorINS9_10device_ptrIxEEEENS9_18transform_iteratorINS9_6negateIxEESE_NS9_11use_defaultESI_EESE_xNS9_4plusIvEENS9_8equal_toIvEExEE10hipError_tPvRmT2_T3_T4_T5_mT6_T7_P12ihipStream_tbENKUlT_T0_E_clISt17integral_constantIbLb1EES14_EEDaSZ_S10_EUlSZ_E_NS1_11comp_targetILNS1_3genE10ELNS1_11target_archE1201ELNS1_3gpuE5ELNS1_3repE0EEENS1_30default_config_static_selectorELNS0_4arch9wavefront6targetE0EEEvT1_,"axG",@progbits,_ZN7rocprim17ROCPRIM_400000_NS6detail17trampoline_kernelINS0_14default_configENS1_27scan_by_key_config_selectorIxxEEZZNS1_16scan_by_key_implILNS1_25lookback_scan_determinismE0ELb0ES3_N6thrust23THRUST_200600_302600_NS6detail15normal_iteratorINS9_10device_ptrIxEEEENS9_18transform_iteratorINS9_6negateIxEESE_NS9_11use_defaultESI_EESE_xNS9_4plusIvEENS9_8equal_toIvEExEE10hipError_tPvRmT2_T3_T4_T5_mT6_T7_P12ihipStream_tbENKUlT_T0_E_clISt17integral_constantIbLb1EES14_EEDaSZ_S10_EUlSZ_E_NS1_11comp_targetILNS1_3genE10ELNS1_11target_archE1201ELNS1_3gpuE5ELNS1_3repE0EEENS1_30default_config_static_selectorELNS0_4arch9wavefront6targetE0EEEvT1_,comdat
.Lfunc_end903:
	.size	_ZN7rocprim17ROCPRIM_400000_NS6detail17trampoline_kernelINS0_14default_configENS1_27scan_by_key_config_selectorIxxEEZZNS1_16scan_by_key_implILNS1_25lookback_scan_determinismE0ELb0ES3_N6thrust23THRUST_200600_302600_NS6detail15normal_iteratorINS9_10device_ptrIxEEEENS9_18transform_iteratorINS9_6negateIxEESE_NS9_11use_defaultESI_EESE_xNS9_4plusIvEENS9_8equal_toIvEExEE10hipError_tPvRmT2_T3_T4_T5_mT6_T7_P12ihipStream_tbENKUlT_T0_E_clISt17integral_constantIbLb1EES14_EEDaSZ_S10_EUlSZ_E_NS1_11comp_targetILNS1_3genE10ELNS1_11target_archE1201ELNS1_3gpuE5ELNS1_3repE0EEENS1_30default_config_static_selectorELNS0_4arch9wavefront6targetE0EEEvT1_, .Lfunc_end903-_ZN7rocprim17ROCPRIM_400000_NS6detail17trampoline_kernelINS0_14default_configENS1_27scan_by_key_config_selectorIxxEEZZNS1_16scan_by_key_implILNS1_25lookback_scan_determinismE0ELb0ES3_N6thrust23THRUST_200600_302600_NS6detail15normal_iteratorINS9_10device_ptrIxEEEENS9_18transform_iteratorINS9_6negateIxEESE_NS9_11use_defaultESI_EESE_xNS9_4plusIvEENS9_8equal_toIvEExEE10hipError_tPvRmT2_T3_T4_T5_mT6_T7_P12ihipStream_tbENKUlT_T0_E_clISt17integral_constantIbLb1EES14_EEDaSZ_S10_EUlSZ_E_NS1_11comp_targetILNS1_3genE10ELNS1_11target_archE1201ELNS1_3gpuE5ELNS1_3repE0EEENS1_30default_config_static_selectorELNS0_4arch9wavefront6targetE0EEEvT1_
                                        ; -- End function
	.set _ZN7rocprim17ROCPRIM_400000_NS6detail17trampoline_kernelINS0_14default_configENS1_27scan_by_key_config_selectorIxxEEZZNS1_16scan_by_key_implILNS1_25lookback_scan_determinismE0ELb0ES3_N6thrust23THRUST_200600_302600_NS6detail15normal_iteratorINS9_10device_ptrIxEEEENS9_18transform_iteratorINS9_6negateIxEESE_NS9_11use_defaultESI_EESE_xNS9_4plusIvEENS9_8equal_toIvEExEE10hipError_tPvRmT2_T3_T4_T5_mT6_T7_P12ihipStream_tbENKUlT_T0_E_clISt17integral_constantIbLb1EES14_EEDaSZ_S10_EUlSZ_E_NS1_11comp_targetILNS1_3genE10ELNS1_11target_archE1201ELNS1_3gpuE5ELNS1_3repE0EEENS1_30default_config_static_selectorELNS0_4arch9wavefront6targetE0EEEvT1_.num_vgpr, 0
	.set _ZN7rocprim17ROCPRIM_400000_NS6detail17trampoline_kernelINS0_14default_configENS1_27scan_by_key_config_selectorIxxEEZZNS1_16scan_by_key_implILNS1_25lookback_scan_determinismE0ELb0ES3_N6thrust23THRUST_200600_302600_NS6detail15normal_iteratorINS9_10device_ptrIxEEEENS9_18transform_iteratorINS9_6negateIxEESE_NS9_11use_defaultESI_EESE_xNS9_4plusIvEENS9_8equal_toIvEExEE10hipError_tPvRmT2_T3_T4_T5_mT6_T7_P12ihipStream_tbENKUlT_T0_E_clISt17integral_constantIbLb1EES14_EEDaSZ_S10_EUlSZ_E_NS1_11comp_targetILNS1_3genE10ELNS1_11target_archE1201ELNS1_3gpuE5ELNS1_3repE0EEENS1_30default_config_static_selectorELNS0_4arch9wavefront6targetE0EEEvT1_.num_agpr, 0
	.set _ZN7rocprim17ROCPRIM_400000_NS6detail17trampoline_kernelINS0_14default_configENS1_27scan_by_key_config_selectorIxxEEZZNS1_16scan_by_key_implILNS1_25lookback_scan_determinismE0ELb0ES3_N6thrust23THRUST_200600_302600_NS6detail15normal_iteratorINS9_10device_ptrIxEEEENS9_18transform_iteratorINS9_6negateIxEESE_NS9_11use_defaultESI_EESE_xNS9_4plusIvEENS9_8equal_toIvEExEE10hipError_tPvRmT2_T3_T4_T5_mT6_T7_P12ihipStream_tbENKUlT_T0_E_clISt17integral_constantIbLb1EES14_EEDaSZ_S10_EUlSZ_E_NS1_11comp_targetILNS1_3genE10ELNS1_11target_archE1201ELNS1_3gpuE5ELNS1_3repE0EEENS1_30default_config_static_selectorELNS0_4arch9wavefront6targetE0EEEvT1_.numbered_sgpr, 0
	.set _ZN7rocprim17ROCPRIM_400000_NS6detail17trampoline_kernelINS0_14default_configENS1_27scan_by_key_config_selectorIxxEEZZNS1_16scan_by_key_implILNS1_25lookback_scan_determinismE0ELb0ES3_N6thrust23THRUST_200600_302600_NS6detail15normal_iteratorINS9_10device_ptrIxEEEENS9_18transform_iteratorINS9_6negateIxEESE_NS9_11use_defaultESI_EESE_xNS9_4plusIvEENS9_8equal_toIvEExEE10hipError_tPvRmT2_T3_T4_T5_mT6_T7_P12ihipStream_tbENKUlT_T0_E_clISt17integral_constantIbLb1EES14_EEDaSZ_S10_EUlSZ_E_NS1_11comp_targetILNS1_3genE10ELNS1_11target_archE1201ELNS1_3gpuE5ELNS1_3repE0EEENS1_30default_config_static_selectorELNS0_4arch9wavefront6targetE0EEEvT1_.num_named_barrier, 0
	.set _ZN7rocprim17ROCPRIM_400000_NS6detail17trampoline_kernelINS0_14default_configENS1_27scan_by_key_config_selectorIxxEEZZNS1_16scan_by_key_implILNS1_25lookback_scan_determinismE0ELb0ES3_N6thrust23THRUST_200600_302600_NS6detail15normal_iteratorINS9_10device_ptrIxEEEENS9_18transform_iteratorINS9_6negateIxEESE_NS9_11use_defaultESI_EESE_xNS9_4plusIvEENS9_8equal_toIvEExEE10hipError_tPvRmT2_T3_T4_T5_mT6_T7_P12ihipStream_tbENKUlT_T0_E_clISt17integral_constantIbLb1EES14_EEDaSZ_S10_EUlSZ_E_NS1_11comp_targetILNS1_3genE10ELNS1_11target_archE1201ELNS1_3gpuE5ELNS1_3repE0EEENS1_30default_config_static_selectorELNS0_4arch9wavefront6targetE0EEEvT1_.private_seg_size, 0
	.set _ZN7rocprim17ROCPRIM_400000_NS6detail17trampoline_kernelINS0_14default_configENS1_27scan_by_key_config_selectorIxxEEZZNS1_16scan_by_key_implILNS1_25lookback_scan_determinismE0ELb0ES3_N6thrust23THRUST_200600_302600_NS6detail15normal_iteratorINS9_10device_ptrIxEEEENS9_18transform_iteratorINS9_6negateIxEESE_NS9_11use_defaultESI_EESE_xNS9_4plusIvEENS9_8equal_toIvEExEE10hipError_tPvRmT2_T3_T4_T5_mT6_T7_P12ihipStream_tbENKUlT_T0_E_clISt17integral_constantIbLb1EES14_EEDaSZ_S10_EUlSZ_E_NS1_11comp_targetILNS1_3genE10ELNS1_11target_archE1201ELNS1_3gpuE5ELNS1_3repE0EEENS1_30default_config_static_selectorELNS0_4arch9wavefront6targetE0EEEvT1_.uses_vcc, 0
	.set _ZN7rocprim17ROCPRIM_400000_NS6detail17trampoline_kernelINS0_14default_configENS1_27scan_by_key_config_selectorIxxEEZZNS1_16scan_by_key_implILNS1_25lookback_scan_determinismE0ELb0ES3_N6thrust23THRUST_200600_302600_NS6detail15normal_iteratorINS9_10device_ptrIxEEEENS9_18transform_iteratorINS9_6negateIxEESE_NS9_11use_defaultESI_EESE_xNS9_4plusIvEENS9_8equal_toIvEExEE10hipError_tPvRmT2_T3_T4_T5_mT6_T7_P12ihipStream_tbENKUlT_T0_E_clISt17integral_constantIbLb1EES14_EEDaSZ_S10_EUlSZ_E_NS1_11comp_targetILNS1_3genE10ELNS1_11target_archE1201ELNS1_3gpuE5ELNS1_3repE0EEENS1_30default_config_static_selectorELNS0_4arch9wavefront6targetE0EEEvT1_.uses_flat_scratch, 0
	.set _ZN7rocprim17ROCPRIM_400000_NS6detail17trampoline_kernelINS0_14default_configENS1_27scan_by_key_config_selectorIxxEEZZNS1_16scan_by_key_implILNS1_25lookback_scan_determinismE0ELb0ES3_N6thrust23THRUST_200600_302600_NS6detail15normal_iteratorINS9_10device_ptrIxEEEENS9_18transform_iteratorINS9_6negateIxEESE_NS9_11use_defaultESI_EESE_xNS9_4plusIvEENS9_8equal_toIvEExEE10hipError_tPvRmT2_T3_T4_T5_mT6_T7_P12ihipStream_tbENKUlT_T0_E_clISt17integral_constantIbLb1EES14_EEDaSZ_S10_EUlSZ_E_NS1_11comp_targetILNS1_3genE10ELNS1_11target_archE1201ELNS1_3gpuE5ELNS1_3repE0EEENS1_30default_config_static_selectorELNS0_4arch9wavefront6targetE0EEEvT1_.has_dyn_sized_stack, 0
	.set _ZN7rocprim17ROCPRIM_400000_NS6detail17trampoline_kernelINS0_14default_configENS1_27scan_by_key_config_selectorIxxEEZZNS1_16scan_by_key_implILNS1_25lookback_scan_determinismE0ELb0ES3_N6thrust23THRUST_200600_302600_NS6detail15normal_iteratorINS9_10device_ptrIxEEEENS9_18transform_iteratorINS9_6negateIxEESE_NS9_11use_defaultESI_EESE_xNS9_4plusIvEENS9_8equal_toIvEExEE10hipError_tPvRmT2_T3_T4_T5_mT6_T7_P12ihipStream_tbENKUlT_T0_E_clISt17integral_constantIbLb1EES14_EEDaSZ_S10_EUlSZ_E_NS1_11comp_targetILNS1_3genE10ELNS1_11target_archE1201ELNS1_3gpuE5ELNS1_3repE0EEENS1_30default_config_static_selectorELNS0_4arch9wavefront6targetE0EEEvT1_.has_recursion, 0
	.set _ZN7rocprim17ROCPRIM_400000_NS6detail17trampoline_kernelINS0_14default_configENS1_27scan_by_key_config_selectorIxxEEZZNS1_16scan_by_key_implILNS1_25lookback_scan_determinismE0ELb0ES3_N6thrust23THRUST_200600_302600_NS6detail15normal_iteratorINS9_10device_ptrIxEEEENS9_18transform_iteratorINS9_6negateIxEESE_NS9_11use_defaultESI_EESE_xNS9_4plusIvEENS9_8equal_toIvEExEE10hipError_tPvRmT2_T3_T4_T5_mT6_T7_P12ihipStream_tbENKUlT_T0_E_clISt17integral_constantIbLb1EES14_EEDaSZ_S10_EUlSZ_E_NS1_11comp_targetILNS1_3genE10ELNS1_11target_archE1201ELNS1_3gpuE5ELNS1_3repE0EEENS1_30default_config_static_selectorELNS0_4arch9wavefront6targetE0EEEvT1_.has_indirect_call, 0
	.section	.AMDGPU.csdata,"",@progbits
; Kernel info:
; codeLenInByte = 0
; TotalNumSgprs: 0
; NumVgprs: 0
; ScratchSize: 0
; MemoryBound: 0
; FloatMode: 240
; IeeeMode: 1
; LDSByteSize: 0 bytes/workgroup (compile time only)
; SGPRBlocks: 0
; VGPRBlocks: 0
; NumSGPRsForWavesPerEU: 1
; NumVGPRsForWavesPerEU: 1
; NamedBarCnt: 0
; Occupancy: 16
; WaveLimiterHint : 0
; COMPUTE_PGM_RSRC2:SCRATCH_EN: 0
; COMPUTE_PGM_RSRC2:USER_SGPR: 2
; COMPUTE_PGM_RSRC2:TRAP_HANDLER: 0
; COMPUTE_PGM_RSRC2:TGID_X_EN: 1
; COMPUTE_PGM_RSRC2:TGID_Y_EN: 0
; COMPUTE_PGM_RSRC2:TGID_Z_EN: 0
; COMPUTE_PGM_RSRC2:TIDIG_COMP_CNT: 0
	.section	.text._ZN7rocprim17ROCPRIM_400000_NS6detail17trampoline_kernelINS0_14default_configENS1_27scan_by_key_config_selectorIxxEEZZNS1_16scan_by_key_implILNS1_25lookback_scan_determinismE0ELb0ES3_N6thrust23THRUST_200600_302600_NS6detail15normal_iteratorINS9_10device_ptrIxEEEENS9_18transform_iteratorINS9_6negateIxEESE_NS9_11use_defaultESI_EESE_xNS9_4plusIvEENS9_8equal_toIvEExEE10hipError_tPvRmT2_T3_T4_T5_mT6_T7_P12ihipStream_tbENKUlT_T0_E_clISt17integral_constantIbLb1EES14_EEDaSZ_S10_EUlSZ_E_NS1_11comp_targetILNS1_3genE5ELNS1_11target_archE942ELNS1_3gpuE9ELNS1_3repE0EEENS1_30default_config_static_selectorELNS0_4arch9wavefront6targetE0EEEvT1_,"axG",@progbits,_ZN7rocprim17ROCPRIM_400000_NS6detail17trampoline_kernelINS0_14default_configENS1_27scan_by_key_config_selectorIxxEEZZNS1_16scan_by_key_implILNS1_25lookback_scan_determinismE0ELb0ES3_N6thrust23THRUST_200600_302600_NS6detail15normal_iteratorINS9_10device_ptrIxEEEENS9_18transform_iteratorINS9_6negateIxEESE_NS9_11use_defaultESI_EESE_xNS9_4plusIvEENS9_8equal_toIvEExEE10hipError_tPvRmT2_T3_T4_T5_mT6_T7_P12ihipStream_tbENKUlT_T0_E_clISt17integral_constantIbLb1EES14_EEDaSZ_S10_EUlSZ_E_NS1_11comp_targetILNS1_3genE5ELNS1_11target_archE942ELNS1_3gpuE9ELNS1_3repE0EEENS1_30default_config_static_selectorELNS0_4arch9wavefront6targetE0EEEvT1_,comdat
	.protected	_ZN7rocprim17ROCPRIM_400000_NS6detail17trampoline_kernelINS0_14default_configENS1_27scan_by_key_config_selectorIxxEEZZNS1_16scan_by_key_implILNS1_25lookback_scan_determinismE0ELb0ES3_N6thrust23THRUST_200600_302600_NS6detail15normal_iteratorINS9_10device_ptrIxEEEENS9_18transform_iteratorINS9_6negateIxEESE_NS9_11use_defaultESI_EESE_xNS9_4plusIvEENS9_8equal_toIvEExEE10hipError_tPvRmT2_T3_T4_T5_mT6_T7_P12ihipStream_tbENKUlT_T0_E_clISt17integral_constantIbLb1EES14_EEDaSZ_S10_EUlSZ_E_NS1_11comp_targetILNS1_3genE5ELNS1_11target_archE942ELNS1_3gpuE9ELNS1_3repE0EEENS1_30default_config_static_selectorELNS0_4arch9wavefront6targetE0EEEvT1_ ; -- Begin function _ZN7rocprim17ROCPRIM_400000_NS6detail17trampoline_kernelINS0_14default_configENS1_27scan_by_key_config_selectorIxxEEZZNS1_16scan_by_key_implILNS1_25lookback_scan_determinismE0ELb0ES3_N6thrust23THRUST_200600_302600_NS6detail15normal_iteratorINS9_10device_ptrIxEEEENS9_18transform_iteratorINS9_6negateIxEESE_NS9_11use_defaultESI_EESE_xNS9_4plusIvEENS9_8equal_toIvEExEE10hipError_tPvRmT2_T3_T4_T5_mT6_T7_P12ihipStream_tbENKUlT_T0_E_clISt17integral_constantIbLb1EES14_EEDaSZ_S10_EUlSZ_E_NS1_11comp_targetILNS1_3genE5ELNS1_11target_archE942ELNS1_3gpuE9ELNS1_3repE0EEENS1_30default_config_static_selectorELNS0_4arch9wavefront6targetE0EEEvT1_
	.globl	_ZN7rocprim17ROCPRIM_400000_NS6detail17trampoline_kernelINS0_14default_configENS1_27scan_by_key_config_selectorIxxEEZZNS1_16scan_by_key_implILNS1_25lookback_scan_determinismE0ELb0ES3_N6thrust23THRUST_200600_302600_NS6detail15normal_iteratorINS9_10device_ptrIxEEEENS9_18transform_iteratorINS9_6negateIxEESE_NS9_11use_defaultESI_EESE_xNS9_4plusIvEENS9_8equal_toIvEExEE10hipError_tPvRmT2_T3_T4_T5_mT6_T7_P12ihipStream_tbENKUlT_T0_E_clISt17integral_constantIbLb1EES14_EEDaSZ_S10_EUlSZ_E_NS1_11comp_targetILNS1_3genE5ELNS1_11target_archE942ELNS1_3gpuE9ELNS1_3repE0EEENS1_30default_config_static_selectorELNS0_4arch9wavefront6targetE0EEEvT1_
	.p2align	8
	.type	_ZN7rocprim17ROCPRIM_400000_NS6detail17trampoline_kernelINS0_14default_configENS1_27scan_by_key_config_selectorIxxEEZZNS1_16scan_by_key_implILNS1_25lookback_scan_determinismE0ELb0ES3_N6thrust23THRUST_200600_302600_NS6detail15normal_iteratorINS9_10device_ptrIxEEEENS9_18transform_iteratorINS9_6negateIxEESE_NS9_11use_defaultESI_EESE_xNS9_4plusIvEENS9_8equal_toIvEExEE10hipError_tPvRmT2_T3_T4_T5_mT6_T7_P12ihipStream_tbENKUlT_T0_E_clISt17integral_constantIbLb1EES14_EEDaSZ_S10_EUlSZ_E_NS1_11comp_targetILNS1_3genE5ELNS1_11target_archE942ELNS1_3gpuE9ELNS1_3repE0EEENS1_30default_config_static_selectorELNS0_4arch9wavefront6targetE0EEEvT1_,@function
_ZN7rocprim17ROCPRIM_400000_NS6detail17trampoline_kernelINS0_14default_configENS1_27scan_by_key_config_selectorIxxEEZZNS1_16scan_by_key_implILNS1_25lookback_scan_determinismE0ELb0ES3_N6thrust23THRUST_200600_302600_NS6detail15normal_iteratorINS9_10device_ptrIxEEEENS9_18transform_iteratorINS9_6negateIxEESE_NS9_11use_defaultESI_EESE_xNS9_4plusIvEENS9_8equal_toIvEExEE10hipError_tPvRmT2_T3_T4_T5_mT6_T7_P12ihipStream_tbENKUlT_T0_E_clISt17integral_constantIbLb1EES14_EEDaSZ_S10_EUlSZ_E_NS1_11comp_targetILNS1_3genE5ELNS1_11target_archE942ELNS1_3gpuE9ELNS1_3repE0EEENS1_30default_config_static_selectorELNS0_4arch9wavefront6targetE0EEEvT1_: ; @_ZN7rocprim17ROCPRIM_400000_NS6detail17trampoline_kernelINS0_14default_configENS1_27scan_by_key_config_selectorIxxEEZZNS1_16scan_by_key_implILNS1_25lookback_scan_determinismE0ELb0ES3_N6thrust23THRUST_200600_302600_NS6detail15normal_iteratorINS9_10device_ptrIxEEEENS9_18transform_iteratorINS9_6negateIxEESE_NS9_11use_defaultESI_EESE_xNS9_4plusIvEENS9_8equal_toIvEExEE10hipError_tPvRmT2_T3_T4_T5_mT6_T7_P12ihipStream_tbENKUlT_T0_E_clISt17integral_constantIbLb1EES14_EEDaSZ_S10_EUlSZ_E_NS1_11comp_targetILNS1_3genE5ELNS1_11target_archE942ELNS1_3gpuE9ELNS1_3repE0EEENS1_30default_config_static_selectorELNS0_4arch9wavefront6targetE0EEEvT1_
; %bb.0:
	.section	.rodata,"a",@progbits
	.p2align	6, 0x0
	.amdhsa_kernel _ZN7rocprim17ROCPRIM_400000_NS6detail17trampoline_kernelINS0_14default_configENS1_27scan_by_key_config_selectorIxxEEZZNS1_16scan_by_key_implILNS1_25lookback_scan_determinismE0ELb0ES3_N6thrust23THRUST_200600_302600_NS6detail15normal_iteratorINS9_10device_ptrIxEEEENS9_18transform_iteratorINS9_6negateIxEESE_NS9_11use_defaultESI_EESE_xNS9_4plusIvEENS9_8equal_toIvEExEE10hipError_tPvRmT2_T3_T4_T5_mT6_T7_P12ihipStream_tbENKUlT_T0_E_clISt17integral_constantIbLb1EES14_EEDaSZ_S10_EUlSZ_E_NS1_11comp_targetILNS1_3genE5ELNS1_11target_archE942ELNS1_3gpuE9ELNS1_3repE0EEENS1_30default_config_static_selectorELNS0_4arch9wavefront6targetE0EEEvT1_
		.amdhsa_group_segment_fixed_size 0
		.amdhsa_private_segment_fixed_size 0
		.amdhsa_kernarg_size 144
		.amdhsa_user_sgpr_count 2
		.amdhsa_user_sgpr_dispatch_ptr 0
		.amdhsa_user_sgpr_queue_ptr 0
		.amdhsa_user_sgpr_kernarg_segment_ptr 1
		.amdhsa_user_sgpr_dispatch_id 0
		.amdhsa_user_sgpr_kernarg_preload_length 0
		.amdhsa_user_sgpr_kernarg_preload_offset 0
		.amdhsa_user_sgpr_private_segment_size 0
		.amdhsa_wavefront_size32 1
		.amdhsa_uses_dynamic_stack 0
		.amdhsa_enable_private_segment 0
		.amdhsa_system_sgpr_workgroup_id_x 1
		.amdhsa_system_sgpr_workgroup_id_y 0
		.amdhsa_system_sgpr_workgroup_id_z 0
		.amdhsa_system_sgpr_workgroup_info 0
		.amdhsa_system_vgpr_workitem_id 0
		.amdhsa_next_free_vgpr 1
		.amdhsa_next_free_sgpr 1
		.amdhsa_named_barrier_count 0
		.amdhsa_reserve_vcc 0
		.amdhsa_float_round_mode_32 0
		.amdhsa_float_round_mode_16_64 0
		.amdhsa_float_denorm_mode_32 3
		.amdhsa_float_denorm_mode_16_64 3
		.amdhsa_fp16_overflow 0
		.amdhsa_memory_ordered 1
		.amdhsa_forward_progress 1
		.amdhsa_inst_pref_size 0
		.amdhsa_round_robin_scheduling 0
		.amdhsa_exception_fp_ieee_invalid_op 0
		.amdhsa_exception_fp_denorm_src 0
		.amdhsa_exception_fp_ieee_div_zero 0
		.amdhsa_exception_fp_ieee_overflow 0
		.amdhsa_exception_fp_ieee_underflow 0
		.amdhsa_exception_fp_ieee_inexact 0
		.amdhsa_exception_int_div_zero 0
	.end_amdhsa_kernel
	.section	.text._ZN7rocprim17ROCPRIM_400000_NS6detail17trampoline_kernelINS0_14default_configENS1_27scan_by_key_config_selectorIxxEEZZNS1_16scan_by_key_implILNS1_25lookback_scan_determinismE0ELb0ES3_N6thrust23THRUST_200600_302600_NS6detail15normal_iteratorINS9_10device_ptrIxEEEENS9_18transform_iteratorINS9_6negateIxEESE_NS9_11use_defaultESI_EESE_xNS9_4plusIvEENS9_8equal_toIvEExEE10hipError_tPvRmT2_T3_T4_T5_mT6_T7_P12ihipStream_tbENKUlT_T0_E_clISt17integral_constantIbLb1EES14_EEDaSZ_S10_EUlSZ_E_NS1_11comp_targetILNS1_3genE5ELNS1_11target_archE942ELNS1_3gpuE9ELNS1_3repE0EEENS1_30default_config_static_selectorELNS0_4arch9wavefront6targetE0EEEvT1_,"axG",@progbits,_ZN7rocprim17ROCPRIM_400000_NS6detail17trampoline_kernelINS0_14default_configENS1_27scan_by_key_config_selectorIxxEEZZNS1_16scan_by_key_implILNS1_25lookback_scan_determinismE0ELb0ES3_N6thrust23THRUST_200600_302600_NS6detail15normal_iteratorINS9_10device_ptrIxEEEENS9_18transform_iteratorINS9_6negateIxEESE_NS9_11use_defaultESI_EESE_xNS9_4plusIvEENS9_8equal_toIvEExEE10hipError_tPvRmT2_T3_T4_T5_mT6_T7_P12ihipStream_tbENKUlT_T0_E_clISt17integral_constantIbLb1EES14_EEDaSZ_S10_EUlSZ_E_NS1_11comp_targetILNS1_3genE5ELNS1_11target_archE942ELNS1_3gpuE9ELNS1_3repE0EEENS1_30default_config_static_selectorELNS0_4arch9wavefront6targetE0EEEvT1_,comdat
.Lfunc_end904:
	.size	_ZN7rocprim17ROCPRIM_400000_NS6detail17trampoline_kernelINS0_14default_configENS1_27scan_by_key_config_selectorIxxEEZZNS1_16scan_by_key_implILNS1_25lookback_scan_determinismE0ELb0ES3_N6thrust23THRUST_200600_302600_NS6detail15normal_iteratorINS9_10device_ptrIxEEEENS9_18transform_iteratorINS9_6negateIxEESE_NS9_11use_defaultESI_EESE_xNS9_4plusIvEENS9_8equal_toIvEExEE10hipError_tPvRmT2_T3_T4_T5_mT6_T7_P12ihipStream_tbENKUlT_T0_E_clISt17integral_constantIbLb1EES14_EEDaSZ_S10_EUlSZ_E_NS1_11comp_targetILNS1_3genE5ELNS1_11target_archE942ELNS1_3gpuE9ELNS1_3repE0EEENS1_30default_config_static_selectorELNS0_4arch9wavefront6targetE0EEEvT1_, .Lfunc_end904-_ZN7rocprim17ROCPRIM_400000_NS6detail17trampoline_kernelINS0_14default_configENS1_27scan_by_key_config_selectorIxxEEZZNS1_16scan_by_key_implILNS1_25lookback_scan_determinismE0ELb0ES3_N6thrust23THRUST_200600_302600_NS6detail15normal_iteratorINS9_10device_ptrIxEEEENS9_18transform_iteratorINS9_6negateIxEESE_NS9_11use_defaultESI_EESE_xNS9_4plusIvEENS9_8equal_toIvEExEE10hipError_tPvRmT2_T3_T4_T5_mT6_T7_P12ihipStream_tbENKUlT_T0_E_clISt17integral_constantIbLb1EES14_EEDaSZ_S10_EUlSZ_E_NS1_11comp_targetILNS1_3genE5ELNS1_11target_archE942ELNS1_3gpuE9ELNS1_3repE0EEENS1_30default_config_static_selectorELNS0_4arch9wavefront6targetE0EEEvT1_
                                        ; -- End function
	.set _ZN7rocprim17ROCPRIM_400000_NS6detail17trampoline_kernelINS0_14default_configENS1_27scan_by_key_config_selectorIxxEEZZNS1_16scan_by_key_implILNS1_25lookback_scan_determinismE0ELb0ES3_N6thrust23THRUST_200600_302600_NS6detail15normal_iteratorINS9_10device_ptrIxEEEENS9_18transform_iteratorINS9_6negateIxEESE_NS9_11use_defaultESI_EESE_xNS9_4plusIvEENS9_8equal_toIvEExEE10hipError_tPvRmT2_T3_T4_T5_mT6_T7_P12ihipStream_tbENKUlT_T0_E_clISt17integral_constantIbLb1EES14_EEDaSZ_S10_EUlSZ_E_NS1_11comp_targetILNS1_3genE5ELNS1_11target_archE942ELNS1_3gpuE9ELNS1_3repE0EEENS1_30default_config_static_selectorELNS0_4arch9wavefront6targetE0EEEvT1_.num_vgpr, 0
	.set _ZN7rocprim17ROCPRIM_400000_NS6detail17trampoline_kernelINS0_14default_configENS1_27scan_by_key_config_selectorIxxEEZZNS1_16scan_by_key_implILNS1_25lookback_scan_determinismE0ELb0ES3_N6thrust23THRUST_200600_302600_NS6detail15normal_iteratorINS9_10device_ptrIxEEEENS9_18transform_iteratorINS9_6negateIxEESE_NS9_11use_defaultESI_EESE_xNS9_4plusIvEENS9_8equal_toIvEExEE10hipError_tPvRmT2_T3_T4_T5_mT6_T7_P12ihipStream_tbENKUlT_T0_E_clISt17integral_constantIbLb1EES14_EEDaSZ_S10_EUlSZ_E_NS1_11comp_targetILNS1_3genE5ELNS1_11target_archE942ELNS1_3gpuE9ELNS1_3repE0EEENS1_30default_config_static_selectorELNS0_4arch9wavefront6targetE0EEEvT1_.num_agpr, 0
	.set _ZN7rocprim17ROCPRIM_400000_NS6detail17trampoline_kernelINS0_14default_configENS1_27scan_by_key_config_selectorIxxEEZZNS1_16scan_by_key_implILNS1_25lookback_scan_determinismE0ELb0ES3_N6thrust23THRUST_200600_302600_NS6detail15normal_iteratorINS9_10device_ptrIxEEEENS9_18transform_iteratorINS9_6negateIxEESE_NS9_11use_defaultESI_EESE_xNS9_4plusIvEENS9_8equal_toIvEExEE10hipError_tPvRmT2_T3_T4_T5_mT6_T7_P12ihipStream_tbENKUlT_T0_E_clISt17integral_constantIbLb1EES14_EEDaSZ_S10_EUlSZ_E_NS1_11comp_targetILNS1_3genE5ELNS1_11target_archE942ELNS1_3gpuE9ELNS1_3repE0EEENS1_30default_config_static_selectorELNS0_4arch9wavefront6targetE0EEEvT1_.numbered_sgpr, 0
	.set _ZN7rocprim17ROCPRIM_400000_NS6detail17trampoline_kernelINS0_14default_configENS1_27scan_by_key_config_selectorIxxEEZZNS1_16scan_by_key_implILNS1_25lookback_scan_determinismE0ELb0ES3_N6thrust23THRUST_200600_302600_NS6detail15normal_iteratorINS9_10device_ptrIxEEEENS9_18transform_iteratorINS9_6negateIxEESE_NS9_11use_defaultESI_EESE_xNS9_4plusIvEENS9_8equal_toIvEExEE10hipError_tPvRmT2_T3_T4_T5_mT6_T7_P12ihipStream_tbENKUlT_T0_E_clISt17integral_constantIbLb1EES14_EEDaSZ_S10_EUlSZ_E_NS1_11comp_targetILNS1_3genE5ELNS1_11target_archE942ELNS1_3gpuE9ELNS1_3repE0EEENS1_30default_config_static_selectorELNS0_4arch9wavefront6targetE0EEEvT1_.num_named_barrier, 0
	.set _ZN7rocprim17ROCPRIM_400000_NS6detail17trampoline_kernelINS0_14default_configENS1_27scan_by_key_config_selectorIxxEEZZNS1_16scan_by_key_implILNS1_25lookback_scan_determinismE0ELb0ES3_N6thrust23THRUST_200600_302600_NS6detail15normal_iteratorINS9_10device_ptrIxEEEENS9_18transform_iteratorINS9_6negateIxEESE_NS9_11use_defaultESI_EESE_xNS9_4plusIvEENS9_8equal_toIvEExEE10hipError_tPvRmT2_T3_T4_T5_mT6_T7_P12ihipStream_tbENKUlT_T0_E_clISt17integral_constantIbLb1EES14_EEDaSZ_S10_EUlSZ_E_NS1_11comp_targetILNS1_3genE5ELNS1_11target_archE942ELNS1_3gpuE9ELNS1_3repE0EEENS1_30default_config_static_selectorELNS0_4arch9wavefront6targetE0EEEvT1_.private_seg_size, 0
	.set _ZN7rocprim17ROCPRIM_400000_NS6detail17trampoline_kernelINS0_14default_configENS1_27scan_by_key_config_selectorIxxEEZZNS1_16scan_by_key_implILNS1_25lookback_scan_determinismE0ELb0ES3_N6thrust23THRUST_200600_302600_NS6detail15normal_iteratorINS9_10device_ptrIxEEEENS9_18transform_iteratorINS9_6negateIxEESE_NS9_11use_defaultESI_EESE_xNS9_4plusIvEENS9_8equal_toIvEExEE10hipError_tPvRmT2_T3_T4_T5_mT6_T7_P12ihipStream_tbENKUlT_T0_E_clISt17integral_constantIbLb1EES14_EEDaSZ_S10_EUlSZ_E_NS1_11comp_targetILNS1_3genE5ELNS1_11target_archE942ELNS1_3gpuE9ELNS1_3repE0EEENS1_30default_config_static_selectorELNS0_4arch9wavefront6targetE0EEEvT1_.uses_vcc, 0
	.set _ZN7rocprim17ROCPRIM_400000_NS6detail17trampoline_kernelINS0_14default_configENS1_27scan_by_key_config_selectorIxxEEZZNS1_16scan_by_key_implILNS1_25lookback_scan_determinismE0ELb0ES3_N6thrust23THRUST_200600_302600_NS6detail15normal_iteratorINS9_10device_ptrIxEEEENS9_18transform_iteratorINS9_6negateIxEESE_NS9_11use_defaultESI_EESE_xNS9_4plusIvEENS9_8equal_toIvEExEE10hipError_tPvRmT2_T3_T4_T5_mT6_T7_P12ihipStream_tbENKUlT_T0_E_clISt17integral_constantIbLb1EES14_EEDaSZ_S10_EUlSZ_E_NS1_11comp_targetILNS1_3genE5ELNS1_11target_archE942ELNS1_3gpuE9ELNS1_3repE0EEENS1_30default_config_static_selectorELNS0_4arch9wavefront6targetE0EEEvT1_.uses_flat_scratch, 0
	.set _ZN7rocprim17ROCPRIM_400000_NS6detail17trampoline_kernelINS0_14default_configENS1_27scan_by_key_config_selectorIxxEEZZNS1_16scan_by_key_implILNS1_25lookback_scan_determinismE0ELb0ES3_N6thrust23THRUST_200600_302600_NS6detail15normal_iteratorINS9_10device_ptrIxEEEENS9_18transform_iteratorINS9_6negateIxEESE_NS9_11use_defaultESI_EESE_xNS9_4plusIvEENS9_8equal_toIvEExEE10hipError_tPvRmT2_T3_T4_T5_mT6_T7_P12ihipStream_tbENKUlT_T0_E_clISt17integral_constantIbLb1EES14_EEDaSZ_S10_EUlSZ_E_NS1_11comp_targetILNS1_3genE5ELNS1_11target_archE942ELNS1_3gpuE9ELNS1_3repE0EEENS1_30default_config_static_selectorELNS0_4arch9wavefront6targetE0EEEvT1_.has_dyn_sized_stack, 0
	.set _ZN7rocprim17ROCPRIM_400000_NS6detail17trampoline_kernelINS0_14default_configENS1_27scan_by_key_config_selectorIxxEEZZNS1_16scan_by_key_implILNS1_25lookback_scan_determinismE0ELb0ES3_N6thrust23THRUST_200600_302600_NS6detail15normal_iteratorINS9_10device_ptrIxEEEENS9_18transform_iteratorINS9_6negateIxEESE_NS9_11use_defaultESI_EESE_xNS9_4plusIvEENS9_8equal_toIvEExEE10hipError_tPvRmT2_T3_T4_T5_mT6_T7_P12ihipStream_tbENKUlT_T0_E_clISt17integral_constantIbLb1EES14_EEDaSZ_S10_EUlSZ_E_NS1_11comp_targetILNS1_3genE5ELNS1_11target_archE942ELNS1_3gpuE9ELNS1_3repE0EEENS1_30default_config_static_selectorELNS0_4arch9wavefront6targetE0EEEvT1_.has_recursion, 0
	.set _ZN7rocprim17ROCPRIM_400000_NS6detail17trampoline_kernelINS0_14default_configENS1_27scan_by_key_config_selectorIxxEEZZNS1_16scan_by_key_implILNS1_25lookback_scan_determinismE0ELb0ES3_N6thrust23THRUST_200600_302600_NS6detail15normal_iteratorINS9_10device_ptrIxEEEENS9_18transform_iteratorINS9_6negateIxEESE_NS9_11use_defaultESI_EESE_xNS9_4plusIvEENS9_8equal_toIvEExEE10hipError_tPvRmT2_T3_T4_T5_mT6_T7_P12ihipStream_tbENKUlT_T0_E_clISt17integral_constantIbLb1EES14_EEDaSZ_S10_EUlSZ_E_NS1_11comp_targetILNS1_3genE5ELNS1_11target_archE942ELNS1_3gpuE9ELNS1_3repE0EEENS1_30default_config_static_selectorELNS0_4arch9wavefront6targetE0EEEvT1_.has_indirect_call, 0
	.section	.AMDGPU.csdata,"",@progbits
; Kernel info:
; codeLenInByte = 0
; TotalNumSgprs: 0
; NumVgprs: 0
; ScratchSize: 0
; MemoryBound: 0
; FloatMode: 240
; IeeeMode: 1
; LDSByteSize: 0 bytes/workgroup (compile time only)
; SGPRBlocks: 0
; VGPRBlocks: 0
; NumSGPRsForWavesPerEU: 1
; NumVGPRsForWavesPerEU: 1
; NamedBarCnt: 0
; Occupancy: 16
; WaveLimiterHint : 0
; COMPUTE_PGM_RSRC2:SCRATCH_EN: 0
; COMPUTE_PGM_RSRC2:USER_SGPR: 2
; COMPUTE_PGM_RSRC2:TRAP_HANDLER: 0
; COMPUTE_PGM_RSRC2:TGID_X_EN: 1
; COMPUTE_PGM_RSRC2:TGID_Y_EN: 0
; COMPUTE_PGM_RSRC2:TGID_Z_EN: 0
; COMPUTE_PGM_RSRC2:TIDIG_COMP_CNT: 0
	.section	.text._ZN7rocprim17ROCPRIM_400000_NS6detail17trampoline_kernelINS0_14default_configENS1_27scan_by_key_config_selectorIxxEEZZNS1_16scan_by_key_implILNS1_25lookback_scan_determinismE0ELb0ES3_N6thrust23THRUST_200600_302600_NS6detail15normal_iteratorINS9_10device_ptrIxEEEENS9_18transform_iteratorINS9_6negateIxEESE_NS9_11use_defaultESI_EESE_xNS9_4plusIvEENS9_8equal_toIvEExEE10hipError_tPvRmT2_T3_T4_T5_mT6_T7_P12ihipStream_tbENKUlT_T0_E_clISt17integral_constantIbLb1EES14_EEDaSZ_S10_EUlSZ_E_NS1_11comp_targetILNS1_3genE4ELNS1_11target_archE910ELNS1_3gpuE8ELNS1_3repE0EEENS1_30default_config_static_selectorELNS0_4arch9wavefront6targetE0EEEvT1_,"axG",@progbits,_ZN7rocprim17ROCPRIM_400000_NS6detail17trampoline_kernelINS0_14default_configENS1_27scan_by_key_config_selectorIxxEEZZNS1_16scan_by_key_implILNS1_25lookback_scan_determinismE0ELb0ES3_N6thrust23THRUST_200600_302600_NS6detail15normal_iteratorINS9_10device_ptrIxEEEENS9_18transform_iteratorINS9_6negateIxEESE_NS9_11use_defaultESI_EESE_xNS9_4plusIvEENS9_8equal_toIvEExEE10hipError_tPvRmT2_T3_T4_T5_mT6_T7_P12ihipStream_tbENKUlT_T0_E_clISt17integral_constantIbLb1EES14_EEDaSZ_S10_EUlSZ_E_NS1_11comp_targetILNS1_3genE4ELNS1_11target_archE910ELNS1_3gpuE8ELNS1_3repE0EEENS1_30default_config_static_selectorELNS0_4arch9wavefront6targetE0EEEvT1_,comdat
	.protected	_ZN7rocprim17ROCPRIM_400000_NS6detail17trampoline_kernelINS0_14default_configENS1_27scan_by_key_config_selectorIxxEEZZNS1_16scan_by_key_implILNS1_25lookback_scan_determinismE0ELb0ES3_N6thrust23THRUST_200600_302600_NS6detail15normal_iteratorINS9_10device_ptrIxEEEENS9_18transform_iteratorINS9_6negateIxEESE_NS9_11use_defaultESI_EESE_xNS9_4plusIvEENS9_8equal_toIvEExEE10hipError_tPvRmT2_T3_T4_T5_mT6_T7_P12ihipStream_tbENKUlT_T0_E_clISt17integral_constantIbLb1EES14_EEDaSZ_S10_EUlSZ_E_NS1_11comp_targetILNS1_3genE4ELNS1_11target_archE910ELNS1_3gpuE8ELNS1_3repE0EEENS1_30default_config_static_selectorELNS0_4arch9wavefront6targetE0EEEvT1_ ; -- Begin function _ZN7rocprim17ROCPRIM_400000_NS6detail17trampoline_kernelINS0_14default_configENS1_27scan_by_key_config_selectorIxxEEZZNS1_16scan_by_key_implILNS1_25lookback_scan_determinismE0ELb0ES3_N6thrust23THRUST_200600_302600_NS6detail15normal_iteratorINS9_10device_ptrIxEEEENS9_18transform_iteratorINS9_6negateIxEESE_NS9_11use_defaultESI_EESE_xNS9_4plusIvEENS9_8equal_toIvEExEE10hipError_tPvRmT2_T3_T4_T5_mT6_T7_P12ihipStream_tbENKUlT_T0_E_clISt17integral_constantIbLb1EES14_EEDaSZ_S10_EUlSZ_E_NS1_11comp_targetILNS1_3genE4ELNS1_11target_archE910ELNS1_3gpuE8ELNS1_3repE0EEENS1_30default_config_static_selectorELNS0_4arch9wavefront6targetE0EEEvT1_
	.globl	_ZN7rocprim17ROCPRIM_400000_NS6detail17trampoline_kernelINS0_14default_configENS1_27scan_by_key_config_selectorIxxEEZZNS1_16scan_by_key_implILNS1_25lookback_scan_determinismE0ELb0ES3_N6thrust23THRUST_200600_302600_NS6detail15normal_iteratorINS9_10device_ptrIxEEEENS9_18transform_iteratorINS9_6negateIxEESE_NS9_11use_defaultESI_EESE_xNS9_4plusIvEENS9_8equal_toIvEExEE10hipError_tPvRmT2_T3_T4_T5_mT6_T7_P12ihipStream_tbENKUlT_T0_E_clISt17integral_constantIbLb1EES14_EEDaSZ_S10_EUlSZ_E_NS1_11comp_targetILNS1_3genE4ELNS1_11target_archE910ELNS1_3gpuE8ELNS1_3repE0EEENS1_30default_config_static_selectorELNS0_4arch9wavefront6targetE0EEEvT1_
	.p2align	8
	.type	_ZN7rocprim17ROCPRIM_400000_NS6detail17trampoline_kernelINS0_14default_configENS1_27scan_by_key_config_selectorIxxEEZZNS1_16scan_by_key_implILNS1_25lookback_scan_determinismE0ELb0ES3_N6thrust23THRUST_200600_302600_NS6detail15normal_iteratorINS9_10device_ptrIxEEEENS9_18transform_iteratorINS9_6negateIxEESE_NS9_11use_defaultESI_EESE_xNS9_4plusIvEENS9_8equal_toIvEExEE10hipError_tPvRmT2_T3_T4_T5_mT6_T7_P12ihipStream_tbENKUlT_T0_E_clISt17integral_constantIbLb1EES14_EEDaSZ_S10_EUlSZ_E_NS1_11comp_targetILNS1_3genE4ELNS1_11target_archE910ELNS1_3gpuE8ELNS1_3repE0EEENS1_30default_config_static_selectorELNS0_4arch9wavefront6targetE0EEEvT1_,@function
_ZN7rocprim17ROCPRIM_400000_NS6detail17trampoline_kernelINS0_14default_configENS1_27scan_by_key_config_selectorIxxEEZZNS1_16scan_by_key_implILNS1_25lookback_scan_determinismE0ELb0ES3_N6thrust23THRUST_200600_302600_NS6detail15normal_iteratorINS9_10device_ptrIxEEEENS9_18transform_iteratorINS9_6negateIxEESE_NS9_11use_defaultESI_EESE_xNS9_4plusIvEENS9_8equal_toIvEExEE10hipError_tPvRmT2_T3_T4_T5_mT6_T7_P12ihipStream_tbENKUlT_T0_E_clISt17integral_constantIbLb1EES14_EEDaSZ_S10_EUlSZ_E_NS1_11comp_targetILNS1_3genE4ELNS1_11target_archE910ELNS1_3gpuE8ELNS1_3repE0EEENS1_30default_config_static_selectorELNS0_4arch9wavefront6targetE0EEEvT1_: ; @_ZN7rocprim17ROCPRIM_400000_NS6detail17trampoline_kernelINS0_14default_configENS1_27scan_by_key_config_selectorIxxEEZZNS1_16scan_by_key_implILNS1_25lookback_scan_determinismE0ELb0ES3_N6thrust23THRUST_200600_302600_NS6detail15normal_iteratorINS9_10device_ptrIxEEEENS9_18transform_iteratorINS9_6negateIxEESE_NS9_11use_defaultESI_EESE_xNS9_4plusIvEENS9_8equal_toIvEExEE10hipError_tPvRmT2_T3_T4_T5_mT6_T7_P12ihipStream_tbENKUlT_T0_E_clISt17integral_constantIbLb1EES14_EEDaSZ_S10_EUlSZ_E_NS1_11comp_targetILNS1_3genE4ELNS1_11target_archE910ELNS1_3gpuE8ELNS1_3repE0EEENS1_30default_config_static_selectorELNS0_4arch9wavefront6targetE0EEEvT1_
; %bb.0:
	.section	.rodata,"a",@progbits
	.p2align	6, 0x0
	.amdhsa_kernel _ZN7rocprim17ROCPRIM_400000_NS6detail17trampoline_kernelINS0_14default_configENS1_27scan_by_key_config_selectorIxxEEZZNS1_16scan_by_key_implILNS1_25lookback_scan_determinismE0ELb0ES3_N6thrust23THRUST_200600_302600_NS6detail15normal_iteratorINS9_10device_ptrIxEEEENS9_18transform_iteratorINS9_6negateIxEESE_NS9_11use_defaultESI_EESE_xNS9_4plusIvEENS9_8equal_toIvEExEE10hipError_tPvRmT2_T3_T4_T5_mT6_T7_P12ihipStream_tbENKUlT_T0_E_clISt17integral_constantIbLb1EES14_EEDaSZ_S10_EUlSZ_E_NS1_11comp_targetILNS1_3genE4ELNS1_11target_archE910ELNS1_3gpuE8ELNS1_3repE0EEENS1_30default_config_static_selectorELNS0_4arch9wavefront6targetE0EEEvT1_
		.amdhsa_group_segment_fixed_size 0
		.amdhsa_private_segment_fixed_size 0
		.amdhsa_kernarg_size 144
		.amdhsa_user_sgpr_count 2
		.amdhsa_user_sgpr_dispatch_ptr 0
		.amdhsa_user_sgpr_queue_ptr 0
		.amdhsa_user_sgpr_kernarg_segment_ptr 1
		.amdhsa_user_sgpr_dispatch_id 0
		.amdhsa_user_sgpr_kernarg_preload_length 0
		.amdhsa_user_sgpr_kernarg_preload_offset 0
		.amdhsa_user_sgpr_private_segment_size 0
		.amdhsa_wavefront_size32 1
		.amdhsa_uses_dynamic_stack 0
		.amdhsa_enable_private_segment 0
		.amdhsa_system_sgpr_workgroup_id_x 1
		.amdhsa_system_sgpr_workgroup_id_y 0
		.amdhsa_system_sgpr_workgroup_id_z 0
		.amdhsa_system_sgpr_workgroup_info 0
		.amdhsa_system_vgpr_workitem_id 0
		.amdhsa_next_free_vgpr 1
		.amdhsa_next_free_sgpr 1
		.amdhsa_named_barrier_count 0
		.amdhsa_reserve_vcc 0
		.amdhsa_float_round_mode_32 0
		.amdhsa_float_round_mode_16_64 0
		.amdhsa_float_denorm_mode_32 3
		.amdhsa_float_denorm_mode_16_64 3
		.amdhsa_fp16_overflow 0
		.amdhsa_memory_ordered 1
		.amdhsa_forward_progress 1
		.amdhsa_inst_pref_size 0
		.amdhsa_round_robin_scheduling 0
		.amdhsa_exception_fp_ieee_invalid_op 0
		.amdhsa_exception_fp_denorm_src 0
		.amdhsa_exception_fp_ieee_div_zero 0
		.amdhsa_exception_fp_ieee_overflow 0
		.amdhsa_exception_fp_ieee_underflow 0
		.amdhsa_exception_fp_ieee_inexact 0
		.amdhsa_exception_int_div_zero 0
	.end_amdhsa_kernel
	.section	.text._ZN7rocprim17ROCPRIM_400000_NS6detail17trampoline_kernelINS0_14default_configENS1_27scan_by_key_config_selectorIxxEEZZNS1_16scan_by_key_implILNS1_25lookback_scan_determinismE0ELb0ES3_N6thrust23THRUST_200600_302600_NS6detail15normal_iteratorINS9_10device_ptrIxEEEENS9_18transform_iteratorINS9_6negateIxEESE_NS9_11use_defaultESI_EESE_xNS9_4plusIvEENS9_8equal_toIvEExEE10hipError_tPvRmT2_T3_T4_T5_mT6_T7_P12ihipStream_tbENKUlT_T0_E_clISt17integral_constantIbLb1EES14_EEDaSZ_S10_EUlSZ_E_NS1_11comp_targetILNS1_3genE4ELNS1_11target_archE910ELNS1_3gpuE8ELNS1_3repE0EEENS1_30default_config_static_selectorELNS0_4arch9wavefront6targetE0EEEvT1_,"axG",@progbits,_ZN7rocprim17ROCPRIM_400000_NS6detail17trampoline_kernelINS0_14default_configENS1_27scan_by_key_config_selectorIxxEEZZNS1_16scan_by_key_implILNS1_25lookback_scan_determinismE0ELb0ES3_N6thrust23THRUST_200600_302600_NS6detail15normal_iteratorINS9_10device_ptrIxEEEENS9_18transform_iteratorINS9_6negateIxEESE_NS9_11use_defaultESI_EESE_xNS9_4plusIvEENS9_8equal_toIvEExEE10hipError_tPvRmT2_T3_T4_T5_mT6_T7_P12ihipStream_tbENKUlT_T0_E_clISt17integral_constantIbLb1EES14_EEDaSZ_S10_EUlSZ_E_NS1_11comp_targetILNS1_3genE4ELNS1_11target_archE910ELNS1_3gpuE8ELNS1_3repE0EEENS1_30default_config_static_selectorELNS0_4arch9wavefront6targetE0EEEvT1_,comdat
.Lfunc_end905:
	.size	_ZN7rocprim17ROCPRIM_400000_NS6detail17trampoline_kernelINS0_14default_configENS1_27scan_by_key_config_selectorIxxEEZZNS1_16scan_by_key_implILNS1_25lookback_scan_determinismE0ELb0ES3_N6thrust23THRUST_200600_302600_NS6detail15normal_iteratorINS9_10device_ptrIxEEEENS9_18transform_iteratorINS9_6negateIxEESE_NS9_11use_defaultESI_EESE_xNS9_4plusIvEENS9_8equal_toIvEExEE10hipError_tPvRmT2_T3_T4_T5_mT6_T7_P12ihipStream_tbENKUlT_T0_E_clISt17integral_constantIbLb1EES14_EEDaSZ_S10_EUlSZ_E_NS1_11comp_targetILNS1_3genE4ELNS1_11target_archE910ELNS1_3gpuE8ELNS1_3repE0EEENS1_30default_config_static_selectorELNS0_4arch9wavefront6targetE0EEEvT1_, .Lfunc_end905-_ZN7rocprim17ROCPRIM_400000_NS6detail17trampoline_kernelINS0_14default_configENS1_27scan_by_key_config_selectorIxxEEZZNS1_16scan_by_key_implILNS1_25lookback_scan_determinismE0ELb0ES3_N6thrust23THRUST_200600_302600_NS6detail15normal_iteratorINS9_10device_ptrIxEEEENS9_18transform_iteratorINS9_6negateIxEESE_NS9_11use_defaultESI_EESE_xNS9_4plusIvEENS9_8equal_toIvEExEE10hipError_tPvRmT2_T3_T4_T5_mT6_T7_P12ihipStream_tbENKUlT_T0_E_clISt17integral_constantIbLb1EES14_EEDaSZ_S10_EUlSZ_E_NS1_11comp_targetILNS1_3genE4ELNS1_11target_archE910ELNS1_3gpuE8ELNS1_3repE0EEENS1_30default_config_static_selectorELNS0_4arch9wavefront6targetE0EEEvT1_
                                        ; -- End function
	.set _ZN7rocprim17ROCPRIM_400000_NS6detail17trampoline_kernelINS0_14default_configENS1_27scan_by_key_config_selectorIxxEEZZNS1_16scan_by_key_implILNS1_25lookback_scan_determinismE0ELb0ES3_N6thrust23THRUST_200600_302600_NS6detail15normal_iteratorINS9_10device_ptrIxEEEENS9_18transform_iteratorINS9_6negateIxEESE_NS9_11use_defaultESI_EESE_xNS9_4plusIvEENS9_8equal_toIvEExEE10hipError_tPvRmT2_T3_T4_T5_mT6_T7_P12ihipStream_tbENKUlT_T0_E_clISt17integral_constantIbLb1EES14_EEDaSZ_S10_EUlSZ_E_NS1_11comp_targetILNS1_3genE4ELNS1_11target_archE910ELNS1_3gpuE8ELNS1_3repE0EEENS1_30default_config_static_selectorELNS0_4arch9wavefront6targetE0EEEvT1_.num_vgpr, 0
	.set _ZN7rocprim17ROCPRIM_400000_NS6detail17trampoline_kernelINS0_14default_configENS1_27scan_by_key_config_selectorIxxEEZZNS1_16scan_by_key_implILNS1_25lookback_scan_determinismE0ELb0ES3_N6thrust23THRUST_200600_302600_NS6detail15normal_iteratorINS9_10device_ptrIxEEEENS9_18transform_iteratorINS9_6negateIxEESE_NS9_11use_defaultESI_EESE_xNS9_4plusIvEENS9_8equal_toIvEExEE10hipError_tPvRmT2_T3_T4_T5_mT6_T7_P12ihipStream_tbENKUlT_T0_E_clISt17integral_constantIbLb1EES14_EEDaSZ_S10_EUlSZ_E_NS1_11comp_targetILNS1_3genE4ELNS1_11target_archE910ELNS1_3gpuE8ELNS1_3repE0EEENS1_30default_config_static_selectorELNS0_4arch9wavefront6targetE0EEEvT1_.num_agpr, 0
	.set _ZN7rocprim17ROCPRIM_400000_NS6detail17trampoline_kernelINS0_14default_configENS1_27scan_by_key_config_selectorIxxEEZZNS1_16scan_by_key_implILNS1_25lookback_scan_determinismE0ELb0ES3_N6thrust23THRUST_200600_302600_NS6detail15normal_iteratorINS9_10device_ptrIxEEEENS9_18transform_iteratorINS9_6negateIxEESE_NS9_11use_defaultESI_EESE_xNS9_4plusIvEENS9_8equal_toIvEExEE10hipError_tPvRmT2_T3_T4_T5_mT6_T7_P12ihipStream_tbENKUlT_T0_E_clISt17integral_constantIbLb1EES14_EEDaSZ_S10_EUlSZ_E_NS1_11comp_targetILNS1_3genE4ELNS1_11target_archE910ELNS1_3gpuE8ELNS1_3repE0EEENS1_30default_config_static_selectorELNS0_4arch9wavefront6targetE0EEEvT1_.numbered_sgpr, 0
	.set _ZN7rocprim17ROCPRIM_400000_NS6detail17trampoline_kernelINS0_14default_configENS1_27scan_by_key_config_selectorIxxEEZZNS1_16scan_by_key_implILNS1_25lookback_scan_determinismE0ELb0ES3_N6thrust23THRUST_200600_302600_NS6detail15normal_iteratorINS9_10device_ptrIxEEEENS9_18transform_iteratorINS9_6negateIxEESE_NS9_11use_defaultESI_EESE_xNS9_4plusIvEENS9_8equal_toIvEExEE10hipError_tPvRmT2_T3_T4_T5_mT6_T7_P12ihipStream_tbENKUlT_T0_E_clISt17integral_constantIbLb1EES14_EEDaSZ_S10_EUlSZ_E_NS1_11comp_targetILNS1_3genE4ELNS1_11target_archE910ELNS1_3gpuE8ELNS1_3repE0EEENS1_30default_config_static_selectorELNS0_4arch9wavefront6targetE0EEEvT1_.num_named_barrier, 0
	.set _ZN7rocprim17ROCPRIM_400000_NS6detail17trampoline_kernelINS0_14default_configENS1_27scan_by_key_config_selectorIxxEEZZNS1_16scan_by_key_implILNS1_25lookback_scan_determinismE0ELb0ES3_N6thrust23THRUST_200600_302600_NS6detail15normal_iteratorINS9_10device_ptrIxEEEENS9_18transform_iteratorINS9_6negateIxEESE_NS9_11use_defaultESI_EESE_xNS9_4plusIvEENS9_8equal_toIvEExEE10hipError_tPvRmT2_T3_T4_T5_mT6_T7_P12ihipStream_tbENKUlT_T0_E_clISt17integral_constantIbLb1EES14_EEDaSZ_S10_EUlSZ_E_NS1_11comp_targetILNS1_3genE4ELNS1_11target_archE910ELNS1_3gpuE8ELNS1_3repE0EEENS1_30default_config_static_selectorELNS0_4arch9wavefront6targetE0EEEvT1_.private_seg_size, 0
	.set _ZN7rocprim17ROCPRIM_400000_NS6detail17trampoline_kernelINS0_14default_configENS1_27scan_by_key_config_selectorIxxEEZZNS1_16scan_by_key_implILNS1_25lookback_scan_determinismE0ELb0ES3_N6thrust23THRUST_200600_302600_NS6detail15normal_iteratorINS9_10device_ptrIxEEEENS9_18transform_iteratorINS9_6negateIxEESE_NS9_11use_defaultESI_EESE_xNS9_4plusIvEENS9_8equal_toIvEExEE10hipError_tPvRmT2_T3_T4_T5_mT6_T7_P12ihipStream_tbENKUlT_T0_E_clISt17integral_constantIbLb1EES14_EEDaSZ_S10_EUlSZ_E_NS1_11comp_targetILNS1_3genE4ELNS1_11target_archE910ELNS1_3gpuE8ELNS1_3repE0EEENS1_30default_config_static_selectorELNS0_4arch9wavefront6targetE0EEEvT1_.uses_vcc, 0
	.set _ZN7rocprim17ROCPRIM_400000_NS6detail17trampoline_kernelINS0_14default_configENS1_27scan_by_key_config_selectorIxxEEZZNS1_16scan_by_key_implILNS1_25lookback_scan_determinismE0ELb0ES3_N6thrust23THRUST_200600_302600_NS6detail15normal_iteratorINS9_10device_ptrIxEEEENS9_18transform_iteratorINS9_6negateIxEESE_NS9_11use_defaultESI_EESE_xNS9_4plusIvEENS9_8equal_toIvEExEE10hipError_tPvRmT2_T3_T4_T5_mT6_T7_P12ihipStream_tbENKUlT_T0_E_clISt17integral_constantIbLb1EES14_EEDaSZ_S10_EUlSZ_E_NS1_11comp_targetILNS1_3genE4ELNS1_11target_archE910ELNS1_3gpuE8ELNS1_3repE0EEENS1_30default_config_static_selectorELNS0_4arch9wavefront6targetE0EEEvT1_.uses_flat_scratch, 0
	.set _ZN7rocprim17ROCPRIM_400000_NS6detail17trampoline_kernelINS0_14default_configENS1_27scan_by_key_config_selectorIxxEEZZNS1_16scan_by_key_implILNS1_25lookback_scan_determinismE0ELb0ES3_N6thrust23THRUST_200600_302600_NS6detail15normal_iteratorINS9_10device_ptrIxEEEENS9_18transform_iteratorINS9_6negateIxEESE_NS9_11use_defaultESI_EESE_xNS9_4plusIvEENS9_8equal_toIvEExEE10hipError_tPvRmT2_T3_T4_T5_mT6_T7_P12ihipStream_tbENKUlT_T0_E_clISt17integral_constantIbLb1EES14_EEDaSZ_S10_EUlSZ_E_NS1_11comp_targetILNS1_3genE4ELNS1_11target_archE910ELNS1_3gpuE8ELNS1_3repE0EEENS1_30default_config_static_selectorELNS0_4arch9wavefront6targetE0EEEvT1_.has_dyn_sized_stack, 0
	.set _ZN7rocprim17ROCPRIM_400000_NS6detail17trampoline_kernelINS0_14default_configENS1_27scan_by_key_config_selectorIxxEEZZNS1_16scan_by_key_implILNS1_25lookback_scan_determinismE0ELb0ES3_N6thrust23THRUST_200600_302600_NS6detail15normal_iteratorINS9_10device_ptrIxEEEENS9_18transform_iteratorINS9_6negateIxEESE_NS9_11use_defaultESI_EESE_xNS9_4plusIvEENS9_8equal_toIvEExEE10hipError_tPvRmT2_T3_T4_T5_mT6_T7_P12ihipStream_tbENKUlT_T0_E_clISt17integral_constantIbLb1EES14_EEDaSZ_S10_EUlSZ_E_NS1_11comp_targetILNS1_3genE4ELNS1_11target_archE910ELNS1_3gpuE8ELNS1_3repE0EEENS1_30default_config_static_selectorELNS0_4arch9wavefront6targetE0EEEvT1_.has_recursion, 0
	.set _ZN7rocprim17ROCPRIM_400000_NS6detail17trampoline_kernelINS0_14default_configENS1_27scan_by_key_config_selectorIxxEEZZNS1_16scan_by_key_implILNS1_25lookback_scan_determinismE0ELb0ES3_N6thrust23THRUST_200600_302600_NS6detail15normal_iteratorINS9_10device_ptrIxEEEENS9_18transform_iteratorINS9_6negateIxEESE_NS9_11use_defaultESI_EESE_xNS9_4plusIvEENS9_8equal_toIvEExEE10hipError_tPvRmT2_T3_T4_T5_mT6_T7_P12ihipStream_tbENKUlT_T0_E_clISt17integral_constantIbLb1EES14_EEDaSZ_S10_EUlSZ_E_NS1_11comp_targetILNS1_3genE4ELNS1_11target_archE910ELNS1_3gpuE8ELNS1_3repE0EEENS1_30default_config_static_selectorELNS0_4arch9wavefront6targetE0EEEvT1_.has_indirect_call, 0
	.section	.AMDGPU.csdata,"",@progbits
; Kernel info:
; codeLenInByte = 0
; TotalNumSgprs: 0
; NumVgprs: 0
; ScratchSize: 0
; MemoryBound: 0
; FloatMode: 240
; IeeeMode: 1
; LDSByteSize: 0 bytes/workgroup (compile time only)
; SGPRBlocks: 0
; VGPRBlocks: 0
; NumSGPRsForWavesPerEU: 1
; NumVGPRsForWavesPerEU: 1
; NamedBarCnt: 0
; Occupancy: 16
; WaveLimiterHint : 0
; COMPUTE_PGM_RSRC2:SCRATCH_EN: 0
; COMPUTE_PGM_RSRC2:USER_SGPR: 2
; COMPUTE_PGM_RSRC2:TRAP_HANDLER: 0
; COMPUTE_PGM_RSRC2:TGID_X_EN: 1
; COMPUTE_PGM_RSRC2:TGID_Y_EN: 0
; COMPUTE_PGM_RSRC2:TGID_Z_EN: 0
; COMPUTE_PGM_RSRC2:TIDIG_COMP_CNT: 0
	.section	.text._ZN7rocprim17ROCPRIM_400000_NS6detail17trampoline_kernelINS0_14default_configENS1_27scan_by_key_config_selectorIxxEEZZNS1_16scan_by_key_implILNS1_25lookback_scan_determinismE0ELb0ES3_N6thrust23THRUST_200600_302600_NS6detail15normal_iteratorINS9_10device_ptrIxEEEENS9_18transform_iteratorINS9_6negateIxEESE_NS9_11use_defaultESI_EESE_xNS9_4plusIvEENS9_8equal_toIvEExEE10hipError_tPvRmT2_T3_T4_T5_mT6_T7_P12ihipStream_tbENKUlT_T0_E_clISt17integral_constantIbLb1EES14_EEDaSZ_S10_EUlSZ_E_NS1_11comp_targetILNS1_3genE3ELNS1_11target_archE908ELNS1_3gpuE7ELNS1_3repE0EEENS1_30default_config_static_selectorELNS0_4arch9wavefront6targetE0EEEvT1_,"axG",@progbits,_ZN7rocprim17ROCPRIM_400000_NS6detail17trampoline_kernelINS0_14default_configENS1_27scan_by_key_config_selectorIxxEEZZNS1_16scan_by_key_implILNS1_25lookback_scan_determinismE0ELb0ES3_N6thrust23THRUST_200600_302600_NS6detail15normal_iteratorINS9_10device_ptrIxEEEENS9_18transform_iteratorINS9_6negateIxEESE_NS9_11use_defaultESI_EESE_xNS9_4plusIvEENS9_8equal_toIvEExEE10hipError_tPvRmT2_T3_T4_T5_mT6_T7_P12ihipStream_tbENKUlT_T0_E_clISt17integral_constantIbLb1EES14_EEDaSZ_S10_EUlSZ_E_NS1_11comp_targetILNS1_3genE3ELNS1_11target_archE908ELNS1_3gpuE7ELNS1_3repE0EEENS1_30default_config_static_selectorELNS0_4arch9wavefront6targetE0EEEvT1_,comdat
	.protected	_ZN7rocprim17ROCPRIM_400000_NS6detail17trampoline_kernelINS0_14default_configENS1_27scan_by_key_config_selectorIxxEEZZNS1_16scan_by_key_implILNS1_25lookback_scan_determinismE0ELb0ES3_N6thrust23THRUST_200600_302600_NS6detail15normal_iteratorINS9_10device_ptrIxEEEENS9_18transform_iteratorINS9_6negateIxEESE_NS9_11use_defaultESI_EESE_xNS9_4plusIvEENS9_8equal_toIvEExEE10hipError_tPvRmT2_T3_T4_T5_mT6_T7_P12ihipStream_tbENKUlT_T0_E_clISt17integral_constantIbLb1EES14_EEDaSZ_S10_EUlSZ_E_NS1_11comp_targetILNS1_3genE3ELNS1_11target_archE908ELNS1_3gpuE7ELNS1_3repE0EEENS1_30default_config_static_selectorELNS0_4arch9wavefront6targetE0EEEvT1_ ; -- Begin function _ZN7rocprim17ROCPRIM_400000_NS6detail17trampoline_kernelINS0_14default_configENS1_27scan_by_key_config_selectorIxxEEZZNS1_16scan_by_key_implILNS1_25lookback_scan_determinismE0ELb0ES3_N6thrust23THRUST_200600_302600_NS6detail15normal_iteratorINS9_10device_ptrIxEEEENS9_18transform_iteratorINS9_6negateIxEESE_NS9_11use_defaultESI_EESE_xNS9_4plusIvEENS9_8equal_toIvEExEE10hipError_tPvRmT2_T3_T4_T5_mT6_T7_P12ihipStream_tbENKUlT_T0_E_clISt17integral_constantIbLb1EES14_EEDaSZ_S10_EUlSZ_E_NS1_11comp_targetILNS1_3genE3ELNS1_11target_archE908ELNS1_3gpuE7ELNS1_3repE0EEENS1_30default_config_static_selectorELNS0_4arch9wavefront6targetE0EEEvT1_
	.globl	_ZN7rocprim17ROCPRIM_400000_NS6detail17trampoline_kernelINS0_14default_configENS1_27scan_by_key_config_selectorIxxEEZZNS1_16scan_by_key_implILNS1_25lookback_scan_determinismE0ELb0ES3_N6thrust23THRUST_200600_302600_NS6detail15normal_iteratorINS9_10device_ptrIxEEEENS9_18transform_iteratorINS9_6negateIxEESE_NS9_11use_defaultESI_EESE_xNS9_4plusIvEENS9_8equal_toIvEExEE10hipError_tPvRmT2_T3_T4_T5_mT6_T7_P12ihipStream_tbENKUlT_T0_E_clISt17integral_constantIbLb1EES14_EEDaSZ_S10_EUlSZ_E_NS1_11comp_targetILNS1_3genE3ELNS1_11target_archE908ELNS1_3gpuE7ELNS1_3repE0EEENS1_30default_config_static_selectorELNS0_4arch9wavefront6targetE0EEEvT1_
	.p2align	8
	.type	_ZN7rocprim17ROCPRIM_400000_NS6detail17trampoline_kernelINS0_14default_configENS1_27scan_by_key_config_selectorIxxEEZZNS1_16scan_by_key_implILNS1_25lookback_scan_determinismE0ELb0ES3_N6thrust23THRUST_200600_302600_NS6detail15normal_iteratorINS9_10device_ptrIxEEEENS9_18transform_iteratorINS9_6negateIxEESE_NS9_11use_defaultESI_EESE_xNS9_4plusIvEENS9_8equal_toIvEExEE10hipError_tPvRmT2_T3_T4_T5_mT6_T7_P12ihipStream_tbENKUlT_T0_E_clISt17integral_constantIbLb1EES14_EEDaSZ_S10_EUlSZ_E_NS1_11comp_targetILNS1_3genE3ELNS1_11target_archE908ELNS1_3gpuE7ELNS1_3repE0EEENS1_30default_config_static_selectorELNS0_4arch9wavefront6targetE0EEEvT1_,@function
_ZN7rocprim17ROCPRIM_400000_NS6detail17trampoline_kernelINS0_14default_configENS1_27scan_by_key_config_selectorIxxEEZZNS1_16scan_by_key_implILNS1_25lookback_scan_determinismE0ELb0ES3_N6thrust23THRUST_200600_302600_NS6detail15normal_iteratorINS9_10device_ptrIxEEEENS9_18transform_iteratorINS9_6negateIxEESE_NS9_11use_defaultESI_EESE_xNS9_4plusIvEENS9_8equal_toIvEExEE10hipError_tPvRmT2_T3_T4_T5_mT6_T7_P12ihipStream_tbENKUlT_T0_E_clISt17integral_constantIbLb1EES14_EEDaSZ_S10_EUlSZ_E_NS1_11comp_targetILNS1_3genE3ELNS1_11target_archE908ELNS1_3gpuE7ELNS1_3repE0EEENS1_30default_config_static_selectorELNS0_4arch9wavefront6targetE0EEEvT1_: ; @_ZN7rocprim17ROCPRIM_400000_NS6detail17trampoline_kernelINS0_14default_configENS1_27scan_by_key_config_selectorIxxEEZZNS1_16scan_by_key_implILNS1_25lookback_scan_determinismE0ELb0ES3_N6thrust23THRUST_200600_302600_NS6detail15normal_iteratorINS9_10device_ptrIxEEEENS9_18transform_iteratorINS9_6negateIxEESE_NS9_11use_defaultESI_EESE_xNS9_4plusIvEENS9_8equal_toIvEExEE10hipError_tPvRmT2_T3_T4_T5_mT6_T7_P12ihipStream_tbENKUlT_T0_E_clISt17integral_constantIbLb1EES14_EEDaSZ_S10_EUlSZ_E_NS1_11comp_targetILNS1_3genE3ELNS1_11target_archE908ELNS1_3gpuE7ELNS1_3repE0EEENS1_30default_config_static_selectorELNS0_4arch9wavefront6targetE0EEEvT1_
; %bb.0:
	.section	.rodata,"a",@progbits
	.p2align	6, 0x0
	.amdhsa_kernel _ZN7rocprim17ROCPRIM_400000_NS6detail17trampoline_kernelINS0_14default_configENS1_27scan_by_key_config_selectorIxxEEZZNS1_16scan_by_key_implILNS1_25lookback_scan_determinismE0ELb0ES3_N6thrust23THRUST_200600_302600_NS6detail15normal_iteratorINS9_10device_ptrIxEEEENS9_18transform_iteratorINS9_6negateIxEESE_NS9_11use_defaultESI_EESE_xNS9_4plusIvEENS9_8equal_toIvEExEE10hipError_tPvRmT2_T3_T4_T5_mT6_T7_P12ihipStream_tbENKUlT_T0_E_clISt17integral_constantIbLb1EES14_EEDaSZ_S10_EUlSZ_E_NS1_11comp_targetILNS1_3genE3ELNS1_11target_archE908ELNS1_3gpuE7ELNS1_3repE0EEENS1_30default_config_static_selectorELNS0_4arch9wavefront6targetE0EEEvT1_
		.amdhsa_group_segment_fixed_size 0
		.amdhsa_private_segment_fixed_size 0
		.amdhsa_kernarg_size 144
		.amdhsa_user_sgpr_count 2
		.amdhsa_user_sgpr_dispatch_ptr 0
		.amdhsa_user_sgpr_queue_ptr 0
		.amdhsa_user_sgpr_kernarg_segment_ptr 1
		.amdhsa_user_sgpr_dispatch_id 0
		.amdhsa_user_sgpr_kernarg_preload_length 0
		.amdhsa_user_sgpr_kernarg_preload_offset 0
		.amdhsa_user_sgpr_private_segment_size 0
		.amdhsa_wavefront_size32 1
		.amdhsa_uses_dynamic_stack 0
		.amdhsa_enable_private_segment 0
		.amdhsa_system_sgpr_workgroup_id_x 1
		.amdhsa_system_sgpr_workgroup_id_y 0
		.amdhsa_system_sgpr_workgroup_id_z 0
		.amdhsa_system_sgpr_workgroup_info 0
		.amdhsa_system_vgpr_workitem_id 0
		.amdhsa_next_free_vgpr 1
		.amdhsa_next_free_sgpr 1
		.amdhsa_named_barrier_count 0
		.amdhsa_reserve_vcc 0
		.amdhsa_float_round_mode_32 0
		.amdhsa_float_round_mode_16_64 0
		.amdhsa_float_denorm_mode_32 3
		.amdhsa_float_denorm_mode_16_64 3
		.amdhsa_fp16_overflow 0
		.amdhsa_memory_ordered 1
		.amdhsa_forward_progress 1
		.amdhsa_inst_pref_size 0
		.amdhsa_round_robin_scheduling 0
		.amdhsa_exception_fp_ieee_invalid_op 0
		.amdhsa_exception_fp_denorm_src 0
		.amdhsa_exception_fp_ieee_div_zero 0
		.amdhsa_exception_fp_ieee_overflow 0
		.amdhsa_exception_fp_ieee_underflow 0
		.amdhsa_exception_fp_ieee_inexact 0
		.amdhsa_exception_int_div_zero 0
	.end_amdhsa_kernel
	.section	.text._ZN7rocprim17ROCPRIM_400000_NS6detail17trampoline_kernelINS0_14default_configENS1_27scan_by_key_config_selectorIxxEEZZNS1_16scan_by_key_implILNS1_25lookback_scan_determinismE0ELb0ES3_N6thrust23THRUST_200600_302600_NS6detail15normal_iteratorINS9_10device_ptrIxEEEENS9_18transform_iteratorINS9_6negateIxEESE_NS9_11use_defaultESI_EESE_xNS9_4plusIvEENS9_8equal_toIvEExEE10hipError_tPvRmT2_T3_T4_T5_mT6_T7_P12ihipStream_tbENKUlT_T0_E_clISt17integral_constantIbLb1EES14_EEDaSZ_S10_EUlSZ_E_NS1_11comp_targetILNS1_3genE3ELNS1_11target_archE908ELNS1_3gpuE7ELNS1_3repE0EEENS1_30default_config_static_selectorELNS0_4arch9wavefront6targetE0EEEvT1_,"axG",@progbits,_ZN7rocprim17ROCPRIM_400000_NS6detail17trampoline_kernelINS0_14default_configENS1_27scan_by_key_config_selectorIxxEEZZNS1_16scan_by_key_implILNS1_25lookback_scan_determinismE0ELb0ES3_N6thrust23THRUST_200600_302600_NS6detail15normal_iteratorINS9_10device_ptrIxEEEENS9_18transform_iteratorINS9_6negateIxEESE_NS9_11use_defaultESI_EESE_xNS9_4plusIvEENS9_8equal_toIvEExEE10hipError_tPvRmT2_T3_T4_T5_mT6_T7_P12ihipStream_tbENKUlT_T0_E_clISt17integral_constantIbLb1EES14_EEDaSZ_S10_EUlSZ_E_NS1_11comp_targetILNS1_3genE3ELNS1_11target_archE908ELNS1_3gpuE7ELNS1_3repE0EEENS1_30default_config_static_selectorELNS0_4arch9wavefront6targetE0EEEvT1_,comdat
.Lfunc_end906:
	.size	_ZN7rocprim17ROCPRIM_400000_NS6detail17trampoline_kernelINS0_14default_configENS1_27scan_by_key_config_selectorIxxEEZZNS1_16scan_by_key_implILNS1_25lookback_scan_determinismE0ELb0ES3_N6thrust23THRUST_200600_302600_NS6detail15normal_iteratorINS9_10device_ptrIxEEEENS9_18transform_iteratorINS9_6negateIxEESE_NS9_11use_defaultESI_EESE_xNS9_4plusIvEENS9_8equal_toIvEExEE10hipError_tPvRmT2_T3_T4_T5_mT6_T7_P12ihipStream_tbENKUlT_T0_E_clISt17integral_constantIbLb1EES14_EEDaSZ_S10_EUlSZ_E_NS1_11comp_targetILNS1_3genE3ELNS1_11target_archE908ELNS1_3gpuE7ELNS1_3repE0EEENS1_30default_config_static_selectorELNS0_4arch9wavefront6targetE0EEEvT1_, .Lfunc_end906-_ZN7rocprim17ROCPRIM_400000_NS6detail17trampoline_kernelINS0_14default_configENS1_27scan_by_key_config_selectorIxxEEZZNS1_16scan_by_key_implILNS1_25lookback_scan_determinismE0ELb0ES3_N6thrust23THRUST_200600_302600_NS6detail15normal_iteratorINS9_10device_ptrIxEEEENS9_18transform_iteratorINS9_6negateIxEESE_NS9_11use_defaultESI_EESE_xNS9_4plusIvEENS9_8equal_toIvEExEE10hipError_tPvRmT2_T3_T4_T5_mT6_T7_P12ihipStream_tbENKUlT_T0_E_clISt17integral_constantIbLb1EES14_EEDaSZ_S10_EUlSZ_E_NS1_11comp_targetILNS1_3genE3ELNS1_11target_archE908ELNS1_3gpuE7ELNS1_3repE0EEENS1_30default_config_static_selectorELNS0_4arch9wavefront6targetE0EEEvT1_
                                        ; -- End function
	.set _ZN7rocprim17ROCPRIM_400000_NS6detail17trampoline_kernelINS0_14default_configENS1_27scan_by_key_config_selectorIxxEEZZNS1_16scan_by_key_implILNS1_25lookback_scan_determinismE0ELb0ES3_N6thrust23THRUST_200600_302600_NS6detail15normal_iteratorINS9_10device_ptrIxEEEENS9_18transform_iteratorINS9_6negateIxEESE_NS9_11use_defaultESI_EESE_xNS9_4plusIvEENS9_8equal_toIvEExEE10hipError_tPvRmT2_T3_T4_T5_mT6_T7_P12ihipStream_tbENKUlT_T0_E_clISt17integral_constantIbLb1EES14_EEDaSZ_S10_EUlSZ_E_NS1_11comp_targetILNS1_3genE3ELNS1_11target_archE908ELNS1_3gpuE7ELNS1_3repE0EEENS1_30default_config_static_selectorELNS0_4arch9wavefront6targetE0EEEvT1_.num_vgpr, 0
	.set _ZN7rocprim17ROCPRIM_400000_NS6detail17trampoline_kernelINS0_14default_configENS1_27scan_by_key_config_selectorIxxEEZZNS1_16scan_by_key_implILNS1_25lookback_scan_determinismE0ELb0ES3_N6thrust23THRUST_200600_302600_NS6detail15normal_iteratorINS9_10device_ptrIxEEEENS9_18transform_iteratorINS9_6negateIxEESE_NS9_11use_defaultESI_EESE_xNS9_4plusIvEENS9_8equal_toIvEExEE10hipError_tPvRmT2_T3_T4_T5_mT6_T7_P12ihipStream_tbENKUlT_T0_E_clISt17integral_constantIbLb1EES14_EEDaSZ_S10_EUlSZ_E_NS1_11comp_targetILNS1_3genE3ELNS1_11target_archE908ELNS1_3gpuE7ELNS1_3repE0EEENS1_30default_config_static_selectorELNS0_4arch9wavefront6targetE0EEEvT1_.num_agpr, 0
	.set _ZN7rocprim17ROCPRIM_400000_NS6detail17trampoline_kernelINS0_14default_configENS1_27scan_by_key_config_selectorIxxEEZZNS1_16scan_by_key_implILNS1_25lookback_scan_determinismE0ELb0ES3_N6thrust23THRUST_200600_302600_NS6detail15normal_iteratorINS9_10device_ptrIxEEEENS9_18transform_iteratorINS9_6negateIxEESE_NS9_11use_defaultESI_EESE_xNS9_4plusIvEENS9_8equal_toIvEExEE10hipError_tPvRmT2_T3_T4_T5_mT6_T7_P12ihipStream_tbENKUlT_T0_E_clISt17integral_constantIbLb1EES14_EEDaSZ_S10_EUlSZ_E_NS1_11comp_targetILNS1_3genE3ELNS1_11target_archE908ELNS1_3gpuE7ELNS1_3repE0EEENS1_30default_config_static_selectorELNS0_4arch9wavefront6targetE0EEEvT1_.numbered_sgpr, 0
	.set _ZN7rocprim17ROCPRIM_400000_NS6detail17trampoline_kernelINS0_14default_configENS1_27scan_by_key_config_selectorIxxEEZZNS1_16scan_by_key_implILNS1_25lookback_scan_determinismE0ELb0ES3_N6thrust23THRUST_200600_302600_NS6detail15normal_iteratorINS9_10device_ptrIxEEEENS9_18transform_iteratorINS9_6negateIxEESE_NS9_11use_defaultESI_EESE_xNS9_4plusIvEENS9_8equal_toIvEExEE10hipError_tPvRmT2_T3_T4_T5_mT6_T7_P12ihipStream_tbENKUlT_T0_E_clISt17integral_constantIbLb1EES14_EEDaSZ_S10_EUlSZ_E_NS1_11comp_targetILNS1_3genE3ELNS1_11target_archE908ELNS1_3gpuE7ELNS1_3repE0EEENS1_30default_config_static_selectorELNS0_4arch9wavefront6targetE0EEEvT1_.num_named_barrier, 0
	.set _ZN7rocprim17ROCPRIM_400000_NS6detail17trampoline_kernelINS0_14default_configENS1_27scan_by_key_config_selectorIxxEEZZNS1_16scan_by_key_implILNS1_25lookback_scan_determinismE0ELb0ES3_N6thrust23THRUST_200600_302600_NS6detail15normal_iteratorINS9_10device_ptrIxEEEENS9_18transform_iteratorINS9_6negateIxEESE_NS9_11use_defaultESI_EESE_xNS9_4plusIvEENS9_8equal_toIvEExEE10hipError_tPvRmT2_T3_T4_T5_mT6_T7_P12ihipStream_tbENKUlT_T0_E_clISt17integral_constantIbLb1EES14_EEDaSZ_S10_EUlSZ_E_NS1_11comp_targetILNS1_3genE3ELNS1_11target_archE908ELNS1_3gpuE7ELNS1_3repE0EEENS1_30default_config_static_selectorELNS0_4arch9wavefront6targetE0EEEvT1_.private_seg_size, 0
	.set _ZN7rocprim17ROCPRIM_400000_NS6detail17trampoline_kernelINS0_14default_configENS1_27scan_by_key_config_selectorIxxEEZZNS1_16scan_by_key_implILNS1_25lookback_scan_determinismE0ELb0ES3_N6thrust23THRUST_200600_302600_NS6detail15normal_iteratorINS9_10device_ptrIxEEEENS9_18transform_iteratorINS9_6negateIxEESE_NS9_11use_defaultESI_EESE_xNS9_4plusIvEENS9_8equal_toIvEExEE10hipError_tPvRmT2_T3_T4_T5_mT6_T7_P12ihipStream_tbENKUlT_T0_E_clISt17integral_constantIbLb1EES14_EEDaSZ_S10_EUlSZ_E_NS1_11comp_targetILNS1_3genE3ELNS1_11target_archE908ELNS1_3gpuE7ELNS1_3repE0EEENS1_30default_config_static_selectorELNS0_4arch9wavefront6targetE0EEEvT1_.uses_vcc, 0
	.set _ZN7rocprim17ROCPRIM_400000_NS6detail17trampoline_kernelINS0_14default_configENS1_27scan_by_key_config_selectorIxxEEZZNS1_16scan_by_key_implILNS1_25lookback_scan_determinismE0ELb0ES3_N6thrust23THRUST_200600_302600_NS6detail15normal_iteratorINS9_10device_ptrIxEEEENS9_18transform_iteratorINS9_6negateIxEESE_NS9_11use_defaultESI_EESE_xNS9_4plusIvEENS9_8equal_toIvEExEE10hipError_tPvRmT2_T3_T4_T5_mT6_T7_P12ihipStream_tbENKUlT_T0_E_clISt17integral_constantIbLb1EES14_EEDaSZ_S10_EUlSZ_E_NS1_11comp_targetILNS1_3genE3ELNS1_11target_archE908ELNS1_3gpuE7ELNS1_3repE0EEENS1_30default_config_static_selectorELNS0_4arch9wavefront6targetE0EEEvT1_.uses_flat_scratch, 0
	.set _ZN7rocprim17ROCPRIM_400000_NS6detail17trampoline_kernelINS0_14default_configENS1_27scan_by_key_config_selectorIxxEEZZNS1_16scan_by_key_implILNS1_25lookback_scan_determinismE0ELb0ES3_N6thrust23THRUST_200600_302600_NS6detail15normal_iteratorINS9_10device_ptrIxEEEENS9_18transform_iteratorINS9_6negateIxEESE_NS9_11use_defaultESI_EESE_xNS9_4plusIvEENS9_8equal_toIvEExEE10hipError_tPvRmT2_T3_T4_T5_mT6_T7_P12ihipStream_tbENKUlT_T0_E_clISt17integral_constantIbLb1EES14_EEDaSZ_S10_EUlSZ_E_NS1_11comp_targetILNS1_3genE3ELNS1_11target_archE908ELNS1_3gpuE7ELNS1_3repE0EEENS1_30default_config_static_selectorELNS0_4arch9wavefront6targetE0EEEvT1_.has_dyn_sized_stack, 0
	.set _ZN7rocprim17ROCPRIM_400000_NS6detail17trampoline_kernelINS0_14default_configENS1_27scan_by_key_config_selectorIxxEEZZNS1_16scan_by_key_implILNS1_25lookback_scan_determinismE0ELb0ES3_N6thrust23THRUST_200600_302600_NS6detail15normal_iteratorINS9_10device_ptrIxEEEENS9_18transform_iteratorINS9_6negateIxEESE_NS9_11use_defaultESI_EESE_xNS9_4plusIvEENS9_8equal_toIvEExEE10hipError_tPvRmT2_T3_T4_T5_mT6_T7_P12ihipStream_tbENKUlT_T0_E_clISt17integral_constantIbLb1EES14_EEDaSZ_S10_EUlSZ_E_NS1_11comp_targetILNS1_3genE3ELNS1_11target_archE908ELNS1_3gpuE7ELNS1_3repE0EEENS1_30default_config_static_selectorELNS0_4arch9wavefront6targetE0EEEvT1_.has_recursion, 0
	.set _ZN7rocprim17ROCPRIM_400000_NS6detail17trampoline_kernelINS0_14default_configENS1_27scan_by_key_config_selectorIxxEEZZNS1_16scan_by_key_implILNS1_25lookback_scan_determinismE0ELb0ES3_N6thrust23THRUST_200600_302600_NS6detail15normal_iteratorINS9_10device_ptrIxEEEENS9_18transform_iteratorINS9_6negateIxEESE_NS9_11use_defaultESI_EESE_xNS9_4plusIvEENS9_8equal_toIvEExEE10hipError_tPvRmT2_T3_T4_T5_mT6_T7_P12ihipStream_tbENKUlT_T0_E_clISt17integral_constantIbLb1EES14_EEDaSZ_S10_EUlSZ_E_NS1_11comp_targetILNS1_3genE3ELNS1_11target_archE908ELNS1_3gpuE7ELNS1_3repE0EEENS1_30default_config_static_selectorELNS0_4arch9wavefront6targetE0EEEvT1_.has_indirect_call, 0
	.section	.AMDGPU.csdata,"",@progbits
; Kernel info:
; codeLenInByte = 0
; TotalNumSgprs: 0
; NumVgprs: 0
; ScratchSize: 0
; MemoryBound: 0
; FloatMode: 240
; IeeeMode: 1
; LDSByteSize: 0 bytes/workgroup (compile time only)
; SGPRBlocks: 0
; VGPRBlocks: 0
; NumSGPRsForWavesPerEU: 1
; NumVGPRsForWavesPerEU: 1
; NamedBarCnt: 0
; Occupancy: 16
; WaveLimiterHint : 0
; COMPUTE_PGM_RSRC2:SCRATCH_EN: 0
; COMPUTE_PGM_RSRC2:USER_SGPR: 2
; COMPUTE_PGM_RSRC2:TRAP_HANDLER: 0
; COMPUTE_PGM_RSRC2:TGID_X_EN: 1
; COMPUTE_PGM_RSRC2:TGID_Y_EN: 0
; COMPUTE_PGM_RSRC2:TGID_Z_EN: 0
; COMPUTE_PGM_RSRC2:TIDIG_COMP_CNT: 0
	.section	.text._ZN7rocprim17ROCPRIM_400000_NS6detail17trampoline_kernelINS0_14default_configENS1_27scan_by_key_config_selectorIxxEEZZNS1_16scan_by_key_implILNS1_25lookback_scan_determinismE0ELb0ES3_N6thrust23THRUST_200600_302600_NS6detail15normal_iteratorINS9_10device_ptrIxEEEENS9_18transform_iteratorINS9_6negateIxEESE_NS9_11use_defaultESI_EESE_xNS9_4plusIvEENS9_8equal_toIvEExEE10hipError_tPvRmT2_T3_T4_T5_mT6_T7_P12ihipStream_tbENKUlT_T0_E_clISt17integral_constantIbLb1EES14_EEDaSZ_S10_EUlSZ_E_NS1_11comp_targetILNS1_3genE2ELNS1_11target_archE906ELNS1_3gpuE6ELNS1_3repE0EEENS1_30default_config_static_selectorELNS0_4arch9wavefront6targetE0EEEvT1_,"axG",@progbits,_ZN7rocprim17ROCPRIM_400000_NS6detail17trampoline_kernelINS0_14default_configENS1_27scan_by_key_config_selectorIxxEEZZNS1_16scan_by_key_implILNS1_25lookback_scan_determinismE0ELb0ES3_N6thrust23THRUST_200600_302600_NS6detail15normal_iteratorINS9_10device_ptrIxEEEENS9_18transform_iteratorINS9_6negateIxEESE_NS9_11use_defaultESI_EESE_xNS9_4plusIvEENS9_8equal_toIvEExEE10hipError_tPvRmT2_T3_T4_T5_mT6_T7_P12ihipStream_tbENKUlT_T0_E_clISt17integral_constantIbLb1EES14_EEDaSZ_S10_EUlSZ_E_NS1_11comp_targetILNS1_3genE2ELNS1_11target_archE906ELNS1_3gpuE6ELNS1_3repE0EEENS1_30default_config_static_selectorELNS0_4arch9wavefront6targetE0EEEvT1_,comdat
	.protected	_ZN7rocprim17ROCPRIM_400000_NS6detail17trampoline_kernelINS0_14default_configENS1_27scan_by_key_config_selectorIxxEEZZNS1_16scan_by_key_implILNS1_25lookback_scan_determinismE0ELb0ES3_N6thrust23THRUST_200600_302600_NS6detail15normal_iteratorINS9_10device_ptrIxEEEENS9_18transform_iteratorINS9_6negateIxEESE_NS9_11use_defaultESI_EESE_xNS9_4plusIvEENS9_8equal_toIvEExEE10hipError_tPvRmT2_T3_T4_T5_mT6_T7_P12ihipStream_tbENKUlT_T0_E_clISt17integral_constantIbLb1EES14_EEDaSZ_S10_EUlSZ_E_NS1_11comp_targetILNS1_3genE2ELNS1_11target_archE906ELNS1_3gpuE6ELNS1_3repE0EEENS1_30default_config_static_selectorELNS0_4arch9wavefront6targetE0EEEvT1_ ; -- Begin function _ZN7rocprim17ROCPRIM_400000_NS6detail17trampoline_kernelINS0_14default_configENS1_27scan_by_key_config_selectorIxxEEZZNS1_16scan_by_key_implILNS1_25lookback_scan_determinismE0ELb0ES3_N6thrust23THRUST_200600_302600_NS6detail15normal_iteratorINS9_10device_ptrIxEEEENS9_18transform_iteratorINS9_6negateIxEESE_NS9_11use_defaultESI_EESE_xNS9_4plusIvEENS9_8equal_toIvEExEE10hipError_tPvRmT2_T3_T4_T5_mT6_T7_P12ihipStream_tbENKUlT_T0_E_clISt17integral_constantIbLb1EES14_EEDaSZ_S10_EUlSZ_E_NS1_11comp_targetILNS1_3genE2ELNS1_11target_archE906ELNS1_3gpuE6ELNS1_3repE0EEENS1_30default_config_static_selectorELNS0_4arch9wavefront6targetE0EEEvT1_
	.globl	_ZN7rocprim17ROCPRIM_400000_NS6detail17trampoline_kernelINS0_14default_configENS1_27scan_by_key_config_selectorIxxEEZZNS1_16scan_by_key_implILNS1_25lookback_scan_determinismE0ELb0ES3_N6thrust23THRUST_200600_302600_NS6detail15normal_iteratorINS9_10device_ptrIxEEEENS9_18transform_iteratorINS9_6negateIxEESE_NS9_11use_defaultESI_EESE_xNS9_4plusIvEENS9_8equal_toIvEExEE10hipError_tPvRmT2_T3_T4_T5_mT6_T7_P12ihipStream_tbENKUlT_T0_E_clISt17integral_constantIbLb1EES14_EEDaSZ_S10_EUlSZ_E_NS1_11comp_targetILNS1_3genE2ELNS1_11target_archE906ELNS1_3gpuE6ELNS1_3repE0EEENS1_30default_config_static_selectorELNS0_4arch9wavefront6targetE0EEEvT1_
	.p2align	8
	.type	_ZN7rocprim17ROCPRIM_400000_NS6detail17trampoline_kernelINS0_14default_configENS1_27scan_by_key_config_selectorIxxEEZZNS1_16scan_by_key_implILNS1_25lookback_scan_determinismE0ELb0ES3_N6thrust23THRUST_200600_302600_NS6detail15normal_iteratorINS9_10device_ptrIxEEEENS9_18transform_iteratorINS9_6negateIxEESE_NS9_11use_defaultESI_EESE_xNS9_4plusIvEENS9_8equal_toIvEExEE10hipError_tPvRmT2_T3_T4_T5_mT6_T7_P12ihipStream_tbENKUlT_T0_E_clISt17integral_constantIbLb1EES14_EEDaSZ_S10_EUlSZ_E_NS1_11comp_targetILNS1_3genE2ELNS1_11target_archE906ELNS1_3gpuE6ELNS1_3repE0EEENS1_30default_config_static_selectorELNS0_4arch9wavefront6targetE0EEEvT1_,@function
_ZN7rocprim17ROCPRIM_400000_NS6detail17trampoline_kernelINS0_14default_configENS1_27scan_by_key_config_selectorIxxEEZZNS1_16scan_by_key_implILNS1_25lookback_scan_determinismE0ELb0ES3_N6thrust23THRUST_200600_302600_NS6detail15normal_iteratorINS9_10device_ptrIxEEEENS9_18transform_iteratorINS9_6negateIxEESE_NS9_11use_defaultESI_EESE_xNS9_4plusIvEENS9_8equal_toIvEExEE10hipError_tPvRmT2_T3_T4_T5_mT6_T7_P12ihipStream_tbENKUlT_T0_E_clISt17integral_constantIbLb1EES14_EEDaSZ_S10_EUlSZ_E_NS1_11comp_targetILNS1_3genE2ELNS1_11target_archE906ELNS1_3gpuE6ELNS1_3repE0EEENS1_30default_config_static_selectorELNS0_4arch9wavefront6targetE0EEEvT1_: ; @_ZN7rocprim17ROCPRIM_400000_NS6detail17trampoline_kernelINS0_14default_configENS1_27scan_by_key_config_selectorIxxEEZZNS1_16scan_by_key_implILNS1_25lookback_scan_determinismE0ELb0ES3_N6thrust23THRUST_200600_302600_NS6detail15normal_iteratorINS9_10device_ptrIxEEEENS9_18transform_iteratorINS9_6negateIxEESE_NS9_11use_defaultESI_EESE_xNS9_4plusIvEENS9_8equal_toIvEExEE10hipError_tPvRmT2_T3_T4_T5_mT6_T7_P12ihipStream_tbENKUlT_T0_E_clISt17integral_constantIbLb1EES14_EEDaSZ_S10_EUlSZ_E_NS1_11comp_targetILNS1_3genE2ELNS1_11target_archE906ELNS1_3gpuE6ELNS1_3repE0EEENS1_30default_config_static_selectorELNS0_4arch9wavefront6targetE0EEEvT1_
; %bb.0:
	.section	.rodata,"a",@progbits
	.p2align	6, 0x0
	.amdhsa_kernel _ZN7rocprim17ROCPRIM_400000_NS6detail17trampoline_kernelINS0_14default_configENS1_27scan_by_key_config_selectorIxxEEZZNS1_16scan_by_key_implILNS1_25lookback_scan_determinismE0ELb0ES3_N6thrust23THRUST_200600_302600_NS6detail15normal_iteratorINS9_10device_ptrIxEEEENS9_18transform_iteratorINS9_6negateIxEESE_NS9_11use_defaultESI_EESE_xNS9_4plusIvEENS9_8equal_toIvEExEE10hipError_tPvRmT2_T3_T4_T5_mT6_T7_P12ihipStream_tbENKUlT_T0_E_clISt17integral_constantIbLb1EES14_EEDaSZ_S10_EUlSZ_E_NS1_11comp_targetILNS1_3genE2ELNS1_11target_archE906ELNS1_3gpuE6ELNS1_3repE0EEENS1_30default_config_static_selectorELNS0_4arch9wavefront6targetE0EEEvT1_
		.amdhsa_group_segment_fixed_size 0
		.amdhsa_private_segment_fixed_size 0
		.amdhsa_kernarg_size 144
		.amdhsa_user_sgpr_count 2
		.amdhsa_user_sgpr_dispatch_ptr 0
		.amdhsa_user_sgpr_queue_ptr 0
		.amdhsa_user_sgpr_kernarg_segment_ptr 1
		.amdhsa_user_sgpr_dispatch_id 0
		.amdhsa_user_sgpr_kernarg_preload_length 0
		.amdhsa_user_sgpr_kernarg_preload_offset 0
		.amdhsa_user_sgpr_private_segment_size 0
		.amdhsa_wavefront_size32 1
		.amdhsa_uses_dynamic_stack 0
		.amdhsa_enable_private_segment 0
		.amdhsa_system_sgpr_workgroup_id_x 1
		.amdhsa_system_sgpr_workgroup_id_y 0
		.amdhsa_system_sgpr_workgroup_id_z 0
		.amdhsa_system_sgpr_workgroup_info 0
		.amdhsa_system_vgpr_workitem_id 0
		.amdhsa_next_free_vgpr 1
		.amdhsa_next_free_sgpr 1
		.amdhsa_named_barrier_count 0
		.amdhsa_reserve_vcc 0
		.amdhsa_float_round_mode_32 0
		.amdhsa_float_round_mode_16_64 0
		.amdhsa_float_denorm_mode_32 3
		.amdhsa_float_denorm_mode_16_64 3
		.amdhsa_fp16_overflow 0
		.amdhsa_memory_ordered 1
		.amdhsa_forward_progress 1
		.amdhsa_inst_pref_size 0
		.amdhsa_round_robin_scheduling 0
		.amdhsa_exception_fp_ieee_invalid_op 0
		.amdhsa_exception_fp_denorm_src 0
		.amdhsa_exception_fp_ieee_div_zero 0
		.amdhsa_exception_fp_ieee_overflow 0
		.amdhsa_exception_fp_ieee_underflow 0
		.amdhsa_exception_fp_ieee_inexact 0
		.amdhsa_exception_int_div_zero 0
	.end_amdhsa_kernel
	.section	.text._ZN7rocprim17ROCPRIM_400000_NS6detail17trampoline_kernelINS0_14default_configENS1_27scan_by_key_config_selectorIxxEEZZNS1_16scan_by_key_implILNS1_25lookback_scan_determinismE0ELb0ES3_N6thrust23THRUST_200600_302600_NS6detail15normal_iteratorINS9_10device_ptrIxEEEENS9_18transform_iteratorINS9_6negateIxEESE_NS9_11use_defaultESI_EESE_xNS9_4plusIvEENS9_8equal_toIvEExEE10hipError_tPvRmT2_T3_T4_T5_mT6_T7_P12ihipStream_tbENKUlT_T0_E_clISt17integral_constantIbLb1EES14_EEDaSZ_S10_EUlSZ_E_NS1_11comp_targetILNS1_3genE2ELNS1_11target_archE906ELNS1_3gpuE6ELNS1_3repE0EEENS1_30default_config_static_selectorELNS0_4arch9wavefront6targetE0EEEvT1_,"axG",@progbits,_ZN7rocprim17ROCPRIM_400000_NS6detail17trampoline_kernelINS0_14default_configENS1_27scan_by_key_config_selectorIxxEEZZNS1_16scan_by_key_implILNS1_25lookback_scan_determinismE0ELb0ES3_N6thrust23THRUST_200600_302600_NS6detail15normal_iteratorINS9_10device_ptrIxEEEENS9_18transform_iteratorINS9_6negateIxEESE_NS9_11use_defaultESI_EESE_xNS9_4plusIvEENS9_8equal_toIvEExEE10hipError_tPvRmT2_T3_T4_T5_mT6_T7_P12ihipStream_tbENKUlT_T0_E_clISt17integral_constantIbLb1EES14_EEDaSZ_S10_EUlSZ_E_NS1_11comp_targetILNS1_3genE2ELNS1_11target_archE906ELNS1_3gpuE6ELNS1_3repE0EEENS1_30default_config_static_selectorELNS0_4arch9wavefront6targetE0EEEvT1_,comdat
.Lfunc_end907:
	.size	_ZN7rocprim17ROCPRIM_400000_NS6detail17trampoline_kernelINS0_14default_configENS1_27scan_by_key_config_selectorIxxEEZZNS1_16scan_by_key_implILNS1_25lookback_scan_determinismE0ELb0ES3_N6thrust23THRUST_200600_302600_NS6detail15normal_iteratorINS9_10device_ptrIxEEEENS9_18transform_iteratorINS9_6negateIxEESE_NS9_11use_defaultESI_EESE_xNS9_4plusIvEENS9_8equal_toIvEExEE10hipError_tPvRmT2_T3_T4_T5_mT6_T7_P12ihipStream_tbENKUlT_T0_E_clISt17integral_constantIbLb1EES14_EEDaSZ_S10_EUlSZ_E_NS1_11comp_targetILNS1_3genE2ELNS1_11target_archE906ELNS1_3gpuE6ELNS1_3repE0EEENS1_30default_config_static_selectorELNS0_4arch9wavefront6targetE0EEEvT1_, .Lfunc_end907-_ZN7rocprim17ROCPRIM_400000_NS6detail17trampoline_kernelINS0_14default_configENS1_27scan_by_key_config_selectorIxxEEZZNS1_16scan_by_key_implILNS1_25lookback_scan_determinismE0ELb0ES3_N6thrust23THRUST_200600_302600_NS6detail15normal_iteratorINS9_10device_ptrIxEEEENS9_18transform_iteratorINS9_6negateIxEESE_NS9_11use_defaultESI_EESE_xNS9_4plusIvEENS9_8equal_toIvEExEE10hipError_tPvRmT2_T3_T4_T5_mT6_T7_P12ihipStream_tbENKUlT_T0_E_clISt17integral_constantIbLb1EES14_EEDaSZ_S10_EUlSZ_E_NS1_11comp_targetILNS1_3genE2ELNS1_11target_archE906ELNS1_3gpuE6ELNS1_3repE0EEENS1_30default_config_static_selectorELNS0_4arch9wavefront6targetE0EEEvT1_
                                        ; -- End function
	.set _ZN7rocprim17ROCPRIM_400000_NS6detail17trampoline_kernelINS0_14default_configENS1_27scan_by_key_config_selectorIxxEEZZNS1_16scan_by_key_implILNS1_25lookback_scan_determinismE0ELb0ES3_N6thrust23THRUST_200600_302600_NS6detail15normal_iteratorINS9_10device_ptrIxEEEENS9_18transform_iteratorINS9_6negateIxEESE_NS9_11use_defaultESI_EESE_xNS9_4plusIvEENS9_8equal_toIvEExEE10hipError_tPvRmT2_T3_T4_T5_mT6_T7_P12ihipStream_tbENKUlT_T0_E_clISt17integral_constantIbLb1EES14_EEDaSZ_S10_EUlSZ_E_NS1_11comp_targetILNS1_3genE2ELNS1_11target_archE906ELNS1_3gpuE6ELNS1_3repE0EEENS1_30default_config_static_selectorELNS0_4arch9wavefront6targetE0EEEvT1_.num_vgpr, 0
	.set _ZN7rocprim17ROCPRIM_400000_NS6detail17trampoline_kernelINS0_14default_configENS1_27scan_by_key_config_selectorIxxEEZZNS1_16scan_by_key_implILNS1_25lookback_scan_determinismE0ELb0ES3_N6thrust23THRUST_200600_302600_NS6detail15normal_iteratorINS9_10device_ptrIxEEEENS9_18transform_iteratorINS9_6negateIxEESE_NS9_11use_defaultESI_EESE_xNS9_4plusIvEENS9_8equal_toIvEExEE10hipError_tPvRmT2_T3_T4_T5_mT6_T7_P12ihipStream_tbENKUlT_T0_E_clISt17integral_constantIbLb1EES14_EEDaSZ_S10_EUlSZ_E_NS1_11comp_targetILNS1_3genE2ELNS1_11target_archE906ELNS1_3gpuE6ELNS1_3repE0EEENS1_30default_config_static_selectorELNS0_4arch9wavefront6targetE0EEEvT1_.num_agpr, 0
	.set _ZN7rocprim17ROCPRIM_400000_NS6detail17trampoline_kernelINS0_14default_configENS1_27scan_by_key_config_selectorIxxEEZZNS1_16scan_by_key_implILNS1_25lookback_scan_determinismE0ELb0ES3_N6thrust23THRUST_200600_302600_NS6detail15normal_iteratorINS9_10device_ptrIxEEEENS9_18transform_iteratorINS9_6negateIxEESE_NS9_11use_defaultESI_EESE_xNS9_4plusIvEENS9_8equal_toIvEExEE10hipError_tPvRmT2_T3_T4_T5_mT6_T7_P12ihipStream_tbENKUlT_T0_E_clISt17integral_constantIbLb1EES14_EEDaSZ_S10_EUlSZ_E_NS1_11comp_targetILNS1_3genE2ELNS1_11target_archE906ELNS1_3gpuE6ELNS1_3repE0EEENS1_30default_config_static_selectorELNS0_4arch9wavefront6targetE0EEEvT1_.numbered_sgpr, 0
	.set _ZN7rocprim17ROCPRIM_400000_NS6detail17trampoline_kernelINS0_14default_configENS1_27scan_by_key_config_selectorIxxEEZZNS1_16scan_by_key_implILNS1_25lookback_scan_determinismE0ELb0ES3_N6thrust23THRUST_200600_302600_NS6detail15normal_iteratorINS9_10device_ptrIxEEEENS9_18transform_iteratorINS9_6negateIxEESE_NS9_11use_defaultESI_EESE_xNS9_4plusIvEENS9_8equal_toIvEExEE10hipError_tPvRmT2_T3_T4_T5_mT6_T7_P12ihipStream_tbENKUlT_T0_E_clISt17integral_constantIbLb1EES14_EEDaSZ_S10_EUlSZ_E_NS1_11comp_targetILNS1_3genE2ELNS1_11target_archE906ELNS1_3gpuE6ELNS1_3repE0EEENS1_30default_config_static_selectorELNS0_4arch9wavefront6targetE0EEEvT1_.num_named_barrier, 0
	.set _ZN7rocprim17ROCPRIM_400000_NS6detail17trampoline_kernelINS0_14default_configENS1_27scan_by_key_config_selectorIxxEEZZNS1_16scan_by_key_implILNS1_25lookback_scan_determinismE0ELb0ES3_N6thrust23THRUST_200600_302600_NS6detail15normal_iteratorINS9_10device_ptrIxEEEENS9_18transform_iteratorINS9_6negateIxEESE_NS9_11use_defaultESI_EESE_xNS9_4plusIvEENS9_8equal_toIvEExEE10hipError_tPvRmT2_T3_T4_T5_mT6_T7_P12ihipStream_tbENKUlT_T0_E_clISt17integral_constantIbLb1EES14_EEDaSZ_S10_EUlSZ_E_NS1_11comp_targetILNS1_3genE2ELNS1_11target_archE906ELNS1_3gpuE6ELNS1_3repE0EEENS1_30default_config_static_selectorELNS0_4arch9wavefront6targetE0EEEvT1_.private_seg_size, 0
	.set _ZN7rocprim17ROCPRIM_400000_NS6detail17trampoline_kernelINS0_14default_configENS1_27scan_by_key_config_selectorIxxEEZZNS1_16scan_by_key_implILNS1_25lookback_scan_determinismE0ELb0ES3_N6thrust23THRUST_200600_302600_NS6detail15normal_iteratorINS9_10device_ptrIxEEEENS9_18transform_iteratorINS9_6negateIxEESE_NS9_11use_defaultESI_EESE_xNS9_4plusIvEENS9_8equal_toIvEExEE10hipError_tPvRmT2_T3_T4_T5_mT6_T7_P12ihipStream_tbENKUlT_T0_E_clISt17integral_constantIbLb1EES14_EEDaSZ_S10_EUlSZ_E_NS1_11comp_targetILNS1_3genE2ELNS1_11target_archE906ELNS1_3gpuE6ELNS1_3repE0EEENS1_30default_config_static_selectorELNS0_4arch9wavefront6targetE0EEEvT1_.uses_vcc, 0
	.set _ZN7rocprim17ROCPRIM_400000_NS6detail17trampoline_kernelINS0_14default_configENS1_27scan_by_key_config_selectorIxxEEZZNS1_16scan_by_key_implILNS1_25lookback_scan_determinismE0ELb0ES3_N6thrust23THRUST_200600_302600_NS6detail15normal_iteratorINS9_10device_ptrIxEEEENS9_18transform_iteratorINS9_6negateIxEESE_NS9_11use_defaultESI_EESE_xNS9_4plusIvEENS9_8equal_toIvEExEE10hipError_tPvRmT2_T3_T4_T5_mT6_T7_P12ihipStream_tbENKUlT_T0_E_clISt17integral_constantIbLb1EES14_EEDaSZ_S10_EUlSZ_E_NS1_11comp_targetILNS1_3genE2ELNS1_11target_archE906ELNS1_3gpuE6ELNS1_3repE0EEENS1_30default_config_static_selectorELNS0_4arch9wavefront6targetE0EEEvT1_.uses_flat_scratch, 0
	.set _ZN7rocprim17ROCPRIM_400000_NS6detail17trampoline_kernelINS0_14default_configENS1_27scan_by_key_config_selectorIxxEEZZNS1_16scan_by_key_implILNS1_25lookback_scan_determinismE0ELb0ES3_N6thrust23THRUST_200600_302600_NS6detail15normal_iteratorINS9_10device_ptrIxEEEENS9_18transform_iteratorINS9_6negateIxEESE_NS9_11use_defaultESI_EESE_xNS9_4plusIvEENS9_8equal_toIvEExEE10hipError_tPvRmT2_T3_T4_T5_mT6_T7_P12ihipStream_tbENKUlT_T0_E_clISt17integral_constantIbLb1EES14_EEDaSZ_S10_EUlSZ_E_NS1_11comp_targetILNS1_3genE2ELNS1_11target_archE906ELNS1_3gpuE6ELNS1_3repE0EEENS1_30default_config_static_selectorELNS0_4arch9wavefront6targetE0EEEvT1_.has_dyn_sized_stack, 0
	.set _ZN7rocprim17ROCPRIM_400000_NS6detail17trampoline_kernelINS0_14default_configENS1_27scan_by_key_config_selectorIxxEEZZNS1_16scan_by_key_implILNS1_25lookback_scan_determinismE0ELb0ES3_N6thrust23THRUST_200600_302600_NS6detail15normal_iteratorINS9_10device_ptrIxEEEENS9_18transform_iteratorINS9_6negateIxEESE_NS9_11use_defaultESI_EESE_xNS9_4plusIvEENS9_8equal_toIvEExEE10hipError_tPvRmT2_T3_T4_T5_mT6_T7_P12ihipStream_tbENKUlT_T0_E_clISt17integral_constantIbLb1EES14_EEDaSZ_S10_EUlSZ_E_NS1_11comp_targetILNS1_3genE2ELNS1_11target_archE906ELNS1_3gpuE6ELNS1_3repE0EEENS1_30default_config_static_selectorELNS0_4arch9wavefront6targetE0EEEvT1_.has_recursion, 0
	.set _ZN7rocprim17ROCPRIM_400000_NS6detail17trampoline_kernelINS0_14default_configENS1_27scan_by_key_config_selectorIxxEEZZNS1_16scan_by_key_implILNS1_25lookback_scan_determinismE0ELb0ES3_N6thrust23THRUST_200600_302600_NS6detail15normal_iteratorINS9_10device_ptrIxEEEENS9_18transform_iteratorINS9_6negateIxEESE_NS9_11use_defaultESI_EESE_xNS9_4plusIvEENS9_8equal_toIvEExEE10hipError_tPvRmT2_T3_T4_T5_mT6_T7_P12ihipStream_tbENKUlT_T0_E_clISt17integral_constantIbLb1EES14_EEDaSZ_S10_EUlSZ_E_NS1_11comp_targetILNS1_3genE2ELNS1_11target_archE906ELNS1_3gpuE6ELNS1_3repE0EEENS1_30default_config_static_selectorELNS0_4arch9wavefront6targetE0EEEvT1_.has_indirect_call, 0
	.section	.AMDGPU.csdata,"",@progbits
; Kernel info:
; codeLenInByte = 0
; TotalNumSgprs: 0
; NumVgprs: 0
; ScratchSize: 0
; MemoryBound: 0
; FloatMode: 240
; IeeeMode: 1
; LDSByteSize: 0 bytes/workgroup (compile time only)
; SGPRBlocks: 0
; VGPRBlocks: 0
; NumSGPRsForWavesPerEU: 1
; NumVGPRsForWavesPerEU: 1
; NamedBarCnt: 0
; Occupancy: 16
; WaveLimiterHint : 0
; COMPUTE_PGM_RSRC2:SCRATCH_EN: 0
; COMPUTE_PGM_RSRC2:USER_SGPR: 2
; COMPUTE_PGM_RSRC2:TRAP_HANDLER: 0
; COMPUTE_PGM_RSRC2:TGID_X_EN: 1
; COMPUTE_PGM_RSRC2:TGID_Y_EN: 0
; COMPUTE_PGM_RSRC2:TGID_Z_EN: 0
; COMPUTE_PGM_RSRC2:TIDIG_COMP_CNT: 0
	.section	.text._ZN7rocprim17ROCPRIM_400000_NS6detail17trampoline_kernelINS0_14default_configENS1_27scan_by_key_config_selectorIxxEEZZNS1_16scan_by_key_implILNS1_25lookback_scan_determinismE0ELb0ES3_N6thrust23THRUST_200600_302600_NS6detail15normal_iteratorINS9_10device_ptrIxEEEENS9_18transform_iteratorINS9_6negateIxEESE_NS9_11use_defaultESI_EESE_xNS9_4plusIvEENS9_8equal_toIvEExEE10hipError_tPvRmT2_T3_T4_T5_mT6_T7_P12ihipStream_tbENKUlT_T0_E_clISt17integral_constantIbLb1EES14_EEDaSZ_S10_EUlSZ_E_NS1_11comp_targetILNS1_3genE10ELNS1_11target_archE1200ELNS1_3gpuE4ELNS1_3repE0EEENS1_30default_config_static_selectorELNS0_4arch9wavefront6targetE0EEEvT1_,"axG",@progbits,_ZN7rocprim17ROCPRIM_400000_NS6detail17trampoline_kernelINS0_14default_configENS1_27scan_by_key_config_selectorIxxEEZZNS1_16scan_by_key_implILNS1_25lookback_scan_determinismE0ELb0ES3_N6thrust23THRUST_200600_302600_NS6detail15normal_iteratorINS9_10device_ptrIxEEEENS9_18transform_iteratorINS9_6negateIxEESE_NS9_11use_defaultESI_EESE_xNS9_4plusIvEENS9_8equal_toIvEExEE10hipError_tPvRmT2_T3_T4_T5_mT6_T7_P12ihipStream_tbENKUlT_T0_E_clISt17integral_constantIbLb1EES14_EEDaSZ_S10_EUlSZ_E_NS1_11comp_targetILNS1_3genE10ELNS1_11target_archE1200ELNS1_3gpuE4ELNS1_3repE0EEENS1_30default_config_static_selectorELNS0_4arch9wavefront6targetE0EEEvT1_,comdat
	.protected	_ZN7rocprim17ROCPRIM_400000_NS6detail17trampoline_kernelINS0_14default_configENS1_27scan_by_key_config_selectorIxxEEZZNS1_16scan_by_key_implILNS1_25lookback_scan_determinismE0ELb0ES3_N6thrust23THRUST_200600_302600_NS6detail15normal_iteratorINS9_10device_ptrIxEEEENS9_18transform_iteratorINS9_6negateIxEESE_NS9_11use_defaultESI_EESE_xNS9_4plusIvEENS9_8equal_toIvEExEE10hipError_tPvRmT2_T3_T4_T5_mT6_T7_P12ihipStream_tbENKUlT_T0_E_clISt17integral_constantIbLb1EES14_EEDaSZ_S10_EUlSZ_E_NS1_11comp_targetILNS1_3genE10ELNS1_11target_archE1200ELNS1_3gpuE4ELNS1_3repE0EEENS1_30default_config_static_selectorELNS0_4arch9wavefront6targetE0EEEvT1_ ; -- Begin function _ZN7rocprim17ROCPRIM_400000_NS6detail17trampoline_kernelINS0_14default_configENS1_27scan_by_key_config_selectorIxxEEZZNS1_16scan_by_key_implILNS1_25lookback_scan_determinismE0ELb0ES3_N6thrust23THRUST_200600_302600_NS6detail15normal_iteratorINS9_10device_ptrIxEEEENS9_18transform_iteratorINS9_6negateIxEESE_NS9_11use_defaultESI_EESE_xNS9_4plusIvEENS9_8equal_toIvEExEE10hipError_tPvRmT2_T3_T4_T5_mT6_T7_P12ihipStream_tbENKUlT_T0_E_clISt17integral_constantIbLb1EES14_EEDaSZ_S10_EUlSZ_E_NS1_11comp_targetILNS1_3genE10ELNS1_11target_archE1200ELNS1_3gpuE4ELNS1_3repE0EEENS1_30default_config_static_selectorELNS0_4arch9wavefront6targetE0EEEvT1_
	.globl	_ZN7rocprim17ROCPRIM_400000_NS6detail17trampoline_kernelINS0_14default_configENS1_27scan_by_key_config_selectorIxxEEZZNS1_16scan_by_key_implILNS1_25lookback_scan_determinismE0ELb0ES3_N6thrust23THRUST_200600_302600_NS6detail15normal_iteratorINS9_10device_ptrIxEEEENS9_18transform_iteratorINS9_6negateIxEESE_NS9_11use_defaultESI_EESE_xNS9_4plusIvEENS9_8equal_toIvEExEE10hipError_tPvRmT2_T3_T4_T5_mT6_T7_P12ihipStream_tbENKUlT_T0_E_clISt17integral_constantIbLb1EES14_EEDaSZ_S10_EUlSZ_E_NS1_11comp_targetILNS1_3genE10ELNS1_11target_archE1200ELNS1_3gpuE4ELNS1_3repE0EEENS1_30default_config_static_selectorELNS0_4arch9wavefront6targetE0EEEvT1_
	.p2align	8
	.type	_ZN7rocprim17ROCPRIM_400000_NS6detail17trampoline_kernelINS0_14default_configENS1_27scan_by_key_config_selectorIxxEEZZNS1_16scan_by_key_implILNS1_25lookback_scan_determinismE0ELb0ES3_N6thrust23THRUST_200600_302600_NS6detail15normal_iteratorINS9_10device_ptrIxEEEENS9_18transform_iteratorINS9_6negateIxEESE_NS9_11use_defaultESI_EESE_xNS9_4plusIvEENS9_8equal_toIvEExEE10hipError_tPvRmT2_T3_T4_T5_mT6_T7_P12ihipStream_tbENKUlT_T0_E_clISt17integral_constantIbLb1EES14_EEDaSZ_S10_EUlSZ_E_NS1_11comp_targetILNS1_3genE10ELNS1_11target_archE1200ELNS1_3gpuE4ELNS1_3repE0EEENS1_30default_config_static_selectorELNS0_4arch9wavefront6targetE0EEEvT1_,@function
_ZN7rocprim17ROCPRIM_400000_NS6detail17trampoline_kernelINS0_14default_configENS1_27scan_by_key_config_selectorIxxEEZZNS1_16scan_by_key_implILNS1_25lookback_scan_determinismE0ELb0ES3_N6thrust23THRUST_200600_302600_NS6detail15normal_iteratorINS9_10device_ptrIxEEEENS9_18transform_iteratorINS9_6negateIxEESE_NS9_11use_defaultESI_EESE_xNS9_4plusIvEENS9_8equal_toIvEExEE10hipError_tPvRmT2_T3_T4_T5_mT6_T7_P12ihipStream_tbENKUlT_T0_E_clISt17integral_constantIbLb1EES14_EEDaSZ_S10_EUlSZ_E_NS1_11comp_targetILNS1_3genE10ELNS1_11target_archE1200ELNS1_3gpuE4ELNS1_3repE0EEENS1_30default_config_static_selectorELNS0_4arch9wavefront6targetE0EEEvT1_: ; @_ZN7rocprim17ROCPRIM_400000_NS6detail17trampoline_kernelINS0_14default_configENS1_27scan_by_key_config_selectorIxxEEZZNS1_16scan_by_key_implILNS1_25lookback_scan_determinismE0ELb0ES3_N6thrust23THRUST_200600_302600_NS6detail15normal_iteratorINS9_10device_ptrIxEEEENS9_18transform_iteratorINS9_6negateIxEESE_NS9_11use_defaultESI_EESE_xNS9_4plusIvEENS9_8equal_toIvEExEE10hipError_tPvRmT2_T3_T4_T5_mT6_T7_P12ihipStream_tbENKUlT_T0_E_clISt17integral_constantIbLb1EES14_EEDaSZ_S10_EUlSZ_E_NS1_11comp_targetILNS1_3genE10ELNS1_11target_archE1200ELNS1_3gpuE4ELNS1_3repE0EEENS1_30default_config_static_selectorELNS0_4arch9wavefront6targetE0EEEvT1_
; %bb.0:
	.section	.rodata,"a",@progbits
	.p2align	6, 0x0
	.amdhsa_kernel _ZN7rocprim17ROCPRIM_400000_NS6detail17trampoline_kernelINS0_14default_configENS1_27scan_by_key_config_selectorIxxEEZZNS1_16scan_by_key_implILNS1_25lookback_scan_determinismE0ELb0ES3_N6thrust23THRUST_200600_302600_NS6detail15normal_iteratorINS9_10device_ptrIxEEEENS9_18transform_iteratorINS9_6negateIxEESE_NS9_11use_defaultESI_EESE_xNS9_4plusIvEENS9_8equal_toIvEExEE10hipError_tPvRmT2_T3_T4_T5_mT6_T7_P12ihipStream_tbENKUlT_T0_E_clISt17integral_constantIbLb1EES14_EEDaSZ_S10_EUlSZ_E_NS1_11comp_targetILNS1_3genE10ELNS1_11target_archE1200ELNS1_3gpuE4ELNS1_3repE0EEENS1_30default_config_static_selectorELNS0_4arch9wavefront6targetE0EEEvT1_
		.amdhsa_group_segment_fixed_size 0
		.amdhsa_private_segment_fixed_size 0
		.amdhsa_kernarg_size 144
		.amdhsa_user_sgpr_count 2
		.amdhsa_user_sgpr_dispatch_ptr 0
		.amdhsa_user_sgpr_queue_ptr 0
		.amdhsa_user_sgpr_kernarg_segment_ptr 1
		.amdhsa_user_sgpr_dispatch_id 0
		.amdhsa_user_sgpr_kernarg_preload_length 0
		.amdhsa_user_sgpr_kernarg_preload_offset 0
		.amdhsa_user_sgpr_private_segment_size 0
		.amdhsa_wavefront_size32 1
		.amdhsa_uses_dynamic_stack 0
		.amdhsa_enable_private_segment 0
		.amdhsa_system_sgpr_workgroup_id_x 1
		.amdhsa_system_sgpr_workgroup_id_y 0
		.amdhsa_system_sgpr_workgroup_id_z 0
		.amdhsa_system_sgpr_workgroup_info 0
		.amdhsa_system_vgpr_workitem_id 0
		.amdhsa_next_free_vgpr 1
		.amdhsa_next_free_sgpr 1
		.amdhsa_named_barrier_count 0
		.amdhsa_reserve_vcc 0
		.amdhsa_float_round_mode_32 0
		.amdhsa_float_round_mode_16_64 0
		.amdhsa_float_denorm_mode_32 3
		.amdhsa_float_denorm_mode_16_64 3
		.amdhsa_fp16_overflow 0
		.amdhsa_memory_ordered 1
		.amdhsa_forward_progress 1
		.amdhsa_inst_pref_size 0
		.amdhsa_round_robin_scheduling 0
		.amdhsa_exception_fp_ieee_invalid_op 0
		.amdhsa_exception_fp_denorm_src 0
		.amdhsa_exception_fp_ieee_div_zero 0
		.amdhsa_exception_fp_ieee_overflow 0
		.amdhsa_exception_fp_ieee_underflow 0
		.amdhsa_exception_fp_ieee_inexact 0
		.amdhsa_exception_int_div_zero 0
	.end_amdhsa_kernel
	.section	.text._ZN7rocprim17ROCPRIM_400000_NS6detail17trampoline_kernelINS0_14default_configENS1_27scan_by_key_config_selectorIxxEEZZNS1_16scan_by_key_implILNS1_25lookback_scan_determinismE0ELb0ES3_N6thrust23THRUST_200600_302600_NS6detail15normal_iteratorINS9_10device_ptrIxEEEENS9_18transform_iteratorINS9_6negateIxEESE_NS9_11use_defaultESI_EESE_xNS9_4plusIvEENS9_8equal_toIvEExEE10hipError_tPvRmT2_T3_T4_T5_mT6_T7_P12ihipStream_tbENKUlT_T0_E_clISt17integral_constantIbLb1EES14_EEDaSZ_S10_EUlSZ_E_NS1_11comp_targetILNS1_3genE10ELNS1_11target_archE1200ELNS1_3gpuE4ELNS1_3repE0EEENS1_30default_config_static_selectorELNS0_4arch9wavefront6targetE0EEEvT1_,"axG",@progbits,_ZN7rocprim17ROCPRIM_400000_NS6detail17trampoline_kernelINS0_14default_configENS1_27scan_by_key_config_selectorIxxEEZZNS1_16scan_by_key_implILNS1_25lookback_scan_determinismE0ELb0ES3_N6thrust23THRUST_200600_302600_NS6detail15normal_iteratorINS9_10device_ptrIxEEEENS9_18transform_iteratorINS9_6negateIxEESE_NS9_11use_defaultESI_EESE_xNS9_4plusIvEENS9_8equal_toIvEExEE10hipError_tPvRmT2_T3_T4_T5_mT6_T7_P12ihipStream_tbENKUlT_T0_E_clISt17integral_constantIbLb1EES14_EEDaSZ_S10_EUlSZ_E_NS1_11comp_targetILNS1_3genE10ELNS1_11target_archE1200ELNS1_3gpuE4ELNS1_3repE0EEENS1_30default_config_static_selectorELNS0_4arch9wavefront6targetE0EEEvT1_,comdat
.Lfunc_end908:
	.size	_ZN7rocprim17ROCPRIM_400000_NS6detail17trampoline_kernelINS0_14default_configENS1_27scan_by_key_config_selectorIxxEEZZNS1_16scan_by_key_implILNS1_25lookback_scan_determinismE0ELb0ES3_N6thrust23THRUST_200600_302600_NS6detail15normal_iteratorINS9_10device_ptrIxEEEENS9_18transform_iteratorINS9_6negateIxEESE_NS9_11use_defaultESI_EESE_xNS9_4plusIvEENS9_8equal_toIvEExEE10hipError_tPvRmT2_T3_T4_T5_mT6_T7_P12ihipStream_tbENKUlT_T0_E_clISt17integral_constantIbLb1EES14_EEDaSZ_S10_EUlSZ_E_NS1_11comp_targetILNS1_3genE10ELNS1_11target_archE1200ELNS1_3gpuE4ELNS1_3repE0EEENS1_30default_config_static_selectorELNS0_4arch9wavefront6targetE0EEEvT1_, .Lfunc_end908-_ZN7rocprim17ROCPRIM_400000_NS6detail17trampoline_kernelINS0_14default_configENS1_27scan_by_key_config_selectorIxxEEZZNS1_16scan_by_key_implILNS1_25lookback_scan_determinismE0ELb0ES3_N6thrust23THRUST_200600_302600_NS6detail15normal_iteratorINS9_10device_ptrIxEEEENS9_18transform_iteratorINS9_6negateIxEESE_NS9_11use_defaultESI_EESE_xNS9_4plusIvEENS9_8equal_toIvEExEE10hipError_tPvRmT2_T3_T4_T5_mT6_T7_P12ihipStream_tbENKUlT_T0_E_clISt17integral_constantIbLb1EES14_EEDaSZ_S10_EUlSZ_E_NS1_11comp_targetILNS1_3genE10ELNS1_11target_archE1200ELNS1_3gpuE4ELNS1_3repE0EEENS1_30default_config_static_selectorELNS0_4arch9wavefront6targetE0EEEvT1_
                                        ; -- End function
	.set _ZN7rocprim17ROCPRIM_400000_NS6detail17trampoline_kernelINS0_14default_configENS1_27scan_by_key_config_selectorIxxEEZZNS1_16scan_by_key_implILNS1_25lookback_scan_determinismE0ELb0ES3_N6thrust23THRUST_200600_302600_NS6detail15normal_iteratorINS9_10device_ptrIxEEEENS9_18transform_iteratorINS9_6negateIxEESE_NS9_11use_defaultESI_EESE_xNS9_4plusIvEENS9_8equal_toIvEExEE10hipError_tPvRmT2_T3_T4_T5_mT6_T7_P12ihipStream_tbENKUlT_T0_E_clISt17integral_constantIbLb1EES14_EEDaSZ_S10_EUlSZ_E_NS1_11comp_targetILNS1_3genE10ELNS1_11target_archE1200ELNS1_3gpuE4ELNS1_3repE0EEENS1_30default_config_static_selectorELNS0_4arch9wavefront6targetE0EEEvT1_.num_vgpr, 0
	.set _ZN7rocprim17ROCPRIM_400000_NS6detail17trampoline_kernelINS0_14default_configENS1_27scan_by_key_config_selectorIxxEEZZNS1_16scan_by_key_implILNS1_25lookback_scan_determinismE0ELb0ES3_N6thrust23THRUST_200600_302600_NS6detail15normal_iteratorINS9_10device_ptrIxEEEENS9_18transform_iteratorINS9_6negateIxEESE_NS9_11use_defaultESI_EESE_xNS9_4plusIvEENS9_8equal_toIvEExEE10hipError_tPvRmT2_T3_T4_T5_mT6_T7_P12ihipStream_tbENKUlT_T0_E_clISt17integral_constantIbLb1EES14_EEDaSZ_S10_EUlSZ_E_NS1_11comp_targetILNS1_3genE10ELNS1_11target_archE1200ELNS1_3gpuE4ELNS1_3repE0EEENS1_30default_config_static_selectorELNS0_4arch9wavefront6targetE0EEEvT1_.num_agpr, 0
	.set _ZN7rocprim17ROCPRIM_400000_NS6detail17trampoline_kernelINS0_14default_configENS1_27scan_by_key_config_selectorIxxEEZZNS1_16scan_by_key_implILNS1_25lookback_scan_determinismE0ELb0ES3_N6thrust23THRUST_200600_302600_NS6detail15normal_iteratorINS9_10device_ptrIxEEEENS9_18transform_iteratorINS9_6negateIxEESE_NS9_11use_defaultESI_EESE_xNS9_4plusIvEENS9_8equal_toIvEExEE10hipError_tPvRmT2_T3_T4_T5_mT6_T7_P12ihipStream_tbENKUlT_T0_E_clISt17integral_constantIbLb1EES14_EEDaSZ_S10_EUlSZ_E_NS1_11comp_targetILNS1_3genE10ELNS1_11target_archE1200ELNS1_3gpuE4ELNS1_3repE0EEENS1_30default_config_static_selectorELNS0_4arch9wavefront6targetE0EEEvT1_.numbered_sgpr, 0
	.set _ZN7rocprim17ROCPRIM_400000_NS6detail17trampoline_kernelINS0_14default_configENS1_27scan_by_key_config_selectorIxxEEZZNS1_16scan_by_key_implILNS1_25lookback_scan_determinismE0ELb0ES3_N6thrust23THRUST_200600_302600_NS6detail15normal_iteratorINS9_10device_ptrIxEEEENS9_18transform_iteratorINS9_6negateIxEESE_NS9_11use_defaultESI_EESE_xNS9_4plusIvEENS9_8equal_toIvEExEE10hipError_tPvRmT2_T3_T4_T5_mT6_T7_P12ihipStream_tbENKUlT_T0_E_clISt17integral_constantIbLb1EES14_EEDaSZ_S10_EUlSZ_E_NS1_11comp_targetILNS1_3genE10ELNS1_11target_archE1200ELNS1_3gpuE4ELNS1_3repE0EEENS1_30default_config_static_selectorELNS0_4arch9wavefront6targetE0EEEvT1_.num_named_barrier, 0
	.set _ZN7rocprim17ROCPRIM_400000_NS6detail17trampoline_kernelINS0_14default_configENS1_27scan_by_key_config_selectorIxxEEZZNS1_16scan_by_key_implILNS1_25lookback_scan_determinismE0ELb0ES3_N6thrust23THRUST_200600_302600_NS6detail15normal_iteratorINS9_10device_ptrIxEEEENS9_18transform_iteratorINS9_6negateIxEESE_NS9_11use_defaultESI_EESE_xNS9_4plusIvEENS9_8equal_toIvEExEE10hipError_tPvRmT2_T3_T4_T5_mT6_T7_P12ihipStream_tbENKUlT_T0_E_clISt17integral_constantIbLb1EES14_EEDaSZ_S10_EUlSZ_E_NS1_11comp_targetILNS1_3genE10ELNS1_11target_archE1200ELNS1_3gpuE4ELNS1_3repE0EEENS1_30default_config_static_selectorELNS0_4arch9wavefront6targetE0EEEvT1_.private_seg_size, 0
	.set _ZN7rocprim17ROCPRIM_400000_NS6detail17trampoline_kernelINS0_14default_configENS1_27scan_by_key_config_selectorIxxEEZZNS1_16scan_by_key_implILNS1_25lookback_scan_determinismE0ELb0ES3_N6thrust23THRUST_200600_302600_NS6detail15normal_iteratorINS9_10device_ptrIxEEEENS9_18transform_iteratorINS9_6negateIxEESE_NS9_11use_defaultESI_EESE_xNS9_4plusIvEENS9_8equal_toIvEExEE10hipError_tPvRmT2_T3_T4_T5_mT6_T7_P12ihipStream_tbENKUlT_T0_E_clISt17integral_constantIbLb1EES14_EEDaSZ_S10_EUlSZ_E_NS1_11comp_targetILNS1_3genE10ELNS1_11target_archE1200ELNS1_3gpuE4ELNS1_3repE0EEENS1_30default_config_static_selectorELNS0_4arch9wavefront6targetE0EEEvT1_.uses_vcc, 0
	.set _ZN7rocprim17ROCPRIM_400000_NS6detail17trampoline_kernelINS0_14default_configENS1_27scan_by_key_config_selectorIxxEEZZNS1_16scan_by_key_implILNS1_25lookback_scan_determinismE0ELb0ES3_N6thrust23THRUST_200600_302600_NS6detail15normal_iteratorINS9_10device_ptrIxEEEENS9_18transform_iteratorINS9_6negateIxEESE_NS9_11use_defaultESI_EESE_xNS9_4plusIvEENS9_8equal_toIvEExEE10hipError_tPvRmT2_T3_T4_T5_mT6_T7_P12ihipStream_tbENKUlT_T0_E_clISt17integral_constantIbLb1EES14_EEDaSZ_S10_EUlSZ_E_NS1_11comp_targetILNS1_3genE10ELNS1_11target_archE1200ELNS1_3gpuE4ELNS1_3repE0EEENS1_30default_config_static_selectorELNS0_4arch9wavefront6targetE0EEEvT1_.uses_flat_scratch, 0
	.set _ZN7rocprim17ROCPRIM_400000_NS6detail17trampoline_kernelINS0_14default_configENS1_27scan_by_key_config_selectorIxxEEZZNS1_16scan_by_key_implILNS1_25lookback_scan_determinismE0ELb0ES3_N6thrust23THRUST_200600_302600_NS6detail15normal_iteratorINS9_10device_ptrIxEEEENS9_18transform_iteratorINS9_6negateIxEESE_NS9_11use_defaultESI_EESE_xNS9_4plusIvEENS9_8equal_toIvEExEE10hipError_tPvRmT2_T3_T4_T5_mT6_T7_P12ihipStream_tbENKUlT_T0_E_clISt17integral_constantIbLb1EES14_EEDaSZ_S10_EUlSZ_E_NS1_11comp_targetILNS1_3genE10ELNS1_11target_archE1200ELNS1_3gpuE4ELNS1_3repE0EEENS1_30default_config_static_selectorELNS0_4arch9wavefront6targetE0EEEvT1_.has_dyn_sized_stack, 0
	.set _ZN7rocprim17ROCPRIM_400000_NS6detail17trampoline_kernelINS0_14default_configENS1_27scan_by_key_config_selectorIxxEEZZNS1_16scan_by_key_implILNS1_25lookback_scan_determinismE0ELb0ES3_N6thrust23THRUST_200600_302600_NS6detail15normal_iteratorINS9_10device_ptrIxEEEENS9_18transform_iteratorINS9_6negateIxEESE_NS9_11use_defaultESI_EESE_xNS9_4plusIvEENS9_8equal_toIvEExEE10hipError_tPvRmT2_T3_T4_T5_mT6_T7_P12ihipStream_tbENKUlT_T0_E_clISt17integral_constantIbLb1EES14_EEDaSZ_S10_EUlSZ_E_NS1_11comp_targetILNS1_3genE10ELNS1_11target_archE1200ELNS1_3gpuE4ELNS1_3repE0EEENS1_30default_config_static_selectorELNS0_4arch9wavefront6targetE0EEEvT1_.has_recursion, 0
	.set _ZN7rocprim17ROCPRIM_400000_NS6detail17trampoline_kernelINS0_14default_configENS1_27scan_by_key_config_selectorIxxEEZZNS1_16scan_by_key_implILNS1_25lookback_scan_determinismE0ELb0ES3_N6thrust23THRUST_200600_302600_NS6detail15normal_iteratorINS9_10device_ptrIxEEEENS9_18transform_iteratorINS9_6negateIxEESE_NS9_11use_defaultESI_EESE_xNS9_4plusIvEENS9_8equal_toIvEExEE10hipError_tPvRmT2_T3_T4_T5_mT6_T7_P12ihipStream_tbENKUlT_T0_E_clISt17integral_constantIbLb1EES14_EEDaSZ_S10_EUlSZ_E_NS1_11comp_targetILNS1_3genE10ELNS1_11target_archE1200ELNS1_3gpuE4ELNS1_3repE0EEENS1_30default_config_static_selectorELNS0_4arch9wavefront6targetE0EEEvT1_.has_indirect_call, 0
	.section	.AMDGPU.csdata,"",@progbits
; Kernel info:
; codeLenInByte = 0
; TotalNumSgprs: 0
; NumVgprs: 0
; ScratchSize: 0
; MemoryBound: 0
; FloatMode: 240
; IeeeMode: 1
; LDSByteSize: 0 bytes/workgroup (compile time only)
; SGPRBlocks: 0
; VGPRBlocks: 0
; NumSGPRsForWavesPerEU: 1
; NumVGPRsForWavesPerEU: 1
; NamedBarCnt: 0
; Occupancy: 16
; WaveLimiterHint : 0
; COMPUTE_PGM_RSRC2:SCRATCH_EN: 0
; COMPUTE_PGM_RSRC2:USER_SGPR: 2
; COMPUTE_PGM_RSRC2:TRAP_HANDLER: 0
; COMPUTE_PGM_RSRC2:TGID_X_EN: 1
; COMPUTE_PGM_RSRC2:TGID_Y_EN: 0
; COMPUTE_PGM_RSRC2:TGID_Z_EN: 0
; COMPUTE_PGM_RSRC2:TIDIG_COMP_CNT: 0
	.section	.text._ZN7rocprim17ROCPRIM_400000_NS6detail17trampoline_kernelINS0_14default_configENS1_27scan_by_key_config_selectorIxxEEZZNS1_16scan_by_key_implILNS1_25lookback_scan_determinismE0ELb0ES3_N6thrust23THRUST_200600_302600_NS6detail15normal_iteratorINS9_10device_ptrIxEEEENS9_18transform_iteratorINS9_6negateIxEESE_NS9_11use_defaultESI_EESE_xNS9_4plusIvEENS9_8equal_toIvEExEE10hipError_tPvRmT2_T3_T4_T5_mT6_T7_P12ihipStream_tbENKUlT_T0_E_clISt17integral_constantIbLb1EES14_EEDaSZ_S10_EUlSZ_E_NS1_11comp_targetILNS1_3genE9ELNS1_11target_archE1100ELNS1_3gpuE3ELNS1_3repE0EEENS1_30default_config_static_selectorELNS0_4arch9wavefront6targetE0EEEvT1_,"axG",@progbits,_ZN7rocprim17ROCPRIM_400000_NS6detail17trampoline_kernelINS0_14default_configENS1_27scan_by_key_config_selectorIxxEEZZNS1_16scan_by_key_implILNS1_25lookback_scan_determinismE0ELb0ES3_N6thrust23THRUST_200600_302600_NS6detail15normal_iteratorINS9_10device_ptrIxEEEENS9_18transform_iteratorINS9_6negateIxEESE_NS9_11use_defaultESI_EESE_xNS9_4plusIvEENS9_8equal_toIvEExEE10hipError_tPvRmT2_T3_T4_T5_mT6_T7_P12ihipStream_tbENKUlT_T0_E_clISt17integral_constantIbLb1EES14_EEDaSZ_S10_EUlSZ_E_NS1_11comp_targetILNS1_3genE9ELNS1_11target_archE1100ELNS1_3gpuE3ELNS1_3repE0EEENS1_30default_config_static_selectorELNS0_4arch9wavefront6targetE0EEEvT1_,comdat
	.protected	_ZN7rocprim17ROCPRIM_400000_NS6detail17trampoline_kernelINS0_14default_configENS1_27scan_by_key_config_selectorIxxEEZZNS1_16scan_by_key_implILNS1_25lookback_scan_determinismE0ELb0ES3_N6thrust23THRUST_200600_302600_NS6detail15normal_iteratorINS9_10device_ptrIxEEEENS9_18transform_iteratorINS9_6negateIxEESE_NS9_11use_defaultESI_EESE_xNS9_4plusIvEENS9_8equal_toIvEExEE10hipError_tPvRmT2_T3_T4_T5_mT6_T7_P12ihipStream_tbENKUlT_T0_E_clISt17integral_constantIbLb1EES14_EEDaSZ_S10_EUlSZ_E_NS1_11comp_targetILNS1_3genE9ELNS1_11target_archE1100ELNS1_3gpuE3ELNS1_3repE0EEENS1_30default_config_static_selectorELNS0_4arch9wavefront6targetE0EEEvT1_ ; -- Begin function _ZN7rocprim17ROCPRIM_400000_NS6detail17trampoline_kernelINS0_14default_configENS1_27scan_by_key_config_selectorIxxEEZZNS1_16scan_by_key_implILNS1_25lookback_scan_determinismE0ELb0ES3_N6thrust23THRUST_200600_302600_NS6detail15normal_iteratorINS9_10device_ptrIxEEEENS9_18transform_iteratorINS9_6negateIxEESE_NS9_11use_defaultESI_EESE_xNS9_4plusIvEENS9_8equal_toIvEExEE10hipError_tPvRmT2_T3_T4_T5_mT6_T7_P12ihipStream_tbENKUlT_T0_E_clISt17integral_constantIbLb1EES14_EEDaSZ_S10_EUlSZ_E_NS1_11comp_targetILNS1_3genE9ELNS1_11target_archE1100ELNS1_3gpuE3ELNS1_3repE0EEENS1_30default_config_static_selectorELNS0_4arch9wavefront6targetE0EEEvT1_
	.globl	_ZN7rocprim17ROCPRIM_400000_NS6detail17trampoline_kernelINS0_14default_configENS1_27scan_by_key_config_selectorIxxEEZZNS1_16scan_by_key_implILNS1_25lookback_scan_determinismE0ELb0ES3_N6thrust23THRUST_200600_302600_NS6detail15normal_iteratorINS9_10device_ptrIxEEEENS9_18transform_iteratorINS9_6negateIxEESE_NS9_11use_defaultESI_EESE_xNS9_4plusIvEENS9_8equal_toIvEExEE10hipError_tPvRmT2_T3_T4_T5_mT6_T7_P12ihipStream_tbENKUlT_T0_E_clISt17integral_constantIbLb1EES14_EEDaSZ_S10_EUlSZ_E_NS1_11comp_targetILNS1_3genE9ELNS1_11target_archE1100ELNS1_3gpuE3ELNS1_3repE0EEENS1_30default_config_static_selectorELNS0_4arch9wavefront6targetE0EEEvT1_
	.p2align	8
	.type	_ZN7rocprim17ROCPRIM_400000_NS6detail17trampoline_kernelINS0_14default_configENS1_27scan_by_key_config_selectorIxxEEZZNS1_16scan_by_key_implILNS1_25lookback_scan_determinismE0ELb0ES3_N6thrust23THRUST_200600_302600_NS6detail15normal_iteratorINS9_10device_ptrIxEEEENS9_18transform_iteratorINS9_6negateIxEESE_NS9_11use_defaultESI_EESE_xNS9_4plusIvEENS9_8equal_toIvEExEE10hipError_tPvRmT2_T3_T4_T5_mT6_T7_P12ihipStream_tbENKUlT_T0_E_clISt17integral_constantIbLb1EES14_EEDaSZ_S10_EUlSZ_E_NS1_11comp_targetILNS1_3genE9ELNS1_11target_archE1100ELNS1_3gpuE3ELNS1_3repE0EEENS1_30default_config_static_selectorELNS0_4arch9wavefront6targetE0EEEvT1_,@function
_ZN7rocprim17ROCPRIM_400000_NS6detail17trampoline_kernelINS0_14default_configENS1_27scan_by_key_config_selectorIxxEEZZNS1_16scan_by_key_implILNS1_25lookback_scan_determinismE0ELb0ES3_N6thrust23THRUST_200600_302600_NS6detail15normal_iteratorINS9_10device_ptrIxEEEENS9_18transform_iteratorINS9_6negateIxEESE_NS9_11use_defaultESI_EESE_xNS9_4plusIvEENS9_8equal_toIvEExEE10hipError_tPvRmT2_T3_T4_T5_mT6_T7_P12ihipStream_tbENKUlT_T0_E_clISt17integral_constantIbLb1EES14_EEDaSZ_S10_EUlSZ_E_NS1_11comp_targetILNS1_3genE9ELNS1_11target_archE1100ELNS1_3gpuE3ELNS1_3repE0EEENS1_30default_config_static_selectorELNS0_4arch9wavefront6targetE0EEEvT1_: ; @_ZN7rocprim17ROCPRIM_400000_NS6detail17trampoline_kernelINS0_14default_configENS1_27scan_by_key_config_selectorIxxEEZZNS1_16scan_by_key_implILNS1_25lookback_scan_determinismE0ELb0ES3_N6thrust23THRUST_200600_302600_NS6detail15normal_iteratorINS9_10device_ptrIxEEEENS9_18transform_iteratorINS9_6negateIxEESE_NS9_11use_defaultESI_EESE_xNS9_4plusIvEENS9_8equal_toIvEExEE10hipError_tPvRmT2_T3_T4_T5_mT6_T7_P12ihipStream_tbENKUlT_T0_E_clISt17integral_constantIbLb1EES14_EEDaSZ_S10_EUlSZ_E_NS1_11comp_targetILNS1_3genE9ELNS1_11target_archE1100ELNS1_3gpuE3ELNS1_3repE0EEENS1_30default_config_static_selectorELNS0_4arch9wavefront6targetE0EEEvT1_
; %bb.0:
	.section	.rodata,"a",@progbits
	.p2align	6, 0x0
	.amdhsa_kernel _ZN7rocprim17ROCPRIM_400000_NS6detail17trampoline_kernelINS0_14default_configENS1_27scan_by_key_config_selectorIxxEEZZNS1_16scan_by_key_implILNS1_25lookback_scan_determinismE0ELb0ES3_N6thrust23THRUST_200600_302600_NS6detail15normal_iteratorINS9_10device_ptrIxEEEENS9_18transform_iteratorINS9_6negateIxEESE_NS9_11use_defaultESI_EESE_xNS9_4plusIvEENS9_8equal_toIvEExEE10hipError_tPvRmT2_T3_T4_T5_mT6_T7_P12ihipStream_tbENKUlT_T0_E_clISt17integral_constantIbLb1EES14_EEDaSZ_S10_EUlSZ_E_NS1_11comp_targetILNS1_3genE9ELNS1_11target_archE1100ELNS1_3gpuE3ELNS1_3repE0EEENS1_30default_config_static_selectorELNS0_4arch9wavefront6targetE0EEEvT1_
		.amdhsa_group_segment_fixed_size 0
		.amdhsa_private_segment_fixed_size 0
		.amdhsa_kernarg_size 144
		.amdhsa_user_sgpr_count 2
		.amdhsa_user_sgpr_dispatch_ptr 0
		.amdhsa_user_sgpr_queue_ptr 0
		.amdhsa_user_sgpr_kernarg_segment_ptr 1
		.amdhsa_user_sgpr_dispatch_id 0
		.amdhsa_user_sgpr_kernarg_preload_length 0
		.amdhsa_user_sgpr_kernarg_preload_offset 0
		.amdhsa_user_sgpr_private_segment_size 0
		.amdhsa_wavefront_size32 1
		.amdhsa_uses_dynamic_stack 0
		.amdhsa_enable_private_segment 0
		.amdhsa_system_sgpr_workgroup_id_x 1
		.amdhsa_system_sgpr_workgroup_id_y 0
		.amdhsa_system_sgpr_workgroup_id_z 0
		.amdhsa_system_sgpr_workgroup_info 0
		.amdhsa_system_vgpr_workitem_id 0
		.amdhsa_next_free_vgpr 1
		.amdhsa_next_free_sgpr 1
		.amdhsa_named_barrier_count 0
		.amdhsa_reserve_vcc 0
		.amdhsa_float_round_mode_32 0
		.amdhsa_float_round_mode_16_64 0
		.amdhsa_float_denorm_mode_32 3
		.amdhsa_float_denorm_mode_16_64 3
		.amdhsa_fp16_overflow 0
		.amdhsa_memory_ordered 1
		.amdhsa_forward_progress 1
		.amdhsa_inst_pref_size 0
		.amdhsa_round_robin_scheduling 0
		.amdhsa_exception_fp_ieee_invalid_op 0
		.amdhsa_exception_fp_denorm_src 0
		.amdhsa_exception_fp_ieee_div_zero 0
		.amdhsa_exception_fp_ieee_overflow 0
		.amdhsa_exception_fp_ieee_underflow 0
		.amdhsa_exception_fp_ieee_inexact 0
		.amdhsa_exception_int_div_zero 0
	.end_amdhsa_kernel
	.section	.text._ZN7rocprim17ROCPRIM_400000_NS6detail17trampoline_kernelINS0_14default_configENS1_27scan_by_key_config_selectorIxxEEZZNS1_16scan_by_key_implILNS1_25lookback_scan_determinismE0ELb0ES3_N6thrust23THRUST_200600_302600_NS6detail15normal_iteratorINS9_10device_ptrIxEEEENS9_18transform_iteratorINS9_6negateIxEESE_NS9_11use_defaultESI_EESE_xNS9_4plusIvEENS9_8equal_toIvEExEE10hipError_tPvRmT2_T3_T4_T5_mT6_T7_P12ihipStream_tbENKUlT_T0_E_clISt17integral_constantIbLb1EES14_EEDaSZ_S10_EUlSZ_E_NS1_11comp_targetILNS1_3genE9ELNS1_11target_archE1100ELNS1_3gpuE3ELNS1_3repE0EEENS1_30default_config_static_selectorELNS0_4arch9wavefront6targetE0EEEvT1_,"axG",@progbits,_ZN7rocprim17ROCPRIM_400000_NS6detail17trampoline_kernelINS0_14default_configENS1_27scan_by_key_config_selectorIxxEEZZNS1_16scan_by_key_implILNS1_25lookback_scan_determinismE0ELb0ES3_N6thrust23THRUST_200600_302600_NS6detail15normal_iteratorINS9_10device_ptrIxEEEENS9_18transform_iteratorINS9_6negateIxEESE_NS9_11use_defaultESI_EESE_xNS9_4plusIvEENS9_8equal_toIvEExEE10hipError_tPvRmT2_T3_T4_T5_mT6_T7_P12ihipStream_tbENKUlT_T0_E_clISt17integral_constantIbLb1EES14_EEDaSZ_S10_EUlSZ_E_NS1_11comp_targetILNS1_3genE9ELNS1_11target_archE1100ELNS1_3gpuE3ELNS1_3repE0EEENS1_30default_config_static_selectorELNS0_4arch9wavefront6targetE0EEEvT1_,comdat
.Lfunc_end909:
	.size	_ZN7rocprim17ROCPRIM_400000_NS6detail17trampoline_kernelINS0_14default_configENS1_27scan_by_key_config_selectorIxxEEZZNS1_16scan_by_key_implILNS1_25lookback_scan_determinismE0ELb0ES3_N6thrust23THRUST_200600_302600_NS6detail15normal_iteratorINS9_10device_ptrIxEEEENS9_18transform_iteratorINS9_6negateIxEESE_NS9_11use_defaultESI_EESE_xNS9_4plusIvEENS9_8equal_toIvEExEE10hipError_tPvRmT2_T3_T4_T5_mT6_T7_P12ihipStream_tbENKUlT_T0_E_clISt17integral_constantIbLb1EES14_EEDaSZ_S10_EUlSZ_E_NS1_11comp_targetILNS1_3genE9ELNS1_11target_archE1100ELNS1_3gpuE3ELNS1_3repE0EEENS1_30default_config_static_selectorELNS0_4arch9wavefront6targetE0EEEvT1_, .Lfunc_end909-_ZN7rocprim17ROCPRIM_400000_NS6detail17trampoline_kernelINS0_14default_configENS1_27scan_by_key_config_selectorIxxEEZZNS1_16scan_by_key_implILNS1_25lookback_scan_determinismE0ELb0ES3_N6thrust23THRUST_200600_302600_NS6detail15normal_iteratorINS9_10device_ptrIxEEEENS9_18transform_iteratorINS9_6negateIxEESE_NS9_11use_defaultESI_EESE_xNS9_4plusIvEENS9_8equal_toIvEExEE10hipError_tPvRmT2_T3_T4_T5_mT6_T7_P12ihipStream_tbENKUlT_T0_E_clISt17integral_constantIbLb1EES14_EEDaSZ_S10_EUlSZ_E_NS1_11comp_targetILNS1_3genE9ELNS1_11target_archE1100ELNS1_3gpuE3ELNS1_3repE0EEENS1_30default_config_static_selectorELNS0_4arch9wavefront6targetE0EEEvT1_
                                        ; -- End function
	.set _ZN7rocprim17ROCPRIM_400000_NS6detail17trampoline_kernelINS0_14default_configENS1_27scan_by_key_config_selectorIxxEEZZNS1_16scan_by_key_implILNS1_25lookback_scan_determinismE0ELb0ES3_N6thrust23THRUST_200600_302600_NS6detail15normal_iteratorINS9_10device_ptrIxEEEENS9_18transform_iteratorINS9_6negateIxEESE_NS9_11use_defaultESI_EESE_xNS9_4plusIvEENS9_8equal_toIvEExEE10hipError_tPvRmT2_T3_T4_T5_mT6_T7_P12ihipStream_tbENKUlT_T0_E_clISt17integral_constantIbLb1EES14_EEDaSZ_S10_EUlSZ_E_NS1_11comp_targetILNS1_3genE9ELNS1_11target_archE1100ELNS1_3gpuE3ELNS1_3repE0EEENS1_30default_config_static_selectorELNS0_4arch9wavefront6targetE0EEEvT1_.num_vgpr, 0
	.set _ZN7rocprim17ROCPRIM_400000_NS6detail17trampoline_kernelINS0_14default_configENS1_27scan_by_key_config_selectorIxxEEZZNS1_16scan_by_key_implILNS1_25lookback_scan_determinismE0ELb0ES3_N6thrust23THRUST_200600_302600_NS6detail15normal_iteratorINS9_10device_ptrIxEEEENS9_18transform_iteratorINS9_6negateIxEESE_NS9_11use_defaultESI_EESE_xNS9_4plusIvEENS9_8equal_toIvEExEE10hipError_tPvRmT2_T3_T4_T5_mT6_T7_P12ihipStream_tbENKUlT_T0_E_clISt17integral_constantIbLb1EES14_EEDaSZ_S10_EUlSZ_E_NS1_11comp_targetILNS1_3genE9ELNS1_11target_archE1100ELNS1_3gpuE3ELNS1_3repE0EEENS1_30default_config_static_selectorELNS0_4arch9wavefront6targetE0EEEvT1_.num_agpr, 0
	.set _ZN7rocprim17ROCPRIM_400000_NS6detail17trampoline_kernelINS0_14default_configENS1_27scan_by_key_config_selectorIxxEEZZNS1_16scan_by_key_implILNS1_25lookback_scan_determinismE0ELb0ES3_N6thrust23THRUST_200600_302600_NS6detail15normal_iteratorINS9_10device_ptrIxEEEENS9_18transform_iteratorINS9_6negateIxEESE_NS9_11use_defaultESI_EESE_xNS9_4plusIvEENS9_8equal_toIvEExEE10hipError_tPvRmT2_T3_T4_T5_mT6_T7_P12ihipStream_tbENKUlT_T0_E_clISt17integral_constantIbLb1EES14_EEDaSZ_S10_EUlSZ_E_NS1_11comp_targetILNS1_3genE9ELNS1_11target_archE1100ELNS1_3gpuE3ELNS1_3repE0EEENS1_30default_config_static_selectorELNS0_4arch9wavefront6targetE0EEEvT1_.numbered_sgpr, 0
	.set _ZN7rocprim17ROCPRIM_400000_NS6detail17trampoline_kernelINS0_14default_configENS1_27scan_by_key_config_selectorIxxEEZZNS1_16scan_by_key_implILNS1_25lookback_scan_determinismE0ELb0ES3_N6thrust23THRUST_200600_302600_NS6detail15normal_iteratorINS9_10device_ptrIxEEEENS9_18transform_iteratorINS9_6negateIxEESE_NS9_11use_defaultESI_EESE_xNS9_4plusIvEENS9_8equal_toIvEExEE10hipError_tPvRmT2_T3_T4_T5_mT6_T7_P12ihipStream_tbENKUlT_T0_E_clISt17integral_constantIbLb1EES14_EEDaSZ_S10_EUlSZ_E_NS1_11comp_targetILNS1_3genE9ELNS1_11target_archE1100ELNS1_3gpuE3ELNS1_3repE0EEENS1_30default_config_static_selectorELNS0_4arch9wavefront6targetE0EEEvT1_.num_named_barrier, 0
	.set _ZN7rocprim17ROCPRIM_400000_NS6detail17trampoline_kernelINS0_14default_configENS1_27scan_by_key_config_selectorIxxEEZZNS1_16scan_by_key_implILNS1_25lookback_scan_determinismE0ELb0ES3_N6thrust23THRUST_200600_302600_NS6detail15normal_iteratorINS9_10device_ptrIxEEEENS9_18transform_iteratorINS9_6negateIxEESE_NS9_11use_defaultESI_EESE_xNS9_4plusIvEENS9_8equal_toIvEExEE10hipError_tPvRmT2_T3_T4_T5_mT6_T7_P12ihipStream_tbENKUlT_T0_E_clISt17integral_constantIbLb1EES14_EEDaSZ_S10_EUlSZ_E_NS1_11comp_targetILNS1_3genE9ELNS1_11target_archE1100ELNS1_3gpuE3ELNS1_3repE0EEENS1_30default_config_static_selectorELNS0_4arch9wavefront6targetE0EEEvT1_.private_seg_size, 0
	.set _ZN7rocprim17ROCPRIM_400000_NS6detail17trampoline_kernelINS0_14default_configENS1_27scan_by_key_config_selectorIxxEEZZNS1_16scan_by_key_implILNS1_25lookback_scan_determinismE0ELb0ES3_N6thrust23THRUST_200600_302600_NS6detail15normal_iteratorINS9_10device_ptrIxEEEENS9_18transform_iteratorINS9_6negateIxEESE_NS9_11use_defaultESI_EESE_xNS9_4plusIvEENS9_8equal_toIvEExEE10hipError_tPvRmT2_T3_T4_T5_mT6_T7_P12ihipStream_tbENKUlT_T0_E_clISt17integral_constantIbLb1EES14_EEDaSZ_S10_EUlSZ_E_NS1_11comp_targetILNS1_3genE9ELNS1_11target_archE1100ELNS1_3gpuE3ELNS1_3repE0EEENS1_30default_config_static_selectorELNS0_4arch9wavefront6targetE0EEEvT1_.uses_vcc, 0
	.set _ZN7rocprim17ROCPRIM_400000_NS6detail17trampoline_kernelINS0_14default_configENS1_27scan_by_key_config_selectorIxxEEZZNS1_16scan_by_key_implILNS1_25lookback_scan_determinismE0ELb0ES3_N6thrust23THRUST_200600_302600_NS6detail15normal_iteratorINS9_10device_ptrIxEEEENS9_18transform_iteratorINS9_6negateIxEESE_NS9_11use_defaultESI_EESE_xNS9_4plusIvEENS9_8equal_toIvEExEE10hipError_tPvRmT2_T3_T4_T5_mT6_T7_P12ihipStream_tbENKUlT_T0_E_clISt17integral_constantIbLb1EES14_EEDaSZ_S10_EUlSZ_E_NS1_11comp_targetILNS1_3genE9ELNS1_11target_archE1100ELNS1_3gpuE3ELNS1_3repE0EEENS1_30default_config_static_selectorELNS0_4arch9wavefront6targetE0EEEvT1_.uses_flat_scratch, 0
	.set _ZN7rocprim17ROCPRIM_400000_NS6detail17trampoline_kernelINS0_14default_configENS1_27scan_by_key_config_selectorIxxEEZZNS1_16scan_by_key_implILNS1_25lookback_scan_determinismE0ELb0ES3_N6thrust23THRUST_200600_302600_NS6detail15normal_iteratorINS9_10device_ptrIxEEEENS9_18transform_iteratorINS9_6negateIxEESE_NS9_11use_defaultESI_EESE_xNS9_4plusIvEENS9_8equal_toIvEExEE10hipError_tPvRmT2_T3_T4_T5_mT6_T7_P12ihipStream_tbENKUlT_T0_E_clISt17integral_constantIbLb1EES14_EEDaSZ_S10_EUlSZ_E_NS1_11comp_targetILNS1_3genE9ELNS1_11target_archE1100ELNS1_3gpuE3ELNS1_3repE0EEENS1_30default_config_static_selectorELNS0_4arch9wavefront6targetE0EEEvT1_.has_dyn_sized_stack, 0
	.set _ZN7rocprim17ROCPRIM_400000_NS6detail17trampoline_kernelINS0_14default_configENS1_27scan_by_key_config_selectorIxxEEZZNS1_16scan_by_key_implILNS1_25lookback_scan_determinismE0ELb0ES3_N6thrust23THRUST_200600_302600_NS6detail15normal_iteratorINS9_10device_ptrIxEEEENS9_18transform_iteratorINS9_6negateIxEESE_NS9_11use_defaultESI_EESE_xNS9_4plusIvEENS9_8equal_toIvEExEE10hipError_tPvRmT2_T3_T4_T5_mT6_T7_P12ihipStream_tbENKUlT_T0_E_clISt17integral_constantIbLb1EES14_EEDaSZ_S10_EUlSZ_E_NS1_11comp_targetILNS1_3genE9ELNS1_11target_archE1100ELNS1_3gpuE3ELNS1_3repE0EEENS1_30default_config_static_selectorELNS0_4arch9wavefront6targetE0EEEvT1_.has_recursion, 0
	.set _ZN7rocprim17ROCPRIM_400000_NS6detail17trampoline_kernelINS0_14default_configENS1_27scan_by_key_config_selectorIxxEEZZNS1_16scan_by_key_implILNS1_25lookback_scan_determinismE0ELb0ES3_N6thrust23THRUST_200600_302600_NS6detail15normal_iteratorINS9_10device_ptrIxEEEENS9_18transform_iteratorINS9_6negateIxEESE_NS9_11use_defaultESI_EESE_xNS9_4plusIvEENS9_8equal_toIvEExEE10hipError_tPvRmT2_T3_T4_T5_mT6_T7_P12ihipStream_tbENKUlT_T0_E_clISt17integral_constantIbLb1EES14_EEDaSZ_S10_EUlSZ_E_NS1_11comp_targetILNS1_3genE9ELNS1_11target_archE1100ELNS1_3gpuE3ELNS1_3repE0EEENS1_30default_config_static_selectorELNS0_4arch9wavefront6targetE0EEEvT1_.has_indirect_call, 0
	.section	.AMDGPU.csdata,"",@progbits
; Kernel info:
; codeLenInByte = 0
; TotalNumSgprs: 0
; NumVgprs: 0
; ScratchSize: 0
; MemoryBound: 0
; FloatMode: 240
; IeeeMode: 1
; LDSByteSize: 0 bytes/workgroup (compile time only)
; SGPRBlocks: 0
; VGPRBlocks: 0
; NumSGPRsForWavesPerEU: 1
; NumVGPRsForWavesPerEU: 1
; NamedBarCnt: 0
; Occupancy: 16
; WaveLimiterHint : 0
; COMPUTE_PGM_RSRC2:SCRATCH_EN: 0
; COMPUTE_PGM_RSRC2:USER_SGPR: 2
; COMPUTE_PGM_RSRC2:TRAP_HANDLER: 0
; COMPUTE_PGM_RSRC2:TGID_X_EN: 1
; COMPUTE_PGM_RSRC2:TGID_Y_EN: 0
; COMPUTE_PGM_RSRC2:TGID_Z_EN: 0
; COMPUTE_PGM_RSRC2:TIDIG_COMP_CNT: 0
	.section	.text._ZN7rocprim17ROCPRIM_400000_NS6detail17trampoline_kernelINS0_14default_configENS1_27scan_by_key_config_selectorIxxEEZZNS1_16scan_by_key_implILNS1_25lookback_scan_determinismE0ELb0ES3_N6thrust23THRUST_200600_302600_NS6detail15normal_iteratorINS9_10device_ptrIxEEEENS9_18transform_iteratorINS9_6negateIxEESE_NS9_11use_defaultESI_EESE_xNS9_4plusIvEENS9_8equal_toIvEExEE10hipError_tPvRmT2_T3_T4_T5_mT6_T7_P12ihipStream_tbENKUlT_T0_E_clISt17integral_constantIbLb1EES14_EEDaSZ_S10_EUlSZ_E_NS1_11comp_targetILNS1_3genE8ELNS1_11target_archE1030ELNS1_3gpuE2ELNS1_3repE0EEENS1_30default_config_static_selectorELNS0_4arch9wavefront6targetE0EEEvT1_,"axG",@progbits,_ZN7rocprim17ROCPRIM_400000_NS6detail17trampoline_kernelINS0_14default_configENS1_27scan_by_key_config_selectorIxxEEZZNS1_16scan_by_key_implILNS1_25lookback_scan_determinismE0ELb0ES3_N6thrust23THRUST_200600_302600_NS6detail15normal_iteratorINS9_10device_ptrIxEEEENS9_18transform_iteratorINS9_6negateIxEESE_NS9_11use_defaultESI_EESE_xNS9_4plusIvEENS9_8equal_toIvEExEE10hipError_tPvRmT2_T3_T4_T5_mT6_T7_P12ihipStream_tbENKUlT_T0_E_clISt17integral_constantIbLb1EES14_EEDaSZ_S10_EUlSZ_E_NS1_11comp_targetILNS1_3genE8ELNS1_11target_archE1030ELNS1_3gpuE2ELNS1_3repE0EEENS1_30default_config_static_selectorELNS0_4arch9wavefront6targetE0EEEvT1_,comdat
	.protected	_ZN7rocprim17ROCPRIM_400000_NS6detail17trampoline_kernelINS0_14default_configENS1_27scan_by_key_config_selectorIxxEEZZNS1_16scan_by_key_implILNS1_25lookback_scan_determinismE0ELb0ES3_N6thrust23THRUST_200600_302600_NS6detail15normal_iteratorINS9_10device_ptrIxEEEENS9_18transform_iteratorINS9_6negateIxEESE_NS9_11use_defaultESI_EESE_xNS9_4plusIvEENS9_8equal_toIvEExEE10hipError_tPvRmT2_T3_T4_T5_mT6_T7_P12ihipStream_tbENKUlT_T0_E_clISt17integral_constantIbLb1EES14_EEDaSZ_S10_EUlSZ_E_NS1_11comp_targetILNS1_3genE8ELNS1_11target_archE1030ELNS1_3gpuE2ELNS1_3repE0EEENS1_30default_config_static_selectorELNS0_4arch9wavefront6targetE0EEEvT1_ ; -- Begin function _ZN7rocprim17ROCPRIM_400000_NS6detail17trampoline_kernelINS0_14default_configENS1_27scan_by_key_config_selectorIxxEEZZNS1_16scan_by_key_implILNS1_25lookback_scan_determinismE0ELb0ES3_N6thrust23THRUST_200600_302600_NS6detail15normal_iteratorINS9_10device_ptrIxEEEENS9_18transform_iteratorINS9_6negateIxEESE_NS9_11use_defaultESI_EESE_xNS9_4plusIvEENS9_8equal_toIvEExEE10hipError_tPvRmT2_T3_T4_T5_mT6_T7_P12ihipStream_tbENKUlT_T0_E_clISt17integral_constantIbLb1EES14_EEDaSZ_S10_EUlSZ_E_NS1_11comp_targetILNS1_3genE8ELNS1_11target_archE1030ELNS1_3gpuE2ELNS1_3repE0EEENS1_30default_config_static_selectorELNS0_4arch9wavefront6targetE0EEEvT1_
	.globl	_ZN7rocprim17ROCPRIM_400000_NS6detail17trampoline_kernelINS0_14default_configENS1_27scan_by_key_config_selectorIxxEEZZNS1_16scan_by_key_implILNS1_25lookback_scan_determinismE0ELb0ES3_N6thrust23THRUST_200600_302600_NS6detail15normal_iteratorINS9_10device_ptrIxEEEENS9_18transform_iteratorINS9_6negateIxEESE_NS9_11use_defaultESI_EESE_xNS9_4plusIvEENS9_8equal_toIvEExEE10hipError_tPvRmT2_T3_T4_T5_mT6_T7_P12ihipStream_tbENKUlT_T0_E_clISt17integral_constantIbLb1EES14_EEDaSZ_S10_EUlSZ_E_NS1_11comp_targetILNS1_3genE8ELNS1_11target_archE1030ELNS1_3gpuE2ELNS1_3repE0EEENS1_30default_config_static_selectorELNS0_4arch9wavefront6targetE0EEEvT1_
	.p2align	8
	.type	_ZN7rocprim17ROCPRIM_400000_NS6detail17trampoline_kernelINS0_14default_configENS1_27scan_by_key_config_selectorIxxEEZZNS1_16scan_by_key_implILNS1_25lookback_scan_determinismE0ELb0ES3_N6thrust23THRUST_200600_302600_NS6detail15normal_iteratorINS9_10device_ptrIxEEEENS9_18transform_iteratorINS9_6negateIxEESE_NS9_11use_defaultESI_EESE_xNS9_4plusIvEENS9_8equal_toIvEExEE10hipError_tPvRmT2_T3_T4_T5_mT6_T7_P12ihipStream_tbENKUlT_T0_E_clISt17integral_constantIbLb1EES14_EEDaSZ_S10_EUlSZ_E_NS1_11comp_targetILNS1_3genE8ELNS1_11target_archE1030ELNS1_3gpuE2ELNS1_3repE0EEENS1_30default_config_static_selectorELNS0_4arch9wavefront6targetE0EEEvT1_,@function
_ZN7rocprim17ROCPRIM_400000_NS6detail17trampoline_kernelINS0_14default_configENS1_27scan_by_key_config_selectorIxxEEZZNS1_16scan_by_key_implILNS1_25lookback_scan_determinismE0ELb0ES3_N6thrust23THRUST_200600_302600_NS6detail15normal_iteratorINS9_10device_ptrIxEEEENS9_18transform_iteratorINS9_6negateIxEESE_NS9_11use_defaultESI_EESE_xNS9_4plusIvEENS9_8equal_toIvEExEE10hipError_tPvRmT2_T3_T4_T5_mT6_T7_P12ihipStream_tbENKUlT_T0_E_clISt17integral_constantIbLb1EES14_EEDaSZ_S10_EUlSZ_E_NS1_11comp_targetILNS1_3genE8ELNS1_11target_archE1030ELNS1_3gpuE2ELNS1_3repE0EEENS1_30default_config_static_selectorELNS0_4arch9wavefront6targetE0EEEvT1_: ; @_ZN7rocprim17ROCPRIM_400000_NS6detail17trampoline_kernelINS0_14default_configENS1_27scan_by_key_config_selectorIxxEEZZNS1_16scan_by_key_implILNS1_25lookback_scan_determinismE0ELb0ES3_N6thrust23THRUST_200600_302600_NS6detail15normal_iteratorINS9_10device_ptrIxEEEENS9_18transform_iteratorINS9_6negateIxEESE_NS9_11use_defaultESI_EESE_xNS9_4plusIvEENS9_8equal_toIvEExEE10hipError_tPvRmT2_T3_T4_T5_mT6_T7_P12ihipStream_tbENKUlT_T0_E_clISt17integral_constantIbLb1EES14_EEDaSZ_S10_EUlSZ_E_NS1_11comp_targetILNS1_3genE8ELNS1_11target_archE1030ELNS1_3gpuE2ELNS1_3repE0EEENS1_30default_config_static_selectorELNS0_4arch9wavefront6targetE0EEEvT1_
; %bb.0:
	.section	.rodata,"a",@progbits
	.p2align	6, 0x0
	.amdhsa_kernel _ZN7rocprim17ROCPRIM_400000_NS6detail17trampoline_kernelINS0_14default_configENS1_27scan_by_key_config_selectorIxxEEZZNS1_16scan_by_key_implILNS1_25lookback_scan_determinismE0ELb0ES3_N6thrust23THRUST_200600_302600_NS6detail15normal_iteratorINS9_10device_ptrIxEEEENS9_18transform_iteratorINS9_6negateIxEESE_NS9_11use_defaultESI_EESE_xNS9_4plusIvEENS9_8equal_toIvEExEE10hipError_tPvRmT2_T3_T4_T5_mT6_T7_P12ihipStream_tbENKUlT_T0_E_clISt17integral_constantIbLb1EES14_EEDaSZ_S10_EUlSZ_E_NS1_11comp_targetILNS1_3genE8ELNS1_11target_archE1030ELNS1_3gpuE2ELNS1_3repE0EEENS1_30default_config_static_selectorELNS0_4arch9wavefront6targetE0EEEvT1_
		.amdhsa_group_segment_fixed_size 0
		.amdhsa_private_segment_fixed_size 0
		.amdhsa_kernarg_size 144
		.amdhsa_user_sgpr_count 2
		.amdhsa_user_sgpr_dispatch_ptr 0
		.amdhsa_user_sgpr_queue_ptr 0
		.amdhsa_user_sgpr_kernarg_segment_ptr 1
		.amdhsa_user_sgpr_dispatch_id 0
		.amdhsa_user_sgpr_kernarg_preload_length 0
		.amdhsa_user_sgpr_kernarg_preload_offset 0
		.amdhsa_user_sgpr_private_segment_size 0
		.amdhsa_wavefront_size32 1
		.amdhsa_uses_dynamic_stack 0
		.amdhsa_enable_private_segment 0
		.amdhsa_system_sgpr_workgroup_id_x 1
		.amdhsa_system_sgpr_workgroup_id_y 0
		.amdhsa_system_sgpr_workgroup_id_z 0
		.amdhsa_system_sgpr_workgroup_info 0
		.amdhsa_system_vgpr_workitem_id 0
		.amdhsa_next_free_vgpr 1
		.amdhsa_next_free_sgpr 1
		.amdhsa_named_barrier_count 0
		.amdhsa_reserve_vcc 0
		.amdhsa_float_round_mode_32 0
		.amdhsa_float_round_mode_16_64 0
		.amdhsa_float_denorm_mode_32 3
		.amdhsa_float_denorm_mode_16_64 3
		.amdhsa_fp16_overflow 0
		.amdhsa_memory_ordered 1
		.amdhsa_forward_progress 1
		.amdhsa_inst_pref_size 0
		.amdhsa_round_robin_scheduling 0
		.amdhsa_exception_fp_ieee_invalid_op 0
		.amdhsa_exception_fp_denorm_src 0
		.amdhsa_exception_fp_ieee_div_zero 0
		.amdhsa_exception_fp_ieee_overflow 0
		.amdhsa_exception_fp_ieee_underflow 0
		.amdhsa_exception_fp_ieee_inexact 0
		.amdhsa_exception_int_div_zero 0
	.end_amdhsa_kernel
	.section	.text._ZN7rocprim17ROCPRIM_400000_NS6detail17trampoline_kernelINS0_14default_configENS1_27scan_by_key_config_selectorIxxEEZZNS1_16scan_by_key_implILNS1_25lookback_scan_determinismE0ELb0ES3_N6thrust23THRUST_200600_302600_NS6detail15normal_iteratorINS9_10device_ptrIxEEEENS9_18transform_iteratorINS9_6negateIxEESE_NS9_11use_defaultESI_EESE_xNS9_4plusIvEENS9_8equal_toIvEExEE10hipError_tPvRmT2_T3_T4_T5_mT6_T7_P12ihipStream_tbENKUlT_T0_E_clISt17integral_constantIbLb1EES14_EEDaSZ_S10_EUlSZ_E_NS1_11comp_targetILNS1_3genE8ELNS1_11target_archE1030ELNS1_3gpuE2ELNS1_3repE0EEENS1_30default_config_static_selectorELNS0_4arch9wavefront6targetE0EEEvT1_,"axG",@progbits,_ZN7rocprim17ROCPRIM_400000_NS6detail17trampoline_kernelINS0_14default_configENS1_27scan_by_key_config_selectorIxxEEZZNS1_16scan_by_key_implILNS1_25lookback_scan_determinismE0ELb0ES3_N6thrust23THRUST_200600_302600_NS6detail15normal_iteratorINS9_10device_ptrIxEEEENS9_18transform_iteratorINS9_6negateIxEESE_NS9_11use_defaultESI_EESE_xNS9_4plusIvEENS9_8equal_toIvEExEE10hipError_tPvRmT2_T3_T4_T5_mT6_T7_P12ihipStream_tbENKUlT_T0_E_clISt17integral_constantIbLb1EES14_EEDaSZ_S10_EUlSZ_E_NS1_11comp_targetILNS1_3genE8ELNS1_11target_archE1030ELNS1_3gpuE2ELNS1_3repE0EEENS1_30default_config_static_selectorELNS0_4arch9wavefront6targetE0EEEvT1_,comdat
.Lfunc_end910:
	.size	_ZN7rocprim17ROCPRIM_400000_NS6detail17trampoline_kernelINS0_14default_configENS1_27scan_by_key_config_selectorIxxEEZZNS1_16scan_by_key_implILNS1_25lookback_scan_determinismE0ELb0ES3_N6thrust23THRUST_200600_302600_NS6detail15normal_iteratorINS9_10device_ptrIxEEEENS9_18transform_iteratorINS9_6negateIxEESE_NS9_11use_defaultESI_EESE_xNS9_4plusIvEENS9_8equal_toIvEExEE10hipError_tPvRmT2_T3_T4_T5_mT6_T7_P12ihipStream_tbENKUlT_T0_E_clISt17integral_constantIbLb1EES14_EEDaSZ_S10_EUlSZ_E_NS1_11comp_targetILNS1_3genE8ELNS1_11target_archE1030ELNS1_3gpuE2ELNS1_3repE0EEENS1_30default_config_static_selectorELNS0_4arch9wavefront6targetE0EEEvT1_, .Lfunc_end910-_ZN7rocprim17ROCPRIM_400000_NS6detail17trampoline_kernelINS0_14default_configENS1_27scan_by_key_config_selectorIxxEEZZNS1_16scan_by_key_implILNS1_25lookback_scan_determinismE0ELb0ES3_N6thrust23THRUST_200600_302600_NS6detail15normal_iteratorINS9_10device_ptrIxEEEENS9_18transform_iteratorINS9_6negateIxEESE_NS9_11use_defaultESI_EESE_xNS9_4plusIvEENS9_8equal_toIvEExEE10hipError_tPvRmT2_T3_T4_T5_mT6_T7_P12ihipStream_tbENKUlT_T0_E_clISt17integral_constantIbLb1EES14_EEDaSZ_S10_EUlSZ_E_NS1_11comp_targetILNS1_3genE8ELNS1_11target_archE1030ELNS1_3gpuE2ELNS1_3repE0EEENS1_30default_config_static_selectorELNS0_4arch9wavefront6targetE0EEEvT1_
                                        ; -- End function
	.set _ZN7rocprim17ROCPRIM_400000_NS6detail17trampoline_kernelINS0_14default_configENS1_27scan_by_key_config_selectorIxxEEZZNS1_16scan_by_key_implILNS1_25lookback_scan_determinismE0ELb0ES3_N6thrust23THRUST_200600_302600_NS6detail15normal_iteratorINS9_10device_ptrIxEEEENS9_18transform_iteratorINS9_6negateIxEESE_NS9_11use_defaultESI_EESE_xNS9_4plusIvEENS9_8equal_toIvEExEE10hipError_tPvRmT2_T3_T4_T5_mT6_T7_P12ihipStream_tbENKUlT_T0_E_clISt17integral_constantIbLb1EES14_EEDaSZ_S10_EUlSZ_E_NS1_11comp_targetILNS1_3genE8ELNS1_11target_archE1030ELNS1_3gpuE2ELNS1_3repE0EEENS1_30default_config_static_selectorELNS0_4arch9wavefront6targetE0EEEvT1_.num_vgpr, 0
	.set _ZN7rocprim17ROCPRIM_400000_NS6detail17trampoline_kernelINS0_14default_configENS1_27scan_by_key_config_selectorIxxEEZZNS1_16scan_by_key_implILNS1_25lookback_scan_determinismE0ELb0ES3_N6thrust23THRUST_200600_302600_NS6detail15normal_iteratorINS9_10device_ptrIxEEEENS9_18transform_iteratorINS9_6negateIxEESE_NS9_11use_defaultESI_EESE_xNS9_4plusIvEENS9_8equal_toIvEExEE10hipError_tPvRmT2_T3_T4_T5_mT6_T7_P12ihipStream_tbENKUlT_T0_E_clISt17integral_constantIbLb1EES14_EEDaSZ_S10_EUlSZ_E_NS1_11comp_targetILNS1_3genE8ELNS1_11target_archE1030ELNS1_3gpuE2ELNS1_3repE0EEENS1_30default_config_static_selectorELNS0_4arch9wavefront6targetE0EEEvT1_.num_agpr, 0
	.set _ZN7rocprim17ROCPRIM_400000_NS6detail17trampoline_kernelINS0_14default_configENS1_27scan_by_key_config_selectorIxxEEZZNS1_16scan_by_key_implILNS1_25lookback_scan_determinismE0ELb0ES3_N6thrust23THRUST_200600_302600_NS6detail15normal_iteratorINS9_10device_ptrIxEEEENS9_18transform_iteratorINS9_6negateIxEESE_NS9_11use_defaultESI_EESE_xNS9_4plusIvEENS9_8equal_toIvEExEE10hipError_tPvRmT2_T3_T4_T5_mT6_T7_P12ihipStream_tbENKUlT_T0_E_clISt17integral_constantIbLb1EES14_EEDaSZ_S10_EUlSZ_E_NS1_11comp_targetILNS1_3genE8ELNS1_11target_archE1030ELNS1_3gpuE2ELNS1_3repE0EEENS1_30default_config_static_selectorELNS0_4arch9wavefront6targetE0EEEvT1_.numbered_sgpr, 0
	.set _ZN7rocprim17ROCPRIM_400000_NS6detail17trampoline_kernelINS0_14default_configENS1_27scan_by_key_config_selectorIxxEEZZNS1_16scan_by_key_implILNS1_25lookback_scan_determinismE0ELb0ES3_N6thrust23THRUST_200600_302600_NS6detail15normal_iteratorINS9_10device_ptrIxEEEENS9_18transform_iteratorINS9_6negateIxEESE_NS9_11use_defaultESI_EESE_xNS9_4plusIvEENS9_8equal_toIvEExEE10hipError_tPvRmT2_T3_T4_T5_mT6_T7_P12ihipStream_tbENKUlT_T0_E_clISt17integral_constantIbLb1EES14_EEDaSZ_S10_EUlSZ_E_NS1_11comp_targetILNS1_3genE8ELNS1_11target_archE1030ELNS1_3gpuE2ELNS1_3repE0EEENS1_30default_config_static_selectorELNS0_4arch9wavefront6targetE0EEEvT1_.num_named_barrier, 0
	.set _ZN7rocprim17ROCPRIM_400000_NS6detail17trampoline_kernelINS0_14default_configENS1_27scan_by_key_config_selectorIxxEEZZNS1_16scan_by_key_implILNS1_25lookback_scan_determinismE0ELb0ES3_N6thrust23THRUST_200600_302600_NS6detail15normal_iteratorINS9_10device_ptrIxEEEENS9_18transform_iteratorINS9_6negateIxEESE_NS9_11use_defaultESI_EESE_xNS9_4plusIvEENS9_8equal_toIvEExEE10hipError_tPvRmT2_T3_T4_T5_mT6_T7_P12ihipStream_tbENKUlT_T0_E_clISt17integral_constantIbLb1EES14_EEDaSZ_S10_EUlSZ_E_NS1_11comp_targetILNS1_3genE8ELNS1_11target_archE1030ELNS1_3gpuE2ELNS1_3repE0EEENS1_30default_config_static_selectorELNS0_4arch9wavefront6targetE0EEEvT1_.private_seg_size, 0
	.set _ZN7rocprim17ROCPRIM_400000_NS6detail17trampoline_kernelINS0_14default_configENS1_27scan_by_key_config_selectorIxxEEZZNS1_16scan_by_key_implILNS1_25lookback_scan_determinismE0ELb0ES3_N6thrust23THRUST_200600_302600_NS6detail15normal_iteratorINS9_10device_ptrIxEEEENS9_18transform_iteratorINS9_6negateIxEESE_NS9_11use_defaultESI_EESE_xNS9_4plusIvEENS9_8equal_toIvEExEE10hipError_tPvRmT2_T3_T4_T5_mT6_T7_P12ihipStream_tbENKUlT_T0_E_clISt17integral_constantIbLb1EES14_EEDaSZ_S10_EUlSZ_E_NS1_11comp_targetILNS1_3genE8ELNS1_11target_archE1030ELNS1_3gpuE2ELNS1_3repE0EEENS1_30default_config_static_selectorELNS0_4arch9wavefront6targetE0EEEvT1_.uses_vcc, 0
	.set _ZN7rocprim17ROCPRIM_400000_NS6detail17trampoline_kernelINS0_14default_configENS1_27scan_by_key_config_selectorIxxEEZZNS1_16scan_by_key_implILNS1_25lookback_scan_determinismE0ELb0ES3_N6thrust23THRUST_200600_302600_NS6detail15normal_iteratorINS9_10device_ptrIxEEEENS9_18transform_iteratorINS9_6negateIxEESE_NS9_11use_defaultESI_EESE_xNS9_4plusIvEENS9_8equal_toIvEExEE10hipError_tPvRmT2_T3_T4_T5_mT6_T7_P12ihipStream_tbENKUlT_T0_E_clISt17integral_constantIbLb1EES14_EEDaSZ_S10_EUlSZ_E_NS1_11comp_targetILNS1_3genE8ELNS1_11target_archE1030ELNS1_3gpuE2ELNS1_3repE0EEENS1_30default_config_static_selectorELNS0_4arch9wavefront6targetE0EEEvT1_.uses_flat_scratch, 0
	.set _ZN7rocprim17ROCPRIM_400000_NS6detail17trampoline_kernelINS0_14default_configENS1_27scan_by_key_config_selectorIxxEEZZNS1_16scan_by_key_implILNS1_25lookback_scan_determinismE0ELb0ES3_N6thrust23THRUST_200600_302600_NS6detail15normal_iteratorINS9_10device_ptrIxEEEENS9_18transform_iteratorINS9_6negateIxEESE_NS9_11use_defaultESI_EESE_xNS9_4plusIvEENS9_8equal_toIvEExEE10hipError_tPvRmT2_T3_T4_T5_mT6_T7_P12ihipStream_tbENKUlT_T0_E_clISt17integral_constantIbLb1EES14_EEDaSZ_S10_EUlSZ_E_NS1_11comp_targetILNS1_3genE8ELNS1_11target_archE1030ELNS1_3gpuE2ELNS1_3repE0EEENS1_30default_config_static_selectorELNS0_4arch9wavefront6targetE0EEEvT1_.has_dyn_sized_stack, 0
	.set _ZN7rocprim17ROCPRIM_400000_NS6detail17trampoline_kernelINS0_14default_configENS1_27scan_by_key_config_selectorIxxEEZZNS1_16scan_by_key_implILNS1_25lookback_scan_determinismE0ELb0ES3_N6thrust23THRUST_200600_302600_NS6detail15normal_iteratorINS9_10device_ptrIxEEEENS9_18transform_iteratorINS9_6negateIxEESE_NS9_11use_defaultESI_EESE_xNS9_4plusIvEENS9_8equal_toIvEExEE10hipError_tPvRmT2_T3_T4_T5_mT6_T7_P12ihipStream_tbENKUlT_T0_E_clISt17integral_constantIbLb1EES14_EEDaSZ_S10_EUlSZ_E_NS1_11comp_targetILNS1_3genE8ELNS1_11target_archE1030ELNS1_3gpuE2ELNS1_3repE0EEENS1_30default_config_static_selectorELNS0_4arch9wavefront6targetE0EEEvT1_.has_recursion, 0
	.set _ZN7rocprim17ROCPRIM_400000_NS6detail17trampoline_kernelINS0_14default_configENS1_27scan_by_key_config_selectorIxxEEZZNS1_16scan_by_key_implILNS1_25lookback_scan_determinismE0ELb0ES3_N6thrust23THRUST_200600_302600_NS6detail15normal_iteratorINS9_10device_ptrIxEEEENS9_18transform_iteratorINS9_6negateIxEESE_NS9_11use_defaultESI_EESE_xNS9_4plusIvEENS9_8equal_toIvEExEE10hipError_tPvRmT2_T3_T4_T5_mT6_T7_P12ihipStream_tbENKUlT_T0_E_clISt17integral_constantIbLb1EES14_EEDaSZ_S10_EUlSZ_E_NS1_11comp_targetILNS1_3genE8ELNS1_11target_archE1030ELNS1_3gpuE2ELNS1_3repE0EEENS1_30default_config_static_selectorELNS0_4arch9wavefront6targetE0EEEvT1_.has_indirect_call, 0
	.section	.AMDGPU.csdata,"",@progbits
; Kernel info:
; codeLenInByte = 0
; TotalNumSgprs: 0
; NumVgprs: 0
; ScratchSize: 0
; MemoryBound: 0
; FloatMode: 240
; IeeeMode: 1
; LDSByteSize: 0 bytes/workgroup (compile time only)
; SGPRBlocks: 0
; VGPRBlocks: 0
; NumSGPRsForWavesPerEU: 1
; NumVGPRsForWavesPerEU: 1
; NamedBarCnt: 0
; Occupancy: 16
; WaveLimiterHint : 0
; COMPUTE_PGM_RSRC2:SCRATCH_EN: 0
; COMPUTE_PGM_RSRC2:USER_SGPR: 2
; COMPUTE_PGM_RSRC2:TRAP_HANDLER: 0
; COMPUTE_PGM_RSRC2:TGID_X_EN: 1
; COMPUTE_PGM_RSRC2:TGID_Y_EN: 0
; COMPUTE_PGM_RSRC2:TGID_Z_EN: 0
; COMPUTE_PGM_RSRC2:TIDIG_COMP_CNT: 0
	.section	.text._ZN7rocprim17ROCPRIM_400000_NS6detail17trampoline_kernelINS0_14default_configENS1_27scan_by_key_config_selectorIxxEEZZNS1_16scan_by_key_implILNS1_25lookback_scan_determinismE0ELb0ES3_N6thrust23THRUST_200600_302600_NS6detail15normal_iteratorINS9_10device_ptrIxEEEENS9_18transform_iteratorINS9_6negateIxEESE_NS9_11use_defaultESI_EESE_xNS9_4plusIvEENS9_8equal_toIvEExEE10hipError_tPvRmT2_T3_T4_T5_mT6_T7_P12ihipStream_tbENKUlT_T0_E_clISt17integral_constantIbLb1EES13_IbLb0EEEEDaSZ_S10_EUlSZ_E_NS1_11comp_targetILNS1_3genE0ELNS1_11target_archE4294967295ELNS1_3gpuE0ELNS1_3repE0EEENS1_30default_config_static_selectorELNS0_4arch9wavefront6targetE0EEEvT1_,"axG",@progbits,_ZN7rocprim17ROCPRIM_400000_NS6detail17trampoline_kernelINS0_14default_configENS1_27scan_by_key_config_selectorIxxEEZZNS1_16scan_by_key_implILNS1_25lookback_scan_determinismE0ELb0ES3_N6thrust23THRUST_200600_302600_NS6detail15normal_iteratorINS9_10device_ptrIxEEEENS9_18transform_iteratorINS9_6negateIxEESE_NS9_11use_defaultESI_EESE_xNS9_4plusIvEENS9_8equal_toIvEExEE10hipError_tPvRmT2_T3_T4_T5_mT6_T7_P12ihipStream_tbENKUlT_T0_E_clISt17integral_constantIbLb1EES13_IbLb0EEEEDaSZ_S10_EUlSZ_E_NS1_11comp_targetILNS1_3genE0ELNS1_11target_archE4294967295ELNS1_3gpuE0ELNS1_3repE0EEENS1_30default_config_static_selectorELNS0_4arch9wavefront6targetE0EEEvT1_,comdat
	.protected	_ZN7rocprim17ROCPRIM_400000_NS6detail17trampoline_kernelINS0_14default_configENS1_27scan_by_key_config_selectorIxxEEZZNS1_16scan_by_key_implILNS1_25lookback_scan_determinismE0ELb0ES3_N6thrust23THRUST_200600_302600_NS6detail15normal_iteratorINS9_10device_ptrIxEEEENS9_18transform_iteratorINS9_6negateIxEESE_NS9_11use_defaultESI_EESE_xNS9_4plusIvEENS9_8equal_toIvEExEE10hipError_tPvRmT2_T3_T4_T5_mT6_T7_P12ihipStream_tbENKUlT_T0_E_clISt17integral_constantIbLb1EES13_IbLb0EEEEDaSZ_S10_EUlSZ_E_NS1_11comp_targetILNS1_3genE0ELNS1_11target_archE4294967295ELNS1_3gpuE0ELNS1_3repE0EEENS1_30default_config_static_selectorELNS0_4arch9wavefront6targetE0EEEvT1_ ; -- Begin function _ZN7rocprim17ROCPRIM_400000_NS6detail17trampoline_kernelINS0_14default_configENS1_27scan_by_key_config_selectorIxxEEZZNS1_16scan_by_key_implILNS1_25lookback_scan_determinismE0ELb0ES3_N6thrust23THRUST_200600_302600_NS6detail15normal_iteratorINS9_10device_ptrIxEEEENS9_18transform_iteratorINS9_6negateIxEESE_NS9_11use_defaultESI_EESE_xNS9_4plusIvEENS9_8equal_toIvEExEE10hipError_tPvRmT2_T3_T4_T5_mT6_T7_P12ihipStream_tbENKUlT_T0_E_clISt17integral_constantIbLb1EES13_IbLb0EEEEDaSZ_S10_EUlSZ_E_NS1_11comp_targetILNS1_3genE0ELNS1_11target_archE4294967295ELNS1_3gpuE0ELNS1_3repE0EEENS1_30default_config_static_selectorELNS0_4arch9wavefront6targetE0EEEvT1_
	.globl	_ZN7rocprim17ROCPRIM_400000_NS6detail17trampoline_kernelINS0_14default_configENS1_27scan_by_key_config_selectorIxxEEZZNS1_16scan_by_key_implILNS1_25lookback_scan_determinismE0ELb0ES3_N6thrust23THRUST_200600_302600_NS6detail15normal_iteratorINS9_10device_ptrIxEEEENS9_18transform_iteratorINS9_6negateIxEESE_NS9_11use_defaultESI_EESE_xNS9_4plusIvEENS9_8equal_toIvEExEE10hipError_tPvRmT2_T3_T4_T5_mT6_T7_P12ihipStream_tbENKUlT_T0_E_clISt17integral_constantIbLb1EES13_IbLb0EEEEDaSZ_S10_EUlSZ_E_NS1_11comp_targetILNS1_3genE0ELNS1_11target_archE4294967295ELNS1_3gpuE0ELNS1_3repE0EEENS1_30default_config_static_selectorELNS0_4arch9wavefront6targetE0EEEvT1_
	.p2align	8
	.type	_ZN7rocprim17ROCPRIM_400000_NS6detail17trampoline_kernelINS0_14default_configENS1_27scan_by_key_config_selectorIxxEEZZNS1_16scan_by_key_implILNS1_25lookback_scan_determinismE0ELb0ES3_N6thrust23THRUST_200600_302600_NS6detail15normal_iteratorINS9_10device_ptrIxEEEENS9_18transform_iteratorINS9_6negateIxEESE_NS9_11use_defaultESI_EESE_xNS9_4plusIvEENS9_8equal_toIvEExEE10hipError_tPvRmT2_T3_T4_T5_mT6_T7_P12ihipStream_tbENKUlT_T0_E_clISt17integral_constantIbLb1EES13_IbLb0EEEEDaSZ_S10_EUlSZ_E_NS1_11comp_targetILNS1_3genE0ELNS1_11target_archE4294967295ELNS1_3gpuE0ELNS1_3repE0EEENS1_30default_config_static_selectorELNS0_4arch9wavefront6targetE0EEEvT1_,@function
_ZN7rocprim17ROCPRIM_400000_NS6detail17trampoline_kernelINS0_14default_configENS1_27scan_by_key_config_selectorIxxEEZZNS1_16scan_by_key_implILNS1_25lookback_scan_determinismE0ELb0ES3_N6thrust23THRUST_200600_302600_NS6detail15normal_iteratorINS9_10device_ptrIxEEEENS9_18transform_iteratorINS9_6negateIxEESE_NS9_11use_defaultESI_EESE_xNS9_4plusIvEENS9_8equal_toIvEExEE10hipError_tPvRmT2_T3_T4_T5_mT6_T7_P12ihipStream_tbENKUlT_T0_E_clISt17integral_constantIbLb1EES13_IbLb0EEEEDaSZ_S10_EUlSZ_E_NS1_11comp_targetILNS1_3genE0ELNS1_11target_archE4294967295ELNS1_3gpuE0ELNS1_3repE0EEENS1_30default_config_static_selectorELNS0_4arch9wavefront6targetE0EEEvT1_: ; @_ZN7rocprim17ROCPRIM_400000_NS6detail17trampoline_kernelINS0_14default_configENS1_27scan_by_key_config_selectorIxxEEZZNS1_16scan_by_key_implILNS1_25lookback_scan_determinismE0ELb0ES3_N6thrust23THRUST_200600_302600_NS6detail15normal_iteratorINS9_10device_ptrIxEEEENS9_18transform_iteratorINS9_6negateIxEESE_NS9_11use_defaultESI_EESE_xNS9_4plusIvEENS9_8equal_toIvEExEE10hipError_tPvRmT2_T3_T4_T5_mT6_T7_P12ihipStream_tbENKUlT_T0_E_clISt17integral_constantIbLb1EES13_IbLb0EEEEDaSZ_S10_EUlSZ_E_NS1_11comp_targetILNS1_3genE0ELNS1_11target_archE4294967295ELNS1_3gpuE0ELNS1_3repE0EEENS1_30default_config_static_selectorELNS0_4arch9wavefront6targetE0EEEvT1_
; %bb.0:
	s_endpgm
	.section	.rodata,"a",@progbits
	.p2align	6, 0x0
	.amdhsa_kernel _ZN7rocprim17ROCPRIM_400000_NS6detail17trampoline_kernelINS0_14default_configENS1_27scan_by_key_config_selectorIxxEEZZNS1_16scan_by_key_implILNS1_25lookback_scan_determinismE0ELb0ES3_N6thrust23THRUST_200600_302600_NS6detail15normal_iteratorINS9_10device_ptrIxEEEENS9_18transform_iteratorINS9_6negateIxEESE_NS9_11use_defaultESI_EESE_xNS9_4plusIvEENS9_8equal_toIvEExEE10hipError_tPvRmT2_T3_T4_T5_mT6_T7_P12ihipStream_tbENKUlT_T0_E_clISt17integral_constantIbLb1EES13_IbLb0EEEEDaSZ_S10_EUlSZ_E_NS1_11comp_targetILNS1_3genE0ELNS1_11target_archE4294967295ELNS1_3gpuE0ELNS1_3repE0EEENS1_30default_config_static_selectorELNS0_4arch9wavefront6targetE0EEEvT1_
		.amdhsa_group_segment_fixed_size 0
		.amdhsa_private_segment_fixed_size 0
		.amdhsa_kernarg_size 144
		.amdhsa_user_sgpr_count 2
		.amdhsa_user_sgpr_dispatch_ptr 0
		.amdhsa_user_sgpr_queue_ptr 0
		.amdhsa_user_sgpr_kernarg_segment_ptr 1
		.amdhsa_user_sgpr_dispatch_id 0
		.amdhsa_user_sgpr_kernarg_preload_length 0
		.amdhsa_user_sgpr_kernarg_preload_offset 0
		.amdhsa_user_sgpr_private_segment_size 0
		.amdhsa_wavefront_size32 1
		.amdhsa_uses_dynamic_stack 0
		.amdhsa_enable_private_segment 0
		.amdhsa_system_sgpr_workgroup_id_x 1
		.amdhsa_system_sgpr_workgroup_id_y 0
		.amdhsa_system_sgpr_workgroup_id_z 0
		.amdhsa_system_sgpr_workgroup_info 0
		.amdhsa_system_vgpr_workitem_id 0
		.amdhsa_next_free_vgpr 1
		.amdhsa_next_free_sgpr 1
		.amdhsa_named_barrier_count 0
		.amdhsa_reserve_vcc 0
		.amdhsa_float_round_mode_32 0
		.amdhsa_float_round_mode_16_64 0
		.amdhsa_float_denorm_mode_32 3
		.amdhsa_float_denorm_mode_16_64 3
		.amdhsa_fp16_overflow 0
		.amdhsa_memory_ordered 1
		.amdhsa_forward_progress 1
		.amdhsa_inst_pref_size 1
		.amdhsa_round_robin_scheduling 0
		.amdhsa_exception_fp_ieee_invalid_op 0
		.amdhsa_exception_fp_denorm_src 0
		.amdhsa_exception_fp_ieee_div_zero 0
		.amdhsa_exception_fp_ieee_overflow 0
		.amdhsa_exception_fp_ieee_underflow 0
		.amdhsa_exception_fp_ieee_inexact 0
		.amdhsa_exception_int_div_zero 0
	.end_amdhsa_kernel
	.section	.text._ZN7rocprim17ROCPRIM_400000_NS6detail17trampoline_kernelINS0_14default_configENS1_27scan_by_key_config_selectorIxxEEZZNS1_16scan_by_key_implILNS1_25lookback_scan_determinismE0ELb0ES3_N6thrust23THRUST_200600_302600_NS6detail15normal_iteratorINS9_10device_ptrIxEEEENS9_18transform_iteratorINS9_6negateIxEESE_NS9_11use_defaultESI_EESE_xNS9_4plusIvEENS9_8equal_toIvEExEE10hipError_tPvRmT2_T3_T4_T5_mT6_T7_P12ihipStream_tbENKUlT_T0_E_clISt17integral_constantIbLb1EES13_IbLb0EEEEDaSZ_S10_EUlSZ_E_NS1_11comp_targetILNS1_3genE0ELNS1_11target_archE4294967295ELNS1_3gpuE0ELNS1_3repE0EEENS1_30default_config_static_selectorELNS0_4arch9wavefront6targetE0EEEvT1_,"axG",@progbits,_ZN7rocprim17ROCPRIM_400000_NS6detail17trampoline_kernelINS0_14default_configENS1_27scan_by_key_config_selectorIxxEEZZNS1_16scan_by_key_implILNS1_25lookback_scan_determinismE0ELb0ES3_N6thrust23THRUST_200600_302600_NS6detail15normal_iteratorINS9_10device_ptrIxEEEENS9_18transform_iteratorINS9_6negateIxEESE_NS9_11use_defaultESI_EESE_xNS9_4plusIvEENS9_8equal_toIvEExEE10hipError_tPvRmT2_T3_T4_T5_mT6_T7_P12ihipStream_tbENKUlT_T0_E_clISt17integral_constantIbLb1EES13_IbLb0EEEEDaSZ_S10_EUlSZ_E_NS1_11comp_targetILNS1_3genE0ELNS1_11target_archE4294967295ELNS1_3gpuE0ELNS1_3repE0EEENS1_30default_config_static_selectorELNS0_4arch9wavefront6targetE0EEEvT1_,comdat
.Lfunc_end911:
	.size	_ZN7rocprim17ROCPRIM_400000_NS6detail17trampoline_kernelINS0_14default_configENS1_27scan_by_key_config_selectorIxxEEZZNS1_16scan_by_key_implILNS1_25lookback_scan_determinismE0ELb0ES3_N6thrust23THRUST_200600_302600_NS6detail15normal_iteratorINS9_10device_ptrIxEEEENS9_18transform_iteratorINS9_6negateIxEESE_NS9_11use_defaultESI_EESE_xNS9_4plusIvEENS9_8equal_toIvEExEE10hipError_tPvRmT2_T3_T4_T5_mT6_T7_P12ihipStream_tbENKUlT_T0_E_clISt17integral_constantIbLb1EES13_IbLb0EEEEDaSZ_S10_EUlSZ_E_NS1_11comp_targetILNS1_3genE0ELNS1_11target_archE4294967295ELNS1_3gpuE0ELNS1_3repE0EEENS1_30default_config_static_selectorELNS0_4arch9wavefront6targetE0EEEvT1_, .Lfunc_end911-_ZN7rocprim17ROCPRIM_400000_NS6detail17trampoline_kernelINS0_14default_configENS1_27scan_by_key_config_selectorIxxEEZZNS1_16scan_by_key_implILNS1_25lookback_scan_determinismE0ELb0ES3_N6thrust23THRUST_200600_302600_NS6detail15normal_iteratorINS9_10device_ptrIxEEEENS9_18transform_iteratorINS9_6negateIxEESE_NS9_11use_defaultESI_EESE_xNS9_4plusIvEENS9_8equal_toIvEExEE10hipError_tPvRmT2_T3_T4_T5_mT6_T7_P12ihipStream_tbENKUlT_T0_E_clISt17integral_constantIbLb1EES13_IbLb0EEEEDaSZ_S10_EUlSZ_E_NS1_11comp_targetILNS1_3genE0ELNS1_11target_archE4294967295ELNS1_3gpuE0ELNS1_3repE0EEENS1_30default_config_static_selectorELNS0_4arch9wavefront6targetE0EEEvT1_
                                        ; -- End function
	.set _ZN7rocprim17ROCPRIM_400000_NS6detail17trampoline_kernelINS0_14default_configENS1_27scan_by_key_config_selectorIxxEEZZNS1_16scan_by_key_implILNS1_25lookback_scan_determinismE0ELb0ES3_N6thrust23THRUST_200600_302600_NS6detail15normal_iteratorINS9_10device_ptrIxEEEENS9_18transform_iteratorINS9_6negateIxEESE_NS9_11use_defaultESI_EESE_xNS9_4plusIvEENS9_8equal_toIvEExEE10hipError_tPvRmT2_T3_T4_T5_mT6_T7_P12ihipStream_tbENKUlT_T0_E_clISt17integral_constantIbLb1EES13_IbLb0EEEEDaSZ_S10_EUlSZ_E_NS1_11comp_targetILNS1_3genE0ELNS1_11target_archE4294967295ELNS1_3gpuE0ELNS1_3repE0EEENS1_30default_config_static_selectorELNS0_4arch9wavefront6targetE0EEEvT1_.num_vgpr, 0
	.set _ZN7rocprim17ROCPRIM_400000_NS6detail17trampoline_kernelINS0_14default_configENS1_27scan_by_key_config_selectorIxxEEZZNS1_16scan_by_key_implILNS1_25lookback_scan_determinismE0ELb0ES3_N6thrust23THRUST_200600_302600_NS6detail15normal_iteratorINS9_10device_ptrIxEEEENS9_18transform_iteratorINS9_6negateIxEESE_NS9_11use_defaultESI_EESE_xNS9_4plusIvEENS9_8equal_toIvEExEE10hipError_tPvRmT2_T3_T4_T5_mT6_T7_P12ihipStream_tbENKUlT_T0_E_clISt17integral_constantIbLb1EES13_IbLb0EEEEDaSZ_S10_EUlSZ_E_NS1_11comp_targetILNS1_3genE0ELNS1_11target_archE4294967295ELNS1_3gpuE0ELNS1_3repE0EEENS1_30default_config_static_selectorELNS0_4arch9wavefront6targetE0EEEvT1_.num_agpr, 0
	.set _ZN7rocprim17ROCPRIM_400000_NS6detail17trampoline_kernelINS0_14default_configENS1_27scan_by_key_config_selectorIxxEEZZNS1_16scan_by_key_implILNS1_25lookback_scan_determinismE0ELb0ES3_N6thrust23THRUST_200600_302600_NS6detail15normal_iteratorINS9_10device_ptrIxEEEENS9_18transform_iteratorINS9_6negateIxEESE_NS9_11use_defaultESI_EESE_xNS9_4plusIvEENS9_8equal_toIvEExEE10hipError_tPvRmT2_T3_T4_T5_mT6_T7_P12ihipStream_tbENKUlT_T0_E_clISt17integral_constantIbLb1EES13_IbLb0EEEEDaSZ_S10_EUlSZ_E_NS1_11comp_targetILNS1_3genE0ELNS1_11target_archE4294967295ELNS1_3gpuE0ELNS1_3repE0EEENS1_30default_config_static_selectorELNS0_4arch9wavefront6targetE0EEEvT1_.numbered_sgpr, 0
	.set _ZN7rocprim17ROCPRIM_400000_NS6detail17trampoline_kernelINS0_14default_configENS1_27scan_by_key_config_selectorIxxEEZZNS1_16scan_by_key_implILNS1_25lookback_scan_determinismE0ELb0ES3_N6thrust23THRUST_200600_302600_NS6detail15normal_iteratorINS9_10device_ptrIxEEEENS9_18transform_iteratorINS9_6negateIxEESE_NS9_11use_defaultESI_EESE_xNS9_4plusIvEENS9_8equal_toIvEExEE10hipError_tPvRmT2_T3_T4_T5_mT6_T7_P12ihipStream_tbENKUlT_T0_E_clISt17integral_constantIbLb1EES13_IbLb0EEEEDaSZ_S10_EUlSZ_E_NS1_11comp_targetILNS1_3genE0ELNS1_11target_archE4294967295ELNS1_3gpuE0ELNS1_3repE0EEENS1_30default_config_static_selectorELNS0_4arch9wavefront6targetE0EEEvT1_.num_named_barrier, 0
	.set _ZN7rocprim17ROCPRIM_400000_NS6detail17trampoline_kernelINS0_14default_configENS1_27scan_by_key_config_selectorIxxEEZZNS1_16scan_by_key_implILNS1_25lookback_scan_determinismE0ELb0ES3_N6thrust23THRUST_200600_302600_NS6detail15normal_iteratorINS9_10device_ptrIxEEEENS9_18transform_iteratorINS9_6negateIxEESE_NS9_11use_defaultESI_EESE_xNS9_4plusIvEENS9_8equal_toIvEExEE10hipError_tPvRmT2_T3_T4_T5_mT6_T7_P12ihipStream_tbENKUlT_T0_E_clISt17integral_constantIbLb1EES13_IbLb0EEEEDaSZ_S10_EUlSZ_E_NS1_11comp_targetILNS1_3genE0ELNS1_11target_archE4294967295ELNS1_3gpuE0ELNS1_3repE0EEENS1_30default_config_static_selectorELNS0_4arch9wavefront6targetE0EEEvT1_.private_seg_size, 0
	.set _ZN7rocprim17ROCPRIM_400000_NS6detail17trampoline_kernelINS0_14default_configENS1_27scan_by_key_config_selectorIxxEEZZNS1_16scan_by_key_implILNS1_25lookback_scan_determinismE0ELb0ES3_N6thrust23THRUST_200600_302600_NS6detail15normal_iteratorINS9_10device_ptrIxEEEENS9_18transform_iteratorINS9_6negateIxEESE_NS9_11use_defaultESI_EESE_xNS9_4plusIvEENS9_8equal_toIvEExEE10hipError_tPvRmT2_T3_T4_T5_mT6_T7_P12ihipStream_tbENKUlT_T0_E_clISt17integral_constantIbLb1EES13_IbLb0EEEEDaSZ_S10_EUlSZ_E_NS1_11comp_targetILNS1_3genE0ELNS1_11target_archE4294967295ELNS1_3gpuE0ELNS1_3repE0EEENS1_30default_config_static_selectorELNS0_4arch9wavefront6targetE0EEEvT1_.uses_vcc, 0
	.set _ZN7rocprim17ROCPRIM_400000_NS6detail17trampoline_kernelINS0_14default_configENS1_27scan_by_key_config_selectorIxxEEZZNS1_16scan_by_key_implILNS1_25lookback_scan_determinismE0ELb0ES3_N6thrust23THRUST_200600_302600_NS6detail15normal_iteratorINS9_10device_ptrIxEEEENS9_18transform_iteratorINS9_6negateIxEESE_NS9_11use_defaultESI_EESE_xNS9_4plusIvEENS9_8equal_toIvEExEE10hipError_tPvRmT2_T3_T4_T5_mT6_T7_P12ihipStream_tbENKUlT_T0_E_clISt17integral_constantIbLb1EES13_IbLb0EEEEDaSZ_S10_EUlSZ_E_NS1_11comp_targetILNS1_3genE0ELNS1_11target_archE4294967295ELNS1_3gpuE0ELNS1_3repE0EEENS1_30default_config_static_selectorELNS0_4arch9wavefront6targetE0EEEvT1_.uses_flat_scratch, 0
	.set _ZN7rocprim17ROCPRIM_400000_NS6detail17trampoline_kernelINS0_14default_configENS1_27scan_by_key_config_selectorIxxEEZZNS1_16scan_by_key_implILNS1_25lookback_scan_determinismE0ELb0ES3_N6thrust23THRUST_200600_302600_NS6detail15normal_iteratorINS9_10device_ptrIxEEEENS9_18transform_iteratorINS9_6negateIxEESE_NS9_11use_defaultESI_EESE_xNS9_4plusIvEENS9_8equal_toIvEExEE10hipError_tPvRmT2_T3_T4_T5_mT6_T7_P12ihipStream_tbENKUlT_T0_E_clISt17integral_constantIbLb1EES13_IbLb0EEEEDaSZ_S10_EUlSZ_E_NS1_11comp_targetILNS1_3genE0ELNS1_11target_archE4294967295ELNS1_3gpuE0ELNS1_3repE0EEENS1_30default_config_static_selectorELNS0_4arch9wavefront6targetE0EEEvT1_.has_dyn_sized_stack, 0
	.set _ZN7rocprim17ROCPRIM_400000_NS6detail17trampoline_kernelINS0_14default_configENS1_27scan_by_key_config_selectorIxxEEZZNS1_16scan_by_key_implILNS1_25lookback_scan_determinismE0ELb0ES3_N6thrust23THRUST_200600_302600_NS6detail15normal_iteratorINS9_10device_ptrIxEEEENS9_18transform_iteratorINS9_6negateIxEESE_NS9_11use_defaultESI_EESE_xNS9_4plusIvEENS9_8equal_toIvEExEE10hipError_tPvRmT2_T3_T4_T5_mT6_T7_P12ihipStream_tbENKUlT_T0_E_clISt17integral_constantIbLb1EES13_IbLb0EEEEDaSZ_S10_EUlSZ_E_NS1_11comp_targetILNS1_3genE0ELNS1_11target_archE4294967295ELNS1_3gpuE0ELNS1_3repE0EEENS1_30default_config_static_selectorELNS0_4arch9wavefront6targetE0EEEvT1_.has_recursion, 0
	.set _ZN7rocprim17ROCPRIM_400000_NS6detail17trampoline_kernelINS0_14default_configENS1_27scan_by_key_config_selectorIxxEEZZNS1_16scan_by_key_implILNS1_25lookback_scan_determinismE0ELb0ES3_N6thrust23THRUST_200600_302600_NS6detail15normal_iteratorINS9_10device_ptrIxEEEENS9_18transform_iteratorINS9_6negateIxEESE_NS9_11use_defaultESI_EESE_xNS9_4plusIvEENS9_8equal_toIvEExEE10hipError_tPvRmT2_T3_T4_T5_mT6_T7_P12ihipStream_tbENKUlT_T0_E_clISt17integral_constantIbLb1EES13_IbLb0EEEEDaSZ_S10_EUlSZ_E_NS1_11comp_targetILNS1_3genE0ELNS1_11target_archE4294967295ELNS1_3gpuE0ELNS1_3repE0EEENS1_30default_config_static_selectorELNS0_4arch9wavefront6targetE0EEEvT1_.has_indirect_call, 0
	.section	.AMDGPU.csdata,"",@progbits
; Kernel info:
; codeLenInByte = 4
; TotalNumSgprs: 0
; NumVgprs: 0
; ScratchSize: 0
; MemoryBound: 0
; FloatMode: 240
; IeeeMode: 1
; LDSByteSize: 0 bytes/workgroup (compile time only)
; SGPRBlocks: 0
; VGPRBlocks: 0
; NumSGPRsForWavesPerEU: 1
; NumVGPRsForWavesPerEU: 1
; NamedBarCnt: 0
; Occupancy: 16
; WaveLimiterHint : 0
; COMPUTE_PGM_RSRC2:SCRATCH_EN: 0
; COMPUTE_PGM_RSRC2:USER_SGPR: 2
; COMPUTE_PGM_RSRC2:TRAP_HANDLER: 0
; COMPUTE_PGM_RSRC2:TGID_X_EN: 1
; COMPUTE_PGM_RSRC2:TGID_Y_EN: 0
; COMPUTE_PGM_RSRC2:TGID_Z_EN: 0
; COMPUTE_PGM_RSRC2:TIDIG_COMP_CNT: 0
	.section	.text._ZN7rocprim17ROCPRIM_400000_NS6detail17trampoline_kernelINS0_14default_configENS1_27scan_by_key_config_selectorIxxEEZZNS1_16scan_by_key_implILNS1_25lookback_scan_determinismE0ELb0ES3_N6thrust23THRUST_200600_302600_NS6detail15normal_iteratorINS9_10device_ptrIxEEEENS9_18transform_iteratorINS9_6negateIxEESE_NS9_11use_defaultESI_EESE_xNS9_4plusIvEENS9_8equal_toIvEExEE10hipError_tPvRmT2_T3_T4_T5_mT6_T7_P12ihipStream_tbENKUlT_T0_E_clISt17integral_constantIbLb1EES13_IbLb0EEEEDaSZ_S10_EUlSZ_E_NS1_11comp_targetILNS1_3genE10ELNS1_11target_archE1201ELNS1_3gpuE5ELNS1_3repE0EEENS1_30default_config_static_selectorELNS0_4arch9wavefront6targetE0EEEvT1_,"axG",@progbits,_ZN7rocprim17ROCPRIM_400000_NS6detail17trampoline_kernelINS0_14default_configENS1_27scan_by_key_config_selectorIxxEEZZNS1_16scan_by_key_implILNS1_25lookback_scan_determinismE0ELb0ES3_N6thrust23THRUST_200600_302600_NS6detail15normal_iteratorINS9_10device_ptrIxEEEENS9_18transform_iteratorINS9_6negateIxEESE_NS9_11use_defaultESI_EESE_xNS9_4plusIvEENS9_8equal_toIvEExEE10hipError_tPvRmT2_T3_T4_T5_mT6_T7_P12ihipStream_tbENKUlT_T0_E_clISt17integral_constantIbLb1EES13_IbLb0EEEEDaSZ_S10_EUlSZ_E_NS1_11comp_targetILNS1_3genE10ELNS1_11target_archE1201ELNS1_3gpuE5ELNS1_3repE0EEENS1_30default_config_static_selectorELNS0_4arch9wavefront6targetE0EEEvT1_,comdat
	.protected	_ZN7rocprim17ROCPRIM_400000_NS6detail17trampoline_kernelINS0_14default_configENS1_27scan_by_key_config_selectorIxxEEZZNS1_16scan_by_key_implILNS1_25lookback_scan_determinismE0ELb0ES3_N6thrust23THRUST_200600_302600_NS6detail15normal_iteratorINS9_10device_ptrIxEEEENS9_18transform_iteratorINS9_6negateIxEESE_NS9_11use_defaultESI_EESE_xNS9_4plusIvEENS9_8equal_toIvEExEE10hipError_tPvRmT2_T3_T4_T5_mT6_T7_P12ihipStream_tbENKUlT_T0_E_clISt17integral_constantIbLb1EES13_IbLb0EEEEDaSZ_S10_EUlSZ_E_NS1_11comp_targetILNS1_3genE10ELNS1_11target_archE1201ELNS1_3gpuE5ELNS1_3repE0EEENS1_30default_config_static_selectorELNS0_4arch9wavefront6targetE0EEEvT1_ ; -- Begin function _ZN7rocprim17ROCPRIM_400000_NS6detail17trampoline_kernelINS0_14default_configENS1_27scan_by_key_config_selectorIxxEEZZNS1_16scan_by_key_implILNS1_25lookback_scan_determinismE0ELb0ES3_N6thrust23THRUST_200600_302600_NS6detail15normal_iteratorINS9_10device_ptrIxEEEENS9_18transform_iteratorINS9_6negateIxEESE_NS9_11use_defaultESI_EESE_xNS9_4plusIvEENS9_8equal_toIvEExEE10hipError_tPvRmT2_T3_T4_T5_mT6_T7_P12ihipStream_tbENKUlT_T0_E_clISt17integral_constantIbLb1EES13_IbLb0EEEEDaSZ_S10_EUlSZ_E_NS1_11comp_targetILNS1_3genE10ELNS1_11target_archE1201ELNS1_3gpuE5ELNS1_3repE0EEENS1_30default_config_static_selectorELNS0_4arch9wavefront6targetE0EEEvT1_
	.globl	_ZN7rocprim17ROCPRIM_400000_NS6detail17trampoline_kernelINS0_14default_configENS1_27scan_by_key_config_selectorIxxEEZZNS1_16scan_by_key_implILNS1_25lookback_scan_determinismE0ELb0ES3_N6thrust23THRUST_200600_302600_NS6detail15normal_iteratorINS9_10device_ptrIxEEEENS9_18transform_iteratorINS9_6negateIxEESE_NS9_11use_defaultESI_EESE_xNS9_4plusIvEENS9_8equal_toIvEExEE10hipError_tPvRmT2_T3_T4_T5_mT6_T7_P12ihipStream_tbENKUlT_T0_E_clISt17integral_constantIbLb1EES13_IbLb0EEEEDaSZ_S10_EUlSZ_E_NS1_11comp_targetILNS1_3genE10ELNS1_11target_archE1201ELNS1_3gpuE5ELNS1_3repE0EEENS1_30default_config_static_selectorELNS0_4arch9wavefront6targetE0EEEvT1_
	.p2align	8
	.type	_ZN7rocprim17ROCPRIM_400000_NS6detail17trampoline_kernelINS0_14default_configENS1_27scan_by_key_config_selectorIxxEEZZNS1_16scan_by_key_implILNS1_25lookback_scan_determinismE0ELb0ES3_N6thrust23THRUST_200600_302600_NS6detail15normal_iteratorINS9_10device_ptrIxEEEENS9_18transform_iteratorINS9_6negateIxEESE_NS9_11use_defaultESI_EESE_xNS9_4plusIvEENS9_8equal_toIvEExEE10hipError_tPvRmT2_T3_T4_T5_mT6_T7_P12ihipStream_tbENKUlT_T0_E_clISt17integral_constantIbLb1EES13_IbLb0EEEEDaSZ_S10_EUlSZ_E_NS1_11comp_targetILNS1_3genE10ELNS1_11target_archE1201ELNS1_3gpuE5ELNS1_3repE0EEENS1_30default_config_static_selectorELNS0_4arch9wavefront6targetE0EEEvT1_,@function
_ZN7rocprim17ROCPRIM_400000_NS6detail17trampoline_kernelINS0_14default_configENS1_27scan_by_key_config_selectorIxxEEZZNS1_16scan_by_key_implILNS1_25lookback_scan_determinismE0ELb0ES3_N6thrust23THRUST_200600_302600_NS6detail15normal_iteratorINS9_10device_ptrIxEEEENS9_18transform_iteratorINS9_6negateIxEESE_NS9_11use_defaultESI_EESE_xNS9_4plusIvEENS9_8equal_toIvEExEE10hipError_tPvRmT2_T3_T4_T5_mT6_T7_P12ihipStream_tbENKUlT_T0_E_clISt17integral_constantIbLb1EES13_IbLb0EEEEDaSZ_S10_EUlSZ_E_NS1_11comp_targetILNS1_3genE10ELNS1_11target_archE1201ELNS1_3gpuE5ELNS1_3repE0EEENS1_30default_config_static_selectorELNS0_4arch9wavefront6targetE0EEEvT1_: ; @_ZN7rocprim17ROCPRIM_400000_NS6detail17trampoline_kernelINS0_14default_configENS1_27scan_by_key_config_selectorIxxEEZZNS1_16scan_by_key_implILNS1_25lookback_scan_determinismE0ELb0ES3_N6thrust23THRUST_200600_302600_NS6detail15normal_iteratorINS9_10device_ptrIxEEEENS9_18transform_iteratorINS9_6negateIxEESE_NS9_11use_defaultESI_EESE_xNS9_4plusIvEENS9_8equal_toIvEExEE10hipError_tPvRmT2_T3_T4_T5_mT6_T7_P12ihipStream_tbENKUlT_T0_E_clISt17integral_constantIbLb1EES13_IbLb0EEEEDaSZ_S10_EUlSZ_E_NS1_11comp_targetILNS1_3genE10ELNS1_11target_archE1201ELNS1_3gpuE5ELNS1_3repE0EEENS1_30default_config_static_selectorELNS0_4arch9wavefront6targetE0EEEvT1_
; %bb.0:
	.section	.rodata,"a",@progbits
	.p2align	6, 0x0
	.amdhsa_kernel _ZN7rocprim17ROCPRIM_400000_NS6detail17trampoline_kernelINS0_14default_configENS1_27scan_by_key_config_selectorIxxEEZZNS1_16scan_by_key_implILNS1_25lookback_scan_determinismE0ELb0ES3_N6thrust23THRUST_200600_302600_NS6detail15normal_iteratorINS9_10device_ptrIxEEEENS9_18transform_iteratorINS9_6negateIxEESE_NS9_11use_defaultESI_EESE_xNS9_4plusIvEENS9_8equal_toIvEExEE10hipError_tPvRmT2_T3_T4_T5_mT6_T7_P12ihipStream_tbENKUlT_T0_E_clISt17integral_constantIbLb1EES13_IbLb0EEEEDaSZ_S10_EUlSZ_E_NS1_11comp_targetILNS1_3genE10ELNS1_11target_archE1201ELNS1_3gpuE5ELNS1_3repE0EEENS1_30default_config_static_selectorELNS0_4arch9wavefront6targetE0EEEvT1_
		.amdhsa_group_segment_fixed_size 0
		.amdhsa_private_segment_fixed_size 0
		.amdhsa_kernarg_size 144
		.amdhsa_user_sgpr_count 2
		.amdhsa_user_sgpr_dispatch_ptr 0
		.amdhsa_user_sgpr_queue_ptr 0
		.amdhsa_user_sgpr_kernarg_segment_ptr 1
		.amdhsa_user_sgpr_dispatch_id 0
		.amdhsa_user_sgpr_kernarg_preload_length 0
		.amdhsa_user_sgpr_kernarg_preload_offset 0
		.amdhsa_user_sgpr_private_segment_size 0
		.amdhsa_wavefront_size32 1
		.amdhsa_uses_dynamic_stack 0
		.amdhsa_enable_private_segment 0
		.amdhsa_system_sgpr_workgroup_id_x 1
		.amdhsa_system_sgpr_workgroup_id_y 0
		.amdhsa_system_sgpr_workgroup_id_z 0
		.amdhsa_system_sgpr_workgroup_info 0
		.amdhsa_system_vgpr_workitem_id 0
		.amdhsa_next_free_vgpr 1
		.amdhsa_next_free_sgpr 1
		.amdhsa_named_barrier_count 0
		.amdhsa_reserve_vcc 0
		.amdhsa_float_round_mode_32 0
		.amdhsa_float_round_mode_16_64 0
		.amdhsa_float_denorm_mode_32 3
		.amdhsa_float_denorm_mode_16_64 3
		.amdhsa_fp16_overflow 0
		.amdhsa_memory_ordered 1
		.amdhsa_forward_progress 1
		.amdhsa_inst_pref_size 0
		.amdhsa_round_robin_scheduling 0
		.amdhsa_exception_fp_ieee_invalid_op 0
		.amdhsa_exception_fp_denorm_src 0
		.amdhsa_exception_fp_ieee_div_zero 0
		.amdhsa_exception_fp_ieee_overflow 0
		.amdhsa_exception_fp_ieee_underflow 0
		.amdhsa_exception_fp_ieee_inexact 0
		.amdhsa_exception_int_div_zero 0
	.end_amdhsa_kernel
	.section	.text._ZN7rocprim17ROCPRIM_400000_NS6detail17trampoline_kernelINS0_14default_configENS1_27scan_by_key_config_selectorIxxEEZZNS1_16scan_by_key_implILNS1_25lookback_scan_determinismE0ELb0ES3_N6thrust23THRUST_200600_302600_NS6detail15normal_iteratorINS9_10device_ptrIxEEEENS9_18transform_iteratorINS9_6negateIxEESE_NS9_11use_defaultESI_EESE_xNS9_4plusIvEENS9_8equal_toIvEExEE10hipError_tPvRmT2_T3_T4_T5_mT6_T7_P12ihipStream_tbENKUlT_T0_E_clISt17integral_constantIbLb1EES13_IbLb0EEEEDaSZ_S10_EUlSZ_E_NS1_11comp_targetILNS1_3genE10ELNS1_11target_archE1201ELNS1_3gpuE5ELNS1_3repE0EEENS1_30default_config_static_selectorELNS0_4arch9wavefront6targetE0EEEvT1_,"axG",@progbits,_ZN7rocprim17ROCPRIM_400000_NS6detail17trampoline_kernelINS0_14default_configENS1_27scan_by_key_config_selectorIxxEEZZNS1_16scan_by_key_implILNS1_25lookback_scan_determinismE0ELb0ES3_N6thrust23THRUST_200600_302600_NS6detail15normal_iteratorINS9_10device_ptrIxEEEENS9_18transform_iteratorINS9_6negateIxEESE_NS9_11use_defaultESI_EESE_xNS9_4plusIvEENS9_8equal_toIvEExEE10hipError_tPvRmT2_T3_T4_T5_mT6_T7_P12ihipStream_tbENKUlT_T0_E_clISt17integral_constantIbLb1EES13_IbLb0EEEEDaSZ_S10_EUlSZ_E_NS1_11comp_targetILNS1_3genE10ELNS1_11target_archE1201ELNS1_3gpuE5ELNS1_3repE0EEENS1_30default_config_static_selectorELNS0_4arch9wavefront6targetE0EEEvT1_,comdat
.Lfunc_end912:
	.size	_ZN7rocprim17ROCPRIM_400000_NS6detail17trampoline_kernelINS0_14default_configENS1_27scan_by_key_config_selectorIxxEEZZNS1_16scan_by_key_implILNS1_25lookback_scan_determinismE0ELb0ES3_N6thrust23THRUST_200600_302600_NS6detail15normal_iteratorINS9_10device_ptrIxEEEENS9_18transform_iteratorINS9_6negateIxEESE_NS9_11use_defaultESI_EESE_xNS9_4plusIvEENS9_8equal_toIvEExEE10hipError_tPvRmT2_T3_T4_T5_mT6_T7_P12ihipStream_tbENKUlT_T0_E_clISt17integral_constantIbLb1EES13_IbLb0EEEEDaSZ_S10_EUlSZ_E_NS1_11comp_targetILNS1_3genE10ELNS1_11target_archE1201ELNS1_3gpuE5ELNS1_3repE0EEENS1_30default_config_static_selectorELNS0_4arch9wavefront6targetE0EEEvT1_, .Lfunc_end912-_ZN7rocprim17ROCPRIM_400000_NS6detail17trampoline_kernelINS0_14default_configENS1_27scan_by_key_config_selectorIxxEEZZNS1_16scan_by_key_implILNS1_25lookback_scan_determinismE0ELb0ES3_N6thrust23THRUST_200600_302600_NS6detail15normal_iteratorINS9_10device_ptrIxEEEENS9_18transform_iteratorINS9_6negateIxEESE_NS9_11use_defaultESI_EESE_xNS9_4plusIvEENS9_8equal_toIvEExEE10hipError_tPvRmT2_T3_T4_T5_mT6_T7_P12ihipStream_tbENKUlT_T0_E_clISt17integral_constantIbLb1EES13_IbLb0EEEEDaSZ_S10_EUlSZ_E_NS1_11comp_targetILNS1_3genE10ELNS1_11target_archE1201ELNS1_3gpuE5ELNS1_3repE0EEENS1_30default_config_static_selectorELNS0_4arch9wavefront6targetE0EEEvT1_
                                        ; -- End function
	.set _ZN7rocprim17ROCPRIM_400000_NS6detail17trampoline_kernelINS0_14default_configENS1_27scan_by_key_config_selectorIxxEEZZNS1_16scan_by_key_implILNS1_25lookback_scan_determinismE0ELb0ES3_N6thrust23THRUST_200600_302600_NS6detail15normal_iteratorINS9_10device_ptrIxEEEENS9_18transform_iteratorINS9_6negateIxEESE_NS9_11use_defaultESI_EESE_xNS9_4plusIvEENS9_8equal_toIvEExEE10hipError_tPvRmT2_T3_T4_T5_mT6_T7_P12ihipStream_tbENKUlT_T0_E_clISt17integral_constantIbLb1EES13_IbLb0EEEEDaSZ_S10_EUlSZ_E_NS1_11comp_targetILNS1_3genE10ELNS1_11target_archE1201ELNS1_3gpuE5ELNS1_3repE0EEENS1_30default_config_static_selectorELNS0_4arch9wavefront6targetE0EEEvT1_.num_vgpr, 0
	.set _ZN7rocprim17ROCPRIM_400000_NS6detail17trampoline_kernelINS0_14default_configENS1_27scan_by_key_config_selectorIxxEEZZNS1_16scan_by_key_implILNS1_25lookback_scan_determinismE0ELb0ES3_N6thrust23THRUST_200600_302600_NS6detail15normal_iteratorINS9_10device_ptrIxEEEENS9_18transform_iteratorINS9_6negateIxEESE_NS9_11use_defaultESI_EESE_xNS9_4plusIvEENS9_8equal_toIvEExEE10hipError_tPvRmT2_T3_T4_T5_mT6_T7_P12ihipStream_tbENKUlT_T0_E_clISt17integral_constantIbLb1EES13_IbLb0EEEEDaSZ_S10_EUlSZ_E_NS1_11comp_targetILNS1_3genE10ELNS1_11target_archE1201ELNS1_3gpuE5ELNS1_3repE0EEENS1_30default_config_static_selectorELNS0_4arch9wavefront6targetE0EEEvT1_.num_agpr, 0
	.set _ZN7rocprim17ROCPRIM_400000_NS6detail17trampoline_kernelINS0_14default_configENS1_27scan_by_key_config_selectorIxxEEZZNS1_16scan_by_key_implILNS1_25lookback_scan_determinismE0ELb0ES3_N6thrust23THRUST_200600_302600_NS6detail15normal_iteratorINS9_10device_ptrIxEEEENS9_18transform_iteratorINS9_6negateIxEESE_NS9_11use_defaultESI_EESE_xNS9_4plusIvEENS9_8equal_toIvEExEE10hipError_tPvRmT2_T3_T4_T5_mT6_T7_P12ihipStream_tbENKUlT_T0_E_clISt17integral_constantIbLb1EES13_IbLb0EEEEDaSZ_S10_EUlSZ_E_NS1_11comp_targetILNS1_3genE10ELNS1_11target_archE1201ELNS1_3gpuE5ELNS1_3repE0EEENS1_30default_config_static_selectorELNS0_4arch9wavefront6targetE0EEEvT1_.numbered_sgpr, 0
	.set _ZN7rocprim17ROCPRIM_400000_NS6detail17trampoline_kernelINS0_14default_configENS1_27scan_by_key_config_selectorIxxEEZZNS1_16scan_by_key_implILNS1_25lookback_scan_determinismE0ELb0ES3_N6thrust23THRUST_200600_302600_NS6detail15normal_iteratorINS9_10device_ptrIxEEEENS9_18transform_iteratorINS9_6negateIxEESE_NS9_11use_defaultESI_EESE_xNS9_4plusIvEENS9_8equal_toIvEExEE10hipError_tPvRmT2_T3_T4_T5_mT6_T7_P12ihipStream_tbENKUlT_T0_E_clISt17integral_constantIbLb1EES13_IbLb0EEEEDaSZ_S10_EUlSZ_E_NS1_11comp_targetILNS1_3genE10ELNS1_11target_archE1201ELNS1_3gpuE5ELNS1_3repE0EEENS1_30default_config_static_selectorELNS0_4arch9wavefront6targetE0EEEvT1_.num_named_barrier, 0
	.set _ZN7rocprim17ROCPRIM_400000_NS6detail17trampoline_kernelINS0_14default_configENS1_27scan_by_key_config_selectorIxxEEZZNS1_16scan_by_key_implILNS1_25lookback_scan_determinismE0ELb0ES3_N6thrust23THRUST_200600_302600_NS6detail15normal_iteratorINS9_10device_ptrIxEEEENS9_18transform_iteratorINS9_6negateIxEESE_NS9_11use_defaultESI_EESE_xNS9_4plusIvEENS9_8equal_toIvEExEE10hipError_tPvRmT2_T3_T4_T5_mT6_T7_P12ihipStream_tbENKUlT_T0_E_clISt17integral_constantIbLb1EES13_IbLb0EEEEDaSZ_S10_EUlSZ_E_NS1_11comp_targetILNS1_3genE10ELNS1_11target_archE1201ELNS1_3gpuE5ELNS1_3repE0EEENS1_30default_config_static_selectorELNS0_4arch9wavefront6targetE0EEEvT1_.private_seg_size, 0
	.set _ZN7rocprim17ROCPRIM_400000_NS6detail17trampoline_kernelINS0_14default_configENS1_27scan_by_key_config_selectorIxxEEZZNS1_16scan_by_key_implILNS1_25lookback_scan_determinismE0ELb0ES3_N6thrust23THRUST_200600_302600_NS6detail15normal_iteratorINS9_10device_ptrIxEEEENS9_18transform_iteratorINS9_6negateIxEESE_NS9_11use_defaultESI_EESE_xNS9_4plusIvEENS9_8equal_toIvEExEE10hipError_tPvRmT2_T3_T4_T5_mT6_T7_P12ihipStream_tbENKUlT_T0_E_clISt17integral_constantIbLb1EES13_IbLb0EEEEDaSZ_S10_EUlSZ_E_NS1_11comp_targetILNS1_3genE10ELNS1_11target_archE1201ELNS1_3gpuE5ELNS1_3repE0EEENS1_30default_config_static_selectorELNS0_4arch9wavefront6targetE0EEEvT1_.uses_vcc, 0
	.set _ZN7rocprim17ROCPRIM_400000_NS6detail17trampoline_kernelINS0_14default_configENS1_27scan_by_key_config_selectorIxxEEZZNS1_16scan_by_key_implILNS1_25lookback_scan_determinismE0ELb0ES3_N6thrust23THRUST_200600_302600_NS6detail15normal_iteratorINS9_10device_ptrIxEEEENS9_18transform_iteratorINS9_6negateIxEESE_NS9_11use_defaultESI_EESE_xNS9_4plusIvEENS9_8equal_toIvEExEE10hipError_tPvRmT2_T3_T4_T5_mT6_T7_P12ihipStream_tbENKUlT_T0_E_clISt17integral_constantIbLb1EES13_IbLb0EEEEDaSZ_S10_EUlSZ_E_NS1_11comp_targetILNS1_3genE10ELNS1_11target_archE1201ELNS1_3gpuE5ELNS1_3repE0EEENS1_30default_config_static_selectorELNS0_4arch9wavefront6targetE0EEEvT1_.uses_flat_scratch, 0
	.set _ZN7rocprim17ROCPRIM_400000_NS6detail17trampoline_kernelINS0_14default_configENS1_27scan_by_key_config_selectorIxxEEZZNS1_16scan_by_key_implILNS1_25lookback_scan_determinismE0ELb0ES3_N6thrust23THRUST_200600_302600_NS6detail15normal_iteratorINS9_10device_ptrIxEEEENS9_18transform_iteratorINS9_6negateIxEESE_NS9_11use_defaultESI_EESE_xNS9_4plusIvEENS9_8equal_toIvEExEE10hipError_tPvRmT2_T3_T4_T5_mT6_T7_P12ihipStream_tbENKUlT_T0_E_clISt17integral_constantIbLb1EES13_IbLb0EEEEDaSZ_S10_EUlSZ_E_NS1_11comp_targetILNS1_3genE10ELNS1_11target_archE1201ELNS1_3gpuE5ELNS1_3repE0EEENS1_30default_config_static_selectorELNS0_4arch9wavefront6targetE0EEEvT1_.has_dyn_sized_stack, 0
	.set _ZN7rocprim17ROCPRIM_400000_NS6detail17trampoline_kernelINS0_14default_configENS1_27scan_by_key_config_selectorIxxEEZZNS1_16scan_by_key_implILNS1_25lookback_scan_determinismE0ELb0ES3_N6thrust23THRUST_200600_302600_NS6detail15normal_iteratorINS9_10device_ptrIxEEEENS9_18transform_iteratorINS9_6negateIxEESE_NS9_11use_defaultESI_EESE_xNS9_4plusIvEENS9_8equal_toIvEExEE10hipError_tPvRmT2_T3_T4_T5_mT6_T7_P12ihipStream_tbENKUlT_T0_E_clISt17integral_constantIbLb1EES13_IbLb0EEEEDaSZ_S10_EUlSZ_E_NS1_11comp_targetILNS1_3genE10ELNS1_11target_archE1201ELNS1_3gpuE5ELNS1_3repE0EEENS1_30default_config_static_selectorELNS0_4arch9wavefront6targetE0EEEvT1_.has_recursion, 0
	.set _ZN7rocprim17ROCPRIM_400000_NS6detail17trampoline_kernelINS0_14default_configENS1_27scan_by_key_config_selectorIxxEEZZNS1_16scan_by_key_implILNS1_25lookback_scan_determinismE0ELb0ES3_N6thrust23THRUST_200600_302600_NS6detail15normal_iteratorINS9_10device_ptrIxEEEENS9_18transform_iteratorINS9_6negateIxEESE_NS9_11use_defaultESI_EESE_xNS9_4plusIvEENS9_8equal_toIvEExEE10hipError_tPvRmT2_T3_T4_T5_mT6_T7_P12ihipStream_tbENKUlT_T0_E_clISt17integral_constantIbLb1EES13_IbLb0EEEEDaSZ_S10_EUlSZ_E_NS1_11comp_targetILNS1_3genE10ELNS1_11target_archE1201ELNS1_3gpuE5ELNS1_3repE0EEENS1_30default_config_static_selectorELNS0_4arch9wavefront6targetE0EEEvT1_.has_indirect_call, 0
	.section	.AMDGPU.csdata,"",@progbits
; Kernel info:
; codeLenInByte = 0
; TotalNumSgprs: 0
; NumVgprs: 0
; ScratchSize: 0
; MemoryBound: 0
; FloatMode: 240
; IeeeMode: 1
; LDSByteSize: 0 bytes/workgroup (compile time only)
; SGPRBlocks: 0
; VGPRBlocks: 0
; NumSGPRsForWavesPerEU: 1
; NumVGPRsForWavesPerEU: 1
; NamedBarCnt: 0
; Occupancy: 16
; WaveLimiterHint : 0
; COMPUTE_PGM_RSRC2:SCRATCH_EN: 0
; COMPUTE_PGM_RSRC2:USER_SGPR: 2
; COMPUTE_PGM_RSRC2:TRAP_HANDLER: 0
; COMPUTE_PGM_RSRC2:TGID_X_EN: 1
; COMPUTE_PGM_RSRC2:TGID_Y_EN: 0
; COMPUTE_PGM_RSRC2:TGID_Z_EN: 0
; COMPUTE_PGM_RSRC2:TIDIG_COMP_CNT: 0
	.section	.text._ZN7rocprim17ROCPRIM_400000_NS6detail17trampoline_kernelINS0_14default_configENS1_27scan_by_key_config_selectorIxxEEZZNS1_16scan_by_key_implILNS1_25lookback_scan_determinismE0ELb0ES3_N6thrust23THRUST_200600_302600_NS6detail15normal_iteratorINS9_10device_ptrIxEEEENS9_18transform_iteratorINS9_6negateIxEESE_NS9_11use_defaultESI_EESE_xNS9_4plusIvEENS9_8equal_toIvEExEE10hipError_tPvRmT2_T3_T4_T5_mT6_T7_P12ihipStream_tbENKUlT_T0_E_clISt17integral_constantIbLb1EES13_IbLb0EEEEDaSZ_S10_EUlSZ_E_NS1_11comp_targetILNS1_3genE5ELNS1_11target_archE942ELNS1_3gpuE9ELNS1_3repE0EEENS1_30default_config_static_selectorELNS0_4arch9wavefront6targetE0EEEvT1_,"axG",@progbits,_ZN7rocprim17ROCPRIM_400000_NS6detail17trampoline_kernelINS0_14default_configENS1_27scan_by_key_config_selectorIxxEEZZNS1_16scan_by_key_implILNS1_25lookback_scan_determinismE0ELb0ES3_N6thrust23THRUST_200600_302600_NS6detail15normal_iteratorINS9_10device_ptrIxEEEENS9_18transform_iteratorINS9_6negateIxEESE_NS9_11use_defaultESI_EESE_xNS9_4plusIvEENS9_8equal_toIvEExEE10hipError_tPvRmT2_T3_T4_T5_mT6_T7_P12ihipStream_tbENKUlT_T0_E_clISt17integral_constantIbLb1EES13_IbLb0EEEEDaSZ_S10_EUlSZ_E_NS1_11comp_targetILNS1_3genE5ELNS1_11target_archE942ELNS1_3gpuE9ELNS1_3repE0EEENS1_30default_config_static_selectorELNS0_4arch9wavefront6targetE0EEEvT1_,comdat
	.protected	_ZN7rocprim17ROCPRIM_400000_NS6detail17trampoline_kernelINS0_14default_configENS1_27scan_by_key_config_selectorIxxEEZZNS1_16scan_by_key_implILNS1_25lookback_scan_determinismE0ELb0ES3_N6thrust23THRUST_200600_302600_NS6detail15normal_iteratorINS9_10device_ptrIxEEEENS9_18transform_iteratorINS9_6negateIxEESE_NS9_11use_defaultESI_EESE_xNS9_4plusIvEENS9_8equal_toIvEExEE10hipError_tPvRmT2_T3_T4_T5_mT6_T7_P12ihipStream_tbENKUlT_T0_E_clISt17integral_constantIbLb1EES13_IbLb0EEEEDaSZ_S10_EUlSZ_E_NS1_11comp_targetILNS1_3genE5ELNS1_11target_archE942ELNS1_3gpuE9ELNS1_3repE0EEENS1_30default_config_static_selectorELNS0_4arch9wavefront6targetE0EEEvT1_ ; -- Begin function _ZN7rocprim17ROCPRIM_400000_NS6detail17trampoline_kernelINS0_14default_configENS1_27scan_by_key_config_selectorIxxEEZZNS1_16scan_by_key_implILNS1_25lookback_scan_determinismE0ELb0ES3_N6thrust23THRUST_200600_302600_NS6detail15normal_iteratorINS9_10device_ptrIxEEEENS9_18transform_iteratorINS9_6negateIxEESE_NS9_11use_defaultESI_EESE_xNS9_4plusIvEENS9_8equal_toIvEExEE10hipError_tPvRmT2_T3_T4_T5_mT6_T7_P12ihipStream_tbENKUlT_T0_E_clISt17integral_constantIbLb1EES13_IbLb0EEEEDaSZ_S10_EUlSZ_E_NS1_11comp_targetILNS1_3genE5ELNS1_11target_archE942ELNS1_3gpuE9ELNS1_3repE0EEENS1_30default_config_static_selectorELNS0_4arch9wavefront6targetE0EEEvT1_
	.globl	_ZN7rocprim17ROCPRIM_400000_NS6detail17trampoline_kernelINS0_14default_configENS1_27scan_by_key_config_selectorIxxEEZZNS1_16scan_by_key_implILNS1_25lookback_scan_determinismE0ELb0ES3_N6thrust23THRUST_200600_302600_NS6detail15normal_iteratorINS9_10device_ptrIxEEEENS9_18transform_iteratorINS9_6negateIxEESE_NS9_11use_defaultESI_EESE_xNS9_4plusIvEENS9_8equal_toIvEExEE10hipError_tPvRmT2_T3_T4_T5_mT6_T7_P12ihipStream_tbENKUlT_T0_E_clISt17integral_constantIbLb1EES13_IbLb0EEEEDaSZ_S10_EUlSZ_E_NS1_11comp_targetILNS1_3genE5ELNS1_11target_archE942ELNS1_3gpuE9ELNS1_3repE0EEENS1_30default_config_static_selectorELNS0_4arch9wavefront6targetE0EEEvT1_
	.p2align	8
	.type	_ZN7rocprim17ROCPRIM_400000_NS6detail17trampoline_kernelINS0_14default_configENS1_27scan_by_key_config_selectorIxxEEZZNS1_16scan_by_key_implILNS1_25lookback_scan_determinismE0ELb0ES3_N6thrust23THRUST_200600_302600_NS6detail15normal_iteratorINS9_10device_ptrIxEEEENS9_18transform_iteratorINS9_6negateIxEESE_NS9_11use_defaultESI_EESE_xNS9_4plusIvEENS9_8equal_toIvEExEE10hipError_tPvRmT2_T3_T4_T5_mT6_T7_P12ihipStream_tbENKUlT_T0_E_clISt17integral_constantIbLb1EES13_IbLb0EEEEDaSZ_S10_EUlSZ_E_NS1_11comp_targetILNS1_3genE5ELNS1_11target_archE942ELNS1_3gpuE9ELNS1_3repE0EEENS1_30default_config_static_selectorELNS0_4arch9wavefront6targetE0EEEvT1_,@function
_ZN7rocprim17ROCPRIM_400000_NS6detail17trampoline_kernelINS0_14default_configENS1_27scan_by_key_config_selectorIxxEEZZNS1_16scan_by_key_implILNS1_25lookback_scan_determinismE0ELb0ES3_N6thrust23THRUST_200600_302600_NS6detail15normal_iteratorINS9_10device_ptrIxEEEENS9_18transform_iteratorINS9_6negateIxEESE_NS9_11use_defaultESI_EESE_xNS9_4plusIvEENS9_8equal_toIvEExEE10hipError_tPvRmT2_T3_T4_T5_mT6_T7_P12ihipStream_tbENKUlT_T0_E_clISt17integral_constantIbLb1EES13_IbLb0EEEEDaSZ_S10_EUlSZ_E_NS1_11comp_targetILNS1_3genE5ELNS1_11target_archE942ELNS1_3gpuE9ELNS1_3repE0EEENS1_30default_config_static_selectorELNS0_4arch9wavefront6targetE0EEEvT1_: ; @_ZN7rocprim17ROCPRIM_400000_NS6detail17trampoline_kernelINS0_14default_configENS1_27scan_by_key_config_selectorIxxEEZZNS1_16scan_by_key_implILNS1_25lookback_scan_determinismE0ELb0ES3_N6thrust23THRUST_200600_302600_NS6detail15normal_iteratorINS9_10device_ptrIxEEEENS9_18transform_iteratorINS9_6negateIxEESE_NS9_11use_defaultESI_EESE_xNS9_4plusIvEENS9_8equal_toIvEExEE10hipError_tPvRmT2_T3_T4_T5_mT6_T7_P12ihipStream_tbENKUlT_T0_E_clISt17integral_constantIbLb1EES13_IbLb0EEEEDaSZ_S10_EUlSZ_E_NS1_11comp_targetILNS1_3genE5ELNS1_11target_archE942ELNS1_3gpuE9ELNS1_3repE0EEENS1_30default_config_static_selectorELNS0_4arch9wavefront6targetE0EEEvT1_
; %bb.0:
	.section	.rodata,"a",@progbits
	.p2align	6, 0x0
	.amdhsa_kernel _ZN7rocprim17ROCPRIM_400000_NS6detail17trampoline_kernelINS0_14default_configENS1_27scan_by_key_config_selectorIxxEEZZNS1_16scan_by_key_implILNS1_25lookback_scan_determinismE0ELb0ES3_N6thrust23THRUST_200600_302600_NS6detail15normal_iteratorINS9_10device_ptrIxEEEENS9_18transform_iteratorINS9_6negateIxEESE_NS9_11use_defaultESI_EESE_xNS9_4plusIvEENS9_8equal_toIvEExEE10hipError_tPvRmT2_T3_T4_T5_mT6_T7_P12ihipStream_tbENKUlT_T0_E_clISt17integral_constantIbLb1EES13_IbLb0EEEEDaSZ_S10_EUlSZ_E_NS1_11comp_targetILNS1_3genE5ELNS1_11target_archE942ELNS1_3gpuE9ELNS1_3repE0EEENS1_30default_config_static_selectorELNS0_4arch9wavefront6targetE0EEEvT1_
		.amdhsa_group_segment_fixed_size 0
		.amdhsa_private_segment_fixed_size 0
		.amdhsa_kernarg_size 144
		.amdhsa_user_sgpr_count 2
		.amdhsa_user_sgpr_dispatch_ptr 0
		.amdhsa_user_sgpr_queue_ptr 0
		.amdhsa_user_sgpr_kernarg_segment_ptr 1
		.amdhsa_user_sgpr_dispatch_id 0
		.amdhsa_user_sgpr_kernarg_preload_length 0
		.amdhsa_user_sgpr_kernarg_preload_offset 0
		.amdhsa_user_sgpr_private_segment_size 0
		.amdhsa_wavefront_size32 1
		.amdhsa_uses_dynamic_stack 0
		.amdhsa_enable_private_segment 0
		.amdhsa_system_sgpr_workgroup_id_x 1
		.amdhsa_system_sgpr_workgroup_id_y 0
		.amdhsa_system_sgpr_workgroup_id_z 0
		.amdhsa_system_sgpr_workgroup_info 0
		.amdhsa_system_vgpr_workitem_id 0
		.amdhsa_next_free_vgpr 1
		.amdhsa_next_free_sgpr 1
		.amdhsa_named_barrier_count 0
		.amdhsa_reserve_vcc 0
		.amdhsa_float_round_mode_32 0
		.amdhsa_float_round_mode_16_64 0
		.amdhsa_float_denorm_mode_32 3
		.amdhsa_float_denorm_mode_16_64 3
		.amdhsa_fp16_overflow 0
		.amdhsa_memory_ordered 1
		.amdhsa_forward_progress 1
		.amdhsa_inst_pref_size 0
		.amdhsa_round_robin_scheduling 0
		.amdhsa_exception_fp_ieee_invalid_op 0
		.amdhsa_exception_fp_denorm_src 0
		.amdhsa_exception_fp_ieee_div_zero 0
		.amdhsa_exception_fp_ieee_overflow 0
		.amdhsa_exception_fp_ieee_underflow 0
		.amdhsa_exception_fp_ieee_inexact 0
		.amdhsa_exception_int_div_zero 0
	.end_amdhsa_kernel
	.section	.text._ZN7rocprim17ROCPRIM_400000_NS6detail17trampoline_kernelINS0_14default_configENS1_27scan_by_key_config_selectorIxxEEZZNS1_16scan_by_key_implILNS1_25lookback_scan_determinismE0ELb0ES3_N6thrust23THRUST_200600_302600_NS6detail15normal_iteratorINS9_10device_ptrIxEEEENS9_18transform_iteratorINS9_6negateIxEESE_NS9_11use_defaultESI_EESE_xNS9_4plusIvEENS9_8equal_toIvEExEE10hipError_tPvRmT2_T3_T4_T5_mT6_T7_P12ihipStream_tbENKUlT_T0_E_clISt17integral_constantIbLb1EES13_IbLb0EEEEDaSZ_S10_EUlSZ_E_NS1_11comp_targetILNS1_3genE5ELNS1_11target_archE942ELNS1_3gpuE9ELNS1_3repE0EEENS1_30default_config_static_selectorELNS0_4arch9wavefront6targetE0EEEvT1_,"axG",@progbits,_ZN7rocprim17ROCPRIM_400000_NS6detail17trampoline_kernelINS0_14default_configENS1_27scan_by_key_config_selectorIxxEEZZNS1_16scan_by_key_implILNS1_25lookback_scan_determinismE0ELb0ES3_N6thrust23THRUST_200600_302600_NS6detail15normal_iteratorINS9_10device_ptrIxEEEENS9_18transform_iteratorINS9_6negateIxEESE_NS9_11use_defaultESI_EESE_xNS9_4plusIvEENS9_8equal_toIvEExEE10hipError_tPvRmT2_T3_T4_T5_mT6_T7_P12ihipStream_tbENKUlT_T0_E_clISt17integral_constantIbLb1EES13_IbLb0EEEEDaSZ_S10_EUlSZ_E_NS1_11comp_targetILNS1_3genE5ELNS1_11target_archE942ELNS1_3gpuE9ELNS1_3repE0EEENS1_30default_config_static_selectorELNS0_4arch9wavefront6targetE0EEEvT1_,comdat
.Lfunc_end913:
	.size	_ZN7rocprim17ROCPRIM_400000_NS6detail17trampoline_kernelINS0_14default_configENS1_27scan_by_key_config_selectorIxxEEZZNS1_16scan_by_key_implILNS1_25lookback_scan_determinismE0ELb0ES3_N6thrust23THRUST_200600_302600_NS6detail15normal_iteratorINS9_10device_ptrIxEEEENS9_18transform_iteratorINS9_6negateIxEESE_NS9_11use_defaultESI_EESE_xNS9_4plusIvEENS9_8equal_toIvEExEE10hipError_tPvRmT2_T3_T4_T5_mT6_T7_P12ihipStream_tbENKUlT_T0_E_clISt17integral_constantIbLb1EES13_IbLb0EEEEDaSZ_S10_EUlSZ_E_NS1_11comp_targetILNS1_3genE5ELNS1_11target_archE942ELNS1_3gpuE9ELNS1_3repE0EEENS1_30default_config_static_selectorELNS0_4arch9wavefront6targetE0EEEvT1_, .Lfunc_end913-_ZN7rocprim17ROCPRIM_400000_NS6detail17trampoline_kernelINS0_14default_configENS1_27scan_by_key_config_selectorIxxEEZZNS1_16scan_by_key_implILNS1_25lookback_scan_determinismE0ELb0ES3_N6thrust23THRUST_200600_302600_NS6detail15normal_iteratorINS9_10device_ptrIxEEEENS9_18transform_iteratorINS9_6negateIxEESE_NS9_11use_defaultESI_EESE_xNS9_4plusIvEENS9_8equal_toIvEExEE10hipError_tPvRmT2_T3_T4_T5_mT6_T7_P12ihipStream_tbENKUlT_T0_E_clISt17integral_constantIbLb1EES13_IbLb0EEEEDaSZ_S10_EUlSZ_E_NS1_11comp_targetILNS1_3genE5ELNS1_11target_archE942ELNS1_3gpuE9ELNS1_3repE0EEENS1_30default_config_static_selectorELNS0_4arch9wavefront6targetE0EEEvT1_
                                        ; -- End function
	.set _ZN7rocprim17ROCPRIM_400000_NS6detail17trampoline_kernelINS0_14default_configENS1_27scan_by_key_config_selectorIxxEEZZNS1_16scan_by_key_implILNS1_25lookback_scan_determinismE0ELb0ES3_N6thrust23THRUST_200600_302600_NS6detail15normal_iteratorINS9_10device_ptrIxEEEENS9_18transform_iteratorINS9_6negateIxEESE_NS9_11use_defaultESI_EESE_xNS9_4plusIvEENS9_8equal_toIvEExEE10hipError_tPvRmT2_T3_T4_T5_mT6_T7_P12ihipStream_tbENKUlT_T0_E_clISt17integral_constantIbLb1EES13_IbLb0EEEEDaSZ_S10_EUlSZ_E_NS1_11comp_targetILNS1_3genE5ELNS1_11target_archE942ELNS1_3gpuE9ELNS1_3repE0EEENS1_30default_config_static_selectorELNS0_4arch9wavefront6targetE0EEEvT1_.num_vgpr, 0
	.set _ZN7rocprim17ROCPRIM_400000_NS6detail17trampoline_kernelINS0_14default_configENS1_27scan_by_key_config_selectorIxxEEZZNS1_16scan_by_key_implILNS1_25lookback_scan_determinismE0ELb0ES3_N6thrust23THRUST_200600_302600_NS6detail15normal_iteratorINS9_10device_ptrIxEEEENS9_18transform_iteratorINS9_6negateIxEESE_NS9_11use_defaultESI_EESE_xNS9_4plusIvEENS9_8equal_toIvEExEE10hipError_tPvRmT2_T3_T4_T5_mT6_T7_P12ihipStream_tbENKUlT_T0_E_clISt17integral_constantIbLb1EES13_IbLb0EEEEDaSZ_S10_EUlSZ_E_NS1_11comp_targetILNS1_3genE5ELNS1_11target_archE942ELNS1_3gpuE9ELNS1_3repE0EEENS1_30default_config_static_selectorELNS0_4arch9wavefront6targetE0EEEvT1_.num_agpr, 0
	.set _ZN7rocprim17ROCPRIM_400000_NS6detail17trampoline_kernelINS0_14default_configENS1_27scan_by_key_config_selectorIxxEEZZNS1_16scan_by_key_implILNS1_25lookback_scan_determinismE0ELb0ES3_N6thrust23THRUST_200600_302600_NS6detail15normal_iteratorINS9_10device_ptrIxEEEENS9_18transform_iteratorINS9_6negateIxEESE_NS9_11use_defaultESI_EESE_xNS9_4plusIvEENS9_8equal_toIvEExEE10hipError_tPvRmT2_T3_T4_T5_mT6_T7_P12ihipStream_tbENKUlT_T0_E_clISt17integral_constantIbLb1EES13_IbLb0EEEEDaSZ_S10_EUlSZ_E_NS1_11comp_targetILNS1_3genE5ELNS1_11target_archE942ELNS1_3gpuE9ELNS1_3repE0EEENS1_30default_config_static_selectorELNS0_4arch9wavefront6targetE0EEEvT1_.numbered_sgpr, 0
	.set _ZN7rocprim17ROCPRIM_400000_NS6detail17trampoline_kernelINS0_14default_configENS1_27scan_by_key_config_selectorIxxEEZZNS1_16scan_by_key_implILNS1_25lookback_scan_determinismE0ELb0ES3_N6thrust23THRUST_200600_302600_NS6detail15normal_iteratorINS9_10device_ptrIxEEEENS9_18transform_iteratorINS9_6negateIxEESE_NS9_11use_defaultESI_EESE_xNS9_4plusIvEENS9_8equal_toIvEExEE10hipError_tPvRmT2_T3_T4_T5_mT6_T7_P12ihipStream_tbENKUlT_T0_E_clISt17integral_constantIbLb1EES13_IbLb0EEEEDaSZ_S10_EUlSZ_E_NS1_11comp_targetILNS1_3genE5ELNS1_11target_archE942ELNS1_3gpuE9ELNS1_3repE0EEENS1_30default_config_static_selectorELNS0_4arch9wavefront6targetE0EEEvT1_.num_named_barrier, 0
	.set _ZN7rocprim17ROCPRIM_400000_NS6detail17trampoline_kernelINS0_14default_configENS1_27scan_by_key_config_selectorIxxEEZZNS1_16scan_by_key_implILNS1_25lookback_scan_determinismE0ELb0ES3_N6thrust23THRUST_200600_302600_NS6detail15normal_iteratorINS9_10device_ptrIxEEEENS9_18transform_iteratorINS9_6negateIxEESE_NS9_11use_defaultESI_EESE_xNS9_4plusIvEENS9_8equal_toIvEExEE10hipError_tPvRmT2_T3_T4_T5_mT6_T7_P12ihipStream_tbENKUlT_T0_E_clISt17integral_constantIbLb1EES13_IbLb0EEEEDaSZ_S10_EUlSZ_E_NS1_11comp_targetILNS1_3genE5ELNS1_11target_archE942ELNS1_3gpuE9ELNS1_3repE0EEENS1_30default_config_static_selectorELNS0_4arch9wavefront6targetE0EEEvT1_.private_seg_size, 0
	.set _ZN7rocprim17ROCPRIM_400000_NS6detail17trampoline_kernelINS0_14default_configENS1_27scan_by_key_config_selectorIxxEEZZNS1_16scan_by_key_implILNS1_25lookback_scan_determinismE0ELb0ES3_N6thrust23THRUST_200600_302600_NS6detail15normal_iteratorINS9_10device_ptrIxEEEENS9_18transform_iteratorINS9_6negateIxEESE_NS9_11use_defaultESI_EESE_xNS9_4plusIvEENS9_8equal_toIvEExEE10hipError_tPvRmT2_T3_T4_T5_mT6_T7_P12ihipStream_tbENKUlT_T0_E_clISt17integral_constantIbLb1EES13_IbLb0EEEEDaSZ_S10_EUlSZ_E_NS1_11comp_targetILNS1_3genE5ELNS1_11target_archE942ELNS1_3gpuE9ELNS1_3repE0EEENS1_30default_config_static_selectorELNS0_4arch9wavefront6targetE0EEEvT1_.uses_vcc, 0
	.set _ZN7rocprim17ROCPRIM_400000_NS6detail17trampoline_kernelINS0_14default_configENS1_27scan_by_key_config_selectorIxxEEZZNS1_16scan_by_key_implILNS1_25lookback_scan_determinismE0ELb0ES3_N6thrust23THRUST_200600_302600_NS6detail15normal_iteratorINS9_10device_ptrIxEEEENS9_18transform_iteratorINS9_6negateIxEESE_NS9_11use_defaultESI_EESE_xNS9_4plusIvEENS9_8equal_toIvEExEE10hipError_tPvRmT2_T3_T4_T5_mT6_T7_P12ihipStream_tbENKUlT_T0_E_clISt17integral_constantIbLb1EES13_IbLb0EEEEDaSZ_S10_EUlSZ_E_NS1_11comp_targetILNS1_3genE5ELNS1_11target_archE942ELNS1_3gpuE9ELNS1_3repE0EEENS1_30default_config_static_selectorELNS0_4arch9wavefront6targetE0EEEvT1_.uses_flat_scratch, 0
	.set _ZN7rocprim17ROCPRIM_400000_NS6detail17trampoline_kernelINS0_14default_configENS1_27scan_by_key_config_selectorIxxEEZZNS1_16scan_by_key_implILNS1_25lookback_scan_determinismE0ELb0ES3_N6thrust23THRUST_200600_302600_NS6detail15normal_iteratorINS9_10device_ptrIxEEEENS9_18transform_iteratorINS9_6negateIxEESE_NS9_11use_defaultESI_EESE_xNS9_4plusIvEENS9_8equal_toIvEExEE10hipError_tPvRmT2_T3_T4_T5_mT6_T7_P12ihipStream_tbENKUlT_T0_E_clISt17integral_constantIbLb1EES13_IbLb0EEEEDaSZ_S10_EUlSZ_E_NS1_11comp_targetILNS1_3genE5ELNS1_11target_archE942ELNS1_3gpuE9ELNS1_3repE0EEENS1_30default_config_static_selectorELNS0_4arch9wavefront6targetE0EEEvT1_.has_dyn_sized_stack, 0
	.set _ZN7rocprim17ROCPRIM_400000_NS6detail17trampoline_kernelINS0_14default_configENS1_27scan_by_key_config_selectorIxxEEZZNS1_16scan_by_key_implILNS1_25lookback_scan_determinismE0ELb0ES3_N6thrust23THRUST_200600_302600_NS6detail15normal_iteratorINS9_10device_ptrIxEEEENS9_18transform_iteratorINS9_6negateIxEESE_NS9_11use_defaultESI_EESE_xNS9_4plusIvEENS9_8equal_toIvEExEE10hipError_tPvRmT2_T3_T4_T5_mT6_T7_P12ihipStream_tbENKUlT_T0_E_clISt17integral_constantIbLb1EES13_IbLb0EEEEDaSZ_S10_EUlSZ_E_NS1_11comp_targetILNS1_3genE5ELNS1_11target_archE942ELNS1_3gpuE9ELNS1_3repE0EEENS1_30default_config_static_selectorELNS0_4arch9wavefront6targetE0EEEvT1_.has_recursion, 0
	.set _ZN7rocprim17ROCPRIM_400000_NS6detail17trampoline_kernelINS0_14default_configENS1_27scan_by_key_config_selectorIxxEEZZNS1_16scan_by_key_implILNS1_25lookback_scan_determinismE0ELb0ES3_N6thrust23THRUST_200600_302600_NS6detail15normal_iteratorINS9_10device_ptrIxEEEENS9_18transform_iteratorINS9_6negateIxEESE_NS9_11use_defaultESI_EESE_xNS9_4plusIvEENS9_8equal_toIvEExEE10hipError_tPvRmT2_T3_T4_T5_mT6_T7_P12ihipStream_tbENKUlT_T0_E_clISt17integral_constantIbLb1EES13_IbLb0EEEEDaSZ_S10_EUlSZ_E_NS1_11comp_targetILNS1_3genE5ELNS1_11target_archE942ELNS1_3gpuE9ELNS1_3repE0EEENS1_30default_config_static_selectorELNS0_4arch9wavefront6targetE0EEEvT1_.has_indirect_call, 0
	.section	.AMDGPU.csdata,"",@progbits
; Kernel info:
; codeLenInByte = 0
; TotalNumSgprs: 0
; NumVgprs: 0
; ScratchSize: 0
; MemoryBound: 0
; FloatMode: 240
; IeeeMode: 1
; LDSByteSize: 0 bytes/workgroup (compile time only)
; SGPRBlocks: 0
; VGPRBlocks: 0
; NumSGPRsForWavesPerEU: 1
; NumVGPRsForWavesPerEU: 1
; NamedBarCnt: 0
; Occupancy: 16
; WaveLimiterHint : 0
; COMPUTE_PGM_RSRC2:SCRATCH_EN: 0
; COMPUTE_PGM_RSRC2:USER_SGPR: 2
; COMPUTE_PGM_RSRC2:TRAP_HANDLER: 0
; COMPUTE_PGM_RSRC2:TGID_X_EN: 1
; COMPUTE_PGM_RSRC2:TGID_Y_EN: 0
; COMPUTE_PGM_RSRC2:TGID_Z_EN: 0
; COMPUTE_PGM_RSRC2:TIDIG_COMP_CNT: 0
	.section	.text._ZN7rocprim17ROCPRIM_400000_NS6detail17trampoline_kernelINS0_14default_configENS1_27scan_by_key_config_selectorIxxEEZZNS1_16scan_by_key_implILNS1_25lookback_scan_determinismE0ELb0ES3_N6thrust23THRUST_200600_302600_NS6detail15normal_iteratorINS9_10device_ptrIxEEEENS9_18transform_iteratorINS9_6negateIxEESE_NS9_11use_defaultESI_EESE_xNS9_4plusIvEENS9_8equal_toIvEExEE10hipError_tPvRmT2_T3_T4_T5_mT6_T7_P12ihipStream_tbENKUlT_T0_E_clISt17integral_constantIbLb1EES13_IbLb0EEEEDaSZ_S10_EUlSZ_E_NS1_11comp_targetILNS1_3genE4ELNS1_11target_archE910ELNS1_3gpuE8ELNS1_3repE0EEENS1_30default_config_static_selectorELNS0_4arch9wavefront6targetE0EEEvT1_,"axG",@progbits,_ZN7rocprim17ROCPRIM_400000_NS6detail17trampoline_kernelINS0_14default_configENS1_27scan_by_key_config_selectorIxxEEZZNS1_16scan_by_key_implILNS1_25lookback_scan_determinismE0ELb0ES3_N6thrust23THRUST_200600_302600_NS6detail15normal_iteratorINS9_10device_ptrIxEEEENS9_18transform_iteratorINS9_6negateIxEESE_NS9_11use_defaultESI_EESE_xNS9_4plusIvEENS9_8equal_toIvEExEE10hipError_tPvRmT2_T3_T4_T5_mT6_T7_P12ihipStream_tbENKUlT_T0_E_clISt17integral_constantIbLb1EES13_IbLb0EEEEDaSZ_S10_EUlSZ_E_NS1_11comp_targetILNS1_3genE4ELNS1_11target_archE910ELNS1_3gpuE8ELNS1_3repE0EEENS1_30default_config_static_selectorELNS0_4arch9wavefront6targetE0EEEvT1_,comdat
	.protected	_ZN7rocprim17ROCPRIM_400000_NS6detail17trampoline_kernelINS0_14default_configENS1_27scan_by_key_config_selectorIxxEEZZNS1_16scan_by_key_implILNS1_25lookback_scan_determinismE0ELb0ES3_N6thrust23THRUST_200600_302600_NS6detail15normal_iteratorINS9_10device_ptrIxEEEENS9_18transform_iteratorINS9_6negateIxEESE_NS9_11use_defaultESI_EESE_xNS9_4plusIvEENS9_8equal_toIvEExEE10hipError_tPvRmT2_T3_T4_T5_mT6_T7_P12ihipStream_tbENKUlT_T0_E_clISt17integral_constantIbLb1EES13_IbLb0EEEEDaSZ_S10_EUlSZ_E_NS1_11comp_targetILNS1_3genE4ELNS1_11target_archE910ELNS1_3gpuE8ELNS1_3repE0EEENS1_30default_config_static_selectorELNS0_4arch9wavefront6targetE0EEEvT1_ ; -- Begin function _ZN7rocprim17ROCPRIM_400000_NS6detail17trampoline_kernelINS0_14default_configENS1_27scan_by_key_config_selectorIxxEEZZNS1_16scan_by_key_implILNS1_25lookback_scan_determinismE0ELb0ES3_N6thrust23THRUST_200600_302600_NS6detail15normal_iteratorINS9_10device_ptrIxEEEENS9_18transform_iteratorINS9_6negateIxEESE_NS9_11use_defaultESI_EESE_xNS9_4plusIvEENS9_8equal_toIvEExEE10hipError_tPvRmT2_T3_T4_T5_mT6_T7_P12ihipStream_tbENKUlT_T0_E_clISt17integral_constantIbLb1EES13_IbLb0EEEEDaSZ_S10_EUlSZ_E_NS1_11comp_targetILNS1_3genE4ELNS1_11target_archE910ELNS1_3gpuE8ELNS1_3repE0EEENS1_30default_config_static_selectorELNS0_4arch9wavefront6targetE0EEEvT1_
	.globl	_ZN7rocprim17ROCPRIM_400000_NS6detail17trampoline_kernelINS0_14default_configENS1_27scan_by_key_config_selectorIxxEEZZNS1_16scan_by_key_implILNS1_25lookback_scan_determinismE0ELb0ES3_N6thrust23THRUST_200600_302600_NS6detail15normal_iteratorINS9_10device_ptrIxEEEENS9_18transform_iteratorINS9_6negateIxEESE_NS9_11use_defaultESI_EESE_xNS9_4plusIvEENS9_8equal_toIvEExEE10hipError_tPvRmT2_T3_T4_T5_mT6_T7_P12ihipStream_tbENKUlT_T0_E_clISt17integral_constantIbLb1EES13_IbLb0EEEEDaSZ_S10_EUlSZ_E_NS1_11comp_targetILNS1_3genE4ELNS1_11target_archE910ELNS1_3gpuE8ELNS1_3repE0EEENS1_30default_config_static_selectorELNS0_4arch9wavefront6targetE0EEEvT1_
	.p2align	8
	.type	_ZN7rocprim17ROCPRIM_400000_NS6detail17trampoline_kernelINS0_14default_configENS1_27scan_by_key_config_selectorIxxEEZZNS1_16scan_by_key_implILNS1_25lookback_scan_determinismE0ELb0ES3_N6thrust23THRUST_200600_302600_NS6detail15normal_iteratorINS9_10device_ptrIxEEEENS9_18transform_iteratorINS9_6negateIxEESE_NS9_11use_defaultESI_EESE_xNS9_4plusIvEENS9_8equal_toIvEExEE10hipError_tPvRmT2_T3_T4_T5_mT6_T7_P12ihipStream_tbENKUlT_T0_E_clISt17integral_constantIbLb1EES13_IbLb0EEEEDaSZ_S10_EUlSZ_E_NS1_11comp_targetILNS1_3genE4ELNS1_11target_archE910ELNS1_3gpuE8ELNS1_3repE0EEENS1_30default_config_static_selectorELNS0_4arch9wavefront6targetE0EEEvT1_,@function
_ZN7rocprim17ROCPRIM_400000_NS6detail17trampoline_kernelINS0_14default_configENS1_27scan_by_key_config_selectorIxxEEZZNS1_16scan_by_key_implILNS1_25lookback_scan_determinismE0ELb0ES3_N6thrust23THRUST_200600_302600_NS6detail15normal_iteratorINS9_10device_ptrIxEEEENS9_18transform_iteratorINS9_6negateIxEESE_NS9_11use_defaultESI_EESE_xNS9_4plusIvEENS9_8equal_toIvEExEE10hipError_tPvRmT2_T3_T4_T5_mT6_T7_P12ihipStream_tbENKUlT_T0_E_clISt17integral_constantIbLb1EES13_IbLb0EEEEDaSZ_S10_EUlSZ_E_NS1_11comp_targetILNS1_3genE4ELNS1_11target_archE910ELNS1_3gpuE8ELNS1_3repE0EEENS1_30default_config_static_selectorELNS0_4arch9wavefront6targetE0EEEvT1_: ; @_ZN7rocprim17ROCPRIM_400000_NS6detail17trampoline_kernelINS0_14default_configENS1_27scan_by_key_config_selectorIxxEEZZNS1_16scan_by_key_implILNS1_25lookback_scan_determinismE0ELb0ES3_N6thrust23THRUST_200600_302600_NS6detail15normal_iteratorINS9_10device_ptrIxEEEENS9_18transform_iteratorINS9_6negateIxEESE_NS9_11use_defaultESI_EESE_xNS9_4plusIvEENS9_8equal_toIvEExEE10hipError_tPvRmT2_T3_T4_T5_mT6_T7_P12ihipStream_tbENKUlT_T0_E_clISt17integral_constantIbLb1EES13_IbLb0EEEEDaSZ_S10_EUlSZ_E_NS1_11comp_targetILNS1_3genE4ELNS1_11target_archE910ELNS1_3gpuE8ELNS1_3repE0EEENS1_30default_config_static_selectorELNS0_4arch9wavefront6targetE0EEEvT1_
; %bb.0:
	.section	.rodata,"a",@progbits
	.p2align	6, 0x0
	.amdhsa_kernel _ZN7rocprim17ROCPRIM_400000_NS6detail17trampoline_kernelINS0_14default_configENS1_27scan_by_key_config_selectorIxxEEZZNS1_16scan_by_key_implILNS1_25lookback_scan_determinismE0ELb0ES3_N6thrust23THRUST_200600_302600_NS6detail15normal_iteratorINS9_10device_ptrIxEEEENS9_18transform_iteratorINS9_6negateIxEESE_NS9_11use_defaultESI_EESE_xNS9_4plusIvEENS9_8equal_toIvEExEE10hipError_tPvRmT2_T3_T4_T5_mT6_T7_P12ihipStream_tbENKUlT_T0_E_clISt17integral_constantIbLb1EES13_IbLb0EEEEDaSZ_S10_EUlSZ_E_NS1_11comp_targetILNS1_3genE4ELNS1_11target_archE910ELNS1_3gpuE8ELNS1_3repE0EEENS1_30default_config_static_selectorELNS0_4arch9wavefront6targetE0EEEvT1_
		.amdhsa_group_segment_fixed_size 0
		.amdhsa_private_segment_fixed_size 0
		.amdhsa_kernarg_size 144
		.amdhsa_user_sgpr_count 2
		.amdhsa_user_sgpr_dispatch_ptr 0
		.amdhsa_user_sgpr_queue_ptr 0
		.amdhsa_user_sgpr_kernarg_segment_ptr 1
		.amdhsa_user_sgpr_dispatch_id 0
		.amdhsa_user_sgpr_kernarg_preload_length 0
		.amdhsa_user_sgpr_kernarg_preload_offset 0
		.amdhsa_user_sgpr_private_segment_size 0
		.amdhsa_wavefront_size32 1
		.amdhsa_uses_dynamic_stack 0
		.amdhsa_enable_private_segment 0
		.amdhsa_system_sgpr_workgroup_id_x 1
		.amdhsa_system_sgpr_workgroup_id_y 0
		.amdhsa_system_sgpr_workgroup_id_z 0
		.amdhsa_system_sgpr_workgroup_info 0
		.amdhsa_system_vgpr_workitem_id 0
		.amdhsa_next_free_vgpr 1
		.amdhsa_next_free_sgpr 1
		.amdhsa_named_barrier_count 0
		.amdhsa_reserve_vcc 0
		.amdhsa_float_round_mode_32 0
		.amdhsa_float_round_mode_16_64 0
		.amdhsa_float_denorm_mode_32 3
		.amdhsa_float_denorm_mode_16_64 3
		.amdhsa_fp16_overflow 0
		.amdhsa_memory_ordered 1
		.amdhsa_forward_progress 1
		.amdhsa_inst_pref_size 0
		.amdhsa_round_robin_scheduling 0
		.amdhsa_exception_fp_ieee_invalid_op 0
		.amdhsa_exception_fp_denorm_src 0
		.amdhsa_exception_fp_ieee_div_zero 0
		.amdhsa_exception_fp_ieee_overflow 0
		.amdhsa_exception_fp_ieee_underflow 0
		.amdhsa_exception_fp_ieee_inexact 0
		.amdhsa_exception_int_div_zero 0
	.end_amdhsa_kernel
	.section	.text._ZN7rocprim17ROCPRIM_400000_NS6detail17trampoline_kernelINS0_14default_configENS1_27scan_by_key_config_selectorIxxEEZZNS1_16scan_by_key_implILNS1_25lookback_scan_determinismE0ELb0ES3_N6thrust23THRUST_200600_302600_NS6detail15normal_iteratorINS9_10device_ptrIxEEEENS9_18transform_iteratorINS9_6negateIxEESE_NS9_11use_defaultESI_EESE_xNS9_4plusIvEENS9_8equal_toIvEExEE10hipError_tPvRmT2_T3_T4_T5_mT6_T7_P12ihipStream_tbENKUlT_T0_E_clISt17integral_constantIbLb1EES13_IbLb0EEEEDaSZ_S10_EUlSZ_E_NS1_11comp_targetILNS1_3genE4ELNS1_11target_archE910ELNS1_3gpuE8ELNS1_3repE0EEENS1_30default_config_static_selectorELNS0_4arch9wavefront6targetE0EEEvT1_,"axG",@progbits,_ZN7rocprim17ROCPRIM_400000_NS6detail17trampoline_kernelINS0_14default_configENS1_27scan_by_key_config_selectorIxxEEZZNS1_16scan_by_key_implILNS1_25lookback_scan_determinismE0ELb0ES3_N6thrust23THRUST_200600_302600_NS6detail15normal_iteratorINS9_10device_ptrIxEEEENS9_18transform_iteratorINS9_6negateIxEESE_NS9_11use_defaultESI_EESE_xNS9_4plusIvEENS9_8equal_toIvEExEE10hipError_tPvRmT2_T3_T4_T5_mT6_T7_P12ihipStream_tbENKUlT_T0_E_clISt17integral_constantIbLb1EES13_IbLb0EEEEDaSZ_S10_EUlSZ_E_NS1_11comp_targetILNS1_3genE4ELNS1_11target_archE910ELNS1_3gpuE8ELNS1_3repE0EEENS1_30default_config_static_selectorELNS0_4arch9wavefront6targetE0EEEvT1_,comdat
.Lfunc_end914:
	.size	_ZN7rocprim17ROCPRIM_400000_NS6detail17trampoline_kernelINS0_14default_configENS1_27scan_by_key_config_selectorIxxEEZZNS1_16scan_by_key_implILNS1_25lookback_scan_determinismE0ELb0ES3_N6thrust23THRUST_200600_302600_NS6detail15normal_iteratorINS9_10device_ptrIxEEEENS9_18transform_iteratorINS9_6negateIxEESE_NS9_11use_defaultESI_EESE_xNS9_4plusIvEENS9_8equal_toIvEExEE10hipError_tPvRmT2_T3_T4_T5_mT6_T7_P12ihipStream_tbENKUlT_T0_E_clISt17integral_constantIbLb1EES13_IbLb0EEEEDaSZ_S10_EUlSZ_E_NS1_11comp_targetILNS1_3genE4ELNS1_11target_archE910ELNS1_3gpuE8ELNS1_3repE0EEENS1_30default_config_static_selectorELNS0_4arch9wavefront6targetE0EEEvT1_, .Lfunc_end914-_ZN7rocprim17ROCPRIM_400000_NS6detail17trampoline_kernelINS0_14default_configENS1_27scan_by_key_config_selectorIxxEEZZNS1_16scan_by_key_implILNS1_25lookback_scan_determinismE0ELb0ES3_N6thrust23THRUST_200600_302600_NS6detail15normal_iteratorINS9_10device_ptrIxEEEENS9_18transform_iteratorINS9_6negateIxEESE_NS9_11use_defaultESI_EESE_xNS9_4plusIvEENS9_8equal_toIvEExEE10hipError_tPvRmT2_T3_T4_T5_mT6_T7_P12ihipStream_tbENKUlT_T0_E_clISt17integral_constantIbLb1EES13_IbLb0EEEEDaSZ_S10_EUlSZ_E_NS1_11comp_targetILNS1_3genE4ELNS1_11target_archE910ELNS1_3gpuE8ELNS1_3repE0EEENS1_30default_config_static_selectorELNS0_4arch9wavefront6targetE0EEEvT1_
                                        ; -- End function
	.set _ZN7rocprim17ROCPRIM_400000_NS6detail17trampoline_kernelINS0_14default_configENS1_27scan_by_key_config_selectorIxxEEZZNS1_16scan_by_key_implILNS1_25lookback_scan_determinismE0ELb0ES3_N6thrust23THRUST_200600_302600_NS6detail15normal_iteratorINS9_10device_ptrIxEEEENS9_18transform_iteratorINS9_6negateIxEESE_NS9_11use_defaultESI_EESE_xNS9_4plusIvEENS9_8equal_toIvEExEE10hipError_tPvRmT2_T3_T4_T5_mT6_T7_P12ihipStream_tbENKUlT_T0_E_clISt17integral_constantIbLb1EES13_IbLb0EEEEDaSZ_S10_EUlSZ_E_NS1_11comp_targetILNS1_3genE4ELNS1_11target_archE910ELNS1_3gpuE8ELNS1_3repE0EEENS1_30default_config_static_selectorELNS0_4arch9wavefront6targetE0EEEvT1_.num_vgpr, 0
	.set _ZN7rocprim17ROCPRIM_400000_NS6detail17trampoline_kernelINS0_14default_configENS1_27scan_by_key_config_selectorIxxEEZZNS1_16scan_by_key_implILNS1_25lookback_scan_determinismE0ELb0ES3_N6thrust23THRUST_200600_302600_NS6detail15normal_iteratorINS9_10device_ptrIxEEEENS9_18transform_iteratorINS9_6negateIxEESE_NS9_11use_defaultESI_EESE_xNS9_4plusIvEENS9_8equal_toIvEExEE10hipError_tPvRmT2_T3_T4_T5_mT6_T7_P12ihipStream_tbENKUlT_T0_E_clISt17integral_constantIbLb1EES13_IbLb0EEEEDaSZ_S10_EUlSZ_E_NS1_11comp_targetILNS1_3genE4ELNS1_11target_archE910ELNS1_3gpuE8ELNS1_3repE0EEENS1_30default_config_static_selectorELNS0_4arch9wavefront6targetE0EEEvT1_.num_agpr, 0
	.set _ZN7rocprim17ROCPRIM_400000_NS6detail17trampoline_kernelINS0_14default_configENS1_27scan_by_key_config_selectorIxxEEZZNS1_16scan_by_key_implILNS1_25lookback_scan_determinismE0ELb0ES3_N6thrust23THRUST_200600_302600_NS6detail15normal_iteratorINS9_10device_ptrIxEEEENS9_18transform_iteratorINS9_6negateIxEESE_NS9_11use_defaultESI_EESE_xNS9_4plusIvEENS9_8equal_toIvEExEE10hipError_tPvRmT2_T3_T4_T5_mT6_T7_P12ihipStream_tbENKUlT_T0_E_clISt17integral_constantIbLb1EES13_IbLb0EEEEDaSZ_S10_EUlSZ_E_NS1_11comp_targetILNS1_3genE4ELNS1_11target_archE910ELNS1_3gpuE8ELNS1_3repE0EEENS1_30default_config_static_selectorELNS0_4arch9wavefront6targetE0EEEvT1_.numbered_sgpr, 0
	.set _ZN7rocprim17ROCPRIM_400000_NS6detail17trampoline_kernelINS0_14default_configENS1_27scan_by_key_config_selectorIxxEEZZNS1_16scan_by_key_implILNS1_25lookback_scan_determinismE0ELb0ES3_N6thrust23THRUST_200600_302600_NS6detail15normal_iteratorINS9_10device_ptrIxEEEENS9_18transform_iteratorINS9_6negateIxEESE_NS9_11use_defaultESI_EESE_xNS9_4plusIvEENS9_8equal_toIvEExEE10hipError_tPvRmT2_T3_T4_T5_mT6_T7_P12ihipStream_tbENKUlT_T0_E_clISt17integral_constantIbLb1EES13_IbLb0EEEEDaSZ_S10_EUlSZ_E_NS1_11comp_targetILNS1_3genE4ELNS1_11target_archE910ELNS1_3gpuE8ELNS1_3repE0EEENS1_30default_config_static_selectorELNS0_4arch9wavefront6targetE0EEEvT1_.num_named_barrier, 0
	.set _ZN7rocprim17ROCPRIM_400000_NS6detail17trampoline_kernelINS0_14default_configENS1_27scan_by_key_config_selectorIxxEEZZNS1_16scan_by_key_implILNS1_25lookback_scan_determinismE0ELb0ES3_N6thrust23THRUST_200600_302600_NS6detail15normal_iteratorINS9_10device_ptrIxEEEENS9_18transform_iteratorINS9_6negateIxEESE_NS9_11use_defaultESI_EESE_xNS9_4plusIvEENS9_8equal_toIvEExEE10hipError_tPvRmT2_T3_T4_T5_mT6_T7_P12ihipStream_tbENKUlT_T0_E_clISt17integral_constantIbLb1EES13_IbLb0EEEEDaSZ_S10_EUlSZ_E_NS1_11comp_targetILNS1_3genE4ELNS1_11target_archE910ELNS1_3gpuE8ELNS1_3repE0EEENS1_30default_config_static_selectorELNS0_4arch9wavefront6targetE0EEEvT1_.private_seg_size, 0
	.set _ZN7rocprim17ROCPRIM_400000_NS6detail17trampoline_kernelINS0_14default_configENS1_27scan_by_key_config_selectorIxxEEZZNS1_16scan_by_key_implILNS1_25lookback_scan_determinismE0ELb0ES3_N6thrust23THRUST_200600_302600_NS6detail15normal_iteratorINS9_10device_ptrIxEEEENS9_18transform_iteratorINS9_6negateIxEESE_NS9_11use_defaultESI_EESE_xNS9_4plusIvEENS9_8equal_toIvEExEE10hipError_tPvRmT2_T3_T4_T5_mT6_T7_P12ihipStream_tbENKUlT_T0_E_clISt17integral_constantIbLb1EES13_IbLb0EEEEDaSZ_S10_EUlSZ_E_NS1_11comp_targetILNS1_3genE4ELNS1_11target_archE910ELNS1_3gpuE8ELNS1_3repE0EEENS1_30default_config_static_selectorELNS0_4arch9wavefront6targetE0EEEvT1_.uses_vcc, 0
	.set _ZN7rocprim17ROCPRIM_400000_NS6detail17trampoline_kernelINS0_14default_configENS1_27scan_by_key_config_selectorIxxEEZZNS1_16scan_by_key_implILNS1_25lookback_scan_determinismE0ELb0ES3_N6thrust23THRUST_200600_302600_NS6detail15normal_iteratorINS9_10device_ptrIxEEEENS9_18transform_iteratorINS9_6negateIxEESE_NS9_11use_defaultESI_EESE_xNS9_4plusIvEENS9_8equal_toIvEExEE10hipError_tPvRmT2_T3_T4_T5_mT6_T7_P12ihipStream_tbENKUlT_T0_E_clISt17integral_constantIbLb1EES13_IbLb0EEEEDaSZ_S10_EUlSZ_E_NS1_11comp_targetILNS1_3genE4ELNS1_11target_archE910ELNS1_3gpuE8ELNS1_3repE0EEENS1_30default_config_static_selectorELNS0_4arch9wavefront6targetE0EEEvT1_.uses_flat_scratch, 0
	.set _ZN7rocprim17ROCPRIM_400000_NS6detail17trampoline_kernelINS0_14default_configENS1_27scan_by_key_config_selectorIxxEEZZNS1_16scan_by_key_implILNS1_25lookback_scan_determinismE0ELb0ES3_N6thrust23THRUST_200600_302600_NS6detail15normal_iteratorINS9_10device_ptrIxEEEENS9_18transform_iteratorINS9_6negateIxEESE_NS9_11use_defaultESI_EESE_xNS9_4plusIvEENS9_8equal_toIvEExEE10hipError_tPvRmT2_T3_T4_T5_mT6_T7_P12ihipStream_tbENKUlT_T0_E_clISt17integral_constantIbLb1EES13_IbLb0EEEEDaSZ_S10_EUlSZ_E_NS1_11comp_targetILNS1_3genE4ELNS1_11target_archE910ELNS1_3gpuE8ELNS1_3repE0EEENS1_30default_config_static_selectorELNS0_4arch9wavefront6targetE0EEEvT1_.has_dyn_sized_stack, 0
	.set _ZN7rocprim17ROCPRIM_400000_NS6detail17trampoline_kernelINS0_14default_configENS1_27scan_by_key_config_selectorIxxEEZZNS1_16scan_by_key_implILNS1_25lookback_scan_determinismE0ELb0ES3_N6thrust23THRUST_200600_302600_NS6detail15normal_iteratorINS9_10device_ptrIxEEEENS9_18transform_iteratorINS9_6negateIxEESE_NS9_11use_defaultESI_EESE_xNS9_4plusIvEENS9_8equal_toIvEExEE10hipError_tPvRmT2_T3_T4_T5_mT6_T7_P12ihipStream_tbENKUlT_T0_E_clISt17integral_constantIbLb1EES13_IbLb0EEEEDaSZ_S10_EUlSZ_E_NS1_11comp_targetILNS1_3genE4ELNS1_11target_archE910ELNS1_3gpuE8ELNS1_3repE0EEENS1_30default_config_static_selectorELNS0_4arch9wavefront6targetE0EEEvT1_.has_recursion, 0
	.set _ZN7rocprim17ROCPRIM_400000_NS6detail17trampoline_kernelINS0_14default_configENS1_27scan_by_key_config_selectorIxxEEZZNS1_16scan_by_key_implILNS1_25lookback_scan_determinismE0ELb0ES3_N6thrust23THRUST_200600_302600_NS6detail15normal_iteratorINS9_10device_ptrIxEEEENS9_18transform_iteratorINS9_6negateIxEESE_NS9_11use_defaultESI_EESE_xNS9_4plusIvEENS9_8equal_toIvEExEE10hipError_tPvRmT2_T3_T4_T5_mT6_T7_P12ihipStream_tbENKUlT_T0_E_clISt17integral_constantIbLb1EES13_IbLb0EEEEDaSZ_S10_EUlSZ_E_NS1_11comp_targetILNS1_3genE4ELNS1_11target_archE910ELNS1_3gpuE8ELNS1_3repE0EEENS1_30default_config_static_selectorELNS0_4arch9wavefront6targetE0EEEvT1_.has_indirect_call, 0
	.section	.AMDGPU.csdata,"",@progbits
; Kernel info:
; codeLenInByte = 0
; TotalNumSgprs: 0
; NumVgprs: 0
; ScratchSize: 0
; MemoryBound: 0
; FloatMode: 240
; IeeeMode: 1
; LDSByteSize: 0 bytes/workgroup (compile time only)
; SGPRBlocks: 0
; VGPRBlocks: 0
; NumSGPRsForWavesPerEU: 1
; NumVGPRsForWavesPerEU: 1
; NamedBarCnt: 0
; Occupancy: 16
; WaveLimiterHint : 0
; COMPUTE_PGM_RSRC2:SCRATCH_EN: 0
; COMPUTE_PGM_RSRC2:USER_SGPR: 2
; COMPUTE_PGM_RSRC2:TRAP_HANDLER: 0
; COMPUTE_PGM_RSRC2:TGID_X_EN: 1
; COMPUTE_PGM_RSRC2:TGID_Y_EN: 0
; COMPUTE_PGM_RSRC2:TGID_Z_EN: 0
; COMPUTE_PGM_RSRC2:TIDIG_COMP_CNT: 0
	.section	.text._ZN7rocprim17ROCPRIM_400000_NS6detail17trampoline_kernelINS0_14default_configENS1_27scan_by_key_config_selectorIxxEEZZNS1_16scan_by_key_implILNS1_25lookback_scan_determinismE0ELb0ES3_N6thrust23THRUST_200600_302600_NS6detail15normal_iteratorINS9_10device_ptrIxEEEENS9_18transform_iteratorINS9_6negateIxEESE_NS9_11use_defaultESI_EESE_xNS9_4plusIvEENS9_8equal_toIvEExEE10hipError_tPvRmT2_T3_T4_T5_mT6_T7_P12ihipStream_tbENKUlT_T0_E_clISt17integral_constantIbLb1EES13_IbLb0EEEEDaSZ_S10_EUlSZ_E_NS1_11comp_targetILNS1_3genE3ELNS1_11target_archE908ELNS1_3gpuE7ELNS1_3repE0EEENS1_30default_config_static_selectorELNS0_4arch9wavefront6targetE0EEEvT1_,"axG",@progbits,_ZN7rocprim17ROCPRIM_400000_NS6detail17trampoline_kernelINS0_14default_configENS1_27scan_by_key_config_selectorIxxEEZZNS1_16scan_by_key_implILNS1_25lookback_scan_determinismE0ELb0ES3_N6thrust23THRUST_200600_302600_NS6detail15normal_iteratorINS9_10device_ptrIxEEEENS9_18transform_iteratorINS9_6negateIxEESE_NS9_11use_defaultESI_EESE_xNS9_4plusIvEENS9_8equal_toIvEExEE10hipError_tPvRmT2_T3_T4_T5_mT6_T7_P12ihipStream_tbENKUlT_T0_E_clISt17integral_constantIbLb1EES13_IbLb0EEEEDaSZ_S10_EUlSZ_E_NS1_11comp_targetILNS1_3genE3ELNS1_11target_archE908ELNS1_3gpuE7ELNS1_3repE0EEENS1_30default_config_static_selectorELNS0_4arch9wavefront6targetE0EEEvT1_,comdat
	.protected	_ZN7rocprim17ROCPRIM_400000_NS6detail17trampoline_kernelINS0_14default_configENS1_27scan_by_key_config_selectorIxxEEZZNS1_16scan_by_key_implILNS1_25lookback_scan_determinismE0ELb0ES3_N6thrust23THRUST_200600_302600_NS6detail15normal_iteratorINS9_10device_ptrIxEEEENS9_18transform_iteratorINS9_6negateIxEESE_NS9_11use_defaultESI_EESE_xNS9_4plusIvEENS9_8equal_toIvEExEE10hipError_tPvRmT2_T3_T4_T5_mT6_T7_P12ihipStream_tbENKUlT_T0_E_clISt17integral_constantIbLb1EES13_IbLb0EEEEDaSZ_S10_EUlSZ_E_NS1_11comp_targetILNS1_3genE3ELNS1_11target_archE908ELNS1_3gpuE7ELNS1_3repE0EEENS1_30default_config_static_selectorELNS0_4arch9wavefront6targetE0EEEvT1_ ; -- Begin function _ZN7rocprim17ROCPRIM_400000_NS6detail17trampoline_kernelINS0_14default_configENS1_27scan_by_key_config_selectorIxxEEZZNS1_16scan_by_key_implILNS1_25lookback_scan_determinismE0ELb0ES3_N6thrust23THRUST_200600_302600_NS6detail15normal_iteratorINS9_10device_ptrIxEEEENS9_18transform_iteratorINS9_6negateIxEESE_NS9_11use_defaultESI_EESE_xNS9_4plusIvEENS9_8equal_toIvEExEE10hipError_tPvRmT2_T3_T4_T5_mT6_T7_P12ihipStream_tbENKUlT_T0_E_clISt17integral_constantIbLb1EES13_IbLb0EEEEDaSZ_S10_EUlSZ_E_NS1_11comp_targetILNS1_3genE3ELNS1_11target_archE908ELNS1_3gpuE7ELNS1_3repE0EEENS1_30default_config_static_selectorELNS0_4arch9wavefront6targetE0EEEvT1_
	.globl	_ZN7rocprim17ROCPRIM_400000_NS6detail17trampoline_kernelINS0_14default_configENS1_27scan_by_key_config_selectorIxxEEZZNS1_16scan_by_key_implILNS1_25lookback_scan_determinismE0ELb0ES3_N6thrust23THRUST_200600_302600_NS6detail15normal_iteratorINS9_10device_ptrIxEEEENS9_18transform_iteratorINS9_6negateIxEESE_NS9_11use_defaultESI_EESE_xNS9_4plusIvEENS9_8equal_toIvEExEE10hipError_tPvRmT2_T3_T4_T5_mT6_T7_P12ihipStream_tbENKUlT_T0_E_clISt17integral_constantIbLb1EES13_IbLb0EEEEDaSZ_S10_EUlSZ_E_NS1_11comp_targetILNS1_3genE3ELNS1_11target_archE908ELNS1_3gpuE7ELNS1_3repE0EEENS1_30default_config_static_selectorELNS0_4arch9wavefront6targetE0EEEvT1_
	.p2align	8
	.type	_ZN7rocprim17ROCPRIM_400000_NS6detail17trampoline_kernelINS0_14default_configENS1_27scan_by_key_config_selectorIxxEEZZNS1_16scan_by_key_implILNS1_25lookback_scan_determinismE0ELb0ES3_N6thrust23THRUST_200600_302600_NS6detail15normal_iteratorINS9_10device_ptrIxEEEENS9_18transform_iteratorINS9_6negateIxEESE_NS9_11use_defaultESI_EESE_xNS9_4plusIvEENS9_8equal_toIvEExEE10hipError_tPvRmT2_T3_T4_T5_mT6_T7_P12ihipStream_tbENKUlT_T0_E_clISt17integral_constantIbLb1EES13_IbLb0EEEEDaSZ_S10_EUlSZ_E_NS1_11comp_targetILNS1_3genE3ELNS1_11target_archE908ELNS1_3gpuE7ELNS1_3repE0EEENS1_30default_config_static_selectorELNS0_4arch9wavefront6targetE0EEEvT1_,@function
_ZN7rocprim17ROCPRIM_400000_NS6detail17trampoline_kernelINS0_14default_configENS1_27scan_by_key_config_selectorIxxEEZZNS1_16scan_by_key_implILNS1_25lookback_scan_determinismE0ELb0ES3_N6thrust23THRUST_200600_302600_NS6detail15normal_iteratorINS9_10device_ptrIxEEEENS9_18transform_iteratorINS9_6negateIxEESE_NS9_11use_defaultESI_EESE_xNS9_4plusIvEENS9_8equal_toIvEExEE10hipError_tPvRmT2_T3_T4_T5_mT6_T7_P12ihipStream_tbENKUlT_T0_E_clISt17integral_constantIbLb1EES13_IbLb0EEEEDaSZ_S10_EUlSZ_E_NS1_11comp_targetILNS1_3genE3ELNS1_11target_archE908ELNS1_3gpuE7ELNS1_3repE0EEENS1_30default_config_static_selectorELNS0_4arch9wavefront6targetE0EEEvT1_: ; @_ZN7rocprim17ROCPRIM_400000_NS6detail17trampoline_kernelINS0_14default_configENS1_27scan_by_key_config_selectorIxxEEZZNS1_16scan_by_key_implILNS1_25lookback_scan_determinismE0ELb0ES3_N6thrust23THRUST_200600_302600_NS6detail15normal_iteratorINS9_10device_ptrIxEEEENS9_18transform_iteratorINS9_6negateIxEESE_NS9_11use_defaultESI_EESE_xNS9_4plusIvEENS9_8equal_toIvEExEE10hipError_tPvRmT2_T3_T4_T5_mT6_T7_P12ihipStream_tbENKUlT_T0_E_clISt17integral_constantIbLb1EES13_IbLb0EEEEDaSZ_S10_EUlSZ_E_NS1_11comp_targetILNS1_3genE3ELNS1_11target_archE908ELNS1_3gpuE7ELNS1_3repE0EEENS1_30default_config_static_selectorELNS0_4arch9wavefront6targetE0EEEvT1_
; %bb.0:
	.section	.rodata,"a",@progbits
	.p2align	6, 0x0
	.amdhsa_kernel _ZN7rocprim17ROCPRIM_400000_NS6detail17trampoline_kernelINS0_14default_configENS1_27scan_by_key_config_selectorIxxEEZZNS1_16scan_by_key_implILNS1_25lookback_scan_determinismE0ELb0ES3_N6thrust23THRUST_200600_302600_NS6detail15normal_iteratorINS9_10device_ptrIxEEEENS9_18transform_iteratorINS9_6negateIxEESE_NS9_11use_defaultESI_EESE_xNS9_4plusIvEENS9_8equal_toIvEExEE10hipError_tPvRmT2_T3_T4_T5_mT6_T7_P12ihipStream_tbENKUlT_T0_E_clISt17integral_constantIbLb1EES13_IbLb0EEEEDaSZ_S10_EUlSZ_E_NS1_11comp_targetILNS1_3genE3ELNS1_11target_archE908ELNS1_3gpuE7ELNS1_3repE0EEENS1_30default_config_static_selectorELNS0_4arch9wavefront6targetE0EEEvT1_
		.amdhsa_group_segment_fixed_size 0
		.amdhsa_private_segment_fixed_size 0
		.amdhsa_kernarg_size 144
		.amdhsa_user_sgpr_count 2
		.amdhsa_user_sgpr_dispatch_ptr 0
		.amdhsa_user_sgpr_queue_ptr 0
		.amdhsa_user_sgpr_kernarg_segment_ptr 1
		.amdhsa_user_sgpr_dispatch_id 0
		.amdhsa_user_sgpr_kernarg_preload_length 0
		.amdhsa_user_sgpr_kernarg_preload_offset 0
		.amdhsa_user_sgpr_private_segment_size 0
		.amdhsa_wavefront_size32 1
		.amdhsa_uses_dynamic_stack 0
		.amdhsa_enable_private_segment 0
		.amdhsa_system_sgpr_workgroup_id_x 1
		.amdhsa_system_sgpr_workgroup_id_y 0
		.amdhsa_system_sgpr_workgroup_id_z 0
		.amdhsa_system_sgpr_workgroup_info 0
		.amdhsa_system_vgpr_workitem_id 0
		.amdhsa_next_free_vgpr 1
		.amdhsa_next_free_sgpr 1
		.amdhsa_named_barrier_count 0
		.amdhsa_reserve_vcc 0
		.amdhsa_float_round_mode_32 0
		.amdhsa_float_round_mode_16_64 0
		.amdhsa_float_denorm_mode_32 3
		.amdhsa_float_denorm_mode_16_64 3
		.amdhsa_fp16_overflow 0
		.amdhsa_memory_ordered 1
		.amdhsa_forward_progress 1
		.amdhsa_inst_pref_size 0
		.amdhsa_round_robin_scheduling 0
		.amdhsa_exception_fp_ieee_invalid_op 0
		.amdhsa_exception_fp_denorm_src 0
		.amdhsa_exception_fp_ieee_div_zero 0
		.amdhsa_exception_fp_ieee_overflow 0
		.amdhsa_exception_fp_ieee_underflow 0
		.amdhsa_exception_fp_ieee_inexact 0
		.amdhsa_exception_int_div_zero 0
	.end_amdhsa_kernel
	.section	.text._ZN7rocprim17ROCPRIM_400000_NS6detail17trampoline_kernelINS0_14default_configENS1_27scan_by_key_config_selectorIxxEEZZNS1_16scan_by_key_implILNS1_25lookback_scan_determinismE0ELb0ES3_N6thrust23THRUST_200600_302600_NS6detail15normal_iteratorINS9_10device_ptrIxEEEENS9_18transform_iteratorINS9_6negateIxEESE_NS9_11use_defaultESI_EESE_xNS9_4plusIvEENS9_8equal_toIvEExEE10hipError_tPvRmT2_T3_T4_T5_mT6_T7_P12ihipStream_tbENKUlT_T0_E_clISt17integral_constantIbLb1EES13_IbLb0EEEEDaSZ_S10_EUlSZ_E_NS1_11comp_targetILNS1_3genE3ELNS1_11target_archE908ELNS1_3gpuE7ELNS1_3repE0EEENS1_30default_config_static_selectorELNS0_4arch9wavefront6targetE0EEEvT1_,"axG",@progbits,_ZN7rocprim17ROCPRIM_400000_NS6detail17trampoline_kernelINS0_14default_configENS1_27scan_by_key_config_selectorIxxEEZZNS1_16scan_by_key_implILNS1_25lookback_scan_determinismE0ELb0ES3_N6thrust23THRUST_200600_302600_NS6detail15normal_iteratorINS9_10device_ptrIxEEEENS9_18transform_iteratorINS9_6negateIxEESE_NS9_11use_defaultESI_EESE_xNS9_4plusIvEENS9_8equal_toIvEExEE10hipError_tPvRmT2_T3_T4_T5_mT6_T7_P12ihipStream_tbENKUlT_T0_E_clISt17integral_constantIbLb1EES13_IbLb0EEEEDaSZ_S10_EUlSZ_E_NS1_11comp_targetILNS1_3genE3ELNS1_11target_archE908ELNS1_3gpuE7ELNS1_3repE0EEENS1_30default_config_static_selectorELNS0_4arch9wavefront6targetE0EEEvT1_,comdat
.Lfunc_end915:
	.size	_ZN7rocprim17ROCPRIM_400000_NS6detail17trampoline_kernelINS0_14default_configENS1_27scan_by_key_config_selectorIxxEEZZNS1_16scan_by_key_implILNS1_25lookback_scan_determinismE0ELb0ES3_N6thrust23THRUST_200600_302600_NS6detail15normal_iteratorINS9_10device_ptrIxEEEENS9_18transform_iteratorINS9_6negateIxEESE_NS9_11use_defaultESI_EESE_xNS9_4plusIvEENS9_8equal_toIvEExEE10hipError_tPvRmT2_T3_T4_T5_mT6_T7_P12ihipStream_tbENKUlT_T0_E_clISt17integral_constantIbLb1EES13_IbLb0EEEEDaSZ_S10_EUlSZ_E_NS1_11comp_targetILNS1_3genE3ELNS1_11target_archE908ELNS1_3gpuE7ELNS1_3repE0EEENS1_30default_config_static_selectorELNS0_4arch9wavefront6targetE0EEEvT1_, .Lfunc_end915-_ZN7rocprim17ROCPRIM_400000_NS6detail17trampoline_kernelINS0_14default_configENS1_27scan_by_key_config_selectorIxxEEZZNS1_16scan_by_key_implILNS1_25lookback_scan_determinismE0ELb0ES3_N6thrust23THRUST_200600_302600_NS6detail15normal_iteratorINS9_10device_ptrIxEEEENS9_18transform_iteratorINS9_6negateIxEESE_NS9_11use_defaultESI_EESE_xNS9_4plusIvEENS9_8equal_toIvEExEE10hipError_tPvRmT2_T3_T4_T5_mT6_T7_P12ihipStream_tbENKUlT_T0_E_clISt17integral_constantIbLb1EES13_IbLb0EEEEDaSZ_S10_EUlSZ_E_NS1_11comp_targetILNS1_3genE3ELNS1_11target_archE908ELNS1_3gpuE7ELNS1_3repE0EEENS1_30default_config_static_selectorELNS0_4arch9wavefront6targetE0EEEvT1_
                                        ; -- End function
	.set _ZN7rocprim17ROCPRIM_400000_NS6detail17trampoline_kernelINS0_14default_configENS1_27scan_by_key_config_selectorIxxEEZZNS1_16scan_by_key_implILNS1_25lookback_scan_determinismE0ELb0ES3_N6thrust23THRUST_200600_302600_NS6detail15normal_iteratorINS9_10device_ptrIxEEEENS9_18transform_iteratorINS9_6negateIxEESE_NS9_11use_defaultESI_EESE_xNS9_4plusIvEENS9_8equal_toIvEExEE10hipError_tPvRmT2_T3_T4_T5_mT6_T7_P12ihipStream_tbENKUlT_T0_E_clISt17integral_constantIbLb1EES13_IbLb0EEEEDaSZ_S10_EUlSZ_E_NS1_11comp_targetILNS1_3genE3ELNS1_11target_archE908ELNS1_3gpuE7ELNS1_3repE0EEENS1_30default_config_static_selectorELNS0_4arch9wavefront6targetE0EEEvT1_.num_vgpr, 0
	.set _ZN7rocprim17ROCPRIM_400000_NS6detail17trampoline_kernelINS0_14default_configENS1_27scan_by_key_config_selectorIxxEEZZNS1_16scan_by_key_implILNS1_25lookback_scan_determinismE0ELb0ES3_N6thrust23THRUST_200600_302600_NS6detail15normal_iteratorINS9_10device_ptrIxEEEENS9_18transform_iteratorINS9_6negateIxEESE_NS9_11use_defaultESI_EESE_xNS9_4plusIvEENS9_8equal_toIvEExEE10hipError_tPvRmT2_T3_T4_T5_mT6_T7_P12ihipStream_tbENKUlT_T0_E_clISt17integral_constantIbLb1EES13_IbLb0EEEEDaSZ_S10_EUlSZ_E_NS1_11comp_targetILNS1_3genE3ELNS1_11target_archE908ELNS1_3gpuE7ELNS1_3repE0EEENS1_30default_config_static_selectorELNS0_4arch9wavefront6targetE0EEEvT1_.num_agpr, 0
	.set _ZN7rocprim17ROCPRIM_400000_NS6detail17trampoline_kernelINS0_14default_configENS1_27scan_by_key_config_selectorIxxEEZZNS1_16scan_by_key_implILNS1_25lookback_scan_determinismE0ELb0ES3_N6thrust23THRUST_200600_302600_NS6detail15normal_iteratorINS9_10device_ptrIxEEEENS9_18transform_iteratorINS9_6negateIxEESE_NS9_11use_defaultESI_EESE_xNS9_4plusIvEENS9_8equal_toIvEExEE10hipError_tPvRmT2_T3_T4_T5_mT6_T7_P12ihipStream_tbENKUlT_T0_E_clISt17integral_constantIbLb1EES13_IbLb0EEEEDaSZ_S10_EUlSZ_E_NS1_11comp_targetILNS1_3genE3ELNS1_11target_archE908ELNS1_3gpuE7ELNS1_3repE0EEENS1_30default_config_static_selectorELNS0_4arch9wavefront6targetE0EEEvT1_.numbered_sgpr, 0
	.set _ZN7rocprim17ROCPRIM_400000_NS6detail17trampoline_kernelINS0_14default_configENS1_27scan_by_key_config_selectorIxxEEZZNS1_16scan_by_key_implILNS1_25lookback_scan_determinismE0ELb0ES3_N6thrust23THRUST_200600_302600_NS6detail15normal_iteratorINS9_10device_ptrIxEEEENS9_18transform_iteratorINS9_6negateIxEESE_NS9_11use_defaultESI_EESE_xNS9_4plusIvEENS9_8equal_toIvEExEE10hipError_tPvRmT2_T3_T4_T5_mT6_T7_P12ihipStream_tbENKUlT_T0_E_clISt17integral_constantIbLb1EES13_IbLb0EEEEDaSZ_S10_EUlSZ_E_NS1_11comp_targetILNS1_3genE3ELNS1_11target_archE908ELNS1_3gpuE7ELNS1_3repE0EEENS1_30default_config_static_selectorELNS0_4arch9wavefront6targetE0EEEvT1_.num_named_barrier, 0
	.set _ZN7rocprim17ROCPRIM_400000_NS6detail17trampoline_kernelINS0_14default_configENS1_27scan_by_key_config_selectorIxxEEZZNS1_16scan_by_key_implILNS1_25lookback_scan_determinismE0ELb0ES3_N6thrust23THRUST_200600_302600_NS6detail15normal_iteratorINS9_10device_ptrIxEEEENS9_18transform_iteratorINS9_6negateIxEESE_NS9_11use_defaultESI_EESE_xNS9_4plusIvEENS9_8equal_toIvEExEE10hipError_tPvRmT2_T3_T4_T5_mT6_T7_P12ihipStream_tbENKUlT_T0_E_clISt17integral_constantIbLb1EES13_IbLb0EEEEDaSZ_S10_EUlSZ_E_NS1_11comp_targetILNS1_3genE3ELNS1_11target_archE908ELNS1_3gpuE7ELNS1_3repE0EEENS1_30default_config_static_selectorELNS0_4arch9wavefront6targetE0EEEvT1_.private_seg_size, 0
	.set _ZN7rocprim17ROCPRIM_400000_NS6detail17trampoline_kernelINS0_14default_configENS1_27scan_by_key_config_selectorIxxEEZZNS1_16scan_by_key_implILNS1_25lookback_scan_determinismE0ELb0ES3_N6thrust23THRUST_200600_302600_NS6detail15normal_iteratorINS9_10device_ptrIxEEEENS9_18transform_iteratorINS9_6negateIxEESE_NS9_11use_defaultESI_EESE_xNS9_4plusIvEENS9_8equal_toIvEExEE10hipError_tPvRmT2_T3_T4_T5_mT6_T7_P12ihipStream_tbENKUlT_T0_E_clISt17integral_constantIbLb1EES13_IbLb0EEEEDaSZ_S10_EUlSZ_E_NS1_11comp_targetILNS1_3genE3ELNS1_11target_archE908ELNS1_3gpuE7ELNS1_3repE0EEENS1_30default_config_static_selectorELNS0_4arch9wavefront6targetE0EEEvT1_.uses_vcc, 0
	.set _ZN7rocprim17ROCPRIM_400000_NS6detail17trampoline_kernelINS0_14default_configENS1_27scan_by_key_config_selectorIxxEEZZNS1_16scan_by_key_implILNS1_25lookback_scan_determinismE0ELb0ES3_N6thrust23THRUST_200600_302600_NS6detail15normal_iteratorINS9_10device_ptrIxEEEENS9_18transform_iteratorINS9_6negateIxEESE_NS9_11use_defaultESI_EESE_xNS9_4plusIvEENS9_8equal_toIvEExEE10hipError_tPvRmT2_T3_T4_T5_mT6_T7_P12ihipStream_tbENKUlT_T0_E_clISt17integral_constantIbLb1EES13_IbLb0EEEEDaSZ_S10_EUlSZ_E_NS1_11comp_targetILNS1_3genE3ELNS1_11target_archE908ELNS1_3gpuE7ELNS1_3repE0EEENS1_30default_config_static_selectorELNS0_4arch9wavefront6targetE0EEEvT1_.uses_flat_scratch, 0
	.set _ZN7rocprim17ROCPRIM_400000_NS6detail17trampoline_kernelINS0_14default_configENS1_27scan_by_key_config_selectorIxxEEZZNS1_16scan_by_key_implILNS1_25lookback_scan_determinismE0ELb0ES3_N6thrust23THRUST_200600_302600_NS6detail15normal_iteratorINS9_10device_ptrIxEEEENS9_18transform_iteratorINS9_6negateIxEESE_NS9_11use_defaultESI_EESE_xNS9_4plusIvEENS9_8equal_toIvEExEE10hipError_tPvRmT2_T3_T4_T5_mT6_T7_P12ihipStream_tbENKUlT_T0_E_clISt17integral_constantIbLb1EES13_IbLb0EEEEDaSZ_S10_EUlSZ_E_NS1_11comp_targetILNS1_3genE3ELNS1_11target_archE908ELNS1_3gpuE7ELNS1_3repE0EEENS1_30default_config_static_selectorELNS0_4arch9wavefront6targetE0EEEvT1_.has_dyn_sized_stack, 0
	.set _ZN7rocprim17ROCPRIM_400000_NS6detail17trampoline_kernelINS0_14default_configENS1_27scan_by_key_config_selectorIxxEEZZNS1_16scan_by_key_implILNS1_25lookback_scan_determinismE0ELb0ES3_N6thrust23THRUST_200600_302600_NS6detail15normal_iteratorINS9_10device_ptrIxEEEENS9_18transform_iteratorINS9_6negateIxEESE_NS9_11use_defaultESI_EESE_xNS9_4plusIvEENS9_8equal_toIvEExEE10hipError_tPvRmT2_T3_T4_T5_mT6_T7_P12ihipStream_tbENKUlT_T0_E_clISt17integral_constantIbLb1EES13_IbLb0EEEEDaSZ_S10_EUlSZ_E_NS1_11comp_targetILNS1_3genE3ELNS1_11target_archE908ELNS1_3gpuE7ELNS1_3repE0EEENS1_30default_config_static_selectorELNS0_4arch9wavefront6targetE0EEEvT1_.has_recursion, 0
	.set _ZN7rocprim17ROCPRIM_400000_NS6detail17trampoline_kernelINS0_14default_configENS1_27scan_by_key_config_selectorIxxEEZZNS1_16scan_by_key_implILNS1_25lookback_scan_determinismE0ELb0ES3_N6thrust23THRUST_200600_302600_NS6detail15normal_iteratorINS9_10device_ptrIxEEEENS9_18transform_iteratorINS9_6negateIxEESE_NS9_11use_defaultESI_EESE_xNS9_4plusIvEENS9_8equal_toIvEExEE10hipError_tPvRmT2_T3_T4_T5_mT6_T7_P12ihipStream_tbENKUlT_T0_E_clISt17integral_constantIbLb1EES13_IbLb0EEEEDaSZ_S10_EUlSZ_E_NS1_11comp_targetILNS1_3genE3ELNS1_11target_archE908ELNS1_3gpuE7ELNS1_3repE0EEENS1_30default_config_static_selectorELNS0_4arch9wavefront6targetE0EEEvT1_.has_indirect_call, 0
	.section	.AMDGPU.csdata,"",@progbits
; Kernel info:
; codeLenInByte = 0
; TotalNumSgprs: 0
; NumVgprs: 0
; ScratchSize: 0
; MemoryBound: 0
; FloatMode: 240
; IeeeMode: 1
; LDSByteSize: 0 bytes/workgroup (compile time only)
; SGPRBlocks: 0
; VGPRBlocks: 0
; NumSGPRsForWavesPerEU: 1
; NumVGPRsForWavesPerEU: 1
; NamedBarCnt: 0
; Occupancy: 16
; WaveLimiterHint : 0
; COMPUTE_PGM_RSRC2:SCRATCH_EN: 0
; COMPUTE_PGM_RSRC2:USER_SGPR: 2
; COMPUTE_PGM_RSRC2:TRAP_HANDLER: 0
; COMPUTE_PGM_RSRC2:TGID_X_EN: 1
; COMPUTE_PGM_RSRC2:TGID_Y_EN: 0
; COMPUTE_PGM_RSRC2:TGID_Z_EN: 0
; COMPUTE_PGM_RSRC2:TIDIG_COMP_CNT: 0
	.section	.text._ZN7rocprim17ROCPRIM_400000_NS6detail17trampoline_kernelINS0_14default_configENS1_27scan_by_key_config_selectorIxxEEZZNS1_16scan_by_key_implILNS1_25lookback_scan_determinismE0ELb0ES3_N6thrust23THRUST_200600_302600_NS6detail15normal_iteratorINS9_10device_ptrIxEEEENS9_18transform_iteratorINS9_6negateIxEESE_NS9_11use_defaultESI_EESE_xNS9_4plusIvEENS9_8equal_toIvEExEE10hipError_tPvRmT2_T3_T4_T5_mT6_T7_P12ihipStream_tbENKUlT_T0_E_clISt17integral_constantIbLb1EES13_IbLb0EEEEDaSZ_S10_EUlSZ_E_NS1_11comp_targetILNS1_3genE2ELNS1_11target_archE906ELNS1_3gpuE6ELNS1_3repE0EEENS1_30default_config_static_selectorELNS0_4arch9wavefront6targetE0EEEvT1_,"axG",@progbits,_ZN7rocprim17ROCPRIM_400000_NS6detail17trampoline_kernelINS0_14default_configENS1_27scan_by_key_config_selectorIxxEEZZNS1_16scan_by_key_implILNS1_25lookback_scan_determinismE0ELb0ES3_N6thrust23THRUST_200600_302600_NS6detail15normal_iteratorINS9_10device_ptrIxEEEENS9_18transform_iteratorINS9_6negateIxEESE_NS9_11use_defaultESI_EESE_xNS9_4plusIvEENS9_8equal_toIvEExEE10hipError_tPvRmT2_T3_T4_T5_mT6_T7_P12ihipStream_tbENKUlT_T0_E_clISt17integral_constantIbLb1EES13_IbLb0EEEEDaSZ_S10_EUlSZ_E_NS1_11comp_targetILNS1_3genE2ELNS1_11target_archE906ELNS1_3gpuE6ELNS1_3repE0EEENS1_30default_config_static_selectorELNS0_4arch9wavefront6targetE0EEEvT1_,comdat
	.protected	_ZN7rocprim17ROCPRIM_400000_NS6detail17trampoline_kernelINS0_14default_configENS1_27scan_by_key_config_selectorIxxEEZZNS1_16scan_by_key_implILNS1_25lookback_scan_determinismE0ELb0ES3_N6thrust23THRUST_200600_302600_NS6detail15normal_iteratorINS9_10device_ptrIxEEEENS9_18transform_iteratorINS9_6negateIxEESE_NS9_11use_defaultESI_EESE_xNS9_4plusIvEENS9_8equal_toIvEExEE10hipError_tPvRmT2_T3_T4_T5_mT6_T7_P12ihipStream_tbENKUlT_T0_E_clISt17integral_constantIbLb1EES13_IbLb0EEEEDaSZ_S10_EUlSZ_E_NS1_11comp_targetILNS1_3genE2ELNS1_11target_archE906ELNS1_3gpuE6ELNS1_3repE0EEENS1_30default_config_static_selectorELNS0_4arch9wavefront6targetE0EEEvT1_ ; -- Begin function _ZN7rocprim17ROCPRIM_400000_NS6detail17trampoline_kernelINS0_14default_configENS1_27scan_by_key_config_selectorIxxEEZZNS1_16scan_by_key_implILNS1_25lookback_scan_determinismE0ELb0ES3_N6thrust23THRUST_200600_302600_NS6detail15normal_iteratorINS9_10device_ptrIxEEEENS9_18transform_iteratorINS9_6negateIxEESE_NS9_11use_defaultESI_EESE_xNS9_4plusIvEENS9_8equal_toIvEExEE10hipError_tPvRmT2_T3_T4_T5_mT6_T7_P12ihipStream_tbENKUlT_T0_E_clISt17integral_constantIbLb1EES13_IbLb0EEEEDaSZ_S10_EUlSZ_E_NS1_11comp_targetILNS1_3genE2ELNS1_11target_archE906ELNS1_3gpuE6ELNS1_3repE0EEENS1_30default_config_static_selectorELNS0_4arch9wavefront6targetE0EEEvT1_
	.globl	_ZN7rocprim17ROCPRIM_400000_NS6detail17trampoline_kernelINS0_14default_configENS1_27scan_by_key_config_selectorIxxEEZZNS1_16scan_by_key_implILNS1_25lookback_scan_determinismE0ELb0ES3_N6thrust23THRUST_200600_302600_NS6detail15normal_iteratorINS9_10device_ptrIxEEEENS9_18transform_iteratorINS9_6negateIxEESE_NS9_11use_defaultESI_EESE_xNS9_4plusIvEENS9_8equal_toIvEExEE10hipError_tPvRmT2_T3_T4_T5_mT6_T7_P12ihipStream_tbENKUlT_T0_E_clISt17integral_constantIbLb1EES13_IbLb0EEEEDaSZ_S10_EUlSZ_E_NS1_11comp_targetILNS1_3genE2ELNS1_11target_archE906ELNS1_3gpuE6ELNS1_3repE0EEENS1_30default_config_static_selectorELNS0_4arch9wavefront6targetE0EEEvT1_
	.p2align	8
	.type	_ZN7rocprim17ROCPRIM_400000_NS6detail17trampoline_kernelINS0_14default_configENS1_27scan_by_key_config_selectorIxxEEZZNS1_16scan_by_key_implILNS1_25lookback_scan_determinismE0ELb0ES3_N6thrust23THRUST_200600_302600_NS6detail15normal_iteratorINS9_10device_ptrIxEEEENS9_18transform_iteratorINS9_6negateIxEESE_NS9_11use_defaultESI_EESE_xNS9_4plusIvEENS9_8equal_toIvEExEE10hipError_tPvRmT2_T3_T4_T5_mT6_T7_P12ihipStream_tbENKUlT_T0_E_clISt17integral_constantIbLb1EES13_IbLb0EEEEDaSZ_S10_EUlSZ_E_NS1_11comp_targetILNS1_3genE2ELNS1_11target_archE906ELNS1_3gpuE6ELNS1_3repE0EEENS1_30default_config_static_selectorELNS0_4arch9wavefront6targetE0EEEvT1_,@function
_ZN7rocprim17ROCPRIM_400000_NS6detail17trampoline_kernelINS0_14default_configENS1_27scan_by_key_config_selectorIxxEEZZNS1_16scan_by_key_implILNS1_25lookback_scan_determinismE0ELb0ES3_N6thrust23THRUST_200600_302600_NS6detail15normal_iteratorINS9_10device_ptrIxEEEENS9_18transform_iteratorINS9_6negateIxEESE_NS9_11use_defaultESI_EESE_xNS9_4plusIvEENS9_8equal_toIvEExEE10hipError_tPvRmT2_T3_T4_T5_mT6_T7_P12ihipStream_tbENKUlT_T0_E_clISt17integral_constantIbLb1EES13_IbLb0EEEEDaSZ_S10_EUlSZ_E_NS1_11comp_targetILNS1_3genE2ELNS1_11target_archE906ELNS1_3gpuE6ELNS1_3repE0EEENS1_30default_config_static_selectorELNS0_4arch9wavefront6targetE0EEEvT1_: ; @_ZN7rocprim17ROCPRIM_400000_NS6detail17trampoline_kernelINS0_14default_configENS1_27scan_by_key_config_selectorIxxEEZZNS1_16scan_by_key_implILNS1_25lookback_scan_determinismE0ELb0ES3_N6thrust23THRUST_200600_302600_NS6detail15normal_iteratorINS9_10device_ptrIxEEEENS9_18transform_iteratorINS9_6negateIxEESE_NS9_11use_defaultESI_EESE_xNS9_4plusIvEENS9_8equal_toIvEExEE10hipError_tPvRmT2_T3_T4_T5_mT6_T7_P12ihipStream_tbENKUlT_T0_E_clISt17integral_constantIbLb1EES13_IbLb0EEEEDaSZ_S10_EUlSZ_E_NS1_11comp_targetILNS1_3genE2ELNS1_11target_archE906ELNS1_3gpuE6ELNS1_3repE0EEENS1_30default_config_static_selectorELNS0_4arch9wavefront6targetE0EEEvT1_
; %bb.0:
	.section	.rodata,"a",@progbits
	.p2align	6, 0x0
	.amdhsa_kernel _ZN7rocprim17ROCPRIM_400000_NS6detail17trampoline_kernelINS0_14default_configENS1_27scan_by_key_config_selectorIxxEEZZNS1_16scan_by_key_implILNS1_25lookback_scan_determinismE0ELb0ES3_N6thrust23THRUST_200600_302600_NS6detail15normal_iteratorINS9_10device_ptrIxEEEENS9_18transform_iteratorINS9_6negateIxEESE_NS9_11use_defaultESI_EESE_xNS9_4plusIvEENS9_8equal_toIvEExEE10hipError_tPvRmT2_T3_T4_T5_mT6_T7_P12ihipStream_tbENKUlT_T0_E_clISt17integral_constantIbLb1EES13_IbLb0EEEEDaSZ_S10_EUlSZ_E_NS1_11comp_targetILNS1_3genE2ELNS1_11target_archE906ELNS1_3gpuE6ELNS1_3repE0EEENS1_30default_config_static_selectorELNS0_4arch9wavefront6targetE0EEEvT1_
		.amdhsa_group_segment_fixed_size 0
		.amdhsa_private_segment_fixed_size 0
		.amdhsa_kernarg_size 144
		.amdhsa_user_sgpr_count 2
		.amdhsa_user_sgpr_dispatch_ptr 0
		.amdhsa_user_sgpr_queue_ptr 0
		.amdhsa_user_sgpr_kernarg_segment_ptr 1
		.amdhsa_user_sgpr_dispatch_id 0
		.amdhsa_user_sgpr_kernarg_preload_length 0
		.amdhsa_user_sgpr_kernarg_preload_offset 0
		.amdhsa_user_sgpr_private_segment_size 0
		.amdhsa_wavefront_size32 1
		.amdhsa_uses_dynamic_stack 0
		.amdhsa_enable_private_segment 0
		.amdhsa_system_sgpr_workgroup_id_x 1
		.amdhsa_system_sgpr_workgroup_id_y 0
		.amdhsa_system_sgpr_workgroup_id_z 0
		.amdhsa_system_sgpr_workgroup_info 0
		.amdhsa_system_vgpr_workitem_id 0
		.amdhsa_next_free_vgpr 1
		.amdhsa_next_free_sgpr 1
		.amdhsa_named_barrier_count 0
		.amdhsa_reserve_vcc 0
		.amdhsa_float_round_mode_32 0
		.amdhsa_float_round_mode_16_64 0
		.amdhsa_float_denorm_mode_32 3
		.amdhsa_float_denorm_mode_16_64 3
		.amdhsa_fp16_overflow 0
		.amdhsa_memory_ordered 1
		.amdhsa_forward_progress 1
		.amdhsa_inst_pref_size 0
		.amdhsa_round_robin_scheduling 0
		.amdhsa_exception_fp_ieee_invalid_op 0
		.amdhsa_exception_fp_denorm_src 0
		.amdhsa_exception_fp_ieee_div_zero 0
		.amdhsa_exception_fp_ieee_overflow 0
		.amdhsa_exception_fp_ieee_underflow 0
		.amdhsa_exception_fp_ieee_inexact 0
		.amdhsa_exception_int_div_zero 0
	.end_amdhsa_kernel
	.section	.text._ZN7rocprim17ROCPRIM_400000_NS6detail17trampoline_kernelINS0_14default_configENS1_27scan_by_key_config_selectorIxxEEZZNS1_16scan_by_key_implILNS1_25lookback_scan_determinismE0ELb0ES3_N6thrust23THRUST_200600_302600_NS6detail15normal_iteratorINS9_10device_ptrIxEEEENS9_18transform_iteratorINS9_6negateIxEESE_NS9_11use_defaultESI_EESE_xNS9_4plusIvEENS9_8equal_toIvEExEE10hipError_tPvRmT2_T3_T4_T5_mT6_T7_P12ihipStream_tbENKUlT_T0_E_clISt17integral_constantIbLb1EES13_IbLb0EEEEDaSZ_S10_EUlSZ_E_NS1_11comp_targetILNS1_3genE2ELNS1_11target_archE906ELNS1_3gpuE6ELNS1_3repE0EEENS1_30default_config_static_selectorELNS0_4arch9wavefront6targetE0EEEvT1_,"axG",@progbits,_ZN7rocprim17ROCPRIM_400000_NS6detail17trampoline_kernelINS0_14default_configENS1_27scan_by_key_config_selectorIxxEEZZNS1_16scan_by_key_implILNS1_25lookback_scan_determinismE0ELb0ES3_N6thrust23THRUST_200600_302600_NS6detail15normal_iteratorINS9_10device_ptrIxEEEENS9_18transform_iteratorINS9_6negateIxEESE_NS9_11use_defaultESI_EESE_xNS9_4plusIvEENS9_8equal_toIvEExEE10hipError_tPvRmT2_T3_T4_T5_mT6_T7_P12ihipStream_tbENKUlT_T0_E_clISt17integral_constantIbLb1EES13_IbLb0EEEEDaSZ_S10_EUlSZ_E_NS1_11comp_targetILNS1_3genE2ELNS1_11target_archE906ELNS1_3gpuE6ELNS1_3repE0EEENS1_30default_config_static_selectorELNS0_4arch9wavefront6targetE0EEEvT1_,comdat
.Lfunc_end916:
	.size	_ZN7rocprim17ROCPRIM_400000_NS6detail17trampoline_kernelINS0_14default_configENS1_27scan_by_key_config_selectorIxxEEZZNS1_16scan_by_key_implILNS1_25lookback_scan_determinismE0ELb0ES3_N6thrust23THRUST_200600_302600_NS6detail15normal_iteratorINS9_10device_ptrIxEEEENS9_18transform_iteratorINS9_6negateIxEESE_NS9_11use_defaultESI_EESE_xNS9_4plusIvEENS9_8equal_toIvEExEE10hipError_tPvRmT2_T3_T4_T5_mT6_T7_P12ihipStream_tbENKUlT_T0_E_clISt17integral_constantIbLb1EES13_IbLb0EEEEDaSZ_S10_EUlSZ_E_NS1_11comp_targetILNS1_3genE2ELNS1_11target_archE906ELNS1_3gpuE6ELNS1_3repE0EEENS1_30default_config_static_selectorELNS0_4arch9wavefront6targetE0EEEvT1_, .Lfunc_end916-_ZN7rocprim17ROCPRIM_400000_NS6detail17trampoline_kernelINS0_14default_configENS1_27scan_by_key_config_selectorIxxEEZZNS1_16scan_by_key_implILNS1_25lookback_scan_determinismE0ELb0ES3_N6thrust23THRUST_200600_302600_NS6detail15normal_iteratorINS9_10device_ptrIxEEEENS9_18transform_iteratorINS9_6negateIxEESE_NS9_11use_defaultESI_EESE_xNS9_4plusIvEENS9_8equal_toIvEExEE10hipError_tPvRmT2_T3_T4_T5_mT6_T7_P12ihipStream_tbENKUlT_T0_E_clISt17integral_constantIbLb1EES13_IbLb0EEEEDaSZ_S10_EUlSZ_E_NS1_11comp_targetILNS1_3genE2ELNS1_11target_archE906ELNS1_3gpuE6ELNS1_3repE0EEENS1_30default_config_static_selectorELNS0_4arch9wavefront6targetE0EEEvT1_
                                        ; -- End function
	.set _ZN7rocprim17ROCPRIM_400000_NS6detail17trampoline_kernelINS0_14default_configENS1_27scan_by_key_config_selectorIxxEEZZNS1_16scan_by_key_implILNS1_25lookback_scan_determinismE0ELb0ES3_N6thrust23THRUST_200600_302600_NS6detail15normal_iteratorINS9_10device_ptrIxEEEENS9_18transform_iteratorINS9_6negateIxEESE_NS9_11use_defaultESI_EESE_xNS9_4plusIvEENS9_8equal_toIvEExEE10hipError_tPvRmT2_T3_T4_T5_mT6_T7_P12ihipStream_tbENKUlT_T0_E_clISt17integral_constantIbLb1EES13_IbLb0EEEEDaSZ_S10_EUlSZ_E_NS1_11comp_targetILNS1_3genE2ELNS1_11target_archE906ELNS1_3gpuE6ELNS1_3repE0EEENS1_30default_config_static_selectorELNS0_4arch9wavefront6targetE0EEEvT1_.num_vgpr, 0
	.set _ZN7rocprim17ROCPRIM_400000_NS6detail17trampoline_kernelINS0_14default_configENS1_27scan_by_key_config_selectorIxxEEZZNS1_16scan_by_key_implILNS1_25lookback_scan_determinismE0ELb0ES3_N6thrust23THRUST_200600_302600_NS6detail15normal_iteratorINS9_10device_ptrIxEEEENS9_18transform_iteratorINS9_6negateIxEESE_NS9_11use_defaultESI_EESE_xNS9_4plusIvEENS9_8equal_toIvEExEE10hipError_tPvRmT2_T3_T4_T5_mT6_T7_P12ihipStream_tbENKUlT_T0_E_clISt17integral_constantIbLb1EES13_IbLb0EEEEDaSZ_S10_EUlSZ_E_NS1_11comp_targetILNS1_3genE2ELNS1_11target_archE906ELNS1_3gpuE6ELNS1_3repE0EEENS1_30default_config_static_selectorELNS0_4arch9wavefront6targetE0EEEvT1_.num_agpr, 0
	.set _ZN7rocprim17ROCPRIM_400000_NS6detail17trampoline_kernelINS0_14default_configENS1_27scan_by_key_config_selectorIxxEEZZNS1_16scan_by_key_implILNS1_25lookback_scan_determinismE0ELb0ES3_N6thrust23THRUST_200600_302600_NS6detail15normal_iteratorINS9_10device_ptrIxEEEENS9_18transform_iteratorINS9_6negateIxEESE_NS9_11use_defaultESI_EESE_xNS9_4plusIvEENS9_8equal_toIvEExEE10hipError_tPvRmT2_T3_T4_T5_mT6_T7_P12ihipStream_tbENKUlT_T0_E_clISt17integral_constantIbLb1EES13_IbLb0EEEEDaSZ_S10_EUlSZ_E_NS1_11comp_targetILNS1_3genE2ELNS1_11target_archE906ELNS1_3gpuE6ELNS1_3repE0EEENS1_30default_config_static_selectorELNS0_4arch9wavefront6targetE0EEEvT1_.numbered_sgpr, 0
	.set _ZN7rocprim17ROCPRIM_400000_NS6detail17trampoline_kernelINS0_14default_configENS1_27scan_by_key_config_selectorIxxEEZZNS1_16scan_by_key_implILNS1_25lookback_scan_determinismE0ELb0ES3_N6thrust23THRUST_200600_302600_NS6detail15normal_iteratorINS9_10device_ptrIxEEEENS9_18transform_iteratorINS9_6negateIxEESE_NS9_11use_defaultESI_EESE_xNS9_4plusIvEENS9_8equal_toIvEExEE10hipError_tPvRmT2_T3_T4_T5_mT6_T7_P12ihipStream_tbENKUlT_T0_E_clISt17integral_constantIbLb1EES13_IbLb0EEEEDaSZ_S10_EUlSZ_E_NS1_11comp_targetILNS1_3genE2ELNS1_11target_archE906ELNS1_3gpuE6ELNS1_3repE0EEENS1_30default_config_static_selectorELNS0_4arch9wavefront6targetE0EEEvT1_.num_named_barrier, 0
	.set _ZN7rocprim17ROCPRIM_400000_NS6detail17trampoline_kernelINS0_14default_configENS1_27scan_by_key_config_selectorIxxEEZZNS1_16scan_by_key_implILNS1_25lookback_scan_determinismE0ELb0ES3_N6thrust23THRUST_200600_302600_NS6detail15normal_iteratorINS9_10device_ptrIxEEEENS9_18transform_iteratorINS9_6negateIxEESE_NS9_11use_defaultESI_EESE_xNS9_4plusIvEENS9_8equal_toIvEExEE10hipError_tPvRmT2_T3_T4_T5_mT6_T7_P12ihipStream_tbENKUlT_T0_E_clISt17integral_constantIbLb1EES13_IbLb0EEEEDaSZ_S10_EUlSZ_E_NS1_11comp_targetILNS1_3genE2ELNS1_11target_archE906ELNS1_3gpuE6ELNS1_3repE0EEENS1_30default_config_static_selectorELNS0_4arch9wavefront6targetE0EEEvT1_.private_seg_size, 0
	.set _ZN7rocprim17ROCPRIM_400000_NS6detail17trampoline_kernelINS0_14default_configENS1_27scan_by_key_config_selectorIxxEEZZNS1_16scan_by_key_implILNS1_25lookback_scan_determinismE0ELb0ES3_N6thrust23THRUST_200600_302600_NS6detail15normal_iteratorINS9_10device_ptrIxEEEENS9_18transform_iteratorINS9_6negateIxEESE_NS9_11use_defaultESI_EESE_xNS9_4plusIvEENS9_8equal_toIvEExEE10hipError_tPvRmT2_T3_T4_T5_mT6_T7_P12ihipStream_tbENKUlT_T0_E_clISt17integral_constantIbLb1EES13_IbLb0EEEEDaSZ_S10_EUlSZ_E_NS1_11comp_targetILNS1_3genE2ELNS1_11target_archE906ELNS1_3gpuE6ELNS1_3repE0EEENS1_30default_config_static_selectorELNS0_4arch9wavefront6targetE0EEEvT1_.uses_vcc, 0
	.set _ZN7rocprim17ROCPRIM_400000_NS6detail17trampoline_kernelINS0_14default_configENS1_27scan_by_key_config_selectorIxxEEZZNS1_16scan_by_key_implILNS1_25lookback_scan_determinismE0ELb0ES3_N6thrust23THRUST_200600_302600_NS6detail15normal_iteratorINS9_10device_ptrIxEEEENS9_18transform_iteratorINS9_6negateIxEESE_NS9_11use_defaultESI_EESE_xNS9_4plusIvEENS9_8equal_toIvEExEE10hipError_tPvRmT2_T3_T4_T5_mT6_T7_P12ihipStream_tbENKUlT_T0_E_clISt17integral_constantIbLb1EES13_IbLb0EEEEDaSZ_S10_EUlSZ_E_NS1_11comp_targetILNS1_3genE2ELNS1_11target_archE906ELNS1_3gpuE6ELNS1_3repE0EEENS1_30default_config_static_selectorELNS0_4arch9wavefront6targetE0EEEvT1_.uses_flat_scratch, 0
	.set _ZN7rocprim17ROCPRIM_400000_NS6detail17trampoline_kernelINS0_14default_configENS1_27scan_by_key_config_selectorIxxEEZZNS1_16scan_by_key_implILNS1_25lookback_scan_determinismE0ELb0ES3_N6thrust23THRUST_200600_302600_NS6detail15normal_iteratorINS9_10device_ptrIxEEEENS9_18transform_iteratorINS9_6negateIxEESE_NS9_11use_defaultESI_EESE_xNS9_4plusIvEENS9_8equal_toIvEExEE10hipError_tPvRmT2_T3_T4_T5_mT6_T7_P12ihipStream_tbENKUlT_T0_E_clISt17integral_constantIbLb1EES13_IbLb0EEEEDaSZ_S10_EUlSZ_E_NS1_11comp_targetILNS1_3genE2ELNS1_11target_archE906ELNS1_3gpuE6ELNS1_3repE0EEENS1_30default_config_static_selectorELNS0_4arch9wavefront6targetE0EEEvT1_.has_dyn_sized_stack, 0
	.set _ZN7rocprim17ROCPRIM_400000_NS6detail17trampoline_kernelINS0_14default_configENS1_27scan_by_key_config_selectorIxxEEZZNS1_16scan_by_key_implILNS1_25lookback_scan_determinismE0ELb0ES3_N6thrust23THRUST_200600_302600_NS6detail15normal_iteratorINS9_10device_ptrIxEEEENS9_18transform_iteratorINS9_6negateIxEESE_NS9_11use_defaultESI_EESE_xNS9_4plusIvEENS9_8equal_toIvEExEE10hipError_tPvRmT2_T3_T4_T5_mT6_T7_P12ihipStream_tbENKUlT_T0_E_clISt17integral_constantIbLb1EES13_IbLb0EEEEDaSZ_S10_EUlSZ_E_NS1_11comp_targetILNS1_3genE2ELNS1_11target_archE906ELNS1_3gpuE6ELNS1_3repE0EEENS1_30default_config_static_selectorELNS0_4arch9wavefront6targetE0EEEvT1_.has_recursion, 0
	.set _ZN7rocprim17ROCPRIM_400000_NS6detail17trampoline_kernelINS0_14default_configENS1_27scan_by_key_config_selectorIxxEEZZNS1_16scan_by_key_implILNS1_25lookback_scan_determinismE0ELb0ES3_N6thrust23THRUST_200600_302600_NS6detail15normal_iteratorINS9_10device_ptrIxEEEENS9_18transform_iteratorINS9_6negateIxEESE_NS9_11use_defaultESI_EESE_xNS9_4plusIvEENS9_8equal_toIvEExEE10hipError_tPvRmT2_T3_T4_T5_mT6_T7_P12ihipStream_tbENKUlT_T0_E_clISt17integral_constantIbLb1EES13_IbLb0EEEEDaSZ_S10_EUlSZ_E_NS1_11comp_targetILNS1_3genE2ELNS1_11target_archE906ELNS1_3gpuE6ELNS1_3repE0EEENS1_30default_config_static_selectorELNS0_4arch9wavefront6targetE0EEEvT1_.has_indirect_call, 0
	.section	.AMDGPU.csdata,"",@progbits
; Kernel info:
; codeLenInByte = 0
; TotalNumSgprs: 0
; NumVgprs: 0
; ScratchSize: 0
; MemoryBound: 0
; FloatMode: 240
; IeeeMode: 1
; LDSByteSize: 0 bytes/workgroup (compile time only)
; SGPRBlocks: 0
; VGPRBlocks: 0
; NumSGPRsForWavesPerEU: 1
; NumVGPRsForWavesPerEU: 1
; NamedBarCnt: 0
; Occupancy: 16
; WaveLimiterHint : 0
; COMPUTE_PGM_RSRC2:SCRATCH_EN: 0
; COMPUTE_PGM_RSRC2:USER_SGPR: 2
; COMPUTE_PGM_RSRC2:TRAP_HANDLER: 0
; COMPUTE_PGM_RSRC2:TGID_X_EN: 1
; COMPUTE_PGM_RSRC2:TGID_Y_EN: 0
; COMPUTE_PGM_RSRC2:TGID_Z_EN: 0
; COMPUTE_PGM_RSRC2:TIDIG_COMP_CNT: 0
	.section	.text._ZN7rocprim17ROCPRIM_400000_NS6detail17trampoline_kernelINS0_14default_configENS1_27scan_by_key_config_selectorIxxEEZZNS1_16scan_by_key_implILNS1_25lookback_scan_determinismE0ELb0ES3_N6thrust23THRUST_200600_302600_NS6detail15normal_iteratorINS9_10device_ptrIxEEEENS9_18transform_iteratorINS9_6negateIxEESE_NS9_11use_defaultESI_EESE_xNS9_4plusIvEENS9_8equal_toIvEExEE10hipError_tPvRmT2_T3_T4_T5_mT6_T7_P12ihipStream_tbENKUlT_T0_E_clISt17integral_constantIbLb1EES13_IbLb0EEEEDaSZ_S10_EUlSZ_E_NS1_11comp_targetILNS1_3genE10ELNS1_11target_archE1200ELNS1_3gpuE4ELNS1_3repE0EEENS1_30default_config_static_selectorELNS0_4arch9wavefront6targetE0EEEvT1_,"axG",@progbits,_ZN7rocprim17ROCPRIM_400000_NS6detail17trampoline_kernelINS0_14default_configENS1_27scan_by_key_config_selectorIxxEEZZNS1_16scan_by_key_implILNS1_25lookback_scan_determinismE0ELb0ES3_N6thrust23THRUST_200600_302600_NS6detail15normal_iteratorINS9_10device_ptrIxEEEENS9_18transform_iteratorINS9_6negateIxEESE_NS9_11use_defaultESI_EESE_xNS9_4plusIvEENS9_8equal_toIvEExEE10hipError_tPvRmT2_T3_T4_T5_mT6_T7_P12ihipStream_tbENKUlT_T0_E_clISt17integral_constantIbLb1EES13_IbLb0EEEEDaSZ_S10_EUlSZ_E_NS1_11comp_targetILNS1_3genE10ELNS1_11target_archE1200ELNS1_3gpuE4ELNS1_3repE0EEENS1_30default_config_static_selectorELNS0_4arch9wavefront6targetE0EEEvT1_,comdat
	.protected	_ZN7rocprim17ROCPRIM_400000_NS6detail17trampoline_kernelINS0_14default_configENS1_27scan_by_key_config_selectorIxxEEZZNS1_16scan_by_key_implILNS1_25lookback_scan_determinismE0ELb0ES3_N6thrust23THRUST_200600_302600_NS6detail15normal_iteratorINS9_10device_ptrIxEEEENS9_18transform_iteratorINS9_6negateIxEESE_NS9_11use_defaultESI_EESE_xNS9_4plusIvEENS9_8equal_toIvEExEE10hipError_tPvRmT2_T3_T4_T5_mT6_T7_P12ihipStream_tbENKUlT_T0_E_clISt17integral_constantIbLb1EES13_IbLb0EEEEDaSZ_S10_EUlSZ_E_NS1_11comp_targetILNS1_3genE10ELNS1_11target_archE1200ELNS1_3gpuE4ELNS1_3repE0EEENS1_30default_config_static_selectorELNS0_4arch9wavefront6targetE0EEEvT1_ ; -- Begin function _ZN7rocprim17ROCPRIM_400000_NS6detail17trampoline_kernelINS0_14default_configENS1_27scan_by_key_config_selectorIxxEEZZNS1_16scan_by_key_implILNS1_25lookback_scan_determinismE0ELb0ES3_N6thrust23THRUST_200600_302600_NS6detail15normal_iteratorINS9_10device_ptrIxEEEENS9_18transform_iteratorINS9_6negateIxEESE_NS9_11use_defaultESI_EESE_xNS9_4plusIvEENS9_8equal_toIvEExEE10hipError_tPvRmT2_T3_T4_T5_mT6_T7_P12ihipStream_tbENKUlT_T0_E_clISt17integral_constantIbLb1EES13_IbLb0EEEEDaSZ_S10_EUlSZ_E_NS1_11comp_targetILNS1_3genE10ELNS1_11target_archE1200ELNS1_3gpuE4ELNS1_3repE0EEENS1_30default_config_static_selectorELNS0_4arch9wavefront6targetE0EEEvT1_
	.globl	_ZN7rocprim17ROCPRIM_400000_NS6detail17trampoline_kernelINS0_14default_configENS1_27scan_by_key_config_selectorIxxEEZZNS1_16scan_by_key_implILNS1_25lookback_scan_determinismE0ELb0ES3_N6thrust23THRUST_200600_302600_NS6detail15normal_iteratorINS9_10device_ptrIxEEEENS9_18transform_iteratorINS9_6negateIxEESE_NS9_11use_defaultESI_EESE_xNS9_4plusIvEENS9_8equal_toIvEExEE10hipError_tPvRmT2_T3_T4_T5_mT6_T7_P12ihipStream_tbENKUlT_T0_E_clISt17integral_constantIbLb1EES13_IbLb0EEEEDaSZ_S10_EUlSZ_E_NS1_11comp_targetILNS1_3genE10ELNS1_11target_archE1200ELNS1_3gpuE4ELNS1_3repE0EEENS1_30default_config_static_selectorELNS0_4arch9wavefront6targetE0EEEvT1_
	.p2align	8
	.type	_ZN7rocprim17ROCPRIM_400000_NS6detail17trampoline_kernelINS0_14default_configENS1_27scan_by_key_config_selectorIxxEEZZNS1_16scan_by_key_implILNS1_25lookback_scan_determinismE0ELb0ES3_N6thrust23THRUST_200600_302600_NS6detail15normal_iteratorINS9_10device_ptrIxEEEENS9_18transform_iteratorINS9_6negateIxEESE_NS9_11use_defaultESI_EESE_xNS9_4plusIvEENS9_8equal_toIvEExEE10hipError_tPvRmT2_T3_T4_T5_mT6_T7_P12ihipStream_tbENKUlT_T0_E_clISt17integral_constantIbLb1EES13_IbLb0EEEEDaSZ_S10_EUlSZ_E_NS1_11comp_targetILNS1_3genE10ELNS1_11target_archE1200ELNS1_3gpuE4ELNS1_3repE0EEENS1_30default_config_static_selectorELNS0_4arch9wavefront6targetE0EEEvT1_,@function
_ZN7rocprim17ROCPRIM_400000_NS6detail17trampoline_kernelINS0_14default_configENS1_27scan_by_key_config_selectorIxxEEZZNS1_16scan_by_key_implILNS1_25lookback_scan_determinismE0ELb0ES3_N6thrust23THRUST_200600_302600_NS6detail15normal_iteratorINS9_10device_ptrIxEEEENS9_18transform_iteratorINS9_6negateIxEESE_NS9_11use_defaultESI_EESE_xNS9_4plusIvEENS9_8equal_toIvEExEE10hipError_tPvRmT2_T3_T4_T5_mT6_T7_P12ihipStream_tbENKUlT_T0_E_clISt17integral_constantIbLb1EES13_IbLb0EEEEDaSZ_S10_EUlSZ_E_NS1_11comp_targetILNS1_3genE10ELNS1_11target_archE1200ELNS1_3gpuE4ELNS1_3repE0EEENS1_30default_config_static_selectorELNS0_4arch9wavefront6targetE0EEEvT1_: ; @_ZN7rocprim17ROCPRIM_400000_NS6detail17trampoline_kernelINS0_14default_configENS1_27scan_by_key_config_selectorIxxEEZZNS1_16scan_by_key_implILNS1_25lookback_scan_determinismE0ELb0ES3_N6thrust23THRUST_200600_302600_NS6detail15normal_iteratorINS9_10device_ptrIxEEEENS9_18transform_iteratorINS9_6negateIxEESE_NS9_11use_defaultESI_EESE_xNS9_4plusIvEENS9_8equal_toIvEExEE10hipError_tPvRmT2_T3_T4_T5_mT6_T7_P12ihipStream_tbENKUlT_T0_E_clISt17integral_constantIbLb1EES13_IbLb0EEEEDaSZ_S10_EUlSZ_E_NS1_11comp_targetILNS1_3genE10ELNS1_11target_archE1200ELNS1_3gpuE4ELNS1_3repE0EEENS1_30default_config_static_selectorELNS0_4arch9wavefront6targetE0EEEvT1_
; %bb.0:
	.section	.rodata,"a",@progbits
	.p2align	6, 0x0
	.amdhsa_kernel _ZN7rocprim17ROCPRIM_400000_NS6detail17trampoline_kernelINS0_14default_configENS1_27scan_by_key_config_selectorIxxEEZZNS1_16scan_by_key_implILNS1_25lookback_scan_determinismE0ELb0ES3_N6thrust23THRUST_200600_302600_NS6detail15normal_iteratorINS9_10device_ptrIxEEEENS9_18transform_iteratorINS9_6negateIxEESE_NS9_11use_defaultESI_EESE_xNS9_4plusIvEENS9_8equal_toIvEExEE10hipError_tPvRmT2_T3_T4_T5_mT6_T7_P12ihipStream_tbENKUlT_T0_E_clISt17integral_constantIbLb1EES13_IbLb0EEEEDaSZ_S10_EUlSZ_E_NS1_11comp_targetILNS1_3genE10ELNS1_11target_archE1200ELNS1_3gpuE4ELNS1_3repE0EEENS1_30default_config_static_selectorELNS0_4arch9wavefront6targetE0EEEvT1_
		.amdhsa_group_segment_fixed_size 0
		.amdhsa_private_segment_fixed_size 0
		.amdhsa_kernarg_size 144
		.amdhsa_user_sgpr_count 2
		.amdhsa_user_sgpr_dispatch_ptr 0
		.amdhsa_user_sgpr_queue_ptr 0
		.amdhsa_user_sgpr_kernarg_segment_ptr 1
		.amdhsa_user_sgpr_dispatch_id 0
		.amdhsa_user_sgpr_kernarg_preload_length 0
		.amdhsa_user_sgpr_kernarg_preload_offset 0
		.amdhsa_user_sgpr_private_segment_size 0
		.amdhsa_wavefront_size32 1
		.amdhsa_uses_dynamic_stack 0
		.amdhsa_enable_private_segment 0
		.amdhsa_system_sgpr_workgroup_id_x 1
		.amdhsa_system_sgpr_workgroup_id_y 0
		.amdhsa_system_sgpr_workgroup_id_z 0
		.amdhsa_system_sgpr_workgroup_info 0
		.amdhsa_system_vgpr_workitem_id 0
		.amdhsa_next_free_vgpr 1
		.amdhsa_next_free_sgpr 1
		.amdhsa_named_barrier_count 0
		.amdhsa_reserve_vcc 0
		.amdhsa_float_round_mode_32 0
		.amdhsa_float_round_mode_16_64 0
		.amdhsa_float_denorm_mode_32 3
		.amdhsa_float_denorm_mode_16_64 3
		.amdhsa_fp16_overflow 0
		.amdhsa_memory_ordered 1
		.amdhsa_forward_progress 1
		.amdhsa_inst_pref_size 0
		.amdhsa_round_robin_scheduling 0
		.amdhsa_exception_fp_ieee_invalid_op 0
		.amdhsa_exception_fp_denorm_src 0
		.amdhsa_exception_fp_ieee_div_zero 0
		.amdhsa_exception_fp_ieee_overflow 0
		.amdhsa_exception_fp_ieee_underflow 0
		.amdhsa_exception_fp_ieee_inexact 0
		.amdhsa_exception_int_div_zero 0
	.end_amdhsa_kernel
	.section	.text._ZN7rocprim17ROCPRIM_400000_NS6detail17trampoline_kernelINS0_14default_configENS1_27scan_by_key_config_selectorIxxEEZZNS1_16scan_by_key_implILNS1_25lookback_scan_determinismE0ELb0ES3_N6thrust23THRUST_200600_302600_NS6detail15normal_iteratorINS9_10device_ptrIxEEEENS9_18transform_iteratorINS9_6negateIxEESE_NS9_11use_defaultESI_EESE_xNS9_4plusIvEENS9_8equal_toIvEExEE10hipError_tPvRmT2_T3_T4_T5_mT6_T7_P12ihipStream_tbENKUlT_T0_E_clISt17integral_constantIbLb1EES13_IbLb0EEEEDaSZ_S10_EUlSZ_E_NS1_11comp_targetILNS1_3genE10ELNS1_11target_archE1200ELNS1_3gpuE4ELNS1_3repE0EEENS1_30default_config_static_selectorELNS0_4arch9wavefront6targetE0EEEvT1_,"axG",@progbits,_ZN7rocprim17ROCPRIM_400000_NS6detail17trampoline_kernelINS0_14default_configENS1_27scan_by_key_config_selectorIxxEEZZNS1_16scan_by_key_implILNS1_25lookback_scan_determinismE0ELb0ES3_N6thrust23THRUST_200600_302600_NS6detail15normal_iteratorINS9_10device_ptrIxEEEENS9_18transform_iteratorINS9_6negateIxEESE_NS9_11use_defaultESI_EESE_xNS9_4plusIvEENS9_8equal_toIvEExEE10hipError_tPvRmT2_T3_T4_T5_mT6_T7_P12ihipStream_tbENKUlT_T0_E_clISt17integral_constantIbLb1EES13_IbLb0EEEEDaSZ_S10_EUlSZ_E_NS1_11comp_targetILNS1_3genE10ELNS1_11target_archE1200ELNS1_3gpuE4ELNS1_3repE0EEENS1_30default_config_static_selectorELNS0_4arch9wavefront6targetE0EEEvT1_,comdat
.Lfunc_end917:
	.size	_ZN7rocprim17ROCPRIM_400000_NS6detail17trampoline_kernelINS0_14default_configENS1_27scan_by_key_config_selectorIxxEEZZNS1_16scan_by_key_implILNS1_25lookback_scan_determinismE0ELb0ES3_N6thrust23THRUST_200600_302600_NS6detail15normal_iteratorINS9_10device_ptrIxEEEENS9_18transform_iteratorINS9_6negateIxEESE_NS9_11use_defaultESI_EESE_xNS9_4plusIvEENS9_8equal_toIvEExEE10hipError_tPvRmT2_T3_T4_T5_mT6_T7_P12ihipStream_tbENKUlT_T0_E_clISt17integral_constantIbLb1EES13_IbLb0EEEEDaSZ_S10_EUlSZ_E_NS1_11comp_targetILNS1_3genE10ELNS1_11target_archE1200ELNS1_3gpuE4ELNS1_3repE0EEENS1_30default_config_static_selectorELNS0_4arch9wavefront6targetE0EEEvT1_, .Lfunc_end917-_ZN7rocprim17ROCPRIM_400000_NS6detail17trampoline_kernelINS0_14default_configENS1_27scan_by_key_config_selectorIxxEEZZNS1_16scan_by_key_implILNS1_25lookback_scan_determinismE0ELb0ES3_N6thrust23THRUST_200600_302600_NS6detail15normal_iteratorINS9_10device_ptrIxEEEENS9_18transform_iteratorINS9_6negateIxEESE_NS9_11use_defaultESI_EESE_xNS9_4plusIvEENS9_8equal_toIvEExEE10hipError_tPvRmT2_T3_T4_T5_mT6_T7_P12ihipStream_tbENKUlT_T0_E_clISt17integral_constantIbLb1EES13_IbLb0EEEEDaSZ_S10_EUlSZ_E_NS1_11comp_targetILNS1_3genE10ELNS1_11target_archE1200ELNS1_3gpuE4ELNS1_3repE0EEENS1_30default_config_static_selectorELNS0_4arch9wavefront6targetE0EEEvT1_
                                        ; -- End function
	.set _ZN7rocprim17ROCPRIM_400000_NS6detail17trampoline_kernelINS0_14default_configENS1_27scan_by_key_config_selectorIxxEEZZNS1_16scan_by_key_implILNS1_25lookback_scan_determinismE0ELb0ES3_N6thrust23THRUST_200600_302600_NS6detail15normal_iteratorINS9_10device_ptrIxEEEENS9_18transform_iteratorINS9_6negateIxEESE_NS9_11use_defaultESI_EESE_xNS9_4plusIvEENS9_8equal_toIvEExEE10hipError_tPvRmT2_T3_T4_T5_mT6_T7_P12ihipStream_tbENKUlT_T0_E_clISt17integral_constantIbLb1EES13_IbLb0EEEEDaSZ_S10_EUlSZ_E_NS1_11comp_targetILNS1_3genE10ELNS1_11target_archE1200ELNS1_3gpuE4ELNS1_3repE0EEENS1_30default_config_static_selectorELNS0_4arch9wavefront6targetE0EEEvT1_.num_vgpr, 0
	.set _ZN7rocprim17ROCPRIM_400000_NS6detail17trampoline_kernelINS0_14default_configENS1_27scan_by_key_config_selectorIxxEEZZNS1_16scan_by_key_implILNS1_25lookback_scan_determinismE0ELb0ES3_N6thrust23THRUST_200600_302600_NS6detail15normal_iteratorINS9_10device_ptrIxEEEENS9_18transform_iteratorINS9_6negateIxEESE_NS9_11use_defaultESI_EESE_xNS9_4plusIvEENS9_8equal_toIvEExEE10hipError_tPvRmT2_T3_T4_T5_mT6_T7_P12ihipStream_tbENKUlT_T0_E_clISt17integral_constantIbLb1EES13_IbLb0EEEEDaSZ_S10_EUlSZ_E_NS1_11comp_targetILNS1_3genE10ELNS1_11target_archE1200ELNS1_3gpuE4ELNS1_3repE0EEENS1_30default_config_static_selectorELNS0_4arch9wavefront6targetE0EEEvT1_.num_agpr, 0
	.set _ZN7rocprim17ROCPRIM_400000_NS6detail17trampoline_kernelINS0_14default_configENS1_27scan_by_key_config_selectorIxxEEZZNS1_16scan_by_key_implILNS1_25lookback_scan_determinismE0ELb0ES3_N6thrust23THRUST_200600_302600_NS6detail15normal_iteratorINS9_10device_ptrIxEEEENS9_18transform_iteratorINS9_6negateIxEESE_NS9_11use_defaultESI_EESE_xNS9_4plusIvEENS9_8equal_toIvEExEE10hipError_tPvRmT2_T3_T4_T5_mT6_T7_P12ihipStream_tbENKUlT_T0_E_clISt17integral_constantIbLb1EES13_IbLb0EEEEDaSZ_S10_EUlSZ_E_NS1_11comp_targetILNS1_3genE10ELNS1_11target_archE1200ELNS1_3gpuE4ELNS1_3repE0EEENS1_30default_config_static_selectorELNS0_4arch9wavefront6targetE0EEEvT1_.numbered_sgpr, 0
	.set _ZN7rocprim17ROCPRIM_400000_NS6detail17trampoline_kernelINS0_14default_configENS1_27scan_by_key_config_selectorIxxEEZZNS1_16scan_by_key_implILNS1_25lookback_scan_determinismE0ELb0ES3_N6thrust23THRUST_200600_302600_NS6detail15normal_iteratorINS9_10device_ptrIxEEEENS9_18transform_iteratorINS9_6negateIxEESE_NS9_11use_defaultESI_EESE_xNS9_4plusIvEENS9_8equal_toIvEExEE10hipError_tPvRmT2_T3_T4_T5_mT6_T7_P12ihipStream_tbENKUlT_T0_E_clISt17integral_constantIbLb1EES13_IbLb0EEEEDaSZ_S10_EUlSZ_E_NS1_11comp_targetILNS1_3genE10ELNS1_11target_archE1200ELNS1_3gpuE4ELNS1_3repE0EEENS1_30default_config_static_selectorELNS0_4arch9wavefront6targetE0EEEvT1_.num_named_barrier, 0
	.set _ZN7rocprim17ROCPRIM_400000_NS6detail17trampoline_kernelINS0_14default_configENS1_27scan_by_key_config_selectorIxxEEZZNS1_16scan_by_key_implILNS1_25lookback_scan_determinismE0ELb0ES3_N6thrust23THRUST_200600_302600_NS6detail15normal_iteratorINS9_10device_ptrIxEEEENS9_18transform_iteratorINS9_6negateIxEESE_NS9_11use_defaultESI_EESE_xNS9_4plusIvEENS9_8equal_toIvEExEE10hipError_tPvRmT2_T3_T4_T5_mT6_T7_P12ihipStream_tbENKUlT_T0_E_clISt17integral_constantIbLb1EES13_IbLb0EEEEDaSZ_S10_EUlSZ_E_NS1_11comp_targetILNS1_3genE10ELNS1_11target_archE1200ELNS1_3gpuE4ELNS1_3repE0EEENS1_30default_config_static_selectorELNS0_4arch9wavefront6targetE0EEEvT1_.private_seg_size, 0
	.set _ZN7rocprim17ROCPRIM_400000_NS6detail17trampoline_kernelINS0_14default_configENS1_27scan_by_key_config_selectorIxxEEZZNS1_16scan_by_key_implILNS1_25lookback_scan_determinismE0ELb0ES3_N6thrust23THRUST_200600_302600_NS6detail15normal_iteratorINS9_10device_ptrIxEEEENS9_18transform_iteratorINS9_6negateIxEESE_NS9_11use_defaultESI_EESE_xNS9_4plusIvEENS9_8equal_toIvEExEE10hipError_tPvRmT2_T3_T4_T5_mT6_T7_P12ihipStream_tbENKUlT_T0_E_clISt17integral_constantIbLb1EES13_IbLb0EEEEDaSZ_S10_EUlSZ_E_NS1_11comp_targetILNS1_3genE10ELNS1_11target_archE1200ELNS1_3gpuE4ELNS1_3repE0EEENS1_30default_config_static_selectorELNS0_4arch9wavefront6targetE0EEEvT1_.uses_vcc, 0
	.set _ZN7rocprim17ROCPRIM_400000_NS6detail17trampoline_kernelINS0_14default_configENS1_27scan_by_key_config_selectorIxxEEZZNS1_16scan_by_key_implILNS1_25lookback_scan_determinismE0ELb0ES3_N6thrust23THRUST_200600_302600_NS6detail15normal_iteratorINS9_10device_ptrIxEEEENS9_18transform_iteratorINS9_6negateIxEESE_NS9_11use_defaultESI_EESE_xNS9_4plusIvEENS9_8equal_toIvEExEE10hipError_tPvRmT2_T3_T4_T5_mT6_T7_P12ihipStream_tbENKUlT_T0_E_clISt17integral_constantIbLb1EES13_IbLb0EEEEDaSZ_S10_EUlSZ_E_NS1_11comp_targetILNS1_3genE10ELNS1_11target_archE1200ELNS1_3gpuE4ELNS1_3repE0EEENS1_30default_config_static_selectorELNS0_4arch9wavefront6targetE0EEEvT1_.uses_flat_scratch, 0
	.set _ZN7rocprim17ROCPRIM_400000_NS6detail17trampoline_kernelINS0_14default_configENS1_27scan_by_key_config_selectorIxxEEZZNS1_16scan_by_key_implILNS1_25lookback_scan_determinismE0ELb0ES3_N6thrust23THRUST_200600_302600_NS6detail15normal_iteratorINS9_10device_ptrIxEEEENS9_18transform_iteratorINS9_6negateIxEESE_NS9_11use_defaultESI_EESE_xNS9_4plusIvEENS9_8equal_toIvEExEE10hipError_tPvRmT2_T3_T4_T5_mT6_T7_P12ihipStream_tbENKUlT_T0_E_clISt17integral_constantIbLb1EES13_IbLb0EEEEDaSZ_S10_EUlSZ_E_NS1_11comp_targetILNS1_3genE10ELNS1_11target_archE1200ELNS1_3gpuE4ELNS1_3repE0EEENS1_30default_config_static_selectorELNS0_4arch9wavefront6targetE0EEEvT1_.has_dyn_sized_stack, 0
	.set _ZN7rocprim17ROCPRIM_400000_NS6detail17trampoline_kernelINS0_14default_configENS1_27scan_by_key_config_selectorIxxEEZZNS1_16scan_by_key_implILNS1_25lookback_scan_determinismE0ELb0ES3_N6thrust23THRUST_200600_302600_NS6detail15normal_iteratorINS9_10device_ptrIxEEEENS9_18transform_iteratorINS9_6negateIxEESE_NS9_11use_defaultESI_EESE_xNS9_4plusIvEENS9_8equal_toIvEExEE10hipError_tPvRmT2_T3_T4_T5_mT6_T7_P12ihipStream_tbENKUlT_T0_E_clISt17integral_constantIbLb1EES13_IbLb0EEEEDaSZ_S10_EUlSZ_E_NS1_11comp_targetILNS1_3genE10ELNS1_11target_archE1200ELNS1_3gpuE4ELNS1_3repE0EEENS1_30default_config_static_selectorELNS0_4arch9wavefront6targetE0EEEvT1_.has_recursion, 0
	.set _ZN7rocprim17ROCPRIM_400000_NS6detail17trampoline_kernelINS0_14default_configENS1_27scan_by_key_config_selectorIxxEEZZNS1_16scan_by_key_implILNS1_25lookback_scan_determinismE0ELb0ES3_N6thrust23THRUST_200600_302600_NS6detail15normal_iteratorINS9_10device_ptrIxEEEENS9_18transform_iteratorINS9_6negateIxEESE_NS9_11use_defaultESI_EESE_xNS9_4plusIvEENS9_8equal_toIvEExEE10hipError_tPvRmT2_T3_T4_T5_mT6_T7_P12ihipStream_tbENKUlT_T0_E_clISt17integral_constantIbLb1EES13_IbLb0EEEEDaSZ_S10_EUlSZ_E_NS1_11comp_targetILNS1_3genE10ELNS1_11target_archE1200ELNS1_3gpuE4ELNS1_3repE0EEENS1_30default_config_static_selectorELNS0_4arch9wavefront6targetE0EEEvT1_.has_indirect_call, 0
	.section	.AMDGPU.csdata,"",@progbits
; Kernel info:
; codeLenInByte = 0
; TotalNumSgprs: 0
; NumVgprs: 0
; ScratchSize: 0
; MemoryBound: 0
; FloatMode: 240
; IeeeMode: 1
; LDSByteSize: 0 bytes/workgroup (compile time only)
; SGPRBlocks: 0
; VGPRBlocks: 0
; NumSGPRsForWavesPerEU: 1
; NumVGPRsForWavesPerEU: 1
; NamedBarCnt: 0
; Occupancy: 16
; WaveLimiterHint : 0
; COMPUTE_PGM_RSRC2:SCRATCH_EN: 0
; COMPUTE_PGM_RSRC2:USER_SGPR: 2
; COMPUTE_PGM_RSRC2:TRAP_HANDLER: 0
; COMPUTE_PGM_RSRC2:TGID_X_EN: 1
; COMPUTE_PGM_RSRC2:TGID_Y_EN: 0
; COMPUTE_PGM_RSRC2:TGID_Z_EN: 0
; COMPUTE_PGM_RSRC2:TIDIG_COMP_CNT: 0
	.section	.text._ZN7rocprim17ROCPRIM_400000_NS6detail17trampoline_kernelINS0_14default_configENS1_27scan_by_key_config_selectorIxxEEZZNS1_16scan_by_key_implILNS1_25lookback_scan_determinismE0ELb0ES3_N6thrust23THRUST_200600_302600_NS6detail15normal_iteratorINS9_10device_ptrIxEEEENS9_18transform_iteratorINS9_6negateIxEESE_NS9_11use_defaultESI_EESE_xNS9_4plusIvEENS9_8equal_toIvEExEE10hipError_tPvRmT2_T3_T4_T5_mT6_T7_P12ihipStream_tbENKUlT_T0_E_clISt17integral_constantIbLb1EES13_IbLb0EEEEDaSZ_S10_EUlSZ_E_NS1_11comp_targetILNS1_3genE9ELNS1_11target_archE1100ELNS1_3gpuE3ELNS1_3repE0EEENS1_30default_config_static_selectorELNS0_4arch9wavefront6targetE0EEEvT1_,"axG",@progbits,_ZN7rocprim17ROCPRIM_400000_NS6detail17trampoline_kernelINS0_14default_configENS1_27scan_by_key_config_selectorIxxEEZZNS1_16scan_by_key_implILNS1_25lookback_scan_determinismE0ELb0ES3_N6thrust23THRUST_200600_302600_NS6detail15normal_iteratorINS9_10device_ptrIxEEEENS9_18transform_iteratorINS9_6negateIxEESE_NS9_11use_defaultESI_EESE_xNS9_4plusIvEENS9_8equal_toIvEExEE10hipError_tPvRmT2_T3_T4_T5_mT6_T7_P12ihipStream_tbENKUlT_T0_E_clISt17integral_constantIbLb1EES13_IbLb0EEEEDaSZ_S10_EUlSZ_E_NS1_11comp_targetILNS1_3genE9ELNS1_11target_archE1100ELNS1_3gpuE3ELNS1_3repE0EEENS1_30default_config_static_selectorELNS0_4arch9wavefront6targetE0EEEvT1_,comdat
	.protected	_ZN7rocprim17ROCPRIM_400000_NS6detail17trampoline_kernelINS0_14default_configENS1_27scan_by_key_config_selectorIxxEEZZNS1_16scan_by_key_implILNS1_25lookback_scan_determinismE0ELb0ES3_N6thrust23THRUST_200600_302600_NS6detail15normal_iteratorINS9_10device_ptrIxEEEENS9_18transform_iteratorINS9_6negateIxEESE_NS9_11use_defaultESI_EESE_xNS9_4plusIvEENS9_8equal_toIvEExEE10hipError_tPvRmT2_T3_T4_T5_mT6_T7_P12ihipStream_tbENKUlT_T0_E_clISt17integral_constantIbLb1EES13_IbLb0EEEEDaSZ_S10_EUlSZ_E_NS1_11comp_targetILNS1_3genE9ELNS1_11target_archE1100ELNS1_3gpuE3ELNS1_3repE0EEENS1_30default_config_static_selectorELNS0_4arch9wavefront6targetE0EEEvT1_ ; -- Begin function _ZN7rocprim17ROCPRIM_400000_NS6detail17trampoline_kernelINS0_14default_configENS1_27scan_by_key_config_selectorIxxEEZZNS1_16scan_by_key_implILNS1_25lookback_scan_determinismE0ELb0ES3_N6thrust23THRUST_200600_302600_NS6detail15normal_iteratorINS9_10device_ptrIxEEEENS9_18transform_iteratorINS9_6negateIxEESE_NS9_11use_defaultESI_EESE_xNS9_4plusIvEENS9_8equal_toIvEExEE10hipError_tPvRmT2_T3_T4_T5_mT6_T7_P12ihipStream_tbENKUlT_T0_E_clISt17integral_constantIbLb1EES13_IbLb0EEEEDaSZ_S10_EUlSZ_E_NS1_11comp_targetILNS1_3genE9ELNS1_11target_archE1100ELNS1_3gpuE3ELNS1_3repE0EEENS1_30default_config_static_selectorELNS0_4arch9wavefront6targetE0EEEvT1_
	.globl	_ZN7rocprim17ROCPRIM_400000_NS6detail17trampoline_kernelINS0_14default_configENS1_27scan_by_key_config_selectorIxxEEZZNS1_16scan_by_key_implILNS1_25lookback_scan_determinismE0ELb0ES3_N6thrust23THRUST_200600_302600_NS6detail15normal_iteratorINS9_10device_ptrIxEEEENS9_18transform_iteratorINS9_6negateIxEESE_NS9_11use_defaultESI_EESE_xNS9_4plusIvEENS9_8equal_toIvEExEE10hipError_tPvRmT2_T3_T4_T5_mT6_T7_P12ihipStream_tbENKUlT_T0_E_clISt17integral_constantIbLb1EES13_IbLb0EEEEDaSZ_S10_EUlSZ_E_NS1_11comp_targetILNS1_3genE9ELNS1_11target_archE1100ELNS1_3gpuE3ELNS1_3repE0EEENS1_30default_config_static_selectorELNS0_4arch9wavefront6targetE0EEEvT1_
	.p2align	8
	.type	_ZN7rocprim17ROCPRIM_400000_NS6detail17trampoline_kernelINS0_14default_configENS1_27scan_by_key_config_selectorIxxEEZZNS1_16scan_by_key_implILNS1_25lookback_scan_determinismE0ELb0ES3_N6thrust23THRUST_200600_302600_NS6detail15normal_iteratorINS9_10device_ptrIxEEEENS9_18transform_iteratorINS9_6negateIxEESE_NS9_11use_defaultESI_EESE_xNS9_4plusIvEENS9_8equal_toIvEExEE10hipError_tPvRmT2_T3_T4_T5_mT6_T7_P12ihipStream_tbENKUlT_T0_E_clISt17integral_constantIbLb1EES13_IbLb0EEEEDaSZ_S10_EUlSZ_E_NS1_11comp_targetILNS1_3genE9ELNS1_11target_archE1100ELNS1_3gpuE3ELNS1_3repE0EEENS1_30default_config_static_selectorELNS0_4arch9wavefront6targetE0EEEvT1_,@function
_ZN7rocprim17ROCPRIM_400000_NS6detail17trampoline_kernelINS0_14default_configENS1_27scan_by_key_config_selectorIxxEEZZNS1_16scan_by_key_implILNS1_25lookback_scan_determinismE0ELb0ES3_N6thrust23THRUST_200600_302600_NS6detail15normal_iteratorINS9_10device_ptrIxEEEENS9_18transform_iteratorINS9_6negateIxEESE_NS9_11use_defaultESI_EESE_xNS9_4plusIvEENS9_8equal_toIvEExEE10hipError_tPvRmT2_T3_T4_T5_mT6_T7_P12ihipStream_tbENKUlT_T0_E_clISt17integral_constantIbLb1EES13_IbLb0EEEEDaSZ_S10_EUlSZ_E_NS1_11comp_targetILNS1_3genE9ELNS1_11target_archE1100ELNS1_3gpuE3ELNS1_3repE0EEENS1_30default_config_static_selectorELNS0_4arch9wavefront6targetE0EEEvT1_: ; @_ZN7rocprim17ROCPRIM_400000_NS6detail17trampoline_kernelINS0_14default_configENS1_27scan_by_key_config_selectorIxxEEZZNS1_16scan_by_key_implILNS1_25lookback_scan_determinismE0ELb0ES3_N6thrust23THRUST_200600_302600_NS6detail15normal_iteratorINS9_10device_ptrIxEEEENS9_18transform_iteratorINS9_6negateIxEESE_NS9_11use_defaultESI_EESE_xNS9_4plusIvEENS9_8equal_toIvEExEE10hipError_tPvRmT2_T3_T4_T5_mT6_T7_P12ihipStream_tbENKUlT_T0_E_clISt17integral_constantIbLb1EES13_IbLb0EEEEDaSZ_S10_EUlSZ_E_NS1_11comp_targetILNS1_3genE9ELNS1_11target_archE1100ELNS1_3gpuE3ELNS1_3repE0EEENS1_30default_config_static_selectorELNS0_4arch9wavefront6targetE0EEEvT1_
; %bb.0:
	.section	.rodata,"a",@progbits
	.p2align	6, 0x0
	.amdhsa_kernel _ZN7rocprim17ROCPRIM_400000_NS6detail17trampoline_kernelINS0_14default_configENS1_27scan_by_key_config_selectorIxxEEZZNS1_16scan_by_key_implILNS1_25lookback_scan_determinismE0ELb0ES3_N6thrust23THRUST_200600_302600_NS6detail15normal_iteratorINS9_10device_ptrIxEEEENS9_18transform_iteratorINS9_6negateIxEESE_NS9_11use_defaultESI_EESE_xNS9_4plusIvEENS9_8equal_toIvEExEE10hipError_tPvRmT2_T3_T4_T5_mT6_T7_P12ihipStream_tbENKUlT_T0_E_clISt17integral_constantIbLb1EES13_IbLb0EEEEDaSZ_S10_EUlSZ_E_NS1_11comp_targetILNS1_3genE9ELNS1_11target_archE1100ELNS1_3gpuE3ELNS1_3repE0EEENS1_30default_config_static_selectorELNS0_4arch9wavefront6targetE0EEEvT1_
		.amdhsa_group_segment_fixed_size 0
		.amdhsa_private_segment_fixed_size 0
		.amdhsa_kernarg_size 144
		.amdhsa_user_sgpr_count 2
		.amdhsa_user_sgpr_dispatch_ptr 0
		.amdhsa_user_sgpr_queue_ptr 0
		.amdhsa_user_sgpr_kernarg_segment_ptr 1
		.amdhsa_user_sgpr_dispatch_id 0
		.amdhsa_user_sgpr_kernarg_preload_length 0
		.amdhsa_user_sgpr_kernarg_preload_offset 0
		.amdhsa_user_sgpr_private_segment_size 0
		.amdhsa_wavefront_size32 1
		.amdhsa_uses_dynamic_stack 0
		.amdhsa_enable_private_segment 0
		.amdhsa_system_sgpr_workgroup_id_x 1
		.amdhsa_system_sgpr_workgroup_id_y 0
		.amdhsa_system_sgpr_workgroup_id_z 0
		.amdhsa_system_sgpr_workgroup_info 0
		.amdhsa_system_vgpr_workitem_id 0
		.amdhsa_next_free_vgpr 1
		.amdhsa_next_free_sgpr 1
		.amdhsa_named_barrier_count 0
		.amdhsa_reserve_vcc 0
		.amdhsa_float_round_mode_32 0
		.amdhsa_float_round_mode_16_64 0
		.amdhsa_float_denorm_mode_32 3
		.amdhsa_float_denorm_mode_16_64 3
		.amdhsa_fp16_overflow 0
		.amdhsa_memory_ordered 1
		.amdhsa_forward_progress 1
		.amdhsa_inst_pref_size 0
		.amdhsa_round_robin_scheduling 0
		.amdhsa_exception_fp_ieee_invalid_op 0
		.amdhsa_exception_fp_denorm_src 0
		.amdhsa_exception_fp_ieee_div_zero 0
		.amdhsa_exception_fp_ieee_overflow 0
		.amdhsa_exception_fp_ieee_underflow 0
		.amdhsa_exception_fp_ieee_inexact 0
		.amdhsa_exception_int_div_zero 0
	.end_amdhsa_kernel
	.section	.text._ZN7rocprim17ROCPRIM_400000_NS6detail17trampoline_kernelINS0_14default_configENS1_27scan_by_key_config_selectorIxxEEZZNS1_16scan_by_key_implILNS1_25lookback_scan_determinismE0ELb0ES3_N6thrust23THRUST_200600_302600_NS6detail15normal_iteratorINS9_10device_ptrIxEEEENS9_18transform_iteratorINS9_6negateIxEESE_NS9_11use_defaultESI_EESE_xNS9_4plusIvEENS9_8equal_toIvEExEE10hipError_tPvRmT2_T3_T4_T5_mT6_T7_P12ihipStream_tbENKUlT_T0_E_clISt17integral_constantIbLb1EES13_IbLb0EEEEDaSZ_S10_EUlSZ_E_NS1_11comp_targetILNS1_3genE9ELNS1_11target_archE1100ELNS1_3gpuE3ELNS1_3repE0EEENS1_30default_config_static_selectorELNS0_4arch9wavefront6targetE0EEEvT1_,"axG",@progbits,_ZN7rocprim17ROCPRIM_400000_NS6detail17trampoline_kernelINS0_14default_configENS1_27scan_by_key_config_selectorIxxEEZZNS1_16scan_by_key_implILNS1_25lookback_scan_determinismE0ELb0ES3_N6thrust23THRUST_200600_302600_NS6detail15normal_iteratorINS9_10device_ptrIxEEEENS9_18transform_iteratorINS9_6negateIxEESE_NS9_11use_defaultESI_EESE_xNS9_4plusIvEENS9_8equal_toIvEExEE10hipError_tPvRmT2_T3_T4_T5_mT6_T7_P12ihipStream_tbENKUlT_T0_E_clISt17integral_constantIbLb1EES13_IbLb0EEEEDaSZ_S10_EUlSZ_E_NS1_11comp_targetILNS1_3genE9ELNS1_11target_archE1100ELNS1_3gpuE3ELNS1_3repE0EEENS1_30default_config_static_selectorELNS0_4arch9wavefront6targetE0EEEvT1_,comdat
.Lfunc_end918:
	.size	_ZN7rocprim17ROCPRIM_400000_NS6detail17trampoline_kernelINS0_14default_configENS1_27scan_by_key_config_selectorIxxEEZZNS1_16scan_by_key_implILNS1_25lookback_scan_determinismE0ELb0ES3_N6thrust23THRUST_200600_302600_NS6detail15normal_iteratorINS9_10device_ptrIxEEEENS9_18transform_iteratorINS9_6negateIxEESE_NS9_11use_defaultESI_EESE_xNS9_4plusIvEENS9_8equal_toIvEExEE10hipError_tPvRmT2_T3_T4_T5_mT6_T7_P12ihipStream_tbENKUlT_T0_E_clISt17integral_constantIbLb1EES13_IbLb0EEEEDaSZ_S10_EUlSZ_E_NS1_11comp_targetILNS1_3genE9ELNS1_11target_archE1100ELNS1_3gpuE3ELNS1_3repE0EEENS1_30default_config_static_selectorELNS0_4arch9wavefront6targetE0EEEvT1_, .Lfunc_end918-_ZN7rocprim17ROCPRIM_400000_NS6detail17trampoline_kernelINS0_14default_configENS1_27scan_by_key_config_selectorIxxEEZZNS1_16scan_by_key_implILNS1_25lookback_scan_determinismE0ELb0ES3_N6thrust23THRUST_200600_302600_NS6detail15normal_iteratorINS9_10device_ptrIxEEEENS9_18transform_iteratorINS9_6negateIxEESE_NS9_11use_defaultESI_EESE_xNS9_4plusIvEENS9_8equal_toIvEExEE10hipError_tPvRmT2_T3_T4_T5_mT6_T7_P12ihipStream_tbENKUlT_T0_E_clISt17integral_constantIbLb1EES13_IbLb0EEEEDaSZ_S10_EUlSZ_E_NS1_11comp_targetILNS1_3genE9ELNS1_11target_archE1100ELNS1_3gpuE3ELNS1_3repE0EEENS1_30default_config_static_selectorELNS0_4arch9wavefront6targetE0EEEvT1_
                                        ; -- End function
	.set _ZN7rocprim17ROCPRIM_400000_NS6detail17trampoline_kernelINS0_14default_configENS1_27scan_by_key_config_selectorIxxEEZZNS1_16scan_by_key_implILNS1_25lookback_scan_determinismE0ELb0ES3_N6thrust23THRUST_200600_302600_NS6detail15normal_iteratorINS9_10device_ptrIxEEEENS9_18transform_iteratorINS9_6negateIxEESE_NS9_11use_defaultESI_EESE_xNS9_4plusIvEENS9_8equal_toIvEExEE10hipError_tPvRmT2_T3_T4_T5_mT6_T7_P12ihipStream_tbENKUlT_T0_E_clISt17integral_constantIbLb1EES13_IbLb0EEEEDaSZ_S10_EUlSZ_E_NS1_11comp_targetILNS1_3genE9ELNS1_11target_archE1100ELNS1_3gpuE3ELNS1_3repE0EEENS1_30default_config_static_selectorELNS0_4arch9wavefront6targetE0EEEvT1_.num_vgpr, 0
	.set _ZN7rocprim17ROCPRIM_400000_NS6detail17trampoline_kernelINS0_14default_configENS1_27scan_by_key_config_selectorIxxEEZZNS1_16scan_by_key_implILNS1_25lookback_scan_determinismE0ELb0ES3_N6thrust23THRUST_200600_302600_NS6detail15normal_iteratorINS9_10device_ptrIxEEEENS9_18transform_iteratorINS9_6negateIxEESE_NS9_11use_defaultESI_EESE_xNS9_4plusIvEENS9_8equal_toIvEExEE10hipError_tPvRmT2_T3_T4_T5_mT6_T7_P12ihipStream_tbENKUlT_T0_E_clISt17integral_constantIbLb1EES13_IbLb0EEEEDaSZ_S10_EUlSZ_E_NS1_11comp_targetILNS1_3genE9ELNS1_11target_archE1100ELNS1_3gpuE3ELNS1_3repE0EEENS1_30default_config_static_selectorELNS0_4arch9wavefront6targetE0EEEvT1_.num_agpr, 0
	.set _ZN7rocprim17ROCPRIM_400000_NS6detail17trampoline_kernelINS0_14default_configENS1_27scan_by_key_config_selectorIxxEEZZNS1_16scan_by_key_implILNS1_25lookback_scan_determinismE0ELb0ES3_N6thrust23THRUST_200600_302600_NS6detail15normal_iteratorINS9_10device_ptrIxEEEENS9_18transform_iteratorINS9_6negateIxEESE_NS9_11use_defaultESI_EESE_xNS9_4plusIvEENS9_8equal_toIvEExEE10hipError_tPvRmT2_T3_T4_T5_mT6_T7_P12ihipStream_tbENKUlT_T0_E_clISt17integral_constantIbLb1EES13_IbLb0EEEEDaSZ_S10_EUlSZ_E_NS1_11comp_targetILNS1_3genE9ELNS1_11target_archE1100ELNS1_3gpuE3ELNS1_3repE0EEENS1_30default_config_static_selectorELNS0_4arch9wavefront6targetE0EEEvT1_.numbered_sgpr, 0
	.set _ZN7rocprim17ROCPRIM_400000_NS6detail17trampoline_kernelINS0_14default_configENS1_27scan_by_key_config_selectorIxxEEZZNS1_16scan_by_key_implILNS1_25lookback_scan_determinismE0ELb0ES3_N6thrust23THRUST_200600_302600_NS6detail15normal_iteratorINS9_10device_ptrIxEEEENS9_18transform_iteratorINS9_6negateIxEESE_NS9_11use_defaultESI_EESE_xNS9_4plusIvEENS9_8equal_toIvEExEE10hipError_tPvRmT2_T3_T4_T5_mT6_T7_P12ihipStream_tbENKUlT_T0_E_clISt17integral_constantIbLb1EES13_IbLb0EEEEDaSZ_S10_EUlSZ_E_NS1_11comp_targetILNS1_3genE9ELNS1_11target_archE1100ELNS1_3gpuE3ELNS1_3repE0EEENS1_30default_config_static_selectorELNS0_4arch9wavefront6targetE0EEEvT1_.num_named_barrier, 0
	.set _ZN7rocprim17ROCPRIM_400000_NS6detail17trampoline_kernelINS0_14default_configENS1_27scan_by_key_config_selectorIxxEEZZNS1_16scan_by_key_implILNS1_25lookback_scan_determinismE0ELb0ES3_N6thrust23THRUST_200600_302600_NS6detail15normal_iteratorINS9_10device_ptrIxEEEENS9_18transform_iteratorINS9_6negateIxEESE_NS9_11use_defaultESI_EESE_xNS9_4plusIvEENS9_8equal_toIvEExEE10hipError_tPvRmT2_T3_T4_T5_mT6_T7_P12ihipStream_tbENKUlT_T0_E_clISt17integral_constantIbLb1EES13_IbLb0EEEEDaSZ_S10_EUlSZ_E_NS1_11comp_targetILNS1_3genE9ELNS1_11target_archE1100ELNS1_3gpuE3ELNS1_3repE0EEENS1_30default_config_static_selectorELNS0_4arch9wavefront6targetE0EEEvT1_.private_seg_size, 0
	.set _ZN7rocprim17ROCPRIM_400000_NS6detail17trampoline_kernelINS0_14default_configENS1_27scan_by_key_config_selectorIxxEEZZNS1_16scan_by_key_implILNS1_25lookback_scan_determinismE0ELb0ES3_N6thrust23THRUST_200600_302600_NS6detail15normal_iteratorINS9_10device_ptrIxEEEENS9_18transform_iteratorINS9_6negateIxEESE_NS9_11use_defaultESI_EESE_xNS9_4plusIvEENS9_8equal_toIvEExEE10hipError_tPvRmT2_T3_T4_T5_mT6_T7_P12ihipStream_tbENKUlT_T0_E_clISt17integral_constantIbLb1EES13_IbLb0EEEEDaSZ_S10_EUlSZ_E_NS1_11comp_targetILNS1_3genE9ELNS1_11target_archE1100ELNS1_3gpuE3ELNS1_3repE0EEENS1_30default_config_static_selectorELNS0_4arch9wavefront6targetE0EEEvT1_.uses_vcc, 0
	.set _ZN7rocprim17ROCPRIM_400000_NS6detail17trampoline_kernelINS0_14default_configENS1_27scan_by_key_config_selectorIxxEEZZNS1_16scan_by_key_implILNS1_25lookback_scan_determinismE0ELb0ES3_N6thrust23THRUST_200600_302600_NS6detail15normal_iteratorINS9_10device_ptrIxEEEENS9_18transform_iteratorINS9_6negateIxEESE_NS9_11use_defaultESI_EESE_xNS9_4plusIvEENS9_8equal_toIvEExEE10hipError_tPvRmT2_T3_T4_T5_mT6_T7_P12ihipStream_tbENKUlT_T0_E_clISt17integral_constantIbLb1EES13_IbLb0EEEEDaSZ_S10_EUlSZ_E_NS1_11comp_targetILNS1_3genE9ELNS1_11target_archE1100ELNS1_3gpuE3ELNS1_3repE0EEENS1_30default_config_static_selectorELNS0_4arch9wavefront6targetE0EEEvT1_.uses_flat_scratch, 0
	.set _ZN7rocprim17ROCPRIM_400000_NS6detail17trampoline_kernelINS0_14default_configENS1_27scan_by_key_config_selectorIxxEEZZNS1_16scan_by_key_implILNS1_25lookback_scan_determinismE0ELb0ES3_N6thrust23THRUST_200600_302600_NS6detail15normal_iteratorINS9_10device_ptrIxEEEENS9_18transform_iteratorINS9_6negateIxEESE_NS9_11use_defaultESI_EESE_xNS9_4plusIvEENS9_8equal_toIvEExEE10hipError_tPvRmT2_T3_T4_T5_mT6_T7_P12ihipStream_tbENKUlT_T0_E_clISt17integral_constantIbLb1EES13_IbLb0EEEEDaSZ_S10_EUlSZ_E_NS1_11comp_targetILNS1_3genE9ELNS1_11target_archE1100ELNS1_3gpuE3ELNS1_3repE0EEENS1_30default_config_static_selectorELNS0_4arch9wavefront6targetE0EEEvT1_.has_dyn_sized_stack, 0
	.set _ZN7rocprim17ROCPRIM_400000_NS6detail17trampoline_kernelINS0_14default_configENS1_27scan_by_key_config_selectorIxxEEZZNS1_16scan_by_key_implILNS1_25lookback_scan_determinismE0ELb0ES3_N6thrust23THRUST_200600_302600_NS6detail15normal_iteratorINS9_10device_ptrIxEEEENS9_18transform_iteratorINS9_6negateIxEESE_NS9_11use_defaultESI_EESE_xNS9_4plusIvEENS9_8equal_toIvEExEE10hipError_tPvRmT2_T3_T4_T5_mT6_T7_P12ihipStream_tbENKUlT_T0_E_clISt17integral_constantIbLb1EES13_IbLb0EEEEDaSZ_S10_EUlSZ_E_NS1_11comp_targetILNS1_3genE9ELNS1_11target_archE1100ELNS1_3gpuE3ELNS1_3repE0EEENS1_30default_config_static_selectorELNS0_4arch9wavefront6targetE0EEEvT1_.has_recursion, 0
	.set _ZN7rocprim17ROCPRIM_400000_NS6detail17trampoline_kernelINS0_14default_configENS1_27scan_by_key_config_selectorIxxEEZZNS1_16scan_by_key_implILNS1_25lookback_scan_determinismE0ELb0ES3_N6thrust23THRUST_200600_302600_NS6detail15normal_iteratorINS9_10device_ptrIxEEEENS9_18transform_iteratorINS9_6negateIxEESE_NS9_11use_defaultESI_EESE_xNS9_4plusIvEENS9_8equal_toIvEExEE10hipError_tPvRmT2_T3_T4_T5_mT6_T7_P12ihipStream_tbENKUlT_T0_E_clISt17integral_constantIbLb1EES13_IbLb0EEEEDaSZ_S10_EUlSZ_E_NS1_11comp_targetILNS1_3genE9ELNS1_11target_archE1100ELNS1_3gpuE3ELNS1_3repE0EEENS1_30default_config_static_selectorELNS0_4arch9wavefront6targetE0EEEvT1_.has_indirect_call, 0
	.section	.AMDGPU.csdata,"",@progbits
; Kernel info:
; codeLenInByte = 0
; TotalNumSgprs: 0
; NumVgprs: 0
; ScratchSize: 0
; MemoryBound: 0
; FloatMode: 240
; IeeeMode: 1
; LDSByteSize: 0 bytes/workgroup (compile time only)
; SGPRBlocks: 0
; VGPRBlocks: 0
; NumSGPRsForWavesPerEU: 1
; NumVGPRsForWavesPerEU: 1
; NamedBarCnt: 0
; Occupancy: 16
; WaveLimiterHint : 0
; COMPUTE_PGM_RSRC2:SCRATCH_EN: 0
; COMPUTE_PGM_RSRC2:USER_SGPR: 2
; COMPUTE_PGM_RSRC2:TRAP_HANDLER: 0
; COMPUTE_PGM_RSRC2:TGID_X_EN: 1
; COMPUTE_PGM_RSRC2:TGID_Y_EN: 0
; COMPUTE_PGM_RSRC2:TGID_Z_EN: 0
; COMPUTE_PGM_RSRC2:TIDIG_COMP_CNT: 0
	.section	.text._ZN7rocprim17ROCPRIM_400000_NS6detail17trampoline_kernelINS0_14default_configENS1_27scan_by_key_config_selectorIxxEEZZNS1_16scan_by_key_implILNS1_25lookback_scan_determinismE0ELb0ES3_N6thrust23THRUST_200600_302600_NS6detail15normal_iteratorINS9_10device_ptrIxEEEENS9_18transform_iteratorINS9_6negateIxEESE_NS9_11use_defaultESI_EESE_xNS9_4plusIvEENS9_8equal_toIvEExEE10hipError_tPvRmT2_T3_T4_T5_mT6_T7_P12ihipStream_tbENKUlT_T0_E_clISt17integral_constantIbLb1EES13_IbLb0EEEEDaSZ_S10_EUlSZ_E_NS1_11comp_targetILNS1_3genE8ELNS1_11target_archE1030ELNS1_3gpuE2ELNS1_3repE0EEENS1_30default_config_static_selectorELNS0_4arch9wavefront6targetE0EEEvT1_,"axG",@progbits,_ZN7rocprim17ROCPRIM_400000_NS6detail17trampoline_kernelINS0_14default_configENS1_27scan_by_key_config_selectorIxxEEZZNS1_16scan_by_key_implILNS1_25lookback_scan_determinismE0ELb0ES3_N6thrust23THRUST_200600_302600_NS6detail15normal_iteratorINS9_10device_ptrIxEEEENS9_18transform_iteratorINS9_6negateIxEESE_NS9_11use_defaultESI_EESE_xNS9_4plusIvEENS9_8equal_toIvEExEE10hipError_tPvRmT2_T3_T4_T5_mT6_T7_P12ihipStream_tbENKUlT_T0_E_clISt17integral_constantIbLb1EES13_IbLb0EEEEDaSZ_S10_EUlSZ_E_NS1_11comp_targetILNS1_3genE8ELNS1_11target_archE1030ELNS1_3gpuE2ELNS1_3repE0EEENS1_30default_config_static_selectorELNS0_4arch9wavefront6targetE0EEEvT1_,comdat
	.protected	_ZN7rocprim17ROCPRIM_400000_NS6detail17trampoline_kernelINS0_14default_configENS1_27scan_by_key_config_selectorIxxEEZZNS1_16scan_by_key_implILNS1_25lookback_scan_determinismE0ELb0ES3_N6thrust23THRUST_200600_302600_NS6detail15normal_iteratorINS9_10device_ptrIxEEEENS9_18transform_iteratorINS9_6negateIxEESE_NS9_11use_defaultESI_EESE_xNS9_4plusIvEENS9_8equal_toIvEExEE10hipError_tPvRmT2_T3_T4_T5_mT6_T7_P12ihipStream_tbENKUlT_T0_E_clISt17integral_constantIbLb1EES13_IbLb0EEEEDaSZ_S10_EUlSZ_E_NS1_11comp_targetILNS1_3genE8ELNS1_11target_archE1030ELNS1_3gpuE2ELNS1_3repE0EEENS1_30default_config_static_selectorELNS0_4arch9wavefront6targetE0EEEvT1_ ; -- Begin function _ZN7rocprim17ROCPRIM_400000_NS6detail17trampoline_kernelINS0_14default_configENS1_27scan_by_key_config_selectorIxxEEZZNS1_16scan_by_key_implILNS1_25lookback_scan_determinismE0ELb0ES3_N6thrust23THRUST_200600_302600_NS6detail15normal_iteratorINS9_10device_ptrIxEEEENS9_18transform_iteratorINS9_6negateIxEESE_NS9_11use_defaultESI_EESE_xNS9_4plusIvEENS9_8equal_toIvEExEE10hipError_tPvRmT2_T3_T4_T5_mT6_T7_P12ihipStream_tbENKUlT_T0_E_clISt17integral_constantIbLb1EES13_IbLb0EEEEDaSZ_S10_EUlSZ_E_NS1_11comp_targetILNS1_3genE8ELNS1_11target_archE1030ELNS1_3gpuE2ELNS1_3repE0EEENS1_30default_config_static_selectorELNS0_4arch9wavefront6targetE0EEEvT1_
	.globl	_ZN7rocprim17ROCPRIM_400000_NS6detail17trampoline_kernelINS0_14default_configENS1_27scan_by_key_config_selectorIxxEEZZNS1_16scan_by_key_implILNS1_25lookback_scan_determinismE0ELb0ES3_N6thrust23THRUST_200600_302600_NS6detail15normal_iteratorINS9_10device_ptrIxEEEENS9_18transform_iteratorINS9_6negateIxEESE_NS9_11use_defaultESI_EESE_xNS9_4plusIvEENS9_8equal_toIvEExEE10hipError_tPvRmT2_T3_T4_T5_mT6_T7_P12ihipStream_tbENKUlT_T0_E_clISt17integral_constantIbLb1EES13_IbLb0EEEEDaSZ_S10_EUlSZ_E_NS1_11comp_targetILNS1_3genE8ELNS1_11target_archE1030ELNS1_3gpuE2ELNS1_3repE0EEENS1_30default_config_static_selectorELNS0_4arch9wavefront6targetE0EEEvT1_
	.p2align	8
	.type	_ZN7rocprim17ROCPRIM_400000_NS6detail17trampoline_kernelINS0_14default_configENS1_27scan_by_key_config_selectorIxxEEZZNS1_16scan_by_key_implILNS1_25lookback_scan_determinismE0ELb0ES3_N6thrust23THRUST_200600_302600_NS6detail15normal_iteratorINS9_10device_ptrIxEEEENS9_18transform_iteratorINS9_6negateIxEESE_NS9_11use_defaultESI_EESE_xNS9_4plusIvEENS9_8equal_toIvEExEE10hipError_tPvRmT2_T3_T4_T5_mT6_T7_P12ihipStream_tbENKUlT_T0_E_clISt17integral_constantIbLb1EES13_IbLb0EEEEDaSZ_S10_EUlSZ_E_NS1_11comp_targetILNS1_3genE8ELNS1_11target_archE1030ELNS1_3gpuE2ELNS1_3repE0EEENS1_30default_config_static_selectorELNS0_4arch9wavefront6targetE0EEEvT1_,@function
_ZN7rocprim17ROCPRIM_400000_NS6detail17trampoline_kernelINS0_14default_configENS1_27scan_by_key_config_selectorIxxEEZZNS1_16scan_by_key_implILNS1_25lookback_scan_determinismE0ELb0ES3_N6thrust23THRUST_200600_302600_NS6detail15normal_iteratorINS9_10device_ptrIxEEEENS9_18transform_iteratorINS9_6negateIxEESE_NS9_11use_defaultESI_EESE_xNS9_4plusIvEENS9_8equal_toIvEExEE10hipError_tPvRmT2_T3_T4_T5_mT6_T7_P12ihipStream_tbENKUlT_T0_E_clISt17integral_constantIbLb1EES13_IbLb0EEEEDaSZ_S10_EUlSZ_E_NS1_11comp_targetILNS1_3genE8ELNS1_11target_archE1030ELNS1_3gpuE2ELNS1_3repE0EEENS1_30default_config_static_selectorELNS0_4arch9wavefront6targetE0EEEvT1_: ; @_ZN7rocprim17ROCPRIM_400000_NS6detail17trampoline_kernelINS0_14default_configENS1_27scan_by_key_config_selectorIxxEEZZNS1_16scan_by_key_implILNS1_25lookback_scan_determinismE0ELb0ES3_N6thrust23THRUST_200600_302600_NS6detail15normal_iteratorINS9_10device_ptrIxEEEENS9_18transform_iteratorINS9_6negateIxEESE_NS9_11use_defaultESI_EESE_xNS9_4plusIvEENS9_8equal_toIvEExEE10hipError_tPvRmT2_T3_T4_T5_mT6_T7_P12ihipStream_tbENKUlT_T0_E_clISt17integral_constantIbLb1EES13_IbLb0EEEEDaSZ_S10_EUlSZ_E_NS1_11comp_targetILNS1_3genE8ELNS1_11target_archE1030ELNS1_3gpuE2ELNS1_3repE0EEENS1_30default_config_static_selectorELNS0_4arch9wavefront6targetE0EEEvT1_
; %bb.0:
	.section	.rodata,"a",@progbits
	.p2align	6, 0x0
	.amdhsa_kernel _ZN7rocprim17ROCPRIM_400000_NS6detail17trampoline_kernelINS0_14default_configENS1_27scan_by_key_config_selectorIxxEEZZNS1_16scan_by_key_implILNS1_25lookback_scan_determinismE0ELb0ES3_N6thrust23THRUST_200600_302600_NS6detail15normal_iteratorINS9_10device_ptrIxEEEENS9_18transform_iteratorINS9_6negateIxEESE_NS9_11use_defaultESI_EESE_xNS9_4plusIvEENS9_8equal_toIvEExEE10hipError_tPvRmT2_T3_T4_T5_mT6_T7_P12ihipStream_tbENKUlT_T0_E_clISt17integral_constantIbLb1EES13_IbLb0EEEEDaSZ_S10_EUlSZ_E_NS1_11comp_targetILNS1_3genE8ELNS1_11target_archE1030ELNS1_3gpuE2ELNS1_3repE0EEENS1_30default_config_static_selectorELNS0_4arch9wavefront6targetE0EEEvT1_
		.amdhsa_group_segment_fixed_size 0
		.amdhsa_private_segment_fixed_size 0
		.amdhsa_kernarg_size 144
		.amdhsa_user_sgpr_count 2
		.amdhsa_user_sgpr_dispatch_ptr 0
		.amdhsa_user_sgpr_queue_ptr 0
		.amdhsa_user_sgpr_kernarg_segment_ptr 1
		.amdhsa_user_sgpr_dispatch_id 0
		.amdhsa_user_sgpr_kernarg_preload_length 0
		.amdhsa_user_sgpr_kernarg_preload_offset 0
		.amdhsa_user_sgpr_private_segment_size 0
		.amdhsa_wavefront_size32 1
		.amdhsa_uses_dynamic_stack 0
		.amdhsa_enable_private_segment 0
		.amdhsa_system_sgpr_workgroup_id_x 1
		.amdhsa_system_sgpr_workgroup_id_y 0
		.amdhsa_system_sgpr_workgroup_id_z 0
		.amdhsa_system_sgpr_workgroup_info 0
		.amdhsa_system_vgpr_workitem_id 0
		.amdhsa_next_free_vgpr 1
		.amdhsa_next_free_sgpr 1
		.amdhsa_named_barrier_count 0
		.amdhsa_reserve_vcc 0
		.amdhsa_float_round_mode_32 0
		.amdhsa_float_round_mode_16_64 0
		.amdhsa_float_denorm_mode_32 3
		.amdhsa_float_denorm_mode_16_64 3
		.amdhsa_fp16_overflow 0
		.amdhsa_memory_ordered 1
		.amdhsa_forward_progress 1
		.amdhsa_inst_pref_size 0
		.amdhsa_round_robin_scheduling 0
		.amdhsa_exception_fp_ieee_invalid_op 0
		.amdhsa_exception_fp_denorm_src 0
		.amdhsa_exception_fp_ieee_div_zero 0
		.amdhsa_exception_fp_ieee_overflow 0
		.amdhsa_exception_fp_ieee_underflow 0
		.amdhsa_exception_fp_ieee_inexact 0
		.amdhsa_exception_int_div_zero 0
	.end_amdhsa_kernel
	.section	.text._ZN7rocprim17ROCPRIM_400000_NS6detail17trampoline_kernelINS0_14default_configENS1_27scan_by_key_config_selectorIxxEEZZNS1_16scan_by_key_implILNS1_25lookback_scan_determinismE0ELb0ES3_N6thrust23THRUST_200600_302600_NS6detail15normal_iteratorINS9_10device_ptrIxEEEENS9_18transform_iteratorINS9_6negateIxEESE_NS9_11use_defaultESI_EESE_xNS9_4plusIvEENS9_8equal_toIvEExEE10hipError_tPvRmT2_T3_T4_T5_mT6_T7_P12ihipStream_tbENKUlT_T0_E_clISt17integral_constantIbLb1EES13_IbLb0EEEEDaSZ_S10_EUlSZ_E_NS1_11comp_targetILNS1_3genE8ELNS1_11target_archE1030ELNS1_3gpuE2ELNS1_3repE0EEENS1_30default_config_static_selectorELNS0_4arch9wavefront6targetE0EEEvT1_,"axG",@progbits,_ZN7rocprim17ROCPRIM_400000_NS6detail17trampoline_kernelINS0_14default_configENS1_27scan_by_key_config_selectorIxxEEZZNS1_16scan_by_key_implILNS1_25lookback_scan_determinismE0ELb0ES3_N6thrust23THRUST_200600_302600_NS6detail15normal_iteratorINS9_10device_ptrIxEEEENS9_18transform_iteratorINS9_6negateIxEESE_NS9_11use_defaultESI_EESE_xNS9_4plusIvEENS9_8equal_toIvEExEE10hipError_tPvRmT2_T3_T4_T5_mT6_T7_P12ihipStream_tbENKUlT_T0_E_clISt17integral_constantIbLb1EES13_IbLb0EEEEDaSZ_S10_EUlSZ_E_NS1_11comp_targetILNS1_3genE8ELNS1_11target_archE1030ELNS1_3gpuE2ELNS1_3repE0EEENS1_30default_config_static_selectorELNS0_4arch9wavefront6targetE0EEEvT1_,comdat
.Lfunc_end919:
	.size	_ZN7rocprim17ROCPRIM_400000_NS6detail17trampoline_kernelINS0_14default_configENS1_27scan_by_key_config_selectorIxxEEZZNS1_16scan_by_key_implILNS1_25lookback_scan_determinismE0ELb0ES3_N6thrust23THRUST_200600_302600_NS6detail15normal_iteratorINS9_10device_ptrIxEEEENS9_18transform_iteratorINS9_6negateIxEESE_NS9_11use_defaultESI_EESE_xNS9_4plusIvEENS9_8equal_toIvEExEE10hipError_tPvRmT2_T3_T4_T5_mT6_T7_P12ihipStream_tbENKUlT_T0_E_clISt17integral_constantIbLb1EES13_IbLb0EEEEDaSZ_S10_EUlSZ_E_NS1_11comp_targetILNS1_3genE8ELNS1_11target_archE1030ELNS1_3gpuE2ELNS1_3repE0EEENS1_30default_config_static_selectorELNS0_4arch9wavefront6targetE0EEEvT1_, .Lfunc_end919-_ZN7rocprim17ROCPRIM_400000_NS6detail17trampoline_kernelINS0_14default_configENS1_27scan_by_key_config_selectorIxxEEZZNS1_16scan_by_key_implILNS1_25lookback_scan_determinismE0ELb0ES3_N6thrust23THRUST_200600_302600_NS6detail15normal_iteratorINS9_10device_ptrIxEEEENS9_18transform_iteratorINS9_6negateIxEESE_NS9_11use_defaultESI_EESE_xNS9_4plusIvEENS9_8equal_toIvEExEE10hipError_tPvRmT2_T3_T4_T5_mT6_T7_P12ihipStream_tbENKUlT_T0_E_clISt17integral_constantIbLb1EES13_IbLb0EEEEDaSZ_S10_EUlSZ_E_NS1_11comp_targetILNS1_3genE8ELNS1_11target_archE1030ELNS1_3gpuE2ELNS1_3repE0EEENS1_30default_config_static_selectorELNS0_4arch9wavefront6targetE0EEEvT1_
                                        ; -- End function
	.set _ZN7rocprim17ROCPRIM_400000_NS6detail17trampoline_kernelINS0_14default_configENS1_27scan_by_key_config_selectorIxxEEZZNS1_16scan_by_key_implILNS1_25lookback_scan_determinismE0ELb0ES3_N6thrust23THRUST_200600_302600_NS6detail15normal_iteratorINS9_10device_ptrIxEEEENS9_18transform_iteratorINS9_6negateIxEESE_NS9_11use_defaultESI_EESE_xNS9_4plusIvEENS9_8equal_toIvEExEE10hipError_tPvRmT2_T3_T4_T5_mT6_T7_P12ihipStream_tbENKUlT_T0_E_clISt17integral_constantIbLb1EES13_IbLb0EEEEDaSZ_S10_EUlSZ_E_NS1_11comp_targetILNS1_3genE8ELNS1_11target_archE1030ELNS1_3gpuE2ELNS1_3repE0EEENS1_30default_config_static_selectorELNS0_4arch9wavefront6targetE0EEEvT1_.num_vgpr, 0
	.set _ZN7rocprim17ROCPRIM_400000_NS6detail17trampoline_kernelINS0_14default_configENS1_27scan_by_key_config_selectorIxxEEZZNS1_16scan_by_key_implILNS1_25lookback_scan_determinismE0ELb0ES3_N6thrust23THRUST_200600_302600_NS6detail15normal_iteratorINS9_10device_ptrIxEEEENS9_18transform_iteratorINS9_6negateIxEESE_NS9_11use_defaultESI_EESE_xNS9_4plusIvEENS9_8equal_toIvEExEE10hipError_tPvRmT2_T3_T4_T5_mT6_T7_P12ihipStream_tbENKUlT_T0_E_clISt17integral_constantIbLb1EES13_IbLb0EEEEDaSZ_S10_EUlSZ_E_NS1_11comp_targetILNS1_3genE8ELNS1_11target_archE1030ELNS1_3gpuE2ELNS1_3repE0EEENS1_30default_config_static_selectorELNS0_4arch9wavefront6targetE0EEEvT1_.num_agpr, 0
	.set _ZN7rocprim17ROCPRIM_400000_NS6detail17trampoline_kernelINS0_14default_configENS1_27scan_by_key_config_selectorIxxEEZZNS1_16scan_by_key_implILNS1_25lookback_scan_determinismE0ELb0ES3_N6thrust23THRUST_200600_302600_NS6detail15normal_iteratorINS9_10device_ptrIxEEEENS9_18transform_iteratorINS9_6negateIxEESE_NS9_11use_defaultESI_EESE_xNS9_4plusIvEENS9_8equal_toIvEExEE10hipError_tPvRmT2_T3_T4_T5_mT6_T7_P12ihipStream_tbENKUlT_T0_E_clISt17integral_constantIbLb1EES13_IbLb0EEEEDaSZ_S10_EUlSZ_E_NS1_11comp_targetILNS1_3genE8ELNS1_11target_archE1030ELNS1_3gpuE2ELNS1_3repE0EEENS1_30default_config_static_selectorELNS0_4arch9wavefront6targetE0EEEvT1_.numbered_sgpr, 0
	.set _ZN7rocprim17ROCPRIM_400000_NS6detail17trampoline_kernelINS0_14default_configENS1_27scan_by_key_config_selectorIxxEEZZNS1_16scan_by_key_implILNS1_25lookback_scan_determinismE0ELb0ES3_N6thrust23THRUST_200600_302600_NS6detail15normal_iteratorINS9_10device_ptrIxEEEENS9_18transform_iteratorINS9_6negateIxEESE_NS9_11use_defaultESI_EESE_xNS9_4plusIvEENS9_8equal_toIvEExEE10hipError_tPvRmT2_T3_T4_T5_mT6_T7_P12ihipStream_tbENKUlT_T0_E_clISt17integral_constantIbLb1EES13_IbLb0EEEEDaSZ_S10_EUlSZ_E_NS1_11comp_targetILNS1_3genE8ELNS1_11target_archE1030ELNS1_3gpuE2ELNS1_3repE0EEENS1_30default_config_static_selectorELNS0_4arch9wavefront6targetE0EEEvT1_.num_named_barrier, 0
	.set _ZN7rocprim17ROCPRIM_400000_NS6detail17trampoline_kernelINS0_14default_configENS1_27scan_by_key_config_selectorIxxEEZZNS1_16scan_by_key_implILNS1_25lookback_scan_determinismE0ELb0ES3_N6thrust23THRUST_200600_302600_NS6detail15normal_iteratorINS9_10device_ptrIxEEEENS9_18transform_iteratorINS9_6negateIxEESE_NS9_11use_defaultESI_EESE_xNS9_4plusIvEENS9_8equal_toIvEExEE10hipError_tPvRmT2_T3_T4_T5_mT6_T7_P12ihipStream_tbENKUlT_T0_E_clISt17integral_constantIbLb1EES13_IbLb0EEEEDaSZ_S10_EUlSZ_E_NS1_11comp_targetILNS1_3genE8ELNS1_11target_archE1030ELNS1_3gpuE2ELNS1_3repE0EEENS1_30default_config_static_selectorELNS0_4arch9wavefront6targetE0EEEvT1_.private_seg_size, 0
	.set _ZN7rocprim17ROCPRIM_400000_NS6detail17trampoline_kernelINS0_14default_configENS1_27scan_by_key_config_selectorIxxEEZZNS1_16scan_by_key_implILNS1_25lookback_scan_determinismE0ELb0ES3_N6thrust23THRUST_200600_302600_NS6detail15normal_iteratorINS9_10device_ptrIxEEEENS9_18transform_iteratorINS9_6negateIxEESE_NS9_11use_defaultESI_EESE_xNS9_4plusIvEENS9_8equal_toIvEExEE10hipError_tPvRmT2_T3_T4_T5_mT6_T7_P12ihipStream_tbENKUlT_T0_E_clISt17integral_constantIbLb1EES13_IbLb0EEEEDaSZ_S10_EUlSZ_E_NS1_11comp_targetILNS1_3genE8ELNS1_11target_archE1030ELNS1_3gpuE2ELNS1_3repE0EEENS1_30default_config_static_selectorELNS0_4arch9wavefront6targetE0EEEvT1_.uses_vcc, 0
	.set _ZN7rocprim17ROCPRIM_400000_NS6detail17trampoline_kernelINS0_14default_configENS1_27scan_by_key_config_selectorIxxEEZZNS1_16scan_by_key_implILNS1_25lookback_scan_determinismE0ELb0ES3_N6thrust23THRUST_200600_302600_NS6detail15normal_iteratorINS9_10device_ptrIxEEEENS9_18transform_iteratorINS9_6negateIxEESE_NS9_11use_defaultESI_EESE_xNS9_4plusIvEENS9_8equal_toIvEExEE10hipError_tPvRmT2_T3_T4_T5_mT6_T7_P12ihipStream_tbENKUlT_T0_E_clISt17integral_constantIbLb1EES13_IbLb0EEEEDaSZ_S10_EUlSZ_E_NS1_11comp_targetILNS1_3genE8ELNS1_11target_archE1030ELNS1_3gpuE2ELNS1_3repE0EEENS1_30default_config_static_selectorELNS0_4arch9wavefront6targetE0EEEvT1_.uses_flat_scratch, 0
	.set _ZN7rocprim17ROCPRIM_400000_NS6detail17trampoline_kernelINS0_14default_configENS1_27scan_by_key_config_selectorIxxEEZZNS1_16scan_by_key_implILNS1_25lookback_scan_determinismE0ELb0ES3_N6thrust23THRUST_200600_302600_NS6detail15normal_iteratorINS9_10device_ptrIxEEEENS9_18transform_iteratorINS9_6negateIxEESE_NS9_11use_defaultESI_EESE_xNS9_4plusIvEENS9_8equal_toIvEExEE10hipError_tPvRmT2_T3_T4_T5_mT6_T7_P12ihipStream_tbENKUlT_T0_E_clISt17integral_constantIbLb1EES13_IbLb0EEEEDaSZ_S10_EUlSZ_E_NS1_11comp_targetILNS1_3genE8ELNS1_11target_archE1030ELNS1_3gpuE2ELNS1_3repE0EEENS1_30default_config_static_selectorELNS0_4arch9wavefront6targetE0EEEvT1_.has_dyn_sized_stack, 0
	.set _ZN7rocprim17ROCPRIM_400000_NS6detail17trampoline_kernelINS0_14default_configENS1_27scan_by_key_config_selectorIxxEEZZNS1_16scan_by_key_implILNS1_25lookback_scan_determinismE0ELb0ES3_N6thrust23THRUST_200600_302600_NS6detail15normal_iteratorINS9_10device_ptrIxEEEENS9_18transform_iteratorINS9_6negateIxEESE_NS9_11use_defaultESI_EESE_xNS9_4plusIvEENS9_8equal_toIvEExEE10hipError_tPvRmT2_T3_T4_T5_mT6_T7_P12ihipStream_tbENKUlT_T0_E_clISt17integral_constantIbLb1EES13_IbLb0EEEEDaSZ_S10_EUlSZ_E_NS1_11comp_targetILNS1_3genE8ELNS1_11target_archE1030ELNS1_3gpuE2ELNS1_3repE0EEENS1_30default_config_static_selectorELNS0_4arch9wavefront6targetE0EEEvT1_.has_recursion, 0
	.set _ZN7rocprim17ROCPRIM_400000_NS6detail17trampoline_kernelINS0_14default_configENS1_27scan_by_key_config_selectorIxxEEZZNS1_16scan_by_key_implILNS1_25lookback_scan_determinismE0ELb0ES3_N6thrust23THRUST_200600_302600_NS6detail15normal_iteratorINS9_10device_ptrIxEEEENS9_18transform_iteratorINS9_6negateIxEESE_NS9_11use_defaultESI_EESE_xNS9_4plusIvEENS9_8equal_toIvEExEE10hipError_tPvRmT2_T3_T4_T5_mT6_T7_P12ihipStream_tbENKUlT_T0_E_clISt17integral_constantIbLb1EES13_IbLb0EEEEDaSZ_S10_EUlSZ_E_NS1_11comp_targetILNS1_3genE8ELNS1_11target_archE1030ELNS1_3gpuE2ELNS1_3repE0EEENS1_30default_config_static_selectorELNS0_4arch9wavefront6targetE0EEEvT1_.has_indirect_call, 0
	.section	.AMDGPU.csdata,"",@progbits
; Kernel info:
; codeLenInByte = 0
; TotalNumSgprs: 0
; NumVgprs: 0
; ScratchSize: 0
; MemoryBound: 0
; FloatMode: 240
; IeeeMode: 1
; LDSByteSize: 0 bytes/workgroup (compile time only)
; SGPRBlocks: 0
; VGPRBlocks: 0
; NumSGPRsForWavesPerEU: 1
; NumVGPRsForWavesPerEU: 1
; NamedBarCnt: 0
; Occupancy: 16
; WaveLimiterHint : 0
; COMPUTE_PGM_RSRC2:SCRATCH_EN: 0
; COMPUTE_PGM_RSRC2:USER_SGPR: 2
; COMPUTE_PGM_RSRC2:TRAP_HANDLER: 0
; COMPUTE_PGM_RSRC2:TGID_X_EN: 1
; COMPUTE_PGM_RSRC2:TGID_Y_EN: 0
; COMPUTE_PGM_RSRC2:TGID_Z_EN: 0
; COMPUTE_PGM_RSRC2:TIDIG_COMP_CNT: 0
	.section	.text._ZN7rocprim17ROCPRIM_400000_NS6detail17trampoline_kernelINS0_14default_configENS1_27scan_by_key_config_selectorIxxEEZZNS1_16scan_by_key_implILNS1_25lookback_scan_determinismE0ELb0ES3_N6thrust23THRUST_200600_302600_NS6detail15normal_iteratorINS9_10device_ptrIxEEEENS9_18transform_iteratorINS9_6negateIxEESE_NS9_11use_defaultESI_EESE_xNS9_4plusIvEENS9_8equal_toIvEExEE10hipError_tPvRmT2_T3_T4_T5_mT6_T7_P12ihipStream_tbENKUlT_T0_E_clISt17integral_constantIbLb0EES13_IbLb1EEEEDaSZ_S10_EUlSZ_E_NS1_11comp_targetILNS1_3genE0ELNS1_11target_archE4294967295ELNS1_3gpuE0ELNS1_3repE0EEENS1_30default_config_static_selectorELNS0_4arch9wavefront6targetE0EEEvT1_,"axG",@progbits,_ZN7rocprim17ROCPRIM_400000_NS6detail17trampoline_kernelINS0_14default_configENS1_27scan_by_key_config_selectorIxxEEZZNS1_16scan_by_key_implILNS1_25lookback_scan_determinismE0ELb0ES3_N6thrust23THRUST_200600_302600_NS6detail15normal_iteratorINS9_10device_ptrIxEEEENS9_18transform_iteratorINS9_6negateIxEESE_NS9_11use_defaultESI_EESE_xNS9_4plusIvEENS9_8equal_toIvEExEE10hipError_tPvRmT2_T3_T4_T5_mT6_T7_P12ihipStream_tbENKUlT_T0_E_clISt17integral_constantIbLb0EES13_IbLb1EEEEDaSZ_S10_EUlSZ_E_NS1_11comp_targetILNS1_3genE0ELNS1_11target_archE4294967295ELNS1_3gpuE0ELNS1_3repE0EEENS1_30default_config_static_selectorELNS0_4arch9wavefront6targetE0EEEvT1_,comdat
	.protected	_ZN7rocprim17ROCPRIM_400000_NS6detail17trampoline_kernelINS0_14default_configENS1_27scan_by_key_config_selectorIxxEEZZNS1_16scan_by_key_implILNS1_25lookback_scan_determinismE0ELb0ES3_N6thrust23THRUST_200600_302600_NS6detail15normal_iteratorINS9_10device_ptrIxEEEENS9_18transform_iteratorINS9_6negateIxEESE_NS9_11use_defaultESI_EESE_xNS9_4plusIvEENS9_8equal_toIvEExEE10hipError_tPvRmT2_T3_T4_T5_mT6_T7_P12ihipStream_tbENKUlT_T0_E_clISt17integral_constantIbLb0EES13_IbLb1EEEEDaSZ_S10_EUlSZ_E_NS1_11comp_targetILNS1_3genE0ELNS1_11target_archE4294967295ELNS1_3gpuE0ELNS1_3repE0EEENS1_30default_config_static_selectorELNS0_4arch9wavefront6targetE0EEEvT1_ ; -- Begin function _ZN7rocprim17ROCPRIM_400000_NS6detail17trampoline_kernelINS0_14default_configENS1_27scan_by_key_config_selectorIxxEEZZNS1_16scan_by_key_implILNS1_25lookback_scan_determinismE0ELb0ES3_N6thrust23THRUST_200600_302600_NS6detail15normal_iteratorINS9_10device_ptrIxEEEENS9_18transform_iteratorINS9_6negateIxEESE_NS9_11use_defaultESI_EESE_xNS9_4plusIvEENS9_8equal_toIvEExEE10hipError_tPvRmT2_T3_T4_T5_mT6_T7_P12ihipStream_tbENKUlT_T0_E_clISt17integral_constantIbLb0EES13_IbLb1EEEEDaSZ_S10_EUlSZ_E_NS1_11comp_targetILNS1_3genE0ELNS1_11target_archE4294967295ELNS1_3gpuE0ELNS1_3repE0EEENS1_30default_config_static_selectorELNS0_4arch9wavefront6targetE0EEEvT1_
	.globl	_ZN7rocprim17ROCPRIM_400000_NS6detail17trampoline_kernelINS0_14default_configENS1_27scan_by_key_config_selectorIxxEEZZNS1_16scan_by_key_implILNS1_25lookback_scan_determinismE0ELb0ES3_N6thrust23THRUST_200600_302600_NS6detail15normal_iteratorINS9_10device_ptrIxEEEENS9_18transform_iteratorINS9_6negateIxEESE_NS9_11use_defaultESI_EESE_xNS9_4plusIvEENS9_8equal_toIvEExEE10hipError_tPvRmT2_T3_T4_T5_mT6_T7_P12ihipStream_tbENKUlT_T0_E_clISt17integral_constantIbLb0EES13_IbLb1EEEEDaSZ_S10_EUlSZ_E_NS1_11comp_targetILNS1_3genE0ELNS1_11target_archE4294967295ELNS1_3gpuE0ELNS1_3repE0EEENS1_30default_config_static_selectorELNS0_4arch9wavefront6targetE0EEEvT1_
	.p2align	8
	.type	_ZN7rocprim17ROCPRIM_400000_NS6detail17trampoline_kernelINS0_14default_configENS1_27scan_by_key_config_selectorIxxEEZZNS1_16scan_by_key_implILNS1_25lookback_scan_determinismE0ELb0ES3_N6thrust23THRUST_200600_302600_NS6detail15normal_iteratorINS9_10device_ptrIxEEEENS9_18transform_iteratorINS9_6negateIxEESE_NS9_11use_defaultESI_EESE_xNS9_4plusIvEENS9_8equal_toIvEExEE10hipError_tPvRmT2_T3_T4_T5_mT6_T7_P12ihipStream_tbENKUlT_T0_E_clISt17integral_constantIbLb0EES13_IbLb1EEEEDaSZ_S10_EUlSZ_E_NS1_11comp_targetILNS1_3genE0ELNS1_11target_archE4294967295ELNS1_3gpuE0ELNS1_3repE0EEENS1_30default_config_static_selectorELNS0_4arch9wavefront6targetE0EEEvT1_,@function
_ZN7rocprim17ROCPRIM_400000_NS6detail17trampoline_kernelINS0_14default_configENS1_27scan_by_key_config_selectorIxxEEZZNS1_16scan_by_key_implILNS1_25lookback_scan_determinismE0ELb0ES3_N6thrust23THRUST_200600_302600_NS6detail15normal_iteratorINS9_10device_ptrIxEEEENS9_18transform_iteratorINS9_6negateIxEESE_NS9_11use_defaultESI_EESE_xNS9_4plusIvEENS9_8equal_toIvEExEE10hipError_tPvRmT2_T3_T4_T5_mT6_T7_P12ihipStream_tbENKUlT_T0_E_clISt17integral_constantIbLb0EES13_IbLb1EEEEDaSZ_S10_EUlSZ_E_NS1_11comp_targetILNS1_3genE0ELNS1_11target_archE4294967295ELNS1_3gpuE0ELNS1_3repE0EEENS1_30default_config_static_selectorELNS0_4arch9wavefront6targetE0EEEvT1_: ; @_ZN7rocprim17ROCPRIM_400000_NS6detail17trampoline_kernelINS0_14default_configENS1_27scan_by_key_config_selectorIxxEEZZNS1_16scan_by_key_implILNS1_25lookback_scan_determinismE0ELb0ES3_N6thrust23THRUST_200600_302600_NS6detail15normal_iteratorINS9_10device_ptrIxEEEENS9_18transform_iteratorINS9_6negateIxEESE_NS9_11use_defaultESI_EESE_xNS9_4plusIvEENS9_8equal_toIvEExEE10hipError_tPvRmT2_T3_T4_T5_mT6_T7_P12ihipStream_tbENKUlT_T0_E_clISt17integral_constantIbLb0EES13_IbLb1EEEEDaSZ_S10_EUlSZ_E_NS1_11comp_targetILNS1_3genE0ELNS1_11target_archE4294967295ELNS1_3gpuE0ELNS1_3repE0EEENS1_30default_config_static_selectorELNS0_4arch9wavefront6targetE0EEEvT1_
; %bb.0:
	s_clause 0x3
	s_load_b128 s[4:7], s[0:1], 0x0
	s_load_b64 s[8:9], s[0:1], 0x10
	s_load_b256 s[24:31], s[0:1], 0x38
	s_load_b64 s[46:47], s[0:1], 0x58
	v_cmp_ne_u32_e64 s3, 0, v0
	v_cmp_eq_u32_e64 s2, 0, v0
	s_and_saveexec_b32 s10, s2
	s_cbranch_execz .LBB920_4
; %bb.1:
	s_mov_b32 s12, exec_lo
	s_mov_b32 s11, exec_lo
	v_mbcnt_lo_u32_b32 v1, s12, 0
                                        ; implicit-def: $vgpr2
	s_delay_alu instid0(VALU_DEP_1)
	v_cmpx_eq_u32_e32 0, v1
	s_cbranch_execz .LBB920_3
; %bb.2:
	s_load_b64 s[14:15], s[0:1], 0x88
	s_bcnt1_i32_b32 s12, s12
	s_delay_alu instid0(SALU_CYCLE_1)
	v_dual_mov_b32 v2, 0 :: v_dual_mov_b32 v3, s12
	s_wait_xcnt 0x0
	s_wait_kmcnt 0x0
	global_atomic_add_u32 v2, v2, v3, s[14:15] th:TH_ATOMIC_RETURN scope:SCOPE_DEV
.LBB920_3:
	s_wait_xcnt 0x0
	s_or_b32 exec_lo, exec_lo, s11
	s_wait_loadcnt 0x0
	v_readfirstlane_b32 s11, v2
	s_delay_alu instid0(VALU_DEP_1)
	v_dual_mov_b32 v2, 0 :: v_dual_add_nc_u32 v1, s11, v1
	ds_store_b32 v2, v1
.LBB920_4:
	s_or_b32 exec_lo, exec_lo, s10
	v_mov_b32_e32 v1, 0
	s_clause 0x2
	s_load_b64 s[34:35], s[0:1], 0x20
	s_load_b32 s48, s[0:1], 0x60
	s_load_b256 s[36:43], s[0:1], 0x68
	s_wait_dscnt 0x0
	s_barrier_signal -1
	s_barrier_wait -1
	ds_load_b32 v2, v1
	s_mov_b32 s49, 0
	s_wait_kmcnt 0x0
	s_lshl_b64 s[44:45], s[6:7], 3
	s_wait_dscnt 0x0
	s_add_nc_u64 s[0:1], s[4:5], s[44:45]
	s_add_nc_u64 s[4:5], s[8:9], s[44:45]
	s_mov_b32 s9, s49
	s_barrier_signal -1
	s_barrier_wait -1
	s_barrier_signal -1
	s_barrier_wait -1
	s_mul_u64 s[6:7], s[46:47], s[48:49]
	s_cmp_lg_u64 s[40:41], 0
	s_cselect_b32 s40, -1, 0
	v_readfirstlane_b32 s48, v2
	s_add_nc_u64 s[20:21], s[6:7], s[48:49]
	s_add_nc_u64 s[6:7], s[36:37], -1
	s_mul_i32 s8, s48, 0xe00
	v_cmp_ge_u64_e64 s31, s[20:21], s[6:7]
	s_lshl_b64 s[36:37], s[8:9], 3
	s_mul_i32 s33, s6, 0xfffff200
	s_add_nc_u64 s[18:19], s[0:1], s[36:37]
	s_add_nc_u64 s[16:17], s[4:5], s[36:37]
	s_and_b32 vcc_lo, exec_lo, s31
	s_cbranch_vccz .LBB920_36
; %bb.5:
	flat_load_b64 v[2:3], v1, s[18:19]
	s_add_co_i32 s41, s33, s30
	s_delay_alu instid0(SALU_CYCLE_1)
	v_cmp_gt_u32_e64 s0, s41, v0
	s_wait_loadcnt_dscnt 0x0
	v_mov_b64_e32 v[4:5], v[2:3]
	s_and_saveexec_b32 s1, s0
	s_cbranch_execz .LBB920_7
; %bb.6:
	flat_load_b64 v[4:5], v0, s[18:19] scale_offset
.LBB920_7:
	s_wait_xcnt 0x0
	s_or_b32 exec_lo, exec_lo, s1
	v_or_b32_e32 v1, 0x100, v0
	v_mov_b64_e32 v[6:7], v[2:3]
	s_delay_alu instid0(VALU_DEP_2)
	v_cmp_gt_u32_e64 s1, s41, v1
	s_and_saveexec_b32 s4, s1
	s_cbranch_execz .LBB920_9
; %bb.8:
	flat_load_b64 v[6:7], v0, s[18:19] offset:2048 scale_offset
.LBB920_9:
	s_wait_xcnt 0x0
	s_or_b32 exec_lo, exec_lo, s4
	v_or_b32_e32 v1, 0x200, v0
	v_mov_b64_e32 v[8:9], v[2:3]
	s_delay_alu instid0(VALU_DEP_2)
	v_cmp_gt_u32_e64 s4, s41, v1
	s_and_saveexec_b32 s5, s4
	s_cbranch_execz .LBB920_11
; %bb.10:
	flat_load_b64 v[8:9], v0, s[18:19] offset:4096 scale_offset
.LBB920_11:
	;; [unrolled: 11-line block ×12, first 2 shown]
	s_wait_xcnt 0x0
	s_or_b32 exec_lo, exec_lo, s15
	v_or_b32_e32 v1, 0xd00, v0
	s_mov_b32 s22, exec_lo
	s_delay_alu instid0(VALU_DEP_1) | instskip(SKIP_2) | instid1(SALU_CYCLE_1)
	v_cmp_gt_u32_e64 s15, s41, v1
	v_cmpx_le_u32_e64 s41, v1
	s_xor_b32 s22, exec_lo, s22
	s_and_not1_saveexec_b32 s22, s22
	s_cbranch_execz .LBB920_33
; %bb.32:
	flat_load_b64 v[2:3], v0, s[18:19] offset:26624 scale_offset
.LBB920_33:
	s_wait_xcnt 0x0
	s_or_b32 exec_lo, exec_lo, s22
	v_lshlrev_b32_e32 v1, 3, v0
	s_cmp_eq_u64 s[20:21], 0
	s_mov_b64 s[22:23], s[18:19]
	s_wait_loadcnt_dscnt 0x0
	ds_store_2addr_stride64_b64 v1, v[4:5], v[6:7] offset1:4
	ds_store_2addr_stride64_b64 v1, v[8:9], v[10:11] offset0:8 offset1:12
	ds_store_2addr_stride64_b64 v1, v[12:13], v[14:15] offset0:16 offset1:20
	ds_store_2addr_stride64_b64 v1, v[16:17], v[18:19] offset0:24 offset1:28
	ds_store_2addr_stride64_b64 v1, v[20:21], v[22:23] offset0:32 offset1:36
	ds_store_2addr_stride64_b64 v1, v[24:25], v[26:27] offset0:40 offset1:44
	ds_store_2addr_stride64_b64 v1, v[28:29], v[2:3] offset0:48 offset1:52
	v_mad_u32_u24 v103, 0x68, v0, v1
	s_wait_dscnt 0x0
	s_barrier_signal -1
	s_barrier_wait -1
	ds_load_b128 v[76:79], v103 offset:16
	ds_load_2addr_b64 v[64:67], v103 offset0:3 offset1:4
	ds_load_b128 v[72:75], v103
	ds_load_2addr_b64 v[80:83], v103 offset0:1 offset1:2
	ds_load_2addr_b64 v[52:55], v103 offset0:7 offset1:8
	;; [unrolled: 1-line block ×5, first 2 shown]
	ds_load_b64 v[86:87], v103 offset:104
	s_cbranch_scc1 .LBB920_39
; %bb.34:
	s_and_not1_b32 vcc_lo, exec_lo, s40
	s_cbranch_vccnz .LBB920_37
; %bb.35:
	s_lshl_b64 s[22:23], s[20:21], 3
	s_delay_alu instid0(SALU_CYCLE_1) | instskip(NEXT) | instid1(SALU_CYCLE_1)
	s_add_nc_u64 s[22:23], s[42:43], s[22:23]
	s_add_nc_u64 s[22:23], s[22:23], -8
	s_branch .LBB920_38
.LBB920_36:
                                        ; implicit-def: $sgpr6
                                        ; implicit-def: $vgpr97
                                        ; implicit-def: $vgpr90
                                        ; implicit-def: $vgpr96
                                        ; implicit-def: $vgpr95
                                        ; implicit-def: $vgpr108
                                        ; implicit-def: $vgpr89
                                        ; implicit-def: $vgpr104
                                        ; implicit-def: $vgpr101
                                        ; implicit-def: $vgpr20_vgpr21
                                        ; implicit-def: $vgpr34_vgpr35
                                        ; implicit-def: $vgpr38_vgpr39
                                        ; implicit-def: $vgpr42_vgpr43
                                        ; implicit-def: $vgpr46_vgpr47
                                        ; implicit-def: $vgpr62_vgpr63
                                        ; implicit-def: $vgpr4_vgpr5
                                        ; implicit-def: $vgpr110
                                        ; implicit-def: $vgpr93
                                        ; implicit-def: $vgpr91
                                        ; implicit-def: $vgpr92
                                        ; implicit-def: $vgpr94
                                        ; implicit-def: $vgpr102
                                        ; implicit-def: $vgpr100
                                        ; implicit-def: $vgpr98
                                        ; implicit-def: $vgpr99
                                        ; implicit-def: $vgpr88
                                        ; implicit-def: $vgpr109
                                        ; implicit-def: $vgpr106
                                        ; implicit-def: $vgpr105
                                        ; implicit-def: $vgpr84_vgpr85
                                        ; implicit-def: $vgpr28_vgpr29
                                        ; implicit-def: $vgpr24_vgpr25
                                        ; implicit-def: $vgpr16_vgpr17
                                        ; implicit-def: $vgpr12_vgpr13
                                        ; implicit-def: $vgpr1
                                        ; implicit-def: $vgpr30_vgpr31
                                        ; implicit-def: $vgpr26_vgpr27
                                        ; implicit-def: $vgpr22_vgpr23
                                        ; implicit-def: $vgpr14_vgpr15
                                        ; implicit-def: $vgpr10_vgpr11
                                        ; implicit-def: $vgpr6_vgpr7
	v_lshlrev_b32_e32 v64, 3, v0
	s_cbranch_execnz .LBB920_83
	s_branch .LBB920_104
.LBB920_37:
	s_add_nc_u64 s[22:23], s[18:19], -8
	s_mov_b32 s49, -1
.LBB920_38:
	s_delay_alu instid0(SALU_CYCLE_1)
	s_and_not1_b32 vcc_lo, exec_lo, s49
.LBB920_39:
	v_mov_b32_e32 v2, 0
	flat_load_b64 v[8:9], v2, s[22:23]
	s_wait_xcnt 0x0
	v_mad_i32_i24 v2, 0xffffff98, v0, v103
	s_wait_dscnt 0x1
	ds_store_b64 v2, v[86:87] offset:28672
	s_wait_loadcnt_dscnt 0x0
	s_barrier_signal -1
	s_barrier_wait -1
	s_and_saveexec_b32 s22, s3
; %bb.40:
	v_mul_i32_i24_e32 v2, 0xffffff98, v0
	s_delay_alu instid0(VALU_DEP_1)
	v_add_nc_u32_e32 v2, v103, v2
	ds_load_b64 v[8:9], v2 offset:28664
; %bb.41:
	s_or_b32 exec_lo, exec_lo, s22
	s_wait_dscnt 0x0
	s_barrier_signal -1
	s_barrier_wait -1
                                        ; implicit-def: $vgpr2_vgpr3
	s_and_saveexec_b32 s22, s0
	s_cbranch_execnz .LBB920_86
; %bb.42:
	s_or_b32 exec_lo, exec_lo, s22
                                        ; implicit-def: $vgpr4_vgpr5
	s_and_saveexec_b32 s0, s1
	s_cbranch_execnz .LBB920_87
.LBB920_43:
	s_or_b32 exec_lo, exec_lo, s0
                                        ; implicit-def: $vgpr6_vgpr7
	s_and_saveexec_b32 s0, s4
	s_cbranch_execnz .LBB920_88
.LBB920_44:
	s_or_b32 exec_lo, exec_lo, s0
                                        ; implicit-def: $vgpr10_vgpr11
	s_and_saveexec_b32 s0, s5
	s_cbranch_execnz .LBB920_89
.LBB920_45:
	s_or_b32 exec_lo, exec_lo, s0
                                        ; implicit-def: $vgpr12_vgpr13
	s_and_saveexec_b32 s0, s6
	s_cbranch_execnz .LBB920_90
.LBB920_46:
	s_or_b32 exec_lo, exec_lo, s0
                                        ; implicit-def: $vgpr14_vgpr15
	s_and_saveexec_b32 s0, s7
	s_cbranch_execnz .LBB920_91
.LBB920_47:
	s_or_b32 exec_lo, exec_lo, s0
                                        ; implicit-def: $vgpr16_vgpr17
	s_and_saveexec_b32 s0, s8
	s_cbranch_execnz .LBB920_92
.LBB920_48:
	s_or_b32 exec_lo, exec_lo, s0
                                        ; implicit-def: $vgpr18_vgpr19
	s_and_saveexec_b32 s0, s9
	s_cbranch_execnz .LBB920_93
.LBB920_49:
	s_or_b32 exec_lo, exec_lo, s0
                                        ; implicit-def: $vgpr20_vgpr21
	s_and_saveexec_b32 s0, s10
	s_cbranch_execnz .LBB920_94
.LBB920_50:
	s_or_b32 exec_lo, exec_lo, s0
                                        ; implicit-def: $vgpr22_vgpr23
	s_and_saveexec_b32 s0, s11
	s_cbranch_execnz .LBB920_95
.LBB920_51:
	s_or_b32 exec_lo, exec_lo, s0
                                        ; implicit-def: $vgpr24_vgpr25
	s_and_saveexec_b32 s0, s12
	s_cbranch_execnz .LBB920_96
.LBB920_52:
	s_or_b32 exec_lo, exec_lo, s0
                                        ; implicit-def: $vgpr26_vgpr27
	s_and_saveexec_b32 s0, s13
	s_cbranch_execnz .LBB920_97
.LBB920_53:
	s_or_b32 exec_lo, exec_lo, s0
                                        ; implicit-def: $vgpr28_vgpr29
	s_and_saveexec_b32 s0, s14
	s_cbranch_execnz .LBB920_98
.LBB920_54:
	s_or_b32 exec_lo, exec_lo, s0
                                        ; implicit-def: $vgpr30_vgpr31
	s_and_saveexec_b32 s0, s15
	s_cbranch_execz .LBB920_56
.LBB920_55:
	global_load_b64 v[30:31], v0, s[16:17] offset:26624 scale_offset
	s_wait_loadcnt 0x0
	v_sub_nc_u64_e32 v[30:31], 0, v[30:31]
.LBB920_56:
	s_or_b32 exec_lo, exec_lo, s0
	v_mul_u32_u24_e32 v107, 14, v0
	ds_store_2addr_stride64_b64 v1, v[2:3], v[4:5] offset1:4
	ds_store_2addr_stride64_b64 v1, v[6:7], v[10:11] offset0:8 offset1:12
	ds_store_2addr_stride64_b64 v1, v[12:13], v[14:15] offset0:16 offset1:20
	;; [unrolled: 1-line block ×6, first 2 shown]
	v_mov_b64_e32 v[34:35], 0
	v_mov_b64_e32 v[32:33], 0
	;; [unrolled: 1-line block ×24, first 2 shown]
	v_cmp_gt_u32_e32 vcc_lo, s41, v107
	v_dual_mov_b32 v97, 0 :: v_dual_mov_b32 v90, 0
	v_dual_mov_b32 v96, 0 :: v_dual_mov_b32 v95, 0
	;; [unrolled: 1-line block ×11, first 2 shown]
	s_mov_b32 s5, 0
	s_mov_b32 s49, 0
	s_wait_dscnt 0x0
	s_barrier_signal -1
	s_barrier_wait -1
                                        ; implicit-def: $sgpr6
	s_and_saveexec_b32 s7, vcc_lo
	s_cbranch_execz .LBB920_82
; %bb.57:
	ds_load_b64 v[2:3], v103
	v_dual_mov_b32 v97, 0 :: v_dual_bitop2_b32 v1, 1, v107 bitop3:0x54
	v_mov_b64_e32 v[34:35], 0
	v_mov_b64_e32 v[32:33], 0
	;; [unrolled: 1-line block ×23, first 2 shown]
	v_cmp_gt_u32_e64 s0, s41, v1
	v_dual_mov_b32 v90, 0 :: v_dual_mov_b32 v96, 0
	v_dual_mov_b32 v95, 0 :: v_dual_mov_b32 v108, 0
	;; [unrolled: 1-line block ×9, first 2 shown]
	v_mov_b32_e32 v105, 0
	s_mov_b32 s1, 0
	v_cmp_ne_u64_e32 vcc_lo, v[8:9], v[72:73]
                                        ; implicit-def: $sgpr6
	s_and_saveexec_b32 s8, s0
	s_cbranch_execz .LBB920_81
; %bb.58:
	ds_load_2addr_b64 v[6:9], v103 offset0:1 offset1:2
	v_cmp_ne_u64_e64 s0, v[74:75], v[82:83]
	v_cmp_ne_u64_e64 s4, v[72:73], v[80:81]
	v_dual_add_nc_u32 v5, 2, v107 :: v_dual_mov_b32 v97, 0
	v_cmp_ne_u64_e64 s1, v[78:79], v[66:67]
	v_mov_b64_e32 v[34:35], 0
	v_mov_b64_e32 v[32:33], 0
	v_cndmask_b32_e64 v1, 0, 1, s0
	v_cmp_ne_u64_e64 s0, v[76:77], v[64:65]
	v_mov_b64_e32 v[38:39], 0
	v_mov_b64_e32 v[36:37], 0
	;; [unrolled: 1-line block ×19, first 2 shown]
	v_lshlrev_b16 v1, 8, v1
	v_cndmask_b32_e64 v4, 0, 1, s4
	v_cmp_gt_u32_e64 s4, s41, v5
	v_dual_mov_b32 v90, 0 :: v_dual_mov_b32 v96, 0
	v_dual_mov_b32 v95, 0 :: v_dual_mov_b32 v89, 0
	;; [unrolled: 1-line block ×8, first 2 shown]
	v_mov_b32_e32 v105, 0
	s_mov_b32 s10, 0
                                        ; implicit-def: $sgpr6
	s_and_saveexec_b32 s9, s4
	s_cbranch_execz .LBB920_80
; %bb.59:
	v_cndmask_b32_e64 v5, 0, 1, s1
	v_cndmask_b32_e64 v10, 0, 1, s0
	v_and_b32_e32 v11, 0xffff, v1
	v_dual_mov_b32 v97, 0 :: v_dual_add_nc_u32 v12, 3, v107
	s_delay_alu instid0(VALU_DEP_4)
	v_lshlrev_b16 v5, 8, v5
	v_mov_b32_e32 v95, 0
	v_mov_b64_e32 v[34:35], 0
	v_mov_b64_e32 v[32:33], 0
	;; [unrolled: 1-line block ×3, first 2 shown]
	v_or_b32_e32 v5, v10, v5
	v_mov_b64_e32 v[36:37], 0
	v_mov_b64_e32 v[42:43], 0
	;; [unrolled: 1-line block ×4, first 2 shown]
	v_dual_mov_b32 v93, 0 :: v_dual_lshlrev_b32 v60, 16, v5
	v_mov_b64_e32 v[44:45], 0
	v_mov_b64_e32 v[62:63], 0
	;; [unrolled: 1-line block ×3, first 2 shown]
	s_delay_alu instid0(VALU_DEP_4) | instskip(SKIP_3) | instid1(VALU_DEP_4)
	v_dual_mov_b32 v91, 0 :: v_dual_bitop2_b32 v10, v11, v60 bitop3:0x54
	v_mov_b64_e32 v[30:31], 0
	v_mov_b64_e32 v[84:85], 0
	v_mov_b64_e32 v[26:27], 0
	v_dual_mov_b32 v92, 0 :: v_dual_lshrrev_b32 v89, 8, v10
	v_mov_b64_e32 v[28:29], 0
	v_mov_b64_e32 v[22:23], 0
	;; [unrolled: 1-line block ×6, first 2 shown]
	v_dual_mov_b32 v90, 0 :: v_dual_mov_b32 v96, 0
	v_dual_mov_b32 v104, 0 :: v_dual_mov_b32 v101, 0
	v_cmp_gt_u32_e64 s0, s41, v12
	v_dual_mov_b32 v94, 0 :: v_dual_mov_b32 v102, 0
	v_dual_mov_b32 v100, 0 :: v_dual_mov_b32 v98, 0
	;; [unrolled: 1-line block ×3, first 2 shown]
	v_mov_b32_e32 v105, 0
	s_mov_b32 s1, 0
                                        ; implicit-def: $sgpr6
	s_and_saveexec_b32 s10, s0
	s_cbranch_execz .LBB920_79
; %bb.60:
	ds_load_2addr_b64 v[10:13], v103 offset0:3 offset1:4
	v_dual_mov_b32 v97, 0 :: v_dual_add_nc_u32 v14, 4, v107
	v_mov_b64_e32 v[34:35], 0
	v_mov_b64_e32 v[32:33], 0
	;; [unrolled: 1-line block ×3, first 2 shown]
	s_delay_alu instid0(VALU_DEP_4)
	v_cmp_gt_u32_e64 s0, s41, v14
	v_mov_b64_e32 v[36:37], 0
	v_mov_b64_e32 v[42:43], 0
	;; [unrolled: 1-line block ×14, first 2 shown]
	v_dual_mov_b32 v90, 0 :: v_dual_mov_b32 v96, 0
	v_dual_mov_b32 v95, 0 :: v_dual_mov_b32 v101, 0
	;; [unrolled: 1-line block ×6, first 2 shown]
	v_mov_b32_e32 v105, 0
                                        ; implicit-def: $sgpr6
	s_and_saveexec_b32 s11, s0
	s_cbranch_execz .LBB920_78
; %bb.61:
	v_dual_mov_b32 v97, 0 :: v_dual_add_nc_u32 v14, 5, v107
	v_mov_b64_e32 v[34:35], 0
	v_mov_b64_e32 v[32:33], 0
	;; [unrolled: 1-line block ×3, first 2 shown]
	s_delay_alu instid0(VALU_DEP_4)
	v_cmp_gt_u32_e64 s0, s41, v14
	v_mov_b64_e32 v[36:37], 0
	v_mov_b64_e32 v[42:43], 0
	;; [unrolled: 1-line block ×12, first 2 shown]
	v_dual_mov_b32 v90, 0 :: v_dual_mov_b32 v96, 0
	v_dual_mov_b32 v95, 0 :: v_dual_mov_b32 v93, 0
	;; [unrolled: 1-line block ×5, first 2 shown]
                                        ; implicit-def: $sgpr6
	s_and_saveexec_b32 s12, s0
	s_cbranch_execz .LBB920_77
; %bb.62:
	ds_load_2addr_b64 v[14:17], v103 offset0:5 offset1:6
	v_cmp_ne_u64_e64 s0, v[68:69], v[70:71]
	v_cmp_ne_u64_e64 s4, v[66:67], v[68:69]
	v_dual_mov_b32 v90, 0 :: v_dual_add_nc_u32 v19, 6, v107
	v_cmp_ne_u64_e64 s1, v[52:53], v[54:55]
	v_mov_b64_e32 v[34:35], 0
	v_mov_b64_e32 v[32:33], 0
	v_cndmask_b32_e64 v18, 0, 1, s0
	v_cmp_ne_u64_e64 s0, v[70:71], v[52:53]
	v_cndmask_b32_e64 v45, 0, 1, s4
	v_cmp_gt_u32_e64 s4, s41, v19
	v_mov_b64_e32 v[38:39], 0
	v_lshlrev_b16 v44, 8, v18
	v_mov_b64_e32 v[36:37], 0
	v_mov_b64_e32 v[42:43], 0
	;; [unrolled: 1-line block ×10, first 2 shown]
	v_dual_mov_b32 v96, 0 :: v_dual_mov_b32 v95, 0
	v_dual_mov_b32 v93, 0 :: v_dual_mov_b32 v91, 0
	;; [unrolled: 1-line block ×4, first 2 shown]
	v_mov_b32_e32 v99, 0
	s_mov_b32 s14, 0
                                        ; implicit-def: $sgpr6
	s_and_saveexec_b32 s13, s4
	s_cbranch_execz .LBB920_76
; %bb.63:
	v_cndmask_b32_e64 v18, 0, 1, s1
	v_cndmask_b32_e64 v19, 0, 1, s0
	v_and_b32_e32 v20, 0xffff, v44
	v_mov_b64_e32 v[34:35], 0
	v_mov_b64_e32 v[32:33], 0
	v_lshlrev_b16 v18, 8, v18
	v_mov_b32_e32 v95, 0
	v_mov_b64_e32 v[38:39], 0
	v_mov_b64_e32 v[36:37], 0
	;; [unrolled: 1-line block ×3, first 2 shown]
	v_or_b32_e32 v40, v19, v18
	v_mov_b64_e32 v[18:19], 0
	v_mov_b64_e32 v[30:31], 0
	;; [unrolled: 1-line block ×4, first 2 shown]
	v_dual_mov_b32 v92, 0 :: v_dual_lshlrev_b32 v41, 16, v40
	v_mov_b64_e32 v[28:29], 0
	v_mov_b64_e32 v[22:23], 0
	v_dual_mov_b32 v96, 0 :: v_dual_add_nc_u32 v21, 7, v107
	s_delay_alu instid0(VALU_DEP_4) | instskip(SKIP_1) | instid1(VALU_DEP_2)
	v_dual_mov_b32 v94, 0 :: v_dual_bitop2_b32 v20, v20, v41 bitop3:0x54
	v_dual_mov_b32 v93, 0 :: v_dual_mov_b32 v91, 0
	v_dual_mov_b32 v99, 0 :: v_dual_lshrrev_b32 v90, 8, v20
	s_mov_b32 s1, 0
	s_mov_b32 s14, exec_lo
                                        ; implicit-def: $sgpr6
	v_cmpx_gt_u32_e64 s41, v21
	s_cbranch_execz .LBB920_75
; %bb.64:
	ds_load_2addr_b64 v[22:25], v103 offset0:7 offset1:8
	v_dual_mov_b32 v95, 0 :: v_dual_add_nc_u32 v18, 8, v107
	v_mov_b64_e32 v[34:35], 0
	v_mov_b64_e32 v[32:33], 0
	;; [unrolled: 1-line block ×3, first 2 shown]
	s_delay_alu instid0(VALU_DEP_4)
	v_cmp_gt_u32_e64 s0, s41, v18
	v_mov_b64_e32 v[36:37], 0
	v_mov_b64_e32 v[18:19], 0
	;; [unrolled: 1-line block ×6, first 2 shown]
	v_dual_mov_b32 v93, 0 :: v_dual_mov_b32 v91, 0
	v_dual_mov_b32 v92, 0 :: v_dual_mov_b32 v94, 0
                                        ; implicit-def: $sgpr6
	s_and_saveexec_b32 s15, s0
	s_cbranch_execz .LBB920_74
; %bb.65:
	v_dual_mov_b32 v93, 0 :: v_dual_add_nc_u32 v18, 9, v107
	v_mov_b64_e32 v[34:35], 0
	v_mov_b64_e32 v[32:33], 0
	v_mov_b64_e32 v[38:39], 0
	s_delay_alu instid0(VALU_DEP_4)
	v_cmp_gt_u32_e64 s0, s41, v18
	v_mov_b64_e32 v[18:19], 0
	v_mov_b64_e32 v[30:31], 0
	v_mov_b64_e32 v[84:85], 0
	v_mov_b64_e32 v[26:27], 0
	v_dual_mov_b32 v91, 0 :: v_dual_mov_b32 v92, 0
	v_mov_b32_e32 v94, 0
                                        ; implicit-def: $sgpr6
	s_and_saveexec_b32 s22, s0
	s_cbranch_execz .LBB920_73
; %bb.66:
	ds_load_2addr_b64 v[26:29], v103 offset0:9 offset1:10
	v_cmp_ne_u64_e64 s0, v[56:57], v[58:59]
	v_cmp_ne_u64_e64 s4, v[54:55], v[56:57]
	v_dual_add_nc_u32 v19, 10, v107 :: v_dual_mov_b32 v91, 0
	v_cmp_ne_u64_e64 s1, v[48:49], v[50:51]
	v_mov_b64_e32 v[34:35], 0
	v_mov_b64_e32 v[32:33], 0
	v_cndmask_b32_e64 v18, 0, 1, s0
	v_cmp_ne_u64_e64 s0, v[58:59], v[48:49]
	v_cndmask_b32_e64 v37, 0, 1, s4
	v_cmp_gt_u32_e64 s4, s41, v19
	v_mov_b64_e32 v[30:31], 0
	v_lshlrev_b16 v36, 8, v18
	v_mov_b64_e32 v[18:19], 0
	v_mov_b64_e32 v[84:85], 0
	v_dual_mov_b32 v92, 0 :: v_dual_mov_b32 v94, 0
                                        ; implicit-def: $sgpr6
	s_and_saveexec_b32 s23, s4
	s_cbranch_execz .LBB920_72
; %bb.67:
	v_cndmask_b32_e64 v18, 0, 1, s1
	v_cndmask_b32_e64 v19, 0, 1, s0
	v_mov_b64_e32 v[30:31], 0
	s_mov_b32 s4, 0
	s_mov_b32 s1, exec_lo
	v_lshlrev_b16 v18, 8, v18
                                        ; implicit-def: $sgpr6
	v_dual_add_nc_u32 v20, 11, v107 :: v_dual_mov_b32 v92, 0
	s_delay_alu instid0(VALU_DEP_2) | instskip(SKIP_1) | instid1(VALU_DEP_2)
	v_dual_mov_b32 v94, 0 :: v_dual_bitop2_b32 v34, v19, v18 bitop3:0x54
	v_and_b32_e32 v18, 0xffff, v36
	v_lshlrev_b32_e32 v35, 16, v34
	s_delay_alu instid0(VALU_DEP_1) | instskip(SKIP_1) | instid1(VALU_DEP_2)
	v_or_b32_e32 v21, v18, v35
	v_mov_b64_e32 v[18:19], 0
	v_lshrrev_b32_e32 v91, 8, v21
	v_cmpx_gt_u32_e64 s41, v20
	s_cbranch_execz .LBB920_71
; %bb.68:
	ds_load_2addr_b64 v[30:33], v103 offset0:11 offset1:12
	v_mov_b64_e32 v[18:19], 0
	v_dual_add_nc_u32 v20, 12, v107 :: v_dual_mov_b32 v94, 0
	s_mov_b32 s49, exec_lo
                                        ; implicit-def: $sgpr6
	s_delay_alu instid0(VALU_DEP_1)
	v_cmpx_gt_u32_e64 s41, v20
	s_xor_b32 s49, exec_lo, s49
	s_cbranch_execz .LBB920_70
; %bb.69:
	ds_load_b64 v[20:21], v103 offset:104
	v_add_nc_u32_e32 v18, 13, v107
	v_cmp_ne_u64_e64 s6, v[50:51], v[86:87]
	v_lshrrev_b32_e32 v94, 24, v35
	s_delay_alu instid0(VALU_DEP_3)
	v_cmp_gt_u32_e64 s0, s41, v18
	s_wait_dscnt 0x1
	v_mov_b64_e32 v[18:19], v[32:33]
	s_and_b32 s4, s0, exec_lo
.LBB920_70:
	s_or_b32 exec_lo, exec_lo, s49
	v_mov_b32_e32 v92, v34
	s_and_b32 s4, s4, exec_lo
.LBB920_71:
	s_or_b32 exec_lo, exec_lo, s1
	s_wait_dscnt 0x0
	v_mov_b64_e32 v[34:35], v[30:31]
	v_mov_b64_e32 v[32:33], v[28:29]
	;; [unrolled: 1-line block ×3, first 2 shown]
	s_and_b32 s49, s4, exec_lo
.LBB920_72:
	s_or_b32 exec_lo, exec_lo, s23
	s_wait_dscnt 0x0
	v_mov_b64_e32 v[38:39], v[26:27]
	v_or_b32_e32 v93, v37, v36
	s_and_b32 s1, s49, exec_lo
.LBB920_73:
	s_or_b32 exec_lo, exec_lo, s22
	s_wait_dscnt 0x0
	v_mov_b64_e32 v[36:37], v[24:25]
	v_mov_b64_e32 v[28:29], v[24:25]
	v_lshrrev_b32_e32 v95, 24, v41
	s_and_b32 s1, s1, exec_lo
.LBB920_74:
	s_or_b32 exec_lo, exec_lo, s15
	s_wait_dscnt 0x0
	v_mov_b64_e32 v[42:43], v[22:23]
	v_dual_mov_b32 v96, v40 :: v_dual_mov_b32 v99, v95
	s_and_b32 s1, s1, exec_lo
.LBB920_75:
	s_or_b32 exec_lo, exec_lo, s14
	s_wait_dscnt 0x0
	v_mov_b64_e32 v[40:41], v[16:17]
	v_mov_b64_e32 v[24:25], v[16:17]
	v_dual_mov_b32 v100, v90 :: v_dual_mov_b32 v98, v96
	s_and_b32 s14, s1, exec_lo
.LBB920_76:
	s_or_b32 exec_lo, exec_lo, s13
	s_wait_dscnt 0x0
	v_mov_b64_e32 v[46:47], v[14:15]
	v_or_b32_e32 v97, v45, v44
	s_and_b32 s1, s14, exec_lo
.LBB920_77:
	s_or_b32 exec_lo, exec_lo, s12
	s_delay_alu instid0(VALU_DEP_1)
	v_dual_mov_b32 v102, v97 :: v_dual_lshrrev_b32 v101, 24, v60
	s_wait_dscnt 0x0
	v_mov_b64_e32 v[44:45], v[12:13]
	v_mov_b64_e32 v[16:17], v[12:13]
	s_and_b32 s1, s1, exec_lo
	v_mov_b32_e32 v105, v101
.LBB920_78:
	s_or_b32 exec_lo, exec_lo, s11
	s_wait_dscnt 0x0
	v_mov_b64_e32 v[62:63], v[10:11]
	v_dual_mov_b32 v104, v5 :: v_dual_mov_b32 v106, v5
	s_and_b32 s1, s1, exec_lo
.LBB920_79:
	s_or_b32 exec_lo, exec_lo, s10
	s_wait_dscnt 0x0
	v_mov_b64_e32 v[60:61], v[8:9]
	v_mov_b64_e32 v[12:13], v[8:9]
	v_mov_b32_e32 v109, v89
	s_and_b32 s10, s1, exec_lo
.LBB920_80:
	s_or_b32 exec_lo, exec_lo, s9
	v_or_b32_e32 v108, v4, v1
	s_wait_dscnt 0x0
	v_mov_b64_e32 v[4:5], v[6:7]
	s_and_b32 s1, s10, exec_lo
	s_delay_alu instid0(VALU_DEP_2)
	v_mov_b32_e32 v88, v108
.LBB920_81:
	s_or_b32 exec_lo, exec_lo, s8
	v_cndmask_b32_e64 v110, 0, 1, vcc_lo
	s_and_b32 s49, s1, exec_lo
	s_delay_alu instid0(VALU_DEP_1)
	v_mov_b32_e32 v1, v110
.LBB920_82:
	s_or_b32 exec_lo, exec_lo, s7
	v_lshlrev_b32_e32 v64, 3, v0
	s_and_b32 vcc_lo, exec_lo, s5
	s_cbranch_vccz .LBB920_104
.LBB920_83:
	s_wait_dscnt 0x0
	s_clause 0xd
	flat_load_b64 v[2:3], v0, s[18:19] scale_offset
	flat_load_b64 v[4:5], v0, s[18:19] offset:2048 scale_offset
	flat_load_b64 v[6:7], v0, s[18:19] offset:4096 scale_offset
	;; [unrolled: 1-line block ×13, first 2 shown]
	v_mad_u32_u24 v48, 0x68, v0, v64
	v_mov_b32_e32 v1, 0
	s_cmp_eq_u64 s[20:21], 0
	s_wait_loadcnt_dscnt 0xc0c
	ds_store_2addr_stride64_b64 v64, v[2:3], v[4:5] offset1:4
	s_wait_loadcnt_dscnt 0xa0b
	ds_store_2addr_stride64_b64 v64, v[6:7], v[8:9] offset0:8 offset1:12
	s_wait_loadcnt_dscnt 0x80a
	ds_store_2addr_stride64_b64 v64, v[10:11], v[12:13] offset0:16 offset1:20
	;; [unrolled: 2-line block ×6, first 2 shown]
	s_wait_dscnt 0x0
	s_barrier_signal -1
	s_barrier_wait -1
	ds_load_b128 v[6:9], v48 offset:16
	ds_load_2addr_b64 v[10:13], v48 offset0:3 offset1:4
	ds_load_b128 v[2:5], v48
	ds_load_2addr_b64 v[14:17], v48 offset0:1 offset1:2
	ds_load_2addr_b64 v[18:21], v48 offset0:7 offset1:8
	ds_load_2addr_b64 v[22:25], v48 offset0:5 offset1:6
	ds_load_2addr_b64 v[26:29], v48 offset0:11 offset1:12
	ds_load_2addr_b64 v[30:33], v48 offset0:9 offset1:10
	ds_load_b64 v[34:35], v48 offset:104
	s_cbranch_scc1 .LBB920_101
; %bb.84:
	s_and_not1_b32 vcc_lo, exec_lo, s40
	s_cbranch_vccnz .LBB920_99
; %bb.85:
	s_lshl_b64 s[0:1], s[20:21], 3
	s_delay_alu instid0(SALU_CYCLE_1) | instskip(NEXT) | instid1(SALU_CYCLE_1)
	s_add_nc_u64 s[0:1], s[42:43], s[0:1]
	s_add_nc_u64 s[18:19], s[0:1], -8
	s_mov_b32 s0, 0
	s_branch .LBB920_100
.LBB920_86:
	global_load_b64 v[2:3], v0, s[16:17] scale_offset
	s_wait_loadcnt 0x0
	v_sub_nc_u64_e32 v[2:3], 0, v[2:3]
	s_or_b32 exec_lo, exec_lo, s22
                                        ; implicit-def: $vgpr4_vgpr5
	s_and_saveexec_b32 s0, s1
	s_cbranch_execz .LBB920_43
.LBB920_87:
	global_load_b64 v[4:5], v0, s[16:17] offset:2048 scale_offset
	s_wait_loadcnt 0x0
	v_sub_nc_u64_e32 v[4:5], 0, v[4:5]
	s_or_b32 exec_lo, exec_lo, s0
                                        ; implicit-def: $vgpr6_vgpr7
	s_and_saveexec_b32 s0, s4
	s_cbranch_execz .LBB920_44
.LBB920_88:
	global_load_b64 v[6:7], v0, s[16:17] offset:4096 scale_offset
	s_wait_loadcnt 0x0
	v_sub_nc_u64_e32 v[6:7], 0, v[6:7]
	s_or_b32 exec_lo, exec_lo, s0
                                        ; implicit-def: $vgpr10_vgpr11
	s_and_saveexec_b32 s0, s5
	s_cbranch_execz .LBB920_45
.LBB920_89:
	global_load_b64 v[10:11], v0, s[16:17] offset:6144 scale_offset
	s_wait_loadcnt 0x0
	v_sub_nc_u64_e32 v[10:11], 0, v[10:11]
	s_or_b32 exec_lo, exec_lo, s0
                                        ; implicit-def: $vgpr12_vgpr13
	s_and_saveexec_b32 s0, s6
	s_cbranch_execz .LBB920_46
.LBB920_90:
	global_load_b64 v[12:13], v0, s[16:17] offset:8192 scale_offset
	s_wait_loadcnt 0x0
	v_sub_nc_u64_e32 v[12:13], 0, v[12:13]
	s_or_b32 exec_lo, exec_lo, s0
                                        ; implicit-def: $vgpr14_vgpr15
	s_and_saveexec_b32 s0, s7
	s_cbranch_execz .LBB920_47
.LBB920_91:
	global_load_b64 v[14:15], v0, s[16:17] offset:10240 scale_offset
	s_wait_loadcnt 0x0
	v_sub_nc_u64_e32 v[14:15], 0, v[14:15]
	s_or_b32 exec_lo, exec_lo, s0
                                        ; implicit-def: $vgpr16_vgpr17
	s_and_saveexec_b32 s0, s8
	s_cbranch_execz .LBB920_48
.LBB920_92:
	global_load_b64 v[16:17], v0, s[16:17] offset:12288 scale_offset
	s_wait_loadcnt 0x0
	v_sub_nc_u64_e32 v[16:17], 0, v[16:17]
	s_or_b32 exec_lo, exec_lo, s0
                                        ; implicit-def: $vgpr18_vgpr19
	s_and_saveexec_b32 s0, s9
	s_cbranch_execz .LBB920_49
.LBB920_93:
	global_load_b64 v[18:19], v0, s[16:17] offset:14336 scale_offset
	s_wait_loadcnt 0x0
	v_sub_nc_u64_e32 v[18:19], 0, v[18:19]
	s_or_b32 exec_lo, exec_lo, s0
                                        ; implicit-def: $vgpr20_vgpr21
	s_and_saveexec_b32 s0, s10
	s_cbranch_execz .LBB920_50
.LBB920_94:
	global_load_b64 v[20:21], v0, s[16:17] offset:16384 scale_offset
	s_wait_loadcnt 0x0
	v_sub_nc_u64_e32 v[20:21], 0, v[20:21]
	s_or_b32 exec_lo, exec_lo, s0
                                        ; implicit-def: $vgpr22_vgpr23
	s_and_saveexec_b32 s0, s11
	s_cbranch_execz .LBB920_51
.LBB920_95:
	global_load_b64 v[22:23], v0, s[16:17] offset:18432 scale_offset
	s_wait_loadcnt 0x0
	v_sub_nc_u64_e32 v[22:23], 0, v[22:23]
	s_or_b32 exec_lo, exec_lo, s0
                                        ; implicit-def: $vgpr24_vgpr25
	s_and_saveexec_b32 s0, s12
	s_cbranch_execz .LBB920_52
.LBB920_96:
	global_load_b64 v[24:25], v0, s[16:17] offset:20480 scale_offset
	s_wait_loadcnt 0x0
	v_sub_nc_u64_e32 v[24:25], 0, v[24:25]
	s_or_b32 exec_lo, exec_lo, s0
                                        ; implicit-def: $vgpr26_vgpr27
	s_and_saveexec_b32 s0, s13
	s_cbranch_execz .LBB920_53
.LBB920_97:
	global_load_b64 v[26:27], v0, s[16:17] offset:22528 scale_offset
	s_wait_loadcnt 0x0
	v_sub_nc_u64_e32 v[26:27], 0, v[26:27]
	s_or_b32 exec_lo, exec_lo, s0
                                        ; implicit-def: $vgpr28_vgpr29
	s_and_saveexec_b32 s0, s14
	s_cbranch_execz .LBB920_54
.LBB920_98:
	global_load_b64 v[28:29], v0, s[16:17] offset:24576 scale_offset
	s_wait_loadcnt 0x0
	v_sub_nc_u64_e32 v[28:29], 0, v[28:29]
	s_or_b32 exec_lo, exec_lo, s0
                                        ; implicit-def: $vgpr30_vgpr31
	s_and_saveexec_b32 s0, s15
	s_cbranch_execnz .LBB920_55
	s_branch .LBB920_56
.LBB920_99:
	s_add_nc_u64 s[18:19], s[18:19], -8
	s_mov_b32 s0, -1
.LBB920_100:
	s_delay_alu instid0(SALU_CYCLE_1)
	s_and_not1_b32 vcc_lo, exec_lo, s0
.LBB920_101:
	flat_load_b64 v[36:37], v1, s[18:19]
	s_wait_xcnt 0x0
	v_mad_i32_i24 v1, 0xffffff98, v0, v48
	s_wait_dscnt 0x1
	ds_store_b64 v1, v[34:35] offset:28672
	s_wait_loadcnt_dscnt 0x0
	s_barrier_signal -1
	s_barrier_wait -1
	s_and_saveexec_b32 s0, s3
; %bb.102:
	v_mul_i32_i24_e32 v1, 0xffffff98, v0
	s_delay_alu instid0(VALU_DEP_1)
	v_add_nc_u32_e32 v1, v48, v1
	ds_load_b64 v[36:37], v1 offset:28664
; %bb.103:
	s_or_b32 exec_lo, exec_lo, s0
	s_wait_dscnt 0x0
	s_barrier_signal -1
	s_barrier_wait -1
	s_clause 0xd
	global_load_b64 v[38:39], v0, s[16:17] scale_offset
	global_load_b64 v[40:41], v0, s[16:17] offset:2048 scale_offset
	global_load_b64 v[42:43], v0, s[16:17] offset:4096 scale_offset
	;; [unrolled: 1-line block ×13, first 2 shown]
	v_cmp_ne_u64_e32 vcc_lo, v[30:31], v[32:33]
	v_cmp_ne_u64_e64 s6, v[28:29], v[34:35]
	s_mov_b32 s49, -1
	v_cndmask_b32_e64 v1, 0, 1, vcc_lo
	v_cmp_ne_u64_e32 vcc_lo, v[20:21], v[30:31]
	v_cndmask_b32_e64 v30, 0, 1, vcc_lo
	v_cmp_ne_u64_e32 vcc_lo, v[26:27], v[28:29]
	;; [unrolled: 2-line block ×9, first 2 shown]
	s_delay_alu instid0(VALU_DEP_2) | instskip(SKIP_3) | instid1(VALU_DEP_4)
	v_lshlrev_b16 v4, 8, v4
	v_cndmask_b32_e64 v5, 0, 1, vcc_lo
	v_cmp_ne_u64_e32 vcc_lo, v[8:9], v[12:13]
	v_lshlrev_b16 v9, 8, v20
	v_and_b32_e32 v49, 0xffff, v4
	s_delay_alu instid0(VALU_DEP_4) | instskip(SKIP_3) | instid1(VALU_DEP_3)
	v_or_b32_e32 v108, v5, v4
	v_cndmask_b32_e64 v8, 0, 1, vcc_lo
	v_cmp_ne_u64_e32 vcc_lo, v[6:7], v[10:11]
	v_lshlrev_b16 v7, 8, v27
	v_lshlrev_b16 v8, 8, v8
	s_delay_alu instid0(VALU_DEP_2) | instskip(SKIP_4) | instid1(VALU_DEP_4)
	v_and_b32_e32 v31, 0xffff, v7
	v_cndmask_b32_e64 v6, 0, 1, vcc_lo
	v_cmp_ne_u64_e32 vcc_lo, v[36:37], v[2:3]
	v_lshlrev_b16 v2, 8, v1
	v_lshlrev_b16 v3, 8, v28
	v_or_b32_e32 v104, v6, v8
	v_or_b32_e32 v97, v22, v7
	v_cndmask_b32_e64 v110, 0, 1, vcc_lo
	s_delay_alu instid0(VALU_DEP_3) | instskip(NEXT) | instid1(VALU_DEP_2)
	v_dual_lshlrev_b32 v71, 16, v104 :: v_dual_bitop2_b32 v96, v18, v9 bitop3:0x54
	v_dual_mov_b32 v102, v97 :: v_dual_mov_b32 v1, v110
	v_or_b32_e32 v92, v26, v3
	s_delay_alu instid0(VALU_DEP_3) | instskip(SKIP_2) | instid1(VALU_DEP_4)
	v_dual_lshrrev_b32 v101, 24, v71 :: v_dual_lshlrev_b32 v70, 16, v96
	v_or_b32_e32 v93, v30, v2
	v_and_b32_e32 v30, 0xffff, v2
	v_dual_mov_b32 v98, v96 :: v_dual_lshlrev_b32 v65, 16, v92
	s_delay_alu instid0(VALU_DEP_4) | instskip(NEXT) | instid1(VALU_DEP_2)
	v_dual_mov_b32 v88, v108 :: v_dual_lshrrev_b32 v95, 24, v70
	v_dual_mov_b32 v106, v104 :: v_dual_lshrrev_b32 v94, 24, v65
	s_delay_alu instid0(VALU_DEP_2)
	v_mov_b32_e32 v99, v95
	s_wait_loadcnt 0xd
	v_sub_nc_u64_e32 v[2:3], 0, v[38:39]
	s_wait_loadcnt 0xc
	v_sub_nc_u64_e32 v[4:5], 0, v[40:41]
	;; [unrolled: 2-line block ×14, first 2 shown]
	ds_store_2addr_stride64_b64 v64, v[2:3], v[4:5] offset1:4
	ds_store_2addr_stride64_b64 v64, v[6:7], v[8:9] offset0:8 offset1:12
	ds_store_2addr_stride64_b64 v64, v[10:11], v[12:13] offset0:16 offset1:20
	;; [unrolled: 1-line block ×6, first 2 shown]
	s_wait_dscnt 0x0
	s_barrier_signal -1
	s_barrier_wait -1
	ds_load_b128 v[36:39], v48 offset:64
	ds_load_b128 v[32:35], v48 offset:80
	;; [unrolled: 1-line block ×4, first 2 shown]
	ds_load_b128 v[2:5], v48
	ds_load_b128 v[60:63], v48 offset:16
	ds_load_b128 v[18:21], v48 offset:96
	v_or_b32_e32 v6, v30, v65
	v_or_b32_e32 v7, v31, v70
	s_delay_alu instid0(VALU_DEP_2) | instskip(NEXT) | instid1(VALU_DEP_1)
	v_dual_lshrrev_b32 v91, 8, v6 :: v_dual_bitop2_b32 v8, v49, v71 bitop3:0x54
	v_dual_lshrrev_b32 v90, 8, v7 :: v_dual_lshrrev_b32 v89, 8, v8
	s_delay_alu instid0(VALU_DEP_1) | instskip(NEXT) | instid1(VALU_DEP_2)
	v_dual_mov_b32 v105, v101 :: v_dual_mov_b32 v100, v90
	v_mov_b32_e32 v109, v89
	s_wait_dscnt 0x6
	v_mov_b64_e32 v[26:27], v[38:39]
	s_wait_dscnt 0x5
	v_mov_b64_e32 v[30:31], v[34:35]
	v_mov_b64_e32 v[84:85], v[32:33]
	v_mov_b64_e32 v[28:29], v[36:37]
	s_wait_dscnt 0x3
	v_mov_b64_e32 v[22:23], v[42:43]
	v_mov_b64_e32 v[24:25], v[40:41]
	;; [unrolled: 4-line block ×3, first 2 shown]
	v_mov_b64_e32 v[10:11], v[62:63]
	v_mov_b64_e32 v[6:7], v[4:5]
.LBB920_104:
	v_mov_b64_e32 v[8:9], 0
	v_mov_b32_e32 v65, 0
	s_and_saveexec_b32 s0, s49
	s_cbranch_execz .LBB920_106
; %bb.105:
	v_mov_b64_e32 v[6:7], v[4:5]
	v_mov_b64_e32 v[12:13], v[60:61]
	;; [unrolled: 1-line block ×11, first 2 shown]
	s_wait_dscnt 0x0
	v_mov_b64_e32 v[8:9], v[20:21]
	v_cndmask_b32_e64 v65, 0, 1, s6
	v_dual_mov_b32 v1, v110 :: v_dual_mov_b32 v88, v108
	v_dual_mov_b32 v109, v89 :: v_dual_mov_b32 v106, v104
	;; [unrolled: 1-line block ×4, first 2 shown]
	v_mov_b32_e32 v99, v95
.LBB920_106:
	s_or_b32 exec_lo, exec_lo, s0
	v_dual_lshrrev_b32 v63, 1, v0 :: v_dual_bitop2_b32 v66, 1, v109 bitop3:0x40
	v_and_b32_e32 v62, 1, v102
	s_delay_alu instid0(VALU_DEP_3)
	v_and_b32_e32 v61, 1, v99
	v_and_b32_e32 v60, 1, v92
	;; [unrolled: 1-line block ×6, first 2 shown]
	v_cmp_eq_u32_e64 s15, 1, v66
	v_bitop3_b16 v68, v105, 0xff, v106 bitop3:0xc8
	v_and_b32_e32 v74, 0xff, v99
	v_and_b32_e32 v76, 0xff, v98
	;; [unrolled: 1-line block ×4, first 2 shown]
	v_cmp_eq_u32_e64 s16, 1, v62
	v_bitop3_b16 v69, v98, 0xff, v100 bitop3:0xc8
	v_cmp_eq_u32_e64 s17, 1, v61
	v_and_b32_e32 v71, 0xff, v94
	v_and_b32_e32 v72, 0xff, v92
	;; [unrolled: 1-line block ×4, first 2 shown]
	v_bitop3_b16 v70, v91, 0xff, v93 bitop3:0xc8
	v_cmp_eq_u32_e64 s18, 1, v60
	v_cmp_eq_u16_e64 s0, 0, v65
	v_bitop3_b16 v67, v65, 0xff, v94 bitop3:0xc8
	s_cmp_lg_u32 s48, 0
	s_wait_dscnt 0x0
	v_cmp_gt_u32_e32 vcc_lo, 32, v0
	s_barrier_signal -1
	s_barrier_wait -1
	s_cbranch_scc0 .LBB920_156
; %bb.107:
	v_cmp_eq_u16_e64 s1, 0, v82
	v_cmp_eq_u16_e64 s4, 0, v81
	;; [unrolled: 1-line block ×5, first 2 shown]
	v_dual_cndmask_b32 v5, 0, v3, s1 :: v_dual_cndmask_b32 v4, 0, v2, s1
	v_cmp_eq_u16_e64 s8, 0, v77
	v_cmp_eq_u16_e64 s9, 0, v76
	;; [unrolled: 1-line block ×4, first 2 shown]
	v_add_nc_u64_e32 v[4:5], v[4:5], v[6:7]
	v_cmp_eq_u16_e64 s12, 0, v73
	v_cmp_eq_u16_e64 s13, 0, v72
	;; [unrolled: 1-line block ×3, first 2 shown]
	v_cmp_ne_u16_e64 s21, 0, v70
	v_bitop3_b16 v20, v88, 0xff, v1 bitop3:0xc8
	v_cmp_ne_u16_e64 s20, 0, v69
	v_dual_cndmask_b32 v5, 0, v5, s4 :: v_dual_cndmask_b32 v4, 0, v4, s4
	v_cmp_ne_u16_e64 s22, 0, v67
	v_cmp_ne_u16_e64 s19, 0, v68
	s_or_b32 s18, s21, s18
	v_cmp_ne_u16_e64 s23, 0, v20
	v_add_nc_u64_e32 v[4:5], v[4:5], v[12:13]
	s_or_b32 s17, s20, s17
	s_or_b32 s18, s22, s18
	;; [unrolled: 1-line block ×4, first 2 shown]
	v_and_b32_e32 v21, 0x70, v63
	s_or_b32 s15, s23, s15
	v_dual_cndmask_b32 v5, 0, v5, s5 :: v_dual_cndmask_b32 v4, 0, v4, s5
	s_or_b32 s16, s17, s16
	s_delay_alu instid0(VALU_DEP_2) | instskip(SKIP_1) | instid1(VALU_DEP_2)
	v_lshl_add_u32 v20, v0, 4, v21
	s_or_b32 s18, s16, s15
	v_add_nc_u64_e32 v[4:5], v[4:5], v[10:11]
	v_cndmask_b32_e64 v35, 0, 1, s18
	s_delay_alu instid0(VALU_DEP_2) | instskip(NEXT) | instid1(VALU_DEP_1)
	v_dual_cndmask_b32 v5, 0, v5, s6 :: v_dual_cndmask_b32 v4, 0, v4, s6
	v_add_nc_u64_e32 v[4:5], v[4:5], v[16:17]
	s_delay_alu instid0(VALU_DEP_1) | instskip(NEXT) | instid1(VALU_DEP_1)
	v_dual_cndmask_b32 v5, 0, v5, s7 :: v_dual_cndmask_b32 v4, 0, v4, s7
	v_add_nc_u64_e32 v[4:5], v[4:5], v[14:15]
	s_delay_alu instid0(VALU_DEP_1) | instskip(NEXT) | instid1(VALU_DEP_1)
	v_dual_cndmask_b32 v5, 0, v5, s8 :: v_dual_cndmask_b32 v4, 0, v4, s8
	v_add_nc_u64_e32 v[4:5], v[4:5], v[24:25]
	s_delay_alu instid0(VALU_DEP_1) | instskip(NEXT) | instid1(VALU_DEP_1)
	v_dual_cndmask_b32 v5, 0, v5, s9 :: v_dual_cndmask_b32 v4, 0, v4, s9
	v_add_nc_u64_e32 v[4:5], v[4:5], v[22:23]
	s_delay_alu instid0(VALU_DEP_1) | instskip(NEXT) | instid1(VALU_DEP_1)
	v_dual_cndmask_b32 v5, 0, v5, s10 :: v_dual_cndmask_b32 v4, 0, v4, s10
	v_add_nc_u64_e32 v[4:5], v[4:5], v[28:29]
	s_delay_alu instid0(VALU_DEP_1) | instskip(NEXT) | instid1(VALU_DEP_1)
	v_dual_cndmask_b32 v5, 0, v5, s11 :: v_dual_cndmask_b32 v4, 0, v4, s11
	v_add_nc_u64_e32 v[4:5], v[4:5], v[26:27]
	s_delay_alu instid0(VALU_DEP_1) | instskip(NEXT) | instid1(VALU_DEP_1)
	v_dual_cndmask_b32 v5, 0, v5, s12 :: v_dual_cndmask_b32 v4, 0, v4, s12
	v_add_nc_u64_e32 v[4:5], v[4:5], v[84:85]
	s_delay_alu instid0(VALU_DEP_1) | instskip(NEXT) | instid1(VALU_DEP_1)
	v_dual_cndmask_b32 v5, 0, v5, s13 :: v_dual_cndmask_b32 v4, 0, v4, s13
	v_add_nc_u64_e32 v[4:5], v[4:5], v[30:31]
	s_delay_alu instid0(VALU_DEP_1) | instskip(NEXT) | instid1(VALU_DEP_1)
	v_dual_cndmask_b32 v5, 0, v5, s14 :: v_dual_cndmask_b32 v4, 0, v4, s14
	v_add_nc_u64_e32 v[4:5], v[4:5], v[18:19]
	s_delay_alu instid0(VALU_DEP_1) | instskip(NEXT) | instid1(VALU_DEP_1)
	v_dual_cndmask_b32 v5, 0, v5, s0 :: v_dual_cndmask_b32 v4, 0, v4, s0
	v_add_nc_u64_e32 v[4:5], v[4:5], v[8:9]
	ds_store_b64 v20, v[4:5]
	ds_store_b8 v20, v35 offset:8
	s_wait_dscnt 0x0
	s_barrier_signal -1
	s_barrier_wait -1
	s_and_saveexec_b32 s19, vcc_lo
	s_cbranch_execz .LBB920_119
; %bb.108:
	v_dual_lshlrev_b32 v20, 2, v0 :: v_dual_lshlrev_b32 v21, 7, v0
	s_delay_alu instid0(VALU_DEP_1) | instskip(NEXT) | instid1(VALU_DEP_1)
	v_and_b32_e32 v20, 0x3f0, v20
	v_add_nc_u32_e32 v34, v20, v21
	ds_load_u8 v37, v34 offset:24
	ds_load_b64 v[20:21], v34
	ds_load_2addr_b64 v[38:41], v34 offset0:2 offset1:4
	ds_load_u8 v46, v34 offset:40
	ds_load_b32 v36, v34 offset:8
	ds_load_u8 v47, v34 offset:56
	ds_load_u8 v48, v34 offset:72
	;; [unrolled: 1-line block ×4, first 2 shown]
	s_wait_dscnt 0x8
	v_cmp_eq_u16_e64 s15, 0, v37
	s_wait_dscnt 0x7
	s_delay_alu instid0(VALU_DEP_1)
	v_dual_cndmask_b32 v33, 0, v21, s15 :: v_dual_cndmask_b32 v32, 0, v20, s15
	s_wait_dscnt 0x5
	v_cmp_eq_u16_e64 s15, 0, v46
	ds_load_2addr_b64 v[42:45], v34 offset0:6 offset1:8
	s_wait_dscnt 0x4
	v_bitop3_b16 v37, v46, v47, v37 bitop3:0xfe
	v_add_nc_u64_e32 v[32:33], v[32:33], v[38:39]
	s_delay_alu instid0(VALU_DEP_1) | instskip(SKIP_1) | instid1(VALU_DEP_2)
	v_dual_cndmask_b32 v33, 0, v33, s15 :: v_dual_cndmask_b32 v32, 0, v32, s15
	v_cmp_eq_u16_e64 s15, 0, v47
	v_add_nc_u64_e32 v[32:33], v[32:33], v[40:41]
	ds_load_2addr_b64 v[38:41], v34 offset0:10 offset1:12
	ds_load_u8 v51, v34 offset:120
	v_dual_cndmask_b32 v33, 0, v33, s15 :: v_dual_cndmask_b32 v32, 0, v32, s15
	s_wait_dscnt 0x5
	v_cmp_eq_u16_e64 s15, 0, v48
	s_wait_dscnt 0x2
	s_delay_alu instid0(VALU_DEP_2) | instskip(SKIP_1) | instid1(VALU_DEP_2)
	v_add_nc_u64_e32 v[32:33], v[32:33], v[42:43]
	v_bitop3_b16 v42, v49, v50, v48 bitop3:0xfe
	v_dual_cndmask_b32 v33, 0, v33, s15 :: v_dual_cndmask_b32 v32, 0, v32, s15
	v_cmp_eq_u16_e64 s15, 0, v49
	s_wait_dscnt 0x0
	s_delay_alu instid0(VALU_DEP_3) | instskip(SKIP_3) | instid1(VALU_DEP_1)
	v_bitop3_b16 v37, v51, v37, v42 bitop3:0xfe
	ds_load_b64 v[42:43], v34 offset:112
	v_cmp_eq_u16_e64 s17, 0, v51
	v_add_nc_u64_e32 v[32:33], v[32:33], v[44:45]
	v_dual_cndmask_b32 v32, 0, v32, s15 :: v_dual_bitop2_b32 v37, 1, v37 bitop3:0x40
	s_delay_alu instid0(VALU_DEP_2) | instskip(SKIP_1) | instid1(VALU_DEP_3)
	v_cndmask_b32_e64 v33, 0, v33, s15
	v_cmp_eq_u16_e64 s15, 0, v50
	v_cmp_eq_u32_e64 s16, 1, v37
	v_and_b32_e32 v37, 0xffffff00, v36
	s_delay_alu instid0(VALU_DEP_4) | instskip(NEXT) | instid1(VALU_DEP_1)
	v_add_nc_u64_e32 v[32:33], v[32:33], v[38:39]
	v_dual_cndmask_b32 v33, 0, v33, s15 :: v_dual_bitop2_b32 v38, 1, v36 bitop3:0x40
	s_delay_alu instid0(VALU_DEP_2) | instskip(NEXT) | instid1(VALU_DEP_2)
	v_cndmask_b32_e64 v32, 0, v32, s15
	v_cmp_eq_u32_e64 s15, 1, v38
	v_mbcnt_lo_u32_b32 v38, -1, 0
	s_delay_alu instid0(VALU_DEP_3) | instskip(SKIP_1) | instid1(SALU_CYCLE_1)
	v_add_nc_u64_e32 v[32:33], v[32:33], v[40:41]
	s_or_b32 s16, s16, s15
	v_cndmask_b32_e64 v40, 0, 1, s16
	v_cndmask_b32_e64 v39, 0, 1, s16
	s_delay_alu instid0(VALU_DEP_3) | instskip(NEXT) | instid1(VALU_DEP_3)
	v_dual_cndmask_b32 v33, 0, v33, s17 :: v_dual_cndmask_b32 v32, 0, v32, s17
	v_or_b32_e32 v41, v37, v40
	v_and_b32_e32 v40, 15, v38
	s_mov_b32 s17, exec_lo
	s_wait_dscnt 0x0
	v_add_nc_u64_e32 v[32:33], v[32:33], v[42:43]
	v_mov_b32_dpp v43, v41 row_shr:1 row_mask:0xf bank_mask:0xf
	s_delay_alu instid0(VALU_DEP_2) | instskip(NEXT) | instid1(VALU_DEP_3)
	v_mov_b32_dpp v42, v32 row_shr:1 row_mask:0xf bank_mask:0xf
	v_mov_b32_dpp v44, v33 row_shr:1 row_mask:0xf bank_mask:0xf
	v_cmpx_ne_u32_e32 0, v40
; %bb.109:
	s_delay_alu instid0(VALU_DEP_4) | instskip(NEXT) | instid1(VALU_DEP_3)
	v_bitop3_b16 v39, v43, v39, 1 bitop3:0xec
	v_cndmask_b32_e64 v43, v44, 0, s16
	v_cndmask_b32_e64 v42, v42, 0, s16
	s_delay_alu instid0(VALU_DEP_3) | instskip(NEXT) | instid1(VALU_DEP_2)
	v_and_b32_e32 v41, 0xffff, v39
	v_add_nc_u64_e32 v[32:33], v[42:43], v[32:33]
	s_delay_alu instid0(VALU_DEP_2)
	v_or_b32_e32 v41, v37, v41
; %bb.110:
	s_or_b32 exec_lo, exec_lo, s17
	s_delay_alu instid0(VALU_DEP_2) | instskip(NEXT) | instid1(VALU_DEP_3)
	v_mov_b32_dpp v42, v32 row_shr:2 row_mask:0xf bank_mask:0xf
	v_mov_b32_dpp v43, v33 row_shr:2 row_mask:0xf bank_mask:0xf
	s_delay_alu instid0(VALU_DEP_3)
	v_mov_b32_dpp v44, v41 row_shr:2 row_mask:0xf bank_mask:0xf
	s_mov_b32 s20, exec_lo
	v_cmpx_lt_u32_e32 1, v40
	s_cbranch_execz .LBB920_112
; %bb.111:
	v_cmp_eq_u16_e64 s15, 0, v39
	v_and_b32_e32 v41, 1, v39
	s_delay_alu instid0(VALU_DEP_2) | instskip(SKIP_1) | instid1(VALU_DEP_3)
	v_dual_cndmask_b32 v43, 0, v43, s15 :: v_dual_bitop2_b32 v44, 1, v44 bitop3:0x40
	v_cndmask_b32_e64 v42, 0, v42, s15
	v_cmp_eq_u32_e64 s16, 1, v41
	s_delay_alu instid0(VALU_DEP_3) | instskip(NEXT) | instid1(VALU_DEP_3)
	v_cmp_eq_u32_e64 s17, 1, v44
	v_add_nc_u64_e32 v[32:33], v[42:43], v[32:33]
	s_or_b32 s15, s16, s17
	s_delay_alu instid0(SALU_CYCLE_1) | instskip(SKIP_1) | instid1(VALU_DEP_2)
	v_cndmask_b32_e64 v41, 0, 1, s15
	v_cndmask_b32_e64 v39, 0, 1, s15
	v_or_b32_e32 v41, v37, v41
.LBB920_112:
	s_or_b32 exec_lo, exec_lo, s20
	s_delay_alu instid0(VALU_DEP_4) | instskip(SKIP_1) | instid1(VALU_DEP_3)
	v_mov_b32_dpp v42, v32 row_shr:4 row_mask:0xf bank_mask:0xf
	v_mov_b32_dpp v43, v33 row_shr:4 row_mask:0xf bank_mask:0xf
	;; [unrolled: 1-line block ×3, first 2 shown]
	s_mov_b32 s20, exec_lo
	v_cmpx_lt_u32_e32 3, v40
	s_cbranch_execz .LBB920_114
; %bb.113:
	v_cmp_eq_u16_e64 s15, 0, v39
	v_and_b32_e32 v41, 1, v39
	s_delay_alu instid0(VALU_DEP_2) | instskip(SKIP_1) | instid1(VALU_DEP_3)
	v_dual_cndmask_b32 v43, 0, v43, s15 :: v_dual_bitop2_b32 v44, 1, v44 bitop3:0x40
	v_cndmask_b32_e64 v42, 0, v42, s15
	v_cmp_eq_u32_e64 s16, 1, v41
	s_delay_alu instid0(VALU_DEP_3) | instskip(NEXT) | instid1(VALU_DEP_3)
	v_cmp_eq_u32_e64 s17, 1, v44
	v_add_nc_u64_e32 v[32:33], v[42:43], v[32:33]
	s_or_b32 s15, s16, s17
	s_delay_alu instid0(SALU_CYCLE_1) | instskip(SKIP_1) | instid1(VALU_DEP_2)
	v_cndmask_b32_e64 v41, 0, 1, s15
	v_cndmask_b32_e64 v39, 0, 1, s15
	v_or_b32_e32 v41, v37, v41
.LBB920_114:
	s_or_b32 exec_lo, exec_lo, s20
	s_delay_alu instid0(VALU_DEP_4) | instskip(SKIP_1) | instid1(VALU_DEP_3)
	v_mov_b32_dpp v42, v32 row_shr:8 row_mask:0xf bank_mask:0xf
	v_mov_b32_dpp v43, v33 row_shr:8 row_mask:0xf bank_mask:0xf
	v_mov_b32_dpp v44, v41 row_shr:8 row_mask:0xf bank_mask:0xf
	s_mov_b32 s20, exec_lo
	v_cmpx_lt_u32_e32 7, v40
	s_cbranch_execz .LBB920_116
; %bb.115:
	v_and_b32_e32 v40, 1, v39
	v_cmp_eq_u16_e64 s15, 0, v39
	v_and_b32_e32 v41, 1, v44
	s_delay_alu instid0(VALU_DEP_3) | instskip(NEXT) | instid1(VALU_DEP_3)
	v_cmp_eq_u32_e64 s16, 1, v40
	v_cndmask_b32_e64 v40, 0, v42, s15
	s_delay_alu instid0(VALU_DEP_3) | instskip(SKIP_2) | instid1(VALU_DEP_1)
	v_cmp_eq_u32_e64 s17, 1, v41
	v_cndmask_b32_e64 v41, 0, v43, s15
	s_or_b32 s15, s16, s17
	v_add_nc_u64_e32 v[32:33], v[40:41], v[32:33]
	v_cndmask_b32_e64 v42, 0, 1, s15
	v_cndmask_b32_e64 v39, 0, 1, s15
	s_delay_alu instid0(VALU_DEP_2)
	v_or_b32_e32 v41, v37, v42
.LBB920_116:
	s_or_b32 exec_lo, exec_lo, s20
	ds_swizzle_b32 v40, v32 offset:swizzle(BROADCAST,32,15)
	ds_swizzle_b32 v42, v33 offset:swizzle(BROADCAST,32,15)
	;; [unrolled: 1-line block ×3, first 2 shown]
	v_and_b32_e32 v43, 16, v38
	s_mov_b32 s17, exec_lo
	s_delay_alu instid0(VALU_DEP_1)
	v_cmpx_ne_u32_e32 0, v43
	s_cbranch_execz .LBB920_118
; %bb.117:
	v_cmp_eq_u16_e64 s15, 0, v39
	v_and_b32_e32 v39, 1, v39
	s_wait_dscnt 0x0
	s_delay_alu instid0(VALU_DEP_2) | instskip(SKIP_1) | instid1(VALU_DEP_3)
	v_dual_cndmask_b32 v40, 0, v40, s15 :: v_dual_bitop2_b32 v43, 1, v41 bitop3:0x40
	v_cndmask_b32_e64 v41, 0, v42, s15
	v_cmp_eq_u32_e64 s15, 1, v39
	s_delay_alu instid0(VALU_DEP_3) | instskip(NEXT) | instid1(VALU_DEP_3)
	v_cmp_eq_u32_e64 s16, 1, v43
	v_add_nc_u64_e32 v[32:33], v[40:41], v[32:33]
	s_or_b32 s15, s15, s16
	s_delay_alu instid0(SALU_CYCLE_1)
	v_cndmask_b32_e64 v39, 0, 1, s15
.LBB920_118:
	s_or_b32 exec_lo, exec_lo, s17
	s_wait_dscnt 0x2
	v_add_nc_u32_e32 v40, -1, v38
	s_delay_alu instid0(VALU_DEP_2) | instskip(NEXT) | instid1(VALU_DEP_2)
	v_and_b32_e32 v39, 0xffff, v39
	; wave barrier
	v_cmp_gt_i32_e64 s15, 0, v40
	s_delay_alu instid0(VALU_DEP_1) | instskip(NEXT) | instid1(VALU_DEP_1)
	v_dual_cndmask_b32 v38, v40, v38, s15 :: v_dual_bitop2_b32 v37, v37, v39 bitop3:0x54
	v_lshlrev_b32_e32 v38, 2, v38
	ds_bpermute_b32 v33, v38, v33
	ds_bpermute_b32 v32, v38, v32
	;; [unrolled: 1-line block ×3, first 2 shown]
	v_and_b32_e32 v38, 0xff, v36
	s_delay_alu instid0(VALU_DEP_1) | instskip(SKIP_1) | instid1(VALU_DEP_1)
	v_cmp_eq_u32_e64 s15, 0, v38
	s_wait_dscnt 0x1
	v_dual_cndmask_b32 v33, 0, v33, s15 :: v_dual_cndmask_b32 v32, 0, v32, s15
	s_wait_dscnt 0x0
	v_or_b32_e32 v36, v37, v36
	s_delay_alu instid0(VALU_DEP_2) | instskip(NEXT) | instid1(VALU_DEP_1)
	v_add_nc_u64_e32 v[20:21], v[32:33], v[20:21]
	v_dual_cndmask_b32 v21, v21, v5, s2 :: v_dual_bitop2_b32 v32, 1, v36 bitop3:0x40
	s_delay_alu instid0(VALU_DEP_2) | instskip(NEXT) | instid1(VALU_DEP_2)
	v_cndmask_b32_e64 v20, v20, v4, s2
	v_cndmask_b32_e64 v35, v32, v35, s2
	ds_store_b64 v34, v[20:21]
	ds_store_b8 v34, v35 offset:8
	; wave barrier
	ds_load_u8 v48, v34 offset:24
	ds_load_2addr_b64 v[36:39], v34 offset0:2 offset1:4
	ds_load_u8 v49, v34 offset:40
	ds_load_u8 v50, v34 offset:56
	;; [unrolled: 1-line block ×5, first 2 shown]
	ds_load_b64 v[32:33], v34 offset:112
	ds_load_u8 v54, v34 offset:120
	s_wait_dscnt 0x8
	v_and_b32_e32 v40, 0xff, v48
	v_bitop3_b16 v56, v48, 1, v35 bitop3:0xc8
	s_wait_dscnt 0x5
	v_and_b32_e32 v46, 0xff, v50
	s_delay_alu instid0(VALU_DEP_3) | instskip(SKIP_3) | instid1(VALU_DEP_3)
	v_cmp_eq_u16_e64 s15, 0, v40
	v_and_b32_e32 v40, 0xff, v49
	s_wait_dscnt 0x3
	v_and_b32_e32 v55, 0xff, v52
	v_dual_cndmask_b32 v21, 0, v21, s15 :: v_dual_cndmask_b32 v20, 0, v20, s15
	s_delay_alu instid0(VALU_DEP_3) | instskip(SKIP_2) | instid1(VALU_DEP_1)
	v_cmp_eq_u16_e64 s15, 0, v40
	ds_load_2addr_b64 v[40:43], v34 offset0:6 offset1:8
	v_add_nc_u64_e32 v[20:21], v[20:21], v[36:37]
	v_dual_cndmask_b32 v37, 0, v21, s15 :: v_dual_cndmask_b32 v36, 0, v20, s15
	v_cmp_eq_u16_e64 s15, 0, v46
	s_delay_alu instid0(VALU_DEP_2) | instskip(SKIP_1) | instid1(VALU_DEP_2)
	v_add_nc_u64_e32 v[44:45], v[36:37], v[38:39]
	v_and_b32_e32 v38, 0xff, v51
	v_dual_cndmask_b32 v37, 0, v45, s15 :: v_dual_cndmask_b32 v36, 0, v44, s15
	s_delay_alu instid0(VALU_DEP_2) | instskip(SKIP_1) | instid1(VALU_DEP_2)
	v_cmp_eq_u16_e64 s15, 0, v38
	s_wait_dscnt 0x0
	v_add_nc_u64_e32 v[40:41], v[36:37], v[40:41]
	ds_load_2addr_b64 v[36:39], v34 offset0:10 offset1:12
	v_dual_cndmask_b32 v47, 0, v41, s15 :: v_dual_cndmask_b32 v46, 0, v40, s15
	v_cmp_eq_u16_e64 s15, 0, v55
	v_and_b32_e32 v55, 0xff, v53
	s_delay_alu instid0(VALU_DEP_3) | instskip(NEXT) | instid1(VALU_DEP_1)
	v_add_nc_u64_e32 v[42:43], v[46:47], v[42:43]
	v_dual_cndmask_b32 v47, 0, v43, s15 :: v_dual_cndmask_b32 v46, 0, v42, s15
	s_delay_alu instid0(VALU_DEP_3) | instskip(SKIP_4) | instid1(VALU_DEP_3)
	v_cmp_eq_u16_e64 s15, 0, v55
	v_or_b32_e32 v55, v48, v35
	v_bitop3_b16 v35, v49, v48, v35 bitop3:0xfe
	s_wait_dscnt 0x0
	v_add_nc_u64_e32 v[36:37], v[46:47], v[36:37]
	v_bitop3_b16 v48, v50, v49, v55 bitop3:0xfe
	v_bitop3_b16 v49, v49, 1, v55 bitop3:0xc8
	;; [unrolled: 1-line block ×4, first 2 shown]
	v_dual_cndmask_b32 v47, 0, v37, s15 :: v_dual_cndmask_b32 v46, 0, v36, s15
	v_cmp_eq_u16_e64 s15, 0, v54
	s_delay_alu instid0(VALU_DEP_3) | instskip(SKIP_1) | instid1(VALU_DEP_4)
	v_bitop3_b16 v50, v53, v52, v35 bitop3:0xfe
	v_bitop3_b16 v35, v52, 1, v35 bitop3:0xc8
	v_add_nc_u64_e32 v[38:39], v[46:47], v[38:39]
	v_bitop3_b16 v46, v52, v51, v48 bitop3:0xfe
	v_bitop3_b16 v48, v51, 1, v48 bitop3:0xc8
	ds_store_2addr_b64 v34, v[20:21], v[44:45] offset0:2 offset1:4
	ds_store_2addr_b64 v34, v[40:41], v[42:43] offset0:6 offset1:8
	;; [unrolled: 1-line block ×3, first 2 shown]
	v_bitop3_b16 v51, v53, 1, v46 bitop3:0xc8
	v_dual_cndmask_b32 v47, 0, v39, s15 :: v_dual_cndmask_b32 v46, 0, v38, s15
	v_bitop3_b16 v50, v54, 1, v50 bitop3:0xc8
	s_delay_alu instid0(VALU_DEP_2)
	v_add_nc_u64_e32 v[20:21], v[46:47], v[32:33]
	ds_store_b8 v34, v56 offset:24
	ds_store_b8 v34, v49 offset:40
	;; [unrolled: 1-line block ×6, first 2 shown]
	ds_store_b64 v34, v[20:21] offset:112
	ds_store_b8 v34, v50 offset:120
.LBB920_119:
	s_or_b32 exec_lo, exec_lo, s19
	s_wait_dscnt 0x0
	s_barrier_signal -1
	s_barrier_wait -1
	s_and_saveexec_b32 s16, s3
	s_cbranch_execz .LBB920_121
; %bb.120:
	v_add_nc_u32_e32 v4, -1, v0
	s_and_not1_b32 s17, s18, exec_lo
	s_delay_alu instid0(VALU_DEP_1) | instskip(NEXT) | instid1(VALU_DEP_1)
	v_lshrrev_b32_e32 v5, 1, v4
	v_and_b32_e32 v5, 0x7ffffff0, v5
	s_delay_alu instid0(VALU_DEP_1) | instskip(SKIP_4) | instid1(VALU_DEP_1)
	v_lshl_add_u32 v4, v4, 4, v5
	ds_load_u8 v20, v4 offset:8
	ds_load_b64 v[4:5], v4
	s_wait_dscnt 0x1
	v_and_b32_e32 v20, 1, v20
	v_cmp_eq_u32_e64 s15, 1, v20
	s_and_b32 s15, s15, exec_lo
	s_delay_alu instid0(SALU_CYCLE_1)
	s_or_b32 s18, s17, s15
.LBB920_121:
	s_or_b32 exec_lo, exec_lo, s16
	s_and_saveexec_b32 s19, vcc_lo
	s_cbranch_execz .LBB920_209
; %bb.122:
	v_mov_b32_e32 v35, 0
	v_mbcnt_lo_u32_b32 v39, -1, 0
	s_mov_b32 s17, 0
	ds_load_b64 v[20:21], v35 offset:4192
	ds_load_u8 v38, v35 offset:4200
	v_cmp_eq_u32_e64 s15, 0, v39
	s_and_saveexec_b32 s20, s15
	s_cbranch_execz .LBB920_124
; %bb.123:
	s_add_co_i32 s16, s48, 32
	s_delay_alu instid0(SALU_CYCLE_1) | instskip(SKIP_1) | instid1(SALU_CYCLE_1)
	v_dual_mov_b32 v32, 1 :: v_dual_mov_b32 v33, s16
	s_lshl_b64 s[22:23], s[16:17], 4
	s_add_nc_u64 s[16:17], s[24:25], s[22:23]
	s_wait_dscnt 0x1
	global_store_b64 v35, v[20:21], s[16:17]
	s_wait_dscnt 0x0
	global_store_b8 v35, v38, s[16:17] offset:8
	global_wb scope:SCOPE_DEV
	s_wait_storecnt 0x0
	global_inv scope:SCOPE_DEV
	s_wait_xcnt 0x0
	global_store_b8 v33, v32, s[28:29] scope:SCOPE_DEV
.LBB920_124:
	s_wait_xcnt 0x0
	s_or_b32 exec_lo, exec_lo, s20
	v_xad_u32 v32, v39, -1, s48
	s_mov_b32 s16, exec_lo
	s_delay_alu instid0(VALU_DEP_1)
	v_add_nc_u32_e32 v34, 32, v32
	global_load_u8 v40, v34, s[28:29] scope:SCOPE_DEV
	s_wait_loadcnt 0x0
	v_cmpx_eq_u16_e32 0, v40
	s_cbranch_execz .LBB920_128
; %bb.125:
	v_add_nc_u64_e32 v[36:37], s[28:29], v[34:35]
	s_mov_b32 s17, 0
.LBB920_126:                            ; =>This Inner Loop Header: Depth=1
	global_load_u8 v40, v[36:37], off scope:SCOPE_DEV
	s_wait_loadcnt 0x0
	v_cmp_ne_u16_e32 vcc_lo, 0, v40
	s_or_b32 s17, vcc_lo, s17
	s_wait_xcnt 0x0
	s_and_not1_b32 exec_lo, exec_lo, s17
	s_cbranch_execnz .LBB920_126
; %bb.127:
	s_or_b32 exec_lo, exec_lo, s17
.LBB920_128:
	s_delay_alu instid0(SALU_CYCLE_1)
	s_or_b32 exec_lo, exec_lo, s16
	v_dual_mov_b32 v33, s25 :: v_dual_mov_b32 v36, s24
	v_cmp_eq_u16_e32 vcc_lo, 1, v40
	global_wb scope:SCOPE_DEV
	s_wait_storecnt_dscnt 0x0
	global_inv scope:SCOPE_DEV
	v_lshlrev_b32_e64 v42, v39, -1
	s_mov_b32 s16, exec_lo
	v_cndmask_b32_e32 v37, s27, v33, vcc_lo
	v_cndmask_b32_e32 v36, s26, v36, vcc_lo
	v_cmp_ne_u32_e32 vcc_lo, 31, v39
	v_add_co_ci_u32_e64 v33, null, 0, v39, vcc_lo
	v_cmp_eq_u16_e32 vcc_lo, 2, v40
	s_delay_alu instid0(VALU_DEP_2)
	v_lshlrev_b32_e32 v41, 2, v33
	v_lshl_add_u64 v[34:35], v[34:35], 4, v[36:37]
	s_clause 0x1
	global_load_u8 v52, v[34:35], off offset:8
	global_load_b64 v[36:37], v[34:35], off
	v_and_or_b32 v33, vcc_lo, v42, 0x80000000
	s_delay_alu instid0(VALU_DEP_1)
	v_ctz_i32_b32_e32 v33, v33
	s_wait_loadcnt 0x1
	s_wait_xcnt 0x0
	v_and_b32_e32 v34, 1, v52
	s_wait_loadcnt 0x0
	ds_bpermute_b32 v43, v41, v36
	ds_bpermute_b32 v44, v41, v37
	;; [unrolled: 1-line block ×3, first 2 shown]
	v_cmpx_lt_u32_e64 v39, v33
	s_cbranch_execz .LBB920_130
; %bb.129:
	v_and_b32_e32 v34, 0xff, v52
	s_wait_dscnt 0x0
	v_bitop3_b16 v52, v35, v52, 1 bitop3:0xec
	s_delay_alu instid0(VALU_DEP_2) | instskip(NEXT) | instid1(VALU_DEP_2)
	v_cmp_eq_u16_e32 vcc_lo, 0, v34
	v_and_b32_e32 v34, 0xff, v52
	v_dual_cndmask_b32 v45, 0, v44 :: v_dual_cndmask_b32 v44, 0, v43
	s_delay_alu instid0(VALU_DEP_1)
	v_add_nc_u64_e32 v[36:37], v[44:45], v[36:37]
.LBB920_130:
	s_or_b32 exec_lo, exec_lo, s16
	v_cmp_gt_u32_e32 vcc_lo, 30, v39
	s_wait_dscnt 0x1
	v_add_nc_u32_e32 v44, 2, v39
	s_mov_b32 s17, exec_lo
	s_wait_dscnt 0x0
	v_cndmask_b32_e64 v35, 0, 2, vcc_lo
	s_delay_alu instid0(VALU_DEP_1)
	v_add_lshl_u32 v43, v35, v39, 2
	ds_bpermute_b32 v35, v43, v36
	ds_bpermute_b32 v45, v43, v37
	;; [unrolled: 1-line block ×3, first 2 shown]
	v_cmpx_le_u32_e64 v44, v33
	s_cbranch_execz .LBB920_132
; %bb.131:
	v_and_b32_e32 v34, 0xff, v52
	s_delay_alu instid0(VALU_DEP_1) | instskip(SKIP_4) | instid1(VALU_DEP_3)
	v_cmp_eq_u16_e32 vcc_lo, 0, v34
	v_and_b32_e32 v48, 1, v52
	s_wait_dscnt 0x0
	v_dual_cndmask_b32 v46, 0, v35, vcc_lo :: v_dual_bitop2_b32 v34, 1, v46 bitop3:0x40
	v_cndmask_b32_e32 v47, 0, v45, vcc_lo
	v_cmp_eq_u32_e64 s16, 1, v48
	s_delay_alu instid0(VALU_DEP_3) | instskip(NEXT) | instid1(VALU_DEP_3)
	v_cmp_eq_u32_e32 vcc_lo, 1, v34
	v_add_nc_u64_e32 v[36:37], v[46:47], v[36:37]
	s_or_b32 s16, s16, vcc_lo
	s_delay_alu instid0(SALU_CYCLE_1)
	v_cndmask_b32_e64 v52, 0, 1, s16
	v_cndmask_b32_e64 v34, 0, 1, s16
.LBB920_132:
	s_or_b32 exec_lo, exec_lo, s17
	v_cmp_gt_u32_e32 vcc_lo, 28, v39
	s_wait_dscnt 0x0
	v_add_nc_u32_e32 v46, 4, v39
	s_mov_b32 s17, exec_lo
	v_cndmask_b32_e64 v35, 0, 4, vcc_lo
	s_delay_alu instid0(VALU_DEP_1)
	v_add_lshl_u32 v45, v35, v39, 2
	ds_bpermute_b32 v35, v45, v36
	ds_bpermute_b32 v47, v45, v37
	;; [unrolled: 1-line block ×3, first 2 shown]
	v_cmpx_le_u32_e64 v46, v33
	s_cbranch_execz .LBB920_134
; %bb.133:
	v_and_b32_e32 v34, 0xff, v52
	s_delay_alu instid0(VALU_DEP_1) | instskip(SKIP_4) | instid1(VALU_DEP_3)
	v_cmp_eq_u16_e32 vcc_lo, 0, v34
	v_and_b32_e32 v50, 1, v52
	s_wait_dscnt 0x0
	v_dual_cndmask_b32 v48, 0, v35, vcc_lo :: v_dual_bitop2_b32 v34, 1, v48 bitop3:0x40
	v_cndmask_b32_e32 v49, 0, v47, vcc_lo
	v_cmp_eq_u32_e64 s16, 1, v50
	s_delay_alu instid0(VALU_DEP_3) | instskip(NEXT) | instid1(VALU_DEP_3)
	v_cmp_eq_u32_e32 vcc_lo, 1, v34
	v_add_nc_u64_e32 v[36:37], v[48:49], v[36:37]
	s_or_b32 s16, s16, vcc_lo
	s_delay_alu instid0(SALU_CYCLE_1)
	v_cndmask_b32_e64 v52, 0, 1, s16
	v_cndmask_b32_e64 v34, 0, 1, s16
.LBB920_134:
	s_or_b32 exec_lo, exec_lo, s17
	v_cmp_gt_u32_e32 vcc_lo, 24, v39
	s_wait_dscnt 0x0
	v_add_nc_u32_e32 v48, 8, v39
	s_mov_b32 s17, exec_lo
	v_cndmask_b32_e64 v35, 0, 8, vcc_lo
	s_delay_alu instid0(VALU_DEP_1)
	v_add_lshl_u32 v47, v35, v39, 2
	ds_bpermute_b32 v35, v47, v36
	ds_bpermute_b32 v49, v47, v37
	;; [unrolled: 1-line block ×3, first 2 shown]
	v_cmpx_le_u32_e64 v48, v33
	s_cbranch_execz .LBB920_136
; %bb.135:
	v_and_b32_e32 v34, 0xff, v52
	s_delay_alu instid0(VALU_DEP_1) | instskip(SKIP_4) | instid1(VALU_DEP_3)
	v_cmp_eq_u16_e32 vcc_lo, 0, v34
	v_and_b32_e32 v52, 1, v52
	s_wait_dscnt 0x0
	v_dual_cndmask_b32 v50, 0, v35, vcc_lo :: v_dual_bitop2_b32 v34, 1, v50 bitop3:0x40
	v_cndmask_b32_e32 v51, 0, v49, vcc_lo
	v_cmp_eq_u32_e64 s16, 1, v52
	s_delay_alu instid0(VALU_DEP_3) | instskip(NEXT) | instid1(VALU_DEP_3)
	v_cmp_eq_u32_e32 vcc_lo, 1, v34
	v_add_nc_u64_e32 v[36:37], v[50:51], v[36:37]
	s_or_b32 s16, s16, vcc_lo
	s_delay_alu instid0(SALU_CYCLE_1)
	v_cndmask_b32_e64 v52, 0, 1, s16
	v_cndmask_b32_e64 v34, 0, 1, s16
.LBB920_136:
	s_or_b32 exec_lo, exec_lo, s17
	s_wait_dscnt 0x1
	v_lshl_or_b32 v49, v39, 2, 64
	v_add_nc_u32_e32 v51, 16, v39
	s_mov_b32 s17, exec_lo
	ds_bpermute_b32 v35, v49, v36
	s_wait_dscnt 0x1
	ds_bpermute_b32 v50, v49, v37
	ds_bpermute_b32 v34, v49, v34
	v_cmpx_le_u32_e64 v51, v33
	s_cbranch_execz .LBB920_138
; %bb.137:
	v_and_b32_e32 v33, 0xff, v52
	s_delay_alu instid0(VALU_DEP_1) | instskip(SKIP_4) | instid1(VALU_DEP_3)
	v_cmp_eq_u16_e32 vcc_lo, 0, v33
	v_and_b32_e32 v33, 1, v52
	s_wait_dscnt 0x0
	v_dual_cndmask_b32 v52, 0, v35, vcc_lo :: v_dual_bitop2_b32 v34, 1, v34 bitop3:0x40
	v_cndmask_b32_e32 v53, 0, v50, vcc_lo
	v_cmp_eq_u32_e32 vcc_lo, 1, v33
	s_delay_alu instid0(VALU_DEP_3) | instskip(NEXT) | instid1(VALU_DEP_3)
	v_cmp_eq_u32_e64 s16, 1, v34
	v_add_nc_u64_e32 v[36:37], v[52:53], v[36:37]
	s_or_b32 s16, vcc_lo, s16
	s_delay_alu instid0(SALU_CYCLE_1)
	v_cndmask_b32_e64 v52, 0, 1, s16
.LBB920_138:
	s_or_b32 exec_lo, exec_lo, s17
	v_mov_b32_e32 v33, 0
	s_branch .LBB920_141
.LBB920_139:                            ;   in Loop: Header=BB920_141 Depth=1
	s_or_b32 exec_lo, exec_lo, s20
	v_and_b32_e32 v52, 0xff, v50
	v_subrev_nc_u32_e32 v32, 32, v32
	s_delay_alu instid0(VALU_DEP_2) | instskip(SKIP_2) | instid1(VALU_DEP_2)
	v_cmp_eq_u16_e32 vcc_lo, 0, v52
	v_dual_cndmask_b32 v37, 0, v37, vcc_lo :: v_dual_bitop2_b32 v52, 1, v50 bitop3:0x40
	v_cndmask_b32_e32 v36, 0, v36, vcc_lo
	v_cmp_eq_u32_e32 vcc_lo, 1, v52
	s_delay_alu instid0(VALU_DEP_2) | instskip(SKIP_1) | instid1(SALU_CYCLE_1)
	v_add_nc_u64_e32 v[36:37], v[36:37], v[34:35]
	s_or_b32 s16, vcc_lo, s17
	v_cndmask_b32_e64 v52, 0, 1, s16
	s_mov_b32 s16, 0
.LBB920_140:                            ;   in Loop: Header=BB920_141 Depth=1
	s_delay_alu instid0(SALU_CYCLE_1)
	s_and_b32 vcc_lo, exec_lo, s16
	s_cbranch_vccnz .LBB920_205
.LBB920_141:                            ; =>This Loop Header: Depth=1
                                        ;     Child Loop BB920_144 Depth 2
	s_wait_dscnt 0x0
	v_and_b32_e32 v34, 0xff, v40
	v_mov_b32_e32 v50, v52
	s_mov_b32 s16, -1
                                        ; implicit-def: $vgpr52
                                        ; implicit-def: $vgpr40
	s_delay_alu instid0(VALU_DEP_2)
	v_cmp_ne_u16_e32 vcc_lo, 2, v34
	v_mov_b64_e32 v[34:35], v[36:37]
                                        ; implicit-def: $vgpr36_vgpr37
	s_cmp_lg_u32 vcc_lo, exec_lo
	s_cbranch_scc1 .LBB920_140
; %bb.142:                              ;   in Loop: Header=BB920_141 Depth=1
	global_load_u8 v40, v32, s[28:29] scope:SCOPE_DEV
	s_mov_b32 s16, exec_lo
	s_wait_loadcnt 0x0
	v_cmpx_eq_u16_e32 0, v40
	s_cbranch_execz .LBB920_146
; %bb.143:                              ;   in Loop: Header=BB920_141 Depth=1
	v_add_nc_u64_e32 v[36:37], s[28:29], v[32:33]
	s_mov_b32 s17, 0
.LBB920_144:                            ;   Parent Loop BB920_141 Depth=1
                                        ; =>  This Inner Loop Header: Depth=2
	global_load_u8 v40, v[36:37], off scope:SCOPE_DEV
	s_wait_loadcnt 0x0
	v_cmp_ne_u16_e32 vcc_lo, 0, v40
	s_or_b32 s17, vcc_lo, s17
	s_delay_alu instid0(SALU_CYCLE_1)
	s_and_not1_b32 exec_lo, exec_lo, s17
	s_cbranch_execnz .LBB920_144
; %bb.145:                              ;   in Loop: Header=BB920_141 Depth=1
	s_or_b32 exec_lo, exec_lo, s17
.LBB920_146:                            ;   in Loop: Header=BB920_141 Depth=1
	s_delay_alu instid0(SALU_CYCLE_1)
	s_or_b32 exec_lo, exec_lo, s16
	v_dual_mov_b32 v36, s25 :: v_dual_mov_b32 v52, s24
	v_cmp_eq_u16_e32 vcc_lo, 1, v40
	global_wb scope:SCOPE_DEV
	s_wait_storecnt 0x0
	global_inv scope:SCOPE_DEV
	s_mov_b32 s16, exec_lo
	v_cndmask_b32_e32 v37, s27, v36, vcc_lo
	v_cndmask_b32_e32 v36, s26, v52, vcc_lo
	v_cmp_eq_u16_e32 vcc_lo, 2, v40
	s_delay_alu instid0(VALU_DEP_2)
	v_lshl_add_u64 v[54:55], v[32:33], 4, v[36:37]
	v_and_or_b32 v52, vcc_lo, v42, 0x80000000
	s_clause 0x1
	global_load_u8 v53, v[54:55], off offset:8
	global_load_b64 v[36:37], v[54:55], off
	v_ctz_i32_b32_e32 v52, v52
	s_wait_loadcnt 0x1
	s_wait_xcnt 0x0
	v_and_b32_e32 v54, 1, v53
	s_wait_loadcnt 0x0
	ds_bpermute_b32 v56, v41, v36
	ds_bpermute_b32 v57, v41, v37
	;; [unrolled: 1-line block ×3, first 2 shown]
	v_cmpx_lt_u32_e64 v39, v52
	s_cbranch_execz .LBB920_148
; %bb.147:                              ;   in Loop: Header=BB920_141 Depth=1
	v_and_b32_e32 v54, 0xff, v53
	s_wait_dscnt 0x0
	v_bitop3_b16 v53, v55, v53, 1 bitop3:0xec
	s_delay_alu instid0(VALU_DEP_2) | instskip(NEXT) | instid1(VALU_DEP_2)
	v_cmp_eq_u16_e32 vcc_lo, 0, v54
	v_and_b32_e32 v54, 0xff, v53
	v_dual_cndmask_b32 v57, 0, v57 :: v_dual_cndmask_b32 v56, 0, v56
	s_delay_alu instid0(VALU_DEP_1)
	v_add_nc_u64_e32 v[36:37], v[56:57], v[36:37]
.LBB920_148:                            ;   in Loop: Header=BB920_141 Depth=1
	s_or_b32 exec_lo, exec_lo, s16
	s_wait_dscnt 0x0
	ds_bpermute_b32 v55, v43, v36
	ds_bpermute_b32 v56, v43, v37
	;; [unrolled: 1-line block ×3, first 2 shown]
	v_and_b32_e32 v58, 1, v53
	s_mov_b32 s16, exec_lo
	s_delay_alu instid0(VALU_DEP_1)
	v_cmp_eq_u32_e64 s17, 1, v58
	v_cmpx_le_u32_e64 v44, v52
	s_cbranch_execz .LBB920_150
; %bb.149:                              ;   in Loop: Header=BB920_141 Depth=1
	v_and_b32_e32 v53, 0xff, v53
	s_delay_alu instid0(VALU_DEP_1) | instskip(SKIP_3) | instid1(VALU_DEP_2)
	v_cmp_eq_u16_e32 vcc_lo, 0, v53
	s_wait_dscnt 0x0
	v_dual_cndmask_b32 v57, 0, v56, vcc_lo :: v_dual_bitop2_b32 v53, 1, v57 bitop3:0x40
	v_cndmask_b32_e32 v56, 0, v55, vcc_lo
	v_cmp_eq_u32_e32 vcc_lo, 1, v53
	s_delay_alu instid0(VALU_DEP_2)
	v_add_nc_u64_e32 v[36:37], v[56:57], v[36:37]
	s_or_b32 s20, s17, vcc_lo
	s_and_not1_b32 s17, s17, exec_lo
	v_cndmask_b32_e64 v53, 0, 1, s20
	v_cndmask_b32_e64 v54, 0, 1, s20
	s_and_b32 s20, s20, exec_lo
	s_delay_alu instid0(SALU_CYCLE_1)
	s_or_b32 s17, s17, s20
.LBB920_150:                            ;   in Loop: Header=BB920_141 Depth=1
	s_or_b32 exec_lo, exec_lo, s16
	s_wait_dscnt 0x2
	ds_bpermute_b32 v55, v45, v36
	s_wait_dscnt 0x2
	ds_bpermute_b32 v56, v45, v37
	;; [unrolled: 2-line block ×3, first 2 shown]
	s_mov_b32 s20, exec_lo
	v_cmpx_le_u32_e64 v46, v52
	s_cbranch_execz .LBB920_152
; %bb.151:                              ;   in Loop: Header=BB920_141 Depth=1
	v_and_b32_e32 v54, 0xff, v53
	s_and_not1_b32 s17, s17, exec_lo
	s_delay_alu instid0(VALU_DEP_1) | instskip(SKIP_3) | instid1(VALU_DEP_2)
	v_cmp_eq_u16_e32 vcc_lo, 0, v54
	v_and_b32_e32 v53, 1, v53
	s_wait_dscnt 0x0
	v_dual_cndmask_b32 v57, 0, v56, vcc_lo :: v_dual_bitop2_b32 v54, 1, v57 bitop3:0x40
	v_cmp_eq_u32_e64 s16, 1, v53
	v_cndmask_b32_e32 v56, 0, v55, vcc_lo
	s_delay_alu instid0(VALU_DEP_3) | instskip(NEXT) | instid1(VALU_DEP_2)
	v_cmp_eq_u32_e32 vcc_lo, 1, v54
	v_add_nc_u64_e32 v[36:37], v[56:57], v[36:37]
	s_or_b32 s16, s16, vcc_lo
	s_delay_alu instid0(SALU_CYCLE_1) | instskip(SKIP_2) | instid1(SALU_CYCLE_1)
	v_cndmask_b32_e64 v53, 0, 1, s16
	v_cndmask_b32_e64 v54, 0, 1, s16
	s_and_b32 s16, s16, exec_lo
	s_or_b32 s17, s17, s16
.LBB920_152:                            ;   in Loop: Header=BB920_141 Depth=1
	s_or_b32 exec_lo, exec_lo, s20
	s_wait_dscnt 0x2
	ds_bpermute_b32 v55, v47, v36
	s_wait_dscnt 0x2
	ds_bpermute_b32 v56, v47, v37
	;; [unrolled: 2-line block ×3, first 2 shown]
	s_mov_b32 s20, exec_lo
	v_cmpx_le_u32_e64 v48, v52
	s_cbranch_execz .LBB920_154
; %bb.153:                              ;   in Loop: Header=BB920_141 Depth=1
	v_and_b32_e32 v54, 0xff, v53
	s_and_not1_b32 s17, s17, exec_lo
	s_delay_alu instid0(VALU_DEP_1) | instskip(SKIP_3) | instid1(VALU_DEP_2)
	v_cmp_eq_u16_e32 vcc_lo, 0, v54
	v_and_b32_e32 v53, 1, v53
	s_wait_dscnt 0x0
	v_dual_cndmask_b32 v57, 0, v56, vcc_lo :: v_dual_bitop2_b32 v54, 1, v57 bitop3:0x40
	v_cmp_eq_u32_e64 s16, 1, v53
	v_cndmask_b32_e32 v56, 0, v55, vcc_lo
	s_delay_alu instid0(VALU_DEP_3) | instskip(NEXT) | instid1(VALU_DEP_2)
	v_cmp_eq_u32_e32 vcc_lo, 1, v54
	v_add_nc_u64_e32 v[36:37], v[56:57], v[36:37]
	s_or_b32 s16, s16, vcc_lo
	s_delay_alu instid0(SALU_CYCLE_1) | instskip(SKIP_2) | instid1(SALU_CYCLE_1)
	v_cndmask_b32_e64 v53, 0, 1, s16
	v_cndmask_b32_e64 v54, 0, 1, s16
	s_and_b32 s16, s16, exec_lo
	s_or_b32 s17, s17, s16
.LBB920_154:                            ;   in Loop: Header=BB920_141 Depth=1
	s_or_b32 exec_lo, exec_lo, s20
	s_wait_dscnt 0x2
	ds_bpermute_b32 v55, v49, v36
	s_wait_dscnt 0x2
	ds_bpermute_b32 v56, v49, v37
	ds_bpermute_b32 v54, v49, v54
	s_mov_b32 s20, exec_lo
	v_cmpx_le_u32_e64 v51, v52
	s_cbranch_execz .LBB920_139
; %bb.155:                              ;   in Loop: Header=BB920_141 Depth=1
	v_and_b32_e32 v52, 0xff, v53
	s_and_not1_b32 s17, s17, exec_lo
	s_delay_alu instid0(VALU_DEP_1)
	v_cmp_eq_u16_e32 vcc_lo, 0, v52
	s_wait_dscnt 0x3
	v_and_b32_e32 v57, 1, v53
	s_wait_dscnt 0x0
	v_dual_cndmask_b32 v52, 0, v55, vcc_lo :: v_dual_bitop2_b32 v54, 1, v54 bitop3:0x40
	v_cndmask_b32_e32 v53, 0, v56, vcc_lo
	s_delay_alu instid0(VALU_DEP_3) | instskip(NEXT) | instid1(VALU_DEP_3)
	v_cmp_eq_u32_e32 vcc_lo, 1, v57
	v_cmp_eq_u32_e64 s16, 1, v54
	s_delay_alu instid0(VALU_DEP_3) | instskip(SKIP_1) | instid1(SALU_CYCLE_1)
	v_add_nc_u64_e32 v[36:37], v[52:53], v[36:37]
	s_or_b32 s16, vcc_lo, s16
	s_and_b32 s16, s16, exec_lo
	s_delay_alu instid0(SALU_CYCLE_1)
	s_or_b32 s17, s17, s16
	s_branch .LBB920_139
.LBB920_156:
                                        ; implicit-def: $vgpr58_vgpr59
                                        ; implicit-def: $vgpr54_vgpr55
                                        ; implicit-def: $vgpr50_vgpr51
                                        ; implicit-def: $vgpr46_vgpr47
                                        ; implicit-def: $vgpr42_vgpr43
                                        ; implicit-def: $vgpr38_vgpr39
                                        ; implicit-def: $vgpr34_vgpr35
	s_cbranch_execnz .LBB920_210
.LBB920_157:
	s_add_nc_u64 s[0:1], s[34:35], s[44:45]
	s_and_b32 vcc_lo, exec_lo, s31
	s_add_nc_u64 s[0:1], s[0:1], s[36:37]
	s_cbranch_vccz .LBB920_229
.LBB920_158:
	v_mul_u32_u24_e32 v1, 14, v0
	s_add_co_i32 s33, s33, s30
	s_mov_b32 s2, exec_lo
	s_delay_alu instid0(VALU_DEP_1)
	v_cmpx_gt_u32_e64 s33, v1
	s_cbranch_execz .LBB920_178
; %bb.159:
	v_or_b32_e32 v2, 1, v1
	s_mov_b32 s3, exec_lo
	s_delay_alu instid0(VALU_DEP_1)
	v_cmpx_gt_u32_e64 s33, v2
	s_cbranch_execz .LBB920_177
; %bb.160:
	v_add_nc_u32_e32 v2, 2, v1
	s_mov_b32 s4, exec_lo
	s_delay_alu instid0(VALU_DEP_1)
	v_cmpx_gt_u32_e64 s33, v2
	s_cbranch_execz .LBB920_176
; %bb.161:
	v_add_nc_u32_e32 v2, 3, v1
	;; [unrolled: 6-line block ×8, first 2 shown]
	s_mov_b32 s11, exec_lo
	s_delay_alu instid0(VALU_DEP_1)
	v_cmpx_gt_u32_e64 s33, v2
; %bb.168:
	v_add_nc_u32_e32 v2, 10, v1
	s_mov_b32 s12, exec_lo
	s_delay_alu instid0(VALU_DEP_1)
	v_cmpx_gt_u32_e64 s33, v2
	s_or_b32 exec_lo, exec_lo, s12
; %bb.169:
	s_delay_alu instid0(SALU_CYCLE_1)
	s_or_b32 exec_lo, exec_lo, s11
.LBB920_170:
	s_delay_alu instid0(SALU_CYCLE_1)
	s_or_b32 exec_lo, exec_lo, s10
.LBB920_171:
	s_delay_alu instid0(SALU_CYCLE_1)
	s_or_b32 exec_lo, exec_lo, s9
.LBB920_172:
	s_delay_alu instid0(SALU_CYCLE_1)
	s_or_b32 exec_lo, exec_lo, s8
.LBB920_173:
	s_delay_alu instid0(SALU_CYCLE_1)
	s_or_b32 exec_lo, exec_lo, s7
.LBB920_174:
	s_delay_alu instid0(SALU_CYCLE_1)
	s_or_b32 exec_lo, exec_lo, s6
.LBB920_175:
	s_delay_alu instid0(SALU_CYCLE_1)
	s_or_b32 exec_lo, exec_lo, s5
.LBB920_176:
	s_delay_alu instid0(SALU_CYCLE_1)
	s_or_b32 exec_lo, exec_lo, s4
.LBB920_177:
	s_delay_alu instid0(SALU_CYCLE_1)
	s_or_b32 exec_lo, exec_lo, s3
.LBB920_178:
	s_delay_alu instid0(SALU_CYCLE_1)
	s_or_b32 exec_lo, exec_lo, s2
	v_dual_lshlrev_b32 v1, 3, v1 :: v_dual_mov_b32 v65, 0
	s_wait_loadcnt 0x0
	s_wait_storecnt 0x0
	s_barrier_signal -1
	s_barrier_wait -1
	v_mad_i32_i24 v2, 0xffffff98, v0, v1
	ds_store_b128 v1, v[32:35]
	ds_store_b128 v1, v[36:39] offset:16
	ds_store_b128 v1, v[40:43] offset:32
	ds_store_b128 v1, v[44:47] offset:48
	ds_store_b128 v1, v[48:51] offset:64
	ds_store_b128 v1, v[52:55] offset:80
	ds_store_b128 v1, v[56:59] offset:96
	s_wait_dscnt 0x0
	s_barrier_signal -1
	s_barrier_wait -1
	ds_load_2addr_stride64_b64 v[26:29], v2 offset0:4 offset1:8
	ds_load_2addr_stride64_b64 v[22:25], v2 offset0:12 offset1:16
	;; [unrolled: 1-line block ×6, first 2 shown]
	ds_load_b64 v[4:5], v2 offset:26624
	v_add_nc_u64_e32 v[2:3], s[0:1], v[64:65]
	s_mov_b32 s2, exec_lo
	v_cmpx_gt_u32_e64 s33, v0
	s_cbranch_execz .LBB920_180
; %bb.179:
	v_mul_i32_i24_e32 v30, 0xffffff98, v0
	s_delay_alu instid0(VALU_DEP_1)
	v_add_nc_u32_e32 v1, v1, v30
	ds_load_b64 v[30:31], v1
	s_wait_dscnt 0x0
	flat_store_b64 v[2:3], v[30:31]
.LBB920_180:
	s_wait_xcnt 0x0
	s_or_b32 exec_lo, exec_lo, s2
	v_or_b32_e32 v1, 0x100, v0
	s_mov_b32 s2, exec_lo
	s_delay_alu instid0(VALU_DEP_1)
	v_cmpx_gt_u32_e64 s33, v1
	s_cbranch_execz .LBB920_182
; %bb.181:
	s_wait_dscnt 0x6
	flat_store_b64 v[2:3], v[26:27] offset:2048
.LBB920_182:
	s_wait_xcnt 0x0
	s_or_b32 exec_lo, exec_lo, s2
	v_or_b32_e32 v1, 0x200, v0
	s_mov_b32 s2, exec_lo
	s_delay_alu instid0(VALU_DEP_1)
	v_cmpx_gt_u32_e64 s33, v1
	s_cbranch_execz .LBB920_184
; %bb.183:
	s_wait_dscnt 0x6
	flat_store_b64 v[2:3], v[28:29] offset:4096
.LBB920_184:
	;; [unrolled: 11-line block ×12, first 2 shown]
	s_wait_xcnt 0x0
	s_or_b32 exec_lo, exec_lo, s2
	v_or_b32_e32 v1, 0xd00, v0
	s_delay_alu instid0(VALU_DEP_1)
	v_cmp_gt_u32_e64 s2, s33, v1
	s_branch .LBB920_231
.LBB920_205:
	s_and_saveexec_b32 s16, s15
	s_cbranch_execz .LBB920_207
; %bb.206:
	v_and_b32_e32 v32, 0xff, v38
	s_add_co_i32 s20, s48, 32
	s_mov_b32 s21, 0
	v_mov_b32_e32 v37, s20
	v_bitop3_b16 v36, v38, 1, v50 bitop3:0xc8
	v_cmp_eq_u32_e32 vcc_lo, 0, v32
	s_lshl_b64 s[22:23], s[20:21], 4
	s_delay_alu instid0(SALU_CYCLE_1) | instskip(SKIP_1) | instid1(VALU_DEP_1)
	s_add_nc_u64 s[20:21], s[26:27], s[22:23]
	v_dual_cndmask_b32 v33, 0, v35 :: v_dual_cndmask_b32 v32, 0, v34
	v_add_nc_u64_e32 v[20:21], v[32:33], v[20:21]
	v_dual_mov_b32 v32, 0 :: v_dual_mov_b32 v33, 2
	s_clause 0x1
	global_store_b64 v32, v[20:21], s[20:21]
	global_store_b8 v32, v36, s[20:21] offset:8
	global_wb scope:SCOPE_DEV
	s_wait_storecnt_dscnt 0x0
	global_inv scope:SCOPE_DEV
	s_wait_xcnt 0x0
	global_store_b8 v37, v33, s[28:29] scope:SCOPE_DEV
.LBB920_207:
	s_wait_xcnt 0x0
	s_or_b32 exec_lo, exec_lo, s16
	s_delay_alu instid0(SALU_CYCLE_1)
	s_and_b32 exec_lo, exec_lo, s2
	s_cbranch_execz .LBB920_209
; %bb.208:
	v_mov_b32_e32 v20, 0
	ds_store_b64 v20, v[34:35]
	ds_store_b8 v20, v50 offset:8
.LBB920_209:
	s_or_b32 exec_lo, exec_lo, s19
	v_dual_mov_b32 v21, 0 :: v_dual_bitop2_b32 v20, 1, v1 bitop3:0x40
	s_wait_storecnt 0x0
	s_wait_loadcnt_dscnt 0x0
	s_barrier_signal -1
	s_barrier_wait -1
	v_cmp_eq_u32_e32 vcc_lo, 1, v20
	v_and_b32_e32 v32, 0xff, v1
	ds_load_b64 v[20:21], v21
	s_or_b32 s15, vcc_lo, s18
	v_cmp_eq_u16_e32 vcc_lo, 0, v32
	v_cndmask_b32_e64 v33, 0, 1, s15
	v_cndmask_b32_e32 v5, 0, v5, vcc_lo
	s_delay_alu instid0(VALU_DEP_2) | instskip(NEXT) | instid1(VALU_DEP_1)
	v_dual_cndmask_b32 v32, v33, v1, s2 :: v_dual_cndmask_b32 v4, 0, v4, vcc_lo
	v_and_b32_e32 v32, 0xff, v32
	s_delay_alu instid0(VALU_DEP_2) | instskip(NEXT) | instid1(VALU_DEP_2)
	v_cndmask_b32_e64 v4, v4, 0, s2
	v_cmp_eq_u16_e32 vcc_lo, 0, v32
	s_wait_dscnt 0x0
	v_cndmask_b32_e32 v20, 0, v20, vcc_lo
	v_cndmask_b32_e64 v5, v5, 0, s2
	v_cndmask_b32_e32 v21, 0, v21, vcc_lo
	s_delay_alu instid0(VALU_DEP_2) | instskip(NEXT) | instid1(VALU_DEP_1)
	v_add_nc_u64_e32 v[4:5], v[4:5], v[2:3]
	v_add_nc_u64_e32 v[32:33], v[4:5], v[20:21]
	s_delay_alu instid0(VALU_DEP_1) | instskip(NEXT) | instid1(VALU_DEP_1)
	v_dual_cndmask_b32 v5, 0, v33, s1 :: v_dual_cndmask_b32 v4, 0, v32, s1
	v_add_nc_u64_e32 v[34:35], v[4:5], v[6:7]
	s_delay_alu instid0(VALU_DEP_1) | instskip(NEXT) | instid1(VALU_DEP_1)
	v_dual_cndmask_b32 v5, 0, v35, s4 :: v_dual_cndmask_b32 v4, 0, v34, s4
	v_add_nc_u64_e32 v[36:37], v[4:5], v[12:13]
	s_delay_alu instid0(VALU_DEP_1) | instskip(NEXT) | instid1(VALU_DEP_1)
	v_dual_cndmask_b32 v5, 0, v37, s5 :: v_dual_cndmask_b32 v4, 0, v36, s5
	v_add_nc_u64_e32 v[38:39], v[4:5], v[10:11]
	s_delay_alu instid0(VALU_DEP_1) | instskip(NEXT) | instid1(VALU_DEP_1)
	v_dual_cndmask_b32 v5, 0, v39, s6 :: v_dual_cndmask_b32 v4, 0, v38, s6
	v_add_nc_u64_e32 v[40:41], v[4:5], v[16:17]
	s_delay_alu instid0(VALU_DEP_1) | instskip(NEXT) | instid1(VALU_DEP_1)
	v_dual_cndmask_b32 v5, 0, v41, s7 :: v_dual_cndmask_b32 v4, 0, v40, s7
	v_add_nc_u64_e32 v[42:43], v[4:5], v[14:15]
	s_delay_alu instid0(VALU_DEP_1) | instskip(NEXT) | instid1(VALU_DEP_1)
	v_dual_cndmask_b32 v5, 0, v43, s8 :: v_dual_cndmask_b32 v4, 0, v42, s8
	v_add_nc_u64_e32 v[44:45], v[4:5], v[24:25]
	s_delay_alu instid0(VALU_DEP_1) | instskip(NEXT) | instid1(VALU_DEP_1)
	v_dual_cndmask_b32 v5, 0, v45, s9 :: v_dual_cndmask_b32 v4, 0, v44, s9
	v_add_nc_u64_e32 v[46:47], v[4:5], v[22:23]
	s_delay_alu instid0(VALU_DEP_1) | instskip(NEXT) | instid1(VALU_DEP_1)
	v_dual_cndmask_b32 v5, 0, v47, s10 :: v_dual_cndmask_b32 v4, 0, v46, s10
	v_add_nc_u64_e32 v[48:49], v[4:5], v[28:29]
	s_delay_alu instid0(VALU_DEP_1) | instskip(NEXT) | instid1(VALU_DEP_1)
	v_dual_cndmask_b32 v5, 0, v49, s11 :: v_dual_cndmask_b32 v4, 0, v48, s11
	v_add_nc_u64_e32 v[50:51], v[4:5], v[26:27]
	s_delay_alu instid0(VALU_DEP_1) | instskip(NEXT) | instid1(VALU_DEP_1)
	v_dual_cndmask_b32 v5, 0, v51, s12 :: v_dual_cndmask_b32 v4, 0, v50, s12
	v_add_nc_u64_e32 v[52:53], v[4:5], v[84:85]
	s_delay_alu instid0(VALU_DEP_1) | instskip(NEXT) | instid1(VALU_DEP_1)
	v_dual_cndmask_b32 v5, 0, v53, s13 :: v_dual_cndmask_b32 v4, 0, v52, s13
	v_add_nc_u64_e32 v[54:55], v[4:5], v[30:31]
	s_delay_alu instid0(VALU_DEP_1) | instskip(NEXT) | instid1(VALU_DEP_1)
	v_dual_cndmask_b32 v5, 0, v55, s14 :: v_dual_cndmask_b32 v4, 0, v54, s14
	v_add_nc_u64_e32 v[56:57], v[4:5], v[18:19]
	s_delay_alu instid0(VALU_DEP_1) | instskip(NEXT) | instid1(VALU_DEP_1)
	v_dual_cndmask_b32 v5, 0, v57, s0 :: v_dual_cndmask_b32 v4, 0, v56, s0
	v_add_nc_u64_e32 v[58:59], v[4:5], v[8:9]
	s_branch .LBB920_157
.LBB920_210:
	s_cmp_lg_u64 s[46:47], 0
	s_cselect_b32 s0, -1, 0
	s_cmp_lg_u64 s[38:39], 0
	s_cselect_b32 s1, -1, 0
	s_delay_alu instid0(SALU_CYCLE_1) | instskip(NEXT) | instid1(SALU_CYCLE_1)
	s_and_b32 s0, s0, s1
	s_and_b32 s1, s2, s0
	s_delay_alu instid0(SALU_CYCLE_1)
	s_and_saveexec_b32 s0, s1
	s_cbranch_execz .LBB920_212
; %bb.211:
	v_mov_b32_e32 v20, 0
	s_clause 0x1
	global_load_b64 v[4:5], v20, s[38:39]
	global_load_u8 v21, v20, s[38:39] offset:8
	s_wait_xcnt 0x0
	v_and_b32_e32 v20, 0xff, v1
	s_delay_alu instid0(VALU_DEP_1) | instskip(SKIP_4) | instid1(VALU_DEP_2)
	v_cmp_eq_u16_e32 vcc_lo, 0, v20
	s_wait_loadcnt 0x1
	v_dual_cndmask_b32 v5, 0, v5 :: v_dual_cndmask_b32 v4, 0, v4
	s_wait_loadcnt 0x0
	v_bitop3_b16 v1, v1, 1, v21 bitop3:0xc8
	v_add_nc_u64_e32 v[2:3], v[4:5], v[2:3]
.LBB920_212:
	s_or_b32 exec_lo, exec_lo, s0
	v_cmp_eq_u16_e32 vcc_lo, 0, v82
	v_cmp_eq_u16_e64 s0, 0, v81
	v_cmp_eq_u16_e64 s1, 0, v80
	;; [unrolled: 1-line block ×4, first 2 shown]
	v_dual_cndmask_b32 v5, 0, v3 :: v_dual_cndmask_b32 v4, 0, v2
	v_cmp_eq_u16_e64 s6, 0, v77
	v_cmp_eq_u16_e64 s7, 0, v76
	;; [unrolled: 1-line block ×4, first 2 shown]
	v_add_nc_u64_e32 v[34:35], v[4:5], v[6:7]
	v_cmp_eq_u16_e64 s10, 0, v73
	v_cmp_eq_u16_e64 s11, 0, v72
	;; [unrolled: 1-line block ×3, first 2 shown]
	v_cmp_ne_u16_e64 s19, 0, v70
	v_cmp_eq_u32_e64 s20, 1, v60
	v_bitop3_b16 v20, v1, 0xff, v88 bitop3:0xc8
	v_dual_cndmask_b32 v5, 0, v35, s0 :: v_dual_cndmask_b32 v4, 0, v34, s0
	v_cmp_ne_u16_e64 s17, 0, v69
	v_cmp_eq_u32_e64 s18, 1, v61
	v_cmp_ne_u16_e64 s21, 0, v67
	v_cmp_eq_u16_e64 s13, 0, v65
	v_add_nc_u64_e32 v[36:37], v[4:5], v[12:13]
	v_cmp_ne_u16_e64 s15, 0, v68
	v_cmp_eq_u32_e64 s16, 1, v62
	s_or_b32 s19, s19, s20
	v_cmp_eq_u32_e64 s14, 1, v66
	v_cmp_ne_u16_e64 s22, 0, v20
	s_or_b32 s17, s17, s18
	v_dual_cndmask_b32 v5, 0, v37, s1 :: v_dual_cndmask_b32 v4, 0, v36, s1
	s_or_b32 s18, s21, s19
	s_or_b32 s15, s15, s16
	;; [unrolled: 1-line block ×3, first 2 shown]
	v_and_b32_e32 v21, 0x70, v63
	v_add_nc_u64_e32 v[38:39], v[4:5], v[10:11]
	s_or_b32 s14, s22, s14
	s_or_b32 s15, s16, s15
	s_mov_b32 s17, exec_lo
	s_or_b32 s14, s15, s14
	s_delay_alu instid0(SALU_CYCLE_1) | instskip(NEXT) | instid1(VALU_DEP_2)
	v_cndmask_b32_e64 v33, 0, 1, s14
	v_dual_cndmask_b32 v5, 0, v39, s4 :: v_dual_cndmask_b32 v4, 0, v38, s4
	s_delay_alu instid0(VALU_DEP_1) | instskip(NEXT) | instid1(VALU_DEP_1)
	v_add_nc_u64_e32 v[40:41], v[4:5], v[16:17]
	v_dual_cndmask_b32 v5, 0, v41, s5 :: v_dual_cndmask_b32 v4, 0, v40, s5
	s_delay_alu instid0(VALU_DEP_1) | instskip(NEXT) | instid1(VALU_DEP_1)
	v_add_nc_u64_e32 v[42:43], v[4:5], v[14:15]
	;; [unrolled: 3-line block ×9, first 2 shown]
	v_dual_cndmask_b32 v5, 0, v57, s13 :: v_dual_cndmask_b32 v4, 0, v56, s13
	s_delay_alu instid0(VALU_DEP_1)
	v_add_nc_u64_e32 v[58:59], v[4:5], v[8:9]
	v_lshl_add_u32 v4, v0, 4, v21
	ds_store_b64 v4, v[58:59]
	ds_store_b8 v4, v33 offset:8
	s_wait_dscnt 0x0
	s_barrier_signal -1
	s_barrier_wait -1
	v_cmpx_gt_u32_e32 32, v0
	s_cbranch_execz .LBB920_224
; %bb.213:
	v_dual_lshlrev_b32 v4, 2, v0 :: v_dual_lshlrev_b32 v5, 7, v0
	s_delay_alu instid0(VALU_DEP_1) | instskip(NEXT) | instid1(VALU_DEP_1)
	v_and_b32_e32 v4, 0x3f0, v4
	v_add_nc_u32_e32 v32, v4, v5
	ds_load_u8 v61, v32 offset:24
	ds_load_b64 v[4:5], v32
	ds_load_2addr_b64 v[66:69], v32 offset0:2 offset1:4
	ds_load_u8 v62, v32 offset:40
	ds_load_b32 v60, v32 offset:8
	ds_load_u8 v63, v32 offset:56
	ds_load_u8 v65, v32 offset:72
	ds_load_u8 v74, v32 offset:88
	ds_load_u8 v75, v32 offset:104
	s_wait_dscnt 0x8
	v_cmp_eq_u16_e64 s14, 0, v61
	s_wait_dscnt 0x7
	s_delay_alu instid0(VALU_DEP_1)
	v_dual_cndmask_b32 v21, 0, v5, s14 :: v_dual_cndmask_b32 v20, 0, v4, s14
	s_wait_dscnt 0x5
	v_cmp_eq_u16_e64 s14, 0, v62
	ds_load_2addr_b64 v[70:73], v32 offset0:6 offset1:8
	s_wait_dscnt 0x4
	v_bitop3_b16 v61, v62, v63, v61 bitop3:0xfe
	s_wait_dscnt 0x1
	v_bitop3_b16 v62, v74, v75, v65 bitop3:0xfe
	v_add_nc_u64_e32 v[20:21], v[20:21], v[66:67]
	s_delay_alu instid0(VALU_DEP_1) | instskip(SKIP_1) | instid1(VALU_DEP_2)
	v_dual_cndmask_b32 v21, 0, v21, s14 :: v_dual_cndmask_b32 v20, 0, v20, s14
	v_cmp_eq_u16_e64 s14, 0, v63
	v_add_nc_u64_e32 v[20:21], v[20:21], v[68:69]
	s_delay_alu instid0(VALU_DEP_1) | instskip(SKIP_2) | instid1(VALU_DEP_2)
	v_dual_cndmask_b32 v21, 0, v21, s14 :: v_dual_cndmask_b32 v20, 0, v20, s14
	v_cmp_eq_u16_e64 s14, 0, v65
	s_wait_dscnt 0x0
	v_add_nc_u64_e32 v[20:21], v[20:21], v[70:71]
	ds_load_2addr_b64 v[66:69], v32 offset0:10 offset1:12
	ds_load_u8 v70, v32 offset:120
	v_dual_cndmask_b32 v21, 0, v21, s14 :: v_dual_cndmask_b32 v20, 0, v20, s14
	v_cmp_eq_u16_e64 s14, 0, v74
	s_delay_alu instid0(VALU_DEP_2) | instskip(NEXT) | instid1(VALU_DEP_1)
	v_add_nc_u64_e32 v[20:21], v[20:21], v[72:73]
	v_cndmask_b32_e64 v21, 0, v21, s14
	s_wait_dscnt 0x0
	v_bitop3_b16 v61, v70, v61, v62 bitop3:0xfe
	s_delay_alu instid0(VALU_DEP_3) | instskip(SKIP_2) | instid1(VALU_DEP_4)
	v_cndmask_b32_e64 v20, 0, v20, s14
	v_cmp_eq_u16_e64 s14, 0, v75
	v_cmp_eq_u16_e64 s16, 0, v70
	v_and_b32_e32 v61, 1, v61
	s_delay_alu instid0(VALU_DEP_4)
	v_add_nc_u64_e32 v[20:21], v[20:21], v[66:67]
	ds_load_b64 v[66:67], v32 offset:112
	v_and_b32_e32 v62, 1, v60
	v_cmp_eq_u32_e64 s15, 1, v61
	v_and_b32_e32 v61, 0xffffff00, v60
	v_dual_cndmask_b32 v21, 0, v21, s14 :: v_dual_cndmask_b32 v20, 0, v20, s14
	s_delay_alu instid0(VALU_DEP_4) | instskip(SKIP_1) | instid1(VALU_DEP_3)
	v_cmp_eq_u32_e64 s14, 1, v62
	v_mbcnt_lo_u32_b32 v62, -1, 0
	v_add_nc_u64_e32 v[20:21], v[20:21], v[68:69]
	s_or_b32 s15, s15, s14
	s_delay_alu instid0(SALU_CYCLE_1) | instskip(SKIP_1) | instid1(VALU_DEP_3)
	v_cndmask_b32_e64 v65, 0, 1, s15
	v_cndmask_b32_e64 v63, 0, 1, s15
	v_dual_cndmask_b32 v21, 0, v21, s16 :: v_dual_cndmask_b32 v20, 0, v20, s16
	s_mov_b32 s16, exec_lo
	s_wait_dscnt 0x0
	s_delay_alu instid0(VALU_DEP_1) | instskip(SKIP_2) | instid1(VALU_DEP_2)
	v_add_nc_u64_e32 v[20:21], v[20:21], v[66:67]
	v_or_b32_e32 v66, v61, v65
	v_and_b32_e32 v65, 15, v62
	v_mov_b32_dpp v68, v66 row_shr:1 row_mask:0xf bank_mask:0xf
	s_delay_alu instid0(VALU_DEP_4) | instskip(SKIP_1) | instid1(VALU_DEP_4)
	v_mov_b32_dpp v67, v20 row_shr:1 row_mask:0xf bank_mask:0xf
	v_mov_b32_dpp v69, v21 row_shr:1 row_mask:0xf bank_mask:0xf
	v_cmpx_ne_u32_e32 0, v65
; %bb.214:
	s_delay_alu instid0(VALU_DEP_4) | instskip(NEXT) | instid1(VALU_DEP_3)
	v_bitop3_b16 v63, v68, v63, 1 bitop3:0xec
	v_cndmask_b32_e64 v69, v69, 0, s15
	v_cndmask_b32_e64 v68, v67, 0, s15
	s_delay_alu instid0(VALU_DEP_3) | instskip(NEXT) | instid1(VALU_DEP_2)
	v_and_b32_e32 v66, 0xffff, v63
	v_add_nc_u64_e32 v[20:21], v[68:69], v[20:21]
	s_delay_alu instid0(VALU_DEP_2)
	v_or_b32_e32 v66, v61, v66
; %bb.215:
	s_or_b32 exec_lo, exec_lo, s16
	s_delay_alu instid0(VALU_DEP_2) | instskip(NEXT) | instid1(VALU_DEP_3)
	v_mov_b32_dpp v67, v20 row_shr:2 row_mask:0xf bank_mask:0xf
	v_mov_b32_dpp v68, v21 row_shr:2 row_mask:0xf bank_mask:0xf
	s_delay_alu instid0(VALU_DEP_3)
	v_mov_b32_dpp v69, v66 row_shr:2 row_mask:0xf bank_mask:0xf
	s_mov_b32 s18, exec_lo
	v_cmpx_lt_u32_e32 1, v65
	s_cbranch_execz .LBB920_217
; %bb.216:
	v_cmp_eq_u16_e64 s14, 0, v63
	v_and_b32_e32 v66, 1, v63
	v_and_b32_e32 v69, 1, v69
	s_delay_alu instid0(VALU_DEP_1) | instskip(NEXT) | instid1(VALU_DEP_4)
	v_cmp_eq_u32_e64 s16, 1, v69
	v_cndmask_b32_e64 v69, 0, v68, s14
	s_delay_alu instid0(VALU_DEP_4) | instskip(SKIP_2) | instid1(VALU_DEP_1)
	v_cmp_eq_u32_e64 s15, 1, v66
	v_cndmask_b32_e64 v68, 0, v67, s14
	s_or_b32 s14, s15, s16
	v_add_nc_u64_e32 v[20:21], v[68:69], v[20:21]
	v_cndmask_b32_e64 v66, 0, 1, s14
	v_cndmask_b32_e64 v63, 0, 1, s14
	s_delay_alu instid0(VALU_DEP_2)
	v_or_b32_e32 v66, v61, v66
.LBB920_217:
	s_or_b32 exec_lo, exec_lo, s18
	s_delay_alu instid0(VALU_DEP_4) | instskip(SKIP_1) | instid1(VALU_DEP_3)
	v_mov_b32_dpp v67, v20 row_shr:4 row_mask:0xf bank_mask:0xf
	v_mov_b32_dpp v68, v21 row_shr:4 row_mask:0xf bank_mask:0xf
	;; [unrolled: 1-line block ×3, first 2 shown]
	s_mov_b32 s18, exec_lo
	v_cmpx_lt_u32_e32 3, v65
	s_cbranch_execz .LBB920_219
; %bb.218:
	v_cmp_eq_u16_e64 s14, 0, v63
	v_and_b32_e32 v66, 1, v63
	v_and_b32_e32 v69, 1, v69
	s_delay_alu instid0(VALU_DEP_1) | instskip(NEXT) | instid1(VALU_DEP_4)
	v_cmp_eq_u32_e64 s16, 1, v69
	v_cndmask_b32_e64 v69, 0, v68, s14
	s_delay_alu instid0(VALU_DEP_4) | instskip(SKIP_2) | instid1(VALU_DEP_1)
	v_cmp_eq_u32_e64 s15, 1, v66
	v_cndmask_b32_e64 v68, 0, v67, s14
	s_or_b32 s14, s15, s16
	v_add_nc_u64_e32 v[20:21], v[68:69], v[20:21]
	v_cndmask_b32_e64 v66, 0, 1, s14
	v_cndmask_b32_e64 v63, 0, 1, s14
	s_delay_alu instid0(VALU_DEP_2)
	v_or_b32_e32 v66, v61, v66
.LBB920_219:
	s_or_b32 exec_lo, exec_lo, s18
	s_delay_alu instid0(VALU_DEP_4) | instskip(SKIP_1) | instid1(VALU_DEP_3)
	v_mov_b32_dpp v67, v20 row_shr:8 row_mask:0xf bank_mask:0xf
	v_mov_b32_dpp v68, v21 row_shr:8 row_mask:0xf bank_mask:0xf
	;; [unrolled: 1-line block ×3, first 2 shown]
	s_mov_b32 s18, exec_lo
	v_cmpx_lt_u32_e32 7, v65
	s_cbranch_execz .LBB920_221
; %bb.220:
	v_cmp_eq_u16_e64 s14, 0, v63
	v_and_b32_e32 v65, 1, v63
	s_delay_alu instid0(VALU_DEP_2) | instskip(NEXT) | instid1(VALU_DEP_2)
	v_dual_cndmask_b32 v69, 0, v68, s14 :: v_dual_bitop2_b32 v66, 1, v69 bitop3:0x40
	v_cmp_eq_u32_e64 s15, 1, v65
	v_cndmask_b32_e64 v68, 0, v67, s14
	s_delay_alu instid0(VALU_DEP_3) | instskip(NEXT) | instid1(VALU_DEP_2)
	v_cmp_eq_u32_e64 s16, 1, v66
	v_add_nc_u64_e32 v[20:21], v[68:69], v[20:21]
	s_or_b32 s14, s15, s16
	s_delay_alu instid0(SALU_CYCLE_1) | instskip(SKIP_1) | instid1(VALU_DEP_2)
	v_cndmask_b32_e64 v65, 0, 1, s14
	v_cndmask_b32_e64 v63, 0, 1, s14
	v_or_b32_e32 v66, v61, v65
.LBB920_221:
	s_or_b32 exec_lo, exec_lo, s18
	ds_swizzle_b32 v65, v20 offset:swizzle(BROADCAST,32,15)
	ds_swizzle_b32 v67, v21 offset:swizzle(BROADCAST,32,15)
	;; [unrolled: 1-line block ×3, first 2 shown]
	v_and_b32_e32 v68, 16, v62
	s_mov_b32 s16, exec_lo
	s_delay_alu instid0(VALU_DEP_1)
	v_cmpx_ne_u32_e32 0, v68
	s_cbranch_execz .LBB920_223
; %bb.222:
	v_cmp_eq_u16_e64 s14, 0, v63
	v_and_b32_e32 v63, 1, v63
	s_wait_dscnt 0x0
	s_delay_alu instid0(VALU_DEP_2) | instskip(SKIP_1) | instid1(VALU_DEP_3)
	v_dual_cndmask_b32 v67, 0, v67, s14 :: v_dual_bitop2_b32 v68, 1, v66 bitop3:0x40
	v_cndmask_b32_e64 v66, 0, v65, s14
	v_cmp_eq_u32_e64 s14, 1, v63
	s_delay_alu instid0(VALU_DEP_3) | instskip(NEXT) | instid1(VALU_DEP_3)
	v_cmp_eq_u32_e64 s15, 1, v68
	v_add_nc_u64_e32 v[20:21], v[66:67], v[20:21]
	s_or_b32 s14, s14, s15
	s_delay_alu instid0(SALU_CYCLE_1)
	v_cndmask_b32_e64 v63, 0, 1, s14
.LBB920_223:
	s_or_b32 exec_lo, exec_lo, s16
	s_wait_dscnt 0x2
	v_add_nc_u32_e32 v65, -1, v62
	s_delay_alu instid0(VALU_DEP_2) | instskip(NEXT) | instid1(VALU_DEP_2)
	v_and_b32_e32 v63, 0xffff, v63
	; wave barrier
	v_cmp_gt_i32_e64 s14, 0, v65
	s_delay_alu instid0(VALU_DEP_1) | instskip(NEXT) | instid1(VALU_DEP_1)
	v_cndmask_b32_e64 v62, v65, v62, s14
	v_lshlrev_b32_e32 v62, 2, v62
	ds_bpermute_b32 v21, v62, v21
	ds_bpermute_b32 v20, v62, v20
	v_or_b32_e32 v61, v61, v63
	ds_bpermute_b32 v61, v62, v61
	v_and_b32_e32 v62, 0xff, v60
	s_delay_alu instid0(VALU_DEP_1) | instskip(SKIP_1) | instid1(VALU_DEP_1)
	v_cmp_eq_u32_e64 s14, 0, v62
	s_wait_dscnt 0x1
	v_dual_cndmask_b32 v21, 0, v21, s14 :: v_dual_cndmask_b32 v20, 0, v20, s14
	s_delay_alu instid0(VALU_DEP_1) | instskip(SKIP_1) | instid1(VALU_DEP_1)
	v_add_nc_u64_e32 v[4:5], v[20:21], v[4:5]
	s_wait_dscnt 0x0
	v_dual_cndmask_b32 v4, v4, v58, s2 :: v_dual_bitop2_b32 v60, v61, v60 bitop3:0x54
	s_delay_alu instid0(VALU_DEP_1) | instskip(NEXT) | instid1(VALU_DEP_1)
	v_dual_cndmask_b32 v5, v5, v59, s2 :: v_dual_bitop2_b32 v20, 1, v60 bitop3:0x40
	v_cndmask_b32_e64 v33, v20, v33, s2
	ds_store_b64 v32, v[4:5]
	ds_store_b8 v32, v33 offset:8
	; wave barrier
	ds_load_u8 v65, v32 offset:24
	ds_load_2addr_b64 v[60:63], v32 offset0:2 offset1:4
	ds_load_u8 v74, v32 offset:40
	ds_load_u8 v75, v32 offset:56
	;; [unrolled: 1-line block ×5, first 2 shown]
	ds_load_b64 v[20:21], v32 offset:112
	ds_load_u8 v79, v32 offset:120
	s_wait_dscnt 0x8
	v_and_b32_e32 v66, 0xff, v65
	s_wait_dscnt 0x5
	v_and_b32_e32 v72, 0xff, v75
	s_delay_alu instid0(VALU_DEP_2) | instskip(SKIP_3) | instid1(VALU_DEP_3)
	v_cmp_eq_u16_e64 s14, 0, v66
	v_and_b32_e32 v66, 0xff, v74
	s_wait_dscnt 0x3
	v_and_b32_e32 v80, 0xff, v77
	v_dual_cndmask_b32 v5, 0, v5, s14 :: v_dual_cndmask_b32 v4, 0, v4, s14
	s_delay_alu instid0(VALU_DEP_3) | instskip(SKIP_3) | instid1(VALU_DEP_1)
	v_cmp_eq_u16_e64 s14, 0, v66
	ds_load_2addr_b64 v[66:69], v32 offset0:6 offset1:8
	v_bitop3_b16 v81, v65, 1, v33 bitop3:0xc8
	v_add_nc_u64_e32 v[4:5], v[4:5], v[60:61]
	v_dual_cndmask_b32 v61, 0, v5, s14 :: v_dual_cndmask_b32 v60, 0, v4, s14
	v_cmp_eq_u16_e64 s14, 0, v72
	s_delay_alu instid0(VALU_DEP_2) | instskip(SKIP_1) | instid1(VALU_DEP_2)
	v_add_nc_u64_e32 v[70:71], v[60:61], v[62:63]
	v_and_b32_e32 v62, 0xff, v76
	v_dual_cndmask_b32 v61, 0, v71, s14 :: v_dual_cndmask_b32 v60, 0, v70, s14
	s_delay_alu instid0(VALU_DEP_2) | instskip(SKIP_1) | instid1(VALU_DEP_2)
	v_cmp_eq_u16_e64 s14, 0, v62
	s_wait_dscnt 0x0
	v_add_nc_u64_e32 v[66:67], v[60:61], v[66:67]
	ds_load_2addr_b64 v[60:63], v32 offset0:10 offset1:12
	v_dual_cndmask_b32 v73, 0, v67, s14 :: v_dual_cndmask_b32 v72, 0, v66, s14
	v_cmp_eq_u16_e64 s14, 0, v80
	v_and_b32_e32 v80, 0xff, v78
	s_delay_alu instid0(VALU_DEP_3) | instskip(NEXT) | instid1(VALU_DEP_1)
	v_add_nc_u64_e32 v[68:69], v[72:73], v[68:69]
	v_dual_cndmask_b32 v73, 0, v69, s14 :: v_dual_cndmask_b32 v72, 0, v68, s14
	s_delay_alu instid0(VALU_DEP_3) | instskip(SKIP_1) | instid1(VALU_DEP_2)
	v_cmp_eq_u16_e64 s14, 0, v80
	s_wait_dscnt 0x0
	v_add_nc_u64_e32 v[60:61], v[72:73], v[60:61]
	s_delay_alu instid0(VALU_DEP_1) | instskip(SKIP_1) | instid1(VALU_DEP_2)
	v_dual_cndmask_b32 v73, 0, v61, s14 :: v_dual_cndmask_b32 v72, 0, v60, s14
	v_cmp_eq_u16_e64 s14, 0, v79
	v_add_nc_u64_e32 v[62:63], v[72:73], v[62:63]
	v_or_b32_e32 v80, v65, v33
	v_bitop3_b16 v33, v74, v65, v33 bitop3:0xfe
	ds_store_2addr_b64 v32, v[4:5], v[70:71] offset0:2 offset1:4
	ds_store_2addr_b64 v32, v[66:67], v[68:69] offset0:6 offset1:8
	;; [unrolled: 1-line block ×3, first 2 shown]
	v_cndmask_b32_e64 v73, 0, v63, s14
	v_bitop3_b16 v65, v75, v74, v80 bitop3:0xfe
	v_bitop3_b16 v74, v74, 1, v80 bitop3:0xc8
	;; [unrolled: 1-line block ×4, first 2 shown]
	s_delay_alu instid0(VALU_DEP_4) | instskip(SKIP_1) | instid1(VALU_DEP_3)
	v_bitop3_b16 v72, v77, v76, v65 bitop3:0xfe
	v_bitop3_b16 v65, v76, 1, v65 bitop3:0xc8
	;; [unrolled: 1-line block ×4, first 2 shown]
	s_delay_alu instid0(VALU_DEP_4) | instskip(SKIP_1) | instid1(VALU_DEP_4)
	v_bitop3_b16 v76, v78, 1, v72 bitop3:0xc8
	v_cndmask_b32_e64 v72, 0, v62, s14
	v_bitop3_b16 v75, v79, 1, v75 bitop3:0xc8
	s_delay_alu instid0(VALU_DEP_2)
	v_add_nc_u64_e32 v[4:5], v[72:73], v[20:21]
	ds_store_b8 v32, v81 offset:24
	ds_store_b8 v32, v74 offset:40
	ds_store_b8 v32, v80 offset:56
	ds_store_b8 v32, v65 offset:72
	ds_store_b8 v32, v33 offset:88
	ds_store_b8 v32, v76 offset:104
	ds_store_b64 v32, v[4:5] offset:112
	ds_store_b8 v32, v75 offset:120
.LBB920_224:
	s_or_b32 exec_lo, exec_lo, s17
	s_wait_dscnt 0x0
	s_barrier_signal -1
	s_barrier_wait -1
	s_and_saveexec_b32 s14, s3
	s_cbranch_execz .LBB920_226
; %bb.225:
	v_and_b32_e32 v1, 0xff, v1
	s_delay_alu instid0(VALU_DEP_1) | instskip(SKIP_1) | instid1(VALU_DEP_1)
	v_cmp_eq_u16_e64 s3, 0, v1
	v_add_nc_u32_e32 v4, -1, v0
	v_lshrrev_b32_e32 v5, 1, v4
	s_delay_alu instid0(VALU_DEP_1) | instskip(NEXT) | instid1(VALU_DEP_1)
	v_and_b32_e32 v5, 0x7ffffff0, v5
	v_lshl_add_u32 v4, v4, 4, v5
	ds_load_b64 v[4:5], v4
	;;#ASMSTART
	;;#ASMEND
	s_wait_dscnt 0x0
	v_dual_cndmask_b32 v5, 0, v5, s3 :: v_dual_cndmask_b32 v4, 0, v4, s3
	s_delay_alu instid0(VALU_DEP_1) | instskip(NEXT) | instid1(VALU_DEP_1)
	v_add_nc_u64_e32 v[2:3], v[4:5], v[2:3]
	v_dual_cndmask_b32 v5, 0, v3 :: v_dual_cndmask_b32 v4, 0, v2
	s_delay_alu instid0(VALU_DEP_1) | instskip(NEXT) | instid1(VALU_DEP_1)
	v_add_nc_u64_e32 v[34:35], v[4:5], v[6:7]
	v_dual_cndmask_b32 v5, 0, v35, s0 :: v_dual_cndmask_b32 v4, 0, v34, s0
	s_delay_alu instid0(VALU_DEP_1) | instskip(NEXT) | instid1(VALU_DEP_1)
	v_add_nc_u64_e32 v[36:37], v[4:5], v[12:13]
	v_dual_cndmask_b32 v5, 0, v37, s1 :: v_dual_cndmask_b32 v4, 0, v36, s1
	s_delay_alu instid0(VALU_DEP_1) | instskip(NEXT) | instid1(VALU_DEP_1)
	v_add_nc_u64_e32 v[38:39], v[4:5], v[10:11]
	v_dual_cndmask_b32 v5, 0, v39, s4 :: v_dual_cndmask_b32 v4, 0, v38, s4
	s_delay_alu instid0(VALU_DEP_1) | instskip(NEXT) | instid1(VALU_DEP_1)
	v_add_nc_u64_e32 v[40:41], v[4:5], v[16:17]
	v_dual_cndmask_b32 v5, 0, v41, s5 :: v_dual_cndmask_b32 v4, 0, v40, s5
	s_delay_alu instid0(VALU_DEP_1) | instskip(NEXT) | instid1(VALU_DEP_1)
	v_add_nc_u64_e32 v[42:43], v[4:5], v[14:15]
	v_dual_cndmask_b32 v5, 0, v43, s6 :: v_dual_cndmask_b32 v4, 0, v42, s6
	s_delay_alu instid0(VALU_DEP_1) | instskip(NEXT) | instid1(VALU_DEP_1)
	v_add_nc_u64_e32 v[44:45], v[4:5], v[24:25]
	v_dual_cndmask_b32 v5, 0, v45, s7 :: v_dual_cndmask_b32 v4, 0, v44, s7
	s_delay_alu instid0(VALU_DEP_1) | instskip(NEXT) | instid1(VALU_DEP_1)
	v_add_nc_u64_e32 v[46:47], v[4:5], v[22:23]
	v_dual_cndmask_b32 v5, 0, v47, s8 :: v_dual_cndmask_b32 v4, 0, v46, s8
	s_delay_alu instid0(VALU_DEP_1) | instskip(NEXT) | instid1(VALU_DEP_1)
	v_add_nc_u64_e32 v[48:49], v[4:5], v[28:29]
	v_dual_cndmask_b32 v5, 0, v49, s9 :: v_dual_cndmask_b32 v4, 0, v48, s9
	s_delay_alu instid0(VALU_DEP_1) | instskip(NEXT) | instid1(VALU_DEP_1)
	v_add_nc_u64_e32 v[50:51], v[4:5], v[26:27]
	v_dual_cndmask_b32 v5, 0, v51, s10 :: v_dual_cndmask_b32 v4, 0, v50, s10
	s_delay_alu instid0(VALU_DEP_1) | instskip(NEXT) | instid1(VALU_DEP_1)
	v_add_nc_u64_e32 v[52:53], v[4:5], v[84:85]
	v_dual_cndmask_b32 v5, 0, v53, s11 :: v_dual_cndmask_b32 v4, 0, v52, s11
	s_delay_alu instid0(VALU_DEP_1) | instskip(NEXT) | instid1(VALU_DEP_1)
	v_add_nc_u64_e32 v[54:55], v[4:5], v[30:31]
	v_dual_cndmask_b32 v5, 0, v55, s12 :: v_dual_cndmask_b32 v4, 0, v54, s12
	s_delay_alu instid0(VALU_DEP_1) | instskip(NEXT) | instid1(VALU_DEP_1)
	v_add_nc_u64_e32 v[56:57], v[4:5], v[18:19]
	v_dual_cndmask_b32 v5, 0, v57, s13 :: v_dual_cndmask_b32 v4, 0, v56, s13
	s_delay_alu instid0(VALU_DEP_1)
	v_add_nc_u64_e32 v[58:59], v[4:5], v[8:9]
.LBB920_226:
	s_or_b32 exec_lo, exec_lo, s14
	s_and_saveexec_b32 s0, s2
	s_cbranch_execz .LBB920_228
; %bb.227:
	v_dual_mov_b32 v1, 0 :: v_dual_mov_b32 v7, 2
	ds_load_b64 v[4:5], v1 offset:4192
	ds_load_u8 v6, v1 offset:4200
	s_wait_dscnt 0x1
	global_store_b64 v1, v[4:5], s[26:27] offset:512
	s_wait_dscnt 0x0
	global_store_b8 v1, v6, s[26:27] offset:520
	global_wb scope:SCOPE_DEV
	s_wait_storecnt 0x0
	global_inv scope:SCOPE_DEV
	s_wait_xcnt 0x0
	global_store_b8 v1, v7, s[28:29] offset:32 scope:SCOPE_DEV
.LBB920_228:
	s_wait_xcnt 0x0
	s_or_b32 exec_lo, exec_lo, s0
	v_mov_b64_e32 v[32:33], v[2:3]
	s_add_nc_u64 s[0:1], s[34:35], s[44:45]
	s_and_b32 vcc_lo, exec_lo, s31
	s_add_nc_u64 s[0:1], s[0:1], s[36:37]
	s_cbranch_vccnz .LBB920_158
.LBB920_229:
	s_mov_b32 s2, 0
                                        ; implicit-def: $vgpr4_vgpr5
	s_cbranch_execz .LBB920_231
; %bb.230:
	v_mul_u32_u24_e32 v1, 0x70, v0
	v_mul_i32_i24_e32 v2, 0xffffff98, v0
	s_wait_storecnt 0x0
	s_wait_loadcnt_dscnt 0x0
	s_barrier_signal -1
	s_barrier_wait -1
	ds_store_b128 v1, v[32:35]
	ds_store_b128 v1, v[36:39] offset:16
	ds_store_b128 v1, v[40:43] offset:32
	;; [unrolled: 1-line block ×6, first 2 shown]
	v_mad_u32_u24 v1, 0x70, v0, v2
	s_wait_dscnt 0x0
	s_barrier_signal -1
	s_barrier_wait -1
	ds_load_2addr_stride64_b64 v[6:9], v1 offset1:4
	ds_load_2addr_stride64_b64 v[10:13], v1 offset0:8 offset1:12
	ds_load_2addr_stride64_b64 v[14:17], v1 offset0:16 offset1:20
	;; [unrolled: 1-line block ×6, first 2 shown]
	s_or_b32 s2, s2, exec_lo
	s_wait_dscnt 0x6
	s_clause 0x1
	flat_store_b64 v0, v[6:7], s[0:1] scale_offset
	flat_store_b64 v0, v[8:9], s[0:1] offset:2048 scale_offset
	s_wait_dscnt 0x7
	s_clause 0x1
	flat_store_b64 v0, v[10:11], s[0:1] offset:4096 scale_offset
	flat_store_b64 v0, v[12:13], s[0:1] offset:6144 scale_offset
	s_wait_dscnt 0x8
	s_clause 0x1
	flat_store_b64 v0, v[14:15], s[0:1] offset:8192 scale_offset
	;; [unrolled: 4-line block ×5, first 2 shown]
	flat_store_b64 v0, v[28:29], s[0:1] offset:22528 scale_offset
	s_wait_dscnt 0xc
	flat_store_b64 v0, v[2:3], s[0:1] offset:24576 scale_offset
.LBB920_231:
	s_wait_xcnt 0x0
	s_delay_alu instid0(VALU_DEP_1)
	s_and_saveexec_b32 s3, s2
	s_cbranch_execnz .LBB920_233
; %bb.232:
	s_sendmsg sendmsg(MSG_DEALLOC_VGPRS)
	s_endpgm
.LBB920_233:
	s_wait_dscnt 0x0
	flat_store_b64 v0, v[4:5], s[0:1] offset:26624 scale_offset
	s_sendmsg sendmsg(MSG_DEALLOC_VGPRS)
	s_endpgm
	.section	.rodata,"a",@progbits
	.p2align	6, 0x0
	.amdhsa_kernel _ZN7rocprim17ROCPRIM_400000_NS6detail17trampoline_kernelINS0_14default_configENS1_27scan_by_key_config_selectorIxxEEZZNS1_16scan_by_key_implILNS1_25lookback_scan_determinismE0ELb0ES3_N6thrust23THRUST_200600_302600_NS6detail15normal_iteratorINS9_10device_ptrIxEEEENS9_18transform_iteratorINS9_6negateIxEESE_NS9_11use_defaultESI_EESE_xNS9_4plusIvEENS9_8equal_toIvEExEE10hipError_tPvRmT2_T3_T4_T5_mT6_T7_P12ihipStream_tbENKUlT_T0_E_clISt17integral_constantIbLb0EES13_IbLb1EEEEDaSZ_S10_EUlSZ_E_NS1_11comp_targetILNS1_3genE0ELNS1_11target_archE4294967295ELNS1_3gpuE0ELNS1_3repE0EEENS1_30default_config_static_selectorELNS0_4arch9wavefront6targetE0EEEvT1_
		.amdhsa_group_segment_fixed_size 32768
		.amdhsa_private_segment_fixed_size 0
		.amdhsa_kernarg_size 144
		.amdhsa_user_sgpr_count 2
		.amdhsa_user_sgpr_dispatch_ptr 0
		.amdhsa_user_sgpr_queue_ptr 0
		.amdhsa_user_sgpr_kernarg_segment_ptr 1
		.amdhsa_user_sgpr_dispatch_id 0
		.amdhsa_user_sgpr_kernarg_preload_length 0
		.amdhsa_user_sgpr_kernarg_preload_offset 0
		.amdhsa_user_sgpr_private_segment_size 0
		.amdhsa_wavefront_size32 1
		.amdhsa_uses_dynamic_stack 0
		.amdhsa_enable_private_segment 0
		.amdhsa_system_sgpr_workgroup_id_x 1
		.amdhsa_system_sgpr_workgroup_id_y 0
		.amdhsa_system_sgpr_workgroup_id_z 0
		.amdhsa_system_sgpr_workgroup_info 0
		.amdhsa_system_vgpr_workitem_id 0
		.amdhsa_next_free_vgpr 111
		.amdhsa_next_free_sgpr 50
		.amdhsa_named_barrier_count 0
		.amdhsa_reserve_vcc 1
		.amdhsa_float_round_mode_32 0
		.amdhsa_float_round_mode_16_64 0
		.amdhsa_float_denorm_mode_32 3
		.amdhsa_float_denorm_mode_16_64 3
		.amdhsa_fp16_overflow 0
		.amdhsa_memory_ordered 1
		.amdhsa_forward_progress 1
		.amdhsa_inst_pref_size 126
		.amdhsa_round_robin_scheduling 0
		.amdhsa_exception_fp_ieee_invalid_op 0
		.amdhsa_exception_fp_denorm_src 0
		.amdhsa_exception_fp_ieee_div_zero 0
		.amdhsa_exception_fp_ieee_overflow 0
		.amdhsa_exception_fp_ieee_underflow 0
		.amdhsa_exception_fp_ieee_inexact 0
		.amdhsa_exception_int_div_zero 0
	.end_amdhsa_kernel
	.section	.text._ZN7rocprim17ROCPRIM_400000_NS6detail17trampoline_kernelINS0_14default_configENS1_27scan_by_key_config_selectorIxxEEZZNS1_16scan_by_key_implILNS1_25lookback_scan_determinismE0ELb0ES3_N6thrust23THRUST_200600_302600_NS6detail15normal_iteratorINS9_10device_ptrIxEEEENS9_18transform_iteratorINS9_6negateIxEESE_NS9_11use_defaultESI_EESE_xNS9_4plusIvEENS9_8equal_toIvEExEE10hipError_tPvRmT2_T3_T4_T5_mT6_T7_P12ihipStream_tbENKUlT_T0_E_clISt17integral_constantIbLb0EES13_IbLb1EEEEDaSZ_S10_EUlSZ_E_NS1_11comp_targetILNS1_3genE0ELNS1_11target_archE4294967295ELNS1_3gpuE0ELNS1_3repE0EEENS1_30default_config_static_selectorELNS0_4arch9wavefront6targetE0EEEvT1_,"axG",@progbits,_ZN7rocprim17ROCPRIM_400000_NS6detail17trampoline_kernelINS0_14default_configENS1_27scan_by_key_config_selectorIxxEEZZNS1_16scan_by_key_implILNS1_25lookback_scan_determinismE0ELb0ES3_N6thrust23THRUST_200600_302600_NS6detail15normal_iteratorINS9_10device_ptrIxEEEENS9_18transform_iteratorINS9_6negateIxEESE_NS9_11use_defaultESI_EESE_xNS9_4plusIvEENS9_8equal_toIvEExEE10hipError_tPvRmT2_T3_T4_T5_mT6_T7_P12ihipStream_tbENKUlT_T0_E_clISt17integral_constantIbLb0EES13_IbLb1EEEEDaSZ_S10_EUlSZ_E_NS1_11comp_targetILNS1_3genE0ELNS1_11target_archE4294967295ELNS1_3gpuE0ELNS1_3repE0EEENS1_30default_config_static_selectorELNS0_4arch9wavefront6targetE0EEEvT1_,comdat
.Lfunc_end920:
	.size	_ZN7rocprim17ROCPRIM_400000_NS6detail17trampoline_kernelINS0_14default_configENS1_27scan_by_key_config_selectorIxxEEZZNS1_16scan_by_key_implILNS1_25lookback_scan_determinismE0ELb0ES3_N6thrust23THRUST_200600_302600_NS6detail15normal_iteratorINS9_10device_ptrIxEEEENS9_18transform_iteratorINS9_6negateIxEESE_NS9_11use_defaultESI_EESE_xNS9_4plusIvEENS9_8equal_toIvEExEE10hipError_tPvRmT2_T3_T4_T5_mT6_T7_P12ihipStream_tbENKUlT_T0_E_clISt17integral_constantIbLb0EES13_IbLb1EEEEDaSZ_S10_EUlSZ_E_NS1_11comp_targetILNS1_3genE0ELNS1_11target_archE4294967295ELNS1_3gpuE0ELNS1_3repE0EEENS1_30default_config_static_selectorELNS0_4arch9wavefront6targetE0EEEvT1_, .Lfunc_end920-_ZN7rocprim17ROCPRIM_400000_NS6detail17trampoline_kernelINS0_14default_configENS1_27scan_by_key_config_selectorIxxEEZZNS1_16scan_by_key_implILNS1_25lookback_scan_determinismE0ELb0ES3_N6thrust23THRUST_200600_302600_NS6detail15normal_iteratorINS9_10device_ptrIxEEEENS9_18transform_iteratorINS9_6negateIxEESE_NS9_11use_defaultESI_EESE_xNS9_4plusIvEENS9_8equal_toIvEExEE10hipError_tPvRmT2_T3_T4_T5_mT6_T7_P12ihipStream_tbENKUlT_T0_E_clISt17integral_constantIbLb0EES13_IbLb1EEEEDaSZ_S10_EUlSZ_E_NS1_11comp_targetILNS1_3genE0ELNS1_11target_archE4294967295ELNS1_3gpuE0ELNS1_3repE0EEENS1_30default_config_static_selectorELNS0_4arch9wavefront6targetE0EEEvT1_
                                        ; -- End function
	.set _ZN7rocprim17ROCPRIM_400000_NS6detail17trampoline_kernelINS0_14default_configENS1_27scan_by_key_config_selectorIxxEEZZNS1_16scan_by_key_implILNS1_25lookback_scan_determinismE0ELb0ES3_N6thrust23THRUST_200600_302600_NS6detail15normal_iteratorINS9_10device_ptrIxEEEENS9_18transform_iteratorINS9_6negateIxEESE_NS9_11use_defaultESI_EESE_xNS9_4plusIvEENS9_8equal_toIvEExEE10hipError_tPvRmT2_T3_T4_T5_mT6_T7_P12ihipStream_tbENKUlT_T0_E_clISt17integral_constantIbLb0EES13_IbLb1EEEEDaSZ_S10_EUlSZ_E_NS1_11comp_targetILNS1_3genE0ELNS1_11target_archE4294967295ELNS1_3gpuE0ELNS1_3repE0EEENS1_30default_config_static_selectorELNS0_4arch9wavefront6targetE0EEEvT1_.num_vgpr, 111
	.set _ZN7rocprim17ROCPRIM_400000_NS6detail17trampoline_kernelINS0_14default_configENS1_27scan_by_key_config_selectorIxxEEZZNS1_16scan_by_key_implILNS1_25lookback_scan_determinismE0ELb0ES3_N6thrust23THRUST_200600_302600_NS6detail15normal_iteratorINS9_10device_ptrIxEEEENS9_18transform_iteratorINS9_6negateIxEESE_NS9_11use_defaultESI_EESE_xNS9_4plusIvEENS9_8equal_toIvEExEE10hipError_tPvRmT2_T3_T4_T5_mT6_T7_P12ihipStream_tbENKUlT_T0_E_clISt17integral_constantIbLb0EES13_IbLb1EEEEDaSZ_S10_EUlSZ_E_NS1_11comp_targetILNS1_3genE0ELNS1_11target_archE4294967295ELNS1_3gpuE0ELNS1_3repE0EEENS1_30default_config_static_selectorELNS0_4arch9wavefront6targetE0EEEvT1_.num_agpr, 0
	.set _ZN7rocprim17ROCPRIM_400000_NS6detail17trampoline_kernelINS0_14default_configENS1_27scan_by_key_config_selectorIxxEEZZNS1_16scan_by_key_implILNS1_25lookback_scan_determinismE0ELb0ES3_N6thrust23THRUST_200600_302600_NS6detail15normal_iteratorINS9_10device_ptrIxEEEENS9_18transform_iteratorINS9_6negateIxEESE_NS9_11use_defaultESI_EESE_xNS9_4plusIvEENS9_8equal_toIvEExEE10hipError_tPvRmT2_T3_T4_T5_mT6_T7_P12ihipStream_tbENKUlT_T0_E_clISt17integral_constantIbLb0EES13_IbLb1EEEEDaSZ_S10_EUlSZ_E_NS1_11comp_targetILNS1_3genE0ELNS1_11target_archE4294967295ELNS1_3gpuE0ELNS1_3repE0EEENS1_30default_config_static_selectorELNS0_4arch9wavefront6targetE0EEEvT1_.numbered_sgpr, 50
	.set _ZN7rocprim17ROCPRIM_400000_NS6detail17trampoline_kernelINS0_14default_configENS1_27scan_by_key_config_selectorIxxEEZZNS1_16scan_by_key_implILNS1_25lookback_scan_determinismE0ELb0ES3_N6thrust23THRUST_200600_302600_NS6detail15normal_iteratorINS9_10device_ptrIxEEEENS9_18transform_iteratorINS9_6negateIxEESE_NS9_11use_defaultESI_EESE_xNS9_4plusIvEENS9_8equal_toIvEExEE10hipError_tPvRmT2_T3_T4_T5_mT6_T7_P12ihipStream_tbENKUlT_T0_E_clISt17integral_constantIbLb0EES13_IbLb1EEEEDaSZ_S10_EUlSZ_E_NS1_11comp_targetILNS1_3genE0ELNS1_11target_archE4294967295ELNS1_3gpuE0ELNS1_3repE0EEENS1_30default_config_static_selectorELNS0_4arch9wavefront6targetE0EEEvT1_.num_named_barrier, 0
	.set _ZN7rocprim17ROCPRIM_400000_NS6detail17trampoline_kernelINS0_14default_configENS1_27scan_by_key_config_selectorIxxEEZZNS1_16scan_by_key_implILNS1_25lookback_scan_determinismE0ELb0ES3_N6thrust23THRUST_200600_302600_NS6detail15normal_iteratorINS9_10device_ptrIxEEEENS9_18transform_iteratorINS9_6negateIxEESE_NS9_11use_defaultESI_EESE_xNS9_4plusIvEENS9_8equal_toIvEExEE10hipError_tPvRmT2_T3_T4_T5_mT6_T7_P12ihipStream_tbENKUlT_T0_E_clISt17integral_constantIbLb0EES13_IbLb1EEEEDaSZ_S10_EUlSZ_E_NS1_11comp_targetILNS1_3genE0ELNS1_11target_archE4294967295ELNS1_3gpuE0ELNS1_3repE0EEENS1_30default_config_static_selectorELNS0_4arch9wavefront6targetE0EEEvT1_.private_seg_size, 0
	.set _ZN7rocprim17ROCPRIM_400000_NS6detail17trampoline_kernelINS0_14default_configENS1_27scan_by_key_config_selectorIxxEEZZNS1_16scan_by_key_implILNS1_25lookback_scan_determinismE0ELb0ES3_N6thrust23THRUST_200600_302600_NS6detail15normal_iteratorINS9_10device_ptrIxEEEENS9_18transform_iteratorINS9_6negateIxEESE_NS9_11use_defaultESI_EESE_xNS9_4plusIvEENS9_8equal_toIvEExEE10hipError_tPvRmT2_T3_T4_T5_mT6_T7_P12ihipStream_tbENKUlT_T0_E_clISt17integral_constantIbLb0EES13_IbLb1EEEEDaSZ_S10_EUlSZ_E_NS1_11comp_targetILNS1_3genE0ELNS1_11target_archE4294967295ELNS1_3gpuE0ELNS1_3repE0EEENS1_30default_config_static_selectorELNS0_4arch9wavefront6targetE0EEEvT1_.uses_vcc, 1
	.set _ZN7rocprim17ROCPRIM_400000_NS6detail17trampoline_kernelINS0_14default_configENS1_27scan_by_key_config_selectorIxxEEZZNS1_16scan_by_key_implILNS1_25lookback_scan_determinismE0ELb0ES3_N6thrust23THRUST_200600_302600_NS6detail15normal_iteratorINS9_10device_ptrIxEEEENS9_18transform_iteratorINS9_6negateIxEESE_NS9_11use_defaultESI_EESE_xNS9_4plusIvEENS9_8equal_toIvEExEE10hipError_tPvRmT2_T3_T4_T5_mT6_T7_P12ihipStream_tbENKUlT_T0_E_clISt17integral_constantIbLb0EES13_IbLb1EEEEDaSZ_S10_EUlSZ_E_NS1_11comp_targetILNS1_3genE0ELNS1_11target_archE4294967295ELNS1_3gpuE0ELNS1_3repE0EEENS1_30default_config_static_selectorELNS0_4arch9wavefront6targetE0EEEvT1_.uses_flat_scratch, 1
	.set _ZN7rocprim17ROCPRIM_400000_NS6detail17trampoline_kernelINS0_14default_configENS1_27scan_by_key_config_selectorIxxEEZZNS1_16scan_by_key_implILNS1_25lookback_scan_determinismE0ELb0ES3_N6thrust23THRUST_200600_302600_NS6detail15normal_iteratorINS9_10device_ptrIxEEEENS9_18transform_iteratorINS9_6negateIxEESE_NS9_11use_defaultESI_EESE_xNS9_4plusIvEENS9_8equal_toIvEExEE10hipError_tPvRmT2_T3_T4_T5_mT6_T7_P12ihipStream_tbENKUlT_T0_E_clISt17integral_constantIbLb0EES13_IbLb1EEEEDaSZ_S10_EUlSZ_E_NS1_11comp_targetILNS1_3genE0ELNS1_11target_archE4294967295ELNS1_3gpuE0ELNS1_3repE0EEENS1_30default_config_static_selectorELNS0_4arch9wavefront6targetE0EEEvT1_.has_dyn_sized_stack, 0
	.set _ZN7rocprim17ROCPRIM_400000_NS6detail17trampoline_kernelINS0_14default_configENS1_27scan_by_key_config_selectorIxxEEZZNS1_16scan_by_key_implILNS1_25lookback_scan_determinismE0ELb0ES3_N6thrust23THRUST_200600_302600_NS6detail15normal_iteratorINS9_10device_ptrIxEEEENS9_18transform_iteratorINS9_6negateIxEESE_NS9_11use_defaultESI_EESE_xNS9_4plusIvEENS9_8equal_toIvEExEE10hipError_tPvRmT2_T3_T4_T5_mT6_T7_P12ihipStream_tbENKUlT_T0_E_clISt17integral_constantIbLb0EES13_IbLb1EEEEDaSZ_S10_EUlSZ_E_NS1_11comp_targetILNS1_3genE0ELNS1_11target_archE4294967295ELNS1_3gpuE0ELNS1_3repE0EEENS1_30default_config_static_selectorELNS0_4arch9wavefront6targetE0EEEvT1_.has_recursion, 0
	.set _ZN7rocprim17ROCPRIM_400000_NS6detail17trampoline_kernelINS0_14default_configENS1_27scan_by_key_config_selectorIxxEEZZNS1_16scan_by_key_implILNS1_25lookback_scan_determinismE0ELb0ES3_N6thrust23THRUST_200600_302600_NS6detail15normal_iteratorINS9_10device_ptrIxEEEENS9_18transform_iteratorINS9_6negateIxEESE_NS9_11use_defaultESI_EESE_xNS9_4plusIvEENS9_8equal_toIvEExEE10hipError_tPvRmT2_T3_T4_T5_mT6_T7_P12ihipStream_tbENKUlT_T0_E_clISt17integral_constantIbLb0EES13_IbLb1EEEEDaSZ_S10_EUlSZ_E_NS1_11comp_targetILNS1_3genE0ELNS1_11target_archE4294967295ELNS1_3gpuE0ELNS1_3repE0EEENS1_30default_config_static_selectorELNS0_4arch9wavefront6targetE0EEEvT1_.has_indirect_call, 0
	.section	.AMDGPU.csdata,"",@progbits
; Kernel info:
; codeLenInByte = 16056
; TotalNumSgprs: 52
; NumVgprs: 111
; ScratchSize: 0
; MemoryBound: 0
; FloatMode: 240
; IeeeMode: 1
; LDSByteSize: 32768 bytes/workgroup (compile time only)
; SGPRBlocks: 0
; VGPRBlocks: 6
; NumSGPRsForWavesPerEU: 52
; NumVGPRsForWavesPerEU: 111
; NamedBarCnt: 0
; Occupancy: 9
; WaveLimiterHint : 1
; COMPUTE_PGM_RSRC2:SCRATCH_EN: 0
; COMPUTE_PGM_RSRC2:USER_SGPR: 2
; COMPUTE_PGM_RSRC2:TRAP_HANDLER: 0
; COMPUTE_PGM_RSRC2:TGID_X_EN: 1
; COMPUTE_PGM_RSRC2:TGID_Y_EN: 0
; COMPUTE_PGM_RSRC2:TGID_Z_EN: 0
; COMPUTE_PGM_RSRC2:TIDIG_COMP_CNT: 0
	.section	.text._ZN7rocprim17ROCPRIM_400000_NS6detail17trampoline_kernelINS0_14default_configENS1_27scan_by_key_config_selectorIxxEEZZNS1_16scan_by_key_implILNS1_25lookback_scan_determinismE0ELb0ES3_N6thrust23THRUST_200600_302600_NS6detail15normal_iteratorINS9_10device_ptrIxEEEENS9_18transform_iteratorINS9_6negateIxEESE_NS9_11use_defaultESI_EESE_xNS9_4plusIvEENS9_8equal_toIvEExEE10hipError_tPvRmT2_T3_T4_T5_mT6_T7_P12ihipStream_tbENKUlT_T0_E_clISt17integral_constantIbLb0EES13_IbLb1EEEEDaSZ_S10_EUlSZ_E_NS1_11comp_targetILNS1_3genE10ELNS1_11target_archE1201ELNS1_3gpuE5ELNS1_3repE0EEENS1_30default_config_static_selectorELNS0_4arch9wavefront6targetE0EEEvT1_,"axG",@progbits,_ZN7rocprim17ROCPRIM_400000_NS6detail17trampoline_kernelINS0_14default_configENS1_27scan_by_key_config_selectorIxxEEZZNS1_16scan_by_key_implILNS1_25lookback_scan_determinismE0ELb0ES3_N6thrust23THRUST_200600_302600_NS6detail15normal_iteratorINS9_10device_ptrIxEEEENS9_18transform_iteratorINS9_6negateIxEESE_NS9_11use_defaultESI_EESE_xNS9_4plusIvEENS9_8equal_toIvEExEE10hipError_tPvRmT2_T3_T4_T5_mT6_T7_P12ihipStream_tbENKUlT_T0_E_clISt17integral_constantIbLb0EES13_IbLb1EEEEDaSZ_S10_EUlSZ_E_NS1_11comp_targetILNS1_3genE10ELNS1_11target_archE1201ELNS1_3gpuE5ELNS1_3repE0EEENS1_30default_config_static_selectorELNS0_4arch9wavefront6targetE0EEEvT1_,comdat
	.protected	_ZN7rocprim17ROCPRIM_400000_NS6detail17trampoline_kernelINS0_14default_configENS1_27scan_by_key_config_selectorIxxEEZZNS1_16scan_by_key_implILNS1_25lookback_scan_determinismE0ELb0ES3_N6thrust23THRUST_200600_302600_NS6detail15normal_iteratorINS9_10device_ptrIxEEEENS9_18transform_iteratorINS9_6negateIxEESE_NS9_11use_defaultESI_EESE_xNS9_4plusIvEENS9_8equal_toIvEExEE10hipError_tPvRmT2_T3_T4_T5_mT6_T7_P12ihipStream_tbENKUlT_T0_E_clISt17integral_constantIbLb0EES13_IbLb1EEEEDaSZ_S10_EUlSZ_E_NS1_11comp_targetILNS1_3genE10ELNS1_11target_archE1201ELNS1_3gpuE5ELNS1_3repE0EEENS1_30default_config_static_selectorELNS0_4arch9wavefront6targetE0EEEvT1_ ; -- Begin function _ZN7rocprim17ROCPRIM_400000_NS6detail17trampoline_kernelINS0_14default_configENS1_27scan_by_key_config_selectorIxxEEZZNS1_16scan_by_key_implILNS1_25lookback_scan_determinismE0ELb0ES3_N6thrust23THRUST_200600_302600_NS6detail15normal_iteratorINS9_10device_ptrIxEEEENS9_18transform_iteratorINS9_6negateIxEESE_NS9_11use_defaultESI_EESE_xNS9_4plusIvEENS9_8equal_toIvEExEE10hipError_tPvRmT2_T3_T4_T5_mT6_T7_P12ihipStream_tbENKUlT_T0_E_clISt17integral_constantIbLb0EES13_IbLb1EEEEDaSZ_S10_EUlSZ_E_NS1_11comp_targetILNS1_3genE10ELNS1_11target_archE1201ELNS1_3gpuE5ELNS1_3repE0EEENS1_30default_config_static_selectorELNS0_4arch9wavefront6targetE0EEEvT1_
	.globl	_ZN7rocprim17ROCPRIM_400000_NS6detail17trampoline_kernelINS0_14default_configENS1_27scan_by_key_config_selectorIxxEEZZNS1_16scan_by_key_implILNS1_25lookback_scan_determinismE0ELb0ES3_N6thrust23THRUST_200600_302600_NS6detail15normal_iteratorINS9_10device_ptrIxEEEENS9_18transform_iteratorINS9_6negateIxEESE_NS9_11use_defaultESI_EESE_xNS9_4plusIvEENS9_8equal_toIvEExEE10hipError_tPvRmT2_T3_T4_T5_mT6_T7_P12ihipStream_tbENKUlT_T0_E_clISt17integral_constantIbLb0EES13_IbLb1EEEEDaSZ_S10_EUlSZ_E_NS1_11comp_targetILNS1_3genE10ELNS1_11target_archE1201ELNS1_3gpuE5ELNS1_3repE0EEENS1_30default_config_static_selectorELNS0_4arch9wavefront6targetE0EEEvT1_
	.p2align	8
	.type	_ZN7rocprim17ROCPRIM_400000_NS6detail17trampoline_kernelINS0_14default_configENS1_27scan_by_key_config_selectorIxxEEZZNS1_16scan_by_key_implILNS1_25lookback_scan_determinismE0ELb0ES3_N6thrust23THRUST_200600_302600_NS6detail15normal_iteratorINS9_10device_ptrIxEEEENS9_18transform_iteratorINS9_6negateIxEESE_NS9_11use_defaultESI_EESE_xNS9_4plusIvEENS9_8equal_toIvEExEE10hipError_tPvRmT2_T3_T4_T5_mT6_T7_P12ihipStream_tbENKUlT_T0_E_clISt17integral_constantIbLb0EES13_IbLb1EEEEDaSZ_S10_EUlSZ_E_NS1_11comp_targetILNS1_3genE10ELNS1_11target_archE1201ELNS1_3gpuE5ELNS1_3repE0EEENS1_30default_config_static_selectorELNS0_4arch9wavefront6targetE0EEEvT1_,@function
_ZN7rocprim17ROCPRIM_400000_NS6detail17trampoline_kernelINS0_14default_configENS1_27scan_by_key_config_selectorIxxEEZZNS1_16scan_by_key_implILNS1_25lookback_scan_determinismE0ELb0ES3_N6thrust23THRUST_200600_302600_NS6detail15normal_iteratorINS9_10device_ptrIxEEEENS9_18transform_iteratorINS9_6negateIxEESE_NS9_11use_defaultESI_EESE_xNS9_4plusIvEENS9_8equal_toIvEExEE10hipError_tPvRmT2_T3_T4_T5_mT6_T7_P12ihipStream_tbENKUlT_T0_E_clISt17integral_constantIbLb0EES13_IbLb1EEEEDaSZ_S10_EUlSZ_E_NS1_11comp_targetILNS1_3genE10ELNS1_11target_archE1201ELNS1_3gpuE5ELNS1_3repE0EEENS1_30default_config_static_selectorELNS0_4arch9wavefront6targetE0EEEvT1_: ; @_ZN7rocprim17ROCPRIM_400000_NS6detail17trampoline_kernelINS0_14default_configENS1_27scan_by_key_config_selectorIxxEEZZNS1_16scan_by_key_implILNS1_25lookback_scan_determinismE0ELb0ES3_N6thrust23THRUST_200600_302600_NS6detail15normal_iteratorINS9_10device_ptrIxEEEENS9_18transform_iteratorINS9_6negateIxEESE_NS9_11use_defaultESI_EESE_xNS9_4plusIvEENS9_8equal_toIvEExEE10hipError_tPvRmT2_T3_T4_T5_mT6_T7_P12ihipStream_tbENKUlT_T0_E_clISt17integral_constantIbLb0EES13_IbLb1EEEEDaSZ_S10_EUlSZ_E_NS1_11comp_targetILNS1_3genE10ELNS1_11target_archE1201ELNS1_3gpuE5ELNS1_3repE0EEENS1_30default_config_static_selectorELNS0_4arch9wavefront6targetE0EEEvT1_
; %bb.0:
	.section	.rodata,"a",@progbits
	.p2align	6, 0x0
	.amdhsa_kernel _ZN7rocprim17ROCPRIM_400000_NS6detail17trampoline_kernelINS0_14default_configENS1_27scan_by_key_config_selectorIxxEEZZNS1_16scan_by_key_implILNS1_25lookback_scan_determinismE0ELb0ES3_N6thrust23THRUST_200600_302600_NS6detail15normal_iteratorINS9_10device_ptrIxEEEENS9_18transform_iteratorINS9_6negateIxEESE_NS9_11use_defaultESI_EESE_xNS9_4plusIvEENS9_8equal_toIvEExEE10hipError_tPvRmT2_T3_T4_T5_mT6_T7_P12ihipStream_tbENKUlT_T0_E_clISt17integral_constantIbLb0EES13_IbLb1EEEEDaSZ_S10_EUlSZ_E_NS1_11comp_targetILNS1_3genE10ELNS1_11target_archE1201ELNS1_3gpuE5ELNS1_3repE0EEENS1_30default_config_static_selectorELNS0_4arch9wavefront6targetE0EEEvT1_
		.amdhsa_group_segment_fixed_size 0
		.amdhsa_private_segment_fixed_size 0
		.amdhsa_kernarg_size 144
		.amdhsa_user_sgpr_count 2
		.amdhsa_user_sgpr_dispatch_ptr 0
		.amdhsa_user_sgpr_queue_ptr 0
		.amdhsa_user_sgpr_kernarg_segment_ptr 1
		.amdhsa_user_sgpr_dispatch_id 0
		.amdhsa_user_sgpr_kernarg_preload_length 0
		.amdhsa_user_sgpr_kernarg_preload_offset 0
		.amdhsa_user_sgpr_private_segment_size 0
		.amdhsa_wavefront_size32 1
		.amdhsa_uses_dynamic_stack 0
		.amdhsa_enable_private_segment 0
		.amdhsa_system_sgpr_workgroup_id_x 1
		.amdhsa_system_sgpr_workgroup_id_y 0
		.amdhsa_system_sgpr_workgroup_id_z 0
		.amdhsa_system_sgpr_workgroup_info 0
		.amdhsa_system_vgpr_workitem_id 0
		.amdhsa_next_free_vgpr 1
		.amdhsa_next_free_sgpr 1
		.amdhsa_named_barrier_count 0
		.amdhsa_reserve_vcc 0
		.amdhsa_float_round_mode_32 0
		.amdhsa_float_round_mode_16_64 0
		.amdhsa_float_denorm_mode_32 3
		.amdhsa_float_denorm_mode_16_64 3
		.amdhsa_fp16_overflow 0
		.amdhsa_memory_ordered 1
		.amdhsa_forward_progress 1
		.amdhsa_inst_pref_size 0
		.amdhsa_round_robin_scheduling 0
		.amdhsa_exception_fp_ieee_invalid_op 0
		.amdhsa_exception_fp_denorm_src 0
		.amdhsa_exception_fp_ieee_div_zero 0
		.amdhsa_exception_fp_ieee_overflow 0
		.amdhsa_exception_fp_ieee_underflow 0
		.amdhsa_exception_fp_ieee_inexact 0
		.amdhsa_exception_int_div_zero 0
	.end_amdhsa_kernel
	.section	.text._ZN7rocprim17ROCPRIM_400000_NS6detail17trampoline_kernelINS0_14default_configENS1_27scan_by_key_config_selectorIxxEEZZNS1_16scan_by_key_implILNS1_25lookback_scan_determinismE0ELb0ES3_N6thrust23THRUST_200600_302600_NS6detail15normal_iteratorINS9_10device_ptrIxEEEENS9_18transform_iteratorINS9_6negateIxEESE_NS9_11use_defaultESI_EESE_xNS9_4plusIvEENS9_8equal_toIvEExEE10hipError_tPvRmT2_T3_T4_T5_mT6_T7_P12ihipStream_tbENKUlT_T0_E_clISt17integral_constantIbLb0EES13_IbLb1EEEEDaSZ_S10_EUlSZ_E_NS1_11comp_targetILNS1_3genE10ELNS1_11target_archE1201ELNS1_3gpuE5ELNS1_3repE0EEENS1_30default_config_static_selectorELNS0_4arch9wavefront6targetE0EEEvT1_,"axG",@progbits,_ZN7rocprim17ROCPRIM_400000_NS6detail17trampoline_kernelINS0_14default_configENS1_27scan_by_key_config_selectorIxxEEZZNS1_16scan_by_key_implILNS1_25lookback_scan_determinismE0ELb0ES3_N6thrust23THRUST_200600_302600_NS6detail15normal_iteratorINS9_10device_ptrIxEEEENS9_18transform_iteratorINS9_6negateIxEESE_NS9_11use_defaultESI_EESE_xNS9_4plusIvEENS9_8equal_toIvEExEE10hipError_tPvRmT2_T3_T4_T5_mT6_T7_P12ihipStream_tbENKUlT_T0_E_clISt17integral_constantIbLb0EES13_IbLb1EEEEDaSZ_S10_EUlSZ_E_NS1_11comp_targetILNS1_3genE10ELNS1_11target_archE1201ELNS1_3gpuE5ELNS1_3repE0EEENS1_30default_config_static_selectorELNS0_4arch9wavefront6targetE0EEEvT1_,comdat
.Lfunc_end921:
	.size	_ZN7rocprim17ROCPRIM_400000_NS6detail17trampoline_kernelINS0_14default_configENS1_27scan_by_key_config_selectorIxxEEZZNS1_16scan_by_key_implILNS1_25lookback_scan_determinismE0ELb0ES3_N6thrust23THRUST_200600_302600_NS6detail15normal_iteratorINS9_10device_ptrIxEEEENS9_18transform_iteratorINS9_6negateIxEESE_NS9_11use_defaultESI_EESE_xNS9_4plusIvEENS9_8equal_toIvEExEE10hipError_tPvRmT2_T3_T4_T5_mT6_T7_P12ihipStream_tbENKUlT_T0_E_clISt17integral_constantIbLb0EES13_IbLb1EEEEDaSZ_S10_EUlSZ_E_NS1_11comp_targetILNS1_3genE10ELNS1_11target_archE1201ELNS1_3gpuE5ELNS1_3repE0EEENS1_30default_config_static_selectorELNS0_4arch9wavefront6targetE0EEEvT1_, .Lfunc_end921-_ZN7rocprim17ROCPRIM_400000_NS6detail17trampoline_kernelINS0_14default_configENS1_27scan_by_key_config_selectorIxxEEZZNS1_16scan_by_key_implILNS1_25lookback_scan_determinismE0ELb0ES3_N6thrust23THRUST_200600_302600_NS6detail15normal_iteratorINS9_10device_ptrIxEEEENS9_18transform_iteratorINS9_6negateIxEESE_NS9_11use_defaultESI_EESE_xNS9_4plusIvEENS9_8equal_toIvEExEE10hipError_tPvRmT2_T3_T4_T5_mT6_T7_P12ihipStream_tbENKUlT_T0_E_clISt17integral_constantIbLb0EES13_IbLb1EEEEDaSZ_S10_EUlSZ_E_NS1_11comp_targetILNS1_3genE10ELNS1_11target_archE1201ELNS1_3gpuE5ELNS1_3repE0EEENS1_30default_config_static_selectorELNS0_4arch9wavefront6targetE0EEEvT1_
                                        ; -- End function
	.set _ZN7rocprim17ROCPRIM_400000_NS6detail17trampoline_kernelINS0_14default_configENS1_27scan_by_key_config_selectorIxxEEZZNS1_16scan_by_key_implILNS1_25lookback_scan_determinismE0ELb0ES3_N6thrust23THRUST_200600_302600_NS6detail15normal_iteratorINS9_10device_ptrIxEEEENS9_18transform_iteratorINS9_6negateIxEESE_NS9_11use_defaultESI_EESE_xNS9_4plusIvEENS9_8equal_toIvEExEE10hipError_tPvRmT2_T3_T4_T5_mT6_T7_P12ihipStream_tbENKUlT_T0_E_clISt17integral_constantIbLb0EES13_IbLb1EEEEDaSZ_S10_EUlSZ_E_NS1_11comp_targetILNS1_3genE10ELNS1_11target_archE1201ELNS1_3gpuE5ELNS1_3repE0EEENS1_30default_config_static_selectorELNS0_4arch9wavefront6targetE0EEEvT1_.num_vgpr, 0
	.set _ZN7rocprim17ROCPRIM_400000_NS6detail17trampoline_kernelINS0_14default_configENS1_27scan_by_key_config_selectorIxxEEZZNS1_16scan_by_key_implILNS1_25lookback_scan_determinismE0ELb0ES3_N6thrust23THRUST_200600_302600_NS6detail15normal_iteratorINS9_10device_ptrIxEEEENS9_18transform_iteratorINS9_6negateIxEESE_NS9_11use_defaultESI_EESE_xNS9_4plusIvEENS9_8equal_toIvEExEE10hipError_tPvRmT2_T3_T4_T5_mT6_T7_P12ihipStream_tbENKUlT_T0_E_clISt17integral_constantIbLb0EES13_IbLb1EEEEDaSZ_S10_EUlSZ_E_NS1_11comp_targetILNS1_3genE10ELNS1_11target_archE1201ELNS1_3gpuE5ELNS1_3repE0EEENS1_30default_config_static_selectorELNS0_4arch9wavefront6targetE0EEEvT1_.num_agpr, 0
	.set _ZN7rocprim17ROCPRIM_400000_NS6detail17trampoline_kernelINS0_14default_configENS1_27scan_by_key_config_selectorIxxEEZZNS1_16scan_by_key_implILNS1_25lookback_scan_determinismE0ELb0ES3_N6thrust23THRUST_200600_302600_NS6detail15normal_iteratorINS9_10device_ptrIxEEEENS9_18transform_iteratorINS9_6negateIxEESE_NS9_11use_defaultESI_EESE_xNS9_4plusIvEENS9_8equal_toIvEExEE10hipError_tPvRmT2_T3_T4_T5_mT6_T7_P12ihipStream_tbENKUlT_T0_E_clISt17integral_constantIbLb0EES13_IbLb1EEEEDaSZ_S10_EUlSZ_E_NS1_11comp_targetILNS1_3genE10ELNS1_11target_archE1201ELNS1_3gpuE5ELNS1_3repE0EEENS1_30default_config_static_selectorELNS0_4arch9wavefront6targetE0EEEvT1_.numbered_sgpr, 0
	.set _ZN7rocprim17ROCPRIM_400000_NS6detail17trampoline_kernelINS0_14default_configENS1_27scan_by_key_config_selectorIxxEEZZNS1_16scan_by_key_implILNS1_25lookback_scan_determinismE0ELb0ES3_N6thrust23THRUST_200600_302600_NS6detail15normal_iteratorINS9_10device_ptrIxEEEENS9_18transform_iteratorINS9_6negateIxEESE_NS9_11use_defaultESI_EESE_xNS9_4plusIvEENS9_8equal_toIvEExEE10hipError_tPvRmT2_T3_T4_T5_mT6_T7_P12ihipStream_tbENKUlT_T0_E_clISt17integral_constantIbLb0EES13_IbLb1EEEEDaSZ_S10_EUlSZ_E_NS1_11comp_targetILNS1_3genE10ELNS1_11target_archE1201ELNS1_3gpuE5ELNS1_3repE0EEENS1_30default_config_static_selectorELNS0_4arch9wavefront6targetE0EEEvT1_.num_named_barrier, 0
	.set _ZN7rocprim17ROCPRIM_400000_NS6detail17trampoline_kernelINS0_14default_configENS1_27scan_by_key_config_selectorIxxEEZZNS1_16scan_by_key_implILNS1_25lookback_scan_determinismE0ELb0ES3_N6thrust23THRUST_200600_302600_NS6detail15normal_iteratorINS9_10device_ptrIxEEEENS9_18transform_iteratorINS9_6negateIxEESE_NS9_11use_defaultESI_EESE_xNS9_4plusIvEENS9_8equal_toIvEExEE10hipError_tPvRmT2_T3_T4_T5_mT6_T7_P12ihipStream_tbENKUlT_T0_E_clISt17integral_constantIbLb0EES13_IbLb1EEEEDaSZ_S10_EUlSZ_E_NS1_11comp_targetILNS1_3genE10ELNS1_11target_archE1201ELNS1_3gpuE5ELNS1_3repE0EEENS1_30default_config_static_selectorELNS0_4arch9wavefront6targetE0EEEvT1_.private_seg_size, 0
	.set _ZN7rocprim17ROCPRIM_400000_NS6detail17trampoline_kernelINS0_14default_configENS1_27scan_by_key_config_selectorIxxEEZZNS1_16scan_by_key_implILNS1_25lookback_scan_determinismE0ELb0ES3_N6thrust23THRUST_200600_302600_NS6detail15normal_iteratorINS9_10device_ptrIxEEEENS9_18transform_iteratorINS9_6negateIxEESE_NS9_11use_defaultESI_EESE_xNS9_4plusIvEENS9_8equal_toIvEExEE10hipError_tPvRmT2_T3_T4_T5_mT6_T7_P12ihipStream_tbENKUlT_T0_E_clISt17integral_constantIbLb0EES13_IbLb1EEEEDaSZ_S10_EUlSZ_E_NS1_11comp_targetILNS1_3genE10ELNS1_11target_archE1201ELNS1_3gpuE5ELNS1_3repE0EEENS1_30default_config_static_selectorELNS0_4arch9wavefront6targetE0EEEvT1_.uses_vcc, 0
	.set _ZN7rocprim17ROCPRIM_400000_NS6detail17trampoline_kernelINS0_14default_configENS1_27scan_by_key_config_selectorIxxEEZZNS1_16scan_by_key_implILNS1_25lookback_scan_determinismE0ELb0ES3_N6thrust23THRUST_200600_302600_NS6detail15normal_iteratorINS9_10device_ptrIxEEEENS9_18transform_iteratorINS9_6negateIxEESE_NS9_11use_defaultESI_EESE_xNS9_4plusIvEENS9_8equal_toIvEExEE10hipError_tPvRmT2_T3_T4_T5_mT6_T7_P12ihipStream_tbENKUlT_T0_E_clISt17integral_constantIbLb0EES13_IbLb1EEEEDaSZ_S10_EUlSZ_E_NS1_11comp_targetILNS1_3genE10ELNS1_11target_archE1201ELNS1_3gpuE5ELNS1_3repE0EEENS1_30default_config_static_selectorELNS0_4arch9wavefront6targetE0EEEvT1_.uses_flat_scratch, 0
	.set _ZN7rocprim17ROCPRIM_400000_NS6detail17trampoline_kernelINS0_14default_configENS1_27scan_by_key_config_selectorIxxEEZZNS1_16scan_by_key_implILNS1_25lookback_scan_determinismE0ELb0ES3_N6thrust23THRUST_200600_302600_NS6detail15normal_iteratorINS9_10device_ptrIxEEEENS9_18transform_iteratorINS9_6negateIxEESE_NS9_11use_defaultESI_EESE_xNS9_4plusIvEENS9_8equal_toIvEExEE10hipError_tPvRmT2_T3_T4_T5_mT6_T7_P12ihipStream_tbENKUlT_T0_E_clISt17integral_constantIbLb0EES13_IbLb1EEEEDaSZ_S10_EUlSZ_E_NS1_11comp_targetILNS1_3genE10ELNS1_11target_archE1201ELNS1_3gpuE5ELNS1_3repE0EEENS1_30default_config_static_selectorELNS0_4arch9wavefront6targetE0EEEvT1_.has_dyn_sized_stack, 0
	.set _ZN7rocprim17ROCPRIM_400000_NS6detail17trampoline_kernelINS0_14default_configENS1_27scan_by_key_config_selectorIxxEEZZNS1_16scan_by_key_implILNS1_25lookback_scan_determinismE0ELb0ES3_N6thrust23THRUST_200600_302600_NS6detail15normal_iteratorINS9_10device_ptrIxEEEENS9_18transform_iteratorINS9_6negateIxEESE_NS9_11use_defaultESI_EESE_xNS9_4plusIvEENS9_8equal_toIvEExEE10hipError_tPvRmT2_T3_T4_T5_mT6_T7_P12ihipStream_tbENKUlT_T0_E_clISt17integral_constantIbLb0EES13_IbLb1EEEEDaSZ_S10_EUlSZ_E_NS1_11comp_targetILNS1_3genE10ELNS1_11target_archE1201ELNS1_3gpuE5ELNS1_3repE0EEENS1_30default_config_static_selectorELNS0_4arch9wavefront6targetE0EEEvT1_.has_recursion, 0
	.set _ZN7rocprim17ROCPRIM_400000_NS6detail17trampoline_kernelINS0_14default_configENS1_27scan_by_key_config_selectorIxxEEZZNS1_16scan_by_key_implILNS1_25lookback_scan_determinismE0ELb0ES3_N6thrust23THRUST_200600_302600_NS6detail15normal_iteratorINS9_10device_ptrIxEEEENS9_18transform_iteratorINS9_6negateIxEESE_NS9_11use_defaultESI_EESE_xNS9_4plusIvEENS9_8equal_toIvEExEE10hipError_tPvRmT2_T3_T4_T5_mT6_T7_P12ihipStream_tbENKUlT_T0_E_clISt17integral_constantIbLb0EES13_IbLb1EEEEDaSZ_S10_EUlSZ_E_NS1_11comp_targetILNS1_3genE10ELNS1_11target_archE1201ELNS1_3gpuE5ELNS1_3repE0EEENS1_30default_config_static_selectorELNS0_4arch9wavefront6targetE0EEEvT1_.has_indirect_call, 0
	.section	.AMDGPU.csdata,"",@progbits
; Kernel info:
; codeLenInByte = 0
; TotalNumSgprs: 0
; NumVgprs: 0
; ScratchSize: 0
; MemoryBound: 0
; FloatMode: 240
; IeeeMode: 1
; LDSByteSize: 0 bytes/workgroup (compile time only)
; SGPRBlocks: 0
; VGPRBlocks: 0
; NumSGPRsForWavesPerEU: 1
; NumVGPRsForWavesPerEU: 1
; NamedBarCnt: 0
; Occupancy: 16
; WaveLimiterHint : 0
; COMPUTE_PGM_RSRC2:SCRATCH_EN: 0
; COMPUTE_PGM_RSRC2:USER_SGPR: 2
; COMPUTE_PGM_RSRC2:TRAP_HANDLER: 0
; COMPUTE_PGM_RSRC2:TGID_X_EN: 1
; COMPUTE_PGM_RSRC2:TGID_Y_EN: 0
; COMPUTE_PGM_RSRC2:TGID_Z_EN: 0
; COMPUTE_PGM_RSRC2:TIDIG_COMP_CNT: 0
	.section	.text._ZN7rocprim17ROCPRIM_400000_NS6detail17trampoline_kernelINS0_14default_configENS1_27scan_by_key_config_selectorIxxEEZZNS1_16scan_by_key_implILNS1_25lookback_scan_determinismE0ELb0ES3_N6thrust23THRUST_200600_302600_NS6detail15normal_iteratorINS9_10device_ptrIxEEEENS9_18transform_iteratorINS9_6negateIxEESE_NS9_11use_defaultESI_EESE_xNS9_4plusIvEENS9_8equal_toIvEExEE10hipError_tPvRmT2_T3_T4_T5_mT6_T7_P12ihipStream_tbENKUlT_T0_E_clISt17integral_constantIbLb0EES13_IbLb1EEEEDaSZ_S10_EUlSZ_E_NS1_11comp_targetILNS1_3genE5ELNS1_11target_archE942ELNS1_3gpuE9ELNS1_3repE0EEENS1_30default_config_static_selectorELNS0_4arch9wavefront6targetE0EEEvT1_,"axG",@progbits,_ZN7rocprim17ROCPRIM_400000_NS6detail17trampoline_kernelINS0_14default_configENS1_27scan_by_key_config_selectorIxxEEZZNS1_16scan_by_key_implILNS1_25lookback_scan_determinismE0ELb0ES3_N6thrust23THRUST_200600_302600_NS6detail15normal_iteratorINS9_10device_ptrIxEEEENS9_18transform_iteratorINS9_6negateIxEESE_NS9_11use_defaultESI_EESE_xNS9_4plusIvEENS9_8equal_toIvEExEE10hipError_tPvRmT2_T3_T4_T5_mT6_T7_P12ihipStream_tbENKUlT_T0_E_clISt17integral_constantIbLb0EES13_IbLb1EEEEDaSZ_S10_EUlSZ_E_NS1_11comp_targetILNS1_3genE5ELNS1_11target_archE942ELNS1_3gpuE9ELNS1_3repE0EEENS1_30default_config_static_selectorELNS0_4arch9wavefront6targetE0EEEvT1_,comdat
	.protected	_ZN7rocprim17ROCPRIM_400000_NS6detail17trampoline_kernelINS0_14default_configENS1_27scan_by_key_config_selectorIxxEEZZNS1_16scan_by_key_implILNS1_25lookback_scan_determinismE0ELb0ES3_N6thrust23THRUST_200600_302600_NS6detail15normal_iteratorINS9_10device_ptrIxEEEENS9_18transform_iteratorINS9_6negateIxEESE_NS9_11use_defaultESI_EESE_xNS9_4plusIvEENS9_8equal_toIvEExEE10hipError_tPvRmT2_T3_T4_T5_mT6_T7_P12ihipStream_tbENKUlT_T0_E_clISt17integral_constantIbLb0EES13_IbLb1EEEEDaSZ_S10_EUlSZ_E_NS1_11comp_targetILNS1_3genE5ELNS1_11target_archE942ELNS1_3gpuE9ELNS1_3repE0EEENS1_30default_config_static_selectorELNS0_4arch9wavefront6targetE0EEEvT1_ ; -- Begin function _ZN7rocprim17ROCPRIM_400000_NS6detail17trampoline_kernelINS0_14default_configENS1_27scan_by_key_config_selectorIxxEEZZNS1_16scan_by_key_implILNS1_25lookback_scan_determinismE0ELb0ES3_N6thrust23THRUST_200600_302600_NS6detail15normal_iteratorINS9_10device_ptrIxEEEENS9_18transform_iteratorINS9_6negateIxEESE_NS9_11use_defaultESI_EESE_xNS9_4plusIvEENS9_8equal_toIvEExEE10hipError_tPvRmT2_T3_T4_T5_mT6_T7_P12ihipStream_tbENKUlT_T0_E_clISt17integral_constantIbLb0EES13_IbLb1EEEEDaSZ_S10_EUlSZ_E_NS1_11comp_targetILNS1_3genE5ELNS1_11target_archE942ELNS1_3gpuE9ELNS1_3repE0EEENS1_30default_config_static_selectorELNS0_4arch9wavefront6targetE0EEEvT1_
	.globl	_ZN7rocprim17ROCPRIM_400000_NS6detail17trampoline_kernelINS0_14default_configENS1_27scan_by_key_config_selectorIxxEEZZNS1_16scan_by_key_implILNS1_25lookback_scan_determinismE0ELb0ES3_N6thrust23THRUST_200600_302600_NS6detail15normal_iteratorINS9_10device_ptrIxEEEENS9_18transform_iteratorINS9_6negateIxEESE_NS9_11use_defaultESI_EESE_xNS9_4plusIvEENS9_8equal_toIvEExEE10hipError_tPvRmT2_T3_T4_T5_mT6_T7_P12ihipStream_tbENKUlT_T0_E_clISt17integral_constantIbLb0EES13_IbLb1EEEEDaSZ_S10_EUlSZ_E_NS1_11comp_targetILNS1_3genE5ELNS1_11target_archE942ELNS1_3gpuE9ELNS1_3repE0EEENS1_30default_config_static_selectorELNS0_4arch9wavefront6targetE0EEEvT1_
	.p2align	8
	.type	_ZN7rocprim17ROCPRIM_400000_NS6detail17trampoline_kernelINS0_14default_configENS1_27scan_by_key_config_selectorIxxEEZZNS1_16scan_by_key_implILNS1_25lookback_scan_determinismE0ELb0ES3_N6thrust23THRUST_200600_302600_NS6detail15normal_iteratorINS9_10device_ptrIxEEEENS9_18transform_iteratorINS9_6negateIxEESE_NS9_11use_defaultESI_EESE_xNS9_4plusIvEENS9_8equal_toIvEExEE10hipError_tPvRmT2_T3_T4_T5_mT6_T7_P12ihipStream_tbENKUlT_T0_E_clISt17integral_constantIbLb0EES13_IbLb1EEEEDaSZ_S10_EUlSZ_E_NS1_11comp_targetILNS1_3genE5ELNS1_11target_archE942ELNS1_3gpuE9ELNS1_3repE0EEENS1_30default_config_static_selectorELNS0_4arch9wavefront6targetE0EEEvT1_,@function
_ZN7rocprim17ROCPRIM_400000_NS6detail17trampoline_kernelINS0_14default_configENS1_27scan_by_key_config_selectorIxxEEZZNS1_16scan_by_key_implILNS1_25lookback_scan_determinismE0ELb0ES3_N6thrust23THRUST_200600_302600_NS6detail15normal_iteratorINS9_10device_ptrIxEEEENS9_18transform_iteratorINS9_6negateIxEESE_NS9_11use_defaultESI_EESE_xNS9_4plusIvEENS9_8equal_toIvEExEE10hipError_tPvRmT2_T3_T4_T5_mT6_T7_P12ihipStream_tbENKUlT_T0_E_clISt17integral_constantIbLb0EES13_IbLb1EEEEDaSZ_S10_EUlSZ_E_NS1_11comp_targetILNS1_3genE5ELNS1_11target_archE942ELNS1_3gpuE9ELNS1_3repE0EEENS1_30default_config_static_selectorELNS0_4arch9wavefront6targetE0EEEvT1_: ; @_ZN7rocprim17ROCPRIM_400000_NS6detail17trampoline_kernelINS0_14default_configENS1_27scan_by_key_config_selectorIxxEEZZNS1_16scan_by_key_implILNS1_25lookback_scan_determinismE0ELb0ES3_N6thrust23THRUST_200600_302600_NS6detail15normal_iteratorINS9_10device_ptrIxEEEENS9_18transform_iteratorINS9_6negateIxEESE_NS9_11use_defaultESI_EESE_xNS9_4plusIvEENS9_8equal_toIvEExEE10hipError_tPvRmT2_T3_T4_T5_mT6_T7_P12ihipStream_tbENKUlT_T0_E_clISt17integral_constantIbLb0EES13_IbLb1EEEEDaSZ_S10_EUlSZ_E_NS1_11comp_targetILNS1_3genE5ELNS1_11target_archE942ELNS1_3gpuE9ELNS1_3repE0EEENS1_30default_config_static_selectorELNS0_4arch9wavefront6targetE0EEEvT1_
; %bb.0:
	.section	.rodata,"a",@progbits
	.p2align	6, 0x0
	.amdhsa_kernel _ZN7rocprim17ROCPRIM_400000_NS6detail17trampoline_kernelINS0_14default_configENS1_27scan_by_key_config_selectorIxxEEZZNS1_16scan_by_key_implILNS1_25lookback_scan_determinismE0ELb0ES3_N6thrust23THRUST_200600_302600_NS6detail15normal_iteratorINS9_10device_ptrIxEEEENS9_18transform_iteratorINS9_6negateIxEESE_NS9_11use_defaultESI_EESE_xNS9_4plusIvEENS9_8equal_toIvEExEE10hipError_tPvRmT2_T3_T4_T5_mT6_T7_P12ihipStream_tbENKUlT_T0_E_clISt17integral_constantIbLb0EES13_IbLb1EEEEDaSZ_S10_EUlSZ_E_NS1_11comp_targetILNS1_3genE5ELNS1_11target_archE942ELNS1_3gpuE9ELNS1_3repE0EEENS1_30default_config_static_selectorELNS0_4arch9wavefront6targetE0EEEvT1_
		.amdhsa_group_segment_fixed_size 0
		.amdhsa_private_segment_fixed_size 0
		.amdhsa_kernarg_size 144
		.amdhsa_user_sgpr_count 2
		.amdhsa_user_sgpr_dispatch_ptr 0
		.amdhsa_user_sgpr_queue_ptr 0
		.amdhsa_user_sgpr_kernarg_segment_ptr 1
		.amdhsa_user_sgpr_dispatch_id 0
		.amdhsa_user_sgpr_kernarg_preload_length 0
		.amdhsa_user_sgpr_kernarg_preload_offset 0
		.amdhsa_user_sgpr_private_segment_size 0
		.amdhsa_wavefront_size32 1
		.amdhsa_uses_dynamic_stack 0
		.amdhsa_enable_private_segment 0
		.amdhsa_system_sgpr_workgroup_id_x 1
		.amdhsa_system_sgpr_workgroup_id_y 0
		.amdhsa_system_sgpr_workgroup_id_z 0
		.amdhsa_system_sgpr_workgroup_info 0
		.amdhsa_system_vgpr_workitem_id 0
		.amdhsa_next_free_vgpr 1
		.amdhsa_next_free_sgpr 1
		.amdhsa_named_barrier_count 0
		.amdhsa_reserve_vcc 0
		.amdhsa_float_round_mode_32 0
		.amdhsa_float_round_mode_16_64 0
		.amdhsa_float_denorm_mode_32 3
		.amdhsa_float_denorm_mode_16_64 3
		.amdhsa_fp16_overflow 0
		.amdhsa_memory_ordered 1
		.amdhsa_forward_progress 1
		.amdhsa_inst_pref_size 0
		.amdhsa_round_robin_scheduling 0
		.amdhsa_exception_fp_ieee_invalid_op 0
		.amdhsa_exception_fp_denorm_src 0
		.amdhsa_exception_fp_ieee_div_zero 0
		.amdhsa_exception_fp_ieee_overflow 0
		.amdhsa_exception_fp_ieee_underflow 0
		.amdhsa_exception_fp_ieee_inexact 0
		.amdhsa_exception_int_div_zero 0
	.end_amdhsa_kernel
	.section	.text._ZN7rocprim17ROCPRIM_400000_NS6detail17trampoline_kernelINS0_14default_configENS1_27scan_by_key_config_selectorIxxEEZZNS1_16scan_by_key_implILNS1_25lookback_scan_determinismE0ELb0ES3_N6thrust23THRUST_200600_302600_NS6detail15normal_iteratorINS9_10device_ptrIxEEEENS9_18transform_iteratorINS9_6negateIxEESE_NS9_11use_defaultESI_EESE_xNS9_4plusIvEENS9_8equal_toIvEExEE10hipError_tPvRmT2_T3_T4_T5_mT6_T7_P12ihipStream_tbENKUlT_T0_E_clISt17integral_constantIbLb0EES13_IbLb1EEEEDaSZ_S10_EUlSZ_E_NS1_11comp_targetILNS1_3genE5ELNS1_11target_archE942ELNS1_3gpuE9ELNS1_3repE0EEENS1_30default_config_static_selectorELNS0_4arch9wavefront6targetE0EEEvT1_,"axG",@progbits,_ZN7rocprim17ROCPRIM_400000_NS6detail17trampoline_kernelINS0_14default_configENS1_27scan_by_key_config_selectorIxxEEZZNS1_16scan_by_key_implILNS1_25lookback_scan_determinismE0ELb0ES3_N6thrust23THRUST_200600_302600_NS6detail15normal_iteratorINS9_10device_ptrIxEEEENS9_18transform_iteratorINS9_6negateIxEESE_NS9_11use_defaultESI_EESE_xNS9_4plusIvEENS9_8equal_toIvEExEE10hipError_tPvRmT2_T3_T4_T5_mT6_T7_P12ihipStream_tbENKUlT_T0_E_clISt17integral_constantIbLb0EES13_IbLb1EEEEDaSZ_S10_EUlSZ_E_NS1_11comp_targetILNS1_3genE5ELNS1_11target_archE942ELNS1_3gpuE9ELNS1_3repE0EEENS1_30default_config_static_selectorELNS0_4arch9wavefront6targetE0EEEvT1_,comdat
.Lfunc_end922:
	.size	_ZN7rocprim17ROCPRIM_400000_NS6detail17trampoline_kernelINS0_14default_configENS1_27scan_by_key_config_selectorIxxEEZZNS1_16scan_by_key_implILNS1_25lookback_scan_determinismE0ELb0ES3_N6thrust23THRUST_200600_302600_NS6detail15normal_iteratorINS9_10device_ptrIxEEEENS9_18transform_iteratorINS9_6negateIxEESE_NS9_11use_defaultESI_EESE_xNS9_4plusIvEENS9_8equal_toIvEExEE10hipError_tPvRmT2_T3_T4_T5_mT6_T7_P12ihipStream_tbENKUlT_T0_E_clISt17integral_constantIbLb0EES13_IbLb1EEEEDaSZ_S10_EUlSZ_E_NS1_11comp_targetILNS1_3genE5ELNS1_11target_archE942ELNS1_3gpuE9ELNS1_3repE0EEENS1_30default_config_static_selectorELNS0_4arch9wavefront6targetE0EEEvT1_, .Lfunc_end922-_ZN7rocprim17ROCPRIM_400000_NS6detail17trampoline_kernelINS0_14default_configENS1_27scan_by_key_config_selectorIxxEEZZNS1_16scan_by_key_implILNS1_25lookback_scan_determinismE0ELb0ES3_N6thrust23THRUST_200600_302600_NS6detail15normal_iteratorINS9_10device_ptrIxEEEENS9_18transform_iteratorINS9_6negateIxEESE_NS9_11use_defaultESI_EESE_xNS9_4plusIvEENS9_8equal_toIvEExEE10hipError_tPvRmT2_T3_T4_T5_mT6_T7_P12ihipStream_tbENKUlT_T0_E_clISt17integral_constantIbLb0EES13_IbLb1EEEEDaSZ_S10_EUlSZ_E_NS1_11comp_targetILNS1_3genE5ELNS1_11target_archE942ELNS1_3gpuE9ELNS1_3repE0EEENS1_30default_config_static_selectorELNS0_4arch9wavefront6targetE0EEEvT1_
                                        ; -- End function
	.set _ZN7rocprim17ROCPRIM_400000_NS6detail17trampoline_kernelINS0_14default_configENS1_27scan_by_key_config_selectorIxxEEZZNS1_16scan_by_key_implILNS1_25lookback_scan_determinismE0ELb0ES3_N6thrust23THRUST_200600_302600_NS6detail15normal_iteratorINS9_10device_ptrIxEEEENS9_18transform_iteratorINS9_6negateIxEESE_NS9_11use_defaultESI_EESE_xNS9_4plusIvEENS9_8equal_toIvEExEE10hipError_tPvRmT2_T3_T4_T5_mT6_T7_P12ihipStream_tbENKUlT_T0_E_clISt17integral_constantIbLb0EES13_IbLb1EEEEDaSZ_S10_EUlSZ_E_NS1_11comp_targetILNS1_3genE5ELNS1_11target_archE942ELNS1_3gpuE9ELNS1_3repE0EEENS1_30default_config_static_selectorELNS0_4arch9wavefront6targetE0EEEvT1_.num_vgpr, 0
	.set _ZN7rocprim17ROCPRIM_400000_NS6detail17trampoline_kernelINS0_14default_configENS1_27scan_by_key_config_selectorIxxEEZZNS1_16scan_by_key_implILNS1_25lookback_scan_determinismE0ELb0ES3_N6thrust23THRUST_200600_302600_NS6detail15normal_iteratorINS9_10device_ptrIxEEEENS9_18transform_iteratorINS9_6negateIxEESE_NS9_11use_defaultESI_EESE_xNS9_4plusIvEENS9_8equal_toIvEExEE10hipError_tPvRmT2_T3_T4_T5_mT6_T7_P12ihipStream_tbENKUlT_T0_E_clISt17integral_constantIbLb0EES13_IbLb1EEEEDaSZ_S10_EUlSZ_E_NS1_11comp_targetILNS1_3genE5ELNS1_11target_archE942ELNS1_3gpuE9ELNS1_3repE0EEENS1_30default_config_static_selectorELNS0_4arch9wavefront6targetE0EEEvT1_.num_agpr, 0
	.set _ZN7rocprim17ROCPRIM_400000_NS6detail17trampoline_kernelINS0_14default_configENS1_27scan_by_key_config_selectorIxxEEZZNS1_16scan_by_key_implILNS1_25lookback_scan_determinismE0ELb0ES3_N6thrust23THRUST_200600_302600_NS6detail15normal_iteratorINS9_10device_ptrIxEEEENS9_18transform_iteratorINS9_6negateIxEESE_NS9_11use_defaultESI_EESE_xNS9_4plusIvEENS9_8equal_toIvEExEE10hipError_tPvRmT2_T3_T4_T5_mT6_T7_P12ihipStream_tbENKUlT_T0_E_clISt17integral_constantIbLb0EES13_IbLb1EEEEDaSZ_S10_EUlSZ_E_NS1_11comp_targetILNS1_3genE5ELNS1_11target_archE942ELNS1_3gpuE9ELNS1_3repE0EEENS1_30default_config_static_selectorELNS0_4arch9wavefront6targetE0EEEvT1_.numbered_sgpr, 0
	.set _ZN7rocprim17ROCPRIM_400000_NS6detail17trampoline_kernelINS0_14default_configENS1_27scan_by_key_config_selectorIxxEEZZNS1_16scan_by_key_implILNS1_25lookback_scan_determinismE0ELb0ES3_N6thrust23THRUST_200600_302600_NS6detail15normal_iteratorINS9_10device_ptrIxEEEENS9_18transform_iteratorINS9_6negateIxEESE_NS9_11use_defaultESI_EESE_xNS9_4plusIvEENS9_8equal_toIvEExEE10hipError_tPvRmT2_T3_T4_T5_mT6_T7_P12ihipStream_tbENKUlT_T0_E_clISt17integral_constantIbLb0EES13_IbLb1EEEEDaSZ_S10_EUlSZ_E_NS1_11comp_targetILNS1_3genE5ELNS1_11target_archE942ELNS1_3gpuE9ELNS1_3repE0EEENS1_30default_config_static_selectorELNS0_4arch9wavefront6targetE0EEEvT1_.num_named_barrier, 0
	.set _ZN7rocprim17ROCPRIM_400000_NS6detail17trampoline_kernelINS0_14default_configENS1_27scan_by_key_config_selectorIxxEEZZNS1_16scan_by_key_implILNS1_25lookback_scan_determinismE0ELb0ES3_N6thrust23THRUST_200600_302600_NS6detail15normal_iteratorINS9_10device_ptrIxEEEENS9_18transform_iteratorINS9_6negateIxEESE_NS9_11use_defaultESI_EESE_xNS9_4plusIvEENS9_8equal_toIvEExEE10hipError_tPvRmT2_T3_T4_T5_mT6_T7_P12ihipStream_tbENKUlT_T0_E_clISt17integral_constantIbLb0EES13_IbLb1EEEEDaSZ_S10_EUlSZ_E_NS1_11comp_targetILNS1_3genE5ELNS1_11target_archE942ELNS1_3gpuE9ELNS1_3repE0EEENS1_30default_config_static_selectorELNS0_4arch9wavefront6targetE0EEEvT1_.private_seg_size, 0
	.set _ZN7rocprim17ROCPRIM_400000_NS6detail17trampoline_kernelINS0_14default_configENS1_27scan_by_key_config_selectorIxxEEZZNS1_16scan_by_key_implILNS1_25lookback_scan_determinismE0ELb0ES3_N6thrust23THRUST_200600_302600_NS6detail15normal_iteratorINS9_10device_ptrIxEEEENS9_18transform_iteratorINS9_6negateIxEESE_NS9_11use_defaultESI_EESE_xNS9_4plusIvEENS9_8equal_toIvEExEE10hipError_tPvRmT2_T3_T4_T5_mT6_T7_P12ihipStream_tbENKUlT_T0_E_clISt17integral_constantIbLb0EES13_IbLb1EEEEDaSZ_S10_EUlSZ_E_NS1_11comp_targetILNS1_3genE5ELNS1_11target_archE942ELNS1_3gpuE9ELNS1_3repE0EEENS1_30default_config_static_selectorELNS0_4arch9wavefront6targetE0EEEvT1_.uses_vcc, 0
	.set _ZN7rocprim17ROCPRIM_400000_NS6detail17trampoline_kernelINS0_14default_configENS1_27scan_by_key_config_selectorIxxEEZZNS1_16scan_by_key_implILNS1_25lookback_scan_determinismE0ELb0ES3_N6thrust23THRUST_200600_302600_NS6detail15normal_iteratorINS9_10device_ptrIxEEEENS9_18transform_iteratorINS9_6negateIxEESE_NS9_11use_defaultESI_EESE_xNS9_4plusIvEENS9_8equal_toIvEExEE10hipError_tPvRmT2_T3_T4_T5_mT6_T7_P12ihipStream_tbENKUlT_T0_E_clISt17integral_constantIbLb0EES13_IbLb1EEEEDaSZ_S10_EUlSZ_E_NS1_11comp_targetILNS1_3genE5ELNS1_11target_archE942ELNS1_3gpuE9ELNS1_3repE0EEENS1_30default_config_static_selectorELNS0_4arch9wavefront6targetE0EEEvT1_.uses_flat_scratch, 0
	.set _ZN7rocprim17ROCPRIM_400000_NS6detail17trampoline_kernelINS0_14default_configENS1_27scan_by_key_config_selectorIxxEEZZNS1_16scan_by_key_implILNS1_25lookback_scan_determinismE0ELb0ES3_N6thrust23THRUST_200600_302600_NS6detail15normal_iteratorINS9_10device_ptrIxEEEENS9_18transform_iteratorINS9_6negateIxEESE_NS9_11use_defaultESI_EESE_xNS9_4plusIvEENS9_8equal_toIvEExEE10hipError_tPvRmT2_T3_T4_T5_mT6_T7_P12ihipStream_tbENKUlT_T0_E_clISt17integral_constantIbLb0EES13_IbLb1EEEEDaSZ_S10_EUlSZ_E_NS1_11comp_targetILNS1_3genE5ELNS1_11target_archE942ELNS1_3gpuE9ELNS1_3repE0EEENS1_30default_config_static_selectorELNS0_4arch9wavefront6targetE0EEEvT1_.has_dyn_sized_stack, 0
	.set _ZN7rocprim17ROCPRIM_400000_NS6detail17trampoline_kernelINS0_14default_configENS1_27scan_by_key_config_selectorIxxEEZZNS1_16scan_by_key_implILNS1_25lookback_scan_determinismE0ELb0ES3_N6thrust23THRUST_200600_302600_NS6detail15normal_iteratorINS9_10device_ptrIxEEEENS9_18transform_iteratorINS9_6negateIxEESE_NS9_11use_defaultESI_EESE_xNS9_4plusIvEENS9_8equal_toIvEExEE10hipError_tPvRmT2_T3_T4_T5_mT6_T7_P12ihipStream_tbENKUlT_T0_E_clISt17integral_constantIbLb0EES13_IbLb1EEEEDaSZ_S10_EUlSZ_E_NS1_11comp_targetILNS1_3genE5ELNS1_11target_archE942ELNS1_3gpuE9ELNS1_3repE0EEENS1_30default_config_static_selectorELNS0_4arch9wavefront6targetE0EEEvT1_.has_recursion, 0
	.set _ZN7rocprim17ROCPRIM_400000_NS6detail17trampoline_kernelINS0_14default_configENS1_27scan_by_key_config_selectorIxxEEZZNS1_16scan_by_key_implILNS1_25lookback_scan_determinismE0ELb0ES3_N6thrust23THRUST_200600_302600_NS6detail15normal_iteratorINS9_10device_ptrIxEEEENS9_18transform_iteratorINS9_6negateIxEESE_NS9_11use_defaultESI_EESE_xNS9_4plusIvEENS9_8equal_toIvEExEE10hipError_tPvRmT2_T3_T4_T5_mT6_T7_P12ihipStream_tbENKUlT_T0_E_clISt17integral_constantIbLb0EES13_IbLb1EEEEDaSZ_S10_EUlSZ_E_NS1_11comp_targetILNS1_3genE5ELNS1_11target_archE942ELNS1_3gpuE9ELNS1_3repE0EEENS1_30default_config_static_selectorELNS0_4arch9wavefront6targetE0EEEvT1_.has_indirect_call, 0
	.section	.AMDGPU.csdata,"",@progbits
; Kernel info:
; codeLenInByte = 0
; TotalNumSgprs: 0
; NumVgprs: 0
; ScratchSize: 0
; MemoryBound: 0
; FloatMode: 240
; IeeeMode: 1
; LDSByteSize: 0 bytes/workgroup (compile time only)
; SGPRBlocks: 0
; VGPRBlocks: 0
; NumSGPRsForWavesPerEU: 1
; NumVGPRsForWavesPerEU: 1
; NamedBarCnt: 0
; Occupancy: 16
; WaveLimiterHint : 0
; COMPUTE_PGM_RSRC2:SCRATCH_EN: 0
; COMPUTE_PGM_RSRC2:USER_SGPR: 2
; COMPUTE_PGM_RSRC2:TRAP_HANDLER: 0
; COMPUTE_PGM_RSRC2:TGID_X_EN: 1
; COMPUTE_PGM_RSRC2:TGID_Y_EN: 0
; COMPUTE_PGM_RSRC2:TGID_Z_EN: 0
; COMPUTE_PGM_RSRC2:TIDIG_COMP_CNT: 0
	.section	.text._ZN7rocprim17ROCPRIM_400000_NS6detail17trampoline_kernelINS0_14default_configENS1_27scan_by_key_config_selectorIxxEEZZNS1_16scan_by_key_implILNS1_25lookback_scan_determinismE0ELb0ES3_N6thrust23THRUST_200600_302600_NS6detail15normal_iteratorINS9_10device_ptrIxEEEENS9_18transform_iteratorINS9_6negateIxEESE_NS9_11use_defaultESI_EESE_xNS9_4plusIvEENS9_8equal_toIvEExEE10hipError_tPvRmT2_T3_T4_T5_mT6_T7_P12ihipStream_tbENKUlT_T0_E_clISt17integral_constantIbLb0EES13_IbLb1EEEEDaSZ_S10_EUlSZ_E_NS1_11comp_targetILNS1_3genE4ELNS1_11target_archE910ELNS1_3gpuE8ELNS1_3repE0EEENS1_30default_config_static_selectorELNS0_4arch9wavefront6targetE0EEEvT1_,"axG",@progbits,_ZN7rocprim17ROCPRIM_400000_NS6detail17trampoline_kernelINS0_14default_configENS1_27scan_by_key_config_selectorIxxEEZZNS1_16scan_by_key_implILNS1_25lookback_scan_determinismE0ELb0ES3_N6thrust23THRUST_200600_302600_NS6detail15normal_iteratorINS9_10device_ptrIxEEEENS9_18transform_iteratorINS9_6negateIxEESE_NS9_11use_defaultESI_EESE_xNS9_4plusIvEENS9_8equal_toIvEExEE10hipError_tPvRmT2_T3_T4_T5_mT6_T7_P12ihipStream_tbENKUlT_T0_E_clISt17integral_constantIbLb0EES13_IbLb1EEEEDaSZ_S10_EUlSZ_E_NS1_11comp_targetILNS1_3genE4ELNS1_11target_archE910ELNS1_3gpuE8ELNS1_3repE0EEENS1_30default_config_static_selectorELNS0_4arch9wavefront6targetE0EEEvT1_,comdat
	.protected	_ZN7rocprim17ROCPRIM_400000_NS6detail17trampoline_kernelINS0_14default_configENS1_27scan_by_key_config_selectorIxxEEZZNS1_16scan_by_key_implILNS1_25lookback_scan_determinismE0ELb0ES3_N6thrust23THRUST_200600_302600_NS6detail15normal_iteratorINS9_10device_ptrIxEEEENS9_18transform_iteratorINS9_6negateIxEESE_NS9_11use_defaultESI_EESE_xNS9_4plusIvEENS9_8equal_toIvEExEE10hipError_tPvRmT2_T3_T4_T5_mT6_T7_P12ihipStream_tbENKUlT_T0_E_clISt17integral_constantIbLb0EES13_IbLb1EEEEDaSZ_S10_EUlSZ_E_NS1_11comp_targetILNS1_3genE4ELNS1_11target_archE910ELNS1_3gpuE8ELNS1_3repE0EEENS1_30default_config_static_selectorELNS0_4arch9wavefront6targetE0EEEvT1_ ; -- Begin function _ZN7rocprim17ROCPRIM_400000_NS6detail17trampoline_kernelINS0_14default_configENS1_27scan_by_key_config_selectorIxxEEZZNS1_16scan_by_key_implILNS1_25lookback_scan_determinismE0ELb0ES3_N6thrust23THRUST_200600_302600_NS6detail15normal_iteratorINS9_10device_ptrIxEEEENS9_18transform_iteratorINS9_6negateIxEESE_NS9_11use_defaultESI_EESE_xNS9_4plusIvEENS9_8equal_toIvEExEE10hipError_tPvRmT2_T3_T4_T5_mT6_T7_P12ihipStream_tbENKUlT_T0_E_clISt17integral_constantIbLb0EES13_IbLb1EEEEDaSZ_S10_EUlSZ_E_NS1_11comp_targetILNS1_3genE4ELNS1_11target_archE910ELNS1_3gpuE8ELNS1_3repE0EEENS1_30default_config_static_selectorELNS0_4arch9wavefront6targetE0EEEvT1_
	.globl	_ZN7rocprim17ROCPRIM_400000_NS6detail17trampoline_kernelINS0_14default_configENS1_27scan_by_key_config_selectorIxxEEZZNS1_16scan_by_key_implILNS1_25lookback_scan_determinismE0ELb0ES3_N6thrust23THRUST_200600_302600_NS6detail15normal_iteratorINS9_10device_ptrIxEEEENS9_18transform_iteratorINS9_6negateIxEESE_NS9_11use_defaultESI_EESE_xNS9_4plusIvEENS9_8equal_toIvEExEE10hipError_tPvRmT2_T3_T4_T5_mT6_T7_P12ihipStream_tbENKUlT_T0_E_clISt17integral_constantIbLb0EES13_IbLb1EEEEDaSZ_S10_EUlSZ_E_NS1_11comp_targetILNS1_3genE4ELNS1_11target_archE910ELNS1_3gpuE8ELNS1_3repE0EEENS1_30default_config_static_selectorELNS0_4arch9wavefront6targetE0EEEvT1_
	.p2align	8
	.type	_ZN7rocprim17ROCPRIM_400000_NS6detail17trampoline_kernelINS0_14default_configENS1_27scan_by_key_config_selectorIxxEEZZNS1_16scan_by_key_implILNS1_25lookback_scan_determinismE0ELb0ES3_N6thrust23THRUST_200600_302600_NS6detail15normal_iteratorINS9_10device_ptrIxEEEENS9_18transform_iteratorINS9_6negateIxEESE_NS9_11use_defaultESI_EESE_xNS9_4plusIvEENS9_8equal_toIvEExEE10hipError_tPvRmT2_T3_T4_T5_mT6_T7_P12ihipStream_tbENKUlT_T0_E_clISt17integral_constantIbLb0EES13_IbLb1EEEEDaSZ_S10_EUlSZ_E_NS1_11comp_targetILNS1_3genE4ELNS1_11target_archE910ELNS1_3gpuE8ELNS1_3repE0EEENS1_30default_config_static_selectorELNS0_4arch9wavefront6targetE0EEEvT1_,@function
_ZN7rocprim17ROCPRIM_400000_NS6detail17trampoline_kernelINS0_14default_configENS1_27scan_by_key_config_selectorIxxEEZZNS1_16scan_by_key_implILNS1_25lookback_scan_determinismE0ELb0ES3_N6thrust23THRUST_200600_302600_NS6detail15normal_iteratorINS9_10device_ptrIxEEEENS9_18transform_iteratorINS9_6negateIxEESE_NS9_11use_defaultESI_EESE_xNS9_4plusIvEENS9_8equal_toIvEExEE10hipError_tPvRmT2_T3_T4_T5_mT6_T7_P12ihipStream_tbENKUlT_T0_E_clISt17integral_constantIbLb0EES13_IbLb1EEEEDaSZ_S10_EUlSZ_E_NS1_11comp_targetILNS1_3genE4ELNS1_11target_archE910ELNS1_3gpuE8ELNS1_3repE0EEENS1_30default_config_static_selectorELNS0_4arch9wavefront6targetE0EEEvT1_: ; @_ZN7rocprim17ROCPRIM_400000_NS6detail17trampoline_kernelINS0_14default_configENS1_27scan_by_key_config_selectorIxxEEZZNS1_16scan_by_key_implILNS1_25lookback_scan_determinismE0ELb0ES3_N6thrust23THRUST_200600_302600_NS6detail15normal_iteratorINS9_10device_ptrIxEEEENS9_18transform_iteratorINS9_6negateIxEESE_NS9_11use_defaultESI_EESE_xNS9_4plusIvEENS9_8equal_toIvEExEE10hipError_tPvRmT2_T3_T4_T5_mT6_T7_P12ihipStream_tbENKUlT_T0_E_clISt17integral_constantIbLb0EES13_IbLb1EEEEDaSZ_S10_EUlSZ_E_NS1_11comp_targetILNS1_3genE4ELNS1_11target_archE910ELNS1_3gpuE8ELNS1_3repE0EEENS1_30default_config_static_selectorELNS0_4arch9wavefront6targetE0EEEvT1_
; %bb.0:
	.section	.rodata,"a",@progbits
	.p2align	6, 0x0
	.amdhsa_kernel _ZN7rocprim17ROCPRIM_400000_NS6detail17trampoline_kernelINS0_14default_configENS1_27scan_by_key_config_selectorIxxEEZZNS1_16scan_by_key_implILNS1_25lookback_scan_determinismE0ELb0ES3_N6thrust23THRUST_200600_302600_NS6detail15normal_iteratorINS9_10device_ptrIxEEEENS9_18transform_iteratorINS9_6negateIxEESE_NS9_11use_defaultESI_EESE_xNS9_4plusIvEENS9_8equal_toIvEExEE10hipError_tPvRmT2_T3_T4_T5_mT6_T7_P12ihipStream_tbENKUlT_T0_E_clISt17integral_constantIbLb0EES13_IbLb1EEEEDaSZ_S10_EUlSZ_E_NS1_11comp_targetILNS1_3genE4ELNS1_11target_archE910ELNS1_3gpuE8ELNS1_3repE0EEENS1_30default_config_static_selectorELNS0_4arch9wavefront6targetE0EEEvT1_
		.amdhsa_group_segment_fixed_size 0
		.amdhsa_private_segment_fixed_size 0
		.amdhsa_kernarg_size 144
		.amdhsa_user_sgpr_count 2
		.amdhsa_user_sgpr_dispatch_ptr 0
		.amdhsa_user_sgpr_queue_ptr 0
		.amdhsa_user_sgpr_kernarg_segment_ptr 1
		.amdhsa_user_sgpr_dispatch_id 0
		.amdhsa_user_sgpr_kernarg_preload_length 0
		.amdhsa_user_sgpr_kernarg_preload_offset 0
		.amdhsa_user_sgpr_private_segment_size 0
		.amdhsa_wavefront_size32 1
		.amdhsa_uses_dynamic_stack 0
		.amdhsa_enable_private_segment 0
		.amdhsa_system_sgpr_workgroup_id_x 1
		.amdhsa_system_sgpr_workgroup_id_y 0
		.amdhsa_system_sgpr_workgroup_id_z 0
		.amdhsa_system_sgpr_workgroup_info 0
		.amdhsa_system_vgpr_workitem_id 0
		.amdhsa_next_free_vgpr 1
		.amdhsa_next_free_sgpr 1
		.amdhsa_named_barrier_count 0
		.amdhsa_reserve_vcc 0
		.amdhsa_float_round_mode_32 0
		.amdhsa_float_round_mode_16_64 0
		.amdhsa_float_denorm_mode_32 3
		.amdhsa_float_denorm_mode_16_64 3
		.amdhsa_fp16_overflow 0
		.amdhsa_memory_ordered 1
		.amdhsa_forward_progress 1
		.amdhsa_inst_pref_size 0
		.amdhsa_round_robin_scheduling 0
		.amdhsa_exception_fp_ieee_invalid_op 0
		.amdhsa_exception_fp_denorm_src 0
		.amdhsa_exception_fp_ieee_div_zero 0
		.amdhsa_exception_fp_ieee_overflow 0
		.amdhsa_exception_fp_ieee_underflow 0
		.amdhsa_exception_fp_ieee_inexact 0
		.amdhsa_exception_int_div_zero 0
	.end_amdhsa_kernel
	.section	.text._ZN7rocprim17ROCPRIM_400000_NS6detail17trampoline_kernelINS0_14default_configENS1_27scan_by_key_config_selectorIxxEEZZNS1_16scan_by_key_implILNS1_25lookback_scan_determinismE0ELb0ES3_N6thrust23THRUST_200600_302600_NS6detail15normal_iteratorINS9_10device_ptrIxEEEENS9_18transform_iteratorINS9_6negateIxEESE_NS9_11use_defaultESI_EESE_xNS9_4plusIvEENS9_8equal_toIvEExEE10hipError_tPvRmT2_T3_T4_T5_mT6_T7_P12ihipStream_tbENKUlT_T0_E_clISt17integral_constantIbLb0EES13_IbLb1EEEEDaSZ_S10_EUlSZ_E_NS1_11comp_targetILNS1_3genE4ELNS1_11target_archE910ELNS1_3gpuE8ELNS1_3repE0EEENS1_30default_config_static_selectorELNS0_4arch9wavefront6targetE0EEEvT1_,"axG",@progbits,_ZN7rocprim17ROCPRIM_400000_NS6detail17trampoline_kernelINS0_14default_configENS1_27scan_by_key_config_selectorIxxEEZZNS1_16scan_by_key_implILNS1_25lookback_scan_determinismE0ELb0ES3_N6thrust23THRUST_200600_302600_NS6detail15normal_iteratorINS9_10device_ptrIxEEEENS9_18transform_iteratorINS9_6negateIxEESE_NS9_11use_defaultESI_EESE_xNS9_4plusIvEENS9_8equal_toIvEExEE10hipError_tPvRmT2_T3_T4_T5_mT6_T7_P12ihipStream_tbENKUlT_T0_E_clISt17integral_constantIbLb0EES13_IbLb1EEEEDaSZ_S10_EUlSZ_E_NS1_11comp_targetILNS1_3genE4ELNS1_11target_archE910ELNS1_3gpuE8ELNS1_3repE0EEENS1_30default_config_static_selectorELNS0_4arch9wavefront6targetE0EEEvT1_,comdat
.Lfunc_end923:
	.size	_ZN7rocprim17ROCPRIM_400000_NS6detail17trampoline_kernelINS0_14default_configENS1_27scan_by_key_config_selectorIxxEEZZNS1_16scan_by_key_implILNS1_25lookback_scan_determinismE0ELb0ES3_N6thrust23THRUST_200600_302600_NS6detail15normal_iteratorINS9_10device_ptrIxEEEENS9_18transform_iteratorINS9_6negateIxEESE_NS9_11use_defaultESI_EESE_xNS9_4plusIvEENS9_8equal_toIvEExEE10hipError_tPvRmT2_T3_T4_T5_mT6_T7_P12ihipStream_tbENKUlT_T0_E_clISt17integral_constantIbLb0EES13_IbLb1EEEEDaSZ_S10_EUlSZ_E_NS1_11comp_targetILNS1_3genE4ELNS1_11target_archE910ELNS1_3gpuE8ELNS1_3repE0EEENS1_30default_config_static_selectorELNS0_4arch9wavefront6targetE0EEEvT1_, .Lfunc_end923-_ZN7rocprim17ROCPRIM_400000_NS6detail17trampoline_kernelINS0_14default_configENS1_27scan_by_key_config_selectorIxxEEZZNS1_16scan_by_key_implILNS1_25lookback_scan_determinismE0ELb0ES3_N6thrust23THRUST_200600_302600_NS6detail15normal_iteratorINS9_10device_ptrIxEEEENS9_18transform_iteratorINS9_6negateIxEESE_NS9_11use_defaultESI_EESE_xNS9_4plusIvEENS9_8equal_toIvEExEE10hipError_tPvRmT2_T3_T4_T5_mT6_T7_P12ihipStream_tbENKUlT_T0_E_clISt17integral_constantIbLb0EES13_IbLb1EEEEDaSZ_S10_EUlSZ_E_NS1_11comp_targetILNS1_3genE4ELNS1_11target_archE910ELNS1_3gpuE8ELNS1_3repE0EEENS1_30default_config_static_selectorELNS0_4arch9wavefront6targetE0EEEvT1_
                                        ; -- End function
	.set _ZN7rocprim17ROCPRIM_400000_NS6detail17trampoline_kernelINS0_14default_configENS1_27scan_by_key_config_selectorIxxEEZZNS1_16scan_by_key_implILNS1_25lookback_scan_determinismE0ELb0ES3_N6thrust23THRUST_200600_302600_NS6detail15normal_iteratorINS9_10device_ptrIxEEEENS9_18transform_iteratorINS9_6negateIxEESE_NS9_11use_defaultESI_EESE_xNS9_4plusIvEENS9_8equal_toIvEExEE10hipError_tPvRmT2_T3_T4_T5_mT6_T7_P12ihipStream_tbENKUlT_T0_E_clISt17integral_constantIbLb0EES13_IbLb1EEEEDaSZ_S10_EUlSZ_E_NS1_11comp_targetILNS1_3genE4ELNS1_11target_archE910ELNS1_3gpuE8ELNS1_3repE0EEENS1_30default_config_static_selectorELNS0_4arch9wavefront6targetE0EEEvT1_.num_vgpr, 0
	.set _ZN7rocprim17ROCPRIM_400000_NS6detail17trampoline_kernelINS0_14default_configENS1_27scan_by_key_config_selectorIxxEEZZNS1_16scan_by_key_implILNS1_25lookback_scan_determinismE0ELb0ES3_N6thrust23THRUST_200600_302600_NS6detail15normal_iteratorINS9_10device_ptrIxEEEENS9_18transform_iteratorINS9_6negateIxEESE_NS9_11use_defaultESI_EESE_xNS9_4plusIvEENS9_8equal_toIvEExEE10hipError_tPvRmT2_T3_T4_T5_mT6_T7_P12ihipStream_tbENKUlT_T0_E_clISt17integral_constantIbLb0EES13_IbLb1EEEEDaSZ_S10_EUlSZ_E_NS1_11comp_targetILNS1_3genE4ELNS1_11target_archE910ELNS1_3gpuE8ELNS1_3repE0EEENS1_30default_config_static_selectorELNS0_4arch9wavefront6targetE0EEEvT1_.num_agpr, 0
	.set _ZN7rocprim17ROCPRIM_400000_NS6detail17trampoline_kernelINS0_14default_configENS1_27scan_by_key_config_selectorIxxEEZZNS1_16scan_by_key_implILNS1_25lookback_scan_determinismE0ELb0ES3_N6thrust23THRUST_200600_302600_NS6detail15normal_iteratorINS9_10device_ptrIxEEEENS9_18transform_iteratorINS9_6negateIxEESE_NS9_11use_defaultESI_EESE_xNS9_4plusIvEENS9_8equal_toIvEExEE10hipError_tPvRmT2_T3_T4_T5_mT6_T7_P12ihipStream_tbENKUlT_T0_E_clISt17integral_constantIbLb0EES13_IbLb1EEEEDaSZ_S10_EUlSZ_E_NS1_11comp_targetILNS1_3genE4ELNS1_11target_archE910ELNS1_3gpuE8ELNS1_3repE0EEENS1_30default_config_static_selectorELNS0_4arch9wavefront6targetE0EEEvT1_.numbered_sgpr, 0
	.set _ZN7rocprim17ROCPRIM_400000_NS6detail17trampoline_kernelINS0_14default_configENS1_27scan_by_key_config_selectorIxxEEZZNS1_16scan_by_key_implILNS1_25lookback_scan_determinismE0ELb0ES3_N6thrust23THRUST_200600_302600_NS6detail15normal_iteratorINS9_10device_ptrIxEEEENS9_18transform_iteratorINS9_6negateIxEESE_NS9_11use_defaultESI_EESE_xNS9_4plusIvEENS9_8equal_toIvEExEE10hipError_tPvRmT2_T3_T4_T5_mT6_T7_P12ihipStream_tbENKUlT_T0_E_clISt17integral_constantIbLb0EES13_IbLb1EEEEDaSZ_S10_EUlSZ_E_NS1_11comp_targetILNS1_3genE4ELNS1_11target_archE910ELNS1_3gpuE8ELNS1_3repE0EEENS1_30default_config_static_selectorELNS0_4arch9wavefront6targetE0EEEvT1_.num_named_barrier, 0
	.set _ZN7rocprim17ROCPRIM_400000_NS6detail17trampoline_kernelINS0_14default_configENS1_27scan_by_key_config_selectorIxxEEZZNS1_16scan_by_key_implILNS1_25lookback_scan_determinismE0ELb0ES3_N6thrust23THRUST_200600_302600_NS6detail15normal_iteratorINS9_10device_ptrIxEEEENS9_18transform_iteratorINS9_6negateIxEESE_NS9_11use_defaultESI_EESE_xNS9_4plusIvEENS9_8equal_toIvEExEE10hipError_tPvRmT2_T3_T4_T5_mT6_T7_P12ihipStream_tbENKUlT_T0_E_clISt17integral_constantIbLb0EES13_IbLb1EEEEDaSZ_S10_EUlSZ_E_NS1_11comp_targetILNS1_3genE4ELNS1_11target_archE910ELNS1_3gpuE8ELNS1_3repE0EEENS1_30default_config_static_selectorELNS0_4arch9wavefront6targetE0EEEvT1_.private_seg_size, 0
	.set _ZN7rocprim17ROCPRIM_400000_NS6detail17trampoline_kernelINS0_14default_configENS1_27scan_by_key_config_selectorIxxEEZZNS1_16scan_by_key_implILNS1_25lookback_scan_determinismE0ELb0ES3_N6thrust23THRUST_200600_302600_NS6detail15normal_iteratorINS9_10device_ptrIxEEEENS9_18transform_iteratorINS9_6negateIxEESE_NS9_11use_defaultESI_EESE_xNS9_4plusIvEENS9_8equal_toIvEExEE10hipError_tPvRmT2_T3_T4_T5_mT6_T7_P12ihipStream_tbENKUlT_T0_E_clISt17integral_constantIbLb0EES13_IbLb1EEEEDaSZ_S10_EUlSZ_E_NS1_11comp_targetILNS1_3genE4ELNS1_11target_archE910ELNS1_3gpuE8ELNS1_3repE0EEENS1_30default_config_static_selectorELNS0_4arch9wavefront6targetE0EEEvT1_.uses_vcc, 0
	.set _ZN7rocprim17ROCPRIM_400000_NS6detail17trampoline_kernelINS0_14default_configENS1_27scan_by_key_config_selectorIxxEEZZNS1_16scan_by_key_implILNS1_25lookback_scan_determinismE0ELb0ES3_N6thrust23THRUST_200600_302600_NS6detail15normal_iteratorINS9_10device_ptrIxEEEENS9_18transform_iteratorINS9_6negateIxEESE_NS9_11use_defaultESI_EESE_xNS9_4plusIvEENS9_8equal_toIvEExEE10hipError_tPvRmT2_T3_T4_T5_mT6_T7_P12ihipStream_tbENKUlT_T0_E_clISt17integral_constantIbLb0EES13_IbLb1EEEEDaSZ_S10_EUlSZ_E_NS1_11comp_targetILNS1_3genE4ELNS1_11target_archE910ELNS1_3gpuE8ELNS1_3repE0EEENS1_30default_config_static_selectorELNS0_4arch9wavefront6targetE0EEEvT1_.uses_flat_scratch, 0
	.set _ZN7rocprim17ROCPRIM_400000_NS6detail17trampoline_kernelINS0_14default_configENS1_27scan_by_key_config_selectorIxxEEZZNS1_16scan_by_key_implILNS1_25lookback_scan_determinismE0ELb0ES3_N6thrust23THRUST_200600_302600_NS6detail15normal_iteratorINS9_10device_ptrIxEEEENS9_18transform_iteratorINS9_6negateIxEESE_NS9_11use_defaultESI_EESE_xNS9_4plusIvEENS9_8equal_toIvEExEE10hipError_tPvRmT2_T3_T4_T5_mT6_T7_P12ihipStream_tbENKUlT_T0_E_clISt17integral_constantIbLb0EES13_IbLb1EEEEDaSZ_S10_EUlSZ_E_NS1_11comp_targetILNS1_3genE4ELNS1_11target_archE910ELNS1_3gpuE8ELNS1_3repE0EEENS1_30default_config_static_selectorELNS0_4arch9wavefront6targetE0EEEvT1_.has_dyn_sized_stack, 0
	.set _ZN7rocprim17ROCPRIM_400000_NS6detail17trampoline_kernelINS0_14default_configENS1_27scan_by_key_config_selectorIxxEEZZNS1_16scan_by_key_implILNS1_25lookback_scan_determinismE0ELb0ES3_N6thrust23THRUST_200600_302600_NS6detail15normal_iteratorINS9_10device_ptrIxEEEENS9_18transform_iteratorINS9_6negateIxEESE_NS9_11use_defaultESI_EESE_xNS9_4plusIvEENS9_8equal_toIvEExEE10hipError_tPvRmT2_T3_T4_T5_mT6_T7_P12ihipStream_tbENKUlT_T0_E_clISt17integral_constantIbLb0EES13_IbLb1EEEEDaSZ_S10_EUlSZ_E_NS1_11comp_targetILNS1_3genE4ELNS1_11target_archE910ELNS1_3gpuE8ELNS1_3repE0EEENS1_30default_config_static_selectorELNS0_4arch9wavefront6targetE0EEEvT1_.has_recursion, 0
	.set _ZN7rocprim17ROCPRIM_400000_NS6detail17trampoline_kernelINS0_14default_configENS1_27scan_by_key_config_selectorIxxEEZZNS1_16scan_by_key_implILNS1_25lookback_scan_determinismE0ELb0ES3_N6thrust23THRUST_200600_302600_NS6detail15normal_iteratorINS9_10device_ptrIxEEEENS9_18transform_iteratorINS9_6negateIxEESE_NS9_11use_defaultESI_EESE_xNS9_4plusIvEENS9_8equal_toIvEExEE10hipError_tPvRmT2_T3_T4_T5_mT6_T7_P12ihipStream_tbENKUlT_T0_E_clISt17integral_constantIbLb0EES13_IbLb1EEEEDaSZ_S10_EUlSZ_E_NS1_11comp_targetILNS1_3genE4ELNS1_11target_archE910ELNS1_3gpuE8ELNS1_3repE0EEENS1_30default_config_static_selectorELNS0_4arch9wavefront6targetE0EEEvT1_.has_indirect_call, 0
	.section	.AMDGPU.csdata,"",@progbits
; Kernel info:
; codeLenInByte = 0
; TotalNumSgprs: 0
; NumVgprs: 0
; ScratchSize: 0
; MemoryBound: 0
; FloatMode: 240
; IeeeMode: 1
; LDSByteSize: 0 bytes/workgroup (compile time only)
; SGPRBlocks: 0
; VGPRBlocks: 0
; NumSGPRsForWavesPerEU: 1
; NumVGPRsForWavesPerEU: 1
; NamedBarCnt: 0
; Occupancy: 16
; WaveLimiterHint : 0
; COMPUTE_PGM_RSRC2:SCRATCH_EN: 0
; COMPUTE_PGM_RSRC2:USER_SGPR: 2
; COMPUTE_PGM_RSRC2:TRAP_HANDLER: 0
; COMPUTE_PGM_RSRC2:TGID_X_EN: 1
; COMPUTE_PGM_RSRC2:TGID_Y_EN: 0
; COMPUTE_PGM_RSRC2:TGID_Z_EN: 0
; COMPUTE_PGM_RSRC2:TIDIG_COMP_CNT: 0
	.section	.text._ZN7rocprim17ROCPRIM_400000_NS6detail17trampoline_kernelINS0_14default_configENS1_27scan_by_key_config_selectorIxxEEZZNS1_16scan_by_key_implILNS1_25lookback_scan_determinismE0ELb0ES3_N6thrust23THRUST_200600_302600_NS6detail15normal_iteratorINS9_10device_ptrIxEEEENS9_18transform_iteratorINS9_6negateIxEESE_NS9_11use_defaultESI_EESE_xNS9_4plusIvEENS9_8equal_toIvEExEE10hipError_tPvRmT2_T3_T4_T5_mT6_T7_P12ihipStream_tbENKUlT_T0_E_clISt17integral_constantIbLb0EES13_IbLb1EEEEDaSZ_S10_EUlSZ_E_NS1_11comp_targetILNS1_3genE3ELNS1_11target_archE908ELNS1_3gpuE7ELNS1_3repE0EEENS1_30default_config_static_selectorELNS0_4arch9wavefront6targetE0EEEvT1_,"axG",@progbits,_ZN7rocprim17ROCPRIM_400000_NS6detail17trampoline_kernelINS0_14default_configENS1_27scan_by_key_config_selectorIxxEEZZNS1_16scan_by_key_implILNS1_25lookback_scan_determinismE0ELb0ES3_N6thrust23THRUST_200600_302600_NS6detail15normal_iteratorINS9_10device_ptrIxEEEENS9_18transform_iteratorINS9_6negateIxEESE_NS9_11use_defaultESI_EESE_xNS9_4plusIvEENS9_8equal_toIvEExEE10hipError_tPvRmT2_T3_T4_T5_mT6_T7_P12ihipStream_tbENKUlT_T0_E_clISt17integral_constantIbLb0EES13_IbLb1EEEEDaSZ_S10_EUlSZ_E_NS1_11comp_targetILNS1_3genE3ELNS1_11target_archE908ELNS1_3gpuE7ELNS1_3repE0EEENS1_30default_config_static_selectorELNS0_4arch9wavefront6targetE0EEEvT1_,comdat
	.protected	_ZN7rocprim17ROCPRIM_400000_NS6detail17trampoline_kernelINS0_14default_configENS1_27scan_by_key_config_selectorIxxEEZZNS1_16scan_by_key_implILNS1_25lookback_scan_determinismE0ELb0ES3_N6thrust23THRUST_200600_302600_NS6detail15normal_iteratorINS9_10device_ptrIxEEEENS9_18transform_iteratorINS9_6negateIxEESE_NS9_11use_defaultESI_EESE_xNS9_4plusIvEENS9_8equal_toIvEExEE10hipError_tPvRmT2_T3_T4_T5_mT6_T7_P12ihipStream_tbENKUlT_T0_E_clISt17integral_constantIbLb0EES13_IbLb1EEEEDaSZ_S10_EUlSZ_E_NS1_11comp_targetILNS1_3genE3ELNS1_11target_archE908ELNS1_3gpuE7ELNS1_3repE0EEENS1_30default_config_static_selectorELNS0_4arch9wavefront6targetE0EEEvT1_ ; -- Begin function _ZN7rocprim17ROCPRIM_400000_NS6detail17trampoline_kernelINS0_14default_configENS1_27scan_by_key_config_selectorIxxEEZZNS1_16scan_by_key_implILNS1_25lookback_scan_determinismE0ELb0ES3_N6thrust23THRUST_200600_302600_NS6detail15normal_iteratorINS9_10device_ptrIxEEEENS9_18transform_iteratorINS9_6negateIxEESE_NS9_11use_defaultESI_EESE_xNS9_4plusIvEENS9_8equal_toIvEExEE10hipError_tPvRmT2_T3_T4_T5_mT6_T7_P12ihipStream_tbENKUlT_T0_E_clISt17integral_constantIbLb0EES13_IbLb1EEEEDaSZ_S10_EUlSZ_E_NS1_11comp_targetILNS1_3genE3ELNS1_11target_archE908ELNS1_3gpuE7ELNS1_3repE0EEENS1_30default_config_static_selectorELNS0_4arch9wavefront6targetE0EEEvT1_
	.globl	_ZN7rocprim17ROCPRIM_400000_NS6detail17trampoline_kernelINS0_14default_configENS1_27scan_by_key_config_selectorIxxEEZZNS1_16scan_by_key_implILNS1_25lookback_scan_determinismE0ELb0ES3_N6thrust23THRUST_200600_302600_NS6detail15normal_iteratorINS9_10device_ptrIxEEEENS9_18transform_iteratorINS9_6negateIxEESE_NS9_11use_defaultESI_EESE_xNS9_4plusIvEENS9_8equal_toIvEExEE10hipError_tPvRmT2_T3_T4_T5_mT6_T7_P12ihipStream_tbENKUlT_T0_E_clISt17integral_constantIbLb0EES13_IbLb1EEEEDaSZ_S10_EUlSZ_E_NS1_11comp_targetILNS1_3genE3ELNS1_11target_archE908ELNS1_3gpuE7ELNS1_3repE0EEENS1_30default_config_static_selectorELNS0_4arch9wavefront6targetE0EEEvT1_
	.p2align	8
	.type	_ZN7rocprim17ROCPRIM_400000_NS6detail17trampoline_kernelINS0_14default_configENS1_27scan_by_key_config_selectorIxxEEZZNS1_16scan_by_key_implILNS1_25lookback_scan_determinismE0ELb0ES3_N6thrust23THRUST_200600_302600_NS6detail15normal_iteratorINS9_10device_ptrIxEEEENS9_18transform_iteratorINS9_6negateIxEESE_NS9_11use_defaultESI_EESE_xNS9_4plusIvEENS9_8equal_toIvEExEE10hipError_tPvRmT2_T3_T4_T5_mT6_T7_P12ihipStream_tbENKUlT_T0_E_clISt17integral_constantIbLb0EES13_IbLb1EEEEDaSZ_S10_EUlSZ_E_NS1_11comp_targetILNS1_3genE3ELNS1_11target_archE908ELNS1_3gpuE7ELNS1_3repE0EEENS1_30default_config_static_selectorELNS0_4arch9wavefront6targetE0EEEvT1_,@function
_ZN7rocprim17ROCPRIM_400000_NS6detail17trampoline_kernelINS0_14default_configENS1_27scan_by_key_config_selectorIxxEEZZNS1_16scan_by_key_implILNS1_25lookback_scan_determinismE0ELb0ES3_N6thrust23THRUST_200600_302600_NS6detail15normal_iteratorINS9_10device_ptrIxEEEENS9_18transform_iteratorINS9_6negateIxEESE_NS9_11use_defaultESI_EESE_xNS9_4plusIvEENS9_8equal_toIvEExEE10hipError_tPvRmT2_T3_T4_T5_mT6_T7_P12ihipStream_tbENKUlT_T0_E_clISt17integral_constantIbLb0EES13_IbLb1EEEEDaSZ_S10_EUlSZ_E_NS1_11comp_targetILNS1_3genE3ELNS1_11target_archE908ELNS1_3gpuE7ELNS1_3repE0EEENS1_30default_config_static_selectorELNS0_4arch9wavefront6targetE0EEEvT1_: ; @_ZN7rocprim17ROCPRIM_400000_NS6detail17trampoline_kernelINS0_14default_configENS1_27scan_by_key_config_selectorIxxEEZZNS1_16scan_by_key_implILNS1_25lookback_scan_determinismE0ELb0ES3_N6thrust23THRUST_200600_302600_NS6detail15normal_iteratorINS9_10device_ptrIxEEEENS9_18transform_iteratorINS9_6negateIxEESE_NS9_11use_defaultESI_EESE_xNS9_4plusIvEENS9_8equal_toIvEExEE10hipError_tPvRmT2_T3_T4_T5_mT6_T7_P12ihipStream_tbENKUlT_T0_E_clISt17integral_constantIbLb0EES13_IbLb1EEEEDaSZ_S10_EUlSZ_E_NS1_11comp_targetILNS1_3genE3ELNS1_11target_archE908ELNS1_3gpuE7ELNS1_3repE0EEENS1_30default_config_static_selectorELNS0_4arch9wavefront6targetE0EEEvT1_
; %bb.0:
	.section	.rodata,"a",@progbits
	.p2align	6, 0x0
	.amdhsa_kernel _ZN7rocprim17ROCPRIM_400000_NS6detail17trampoline_kernelINS0_14default_configENS1_27scan_by_key_config_selectorIxxEEZZNS1_16scan_by_key_implILNS1_25lookback_scan_determinismE0ELb0ES3_N6thrust23THRUST_200600_302600_NS6detail15normal_iteratorINS9_10device_ptrIxEEEENS9_18transform_iteratorINS9_6negateIxEESE_NS9_11use_defaultESI_EESE_xNS9_4plusIvEENS9_8equal_toIvEExEE10hipError_tPvRmT2_T3_T4_T5_mT6_T7_P12ihipStream_tbENKUlT_T0_E_clISt17integral_constantIbLb0EES13_IbLb1EEEEDaSZ_S10_EUlSZ_E_NS1_11comp_targetILNS1_3genE3ELNS1_11target_archE908ELNS1_3gpuE7ELNS1_3repE0EEENS1_30default_config_static_selectorELNS0_4arch9wavefront6targetE0EEEvT1_
		.amdhsa_group_segment_fixed_size 0
		.amdhsa_private_segment_fixed_size 0
		.amdhsa_kernarg_size 144
		.amdhsa_user_sgpr_count 2
		.amdhsa_user_sgpr_dispatch_ptr 0
		.amdhsa_user_sgpr_queue_ptr 0
		.amdhsa_user_sgpr_kernarg_segment_ptr 1
		.amdhsa_user_sgpr_dispatch_id 0
		.amdhsa_user_sgpr_kernarg_preload_length 0
		.amdhsa_user_sgpr_kernarg_preload_offset 0
		.amdhsa_user_sgpr_private_segment_size 0
		.amdhsa_wavefront_size32 1
		.amdhsa_uses_dynamic_stack 0
		.amdhsa_enable_private_segment 0
		.amdhsa_system_sgpr_workgroup_id_x 1
		.amdhsa_system_sgpr_workgroup_id_y 0
		.amdhsa_system_sgpr_workgroup_id_z 0
		.amdhsa_system_sgpr_workgroup_info 0
		.amdhsa_system_vgpr_workitem_id 0
		.amdhsa_next_free_vgpr 1
		.amdhsa_next_free_sgpr 1
		.amdhsa_named_barrier_count 0
		.amdhsa_reserve_vcc 0
		.amdhsa_float_round_mode_32 0
		.amdhsa_float_round_mode_16_64 0
		.amdhsa_float_denorm_mode_32 3
		.amdhsa_float_denorm_mode_16_64 3
		.amdhsa_fp16_overflow 0
		.amdhsa_memory_ordered 1
		.amdhsa_forward_progress 1
		.amdhsa_inst_pref_size 0
		.amdhsa_round_robin_scheduling 0
		.amdhsa_exception_fp_ieee_invalid_op 0
		.amdhsa_exception_fp_denorm_src 0
		.amdhsa_exception_fp_ieee_div_zero 0
		.amdhsa_exception_fp_ieee_overflow 0
		.amdhsa_exception_fp_ieee_underflow 0
		.amdhsa_exception_fp_ieee_inexact 0
		.amdhsa_exception_int_div_zero 0
	.end_amdhsa_kernel
	.section	.text._ZN7rocprim17ROCPRIM_400000_NS6detail17trampoline_kernelINS0_14default_configENS1_27scan_by_key_config_selectorIxxEEZZNS1_16scan_by_key_implILNS1_25lookback_scan_determinismE0ELb0ES3_N6thrust23THRUST_200600_302600_NS6detail15normal_iteratorINS9_10device_ptrIxEEEENS9_18transform_iteratorINS9_6negateIxEESE_NS9_11use_defaultESI_EESE_xNS9_4plusIvEENS9_8equal_toIvEExEE10hipError_tPvRmT2_T3_T4_T5_mT6_T7_P12ihipStream_tbENKUlT_T0_E_clISt17integral_constantIbLb0EES13_IbLb1EEEEDaSZ_S10_EUlSZ_E_NS1_11comp_targetILNS1_3genE3ELNS1_11target_archE908ELNS1_3gpuE7ELNS1_3repE0EEENS1_30default_config_static_selectorELNS0_4arch9wavefront6targetE0EEEvT1_,"axG",@progbits,_ZN7rocprim17ROCPRIM_400000_NS6detail17trampoline_kernelINS0_14default_configENS1_27scan_by_key_config_selectorIxxEEZZNS1_16scan_by_key_implILNS1_25lookback_scan_determinismE0ELb0ES3_N6thrust23THRUST_200600_302600_NS6detail15normal_iteratorINS9_10device_ptrIxEEEENS9_18transform_iteratorINS9_6negateIxEESE_NS9_11use_defaultESI_EESE_xNS9_4plusIvEENS9_8equal_toIvEExEE10hipError_tPvRmT2_T3_T4_T5_mT6_T7_P12ihipStream_tbENKUlT_T0_E_clISt17integral_constantIbLb0EES13_IbLb1EEEEDaSZ_S10_EUlSZ_E_NS1_11comp_targetILNS1_3genE3ELNS1_11target_archE908ELNS1_3gpuE7ELNS1_3repE0EEENS1_30default_config_static_selectorELNS0_4arch9wavefront6targetE0EEEvT1_,comdat
.Lfunc_end924:
	.size	_ZN7rocprim17ROCPRIM_400000_NS6detail17trampoline_kernelINS0_14default_configENS1_27scan_by_key_config_selectorIxxEEZZNS1_16scan_by_key_implILNS1_25lookback_scan_determinismE0ELb0ES3_N6thrust23THRUST_200600_302600_NS6detail15normal_iteratorINS9_10device_ptrIxEEEENS9_18transform_iteratorINS9_6negateIxEESE_NS9_11use_defaultESI_EESE_xNS9_4plusIvEENS9_8equal_toIvEExEE10hipError_tPvRmT2_T3_T4_T5_mT6_T7_P12ihipStream_tbENKUlT_T0_E_clISt17integral_constantIbLb0EES13_IbLb1EEEEDaSZ_S10_EUlSZ_E_NS1_11comp_targetILNS1_3genE3ELNS1_11target_archE908ELNS1_3gpuE7ELNS1_3repE0EEENS1_30default_config_static_selectorELNS0_4arch9wavefront6targetE0EEEvT1_, .Lfunc_end924-_ZN7rocprim17ROCPRIM_400000_NS6detail17trampoline_kernelINS0_14default_configENS1_27scan_by_key_config_selectorIxxEEZZNS1_16scan_by_key_implILNS1_25lookback_scan_determinismE0ELb0ES3_N6thrust23THRUST_200600_302600_NS6detail15normal_iteratorINS9_10device_ptrIxEEEENS9_18transform_iteratorINS9_6negateIxEESE_NS9_11use_defaultESI_EESE_xNS9_4plusIvEENS9_8equal_toIvEExEE10hipError_tPvRmT2_T3_T4_T5_mT6_T7_P12ihipStream_tbENKUlT_T0_E_clISt17integral_constantIbLb0EES13_IbLb1EEEEDaSZ_S10_EUlSZ_E_NS1_11comp_targetILNS1_3genE3ELNS1_11target_archE908ELNS1_3gpuE7ELNS1_3repE0EEENS1_30default_config_static_selectorELNS0_4arch9wavefront6targetE0EEEvT1_
                                        ; -- End function
	.set _ZN7rocprim17ROCPRIM_400000_NS6detail17trampoline_kernelINS0_14default_configENS1_27scan_by_key_config_selectorIxxEEZZNS1_16scan_by_key_implILNS1_25lookback_scan_determinismE0ELb0ES3_N6thrust23THRUST_200600_302600_NS6detail15normal_iteratorINS9_10device_ptrIxEEEENS9_18transform_iteratorINS9_6negateIxEESE_NS9_11use_defaultESI_EESE_xNS9_4plusIvEENS9_8equal_toIvEExEE10hipError_tPvRmT2_T3_T4_T5_mT6_T7_P12ihipStream_tbENKUlT_T0_E_clISt17integral_constantIbLb0EES13_IbLb1EEEEDaSZ_S10_EUlSZ_E_NS1_11comp_targetILNS1_3genE3ELNS1_11target_archE908ELNS1_3gpuE7ELNS1_3repE0EEENS1_30default_config_static_selectorELNS0_4arch9wavefront6targetE0EEEvT1_.num_vgpr, 0
	.set _ZN7rocprim17ROCPRIM_400000_NS6detail17trampoline_kernelINS0_14default_configENS1_27scan_by_key_config_selectorIxxEEZZNS1_16scan_by_key_implILNS1_25lookback_scan_determinismE0ELb0ES3_N6thrust23THRUST_200600_302600_NS6detail15normal_iteratorINS9_10device_ptrIxEEEENS9_18transform_iteratorINS9_6negateIxEESE_NS9_11use_defaultESI_EESE_xNS9_4plusIvEENS9_8equal_toIvEExEE10hipError_tPvRmT2_T3_T4_T5_mT6_T7_P12ihipStream_tbENKUlT_T0_E_clISt17integral_constantIbLb0EES13_IbLb1EEEEDaSZ_S10_EUlSZ_E_NS1_11comp_targetILNS1_3genE3ELNS1_11target_archE908ELNS1_3gpuE7ELNS1_3repE0EEENS1_30default_config_static_selectorELNS0_4arch9wavefront6targetE0EEEvT1_.num_agpr, 0
	.set _ZN7rocprim17ROCPRIM_400000_NS6detail17trampoline_kernelINS0_14default_configENS1_27scan_by_key_config_selectorIxxEEZZNS1_16scan_by_key_implILNS1_25lookback_scan_determinismE0ELb0ES3_N6thrust23THRUST_200600_302600_NS6detail15normal_iteratorINS9_10device_ptrIxEEEENS9_18transform_iteratorINS9_6negateIxEESE_NS9_11use_defaultESI_EESE_xNS9_4plusIvEENS9_8equal_toIvEExEE10hipError_tPvRmT2_T3_T4_T5_mT6_T7_P12ihipStream_tbENKUlT_T0_E_clISt17integral_constantIbLb0EES13_IbLb1EEEEDaSZ_S10_EUlSZ_E_NS1_11comp_targetILNS1_3genE3ELNS1_11target_archE908ELNS1_3gpuE7ELNS1_3repE0EEENS1_30default_config_static_selectorELNS0_4arch9wavefront6targetE0EEEvT1_.numbered_sgpr, 0
	.set _ZN7rocprim17ROCPRIM_400000_NS6detail17trampoline_kernelINS0_14default_configENS1_27scan_by_key_config_selectorIxxEEZZNS1_16scan_by_key_implILNS1_25lookback_scan_determinismE0ELb0ES3_N6thrust23THRUST_200600_302600_NS6detail15normal_iteratorINS9_10device_ptrIxEEEENS9_18transform_iteratorINS9_6negateIxEESE_NS9_11use_defaultESI_EESE_xNS9_4plusIvEENS9_8equal_toIvEExEE10hipError_tPvRmT2_T3_T4_T5_mT6_T7_P12ihipStream_tbENKUlT_T0_E_clISt17integral_constantIbLb0EES13_IbLb1EEEEDaSZ_S10_EUlSZ_E_NS1_11comp_targetILNS1_3genE3ELNS1_11target_archE908ELNS1_3gpuE7ELNS1_3repE0EEENS1_30default_config_static_selectorELNS0_4arch9wavefront6targetE0EEEvT1_.num_named_barrier, 0
	.set _ZN7rocprim17ROCPRIM_400000_NS6detail17trampoline_kernelINS0_14default_configENS1_27scan_by_key_config_selectorIxxEEZZNS1_16scan_by_key_implILNS1_25lookback_scan_determinismE0ELb0ES3_N6thrust23THRUST_200600_302600_NS6detail15normal_iteratorINS9_10device_ptrIxEEEENS9_18transform_iteratorINS9_6negateIxEESE_NS9_11use_defaultESI_EESE_xNS9_4plusIvEENS9_8equal_toIvEExEE10hipError_tPvRmT2_T3_T4_T5_mT6_T7_P12ihipStream_tbENKUlT_T0_E_clISt17integral_constantIbLb0EES13_IbLb1EEEEDaSZ_S10_EUlSZ_E_NS1_11comp_targetILNS1_3genE3ELNS1_11target_archE908ELNS1_3gpuE7ELNS1_3repE0EEENS1_30default_config_static_selectorELNS0_4arch9wavefront6targetE0EEEvT1_.private_seg_size, 0
	.set _ZN7rocprim17ROCPRIM_400000_NS6detail17trampoline_kernelINS0_14default_configENS1_27scan_by_key_config_selectorIxxEEZZNS1_16scan_by_key_implILNS1_25lookback_scan_determinismE0ELb0ES3_N6thrust23THRUST_200600_302600_NS6detail15normal_iteratorINS9_10device_ptrIxEEEENS9_18transform_iteratorINS9_6negateIxEESE_NS9_11use_defaultESI_EESE_xNS9_4plusIvEENS9_8equal_toIvEExEE10hipError_tPvRmT2_T3_T4_T5_mT6_T7_P12ihipStream_tbENKUlT_T0_E_clISt17integral_constantIbLb0EES13_IbLb1EEEEDaSZ_S10_EUlSZ_E_NS1_11comp_targetILNS1_3genE3ELNS1_11target_archE908ELNS1_3gpuE7ELNS1_3repE0EEENS1_30default_config_static_selectorELNS0_4arch9wavefront6targetE0EEEvT1_.uses_vcc, 0
	.set _ZN7rocprim17ROCPRIM_400000_NS6detail17trampoline_kernelINS0_14default_configENS1_27scan_by_key_config_selectorIxxEEZZNS1_16scan_by_key_implILNS1_25lookback_scan_determinismE0ELb0ES3_N6thrust23THRUST_200600_302600_NS6detail15normal_iteratorINS9_10device_ptrIxEEEENS9_18transform_iteratorINS9_6negateIxEESE_NS9_11use_defaultESI_EESE_xNS9_4plusIvEENS9_8equal_toIvEExEE10hipError_tPvRmT2_T3_T4_T5_mT6_T7_P12ihipStream_tbENKUlT_T0_E_clISt17integral_constantIbLb0EES13_IbLb1EEEEDaSZ_S10_EUlSZ_E_NS1_11comp_targetILNS1_3genE3ELNS1_11target_archE908ELNS1_3gpuE7ELNS1_3repE0EEENS1_30default_config_static_selectorELNS0_4arch9wavefront6targetE0EEEvT1_.uses_flat_scratch, 0
	.set _ZN7rocprim17ROCPRIM_400000_NS6detail17trampoline_kernelINS0_14default_configENS1_27scan_by_key_config_selectorIxxEEZZNS1_16scan_by_key_implILNS1_25lookback_scan_determinismE0ELb0ES3_N6thrust23THRUST_200600_302600_NS6detail15normal_iteratorINS9_10device_ptrIxEEEENS9_18transform_iteratorINS9_6negateIxEESE_NS9_11use_defaultESI_EESE_xNS9_4plusIvEENS9_8equal_toIvEExEE10hipError_tPvRmT2_T3_T4_T5_mT6_T7_P12ihipStream_tbENKUlT_T0_E_clISt17integral_constantIbLb0EES13_IbLb1EEEEDaSZ_S10_EUlSZ_E_NS1_11comp_targetILNS1_3genE3ELNS1_11target_archE908ELNS1_3gpuE7ELNS1_3repE0EEENS1_30default_config_static_selectorELNS0_4arch9wavefront6targetE0EEEvT1_.has_dyn_sized_stack, 0
	.set _ZN7rocprim17ROCPRIM_400000_NS6detail17trampoline_kernelINS0_14default_configENS1_27scan_by_key_config_selectorIxxEEZZNS1_16scan_by_key_implILNS1_25lookback_scan_determinismE0ELb0ES3_N6thrust23THRUST_200600_302600_NS6detail15normal_iteratorINS9_10device_ptrIxEEEENS9_18transform_iteratorINS9_6negateIxEESE_NS9_11use_defaultESI_EESE_xNS9_4plusIvEENS9_8equal_toIvEExEE10hipError_tPvRmT2_T3_T4_T5_mT6_T7_P12ihipStream_tbENKUlT_T0_E_clISt17integral_constantIbLb0EES13_IbLb1EEEEDaSZ_S10_EUlSZ_E_NS1_11comp_targetILNS1_3genE3ELNS1_11target_archE908ELNS1_3gpuE7ELNS1_3repE0EEENS1_30default_config_static_selectorELNS0_4arch9wavefront6targetE0EEEvT1_.has_recursion, 0
	.set _ZN7rocprim17ROCPRIM_400000_NS6detail17trampoline_kernelINS0_14default_configENS1_27scan_by_key_config_selectorIxxEEZZNS1_16scan_by_key_implILNS1_25lookback_scan_determinismE0ELb0ES3_N6thrust23THRUST_200600_302600_NS6detail15normal_iteratorINS9_10device_ptrIxEEEENS9_18transform_iteratorINS9_6negateIxEESE_NS9_11use_defaultESI_EESE_xNS9_4plusIvEENS9_8equal_toIvEExEE10hipError_tPvRmT2_T3_T4_T5_mT6_T7_P12ihipStream_tbENKUlT_T0_E_clISt17integral_constantIbLb0EES13_IbLb1EEEEDaSZ_S10_EUlSZ_E_NS1_11comp_targetILNS1_3genE3ELNS1_11target_archE908ELNS1_3gpuE7ELNS1_3repE0EEENS1_30default_config_static_selectorELNS0_4arch9wavefront6targetE0EEEvT1_.has_indirect_call, 0
	.section	.AMDGPU.csdata,"",@progbits
; Kernel info:
; codeLenInByte = 0
; TotalNumSgprs: 0
; NumVgprs: 0
; ScratchSize: 0
; MemoryBound: 0
; FloatMode: 240
; IeeeMode: 1
; LDSByteSize: 0 bytes/workgroup (compile time only)
; SGPRBlocks: 0
; VGPRBlocks: 0
; NumSGPRsForWavesPerEU: 1
; NumVGPRsForWavesPerEU: 1
; NamedBarCnt: 0
; Occupancy: 16
; WaveLimiterHint : 0
; COMPUTE_PGM_RSRC2:SCRATCH_EN: 0
; COMPUTE_PGM_RSRC2:USER_SGPR: 2
; COMPUTE_PGM_RSRC2:TRAP_HANDLER: 0
; COMPUTE_PGM_RSRC2:TGID_X_EN: 1
; COMPUTE_PGM_RSRC2:TGID_Y_EN: 0
; COMPUTE_PGM_RSRC2:TGID_Z_EN: 0
; COMPUTE_PGM_RSRC2:TIDIG_COMP_CNT: 0
	.section	.text._ZN7rocprim17ROCPRIM_400000_NS6detail17trampoline_kernelINS0_14default_configENS1_27scan_by_key_config_selectorIxxEEZZNS1_16scan_by_key_implILNS1_25lookback_scan_determinismE0ELb0ES3_N6thrust23THRUST_200600_302600_NS6detail15normal_iteratorINS9_10device_ptrIxEEEENS9_18transform_iteratorINS9_6negateIxEESE_NS9_11use_defaultESI_EESE_xNS9_4plusIvEENS9_8equal_toIvEExEE10hipError_tPvRmT2_T3_T4_T5_mT6_T7_P12ihipStream_tbENKUlT_T0_E_clISt17integral_constantIbLb0EES13_IbLb1EEEEDaSZ_S10_EUlSZ_E_NS1_11comp_targetILNS1_3genE2ELNS1_11target_archE906ELNS1_3gpuE6ELNS1_3repE0EEENS1_30default_config_static_selectorELNS0_4arch9wavefront6targetE0EEEvT1_,"axG",@progbits,_ZN7rocprim17ROCPRIM_400000_NS6detail17trampoline_kernelINS0_14default_configENS1_27scan_by_key_config_selectorIxxEEZZNS1_16scan_by_key_implILNS1_25lookback_scan_determinismE0ELb0ES3_N6thrust23THRUST_200600_302600_NS6detail15normal_iteratorINS9_10device_ptrIxEEEENS9_18transform_iteratorINS9_6negateIxEESE_NS9_11use_defaultESI_EESE_xNS9_4plusIvEENS9_8equal_toIvEExEE10hipError_tPvRmT2_T3_T4_T5_mT6_T7_P12ihipStream_tbENKUlT_T0_E_clISt17integral_constantIbLb0EES13_IbLb1EEEEDaSZ_S10_EUlSZ_E_NS1_11comp_targetILNS1_3genE2ELNS1_11target_archE906ELNS1_3gpuE6ELNS1_3repE0EEENS1_30default_config_static_selectorELNS0_4arch9wavefront6targetE0EEEvT1_,comdat
	.protected	_ZN7rocprim17ROCPRIM_400000_NS6detail17trampoline_kernelINS0_14default_configENS1_27scan_by_key_config_selectorIxxEEZZNS1_16scan_by_key_implILNS1_25lookback_scan_determinismE0ELb0ES3_N6thrust23THRUST_200600_302600_NS6detail15normal_iteratorINS9_10device_ptrIxEEEENS9_18transform_iteratorINS9_6negateIxEESE_NS9_11use_defaultESI_EESE_xNS9_4plusIvEENS9_8equal_toIvEExEE10hipError_tPvRmT2_T3_T4_T5_mT6_T7_P12ihipStream_tbENKUlT_T0_E_clISt17integral_constantIbLb0EES13_IbLb1EEEEDaSZ_S10_EUlSZ_E_NS1_11comp_targetILNS1_3genE2ELNS1_11target_archE906ELNS1_3gpuE6ELNS1_3repE0EEENS1_30default_config_static_selectorELNS0_4arch9wavefront6targetE0EEEvT1_ ; -- Begin function _ZN7rocprim17ROCPRIM_400000_NS6detail17trampoline_kernelINS0_14default_configENS1_27scan_by_key_config_selectorIxxEEZZNS1_16scan_by_key_implILNS1_25lookback_scan_determinismE0ELb0ES3_N6thrust23THRUST_200600_302600_NS6detail15normal_iteratorINS9_10device_ptrIxEEEENS9_18transform_iteratorINS9_6negateIxEESE_NS9_11use_defaultESI_EESE_xNS9_4plusIvEENS9_8equal_toIvEExEE10hipError_tPvRmT2_T3_T4_T5_mT6_T7_P12ihipStream_tbENKUlT_T0_E_clISt17integral_constantIbLb0EES13_IbLb1EEEEDaSZ_S10_EUlSZ_E_NS1_11comp_targetILNS1_3genE2ELNS1_11target_archE906ELNS1_3gpuE6ELNS1_3repE0EEENS1_30default_config_static_selectorELNS0_4arch9wavefront6targetE0EEEvT1_
	.globl	_ZN7rocprim17ROCPRIM_400000_NS6detail17trampoline_kernelINS0_14default_configENS1_27scan_by_key_config_selectorIxxEEZZNS1_16scan_by_key_implILNS1_25lookback_scan_determinismE0ELb0ES3_N6thrust23THRUST_200600_302600_NS6detail15normal_iteratorINS9_10device_ptrIxEEEENS9_18transform_iteratorINS9_6negateIxEESE_NS9_11use_defaultESI_EESE_xNS9_4plusIvEENS9_8equal_toIvEExEE10hipError_tPvRmT2_T3_T4_T5_mT6_T7_P12ihipStream_tbENKUlT_T0_E_clISt17integral_constantIbLb0EES13_IbLb1EEEEDaSZ_S10_EUlSZ_E_NS1_11comp_targetILNS1_3genE2ELNS1_11target_archE906ELNS1_3gpuE6ELNS1_3repE0EEENS1_30default_config_static_selectorELNS0_4arch9wavefront6targetE0EEEvT1_
	.p2align	8
	.type	_ZN7rocprim17ROCPRIM_400000_NS6detail17trampoline_kernelINS0_14default_configENS1_27scan_by_key_config_selectorIxxEEZZNS1_16scan_by_key_implILNS1_25lookback_scan_determinismE0ELb0ES3_N6thrust23THRUST_200600_302600_NS6detail15normal_iteratorINS9_10device_ptrIxEEEENS9_18transform_iteratorINS9_6negateIxEESE_NS9_11use_defaultESI_EESE_xNS9_4plusIvEENS9_8equal_toIvEExEE10hipError_tPvRmT2_T3_T4_T5_mT6_T7_P12ihipStream_tbENKUlT_T0_E_clISt17integral_constantIbLb0EES13_IbLb1EEEEDaSZ_S10_EUlSZ_E_NS1_11comp_targetILNS1_3genE2ELNS1_11target_archE906ELNS1_3gpuE6ELNS1_3repE0EEENS1_30default_config_static_selectorELNS0_4arch9wavefront6targetE0EEEvT1_,@function
_ZN7rocprim17ROCPRIM_400000_NS6detail17trampoline_kernelINS0_14default_configENS1_27scan_by_key_config_selectorIxxEEZZNS1_16scan_by_key_implILNS1_25lookback_scan_determinismE0ELb0ES3_N6thrust23THRUST_200600_302600_NS6detail15normal_iteratorINS9_10device_ptrIxEEEENS9_18transform_iteratorINS9_6negateIxEESE_NS9_11use_defaultESI_EESE_xNS9_4plusIvEENS9_8equal_toIvEExEE10hipError_tPvRmT2_T3_T4_T5_mT6_T7_P12ihipStream_tbENKUlT_T0_E_clISt17integral_constantIbLb0EES13_IbLb1EEEEDaSZ_S10_EUlSZ_E_NS1_11comp_targetILNS1_3genE2ELNS1_11target_archE906ELNS1_3gpuE6ELNS1_3repE0EEENS1_30default_config_static_selectorELNS0_4arch9wavefront6targetE0EEEvT1_: ; @_ZN7rocprim17ROCPRIM_400000_NS6detail17trampoline_kernelINS0_14default_configENS1_27scan_by_key_config_selectorIxxEEZZNS1_16scan_by_key_implILNS1_25lookback_scan_determinismE0ELb0ES3_N6thrust23THRUST_200600_302600_NS6detail15normal_iteratorINS9_10device_ptrIxEEEENS9_18transform_iteratorINS9_6negateIxEESE_NS9_11use_defaultESI_EESE_xNS9_4plusIvEENS9_8equal_toIvEExEE10hipError_tPvRmT2_T3_T4_T5_mT6_T7_P12ihipStream_tbENKUlT_T0_E_clISt17integral_constantIbLb0EES13_IbLb1EEEEDaSZ_S10_EUlSZ_E_NS1_11comp_targetILNS1_3genE2ELNS1_11target_archE906ELNS1_3gpuE6ELNS1_3repE0EEENS1_30default_config_static_selectorELNS0_4arch9wavefront6targetE0EEEvT1_
; %bb.0:
	.section	.rodata,"a",@progbits
	.p2align	6, 0x0
	.amdhsa_kernel _ZN7rocprim17ROCPRIM_400000_NS6detail17trampoline_kernelINS0_14default_configENS1_27scan_by_key_config_selectorIxxEEZZNS1_16scan_by_key_implILNS1_25lookback_scan_determinismE0ELb0ES3_N6thrust23THRUST_200600_302600_NS6detail15normal_iteratorINS9_10device_ptrIxEEEENS9_18transform_iteratorINS9_6negateIxEESE_NS9_11use_defaultESI_EESE_xNS9_4plusIvEENS9_8equal_toIvEExEE10hipError_tPvRmT2_T3_T4_T5_mT6_T7_P12ihipStream_tbENKUlT_T0_E_clISt17integral_constantIbLb0EES13_IbLb1EEEEDaSZ_S10_EUlSZ_E_NS1_11comp_targetILNS1_3genE2ELNS1_11target_archE906ELNS1_3gpuE6ELNS1_3repE0EEENS1_30default_config_static_selectorELNS0_4arch9wavefront6targetE0EEEvT1_
		.amdhsa_group_segment_fixed_size 0
		.amdhsa_private_segment_fixed_size 0
		.amdhsa_kernarg_size 144
		.amdhsa_user_sgpr_count 2
		.amdhsa_user_sgpr_dispatch_ptr 0
		.amdhsa_user_sgpr_queue_ptr 0
		.amdhsa_user_sgpr_kernarg_segment_ptr 1
		.amdhsa_user_sgpr_dispatch_id 0
		.amdhsa_user_sgpr_kernarg_preload_length 0
		.amdhsa_user_sgpr_kernarg_preload_offset 0
		.amdhsa_user_sgpr_private_segment_size 0
		.amdhsa_wavefront_size32 1
		.amdhsa_uses_dynamic_stack 0
		.amdhsa_enable_private_segment 0
		.amdhsa_system_sgpr_workgroup_id_x 1
		.amdhsa_system_sgpr_workgroup_id_y 0
		.amdhsa_system_sgpr_workgroup_id_z 0
		.amdhsa_system_sgpr_workgroup_info 0
		.amdhsa_system_vgpr_workitem_id 0
		.amdhsa_next_free_vgpr 1
		.amdhsa_next_free_sgpr 1
		.amdhsa_named_barrier_count 0
		.amdhsa_reserve_vcc 0
		.amdhsa_float_round_mode_32 0
		.amdhsa_float_round_mode_16_64 0
		.amdhsa_float_denorm_mode_32 3
		.amdhsa_float_denorm_mode_16_64 3
		.amdhsa_fp16_overflow 0
		.amdhsa_memory_ordered 1
		.amdhsa_forward_progress 1
		.amdhsa_inst_pref_size 0
		.amdhsa_round_robin_scheduling 0
		.amdhsa_exception_fp_ieee_invalid_op 0
		.amdhsa_exception_fp_denorm_src 0
		.amdhsa_exception_fp_ieee_div_zero 0
		.amdhsa_exception_fp_ieee_overflow 0
		.amdhsa_exception_fp_ieee_underflow 0
		.amdhsa_exception_fp_ieee_inexact 0
		.amdhsa_exception_int_div_zero 0
	.end_amdhsa_kernel
	.section	.text._ZN7rocprim17ROCPRIM_400000_NS6detail17trampoline_kernelINS0_14default_configENS1_27scan_by_key_config_selectorIxxEEZZNS1_16scan_by_key_implILNS1_25lookback_scan_determinismE0ELb0ES3_N6thrust23THRUST_200600_302600_NS6detail15normal_iteratorINS9_10device_ptrIxEEEENS9_18transform_iteratorINS9_6negateIxEESE_NS9_11use_defaultESI_EESE_xNS9_4plusIvEENS9_8equal_toIvEExEE10hipError_tPvRmT2_T3_T4_T5_mT6_T7_P12ihipStream_tbENKUlT_T0_E_clISt17integral_constantIbLb0EES13_IbLb1EEEEDaSZ_S10_EUlSZ_E_NS1_11comp_targetILNS1_3genE2ELNS1_11target_archE906ELNS1_3gpuE6ELNS1_3repE0EEENS1_30default_config_static_selectorELNS0_4arch9wavefront6targetE0EEEvT1_,"axG",@progbits,_ZN7rocprim17ROCPRIM_400000_NS6detail17trampoline_kernelINS0_14default_configENS1_27scan_by_key_config_selectorIxxEEZZNS1_16scan_by_key_implILNS1_25lookback_scan_determinismE0ELb0ES3_N6thrust23THRUST_200600_302600_NS6detail15normal_iteratorINS9_10device_ptrIxEEEENS9_18transform_iteratorINS9_6negateIxEESE_NS9_11use_defaultESI_EESE_xNS9_4plusIvEENS9_8equal_toIvEExEE10hipError_tPvRmT2_T3_T4_T5_mT6_T7_P12ihipStream_tbENKUlT_T0_E_clISt17integral_constantIbLb0EES13_IbLb1EEEEDaSZ_S10_EUlSZ_E_NS1_11comp_targetILNS1_3genE2ELNS1_11target_archE906ELNS1_3gpuE6ELNS1_3repE0EEENS1_30default_config_static_selectorELNS0_4arch9wavefront6targetE0EEEvT1_,comdat
.Lfunc_end925:
	.size	_ZN7rocprim17ROCPRIM_400000_NS6detail17trampoline_kernelINS0_14default_configENS1_27scan_by_key_config_selectorIxxEEZZNS1_16scan_by_key_implILNS1_25lookback_scan_determinismE0ELb0ES3_N6thrust23THRUST_200600_302600_NS6detail15normal_iteratorINS9_10device_ptrIxEEEENS9_18transform_iteratorINS9_6negateIxEESE_NS9_11use_defaultESI_EESE_xNS9_4plusIvEENS9_8equal_toIvEExEE10hipError_tPvRmT2_T3_T4_T5_mT6_T7_P12ihipStream_tbENKUlT_T0_E_clISt17integral_constantIbLb0EES13_IbLb1EEEEDaSZ_S10_EUlSZ_E_NS1_11comp_targetILNS1_3genE2ELNS1_11target_archE906ELNS1_3gpuE6ELNS1_3repE0EEENS1_30default_config_static_selectorELNS0_4arch9wavefront6targetE0EEEvT1_, .Lfunc_end925-_ZN7rocprim17ROCPRIM_400000_NS6detail17trampoline_kernelINS0_14default_configENS1_27scan_by_key_config_selectorIxxEEZZNS1_16scan_by_key_implILNS1_25lookback_scan_determinismE0ELb0ES3_N6thrust23THRUST_200600_302600_NS6detail15normal_iteratorINS9_10device_ptrIxEEEENS9_18transform_iteratorINS9_6negateIxEESE_NS9_11use_defaultESI_EESE_xNS9_4plusIvEENS9_8equal_toIvEExEE10hipError_tPvRmT2_T3_T4_T5_mT6_T7_P12ihipStream_tbENKUlT_T0_E_clISt17integral_constantIbLb0EES13_IbLb1EEEEDaSZ_S10_EUlSZ_E_NS1_11comp_targetILNS1_3genE2ELNS1_11target_archE906ELNS1_3gpuE6ELNS1_3repE0EEENS1_30default_config_static_selectorELNS0_4arch9wavefront6targetE0EEEvT1_
                                        ; -- End function
	.set _ZN7rocprim17ROCPRIM_400000_NS6detail17trampoline_kernelINS0_14default_configENS1_27scan_by_key_config_selectorIxxEEZZNS1_16scan_by_key_implILNS1_25lookback_scan_determinismE0ELb0ES3_N6thrust23THRUST_200600_302600_NS6detail15normal_iteratorINS9_10device_ptrIxEEEENS9_18transform_iteratorINS9_6negateIxEESE_NS9_11use_defaultESI_EESE_xNS9_4plusIvEENS9_8equal_toIvEExEE10hipError_tPvRmT2_T3_T4_T5_mT6_T7_P12ihipStream_tbENKUlT_T0_E_clISt17integral_constantIbLb0EES13_IbLb1EEEEDaSZ_S10_EUlSZ_E_NS1_11comp_targetILNS1_3genE2ELNS1_11target_archE906ELNS1_3gpuE6ELNS1_3repE0EEENS1_30default_config_static_selectorELNS0_4arch9wavefront6targetE0EEEvT1_.num_vgpr, 0
	.set _ZN7rocprim17ROCPRIM_400000_NS6detail17trampoline_kernelINS0_14default_configENS1_27scan_by_key_config_selectorIxxEEZZNS1_16scan_by_key_implILNS1_25lookback_scan_determinismE0ELb0ES3_N6thrust23THRUST_200600_302600_NS6detail15normal_iteratorINS9_10device_ptrIxEEEENS9_18transform_iteratorINS9_6negateIxEESE_NS9_11use_defaultESI_EESE_xNS9_4plusIvEENS9_8equal_toIvEExEE10hipError_tPvRmT2_T3_T4_T5_mT6_T7_P12ihipStream_tbENKUlT_T0_E_clISt17integral_constantIbLb0EES13_IbLb1EEEEDaSZ_S10_EUlSZ_E_NS1_11comp_targetILNS1_3genE2ELNS1_11target_archE906ELNS1_3gpuE6ELNS1_3repE0EEENS1_30default_config_static_selectorELNS0_4arch9wavefront6targetE0EEEvT1_.num_agpr, 0
	.set _ZN7rocprim17ROCPRIM_400000_NS6detail17trampoline_kernelINS0_14default_configENS1_27scan_by_key_config_selectorIxxEEZZNS1_16scan_by_key_implILNS1_25lookback_scan_determinismE0ELb0ES3_N6thrust23THRUST_200600_302600_NS6detail15normal_iteratorINS9_10device_ptrIxEEEENS9_18transform_iteratorINS9_6negateIxEESE_NS9_11use_defaultESI_EESE_xNS9_4plusIvEENS9_8equal_toIvEExEE10hipError_tPvRmT2_T3_T4_T5_mT6_T7_P12ihipStream_tbENKUlT_T0_E_clISt17integral_constantIbLb0EES13_IbLb1EEEEDaSZ_S10_EUlSZ_E_NS1_11comp_targetILNS1_3genE2ELNS1_11target_archE906ELNS1_3gpuE6ELNS1_3repE0EEENS1_30default_config_static_selectorELNS0_4arch9wavefront6targetE0EEEvT1_.numbered_sgpr, 0
	.set _ZN7rocprim17ROCPRIM_400000_NS6detail17trampoline_kernelINS0_14default_configENS1_27scan_by_key_config_selectorIxxEEZZNS1_16scan_by_key_implILNS1_25lookback_scan_determinismE0ELb0ES3_N6thrust23THRUST_200600_302600_NS6detail15normal_iteratorINS9_10device_ptrIxEEEENS9_18transform_iteratorINS9_6negateIxEESE_NS9_11use_defaultESI_EESE_xNS9_4plusIvEENS9_8equal_toIvEExEE10hipError_tPvRmT2_T3_T4_T5_mT6_T7_P12ihipStream_tbENKUlT_T0_E_clISt17integral_constantIbLb0EES13_IbLb1EEEEDaSZ_S10_EUlSZ_E_NS1_11comp_targetILNS1_3genE2ELNS1_11target_archE906ELNS1_3gpuE6ELNS1_3repE0EEENS1_30default_config_static_selectorELNS0_4arch9wavefront6targetE0EEEvT1_.num_named_barrier, 0
	.set _ZN7rocprim17ROCPRIM_400000_NS6detail17trampoline_kernelINS0_14default_configENS1_27scan_by_key_config_selectorIxxEEZZNS1_16scan_by_key_implILNS1_25lookback_scan_determinismE0ELb0ES3_N6thrust23THRUST_200600_302600_NS6detail15normal_iteratorINS9_10device_ptrIxEEEENS9_18transform_iteratorINS9_6negateIxEESE_NS9_11use_defaultESI_EESE_xNS9_4plusIvEENS9_8equal_toIvEExEE10hipError_tPvRmT2_T3_T4_T5_mT6_T7_P12ihipStream_tbENKUlT_T0_E_clISt17integral_constantIbLb0EES13_IbLb1EEEEDaSZ_S10_EUlSZ_E_NS1_11comp_targetILNS1_3genE2ELNS1_11target_archE906ELNS1_3gpuE6ELNS1_3repE0EEENS1_30default_config_static_selectorELNS0_4arch9wavefront6targetE0EEEvT1_.private_seg_size, 0
	.set _ZN7rocprim17ROCPRIM_400000_NS6detail17trampoline_kernelINS0_14default_configENS1_27scan_by_key_config_selectorIxxEEZZNS1_16scan_by_key_implILNS1_25lookback_scan_determinismE0ELb0ES3_N6thrust23THRUST_200600_302600_NS6detail15normal_iteratorINS9_10device_ptrIxEEEENS9_18transform_iteratorINS9_6negateIxEESE_NS9_11use_defaultESI_EESE_xNS9_4plusIvEENS9_8equal_toIvEExEE10hipError_tPvRmT2_T3_T4_T5_mT6_T7_P12ihipStream_tbENKUlT_T0_E_clISt17integral_constantIbLb0EES13_IbLb1EEEEDaSZ_S10_EUlSZ_E_NS1_11comp_targetILNS1_3genE2ELNS1_11target_archE906ELNS1_3gpuE6ELNS1_3repE0EEENS1_30default_config_static_selectorELNS0_4arch9wavefront6targetE0EEEvT1_.uses_vcc, 0
	.set _ZN7rocprim17ROCPRIM_400000_NS6detail17trampoline_kernelINS0_14default_configENS1_27scan_by_key_config_selectorIxxEEZZNS1_16scan_by_key_implILNS1_25lookback_scan_determinismE0ELb0ES3_N6thrust23THRUST_200600_302600_NS6detail15normal_iteratorINS9_10device_ptrIxEEEENS9_18transform_iteratorINS9_6negateIxEESE_NS9_11use_defaultESI_EESE_xNS9_4plusIvEENS9_8equal_toIvEExEE10hipError_tPvRmT2_T3_T4_T5_mT6_T7_P12ihipStream_tbENKUlT_T0_E_clISt17integral_constantIbLb0EES13_IbLb1EEEEDaSZ_S10_EUlSZ_E_NS1_11comp_targetILNS1_3genE2ELNS1_11target_archE906ELNS1_3gpuE6ELNS1_3repE0EEENS1_30default_config_static_selectorELNS0_4arch9wavefront6targetE0EEEvT1_.uses_flat_scratch, 0
	.set _ZN7rocprim17ROCPRIM_400000_NS6detail17trampoline_kernelINS0_14default_configENS1_27scan_by_key_config_selectorIxxEEZZNS1_16scan_by_key_implILNS1_25lookback_scan_determinismE0ELb0ES3_N6thrust23THRUST_200600_302600_NS6detail15normal_iteratorINS9_10device_ptrIxEEEENS9_18transform_iteratorINS9_6negateIxEESE_NS9_11use_defaultESI_EESE_xNS9_4plusIvEENS9_8equal_toIvEExEE10hipError_tPvRmT2_T3_T4_T5_mT6_T7_P12ihipStream_tbENKUlT_T0_E_clISt17integral_constantIbLb0EES13_IbLb1EEEEDaSZ_S10_EUlSZ_E_NS1_11comp_targetILNS1_3genE2ELNS1_11target_archE906ELNS1_3gpuE6ELNS1_3repE0EEENS1_30default_config_static_selectorELNS0_4arch9wavefront6targetE0EEEvT1_.has_dyn_sized_stack, 0
	.set _ZN7rocprim17ROCPRIM_400000_NS6detail17trampoline_kernelINS0_14default_configENS1_27scan_by_key_config_selectorIxxEEZZNS1_16scan_by_key_implILNS1_25lookback_scan_determinismE0ELb0ES3_N6thrust23THRUST_200600_302600_NS6detail15normal_iteratorINS9_10device_ptrIxEEEENS9_18transform_iteratorINS9_6negateIxEESE_NS9_11use_defaultESI_EESE_xNS9_4plusIvEENS9_8equal_toIvEExEE10hipError_tPvRmT2_T3_T4_T5_mT6_T7_P12ihipStream_tbENKUlT_T0_E_clISt17integral_constantIbLb0EES13_IbLb1EEEEDaSZ_S10_EUlSZ_E_NS1_11comp_targetILNS1_3genE2ELNS1_11target_archE906ELNS1_3gpuE6ELNS1_3repE0EEENS1_30default_config_static_selectorELNS0_4arch9wavefront6targetE0EEEvT1_.has_recursion, 0
	.set _ZN7rocprim17ROCPRIM_400000_NS6detail17trampoline_kernelINS0_14default_configENS1_27scan_by_key_config_selectorIxxEEZZNS1_16scan_by_key_implILNS1_25lookback_scan_determinismE0ELb0ES3_N6thrust23THRUST_200600_302600_NS6detail15normal_iteratorINS9_10device_ptrIxEEEENS9_18transform_iteratorINS9_6negateIxEESE_NS9_11use_defaultESI_EESE_xNS9_4plusIvEENS9_8equal_toIvEExEE10hipError_tPvRmT2_T3_T4_T5_mT6_T7_P12ihipStream_tbENKUlT_T0_E_clISt17integral_constantIbLb0EES13_IbLb1EEEEDaSZ_S10_EUlSZ_E_NS1_11comp_targetILNS1_3genE2ELNS1_11target_archE906ELNS1_3gpuE6ELNS1_3repE0EEENS1_30default_config_static_selectorELNS0_4arch9wavefront6targetE0EEEvT1_.has_indirect_call, 0
	.section	.AMDGPU.csdata,"",@progbits
; Kernel info:
; codeLenInByte = 0
; TotalNumSgprs: 0
; NumVgprs: 0
; ScratchSize: 0
; MemoryBound: 0
; FloatMode: 240
; IeeeMode: 1
; LDSByteSize: 0 bytes/workgroup (compile time only)
; SGPRBlocks: 0
; VGPRBlocks: 0
; NumSGPRsForWavesPerEU: 1
; NumVGPRsForWavesPerEU: 1
; NamedBarCnt: 0
; Occupancy: 16
; WaveLimiterHint : 0
; COMPUTE_PGM_RSRC2:SCRATCH_EN: 0
; COMPUTE_PGM_RSRC2:USER_SGPR: 2
; COMPUTE_PGM_RSRC2:TRAP_HANDLER: 0
; COMPUTE_PGM_RSRC2:TGID_X_EN: 1
; COMPUTE_PGM_RSRC2:TGID_Y_EN: 0
; COMPUTE_PGM_RSRC2:TGID_Z_EN: 0
; COMPUTE_PGM_RSRC2:TIDIG_COMP_CNT: 0
	.section	.text._ZN7rocprim17ROCPRIM_400000_NS6detail17trampoline_kernelINS0_14default_configENS1_27scan_by_key_config_selectorIxxEEZZNS1_16scan_by_key_implILNS1_25lookback_scan_determinismE0ELb0ES3_N6thrust23THRUST_200600_302600_NS6detail15normal_iteratorINS9_10device_ptrIxEEEENS9_18transform_iteratorINS9_6negateIxEESE_NS9_11use_defaultESI_EESE_xNS9_4plusIvEENS9_8equal_toIvEExEE10hipError_tPvRmT2_T3_T4_T5_mT6_T7_P12ihipStream_tbENKUlT_T0_E_clISt17integral_constantIbLb0EES13_IbLb1EEEEDaSZ_S10_EUlSZ_E_NS1_11comp_targetILNS1_3genE10ELNS1_11target_archE1200ELNS1_3gpuE4ELNS1_3repE0EEENS1_30default_config_static_selectorELNS0_4arch9wavefront6targetE0EEEvT1_,"axG",@progbits,_ZN7rocprim17ROCPRIM_400000_NS6detail17trampoline_kernelINS0_14default_configENS1_27scan_by_key_config_selectorIxxEEZZNS1_16scan_by_key_implILNS1_25lookback_scan_determinismE0ELb0ES3_N6thrust23THRUST_200600_302600_NS6detail15normal_iteratorINS9_10device_ptrIxEEEENS9_18transform_iteratorINS9_6negateIxEESE_NS9_11use_defaultESI_EESE_xNS9_4plusIvEENS9_8equal_toIvEExEE10hipError_tPvRmT2_T3_T4_T5_mT6_T7_P12ihipStream_tbENKUlT_T0_E_clISt17integral_constantIbLb0EES13_IbLb1EEEEDaSZ_S10_EUlSZ_E_NS1_11comp_targetILNS1_3genE10ELNS1_11target_archE1200ELNS1_3gpuE4ELNS1_3repE0EEENS1_30default_config_static_selectorELNS0_4arch9wavefront6targetE0EEEvT1_,comdat
	.protected	_ZN7rocprim17ROCPRIM_400000_NS6detail17trampoline_kernelINS0_14default_configENS1_27scan_by_key_config_selectorIxxEEZZNS1_16scan_by_key_implILNS1_25lookback_scan_determinismE0ELb0ES3_N6thrust23THRUST_200600_302600_NS6detail15normal_iteratorINS9_10device_ptrIxEEEENS9_18transform_iteratorINS9_6negateIxEESE_NS9_11use_defaultESI_EESE_xNS9_4plusIvEENS9_8equal_toIvEExEE10hipError_tPvRmT2_T3_T4_T5_mT6_T7_P12ihipStream_tbENKUlT_T0_E_clISt17integral_constantIbLb0EES13_IbLb1EEEEDaSZ_S10_EUlSZ_E_NS1_11comp_targetILNS1_3genE10ELNS1_11target_archE1200ELNS1_3gpuE4ELNS1_3repE0EEENS1_30default_config_static_selectorELNS0_4arch9wavefront6targetE0EEEvT1_ ; -- Begin function _ZN7rocprim17ROCPRIM_400000_NS6detail17trampoline_kernelINS0_14default_configENS1_27scan_by_key_config_selectorIxxEEZZNS1_16scan_by_key_implILNS1_25lookback_scan_determinismE0ELb0ES3_N6thrust23THRUST_200600_302600_NS6detail15normal_iteratorINS9_10device_ptrIxEEEENS9_18transform_iteratorINS9_6negateIxEESE_NS9_11use_defaultESI_EESE_xNS9_4plusIvEENS9_8equal_toIvEExEE10hipError_tPvRmT2_T3_T4_T5_mT6_T7_P12ihipStream_tbENKUlT_T0_E_clISt17integral_constantIbLb0EES13_IbLb1EEEEDaSZ_S10_EUlSZ_E_NS1_11comp_targetILNS1_3genE10ELNS1_11target_archE1200ELNS1_3gpuE4ELNS1_3repE0EEENS1_30default_config_static_selectorELNS0_4arch9wavefront6targetE0EEEvT1_
	.globl	_ZN7rocprim17ROCPRIM_400000_NS6detail17trampoline_kernelINS0_14default_configENS1_27scan_by_key_config_selectorIxxEEZZNS1_16scan_by_key_implILNS1_25lookback_scan_determinismE0ELb0ES3_N6thrust23THRUST_200600_302600_NS6detail15normal_iteratorINS9_10device_ptrIxEEEENS9_18transform_iteratorINS9_6negateIxEESE_NS9_11use_defaultESI_EESE_xNS9_4plusIvEENS9_8equal_toIvEExEE10hipError_tPvRmT2_T3_T4_T5_mT6_T7_P12ihipStream_tbENKUlT_T0_E_clISt17integral_constantIbLb0EES13_IbLb1EEEEDaSZ_S10_EUlSZ_E_NS1_11comp_targetILNS1_3genE10ELNS1_11target_archE1200ELNS1_3gpuE4ELNS1_3repE0EEENS1_30default_config_static_selectorELNS0_4arch9wavefront6targetE0EEEvT1_
	.p2align	8
	.type	_ZN7rocprim17ROCPRIM_400000_NS6detail17trampoline_kernelINS0_14default_configENS1_27scan_by_key_config_selectorIxxEEZZNS1_16scan_by_key_implILNS1_25lookback_scan_determinismE0ELb0ES3_N6thrust23THRUST_200600_302600_NS6detail15normal_iteratorINS9_10device_ptrIxEEEENS9_18transform_iteratorINS9_6negateIxEESE_NS9_11use_defaultESI_EESE_xNS9_4plusIvEENS9_8equal_toIvEExEE10hipError_tPvRmT2_T3_T4_T5_mT6_T7_P12ihipStream_tbENKUlT_T0_E_clISt17integral_constantIbLb0EES13_IbLb1EEEEDaSZ_S10_EUlSZ_E_NS1_11comp_targetILNS1_3genE10ELNS1_11target_archE1200ELNS1_3gpuE4ELNS1_3repE0EEENS1_30default_config_static_selectorELNS0_4arch9wavefront6targetE0EEEvT1_,@function
_ZN7rocprim17ROCPRIM_400000_NS6detail17trampoline_kernelINS0_14default_configENS1_27scan_by_key_config_selectorIxxEEZZNS1_16scan_by_key_implILNS1_25lookback_scan_determinismE0ELb0ES3_N6thrust23THRUST_200600_302600_NS6detail15normal_iteratorINS9_10device_ptrIxEEEENS9_18transform_iteratorINS9_6negateIxEESE_NS9_11use_defaultESI_EESE_xNS9_4plusIvEENS9_8equal_toIvEExEE10hipError_tPvRmT2_T3_T4_T5_mT6_T7_P12ihipStream_tbENKUlT_T0_E_clISt17integral_constantIbLb0EES13_IbLb1EEEEDaSZ_S10_EUlSZ_E_NS1_11comp_targetILNS1_3genE10ELNS1_11target_archE1200ELNS1_3gpuE4ELNS1_3repE0EEENS1_30default_config_static_selectorELNS0_4arch9wavefront6targetE0EEEvT1_: ; @_ZN7rocprim17ROCPRIM_400000_NS6detail17trampoline_kernelINS0_14default_configENS1_27scan_by_key_config_selectorIxxEEZZNS1_16scan_by_key_implILNS1_25lookback_scan_determinismE0ELb0ES3_N6thrust23THRUST_200600_302600_NS6detail15normal_iteratorINS9_10device_ptrIxEEEENS9_18transform_iteratorINS9_6negateIxEESE_NS9_11use_defaultESI_EESE_xNS9_4plusIvEENS9_8equal_toIvEExEE10hipError_tPvRmT2_T3_T4_T5_mT6_T7_P12ihipStream_tbENKUlT_T0_E_clISt17integral_constantIbLb0EES13_IbLb1EEEEDaSZ_S10_EUlSZ_E_NS1_11comp_targetILNS1_3genE10ELNS1_11target_archE1200ELNS1_3gpuE4ELNS1_3repE0EEENS1_30default_config_static_selectorELNS0_4arch9wavefront6targetE0EEEvT1_
; %bb.0:
	.section	.rodata,"a",@progbits
	.p2align	6, 0x0
	.amdhsa_kernel _ZN7rocprim17ROCPRIM_400000_NS6detail17trampoline_kernelINS0_14default_configENS1_27scan_by_key_config_selectorIxxEEZZNS1_16scan_by_key_implILNS1_25lookback_scan_determinismE0ELb0ES3_N6thrust23THRUST_200600_302600_NS6detail15normal_iteratorINS9_10device_ptrIxEEEENS9_18transform_iteratorINS9_6negateIxEESE_NS9_11use_defaultESI_EESE_xNS9_4plusIvEENS9_8equal_toIvEExEE10hipError_tPvRmT2_T3_T4_T5_mT6_T7_P12ihipStream_tbENKUlT_T0_E_clISt17integral_constantIbLb0EES13_IbLb1EEEEDaSZ_S10_EUlSZ_E_NS1_11comp_targetILNS1_3genE10ELNS1_11target_archE1200ELNS1_3gpuE4ELNS1_3repE0EEENS1_30default_config_static_selectorELNS0_4arch9wavefront6targetE0EEEvT1_
		.amdhsa_group_segment_fixed_size 0
		.amdhsa_private_segment_fixed_size 0
		.amdhsa_kernarg_size 144
		.amdhsa_user_sgpr_count 2
		.amdhsa_user_sgpr_dispatch_ptr 0
		.amdhsa_user_sgpr_queue_ptr 0
		.amdhsa_user_sgpr_kernarg_segment_ptr 1
		.amdhsa_user_sgpr_dispatch_id 0
		.amdhsa_user_sgpr_kernarg_preload_length 0
		.amdhsa_user_sgpr_kernarg_preload_offset 0
		.amdhsa_user_sgpr_private_segment_size 0
		.amdhsa_wavefront_size32 1
		.amdhsa_uses_dynamic_stack 0
		.amdhsa_enable_private_segment 0
		.amdhsa_system_sgpr_workgroup_id_x 1
		.amdhsa_system_sgpr_workgroup_id_y 0
		.amdhsa_system_sgpr_workgroup_id_z 0
		.amdhsa_system_sgpr_workgroup_info 0
		.amdhsa_system_vgpr_workitem_id 0
		.amdhsa_next_free_vgpr 1
		.amdhsa_next_free_sgpr 1
		.amdhsa_named_barrier_count 0
		.amdhsa_reserve_vcc 0
		.amdhsa_float_round_mode_32 0
		.amdhsa_float_round_mode_16_64 0
		.amdhsa_float_denorm_mode_32 3
		.amdhsa_float_denorm_mode_16_64 3
		.amdhsa_fp16_overflow 0
		.amdhsa_memory_ordered 1
		.amdhsa_forward_progress 1
		.amdhsa_inst_pref_size 0
		.amdhsa_round_robin_scheduling 0
		.amdhsa_exception_fp_ieee_invalid_op 0
		.amdhsa_exception_fp_denorm_src 0
		.amdhsa_exception_fp_ieee_div_zero 0
		.amdhsa_exception_fp_ieee_overflow 0
		.amdhsa_exception_fp_ieee_underflow 0
		.amdhsa_exception_fp_ieee_inexact 0
		.amdhsa_exception_int_div_zero 0
	.end_amdhsa_kernel
	.section	.text._ZN7rocprim17ROCPRIM_400000_NS6detail17trampoline_kernelINS0_14default_configENS1_27scan_by_key_config_selectorIxxEEZZNS1_16scan_by_key_implILNS1_25lookback_scan_determinismE0ELb0ES3_N6thrust23THRUST_200600_302600_NS6detail15normal_iteratorINS9_10device_ptrIxEEEENS9_18transform_iteratorINS9_6negateIxEESE_NS9_11use_defaultESI_EESE_xNS9_4plusIvEENS9_8equal_toIvEExEE10hipError_tPvRmT2_T3_T4_T5_mT6_T7_P12ihipStream_tbENKUlT_T0_E_clISt17integral_constantIbLb0EES13_IbLb1EEEEDaSZ_S10_EUlSZ_E_NS1_11comp_targetILNS1_3genE10ELNS1_11target_archE1200ELNS1_3gpuE4ELNS1_3repE0EEENS1_30default_config_static_selectorELNS0_4arch9wavefront6targetE0EEEvT1_,"axG",@progbits,_ZN7rocprim17ROCPRIM_400000_NS6detail17trampoline_kernelINS0_14default_configENS1_27scan_by_key_config_selectorIxxEEZZNS1_16scan_by_key_implILNS1_25lookback_scan_determinismE0ELb0ES3_N6thrust23THRUST_200600_302600_NS6detail15normal_iteratorINS9_10device_ptrIxEEEENS9_18transform_iteratorINS9_6negateIxEESE_NS9_11use_defaultESI_EESE_xNS9_4plusIvEENS9_8equal_toIvEExEE10hipError_tPvRmT2_T3_T4_T5_mT6_T7_P12ihipStream_tbENKUlT_T0_E_clISt17integral_constantIbLb0EES13_IbLb1EEEEDaSZ_S10_EUlSZ_E_NS1_11comp_targetILNS1_3genE10ELNS1_11target_archE1200ELNS1_3gpuE4ELNS1_3repE0EEENS1_30default_config_static_selectorELNS0_4arch9wavefront6targetE0EEEvT1_,comdat
.Lfunc_end926:
	.size	_ZN7rocprim17ROCPRIM_400000_NS6detail17trampoline_kernelINS0_14default_configENS1_27scan_by_key_config_selectorIxxEEZZNS1_16scan_by_key_implILNS1_25lookback_scan_determinismE0ELb0ES3_N6thrust23THRUST_200600_302600_NS6detail15normal_iteratorINS9_10device_ptrIxEEEENS9_18transform_iteratorINS9_6negateIxEESE_NS9_11use_defaultESI_EESE_xNS9_4plusIvEENS9_8equal_toIvEExEE10hipError_tPvRmT2_T3_T4_T5_mT6_T7_P12ihipStream_tbENKUlT_T0_E_clISt17integral_constantIbLb0EES13_IbLb1EEEEDaSZ_S10_EUlSZ_E_NS1_11comp_targetILNS1_3genE10ELNS1_11target_archE1200ELNS1_3gpuE4ELNS1_3repE0EEENS1_30default_config_static_selectorELNS0_4arch9wavefront6targetE0EEEvT1_, .Lfunc_end926-_ZN7rocprim17ROCPRIM_400000_NS6detail17trampoline_kernelINS0_14default_configENS1_27scan_by_key_config_selectorIxxEEZZNS1_16scan_by_key_implILNS1_25lookback_scan_determinismE0ELb0ES3_N6thrust23THRUST_200600_302600_NS6detail15normal_iteratorINS9_10device_ptrIxEEEENS9_18transform_iteratorINS9_6negateIxEESE_NS9_11use_defaultESI_EESE_xNS9_4plusIvEENS9_8equal_toIvEExEE10hipError_tPvRmT2_T3_T4_T5_mT6_T7_P12ihipStream_tbENKUlT_T0_E_clISt17integral_constantIbLb0EES13_IbLb1EEEEDaSZ_S10_EUlSZ_E_NS1_11comp_targetILNS1_3genE10ELNS1_11target_archE1200ELNS1_3gpuE4ELNS1_3repE0EEENS1_30default_config_static_selectorELNS0_4arch9wavefront6targetE0EEEvT1_
                                        ; -- End function
	.set _ZN7rocprim17ROCPRIM_400000_NS6detail17trampoline_kernelINS0_14default_configENS1_27scan_by_key_config_selectorIxxEEZZNS1_16scan_by_key_implILNS1_25lookback_scan_determinismE0ELb0ES3_N6thrust23THRUST_200600_302600_NS6detail15normal_iteratorINS9_10device_ptrIxEEEENS9_18transform_iteratorINS9_6negateIxEESE_NS9_11use_defaultESI_EESE_xNS9_4plusIvEENS9_8equal_toIvEExEE10hipError_tPvRmT2_T3_T4_T5_mT6_T7_P12ihipStream_tbENKUlT_T0_E_clISt17integral_constantIbLb0EES13_IbLb1EEEEDaSZ_S10_EUlSZ_E_NS1_11comp_targetILNS1_3genE10ELNS1_11target_archE1200ELNS1_3gpuE4ELNS1_3repE0EEENS1_30default_config_static_selectorELNS0_4arch9wavefront6targetE0EEEvT1_.num_vgpr, 0
	.set _ZN7rocprim17ROCPRIM_400000_NS6detail17trampoline_kernelINS0_14default_configENS1_27scan_by_key_config_selectorIxxEEZZNS1_16scan_by_key_implILNS1_25lookback_scan_determinismE0ELb0ES3_N6thrust23THRUST_200600_302600_NS6detail15normal_iteratorINS9_10device_ptrIxEEEENS9_18transform_iteratorINS9_6negateIxEESE_NS9_11use_defaultESI_EESE_xNS9_4plusIvEENS9_8equal_toIvEExEE10hipError_tPvRmT2_T3_T4_T5_mT6_T7_P12ihipStream_tbENKUlT_T0_E_clISt17integral_constantIbLb0EES13_IbLb1EEEEDaSZ_S10_EUlSZ_E_NS1_11comp_targetILNS1_3genE10ELNS1_11target_archE1200ELNS1_3gpuE4ELNS1_3repE0EEENS1_30default_config_static_selectorELNS0_4arch9wavefront6targetE0EEEvT1_.num_agpr, 0
	.set _ZN7rocprim17ROCPRIM_400000_NS6detail17trampoline_kernelINS0_14default_configENS1_27scan_by_key_config_selectorIxxEEZZNS1_16scan_by_key_implILNS1_25lookback_scan_determinismE0ELb0ES3_N6thrust23THRUST_200600_302600_NS6detail15normal_iteratorINS9_10device_ptrIxEEEENS9_18transform_iteratorINS9_6negateIxEESE_NS9_11use_defaultESI_EESE_xNS9_4plusIvEENS9_8equal_toIvEExEE10hipError_tPvRmT2_T3_T4_T5_mT6_T7_P12ihipStream_tbENKUlT_T0_E_clISt17integral_constantIbLb0EES13_IbLb1EEEEDaSZ_S10_EUlSZ_E_NS1_11comp_targetILNS1_3genE10ELNS1_11target_archE1200ELNS1_3gpuE4ELNS1_3repE0EEENS1_30default_config_static_selectorELNS0_4arch9wavefront6targetE0EEEvT1_.numbered_sgpr, 0
	.set _ZN7rocprim17ROCPRIM_400000_NS6detail17trampoline_kernelINS0_14default_configENS1_27scan_by_key_config_selectorIxxEEZZNS1_16scan_by_key_implILNS1_25lookback_scan_determinismE0ELb0ES3_N6thrust23THRUST_200600_302600_NS6detail15normal_iteratorINS9_10device_ptrIxEEEENS9_18transform_iteratorINS9_6negateIxEESE_NS9_11use_defaultESI_EESE_xNS9_4plusIvEENS9_8equal_toIvEExEE10hipError_tPvRmT2_T3_T4_T5_mT6_T7_P12ihipStream_tbENKUlT_T0_E_clISt17integral_constantIbLb0EES13_IbLb1EEEEDaSZ_S10_EUlSZ_E_NS1_11comp_targetILNS1_3genE10ELNS1_11target_archE1200ELNS1_3gpuE4ELNS1_3repE0EEENS1_30default_config_static_selectorELNS0_4arch9wavefront6targetE0EEEvT1_.num_named_barrier, 0
	.set _ZN7rocprim17ROCPRIM_400000_NS6detail17trampoline_kernelINS0_14default_configENS1_27scan_by_key_config_selectorIxxEEZZNS1_16scan_by_key_implILNS1_25lookback_scan_determinismE0ELb0ES3_N6thrust23THRUST_200600_302600_NS6detail15normal_iteratorINS9_10device_ptrIxEEEENS9_18transform_iteratorINS9_6negateIxEESE_NS9_11use_defaultESI_EESE_xNS9_4plusIvEENS9_8equal_toIvEExEE10hipError_tPvRmT2_T3_T4_T5_mT6_T7_P12ihipStream_tbENKUlT_T0_E_clISt17integral_constantIbLb0EES13_IbLb1EEEEDaSZ_S10_EUlSZ_E_NS1_11comp_targetILNS1_3genE10ELNS1_11target_archE1200ELNS1_3gpuE4ELNS1_3repE0EEENS1_30default_config_static_selectorELNS0_4arch9wavefront6targetE0EEEvT1_.private_seg_size, 0
	.set _ZN7rocprim17ROCPRIM_400000_NS6detail17trampoline_kernelINS0_14default_configENS1_27scan_by_key_config_selectorIxxEEZZNS1_16scan_by_key_implILNS1_25lookback_scan_determinismE0ELb0ES3_N6thrust23THRUST_200600_302600_NS6detail15normal_iteratorINS9_10device_ptrIxEEEENS9_18transform_iteratorINS9_6negateIxEESE_NS9_11use_defaultESI_EESE_xNS9_4plusIvEENS9_8equal_toIvEExEE10hipError_tPvRmT2_T3_T4_T5_mT6_T7_P12ihipStream_tbENKUlT_T0_E_clISt17integral_constantIbLb0EES13_IbLb1EEEEDaSZ_S10_EUlSZ_E_NS1_11comp_targetILNS1_3genE10ELNS1_11target_archE1200ELNS1_3gpuE4ELNS1_3repE0EEENS1_30default_config_static_selectorELNS0_4arch9wavefront6targetE0EEEvT1_.uses_vcc, 0
	.set _ZN7rocprim17ROCPRIM_400000_NS6detail17trampoline_kernelINS0_14default_configENS1_27scan_by_key_config_selectorIxxEEZZNS1_16scan_by_key_implILNS1_25lookback_scan_determinismE0ELb0ES3_N6thrust23THRUST_200600_302600_NS6detail15normal_iteratorINS9_10device_ptrIxEEEENS9_18transform_iteratorINS9_6negateIxEESE_NS9_11use_defaultESI_EESE_xNS9_4plusIvEENS9_8equal_toIvEExEE10hipError_tPvRmT2_T3_T4_T5_mT6_T7_P12ihipStream_tbENKUlT_T0_E_clISt17integral_constantIbLb0EES13_IbLb1EEEEDaSZ_S10_EUlSZ_E_NS1_11comp_targetILNS1_3genE10ELNS1_11target_archE1200ELNS1_3gpuE4ELNS1_3repE0EEENS1_30default_config_static_selectorELNS0_4arch9wavefront6targetE0EEEvT1_.uses_flat_scratch, 0
	.set _ZN7rocprim17ROCPRIM_400000_NS6detail17trampoline_kernelINS0_14default_configENS1_27scan_by_key_config_selectorIxxEEZZNS1_16scan_by_key_implILNS1_25lookback_scan_determinismE0ELb0ES3_N6thrust23THRUST_200600_302600_NS6detail15normal_iteratorINS9_10device_ptrIxEEEENS9_18transform_iteratorINS9_6negateIxEESE_NS9_11use_defaultESI_EESE_xNS9_4plusIvEENS9_8equal_toIvEExEE10hipError_tPvRmT2_T3_T4_T5_mT6_T7_P12ihipStream_tbENKUlT_T0_E_clISt17integral_constantIbLb0EES13_IbLb1EEEEDaSZ_S10_EUlSZ_E_NS1_11comp_targetILNS1_3genE10ELNS1_11target_archE1200ELNS1_3gpuE4ELNS1_3repE0EEENS1_30default_config_static_selectorELNS0_4arch9wavefront6targetE0EEEvT1_.has_dyn_sized_stack, 0
	.set _ZN7rocprim17ROCPRIM_400000_NS6detail17trampoline_kernelINS0_14default_configENS1_27scan_by_key_config_selectorIxxEEZZNS1_16scan_by_key_implILNS1_25lookback_scan_determinismE0ELb0ES3_N6thrust23THRUST_200600_302600_NS6detail15normal_iteratorINS9_10device_ptrIxEEEENS9_18transform_iteratorINS9_6negateIxEESE_NS9_11use_defaultESI_EESE_xNS9_4plusIvEENS9_8equal_toIvEExEE10hipError_tPvRmT2_T3_T4_T5_mT6_T7_P12ihipStream_tbENKUlT_T0_E_clISt17integral_constantIbLb0EES13_IbLb1EEEEDaSZ_S10_EUlSZ_E_NS1_11comp_targetILNS1_3genE10ELNS1_11target_archE1200ELNS1_3gpuE4ELNS1_3repE0EEENS1_30default_config_static_selectorELNS0_4arch9wavefront6targetE0EEEvT1_.has_recursion, 0
	.set _ZN7rocprim17ROCPRIM_400000_NS6detail17trampoline_kernelINS0_14default_configENS1_27scan_by_key_config_selectorIxxEEZZNS1_16scan_by_key_implILNS1_25lookback_scan_determinismE0ELb0ES3_N6thrust23THRUST_200600_302600_NS6detail15normal_iteratorINS9_10device_ptrIxEEEENS9_18transform_iteratorINS9_6negateIxEESE_NS9_11use_defaultESI_EESE_xNS9_4plusIvEENS9_8equal_toIvEExEE10hipError_tPvRmT2_T3_T4_T5_mT6_T7_P12ihipStream_tbENKUlT_T0_E_clISt17integral_constantIbLb0EES13_IbLb1EEEEDaSZ_S10_EUlSZ_E_NS1_11comp_targetILNS1_3genE10ELNS1_11target_archE1200ELNS1_3gpuE4ELNS1_3repE0EEENS1_30default_config_static_selectorELNS0_4arch9wavefront6targetE0EEEvT1_.has_indirect_call, 0
	.section	.AMDGPU.csdata,"",@progbits
; Kernel info:
; codeLenInByte = 0
; TotalNumSgprs: 0
; NumVgprs: 0
; ScratchSize: 0
; MemoryBound: 0
; FloatMode: 240
; IeeeMode: 1
; LDSByteSize: 0 bytes/workgroup (compile time only)
; SGPRBlocks: 0
; VGPRBlocks: 0
; NumSGPRsForWavesPerEU: 1
; NumVGPRsForWavesPerEU: 1
; NamedBarCnt: 0
; Occupancy: 16
; WaveLimiterHint : 0
; COMPUTE_PGM_RSRC2:SCRATCH_EN: 0
; COMPUTE_PGM_RSRC2:USER_SGPR: 2
; COMPUTE_PGM_RSRC2:TRAP_HANDLER: 0
; COMPUTE_PGM_RSRC2:TGID_X_EN: 1
; COMPUTE_PGM_RSRC2:TGID_Y_EN: 0
; COMPUTE_PGM_RSRC2:TGID_Z_EN: 0
; COMPUTE_PGM_RSRC2:TIDIG_COMP_CNT: 0
	.section	.text._ZN7rocprim17ROCPRIM_400000_NS6detail17trampoline_kernelINS0_14default_configENS1_27scan_by_key_config_selectorIxxEEZZNS1_16scan_by_key_implILNS1_25lookback_scan_determinismE0ELb0ES3_N6thrust23THRUST_200600_302600_NS6detail15normal_iteratorINS9_10device_ptrIxEEEENS9_18transform_iteratorINS9_6negateIxEESE_NS9_11use_defaultESI_EESE_xNS9_4plusIvEENS9_8equal_toIvEExEE10hipError_tPvRmT2_T3_T4_T5_mT6_T7_P12ihipStream_tbENKUlT_T0_E_clISt17integral_constantIbLb0EES13_IbLb1EEEEDaSZ_S10_EUlSZ_E_NS1_11comp_targetILNS1_3genE9ELNS1_11target_archE1100ELNS1_3gpuE3ELNS1_3repE0EEENS1_30default_config_static_selectorELNS0_4arch9wavefront6targetE0EEEvT1_,"axG",@progbits,_ZN7rocprim17ROCPRIM_400000_NS6detail17trampoline_kernelINS0_14default_configENS1_27scan_by_key_config_selectorIxxEEZZNS1_16scan_by_key_implILNS1_25lookback_scan_determinismE0ELb0ES3_N6thrust23THRUST_200600_302600_NS6detail15normal_iteratorINS9_10device_ptrIxEEEENS9_18transform_iteratorINS9_6negateIxEESE_NS9_11use_defaultESI_EESE_xNS9_4plusIvEENS9_8equal_toIvEExEE10hipError_tPvRmT2_T3_T4_T5_mT6_T7_P12ihipStream_tbENKUlT_T0_E_clISt17integral_constantIbLb0EES13_IbLb1EEEEDaSZ_S10_EUlSZ_E_NS1_11comp_targetILNS1_3genE9ELNS1_11target_archE1100ELNS1_3gpuE3ELNS1_3repE0EEENS1_30default_config_static_selectorELNS0_4arch9wavefront6targetE0EEEvT1_,comdat
	.protected	_ZN7rocprim17ROCPRIM_400000_NS6detail17trampoline_kernelINS0_14default_configENS1_27scan_by_key_config_selectorIxxEEZZNS1_16scan_by_key_implILNS1_25lookback_scan_determinismE0ELb0ES3_N6thrust23THRUST_200600_302600_NS6detail15normal_iteratorINS9_10device_ptrIxEEEENS9_18transform_iteratorINS9_6negateIxEESE_NS9_11use_defaultESI_EESE_xNS9_4plusIvEENS9_8equal_toIvEExEE10hipError_tPvRmT2_T3_T4_T5_mT6_T7_P12ihipStream_tbENKUlT_T0_E_clISt17integral_constantIbLb0EES13_IbLb1EEEEDaSZ_S10_EUlSZ_E_NS1_11comp_targetILNS1_3genE9ELNS1_11target_archE1100ELNS1_3gpuE3ELNS1_3repE0EEENS1_30default_config_static_selectorELNS0_4arch9wavefront6targetE0EEEvT1_ ; -- Begin function _ZN7rocprim17ROCPRIM_400000_NS6detail17trampoline_kernelINS0_14default_configENS1_27scan_by_key_config_selectorIxxEEZZNS1_16scan_by_key_implILNS1_25lookback_scan_determinismE0ELb0ES3_N6thrust23THRUST_200600_302600_NS6detail15normal_iteratorINS9_10device_ptrIxEEEENS9_18transform_iteratorINS9_6negateIxEESE_NS9_11use_defaultESI_EESE_xNS9_4plusIvEENS9_8equal_toIvEExEE10hipError_tPvRmT2_T3_T4_T5_mT6_T7_P12ihipStream_tbENKUlT_T0_E_clISt17integral_constantIbLb0EES13_IbLb1EEEEDaSZ_S10_EUlSZ_E_NS1_11comp_targetILNS1_3genE9ELNS1_11target_archE1100ELNS1_3gpuE3ELNS1_3repE0EEENS1_30default_config_static_selectorELNS0_4arch9wavefront6targetE0EEEvT1_
	.globl	_ZN7rocprim17ROCPRIM_400000_NS6detail17trampoline_kernelINS0_14default_configENS1_27scan_by_key_config_selectorIxxEEZZNS1_16scan_by_key_implILNS1_25lookback_scan_determinismE0ELb0ES3_N6thrust23THRUST_200600_302600_NS6detail15normal_iteratorINS9_10device_ptrIxEEEENS9_18transform_iteratorINS9_6negateIxEESE_NS9_11use_defaultESI_EESE_xNS9_4plusIvEENS9_8equal_toIvEExEE10hipError_tPvRmT2_T3_T4_T5_mT6_T7_P12ihipStream_tbENKUlT_T0_E_clISt17integral_constantIbLb0EES13_IbLb1EEEEDaSZ_S10_EUlSZ_E_NS1_11comp_targetILNS1_3genE9ELNS1_11target_archE1100ELNS1_3gpuE3ELNS1_3repE0EEENS1_30default_config_static_selectorELNS0_4arch9wavefront6targetE0EEEvT1_
	.p2align	8
	.type	_ZN7rocprim17ROCPRIM_400000_NS6detail17trampoline_kernelINS0_14default_configENS1_27scan_by_key_config_selectorIxxEEZZNS1_16scan_by_key_implILNS1_25lookback_scan_determinismE0ELb0ES3_N6thrust23THRUST_200600_302600_NS6detail15normal_iteratorINS9_10device_ptrIxEEEENS9_18transform_iteratorINS9_6negateIxEESE_NS9_11use_defaultESI_EESE_xNS9_4plusIvEENS9_8equal_toIvEExEE10hipError_tPvRmT2_T3_T4_T5_mT6_T7_P12ihipStream_tbENKUlT_T0_E_clISt17integral_constantIbLb0EES13_IbLb1EEEEDaSZ_S10_EUlSZ_E_NS1_11comp_targetILNS1_3genE9ELNS1_11target_archE1100ELNS1_3gpuE3ELNS1_3repE0EEENS1_30default_config_static_selectorELNS0_4arch9wavefront6targetE0EEEvT1_,@function
_ZN7rocprim17ROCPRIM_400000_NS6detail17trampoline_kernelINS0_14default_configENS1_27scan_by_key_config_selectorIxxEEZZNS1_16scan_by_key_implILNS1_25lookback_scan_determinismE0ELb0ES3_N6thrust23THRUST_200600_302600_NS6detail15normal_iteratorINS9_10device_ptrIxEEEENS9_18transform_iteratorINS9_6negateIxEESE_NS9_11use_defaultESI_EESE_xNS9_4plusIvEENS9_8equal_toIvEExEE10hipError_tPvRmT2_T3_T4_T5_mT6_T7_P12ihipStream_tbENKUlT_T0_E_clISt17integral_constantIbLb0EES13_IbLb1EEEEDaSZ_S10_EUlSZ_E_NS1_11comp_targetILNS1_3genE9ELNS1_11target_archE1100ELNS1_3gpuE3ELNS1_3repE0EEENS1_30default_config_static_selectorELNS0_4arch9wavefront6targetE0EEEvT1_: ; @_ZN7rocprim17ROCPRIM_400000_NS6detail17trampoline_kernelINS0_14default_configENS1_27scan_by_key_config_selectorIxxEEZZNS1_16scan_by_key_implILNS1_25lookback_scan_determinismE0ELb0ES3_N6thrust23THRUST_200600_302600_NS6detail15normal_iteratorINS9_10device_ptrIxEEEENS9_18transform_iteratorINS9_6negateIxEESE_NS9_11use_defaultESI_EESE_xNS9_4plusIvEENS9_8equal_toIvEExEE10hipError_tPvRmT2_T3_T4_T5_mT6_T7_P12ihipStream_tbENKUlT_T0_E_clISt17integral_constantIbLb0EES13_IbLb1EEEEDaSZ_S10_EUlSZ_E_NS1_11comp_targetILNS1_3genE9ELNS1_11target_archE1100ELNS1_3gpuE3ELNS1_3repE0EEENS1_30default_config_static_selectorELNS0_4arch9wavefront6targetE0EEEvT1_
; %bb.0:
	.section	.rodata,"a",@progbits
	.p2align	6, 0x0
	.amdhsa_kernel _ZN7rocprim17ROCPRIM_400000_NS6detail17trampoline_kernelINS0_14default_configENS1_27scan_by_key_config_selectorIxxEEZZNS1_16scan_by_key_implILNS1_25lookback_scan_determinismE0ELb0ES3_N6thrust23THRUST_200600_302600_NS6detail15normal_iteratorINS9_10device_ptrIxEEEENS9_18transform_iteratorINS9_6negateIxEESE_NS9_11use_defaultESI_EESE_xNS9_4plusIvEENS9_8equal_toIvEExEE10hipError_tPvRmT2_T3_T4_T5_mT6_T7_P12ihipStream_tbENKUlT_T0_E_clISt17integral_constantIbLb0EES13_IbLb1EEEEDaSZ_S10_EUlSZ_E_NS1_11comp_targetILNS1_3genE9ELNS1_11target_archE1100ELNS1_3gpuE3ELNS1_3repE0EEENS1_30default_config_static_selectorELNS0_4arch9wavefront6targetE0EEEvT1_
		.amdhsa_group_segment_fixed_size 0
		.amdhsa_private_segment_fixed_size 0
		.amdhsa_kernarg_size 144
		.amdhsa_user_sgpr_count 2
		.amdhsa_user_sgpr_dispatch_ptr 0
		.amdhsa_user_sgpr_queue_ptr 0
		.amdhsa_user_sgpr_kernarg_segment_ptr 1
		.amdhsa_user_sgpr_dispatch_id 0
		.amdhsa_user_sgpr_kernarg_preload_length 0
		.amdhsa_user_sgpr_kernarg_preload_offset 0
		.amdhsa_user_sgpr_private_segment_size 0
		.amdhsa_wavefront_size32 1
		.amdhsa_uses_dynamic_stack 0
		.amdhsa_enable_private_segment 0
		.amdhsa_system_sgpr_workgroup_id_x 1
		.amdhsa_system_sgpr_workgroup_id_y 0
		.amdhsa_system_sgpr_workgroup_id_z 0
		.amdhsa_system_sgpr_workgroup_info 0
		.amdhsa_system_vgpr_workitem_id 0
		.amdhsa_next_free_vgpr 1
		.amdhsa_next_free_sgpr 1
		.amdhsa_named_barrier_count 0
		.amdhsa_reserve_vcc 0
		.amdhsa_float_round_mode_32 0
		.amdhsa_float_round_mode_16_64 0
		.amdhsa_float_denorm_mode_32 3
		.amdhsa_float_denorm_mode_16_64 3
		.amdhsa_fp16_overflow 0
		.amdhsa_memory_ordered 1
		.amdhsa_forward_progress 1
		.amdhsa_inst_pref_size 0
		.amdhsa_round_robin_scheduling 0
		.amdhsa_exception_fp_ieee_invalid_op 0
		.amdhsa_exception_fp_denorm_src 0
		.amdhsa_exception_fp_ieee_div_zero 0
		.amdhsa_exception_fp_ieee_overflow 0
		.amdhsa_exception_fp_ieee_underflow 0
		.amdhsa_exception_fp_ieee_inexact 0
		.amdhsa_exception_int_div_zero 0
	.end_amdhsa_kernel
	.section	.text._ZN7rocprim17ROCPRIM_400000_NS6detail17trampoline_kernelINS0_14default_configENS1_27scan_by_key_config_selectorIxxEEZZNS1_16scan_by_key_implILNS1_25lookback_scan_determinismE0ELb0ES3_N6thrust23THRUST_200600_302600_NS6detail15normal_iteratorINS9_10device_ptrIxEEEENS9_18transform_iteratorINS9_6negateIxEESE_NS9_11use_defaultESI_EESE_xNS9_4plusIvEENS9_8equal_toIvEExEE10hipError_tPvRmT2_T3_T4_T5_mT6_T7_P12ihipStream_tbENKUlT_T0_E_clISt17integral_constantIbLb0EES13_IbLb1EEEEDaSZ_S10_EUlSZ_E_NS1_11comp_targetILNS1_3genE9ELNS1_11target_archE1100ELNS1_3gpuE3ELNS1_3repE0EEENS1_30default_config_static_selectorELNS0_4arch9wavefront6targetE0EEEvT1_,"axG",@progbits,_ZN7rocprim17ROCPRIM_400000_NS6detail17trampoline_kernelINS0_14default_configENS1_27scan_by_key_config_selectorIxxEEZZNS1_16scan_by_key_implILNS1_25lookback_scan_determinismE0ELb0ES3_N6thrust23THRUST_200600_302600_NS6detail15normal_iteratorINS9_10device_ptrIxEEEENS9_18transform_iteratorINS9_6negateIxEESE_NS9_11use_defaultESI_EESE_xNS9_4plusIvEENS9_8equal_toIvEExEE10hipError_tPvRmT2_T3_T4_T5_mT6_T7_P12ihipStream_tbENKUlT_T0_E_clISt17integral_constantIbLb0EES13_IbLb1EEEEDaSZ_S10_EUlSZ_E_NS1_11comp_targetILNS1_3genE9ELNS1_11target_archE1100ELNS1_3gpuE3ELNS1_3repE0EEENS1_30default_config_static_selectorELNS0_4arch9wavefront6targetE0EEEvT1_,comdat
.Lfunc_end927:
	.size	_ZN7rocprim17ROCPRIM_400000_NS6detail17trampoline_kernelINS0_14default_configENS1_27scan_by_key_config_selectorIxxEEZZNS1_16scan_by_key_implILNS1_25lookback_scan_determinismE0ELb0ES3_N6thrust23THRUST_200600_302600_NS6detail15normal_iteratorINS9_10device_ptrIxEEEENS9_18transform_iteratorINS9_6negateIxEESE_NS9_11use_defaultESI_EESE_xNS9_4plusIvEENS9_8equal_toIvEExEE10hipError_tPvRmT2_T3_T4_T5_mT6_T7_P12ihipStream_tbENKUlT_T0_E_clISt17integral_constantIbLb0EES13_IbLb1EEEEDaSZ_S10_EUlSZ_E_NS1_11comp_targetILNS1_3genE9ELNS1_11target_archE1100ELNS1_3gpuE3ELNS1_3repE0EEENS1_30default_config_static_selectorELNS0_4arch9wavefront6targetE0EEEvT1_, .Lfunc_end927-_ZN7rocprim17ROCPRIM_400000_NS6detail17trampoline_kernelINS0_14default_configENS1_27scan_by_key_config_selectorIxxEEZZNS1_16scan_by_key_implILNS1_25lookback_scan_determinismE0ELb0ES3_N6thrust23THRUST_200600_302600_NS6detail15normal_iteratorINS9_10device_ptrIxEEEENS9_18transform_iteratorINS9_6negateIxEESE_NS9_11use_defaultESI_EESE_xNS9_4plusIvEENS9_8equal_toIvEExEE10hipError_tPvRmT2_T3_T4_T5_mT6_T7_P12ihipStream_tbENKUlT_T0_E_clISt17integral_constantIbLb0EES13_IbLb1EEEEDaSZ_S10_EUlSZ_E_NS1_11comp_targetILNS1_3genE9ELNS1_11target_archE1100ELNS1_3gpuE3ELNS1_3repE0EEENS1_30default_config_static_selectorELNS0_4arch9wavefront6targetE0EEEvT1_
                                        ; -- End function
	.set _ZN7rocprim17ROCPRIM_400000_NS6detail17trampoline_kernelINS0_14default_configENS1_27scan_by_key_config_selectorIxxEEZZNS1_16scan_by_key_implILNS1_25lookback_scan_determinismE0ELb0ES3_N6thrust23THRUST_200600_302600_NS6detail15normal_iteratorINS9_10device_ptrIxEEEENS9_18transform_iteratorINS9_6negateIxEESE_NS9_11use_defaultESI_EESE_xNS9_4plusIvEENS9_8equal_toIvEExEE10hipError_tPvRmT2_T3_T4_T5_mT6_T7_P12ihipStream_tbENKUlT_T0_E_clISt17integral_constantIbLb0EES13_IbLb1EEEEDaSZ_S10_EUlSZ_E_NS1_11comp_targetILNS1_3genE9ELNS1_11target_archE1100ELNS1_3gpuE3ELNS1_3repE0EEENS1_30default_config_static_selectorELNS0_4arch9wavefront6targetE0EEEvT1_.num_vgpr, 0
	.set _ZN7rocprim17ROCPRIM_400000_NS6detail17trampoline_kernelINS0_14default_configENS1_27scan_by_key_config_selectorIxxEEZZNS1_16scan_by_key_implILNS1_25lookback_scan_determinismE0ELb0ES3_N6thrust23THRUST_200600_302600_NS6detail15normal_iteratorINS9_10device_ptrIxEEEENS9_18transform_iteratorINS9_6negateIxEESE_NS9_11use_defaultESI_EESE_xNS9_4plusIvEENS9_8equal_toIvEExEE10hipError_tPvRmT2_T3_T4_T5_mT6_T7_P12ihipStream_tbENKUlT_T0_E_clISt17integral_constantIbLb0EES13_IbLb1EEEEDaSZ_S10_EUlSZ_E_NS1_11comp_targetILNS1_3genE9ELNS1_11target_archE1100ELNS1_3gpuE3ELNS1_3repE0EEENS1_30default_config_static_selectorELNS0_4arch9wavefront6targetE0EEEvT1_.num_agpr, 0
	.set _ZN7rocprim17ROCPRIM_400000_NS6detail17trampoline_kernelINS0_14default_configENS1_27scan_by_key_config_selectorIxxEEZZNS1_16scan_by_key_implILNS1_25lookback_scan_determinismE0ELb0ES3_N6thrust23THRUST_200600_302600_NS6detail15normal_iteratorINS9_10device_ptrIxEEEENS9_18transform_iteratorINS9_6negateIxEESE_NS9_11use_defaultESI_EESE_xNS9_4plusIvEENS9_8equal_toIvEExEE10hipError_tPvRmT2_T3_T4_T5_mT6_T7_P12ihipStream_tbENKUlT_T0_E_clISt17integral_constantIbLb0EES13_IbLb1EEEEDaSZ_S10_EUlSZ_E_NS1_11comp_targetILNS1_3genE9ELNS1_11target_archE1100ELNS1_3gpuE3ELNS1_3repE0EEENS1_30default_config_static_selectorELNS0_4arch9wavefront6targetE0EEEvT1_.numbered_sgpr, 0
	.set _ZN7rocprim17ROCPRIM_400000_NS6detail17trampoline_kernelINS0_14default_configENS1_27scan_by_key_config_selectorIxxEEZZNS1_16scan_by_key_implILNS1_25lookback_scan_determinismE0ELb0ES3_N6thrust23THRUST_200600_302600_NS6detail15normal_iteratorINS9_10device_ptrIxEEEENS9_18transform_iteratorINS9_6negateIxEESE_NS9_11use_defaultESI_EESE_xNS9_4plusIvEENS9_8equal_toIvEExEE10hipError_tPvRmT2_T3_T4_T5_mT6_T7_P12ihipStream_tbENKUlT_T0_E_clISt17integral_constantIbLb0EES13_IbLb1EEEEDaSZ_S10_EUlSZ_E_NS1_11comp_targetILNS1_3genE9ELNS1_11target_archE1100ELNS1_3gpuE3ELNS1_3repE0EEENS1_30default_config_static_selectorELNS0_4arch9wavefront6targetE0EEEvT1_.num_named_barrier, 0
	.set _ZN7rocprim17ROCPRIM_400000_NS6detail17trampoline_kernelINS0_14default_configENS1_27scan_by_key_config_selectorIxxEEZZNS1_16scan_by_key_implILNS1_25lookback_scan_determinismE0ELb0ES3_N6thrust23THRUST_200600_302600_NS6detail15normal_iteratorINS9_10device_ptrIxEEEENS9_18transform_iteratorINS9_6negateIxEESE_NS9_11use_defaultESI_EESE_xNS9_4plusIvEENS9_8equal_toIvEExEE10hipError_tPvRmT2_T3_T4_T5_mT6_T7_P12ihipStream_tbENKUlT_T0_E_clISt17integral_constantIbLb0EES13_IbLb1EEEEDaSZ_S10_EUlSZ_E_NS1_11comp_targetILNS1_3genE9ELNS1_11target_archE1100ELNS1_3gpuE3ELNS1_3repE0EEENS1_30default_config_static_selectorELNS0_4arch9wavefront6targetE0EEEvT1_.private_seg_size, 0
	.set _ZN7rocprim17ROCPRIM_400000_NS6detail17trampoline_kernelINS0_14default_configENS1_27scan_by_key_config_selectorIxxEEZZNS1_16scan_by_key_implILNS1_25lookback_scan_determinismE0ELb0ES3_N6thrust23THRUST_200600_302600_NS6detail15normal_iteratorINS9_10device_ptrIxEEEENS9_18transform_iteratorINS9_6negateIxEESE_NS9_11use_defaultESI_EESE_xNS9_4plusIvEENS9_8equal_toIvEExEE10hipError_tPvRmT2_T3_T4_T5_mT6_T7_P12ihipStream_tbENKUlT_T0_E_clISt17integral_constantIbLb0EES13_IbLb1EEEEDaSZ_S10_EUlSZ_E_NS1_11comp_targetILNS1_3genE9ELNS1_11target_archE1100ELNS1_3gpuE3ELNS1_3repE0EEENS1_30default_config_static_selectorELNS0_4arch9wavefront6targetE0EEEvT1_.uses_vcc, 0
	.set _ZN7rocprim17ROCPRIM_400000_NS6detail17trampoline_kernelINS0_14default_configENS1_27scan_by_key_config_selectorIxxEEZZNS1_16scan_by_key_implILNS1_25lookback_scan_determinismE0ELb0ES3_N6thrust23THRUST_200600_302600_NS6detail15normal_iteratorINS9_10device_ptrIxEEEENS9_18transform_iteratorINS9_6negateIxEESE_NS9_11use_defaultESI_EESE_xNS9_4plusIvEENS9_8equal_toIvEExEE10hipError_tPvRmT2_T3_T4_T5_mT6_T7_P12ihipStream_tbENKUlT_T0_E_clISt17integral_constantIbLb0EES13_IbLb1EEEEDaSZ_S10_EUlSZ_E_NS1_11comp_targetILNS1_3genE9ELNS1_11target_archE1100ELNS1_3gpuE3ELNS1_3repE0EEENS1_30default_config_static_selectorELNS0_4arch9wavefront6targetE0EEEvT1_.uses_flat_scratch, 0
	.set _ZN7rocprim17ROCPRIM_400000_NS6detail17trampoline_kernelINS0_14default_configENS1_27scan_by_key_config_selectorIxxEEZZNS1_16scan_by_key_implILNS1_25lookback_scan_determinismE0ELb0ES3_N6thrust23THRUST_200600_302600_NS6detail15normal_iteratorINS9_10device_ptrIxEEEENS9_18transform_iteratorINS9_6negateIxEESE_NS9_11use_defaultESI_EESE_xNS9_4plusIvEENS9_8equal_toIvEExEE10hipError_tPvRmT2_T3_T4_T5_mT6_T7_P12ihipStream_tbENKUlT_T0_E_clISt17integral_constantIbLb0EES13_IbLb1EEEEDaSZ_S10_EUlSZ_E_NS1_11comp_targetILNS1_3genE9ELNS1_11target_archE1100ELNS1_3gpuE3ELNS1_3repE0EEENS1_30default_config_static_selectorELNS0_4arch9wavefront6targetE0EEEvT1_.has_dyn_sized_stack, 0
	.set _ZN7rocprim17ROCPRIM_400000_NS6detail17trampoline_kernelINS0_14default_configENS1_27scan_by_key_config_selectorIxxEEZZNS1_16scan_by_key_implILNS1_25lookback_scan_determinismE0ELb0ES3_N6thrust23THRUST_200600_302600_NS6detail15normal_iteratorINS9_10device_ptrIxEEEENS9_18transform_iteratorINS9_6negateIxEESE_NS9_11use_defaultESI_EESE_xNS9_4plusIvEENS9_8equal_toIvEExEE10hipError_tPvRmT2_T3_T4_T5_mT6_T7_P12ihipStream_tbENKUlT_T0_E_clISt17integral_constantIbLb0EES13_IbLb1EEEEDaSZ_S10_EUlSZ_E_NS1_11comp_targetILNS1_3genE9ELNS1_11target_archE1100ELNS1_3gpuE3ELNS1_3repE0EEENS1_30default_config_static_selectorELNS0_4arch9wavefront6targetE0EEEvT1_.has_recursion, 0
	.set _ZN7rocprim17ROCPRIM_400000_NS6detail17trampoline_kernelINS0_14default_configENS1_27scan_by_key_config_selectorIxxEEZZNS1_16scan_by_key_implILNS1_25lookback_scan_determinismE0ELb0ES3_N6thrust23THRUST_200600_302600_NS6detail15normal_iteratorINS9_10device_ptrIxEEEENS9_18transform_iteratorINS9_6negateIxEESE_NS9_11use_defaultESI_EESE_xNS9_4plusIvEENS9_8equal_toIvEExEE10hipError_tPvRmT2_T3_T4_T5_mT6_T7_P12ihipStream_tbENKUlT_T0_E_clISt17integral_constantIbLb0EES13_IbLb1EEEEDaSZ_S10_EUlSZ_E_NS1_11comp_targetILNS1_3genE9ELNS1_11target_archE1100ELNS1_3gpuE3ELNS1_3repE0EEENS1_30default_config_static_selectorELNS0_4arch9wavefront6targetE0EEEvT1_.has_indirect_call, 0
	.section	.AMDGPU.csdata,"",@progbits
; Kernel info:
; codeLenInByte = 0
; TotalNumSgprs: 0
; NumVgprs: 0
; ScratchSize: 0
; MemoryBound: 0
; FloatMode: 240
; IeeeMode: 1
; LDSByteSize: 0 bytes/workgroup (compile time only)
; SGPRBlocks: 0
; VGPRBlocks: 0
; NumSGPRsForWavesPerEU: 1
; NumVGPRsForWavesPerEU: 1
; NamedBarCnt: 0
; Occupancy: 16
; WaveLimiterHint : 0
; COMPUTE_PGM_RSRC2:SCRATCH_EN: 0
; COMPUTE_PGM_RSRC2:USER_SGPR: 2
; COMPUTE_PGM_RSRC2:TRAP_HANDLER: 0
; COMPUTE_PGM_RSRC2:TGID_X_EN: 1
; COMPUTE_PGM_RSRC2:TGID_Y_EN: 0
; COMPUTE_PGM_RSRC2:TGID_Z_EN: 0
; COMPUTE_PGM_RSRC2:TIDIG_COMP_CNT: 0
	.section	.text._ZN7rocprim17ROCPRIM_400000_NS6detail17trampoline_kernelINS0_14default_configENS1_27scan_by_key_config_selectorIxxEEZZNS1_16scan_by_key_implILNS1_25lookback_scan_determinismE0ELb0ES3_N6thrust23THRUST_200600_302600_NS6detail15normal_iteratorINS9_10device_ptrIxEEEENS9_18transform_iteratorINS9_6negateIxEESE_NS9_11use_defaultESI_EESE_xNS9_4plusIvEENS9_8equal_toIvEExEE10hipError_tPvRmT2_T3_T4_T5_mT6_T7_P12ihipStream_tbENKUlT_T0_E_clISt17integral_constantIbLb0EES13_IbLb1EEEEDaSZ_S10_EUlSZ_E_NS1_11comp_targetILNS1_3genE8ELNS1_11target_archE1030ELNS1_3gpuE2ELNS1_3repE0EEENS1_30default_config_static_selectorELNS0_4arch9wavefront6targetE0EEEvT1_,"axG",@progbits,_ZN7rocprim17ROCPRIM_400000_NS6detail17trampoline_kernelINS0_14default_configENS1_27scan_by_key_config_selectorIxxEEZZNS1_16scan_by_key_implILNS1_25lookback_scan_determinismE0ELb0ES3_N6thrust23THRUST_200600_302600_NS6detail15normal_iteratorINS9_10device_ptrIxEEEENS9_18transform_iteratorINS9_6negateIxEESE_NS9_11use_defaultESI_EESE_xNS9_4plusIvEENS9_8equal_toIvEExEE10hipError_tPvRmT2_T3_T4_T5_mT6_T7_P12ihipStream_tbENKUlT_T0_E_clISt17integral_constantIbLb0EES13_IbLb1EEEEDaSZ_S10_EUlSZ_E_NS1_11comp_targetILNS1_3genE8ELNS1_11target_archE1030ELNS1_3gpuE2ELNS1_3repE0EEENS1_30default_config_static_selectorELNS0_4arch9wavefront6targetE0EEEvT1_,comdat
	.protected	_ZN7rocprim17ROCPRIM_400000_NS6detail17trampoline_kernelINS0_14default_configENS1_27scan_by_key_config_selectorIxxEEZZNS1_16scan_by_key_implILNS1_25lookback_scan_determinismE0ELb0ES3_N6thrust23THRUST_200600_302600_NS6detail15normal_iteratorINS9_10device_ptrIxEEEENS9_18transform_iteratorINS9_6negateIxEESE_NS9_11use_defaultESI_EESE_xNS9_4plusIvEENS9_8equal_toIvEExEE10hipError_tPvRmT2_T3_T4_T5_mT6_T7_P12ihipStream_tbENKUlT_T0_E_clISt17integral_constantIbLb0EES13_IbLb1EEEEDaSZ_S10_EUlSZ_E_NS1_11comp_targetILNS1_3genE8ELNS1_11target_archE1030ELNS1_3gpuE2ELNS1_3repE0EEENS1_30default_config_static_selectorELNS0_4arch9wavefront6targetE0EEEvT1_ ; -- Begin function _ZN7rocprim17ROCPRIM_400000_NS6detail17trampoline_kernelINS0_14default_configENS1_27scan_by_key_config_selectorIxxEEZZNS1_16scan_by_key_implILNS1_25lookback_scan_determinismE0ELb0ES3_N6thrust23THRUST_200600_302600_NS6detail15normal_iteratorINS9_10device_ptrIxEEEENS9_18transform_iteratorINS9_6negateIxEESE_NS9_11use_defaultESI_EESE_xNS9_4plusIvEENS9_8equal_toIvEExEE10hipError_tPvRmT2_T3_T4_T5_mT6_T7_P12ihipStream_tbENKUlT_T0_E_clISt17integral_constantIbLb0EES13_IbLb1EEEEDaSZ_S10_EUlSZ_E_NS1_11comp_targetILNS1_3genE8ELNS1_11target_archE1030ELNS1_3gpuE2ELNS1_3repE0EEENS1_30default_config_static_selectorELNS0_4arch9wavefront6targetE0EEEvT1_
	.globl	_ZN7rocprim17ROCPRIM_400000_NS6detail17trampoline_kernelINS0_14default_configENS1_27scan_by_key_config_selectorIxxEEZZNS1_16scan_by_key_implILNS1_25lookback_scan_determinismE0ELb0ES3_N6thrust23THRUST_200600_302600_NS6detail15normal_iteratorINS9_10device_ptrIxEEEENS9_18transform_iteratorINS9_6negateIxEESE_NS9_11use_defaultESI_EESE_xNS9_4plusIvEENS9_8equal_toIvEExEE10hipError_tPvRmT2_T3_T4_T5_mT6_T7_P12ihipStream_tbENKUlT_T0_E_clISt17integral_constantIbLb0EES13_IbLb1EEEEDaSZ_S10_EUlSZ_E_NS1_11comp_targetILNS1_3genE8ELNS1_11target_archE1030ELNS1_3gpuE2ELNS1_3repE0EEENS1_30default_config_static_selectorELNS0_4arch9wavefront6targetE0EEEvT1_
	.p2align	8
	.type	_ZN7rocprim17ROCPRIM_400000_NS6detail17trampoline_kernelINS0_14default_configENS1_27scan_by_key_config_selectorIxxEEZZNS1_16scan_by_key_implILNS1_25lookback_scan_determinismE0ELb0ES3_N6thrust23THRUST_200600_302600_NS6detail15normal_iteratorINS9_10device_ptrIxEEEENS9_18transform_iteratorINS9_6negateIxEESE_NS9_11use_defaultESI_EESE_xNS9_4plusIvEENS9_8equal_toIvEExEE10hipError_tPvRmT2_T3_T4_T5_mT6_T7_P12ihipStream_tbENKUlT_T0_E_clISt17integral_constantIbLb0EES13_IbLb1EEEEDaSZ_S10_EUlSZ_E_NS1_11comp_targetILNS1_3genE8ELNS1_11target_archE1030ELNS1_3gpuE2ELNS1_3repE0EEENS1_30default_config_static_selectorELNS0_4arch9wavefront6targetE0EEEvT1_,@function
_ZN7rocprim17ROCPRIM_400000_NS6detail17trampoline_kernelINS0_14default_configENS1_27scan_by_key_config_selectorIxxEEZZNS1_16scan_by_key_implILNS1_25lookback_scan_determinismE0ELb0ES3_N6thrust23THRUST_200600_302600_NS6detail15normal_iteratorINS9_10device_ptrIxEEEENS9_18transform_iteratorINS9_6negateIxEESE_NS9_11use_defaultESI_EESE_xNS9_4plusIvEENS9_8equal_toIvEExEE10hipError_tPvRmT2_T3_T4_T5_mT6_T7_P12ihipStream_tbENKUlT_T0_E_clISt17integral_constantIbLb0EES13_IbLb1EEEEDaSZ_S10_EUlSZ_E_NS1_11comp_targetILNS1_3genE8ELNS1_11target_archE1030ELNS1_3gpuE2ELNS1_3repE0EEENS1_30default_config_static_selectorELNS0_4arch9wavefront6targetE0EEEvT1_: ; @_ZN7rocprim17ROCPRIM_400000_NS6detail17trampoline_kernelINS0_14default_configENS1_27scan_by_key_config_selectorIxxEEZZNS1_16scan_by_key_implILNS1_25lookback_scan_determinismE0ELb0ES3_N6thrust23THRUST_200600_302600_NS6detail15normal_iteratorINS9_10device_ptrIxEEEENS9_18transform_iteratorINS9_6negateIxEESE_NS9_11use_defaultESI_EESE_xNS9_4plusIvEENS9_8equal_toIvEExEE10hipError_tPvRmT2_T3_T4_T5_mT6_T7_P12ihipStream_tbENKUlT_T0_E_clISt17integral_constantIbLb0EES13_IbLb1EEEEDaSZ_S10_EUlSZ_E_NS1_11comp_targetILNS1_3genE8ELNS1_11target_archE1030ELNS1_3gpuE2ELNS1_3repE0EEENS1_30default_config_static_selectorELNS0_4arch9wavefront6targetE0EEEvT1_
; %bb.0:
	.section	.rodata,"a",@progbits
	.p2align	6, 0x0
	.amdhsa_kernel _ZN7rocprim17ROCPRIM_400000_NS6detail17trampoline_kernelINS0_14default_configENS1_27scan_by_key_config_selectorIxxEEZZNS1_16scan_by_key_implILNS1_25lookback_scan_determinismE0ELb0ES3_N6thrust23THRUST_200600_302600_NS6detail15normal_iteratorINS9_10device_ptrIxEEEENS9_18transform_iteratorINS9_6negateIxEESE_NS9_11use_defaultESI_EESE_xNS9_4plusIvEENS9_8equal_toIvEExEE10hipError_tPvRmT2_T3_T4_T5_mT6_T7_P12ihipStream_tbENKUlT_T0_E_clISt17integral_constantIbLb0EES13_IbLb1EEEEDaSZ_S10_EUlSZ_E_NS1_11comp_targetILNS1_3genE8ELNS1_11target_archE1030ELNS1_3gpuE2ELNS1_3repE0EEENS1_30default_config_static_selectorELNS0_4arch9wavefront6targetE0EEEvT1_
		.amdhsa_group_segment_fixed_size 0
		.amdhsa_private_segment_fixed_size 0
		.amdhsa_kernarg_size 144
		.amdhsa_user_sgpr_count 2
		.amdhsa_user_sgpr_dispatch_ptr 0
		.amdhsa_user_sgpr_queue_ptr 0
		.amdhsa_user_sgpr_kernarg_segment_ptr 1
		.amdhsa_user_sgpr_dispatch_id 0
		.amdhsa_user_sgpr_kernarg_preload_length 0
		.amdhsa_user_sgpr_kernarg_preload_offset 0
		.amdhsa_user_sgpr_private_segment_size 0
		.amdhsa_wavefront_size32 1
		.amdhsa_uses_dynamic_stack 0
		.amdhsa_enable_private_segment 0
		.amdhsa_system_sgpr_workgroup_id_x 1
		.amdhsa_system_sgpr_workgroup_id_y 0
		.amdhsa_system_sgpr_workgroup_id_z 0
		.amdhsa_system_sgpr_workgroup_info 0
		.amdhsa_system_vgpr_workitem_id 0
		.amdhsa_next_free_vgpr 1
		.amdhsa_next_free_sgpr 1
		.amdhsa_named_barrier_count 0
		.amdhsa_reserve_vcc 0
		.amdhsa_float_round_mode_32 0
		.amdhsa_float_round_mode_16_64 0
		.amdhsa_float_denorm_mode_32 3
		.amdhsa_float_denorm_mode_16_64 3
		.amdhsa_fp16_overflow 0
		.amdhsa_memory_ordered 1
		.amdhsa_forward_progress 1
		.amdhsa_inst_pref_size 0
		.amdhsa_round_robin_scheduling 0
		.amdhsa_exception_fp_ieee_invalid_op 0
		.amdhsa_exception_fp_denorm_src 0
		.amdhsa_exception_fp_ieee_div_zero 0
		.amdhsa_exception_fp_ieee_overflow 0
		.amdhsa_exception_fp_ieee_underflow 0
		.amdhsa_exception_fp_ieee_inexact 0
		.amdhsa_exception_int_div_zero 0
	.end_amdhsa_kernel
	.section	.text._ZN7rocprim17ROCPRIM_400000_NS6detail17trampoline_kernelINS0_14default_configENS1_27scan_by_key_config_selectorIxxEEZZNS1_16scan_by_key_implILNS1_25lookback_scan_determinismE0ELb0ES3_N6thrust23THRUST_200600_302600_NS6detail15normal_iteratorINS9_10device_ptrIxEEEENS9_18transform_iteratorINS9_6negateIxEESE_NS9_11use_defaultESI_EESE_xNS9_4plusIvEENS9_8equal_toIvEExEE10hipError_tPvRmT2_T3_T4_T5_mT6_T7_P12ihipStream_tbENKUlT_T0_E_clISt17integral_constantIbLb0EES13_IbLb1EEEEDaSZ_S10_EUlSZ_E_NS1_11comp_targetILNS1_3genE8ELNS1_11target_archE1030ELNS1_3gpuE2ELNS1_3repE0EEENS1_30default_config_static_selectorELNS0_4arch9wavefront6targetE0EEEvT1_,"axG",@progbits,_ZN7rocprim17ROCPRIM_400000_NS6detail17trampoline_kernelINS0_14default_configENS1_27scan_by_key_config_selectorIxxEEZZNS1_16scan_by_key_implILNS1_25lookback_scan_determinismE0ELb0ES3_N6thrust23THRUST_200600_302600_NS6detail15normal_iteratorINS9_10device_ptrIxEEEENS9_18transform_iteratorINS9_6negateIxEESE_NS9_11use_defaultESI_EESE_xNS9_4plusIvEENS9_8equal_toIvEExEE10hipError_tPvRmT2_T3_T4_T5_mT6_T7_P12ihipStream_tbENKUlT_T0_E_clISt17integral_constantIbLb0EES13_IbLb1EEEEDaSZ_S10_EUlSZ_E_NS1_11comp_targetILNS1_3genE8ELNS1_11target_archE1030ELNS1_3gpuE2ELNS1_3repE0EEENS1_30default_config_static_selectorELNS0_4arch9wavefront6targetE0EEEvT1_,comdat
.Lfunc_end928:
	.size	_ZN7rocprim17ROCPRIM_400000_NS6detail17trampoline_kernelINS0_14default_configENS1_27scan_by_key_config_selectorIxxEEZZNS1_16scan_by_key_implILNS1_25lookback_scan_determinismE0ELb0ES3_N6thrust23THRUST_200600_302600_NS6detail15normal_iteratorINS9_10device_ptrIxEEEENS9_18transform_iteratorINS9_6negateIxEESE_NS9_11use_defaultESI_EESE_xNS9_4plusIvEENS9_8equal_toIvEExEE10hipError_tPvRmT2_T3_T4_T5_mT6_T7_P12ihipStream_tbENKUlT_T0_E_clISt17integral_constantIbLb0EES13_IbLb1EEEEDaSZ_S10_EUlSZ_E_NS1_11comp_targetILNS1_3genE8ELNS1_11target_archE1030ELNS1_3gpuE2ELNS1_3repE0EEENS1_30default_config_static_selectorELNS0_4arch9wavefront6targetE0EEEvT1_, .Lfunc_end928-_ZN7rocprim17ROCPRIM_400000_NS6detail17trampoline_kernelINS0_14default_configENS1_27scan_by_key_config_selectorIxxEEZZNS1_16scan_by_key_implILNS1_25lookback_scan_determinismE0ELb0ES3_N6thrust23THRUST_200600_302600_NS6detail15normal_iteratorINS9_10device_ptrIxEEEENS9_18transform_iteratorINS9_6negateIxEESE_NS9_11use_defaultESI_EESE_xNS9_4plusIvEENS9_8equal_toIvEExEE10hipError_tPvRmT2_T3_T4_T5_mT6_T7_P12ihipStream_tbENKUlT_T0_E_clISt17integral_constantIbLb0EES13_IbLb1EEEEDaSZ_S10_EUlSZ_E_NS1_11comp_targetILNS1_3genE8ELNS1_11target_archE1030ELNS1_3gpuE2ELNS1_3repE0EEENS1_30default_config_static_selectorELNS0_4arch9wavefront6targetE0EEEvT1_
                                        ; -- End function
	.set _ZN7rocprim17ROCPRIM_400000_NS6detail17trampoline_kernelINS0_14default_configENS1_27scan_by_key_config_selectorIxxEEZZNS1_16scan_by_key_implILNS1_25lookback_scan_determinismE0ELb0ES3_N6thrust23THRUST_200600_302600_NS6detail15normal_iteratorINS9_10device_ptrIxEEEENS9_18transform_iteratorINS9_6negateIxEESE_NS9_11use_defaultESI_EESE_xNS9_4plusIvEENS9_8equal_toIvEExEE10hipError_tPvRmT2_T3_T4_T5_mT6_T7_P12ihipStream_tbENKUlT_T0_E_clISt17integral_constantIbLb0EES13_IbLb1EEEEDaSZ_S10_EUlSZ_E_NS1_11comp_targetILNS1_3genE8ELNS1_11target_archE1030ELNS1_3gpuE2ELNS1_3repE0EEENS1_30default_config_static_selectorELNS0_4arch9wavefront6targetE0EEEvT1_.num_vgpr, 0
	.set _ZN7rocprim17ROCPRIM_400000_NS6detail17trampoline_kernelINS0_14default_configENS1_27scan_by_key_config_selectorIxxEEZZNS1_16scan_by_key_implILNS1_25lookback_scan_determinismE0ELb0ES3_N6thrust23THRUST_200600_302600_NS6detail15normal_iteratorINS9_10device_ptrIxEEEENS9_18transform_iteratorINS9_6negateIxEESE_NS9_11use_defaultESI_EESE_xNS9_4plusIvEENS9_8equal_toIvEExEE10hipError_tPvRmT2_T3_T4_T5_mT6_T7_P12ihipStream_tbENKUlT_T0_E_clISt17integral_constantIbLb0EES13_IbLb1EEEEDaSZ_S10_EUlSZ_E_NS1_11comp_targetILNS1_3genE8ELNS1_11target_archE1030ELNS1_3gpuE2ELNS1_3repE0EEENS1_30default_config_static_selectorELNS0_4arch9wavefront6targetE0EEEvT1_.num_agpr, 0
	.set _ZN7rocprim17ROCPRIM_400000_NS6detail17trampoline_kernelINS0_14default_configENS1_27scan_by_key_config_selectorIxxEEZZNS1_16scan_by_key_implILNS1_25lookback_scan_determinismE0ELb0ES3_N6thrust23THRUST_200600_302600_NS6detail15normal_iteratorINS9_10device_ptrIxEEEENS9_18transform_iteratorINS9_6negateIxEESE_NS9_11use_defaultESI_EESE_xNS9_4plusIvEENS9_8equal_toIvEExEE10hipError_tPvRmT2_T3_T4_T5_mT6_T7_P12ihipStream_tbENKUlT_T0_E_clISt17integral_constantIbLb0EES13_IbLb1EEEEDaSZ_S10_EUlSZ_E_NS1_11comp_targetILNS1_3genE8ELNS1_11target_archE1030ELNS1_3gpuE2ELNS1_3repE0EEENS1_30default_config_static_selectorELNS0_4arch9wavefront6targetE0EEEvT1_.numbered_sgpr, 0
	.set _ZN7rocprim17ROCPRIM_400000_NS6detail17trampoline_kernelINS0_14default_configENS1_27scan_by_key_config_selectorIxxEEZZNS1_16scan_by_key_implILNS1_25lookback_scan_determinismE0ELb0ES3_N6thrust23THRUST_200600_302600_NS6detail15normal_iteratorINS9_10device_ptrIxEEEENS9_18transform_iteratorINS9_6negateIxEESE_NS9_11use_defaultESI_EESE_xNS9_4plusIvEENS9_8equal_toIvEExEE10hipError_tPvRmT2_T3_T4_T5_mT6_T7_P12ihipStream_tbENKUlT_T0_E_clISt17integral_constantIbLb0EES13_IbLb1EEEEDaSZ_S10_EUlSZ_E_NS1_11comp_targetILNS1_3genE8ELNS1_11target_archE1030ELNS1_3gpuE2ELNS1_3repE0EEENS1_30default_config_static_selectorELNS0_4arch9wavefront6targetE0EEEvT1_.num_named_barrier, 0
	.set _ZN7rocprim17ROCPRIM_400000_NS6detail17trampoline_kernelINS0_14default_configENS1_27scan_by_key_config_selectorIxxEEZZNS1_16scan_by_key_implILNS1_25lookback_scan_determinismE0ELb0ES3_N6thrust23THRUST_200600_302600_NS6detail15normal_iteratorINS9_10device_ptrIxEEEENS9_18transform_iteratorINS9_6negateIxEESE_NS9_11use_defaultESI_EESE_xNS9_4plusIvEENS9_8equal_toIvEExEE10hipError_tPvRmT2_T3_T4_T5_mT6_T7_P12ihipStream_tbENKUlT_T0_E_clISt17integral_constantIbLb0EES13_IbLb1EEEEDaSZ_S10_EUlSZ_E_NS1_11comp_targetILNS1_3genE8ELNS1_11target_archE1030ELNS1_3gpuE2ELNS1_3repE0EEENS1_30default_config_static_selectorELNS0_4arch9wavefront6targetE0EEEvT1_.private_seg_size, 0
	.set _ZN7rocprim17ROCPRIM_400000_NS6detail17trampoline_kernelINS0_14default_configENS1_27scan_by_key_config_selectorIxxEEZZNS1_16scan_by_key_implILNS1_25lookback_scan_determinismE0ELb0ES3_N6thrust23THRUST_200600_302600_NS6detail15normal_iteratorINS9_10device_ptrIxEEEENS9_18transform_iteratorINS9_6negateIxEESE_NS9_11use_defaultESI_EESE_xNS9_4plusIvEENS9_8equal_toIvEExEE10hipError_tPvRmT2_T3_T4_T5_mT6_T7_P12ihipStream_tbENKUlT_T0_E_clISt17integral_constantIbLb0EES13_IbLb1EEEEDaSZ_S10_EUlSZ_E_NS1_11comp_targetILNS1_3genE8ELNS1_11target_archE1030ELNS1_3gpuE2ELNS1_3repE0EEENS1_30default_config_static_selectorELNS0_4arch9wavefront6targetE0EEEvT1_.uses_vcc, 0
	.set _ZN7rocprim17ROCPRIM_400000_NS6detail17trampoline_kernelINS0_14default_configENS1_27scan_by_key_config_selectorIxxEEZZNS1_16scan_by_key_implILNS1_25lookback_scan_determinismE0ELb0ES3_N6thrust23THRUST_200600_302600_NS6detail15normal_iteratorINS9_10device_ptrIxEEEENS9_18transform_iteratorINS9_6negateIxEESE_NS9_11use_defaultESI_EESE_xNS9_4plusIvEENS9_8equal_toIvEExEE10hipError_tPvRmT2_T3_T4_T5_mT6_T7_P12ihipStream_tbENKUlT_T0_E_clISt17integral_constantIbLb0EES13_IbLb1EEEEDaSZ_S10_EUlSZ_E_NS1_11comp_targetILNS1_3genE8ELNS1_11target_archE1030ELNS1_3gpuE2ELNS1_3repE0EEENS1_30default_config_static_selectorELNS0_4arch9wavefront6targetE0EEEvT1_.uses_flat_scratch, 0
	.set _ZN7rocprim17ROCPRIM_400000_NS6detail17trampoline_kernelINS0_14default_configENS1_27scan_by_key_config_selectorIxxEEZZNS1_16scan_by_key_implILNS1_25lookback_scan_determinismE0ELb0ES3_N6thrust23THRUST_200600_302600_NS6detail15normal_iteratorINS9_10device_ptrIxEEEENS9_18transform_iteratorINS9_6negateIxEESE_NS9_11use_defaultESI_EESE_xNS9_4plusIvEENS9_8equal_toIvEExEE10hipError_tPvRmT2_T3_T4_T5_mT6_T7_P12ihipStream_tbENKUlT_T0_E_clISt17integral_constantIbLb0EES13_IbLb1EEEEDaSZ_S10_EUlSZ_E_NS1_11comp_targetILNS1_3genE8ELNS1_11target_archE1030ELNS1_3gpuE2ELNS1_3repE0EEENS1_30default_config_static_selectorELNS0_4arch9wavefront6targetE0EEEvT1_.has_dyn_sized_stack, 0
	.set _ZN7rocprim17ROCPRIM_400000_NS6detail17trampoline_kernelINS0_14default_configENS1_27scan_by_key_config_selectorIxxEEZZNS1_16scan_by_key_implILNS1_25lookback_scan_determinismE0ELb0ES3_N6thrust23THRUST_200600_302600_NS6detail15normal_iteratorINS9_10device_ptrIxEEEENS9_18transform_iteratorINS9_6negateIxEESE_NS9_11use_defaultESI_EESE_xNS9_4plusIvEENS9_8equal_toIvEExEE10hipError_tPvRmT2_T3_T4_T5_mT6_T7_P12ihipStream_tbENKUlT_T0_E_clISt17integral_constantIbLb0EES13_IbLb1EEEEDaSZ_S10_EUlSZ_E_NS1_11comp_targetILNS1_3genE8ELNS1_11target_archE1030ELNS1_3gpuE2ELNS1_3repE0EEENS1_30default_config_static_selectorELNS0_4arch9wavefront6targetE0EEEvT1_.has_recursion, 0
	.set _ZN7rocprim17ROCPRIM_400000_NS6detail17trampoline_kernelINS0_14default_configENS1_27scan_by_key_config_selectorIxxEEZZNS1_16scan_by_key_implILNS1_25lookback_scan_determinismE0ELb0ES3_N6thrust23THRUST_200600_302600_NS6detail15normal_iteratorINS9_10device_ptrIxEEEENS9_18transform_iteratorINS9_6negateIxEESE_NS9_11use_defaultESI_EESE_xNS9_4plusIvEENS9_8equal_toIvEExEE10hipError_tPvRmT2_T3_T4_T5_mT6_T7_P12ihipStream_tbENKUlT_T0_E_clISt17integral_constantIbLb0EES13_IbLb1EEEEDaSZ_S10_EUlSZ_E_NS1_11comp_targetILNS1_3genE8ELNS1_11target_archE1030ELNS1_3gpuE2ELNS1_3repE0EEENS1_30default_config_static_selectorELNS0_4arch9wavefront6targetE0EEEvT1_.has_indirect_call, 0
	.section	.AMDGPU.csdata,"",@progbits
; Kernel info:
; codeLenInByte = 0
; TotalNumSgprs: 0
; NumVgprs: 0
; ScratchSize: 0
; MemoryBound: 0
; FloatMode: 240
; IeeeMode: 1
; LDSByteSize: 0 bytes/workgroup (compile time only)
; SGPRBlocks: 0
; VGPRBlocks: 0
; NumSGPRsForWavesPerEU: 1
; NumVGPRsForWavesPerEU: 1
; NamedBarCnt: 0
; Occupancy: 16
; WaveLimiterHint : 0
; COMPUTE_PGM_RSRC2:SCRATCH_EN: 0
; COMPUTE_PGM_RSRC2:USER_SGPR: 2
; COMPUTE_PGM_RSRC2:TRAP_HANDLER: 0
; COMPUTE_PGM_RSRC2:TGID_X_EN: 1
; COMPUTE_PGM_RSRC2:TGID_Y_EN: 0
; COMPUTE_PGM_RSRC2:TGID_Z_EN: 0
; COMPUTE_PGM_RSRC2:TIDIG_COMP_CNT: 0
	.section	.text._ZN7rocprim17ROCPRIM_400000_NS6detail17trampoline_kernelINS0_14default_configENS1_27scan_by_key_config_selectorIiiEEZZNS1_16scan_by_key_implILNS1_25lookback_scan_determinismE0ELb0ES3_N6thrust23THRUST_200600_302600_NS6detail15normal_iteratorINS9_10device_ptrIiEEEENS9_18transform_iteratorINS9_6negateIiEESE_NS9_11use_defaultESI_EESE_iNS9_4plusIvEENS9_8equal_toIvEEiEE10hipError_tPvRmT2_T3_T4_T5_mT6_T7_P12ihipStream_tbENKUlT_T0_E_clISt17integral_constantIbLb0EES14_EEDaSZ_S10_EUlSZ_E_NS1_11comp_targetILNS1_3genE0ELNS1_11target_archE4294967295ELNS1_3gpuE0ELNS1_3repE0EEENS1_30default_config_static_selectorELNS0_4arch9wavefront6targetE0EEEvT1_,"axG",@progbits,_ZN7rocprim17ROCPRIM_400000_NS6detail17trampoline_kernelINS0_14default_configENS1_27scan_by_key_config_selectorIiiEEZZNS1_16scan_by_key_implILNS1_25lookback_scan_determinismE0ELb0ES3_N6thrust23THRUST_200600_302600_NS6detail15normal_iteratorINS9_10device_ptrIiEEEENS9_18transform_iteratorINS9_6negateIiEESE_NS9_11use_defaultESI_EESE_iNS9_4plusIvEENS9_8equal_toIvEEiEE10hipError_tPvRmT2_T3_T4_T5_mT6_T7_P12ihipStream_tbENKUlT_T0_E_clISt17integral_constantIbLb0EES14_EEDaSZ_S10_EUlSZ_E_NS1_11comp_targetILNS1_3genE0ELNS1_11target_archE4294967295ELNS1_3gpuE0ELNS1_3repE0EEENS1_30default_config_static_selectorELNS0_4arch9wavefront6targetE0EEEvT1_,comdat
	.protected	_ZN7rocprim17ROCPRIM_400000_NS6detail17trampoline_kernelINS0_14default_configENS1_27scan_by_key_config_selectorIiiEEZZNS1_16scan_by_key_implILNS1_25lookback_scan_determinismE0ELb0ES3_N6thrust23THRUST_200600_302600_NS6detail15normal_iteratorINS9_10device_ptrIiEEEENS9_18transform_iteratorINS9_6negateIiEESE_NS9_11use_defaultESI_EESE_iNS9_4plusIvEENS9_8equal_toIvEEiEE10hipError_tPvRmT2_T3_T4_T5_mT6_T7_P12ihipStream_tbENKUlT_T0_E_clISt17integral_constantIbLb0EES14_EEDaSZ_S10_EUlSZ_E_NS1_11comp_targetILNS1_3genE0ELNS1_11target_archE4294967295ELNS1_3gpuE0ELNS1_3repE0EEENS1_30default_config_static_selectorELNS0_4arch9wavefront6targetE0EEEvT1_ ; -- Begin function _ZN7rocprim17ROCPRIM_400000_NS6detail17trampoline_kernelINS0_14default_configENS1_27scan_by_key_config_selectorIiiEEZZNS1_16scan_by_key_implILNS1_25lookback_scan_determinismE0ELb0ES3_N6thrust23THRUST_200600_302600_NS6detail15normal_iteratorINS9_10device_ptrIiEEEENS9_18transform_iteratorINS9_6negateIiEESE_NS9_11use_defaultESI_EESE_iNS9_4plusIvEENS9_8equal_toIvEEiEE10hipError_tPvRmT2_T3_T4_T5_mT6_T7_P12ihipStream_tbENKUlT_T0_E_clISt17integral_constantIbLb0EES14_EEDaSZ_S10_EUlSZ_E_NS1_11comp_targetILNS1_3genE0ELNS1_11target_archE4294967295ELNS1_3gpuE0ELNS1_3repE0EEENS1_30default_config_static_selectorELNS0_4arch9wavefront6targetE0EEEvT1_
	.globl	_ZN7rocprim17ROCPRIM_400000_NS6detail17trampoline_kernelINS0_14default_configENS1_27scan_by_key_config_selectorIiiEEZZNS1_16scan_by_key_implILNS1_25lookback_scan_determinismE0ELb0ES3_N6thrust23THRUST_200600_302600_NS6detail15normal_iteratorINS9_10device_ptrIiEEEENS9_18transform_iteratorINS9_6negateIiEESE_NS9_11use_defaultESI_EESE_iNS9_4plusIvEENS9_8equal_toIvEEiEE10hipError_tPvRmT2_T3_T4_T5_mT6_T7_P12ihipStream_tbENKUlT_T0_E_clISt17integral_constantIbLb0EES14_EEDaSZ_S10_EUlSZ_E_NS1_11comp_targetILNS1_3genE0ELNS1_11target_archE4294967295ELNS1_3gpuE0ELNS1_3repE0EEENS1_30default_config_static_selectorELNS0_4arch9wavefront6targetE0EEEvT1_
	.p2align	8
	.type	_ZN7rocprim17ROCPRIM_400000_NS6detail17trampoline_kernelINS0_14default_configENS1_27scan_by_key_config_selectorIiiEEZZNS1_16scan_by_key_implILNS1_25lookback_scan_determinismE0ELb0ES3_N6thrust23THRUST_200600_302600_NS6detail15normal_iteratorINS9_10device_ptrIiEEEENS9_18transform_iteratorINS9_6negateIiEESE_NS9_11use_defaultESI_EESE_iNS9_4plusIvEENS9_8equal_toIvEEiEE10hipError_tPvRmT2_T3_T4_T5_mT6_T7_P12ihipStream_tbENKUlT_T0_E_clISt17integral_constantIbLb0EES14_EEDaSZ_S10_EUlSZ_E_NS1_11comp_targetILNS1_3genE0ELNS1_11target_archE4294967295ELNS1_3gpuE0ELNS1_3repE0EEENS1_30default_config_static_selectorELNS0_4arch9wavefront6targetE0EEEvT1_,@function
_ZN7rocprim17ROCPRIM_400000_NS6detail17trampoline_kernelINS0_14default_configENS1_27scan_by_key_config_selectorIiiEEZZNS1_16scan_by_key_implILNS1_25lookback_scan_determinismE0ELb0ES3_N6thrust23THRUST_200600_302600_NS6detail15normal_iteratorINS9_10device_ptrIiEEEENS9_18transform_iteratorINS9_6negateIiEESE_NS9_11use_defaultESI_EESE_iNS9_4plusIvEENS9_8equal_toIvEEiEE10hipError_tPvRmT2_T3_T4_T5_mT6_T7_P12ihipStream_tbENKUlT_T0_E_clISt17integral_constantIbLb0EES14_EEDaSZ_S10_EUlSZ_E_NS1_11comp_targetILNS1_3genE0ELNS1_11target_archE4294967295ELNS1_3gpuE0ELNS1_3repE0EEENS1_30default_config_static_selectorELNS0_4arch9wavefront6targetE0EEEvT1_: ; @_ZN7rocprim17ROCPRIM_400000_NS6detail17trampoline_kernelINS0_14default_configENS1_27scan_by_key_config_selectorIiiEEZZNS1_16scan_by_key_implILNS1_25lookback_scan_determinismE0ELb0ES3_N6thrust23THRUST_200600_302600_NS6detail15normal_iteratorINS9_10device_ptrIiEEEENS9_18transform_iteratorINS9_6negateIiEESE_NS9_11use_defaultESI_EESE_iNS9_4plusIvEENS9_8equal_toIvEEiEE10hipError_tPvRmT2_T3_T4_T5_mT6_T7_P12ihipStream_tbENKUlT_T0_E_clISt17integral_constantIbLb0EES14_EEDaSZ_S10_EUlSZ_E_NS1_11comp_targetILNS1_3genE0ELNS1_11target_archE4294967295ELNS1_3gpuE0ELNS1_3repE0EEENS1_30default_config_static_selectorELNS0_4arch9wavefront6targetE0EEEvT1_
; %bb.0:
	s_clause 0x4
	s_load_b128 s[4:7], s[0:1], 0x0
	s_load_b256 s[16:23], s[0:1], 0x50
	s_load_b96 s[28:30], s[0:1], 0x40
	s_load_b64 s[8:9], s[0:1], 0x10
	s_load_b128 s[24:27], s[0:1], 0x30
	s_getreg_b32 s10, hwreg(HW_REG_IB_STS2, 6, 4)
	s_mov_b32 s3, 0
	s_barrier_signal -1
	s_barrier_wait -1
	s_wait_kmcnt 0x0
	s_lshl_b64 s[34:35], s[6:7], 2
	s_cmp_lg_u64 s[20:21], 0
	s_mov_b32 s2, s30
	s_cselect_b32 s33, -1, 0
	s_bfe_u32 s6, ttmp6, 0x4000c
	s_and_b32 s7, ttmp6, 15
	s_add_co_i32 s6, s6, 1
	s_mov_b32 s21, s3
	s_mul_i32 s6, ttmp9, s6
	s_add_nc_u64 s[4:5], s[4:5], s[34:35]
	s_add_co_i32 s11, s7, s6
	s_cmp_eq_u32 s10, 0
	s_mul_u64 s[6:7], s[28:29], s[2:3]
	s_cselect_b32 s20, ttmp9, s11
	s_add_nc_u64 s[8:9], s[8:9], s[34:35]
	s_add_nc_u64 s[36:37], s[6:7], s[20:21]
	s_add_nc_u64 s[6:7], s[16:17], -1
	s_mul_i32 s2, s20, 0xc00
	v_cmp_ge_u64_e64 s21, s[36:37], s[6:7]
	s_lshl_b64 s[16:17], s[2:3], 2
	s_mul_i32 s27, s6, 0xfffff400
	s_add_nc_u64 s[30:31], s[4:5], s[16:17]
	s_add_nc_u64 s[14:15], s[8:9], s[16:17]
	s_and_b32 vcc_lo, exec_lo, s21
	s_cbranch_vccz .LBB929_28
; %bb.1:
	v_mov_b32_e32 v1, 0
	s_add_co_i32 s40, s27, s26
	s_delay_alu instid0(SALU_CYCLE_1)
	v_cmp_gt_u32_e64 s2, s40, v0
	flat_load_b32 v1, v1, s[30:31]
	s_wait_loadcnt_dscnt 0x0
	v_mov_b32_e32 v2, v1
	s_and_saveexec_b32 s3, s2
	s_cbranch_execz .LBB929_3
; %bb.2:
	flat_load_b32 v2, v0, s[30:31] scale_offset
.LBB929_3:
	s_wait_xcnt 0x0
	s_or_b32 exec_lo, exec_lo, s3
	v_or_b32_e32 v3, 0x100, v0
	v_mov_b32_e32 v4, v1
	s_delay_alu instid0(VALU_DEP_2)
	v_cmp_gt_u32_e64 s3, s40, v3
	s_and_saveexec_b32 s4, s3
	s_cbranch_execz .LBB929_5
; %bb.4:
	flat_load_b32 v4, v0, s[30:31] offset:1024 scale_offset
.LBB929_5:
	s_wait_xcnt 0x0
	s_or_b32 exec_lo, exec_lo, s4
	v_or_b32_e32 v3, 0x200, v0
	v_mov_b32_e32 v5, v1
	s_delay_alu instid0(VALU_DEP_2)
	v_cmp_gt_u32_e64 s4, s40, v3
	s_and_saveexec_b32 s5, s4
	s_cbranch_execz .LBB929_7
; %bb.6:
	flat_load_b32 v5, v0, s[30:31] offset:2048 scale_offset
.LBB929_7:
	;; [unrolled: 11-line block ×10, first 2 shown]
	s_wait_xcnt 0x0
	s_or_b32 exec_lo, exec_lo, s13
	v_or_b32_e32 v3, 0xb00, v0
	s_mov_b32 s38, exec_lo
	s_delay_alu instid0(VALU_DEP_1) | instskip(SKIP_2) | instid1(SALU_CYCLE_1)
	v_cmp_gt_u32_e64 s13, s40, v3
	v_cmpx_le_u32_e64 s40, v3
	s_xor_b32 s38, exec_lo, s38
	s_and_not1_saveexec_b32 s38, s38
	s_cbranch_execz .LBB929_25
; %bb.24:
	flat_load_b32 v1, v0, s[30:31] offset:11264 scale_offset
.LBB929_25:
	s_wait_xcnt 0x0
	s_or_b32 exec_lo, exec_lo, s38
	v_lshlrev_b32_e32 v3, 2, v0
	s_cmp_eq_u64 s[36:37], 0
	s_mov_b64 s[38:39], s[30:31]
	s_wait_loadcnt_dscnt 0x0
	ds_store_2addr_stride64_b32 v3, v2, v4 offset1:4
	ds_store_2addr_stride64_b32 v3, v5, v6 offset0:8 offset1:12
	ds_store_2addr_stride64_b32 v3, v7, v8 offset0:16 offset1:20
	ds_store_2addr_stride64_b32 v3, v9, v10 offset0:24 offset1:28
	ds_store_2addr_stride64_b32 v3, v11, v12 offset0:32 offset1:36
	ds_store_2addr_stride64_b32 v3, v13, v1 offset0:40 offset1:44
	v_mad_u32_u24 v1, v0, 44, v3
	s_wait_dscnt 0x0
	s_barrier_signal -1
	s_barrier_wait -1
	ds_load_b128 v[14:17], v1
	ds_load_b128 v[10:13], v1 offset:16
	ds_load_b128 v[6:9], v1 offset:32
	s_cbranch_scc1 .LBB929_31
; %bb.26:
	s_and_not1_b32 vcc_lo, exec_lo, s33
	s_cbranch_vccnz .LBB929_29
; %bb.27:
	s_lshl_b64 s[38:39], s[36:37], 2
	s_mov_b32 s41, 0
	s_add_nc_u64 s[38:39], s[22:23], s[38:39]
	s_delay_alu instid0(SALU_CYCLE_1)
	s_add_nc_u64 s[38:39], s[38:39], -4
	s_branch .LBB929_30
.LBB929_28:
                                        ; implicit-def: $sgpr5
                                        ; implicit-def: $vgpr5
                                        ; implicit-def: $vgpr18_vgpr19
                                        ; implicit-def: $vgpr42_vgpr43
                                        ; implicit-def: $vgpr46_vgpr47
                                        ; implicit-def: $vgpr44_vgpr45
                                        ; implicit-def: $vgpr48_vgpr49
                                        ; implicit-def: $vgpr50_vgpr51
                                        ; implicit-def: $vgpr52_vgpr53
                                        ; implicit-def: $vgpr54_vgpr55
                                        ; implicit-def: $vgpr56_vgpr57
                                        ; implicit-def: $vgpr58_vgpr59
                                        ; implicit-def: $vgpr38_vgpr39
                                        ; implicit-def: $vgpr36_vgpr37
                                        ; implicit-def: $vgpr34_vgpr35
                                        ; implicit-def: $vgpr32_vgpr33
                                        ; implicit-def: $vgpr30_vgpr31
                                        ; implicit-def: $vgpr28_vgpr29
                                        ; implicit-def: $vgpr26_vgpr27
                                        ; implicit-def: $vgpr24_vgpr25
                                        ; implicit-def: $vgpr22_vgpr23
                                        ; implicit-def: $vgpr20_vgpr21
	v_lshlrev_b32_e32 v16, 2, v0
	s_cbranch_execnz .LBB929_69
	s_branch .LBB929_88
.LBB929_29:
	s_add_nc_u64 s[38:39], s[30:31], -4
	s_mov_b32 s41, -1
.LBB929_30:
	s_delay_alu instid0(SALU_CYCLE_1)
	s_and_not1_b32 vcc_lo, exec_lo, s41
.LBB929_31:
	v_mov_b32_e32 v2, 0
	v_mad_i32_i24 v4, 0xffffffd4, v0, v1
	flat_load_b32 v2, v2, s[38:39]
	s_wait_xcnt 0x0
	s_mov_b32 s38, exec_lo
	s_wait_dscnt 0x1
	ds_store_b32 v4, v9 offset:12288
	s_wait_loadcnt_dscnt 0x0
	s_barrier_signal -1
	s_barrier_wait -1
	v_cmpx_ne_u32_e32 0, v0
; %bb.32:
	v_mul_i32_i24_e32 v2, 0xffffffd4, v0
	s_delay_alu instid0(VALU_DEP_1)
	v_add_nc_u32_e32 v2, v1, v2
	ds_load_b32 v2, v2 offset:12284
; %bb.33:
	s_or_b32 exec_lo, exec_lo, s38
	s_wait_dscnt 0x0
	s_barrier_signal -1
	s_barrier_wait -1
                                        ; implicit-def: $vgpr5
	s_and_saveexec_b32 s38, s2
	s_cbranch_execnz .LBB929_72
; %bb.34:
	s_or_b32 exec_lo, exec_lo, s38
                                        ; implicit-def: $vgpr18
	s_and_saveexec_b32 s2, s3
	s_cbranch_execnz .LBB929_73
.LBB929_35:
	s_or_b32 exec_lo, exec_lo, s2
                                        ; implicit-def: $vgpr19
	s_and_saveexec_b32 s2, s4
	s_cbranch_execnz .LBB929_74
.LBB929_36:
	s_or_b32 exec_lo, exec_lo, s2
                                        ; implicit-def: $vgpr20
	s_and_saveexec_b32 s2, s5
	s_cbranch_execnz .LBB929_75
.LBB929_37:
	s_or_b32 exec_lo, exec_lo, s2
                                        ; implicit-def: $vgpr21
	s_and_saveexec_b32 s2, s6
	s_cbranch_execnz .LBB929_76
.LBB929_38:
	s_or_b32 exec_lo, exec_lo, s2
                                        ; implicit-def: $vgpr22
	s_and_saveexec_b32 s2, s7
	s_cbranch_execnz .LBB929_77
.LBB929_39:
	s_or_b32 exec_lo, exec_lo, s2
                                        ; implicit-def: $vgpr23
	s_and_saveexec_b32 s2, s8
	s_cbranch_execnz .LBB929_78
.LBB929_40:
	s_or_b32 exec_lo, exec_lo, s2
                                        ; implicit-def: $vgpr24
	s_and_saveexec_b32 s2, s9
	s_cbranch_execnz .LBB929_79
.LBB929_41:
	s_or_b32 exec_lo, exec_lo, s2
                                        ; implicit-def: $vgpr25
	s_and_saveexec_b32 s2, s10
	s_cbranch_execnz .LBB929_80
.LBB929_42:
	s_or_b32 exec_lo, exec_lo, s2
                                        ; implicit-def: $vgpr26
	s_and_saveexec_b32 s2, s11
	s_cbranch_execnz .LBB929_81
.LBB929_43:
	s_or_b32 exec_lo, exec_lo, s2
                                        ; implicit-def: $vgpr27
	s_and_saveexec_b32 s2, s12
	s_cbranch_execnz .LBB929_82
.LBB929_44:
	s_or_b32 exec_lo, exec_lo, s2
                                        ; implicit-def: $vgpr28
	s_and_saveexec_b32 s2, s13
	s_cbranch_execz .LBB929_46
.LBB929_45:
	global_load_b32 v4, v0, s[14:15] offset:11264 scale_offset
	s_wait_loadcnt 0x0
	v_sub_nc_u32_e32 v28, 0, v4
.LBB929_46:
	s_or_b32 exec_lo, exec_lo, s2
	ds_store_2addr_stride64_b32 v3, v5, v18 offset1:4
	ds_store_2addr_stride64_b32 v3, v19, v20 offset0:8 offset1:12
	ds_store_2addr_stride64_b32 v3, v21, v22 offset0:16 offset1:20
	;; [unrolled: 1-line block ×5, first 2 shown]
	v_mov_b64_e32 v[18:19], 0
	v_mov_b64_e32 v[42:43], 0
	;; [unrolled: 1-line block ×20, first 2 shown]
	v_mul_u32_u24_e32 v4, 12, v0
	s_mov_b32 s4, 0
	s_mov_b32 s3, 0
	s_mov_b32 s6, exec_lo
	s_wait_dscnt 0x0
	s_barrier_signal -1
	s_barrier_wait -1
                                        ; implicit-def: $sgpr5
                                        ; implicit-def: $vgpr5
	v_cmpx_gt_u32_e64 s40, v4
	s_cbranch_execz .LBB929_68
; %bb.47:
	ds_load_b32 v18, v1
	v_cmp_ne_u32_e32 vcc_lo, v2, v14
	v_mov_b64_e32 v[42:43], 0
	v_mov_b64_e32 v[46:47], 0
	v_mov_b64_e32 v[44:45], 0
	v_mov_b64_e32 v[48:49], 0
	v_mov_b64_e32 v[50:51], 0
	v_mov_b64_e32 v[52:53], 0
	v_mov_b64_e32 v[54:55], 0
	v_mov_b64_e32 v[56:57], 0
	v_mov_b64_e32 v[58:59], 0
	v_mov_b64_e32 v[36:37], 0
	v_mov_b64_e32 v[34:35], 0
	v_mov_b64_e32 v[32:33], 0
	v_mov_b64_e32 v[30:31], 0
	v_mov_b64_e32 v[28:29], 0
	v_mov_b64_e32 v[26:27], 0
	v_mov_b64_e32 v[24:25], 0
	v_mov_b64_e32 v[22:23], 0
	v_mov_b64_e32 v[20:21], 0
	v_or_b32_e32 v3, 1, v4
	v_cndmask_b32_e64 v19, 0, 1, vcc_lo
	s_mov_b32 s2, 0
	s_mov_b32 s3, exec_lo
                                        ; implicit-def: $sgpr5
                                        ; implicit-def: $vgpr5
	s_delay_alu instid0(VALU_DEP_2)
	v_cmpx_gt_u32_e64 s40, v3
	s_cbranch_execz .LBB929_67
; %bb.48:
	ds_load_2addr_b32 v[42:43], v1 offset0:1 offset1:2
	v_cmp_ne_u32_e32 vcc_lo, v14, v15
	v_mov_b64_e32 v[46:47], 0
	v_mov_b64_e32 v[44:45], 0
	;; [unrolled: 1-line block ×16, first 2 shown]
	v_or_b32_e32 v3, 2, v4
	v_cndmask_b32_e64 v2, 0, 1, vcc_lo
	s_mov_b32 s7, exec_lo
                                        ; implicit-def: $sgpr5
                                        ; implicit-def: $vgpr5
	s_delay_alu instid0(VALU_DEP_2)
	v_cmpx_gt_u32_e64 s40, v3
	s_cbranch_execz .LBB929_66
; %bb.49:
	v_cmp_ne_u32_e32 vcc_lo, v15, v16
	v_mov_b64_e32 v[44:45], 0
	v_mov_b64_e32 v[48:49], 0
	;; [unrolled: 1-line block ×14, first 2 shown]
	v_or_b32_e32 v3, 3, v4
	v_cndmask_b32_e64 v47, 0, 1, vcc_lo
	s_mov_b32 s8, exec_lo
                                        ; implicit-def: $sgpr5
                                        ; implicit-def: $vgpr5
	s_delay_alu instid0(VALU_DEP_2)
	v_cmpx_gt_u32_e64 s40, v3
	s_cbranch_execz .LBB929_65
; %bb.50:
	ds_load_2addr_b32 v[44:45], v1 offset0:3 offset1:4
	v_add_nc_u32_e32 v5, 4, v4
	v_cmp_ne_u32_e32 vcc_lo, v16, v17
	v_mov_b64_e32 v[48:49], 0
	v_mov_b64_e32 v[50:51], 0
	;; [unrolled: 1-line block ×12, first 2 shown]
	v_cndmask_b32_e64 v3, 0, 1, vcc_lo
	v_cmp_gt_u32_e32 vcc_lo, s40, v5
                                        ; implicit-def: $sgpr5
                                        ; implicit-def: $vgpr5
	s_and_saveexec_b32 s9, vcc_lo
	s_cbranch_execz .LBB929_64
; %bb.51:
	v_add_nc_u32_e32 v5, 5, v4
	v_cmp_ne_u32_e32 vcc_lo, v17, v10
	v_mov_b64_e32 v[50:51], 0
	v_mov_b64_e32 v[52:53], 0
	;; [unrolled: 1-line block ×10, first 2 shown]
	v_cndmask_b32_e64 v49, 0, 1, vcc_lo
	v_cmp_gt_u32_e32 vcc_lo, s40, v5
                                        ; implicit-def: $sgpr5
                                        ; implicit-def: $vgpr5
	s_and_saveexec_b32 s10, vcc_lo
	s_cbranch_execz .LBB929_63
; %bb.52:
	ds_load_2addr_b32 v[50:51], v1 offset0:5 offset1:6
	v_add_nc_u32_e32 v5, 6, v4
	v_cmp_ne_u32_e32 vcc_lo, v10, v11
	v_mov_b64_e32 v[52:53], 0
	v_mov_b64_e32 v[54:55], 0
	;; [unrolled: 1-line block ×8, first 2 shown]
	v_cndmask_b32_e64 v10, 0, 1, vcc_lo
	v_cmp_gt_u32_e32 vcc_lo, s40, v5
                                        ; implicit-def: $sgpr5
                                        ; implicit-def: $vgpr5
	s_and_saveexec_b32 s11, vcc_lo
	s_cbranch_execz .LBB929_62
; %bb.53:
	v_add_nc_u32_e32 v5, 7, v4
	v_cmp_ne_u32_e32 vcc_lo, v11, v12
	v_mov_b64_e32 v[54:55], 0
	v_mov_b64_e32 v[56:57], 0
	;; [unrolled: 1-line block ×6, first 2 shown]
	v_cndmask_b32_e64 v53, 0, 1, vcc_lo
	v_cmp_gt_u32_e32 vcc_lo, s40, v5
                                        ; implicit-def: $sgpr5
                                        ; implicit-def: $vgpr5
	s_and_saveexec_b32 s12, vcc_lo
	s_cbranch_execz .LBB929_61
; %bb.54:
	ds_load_2addr_b32 v[54:55], v1 offset0:7 offset1:8
	v_add_nc_u32_e32 v5, 8, v4
	v_cmp_ne_u32_e32 vcc_lo, v12, v13
	v_mov_b64_e32 v[56:57], 0
	v_mov_b64_e32 v[58:59], 0
	;; [unrolled: 1-line block ×4, first 2 shown]
	v_cndmask_b32_e64 v11, 0, 1, vcc_lo
	v_cmp_gt_u32_e32 vcc_lo, s40, v5
                                        ; implicit-def: $sgpr5
                                        ; implicit-def: $vgpr5
	s_and_saveexec_b32 s13, vcc_lo
	s_cbranch_execz .LBB929_60
; %bb.55:
	v_add_nc_u32_e32 v5, 9, v4
	v_cmp_ne_u32_e32 vcc_lo, v13, v6
	v_mov_b64_e32 v[58:59], 0
	v_mov_b64_e32 v[20:21], 0
                                        ; implicit-def: $sgpr5
	v_cndmask_b32_e64 v57, 0, 1, vcc_lo
	v_cmp_gt_u32_e32 vcc_lo, s40, v5
                                        ; implicit-def: $vgpr5
	s_and_saveexec_b32 s38, vcc_lo
	s_cbranch_execz .LBB929_59
; %bb.56:
	ds_load_2addr_b32 v[58:59], v1 offset0:9 offset1:10
	v_add_nc_u32_e32 v5, 10, v4
	v_cmp_ne_u32_e32 vcc_lo, v6, v7
	v_mov_b64_e32 v[20:21], 0
                                        ; implicit-def: $sgpr5
	v_cndmask_b32_e64 v6, 0, 1, vcc_lo
	s_delay_alu instid0(VALU_DEP_4) | instskip(SKIP_1) | instid1(SALU_CYCLE_1)
	v_cmp_gt_u32_e32 vcc_lo, s40, v5
                                        ; implicit-def: $vgpr5
	s_and_saveexec_b32 s39, vcc_lo
	s_xor_b32 s39, exec_lo, s39
	s_cbranch_execz .LBB929_58
; %bb.57:
	ds_load_b32 v5, v1 offset:44
	s_wait_dscnt 0x1
	v_dual_mov_b32 v20, v59 :: v_dual_add_nc_u32 v1, 11, v4
	v_cmp_ne_u32_e64 s2, v7, v8
	v_cmp_ne_u32_e64 s5, v8, v9
	s_delay_alu instid0(VALU_DEP_3) | instskip(NEXT) | instid1(VALU_DEP_3)
	v_cmp_gt_u32_e32 vcc_lo, s40, v1
	v_cndmask_b32_e64 v21, 0, 1, s2
	s_and_b32 s2, vcc_lo, exec_lo
.LBB929_58:
	s_or_b32 exec_lo, exec_lo, s39
	s_wait_dscnt 0x0
	v_mov_b32_e32 v59, v6
	s_and_b32 s2, s2, exec_lo
.LBB929_59:
	s_or_b32 exec_lo, exec_lo, s38
	s_delay_alu instid0(VALU_DEP_1)
	v_mov_b64_e32 v[22:23], v[58:59]
	s_wait_dscnt 0x0
	v_mov_b32_e32 v56, v55
	s_and_b32 s2, s2, exec_lo
.LBB929_60:
	s_or_b32 exec_lo, exec_lo, s13
	s_delay_alu instid0(VALU_DEP_1)
	v_mov_b64_e32 v[24:25], v[56:57]
	s_wait_dscnt 0x0
	v_mov_b32_e32 v55, v11
	s_and_b32 s2, s2, exec_lo
.LBB929_61:
	s_or_b32 exec_lo, exec_lo, s12
	s_delay_alu instid0(VALU_DEP_1)
	v_mov_b64_e32 v[26:27], v[54:55]
	s_wait_dscnt 0x0
	v_mov_b32_e32 v52, v51
	s_and_b32 s2, s2, exec_lo
.LBB929_62:
	s_or_b32 exec_lo, exec_lo, s11
	s_delay_alu instid0(VALU_DEP_1)
	v_mov_b64_e32 v[28:29], v[52:53]
	s_wait_dscnt 0x0
	v_mov_b32_e32 v51, v10
	s_and_b32 s2, s2, exec_lo
.LBB929_63:
	s_or_b32 exec_lo, exec_lo, s10
	s_delay_alu instid0(VALU_DEP_1)
	v_mov_b64_e32 v[30:31], v[50:51]
	s_wait_dscnt 0x0
	v_mov_b32_e32 v48, v45
	s_and_b32 s2, s2, exec_lo
.LBB929_64:
	s_or_b32 exec_lo, exec_lo, s9
	s_delay_alu instid0(VALU_DEP_1)
	v_mov_b64_e32 v[32:33], v[48:49]
	s_wait_dscnt 0x0
	v_mov_b32_e32 v45, v3
	s_and_b32 s2, s2, exec_lo
.LBB929_65:
	s_or_b32 exec_lo, exec_lo, s8
	s_delay_alu instid0(VALU_DEP_1)
	v_mov_b64_e32 v[34:35], v[44:45]
	s_wait_dscnt 0x0
	v_mov_b32_e32 v46, v43
	s_and_b32 s2, s2, exec_lo
.LBB929_66:
	s_or_b32 exec_lo, exec_lo, s7
	s_delay_alu instid0(VALU_DEP_1)
	v_mov_b64_e32 v[36:37], v[46:47]
	s_wait_dscnt 0x0
	v_mov_b32_e32 v43, v2
	s_and_b32 s2, s2, exec_lo
.LBB929_67:
	s_or_b32 exec_lo, exec_lo, s3
	s_delay_alu instid0(VALU_DEP_1)
	v_mov_b64_e32 v[38:39], v[42:43]
	s_and_b32 s3, s2, exec_lo
.LBB929_68:
	s_or_b32 exec_lo, exec_lo, s6
	v_lshlrev_b32_e32 v16, 2, v0
	s_and_b32 vcc_lo, exec_lo, s4
	s_cbranch_vccz .LBB929_88
.LBB929_69:
	s_clause 0xb
	flat_load_b32 v2, v0, s[30:31] scale_offset
	flat_load_b32 v3, v0, s[30:31] offset:1024 scale_offset
	flat_load_b32 v4, v0, s[30:31] offset:2048 scale_offset
	;; [unrolled: 1-line block ×11, first 2 shown]
	v_mad_u32_u24 v1, v0, 44, v16
	v_mov_b32_e32 v14, 0
	s_cmp_eq_u64 s[36:37], 0
	s_wait_loadcnt_dscnt 0xa0a
	ds_store_2addr_stride64_b32 v16, v2, v3 offset1:4
	s_wait_loadcnt_dscnt 0x809
	ds_store_2addr_stride64_b32 v16, v4, v5 offset0:8 offset1:12
	s_wait_loadcnt_dscnt 0x608
	ds_store_2addr_stride64_b32 v16, v6, v7 offset0:16 offset1:20
	;; [unrolled: 2-line block ×5, first 2 shown]
	s_wait_dscnt 0x0
	s_barrier_signal -1
	s_barrier_wait -1
	ds_load_b128 v[2:5], v1
	ds_load_b128 v[10:13], v1 offset:16
	ds_load_b128 v[6:9], v1 offset:32
	s_cbranch_scc1 .LBB929_85
; %bb.70:
	s_and_not1_b32 vcc_lo, exec_lo, s33
	s_cbranch_vccnz .LBB929_83
; %bb.71:
	s_lshl_b64 s[2:3], s[36:37], 2
	s_delay_alu instid0(SALU_CYCLE_1) | instskip(NEXT) | instid1(SALU_CYCLE_1)
	s_add_nc_u64 s[2:3], s[22:23], s[2:3]
	s_add_nc_u64 s[30:31], s[2:3], -4
	s_mov_b32 s2, 0
	s_branch .LBB929_84
.LBB929_72:
	global_load_b32 v4, v0, s[14:15] scale_offset
	s_wait_loadcnt 0x0
	v_sub_nc_u32_e32 v5, 0, v4
	s_or_b32 exec_lo, exec_lo, s38
                                        ; implicit-def: $vgpr18
	s_and_saveexec_b32 s2, s3
	s_cbranch_execz .LBB929_35
.LBB929_73:
	global_load_b32 v4, v0, s[14:15] offset:1024 scale_offset
	s_wait_loadcnt 0x0
	v_sub_nc_u32_e32 v18, 0, v4
	s_or_b32 exec_lo, exec_lo, s2
                                        ; implicit-def: $vgpr19
	s_and_saveexec_b32 s2, s4
	s_cbranch_execz .LBB929_36
.LBB929_74:
	global_load_b32 v4, v0, s[14:15] offset:2048 scale_offset
	s_wait_loadcnt 0x0
	v_sub_nc_u32_e32 v19, 0, v4
	s_or_b32 exec_lo, exec_lo, s2
                                        ; implicit-def: $vgpr20
	s_and_saveexec_b32 s2, s5
	s_cbranch_execz .LBB929_37
.LBB929_75:
	global_load_b32 v4, v0, s[14:15] offset:3072 scale_offset
	s_wait_loadcnt 0x0
	v_sub_nc_u32_e32 v20, 0, v4
	s_or_b32 exec_lo, exec_lo, s2
                                        ; implicit-def: $vgpr21
	s_and_saveexec_b32 s2, s6
	s_cbranch_execz .LBB929_38
.LBB929_76:
	global_load_b32 v4, v0, s[14:15] offset:4096 scale_offset
	s_wait_loadcnt 0x0
	v_sub_nc_u32_e32 v21, 0, v4
	s_or_b32 exec_lo, exec_lo, s2
                                        ; implicit-def: $vgpr22
	s_and_saveexec_b32 s2, s7
	s_cbranch_execz .LBB929_39
.LBB929_77:
	global_load_b32 v4, v0, s[14:15] offset:5120 scale_offset
	s_wait_loadcnt 0x0
	v_sub_nc_u32_e32 v22, 0, v4
	s_or_b32 exec_lo, exec_lo, s2
                                        ; implicit-def: $vgpr23
	s_and_saveexec_b32 s2, s8
	s_cbranch_execz .LBB929_40
.LBB929_78:
	global_load_b32 v4, v0, s[14:15] offset:6144 scale_offset
	s_wait_loadcnt 0x0
	v_sub_nc_u32_e32 v23, 0, v4
	s_or_b32 exec_lo, exec_lo, s2
                                        ; implicit-def: $vgpr24
	s_and_saveexec_b32 s2, s9
	s_cbranch_execz .LBB929_41
.LBB929_79:
	global_load_b32 v4, v0, s[14:15] offset:7168 scale_offset
	s_wait_loadcnt 0x0
	v_sub_nc_u32_e32 v24, 0, v4
	s_or_b32 exec_lo, exec_lo, s2
                                        ; implicit-def: $vgpr25
	s_and_saveexec_b32 s2, s10
	s_cbranch_execz .LBB929_42
.LBB929_80:
	global_load_b32 v4, v0, s[14:15] offset:8192 scale_offset
	s_wait_loadcnt 0x0
	v_sub_nc_u32_e32 v25, 0, v4
	s_or_b32 exec_lo, exec_lo, s2
                                        ; implicit-def: $vgpr26
	s_and_saveexec_b32 s2, s11
	s_cbranch_execz .LBB929_43
.LBB929_81:
	global_load_b32 v4, v0, s[14:15] offset:9216 scale_offset
	s_wait_loadcnt 0x0
	v_sub_nc_u32_e32 v26, 0, v4
	s_or_b32 exec_lo, exec_lo, s2
                                        ; implicit-def: $vgpr27
	s_and_saveexec_b32 s2, s12
	s_cbranch_execz .LBB929_44
.LBB929_82:
	global_load_b32 v4, v0, s[14:15] offset:10240 scale_offset
	s_wait_loadcnt 0x0
	v_sub_nc_u32_e32 v27, 0, v4
	s_or_b32 exec_lo, exec_lo, s2
                                        ; implicit-def: $vgpr28
	s_and_saveexec_b32 s2, s13
	s_cbranch_execnz .LBB929_45
	s_branch .LBB929_46
.LBB929_83:
	s_add_nc_u64 s[30:31], s[30:31], -4
	s_mov_b32 s2, -1
.LBB929_84:
	s_delay_alu instid0(SALU_CYCLE_1)
	s_and_not1_b32 vcc_lo, exec_lo, s2
.LBB929_85:
	flat_load_b32 v14, v14, s[30:31]
	v_mad_i32_i24 v15, 0xffffffd4, v0, v1
	s_mov_b32 s2, exec_lo
	s_wait_dscnt 0x1
	ds_store_b32 v15, v9 offset:12288
	s_wait_loadcnt_dscnt 0x0
	s_barrier_signal -1
	s_barrier_wait -1
	v_cmpx_ne_u32_e32 0, v0
; %bb.86:
	v_mul_i32_i24_e32 v14, 0xffffffd4, v0
	s_delay_alu instid0(VALU_DEP_1)
	v_add_nc_u32_e32 v14, v1, v14
	ds_load_b32 v14, v14 offset:12284
; %bb.87:
	s_or_b32 exec_lo, exec_lo, s2
	s_wait_dscnt 0x0
	s_barrier_signal -1
	s_barrier_wait -1
	s_clause 0xb
	global_load_b32 v15, v0, s[14:15] scale_offset
	global_load_b32 v17, v0, s[14:15] offset:1024 scale_offset
	global_load_b32 v18, v0, s[14:15] offset:2048 scale_offset
	;; [unrolled: 1-line block ×11, first 2 shown]
	v_cmp_ne_u32_e32 vcc_lo, v14, v2
	v_cmp_ne_u32_e64 s5, v8, v9
	s_mov_b32 s3, -1
	v_cndmask_b32_e64 v19, 0, 1, vcc_lo
	v_cmp_ne_u32_e32 vcc_lo, v2, v3
	v_cndmask_b32_e64 v43, 0, 1, vcc_lo
	v_cmp_ne_u32_e32 vcc_lo, v3, v4
	;; [unrolled: 2-line block ×10, first 2 shown]
	s_wait_loadcnt 0xa
	v_dual_sub_nc_u32 v2, 0, v15 :: v_dual_sub_nc_u32 v9, 0, v17
	s_wait_loadcnt 0x8
	v_dual_sub_nc_u32 v14, 0, v18 :: v_dual_sub_nc_u32 v15, 0, v20
	s_wait_loadcnt 0x6
	v_dual_sub_nc_u32 v17, 0, v21 :: v_dual_sub_nc_u32 v18, 0, v22
	s_wait_loadcnt 0x4
	v_dual_sub_nc_u32 v20, 0, v23 :: v_dual_sub_nc_u32 v21, 0, v24
	s_wait_loadcnt 0x2
	v_dual_sub_nc_u32 v22, 0, v25 :: v_dual_sub_nc_u32 v23, 0, v26
	s_wait_loadcnt 0x0
	v_dual_sub_nc_u32 v24, 0, v27 :: v_dual_sub_nc_u32 v25, 0, v28
	ds_store_2addr_stride64_b32 v16, v2, v9 offset1:4
	ds_store_2addr_stride64_b32 v16, v14, v15 offset0:8 offset1:12
	ds_store_2addr_stride64_b32 v16, v17, v18 offset0:16 offset1:20
	;; [unrolled: 1-line block ×5, first 2 shown]
	s_wait_dscnt 0x0
	s_barrier_signal -1
	s_barrier_wait -1
	ds_load_b128 v[22:25], v1
	ds_load_b128 v[26:29], v1 offset:16
	ds_load_b128 v[2:5], v1 offset:32
	v_cndmask_b32_e64 v21, 0, 1, vcc_lo
	s_wait_dscnt 0x2
	v_dual_mov_b32 v18, v22 :: v_dual_mov_b32 v42, v23
	v_dual_mov_b32 v46, v24 :: v_dual_mov_b32 v44, v25
	s_wait_dscnt 0x1
	v_dual_mov_b32 v48, v26 :: v_dual_mov_b32 v50, v27
	v_dual_mov_b32 v52, v28 :: v_dual_mov_b32 v54, v29
	s_wait_dscnt 0x0
	v_dual_mov_b32 v56, v2 :: v_dual_mov_b32 v58, v3
	v_mov_b64_e32 v[38:39], v[42:43]
	v_mov_b64_e32 v[36:37], v[46:47]
	;; [unrolled: 1-line block ×9, first 2 shown]
	v_mov_b32_e32 v20, v4
.LBB929_88:
	v_mov_b64_e32 v[40:41], 0
	s_and_saveexec_b32 s2, s3
	s_cbranch_execz .LBB929_90
; %bb.89:
	v_mov_b64_e32 v[22:23], v[58:59]
	v_mov_b64_e32 v[24:25], v[56:57]
	v_mov_b64_e32 v[26:27], v[54:55]
	v_mov_b64_e32 v[28:29], v[52:53]
	v_mov_b64_e32 v[30:31], v[50:51]
	v_mov_b64_e32 v[32:33], v[48:49]
	v_mov_b64_e32 v[34:35], v[44:45]
	v_mov_b64_e32 v[36:37], v[46:47]
	v_mov_b64_e32 v[38:39], v[42:43]
	v_cndmask_b32_e64 v41, 0, 1, s5
	v_mov_b32_e32 v40, v5
.LBB929_90:
	s_or_b32 exec_lo, exec_lo, s2
	v_dual_lshrrev_b32 v1, 2, v0 :: v_dual_bitop2_b32 v42, v27, v25 bitop3:0x54
	v_or_b32_e32 v17, v23, v21
	s_cmp_lg_u32 s20, 0
	s_wait_dscnt 0x0
	v_cmp_gt_u32_e32 vcc_lo, 32, v0
	s_barrier_signal -1
	s_barrier_wait -1
	s_cbranch_scc0 .LBB929_118
; %bb.91:
	s_mov_b64 s[12:13], 0x100000000
	v_or3_b32 v3, v42, v29, v31
	v_cmp_gt_u64_e64 s2, s[12:13], v[38:39]
	v_cmp_gt_u64_e64 s3, s[12:13], v[36:37]
	;; [unrolled: 1-line block ×7, first 2 shown]
	v_dual_cndmask_b32 v2, 0, v18, s2 :: v_dual_bitop2_b32 v5, 56, v1 bitop3:0x40
	v_cmp_gt_u64_e64 s9, s[12:13], v[24:25]
	v_cmp_gt_u64_e64 s10, s[12:13], v[22:23]
	;; [unrolled: 1-line block ×4, first 2 shown]
	v_add_nc_u32_e32 v2, v2, v38
	v_or3_b32 v3, v3, v33, v35
	v_lshl_add_u32 v5, v0, 3, v5
	s_delay_alu instid0(VALU_DEP_3) | instskip(NEXT) | instid1(VALU_DEP_3)
	v_cndmask_b32_e64 v2, 0, v2, s3
	v_or3_b32 v3, v3, v37, v39
	s_delay_alu instid0(VALU_DEP_2) | instskip(NEXT) | instid1(VALU_DEP_2)
	v_add_nc_u32_e32 v2, v2, v36
	v_or3_b32 v3, v41, v17, v3
	s_delay_alu instid0(VALU_DEP_2) | instskip(NEXT) | instid1(VALU_DEP_2)
	v_cndmask_b32_e64 v2, 0, v2, s4
	v_and_b32_e32 v3, 0xff, v3
	s_delay_alu instid0(VALU_DEP_2) | instskip(NEXT) | instid1(VALU_DEP_1)
	v_add_nc_u32_e32 v2, v2, v34
	v_cndmask_b32_e64 v2, 0, v2, s5
	s_delay_alu instid0(VALU_DEP_1) | instskip(NEXT) | instid1(VALU_DEP_1)
	v_add_nc_u32_e32 v2, v2, v32
	v_cndmask_b32_e64 v2, 0, v2, s6
	s_delay_alu instid0(VALU_DEP_1) | instskip(NEXT) | instid1(VALU_DEP_1)
	;; [unrolled: 3-line block ×7, first 2 shown]
	v_dual_add_nc_u32 v4, v2, v20 :: v_dual_mov_b32 v2, 0
	v_cndmask_b32_e64 v4, 0, v4, s12
	s_delay_alu instid0(VALU_DEP_2) | instskip(NEXT) | instid1(VALU_DEP_1)
	v_cmp_eq_u64_e64 s13, 0, v[2:3]
	v_dual_add_nc_u32 v12, v4, v40 :: v_dual_cndmask_b32 v13, 1, v19, s13
	ds_store_b32 v5, v12
	ds_store_b8 v5, v13 offset:4
	s_wait_dscnt 0x0
	s_barrier_signal -1
	s_barrier_wait -1
	s_and_saveexec_b32 s14, vcc_lo
	s_cbranch_execz .LBB929_101
; %bb.92:
	v_dual_lshlrev_b32 v2, 1, v0 :: v_dual_lshlrev_b32 v3, 6, v0
	s_mov_b32 s15, exec_lo
	s_delay_alu instid0(VALU_DEP_1) | instskip(NEXT) | instid1(VALU_DEP_1)
	v_and_b32_e32 v2, 0x1f8, v2
	v_add_nc_u32_e32 v4, v2, v3
	ds_load_u8 v5, v4 offset:12
	ds_load_b64 v[2:3], v4
	ds_load_2addr_b32 v[6:7], v4 offset0:2 offset1:4
	ds_load_u8 v10, v4 offset:20
	ds_load_u8 v11, v4 offset:28
	;; [unrolled: 1-line block ×5, first 2 shown]
	ds_load_b32 v44, v4 offset:56
	s_wait_dscnt 0x8
	v_cmp_eq_u16_e64 s13, 0, v5
	s_wait_dscnt 0x5
	s_delay_alu instid0(VALU_DEP_1)
	v_dual_cndmask_b32 v45, 0, v2, s13 :: v_dual_bitop2_b32 v5, v10, v5 bitop3:0x54
	ds_load_2addr_b32 v[8:9], v4 offset0:6 offset1:8
	v_cmp_eq_u16_e64 s13, 0, v10
	s_wait_dscnt 0x4
	v_bitop3_b16 v5, v5, v14, v11 bitop3:0xfe
	v_add_nc_u32_e32 v6, v45, v6
	s_delay_alu instid0(VALU_DEP_1) | instskip(SKIP_1) | instid1(VALU_DEP_2)
	v_cndmask_b32_e64 v6, 0, v6, s13
	v_cmp_eq_u16_e64 s13, 0, v11
	v_add_nc_u32_e32 v6, v6, v7
	s_delay_alu instid0(VALU_DEP_1)
	v_cndmask_b32_e64 v45, 0, v6, s13
	ds_load_2addr_b32 v[6:7], v4 offset0:10 offset1:12
	v_cmp_eq_u16_e64 s13, 0, v14
	s_wait_dscnt 0x1
	v_add_nc_u32_e32 v8, v45, v8
	ds_load_u8 v45, v4 offset:60
	v_cndmask_b32_e64 v8, 0, v8, s13
	v_cmp_eq_u16_e64 s13, 0, v15
	s_delay_alu instid0(VALU_DEP_2) | instskip(SKIP_1) | instid1(VALU_DEP_2)
	v_add_nc_u32_e32 v8, v8, v9
	v_bitop3_b16 v9, v5, v43, v15 bitop3:0xfe
	v_dual_cndmask_b32 v8, 0, v8, s13 :: v_dual_bitop2_b32 v5, 1, v3 bitop3:0x40
	s_delay_alu instid0(VALU_DEP_2) | instskip(SKIP_1) | instid1(VALU_DEP_2)
	v_cmp_eq_u16_e64 s13, 0, v9
	s_wait_dscnt 0x0
	v_dual_add_nc_u32 v6, v8, v6 :: v_dual_bitop2_b32 v8, 1, v45 bitop3:0x40
	s_delay_alu instid0(VALU_DEP_2) | instskip(SKIP_1) | instid1(VALU_DEP_1)
	v_cndmask_b32_e64 v9, 1, v5, s13
	v_cmp_eq_u16_e64 s13, 0, v43
	v_cndmask_b32_e64 v6, 0, v6, s13
	s_delay_alu instid0(VALU_DEP_4) | instskip(SKIP_1) | instid1(VALU_DEP_2)
	v_cmp_eq_u32_e64 s13, 1, v8
	v_mbcnt_lo_u32_b32 v8, -1, 0
	v_cndmask_b32_e64 v9, v9, 1, s13
	v_cmp_eq_u16_e64 s13, 0, v45
	s_delay_alu instid0(VALU_DEP_2) | instskip(SKIP_2) | instid1(VALU_DEP_1)
	v_and_b32_e32 v10, 0xffff, v9
	v_add_nc_u32_e32 v7, v6, v7
	v_and_b32_e32 v6, 0xffffff00, v3
	v_dual_cndmask_b32 v7, 0, v7, s13 :: v_dual_bitop2_b32 v11, v6, v10 bitop3:0x54
	v_and_b32_e32 v10, 15, v8
	s_delay_alu instid0(VALU_DEP_2) | instskip(NEXT) | instid1(VALU_DEP_3)
	v_mov_b32_dpp v15, v11 row_shr:1 row_mask:0xf bank_mask:0xf
	v_add_nc_u32_e32 v7, v7, v44
	s_delay_alu instid0(VALU_DEP_1) | instskip(NEXT) | instid1(VALU_DEP_4)
	v_mov_b32_dpp v14, v7 row_shr:1 row_mask:0xf bank_mask:0xf
	v_cmpx_ne_u32_e32 0, v10
	s_cbranch_execz .LBB929_94
; %bb.93:
	v_and_b32_e32 v11, 1, v9
	v_and_b32_e32 v15, 1, v15
	s_delay_alu instid0(VALU_DEP_2) | instskip(NEXT) | instid1(VALU_DEP_1)
	v_cmp_eq_u32_e64 s13, 1, v11
	v_cndmask_b32_e64 v15, v15, 1, s13
	v_cmp_eq_u16_e64 s13, 0, v9
	s_delay_alu instid0(VALU_DEP_2) | instskip(NEXT) | instid1(VALU_DEP_1)
	v_and_b32_e32 v11, 0xffff, v15
	v_dual_cndmask_b32 v9, 0, v14, s13 :: v_dual_bitop2_b32 v11, v6, v11 bitop3:0x54
	s_delay_alu instid0(VALU_DEP_1)
	v_dual_add_nc_u32 v7, v9, v7 :: v_dual_mov_b32 v9, v15
.LBB929_94:
	s_or_b32 exec_lo, exec_lo, s15
	s_delay_alu instid0(VALU_DEP_1) | instskip(NEXT) | instid1(VALU_DEP_3)
	v_mov_b32_dpp v14, v7 row_shr:2 row_mask:0xf bank_mask:0xf
	v_mov_b32_dpp v15, v11 row_shr:2 row_mask:0xf bank_mask:0xf
	s_mov_b32 s15, exec_lo
	v_cmpx_lt_u32_e32 1, v10
	s_cbranch_execz .LBB929_96
; %bb.95:
	v_and_b32_e32 v11, 1, v9
	v_and_b32_e32 v15, 1, v15
	s_delay_alu instid0(VALU_DEP_2) | instskip(NEXT) | instid1(VALU_DEP_1)
	v_cmp_eq_u32_e64 s13, 1, v11
	v_cndmask_b32_e64 v15, v15, 1, s13
	v_cmp_eq_u16_e64 s13, 0, v9
	s_delay_alu instid0(VALU_DEP_2) | instskip(NEXT) | instid1(VALU_DEP_1)
	v_and_b32_e32 v11, 0xffff, v15
	v_dual_cndmask_b32 v9, 0, v14, s13 :: v_dual_bitop2_b32 v11, v6, v11 bitop3:0x54
	s_delay_alu instid0(VALU_DEP_1)
	v_dual_add_nc_u32 v7, v9, v7 :: v_dual_mov_b32 v9, v15
.LBB929_96:
	s_or_b32 exec_lo, exec_lo, s15
	s_delay_alu instid0(VALU_DEP_1) | instskip(NEXT) | instid1(VALU_DEP_3)
	v_mov_b32_dpp v14, v7 row_shr:4 row_mask:0xf bank_mask:0xf
	v_mov_b32_dpp v15, v11 row_shr:4 row_mask:0xf bank_mask:0xf
	s_mov_b32 s15, exec_lo
	v_cmpx_lt_u32_e32 3, v10
	;; [unrolled: 20-line block ×3, first 2 shown]
	s_cbranch_execz .LBB929_100
; %bb.99:
	v_and_b32_e32 v10, 1, v9
	v_and_b32_e32 v11, 1, v15
	s_delay_alu instid0(VALU_DEP_2) | instskip(NEXT) | instid1(VALU_DEP_1)
	v_cmp_eq_u32_e64 s13, 1, v10
	v_cndmask_b32_e64 v10, v11, 1, s13
	v_cmp_eq_u16_e64 s13, 0, v9
	s_delay_alu instid0(VALU_DEP_2) | instskip(NEXT) | instid1(VALU_DEP_1)
	v_and_b32_e32 v11, 0xffff, v10
	v_dual_cndmask_b32 v9, 0, v14, s13 :: v_dual_bitop2_b32 v11, v6, v11 bitop3:0x54
	s_delay_alu instid0(VALU_DEP_1)
	v_dual_add_nc_u32 v7, v9, v7 :: v_dual_mov_b32 v9, v10
.LBB929_100:
	s_or_b32 exec_lo, exec_lo, s15
	ds_swizzle_b32 v10, v11 offset:swizzle(BROADCAST,32,15)
	ds_swizzle_b32 v11, v7 offset:swizzle(BROADCAST,32,15)
	v_and_b32_e32 v14, 1, v9
	v_bfe_i32 v43, v8, 4, 1
	v_and_b32_e32 v3, 0xff, v3
	; wave barrier
	s_delay_alu instid0(VALU_DEP_3) | instskip(SKIP_2) | instid1(VALU_DEP_1)
	v_cmp_eq_u32_e64 s13, 1, v14
	s_wait_dscnt 0x1
	v_dual_add_nc_u32 v14, -1, v8 :: v_dual_bitop2_b32 v10, 1, v10 bitop3:0x40
	v_cndmask_b32_e64 v10, v10, 1, s13
	v_and_b32_e32 v15, 16, v8
	v_cmp_eq_u16_e64 s13, 0, v9
	s_wait_dscnt 0x0
	s_delay_alu instid0(VALU_DEP_1) | instskip(NEXT) | instid1(VALU_DEP_3)
	v_cndmask_b32_e64 v11, 0, v11, s13
	v_cmp_eq_u32_e64 s13, 0, v15
	s_delay_alu instid0(VALU_DEP_1) | instskip(SKIP_1) | instid1(VALU_DEP_4)
	v_cndmask_b32_e64 v9, v10, v9, s13
	v_cmp_gt_i32_e64 s13, 0, v14
	v_and_b32_e32 v10, v43, v11
	s_delay_alu instid0(VALU_DEP_3) | instskip(NEXT) | instid1(VALU_DEP_3)
	v_and_b32_e32 v9, 0xffff, v9
	v_cndmask_b32_e64 v8, v14, v8, s13
	s_delay_alu instid0(VALU_DEP_3) | instskip(SKIP_1) | instid1(VALU_DEP_3)
	v_add_nc_u32_e32 v7, v10, v7
	v_cmp_eq_u16_e64 s13, 0, v3
	v_lshlrev_b32_e32 v8, 2, v8
	ds_bpermute_b32 v7, v8, v7
	s_wait_dscnt 0x0
	v_dual_cndmask_b32 v3, 0, v7, s13 :: v_dual_bitop2_b32 v6, v6, v9 bitop3:0x54
	ds_bpermute_b32 v6, v8, v6
	v_cmp_eq_u32_e64 s13, 1, v5
	v_add_nc_u32_e32 v2, v3, v2
	s_wait_dscnt 0x0
	v_and_b32_e32 v6, 1, v6
	s_delay_alu instid0(VALU_DEP_1) | instskip(SKIP_1) | instid1(VALU_DEP_1)
	v_cndmask_b32_e64 v3, v6, 1, s13
	v_cmp_eq_u32_e64 s13, 0, v0
	v_dual_cndmask_b32 v8, v3, v13, s13 :: v_dual_cndmask_b32 v5, v2, v12, s13
	ds_store_b32 v4, v5
	ds_store_b8 v4, v8 offset:4
	; wave barrier
	ds_load_u8 v9, v4 offset:12
	ds_load_2addr_b32 v[2:3], v4 offset0:2 offset1:4
	ds_load_u8 v10, v4 offset:20
	ds_load_u8 v11, v4 offset:28
	;; [unrolled: 1-line block ×5, first 2 shown]
	ds_load_b32 v44, v4 offset:56
	ds_load_u8 v45, v4 offset:60
	ds_load_2addr_b32 v[6:7], v4 offset0:6 offset1:8
	s_wait_dscnt 0x9
	v_cmp_eq_u16_e64 s13, 0, v9
	v_and_b32_e32 v9, 1, v9
	s_delay_alu instid0(VALU_DEP_2) | instskip(SKIP_2) | instid1(VALU_DEP_2)
	v_cndmask_b32_e64 v5, 0, v5, s13
	s_wait_dscnt 0x7
	v_cmp_eq_u16_e64 s13, 0, v10
	v_add_nc_u32_e32 v5, v5, v2
	s_delay_alu instid0(VALU_DEP_1) | instskip(SKIP_2) | instid1(VALU_DEP_2)
	v_cndmask_b32_e64 v2, 0, v5, s13
	s_wait_dscnt 0x6
	v_cmp_eq_u16_e64 s13, 0, v11
	v_add_nc_u32_e32 v46, v2, v3
	ds_load_2addr_b32 v[2:3], v4 offset0:10 offset1:12
	v_cndmask_b32_e64 v47, 0, v46, s13
	s_wait_dscnt 0x6
	v_cmp_eq_u16_e64 s13, 0, v14
	ds_store_2addr_b32 v4, v5, v46 offset0:2 offset1:4
	s_wait_dscnt 0x2
	v_add_nc_u32_e32 v6, v47, v6
	s_delay_alu instid0(VALU_DEP_1) | instskip(SKIP_3) | instid1(VALU_DEP_4)
	v_cndmask_b32_e64 v47, 0, v6, s13
	v_and_b32_e32 v10, 1, v10
	v_cmp_eq_u32_e64 s13, 1, v9
	v_and_b32_e32 v9, 1, v11
	v_dual_add_nc_u32 v7, v47, v7 :: v_dual_bitop2_b32 v11, 1, v14 bitop3:0x40
	s_delay_alu instid0(VALU_DEP_3) | instskip(SKIP_1) | instid1(VALU_DEP_1)
	v_cndmask_b32_e64 v8, v8, 1, s13
	v_cmp_eq_u32_e64 s13, 1, v10
	v_cndmask_b32_e64 v10, v8, 1, s13
	v_cmp_eq_u16_e64 s13, 0, v15
	s_delay_alu instid0(VALU_DEP_1) | instskip(SKIP_2) | instid1(VALU_DEP_2)
	v_cndmask_b32_e64 v14, 0, v7, s13
	v_cmp_eq_u32_e64 s13, 1, v9
	s_wait_dscnt 0x1
	v_dual_add_nc_u32 v2, v14, v2 :: v_dual_bitop2_b32 v15, 1, v15 bitop3:0x40
	s_delay_alu instid0(VALU_DEP_2) | instskip(SKIP_1) | instid1(VALU_DEP_1)
	v_cndmask_b32_e64 v9, v10, 1, s13
	v_cmp_eq_u32_e64 s13, 1, v11
	v_cndmask_b32_e64 v11, v9, 1, s13
	v_cmp_eq_u16_e64 s13, 0, v43
	s_delay_alu instid0(VALU_DEP_1) | instskip(SKIP_1) | instid1(VALU_DEP_2)
	v_dual_cndmask_b32 v43, 0, v2, s13 :: v_dual_bitop2_b32 v14, 1, v43 bitop3:0x40
	v_cmp_eq_u32_e64 s13, 1, v15
	v_add_nc_u32_e32 v3, v43, v3
	s_delay_alu instid0(VALU_DEP_2) | instskip(NEXT) | instid1(VALU_DEP_4)
	v_cndmask_b32_e64 v15, v11, 1, s13
	v_cmp_eq_u32_e64 s13, 1, v14
	ds_store_2addr_b32 v4, v6, v7 offset0:6 offset1:8
	ds_store_2addr_b32 v4, v2, v3 offset0:10 offset1:12
	v_cndmask_b32_e64 v14, v15, 1, s13
	v_cmp_eq_u16_e64 s13, 0, v45
	s_delay_alu instid0(VALU_DEP_1) | instskip(NEXT) | instid1(VALU_DEP_1)
	v_dual_cndmask_b32 v5, 0, v3, s13 :: v_dual_bitop2_b32 v47, 1, v45 bitop3:0x40
	v_cmp_eq_u32_e64 s13, 1, v47
	s_delay_alu instid0(VALU_DEP_2) | instskip(NEXT) | instid1(VALU_DEP_2)
	v_add_nc_u32_e32 v2, v5, v44
	v_cndmask_b32_e64 v43, v14, 1, s13
	ds_store_b8 v4, v8 offset:12
	ds_store_b8 v4, v10 offset:20
	;; [unrolled: 1-line block ×6, first 2 shown]
	ds_store_b32 v4, v2 offset:56
	ds_store_b8 v4, v43 offset:60
.LBB929_101:
	s_or_b32 exec_lo, exec_lo, s14
	v_cmp_eq_u32_e64 s13, 0, v0
	s_mov_b32 s15, exec_lo
	s_wait_dscnt 0x0
	s_barrier_signal -1
	s_barrier_wait -1
	v_cmpx_ne_u32_e32 0, v0
	s_cbranch_execz .LBB929_103
; %bb.102:
	v_add_nc_u32_e32 v2, -1, v0
	s_delay_alu instid0(VALU_DEP_1) | instskip(NEXT) | instid1(VALU_DEP_1)
	v_lshrrev_b32_e32 v3, 2, v2
	v_and_b32_e32 v3, 0x3ffffff8, v3
	s_delay_alu instid0(VALU_DEP_1)
	v_lshl_add_u32 v2, v2, 3, v3
	ds_load_b32 v12, v2
	ds_load_u8 v13, v2 offset:4
.LBB929_103:
	s_or_b32 exec_lo, exec_lo, s15
	s_and_saveexec_b32 s30, vcc_lo
	s_cbranch_execz .LBB929_123
; %bb.104:
	v_mov_b32_e32 v5, 0
	v_mbcnt_lo_u32_b32 v14, -1, 0
	s_mov_b32 s23, 0
	ds_load_b64 v[2:3], v5 offset:2096
	v_cmp_eq_u32_e64 s14, 0, v14
	s_and_saveexec_b32 s15, s14
	s_cbranch_execz .LBB929_106
; %bb.105:
	s_add_co_i32 s22, s20, 32
	v_mov_b32_e32 v4, 1
	s_lshl_b64 s[22:23], s[22:23], 4
	s_delay_alu instid0(SALU_CYCLE_1) | instskip(NEXT) | instid1(SALU_CYCLE_1)
	s_add_nc_u64 s[22:23], s[24:25], s[22:23]
	v_mov_b64_e32 v[6:7], s[22:23]
	s_wait_dscnt 0x0
	;;#ASMSTART
	global_store_b128 v[6:7], v[2:5] off scope:SCOPE_DEV	
s_wait_storecnt 0x0
	;;#ASMEND
.LBB929_106:
	s_or_b32 exec_lo, exec_lo, s15
	v_xad_u32 v8, v14, -1, s20
	s_mov_b32 s15, exec_lo
	s_delay_alu instid0(VALU_DEP_1) | instskip(NEXT) | instid1(VALU_DEP_1)
	v_add_nc_u32_e32 v4, 32, v8
	v_lshl_add_u64 v[10:11], v[4:5], 4, s[24:25]
	;;#ASMSTART
	global_load_b128 v[4:7], v[10:11] off scope:SCOPE_DEV	
s_wait_loadcnt 0x0
	;;#ASMEND
	v_and_b32_e32 v7, 0xff, v6
	v_and_b32_e32 v5, 0xff, v5
	s_delay_alu instid0(VALU_DEP_2)
	v_cmpx_eq_u16_e32 0, v7
	s_cbranch_execz .LBB929_110
; %bb.107:
	s_mov_b32 s22, 0
.LBB929_108:                            ; =>This Inner Loop Header: Depth=1
	;;#ASMSTART
	global_load_b128 v[4:7], v[10:11] off scope:SCOPE_DEV	
s_wait_loadcnt 0x0
	;;#ASMEND
	v_and_b32_e32 v7, 0xff, v6
	s_delay_alu instid0(VALU_DEP_1) | instskip(SKIP_1) | instid1(SALU_CYCLE_1)
	v_cmp_ne_u16_e32 vcc_lo, 0, v7
	s_or_b32 s22, vcc_lo, s22
	s_and_not1_b32 exec_lo, exec_lo, s22
	s_cbranch_execnz .LBB929_108
; %bb.109:
	s_or_b32 exec_lo, exec_lo, s22
	v_and_b32_e32 v5, 0xff, v5
.LBB929_110:
	s_or_b32 exec_lo, exec_lo, s15
	v_cmp_ne_u32_e32 vcc_lo, 31, v14
	v_and_b32_e32 v9, 0xff, v6
	v_lshlrev_b32_e64 v43, v14, -1
	s_mov_b64 s[22:23], 0x100000000
	v_lshl_or_b32 v52, v14, 2, 64
	v_add_co_ci_u32_e64 v7, null, 0, v14, vcc_lo
	v_cmp_eq_u16_e32 vcc_lo, 2, v9
	v_cmp_gt_u64_e64 s15, s[22:23], v[4:5]
	s_delay_alu instid0(VALU_DEP_3) | instskip(SKIP_1) | instid1(VALU_DEP_2)
	v_dual_lshlrev_b32 v15, 2, v7 :: v_dual_bitop2_b32 v10, 1, v5 bitop3:0x40
	v_and_or_b32 v9, vcc_lo, v43, 0x80000000
	v_cmp_eq_u32_e32 vcc_lo, 1, v10
	ds_bpermute_b32 v7, v15, v5
	ds_bpermute_b32 v10, v15, v4
	v_ctz_i32_b32_e32 v9, v9
	s_wait_dscnt 0x1
	v_and_b32_e32 v7, 1, v7
	s_delay_alu instid0(VALU_DEP_1) | instskip(SKIP_1) | instid1(VALU_DEP_2)
	v_cndmask_b32_e64 v7, v7, 1, vcc_lo
	v_cmp_gt_u32_e32 vcc_lo, 30, v14
	v_and_b32_e32 v45, 0xffff, v7
	v_cndmask_b32_e64 v11, 0, 2, vcc_lo
	v_cmp_lt_u32_e32 vcc_lo, v14, v9
	s_delay_alu instid0(VALU_DEP_2) | instskip(NEXT) | instid1(VALU_DEP_4)
	v_add_lshl_u32 v44, v11, v14, 2
	v_dual_cndmask_b32 v11, v5, v45, vcc_lo :: v_dual_cndmask_b32 v7, v5, v7, vcc_lo
	s_and_b32 vcc_lo, vcc_lo, s15
	v_add_nc_u32_e32 v45, 2, v14
	s_wait_dscnt 0x0
	v_cndmask_b32_e32 v10, 0, v10, vcc_lo
	ds_bpermute_b32 v5, v44, v11
	v_and_b32_e32 v46, 1, v7
	v_and_b32_e32 v48, 0xff, v7
	v_add_nc_u32_e32 v4, v10, v4
	s_delay_alu instid0(VALU_DEP_3) | instskip(NEXT) | instid1(VALU_DEP_3)
	v_cmp_eq_u32_e32 vcc_lo, 1, v46
	v_cmp_eq_u16_e64 s15, 0, v48
	ds_bpermute_b32 v10, v44, v4
	s_wait_dscnt 0x1
	v_and_b32_e32 v5, 1, v5
	s_delay_alu instid0(VALU_DEP_1) | instskip(SKIP_3) | instid1(VALU_DEP_3)
	v_cndmask_b32_e64 v5, v5, 1, vcc_lo
	v_cmp_gt_u32_e32 vcc_lo, 28, v14
	s_wait_dscnt 0x0
	v_cndmask_b32_e64 v10, 0, v10, s15
	v_and_b32_e32 v47, 0xffff, v5
	v_cndmask_b32_e64 v46, 0, 4, vcc_lo
	v_cmp_gt_u32_e32 vcc_lo, v45, v9
	s_delay_alu instid0(VALU_DEP_2) | instskip(SKIP_3) | instid1(VALU_DEP_2)
	v_add_lshl_u32 v46, v46, v14, 2
	v_cndmask_b32_e32 v5, v5, v7, vcc_lo
	v_cndmask_b32_e64 v10, v10, 0, vcc_lo
	v_dual_cndmask_b32 v7, v47, v11, vcc_lo :: v_dual_add_nc_u32 v47, 4, v14
	v_dual_add_nc_u32 v4, v10, v4 :: v_dual_bitop2_b32 v48, 1, v5 bitop3:0x40
	ds_bpermute_b32 v11, v46, v7
	v_cmp_eq_u32_e32 vcc_lo, 1, v48
	ds_bpermute_b32 v10, v46, v4
	v_and_b32_e32 v48, 0xff, v5
	s_delay_alu instid0(VALU_DEP_1) | instskip(SKIP_1) | instid1(VALU_DEP_1)
	v_cmp_eq_u16_e64 s15, 0, v48
	s_wait_dscnt 0x0
	v_dual_cndmask_b32 v10, 0, v10, s15 :: v_dual_bitop2_b32 v11, 1, v11 bitop3:0x40
	s_delay_alu instid0(VALU_DEP_1) | instskip(SKIP_1) | instid1(VALU_DEP_2)
	v_cndmask_b32_e64 v11, v11, 1, vcc_lo
	v_cmp_gt_u32_e32 vcc_lo, 24, v14
	v_and_b32_e32 v50, 0xffff, v11
	v_cndmask_b32_e64 v49, 0, 8, vcc_lo
	v_cmp_gt_u32_e32 vcc_lo, v47, v9
	s_delay_alu instid0(VALU_DEP_2) | instskip(NEXT) | instid1(VALU_DEP_4)
	v_add_lshl_u32 v48, v49, v14, 2
	v_dual_cndmask_b32 v5, v11, v5, vcc_lo :: v_dual_cndmask_b32 v7, v50, v7, vcc_lo
	v_cndmask_b32_e64 v10, v10, 0, vcc_lo
	s_delay_alu instid0(VALU_DEP_2)
	v_dual_add_nc_u32 v49, 8, v14 :: v_dual_bitop2_b32 v50, 1, v5 bitop3:0x40
	ds_bpermute_b32 v11, v48, v7
	v_add_nc_u32_e32 v4, v10, v4
	v_and_b32_e32 v51, 0xff, v5
	v_cmp_eq_u32_e32 vcc_lo, 1, v50
	ds_bpermute_b32 v10, v48, v4
	s_wait_dscnt 0x1
	v_and_b32_e32 v11, 1, v11
	s_delay_alu instid0(VALU_DEP_1) | instskip(SKIP_1) | instid1(VALU_DEP_2)
	v_cndmask_b32_e64 v11, v11, 1, vcc_lo
	v_cmp_eq_u16_e32 vcc_lo, 0, v51
	v_and_b32_e32 v50, 0xffff, v11
	s_wait_dscnt 0x0
	v_cndmask_b32_e32 v10, 0, v10, vcc_lo
	v_cmp_gt_u32_e32 vcc_lo, v49, v9
	s_delay_alu instid0(VALU_DEP_3) | instskip(NEXT) | instid1(VALU_DEP_3)
	v_dual_cndmask_b32 v5, v11, v5, vcc_lo :: v_dual_cndmask_b32 v7, v50, v7, vcc_lo
	v_cndmask_b32_e64 v10, v10, 0, vcc_lo
	s_delay_alu instid0(VALU_DEP_2) | instskip(SKIP_3) | instid1(VALU_DEP_1)
	v_and_b32_e32 v50, 1, v5
	ds_bpermute_b32 v7, v52, v7
	v_add_nc_u32_e32 v4, v10, v4
	v_and_b32_e32 v11, 0xff, v5
	v_cmp_eq_u16_e32 vcc_lo, 0, v11
	s_wait_dscnt 0x0
	v_and_b32_e32 v7, 1, v7
	ds_bpermute_b32 v10, v52, v4
	s_wait_dscnt 0x0
	v_cndmask_b32_e32 v10, 0, v10, vcc_lo
	v_cmp_eq_u32_e32 vcc_lo, 1, v50
	v_cndmask_b32_e64 v7, v7, 1, vcc_lo
	v_add_nc_u32_e32 v53, 16, v14
	s_delay_alu instid0(VALU_DEP_1) | instskip(NEXT) | instid1(VALU_DEP_3)
	v_cmp_gt_u32_e32 vcc_lo, v53, v9
	v_dual_mov_b32 v9, 0 :: v_dual_cndmask_b32 v5, v7, v5, vcc_lo
	v_cndmask_b32_e64 v7, v10, 0, vcc_lo
	s_delay_alu instid0(VALU_DEP_1)
	v_add_nc_u32_e32 v4, v7, v4
	s_branch .LBB929_114
.LBB929_111:                            ;   in Loop: Header=BB929_114 Depth=1
	s_or_b32 exec_lo, exec_lo, s31
	v_and_b32_e32 v5, 0xff, v5
.LBB929_112:                            ;   in Loop: Header=BB929_114 Depth=1
	s_or_b32 exec_lo, exec_lo, s15
	ds_bpermute_b32 v7, v15, v5
	v_and_b32_e32 v10, 0xff, v6
	v_cmp_gt_u64_e64 s15, s[22:23], v[4:5]
	v_subrev_nc_u32_e32 v8, 32, v8
	s_delay_alu instid0(VALU_DEP_3) | instskip(SKIP_2) | instid1(VALU_DEP_2)
	v_cmp_eq_u16_e32 vcc_lo, 2, v10
	v_and_b32_e32 v10, 1, v5
	v_and_or_b32 v11, vcc_lo, v43, 0x80000000
	v_cmp_eq_u32_e32 vcc_lo, 1, v10
	s_delay_alu instid0(VALU_DEP_2) | instskip(SKIP_3) | instid1(VALU_DEP_1)
	v_ctz_i32_b32_e32 v10, v11
	ds_bpermute_b32 v11, v15, v4
	s_wait_dscnt 0x1
	v_and_b32_e32 v7, 1, v7
	v_cndmask_b32_e64 v7, v7, 1, vcc_lo
	v_cmp_lt_u32_e32 vcc_lo, v14, v10
	s_delay_alu instid0(VALU_DEP_2) | instskip(NEXT) | instid1(VALU_DEP_1)
	v_and_b32_e32 v54, 0xffff, v7
	v_dual_cndmask_b32 v7, v5, v7 :: v_dual_cndmask_b32 v54, v5, v54
	s_and_b32 vcc_lo, vcc_lo, s15
	s_delay_alu instid0(VALU_DEP_1)
	v_and_b32_e32 v56, 0xff, v7
	v_and_b32_e32 v55, 1, v7
	ds_bpermute_b32 v5, v44, v54
	s_wait_dscnt 0x1
	v_cndmask_b32_e32 v11, 0, v11, vcc_lo
	v_cmp_eq_u16_e64 s15, 0, v56
	v_cmp_eq_u32_e32 vcc_lo, 1, v55
	s_wait_dscnt 0x0
	s_delay_alu instid0(VALU_DEP_3) | instskip(NEXT) | instid1(VALU_DEP_1)
	v_dual_add_nc_u32 v4, v11, v4 :: v_dual_bitop2_b32 v5, 1, v5 bitop3:0x40
	v_cndmask_b32_e64 v5, v5, 1, vcc_lo
	ds_bpermute_b32 v11, v44, v4
	v_cmp_gt_u32_e32 vcc_lo, v45, v10
	v_and_b32_e32 v55, 0xffff, v5
	s_delay_alu instid0(VALU_DEP_1) | instskip(NEXT) | instid1(VALU_DEP_1)
	v_dual_cndmask_b32 v5, v5, v7, vcc_lo :: v_dual_cndmask_b32 v7, v55, v54, vcc_lo
	v_and_b32_e32 v55, 1, v5
	ds_bpermute_b32 v54, v46, v7
	s_wait_dscnt 0x1
	v_cndmask_b32_e64 v11, 0, v11, s15
	s_delay_alu instid0(VALU_DEP_1) | instskip(SKIP_2) | instid1(VALU_DEP_3)
	v_cndmask_b32_e64 v11, v11, 0, vcc_lo
	v_cmp_eq_u32_e32 vcc_lo, 1, v55
	v_and_b32_e32 v55, 0xff, v5
	v_add_nc_u32_e32 v4, v11, v4
	s_delay_alu instid0(VALU_DEP_2)
	v_cmp_eq_u16_e64 s15, 0, v55
	s_wait_dscnt 0x0
	v_and_b32_e32 v54, 1, v54
	ds_bpermute_b32 v11, v46, v4
	v_cndmask_b32_e64 v54, v54, 1, vcc_lo
	v_cmp_gt_u32_e32 vcc_lo, v47, v10
	s_delay_alu instid0(VALU_DEP_2) | instskip(SKIP_3) | instid1(VALU_DEP_1)
	v_and_b32_e32 v56, 0xffff, v54
	s_wait_dscnt 0x0
	v_dual_cndmask_b32 v5, v54, v5, vcc_lo :: v_dual_cndmask_b32 v11, 0, v11, s15
	s_mov_b32 s15, 0
	v_cndmask_b32_e64 v11, v11, 0, vcc_lo
	v_cndmask_b32_e32 v7, v56, v7, vcc_lo
	s_delay_alu instid0(VALU_DEP_3) | instskip(NEXT) | instid1(VALU_DEP_3)
	v_and_b32_e32 v56, 0xff, v5
	v_add_nc_u32_e32 v4, v11, v4
	ds_bpermute_b32 v54, v48, v7
	ds_bpermute_b32 v11, v48, v4
	v_and_b32_e32 v55, 1, v5
	s_delay_alu instid0(VALU_DEP_1) | instskip(SKIP_2) | instid1(VALU_DEP_1)
	v_cmp_eq_u32_e32 vcc_lo, 1, v55
	s_wait_dscnt 0x1
	v_and_b32_e32 v54, 1, v54
	v_cndmask_b32_e64 v54, v54, 1, vcc_lo
	v_cmp_eq_u16_e32 vcc_lo, 0, v56
	s_delay_alu instid0(VALU_DEP_2) | instskip(SKIP_3) | instid1(VALU_DEP_2)
	v_and_b32_e32 v55, 0xffff, v54
	s_wait_dscnt 0x0
	v_cndmask_b32_e32 v11, 0, v11, vcc_lo
	v_cmp_gt_u32_e32 vcc_lo, v49, v10
	v_cndmask_b32_e64 v11, v11, 0, vcc_lo
	v_dual_cndmask_b32 v7, v55, v7, vcc_lo :: v_dual_cndmask_b32 v5, v54, v5, vcc_lo
	s_delay_alu instid0(VALU_DEP_2) | instskip(SKIP_4) | instid1(VALU_DEP_1)
	v_add_nc_u32_e32 v4, v11, v4
	ds_bpermute_b32 v7, v52, v7
	v_and_b32_e32 v55, 0xff, v5
	ds_bpermute_b32 v11, v52, v4
	v_and_b32_e32 v54, 1, v5
	v_cmp_eq_u32_e32 vcc_lo, 1, v54
	s_wait_dscnt 0x1
	v_cndmask_b32_e64 v7, v7, 1, vcc_lo
	v_cmp_eq_u16_e32 vcc_lo, 0, v55
	s_wait_dscnt 0x0
	v_cndmask_b32_e32 v11, 0, v11, vcc_lo
	v_cmp_gt_u32_e32 vcc_lo, v53, v10
	v_and_b32_e32 v10, 0xff, v50
	v_cndmask_b32_e32 v5, v7, v5, vcc_lo
	s_delay_alu instid0(VALU_DEP_4) | instskip(NEXT) | instid1(VALU_DEP_3)
	v_cndmask_b32_e64 v7, v11, 0, vcc_lo
	v_cmp_eq_u16_e32 vcc_lo, 0, v10
	s_delay_alu instid0(VALU_DEP_2) | instskip(NEXT) | instid1(VALU_DEP_1)
	v_dual_add_nc_u32 v4, v7, v4 :: v_dual_bitop2_b32 v7, 1, v50 bitop3:0x40
	v_dual_cndmask_b32 v4, 0, v4, vcc_lo :: v_dual_bitop2_b32 v5, 1, v5 bitop3:0x40
	s_delay_alu instid0(VALU_DEP_2) | instskip(NEXT) | instid1(VALU_DEP_2)
	v_cmp_eq_u32_e32 vcc_lo, 1, v7
	v_add_nc_u32_e32 v4, v4, v51
	s_delay_alu instid0(VALU_DEP_3)
	v_cndmask_b32_e64 v5, v5, 1, vcc_lo
.LBB929_113:                            ;   in Loop: Header=BB929_114 Depth=1
	s_and_b32 vcc_lo, exec_lo, s15
	s_cbranch_vccnz .LBB929_119
.LBB929_114:                            ; =>This Loop Header: Depth=1
                                        ;     Child Loop BB929_117 Depth 2
	v_and_b32_e32 v6, 0xff, v6
	s_delay_alu instid0(VALU_DEP_2) | instskip(SKIP_1) | instid1(VALU_DEP_2)
	v_dual_mov_b32 v50, v5 :: v_dual_mov_b32 v51, v4
	s_mov_b32 s15, -1
                                        ; implicit-def: $vgpr5
                                        ; implicit-def: $vgpr4
	v_cmp_ne_u16_e32 vcc_lo, 2, v6
                                        ; implicit-def: $vgpr6
	s_cmp_lg_u32 vcc_lo, exec_lo
	s_cbranch_scc1 .LBB929_113
; %bb.115:                              ;   in Loop: Header=BB929_114 Depth=1
	v_lshl_add_u64 v[10:11], v[8:9], 4, s[24:25]
	;;#ASMSTART
	global_load_b128 v[4:7], v[10:11] off scope:SCOPE_DEV	
s_wait_loadcnt 0x0
	;;#ASMEND
	v_and_b32_e32 v7, 0xff, v6
	v_and_b32_e32 v5, 0xff, v5
	s_mov_b32 s15, exec_lo
	s_delay_alu instid0(VALU_DEP_2)
	v_cmpx_eq_u16_e32 0, v7
	s_cbranch_execz .LBB929_112
; %bb.116:                              ;   in Loop: Header=BB929_114 Depth=1
	s_mov_b32 s31, 0
.LBB929_117:                            ;   Parent Loop BB929_114 Depth=1
                                        ; =>  This Inner Loop Header: Depth=2
	;;#ASMSTART
	global_load_b128 v[4:7], v[10:11] off scope:SCOPE_DEV	
s_wait_loadcnt 0x0
	;;#ASMEND
	v_and_b32_e32 v7, 0xff, v6
	s_delay_alu instid0(VALU_DEP_1) | instskip(SKIP_1) | instid1(SALU_CYCLE_1)
	v_cmp_ne_u16_e32 vcc_lo, 0, v7
	s_or_b32 s31, vcc_lo, s31
	s_and_not1_b32 exec_lo, exec_lo, s31
	s_cbranch_execnz .LBB929_117
	s_branch .LBB929_111
.LBB929_118:
                                        ; implicit-def: $vgpr13
                                        ; implicit-def: $vgpr5
                                        ; implicit-def: $vgpr9
                                        ; implicit-def: $vgpr14_vgpr15
	s_cbranch_execnz .LBB929_124
	s_branch .LBB929_141
.LBB929_119:
	s_and_saveexec_b32 s15, s14
	s_cbranch_execz .LBB929_121
; %bb.120:
	v_and_b32_e32 v4, 0xff, v3
	s_mov_b32 s23, 0
	s_add_co_i32 s22, s20, 32
	v_and_b32_e32 v5, 1, v50
	s_lshl_b64 s[22:23], s[22:23], 4
	v_cmp_eq_u32_e32 vcc_lo, 0, v4
	s_add_nc_u64 s[22:23], s[24:25], s[22:23]
	s_delay_alu instid0(SALU_CYCLE_1) | instskip(SKIP_1) | instid1(VALU_DEP_1)
	v_mov_b64_e32 v[6:7], s[22:23]
	v_cndmask_b32_e32 v4, 0, v51, vcc_lo
	v_dual_add_nc_u32 v2, v4, v2 :: v_dual_bitop2_b32 v3, 1, v3 bitop3:0x40
	s_delay_alu instid0(VALU_DEP_1)
	v_cmp_eq_u32_e32 vcc_lo, 1, v3
	v_mov_b32_e32 v4, 2
	v_cndmask_b32_e64 v3, v5, 1, vcc_lo
	v_mov_b32_e32 v5, 0
	;;#ASMSTART
	global_store_b128 v[6:7], v[2:5] off scope:SCOPE_DEV	
s_wait_storecnt 0x0
	;;#ASMEND
.LBB929_121:
	s_or_b32 exec_lo, exec_lo, s15
	s_delay_alu instid0(SALU_CYCLE_1)
	s_and_b32 exec_lo, exec_lo, s13
	s_cbranch_execz .LBB929_123
; %bb.122:
	v_mov_b32_e32 v2, 0
	ds_store_b32 v2, v51
	ds_store_b8 v2, v50 offset:4
.LBB929_123:
	s_or_b32 exec_lo, exec_lo, s30
	v_dual_mov_b32 v2, 0 :: v_dual_bitop2_b32 v3, 1, v19 bitop3:0x40
	s_wait_dscnt 0x0
	s_barrier_signal -1
	s_barrier_wait -1
	s_delay_alu instid0(VALU_DEP_1) | instskip(SKIP_4) | instid1(VALU_DEP_2)
	v_cmp_eq_u32_e32 vcc_lo, 1, v3
	ds_load_b32 v2, v2
	s_mov_b64 s[14:15], 0x100000000
	v_cndmask_b32_e64 v3, v13, 1, vcc_lo
	v_cmp_gt_u64_e32 vcc_lo, s[14:15], v[18:19]
	v_dual_cndmask_b32 v3, v3, v19, s13 :: v_dual_cndmask_b32 v4, 0, v12, vcc_lo
	s_delay_alu instid0(VALU_DEP_1) | instskip(NEXT) | instid1(VALU_DEP_2)
	v_and_b32_e32 v3, 0xff, v3
	v_cndmask_b32_e64 v4, v4, 0, s13
	s_delay_alu instid0(VALU_DEP_2) | instskip(SKIP_2) | instid1(VALU_DEP_1)
	v_cmp_eq_u16_e32 vcc_lo, 0, v3
	s_wait_dscnt 0x0
	v_cndmask_b32_e32 v2, 0, v2, vcc_lo
	v_add3_u32 v6, v4, v18, v2
	s_delay_alu instid0(VALU_DEP_1) | instskip(NEXT) | instid1(VALU_DEP_1)
	v_cndmask_b32_e64 v2, 0, v6, s2
	v_add_nc_u32_e32 v7, v2, v38
	s_delay_alu instid0(VALU_DEP_1) | instskip(NEXT) | instid1(VALU_DEP_1)
	v_cndmask_b32_e64 v2, 0, v7, s3
	v_add_nc_u32_e32 v8, v2, v36
	v_mov_b64_e32 v[14:15], v[6:7]
	s_delay_alu instid0(VALU_DEP_2) | instskip(NEXT) | instid1(VALU_DEP_1)
	v_cndmask_b32_e64 v2, 0, v8, s4
	v_add_nc_u32_e32 v9, v2, v34
	s_delay_alu instid0(VALU_DEP_1) | instskip(NEXT) | instid1(VALU_DEP_1)
	v_cndmask_b32_e64 v2, 0, v9, s5
	v_add_nc_u32_e32 v2, v2, v32
	s_delay_alu instid0(VALU_DEP_1) | instskip(NEXT) | instid1(VALU_DEP_1)
	;; [unrolled: 3-line block ×8, first 2 shown]
	v_cndmask_b32_e64 v13, 0, v12, s12
	v_add_nc_u32_e32 v13, v13, v40
	s_branch .LBB929_141
.LBB929_124:
	s_cmp_lg_u64 s[28:29], 0
	v_cmp_eq_u32_e32 vcc_lo, 0, v0
	s_cselect_b32 s3, -1, 0
	s_cmp_lg_u64 s[18:19], 0
	v_cmp_ne_u32_e64 s2, 0, v0
	s_cselect_b32 s4, -1, 0
	s_delay_alu instid0(SALU_CYCLE_1) | instskip(NEXT) | instid1(SALU_CYCLE_1)
	s_and_b32 s3, s3, s4
	s_and_b32 s3, vcc_lo, s3
	s_delay_alu instid0(SALU_CYCLE_1)
	s_and_saveexec_b32 s4, s3
	s_cbranch_execz .LBB929_126
; %bb.125:
	s_mov_b64 s[6:7], 0x100000000
	s_delay_alu instid0(SALU_CYCLE_1)
	v_cmp_gt_u64_e64 s3, s[6:7], v[18:19]
	v_mov_b32_e32 v2, 0
	s_clause 0x1
	global_load_b32 v3, v2, s[18:19]
	global_load_u8 v4, v2, s[18:19] offset:4
	s_wait_loadcnt 0x1
	v_cndmask_b32_e64 v5, 0, v3, s3
	v_and_b32_e32 v3, 1, v19
	s_wait_loadcnt 0x0
	s_delay_alu instid0(VALU_DEP_2) | instskip(NEXT) | instid1(VALU_DEP_2)
	v_dual_add_nc_u32 v18, v5, v18 :: v_dual_bitop2_b32 v4, 1, v4 bitop3:0x40
	v_cmp_eq_u64_e64 s3, 0, v[2:3]
	s_delay_alu instid0(VALU_DEP_1)
	v_cndmask_b32_e64 v19, 1, v4, s3
.LBB929_126:
	s_or_b32 exec_lo, exec_lo, s4
	s_mov_b64 s[14:15], 0x100000000
	v_or3_b32 v12, v42, v29, v31
	v_cmp_gt_u64_e64 s3, s[14:15], v[38:39]
	v_cmp_gt_u64_e64 s8, s[14:15], v[28:29]
	;; [unrolled: 1-line block ×7, first 2 shown]
	v_cndmask_b32_e64 v2, 0, v18, s3
	v_cmp_gt_u64_e64 s10, s[14:15], v[24:25]
	v_cmp_gt_u64_e64 s12, s[14:15], v[20:21]
	;; [unrolled: 1-line block ×3, first 2 shown]
	v_dual_mov_b32 v14, 0 :: v_dual_bitop2_b32 v1, 56, v1 bitop3:0x40
	v_add_nc_u32_e32 v7, v2, v38
	v_cmp_gt_u64_e64 s13, s[14:15], v[40:41]
	s_mov_b32 s15, exec_lo
	v_lshl_add_u32 v1, v0, 3, v1
	v_cndmask_b32_e64 v2, 0, v7, s4
	s_delay_alu instid0(VALU_DEP_1) | instskip(NEXT) | instid1(VALU_DEP_1)
	v_add_nc_u32_e32 v8, v2, v36
	v_cndmask_b32_e64 v2, 0, v8, s5
	s_delay_alu instid0(VALU_DEP_1) | instskip(NEXT) | instid1(VALU_DEP_1)
	v_add_nc_u32_e32 v9, v2, v34
	;; [unrolled: 3-line block ×7, first 2 shown]
	v_cndmask_b32_e64 v6, 0, v10, s11
	s_delay_alu instid0(VALU_DEP_1) | instskip(SKIP_1) | instid1(VALU_DEP_2)
	v_add_nc_u32_e32 v11, v6, v22
	v_or3_b32 v6, v12, v33, v35
	v_cndmask_b32_e64 v12, 0, v11, s12
	s_delay_alu instid0(VALU_DEP_2) | instskip(NEXT) | instid1(VALU_DEP_2)
	v_or3_b32 v6, v6, v37, v39
	v_add_nc_u32_e32 v12, v12, v20
	s_delay_alu instid0(VALU_DEP_2) | instskip(NEXT) | instid1(VALU_DEP_1)
	v_or3_b32 v6, v41, v17, v6
	v_and_b32_e32 v15, 0xff, v6
	s_delay_alu instid0(VALU_DEP_1) | instskip(NEXT) | instid1(VALU_DEP_1)
	v_cmp_eq_u64_e64 s14, 0, v[14:15]
	v_dual_cndmask_b32 v13, 0, v12, s13 :: v_dual_cndmask_b32 v6, 1, v19, s14
	s_delay_alu instid0(VALU_DEP_1)
	v_add_nc_u32_e32 v13, v13, v40
	ds_store_b32 v1, v13
	ds_store_b8 v1, v6 offset:4
	s_wait_dscnt 0x0
	s_barrier_signal -1
	s_barrier_wait -1
	v_cmpx_gt_u32_e32 32, v0
	s_cbranch_execz .LBB929_136
; %bb.127:
	v_dual_lshlrev_b32 v1, 1, v0 :: v_dual_lshlrev_b32 v14, 6, v0
	s_mov_b32 s18, exec_lo
	s_delay_alu instid0(VALU_DEP_1) | instskip(NEXT) | instid1(VALU_DEP_1)
	v_and_b32_e32 v1, 0x1f8, v1
	v_add_nc_u32_e32 v1, v1, v14
	ds_load_u8 v17, v1 offset:12
	ds_load_b64 v[14:15], v1
	ds_load_2addr_b32 v[42:43], v1 offset0:2 offset1:4
	ds_load_u8 v21, v1 offset:20
	ds_load_u8 v23, v1 offset:28
	;; [unrolled: 1-line block ×5, first 2 shown]
	ds_load_b32 v33, v1 offset:56
	s_wait_dscnt 0x8
	v_cmp_eq_u16_e64 s14, 0, v17
	s_wait_dscnt 0x5
	s_delay_alu instid0(VALU_DEP_1)
	v_dual_cndmask_b32 v31, 0, v14, s14 :: v_dual_bitop2_b32 v17, v21, v17 bitop3:0x54
	ds_load_2addr_b32 v[44:45], v1 offset0:6 offset1:8
	v_cmp_eq_u16_e64 s14, 0, v21
	ds_load_u8 v35, v1 offset:60
	s_wait_dscnt 0x5
	v_bitop3_b16 v17, v17, v25, v23 bitop3:0xfe
	v_add_nc_u32_e32 v31, v31, v42
	s_delay_alu instid0(VALU_DEP_1)
	v_cndmask_b32_e64 v31, 0, v31, s14
	v_cmp_eq_u16_e64 s14, 0, v23
	s_wait_dscnt 0x3
	v_bitop3_b16 v23, v17, v29, v27 bitop3:0xfe
	v_and_b32_e32 v17, 1, v15
	v_add_nc_u32_e32 v31, v31, v43
	ds_load_2addr_b32 v[42:43], v1 offset0:10 offset1:12
	v_cndmask_b32_e64 v31, 0, v31, s14
	v_cmp_eq_u16_e64 s14, 0, v25
	s_wait_dscnt 0x1
	s_delay_alu instid0(VALU_DEP_2) | instskip(NEXT) | instid1(VALU_DEP_1)
	v_dual_add_nc_u32 v31, v31, v44 :: v_dual_bitop2_b32 v25, 1, v35 bitop3:0x40
	v_cndmask_b32_e64 v31, 0, v31, s14
	v_cmp_eq_u16_e64 s14, 0, v27
	s_delay_alu instid0(VALU_DEP_2) | instskip(NEXT) | instid1(VALU_DEP_1)
	v_add_nc_u32_e32 v21, v31, v45
	v_cndmask_b32_e64 v21, 0, v21, s14
	v_cmp_eq_u16_e64 s14, 0, v23
	s_wait_dscnt 0x0
	s_delay_alu instid0(VALU_DEP_1) | instskip(SKIP_1) | instid1(VALU_DEP_1)
	v_dual_add_nc_u32 v21, v21, v42 :: v_dual_cndmask_b32 v23, 1, v17, s14
	v_cmp_eq_u16_e64 s14, 0, v29
	v_cndmask_b32_e64 v21, 0, v21, s14
	v_cmp_eq_u32_e64 s14, 1, v25
	v_mbcnt_lo_u32_b32 v25, -1, 0
	s_delay_alu instid0(VALU_DEP_2) | instskip(SKIP_1) | instid1(VALU_DEP_2)
	v_cndmask_b32_e64 v27, v23, 1, s14
	v_cmp_eq_u16_e64 s14, 0, v35
	v_and_b32_e32 v29, 0xffff, v27
	v_add_nc_u32_e32 v23, v21, v43
	v_and_b32_e32 v21, 0xffffff00, v15
	s_delay_alu instid0(VALU_DEP_1) | instskip(SKIP_1) | instid1(VALU_DEP_2)
	v_dual_cndmask_b32 v23, 0, v23, s14 :: v_dual_bitop2_b32 v31, v21, v29 bitop3:0x54
	v_and_b32_e32 v29, 15, v25
	v_mov_b32_dpp v35, v31 row_shr:1 row_mask:0xf bank_mask:0xf
	s_delay_alu instid0(VALU_DEP_3) | instskip(NEXT) | instid1(VALU_DEP_1)
	v_add_nc_u32_e32 v23, v23, v33
	v_mov_b32_dpp v33, v23 row_shr:1 row_mask:0xf bank_mask:0xf
	s_delay_alu instid0(VALU_DEP_4)
	v_cmpx_ne_u32_e32 0, v29
	s_cbranch_execz .LBB929_129
; %bb.128:
	v_and_b32_e32 v31, 1, v27
	v_and_b32_e32 v35, 1, v35
	s_delay_alu instid0(VALU_DEP_2) | instskip(NEXT) | instid1(VALU_DEP_1)
	v_cmp_eq_u32_e64 s14, 1, v31
	v_cndmask_b32_e64 v35, v35, 1, s14
	v_cmp_eq_u16_e64 s14, 0, v27
	s_delay_alu instid0(VALU_DEP_2) | instskip(NEXT) | instid1(VALU_DEP_1)
	v_and_b32_e32 v31, 0xffff, v35
	v_dual_cndmask_b32 v27, 0, v33, s14 :: v_dual_bitop2_b32 v31, v21, v31 bitop3:0x54
	s_delay_alu instid0(VALU_DEP_1)
	v_add_nc_u32_e32 v23, v27, v23
	v_mov_b32_e32 v27, v35
.LBB929_129:
	s_or_b32 exec_lo, exec_lo, s18
	s_delay_alu instid0(VALU_DEP_2)
	v_mov_b32_dpp v33, v23 row_shr:2 row_mask:0xf bank_mask:0xf
	v_mov_b32_dpp v35, v31 row_shr:2 row_mask:0xf bank_mask:0xf
	s_mov_b32 s18, exec_lo
	v_cmpx_lt_u32_e32 1, v29
	s_cbranch_execz .LBB929_131
; %bb.130:
	v_and_b32_e32 v31, 1, v27
	v_and_b32_e32 v35, 1, v35
	s_delay_alu instid0(VALU_DEP_2) | instskip(NEXT) | instid1(VALU_DEP_1)
	v_cmp_eq_u32_e64 s14, 1, v31
	v_cndmask_b32_e64 v35, v35, 1, s14
	v_cmp_eq_u16_e64 s14, 0, v27
	s_delay_alu instid0(VALU_DEP_2) | instskip(NEXT) | instid1(VALU_DEP_1)
	v_and_b32_e32 v31, 0xffff, v35
	v_dual_cndmask_b32 v27, 0, v33, s14 :: v_dual_bitop2_b32 v31, v21, v31 bitop3:0x54
	s_delay_alu instid0(VALU_DEP_1)
	v_add_nc_u32_e32 v23, v27, v23
	v_mov_b32_e32 v27, v35
.LBB929_131:
	s_or_b32 exec_lo, exec_lo, s18
	s_delay_alu instid0(VALU_DEP_2)
	v_mov_b32_dpp v33, v23 row_shr:4 row_mask:0xf bank_mask:0xf
	v_mov_b32_dpp v35, v31 row_shr:4 row_mask:0xf bank_mask:0xf
	s_mov_b32 s18, exec_lo
	v_cmpx_lt_u32_e32 3, v29
	;; [unrolled: 21-line block ×3, first 2 shown]
	s_cbranch_execz .LBB929_135
; %bb.134:
	v_and_b32_e32 v29, 1, v27
	v_and_b32_e32 v31, 1, v35
	s_delay_alu instid0(VALU_DEP_2) | instskip(NEXT) | instid1(VALU_DEP_1)
	v_cmp_eq_u32_e64 s14, 1, v29
	v_cndmask_b32_e64 v29, v31, 1, s14
	v_cmp_eq_u16_e64 s14, 0, v27
	s_delay_alu instid0(VALU_DEP_2) | instskip(NEXT) | instid1(VALU_DEP_1)
	v_and_b32_e32 v31, 0xffff, v29
	v_dual_cndmask_b32 v27, 0, v33, s14 :: v_dual_bitop2_b32 v31, v21, v31 bitop3:0x54
	s_delay_alu instid0(VALU_DEP_1)
	v_dual_add_nc_u32 v23, v27, v23 :: v_dual_mov_b32 v27, v29
.LBB929_135:
	s_or_b32 exec_lo, exec_lo, s18
	ds_swizzle_b32 v29, v31 offset:swizzle(BROADCAST,32,15)
	ds_swizzle_b32 v31, v23 offset:swizzle(BROADCAST,32,15)
	v_and_b32_e32 v33, 1, v27
	v_and_b32_e32 v35, 16, v25
	v_bfe_i32 v37, v25, 4, 1
	v_and_b32_e32 v15, 0xff, v15
	s_delay_alu instid0(VALU_DEP_4) | instskip(SKIP_3) | instid1(VALU_DEP_1)
	v_cmp_eq_u32_e64 s14, 1, v33
	v_add_nc_u32_e32 v33, -1, v25
	; wave barrier
	s_wait_dscnt 0x1
	v_and_b32_e32 v29, 1, v29
	v_cndmask_b32_e64 v29, v29, 1, s14
	v_cmp_eq_u16_e64 s14, 0, v27
	s_wait_dscnt 0x0
	s_delay_alu instid0(VALU_DEP_1) | instskip(SKIP_1) | instid1(VALU_DEP_1)
	v_cndmask_b32_e64 v31, 0, v31, s14
	v_cmp_eq_u32_e64 s14, 0, v35
	v_cndmask_b32_e64 v27, v29, v27, s14
	v_cmp_gt_i32_e64 s14, 0, v33
	s_delay_alu instid0(VALU_DEP_2) | instskip(NEXT) | instid1(VALU_DEP_2)
	v_and_b32_e32 v27, 0xffff, v27
	v_cndmask_b32_e64 v25, v33, v25, s14
	v_and_b32_e32 v29, v37, v31
	v_cmp_eq_u16_e64 s14, 0, v15
	s_delay_alu instid0(VALU_DEP_3)
	v_dual_lshlrev_b32 v25, 2, v25 :: v_dual_bitop2_b32 v21, v21, v27 bitop3:0x54
	ds_bpermute_b32 v21, v25, v21
	s_wait_dscnt 0x0
	v_dual_add_nc_u32 v23, v29, v23 :: v_dual_bitop2_b32 v21, 1, v21 bitop3:0x40
	ds_bpermute_b32 v23, v25, v23
	s_wait_dscnt 0x0
	v_cndmask_b32_e64 v15, 0, v23, s14
	v_cmp_eq_u32_e64 s14, 1, v17
	s_delay_alu instid0(VALU_DEP_2) | instskip(NEXT) | instid1(VALU_DEP_2)
	v_add_nc_u32_e32 v14, v15, v14
	v_cndmask_b32_e64 v15, v21, 1, s14
	s_delay_alu instid0(VALU_DEP_1)
	v_dual_cndmask_b32 v17, v14, v13 :: v_dual_cndmask_b32 v6, v15, v6
	ds_store_b32 v1, v17
	ds_store_b8 v1, v6 offset:4
	; wave barrier
	ds_load_u8 v21, v1 offset:12
	ds_load_2addr_b32 v[14:15], v1 offset0:2 offset1:4
	ds_load_u8 v23, v1 offset:20
	ds_load_u8 v25, v1 offset:28
	;; [unrolled: 1-line block ×5, first 2 shown]
	ds_load_b32 v33, v1 offset:56
	ds_load_u8 v35, v1 offset:60
	ds_load_2addr_b32 v[42:43], v1 offset0:6 offset1:8
	s_wait_dscnt 0x9
	v_cmp_eq_u16_e64 s14, 0, v21
	s_delay_alu instid0(VALU_DEP_1) | instskip(SKIP_2) | instid1(VALU_DEP_2)
	v_cndmask_b32_e64 v17, 0, v17, s14
	s_wait_dscnt 0x7
	v_cmp_eq_u16_e64 s14, 0, v23
	v_add_nc_u32_e32 v17, v17, v14
	s_delay_alu instid0(VALU_DEP_1) | instskip(SKIP_2) | instid1(VALU_DEP_2)
	v_cndmask_b32_e64 v14, 0, v17, s14
	s_wait_dscnt 0x6
	v_cmp_eq_u16_e64 s14, 0, v25
	v_add_nc_u32_e32 v37, v14, v15
	ds_load_2addr_b32 v[14:15], v1 offset0:10 offset1:12
	v_cndmask_b32_e64 v39, 0, v37, s14
	s_wait_dscnt 0x6
	v_cmp_eq_u16_e64 s14, 0, v27
	ds_store_2addr_b32 v1, v17, v37 offset0:2 offset1:4
	s_wait_dscnt 0x2
	v_dual_add_nc_u32 v39, v39, v42 :: v_dual_bitop2_b32 v21, 1, v21 bitop3:0x40
	v_and_b32_e32 v42, 1, v35
	s_delay_alu instid0(VALU_DEP_2) | instskip(NEXT) | instid1(VALU_DEP_3)
	v_cndmask_b32_e64 v41, 0, v39, s14
	v_cmp_eq_u32_e64 s14, 1, v21
	s_delay_alu instid0(VALU_DEP_2) | instskip(SKIP_1) | instid1(VALU_DEP_3)
	v_dual_add_nc_u32 v25, v41, v43 :: v_dual_bitop2_b32 v21, 1, v25 bitop3:0x40
	v_and_b32_e32 v23, 1, v23
	v_cndmask_b32_e64 v6, v6, 1, s14
	s_delay_alu instid0(VALU_DEP_2) | instskip(NEXT) | instid1(VALU_DEP_1)
	v_cmp_eq_u32_e64 s14, 1, v23
	v_cndmask_b32_e64 v23, v6, 1, s14
	v_cmp_eq_u16_e64 s14, 0, v29
	s_delay_alu instid0(VALU_DEP_1) | instskip(SKIP_2) | instid1(VALU_DEP_2)
	v_dual_cndmask_b32 v41, 0, v25, s14 :: v_dual_bitop2_b32 v27, 1, v27 bitop3:0x40
	v_cmp_eq_u32_e64 s14, 1, v21
	s_wait_dscnt 0x1
	v_dual_add_nc_u32 v14, v41, v14 :: v_dual_bitop2_b32 v41, 1, v31 bitop3:0x40
	s_delay_alu instid0(VALU_DEP_2) | instskip(SKIP_1) | instid1(VALU_DEP_1)
	v_cndmask_b32_e64 v21, v23, 1, s14
	v_cmp_eq_u32_e64 s14, 1, v27
	v_cndmask_b32_e64 v27, v21, 1, s14
	v_cmp_eq_u16_e64 s14, 0, v31
	s_delay_alu instid0(VALU_DEP_1) | instskip(NEXT) | instid1(VALU_DEP_1)
	v_dual_cndmask_b32 v31, 0, v14, s14 :: v_dual_bitop2_b32 v29, 1, v29 bitop3:0x40
	v_cmp_eq_u32_e64 s14, 1, v29
	s_delay_alu instid0(VALU_DEP_2) | instskip(NEXT) | instid1(VALU_DEP_2)
	v_add_nc_u32_e32 v15, v31, v15
	v_cndmask_b32_e64 v29, v27, 1, s14
	v_cmp_eq_u32_e64 s14, 1, v41
	ds_store_2addr_b32 v1, v39, v25 offset0:6 offset1:8
	ds_store_2addr_b32 v1, v14, v15 offset0:10 offset1:12
	v_cndmask_b32_e64 v31, v29, 1, s14
	v_cmp_eq_u16_e64 s14, 0, v35
	s_delay_alu instid0(VALU_DEP_1) | instskip(SKIP_1) | instid1(VALU_DEP_2)
	v_cndmask_b32_e64 v17, 0, v15, s14
	v_cmp_eq_u32_e64 s14, 1, v42
	v_add_nc_u32_e32 v14, v17, v33
	s_delay_alu instid0(VALU_DEP_2)
	v_cndmask_b32_e64 v35, v31, 1, s14
	ds_store_b8 v1, v6 offset:12
	ds_store_b8 v1, v23 offset:20
	;; [unrolled: 1-line block ×6, first 2 shown]
	ds_store_b32 v1, v14 offset:56
	ds_store_b8 v1, v35 offset:60
.LBB929_136:
	s_or_b32 exec_lo, exec_lo, s15
	v_mov_b32_e32 v6, v18
	s_wait_dscnt 0x0
	s_barrier_signal -1
	s_barrier_wait -1
	s_delay_alu instid0(VALU_DEP_1)
	v_mov_b64_e32 v[14:15], v[6:7]
	s_and_saveexec_b32 s14, s2
	s_cbranch_execz .LBB929_138
; %bb.137:
	v_add_nc_u32_e32 v1, -1, v0
	v_and_b32_e32 v3, 0xff, v19
	s_delay_alu instid0(VALU_DEP_2) | instskip(NEXT) | instid1(VALU_DEP_1)
	v_lshrrev_b32_e32 v2, 2, v1
	v_and_b32_e32 v2, 0x3ffffff8, v2
	s_delay_alu instid0(VALU_DEP_1)
	v_lshl_add_u32 v1, v1, 3, v2
	v_mov_b32_e32 v2, 0
	ds_load_b32 v1, v1
	v_cmp_eq_u64_e64 s2, 0, v[2:3]
	;;#ASMSTART
	;;#ASMEND
	s_wait_dscnt 0x0
	s_delay_alu instid0(VALU_DEP_1) | instskip(NEXT) | instid1(VALU_DEP_1)
	v_cndmask_b32_e64 v1, 0, v1, s2
	v_add_nc_u32_e32 v14, v1, v18
	s_delay_alu instid0(VALU_DEP_1) | instskip(NEXT) | instid1(VALU_DEP_1)
	v_cndmask_b32_e64 v1, 0, v14, s3
	v_add_nc_u32_e32 v15, v1, v38
	s_delay_alu instid0(VALU_DEP_1) | instskip(NEXT) | instid1(VALU_DEP_1)
	v_dual_cndmask_b32 v1, 0, v15, s4 :: v_dual_mov_b32 v18, v14
	v_dual_mov_b32 v7, v15 :: v_dual_add_nc_u32 v8, v1, v36
	s_delay_alu instid0(VALU_DEP_1) | instskip(NEXT) | instid1(VALU_DEP_1)
	v_cndmask_b32_e64 v1, 0, v8, s5
	v_add_nc_u32_e32 v9, v1, v34
	s_delay_alu instid0(VALU_DEP_1) | instskip(NEXT) | instid1(VALU_DEP_1)
	v_cndmask_b32_e64 v1, 0, v9, s6
	v_add_nc_u32_e32 v2, v1, v32
	;; [unrolled: 3-line block ×9, first 2 shown]
.LBB929_138:
	s_or_b32 exec_lo, exec_lo, s14
	s_and_saveexec_b32 s2, vcc_lo
	s_cbranch_execz .LBB929_140
; %bb.139:
	v_dual_mov_b32 v23, 0 :: v_dual_mov_b32 v22, 2
	s_add_nc_u64 s[4:5], s[24:25], 0x200
	ds_load_b32 v20, v23 offset:2096
	ds_load_u8 v21, v23 offset:2100
	v_mov_b64_e32 v[24:25], s[4:5]
	s_wait_dscnt 0x0
	;;#ASMSTART
	global_store_b128 v[24:25], v[20:23] off scope:SCOPE_DEV	
s_wait_storecnt 0x0
	;;#ASMEND
.LBB929_140:
	s_or_b32 exec_lo, exec_lo, s2
	v_mov_b32_e32 v6, v18
.LBB929_141:
	s_load_b64 s[0:1], s[0:1], 0x20
	s_and_b32 vcc_lo, exec_lo, s21
	s_wait_kmcnt 0x0
	s_add_nc_u64 s[0:1], s[0:1], s[34:35]
	s_delay_alu instid0(SALU_CYCLE_1)
	s_add_nc_u64 s[0:1], s[0:1], s[16:17]
	s_cbranch_vccz .LBB929_181
; %bb.142:
	v_mul_u32_u24_e32 v1, 12, v0
	s_add_co_i32 s27, s27, s26
	s_mov_b32 s2, exec_lo
	s_delay_alu instid0(VALU_DEP_1)
	v_cmpx_gt_u32_e64 s27, v1
	s_cbranch_execz .LBB929_158
; %bb.143:
	v_or_b32_e32 v17, 1, v1
	s_mov_b32 s3, exec_lo
	s_delay_alu instid0(VALU_DEP_1)
	v_cmpx_gt_u32_e64 s27, v17
	s_cbranch_execz .LBB929_157
; %bb.144:
	v_or_b32_e32 v17, 2, v1
	;; [unrolled: 6-line block ×3, first 2 shown]
	s_mov_b32 s5, exec_lo
	s_delay_alu instid0(VALU_DEP_1)
	v_cmpx_gt_u32_e64 s27, v17
	s_cbranch_execz .LBB929_155
; %bb.146:
	v_add_nc_u32_e32 v17, 4, v1
	s_mov_b32 s6, exec_lo
	s_delay_alu instid0(VALU_DEP_1)
	v_cmpx_gt_u32_e64 s27, v17
	s_cbranch_execz .LBB929_154
; %bb.147:
	v_add_nc_u32_e32 v17, 5, v1
	;; [unrolled: 6-line block ×4, first 2 shown]
	s_mov_b32 s9, exec_lo
	s_delay_alu instid0(VALU_DEP_1)
	v_cmpx_gt_u32_e64 s27, v17
; %bb.150:
	v_add_nc_u32_e32 v17, 8, v1
	s_mov_b32 s10, exec_lo
	s_delay_alu instid0(VALU_DEP_1)
	v_cmpx_gt_u32_e64 s27, v17
	s_or_b32 exec_lo, exec_lo, s10
; %bb.151:
	s_delay_alu instid0(SALU_CYCLE_1)
	s_or_b32 exec_lo, exec_lo, s9
.LBB929_152:
	s_delay_alu instid0(SALU_CYCLE_1)
	s_or_b32 exec_lo, exec_lo, s8
.LBB929_153:
	s_delay_alu instid0(SALU_CYCLE_1)
	s_or_b32 exec_lo, exec_lo, s7
.LBB929_154:
	s_delay_alu instid0(SALU_CYCLE_1)
	s_or_b32 exec_lo, exec_lo, s6
.LBB929_155:
	s_delay_alu instid0(SALU_CYCLE_1)
	s_or_b32 exec_lo, exec_lo, s5
.LBB929_156:
	s_delay_alu instid0(SALU_CYCLE_1)
	s_or_b32 exec_lo, exec_lo, s4
.LBB929_157:
	s_delay_alu instid0(SALU_CYCLE_1)
	s_or_b32 exec_lo, exec_lo, s3
.LBB929_158:
	s_delay_alu instid0(SALU_CYCLE_1)
	s_or_b32 exec_lo, exec_lo, s2
	v_dual_lshlrev_b32 v1, 2, v1 :: v_dual_mov_b32 v17, 0
	s_barrier_signal -1
	s_barrier_wait -1
	ds_store_b128 v1, v[6:9]
	ds_store_b128 v1, v[2:5] offset:16
	ds_store_b128 v1, v[10:13] offset:32
	v_mad_i32_i24 v6, 0xffffffd4, v0, v1
	s_wait_dscnt 0x0
	s_barrier_signal -1
	s_barrier_wait -1
	ds_load_2addr_stride64_b32 v[26:27], v6 offset0:4 offset1:8
	ds_load_2addr_stride64_b32 v[24:25], v6 offset0:12 offset1:16
	;; [unrolled: 1-line block ×5, first 2 shown]
	ds_load_b32 v7, v6 offset:11264
	v_add_nc_u64_e32 v[16:17], s[0:1], v[16:17]
	s_mov_b32 s2, exec_lo
	v_cmpx_gt_u32_e64 s27, v0
	s_cbranch_execz .LBB929_160
; %bb.159:
	v_mul_i32_i24_e32 v6, 0xffffffd4, v0
	s_delay_alu instid0(VALU_DEP_1)
	v_add_nc_u32_e32 v1, v1, v6
	ds_load_b32 v1, v1
	s_wait_dscnt 0x0
	flat_store_b32 v[16:17], v1
.LBB929_160:
	s_wait_xcnt 0x0
	s_or_b32 exec_lo, exec_lo, s2
	v_or_b32_e32 v1, 0x100, v0
	s_mov_b32 s2, exec_lo
	s_delay_alu instid0(VALU_DEP_1)
	v_cmpx_gt_u32_e64 s27, v1
	s_cbranch_execz .LBB929_162
; %bb.161:
	s_wait_dscnt 0x5
	flat_store_b32 v[16:17], v26 offset:1024
.LBB929_162:
	s_wait_xcnt 0x0
	s_or_b32 exec_lo, exec_lo, s2
	v_or_b32_e32 v1, 0x200, v0
	s_mov_b32 s2, exec_lo
	s_delay_alu instid0(VALU_DEP_1)
	v_cmpx_gt_u32_e64 s27, v1
	s_cbranch_execz .LBB929_164
; %bb.163:
	s_wait_dscnt 0x5
	flat_store_b32 v[16:17], v27 offset:2048
.LBB929_164:
	;; [unrolled: 11-line block ×10, first 2 shown]
	s_wait_xcnt 0x0
	s_or_b32 exec_lo, exec_lo, s2
	v_or_b32_e32 v1, 0xb00, v0
	s_delay_alu instid0(VALU_DEP_1)
	v_cmp_gt_u32_e64 s2, s27, v1
	s_branch .LBB929_183
.LBB929_181:
	s_mov_b32 s2, 0
                                        ; implicit-def: $vgpr7
	s_cbranch_execz .LBB929_183
; %bb.182:
	v_mul_u32_u24_e32 v1, 48, v0
	v_dual_mov_b32 v16, v8 :: v_dual_mov_b32 v17, v9
	v_mul_i32_i24_e32 v6, 0xffffffd4, v0
	s_wait_storecnt_dscnt 0x0
	s_barrier_signal -1
	s_barrier_wait -1
	ds_store_b128 v1, v[14:17]
	ds_store_b128 v1, v[2:5] offset:16
	ds_store_b128 v1, v[10:13] offset:32
	v_mad_u32_u24 v1, v0, 48, v6
	s_wait_dscnt 0x0
	s_barrier_signal -1
	s_barrier_wait -1
	ds_load_2addr_stride64_b32 v[2:3], v1 offset1:4
	ds_load_2addr_stride64_b32 v[4:5], v1 offset0:8 offset1:12
	ds_load_2addr_stride64_b32 v[8:9], v1 offset0:16 offset1:20
	;; [unrolled: 1-line block ×5, first 2 shown]
	s_or_b32 s2, s2, exec_lo
	s_wait_dscnt 0x5
	s_clause 0x1
	flat_store_b32 v0, v2, s[0:1] scale_offset
	flat_store_b32 v0, v3, s[0:1] offset:1024 scale_offset
	s_wait_dscnt 0x6
	s_clause 0x1
	flat_store_b32 v0, v4, s[0:1] offset:2048 scale_offset
	flat_store_b32 v0, v5, s[0:1] offset:3072 scale_offset
	s_wait_dscnt 0x7
	s_clause 0x1
	flat_store_b32 v0, v8, s[0:1] offset:4096 scale_offset
	;; [unrolled: 4-line block ×4, first 2 shown]
	flat_store_b32 v0, v13, s[0:1] offset:9216 scale_offset
	s_wait_dscnt 0xa
	flat_store_b32 v0, v6, s[0:1] offset:10240 scale_offset
.LBB929_183:
	s_wait_xcnt 0x0
	s_delay_alu instid0(VALU_DEP_1)
	s_and_saveexec_b32 s3, s2
	s_cbranch_execnz .LBB929_185
; %bb.184:
	s_endpgm
.LBB929_185:
	s_wait_dscnt 0x0
	flat_store_b32 v0, v7, s[0:1] offset:11264 scale_offset
	s_endpgm
	.section	.rodata,"a",@progbits
	.p2align	6, 0x0
	.amdhsa_kernel _ZN7rocprim17ROCPRIM_400000_NS6detail17trampoline_kernelINS0_14default_configENS1_27scan_by_key_config_selectorIiiEEZZNS1_16scan_by_key_implILNS1_25lookback_scan_determinismE0ELb0ES3_N6thrust23THRUST_200600_302600_NS6detail15normal_iteratorINS9_10device_ptrIiEEEENS9_18transform_iteratorINS9_6negateIiEESE_NS9_11use_defaultESI_EESE_iNS9_4plusIvEENS9_8equal_toIvEEiEE10hipError_tPvRmT2_T3_T4_T5_mT6_T7_P12ihipStream_tbENKUlT_T0_E_clISt17integral_constantIbLb0EES14_EEDaSZ_S10_EUlSZ_E_NS1_11comp_targetILNS1_3genE0ELNS1_11target_archE4294967295ELNS1_3gpuE0ELNS1_3repE0EEENS1_30default_config_static_selectorELNS0_4arch9wavefront6targetE0EEEvT1_
		.amdhsa_group_segment_fixed_size 14336
		.amdhsa_private_segment_fixed_size 0
		.amdhsa_kernarg_size 120
		.amdhsa_user_sgpr_count 2
		.amdhsa_user_sgpr_dispatch_ptr 0
		.amdhsa_user_sgpr_queue_ptr 0
		.amdhsa_user_sgpr_kernarg_segment_ptr 1
		.amdhsa_user_sgpr_dispatch_id 0
		.amdhsa_user_sgpr_kernarg_preload_length 0
		.amdhsa_user_sgpr_kernarg_preload_offset 0
		.amdhsa_user_sgpr_private_segment_size 0
		.amdhsa_wavefront_size32 1
		.amdhsa_uses_dynamic_stack 0
		.amdhsa_enable_private_segment 0
		.amdhsa_system_sgpr_workgroup_id_x 1
		.amdhsa_system_sgpr_workgroup_id_y 0
		.amdhsa_system_sgpr_workgroup_id_z 0
		.amdhsa_system_sgpr_workgroup_info 0
		.amdhsa_system_vgpr_workitem_id 0
		.amdhsa_next_free_vgpr 60
		.amdhsa_next_free_sgpr 42
		.amdhsa_named_barrier_count 0
		.amdhsa_reserve_vcc 1
		.amdhsa_float_round_mode_32 0
		.amdhsa_float_round_mode_16_64 0
		.amdhsa_float_denorm_mode_32 3
		.amdhsa_float_denorm_mode_16_64 3
		.amdhsa_fp16_overflow 0
		.amdhsa_memory_ordered 1
		.amdhsa_forward_progress 1
		.amdhsa_inst_pref_size 95
		.amdhsa_round_robin_scheduling 0
		.amdhsa_exception_fp_ieee_invalid_op 0
		.amdhsa_exception_fp_denorm_src 0
		.amdhsa_exception_fp_ieee_div_zero 0
		.amdhsa_exception_fp_ieee_overflow 0
		.amdhsa_exception_fp_ieee_underflow 0
		.amdhsa_exception_fp_ieee_inexact 0
		.amdhsa_exception_int_div_zero 0
	.end_amdhsa_kernel
	.section	.text._ZN7rocprim17ROCPRIM_400000_NS6detail17trampoline_kernelINS0_14default_configENS1_27scan_by_key_config_selectorIiiEEZZNS1_16scan_by_key_implILNS1_25lookback_scan_determinismE0ELb0ES3_N6thrust23THRUST_200600_302600_NS6detail15normal_iteratorINS9_10device_ptrIiEEEENS9_18transform_iteratorINS9_6negateIiEESE_NS9_11use_defaultESI_EESE_iNS9_4plusIvEENS9_8equal_toIvEEiEE10hipError_tPvRmT2_T3_T4_T5_mT6_T7_P12ihipStream_tbENKUlT_T0_E_clISt17integral_constantIbLb0EES14_EEDaSZ_S10_EUlSZ_E_NS1_11comp_targetILNS1_3genE0ELNS1_11target_archE4294967295ELNS1_3gpuE0ELNS1_3repE0EEENS1_30default_config_static_selectorELNS0_4arch9wavefront6targetE0EEEvT1_,"axG",@progbits,_ZN7rocprim17ROCPRIM_400000_NS6detail17trampoline_kernelINS0_14default_configENS1_27scan_by_key_config_selectorIiiEEZZNS1_16scan_by_key_implILNS1_25lookback_scan_determinismE0ELb0ES3_N6thrust23THRUST_200600_302600_NS6detail15normal_iteratorINS9_10device_ptrIiEEEENS9_18transform_iteratorINS9_6negateIiEESE_NS9_11use_defaultESI_EESE_iNS9_4plusIvEENS9_8equal_toIvEEiEE10hipError_tPvRmT2_T3_T4_T5_mT6_T7_P12ihipStream_tbENKUlT_T0_E_clISt17integral_constantIbLb0EES14_EEDaSZ_S10_EUlSZ_E_NS1_11comp_targetILNS1_3genE0ELNS1_11target_archE4294967295ELNS1_3gpuE0ELNS1_3repE0EEENS1_30default_config_static_selectorELNS0_4arch9wavefront6targetE0EEEvT1_,comdat
.Lfunc_end929:
	.size	_ZN7rocprim17ROCPRIM_400000_NS6detail17trampoline_kernelINS0_14default_configENS1_27scan_by_key_config_selectorIiiEEZZNS1_16scan_by_key_implILNS1_25lookback_scan_determinismE0ELb0ES3_N6thrust23THRUST_200600_302600_NS6detail15normal_iteratorINS9_10device_ptrIiEEEENS9_18transform_iteratorINS9_6negateIiEESE_NS9_11use_defaultESI_EESE_iNS9_4plusIvEENS9_8equal_toIvEEiEE10hipError_tPvRmT2_T3_T4_T5_mT6_T7_P12ihipStream_tbENKUlT_T0_E_clISt17integral_constantIbLb0EES14_EEDaSZ_S10_EUlSZ_E_NS1_11comp_targetILNS1_3genE0ELNS1_11target_archE4294967295ELNS1_3gpuE0ELNS1_3repE0EEENS1_30default_config_static_selectorELNS0_4arch9wavefront6targetE0EEEvT1_, .Lfunc_end929-_ZN7rocprim17ROCPRIM_400000_NS6detail17trampoline_kernelINS0_14default_configENS1_27scan_by_key_config_selectorIiiEEZZNS1_16scan_by_key_implILNS1_25lookback_scan_determinismE0ELb0ES3_N6thrust23THRUST_200600_302600_NS6detail15normal_iteratorINS9_10device_ptrIiEEEENS9_18transform_iteratorINS9_6negateIiEESE_NS9_11use_defaultESI_EESE_iNS9_4plusIvEENS9_8equal_toIvEEiEE10hipError_tPvRmT2_T3_T4_T5_mT6_T7_P12ihipStream_tbENKUlT_T0_E_clISt17integral_constantIbLb0EES14_EEDaSZ_S10_EUlSZ_E_NS1_11comp_targetILNS1_3genE0ELNS1_11target_archE4294967295ELNS1_3gpuE0ELNS1_3repE0EEENS1_30default_config_static_selectorELNS0_4arch9wavefront6targetE0EEEvT1_
                                        ; -- End function
	.set _ZN7rocprim17ROCPRIM_400000_NS6detail17trampoline_kernelINS0_14default_configENS1_27scan_by_key_config_selectorIiiEEZZNS1_16scan_by_key_implILNS1_25lookback_scan_determinismE0ELb0ES3_N6thrust23THRUST_200600_302600_NS6detail15normal_iteratorINS9_10device_ptrIiEEEENS9_18transform_iteratorINS9_6negateIiEESE_NS9_11use_defaultESI_EESE_iNS9_4plusIvEENS9_8equal_toIvEEiEE10hipError_tPvRmT2_T3_T4_T5_mT6_T7_P12ihipStream_tbENKUlT_T0_E_clISt17integral_constantIbLb0EES14_EEDaSZ_S10_EUlSZ_E_NS1_11comp_targetILNS1_3genE0ELNS1_11target_archE4294967295ELNS1_3gpuE0ELNS1_3repE0EEENS1_30default_config_static_selectorELNS0_4arch9wavefront6targetE0EEEvT1_.num_vgpr, 60
	.set _ZN7rocprim17ROCPRIM_400000_NS6detail17trampoline_kernelINS0_14default_configENS1_27scan_by_key_config_selectorIiiEEZZNS1_16scan_by_key_implILNS1_25lookback_scan_determinismE0ELb0ES3_N6thrust23THRUST_200600_302600_NS6detail15normal_iteratorINS9_10device_ptrIiEEEENS9_18transform_iteratorINS9_6negateIiEESE_NS9_11use_defaultESI_EESE_iNS9_4plusIvEENS9_8equal_toIvEEiEE10hipError_tPvRmT2_T3_T4_T5_mT6_T7_P12ihipStream_tbENKUlT_T0_E_clISt17integral_constantIbLb0EES14_EEDaSZ_S10_EUlSZ_E_NS1_11comp_targetILNS1_3genE0ELNS1_11target_archE4294967295ELNS1_3gpuE0ELNS1_3repE0EEENS1_30default_config_static_selectorELNS0_4arch9wavefront6targetE0EEEvT1_.num_agpr, 0
	.set _ZN7rocprim17ROCPRIM_400000_NS6detail17trampoline_kernelINS0_14default_configENS1_27scan_by_key_config_selectorIiiEEZZNS1_16scan_by_key_implILNS1_25lookback_scan_determinismE0ELb0ES3_N6thrust23THRUST_200600_302600_NS6detail15normal_iteratorINS9_10device_ptrIiEEEENS9_18transform_iteratorINS9_6negateIiEESE_NS9_11use_defaultESI_EESE_iNS9_4plusIvEENS9_8equal_toIvEEiEE10hipError_tPvRmT2_T3_T4_T5_mT6_T7_P12ihipStream_tbENKUlT_T0_E_clISt17integral_constantIbLb0EES14_EEDaSZ_S10_EUlSZ_E_NS1_11comp_targetILNS1_3genE0ELNS1_11target_archE4294967295ELNS1_3gpuE0ELNS1_3repE0EEENS1_30default_config_static_selectorELNS0_4arch9wavefront6targetE0EEEvT1_.numbered_sgpr, 42
	.set _ZN7rocprim17ROCPRIM_400000_NS6detail17trampoline_kernelINS0_14default_configENS1_27scan_by_key_config_selectorIiiEEZZNS1_16scan_by_key_implILNS1_25lookback_scan_determinismE0ELb0ES3_N6thrust23THRUST_200600_302600_NS6detail15normal_iteratorINS9_10device_ptrIiEEEENS9_18transform_iteratorINS9_6negateIiEESE_NS9_11use_defaultESI_EESE_iNS9_4plusIvEENS9_8equal_toIvEEiEE10hipError_tPvRmT2_T3_T4_T5_mT6_T7_P12ihipStream_tbENKUlT_T0_E_clISt17integral_constantIbLb0EES14_EEDaSZ_S10_EUlSZ_E_NS1_11comp_targetILNS1_3genE0ELNS1_11target_archE4294967295ELNS1_3gpuE0ELNS1_3repE0EEENS1_30default_config_static_selectorELNS0_4arch9wavefront6targetE0EEEvT1_.num_named_barrier, 0
	.set _ZN7rocprim17ROCPRIM_400000_NS6detail17trampoline_kernelINS0_14default_configENS1_27scan_by_key_config_selectorIiiEEZZNS1_16scan_by_key_implILNS1_25lookback_scan_determinismE0ELb0ES3_N6thrust23THRUST_200600_302600_NS6detail15normal_iteratorINS9_10device_ptrIiEEEENS9_18transform_iteratorINS9_6negateIiEESE_NS9_11use_defaultESI_EESE_iNS9_4plusIvEENS9_8equal_toIvEEiEE10hipError_tPvRmT2_T3_T4_T5_mT6_T7_P12ihipStream_tbENKUlT_T0_E_clISt17integral_constantIbLb0EES14_EEDaSZ_S10_EUlSZ_E_NS1_11comp_targetILNS1_3genE0ELNS1_11target_archE4294967295ELNS1_3gpuE0ELNS1_3repE0EEENS1_30default_config_static_selectorELNS0_4arch9wavefront6targetE0EEEvT1_.private_seg_size, 0
	.set _ZN7rocprim17ROCPRIM_400000_NS6detail17trampoline_kernelINS0_14default_configENS1_27scan_by_key_config_selectorIiiEEZZNS1_16scan_by_key_implILNS1_25lookback_scan_determinismE0ELb0ES3_N6thrust23THRUST_200600_302600_NS6detail15normal_iteratorINS9_10device_ptrIiEEEENS9_18transform_iteratorINS9_6negateIiEESE_NS9_11use_defaultESI_EESE_iNS9_4plusIvEENS9_8equal_toIvEEiEE10hipError_tPvRmT2_T3_T4_T5_mT6_T7_P12ihipStream_tbENKUlT_T0_E_clISt17integral_constantIbLb0EES14_EEDaSZ_S10_EUlSZ_E_NS1_11comp_targetILNS1_3genE0ELNS1_11target_archE4294967295ELNS1_3gpuE0ELNS1_3repE0EEENS1_30default_config_static_selectorELNS0_4arch9wavefront6targetE0EEEvT1_.uses_vcc, 1
	.set _ZN7rocprim17ROCPRIM_400000_NS6detail17trampoline_kernelINS0_14default_configENS1_27scan_by_key_config_selectorIiiEEZZNS1_16scan_by_key_implILNS1_25lookback_scan_determinismE0ELb0ES3_N6thrust23THRUST_200600_302600_NS6detail15normal_iteratorINS9_10device_ptrIiEEEENS9_18transform_iteratorINS9_6negateIiEESE_NS9_11use_defaultESI_EESE_iNS9_4plusIvEENS9_8equal_toIvEEiEE10hipError_tPvRmT2_T3_T4_T5_mT6_T7_P12ihipStream_tbENKUlT_T0_E_clISt17integral_constantIbLb0EES14_EEDaSZ_S10_EUlSZ_E_NS1_11comp_targetILNS1_3genE0ELNS1_11target_archE4294967295ELNS1_3gpuE0ELNS1_3repE0EEENS1_30default_config_static_selectorELNS0_4arch9wavefront6targetE0EEEvT1_.uses_flat_scratch, 1
	.set _ZN7rocprim17ROCPRIM_400000_NS6detail17trampoline_kernelINS0_14default_configENS1_27scan_by_key_config_selectorIiiEEZZNS1_16scan_by_key_implILNS1_25lookback_scan_determinismE0ELb0ES3_N6thrust23THRUST_200600_302600_NS6detail15normal_iteratorINS9_10device_ptrIiEEEENS9_18transform_iteratorINS9_6negateIiEESE_NS9_11use_defaultESI_EESE_iNS9_4plusIvEENS9_8equal_toIvEEiEE10hipError_tPvRmT2_T3_T4_T5_mT6_T7_P12ihipStream_tbENKUlT_T0_E_clISt17integral_constantIbLb0EES14_EEDaSZ_S10_EUlSZ_E_NS1_11comp_targetILNS1_3genE0ELNS1_11target_archE4294967295ELNS1_3gpuE0ELNS1_3repE0EEENS1_30default_config_static_selectorELNS0_4arch9wavefront6targetE0EEEvT1_.has_dyn_sized_stack, 0
	.set _ZN7rocprim17ROCPRIM_400000_NS6detail17trampoline_kernelINS0_14default_configENS1_27scan_by_key_config_selectorIiiEEZZNS1_16scan_by_key_implILNS1_25lookback_scan_determinismE0ELb0ES3_N6thrust23THRUST_200600_302600_NS6detail15normal_iteratorINS9_10device_ptrIiEEEENS9_18transform_iteratorINS9_6negateIiEESE_NS9_11use_defaultESI_EESE_iNS9_4plusIvEENS9_8equal_toIvEEiEE10hipError_tPvRmT2_T3_T4_T5_mT6_T7_P12ihipStream_tbENKUlT_T0_E_clISt17integral_constantIbLb0EES14_EEDaSZ_S10_EUlSZ_E_NS1_11comp_targetILNS1_3genE0ELNS1_11target_archE4294967295ELNS1_3gpuE0ELNS1_3repE0EEENS1_30default_config_static_selectorELNS0_4arch9wavefront6targetE0EEEvT1_.has_recursion, 0
	.set _ZN7rocprim17ROCPRIM_400000_NS6detail17trampoline_kernelINS0_14default_configENS1_27scan_by_key_config_selectorIiiEEZZNS1_16scan_by_key_implILNS1_25lookback_scan_determinismE0ELb0ES3_N6thrust23THRUST_200600_302600_NS6detail15normal_iteratorINS9_10device_ptrIiEEEENS9_18transform_iteratorINS9_6negateIiEESE_NS9_11use_defaultESI_EESE_iNS9_4plusIvEENS9_8equal_toIvEEiEE10hipError_tPvRmT2_T3_T4_T5_mT6_T7_P12ihipStream_tbENKUlT_T0_E_clISt17integral_constantIbLb0EES14_EEDaSZ_S10_EUlSZ_E_NS1_11comp_targetILNS1_3genE0ELNS1_11target_archE4294967295ELNS1_3gpuE0ELNS1_3repE0EEENS1_30default_config_static_selectorELNS0_4arch9wavefront6targetE0EEEvT1_.has_indirect_call, 0
	.section	.AMDGPU.csdata,"",@progbits
; Kernel info:
; codeLenInByte = 12112
; TotalNumSgprs: 44
; NumVgprs: 60
; ScratchSize: 0
; MemoryBound: 0
; FloatMode: 240
; IeeeMode: 1
; LDSByteSize: 14336 bytes/workgroup (compile time only)
; SGPRBlocks: 0
; VGPRBlocks: 3
; NumSGPRsForWavesPerEU: 44
; NumVGPRsForWavesPerEU: 60
; NamedBarCnt: 0
; Occupancy: 16
; WaveLimiterHint : 1
; COMPUTE_PGM_RSRC2:SCRATCH_EN: 0
; COMPUTE_PGM_RSRC2:USER_SGPR: 2
; COMPUTE_PGM_RSRC2:TRAP_HANDLER: 0
; COMPUTE_PGM_RSRC2:TGID_X_EN: 1
; COMPUTE_PGM_RSRC2:TGID_Y_EN: 0
; COMPUTE_PGM_RSRC2:TGID_Z_EN: 0
; COMPUTE_PGM_RSRC2:TIDIG_COMP_CNT: 0
	.section	.text._ZN7rocprim17ROCPRIM_400000_NS6detail17trampoline_kernelINS0_14default_configENS1_27scan_by_key_config_selectorIiiEEZZNS1_16scan_by_key_implILNS1_25lookback_scan_determinismE0ELb0ES3_N6thrust23THRUST_200600_302600_NS6detail15normal_iteratorINS9_10device_ptrIiEEEENS9_18transform_iteratorINS9_6negateIiEESE_NS9_11use_defaultESI_EESE_iNS9_4plusIvEENS9_8equal_toIvEEiEE10hipError_tPvRmT2_T3_T4_T5_mT6_T7_P12ihipStream_tbENKUlT_T0_E_clISt17integral_constantIbLb0EES14_EEDaSZ_S10_EUlSZ_E_NS1_11comp_targetILNS1_3genE10ELNS1_11target_archE1201ELNS1_3gpuE5ELNS1_3repE0EEENS1_30default_config_static_selectorELNS0_4arch9wavefront6targetE0EEEvT1_,"axG",@progbits,_ZN7rocprim17ROCPRIM_400000_NS6detail17trampoline_kernelINS0_14default_configENS1_27scan_by_key_config_selectorIiiEEZZNS1_16scan_by_key_implILNS1_25lookback_scan_determinismE0ELb0ES3_N6thrust23THRUST_200600_302600_NS6detail15normal_iteratorINS9_10device_ptrIiEEEENS9_18transform_iteratorINS9_6negateIiEESE_NS9_11use_defaultESI_EESE_iNS9_4plusIvEENS9_8equal_toIvEEiEE10hipError_tPvRmT2_T3_T4_T5_mT6_T7_P12ihipStream_tbENKUlT_T0_E_clISt17integral_constantIbLb0EES14_EEDaSZ_S10_EUlSZ_E_NS1_11comp_targetILNS1_3genE10ELNS1_11target_archE1201ELNS1_3gpuE5ELNS1_3repE0EEENS1_30default_config_static_selectorELNS0_4arch9wavefront6targetE0EEEvT1_,comdat
	.protected	_ZN7rocprim17ROCPRIM_400000_NS6detail17trampoline_kernelINS0_14default_configENS1_27scan_by_key_config_selectorIiiEEZZNS1_16scan_by_key_implILNS1_25lookback_scan_determinismE0ELb0ES3_N6thrust23THRUST_200600_302600_NS6detail15normal_iteratorINS9_10device_ptrIiEEEENS9_18transform_iteratorINS9_6negateIiEESE_NS9_11use_defaultESI_EESE_iNS9_4plusIvEENS9_8equal_toIvEEiEE10hipError_tPvRmT2_T3_T4_T5_mT6_T7_P12ihipStream_tbENKUlT_T0_E_clISt17integral_constantIbLb0EES14_EEDaSZ_S10_EUlSZ_E_NS1_11comp_targetILNS1_3genE10ELNS1_11target_archE1201ELNS1_3gpuE5ELNS1_3repE0EEENS1_30default_config_static_selectorELNS0_4arch9wavefront6targetE0EEEvT1_ ; -- Begin function _ZN7rocprim17ROCPRIM_400000_NS6detail17trampoline_kernelINS0_14default_configENS1_27scan_by_key_config_selectorIiiEEZZNS1_16scan_by_key_implILNS1_25lookback_scan_determinismE0ELb0ES3_N6thrust23THRUST_200600_302600_NS6detail15normal_iteratorINS9_10device_ptrIiEEEENS9_18transform_iteratorINS9_6negateIiEESE_NS9_11use_defaultESI_EESE_iNS9_4plusIvEENS9_8equal_toIvEEiEE10hipError_tPvRmT2_T3_T4_T5_mT6_T7_P12ihipStream_tbENKUlT_T0_E_clISt17integral_constantIbLb0EES14_EEDaSZ_S10_EUlSZ_E_NS1_11comp_targetILNS1_3genE10ELNS1_11target_archE1201ELNS1_3gpuE5ELNS1_3repE0EEENS1_30default_config_static_selectorELNS0_4arch9wavefront6targetE0EEEvT1_
	.globl	_ZN7rocprim17ROCPRIM_400000_NS6detail17trampoline_kernelINS0_14default_configENS1_27scan_by_key_config_selectorIiiEEZZNS1_16scan_by_key_implILNS1_25lookback_scan_determinismE0ELb0ES3_N6thrust23THRUST_200600_302600_NS6detail15normal_iteratorINS9_10device_ptrIiEEEENS9_18transform_iteratorINS9_6negateIiEESE_NS9_11use_defaultESI_EESE_iNS9_4plusIvEENS9_8equal_toIvEEiEE10hipError_tPvRmT2_T3_T4_T5_mT6_T7_P12ihipStream_tbENKUlT_T0_E_clISt17integral_constantIbLb0EES14_EEDaSZ_S10_EUlSZ_E_NS1_11comp_targetILNS1_3genE10ELNS1_11target_archE1201ELNS1_3gpuE5ELNS1_3repE0EEENS1_30default_config_static_selectorELNS0_4arch9wavefront6targetE0EEEvT1_
	.p2align	8
	.type	_ZN7rocprim17ROCPRIM_400000_NS6detail17trampoline_kernelINS0_14default_configENS1_27scan_by_key_config_selectorIiiEEZZNS1_16scan_by_key_implILNS1_25lookback_scan_determinismE0ELb0ES3_N6thrust23THRUST_200600_302600_NS6detail15normal_iteratorINS9_10device_ptrIiEEEENS9_18transform_iteratorINS9_6negateIiEESE_NS9_11use_defaultESI_EESE_iNS9_4plusIvEENS9_8equal_toIvEEiEE10hipError_tPvRmT2_T3_T4_T5_mT6_T7_P12ihipStream_tbENKUlT_T0_E_clISt17integral_constantIbLb0EES14_EEDaSZ_S10_EUlSZ_E_NS1_11comp_targetILNS1_3genE10ELNS1_11target_archE1201ELNS1_3gpuE5ELNS1_3repE0EEENS1_30default_config_static_selectorELNS0_4arch9wavefront6targetE0EEEvT1_,@function
_ZN7rocprim17ROCPRIM_400000_NS6detail17trampoline_kernelINS0_14default_configENS1_27scan_by_key_config_selectorIiiEEZZNS1_16scan_by_key_implILNS1_25lookback_scan_determinismE0ELb0ES3_N6thrust23THRUST_200600_302600_NS6detail15normal_iteratorINS9_10device_ptrIiEEEENS9_18transform_iteratorINS9_6negateIiEESE_NS9_11use_defaultESI_EESE_iNS9_4plusIvEENS9_8equal_toIvEEiEE10hipError_tPvRmT2_T3_T4_T5_mT6_T7_P12ihipStream_tbENKUlT_T0_E_clISt17integral_constantIbLb0EES14_EEDaSZ_S10_EUlSZ_E_NS1_11comp_targetILNS1_3genE10ELNS1_11target_archE1201ELNS1_3gpuE5ELNS1_3repE0EEENS1_30default_config_static_selectorELNS0_4arch9wavefront6targetE0EEEvT1_: ; @_ZN7rocprim17ROCPRIM_400000_NS6detail17trampoline_kernelINS0_14default_configENS1_27scan_by_key_config_selectorIiiEEZZNS1_16scan_by_key_implILNS1_25lookback_scan_determinismE0ELb0ES3_N6thrust23THRUST_200600_302600_NS6detail15normal_iteratorINS9_10device_ptrIiEEEENS9_18transform_iteratorINS9_6negateIiEESE_NS9_11use_defaultESI_EESE_iNS9_4plusIvEENS9_8equal_toIvEEiEE10hipError_tPvRmT2_T3_T4_T5_mT6_T7_P12ihipStream_tbENKUlT_T0_E_clISt17integral_constantIbLb0EES14_EEDaSZ_S10_EUlSZ_E_NS1_11comp_targetILNS1_3genE10ELNS1_11target_archE1201ELNS1_3gpuE5ELNS1_3repE0EEENS1_30default_config_static_selectorELNS0_4arch9wavefront6targetE0EEEvT1_
; %bb.0:
	.section	.rodata,"a",@progbits
	.p2align	6, 0x0
	.amdhsa_kernel _ZN7rocprim17ROCPRIM_400000_NS6detail17trampoline_kernelINS0_14default_configENS1_27scan_by_key_config_selectorIiiEEZZNS1_16scan_by_key_implILNS1_25lookback_scan_determinismE0ELb0ES3_N6thrust23THRUST_200600_302600_NS6detail15normal_iteratorINS9_10device_ptrIiEEEENS9_18transform_iteratorINS9_6negateIiEESE_NS9_11use_defaultESI_EESE_iNS9_4plusIvEENS9_8equal_toIvEEiEE10hipError_tPvRmT2_T3_T4_T5_mT6_T7_P12ihipStream_tbENKUlT_T0_E_clISt17integral_constantIbLb0EES14_EEDaSZ_S10_EUlSZ_E_NS1_11comp_targetILNS1_3genE10ELNS1_11target_archE1201ELNS1_3gpuE5ELNS1_3repE0EEENS1_30default_config_static_selectorELNS0_4arch9wavefront6targetE0EEEvT1_
		.amdhsa_group_segment_fixed_size 0
		.amdhsa_private_segment_fixed_size 0
		.amdhsa_kernarg_size 120
		.amdhsa_user_sgpr_count 2
		.amdhsa_user_sgpr_dispatch_ptr 0
		.amdhsa_user_sgpr_queue_ptr 0
		.amdhsa_user_sgpr_kernarg_segment_ptr 1
		.amdhsa_user_sgpr_dispatch_id 0
		.amdhsa_user_sgpr_kernarg_preload_length 0
		.amdhsa_user_sgpr_kernarg_preload_offset 0
		.amdhsa_user_sgpr_private_segment_size 0
		.amdhsa_wavefront_size32 1
		.amdhsa_uses_dynamic_stack 0
		.amdhsa_enable_private_segment 0
		.amdhsa_system_sgpr_workgroup_id_x 1
		.amdhsa_system_sgpr_workgroup_id_y 0
		.amdhsa_system_sgpr_workgroup_id_z 0
		.amdhsa_system_sgpr_workgroup_info 0
		.amdhsa_system_vgpr_workitem_id 0
		.amdhsa_next_free_vgpr 1
		.amdhsa_next_free_sgpr 1
		.amdhsa_named_barrier_count 0
		.amdhsa_reserve_vcc 0
		.amdhsa_float_round_mode_32 0
		.amdhsa_float_round_mode_16_64 0
		.amdhsa_float_denorm_mode_32 3
		.amdhsa_float_denorm_mode_16_64 3
		.amdhsa_fp16_overflow 0
		.amdhsa_memory_ordered 1
		.amdhsa_forward_progress 1
		.amdhsa_inst_pref_size 0
		.amdhsa_round_robin_scheduling 0
		.amdhsa_exception_fp_ieee_invalid_op 0
		.amdhsa_exception_fp_denorm_src 0
		.amdhsa_exception_fp_ieee_div_zero 0
		.amdhsa_exception_fp_ieee_overflow 0
		.amdhsa_exception_fp_ieee_underflow 0
		.amdhsa_exception_fp_ieee_inexact 0
		.amdhsa_exception_int_div_zero 0
	.end_amdhsa_kernel
	.section	.text._ZN7rocprim17ROCPRIM_400000_NS6detail17trampoline_kernelINS0_14default_configENS1_27scan_by_key_config_selectorIiiEEZZNS1_16scan_by_key_implILNS1_25lookback_scan_determinismE0ELb0ES3_N6thrust23THRUST_200600_302600_NS6detail15normal_iteratorINS9_10device_ptrIiEEEENS9_18transform_iteratorINS9_6negateIiEESE_NS9_11use_defaultESI_EESE_iNS9_4plusIvEENS9_8equal_toIvEEiEE10hipError_tPvRmT2_T3_T4_T5_mT6_T7_P12ihipStream_tbENKUlT_T0_E_clISt17integral_constantIbLb0EES14_EEDaSZ_S10_EUlSZ_E_NS1_11comp_targetILNS1_3genE10ELNS1_11target_archE1201ELNS1_3gpuE5ELNS1_3repE0EEENS1_30default_config_static_selectorELNS0_4arch9wavefront6targetE0EEEvT1_,"axG",@progbits,_ZN7rocprim17ROCPRIM_400000_NS6detail17trampoline_kernelINS0_14default_configENS1_27scan_by_key_config_selectorIiiEEZZNS1_16scan_by_key_implILNS1_25lookback_scan_determinismE0ELb0ES3_N6thrust23THRUST_200600_302600_NS6detail15normal_iteratorINS9_10device_ptrIiEEEENS9_18transform_iteratorINS9_6negateIiEESE_NS9_11use_defaultESI_EESE_iNS9_4plusIvEENS9_8equal_toIvEEiEE10hipError_tPvRmT2_T3_T4_T5_mT6_T7_P12ihipStream_tbENKUlT_T0_E_clISt17integral_constantIbLb0EES14_EEDaSZ_S10_EUlSZ_E_NS1_11comp_targetILNS1_3genE10ELNS1_11target_archE1201ELNS1_3gpuE5ELNS1_3repE0EEENS1_30default_config_static_selectorELNS0_4arch9wavefront6targetE0EEEvT1_,comdat
.Lfunc_end930:
	.size	_ZN7rocprim17ROCPRIM_400000_NS6detail17trampoline_kernelINS0_14default_configENS1_27scan_by_key_config_selectorIiiEEZZNS1_16scan_by_key_implILNS1_25lookback_scan_determinismE0ELb0ES3_N6thrust23THRUST_200600_302600_NS6detail15normal_iteratorINS9_10device_ptrIiEEEENS9_18transform_iteratorINS9_6negateIiEESE_NS9_11use_defaultESI_EESE_iNS9_4plusIvEENS9_8equal_toIvEEiEE10hipError_tPvRmT2_T3_T4_T5_mT6_T7_P12ihipStream_tbENKUlT_T0_E_clISt17integral_constantIbLb0EES14_EEDaSZ_S10_EUlSZ_E_NS1_11comp_targetILNS1_3genE10ELNS1_11target_archE1201ELNS1_3gpuE5ELNS1_3repE0EEENS1_30default_config_static_selectorELNS0_4arch9wavefront6targetE0EEEvT1_, .Lfunc_end930-_ZN7rocprim17ROCPRIM_400000_NS6detail17trampoline_kernelINS0_14default_configENS1_27scan_by_key_config_selectorIiiEEZZNS1_16scan_by_key_implILNS1_25lookback_scan_determinismE0ELb0ES3_N6thrust23THRUST_200600_302600_NS6detail15normal_iteratorINS9_10device_ptrIiEEEENS9_18transform_iteratorINS9_6negateIiEESE_NS9_11use_defaultESI_EESE_iNS9_4plusIvEENS9_8equal_toIvEEiEE10hipError_tPvRmT2_T3_T4_T5_mT6_T7_P12ihipStream_tbENKUlT_T0_E_clISt17integral_constantIbLb0EES14_EEDaSZ_S10_EUlSZ_E_NS1_11comp_targetILNS1_3genE10ELNS1_11target_archE1201ELNS1_3gpuE5ELNS1_3repE0EEENS1_30default_config_static_selectorELNS0_4arch9wavefront6targetE0EEEvT1_
                                        ; -- End function
	.set _ZN7rocprim17ROCPRIM_400000_NS6detail17trampoline_kernelINS0_14default_configENS1_27scan_by_key_config_selectorIiiEEZZNS1_16scan_by_key_implILNS1_25lookback_scan_determinismE0ELb0ES3_N6thrust23THRUST_200600_302600_NS6detail15normal_iteratorINS9_10device_ptrIiEEEENS9_18transform_iteratorINS9_6negateIiEESE_NS9_11use_defaultESI_EESE_iNS9_4plusIvEENS9_8equal_toIvEEiEE10hipError_tPvRmT2_T3_T4_T5_mT6_T7_P12ihipStream_tbENKUlT_T0_E_clISt17integral_constantIbLb0EES14_EEDaSZ_S10_EUlSZ_E_NS1_11comp_targetILNS1_3genE10ELNS1_11target_archE1201ELNS1_3gpuE5ELNS1_3repE0EEENS1_30default_config_static_selectorELNS0_4arch9wavefront6targetE0EEEvT1_.num_vgpr, 0
	.set _ZN7rocprim17ROCPRIM_400000_NS6detail17trampoline_kernelINS0_14default_configENS1_27scan_by_key_config_selectorIiiEEZZNS1_16scan_by_key_implILNS1_25lookback_scan_determinismE0ELb0ES3_N6thrust23THRUST_200600_302600_NS6detail15normal_iteratorINS9_10device_ptrIiEEEENS9_18transform_iteratorINS9_6negateIiEESE_NS9_11use_defaultESI_EESE_iNS9_4plusIvEENS9_8equal_toIvEEiEE10hipError_tPvRmT2_T3_T4_T5_mT6_T7_P12ihipStream_tbENKUlT_T0_E_clISt17integral_constantIbLb0EES14_EEDaSZ_S10_EUlSZ_E_NS1_11comp_targetILNS1_3genE10ELNS1_11target_archE1201ELNS1_3gpuE5ELNS1_3repE0EEENS1_30default_config_static_selectorELNS0_4arch9wavefront6targetE0EEEvT1_.num_agpr, 0
	.set _ZN7rocprim17ROCPRIM_400000_NS6detail17trampoline_kernelINS0_14default_configENS1_27scan_by_key_config_selectorIiiEEZZNS1_16scan_by_key_implILNS1_25lookback_scan_determinismE0ELb0ES3_N6thrust23THRUST_200600_302600_NS6detail15normal_iteratorINS9_10device_ptrIiEEEENS9_18transform_iteratorINS9_6negateIiEESE_NS9_11use_defaultESI_EESE_iNS9_4plusIvEENS9_8equal_toIvEEiEE10hipError_tPvRmT2_T3_T4_T5_mT6_T7_P12ihipStream_tbENKUlT_T0_E_clISt17integral_constantIbLb0EES14_EEDaSZ_S10_EUlSZ_E_NS1_11comp_targetILNS1_3genE10ELNS1_11target_archE1201ELNS1_3gpuE5ELNS1_3repE0EEENS1_30default_config_static_selectorELNS0_4arch9wavefront6targetE0EEEvT1_.numbered_sgpr, 0
	.set _ZN7rocprim17ROCPRIM_400000_NS6detail17trampoline_kernelINS0_14default_configENS1_27scan_by_key_config_selectorIiiEEZZNS1_16scan_by_key_implILNS1_25lookback_scan_determinismE0ELb0ES3_N6thrust23THRUST_200600_302600_NS6detail15normal_iteratorINS9_10device_ptrIiEEEENS9_18transform_iteratorINS9_6negateIiEESE_NS9_11use_defaultESI_EESE_iNS9_4plusIvEENS9_8equal_toIvEEiEE10hipError_tPvRmT2_T3_T4_T5_mT6_T7_P12ihipStream_tbENKUlT_T0_E_clISt17integral_constantIbLb0EES14_EEDaSZ_S10_EUlSZ_E_NS1_11comp_targetILNS1_3genE10ELNS1_11target_archE1201ELNS1_3gpuE5ELNS1_3repE0EEENS1_30default_config_static_selectorELNS0_4arch9wavefront6targetE0EEEvT1_.num_named_barrier, 0
	.set _ZN7rocprim17ROCPRIM_400000_NS6detail17trampoline_kernelINS0_14default_configENS1_27scan_by_key_config_selectorIiiEEZZNS1_16scan_by_key_implILNS1_25lookback_scan_determinismE0ELb0ES3_N6thrust23THRUST_200600_302600_NS6detail15normal_iteratorINS9_10device_ptrIiEEEENS9_18transform_iteratorINS9_6negateIiEESE_NS9_11use_defaultESI_EESE_iNS9_4plusIvEENS9_8equal_toIvEEiEE10hipError_tPvRmT2_T3_T4_T5_mT6_T7_P12ihipStream_tbENKUlT_T0_E_clISt17integral_constantIbLb0EES14_EEDaSZ_S10_EUlSZ_E_NS1_11comp_targetILNS1_3genE10ELNS1_11target_archE1201ELNS1_3gpuE5ELNS1_3repE0EEENS1_30default_config_static_selectorELNS0_4arch9wavefront6targetE0EEEvT1_.private_seg_size, 0
	.set _ZN7rocprim17ROCPRIM_400000_NS6detail17trampoline_kernelINS0_14default_configENS1_27scan_by_key_config_selectorIiiEEZZNS1_16scan_by_key_implILNS1_25lookback_scan_determinismE0ELb0ES3_N6thrust23THRUST_200600_302600_NS6detail15normal_iteratorINS9_10device_ptrIiEEEENS9_18transform_iteratorINS9_6negateIiEESE_NS9_11use_defaultESI_EESE_iNS9_4plusIvEENS9_8equal_toIvEEiEE10hipError_tPvRmT2_T3_T4_T5_mT6_T7_P12ihipStream_tbENKUlT_T0_E_clISt17integral_constantIbLb0EES14_EEDaSZ_S10_EUlSZ_E_NS1_11comp_targetILNS1_3genE10ELNS1_11target_archE1201ELNS1_3gpuE5ELNS1_3repE0EEENS1_30default_config_static_selectorELNS0_4arch9wavefront6targetE0EEEvT1_.uses_vcc, 0
	.set _ZN7rocprim17ROCPRIM_400000_NS6detail17trampoline_kernelINS0_14default_configENS1_27scan_by_key_config_selectorIiiEEZZNS1_16scan_by_key_implILNS1_25lookback_scan_determinismE0ELb0ES3_N6thrust23THRUST_200600_302600_NS6detail15normal_iteratorINS9_10device_ptrIiEEEENS9_18transform_iteratorINS9_6negateIiEESE_NS9_11use_defaultESI_EESE_iNS9_4plusIvEENS9_8equal_toIvEEiEE10hipError_tPvRmT2_T3_T4_T5_mT6_T7_P12ihipStream_tbENKUlT_T0_E_clISt17integral_constantIbLb0EES14_EEDaSZ_S10_EUlSZ_E_NS1_11comp_targetILNS1_3genE10ELNS1_11target_archE1201ELNS1_3gpuE5ELNS1_3repE0EEENS1_30default_config_static_selectorELNS0_4arch9wavefront6targetE0EEEvT1_.uses_flat_scratch, 0
	.set _ZN7rocprim17ROCPRIM_400000_NS6detail17trampoline_kernelINS0_14default_configENS1_27scan_by_key_config_selectorIiiEEZZNS1_16scan_by_key_implILNS1_25lookback_scan_determinismE0ELb0ES3_N6thrust23THRUST_200600_302600_NS6detail15normal_iteratorINS9_10device_ptrIiEEEENS9_18transform_iteratorINS9_6negateIiEESE_NS9_11use_defaultESI_EESE_iNS9_4plusIvEENS9_8equal_toIvEEiEE10hipError_tPvRmT2_T3_T4_T5_mT6_T7_P12ihipStream_tbENKUlT_T0_E_clISt17integral_constantIbLb0EES14_EEDaSZ_S10_EUlSZ_E_NS1_11comp_targetILNS1_3genE10ELNS1_11target_archE1201ELNS1_3gpuE5ELNS1_3repE0EEENS1_30default_config_static_selectorELNS0_4arch9wavefront6targetE0EEEvT1_.has_dyn_sized_stack, 0
	.set _ZN7rocprim17ROCPRIM_400000_NS6detail17trampoline_kernelINS0_14default_configENS1_27scan_by_key_config_selectorIiiEEZZNS1_16scan_by_key_implILNS1_25lookback_scan_determinismE0ELb0ES3_N6thrust23THRUST_200600_302600_NS6detail15normal_iteratorINS9_10device_ptrIiEEEENS9_18transform_iteratorINS9_6negateIiEESE_NS9_11use_defaultESI_EESE_iNS9_4plusIvEENS9_8equal_toIvEEiEE10hipError_tPvRmT2_T3_T4_T5_mT6_T7_P12ihipStream_tbENKUlT_T0_E_clISt17integral_constantIbLb0EES14_EEDaSZ_S10_EUlSZ_E_NS1_11comp_targetILNS1_3genE10ELNS1_11target_archE1201ELNS1_3gpuE5ELNS1_3repE0EEENS1_30default_config_static_selectorELNS0_4arch9wavefront6targetE0EEEvT1_.has_recursion, 0
	.set _ZN7rocprim17ROCPRIM_400000_NS6detail17trampoline_kernelINS0_14default_configENS1_27scan_by_key_config_selectorIiiEEZZNS1_16scan_by_key_implILNS1_25lookback_scan_determinismE0ELb0ES3_N6thrust23THRUST_200600_302600_NS6detail15normal_iteratorINS9_10device_ptrIiEEEENS9_18transform_iteratorINS9_6negateIiEESE_NS9_11use_defaultESI_EESE_iNS9_4plusIvEENS9_8equal_toIvEEiEE10hipError_tPvRmT2_T3_T4_T5_mT6_T7_P12ihipStream_tbENKUlT_T0_E_clISt17integral_constantIbLb0EES14_EEDaSZ_S10_EUlSZ_E_NS1_11comp_targetILNS1_3genE10ELNS1_11target_archE1201ELNS1_3gpuE5ELNS1_3repE0EEENS1_30default_config_static_selectorELNS0_4arch9wavefront6targetE0EEEvT1_.has_indirect_call, 0
	.section	.AMDGPU.csdata,"",@progbits
; Kernel info:
; codeLenInByte = 0
; TotalNumSgprs: 0
; NumVgprs: 0
; ScratchSize: 0
; MemoryBound: 0
; FloatMode: 240
; IeeeMode: 1
; LDSByteSize: 0 bytes/workgroup (compile time only)
; SGPRBlocks: 0
; VGPRBlocks: 0
; NumSGPRsForWavesPerEU: 1
; NumVGPRsForWavesPerEU: 1
; NamedBarCnt: 0
; Occupancy: 16
; WaveLimiterHint : 0
; COMPUTE_PGM_RSRC2:SCRATCH_EN: 0
; COMPUTE_PGM_RSRC2:USER_SGPR: 2
; COMPUTE_PGM_RSRC2:TRAP_HANDLER: 0
; COMPUTE_PGM_RSRC2:TGID_X_EN: 1
; COMPUTE_PGM_RSRC2:TGID_Y_EN: 0
; COMPUTE_PGM_RSRC2:TGID_Z_EN: 0
; COMPUTE_PGM_RSRC2:TIDIG_COMP_CNT: 0
	.section	.text._ZN7rocprim17ROCPRIM_400000_NS6detail17trampoline_kernelINS0_14default_configENS1_27scan_by_key_config_selectorIiiEEZZNS1_16scan_by_key_implILNS1_25lookback_scan_determinismE0ELb0ES3_N6thrust23THRUST_200600_302600_NS6detail15normal_iteratorINS9_10device_ptrIiEEEENS9_18transform_iteratorINS9_6negateIiEESE_NS9_11use_defaultESI_EESE_iNS9_4plusIvEENS9_8equal_toIvEEiEE10hipError_tPvRmT2_T3_T4_T5_mT6_T7_P12ihipStream_tbENKUlT_T0_E_clISt17integral_constantIbLb0EES14_EEDaSZ_S10_EUlSZ_E_NS1_11comp_targetILNS1_3genE5ELNS1_11target_archE942ELNS1_3gpuE9ELNS1_3repE0EEENS1_30default_config_static_selectorELNS0_4arch9wavefront6targetE0EEEvT1_,"axG",@progbits,_ZN7rocprim17ROCPRIM_400000_NS6detail17trampoline_kernelINS0_14default_configENS1_27scan_by_key_config_selectorIiiEEZZNS1_16scan_by_key_implILNS1_25lookback_scan_determinismE0ELb0ES3_N6thrust23THRUST_200600_302600_NS6detail15normal_iteratorINS9_10device_ptrIiEEEENS9_18transform_iteratorINS9_6negateIiEESE_NS9_11use_defaultESI_EESE_iNS9_4plusIvEENS9_8equal_toIvEEiEE10hipError_tPvRmT2_T3_T4_T5_mT6_T7_P12ihipStream_tbENKUlT_T0_E_clISt17integral_constantIbLb0EES14_EEDaSZ_S10_EUlSZ_E_NS1_11comp_targetILNS1_3genE5ELNS1_11target_archE942ELNS1_3gpuE9ELNS1_3repE0EEENS1_30default_config_static_selectorELNS0_4arch9wavefront6targetE0EEEvT1_,comdat
	.protected	_ZN7rocprim17ROCPRIM_400000_NS6detail17trampoline_kernelINS0_14default_configENS1_27scan_by_key_config_selectorIiiEEZZNS1_16scan_by_key_implILNS1_25lookback_scan_determinismE0ELb0ES3_N6thrust23THRUST_200600_302600_NS6detail15normal_iteratorINS9_10device_ptrIiEEEENS9_18transform_iteratorINS9_6negateIiEESE_NS9_11use_defaultESI_EESE_iNS9_4plusIvEENS9_8equal_toIvEEiEE10hipError_tPvRmT2_T3_T4_T5_mT6_T7_P12ihipStream_tbENKUlT_T0_E_clISt17integral_constantIbLb0EES14_EEDaSZ_S10_EUlSZ_E_NS1_11comp_targetILNS1_3genE5ELNS1_11target_archE942ELNS1_3gpuE9ELNS1_3repE0EEENS1_30default_config_static_selectorELNS0_4arch9wavefront6targetE0EEEvT1_ ; -- Begin function _ZN7rocprim17ROCPRIM_400000_NS6detail17trampoline_kernelINS0_14default_configENS1_27scan_by_key_config_selectorIiiEEZZNS1_16scan_by_key_implILNS1_25lookback_scan_determinismE0ELb0ES3_N6thrust23THRUST_200600_302600_NS6detail15normal_iteratorINS9_10device_ptrIiEEEENS9_18transform_iteratorINS9_6negateIiEESE_NS9_11use_defaultESI_EESE_iNS9_4plusIvEENS9_8equal_toIvEEiEE10hipError_tPvRmT2_T3_T4_T5_mT6_T7_P12ihipStream_tbENKUlT_T0_E_clISt17integral_constantIbLb0EES14_EEDaSZ_S10_EUlSZ_E_NS1_11comp_targetILNS1_3genE5ELNS1_11target_archE942ELNS1_3gpuE9ELNS1_3repE0EEENS1_30default_config_static_selectorELNS0_4arch9wavefront6targetE0EEEvT1_
	.globl	_ZN7rocprim17ROCPRIM_400000_NS6detail17trampoline_kernelINS0_14default_configENS1_27scan_by_key_config_selectorIiiEEZZNS1_16scan_by_key_implILNS1_25lookback_scan_determinismE0ELb0ES3_N6thrust23THRUST_200600_302600_NS6detail15normal_iteratorINS9_10device_ptrIiEEEENS9_18transform_iteratorINS9_6negateIiEESE_NS9_11use_defaultESI_EESE_iNS9_4plusIvEENS9_8equal_toIvEEiEE10hipError_tPvRmT2_T3_T4_T5_mT6_T7_P12ihipStream_tbENKUlT_T0_E_clISt17integral_constantIbLb0EES14_EEDaSZ_S10_EUlSZ_E_NS1_11comp_targetILNS1_3genE5ELNS1_11target_archE942ELNS1_3gpuE9ELNS1_3repE0EEENS1_30default_config_static_selectorELNS0_4arch9wavefront6targetE0EEEvT1_
	.p2align	8
	.type	_ZN7rocprim17ROCPRIM_400000_NS6detail17trampoline_kernelINS0_14default_configENS1_27scan_by_key_config_selectorIiiEEZZNS1_16scan_by_key_implILNS1_25lookback_scan_determinismE0ELb0ES3_N6thrust23THRUST_200600_302600_NS6detail15normal_iteratorINS9_10device_ptrIiEEEENS9_18transform_iteratorINS9_6negateIiEESE_NS9_11use_defaultESI_EESE_iNS9_4plusIvEENS9_8equal_toIvEEiEE10hipError_tPvRmT2_T3_T4_T5_mT6_T7_P12ihipStream_tbENKUlT_T0_E_clISt17integral_constantIbLb0EES14_EEDaSZ_S10_EUlSZ_E_NS1_11comp_targetILNS1_3genE5ELNS1_11target_archE942ELNS1_3gpuE9ELNS1_3repE0EEENS1_30default_config_static_selectorELNS0_4arch9wavefront6targetE0EEEvT1_,@function
_ZN7rocprim17ROCPRIM_400000_NS6detail17trampoline_kernelINS0_14default_configENS1_27scan_by_key_config_selectorIiiEEZZNS1_16scan_by_key_implILNS1_25lookback_scan_determinismE0ELb0ES3_N6thrust23THRUST_200600_302600_NS6detail15normal_iteratorINS9_10device_ptrIiEEEENS9_18transform_iteratorINS9_6negateIiEESE_NS9_11use_defaultESI_EESE_iNS9_4plusIvEENS9_8equal_toIvEEiEE10hipError_tPvRmT2_T3_T4_T5_mT6_T7_P12ihipStream_tbENKUlT_T0_E_clISt17integral_constantIbLb0EES14_EEDaSZ_S10_EUlSZ_E_NS1_11comp_targetILNS1_3genE5ELNS1_11target_archE942ELNS1_3gpuE9ELNS1_3repE0EEENS1_30default_config_static_selectorELNS0_4arch9wavefront6targetE0EEEvT1_: ; @_ZN7rocprim17ROCPRIM_400000_NS6detail17trampoline_kernelINS0_14default_configENS1_27scan_by_key_config_selectorIiiEEZZNS1_16scan_by_key_implILNS1_25lookback_scan_determinismE0ELb0ES3_N6thrust23THRUST_200600_302600_NS6detail15normal_iteratorINS9_10device_ptrIiEEEENS9_18transform_iteratorINS9_6negateIiEESE_NS9_11use_defaultESI_EESE_iNS9_4plusIvEENS9_8equal_toIvEEiEE10hipError_tPvRmT2_T3_T4_T5_mT6_T7_P12ihipStream_tbENKUlT_T0_E_clISt17integral_constantIbLb0EES14_EEDaSZ_S10_EUlSZ_E_NS1_11comp_targetILNS1_3genE5ELNS1_11target_archE942ELNS1_3gpuE9ELNS1_3repE0EEENS1_30default_config_static_selectorELNS0_4arch9wavefront6targetE0EEEvT1_
; %bb.0:
	.section	.rodata,"a",@progbits
	.p2align	6, 0x0
	.amdhsa_kernel _ZN7rocprim17ROCPRIM_400000_NS6detail17trampoline_kernelINS0_14default_configENS1_27scan_by_key_config_selectorIiiEEZZNS1_16scan_by_key_implILNS1_25lookback_scan_determinismE0ELb0ES3_N6thrust23THRUST_200600_302600_NS6detail15normal_iteratorINS9_10device_ptrIiEEEENS9_18transform_iteratorINS9_6negateIiEESE_NS9_11use_defaultESI_EESE_iNS9_4plusIvEENS9_8equal_toIvEEiEE10hipError_tPvRmT2_T3_T4_T5_mT6_T7_P12ihipStream_tbENKUlT_T0_E_clISt17integral_constantIbLb0EES14_EEDaSZ_S10_EUlSZ_E_NS1_11comp_targetILNS1_3genE5ELNS1_11target_archE942ELNS1_3gpuE9ELNS1_3repE0EEENS1_30default_config_static_selectorELNS0_4arch9wavefront6targetE0EEEvT1_
		.amdhsa_group_segment_fixed_size 0
		.amdhsa_private_segment_fixed_size 0
		.amdhsa_kernarg_size 120
		.amdhsa_user_sgpr_count 2
		.amdhsa_user_sgpr_dispatch_ptr 0
		.amdhsa_user_sgpr_queue_ptr 0
		.amdhsa_user_sgpr_kernarg_segment_ptr 1
		.amdhsa_user_sgpr_dispatch_id 0
		.amdhsa_user_sgpr_kernarg_preload_length 0
		.amdhsa_user_sgpr_kernarg_preload_offset 0
		.amdhsa_user_sgpr_private_segment_size 0
		.amdhsa_wavefront_size32 1
		.amdhsa_uses_dynamic_stack 0
		.amdhsa_enable_private_segment 0
		.amdhsa_system_sgpr_workgroup_id_x 1
		.amdhsa_system_sgpr_workgroup_id_y 0
		.amdhsa_system_sgpr_workgroup_id_z 0
		.amdhsa_system_sgpr_workgroup_info 0
		.amdhsa_system_vgpr_workitem_id 0
		.amdhsa_next_free_vgpr 1
		.amdhsa_next_free_sgpr 1
		.amdhsa_named_barrier_count 0
		.amdhsa_reserve_vcc 0
		.amdhsa_float_round_mode_32 0
		.amdhsa_float_round_mode_16_64 0
		.amdhsa_float_denorm_mode_32 3
		.amdhsa_float_denorm_mode_16_64 3
		.amdhsa_fp16_overflow 0
		.amdhsa_memory_ordered 1
		.amdhsa_forward_progress 1
		.amdhsa_inst_pref_size 0
		.amdhsa_round_robin_scheduling 0
		.amdhsa_exception_fp_ieee_invalid_op 0
		.amdhsa_exception_fp_denorm_src 0
		.amdhsa_exception_fp_ieee_div_zero 0
		.amdhsa_exception_fp_ieee_overflow 0
		.amdhsa_exception_fp_ieee_underflow 0
		.amdhsa_exception_fp_ieee_inexact 0
		.amdhsa_exception_int_div_zero 0
	.end_amdhsa_kernel
	.section	.text._ZN7rocprim17ROCPRIM_400000_NS6detail17trampoline_kernelINS0_14default_configENS1_27scan_by_key_config_selectorIiiEEZZNS1_16scan_by_key_implILNS1_25lookback_scan_determinismE0ELb0ES3_N6thrust23THRUST_200600_302600_NS6detail15normal_iteratorINS9_10device_ptrIiEEEENS9_18transform_iteratorINS9_6negateIiEESE_NS9_11use_defaultESI_EESE_iNS9_4plusIvEENS9_8equal_toIvEEiEE10hipError_tPvRmT2_T3_T4_T5_mT6_T7_P12ihipStream_tbENKUlT_T0_E_clISt17integral_constantIbLb0EES14_EEDaSZ_S10_EUlSZ_E_NS1_11comp_targetILNS1_3genE5ELNS1_11target_archE942ELNS1_3gpuE9ELNS1_3repE0EEENS1_30default_config_static_selectorELNS0_4arch9wavefront6targetE0EEEvT1_,"axG",@progbits,_ZN7rocprim17ROCPRIM_400000_NS6detail17trampoline_kernelINS0_14default_configENS1_27scan_by_key_config_selectorIiiEEZZNS1_16scan_by_key_implILNS1_25lookback_scan_determinismE0ELb0ES3_N6thrust23THRUST_200600_302600_NS6detail15normal_iteratorINS9_10device_ptrIiEEEENS9_18transform_iteratorINS9_6negateIiEESE_NS9_11use_defaultESI_EESE_iNS9_4plusIvEENS9_8equal_toIvEEiEE10hipError_tPvRmT2_T3_T4_T5_mT6_T7_P12ihipStream_tbENKUlT_T0_E_clISt17integral_constantIbLb0EES14_EEDaSZ_S10_EUlSZ_E_NS1_11comp_targetILNS1_3genE5ELNS1_11target_archE942ELNS1_3gpuE9ELNS1_3repE0EEENS1_30default_config_static_selectorELNS0_4arch9wavefront6targetE0EEEvT1_,comdat
.Lfunc_end931:
	.size	_ZN7rocprim17ROCPRIM_400000_NS6detail17trampoline_kernelINS0_14default_configENS1_27scan_by_key_config_selectorIiiEEZZNS1_16scan_by_key_implILNS1_25lookback_scan_determinismE0ELb0ES3_N6thrust23THRUST_200600_302600_NS6detail15normal_iteratorINS9_10device_ptrIiEEEENS9_18transform_iteratorINS9_6negateIiEESE_NS9_11use_defaultESI_EESE_iNS9_4plusIvEENS9_8equal_toIvEEiEE10hipError_tPvRmT2_T3_T4_T5_mT6_T7_P12ihipStream_tbENKUlT_T0_E_clISt17integral_constantIbLb0EES14_EEDaSZ_S10_EUlSZ_E_NS1_11comp_targetILNS1_3genE5ELNS1_11target_archE942ELNS1_3gpuE9ELNS1_3repE0EEENS1_30default_config_static_selectorELNS0_4arch9wavefront6targetE0EEEvT1_, .Lfunc_end931-_ZN7rocprim17ROCPRIM_400000_NS6detail17trampoline_kernelINS0_14default_configENS1_27scan_by_key_config_selectorIiiEEZZNS1_16scan_by_key_implILNS1_25lookback_scan_determinismE0ELb0ES3_N6thrust23THRUST_200600_302600_NS6detail15normal_iteratorINS9_10device_ptrIiEEEENS9_18transform_iteratorINS9_6negateIiEESE_NS9_11use_defaultESI_EESE_iNS9_4plusIvEENS9_8equal_toIvEEiEE10hipError_tPvRmT2_T3_T4_T5_mT6_T7_P12ihipStream_tbENKUlT_T0_E_clISt17integral_constantIbLb0EES14_EEDaSZ_S10_EUlSZ_E_NS1_11comp_targetILNS1_3genE5ELNS1_11target_archE942ELNS1_3gpuE9ELNS1_3repE0EEENS1_30default_config_static_selectorELNS0_4arch9wavefront6targetE0EEEvT1_
                                        ; -- End function
	.set _ZN7rocprim17ROCPRIM_400000_NS6detail17trampoline_kernelINS0_14default_configENS1_27scan_by_key_config_selectorIiiEEZZNS1_16scan_by_key_implILNS1_25lookback_scan_determinismE0ELb0ES3_N6thrust23THRUST_200600_302600_NS6detail15normal_iteratorINS9_10device_ptrIiEEEENS9_18transform_iteratorINS9_6negateIiEESE_NS9_11use_defaultESI_EESE_iNS9_4plusIvEENS9_8equal_toIvEEiEE10hipError_tPvRmT2_T3_T4_T5_mT6_T7_P12ihipStream_tbENKUlT_T0_E_clISt17integral_constantIbLb0EES14_EEDaSZ_S10_EUlSZ_E_NS1_11comp_targetILNS1_3genE5ELNS1_11target_archE942ELNS1_3gpuE9ELNS1_3repE0EEENS1_30default_config_static_selectorELNS0_4arch9wavefront6targetE0EEEvT1_.num_vgpr, 0
	.set _ZN7rocprim17ROCPRIM_400000_NS6detail17trampoline_kernelINS0_14default_configENS1_27scan_by_key_config_selectorIiiEEZZNS1_16scan_by_key_implILNS1_25lookback_scan_determinismE0ELb0ES3_N6thrust23THRUST_200600_302600_NS6detail15normal_iteratorINS9_10device_ptrIiEEEENS9_18transform_iteratorINS9_6negateIiEESE_NS9_11use_defaultESI_EESE_iNS9_4plusIvEENS9_8equal_toIvEEiEE10hipError_tPvRmT2_T3_T4_T5_mT6_T7_P12ihipStream_tbENKUlT_T0_E_clISt17integral_constantIbLb0EES14_EEDaSZ_S10_EUlSZ_E_NS1_11comp_targetILNS1_3genE5ELNS1_11target_archE942ELNS1_3gpuE9ELNS1_3repE0EEENS1_30default_config_static_selectorELNS0_4arch9wavefront6targetE0EEEvT1_.num_agpr, 0
	.set _ZN7rocprim17ROCPRIM_400000_NS6detail17trampoline_kernelINS0_14default_configENS1_27scan_by_key_config_selectorIiiEEZZNS1_16scan_by_key_implILNS1_25lookback_scan_determinismE0ELb0ES3_N6thrust23THRUST_200600_302600_NS6detail15normal_iteratorINS9_10device_ptrIiEEEENS9_18transform_iteratorINS9_6negateIiEESE_NS9_11use_defaultESI_EESE_iNS9_4plusIvEENS9_8equal_toIvEEiEE10hipError_tPvRmT2_T3_T4_T5_mT6_T7_P12ihipStream_tbENKUlT_T0_E_clISt17integral_constantIbLb0EES14_EEDaSZ_S10_EUlSZ_E_NS1_11comp_targetILNS1_3genE5ELNS1_11target_archE942ELNS1_3gpuE9ELNS1_3repE0EEENS1_30default_config_static_selectorELNS0_4arch9wavefront6targetE0EEEvT1_.numbered_sgpr, 0
	.set _ZN7rocprim17ROCPRIM_400000_NS6detail17trampoline_kernelINS0_14default_configENS1_27scan_by_key_config_selectorIiiEEZZNS1_16scan_by_key_implILNS1_25lookback_scan_determinismE0ELb0ES3_N6thrust23THRUST_200600_302600_NS6detail15normal_iteratorINS9_10device_ptrIiEEEENS9_18transform_iteratorINS9_6negateIiEESE_NS9_11use_defaultESI_EESE_iNS9_4plusIvEENS9_8equal_toIvEEiEE10hipError_tPvRmT2_T3_T4_T5_mT6_T7_P12ihipStream_tbENKUlT_T0_E_clISt17integral_constantIbLb0EES14_EEDaSZ_S10_EUlSZ_E_NS1_11comp_targetILNS1_3genE5ELNS1_11target_archE942ELNS1_3gpuE9ELNS1_3repE0EEENS1_30default_config_static_selectorELNS0_4arch9wavefront6targetE0EEEvT1_.num_named_barrier, 0
	.set _ZN7rocprim17ROCPRIM_400000_NS6detail17trampoline_kernelINS0_14default_configENS1_27scan_by_key_config_selectorIiiEEZZNS1_16scan_by_key_implILNS1_25lookback_scan_determinismE0ELb0ES3_N6thrust23THRUST_200600_302600_NS6detail15normal_iteratorINS9_10device_ptrIiEEEENS9_18transform_iteratorINS9_6negateIiEESE_NS9_11use_defaultESI_EESE_iNS9_4plusIvEENS9_8equal_toIvEEiEE10hipError_tPvRmT2_T3_T4_T5_mT6_T7_P12ihipStream_tbENKUlT_T0_E_clISt17integral_constantIbLb0EES14_EEDaSZ_S10_EUlSZ_E_NS1_11comp_targetILNS1_3genE5ELNS1_11target_archE942ELNS1_3gpuE9ELNS1_3repE0EEENS1_30default_config_static_selectorELNS0_4arch9wavefront6targetE0EEEvT1_.private_seg_size, 0
	.set _ZN7rocprim17ROCPRIM_400000_NS6detail17trampoline_kernelINS0_14default_configENS1_27scan_by_key_config_selectorIiiEEZZNS1_16scan_by_key_implILNS1_25lookback_scan_determinismE0ELb0ES3_N6thrust23THRUST_200600_302600_NS6detail15normal_iteratorINS9_10device_ptrIiEEEENS9_18transform_iteratorINS9_6negateIiEESE_NS9_11use_defaultESI_EESE_iNS9_4plusIvEENS9_8equal_toIvEEiEE10hipError_tPvRmT2_T3_T4_T5_mT6_T7_P12ihipStream_tbENKUlT_T0_E_clISt17integral_constantIbLb0EES14_EEDaSZ_S10_EUlSZ_E_NS1_11comp_targetILNS1_3genE5ELNS1_11target_archE942ELNS1_3gpuE9ELNS1_3repE0EEENS1_30default_config_static_selectorELNS0_4arch9wavefront6targetE0EEEvT1_.uses_vcc, 0
	.set _ZN7rocprim17ROCPRIM_400000_NS6detail17trampoline_kernelINS0_14default_configENS1_27scan_by_key_config_selectorIiiEEZZNS1_16scan_by_key_implILNS1_25lookback_scan_determinismE0ELb0ES3_N6thrust23THRUST_200600_302600_NS6detail15normal_iteratorINS9_10device_ptrIiEEEENS9_18transform_iteratorINS9_6negateIiEESE_NS9_11use_defaultESI_EESE_iNS9_4plusIvEENS9_8equal_toIvEEiEE10hipError_tPvRmT2_T3_T4_T5_mT6_T7_P12ihipStream_tbENKUlT_T0_E_clISt17integral_constantIbLb0EES14_EEDaSZ_S10_EUlSZ_E_NS1_11comp_targetILNS1_3genE5ELNS1_11target_archE942ELNS1_3gpuE9ELNS1_3repE0EEENS1_30default_config_static_selectorELNS0_4arch9wavefront6targetE0EEEvT1_.uses_flat_scratch, 0
	.set _ZN7rocprim17ROCPRIM_400000_NS6detail17trampoline_kernelINS0_14default_configENS1_27scan_by_key_config_selectorIiiEEZZNS1_16scan_by_key_implILNS1_25lookback_scan_determinismE0ELb0ES3_N6thrust23THRUST_200600_302600_NS6detail15normal_iteratorINS9_10device_ptrIiEEEENS9_18transform_iteratorINS9_6negateIiEESE_NS9_11use_defaultESI_EESE_iNS9_4plusIvEENS9_8equal_toIvEEiEE10hipError_tPvRmT2_T3_T4_T5_mT6_T7_P12ihipStream_tbENKUlT_T0_E_clISt17integral_constantIbLb0EES14_EEDaSZ_S10_EUlSZ_E_NS1_11comp_targetILNS1_3genE5ELNS1_11target_archE942ELNS1_3gpuE9ELNS1_3repE0EEENS1_30default_config_static_selectorELNS0_4arch9wavefront6targetE0EEEvT1_.has_dyn_sized_stack, 0
	.set _ZN7rocprim17ROCPRIM_400000_NS6detail17trampoline_kernelINS0_14default_configENS1_27scan_by_key_config_selectorIiiEEZZNS1_16scan_by_key_implILNS1_25lookback_scan_determinismE0ELb0ES3_N6thrust23THRUST_200600_302600_NS6detail15normal_iteratorINS9_10device_ptrIiEEEENS9_18transform_iteratorINS9_6negateIiEESE_NS9_11use_defaultESI_EESE_iNS9_4plusIvEENS9_8equal_toIvEEiEE10hipError_tPvRmT2_T3_T4_T5_mT6_T7_P12ihipStream_tbENKUlT_T0_E_clISt17integral_constantIbLb0EES14_EEDaSZ_S10_EUlSZ_E_NS1_11comp_targetILNS1_3genE5ELNS1_11target_archE942ELNS1_3gpuE9ELNS1_3repE0EEENS1_30default_config_static_selectorELNS0_4arch9wavefront6targetE0EEEvT1_.has_recursion, 0
	.set _ZN7rocprim17ROCPRIM_400000_NS6detail17trampoline_kernelINS0_14default_configENS1_27scan_by_key_config_selectorIiiEEZZNS1_16scan_by_key_implILNS1_25lookback_scan_determinismE0ELb0ES3_N6thrust23THRUST_200600_302600_NS6detail15normal_iteratorINS9_10device_ptrIiEEEENS9_18transform_iteratorINS9_6negateIiEESE_NS9_11use_defaultESI_EESE_iNS9_4plusIvEENS9_8equal_toIvEEiEE10hipError_tPvRmT2_T3_T4_T5_mT6_T7_P12ihipStream_tbENKUlT_T0_E_clISt17integral_constantIbLb0EES14_EEDaSZ_S10_EUlSZ_E_NS1_11comp_targetILNS1_3genE5ELNS1_11target_archE942ELNS1_3gpuE9ELNS1_3repE0EEENS1_30default_config_static_selectorELNS0_4arch9wavefront6targetE0EEEvT1_.has_indirect_call, 0
	.section	.AMDGPU.csdata,"",@progbits
; Kernel info:
; codeLenInByte = 0
; TotalNumSgprs: 0
; NumVgprs: 0
; ScratchSize: 0
; MemoryBound: 0
; FloatMode: 240
; IeeeMode: 1
; LDSByteSize: 0 bytes/workgroup (compile time only)
; SGPRBlocks: 0
; VGPRBlocks: 0
; NumSGPRsForWavesPerEU: 1
; NumVGPRsForWavesPerEU: 1
; NamedBarCnt: 0
; Occupancy: 16
; WaveLimiterHint : 0
; COMPUTE_PGM_RSRC2:SCRATCH_EN: 0
; COMPUTE_PGM_RSRC2:USER_SGPR: 2
; COMPUTE_PGM_RSRC2:TRAP_HANDLER: 0
; COMPUTE_PGM_RSRC2:TGID_X_EN: 1
; COMPUTE_PGM_RSRC2:TGID_Y_EN: 0
; COMPUTE_PGM_RSRC2:TGID_Z_EN: 0
; COMPUTE_PGM_RSRC2:TIDIG_COMP_CNT: 0
	.section	.text._ZN7rocprim17ROCPRIM_400000_NS6detail17trampoline_kernelINS0_14default_configENS1_27scan_by_key_config_selectorIiiEEZZNS1_16scan_by_key_implILNS1_25lookback_scan_determinismE0ELb0ES3_N6thrust23THRUST_200600_302600_NS6detail15normal_iteratorINS9_10device_ptrIiEEEENS9_18transform_iteratorINS9_6negateIiEESE_NS9_11use_defaultESI_EESE_iNS9_4plusIvEENS9_8equal_toIvEEiEE10hipError_tPvRmT2_T3_T4_T5_mT6_T7_P12ihipStream_tbENKUlT_T0_E_clISt17integral_constantIbLb0EES14_EEDaSZ_S10_EUlSZ_E_NS1_11comp_targetILNS1_3genE4ELNS1_11target_archE910ELNS1_3gpuE8ELNS1_3repE0EEENS1_30default_config_static_selectorELNS0_4arch9wavefront6targetE0EEEvT1_,"axG",@progbits,_ZN7rocprim17ROCPRIM_400000_NS6detail17trampoline_kernelINS0_14default_configENS1_27scan_by_key_config_selectorIiiEEZZNS1_16scan_by_key_implILNS1_25lookback_scan_determinismE0ELb0ES3_N6thrust23THRUST_200600_302600_NS6detail15normal_iteratorINS9_10device_ptrIiEEEENS9_18transform_iteratorINS9_6negateIiEESE_NS9_11use_defaultESI_EESE_iNS9_4plusIvEENS9_8equal_toIvEEiEE10hipError_tPvRmT2_T3_T4_T5_mT6_T7_P12ihipStream_tbENKUlT_T0_E_clISt17integral_constantIbLb0EES14_EEDaSZ_S10_EUlSZ_E_NS1_11comp_targetILNS1_3genE4ELNS1_11target_archE910ELNS1_3gpuE8ELNS1_3repE0EEENS1_30default_config_static_selectorELNS0_4arch9wavefront6targetE0EEEvT1_,comdat
	.protected	_ZN7rocprim17ROCPRIM_400000_NS6detail17trampoline_kernelINS0_14default_configENS1_27scan_by_key_config_selectorIiiEEZZNS1_16scan_by_key_implILNS1_25lookback_scan_determinismE0ELb0ES3_N6thrust23THRUST_200600_302600_NS6detail15normal_iteratorINS9_10device_ptrIiEEEENS9_18transform_iteratorINS9_6negateIiEESE_NS9_11use_defaultESI_EESE_iNS9_4plusIvEENS9_8equal_toIvEEiEE10hipError_tPvRmT2_T3_T4_T5_mT6_T7_P12ihipStream_tbENKUlT_T0_E_clISt17integral_constantIbLb0EES14_EEDaSZ_S10_EUlSZ_E_NS1_11comp_targetILNS1_3genE4ELNS1_11target_archE910ELNS1_3gpuE8ELNS1_3repE0EEENS1_30default_config_static_selectorELNS0_4arch9wavefront6targetE0EEEvT1_ ; -- Begin function _ZN7rocprim17ROCPRIM_400000_NS6detail17trampoline_kernelINS0_14default_configENS1_27scan_by_key_config_selectorIiiEEZZNS1_16scan_by_key_implILNS1_25lookback_scan_determinismE0ELb0ES3_N6thrust23THRUST_200600_302600_NS6detail15normal_iteratorINS9_10device_ptrIiEEEENS9_18transform_iteratorINS9_6negateIiEESE_NS9_11use_defaultESI_EESE_iNS9_4plusIvEENS9_8equal_toIvEEiEE10hipError_tPvRmT2_T3_T4_T5_mT6_T7_P12ihipStream_tbENKUlT_T0_E_clISt17integral_constantIbLb0EES14_EEDaSZ_S10_EUlSZ_E_NS1_11comp_targetILNS1_3genE4ELNS1_11target_archE910ELNS1_3gpuE8ELNS1_3repE0EEENS1_30default_config_static_selectorELNS0_4arch9wavefront6targetE0EEEvT1_
	.globl	_ZN7rocprim17ROCPRIM_400000_NS6detail17trampoline_kernelINS0_14default_configENS1_27scan_by_key_config_selectorIiiEEZZNS1_16scan_by_key_implILNS1_25lookback_scan_determinismE0ELb0ES3_N6thrust23THRUST_200600_302600_NS6detail15normal_iteratorINS9_10device_ptrIiEEEENS9_18transform_iteratorINS9_6negateIiEESE_NS9_11use_defaultESI_EESE_iNS9_4plusIvEENS9_8equal_toIvEEiEE10hipError_tPvRmT2_T3_T4_T5_mT6_T7_P12ihipStream_tbENKUlT_T0_E_clISt17integral_constantIbLb0EES14_EEDaSZ_S10_EUlSZ_E_NS1_11comp_targetILNS1_3genE4ELNS1_11target_archE910ELNS1_3gpuE8ELNS1_3repE0EEENS1_30default_config_static_selectorELNS0_4arch9wavefront6targetE0EEEvT1_
	.p2align	8
	.type	_ZN7rocprim17ROCPRIM_400000_NS6detail17trampoline_kernelINS0_14default_configENS1_27scan_by_key_config_selectorIiiEEZZNS1_16scan_by_key_implILNS1_25lookback_scan_determinismE0ELb0ES3_N6thrust23THRUST_200600_302600_NS6detail15normal_iteratorINS9_10device_ptrIiEEEENS9_18transform_iteratorINS9_6negateIiEESE_NS9_11use_defaultESI_EESE_iNS9_4plusIvEENS9_8equal_toIvEEiEE10hipError_tPvRmT2_T3_T4_T5_mT6_T7_P12ihipStream_tbENKUlT_T0_E_clISt17integral_constantIbLb0EES14_EEDaSZ_S10_EUlSZ_E_NS1_11comp_targetILNS1_3genE4ELNS1_11target_archE910ELNS1_3gpuE8ELNS1_3repE0EEENS1_30default_config_static_selectorELNS0_4arch9wavefront6targetE0EEEvT1_,@function
_ZN7rocprim17ROCPRIM_400000_NS6detail17trampoline_kernelINS0_14default_configENS1_27scan_by_key_config_selectorIiiEEZZNS1_16scan_by_key_implILNS1_25lookback_scan_determinismE0ELb0ES3_N6thrust23THRUST_200600_302600_NS6detail15normal_iteratorINS9_10device_ptrIiEEEENS9_18transform_iteratorINS9_6negateIiEESE_NS9_11use_defaultESI_EESE_iNS9_4plusIvEENS9_8equal_toIvEEiEE10hipError_tPvRmT2_T3_T4_T5_mT6_T7_P12ihipStream_tbENKUlT_T0_E_clISt17integral_constantIbLb0EES14_EEDaSZ_S10_EUlSZ_E_NS1_11comp_targetILNS1_3genE4ELNS1_11target_archE910ELNS1_3gpuE8ELNS1_3repE0EEENS1_30default_config_static_selectorELNS0_4arch9wavefront6targetE0EEEvT1_: ; @_ZN7rocprim17ROCPRIM_400000_NS6detail17trampoline_kernelINS0_14default_configENS1_27scan_by_key_config_selectorIiiEEZZNS1_16scan_by_key_implILNS1_25lookback_scan_determinismE0ELb0ES3_N6thrust23THRUST_200600_302600_NS6detail15normal_iteratorINS9_10device_ptrIiEEEENS9_18transform_iteratorINS9_6negateIiEESE_NS9_11use_defaultESI_EESE_iNS9_4plusIvEENS9_8equal_toIvEEiEE10hipError_tPvRmT2_T3_T4_T5_mT6_T7_P12ihipStream_tbENKUlT_T0_E_clISt17integral_constantIbLb0EES14_EEDaSZ_S10_EUlSZ_E_NS1_11comp_targetILNS1_3genE4ELNS1_11target_archE910ELNS1_3gpuE8ELNS1_3repE0EEENS1_30default_config_static_selectorELNS0_4arch9wavefront6targetE0EEEvT1_
; %bb.0:
	.section	.rodata,"a",@progbits
	.p2align	6, 0x0
	.amdhsa_kernel _ZN7rocprim17ROCPRIM_400000_NS6detail17trampoline_kernelINS0_14default_configENS1_27scan_by_key_config_selectorIiiEEZZNS1_16scan_by_key_implILNS1_25lookback_scan_determinismE0ELb0ES3_N6thrust23THRUST_200600_302600_NS6detail15normal_iteratorINS9_10device_ptrIiEEEENS9_18transform_iteratorINS9_6negateIiEESE_NS9_11use_defaultESI_EESE_iNS9_4plusIvEENS9_8equal_toIvEEiEE10hipError_tPvRmT2_T3_T4_T5_mT6_T7_P12ihipStream_tbENKUlT_T0_E_clISt17integral_constantIbLb0EES14_EEDaSZ_S10_EUlSZ_E_NS1_11comp_targetILNS1_3genE4ELNS1_11target_archE910ELNS1_3gpuE8ELNS1_3repE0EEENS1_30default_config_static_selectorELNS0_4arch9wavefront6targetE0EEEvT1_
		.amdhsa_group_segment_fixed_size 0
		.amdhsa_private_segment_fixed_size 0
		.amdhsa_kernarg_size 120
		.amdhsa_user_sgpr_count 2
		.amdhsa_user_sgpr_dispatch_ptr 0
		.amdhsa_user_sgpr_queue_ptr 0
		.amdhsa_user_sgpr_kernarg_segment_ptr 1
		.amdhsa_user_sgpr_dispatch_id 0
		.amdhsa_user_sgpr_kernarg_preload_length 0
		.amdhsa_user_sgpr_kernarg_preload_offset 0
		.amdhsa_user_sgpr_private_segment_size 0
		.amdhsa_wavefront_size32 1
		.amdhsa_uses_dynamic_stack 0
		.amdhsa_enable_private_segment 0
		.amdhsa_system_sgpr_workgroup_id_x 1
		.amdhsa_system_sgpr_workgroup_id_y 0
		.amdhsa_system_sgpr_workgroup_id_z 0
		.amdhsa_system_sgpr_workgroup_info 0
		.amdhsa_system_vgpr_workitem_id 0
		.amdhsa_next_free_vgpr 1
		.amdhsa_next_free_sgpr 1
		.amdhsa_named_barrier_count 0
		.amdhsa_reserve_vcc 0
		.amdhsa_float_round_mode_32 0
		.amdhsa_float_round_mode_16_64 0
		.amdhsa_float_denorm_mode_32 3
		.amdhsa_float_denorm_mode_16_64 3
		.amdhsa_fp16_overflow 0
		.amdhsa_memory_ordered 1
		.amdhsa_forward_progress 1
		.amdhsa_inst_pref_size 0
		.amdhsa_round_robin_scheduling 0
		.amdhsa_exception_fp_ieee_invalid_op 0
		.amdhsa_exception_fp_denorm_src 0
		.amdhsa_exception_fp_ieee_div_zero 0
		.amdhsa_exception_fp_ieee_overflow 0
		.amdhsa_exception_fp_ieee_underflow 0
		.amdhsa_exception_fp_ieee_inexact 0
		.amdhsa_exception_int_div_zero 0
	.end_amdhsa_kernel
	.section	.text._ZN7rocprim17ROCPRIM_400000_NS6detail17trampoline_kernelINS0_14default_configENS1_27scan_by_key_config_selectorIiiEEZZNS1_16scan_by_key_implILNS1_25lookback_scan_determinismE0ELb0ES3_N6thrust23THRUST_200600_302600_NS6detail15normal_iteratorINS9_10device_ptrIiEEEENS9_18transform_iteratorINS9_6negateIiEESE_NS9_11use_defaultESI_EESE_iNS9_4plusIvEENS9_8equal_toIvEEiEE10hipError_tPvRmT2_T3_T4_T5_mT6_T7_P12ihipStream_tbENKUlT_T0_E_clISt17integral_constantIbLb0EES14_EEDaSZ_S10_EUlSZ_E_NS1_11comp_targetILNS1_3genE4ELNS1_11target_archE910ELNS1_3gpuE8ELNS1_3repE0EEENS1_30default_config_static_selectorELNS0_4arch9wavefront6targetE0EEEvT1_,"axG",@progbits,_ZN7rocprim17ROCPRIM_400000_NS6detail17trampoline_kernelINS0_14default_configENS1_27scan_by_key_config_selectorIiiEEZZNS1_16scan_by_key_implILNS1_25lookback_scan_determinismE0ELb0ES3_N6thrust23THRUST_200600_302600_NS6detail15normal_iteratorINS9_10device_ptrIiEEEENS9_18transform_iteratorINS9_6negateIiEESE_NS9_11use_defaultESI_EESE_iNS9_4plusIvEENS9_8equal_toIvEEiEE10hipError_tPvRmT2_T3_T4_T5_mT6_T7_P12ihipStream_tbENKUlT_T0_E_clISt17integral_constantIbLb0EES14_EEDaSZ_S10_EUlSZ_E_NS1_11comp_targetILNS1_3genE4ELNS1_11target_archE910ELNS1_3gpuE8ELNS1_3repE0EEENS1_30default_config_static_selectorELNS0_4arch9wavefront6targetE0EEEvT1_,comdat
.Lfunc_end932:
	.size	_ZN7rocprim17ROCPRIM_400000_NS6detail17trampoline_kernelINS0_14default_configENS1_27scan_by_key_config_selectorIiiEEZZNS1_16scan_by_key_implILNS1_25lookback_scan_determinismE0ELb0ES3_N6thrust23THRUST_200600_302600_NS6detail15normal_iteratorINS9_10device_ptrIiEEEENS9_18transform_iteratorINS9_6negateIiEESE_NS9_11use_defaultESI_EESE_iNS9_4plusIvEENS9_8equal_toIvEEiEE10hipError_tPvRmT2_T3_T4_T5_mT6_T7_P12ihipStream_tbENKUlT_T0_E_clISt17integral_constantIbLb0EES14_EEDaSZ_S10_EUlSZ_E_NS1_11comp_targetILNS1_3genE4ELNS1_11target_archE910ELNS1_3gpuE8ELNS1_3repE0EEENS1_30default_config_static_selectorELNS0_4arch9wavefront6targetE0EEEvT1_, .Lfunc_end932-_ZN7rocprim17ROCPRIM_400000_NS6detail17trampoline_kernelINS0_14default_configENS1_27scan_by_key_config_selectorIiiEEZZNS1_16scan_by_key_implILNS1_25lookback_scan_determinismE0ELb0ES3_N6thrust23THRUST_200600_302600_NS6detail15normal_iteratorINS9_10device_ptrIiEEEENS9_18transform_iteratorINS9_6negateIiEESE_NS9_11use_defaultESI_EESE_iNS9_4plusIvEENS9_8equal_toIvEEiEE10hipError_tPvRmT2_T3_T4_T5_mT6_T7_P12ihipStream_tbENKUlT_T0_E_clISt17integral_constantIbLb0EES14_EEDaSZ_S10_EUlSZ_E_NS1_11comp_targetILNS1_3genE4ELNS1_11target_archE910ELNS1_3gpuE8ELNS1_3repE0EEENS1_30default_config_static_selectorELNS0_4arch9wavefront6targetE0EEEvT1_
                                        ; -- End function
	.set _ZN7rocprim17ROCPRIM_400000_NS6detail17trampoline_kernelINS0_14default_configENS1_27scan_by_key_config_selectorIiiEEZZNS1_16scan_by_key_implILNS1_25lookback_scan_determinismE0ELb0ES3_N6thrust23THRUST_200600_302600_NS6detail15normal_iteratorINS9_10device_ptrIiEEEENS9_18transform_iteratorINS9_6negateIiEESE_NS9_11use_defaultESI_EESE_iNS9_4plusIvEENS9_8equal_toIvEEiEE10hipError_tPvRmT2_T3_T4_T5_mT6_T7_P12ihipStream_tbENKUlT_T0_E_clISt17integral_constantIbLb0EES14_EEDaSZ_S10_EUlSZ_E_NS1_11comp_targetILNS1_3genE4ELNS1_11target_archE910ELNS1_3gpuE8ELNS1_3repE0EEENS1_30default_config_static_selectorELNS0_4arch9wavefront6targetE0EEEvT1_.num_vgpr, 0
	.set _ZN7rocprim17ROCPRIM_400000_NS6detail17trampoline_kernelINS0_14default_configENS1_27scan_by_key_config_selectorIiiEEZZNS1_16scan_by_key_implILNS1_25lookback_scan_determinismE0ELb0ES3_N6thrust23THRUST_200600_302600_NS6detail15normal_iteratorINS9_10device_ptrIiEEEENS9_18transform_iteratorINS9_6negateIiEESE_NS9_11use_defaultESI_EESE_iNS9_4plusIvEENS9_8equal_toIvEEiEE10hipError_tPvRmT2_T3_T4_T5_mT6_T7_P12ihipStream_tbENKUlT_T0_E_clISt17integral_constantIbLb0EES14_EEDaSZ_S10_EUlSZ_E_NS1_11comp_targetILNS1_3genE4ELNS1_11target_archE910ELNS1_3gpuE8ELNS1_3repE0EEENS1_30default_config_static_selectorELNS0_4arch9wavefront6targetE0EEEvT1_.num_agpr, 0
	.set _ZN7rocprim17ROCPRIM_400000_NS6detail17trampoline_kernelINS0_14default_configENS1_27scan_by_key_config_selectorIiiEEZZNS1_16scan_by_key_implILNS1_25lookback_scan_determinismE0ELb0ES3_N6thrust23THRUST_200600_302600_NS6detail15normal_iteratorINS9_10device_ptrIiEEEENS9_18transform_iteratorINS9_6negateIiEESE_NS9_11use_defaultESI_EESE_iNS9_4plusIvEENS9_8equal_toIvEEiEE10hipError_tPvRmT2_T3_T4_T5_mT6_T7_P12ihipStream_tbENKUlT_T0_E_clISt17integral_constantIbLb0EES14_EEDaSZ_S10_EUlSZ_E_NS1_11comp_targetILNS1_3genE4ELNS1_11target_archE910ELNS1_3gpuE8ELNS1_3repE0EEENS1_30default_config_static_selectorELNS0_4arch9wavefront6targetE0EEEvT1_.numbered_sgpr, 0
	.set _ZN7rocprim17ROCPRIM_400000_NS6detail17trampoline_kernelINS0_14default_configENS1_27scan_by_key_config_selectorIiiEEZZNS1_16scan_by_key_implILNS1_25lookback_scan_determinismE0ELb0ES3_N6thrust23THRUST_200600_302600_NS6detail15normal_iteratorINS9_10device_ptrIiEEEENS9_18transform_iteratorINS9_6negateIiEESE_NS9_11use_defaultESI_EESE_iNS9_4plusIvEENS9_8equal_toIvEEiEE10hipError_tPvRmT2_T3_T4_T5_mT6_T7_P12ihipStream_tbENKUlT_T0_E_clISt17integral_constantIbLb0EES14_EEDaSZ_S10_EUlSZ_E_NS1_11comp_targetILNS1_3genE4ELNS1_11target_archE910ELNS1_3gpuE8ELNS1_3repE0EEENS1_30default_config_static_selectorELNS0_4arch9wavefront6targetE0EEEvT1_.num_named_barrier, 0
	.set _ZN7rocprim17ROCPRIM_400000_NS6detail17trampoline_kernelINS0_14default_configENS1_27scan_by_key_config_selectorIiiEEZZNS1_16scan_by_key_implILNS1_25lookback_scan_determinismE0ELb0ES3_N6thrust23THRUST_200600_302600_NS6detail15normal_iteratorINS9_10device_ptrIiEEEENS9_18transform_iteratorINS9_6negateIiEESE_NS9_11use_defaultESI_EESE_iNS9_4plusIvEENS9_8equal_toIvEEiEE10hipError_tPvRmT2_T3_T4_T5_mT6_T7_P12ihipStream_tbENKUlT_T0_E_clISt17integral_constantIbLb0EES14_EEDaSZ_S10_EUlSZ_E_NS1_11comp_targetILNS1_3genE4ELNS1_11target_archE910ELNS1_3gpuE8ELNS1_3repE0EEENS1_30default_config_static_selectorELNS0_4arch9wavefront6targetE0EEEvT1_.private_seg_size, 0
	.set _ZN7rocprim17ROCPRIM_400000_NS6detail17trampoline_kernelINS0_14default_configENS1_27scan_by_key_config_selectorIiiEEZZNS1_16scan_by_key_implILNS1_25lookback_scan_determinismE0ELb0ES3_N6thrust23THRUST_200600_302600_NS6detail15normal_iteratorINS9_10device_ptrIiEEEENS9_18transform_iteratorINS9_6negateIiEESE_NS9_11use_defaultESI_EESE_iNS9_4plusIvEENS9_8equal_toIvEEiEE10hipError_tPvRmT2_T3_T4_T5_mT6_T7_P12ihipStream_tbENKUlT_T0_E_clISt17integral_constantIbLb0EES14_EEDaSZ_S10_EUlSZ_E_NS1_11comp_targetILNS1_3genE4ELNS1_11target_archE910ELNS1_3gpuE8ELNS1_3repE0EEENS1_30default_config_static_selectorELNS0_4arch9wavefront6targetE0EEEvT1_.uses_vcc, 0
	.set _ZN7rocprim17ROCPRIM_400000_NS6detail17trampoline_kernelINS0_14default_configENS1_27scan_by_key_config_selectorIiiEEZZNS1_16scan_by_key_implILNS1_25lookback_scan_determinismE0ELb0ES3_N6thrust23THRUST_200600_302600_NS6detail15normal_iteratorINS9_10device_ptrIiEEEENS9_18transform_iteratorINS9_6negateIiEESE_NS9_11use_defaultESI_EESE_iNS9_4plusIvEENS9_8equal_toIvEEiEE10hipError_tPvRmT2_T3_T4_T5_mT6_T7_P12ihipStream_tbENKUlT_T0_E_clISt17integral_constantIbLb0EES14_EEDaSZ_S10_EUlSZ_E_NS1_11comp_targetILNS1_3genE4ELNS1_11target_archE910ELNS1_3gpuE8ELNS1_3repE0EEENS1_30default_config_static_selectorELNS0_4arch9wavefront6targetE0EEEvT1_.uses_flat_scratch, 0
	.set _ZN7rocprim17ROCPRIM_400000_NS6detail17trampoline_kernelINS0_14default_configENS1_27scan_by_key_config_selectorIiiEEZZNS1_16scan_by_key_implILNS1_25lookback_scan_determinismE0ELb0ES3_N6thrust23THRUST_200600_302600_NS6detail15normal_iteratorINS9_10device_ptrIiEEEENS9_18transform_iteratorINS9_6negateIiEESE_NS9_11use_defaultESI_EESE_iNS9_4plusIvEENS9_8equal_toIvEEiEE10hipError_tPvRmT2_T3_T4_T5_mT6_T7_P12ihipStream_tbENKUlT_T0_E_clISt17integral_constantIbLb0EES14_EEDaSZ_S10_EUlSZ_E_NS1_11comp_targetILNS1_3genE4ELNS1_11target_archE910ELNS1_3gpuE8ELNS1_3repE0EEENS1_30default_config_static_selectorELNS0_4arch9wavefront6targetE0EEEvT1_.has_dyn_sized_stack, 0
	.set _ZN7rocprim17ROCPRIM_400000_NS6detail17trampoline_kernelINS0_14default_configENS1_27scan_by_key_config_selectorIiiEEZZNS1_16scan_by_key_implILNS1_25lookback_scan_determinismE0ELb0ES3_N6thrust23THRUST_200600_302600_NS6detail15normal_iteratorINS9_10device_ptrIiEEEENS9_18transform_iteratorINS9_6negateIiEESE_NS9_11use_defaultESI_EESE_iNS9_4plusIvEENS9_8equal_toIvEEiEE10hipError_tPvRmT2_T3_T4_T5_mT6_T7_P12ihipStream_tbENKUlT_T0_E_clISt17integral_constantIbLb0EES14_EEDaSZ_S10_EUlSZ_E_NS1_11comp_targetILNS1_3genE4ELNS1_11target_archE910ELNS1_3gpuE8ELNS1_3repE0EEENS1_30default_config_static_selectorELNS0_4arch9wavefront6targetE0EEEvT1_.has_recursion, 0
	.set _ZN7rocprim17ROCPRIM_400000_NS6detail17trampoline_kernelINS0_14default_configENS1_27scan_by_key_config_selectorIiiEEZZNS1_16scan_by_key_implILNS1_25lookback_scan_determinismE0ELb0ES3_N6thrust23THRUST_200600_302600_NS6detail15normal_iteratorINS9_10device_ptrIiEEEENS9_18transform_iteratorINS9_6negateIiEESE_NS9_11use_defaultESI_EESE_iNS9_4plusIvEENS9_8equal_toIvEEiEE10hipError_tPvRmT2_T3_T4_T5_mT6_T7_P12ihipStream_tbENKUlT_T0_E_clISt17integral_constantIbLb0EES14_EEDaSZ_S10_EUlSZ_E_NS1_11comp_targetILNS1_3genE4ELNS1_11target_archE910ELNS1_3gpuE8ELNS1_3repE0EEENS1_30default_config_static_selectorELNS0_4arch9wavefront6targetE0EEEvT1_.has_indirect_call, 0
	.section	.AMDGPU.csdata,"",@progbits
; Kernel info:
; codeLenInByte = 0
; TotalNumSgprs: 0
; NumVgprs: 0
; ScratchSize: 0
; MemoryBound: 0
; FloatMode: 240
; IeeeMode: 1
; LDSByteSize: 0 bytes/workgroup (compile time only)
; SGPRBlocks: 0
; VGPRBlocks: 0
; NumSGPRsForWavesPerEU: 1
; NumVGPRsForWavesPerEU: 1
; NamedBarCnt: 0
; Occupancy: 16
; WaveLimiterHint : 0
; COMPUTE_PGM_RSRC2:SCRATCH_EN: 0
; COMPUTE_PGM_RSRC2:USER_SGPR: 2
; COMPUTE_PGM_RSRC2:TRAP_HANDLER: 0
; COMPUTE_PGM_RSRC2:TGID_X_EN: 1
; COMPUTE_PGM_RSRC2:TGID_Y_EN: 0
; COMPUTE_PGM_RSRC2:TGID_Z_EN: 0
; COMPUTE_PGM_RSRC2:TIDIG_COMP_CNT: 0
	.section	.text._ZN7rocprim17ROCPRIM_400000_NS6detail17trampoline_kernelINS0_14default_configENS1_27scan_by_key_config_selectorIiiEEZZNS1_16scan_by_key_implILNS1_25lookback_scan_determinismE0ELb0ES3_N6thrust23THRUST_200600_302600_NS6detail15normal_iteratorINS9_10device_ptrIiEEEENS9_18transform_iteratorINS9_6negateIiEESE_NS9_11use_defaultESI_EESE_iNS9_4plusIvEENS9_8equal_toIvEEiEE10hipError_tPvRmT2_T3_T4_T5_mT6_T7_P12ihipStream_tbENKUlT_T0_E_clISt17integral_constantIbLb0EES14_EEDaSZ_S10_EUlSZ_E_NS1_11comp_targetILNS1_3genE3ELNS1_11target_archE908ELNS1_3gpuE7ELNS1_3repE0EEENS1_30default_config_static_selectorELNS0_4arch9wavefront6targetE0EEEvT1_,"axG",@progbits,_ZN7rocprim17ROCPRIM_400000_NS6detail17trampoline_kernelINS0_14default_configENS1_27scan_by_key_config_selectorIiiEEZZNS1_16scan_by_key_implILNS1_25lookback_scan_determinismE0ELb0ES3_N6thrust23THRUST_200600_302600_NS6detail15normal_iteratorINS9_10device_ptrIiEEEENS9_18transform_iteratorINS9_6negateIiEESE_NS9_11use_defaultESI_EESE_iNS9_4plusIvEENS9_8equal_toIvEEiEE10hipError_tPvRmT2_T3_T4_T5_mT6_T7_P12ihipStream_tbENKUlT_T0_E_clISt17integral_constantIbLb0EES14_EEDaSZ_S10_EUlSZ_E_NS1_11comp_targetILNS1_3genE3ELNS1_11target_archE908ELNS1_3gpuE7ELNS1_3repE0EEENS1_30default_config_static_selectorELNS0_4arch9wavefront6targetE0EEEvT1_,comdat
	.protected	_ZN7rocprim17ROCPRIM_400000_NS6detail17trampoline_kernelINS0_14default_configENS1_27scan_by_key_config_selectorIiiEEZZNS1_16scan_by_key_implILNS1_25lookback_scan_determinismE0ELb0ES3_N6thrust23THRUST_200600_302600_NS6detail15normal_iteratorINS9_10device_ptrIiEEEENS9_18transform_iteratorINS9_6negateIiEESE_NS9_11use_defaultESI_EESE_iNS9_4plusIvEENS9_8equal_toIvEEiEE10hipError_tPvRmT2_T3_T4_T5_mT6_T7_P12ihipStream_tbENKUlT_T0_E_clISt17integral_constantIbLb0EES14_EEDaSZ_S10_EUlSZ_E_NS1_11comp_targetILNS1_3genE3ELNS1_11target_archE908ELNS1_3gpuE7ELNS1_3repE0EEENS1_30default_config_static_selectorELNS0_4arch9wavefront6targetE0EEEvT1_ ; -- Begin function _ZN7rocprim17ROCPRIM_400000_NS6detail17trampoline_kernelINS0_14default_configENS1_27scan_by_key_config_selectorIiiEEZZNS1_16scan_by_key_implILNS1_25lookback_scan_determinismE0ELb0ES3_N6thrust23THRUST_200600_302600_NS6detail15normal_iteratorINS9_10device_ptrIiEEEENS9_18transform_iteratorINS9_6negateIiEESE_NS9_11use_defaultESI_EESE_iNS9_4plusIvEENS9_8equal_toIvEEiEE10hipError_tPvRmT2_T3_T4_T5_mT6_T7_P12ihipStream_tbENKUlT_T0_E_clISt17integral_constantIbLb0EES14_EEDaSZ_S10_EUlSZ_E_NS1_11comp_targetILNS1_3genE3ELNS1_11target_archE908ELNS1_3gpuE7ELNS1_3repE0EEENS1_30default_config_static_selectorELNS0_4arch9wavefront6targetE0EEEvT1_
	.globl	_ZN7rocprim17ROCPRIM_400000_NS6detail17trampoline_kernelINS0_14default_configENS1_27scan_by_key_config_selectorIiiEEZZNS1_16scan_by_key_implILNS1_25lookback_scan_determinismE0ELb0ES3_N6thrust23THRUST_200600_302600_NS6detail15normal_iteratorINS9_10device_ptrIiEEEENS9_18transform_iteratorINS9_6negateIiEESE_NS9_11use_defaultESI_EESE_iNS9_4plusIvEENS9_8equal_toIvEEiEE10hipError_tPvRmT2_T3_T4_T5_mT6_T7_P12ihipStream_tbENKUlT_T0_E_clISt17integral_constantIbLb0EES14_EEDaSZ_S10_EUlSZ_E_NS1_11comp_targetILNS1_3genE3ELNS1_11target_archE908ELNS1_3gpuE7ELNS1_3repE0EEENS1_30default_config_static_selectorELNS0_4arch9wavefront6targetE0EEEvT1_
	.p2align	8
	.type	_ZN7rocprim17ROCPRIM_400000_NS6detail17trampoline_kernelINS0_14default_configENS1_27scan_by_key_config_selectorIiiEEZZNS1_16scan_by_key_implILNS1_25lookback_scan_determinismE0ELb0ES3_N6thrust23THRUST_200600_302600_NS6detail15normal_iteratorINS9_10device_ptrIiEEEENS9_18transform_iteratorINS9_6negateIiEESE_NS9_11use_defaultESI_EESE_iNS9_4plusIvEENS9_8equal_toIvEEiEE10hipError_tPvRmT2_T3_T4_T5_mT6_T7_P12ihipStream_tbENKUlT_T0_E_clISt17integral_constantIbLb0EES14_EEDaSZ_S10_EUlSZ_E_NS1_11comp_targetILNS1_3genE3ELNS1_11target_archE908ELNS1_3gpuE7ELNS1_3repE0EEENS1_30default_config_static_selectorELNS0_4arch9wavefront6targetE0EEEvT1_,@function
_ZN7rocprim17ROCPRIM_400000_NS6detail17trampoline_kernelINS0_14default_configENS1_27scan_by_key_config_selectorIiiEEZZNS1_16scan_by_key_implILNS1_25lookback_scan_determinismE0ELb0ES3_N6thrust23THRUST_200600_302600_NS6detail15normal_iteratorINS9_10device_ptrIiEEEENS9_18transform_iteratorINS9_6negateIiEESE_NS9_11use_defaultESI_EESE_iNS9_4plusIvEENS9_8equal_toIvEEiEE10hipError_tPvRmT2_T3_T4_T5_mT6_T7_P12ihipStream_tbENKUlT_T0_E_clISt17integral_constantIbLb0EES14_EEDaSZ_S10_EUlSZ_E_NS1_11comp_targetILNS1_3genE3ELNS1_11target_archE908ELNS1_3gpuE7ELNS1_3repE0EEENS1_30default_config_static_selectorELNS0_4arch9wavefront6targetE0EEEvT1_: ; @_ZN7rocprim17ROCPRIM_400000_NS6detail17trampoline_kernelINS0_14default_configENS1_27scan_by_key_config_selectorIiiEEZZNS1_16scan_by_key_implILNS1_25lookback_scan_determinismE0ELb0ES3_N6thrust23THRUST_200600_302600_NS6detail15normal_iteratorINS9_10device_ptrIiEEEENS9_18transform_iteratorINS9_6negateIiEESE_NS9_11use_defaultESI_EESE_iNS9_4plusIvEENS9_8equal_toIvEEiEE10hipError_tPvRmT2_T3_T4_T5_mT6_T7_P12ihipStream_tbENKUlT_T0_E_clISt17integral_constantIbLb0EES14_EEDaSZ_S10_EUlSZ_E_NS1_11comp_targetILNS1_3genE3ELNS1_11target_archE908ELNS1_3gpuE7ELNS1_3repE0EEENS1_30default_config_static_selectorELNS0_4arch9wavefront6targetE0EEEvT1_
; %bb.0:
	.section	.rodata,"a",@progbits
	.p2align	6, 0x0
	.amdhsa_kernel _ZN7rocprim17ROCPRIM_400000_NS6detail17trampoline_kernelINS0_14default_configENS1_27scan_by_key_config_selectorIiiEEZZNS1_16scan_by_key_implILNS1_25lookback_scan_determinismE0ELb0ES3_N6thrust23THRUST_200600_302600_NS6detail15normal_iteratorINS9_10device_ptrIiEEEENS9_18transform_iteratorINS9_6negateIiEESE_NS9_11use_defaultESI_EESE_iNS9_4plusIvEENS9_8equal_toIvEEiEE10hipError_tPvRmT2_T3_T4_T5_mT6_T7_P12ihipStream_tbENKUlT_T0_E_clISt17integral_constantIbLb0EES14_EEDaSZ_S10_EUlSZ_E_NS1_11comp_targetILNS1_3genE3ELNS1_11target_archE908ELNS1_3gpuE7ELNS1_3repE0EEENS1_30default_config_static_selectorELNS0_4arch9wavefront6targetE0EEEvT1_
		.amdhsa_group_segment_fixed_size 0
		.amdhsa_private_segment_fixed_size 0
		.amdhsa_kernarg_size 120
		.amdhsa_user_sgpr_count 2
		.amdhsa_user_sgpr_dispatch_ptr 0
		.amdhsa_user_sgpr_queue_ptr 0
		.amdhsa_user_sgpr_kernarg_segment_ptr 1
		.amdhsa_user_sgpr_dispatch_id 0
		.amdhsa_user_sgpr_kernarg_preload_length 0
		.amdhsa_user_sgpr_kernarg_preload_offset 0
		.amdhsa_user_sgpr_private_segment_size 0
		.amdhsa_wavefront_size32 1
		.amdhsa_uses_dynamic_stack 0
		.amdhsa_enable_private_segment 0
		.amdhsa_system_sgpr_workgroup_id_x 1
		.amdhsa_system_sgpr_workgroup_id_y 0
		.amdhsa_system_sgpr_workgroup_id_z 0
		.amdhsa_system_sgpr_workgroup_info 0
		.amdhsa_system_vgpr_workitem_id 0
		.amdhsa_next_free_vgpr 1
		.amdhsa_next_free_sgpr 1
		.amdhsa_named_barrier_count 0
		.amdhsa_reserve_vcc 0
		.amdhsa_float_round_mode_32 0
		.amdhsa_float_round_mode_16_64 0
		.amdhsa_float_denorm_mode_32 3
		.amdhsa_float_denorm_mode_16_64 3
		.amdhsa_fp16_overflow 0
		.amdhsa_memory_ordered 1
		.amdhsa_forward_progress 1
		.amdhsa_inst_pref_size 0
		.amdhsa_round_robin_scheduling 0
		.amdhsa_exception_fp_ieee_invalid_op 0
		.amdhsa_exception_fp_denorm_src 0
		.amdhsa_exception_fp_ieee_div_zero 0
		.amdhsa_exception_fp_ieee_overflow 0
		.amdhsa_exception_fp_ieee_underflow 0
		.amdhsa_exception_fp_ieee_inexact 0
		.amdhsa_exception_int_div_zero 0
	.end_amdhsa_kernel
	.section	.text._ZN7rocprim17ROCPRIM_400000_NS6detail17trampoline_kernelINS0_14default_configENS1_27scan_by_key_config_selectorIiiEEZZNS1_16scan_by_key_implILNS1_25lookback_scan_determinismE0ELb0ES3_N6thrust23THRUST_200600_302600_NS6detail15normal_iteratorINS9_10device_ptrIiEEEENS9_18transform_iteratorINS9_6negateIiEESE_NS9_11use_defaultESI_EESE_iNS9_4plusIvEENS9_8equal_toIvEEiEE10hipError_tPvRmT2_T3_T4_T5_mT6_T7_P12ihipStream_tbENKUlT_T0_E_clISt17integral_constantIbLb0EES14_EEDaSZ_S10_EUlSZ_E_NS1_11comp_targetILNS1_3genE3ELNS1_11target_archE908ELNS1_3gpuE7ELNS1_3repE0EEENS1_30default_config_static_selectorELNS0_4arch9wavefront6targetE0EEEvT1_,"axG",@progbits,_ZN7rocprim17ROCPRIM_400000_NS6detail17trampoline_kernelINS0_14default_configENS1_27scan_by_key_config_selectorIiiEEZZNS1_16scan_by_key_implILNS1_25lookback_scan_determinismE0ELb0ES3_N6thrust23THRUST_200600_302600_NS6detail15normal_iteratorINS9_10device_ptrIiEEEENS9_18transform_iteratorINS9_6negateIiEESE_NS9_11use_defaultESI_EESE_iNS9_4plusIvEENS9_8equal_toIvEEiEE10hipError_tPvRmT2_T3_T4_T5_mT6_T7_P12ihipStream_tbENKUlT_T0_E_clISt17integral_constantIbLb0EES14_EEDaSZ_S10_EUlSZ_E_NS1_11comp_targetILNS1_3genE3ELNS1_11target_archE908ELNS1_3gpuE7ELNS1_3repE0EEENS1_30default_config_static_selectorELNS0_4arch9wavefront6targetE0EEEvT1_,comdat
.Lfunc_end933:
	.size	_ZN7rocprim17ROCPRIM_400000_NS6detail17trampoline_kernelINS0_14default_configENS1_27scan_by_key_config_selectorIiiEEZZNS1_16scan_by_key_implILNS1_25lookback_scan_determinismE0ELb0ES3_N6thrust23THRUST_200600_302600_NS6detail15normal_iteratorINS9_10device_ptrIiEEEENS9_18transform_iteratorINS9_6negateIiEESE_NS9_11use_defaultESI_EESE_iNS9_4plusIvEENS9_8equal_toIvEEiEE10hipError_tPvRmT2_T3_T4_T5_mT6_T7_P12ihipStream_tbENKUlT_T0_E_clISt17integral_constantIbLb0EES14_EEDaSZ_S10_EUlSZ_E_NS1_11comp_targetILNS1_3genE3ELNS1_11target_archE908ELNS1_3gpuE7ELNS1_3repE0EEENS1_30default_config_static_selectorELNS0_4arch9wavefront6targetE0EEEvT1_, .Lfunc_end933-_ZN7rocprim17ROCPRIM_400000_NS6detail17trampoline_kernelINS0_14default_configENS1_27scan_by_key_config_selectorIiiEEZZNS1_16scan_by_key_implILNS1_25lookback_scan_determinismE0ELb0ES3_N6thrust23THRUST_200600_302600_NS6detail15normal_iteratorINS9_10device_ptrIiEEEENS9_18transform_iteratorINS9_6negateIiEESE_NS9_11use_defaultESI_EESE_iNS9_4plusIvEENS9_8equal_toIvEEiEE10hipError_tPvRmT2_T3_T4_T5_mT6_T7_P12ihipStream_tbENKUlT_T0_E_clISt17integral_constantIbLb0EES14_EEDaSZ_S10_EUlSZ_E_NS1_11comp_targetILNS1_3genE3ELNS1_11target_archE908ELNS1_3gpuE7ELNS1_3repE0EEENS1_30default_config_static_selectorELNS0_4arch9wavefront6targetE0EEEvT1_
                                        ; -- End function
	.set _ZN7rocprim17ROCPRIM_400000_NS6detail17trampoline_kernelINS0_14default_configENS1_27scan_by_key_config_selectorIiiEEZZNS1_16scan_by_key_implILNS1_25lookback_scan_determinismE0ELb0ES3_N6thrust23THRUST_200600_302600_NS6detail15normal_iteratorINS9_10device_ptrIiEEEENS9_18transform_iteratorINS9_6negateIiEESE_NS9_11use_defaultESI_EESE_iNS9_4plusIvEENS9_8equal_toIvEEiEE10hipError_tPvRmT2_T3_T4_T5_mT6_T7_P12ihipStream_tbENKUlT_T0_E_clISt17integral_constantIbLb0EES14_EEDaSZ_S10_EUlSZ_E_NS1_11comp_targetILNS1_3genE3ELNS1_11target_archE908ELNS1_3gpuE7ELNS1_3repE0EEENS1_30default_config_static_selectorELNS0_4arch9wavefront6targetE0EEEvT1_.num_vgpr, 0
	.set _ZN7rocprim17ROCPRIM_400000_NS6detail17trampoline_kernelINS0_14default_configENS1_27scan_by_key_config_selectorIiiEEZZNS1_16scan_by_key_implILNS1_25lookback_scan_determinismE0ELb0ES3_N6thrust23THRUST_200600_302600_NS6detail15normal_iteratorINS9_10device_ptrIiEEEENS9_18transform_iteratorINS9_6negateIiEESE_NS9_11use_defaultESI_EESE_iNS9_4plusIvEENS9_8equal_toIvEEiEE10hipError_tPvRmT2_T3_T4_T5_mT6_T7_P12ihipStream_tbENKUlT_T0_E_clISt17integral_constantIbLb0EES14_EEDaSZ_S10_EUlSZ_E_NS1_11comp_targetILNS1_3genE3ELNS1_11target_archE908ELNS1_3gpuE7ELNS1_3repE0EEENS1_30default_config_static_selectorELNS0_4arch9wavefront6targetE0EEEvT1_.num_agpr, 0
	.set _ZN7rocprim17ROCPRIM_400000_NS6detail17trampoline_kernelINS0_14default_configENS1_27scan_by_key_config_selectorIiiEEZZNS1_16scan_by_key_implILNS1_25lookback_scan_determinismE0ELb0ES3_N6thrust23THRUST_200600_302600_NS6detail15normal_iteratorINS9_10device_ptrIiEEEENS9_18transform_iteratorINS9_6negateIiEESE_NS9_11use_defaultESI_EESE_iNS9_4plusIvEENS9_8equal_toIvEEiEE10hipError_tPvRmT2_T3_T4_T5_mT6_T7_P12ihipStream_tbENKUlT_T0_E_clISt17integral_constantIbLb0EES14_EEDaSZ_S10_EUlSZ_E_NS1_11comp_targetILNS1_3genE3ELNS1_11target_archE908ELNS1_3gpuE7ELNS1_3repE0EEENS1_30default_config_static_selectorELNS0_4arch9wavefront6targetE0EEEvT1_.numbered_sgpr, 0
	.set _ZN7rocprim17ROCPRIM_400000_NS6detail17trampoline_kernelINS0_14default_configENS1_27scan_by_key_config_selectorIiiEEZZNS1_16scan_by_key_implILNS1_25lookback_scan_determinismE0ELb0ES3_N6thrust23THRUST_200600_302600_NS6detail15normal_iteratorINS9_10device_ptrIiEEEENS9_18transform_iteratorINS9_6negateIiEESE_NS9_11use_defaultESI_EESE_iNS9_4plusIvEENS9_8equal_toIvEEiEE10hipError_tPvRmT2_T3_T4_T5_mT6_T7_P12ihipStream_tbENKUlT_T0_E_clISt17integral_constantIbLb0EES14_EEDaSZ_S10_EUlSZ_E_NS1_11comp_targetILNS1_3genE3ELNS1_11target_archE908ELNS1_3gpuE7ELNS1_3repE0EEENS1_30default_config_static_selectorELNS0_4arch9wavefront6targetE0EEEvT1_.num_named_barrier, 0
	.set _ZN7rocprim17ROCPRIM_400000_NS6detail17trampoline_kernelINS0_14default_configENS1_27scan_by_key_config_selectorIiiEEZZNS1_16scan_by_key_implILNS1_25lookback_scan_determinismE0ELb0ES3_N6thrust23THRUST_200600_302600_NS6detail15normal_iteratorINS9_10device_ptrIiEEEENS9_18transform_iteratorINS9_6negateIiEESE_NS9_11use_defaultESI_EESE_iNS9_4plusIvEENS9_8equal_toIvEEiEE10hipError_tPvRmT2_T3_T4_T5_mT6_T7_P12ihipStream_tbENKUlT_T0_E_clISt17integral_constantIbLb0EES14_EEDaSZ_S10_EUlSZ_E_NS1_11comp_targetILNS1_3genE3ELNS1_11target_archE908ELNS1_3gpuE7ELNS1_3repE0EEENS1_30default_config_static_selectorELNS0_4arch9wavefront6targetE0EEEvT1_.private_seg_size, 0
	.set _ZN7rocprim17ROCPRIM_400000_NS6detail17trampoline_kernelINS0_14default_configENS1_27scan_by_key_config_selectorIiiEEZZNS1_16scan_by_key_implILNS1_25lookback_scan_determinismE0ELb0ES3_N6thrust23THRUST_200600_302600_NS6detail15normal_iteratorINS9_10device_ptrIiEEEENS9_18transform_iteratorINS9_6negateIiEESE_NS9_11use_defaultESI_EESE_iNS9_4plusIvEENS9_8equal_toIvEEiEE10hipError_tPvRmT2_T3_T4_T5_mT6_T7_P12ihipStream_tbENKUlT_T0_E_clISt17integral_constantIbLb0EES14_EEDaSZ_S10_EUlSZ_E_NS1_11comp_targetILNS1_3genE3ELNS1_11target_archE908ELNS1_3gpuE7ELNS1_3repE0EEENS1_30default_config_static_selectorELNS0_4arch9wavefront6targetE0EEEvT1_.uses_vcc, 0
	.set _ZN7rocprim17ROCPRIM_400000_NS6detail17trampoline_kernelINS0_14default_configENS1_27scan_by_key_config_selectorIiiEEZZNS1_16scan_by_key_implILNS1_25lookback_scan_determinismE0ELb0ES3_N6thrust23THRUST_200600_302600_NS6detail15normal_iteratorINS9_10device_ptrIiEEEENS9_18transform_iteratorINS9_6negateIiEESE_NS9_11use_defaultESI_EESE_iNS9_4plusIvEENS9_8equal_toIvEEiEE10hipError_tPvRmT2_T3_T4_T5_mT6_T7_P12ihipStream_tbENKUlT_T0_E_clISt17integral_constantIbLb0EES14_EEDaSZ_S10_EUlSZ_E_NS1_11comp_targetILNS1_3genE3ELNS1_11target_archE908ELNS1_3gpuE7ELNS1_3repE0EEENS1_30default_config_static_selectorELNS0_4arch9wavefront6targetE0EEEvT1_.uses_flat_scratch, 0
	.set _ZN7rocprim17ROCPRIM_400000_NS6detail17trampoline_kernelINS0_14default_configENS1_27scan_by_key_config_selectorIiiEEZZNS1_16scan_by_key_implILNS1_25lookback_scan_determinismE0ELb0ES3_N6thrust23THRUST_200600_302600_NS6detail15normal_iteratorINS9_10device_ptrIiEEEENS9_18transform_iteratorINS9_6negateIiEESE_NS9_11use_defaultESI_EESE_iNS9_4plusIvEENS9_8equal_toIvEEiEE10hipError_tPvRmT2_T3_T4_T5_mT6_T7_P12ihipStream_tbENKUlT_T0_E_clISt17integral_constantIbLb0EES14_EEDaSZ_S10_EUlSZ_E_NS1_11comp_targetILNS1_3genE3ELNS1_11target_archE908ELNS1_3gpuE7ELNS1_3repE0EEENS1_30default_config_static_selectorELNS0_4arch9wavefront6targetE0EEEvT1_.has_dyn_sized_stack, 0
	.set _ZN7rocprim17ROCPRIM_400000_NS6detail17trampoline_kernelINS0_14default_configENS1_27scan_by_key_config_selectorIiiEEZZNS1_16scan_by_key_implILNS1_25lookback_scan_determinismE0ELb0ES3_N6thrust23THRUST_200600_302600_NS6detail15normal_iteratorINS9_10device_ptrIiEEEENS9_18transform_iteratorINS9_6negateIiEESE_NS9_11use_defaultESI_EESE_iNS9_4plusIvEENS9_8equal_toIvEEiEE10hipError_tPvRmT2_T3_T4_T5_mT6_T7_P12ihipStream_tbENKUlT_T0_E_clISt17integral_constantIbLb0EES14_EEDaSZ_S10_EUlSZ_E_NS1_11comp_targetILNS1_3genE3ELNS1_11target_archE908ELNS1_3gpuE7ELNS1_3repE0EEENS1_30default_config_static_selectorELNS0_4arch9wavefront6targetE0EEEvT1_.has_recursion, 0
	.set _ZN7rocprim17ROCPRIM_400000_NS6detail17trampoline_kernelINS0_14default_configENS1_27scan_by_key_config_selectorIiiEEZZNS1_16scan_by_key_implILNS1_25lookback_scan_determinismE0ELb0ES3_N6thrust23THRUST_200600_302600_NS6detail15normal_iteratorINS9_10device_ptrIiEEEENS9_18transform_iteratorINS9_6negateIiEESE_NS9_11use_defaultESI_EESE_iNS9_4plusIvEENS9_8equal_toIvEEiEE10hipError_tPvRmT2_T3_T4_T5_mT6_T7_P12ihipStream_tbENKUlT_T0_E_clISt17integral_constantIbLb0EES14_EEDaSZ_S10_EUlSZ_E_NS1_11comp_targetILNS1_3genE3ELNS1_11target_archE908ELNS1_3gpuE7ELNS1_3repE0EEENS1_30default_config_static_selectorELNS0_4arch9wavefront6targetE0EEEvT1_.has_indirect_call, 0
	.section	.AMDGPU.csdata,"",@progbits
; Kernel info:
; codeLenInByte = 0
; TotalNumSgprs: 0
; NumVgprs: 0
; ScratchSize: 0
; MemoryBound: 0
; FloatMode: 240
; IeeeMode: 1
; LDSByteSize: 0 bytes/workgroup (compile time only)
; SGPRBlocks: 0
; VGPRBlocks: 0
; NumSGPRsForWavesPerEU: 1
; NumVGPRsForWavesPerEU: 1
; NamedBarCnt: 0
; Occupancy: 16
; WaveLimiterHint : 0
; COMPUTE_PGM_RSRC2:SCRATCH_EN: 0
; COMPUTE_PGM_RSRC2:USER_SGPR: 2
; COMPUTE_PGM_RSRC2:TRAP_HANDLER: 0
; COMPUTE_PGM_RSRC2:TGID_X_EN: 1
; COMPUTE_PGM_RSRC2:TGID_Y_EN: 0
; COMPUTE_PGM_RSRC2:TGID_Z_EN: 0
; COMPUTE_PGM_RSRC2:TIDIG_COMP_CNT: 0
	.section	.text._ZN7rocprim17ROCPRIM_400000_NS6detail17trampoline_kernelINS0_14default_configENS1_27scan_by_key_config_selectorIiiEEZZNS1_16scan_by_key_implILNS1_25lookback_scan_determinismE0ELb0ES3_N6thrust23THRUST_200600_302600_NS6detail15normal_iteratorINS9_10device_ptrIiEEEENS9_18transform_iteratorINS9_6negateIiEESE_NS9_11use_defaultESI_EESE_iNS9_4plusIvEENS9_8equal_toIvEEiEE10hipError_tPvRmT2_T3_T4_T5_mT6_T7_P12ihipStream_tbENKUlT_T0_E_clISt17integral_constantIbLb0EES14_EEDaSZ_S10_EUlSZ_E_NS1_11comp_targetILNS1_3genE2ELNS1_11target_archE906ELNS1_3gpuE6ELNS1_3repE0EEENS1_30default_config_static_selectorELNS0_4arch9wavefront6targetE0EEEvT1_,"axG",@progbits,_ZN7rocprim17ROCPRIM_400000_NS6detail17trampoline_kernelINS0_14default_configENS1_27scan_by_key_config_selectorIiiEEZZNS1_16scan_by_key_implILNS1_25lookback_scan_determinismE0ELb0ES3_N6thrust23THRUST_200600_302600_NS6detail15normal_iteratorINS9_10device_ptrIiEEEENS9_18transform_iteratorINS9_6negateIiEESE_NS9_11use_defaultESI_EESE_iNS9_4plusIvEENS9_8equal_toIvEEiEE10hipError_tPvRmT2_T3_T4_T5_mT6_T7_P12ihipStream_tbENKUlT_T0_E_clISt17integral_constantIbLb0EES14_EEDaSZ_S10_EUlSZ_E_NS1_11comp_targetILNS1_3genE2ELNS1_11target_archE906ELNS1_3gpuE6ELNS1_3repE0EEENS1_30default_config_static_selectorELNS0_4arch9wavefront6targetE0EEEvT1_,comdat
	.protected	_ZN7rocprim17ROCPRIM_400000_NS6detail17trampoline_kernelINS0_14default_configENS1_27scan_by_key_config_selectorIiiEEZZNS1_16scan_by_key_implILNS1_25lookback_scan_determinismE0ELb0ES3_N6thrust23THRUST_200600_302600_NS6detail15normal_iteratorINS9_10device_ptrIiEEEENS9_18transform_iteratorINS9_6negateIiEESE_NS9_11use_defaultESI_EESE_iNS9_4plusIvEENS9_8equal_toIvEEiEE10hipError_tPvRmT2_T3_T4_T5_mT6_T7_P12ihipStream_tbENKUlT_T0_E_clISt17integral_constantIbLb0EES14_EEDaSZ_S10_EUlSZ_E_NS1_11comp_targetILNS1_3genE2ELNS1_11target_archE906ELNS1_3gpuE6ELNS1_3repE0EEENS1_30default_config_static_selectorELNS0_4arch9wavefront6targetE0EEEvT1_ ; -- Begin function _ZN7rocprim17ROCPRIM_400000_NS6detail17trampoline_kernelINS0_14default_configENS1_27scan_by_key_config_selectorIiiEEZZNS1_16scan_by_key_implILNS1_25lookback_scan_determinismE0ELb0ES3_N6thrust23THRUST_200600_302600_NS6detail15normal_iteratorINS9_10device_ptrIiEEEENS9_18transform_iteratorINS9_6negateIiEESE_NS9_11use_defaultESI_EESE_iNS9_4plusIvEENS9_8equal_toIvEEiEE10hipError_tPvRmT2_T3_T4_T5_mT6_T7_P12ihipStream_tbENKUlT_T0_E_clISt17integral_constantIbLb0EES14_EEDaSZ_S10_EUlSZ_E_NS1_11comp_targetILNS1_3genE2ELNS1_11target_archE906ELNS1_3gpuE6ELNS1_3repE0EEENS1_30default_config_static_selectorELNS0_4arch9wavefront6targetE0EEEvT1_
	.globl	_ZN7rocprim17ROCPRIM_400000_NS6detail17trampoline_kernelINS0_14default_configENS1_27scan_by_key_config_selectorIiiEEZZNS1_16scan_by_key_implILNS1_25lookback_scan_determinismE0ELb0ES3_N6thrust23THRUST_200600_302600_NS6detail15normal_iteratorINS9_10device_ptrIiEEEENS9_18transform_iteratorINS9_6negateIiEESE_NS9_11use_defaultESI_EESE_iNS9_4plusIvEENS9_8equal_toIvEEiEE10hipError_tPvRmT2_T3_T4_T5_mT6_T7_P12ihipStream_tbENKUlT_T0_E_clISt17integral_constantIbLb0EES14_EEDaSZ_S10_EUlSZ_E_NS1_11comp_targetILNS1_3genE2ELNS1_11target_archE906ELNS1_3gpuE6ELNS1_3repE0EEENS1_30default_config_static_selectorELNS0_4arch9wavefront6targetE0EEEvT1_
	.p2align	8
	.type	_ZN7rocprim17ROCPRIM_400000_NS6detail17trampoline_kernelINS0_14default_configENS1_27scan_by_key_config_selectorIiiEEZZNS1_16scan_by_key_implILNS1_25lookback_scan_determinismE0ELb0ES3_N6thrust23THRUST_200600_302600_NS6detail15normal_iteratorINS9_10device_ptrIiEEEENS9_18transform_iteratorINS9_6negateIiEESE_NS9_11use_defaultESI_EESE_iNS9_4plusIvEENS9_8equal_toIvEEiEE10hipError_tPvRmT2_T3_T4_T5_mT6_T7_P12ihipStream_tbENKUlT_T0_E_clISt17integral_constantIbLb0EES14_EEDaSZ_S10_EUlSZ_E_NS1_11comp_targetILNS1_3genE2ELNS1_11target_archE906ELNS1_3gpuE6ELNS1_3repE0EEENS1_30default_config_static_selectorELNS0_4arch9wavefront6targetE0EEEvT1_,@function
_ZN7rocprim17ROCPRIM_400000_NS6detail17trampoline_kernelINS0_14default_configENS1_27scan_by_key_config_selectorIiiEEZZNS1_16scan_by_key_implILNS1_25lookback_scan_determinismE0ELb0ES3_N6thrust23THRUST_200600_302600_NS6detail15normal_iteratorINS9_10device_ptrIiEEEENS9_18transform_iteratorINS9_6negateIiEESE_NS9_11use_defaultESI_EESE_iNS9_4plusIvEENS9_8equal_toIvEEiEE10hipError_tPvRmT2_T3_T4_T5_mT6_T7_P12ihipStream_tbENKUlT_T0_E_clISt17integral_constantIbLb0EES14_EEDaSZ_S10_EUlSZ_E_NS1_11comp_targetILNS1_3genE2ELNS1_11target_archE906ELNS1_3gpuE6ELNS1_3repE0EEENS1_30default_config_static_selectorELNS0_4arch9wavefront6targetE0EEEvT1_: ; @_ZN7rocprim17ROCPRIM_400000_NS6detail17trampoline_kernelINS0_14default_configENS1_27scan_by_key_config_selectorIiiEEZZNS1_16scan_by_key_implILNS1_25lookback_scan_determinismE0ELb0ES3_N6thrust23THRUST_200600_302600_NS6detail15normal_iteratorINS9_10device_ptrIiEEEENS9_18transform_iteratorINS9_6negateIiEESE_NS9_11use_defaultESI_EESE_iNS9_4plusIvEENS9_8equal_toIvEEiEE10hipError_tPvRmT2_T3_T4_T5_mT6_T7_P12ihipStream_tbENKUlT_T0_E_clISt17integral_constantIbLb0EES14_EEDaSZ_S10_EUlSZ_E_NS1_11comp_targetILNS1_3genE2ELNS1_11target_archE906ELNS1_3gpuE6ELNS1_3repE0EEENS1_30default_config_static_selectorELNS0_4arch9wavefront6targetE0EEEvT1_
; %bb.0:
	.section	.rodata,"a",@progbits
	.p2align	6, 0x0
	.amdhsa_kernel _ZN7rocprim17ROCPRIM_400000_NS6detail17trampoline_kernelINS0_14default_configENS1_27scan_by_key_config_selectorIiiEEZZNS1_16scan_by_key_implILNS1_25lookback_scan_determinismE0ELb0ES3_N6thrust23THRUST_200600_302600_NS6detail15normal_iteratorINS9_10device_ptrIiEEEENS9_18transform_iteratorINS9_6negateIiEESE_NS9_11use_defaultESI_EESE_iNS9_4plusIvEENS9_8equal_toIvEEiEE10hipError_tPvRmT2_T3_T4_T5_mT6_T7_P12ihipStream_tbENKUlT_T0_E_clISt17integral_constantIbLb0EES14_EEDaSZ_S10_EUlSZ_E_NS1_11comp_targetILNS1_3genE2ELNS1_11target_archE906ELNS1_3gpuE6ELNS1_3repE0EEENS1_30default_config_static_selectorELNS0_4arch9wavefront6targetE0EEEvT1_
		.amdhsa_group_segment_fixed_size 0
		.amdhsa_private_segment_fixed_size 0
		.amdhsa_kernarg_size 120
		.amdhsa_user_sgpr_count 2
		.amdhsa_user_sgpr_dispatch_ptr 0
		.amdhsa_user_sgpr_queue_ptr 0
		.amdhsa_user_sgpr_kernarg_segment_ptr 1
		.amdhsa_user_sgpr_dispatch_id 0
		.amdhsa_user_sgpr_kernarg_preload_length 0
		.amdhsa_user_sgpr_kernarg_preload_offset 0
		.amdhsa_user_sgpr_private_segment_size 0
		.amdhsa_wavefront_size32 1
		.amdhsa_uses_dynamic_stack 0
		.amdhsa_enable_private_segment 0
		.amdhsa_system_sgpr_workgroup_id_x 1
		.amdhsa_system_sgpr_workgroup_id_y 0
		.amdhsa_system_sgpr_workgroup_id_z 0
		.amdhsa_system_sgpr_workgroup_info 0
		.amdhsa_system_vgpr_workitem_id 0
		.amdhsa_next_free_vgpr 1
		.amdhsa_next_free_sgpr 1
		.amdhsa_named_barrier_count 0
		.amdhsa_reserve_vcc 0
		.amdhsa_float_round_mode_32 0
		.amdhsa_float_round_mode_16_64 0
		.amdhsa_float_denorm_mode_32 3
		.amdhsa_float_denorm_mode_16_64 3
		.amdhsa_fp16_overflow 0
		.amdhsa_memory_ordered 1
		.amdhsa_forward_progress 1
		.amdhsa_inst_pref_size 0
		.amdhsa_round_robin_scheduling 0
		.amdhsa_exception_fp_ieee_invalid_op 0
		.amdhsa_exception_fp_denorm_src 0
		.amdhsa_exception_fp_ieee_div_zero 0
		.amdhsa_exception_fp_ieee_overflow 0
		.amdhsa_exception_fp_ieee_underflow 0
		.amdhsa_exception_fp_ieee_inexact 0
		.amdhsa_exception_int_div_zero 0
	.end_amdhsa_kernel
	.section	.text._ZN7rocprim17ROCPRIM_400000_NS6detail17trampoline_kernelINS0_14default_configENS1_27scan_by_key_config_selectorIiiEEZZNS1_16scan_by_key_implILNS1_25lookback_scan_determinismE0ELb0ES3_N6thrust23THRUST_200600_302600_NS6detail15normal_iteratorINS9_10device_ptrIiEEEENS9_18transform_iteratorINS9_6negateIiEESE_NS9_11use_defaultESI_EESE_iNS9_4plusIvEENS9_8equal_toIvEEiEE10hipError_tPvRmT2_T3_T4_T5_mT6_T7_P12ihipStream_tbENKUlT_T0_E_clISt17integral_constantIbLb0EES14_EEDaSZ_S10_EUlSZ_E_NS1_11comp_targetILNS1_3genE2ELNS1_11target_archE906ELNS1_3gpuE6ELNS1_3repE0EEENS1_30default_config_static_selectorELNS0_4arch9wavefront6targetE0EEEvT1_,"axG",@progbits,_ZN7rocprim17ROCPRIM_400000_NS6detail17trampoline_kernelINS0_14default_configENS1_27scan_by_key_config_selectorIiiEEZZNS1_16scan_by_key_implILNS1_25lookback_scan_determinismE0ELb0ES3_N6thrust23THRUST_200600_302600_NS6detail15normal_iteratorINS9_10device_ptrIiEEEENS9_18transform_iteratorINS9_6negateIiEESE_NS9_11use_defaultESI_EESE_iNS9_4plusIvEENS9_8equal_toIvEEiEE10hipError_tPvRmT2_T3_T4_T5_mT6_T7_P12ihipStream_tbENKUlT_T0_E_clISt17integral_constantIbLb0EES14_EEDaSZ_S10_EUlSZ_E_NS1_11comp_targetILNS1_3genE2ELNS1_11target_archE906ELNS1_3gpuE6ELNS1_3repE0EEENS1_30default_config_static_selectorELNS0_4arch9wavefront6targetE0EEEvT1_,comdat
.Lfunc_end934:
	.size	_ZN7rocprim17ROCPRIM_400000_NS6detail17trampoline_kernelINS0_14default_configENS1_27scan_by_key_config_selectorIiiEEZZNS1_16scan_by_key_implILNS1_25lookback_scan_determinismE0ELb0ES3_N6thrust23THRUST_200600_302600_NS6detail15normal_iteratorINS9_10device_ptrIiEEEENS9_18transform_iteratorINS9_6negateIiEESE_NS9_11use_defaultESI_EESE_iNS9_4plusIvEENS9_8equal_toIvEEiEE10hipError_tPvRmT2_T3_T4_T5_mT6_T7_P12ihipStream_tbENKUlT_T0_E_clISt17integral_constantIbLb0EES14_EEDaSZ_S10_EUlSZ_E_NS1_11comp_targetILNS1_3genE2ELNS1_11target_archE906ELNS1_3gpuE6ELNS1_3repE0EEENS1_30default_config_static_selectorELNS0_4arch9wavefront6targetE0EEEvT1_, .Lfunc_end934-_ZN7rocprim17ROCPRIM_400000_NS6detail17trampoline_kernelINS0_14default_configENS1_27scan_by_key_config_selectorIiiEEZZNS1_16scan_by_key_implILNS1_25lookback_scan_determinismE0ELb0ES3_N6thrust23THRUST_200600_302600_NS6detail15normal_iteratorINS9_10device_ptrIiEEEENS9_18transform_iteratorINS9_6negateIiEESE_NS9_11use_defaultESI_EESE_iNS9_4plusIvEENS9_8equal_toIvEEiEE10hipError_tPvRmT2_T3_T4_T5_mT6_T7_P12ihipStream_tbENKUlT_T0_E_clISt17integral_constantIbLb0EES14_EEDaSZ_S10_EUlSZ_E_NS1_11comp_targetILNS1_3genE2ELNS1_11target_archE906ELNS1_3gpuE6ELNS1_3repE0EEENS1_30default_config_static_selectorELNS0_4arch9wavefront6targetE0EEEvT1_
                                        ; -- End function
	.set _ZN7rocprim17ROCPRIM_400000_NS6detail17trampoline_kernelINS0_14default_configENS1_27scan_by_key_config_selectorIiiEEZZNS1_16scan_by_key_implILNS1_25lookback_scan_determinismE0ELb0ES3_N6thrust23THRUST_200600_302600_NS6detail15normal_iteratorINS9_10device_ptrIiEEEENS9_18transform_iteratorINS9_6negateIiEESE_NS9_11use_defaultESI_EESE_iNS9_4plusIvEENS9_8equal_toIvEEiEE10hipError_tPvRmT2_T3_T4_T5_mT6_T7_P12ihipStream_tbENKUlT_T0_E_clISt17integral_constantIbLb0EES14_EEDaSZ_S10_EUlSZ_E_NS1_11comp_targetILNS1_3genE2ELNS1_11target_archE906ELNS1_3gpuE6ELNS1_3repE0EEENS1_30default_config_static_selectorELNS0_4arch9wavefront6targetE0EEEvT1_.num_vgpr, 0
	.set _ZN7rocprim17ROCPRIM_400000_NS6detail17trampoline_kernelINS0_14default_configENS1_27scan_by_key_config_selectorIiiEEZZNS1_16scan_by_key_implILNS1_25lookback_scan_determinismE0ELb0ES3_N6thrust23THRUST_200600_302600_NS6detail15normal_iteratorINS9_10device_ptrIiEEEENS9_18transform_iteratorINS9_6negateIiEESE_NS9_11use_defaultESI_EESE_iNS9_4plusIvEENS9_8equal_toIvEEiEE10hipError_tPvRmT2_T3_T4_T5_mT6_T7_P12ihipStream_tbENKUlT_T0_E_clISt17integral_constantIbLb0EES14_EEDaSZ_S10_EUlSZ_E_NS1_11comp_targetILNS1_3genE2ELNS1_11target_archE906ELNS1_3gpuE6ELNS1_3repE0EEENS1_30default_config_static_selectorELNS0_4arch9wavefront6targetE0EEEvT1_.num_agpr, 0
	.set _ZN7rocprim17ROCPRIM_400000_NS6detail17trampoline_kernelINS0_14default_configENS1_27scan_by_key_config_selectorIiiEEZZNS1_16scan_by_key_implILNS1_25lookback_scan_determinismE0ELb0ES3_N6thrust23THRUST_200600_302600_NS6detail15normal_iteratorINS9_10device_ptrIiEEEENS9_18transform_iteratorINS9_6negateIiEESE_NS9_11use_defaultESI_EESE_iNS9_4plusIvEENS9_8equal_toIvEEiEE10hipError_tPvRmT2_T3_T4_T5_mT6_T7_P12ihipStream_tbENKUlT_T0_E_clISt17integral_constantIbLb0EES14_EEDaSZ_S10_EUlSZ_E_NS1_11comp_targetILNS1_3genE2ELNS1_11target_archE906ELNS1_3gpuE6ELNS1_3repE0EEENS1_30default_config_static_selectorELNS0_4arch9wavefront6targetE0EEEvT1_.numbered_sgpr, 0
	.set _ZN7rocprim17ROCPRIM_400000_NS6detail17trampoline_kernelINS0_14default_configENS1_27scan_by_key_config_selectorIiiEEZZNS1_16scan_by_key_implILNS1_25lookback_scan_determinismE0ELb0ES3_N6thrust23THRUST_200600_302600_NS6detail15normal_iteratorINS9_10device_ptrIiEEEENS9_18transform_iteratorINS9_6negateIiEESE_NS9_11use_defaultESI_EESE_iNS9_4plusIvEENS9_8equal_toIvEEiEE10hipError_tPvRmT2_T3_T4_T5_mT6_T7_P12ihipStream_tbENKUlT_T0_E_clISt17integral_constantIbLb0EES14_EEDaSZ_S10_EUlSZ_E_NS1_11comp_targetILNS1_3genE2ELNS1_11target_archE906ELNS1_3gpuE6ELNS1_3repE0EEENS1_30default_config_static_selectorELNS0_4arch9wavefront6targetE0EEEvT1_.num_named_barrier, 0
	.set _ZN7rocprim17ROCPRIM_400000_NS6detail17trampoline_kernelINS0_14default_configENS1_27scan_by_key_config_selectorIiiEEZZNS1_16scan_by_key_implILNS1_25lookback_scan_determinismE0ELb0ES3_N6thrust23THRUST_200600_302600_NS6detail15normal_iteratorINS9_10device_ptrIiEEEENS9_18transform_iteratorINS9_6negateIiEESE_NS9_11use_defaultESI_EESE_iNS9_4plusIvEENS9_8equal_toIvEEiEE10hipError_tPvRmT2_T3_T4_T5_mT6_T7_P12ihipStream_tbENKUlT_T0_E_clISt17integral_constantIbLb0EES14_EEDaSZ_S10_EUlSZ_E_NS1_11comp_targetILNS1_3genE2ELNS1_11target_archE906ELNS1_3gpuE6ELNS1_3repE0EEENS1_30default_config_static_selectorELNS0_4arch9wavefront6targetE0EEEvT1_.private_seg_size, 0
	.set _ZN7rocprim17ROCPRIM_400000_NS6detail17trampoline_kernelINS0_14default_configENS1_27scan_by_key_config_selectorIiiEEZZNS1_16scan_by_key_implILNS1_25lookback_scan_determinismE0ELb0ES3_N6thrust23THRUST_200600_302600_NS6detail15normal_iteratorINS9_10device_ptrIiEEEENS9_18transform_iteratorINS9_6negateIiEESE_NS9_11use_defaultESI_EESE_iNS9_4plusIvEENS9_8equal_toIvEEiEE10hipError_tPvRmT2_T3_T4_T5_mT6_T7_P12ihipStream_tbENKUlT_T0_E_clISt17integral_constantIbLb0EES14_EEDaSZ_S10_EUlSZ_E_NS1_11comp_targetILNS1_3genE2ELNS1_11target_archE906ELNS1_3gpuE6ELNS1_3repE0EEENS1_30default_config_static_selectorELNS0_4arch9wavefront6targetE0EEEvT1_.uses_vcc, 0
	.set _ZN7rocprim17ROCPRIM_400000_NS6detail17trampoline_kernelINS0_14default_configENS1_27scan_by_key_config_selectorIiiEEZZNS1_16scan_by_key_implILNS1_25lookback_scan_determinismE0ELb0ES3_N6thrust23THRUST_200600_302600_NS6detail15normal_iteratorINS9_10device_ptrIiEEEENS9_18transform_iteratorINS9_6negateIiEESE_NS9_11use_defaultESI_EESE_iNS9_4plusIvEENS9_8equal_toIvEEiEE10hipError_tPvRmT2_T3_T4_T5_mT6_T7_P12ihipStream_tbENKUlT_T0_E_clISt17integral_constantIbLb0EES14_EEDaSZ_S10_EUlSZ_E_NS1_11comp_targetILNS1_3genE2ELNS1_11target_archE906ELNS1_3gpuE6ELNS1_3repE0EEENS1_30default_config_static_selectorELNS0_4arch9wavefront6targetE0EEEvT1_.uses_flat_scratch, 0
	.set _ZN7rocprim17ROCPRIM_400000_NS6detail17trampoline_kernelINS0_14default_configENS1_27scan_by_key_config_selectorIiiEEZZNS1_16scan_by_key_implILNS1_25lookback_scan_determinismE0ELb0ES3_N6thrust23THRUST_200600_302600_NS6detail15normal_iteratorINS9_10device_ptrIiEEEENS9_18transform_iteratorINS9_6negateIiEESE_NS9_11use_defaultESI_EESE_iNS9_4plusIvEENS9_8equal_toIvEEiEE10hipError_tPvRmT2_T3_T4_T5_mT6_T7_P12ihipStream_tbENKUlT_T0_E_clISt17integral_constantIbLb0EES14_EEDaSZ_S10_EUlSZ_E_NS1_11comp_targetILNS1_3genE2ELNS1_11target_archE906ELNS1_3gpuE6ELNS1_3repE0EEENS1_30default_config_static_selectorELNS0_4arch9wavefront6targetE0EEEvT1_.has_dyn_sized_stack, 0
	.set _ZN7rocprim17ROCPRIM_400000_NS6detail17trampoline_kernelINS0_14default_configENS1_27scan_by_key_config_selectorIiiEEZZNS1_16scan_by_key_implILNS1_25lookback_scan_determinismE0ELb0ES3_N6thrust23THRUST_200600_302600_NS6detail15normal_iteratorINS9_10device_ptrIiEEEENS9_18transform_iteratorINS9_6negateIiEESE_NS9_11use_defaultESI_EESE_iNS9_4plusIvEENS9_8equal_toIvEEiEE10hipError_tPvRmT2_T3_T4_T5_mT6_T7_P12ihipStream_tbENKUlT_T0_E_clISt17integral_constantIbLb0EES14_EEDaSZ_S10_EUlSZ_E_NS1_11comp_targetILNS1_3genE2ELNS1_11target_archE906ELNS1_3gpuE6ELNS1_3repE0EEENS1_30default_config_static_selectorELNS0_4arch9wavefront6targetE0EEEvT1_.has_recursion, 0
	.set _ZN7rocprim17ROCPRIM_400000_NS6detail17trampoline_kernelINS0_14default_configENS1_27scan_by_key_config_selectorIiiEEZZNS1_16scan_by_key_implILNS1_25lookback_scan_determinismE0ELb0ES3_N6thrust23THRUST_200600_302600_NS6detail15normal_iteratorINS9_10device_ptrIiEEEENS9_18transform_iteratorINS9_6negateIiEESE_NS9_11use_defaultESI_EESE_iNS9_4plusIvEENS9_8equal_toIvEEiEE10hipError_tPvRmT2_T3_T4_T5_mT6_T7_P12ihipStream_tbENKUlT_T0_E_clISt17integral_constantIbLb0EES14_EEDaSZ_S10_EUlSZ_E_NS1_11comp_targetILNS1_3genE2ELNS1_11target_archE906ELNS1_3gpuE6ELNS1_3repE0EEENS1_30default_config_static_selectorELNS0_4arch9wavefront6targetE0EEEvT1_.has_indirect_call, 0
	.section	.AMDGPU.csdata,"",@progbits
; Kernel info:
; codeLenInByte = 0
; TotalNumSgprs: 0
; NumVgprs: 0
; ScratchSize: 0
; MemoryBound: 0
; FloatMode: 240
; IeeeMode: 1
; LDSByteSize: 0 bytes/workgroup (compile time only)
; SGPRBlocks: 0
; VGPRBlocks: 0
; NumSGPRsForWavesPerEU: 1
; NumVGPRsForWavesPerEU: 1
; NamedBarCnt: 0
; Occupancy: 16
; WaveLimiterHint : 0
; COMPUTE_PGM_RSRC2:SCRATCH_EN: 0
; COMPUTE_PGM_RSRC2:USER_SGPR: 2
; COMPUTE_PGM_RSRC2:TRAP_HANDLER: 0
; COMPUTE_PGM_RSRC2:TGID_X_EN: 1
; COMPUTE_PGM_RSRC2:TGID_Y_EN: 0
; COMPUTE_PGM_RSRC2:TGID_Z_EN: 0
; COMPUTE_PGM_RSRC2:TIDIG_COMP_CNT: 0
	.section	.text._ZN7rocprim17ROCPRIM_400000_NS6detail17trampoline_kernelINS0_14default_configENS1_27scan_by_key_config_selectorIiiEEZZNS1_16scan_by_key_implILNS1_25lookback_scan_determinismE0ELb0ES3_N6thrust23THRUST_200600_302600_NS6detail15normal_iteratorINS9_10device_ptrIiEEEENS9_18transform_iteratorINS9_6negateIiEESE_NS9_11use_defaultESI_EESE_iNS9_4plusIvEENS9_8equal_toIvEEiEE10hipError_tPvRmT2_T3_T4_T5_mT6_T7_P12ihipStream_tbENKUlT_T0_E_clISt17integral_constantIbLb0EES14_EEDaSZ_S10_EUlSZ_E_NS1_11comp_targetILNS1_3genE10ELNS1_11target_archE1200ELNS1_3gpuE4ELNS1_3repE0EEENS1_30default_config_static_selectorELNS0_4arch9wavefront6targetE0EEEvT1_,"axG",@progbits,_ZN7rocprim17ROCPRIM_400000_NS6detail17trampoline_kernelINS0_14default_configENS1_27scan_by_key_config_selectorIiiEEZZNS1_16scan_by_key_implILNS1_25lookback_scan_determinismE0ELb0ES3_N6thrust23THRUST_200600_302600_NS6detail15normal_iteratorINS9_10device_ptrIiEEEENS9_18transform_iteratorINS9_6negateIiEESE_NS9_11use_defaultESI_EESE_iNS9_4plusIvEENS9_8equal_toIvEEiEE10hipError_tPvRmT2_T3_T4_T5_mT6_T7_P12ihipStream_tbENKUlT_T0_E_clISt17integral_constantIbLb0EES14_EEDaSZ_S10_EUlSZ_E_NS1_11comp_targetILNS1_3genE10ELNS1_11target_archE1200ELNS1_3gpuE4ELNS1_3repE0EEENS1_30default_config_static_selectorELNS0_4arch9wavefront6targetE0EEEvT1_,comdat
	.protected	_ZN7rocprim17ROCPRIM_400000_NS6detail17trampoline_kernelINS0_14default_configENS1_27scan_by_key_config_selectorIiiEEZZNS1_16scan_by_key_implILNS1_25lookback_scan_determinismE0ELb0ES3_N6thrust23THRUST_200600_302600_NS6detail15normal_iteratorINS9_10device_ptrIiEEEENS9_18transform_iteratorINS9_6negateIiEESE_NS9_11use_defaultESI_EESE_iNS9_4plusIvEENS9_8equal_toIvEEiEE10hipError_tPvRmT2_T3_T4_T5_mT6_T7_P12ihipStream_tbENKUlT_T0_E_clISt17integral_constantIbLb0EES14_EEDaSZ_S10_EUlSZ_E_NS1_11comp_targetILNS1_3genE10ELNS1_11target_archE1200ELNS1_3gpuE4ELNS1_3repE0EEENS1_30default_config_static_selectorELNS0_4arch9wavefront6targetE0EEEvT1_ ; -- Begin function _ZN7rocprim17ROCPRIM_400000_NS6detail17trampoline_kernelINS0_14default_configENS1_27scan_by_key_config_selectorIiiEEZZNS1_16scan_by_key_implILNS1_25lookback_scan_determinismE0ELb0ES3_N6thrust23THRUST_200600_302600_NS6detail15normal_iteratorINS9_10device_ptrIiEEEENS9_18transform_iteratorINS9_6negateIiEESE_NS9_11use_defaultESI_EESE_iNS9_4plusIvEENS9_8equal_toIvEEiEE10hipError_tPvRmT2_T3_T4_T5_mT6_T7_P12ihipStream_tbENKUlT_T0_E_clISt17integral_constantIbLb0EES14_EEDaSZ_S10_EUlSZ_E_NS1_11comp_targetILNS1_3genE10ELNS1_11target_archE1200ELNS1_3gpuE4ELNS1_3repE0EEENS1_30default_config_static_selectorELNS0_4arch9wavefront6targetE0EEEvT1_
	.globl	_ZN7rocprim17ROCPRIM_400000_NS6detail17trampoline_kernelINS0_14default_configENS1_27scan_by_key_config_selectorIiiEEZZNS1_16scan_by_key_implILNS1_25lookback_scan_determinismE0ELb0ES3_N6thrust23THRUST_200600_302600_NS6detail15normal_iteratorINS9_10device_ptrIiEEEENS9_18transform_iteratorINS9_6negateIiEESE_NS9_11use_defaultESI_EESE_iNS9_4plusIvEENS9_8equal_toIvEEiEE10hipError_tPvRmT2_T3_T4_T5_mT6_T7_P12ihipStream_tbENKUlT_T0_E_clISt17integral_constantIbLb0EES14_EEDaSZ_S10_EUlSZ_E_NS1_11comp_targetILNS1_3genE10ELNS1_11target_archE1200ELNS1_3gpuE4ELNS1_3repE0EEENS1_30default_config_static_selectorELNS0_4arch9wavefront6targetE0EEEvT1_
	.p2align	8
	.type	_ZN7rocprim17ROCPRIM_400000_NS6detail17trampoline_kernelINS0_14default_configENS1_27scan_by_key_config_selectorIiiEEZZNS1_16scan_by_key_implILNS1_25lookback_scan_determinismE0ELb0ES3_N6thrust23THRUST_200600_302600_NS6detail15normal_iteratorINS9_10device_ptrIiEEEENS9_18transform_iteratorINS9_6negateIiEESE_NS9_11use_defaultESI_EESE_iNS9_4plusIvEENS9_8equal_toIvEEiEE10hipError_tPvRmT2_T3_T4_T5_mT6_T7_P12ihipStream_tbENKUlT_T0_E_clISt17integral_constantIbLb0EES14_EEDaSZ_S10_EUlSZ_E_NS1_11comp_targetILNS1_3genE10ELNS1_11target_archE1200ELNS1_3gpuE4ELNS1_3repE0EEENS1_30default_config_static_selectorELNS0_4arch9wavefront6targetE0EEEvT1_,@function
_ZN7rocprim17ROCPRIM_400000_NS6detail17trampoline_kernelINS0_14default_configENS1_27scan_by_key_config_selectorIiiEEZZNS1_16scan_by_key_implILNS1_25lookback_scan_determinismE0ELb0ES3_N6thrust23THRUST_200600_302600_NS6detail15normal_iteratorINS9_10device_ptrIiEEEENS9_18transform_iteratorINS9_6negateIiEESE_NS9_11use_defaultESI_EESE_iNS9_4plusIvEENS9_8equal_toIvEEiEE10hipError_tPvRmT2_T3_T4_T5_mT6_T7_P12ihipStream_tbENKUlT_T0_E_clISt17integral_constantIbLb0EES14_EEDaSZ_S10_EUlSZ_E_NS1_11comp_targetILNS1_3genE10ELNS1_11target_archE1200ELNS1_3gpuE4ELNS1_3repE0EEENS1_30default_config_static_selectorELNS0_4arch9wavefront6targetE0EEEvT1_: ; @_ZN7rocprim17ROCPRIM_400000_NS6detail17trampoline_kernelINS0_14default_configENS1_27scan_by_key_config_selectorIiiEEZZNS1_16scan_by_key_implILNS1_25lookback_scan_determinismE0ELb0ES3_N6thrust23THRUST_200600_302600_NS6detail15normal_iteratorINS9_10device_ptrIiEEEENS9_18transform_iteratorINS9_6negateIiEESE_NS9_11use_defaultESI_EESE_iNS9_4plusIvEENS9_8equal_toIvEEiEE10hipError_tPvRmT2_T3_T4_T5_mT6_T7_P12ihipStream_tbENKUlT_T0_E_clISt17integral_constantIbLb0EES14_EEDaSZ_S10_EUlSZ_E_NS1_11comp_targetILNS1_3genE10ELNS1_11target_archE1200ELNS1_3gpuE4ELNS1_3repE0EEENS1_30default_config_static_selectorELNS0_4arch9wavefront6targetE0EEEvT1_
; %bb.0:
	.section	.rodata,"a",@progbits
	.p2align	6, 0x0
	.amdhsa_kernel _ZN7rocprim17ROCPRIM_400000_NS6detail17trampoline_kernelINS0_14default_configENS1_27scan_by_key_config_selectorIiiEEZZNS1_16scan_by_key_implILNS1_25lookback_scan_determinismE0ELb0ES3_N6thrust23THRUST_200600_302600_NS6detail15normal_iteratorINS9_10device_ptrIiEEEENS9_18transform_iteratorINS9_6negateIiEESE_NS9_11use_defaultESI_EESE_iNS9_4plusIvEENS9_8equal_toIvEEiEE10hipError_tPvRmT2_T3_T4_T5_mT6_T7_P12ihipStream_tbENKUlT_T0_E_clISt17integral_constantIbLb0EES14_EEDaSZ_S10_EUlSZ_E_NS1_11comp_targetILNS1_3genE10ELNS1_11target_archE1200ELNS1_3gpuE4ELNS1_3repE0EEENS1_30default_config_static_selectorELNS0_4arch9wavefront6targetE0EEEvT1_
		.amdhsa_group_segment_fixed_size 0
		.amdhsa_private_segment_fixed_size 0
		.amdhsa_kernarg_size 120
		.amdhsa_user_sgpr_count 2
		.amdhsa_user_sgpr_dispatch_ptr 0
		.amdhsa_user_sgpr_queue_ptr 0
		.amdhsa_user_sgpr_kernarg_segment_ptr 1
		.amdhsa_user_sgpr_dispatch_id 0
		.amdhsa_user_sgpr_kernarg_preload_length 0
		.amdhsa_user_sgpr_kernarg_preload_offset 0
		.amdhsa_user_sgpr_private_segment_size 0
		.amdhsa_wavefront_size32 1
		.amdhsa_uses_dynamic_stack 0
		.amdhsa_enable_private_segment 0
		.amdhsa_system_sgpr_workgroup_id_x 1
		.amdhsa_system_sgpr_workgroup_id_y 0
		.amdhsa_system_sgpr_workgroup_id_z 0
		.amdhsa_system_sgpr_workgroup_info 0
		.amdhsa_system_vgpr_workitem_id 0
		.amdhsa_next_free_vgpr 1
		.amdhsa_next_free_sgpr 1
		.amdhsa_named_barrier_count 0
		.amdhsa_reserve_vcc 0
		.amdhsa_float_round_mode_32 0
		.amdhsa_float_round_mode_16_64 0
		.amdhsa_float_denorm_mode_32 3
		.amdhsa_float_denorm_mode_16_64 3
		.amdhsa_fp16_overflow 0
		.amdhsa_memory_ordered 1
		.amdhsa_forward_progress 1
		.amdhsa_inst_pref_size 0
		.amdhsa_round_robin_scheduling 0
		.amdhsa_exception_fp_ieee_invalid_op 0
		.amdhsa_exception_fp_denorm_src 0
		.amdhsa_exception_fp_ieee_div_zero 0
		.amdhsa_exception_fp_ieee_overflow 0
		.amdhsa_exception_fp_ieee_underflow 0
		.amdhsa_exception_fp_ieee_inexact 0
		.amdhsa_exception_int_div_zero 0
	.end_amdhsa_kernel
	.section	.text._ZN7rocprim17ROCPRIM_400000_NS6detail17trampoline_kernelINS0_14default_configENS1_27scan_by_key_config_selectorIiiEEZZNS1_16scan_by_key_implILNS1_25lookback_scan_determinismE0ELb0ES3_N6thrust23THRUST_200600_302600_NS6detail15normal_iteratorINS9_10device_ptrIiEEEENS9_18transform_iteratorINS9_6negateIiEESE_NS9_11use_defaultESI_EESE_iNS9_4plusIvEENS9_8equal_toIvEEiEE10hipError_tPvRmT2_T3_T4_T5_mT6_T7_P12ihipStream_tbENKUlT_T0_E_clISt17integral_constantIbLb0EES14_EEDaSZ_S10_EUlSZ_E_NS1_11comp_targetILNS1_3genE10ELNS1_11target_archE1200ELNS1_3gpuE4ELNS1_3repE0EEENS1_30default_config_static_selectorELNS0_4arch9wavefront6targetE0EEEvT1_,"axG",@progbits,_ZN7rocprim17ROCPRIM_400000_NS6detail17trampoline_kernelINS0_14default_configENS1_27scan_by_key_config_selectorIiiEEZZNS1_16scan_by_key_implILNS1_25lookback_scan_determinismE0ELb0ES3_N6thrust23THRUST_200600_302600_NS6detail15normal_iteratorINS9_10device_ptrIiEEEENS9_18transform_iteratorINS9_6negateIiEESE_NS9_11use_defaultESI_EESE_iNS9_4plusIvEENS9_8equal_toIvEEiEE10hipError_tPvRmT2_T3_T4_T5_mT6_T7_P12ihipStream_tbENKUlT_T0_E_clISt17integral_constantIbLb0EES14_EEDaSZ_S10_EUlSZ_E_NS1_11comp_targetILNS1_3genE10ELNS1_11target_archE1200ELNS1_3gpuE4ELNS1_3repE0EEENS1_30default_config_static_selectorELNS0_4arch9wavefront6targetE0EEEvT1_,comdat
.Lfunc_end935:
	.size	_ZN7rocprim17ROCPRIM_400000_NS6detail17trampoline_kernelINS0_14default_configENS1_27scan_by_key_config_selectorIiiEEZZNS1_16scan_by_key_implILNS1_25lookback_scan_determinismE0ELb0ES3_N6thrust23THRUST_200600_302600_NS6detail15normal_iteratorINS9_10device_ptrIiEEEENS9_18transform_iteratorINS9_6negateIiEESE_NS9_11use_defaultESI_EESE_iNS9_4plusIvEENS9_8equal_toIvEEiEE10hipError_tPvRmT2_T3_T4_T5_mT6_T7_P12ihipStream_tbENKUlT_T0_E_clISt17integral_constantIbLb0EES14_EEDaSZ_S10_EUlSZ_E_NS1_11comp_targetILNS1_3genE10ELNS1_11target_archE1200ELNS1_3gpuE4ELNS1_3repE0EEENS1_30default_config_static_selectorELNS0_4arch9wavefront6targetE0EEEvT1_, .Lfunc_end935-_ZN7rocprim17ROCPRIM_400000_NS6detail17trampoline_kernelINS0_14default_configENS1_27scan_by_key_config_selectorIiiEEZZNS1_16scan_by_key_implILNS1_25lookback_scan_determinismE0ELb0ES3_N6thrust23THRUST_200600_302600_NS6detail15normal_iteratorINS9_10device_ptrIiEEEENS9_18transform_iteratorINS9_6negateIiEESE_NS9_11use_defaultESI_EESE_iNS9_4plusIvEENS9_8equal_toIvEEiEE10hipError_tPvRmT2_T3_T4_T5_mT6_T7_P12ihipStream_tbENKUlT_T0_E_clISt17integral_constantIbLb0EES14_EEDaSZ_S10_EUlSZ_E_NS1_11comp_targetILNS1_3genE10ELNS1_11target_archE1200ELNS1_3gpuE4ELNS1_3repE0EEENS1_30default_config_static_selectorELNS0_4arch9wavefront6targetE0EEEvT1_
                                        ; -- End function
	.set _ZN7rocprim17ROCPRIM_400000_NS6detail17trampoline_kernelINS0_14default_configENS1_27scan_by_key_config_selectorIiiEEZZNS1_16scan_by_key_implILNS1_25lookback_scan_determinismE0ELb0ES3_N6thrust23THRUST_200600_302600_NS6detail15normal_iteratorINS9_10device_ptrIiEEEENS9_18transform_iteratorINS9_6negateIiEESE_NS9_11use_defaultESI_EESE_iNS9_4plusIvEENS9_8equal_toIvEEiEE10hipError_tPvRmT2_T3_T4_T5_mT6_T7_P12ihipStream_tbENKUlT_T0_E_clISt17integral_constantIbLb0EES14_EEDaSZ_S10_EUlSZ_E_NS1_11comp_targetILNS1_3genE10ELNS1_11target_archE1200ELNS1_3gpuE4ELNS1_3repE0EEENS1_30default_config_static_selectorELNS0_4arch9wavefront6targetE0EEEvT1_.num_vgpr, 0
	.set _ZN7rocprim17ROCPRIM_400000_NS6detail17trampoline_kernelINS0_14default_configENS1_27scan_by_key_config_selectorIiiEEZZNS1_16scan_by_key_implILNS1_25lookback_scan_determinismE0ELb0ES3_N6thrust23THRUST_200600_302600_NS6detail15normal_iteratorINS9_10device_ptrIiEEEENS9_18transform_iteratorINS9_6negateIiEESE_NS9_11use_defaultESI_EESE_iNS9_4plusIvEENS9_8equal_toIvEEiEE10hipError_tPvRmT2_T3_T4_T5_mT6_T7_P12ihipStream_tbENKUlT_T0_E_clISt17integral_constantIbLb0EES14_EEDaSZ_S10_EUlSZ_E_NS1_11comp_targetILNS1_3genE10ELNS1_11target_archE1200ELNS1_3gpuE4ELNS1_3repE0EEENS1_30default_config_static_selectorELNS0_4arch9wavefront6targetE0EEEvT1_.num_agpr, 0
	.set _ZN7rocprim17ROCPRIM_400000_NS6detail17trampoline_kernelINS0_14default_configENS1_27scan_by_key_config_selectorIiiEEZZNS1_16scan_by_key_implILNS1_25lookback_scan_determinismE0ELb0ES3_N6thrust23THRUST_200600_302600_NS6detail15normal_iteratorINS9_10device_ptrIiEEEENS9_18transform_iteratorINS9_6negateIiEESE_NS9_11use_defaultESI_EESE_iNS9_4plusIvEENS9_8equal_toIvEEiEE10hipError_tPvRmT2_T3_T4_T5_mT6_T7_P12ihipStream_tbENKUlT_T0_E_clISt17integral_constantIbLb0EES14_EEDaSZ_S10_EUlSZ_E_NS1_11comp_targetILNS1_3genE10ELNS1_11target_archE1200ELNS1_3gpuE4ELNS1_3repE0EEENS1_30default_config_static_selectorELNS0_4arch9wavefront6targetE0EEEvT1_.numbered_sgpr, 0
	.set _ZN7rocprim17ROCPRIM_400000_NS6detail17trampoline_kernelINS0_14default_configENS1_27scan_by_key_config_selectorIiiEEZZNS1_16scan_by_key_implILNS1_25lookback_scan_determinismE0ELb0ES3_N6thrust23THRUST_200600_302600_NS6detail15normal_iteratorINS9_10device_ptrIiEEEENS9_18transform_iteratorINS9_6negateIiEESE_NS9_11use_defaultESI_EESE_iNS9_4plusIvEENS9_8equal_toIvEEiEE10hipError_tPvRmT2_T3_T4_T5_mT6_T7_P12ihipStream_tbENKUlT_T0_E_clISt17integral_constantIbLb0EES14_EEDaSZ_S10_EUlSZ_E_NS1_11comp_targetILNS1_3genE10ELNS1_11target_archE1200ELNS1_3gpuE4ELNS1_3repE0EEENS1_30default_config_static_selectorELNS0_4arch9wavefront6targetE0EEEvT1_.num_named_barrier, 0
	.set _ZN7rocprim17ROCPRIM_400000_NS6detail17trampoline_kernelINS0_14default_configENS1_27scan_by_key_config_selectorIiiEEZZNS1_16scan_by_key_implILNS1_25lookback_scan_determinismE0ELb0ES3_N6thrust23THRUST_200600_302600_NS6detail15normal_iteratorINS9_10device_ptrIiEEEENS9_18transform_iteratorINS9_6negateIiEESE_NS9_11use_defaultESI_EESE_iNS9_4plusIvEENS9_8equal_toIvEEiEE10hipError_tPvRmT2_T3_T4_T5_mT6_T7_P12ihipStream_tbENKUlT_T0_E_clISt17integral_constantIbLb0EES14_EEDaSZ_S10_EUlSZ_E_NS1_11comp_targetILNS1_3genE10ELNS1_11target_archE1200ELNS1_3gpuE4ELNS1_3repE0EEENS1_30default_config_static_selectorELNS0_4arch9wavefront6targetE0EEEvT1_.private_seg_size, 0
	.set _ZN7rocprim17ROCPRIM_400000_NS6detail17trampoline_kernelINS0_14default_configENS1_27scan_by_key_config_selectorIiiEEZZNS1_16scan_by_key_implILNS1_25lookback_scan_determinismE0ELb0ES3_N6thrust23THRUST_200600_302600_NS6detail15normal_iteratorINS9_10device_ptrIiEEEENS9_18transform_iteratorINS9_6negateIiEESE_NS9_11use_defaultESI_EESE_iNS9_4plusIvEENS9_8equal_toIvEEiEE10hipError_tPvRmT2_T3_T4_T5_mT6_T7_P12ihipStream_tbENKUlT_T0_E_clISt17integral_constantIbLb0EES14_EEDaSZ_S10_EUlSZ_E_NS1_11comp_targetILNS1_3genE10ELNS1_11target_archE1200ELNS1_3gpuE4ELNS1_3repE0EEENS1_30default_config_static_selectorELNS0_4arch9wavefront6targetE0EEEvT1_.uses_vcc, 0
	.set _ZN7rocprim17ROCPRIM_400000_NS6detail17trampoline_kernelINS0_14default_configENS1_27scan_by_key_config_selectorIiiEEZZNS1_16scan_by_key_implILNS1_25lookback_scan_determinismE0ELb0ES3_N6thrust23THRUST_200600_302600_NS6detail15normal_iteratorINS9_10device_ptrIiEEEENS9_18transform_iteratorINS9_6negateIiEESE_NS9_11use_defaultESI_EESE_iNS9_4plusIvEENS9_8equal_toIvEEiEE10hipError_tPvRmT2_T3_T4_T5_mT6_T7_P12ihipStream_tbENKUlT_T0_E_clISt17integral_constantIbLb0EES14_EEDaSZ_S10_EUlSZ_E_NS1_11comp_targetILNS1_3genE10ELNS1_11target_archE1200ELNS1_3gpuE4ELNS1_3repE0EEENS1_30default_config_static_selectorELNS0_4arch9wavefront6targetE0EEEvT1_.uses_flat_scratch, 0
	.set _ZN7rocprim17ROCPRIM_400000_NS6detail17trampoline_kernelINS0_14default_configENS1_27scan_by_key_config_selectorIiiEEZZNS1_16scan_by_key_implILNS1_25lookback_scan_determinismE0ELb0ES3_N6thrust23THRUST_200600_302600_NS6detail15normal_iteratorINS9_10device_ptrIiEEEENS9_18transform_iteratorINS9_6negateIiEESE_NS9_11use_defaultESI_EESE_iNS9_4plusIvEENS9_8equal_toIvEEiEE10hipError_tPvRmT2_T3_T4_T5_mT6_T7_P12ihipStream_tbENKUlT_T0_E_clISt17integral_constantIbLb0EES14_EEDaSZ_S10_EUlSZ_E_NS1_11comp_targetILNS1_3genE10ELNS1_11target_archE1200ELNS1_3gpuE4ELNS1_3repE0EEENS1_30default_config_static_selectorELNS0_4arch9wavefront6targetE0EEEvT1_.has_dyn_sized_stack, 0
	.set _ZN7rocprim17ROCPRIM_400000_NS6detail17trampoline_kernelINS0_14default_configENS1_27scan_by_key_config_selectorIiiEEZZNS1_16scan_by_key_implILNS1_25lookback_scan_determinismE0ELb0ES3_N6thrust23THRUST_200600_302600_NS6detail15normal_iteratorINS9_10device_ptrIiEEEENS9_18transform_iteratorINS9_6negateIiEESE_NS9_11use_defaultESI_EESE_iNS9_4plusIvEENS9_8equal_toIvEEiEE10hipError_tPvRmT2_T3_T4_T5_mT6_T7_P12ihipStream_tbENKUlT_T0_E_clISt17integral_constantIbLb0EES14_EEDaSZ_S10_EUlSZ_E_NS1_11comp_targetILNS1_3genE10ELNS1_11target_archE1200ELNS1_3gpuE4ELNS1_3repE0EEENS1_30default_config_static_selectorELNS0_4arch9wavefront6targetE0EEEvT1_.has_recursion, 0
	.set _ZN7rocprim17ROCPRIM_400000_NS6detail17trampoline_kernelINS0_14default_configENS1_27scan_by_key_config_selectorIiiEEZZNS1_16scan_by_key_implILNS1_25lookback_scan_determinismE0ELb0ES3_N6thrust23THRUST_200600_302600_NS6detail15normal_iteratorINS9_10device_ptrIiEEEENS9_18transform_iteratorINS9_6negateIiEESE_NS9_11use_defaultESI_EESE_iNS9_4plusIvEENS9_8equal_toIvEEiEE10hipError_tPvRmT2_T3_T4_T5_mT6_T7_P12ihipStream_tbENKUlT_T0_E_clISt17integral_constantIbLb0EES14_EEDaSZ_S10_EUlSZ_E_NS1_11comp_targetILNS1_3genE10ELNS1_11target_archE1200ELNS1_3gpuE4ELNS1_3repE0EEENS1_30default_config_static_selectorELNS0_4arch9wavefront6targetE0EEEvT1_.has_indirect_call, 0
	.section	.AMDGPU.csdata,"",@progbits
; Kernel info:
; codeLenInByte = 0
; TotalNumSgprs: 0
; NumVgprs: 0
; ScratchSize: 0
; MemoryBound: 0
; FloatMode: 240
; IeeeMode: 1
; LDSByteSize: 0 bytes/workgroup (compile time only)
; SGPRBlocks: 0
; VGPRBlocks: 0
; NumSGPRsForWavesPerEU: 1
; NumVGPRsForWavesPerEU: 1
; NamedBarCnt: 0
; Occupancy: 16
; WaveLimiterHint : 0
; COMPUTE_PGM_RSRC2:SCRATCH_EN: 0
; COMPUTE_PGM_RSRC2:USER_SGPR: 2
; COMPUTE_PGM_RSRC2:TRAP_HANDLER: 0
; COMPUTE_PGM_RSRC2:TGID_X_EN: 1
; COMPUTE_PGM_RSRC2:TGID_Y_EN: 0
; COMPUTE_PGM_RSRC2:TGID_Z_EN: 0
; COMPUTE_PGM_RSRC2:TIDIG_COMP_CNT: 0
	.section	.text._ZN7rocprim17ROCPRIM_400000_NS6detail17trampoline_kernelINS0_14default_configENS1_27scan_by_key_config_selectorIiiEEZZNS1_16scan_by_key_implILNS1_25lookback_scan_determinismE0ELb0ES3_N6thrust23THRUST_200600_302600_NS6detail15normal_iteratorINS9_10device_ptrIiEEEENS9_18transform_iteratorINS9_6negateIiEESE_NS9_11use_defaultESI_EESE_iNS9_4plusIvEENS9_8equal_toIvEEiEE10hipError_tPvRmT2_T3_T4_T5_mT6_T7_P12ihipStream_tbENKUlT_T0_E_clISt17integral_constantIbLb0EES14_EEDaSZ_S10_EUlSZ_E_NS1_11comp_targetILNS1_3genE9ELNS1_11target_archE1100ELNS1_3gpuE3ELNS1_3repE0EEENS1_30default_config_static_selectorELNS0_4arch9wavefront6targetE0EEEvT1_,"axG",@progbits,_ZN7rocprim17ROCPRIM_400000_NS6detail17trampoline_kernelINS0_14default_configENS1_27scan_by_key_config_selectorIiiEEZZNS1_16scan_by_key_implILNS1_25lookback_scan_determinismE0ELb0ES3_N6thrust23THRUST_200600_302600_NS6detail15normal_iteratorINS9_10device_ptrIiEEEENS9_18transform_iteratorINS9_6negateIiEESE_NS9_11use_defaultESI_EESE_iNS9_4plusIvEENS9_8equal_toIvEEiEE10hipError_tPvRmT2_T3_T4_T5_mT6_T7_P12ihipStream_tbENKUlT_T0_E_clISt17integral_constantIbLb0EES14_EEDaSZ_S10_EUlSZ_E_NS1_11comp_targetILNS1_3genE9ELNS1_11target_archE1100ELNS1_3gpuE3ELNS1_3repE0EEENS1_30default_config_static_selectorELNS0_4arch9wavefront6targetE0EEEvT1_,comdat
	.protected	_ZN7rocprim17ROCPRIM_400000_NS6detail17trampoline_kernelINS0_14default_configENS1_27scan_by_key_config_selectorIiiEEZZNS1_16scan_by_key_implILNS1_25lookback_scan_determinismE0ELb0ES3_N6thrust23THRUST_200600_302600_NS6detail15normal_iteratorINS9_10device_ptrIiEEEENS9_18transform_iteratorINS9_6negateIiEESE_NS9_11use_defaultESI_EESE_iNS9_4plusIvEENS9_8equal_toIvEEiEE10hipError_tPvRmT2_T3_T4_T5_mT6_T7_P12ihipStream_tbENKUlT_T0_E_clISt17integral_constantIbLb0EES14_EEDaSZ_S10_EUlSZ_E_NS1_11comp_targetILNS1_3genE9ELNS1_11target_archE1100ELNS1_3gpuE3ELNS1_3repE0EEENS1_30default_config_static_selectorELNS0_4arch9wavefront6targetE0EEEvT1_ ; -- Begin function _ZN7rocprim17ROCPRIM_400000_NS6detail17trampoline_kernelINS0_14default_configENS1_27scan_by_key_config_selectorIiiEEZZNS1_16scan_by_key_implILNS1_25lookback_scan_determinismE0ELb0ES3_N6thrust23THRUST_200600_302600_NS6detail15normal_iteratorINS9_10device_ptrIiEEEENS9_18transform_iteratorINS9_6negateIiEESE_NS9_11use_defaultESI_EESE_iNS9_4plusIvEENS9_8equal_toIvEEiEE10hipError_tPvRmT2_T3_T4_T5_mT6_T7_P12ihipStream_tbENKUlT_T0_E_clISt17integral_constantIbLb0EES14_EEDaSZ_S10_EUlSZ_E_NS1_11comp_targetILNS1_3genE9ELNS1_11target_archE1100ELNS1_3gpuE3ELNS1_3repE0EEENS1_30default_config_static_selectorELNS0_4arch9wavefront6targetE0EEEvT1_
	.globl	_ZN7rocprim17ROCPRIM_400000_NS6detail17trampoline_kernelINS0_14default_configENS1_27scan_by_key_config_selectorIiiEEZZNS1_16scan_by_key_implILNS1_25lookback_scan_determinismE0ELb0ES3_N6thrust23THRUST_200600_302600_NS6detail15normal_iteratorINS9_10device_ptrIiEEEENS9_18transform_iteratorINS9_6negateIiEESE_NS9_11use_defaultESI_EESE_iNS9_4plusIvEENS9_8equal_toIvEEiEE10hipError_tPvRmT2_T3_T4_T5_mT6_T7_P12ihipStream_tbENKUlT_T0_E_clISt17integral_constantIbLb0EES14_EEDaSZ_S10_EUlSZ_E_NS1_11comp_targetILNS1_3genE9ELNS1_11target_archE1100ELNS1_3gpuE3ELNS1_3repE0EEENS1_30default_config_static_selectorELNS0_4arch9wavefront6targetE0EEEvT1_
	.p2align	8
	.type	_ZN7rocprim17ROCPRIM_400000_NS6detail17trampoline_kernelINS0_14default_configENS1_27scan_by_key_config_selectorIiiEEZZNS1_16scan_by_key_implILNS1_25lookback_scan_determinismE0ELb0ES3_N6thrust23THRUST_200600_302600_NS6detail15normal_iteratorINS9_10device_ptrIiEEEENS9_18transform_iteratorINS9_6negateIiEESE_NS9_11use_defaultESI_EESE_iNS9_4plusIvEENS9_8equal_toIvEEiEE10hipError_tPvRmT2_T3_T4_T5_mT6_T7_P12ihipStream_tbENKUlT_T0_E_clISt17integral_constantIbLb0EES14_EEDaSZ_S10_EUlSZ_E_NS1_11comp_targetILNS1_3genE9ELNS1_11target_archE1100ELNS1_3gpuE3ELNS1_3repE0EEENS1_30default_config_static_selectorELNS0_4arch9wavefront6targetE0EEEvT1_,@function
_ZN7rocprim17ROCPRIM_400000_NS6detail17trampoline_kernelINS0_14default_configENS1_27scan_by_key_config_selectorIiiEEZZNS1_16scan_by_key_implILNS1_25lookback_scan_determinismE0ELb0ES3_N6thrust23THRUST_200600_302600_NS6detail15normal_iteratorINS9_10device_ptrIiEEEENS9_18transform_iteratorINS9_6negateIiEESE_NS9_11use_defaultESI_EESE_iNS9_4plusIvEENS9_8equal_toIvEEiEE10hipError_tPvRmT2_T3_T4_T5_mT6_T7_P12ihipStream_tbENKUlT_T0_E_clISt17integral_constantIbLb0EES14_EEDaSZ_S10_EUlSZ_E_NS1_11comp_targetILNS1_3genE9ELNS1_11target_archE1100ELNS1_3gpuE3ELNS1_3repE0EEENS1_30default_config_static_selectorELNS0_4arch9wavefront6targetE0EEEvT1_: ; @_ZN7rocprim17ROCPRIM_400000_NS6detail17trampoline_kernelINS0_14default_configENS1_27scan_by_key_config_selectorIiiEEZZNS1_16scan_by_key_implILNS1_25lookback_scan_determinismE0ELb0ES3_N6thrust23THRUST_200600_302600_NS6detail15normal_iteratorINS9_10device_ptrIiEEEENS9_18transform_iteratorINS9_6negateIiEESE_NS9_11use_defaultESI_EESE_iNS9_4plusIvEENS9_8equal_toIvEEiEE10hipError_tPvRmT2_T3_T4_T5_mT6_T7_P12ihipStream_tbENKUlT_T0_E_clISt17integral_constantIbLb0EES14_EEDaSZ_S10_EUlSZ_E_NS1_11comp_targetILNS1_3genE9ELNS1_11target_archE1100ELNS1_3gpuE3ELNS1_3repE0EEENS1_30default_config_static_selectorELNS0_4arch9wavefront6targetE0EEEvT1_
; %bb.0:
	.section	.rodata,"a",@progbits
	.p2align	6, 0x0
	.amdhsa_kernel _ZN7rocprim17ROCPRIM_400000_NS6detail17trampoline_kernelINS0_14default_configENS1_27scan_by_key_config_selectorIiiEEZZNS1_16scan_by_key_implILNS1_25lookback_scan_determinismE0ELb0ES3_N6thrust23THRUST_200600_302600_NS6detail15normal_iteratorINS9_10device_ptrIiEEEENS9_18transform_iteratorINS9_6negateIiEESE_NS9_11use_defaultESI_EESE_iNS9_4plusIvEENS9_8equal_toIvEEiEE10hipError_tPvRmT2_T3_T4_T5_mT6_T7_P12ihipStream_tbENKUlT_T0_E_clISt17integral_constantIbLb0EES14_EEDaSZ_S10_EUlSZ_E_NS1_11comp_targetILNS1_3genE9ELNS1_11target_archE1100ELNS1_3gpuE3ELNS1_3repE0EEENS1_30default_config_static_selectorELNS0_4arch9wavefront6targetE0EEEvT1_
		.amdhsa_group_segment_fixed_size 0
		.amdhsa_private_segment_fixed_size 0
		.amdhsa_kernarg_size 120
		.amdhsa_user_sgpr_count 2
		.amdhsa_user_sgpr_dispatch_ptr 0
		.amdhsa_user_sgpr_queue_ptr 0
		.amdhsa_user_sgpr_kernarg_segment_ptr 1
		.amdhsa_user_sgpr_dispatch_id 0
		.amdhsa_user_sgpr_kernarg_preload_length 0
		.amdhsa_user_sgpr_kernarg_preload_offset 0
		.amdhsa_user_sgpr_private_segment_size 0
		.amdhsa_wavefront_size32 1
		.amdhsa_uses_dynamic_stack 0
		.amdhsa_enable_private_segment 0
		.amdhsa_system_sgpr_workgroup_id_x 1
		.amdhsa_system_sgpr_workgroup_id_y 0
		.amdhsa_system_sgpr_workgroup_id_z 0
		.amdhsa_system_sgpr_workgroup_info 0
		.amdhsa_system_vgpr_workitem_id 0
		.amdhsa_next_free_vgpr 1
		.amdhsa_next_free_sgpr 1
		.amdhsa_named_barrier_count 0
		.amdhsa_reserve_vcc 0
		.amdhsa_float_round_mode_32 0
		.amdhsa_float_round_mode_16_64 0
		.amdhsa_float_denorm_mode_32 3
		.amdhsa_float_denorm_mode_16_64 3
		.amdhsa_fp16_overflow 0
		.amdhsa_memory_ordered 1
		.amdhsa_forward_progress 1
		.amdhsa_inst_pref_size 0
		.amdhsa_round_robin_scheduling 0
		.amdhsa_exception_fp_ieee_invalid_op 0
		.amdhsa_exception_fp_denorm_src 0
		.amdhsa_exception_fp_ieee_div_zero 0
		.amdhsa_exception_fp_ieee_overflow 0
		.amdhsa_exception_fp_ieee_underflow 0
		.amdhsa_exception_fp_ieee_inexact 0
		.amdhsa_exception_int_div_zero 0
	.end_amdhsa_kernel
	.section	.text._ZN7rocprim17ROCPRIM_400000_NS6detail17trampoline_kernelINS0_14default_configENS1_27scan_by_key_config_selectorIiiEEZZNS1_16scan_by_key_implILNS1_25lookback_scan_determinismE0ELb0ES3_N6thrust23THRUST_200600_302600_NS6detail15normal_iteratorINS9_10device_ptrIiEEEENS9_18transform_iteratorINS9_6negateIiEESE_NS9_11use_defaultESI_EESE_iNS9_4plusIvEENS9_8equal_toIvEEiEE10hipError_tPvRmT2_T3_T4_T5_mT6_T7_P12ihipStream_tbENKUlT_T0_E_clISt17integral_constantIbLb0EES14_EEDaSZ_S10_EUlSZ_E_NS1_11comp_targetILNS1_3genE9ELNS1_11target_archE1100ELNS1_3gpuE3ELNS1_3repE0EEENS1_30default_config_static_selectorELNS0_4arch9wavefront6targetE0EEEvT1_,"axG",@progbits,_ZN7rocprim17ROCPRIM_400000_NS6detail17trampoline_kernelINS0_14default_configENS1_27scan_by_key_config_selectorIiiEEZZNS1_16scan_by_key_implILNS1_25lookback_scan_determinismE0ELb0ES3_N6thrust23THRUST_200600_302600_NS6detail15normal_iteratorINS9_10device_ptrIiEEEENS9_18transform_iteratorINS9_6negateIiEESE_NS9_11use_defaultESI_EESE_iNS9_4plusIvEENS9_8equal_toIvEEiEE10hipError_tPvRmT2_T3_T4_T5_mT6_T7_P12ihipStream_tbENKUlT_T0_E_clISt17integral_constantIbLb0EES14_EEDaSZ_S10_EUlSZ_E_NS1_11comp_targetILNS1_3genE9ELNS1_11target_archE1100ELNS1_3gpuE3ELNS1_3repE0EEENS1_30default_config_static_selectorELNS0_4arch9wavefront6targetE0EEEvT1_,comdat
.Lfunc_end936:
	.size	_ZN7rocprim17ROCPRIM_400000_NS6detail17trampoline_kernelINS0_14default_configENS1_27scan_by_key_config_selectorIiiEEZZNS1_16scan_by_key_implILNS1_25lookback_scan_determinismE0ELb0ES3_N6thrust23THRUST_200600_302600_NS6detail15normal_iteratorINS9_10device_ptrIiEEEENS9_18transform_iteratorINS9_6negateIiEESE_NS9_11use_defaultESI_EESE_iNS9_4plusIvEENS9_8equal_toIvEEiEE10hipError_tPvRmT2_T3_T4_T5_mT6_T7_P12ihipStream_tbENKUlT_T0_E_clISt17integral_constantIbLb0EES14_EEDaSZ_S10_EUlSZ_E_NS1_11comp_targetILNS1_3genE9ELNS1_11target_archE1100ELNS1_3gpuE3ELNS1_3repE0EEENS1_30default_config_static_selectorELNS0_4arch9wavefront6targetE0EEEvT1_, .Lfunc_end936-_ZN7rocprim17ROCPRIM_400000_NS6detail17trampoline_kernelINS0_14default_configENS1_27scan_by_key_config_selectorIiiEEZZNS1_16scan_by_key_implILNS1_25lookback_scan_determinismE0ELb0ES3_N6thrust23THRUST_200600_302600_NS6detail15normal_iteratorINS9_10device_ptrIiEEEENS9_18transform_iteratorINS9_6negateIiEESE_NS9_11use_defaultESI_EESE_iNS9_4plusIvEENS9_8equal_toIvEEiEE10hipError_tPvRmT2_T3_T4_T5_mT6_T7_P12ihipStream_tbENKUlT_T0_E_clISt17integral_constantIbLb0EES14_EEDaSZ_S10_EUlSZ_E_NS1_11comp_targetILNS1_3genE9ELNS1_11target_archE1100ELNS1_3gpuE3ELNS1_3repE0EEENS1_30default_config_static_selectorELNS0_4arch9wavefront6targetE0EEEvT1_
                                        ; -- End function
	.set _ZN7rocprim17ROCPRIM_400000_NS6detail17trampoline_kernelINS0_14default_configENS1_27scan_by_key_config_selectorIiiEEZZNS1_16scan_by_key_implILNS1_25lookback_scan_determinismE0ELb0ES3_N6thrust23THRUST_200600_302600_NS6detail15normal_iteratorINS9_10device_ptrIiEEEENS9_18transform_iteratorINS9_6negateIiEESE_NS9_11use_defaultESI_EESE_iNS9_4plusIvEENS9_8equal_toIvEEiEE10hipError_tPvRmT2_T3_T4_T5_mT6_T7_P12ihipStream_tbENKUlT_T0_E_clISt17integral_constantIbLb0EES14_EEDaSZ_S10_EUlSZ_E_NS1_11comp_targetILNS1_3genE9ELNS1_11target_archE1100ELNS1_3gpuE3ELNS1_3repE0EEENS1_30default_config_static_selectorELNS0_4arch9wavefront6targetE0EEEvT1_.num_vgpr, 0
	.set _ZN7rocprim17ROCPRIM_400000_NS6detail17trampoline_kernelINS0_14default_configENS1_27scan_by_key_config_selectorIiiEEZZNS1_16scan_by_key_implILNS1_25lookback_scan_determinismE0ELb0ES3_N6thrust23THRUST_200600_302600_NS6detail15normal_iteratorINS9_10device_ptrIiEEEENS9_18transform_iteratorINS9_6negateIiEESE_NS9_11use_defaultESI_EESE_iNS9_4plusIvEENS9_8equal_toIvEEiEE10hipError_tPvRmT2_T3_T4_T5_mT6_T7_P12ihipStream_tbENKUlT_T0_E_clISt17integral_constantIbLb0EES14_EEDaSZ_S10_EUlSZ_E_NS1_11comp_targetILNS1_3genE9ELNS1_11target_archE1100ELNS1_3gpuE3ELNS1_3repE0EEENS1_30default_config_static_selectorELNS0_4arch9wavefront6targetE0EEEvT1_.num_agpr, 0
	.set _ZN7rocprim17ROCPRIM_400000_NS6detail17trampoline_kernelINS0_14default_configENS1_27scan_by_key_config_selectorIiiEEZZNS1_16scan_by_key_implILNS1_25lookback_scan_determinismE0ELb0ES3_N6thrust23THRUST_200600_302600_NS6detail15normal_iteratorINS9_10device_ptrIiEEEENS9_18transform_iteratorINS9_6negateIiEESE_NS9_11use_defaultESI_EESE_iNS9_4plusIvEENS9_8equal_toIvEEiEE10hipError_tPvRmT2_T3_T4_T5_mT6_T7_P12ihipStream_tbENKUlT_T0_E_clISt17integral_constantIbLb0EES14_EEDaSZ_S10_EUlSZ_E_NS1_11comp_targetILNS1_3genE9ELNS1_11target_archE1100ELNS1_3gpuE3ELNS1_3repE0EEENS1_30default_config_static_selectorELNS0_4arch9wavefront6targetE0EEEvT1_.numbered_sgpr, 0
	.set _ZN7rocprim17ROCPRIM_400000_NS6detail17trampoline_kernelINS0_14default_configENS1_27scan_by_key_config_selectorIiiEEZZNS1_16scan_by_key_implILNS1_25lookback_scan_determinismE0ELb0ES3_N6thrust23THRUST_200600_302600_NS6detail15normal_iteratorINS9_10device_ptrIiEEEENS9_18transform_iteratorINS9_6negateIiEESE_NS9_11use_defaultESI_EESE_iNS9_4plusIvEENS9_8equal_toIvEEiEE10hipError_tPvRmT2_T3_T4_T5_mT6_T7_P12ihipStream_tbENKUlT_T0_E_clISt17integral_constantIbLb0EES14_EEDaSZ_S10_EUlSZ_E_NS1_11comp_targetILNS1_3genE9ELNS1_11target_archE1100ELNS1_3gpuE3ELNS1_3repE0EEENS1_30default_config_static_selectorELNS0_4arch9wavefront6targetE0EEEvT1_.num_named_barrier, 0
	.set _ZN7rocprim17ROCPRIM_400000_NS6detail17trampoline_kernelINS0_14default_configENS1_27scan_by_key_config_selectorIiiEEZZNS1_16scan_by_key_implILNS1_25lookback_scan_determinismE0ELb0ES3_N6thrust23THRUST_200600_302600_NS6detail15normal_iteratorINS9_10device_ptrIiEEEENS9_18transform_iteratorINS9_6negateIiEESE_NS9_11use_defaultESI_EESE_iNS9_4plusIvEENS9_8equal_toIvEEiEE10hipError_tPvRmT2_T3_T4_T5_mT6_T7_P12ihipStream_tbENKUlT_T0_E_clISt17integral_constantIbLb0EES14_EEDaSZ_S10_EUlSZ_E_NS1_11comp_targetILNS1_3genE9ELNS1_11target_archE1100ELNS1_3gpuE3ELNS1_3repE0EEENS1_30default_config_static_selectorELNS0_4arch9wavefront6targetE0EEEvT1_.private_seg_size, 0
	.set _ZN7rocprim17ROCPRIM_400000_NS6detail17trampoline_kernelINS0_14default_configENS1_27scan_by_key_config_selectorIiiEEZZNS1_16scan_by_key_implILNS1_25lookback_scan_determinismE0ELb0ES3_N6thrust23THRUST_200600_302600_NS6detail15normal_iteratorINS9_10device_ptrIiEEEENS9_18transform_iteratorINS9_6negateIiEESE_NS9_11use_defaultESI_EESE_iNS9_4plusIvEENS9_8equal_toIvEEiEE10hipError_tPvRmT2_T3_T4_T5_mT6_T7_P12ihipStream_tbENKUlT_T0_E_clISt17integral_constantIbLb0EES14_EEDaSZ_S10_EUlSZ_E_NS1_11comp_targetILNS1_3genE9ELNS1_11target_archE1100ELNS1_3gpuE3ELNS1_3repE0EEENS1_30default_config_static_selectorELNS0_4arch9wavefront6targetE0EEEvT1_.uses_vcc, 0
	.set _ZN7rocprim17ROCPRIM_400000_NS6detail17trampoline_kernelINS0_14default_configENS1_27scan_by_key_config_selectorIiiEEZZNS1_16scan_by_key_implILNS1_25lookback_scan_determinismE0ELb0ES3_N6thrust23THRUST_200600_302600_NS6detail15normal_iteratorINS9_10device_ptrIiEEEENS9_18transform_iteratorINS9_6negateIiEESE_NS9_11use_defaultESI_EESE_iNS9_4plusIvEENS9_8equal_toIvEEiEE10hipError_tPvRmT2_T3_T4_T5_mT6_T7_P12ihipStream_tbENKUlT_T0_E_clISt17integral_constantIbLb0EES14_EEDaSZ_S10_EUlSZ_E_NS1_11comp_targetILNS1_3genE9ELNS1_11target_archE1100ELNS1_3gpuE3ELNS1_3repE0EEENS1_30default_config_static_selectorELNS0_4arch9wavefront6targetE0EEEvT1_.uses_flat_scratch, 0
	.set _ZN7rocprim17ROCPRIM_400000_NS6detail17trampoline_kernelINS0_14default_configENS1_27scan_by_key_config_selectorIiiEEZZNS1_16scan_by_key_implILNS1_25lookback_scan_determinismE0ELb0ES3_N6thrust23THRUST_200600_302600_NS6detail15normal_iteratorINS9_10device_ptrIiEEEENS9_18transform_iteratorINS9_6negateIiEESE_NS9_11use_defaultESI_EESE_iNS9_4plusIvEENS9_8equal_toIvEEiEE10hipError_tPvRmT2_T3_T4_T5_mT6_T7_P12ihipStream_tbENKUlT_T0_E_clISt17integral_constantIbLb0EES14_EEDaSZ_S10_EUlSZ_E_NS1_11comp_targetILNS1_3genE9ELNS1_11target_archE1100ELNS1_3gpuE3ELNS1_3repE0EEENS1_30default_config_static_selectorELNS0_4arch9wavefront6targetE0EEEvT1_.has_dyn_sized_stack, 0
	.set _ZN7rocprim17ROCPRIM_400000_NS6detail17trampoline_kernelINS0_14default_configENS1_27scan_by_key_config_selectorIiiEEZZNS1_16scan_by_key_implILNS1_25lookback_scan_determinismE0ELb0ES3_N6thrust23THRUST_200600_302600_NS6detail15normal_iteratorINS9_10device_ptrIiEEEENS9_18transform_iteratorINS9_6negateIiEESE_NS9_11use_defaultESI_EESE_iNS9_4plusIvEENS9_8equal_toIvEEiEE10hipError_tPvRmT2_T3_T4_T5_mT6_T7_P12ihipStream_tbENKUlT_T0_E_clISt17integral_constantIbLb0EES14_EEDaSZ_S10_EUlSZ_E_NS1_11comp_targetILNS1_3genE9ELNS1_11target_archE1100ELNS1_3gpuE3ELNS1_3repE0EEENS1_30default_config_static_selectorELNS0_4arch9wavefront6targetE0EEEvT1_.has_recursion, 0
	.set _ZN7rocprim17ROCPRIM_400000_NS6detail17trampoline_kernelINS0_14default_configENS1_27scan_by_key_config_selectorIiiEEZZNS1_16scan_by_key_implILNS1_25lookback_scan_determinismE0ELb0ES3_N6thrust23THRUST_200600_302600_NS6detail15normal_iteratorINS9_10device_ptrIiEEEENS9_18transform_iteratorINS9_6negateIiEESE_NS9_11use_defaultESI_EESE_iNS9_4plusIvEENS9_8equal_toIvEEiEE10hipError_tPvRmT2_T3_T4_T5_mT6_T7_P12ihipStream_tbENKUlT_T0_E_clISt17integral_constantIbLb0EES14_EEDaSZ_S10_EUlSZ_E_NS1_11comp_targetILNS1_3genE9ELNS1_11target_archE1100ELNS1_3gpuE3ELNS1_3repE0EEENS1_30default_config_static_selectorELNS0_4arch9wavefront6targetE0EEEvT1_.has_indirect_call, 0
	.section	.AMDGPU.csdata,"",@progbits
; Kernel info:
; codeLenInByte = 0
; TotalNumSgprs: 0
; NumVgprs: 0
; ScratchSize: 0
; MemoryBound: 0
; FloatMode: 240
; IeeeMode: 1
; LDSByteSize: 0 bytes/workgroup (compile time only)
; SGPRBlocks: 0
; VGPRBlocks: 0
; NumSGPRsForWavesPerEU: 1
; NumVGPRsForWavesPerEU: 1
; NamedBarCnt: 0
; Occupancy: 16
; WaveLimiterHint : 0
; COMPUTE_PGM_RSRC2:SCRATCH_EN: 0
; COMPUTE_PGM_RSRC2:USER_SGPR: 2
; COMPUTE_PGM_RSRC2:TRAP_HANDLER: 0
; COMPUTE_PGM_RSRC2:TGID_X_EN: 1
; COMPUTE_PGM_RSRC2:TGID_Y_EN: 0
; COMPUTE_PGM_RSRC2:TGID_Z_EN: 0
; COMPUTE_PGM_RSRC2:TIDIG_COMP_CNT: 0
	.section	.text._ZN7rocprim17ROCPRIM_400000_NS6detail17trampoline_kernelINS0_14default_configENS1_27scan_by_key_config_selectorIiiEEZZNS1_16scan_by_key_implILNS1_25lookback_scan_determinismE0ELb0ES3_N6thrust23THRUST_200600_302600_NS6detail15normal_iteratorINS9_10device_ptrIiEEEENS9_18transform_iteratorINS9_6negateIiEESE_NS9_11use_defaultESI_EESE_iNS9_4plusIvEENS9_8equal_toIvEEiEE10hipError_tPvRmT2_T3_T4_T5_mT6_T7_P12ihipStream_tbENKUlT_T0_E_clISt17integral_constantIbLb0EES14_EEDaSZ_S10_EUlSZ_E_NS1_11comp_targetILNS1_3genE8ELNS1_11target_archE1030ELNS1_3gpuE2ELNS1_3repE0EEENS1_30default_config_static_selectorELNS0_4arch9wavefront6targetE0EEEvT1_,"axG",@progbits,_ZN7rocprim17ROCPRIM_400000_NS6detail17trampoline_kernelINS0_14default_configENS1_27scan_by_key_config_selectorIiiEEZZNS1_16scan_by_key_implILNS1_25lookback_scan_determinismE0ELb0ES3_N6thrust23THRUST_200600_302600_NS6detail15normal_iteratorINS9_10device_ptrIiEEEENS9_18transform_iteratorINS9_6negateIiEESE_NS9_11use_defaultESI_EESE_iNS9_4plusIvEENS9_8equal_toIvEEiEE10hipError_tPvRmT2_T3_T4_T5_mT6_T7_P12ihipStream_tbENKUlT_T0_E_clISt17integral_constantIbLb0EES14_EEDaSZ_S10_EUlSZ_E_NS1_11comp_targetILNS1_3genE8ELNS1_11target_archE1030ELNS1_3gpuE2ELNS1_3repE0EEENS1_30default_config_static_selectorELNS0_4arch9wavefront6targetE0EEEvT1_,comdat
	.protected	_ZN7rocprim17ROCPRIM_400000_NS6detail17trampoline_kernelINS0_14default_configENS1_27scan_by_key_config_selectorIiiEEZZNS1_16scan_by_key_implILNS1_25lookback_scan_determinismE0ELb0ES3_N6thrust23THRUST_200600_302600_NS6detail15normal_iteratorINS9_10device_ptrIiEEEENS9_18transform_iteratorINS9_6negateIiEESE_NS9_11use_defaultESI_EESE_iNS9_4plusIvEENS9_8equal_toIvEEiEE10hipError_tPvRmT2_T3_T4_T5_mT6_T7_P12ihipStream_tbENKUlT_T0_E_clISt17integral_constantIbLb0EES14_EEDaSZ_S10_EUlSZ_E_NS1_11comp_targetILNS1_3genE8ELNS1_11target_archE1030ELNS1_3gpuE2ELNS1_3repE0EEENS1_30default_config_static_selectorELNS0_4arch9wavefront6targetE0EEEvT1_ ; -- Begin function _ZN7rocprim17ROCPRIM_400000_NS6detail17trampoline_kernelINS0_14default_configENS1_27scan_by_key_config_selectorIiiEEZZNS1_16scan_by_key_implILNS1_25lookback_scan_determinismE0ELb0ES3_N6thrust23THRUST_200600_302600_NS6detail15normal_iteratorINS9_10device_ptrIiEEEENS9_18transform_iteratorINS9_6negateIiEESE_NS9_11use_defaultESI_EESE_iNS9_4plusIvEENS9_8equal_toIvEEiEE10hipError_tPvRmT2_T3_T4_T5_mT6_T7_P12ihipStream_tbENKUlT_T0_E_clISt17integral_constantIbLb0EES14_EEDaSZ_S10_EUlSZ_E_NS1_11comp_targetILNS1_3genE8ELNS1_11target_archE1030ELNS1_3gpuE2ELNS1_3repE0EEENS1_30default_config_static_selectorELNS0_4arch9wavefront6targetE0EEEvT1_
	.globl	_ZN7rocprim17ROCPRIM_400000_NS6detail17trampoline_kernelINS0_14default_configENS1_27scan_by_key_config_selectorIiiEEZZNS1_16scan_by_key_implILNS1_25lookback_scan_determinismE0ELb0ES3_N6thrust23THRUST_200600_302600_NS6detail15normal_iteratorINS9_10device_ptrIiEEEENS9_18transform_iteratorINS9_6negateIiEESE_NS9_11use_defaultESI_EESE_iNS9_4plusIvEENS9_8equal_toIvEEiEE10hipError_tPvRmT2_T3_T4_T5_mT6_T7_P12ihipStream_tbENKUlT_T0_E_clISt17integral_constantIbLb0EES14_EEDaSZ_S10_EUlSZ_E_NS1_11comp_targetILNS1_3genE8ELNS1_11target_archE1030ELNS1_3gpuE2ELNS1_3repE0EEENS1_30default_config_static_selectorELNS0_4arch9wavefront6targetE0EEEvT1_
	.p2align	8
	.type	_ZN7rocprim17ROCPRIM_400000_NS6detail17trampoline_kernelINS0_14default_configENS1_27scan_by_key_config_selectorIiiEEZZNS1_16scan_by_key_implILNS1_25lookback_scan_determinismE0ELb0ES3_N6thrust23THRUST_200600_302600_NS6detail15normal_iteratorINS9_10device_ptrIiEEEENS9_18transform_iteratorINS9_6negateIiEESE_NS9_11use_defaultESI_EESE_iNS9_4plusIvEENS9_8equal_toIvEEiEE10hipError_tPvRmT2_T3_T4_T5_mT6_T7_P12ihipStream_tbENKUlT_T0_E_clISt17integral_constantIbLb0EES14_EEDaSZ_S10_EUlSZ_E_NS1_11comp_targetILNS1_3genE8ELNS1_11target_archE1030ELNS1_3gpuE2ELNS1_3repE0EEENS1_30default_config_static_selectorELNS0_4arch9wavefront6targetE0EEEvT1_,@function
_ZN7rocprim17ROCPRIM_400000_NS6detail17trampoline_kernelINS0_14default_configENS1_27scan_by_key_config_selectorIiiEEZZNS1_16scan_by_key_implILNS1_25lookback_scan_determinismE0ELb0ES3_N6thrust23THRUST_200600_302600_NS6detail15normal_iteratorINS9_10device_ptrIiEEEENS9_18transform_iteratorINS9_6negateIiEESE_NS9_11use_defaultESI_EESE_iNS9_4plusIvEENS9_8equal_toIvEEiEE10hipError_tPvRmT2_T3_T4_T5_mT6_T7_P12ihipStream_tbENKUlT_T0_E_clISt17integral_constantIbLb0EES14_EEDaSZ_S10_EUlSZ_E_NS1_11comp_targetILNS1_3genE8ELNS1_11target_archE1030ELNS1_3gpuE2ELNS1_3repE0EEENS1_30default_config_static_selectorELNS0_4arch9wavefront6targetE0EEEvT1_: ; @_ZN7rocprim17ROCPRIM_400000_NS6detail17trampoline_kernelINS0_14default_configENS1_27scan_by_key_config_selectorIiiEEZZNS1_16scan_by_key_implILNS1_25lookback_scan_determinismE0ELb0ES3_N6thrust23THRUST_200600_302600_NS6detail15normal_iteratorINS9_10device_ptrIiEEEENS9_18transform_iteratorINS9_6negateIiEESE_NS9_11use_defaultESI_EESE_iNS9_4plusIvEENS9_8equal_toIvEEiEE10hipError_tPvRmT2_T3_T4_T5_mT6_T7_P12ihipStream_tbENKUlT_T0_E_clISt17integral_constantIbLb0EES14_EEDaSZ_S10_EUlSZ_E_NS1_11comp_targetILNS1_3genE8ELNS1_11target_archE1030ELNS1_3gpuE2ELNS1_3repE0EEENS1_30default_config_static_selectorELNS0_4arch9wavefront6targetE0EEEvT1_
; %bb.0:
	.section	.rodata,"a",@progbits
	.p2align	6, 0x0
	.amdhsa_kernel _ZN7rocprim17ROCPRIM_400000_NS6detail17trampoline_kernelINS0_14default_configENS1_27scan_by_key_config_selectorIiiEEZZNS1_16scan_by_key_implILNS1_25lookback_scan_determinismE0ELb0ES3_N6thrust23THRUST_200600_302600_NS6detail15normal_iteratorINS9_10device_ptrIiEEEENS9_18transform_iteratorINS9_6negateIiEESE_NS9_11use_defaultESI_EESE_iNS9_4plusIvEENS9_8equal_toIvEEiEE10hipError_tPvRmT2_T3_T4_T5_mT6_T7_P12ihipStream_tbENKUlT_T0_E_clISt17integral_constantIbLb0EES14_EEDaSZ_S10_EUlSZ_E_NS1_11comp_targetILNS1_3genE8ELNS1_11target_archE1030ELNS1_3gpuE2ELNS1_3repE0EEENS1_30default_config_static_selectorELNS0_4arch9wavefront6targetE0EEEvT1_
		.amdhsa_group_segment_fixed_size 0
		.amdhsa_private_segment_fixed_size 0
		.amdhsa_kernarg_size 120
		.amdhsa_user_sgpr_count 2
		.amdhsa_user_sgpr_dispatch_ptr 0
		.amdhsa_user_sgpr_queue_ptr 0
		.amdhsa_user_sgpr_kernarg_segment_ptr 1
		.amdhsa_user_sgpr_dispatch_id 0
		.amdhsa_user_sgpr_kernarg_preload_length 0
		.amdhsa_user_sgpr_kernarg_preload_offset 0
		.amdhsa_user_sgpr_private_segment_size 0
		.amdhsa_wavefront_size32 1
		.amdhsa_uses_dynamic_stack 0
		.amdhsa_enable_private_segment 0
		.amdhsa_system_sgpr_workgroup_id_x 1
		.amdhsa_system_sgpr_workgroup_id_y 0
		.amdhsa_system_sgpr_workgroup_id_z 0
		.amdhsa_system_sgpr_workgroup_info 0
		.amdhsa_system_vgpr_workitem_id 0
		.amdhsa_next_free_vgpr 1
		.amdhsa_next_free_sgpr 1
		.amdhsa_named_barrier_count 0
		.amdhsa_reserve_vcc 0
		.amdhsa_float_round_mode_32 0
		.amdhsa_float_round_mode_16_64 0
		.amdhsa_float_denorm_mode_32 3
		.amdhsa_float_denorm_mode_16_64 3
		.amdhsa_fp16_overflow 0
		.amdhsa_memory_ordered 1
		.amdhsa_forward_progress 1
		.amdhsa_inst_pref_size 0
		.amdhsa_round_robin_scheduling 0
		.amdhsa_exception_fp_ieee_invalid_op 0
		.amdhsa_exception_fp_denorm_src 0
		.amdhsa_exception_fp_ieee_div_zero 0
		.amdhsa_exception_fp_ieee_overflow 0
		.amdhsa_exception_fp_ieee_underflow 0
		.amdhsa_exception_fp_ieee_inexact 0
		.amdhsa_exception_int_div_zero 0
	.end_amdhsa_kernel
	.section	.text._ZN7rocprim17ROCPRIM_400000_NS6detail17trampoline_kernelINS0_14default_configENS1_27scan_by_key_config_selectorIiiEEZZNS1_16scan_by_key_implILNS1_25lookback_scan_determinismE0ELb0ES3_N6thrust23THRUST_200600_302600_NS6detail15normal_iteratorINS9_10device_ptrIiEEEENS9_18transform_iteratorINS9_6negateIiEESE_NS9_11use_defaultESI_EESE_iNS9_4plusIvEENS9_8equal_toIvEEiEE10hipError_tPvRmT2_T3_T4_T5_mT6_T7_P12ihipStream_tbENKUlT_T0_E_clISt17integral_constantIbLb0EES14_EEDaSZ_S10_EUlSZ_E_NS1_11comp_targetILNS1_3genE8ELNS1_11target_archE1030ELNS1_3gpuE2ELNS1_3repE0EEENS1_30default_config_static_selectorELNS0_4arch9wavefront6targetE0EEEvT1_,"axG",@progbits,_ZN7rocprim17ROCPRIM_400000_NS6detail17trampoline_kernelINS0_14default_configENS1_27scan_by_key_config_selectorIiiEEZZNS1_16scan_by_key_implILNS1_25lookback_scan_determinismE0ELb0ES3_N6thrust23THRUST_200600_302600_NS6detail15normal_iteratorINS9_10device_ptrIiEEEENS9_18transform_iteratorINS9_6negateIiEESE_NS9_11use_defaultESI_EESE_iNS9_4plusIvEENS9_8equal_toIvEEiEE10hipError_tPvRmT2_T3_T4_T5_mT6_T7_P12ihipStream_tbENKUlT_T0_E_clISt17integral_constantIbLb0EES14_EEDaSZ_S10_EUlSZ_E_NS1_11comp_targetILNS1_3genE8ELNS1_11target_archE1030ELNS1_3gpuE2ELNS1_3repE0EEENS1_30default_config_static_selectorELNS0_4arch9wavefront6targetE0EEEvT1_,comdat
.Lfunc_end937:
	.size	_ZN7rocprim17ROCPRIM_400000_NS6detail17trampoline_kernelINS0_14default_configENS1_27scan_by_key_config_selectorIiiEEZZNS1_16scan_by_key_implILNS1_25lookback_scan_determinismE0ELb0ES3_N6thrust23THRUST_200600_302600_NS6detail15normal_iteratorINS9_10device_ptrIiEEEENS9_18transform_iteratorINS9_6negateIiEESE_NS9_11use_defaultESI_EESE_iNS9_4plusIvEENS9_8equal_toIvEEiEE10hipError_tPvRmT2_T3_T4_T5_mT6_T7_P12ihipStream_tbENKUlT_T0_E_clISt17integral_constantIbLb0EES14_EEDaSZ_S10_EUlSZ_E_NS1_11comp_targetILNS1_3genE8ELNS1_11target_archE1030ELNS1_3gpuE2ELNS1_3repE0EEENS1_30default_config_static_selectorELNS0_4arch9wavefront6targetE0EEEvT1_, .Lfunc_end937-_ZN7rocprim17ROCPRIM_400000_NS6detail17trampoline_kernelINS0_14default_configENS1_27scan_by_key_config_selectorIiiEEZZNS1_16scan_by_key_implILNS1_25lookback_scan_determinismE0ELb0ES3_N6thrust23THRUST_200600_302600_NS6detail15normal_iteratorINS9_10device_ptrIiEEEENS9_18transform_iteratorINS9_6negateIiEESE_NS9_11use_defaultESI_EESE_iNS9_4plusIvEENS9_8equal_toIvEEiEE10hipError_tPvRmT2_T3_T4_T5_mT6_T7_P12ihipStream_tbENKUlT_T0_E_clISt17integral_constantIbLb0EES14_EEDaSZ_S10_EUlSZ_E_NS1_11comp_targetILNS1_3genE8ELNS1_11target_archE1030ELNS1_3gpuE2ELNS1_3repE0EEENS1_30default_config_static_selectorELNS0_4arch9wavefront6targetE0EEEvT1_
                                        ; -- End function
	.set _ZN7rocprim17ROCPRIM_400000_NS6detail17trampoline_kernelINS0_14default_configENS1_27scan_by_key_config_selectorIiiEEZZNS1_16scan_by_key_implILNS1_25lookback_scan_determinismE0ELb0ES3_N6thrust23THRUST_200600_302600_NS6detail15normal_iteratorINS9_10device_ptrIiEEEENS9_18transform_iteratorINS9_6negateIiEESE_NS9_11use_defaultESI_EESE_iNS9_4plusIvEENS9_8equal_toIvEEiEE10hipError_tPvRmT2_T3_T4_T5_mT6_T7_P12ihipStream_tbENKUlT_T0_E_clISt17integral_constantIbLb0EES14_EEDaSZ_S10_EUlSZ_E_NS1_11comp_targetILNS1_3genE8ELNS1_11target_archE1030ELNS1_3gpuE2ELNS1_3repE0EEENS1_30default_config_static_selectorELNS0_4arch9wavefront6targetE0EEEvT1_.num_vgpr, 0
	.set _ZN7rocprim17ROCPRIM_400000_NS6detail17trampoline_kernelINS0_14default_configENS1_27scan_by_key_config_selectorIiiEEZZNS1_16scan_by_key_implILNS1_25lookback_scan_determinismE0ELb0ES3_N6thrust23THRUST_200600_302600_NS6detail15normal_iteratorINS9_10device_ptrIiEEEENS9_18transform_iteratorINS9_6negateIiEESE_NS9_11use_defaultESI_EESE_iNS9_4plusIvEENS9_8equal_toIvEEiEE10hipError_tPvRmT2_T3_T4_T5_mT6_T7_P12ihipStream_tbENKUlT_T0_E_clISt17integral_constantIbLb0EES14_EEDaSZ_S10_EUlSZ_E_NS1_11comp_targetILNS1_3genE8ELNS1_11target_archE1030ELNS1_3gpuE2ELNS1_3repE0EEENS1_30default_config_static_selectorELNS0_4arch9wavefront6targetE0EEEvT1_.num_agpr, 0
	.set _ZN7rocprim17ROCPRIM_400000_NS6detail17trampoline_kernelINS0_14default_configENS1_27scan_by_key_config_selectorIiiEEZZNS1_16scan_by_key_implILNS1_25lookback_scan_determinismE0ELb0ES3_N6thrust23THRUST_200600_302600_NS6detail15normal_iteratorINS9_10device_ptrIiEEEENS9_18transform_iteratorINS9_6negateIiEESE_NS9_11use_defaultESI_EESE_iNS9_4plusIvEENS9_8equal_toIvEEiEE10hipError_tPvRmT2_T3_T4_T5_mT6_T7_P12ihipStream_tbENKUlT_T0_E_clISt17integral_constantIbLb0EES14_EEDaSZ_S10_EUlSZ_E_NS1_11comp_targetILNS1_3genE8ELNS1_11target_archE1030ELNS1_3gpuE2ELNS1_3repE0EEENS1_30default_config_static_selectorELNS0_4arch9wavefront6targetE0EEEvT1_.numbered_sgpr, 0
	.set _ZN7rocprim17ROCPRIM_400000_NS6detail17trampoline_kernelINS0_14default_configENS1_27scan_by_key_config_selectorIiiEEZZNS1_16scan_by_key_implILNS1_25lookback_scan_determinismE0ELb0ES3_N6thrust23THRUST_200600_302600_NS6detail15normal_iteratorINS9_10device_ptrIiEEEENS9_18transform_iteratorINS9_6negateIiEESE_NS9_11use_defaultESI_EESE_iNS9_4plusIvEENS9_8equal_toIvEEiEE10hipError_tPvRmT2_T3_T4_T5_mT6_T7_P12ihipStream_tbENKUlT_T0_E_clISt17integral_constantIbLb0EES14_EEDaSZ_S10_EUlSZ_E_NS1_11comp_targetILNS1_3genE8ELNS1_11target_archE1030ELNS1_3gpuE2ELNS1_3repE0EEENS1_30default_config_static_selectorELNS0_4arch9wavefront6targetE0EEEvT1_.num_named_barrier, 0
	.set _ZN7rocprim17ROCPRIM_400000_NS6detail17trampoline_kernelINS0_14default_configENS1_27scan_by_key_config_selectorIiiEEZZNS1_16scan_by_key_implILNS1_25lookback_scan_determinismE0ELb0ES3_N6thrust23THRUST_200600_302600_NS6detail15normal_iteratorINS9_10device_ptrIiEEEENS9_18transform_iteratorINS9_6negateIiEESE_NS9_11use_defaultESI_EESE_iNS9_4plusIvEENS9_8equal_toIvEEiEE10hipError_tPvRmT2_T3_T4_T5_mT6_T7_P12ihipStream_tbENKUlT_T0_E_clISt17integral_constantIbLb0EES14_EEDaSZ_S10_EUlSZ_E_NS1_11comp_targetILNS1_3genE8ELNS1_11target_archE1030ELNS1_3gpuE2ELNS1_3repE0EEENS1_30default_config_static_selectorELNS0_4arch9wavefront6targetE0EEEvT1_.private_seg_size, 0
	.set _ZN7rocprim17ROCPRIM_400000_NS6detail17trampoline_kernelINS0_14default_configENS1_27scan_by_key_config_selectorIiiEEZZNS1_16scan_by_key_implILNS1_25lookback_scan_determinismE0ELb0ES3_N6thrust23THRUST_200600_302600_NS6detail15normal_iteratorINS9_10device_ptrIiEEEENS9_18transform_iteratorINS9_6negateIiEESE_NS9_11use_defaultESI_EESE_iNS9_4plusIvEENS9_8equal_toIvEEiEE10hipError_tPvRmT2_T3_T4_T5_mT6_T7_P12ihipStream_tbENKUlT_T0_E_clISt17integral_constantIbLb0EES14_EEDaSZ_S10_EUlSZ_E_NS1_11comp_targetILNS1_3genE8ELNS1_11target_archE1030ELNS1_3gpuE2ELNS1_3repE0EEENS1_30default_config_static_selectorELNS0_4arch9wavefront6targetE0EEEvT1_.uses_vcc, 0
	.set _ZN7rocprim17ROCPRIM_400000_NS6detail17trampoline_kernelINS0_14default_configENS1_27scan_by_key_config_selectorIiiEEZZNS1_16scan_by_key_implILNS1_25lookback_scan_determinismE0ELb0ES3_N6thrust23THRUST_200600_302600_NS6detail15normal_iteratorINS9_10device_ptrIiEEEENS9_18transform_iteratorINS9_6negateIiEESE_NS9_11use_defaultESI_EESE_iNS9_4plusIvEENS9_8equal_toIvEEiEE10hipError_tPvRmT2_T3_T4_T5_mT6_T7_P12ihipStream_tbENKUlT_T0_E_clISt17integral_constantIbLb0EES14_EEDaSZ_S10_EUlSZ_E_NS1_11comp_targetILNS1_3genE8ELNS1_11target_archE1030ELNS1_3gpuE2ELNS1_3repE0EEENS1_30default_config_static_selectorELNS0_4arch9wavefront6targetE0EEEvT1_.uses_flat_scratch, 0
	.set _ZN7rocprim17ROCPRIM_400000_NS6detail17trampoline_kernelINS0_14default_configENS1_27scan_by_key_config_selectorIiiEEZZNS1_16scan_by_key_implILNS1_25lookback_scan_determinismE0ELb0ES3_N6thrust23THRUST_200600_302600_NS6detail15normal_iteratorINS9_10device_ptrIiEEEENS9_18transform_iteratorINS9_6negateIiEESE_NS9_11use_defaultESI_EESE_iNS9_4plusIvEENS9_8equal_toIvEEiEE10hipError_tPvRmT2_T3_T4_T5_mT6_T7_P12ihipStream_tbENKUlT_T0_E_clISt17integral_constantIbLb0EES14_EEDaSZ_S10_EUlSZ_E_NS1_11comp_targetILNS1_3genE8ELNS1_11target_archE1030ELNS1_3gpuE2ELNS1_3repE0EEENS1_30default_config_static_selectorELNS0_4arch9wavefront6targetE0EEEvT1_.has_dyn_sized_stack, 0
	.set _ZN7rocprim17ROCPRIM_400000_NS6detail17trampoline_kernelINS0_14default_configENS1_27scan_by_key_config_selectorIiiEEZZNS1_16scan_by_key_implILNS1_25lookback_scan_determinismE0ELb0ES3_N6thrust23THRUST_200600_302600_NS6detail15normal_iteratorINS9_10device_ptrIiEEEENS9_18transform_iteratorINS9_6negateIiEESE_NS9_11use_defaultESI_EESE_iNS9_4plusIvEENS9_8equal_toIvEEiEE10hipError_tPvRmT2_T3_T4_T5_mT6_T7_P12ihipStream_tbENKUlT_T0_E_clISt17integral_constantIbLb0EES14_EEDaSZ_S10_EUlSZ_E_NS1_11comp_targetILNS1_3genE8ELNS1_11target_archE1030ELNS1_3gpuE2ELNS1_3repE0EEENS1_30default_config_static_selectorELNS0_4arch9wavefront6targetE0EEEvT1_.has_recursion, 0
	.set _ZN7rocprim17ROCPRIM_400000_NS6detail17trampoline_kernelINS0_14default_configENS1_27scan_by_key_config_selectorIiiEEZZNS1_16scan_by_key_implILNS1_25lookback_scan_determinismE0ELb0ES3_N6thrust23THRUST_200600_302600_NS6detail15normal_iteratorINS9_10device_ptrIiEEEENS9_18transform_iteratorINS9_6negateIiEESE_NS9_11use_defaultESI_EESE_iNS9_4plusIvEENS9_8equal_toIvEEiEE10hipError_tPvRmT2_T3_T4_T5_mT6_T7_P12ihipStream_tbENKUlT_T0_E_clISt17integral_constantIbLb0EES14_EEDaSZ_S10_EUlSZ_E_NS1_11comp_targetILNS1_3genE8ELNS1_11target_archE1030ELNS1_3gpuE2ELNS1_3repE0EEENS1_30default_config_static_selectorELNS0_4arch9wavefront6targetE0EEEvT1_.has_indirect_call, 0
	.section	.AMDGPU.csdata,"",@progbits
; Kernel info:
; codeLenInByte = 0
; TotalNumSgprs: 0
; NumVgprs: 0
; ScratchSize: 0
; MemoryBound: 0
; FloatMode: 240
; IeeeMode: 1
; LDSByteSize: 0 bytes/workgroup (compile time only)
; SGPRBlocks: 0
; VGPRBlocks: 0
; NumSGPRsForWavesPerEU: 1
; NumVGPRsForWavesPerEU: 1
; NamedBarCnt: 0
; Occupancy: 16
; WaveLimiterHint : 0
; COMPUTE_PGM_RSRC2:SCRATCH_EN: 0
; COMPUTE_PGM_RSRC2:USER_SGPR: 2
; COMPUTE_PGM_RSRC2:TRAP_HANDLER: 0
; COMPUTE_PGM_RSRC2:TGID_X_EN: 1
; COMPUTE_PGM_RSRC2:TGID_Y_EN: 0
; COMPUTE_PGM_RSRC2:TGID_Z_EN: 0
; COMPUTE_PGM_RSRC2:TIDIG_COMP_CNT: 0
	.section	.text._ZN7rocprim17ROCPRIM_400000_NS6detail17trampoline_kernelINS0_14default_configENS1_27scan_by_key_config_selectorIiiEEZZNS1_16scan_by_key_implILNS1_25lookback_scan_determinismE0ELb0ES3_N6thrust23THRUST_200600_302600_NS6detail15normal_iteratorINS9_10device_ptrIiEEEENS9_18transform_iteratorINS9_6negateIiEESE_NS9_11use_defaultESI_EESE_iNS9_4plusIvEENS9_8equal_toIvEEiEE10hipError_tPvRmT2_T3_T4_T5_mT6_T7_P12ihipStream_tbENKUlT_T0_E_clISt17integral_constantIbLb1EES14_EEDaSZ_S10_EUlSZ_E_NS1_11comp_targetILNS1_3genE0ELNS1_11target_archE4294967295ELNS1_3gpuE0ELNS1_3repE0EEENS1_30default_config_static_selectorELNS0_4arch9wavefront6targetE0EEEvT1_,"axG",@progbits,_ZN7rocprim17ROCPRIM_400000_NS6detail17trampoline_kernelINS0_14default_configENS1_27scan_by_key_config_selectorIiiEEZZNS1_16scan_by_key_implILNS1_25lookback_scan_determinismE0ELb0ES3_N6thrust23THRUST_200600_302600_NS6detail15normal_iteratorINS9_10device_ptrIiEEEENS9_18transform_iteratorINS9_6negateIiEESE_NS9_11use_defaultESI_EESE_iNS9_4plusIvEENS9_8equal_toIvEEiEE10hipError_tPvRmT2_T3_T4_T5_mT6_T7_P12ihipStream_tbENKUlT_T0_E_clISt17integral_constantIbLb1EES14_EEDaSZ_S10_EUlSZ_E_NS1_11comp_targetILNS1_3genE0ELNS1_11target_archE4294967295ELNS1_3gpuE0ELNS1_3repE0EEENS1_30default_config_static_selectorELNS0_4arch9wavefront6targetE0EEEvT1_,comdat
	.protected	_ZN7rocprim17ROCPRIM_400000_NS6detail17trampoline_kernelINS0_14default_configENS1_27scan_by_key_config_selectorIiiEEZZNS1_16scan_by_key_implILNS1_25lookback_scan_determinismE0ELb0ES3_N6thrust23THRUST_200600_302600_NS6detail15normal_iteratorINS9_10device_ptrIiEEEENS9_18transform_iteratorINS9_6negateIiEESE_NS9_11use_defaultESI_EESE_iNS9_4plusIvEENS9_8equal_toIvEEiEE10hipError_tPvRmT2_T3_T4_T5_mT6_T7_P12ihipStream_tbENKUlT_T0_E_clISt17integral_constantIbLb1EES14_EEDaSZ_S10_EUlSZ_E_NS1_11comp_targetILNS1_3genE0ELNS1_11target_archE4294967295ELNS1_3gpuE0ELNS1_3repE0EEENS1_30default_config_static_selectorELNS0_4arch9wavefront6targetE0EEEvT1_ ; -- Begin function _ZN7rocprim17ROCPRIM_400000_NS6detail17trampoline_kernelINS0_14default_configENS1_27scan_by_key_config_selectorIiiEEZZNS1_16scan_by_key_implILNS1_25lookback_scan_determinismE0ELb0ES3_N6thrust23THRUST_200600_302600_NS6detail15normal_iteratorINS9_10device_ptrIiEEEENS9_18transform_iteratorINS9_6negateIiEESE_NS9_11use_defaultESI_EESE_iNS9_4plusIvEENS9_8equal_toIvEEiEE10hipError_tPvRmT2_T3_T4_T5_mT6_T7_P12ihipStream_tbENKUlT_T0_E_clISt17integral_constantIbLb1EES14_EEDaSZ_S10_EUlSZ_E_NS1_11comp_targetILNS1_3genE0ELNS1_11target_archE4294967295ELNS1_3gpuE0ELNS1_3repE0EEENS1_30default_config_static_selectorELNS0_4arch9wavefront6targetE0EEEvT1_
	.globl	_ZN7rocprim17ROCPRIM_400000_NS6detail17trampoline_kernelINS0_14default_configENS1_27scan_by_key_config_selectorIiiEEZZNS1_16scan_by_key_implILNS1_25lookback_scan_determinismE0ELb0ES3_N6thrust23THRUST_200600_302600_NS6detail15normal_iteratorINS9_10device_ptrIiEEEENS9_18transform_iteratorINS9_6negateIiEESE_NS9_11use_defaultESI_EESE_iNS9_4plusIvEENS9_8equal_toIvEEiEE10hipError_tPvRmT2_T3_T4_T5_mT6_T7_P12ihipStream_tbENKUlT_T0_E_clISt17integral_constantIbLb1EES14_EEDaSZ_S10_EUlSZ_E_NS1_11comp_targetILNS1_3genE0ELNS1_11target_archE4294967295ELNS1_3gpuE0ELNS1_3repE0EEENS1_30default_config_static_selectorELNS0_4arch9wavefront6targetE0EEEvT1_
	.p2align	8
	.type	_ZN7rocprim17ROCPRIM_400000_NS6detail17trampoline_kernelINS0_14default_configENS1_27scan_by_key_config_selectorIiiEEZZNS1_16scan_by_key_implILNS1_25lookback_scan_determinismE0ELb0ES3_N6thrust23THRUST_200600_302600_NS6detail15normal_iteratorINS9_10device_ptrIiEEEENS9_18transform_iteratorINS9_6negateIiEESE_NS9_11use_defaultESI_EESE_iNS9_4plusIvEENS9_8equal_toIvEEiEE10hipError_tPvRmT2_T3_T4_T5_mT6_T7_P12ihipStream_tbENKUlT_T0_E_clISt17integral_constantIbLb1EES14_EEDaSZ_S10_EUlSZ_E_NS1_11comp_targetILNS1_3genE0ELNS1_11target_archE4294967295ELNS1_3gpuE0ELNS1_3repE0EEENS1_30default_config_static_selectorELNS0_4arch9wavefront6targetE0EEEvT1_,@function
_ZN7rocprim17ROCPRIM_400000_NS6detail17trampoline_kernelINS0_14default_configENS1_27scan_by_key_config_selectorIiiEEZZNS1_16scan_by_key_implILNS1_25lookback_scan_determinismE0ELb0ES3_N6thrust23THRUST_200600_302600_NS6detail15normal_iteratorINS9_10device_ptrIiEEEENS9_18transform_iteratorINS9_6negateIiEESE_NS9_11use_defaultESI_EESE_iNS9_4plusIvEENS9_8equal_toIvEEiEE10hipError_tPvRmT2_T3_T4_T5_mT6_T7_P12ihipStream_tbENKUlT_T0_E_clISt17integral_constantIbLb1EES14_EEDaSZ_S10_EUlSZ_E_NS1_11comp_targetILNS1_3genE0ELNS1_11target_archE4294967295ELNS1_3gpuE0ELNS1_3repE0EEENS1_30default_config_static_selectorELNS0_4arch9wavefront6targetE0EEEvT1_: ; @_ZN7rocprim17ROCPRIM_400000_NS6detail17trampoline_kernelINS0_14default_configENS1_27scan_by_key_config_selectorIiiEEZZNS1_16scan_by_key_implILNS1_25lookback_scan_determinismE0ELb0ES3_N6thrust23THRUST_200600_302600_NS6detail15normal_iteratorINS9_10device_ptrIiEEEENS9_18transform_iteratorINS9_6negateIiEESE_NS9_11use_defaultESI_EESE_iNS9_4plusIvEENS9_8equal_toIvEEiEE10hipError_tPvRmT2_T3_T4_T5_mT6_T7_P12ihipStream_tbENKUlT_T0_E_clISt17integral_constantIbLb1EES14_EEDaSZ_S10_EUlSZ_E_NS1_11comp_targetILNS1_3genE0ELNS1_11target_archE4294967295ELNS1_3gpuE0ELNS1_3repE0EEENS1_30default_config_static_selectorELNS0_4arch9wavefront6targetE0EEEvT1_
; %bb.0:
	s_endpgm
	.section	.rodata,"a",@progbits
	.p2align	6, 0x0
	.amdhsa_kernel _ZN7rocprim17ROCPRIM_400000_NS6detail17trampoline_kernelINS0_14default_configENS1_27scan_by_key_config_selectorIiiEEZZNS1_16scan_by_key_implILNS1_25lookback_scan_determinismE0ELb0ES3_N6thrust23THRUST_200600_302600_NS6detail15normal_iteratorINS9_10device_ptrIiEEEENS9_18transform_iteratorINS9_6negateIiEESE_NS9_11use_defaultESI_EESE_iNS9_4plusIvEENS9_8equal_toIvEEiEE10hipError_tPvRmT2_T3_T4_T5_mT6_T7_P12ihipStream_tbENKUlT_T0_E_clISt17integral_constantIbLb1EES14_EEDaSZ_S10_EUlSZ_E_NS1_11comp_targetILNS1_3genE0ELNS1_11target_archE4294967295ELNS1_3gpuE0ELNS1_3repE0EEENS1_30default_config_static_selectorELNS0_4arch9wavefront6targetE0EEEvT1_
		.amdhsa_group_segment_fixed_size 0
		.amdhsa_private_segment_fixed_size 0
		.amdhsa_kernarg_size 120
		.amdhsa_user_sgpr_count 2
		.amdhsa_user_sgpr_dispatch_ptr 0
		.amdhsa_user_sgpr_queue_ptr 0
		.amdhsa_user_sgpr_kernarg_segment_ptr 1
		.amdhsa_user_sgpr_dispatch_id 0
		.amdhsa_user_sgpr_kernarg_preload_length 0
		.amdhsa_user_sgpr_kernarg_preload_offset 0
		.amdhsa_user_sgpr_private_segment_size 0
		.amdhsa_wavefront_size32 1
		.amdhsa_uses_dynamic_stack 0
		.amdhsa_enable_private_segment 0
		.amdhsa_system_sgpr_workgroup_id_x 1
		.amdhsa_system_sgpr_workgroup_id_y 0
		.amdhsa_system_sgpr_workgroup_id_z 0
		.amdhsa_system_sgpr_workgroup_info 0
		.amdhsa_system_vgpr_workitem_id 0
		.amdhsa_next_free_vgpr 1
		.amdhsa_next_free_sgpr 1
		.amdhsa_named_barrier_count 0
		.amdhsa_reserve_vcc 0
		.amdhsa_float_round_mode_32 0
		.amdhsa_float_round_mode_16_64 0
		.amdhsa_float_denorm_mode_32 3
		.amdhsa_float_denorm_mode_16_64 3
		.amdhsa_fp16_overflow 0
		.amdhsa_memory_ordered 1
		.amdhsa_forward_progress 1
		.amdhsa_inst_pref_size 1
		.amdhsa_round_robin_scheduling 0
		.amdhsa_exception_fp_ieee_invalid_op 0
		.amdhsa_exception_fp_denorm_src 0
		.amdhsa_exception_fp_ieee_div_zero 0
		.amdhsa_exception_fp_ieee_overflow 0
		.amdhsa_exception_fp_ieee_underflow 0
		.amdhsa_exception_fp_ieee_inexact 0
		.amdhsa_exception_int_div_zero 0
	.end_amdhsa_kernel
	.section	.text._ZN7rocprim17ROCPRIM_400000_NS6detail17trampoline_kernelINS0_14default_configENS1_27scan_by_key_config_selectorIiiEEZZNS1_16scan_by_key_implILNS1_25lookback_scan_determinismE0ELb0ES3_N6thrust23THRUST_200600_302600_NS6detail15normal_iteratorINS9_10device_ptrIiEEEENS9_18transform_iteratorINS9_6negateIiEESE_NS9_11use_defaultESI_EESE_iNS9_4plusIvEENS9_8equal_toIvEEiEE10hipError_tPvRmT2_T3_T4_T5_mT6_T7_P12ihipStream_tbENKUlT_T0_E_clISt17integral_constantIbLb1EES14_EEDaSZ_S10_EUlSZ_E_NS1_11comp_targetILNS1_3genE0ELNS1_11target_archE4294967295ELNS1_3gpuE0ELNS1_3repE0EEENS1_30default_config_static_selectorELNS0_4arch9wavefront6targetE0EEEvT1_,"axG",@progbits,_ZN7rocprim17ROCPRIM_400000_NS6detail17trampoline_kernelINS0_14default_configENS1_27scan_by_key_config_selectorIiiEEZZNS1_16scan_by_key_implILNS1_25lookback_scan_determinismE0ELb0ES3_N6thrust23THRUST_200600_302600_NS6detail15normal_iteratorINS9_10device_ptrIiEEEENS9_18transform_iteratorINS9_6negateIiEESE_NS9_11use_defaultESI_EESE_iNS9_4plusIvEENS9_8equal_toIvEEiEE10hipError_tPvRmT2_T3_T4_T5_mT6_T7_P12ihipStream_tbENKUlT_T0_E_clISt17integral_constantIbLb1EES14_EEDaSZ_S10_EUlSZ_E_NS1_11comp_targetILNS1_3genE0ELNS1_11target_archE4294967295ELNS1_3gpuE0ELNS1_3repE0EEENS1_30default_config_static_selectorELNS0_4arch9wavefront6targetE0EEEvT1_,comdat
.Lfunc_end938:
	.size	_ZN7rocprim17ROCPRIM_400000_NS6detail17trampoline_kernelINS0_14default_configENS1_27scan_by_key_config_selectorIiiEEZZNS1_16scan_by_key_implILNS1_25lookback_scan_determinismE0ELb0ES3_N6thrust23THRUST_200600_302600_NS6detail15normal_iteratorINS9_10device_ptrIiEEEENS9_18transform_iteratorINS9_6negateIiEESE_NS9_11use_defaultESI_EESE_iNS9_4plusIvEENS9_8equal_toIvEEiEE10hipError_tPvRmT2_T3_T4_T5_mT6_T7_P12ihipStream_tbENKUlT_T0_E_clISt17integral_constantIbLb1EES14_EEDaSZ_S10_EUlSZ_E_NS1_11comp_targetILNS1_3genE0ELNS1_11target_archE4294967295ELNS1_3gpuE0ELNS1_3repE0EEENS1_30default_config_static_selectorELNS0_4arch9wavefront6targetE0EEEvT1_, .Lfunc_end938-_ZN7rocprim17ROCPRIM_400000_NS6detail17trampoline_kernelINS0_14default_configENS1_27scan_by_key_config_selectorIiiEEZZNS1_16scan_by_key_implILNS1_25lookback_scan_determinismE0ELb0ES3_N6thrust23THRUST_200600_302600_NS6detail15normal_iteratorINS9_10device_ptrIiEEEENS9_18transform_iteratorINS9_6negateIiEESE_NS9_11use_defaultESI_EESE_iNS9_4plusIvEENS9_8equal_toIvEEiEE10hipError_tPvRmT2_T3_T4_T5_mT6_T7_P12ihipStream_tbENKUlT_T0_E_clISt17integral_constantIbLb1EES14_EEDaSZ_S10_EUlSZ_E_NS1_11comp_targetILNS1_3genE0ELNS1_11target_archE4294967295ELNS1_3gpuE0ELNS1_3repE0EEENS1_30default_config_static_selectorELNS0_4arch9wavefront6targetE0EEEvT1_
                                        ; -- End function
	.set _ZN7rocprim17ROCPRIM_400000_NS6detail17trampoline_kernelINS0_14default_configENS1_27scan_by_key_config_selectorIiiEEZZNS1_16scan_by_key_implILNS1_25lookback_scan_determinismE0ELb0ES3_N6thrust23THRUST_200600_302600_NS6detail15normal_iteratorINS9_10device_ptrIiEEEENS9_18transform_iteratorINS9_6negateIiEESE_NS9_11use_defaultESI_EESE_iNS9_4plusIvEENS9_8equal_toIvEEiEE10hipError_tPvRmT2_T3_T4_T5_mT6_T7_P12ihipStream_tbENKUlT_T0_E_clISt17integral_constantIbLb1EES14_EEDaSZ_S10_EUlSZ_E_NS1_11comp_targetILNS1_3genE0ELNS1_11target_archE4294967295ELNS1_3gpuE0ELNS1_3repE0EEENS1_30default_config_static_selectorELNS0_4arch9wavefront6targetE0EEEvT1_.num_vgpr, 0
	.set _ZN7rocprim17ROCPRIM_400000_NS6detail17trampoline_kernelINS0_14default_configENS1_27scan_by_key_config_selectorIiiEEZZNS1_16scan_by_key_implILNS1_25lookback_scan_determinismE0ELb0ES3_N6thrust23THRUST_200600_302600_NS6detail15normal_iteratorINS9_10device_ptrIiEEEENS9_18transform_iteratorINS9_6negateIiEESE_NS9_11use_defaultESI_EESE_iNS9_4plusIvEENS9_8equal_toIvEEiEE10hipError_tPvRmT2_T3_T4_T5_mT6_T7_P12ihipStream_tbENKUlT_T0_E_clISt17integral_constantIbLb1EES14_EEDaSZ_S10_EUlSZ_E_NS1_11comp_targetILNS1_3genE0ELNS1_11target_archE4294967295ELNS1_3gpuE0ELNS1_3repE0EEENS1_30default_config_static_selectorELNS0_4arch9wavefront6targetE0EEEvT1_.num_agpr, 0
	.set _ZN7rocprim17ROCPRIM_400000_NS6detail17trampoline_kernelINS0_14default_configENS1_27scan_by_key_config_selectorIiiEEZZNS1_16scan_by_key_implILNS1_25lookback_scan_determinismE0ELb0ES3_N6thrust23THRUST_200600_302600_NS6detail15normal_iteratorINS9_10device_ptrIiEEEENS9_18transform_iteratorINS9_6negateIiEESE_NS9_11use_defaultESI_EESE_iNS9_4plusIvEENS9_8equal_toIvEEiEE10hipError_tPvRmT2_T3_T4_T5_mT6_T7_P12ihipStream_tbENKUlT_T0_E_clISt17integral_constantIbLb1EES14_EEDaSZ_S10_EUlSZ_E_NS1_11comp_targetILNS1_3genE0ELNS1_11target_archE4294967295ELNS1_3gpuE0ELNS1_3repE0EEENS1_30default_config_static_selectorELNS0_4arch9wavefront6targetE0EEEvT1_.numbered_sgpr, 0
	.set _ZN7rocprim17ROCPRIM_400000_NS6detail17trampoline_kernelINS0_14default_configENS1_27scan_by_key_config_selectorIiiEEZZNS1_16scan_by_key_implILNS1_25lookback_scan_determinismE0ELb0ES3_N6thrust23THRUST_200600_302600_NS6detail15normal_iteratorINS9_10device_ptrIiEEEENS9_18transform_iteratorINS9_6negateIiEESE_NS9_11use_defaultESI_EESE_iNS9_4plusIvEENS9_8equal_toIvEEiEE10hipError_tPvRmT2_T3_T4_T5_mT6_T7_P12ihipStream_tbENKUlT_T0_E_clISt17integral_constantIbLb1EES14_EEDaSZ_S10_EUlSZ_E_NS1_11comp_targetILNS1_3genE0ELNS1_11target_archE4294967295ELNS1_3gpuE0ELNS1_3repE0EEENS1_30default_config_static_selectorELNS0_4arch9wavefront6targetE0EEEvT1_.num_named_barrier, 0
	.set _ZN7rocprim17ROCPRIM_400000_NS6detail17trampoline_kernelINS0_14default_configENS1_27scan_by_key_config_selectorIiiEEZZNS1_16scan_by_key_implILNS1_25lookback_scan_determinismE0ELb0ES3_N6thrust23THRUST_200600_302600_NS6detail15normal_iteratorINS9_10device_ptrIiEEEENS9_18transform_iteratorINS9_6negateIiEESE_NS9_11use_defaultESI_EESE_iNS9_4plusIvEENS9_8equal_toIvEEiEE10hipError_tPvRmT2_T3_T4_T5_mT6_T7_P12ihipStream_tbENKUlT_T0_E_clISt17integral_constantIbLb1EES14_EEDaSZ_S10_EUlSZ_E_NS1_11comp_targetILNS1_3genE0ELNS1_11target_archE4294967295ELNS1_3gpuE0ELNS1_3repE0EEENS1_30default_config_static_selectorELNS0_4arch9wavefront6targetE0EEEvT1_.private_seg_size, 0
	.set _ZN7rocprim17ROCPRIM_400000_NS6detail17trampoline_kernelINS0_14default_configENS1_27scan_by_key_config_selectorIiiEEZZNS1_16scan_by_key_implILNS1_25lookback_scan_determinismE0ELb0ES3_N6thrust23THRUST_200600_302600_NS6detail15normal_iteratorINS9_10device_ptrIiEEEENS9_18transform_iteratorINS9_6negateIiEESE_NS9_11use_defaultESI_EESE_iNS9_4plusIvEENS9_8equal_toIvEEiEE10hipError_tPvRmT2_T3_T4_T5_mT6_T7_P12ihipStream_tbENKUlT_T0_E_clISt17integral_constantIbLb1EES14_EEDaSZ_S10_EUlSZ_E_NS1_11comp_targetILNS1_3genE0ELNS1_11target_archE4294967295ELNS1_3gpuE0ELNS1_3repE0EEENS1_30default_config_static_selectorELNS0_4arch9wavefront6targetE0EEEvT1_.uses_vcc, 0
	.set _ZN7rocprim17ROCPRIM_400000_NS6detail17trampoline_kernelINS0_14default_configENS1_27scan_by_key_config_selectorIiiEEZZNS1_16scan_by_key_implILNS1_25lookback_scan_determinismE0ELb0ES3_N6thrust23THRUST_200600_302600_NS6detail15normal_iteratorINS9_10device_ptrIiEEEENS9_18transform_iteratorINS9_6negateIiEESE_NS9_11use_defaultESI_EESE_iNS9_4plusIvEENS9_8equal_toIvEEiEE10hipError_tPvRmT2_T3_T4_T5_mT6_T7_P12ihipStream_tbENKUlT_T0_E_clISt17integral_constantIbLb1EES14_EEDaSZ_S10_EUlSZ_E_NS1_11comp_targetILNS1_3genE0ELNS1_11target_archE4294967295ELNS1_3gpuE0ELNS1_3repE0EEENS1_30default_config_static_selectorELNS0_4arch9wavefront6targetE0EEEvT1_.uses_flat_scratch, 0
	.set _ZN7rocprim17ROCPRIM_400000_NS6detail17trampoline_kernelINS0_14default_configENS1_27scan_by_key_config_selectorIiiEEZZNS1_16scan_by_key_implILNS1_25lookback_scan_determinismE0ELb0ES3_N6thrust23THRUST_200600_302600_NS6detail15normal_iteratorINS9_10device_ptrIiEEEENS9_18transform_iteratorINS9_6negateIiEESE_NS9_11use_defaultESI_EESE_iNS9_4plusIvEENS9_8equal_toIvEEiEE10hipError_tPvRmT2_T3_T4_T5_mT6_T7_P12ihipStream_tbENKUlT_T0_E_clISt17integral_constantIbLb1EES14_EEDaSZ_S10_EUlSZ_E_NS1_11comp_targetILNS1_3genE0ELNS1_11target_archE4294967295ELNS1_3gpuE0ELNS1_3repE0EEENS1_30default_config_static_selectorELNS0_4arch9wavefront6targetE0EEEvT1_.has_dyn_sized_stack, 0
	.set _ZN7rocprim17ROCPRIM_400000_NS6detail17trampoline_kernelINS0_14default_configENS1_27scan_by_key_config_selectorIiiEEZZNS1_16scan_by_key_implILNS1_25lookback_scan_determinismE0ELb0ES3_N6thrust23THRUST_200600_302600_NS6detail15normal_iteratorINS9_10device_ptrIiEEEENS9_18transform_iteratorINS9_6negateIiEESE_NS9_11use_defaultESI_EESE_iNS9_4plusIvEENS9_8equal_toIvEEiEE10hipError_tPvRmT2_T3_T4_T5_mT6_T7_P12ihipStream_tbENKUlT_T0_E_clISt17integral_constantIbLb1EES14_EEDaSZ_S10_EUlSZ_E_NS1_11comp_targetILNS1_3genE0ELNS1_11target_archE4294967295ELNS1_3gpuE0ELNS1_3repE0EEENS1_30default_config_static_selectorELNS0_4arch9wavefront6targetE0EEEvT1_.has_recursion, 0
	.set _ZN7rocprim17ROCPRIM_400000_NS6detail17trampoline_kernelINS0_14default_configENS1_27scan_by_key_config_selectorIiiEEZZNS1_16scan_by_key_implILNS1_25lookback_scan_determinismE0ELb0ES3_N6thrust23THRUST_200600_302600_NS6detail15normal_iteratorINS9_10device_ptrIiEEEENS9_18transform_iteratorINS9_6negateIiEESE_NS9_11use_defaultESI_EESE_iNS9_4plusIvEENS9_8equal_toIvEEiEE10hipError_tPvRmT2_T3_T4_T5_mT6_T7_P12ihipStream_tbENKUlT_T0_E_clISt17integral_constantIbLb1EES14_EEDaSZ_S10_EUlSZ_E_NS1_11comp_targetILNS1_3genE0ELNS1_11target_archE4294967295ELNS1_3gpuE0ELNS1_3repE0EEENS1_30default_config_static_selectorELNS0_4arch9wavefront6targetE0EEEvT1_.has_indirect_call, 0
	.section	.AMDGPU.csdata,"",@progbits
; Kernel info:
; codeLenInByte = 4
; TotalNumSgprs: 0
; NumVgprs: 0
; ScratchSize: 0
; MemoryBound: 0
; FloatMode: 240
; IeeeMode: 1
; LDSByteSize: 0 bytes/workgroup (compile time only)
; SGPRBlocks: 0
; VGPRBlocks: 0
; NumSGPRsForWavesPerEU: 1
; NumVGPRsForWavesPerEU: 1
; NamedBarCnt: 0
; Occupancy: 16
; WaveLimiterHint : 0
; COMPUTE_PGM_RSRC2:SCRATCH_EN: 0
; COMPUTE_PGM_RSRC2:USER_SGPR: 2
; COMPUTE_PGM_RSRC2:TRAP_HANDLER: 0
; COMPUTE_PGM_RSRC2:TGID_X_EN: 1
; COMPUTE_PGM_RSRC2:TGID_Y_EN: 0
; COMPUTE_PGM_RSRC2:TGID_Z_EN: 0
; COMPUTE_PGM_RSRC2:TIDIG_COMP_CNT: 0
	.section	.text._ZN7rocprim17ROCPRIM_400000_NS6detail17trampoline_kernelINS0_14default_configENS1_27scan_by_key_config_selectorIiiEEZZNS1_16scan_by_key_implILNS1_25lookback_scan_determinismE0ELb0ES3_N6thrust23THRUST_200600_302600_NS6detail15normal_iteratorINS9_10device_ptrIiEEEENS9_18transform_iteratorINS9_6negateIiEESE_NS9_11use_defaultESI_EESE_iNS9_4plusIvEENS9_8equal_toIvEEiEE10hipError_tPvRmT2_T3_T4_T5_mT6_T7_P12ihipStream_tbENKUlT_T0_E_clISt17integral_constantIbLb1EES14_EEDaSZ_S10_EUlSZ_E_NS1_11comp_targetILNS1_3genE10ELNS1_11target_archE1201ELNS1_3gpuE5ELNS1_3repE0EEENS1_30default_config_static_selectorELNS0_4arch9wavefront6targetE0EEEvT1_,"axG",@progbits,_ZN7rocprim17ROCPRIM_400000_NS6detail17trampoline_kernelINS0_14default_configENS1_27scan_by_key_config_selectorIiiEEZZNS1_16scan_by_key_implILNS1_25lookback_scan_determinismE0ELb0ES3_N6thrust23THRUST_200600_302600_NS6detail15normal_iteratorINS9_10device_ptrIiEEEENS9_18transform_iteratorINS9_6negateIiEESE_NS9_11use_defaultESI_EESE_iNS9_4plusIvEENS9_8equal_toIvEEiEE10hipError_tPvRmT2_T3_T4_T5_mT6_T7_P12ihipStream_tbENKUlT_T0_E_clISt17integral_constantIbLb1EES14_EEDaSZ_S10_EUlSZ_E_NS1_11comp_targetILNS1_3genE10ELNS1_11target_archE1201ELNS1_3gpuE5ELNS1_3repE0EEENS1_30default_config_static_selectorELNS0_4arch9wavefront6targetE0EEEvT1_,comdat
	.protected	_ZN7rocprim17ROCPRIM_400000_NS6detail17trampoline_kernelINS0_14default_configENS1_27scan_by_key_config_selectorIiiEEZZNS1_16scan_by_key_implILNS1_25lookback_scan_determinismE0ELb0ES3_N6thrust23THRUST_200600_302600_NS6detail15normal_iteratorINS9_10device_ptrIiEEEENS9_18transform_iteratorINS9_6negateIiEESE_NS9_11use_defaultESI_EESE_iNS9_4plusIvEENS9_8equal_toIvEEiEE10hipError_tPvRmT2_T3_T4_T5_mT6_T7_P12ihipStream_tbENKUlT_T0_E_clISt17integral_constantIbLb1EES14_EEDaSZ_S10_EUlSZ_E_NS1_11comp_targetILNS1_3genE10ELNS1_11target_archE1201ELNS1_3gpuE5ELNS1_3repE0EEENS1_30default_config_static_selectorELNS0_4arch9wavefront6targetE0EEEvT1_ ; -- Begin function _ZN7rocprim17ROCPRIM_400000_NS6detail17trampoline_kernelINS0_14default_configENS1_27scan_by_key_config_selectorIiiEEZZNS1_16scan_by_key_implILNS1_25lookback_scan_determinismE0ELb0ES3_N6thrust23THRUST_200600_302600_NS6detail15normal_iteratorINS9_10device_ptrIiEEEENS9_18transform_iteratorINS9_6negateIiEESE_NS9_11use_defaultESI_EESE_iNS9_4plusIvEENS9_8equal_toIvEEiEE10hipError_tPvRmT2_T3_T4_T5_mT6_T7_P12ihipStream_tbENKUlT_T0_E_clISt17integral_constantIbLb1EES14_EEDaSZ_S10_EUlSZ_E_NS1_11comp_targetILNS1_3genE10ELNS1_11target_archE1201ELNS1_3gpuE5ELNS1_3repE0EEENS1_30default_config_static_selectorELNS0_4arch9wavefront6targetE0EEEvT1_
	.globl	_ZN7rocprim17ROCPRIM_400000_NS6detail17trampoline_kernelINS0_14default_configENS1_27scan_by_key_config_selectorIiiEEZZNS1_16scan_by_key_implILNS1_25lookback_scan_determinismE0ELb0ES3_N6thrust23THRUST_200600_302600_NS6detail15normal_iteratorINS9_10device_ptrIiEEEENS9_18transform_iteratorINS9_6negateIiEESE_NS9_11use_defaultESI_EESE_iNS9_4plusIvEENS9_8equal_toIvEEiEE10hipError_tPvRmT2_T3_T4_T5_mT6_T7_P12ihipStream_tbENKUlT_T0_E_clISt17integral_constantIbLb1EES14_EEDaSZ_S10_EUlSZ_E_NS1_11comp_targetILNS1_3genE10ELNS1_11target_archE1201ELNS1_3gpuE5ELNS1_3repE0EEENS1_30default_config_static_selectorELNS0_4arch9wavefront6targetE0EEEvT1_
	.p2align	8
	.type	_ZN7rocprim17ROCPRIM_400000_NS6detail17trampoline_kernelINS0_14default_configENS1_27scan_by_key_config_selectorIiiEEZZNS1_16scan_by_key_implILNS1_25lookback_scan_determinismE0ELb0ES3_N6thrust23THRUST_200600_302600_NS6detail15normal_iteratorINS9_10device_ptrIiEEEENS9_18transform_iteratorINS9_6negateIiEESE_NS9_11use_defaultESI_EESE_iNS9_4plusIvEENS9_8equal_toIvEEiEE10hipError_tPvRmT2_T3_T4_T5_mT6_T7_P12ihipStream_tbENKUlT_T0_E_clISt17integral_constantIbLb1EES14_EEDaSZ_S10_EUlSZ_E_NS1_11comp_targetILNS1_3genE10ELNS1_11target_archE1201ELNS1_3gpuE5ELNS1_3repE0EEENS1_30default_config_static_selectorELNS0_4arch9wavefront6targetE0EEEvT1_,@function
_ZN7rocprim17ROCPRIM_400000_NS6detail17trampoline_kernelINS0_14default_configENS1_27scan_by_key_config_selectorIiiEEZZNS1_16scan_by_key_implILNS1_25lookback_scan_determinismE0ELb0ES3_N6thrust23THRUST_200600_302600_NS6detail15normal_iteratorINS9_10device_ptrIiEEEENS9_18transform_iteratorINS9_6negateIiEESE_NS9_11use_defaultESI_EESE_iNS9_4plusIvEENS9_8equal_toIvEEiEE10hipError_tPvRmT2_T3_T4_T5_mT6_T7_P12ihipStream_tbENKUlT_T0_E_clISt17integral_constantIbLb1EES14_EEDaSZ_S10_EUlSZ_E_NS1_11comp_targetILNS1_3genE10ELNS1_11target_archE1201ELNS1_3gpuE5ELNS1_3repE0EEENS1_30default_config_static_selectorELNS0_4arch9wavefront6targetE0EEEvT1_: ; @_ZN7rocprim17ROCPRIM_400000_NS6detail17trampoline_kernelINS0_14default_configENS1_27scan_by_key_config_selectorIiiEEZZNS1_16scan_by_key_implILNS1_25lookback_scan_determinismE0ELb0ES3_N6thrust23THRUST_200600_302600_NS6detail15normal_iteratorINS9_10device_ptrIiEEEENS9_18transform_iteratorINS9_6negateIiEESE_NS9_11use_defaultESI_EESE_iNS9_4plusIvEENS9_8equal_toIvEEiEE10hipError_tPvRmT2_T3_T4_T5_mT6_T7_P12ihipStream_tbENKUlT_T0_E_clISt17integral_constantIbLb1EES14_EEDaSZ_S10_EUlSZ_E_NS1_11comp_targetILNS1_3genE10ELNS1_11target_archE1201ELNS1_3gpuE5ELNS1_3repE0EEENS1_30default_config_static_selectorELNS0_4arch9wavefront6targetE0EEEvT1_
; %bb.0:
	.section	.rodata,"a",@progbits
	.p2align	6, 0x0
	.amdhsa_kernel _ZN7rocprim17ROCPRIM_400000_NS6detail17trampoline_kernelINS0_14default_configENS1_27scan_by_key_config_selectorIiiEEZZNS1_16scan_by_key_implILNS1_25lookback_scan_determinismE0ELb0ES3_N6thrust23THRUST_200600_302600_NS6detail15normal_iteratorINS9_10device_ptrIiEEEENS9_18transform_iteratorINS9_6negateIiEESE_NS9_11use_defaultESI_EESE_iNS9_4plusIvEENS9_8equal_toIvEEiEE10hipError_tPvRmT2_T3_T4_T5_mT6_T7_P12ihipStream_tbENKUlT_T0_E_clISt17integral_constantIbLb1EES14_EEDaSZ_S10_EUlSZ_E_NS1_11comp_targetILNS1_3genE10ELNS1_11target_archE1201ELNS1_3gpuE5ELNS1_3repE0EEENS1_30default_config_static_selectorELNS0_4arch9wavefront6targetE0EEEvT1_
		.amdhsa_group_segment_fixed_size 0
		.amdhsa_private_segment_fixed_size 0
		.amdhsa_kernarg_size 120
		.amdhsa_user_sgpr_count 2
		.amdhsa_user_sgpr_dispatch_ptr 0
		.amdhsa_user_sgpr_queue_ptr 0
		.amdhsa_user_sgpr_kernarg_segment_ptr 1
		.amdhsa_user_sgpr_dispatch_id 0
		.amdhsa_user_sgpr_kernarg_preload_length 0
		.amdhsa_user_sgpr_kernarg_preload_offset 0
		.amdhsa_user_sgpr_private_segment_size 0
		.amdhsa_wavefront_size32 1
		.amdhsa_uses_dynamic_stack 0
		.amdhsa_enable_private_segment 0
		.amdhsa_system_sgpr_workgroup_id_x 1
		.amdhsa_system_sgpr_workgroup_id_y 0
		.amdhsa_system_sgpr_workgroup_id_z 0
		.amdhsa_system_sgpr_workgroup_info 0
		.amdhsa_system_vgpr_workitem_id 0
		.amdhsa_next_free_vgpr 1
		.amdhsa_next_free_sgpr 1
		.amdhsa_named_barrier_count 0
		.amdhsa_reserve_vcc 0
		.amdhsa_float_round_mode_32 0
		.amdhsa_float_round_mode_16_64 0
		.amdhsa_float_denorm_mode_32 3
		.amdhsa_float_denorm_mode_16_64 3
		.amdhsa_fp16_overflow 0
		.amdhsa_memory_ordered 1
		.amdhsa_forward_progress 1
		.amdhsa_inst_pref_size 0
		.amdhsa_round_robin_scheduling 0
		.amdhsa_exception_fp_ieee_invalid_op 0
		.amdhsa_exception_fp_denorm_src 0
		.amdhsa_exception_fp_ieee_div_zero 0
		.amdhsa_exception_fp_ieee_overflow 0
		.amdhsa_exception_fp_ieee_underflow 0
		.amdhsa_exception_fp_ieee_inexact 0
		.amdhsa_exception_int_div_zero 0
	.end_amdhsa_kernel
	.section	.text._ZN7rocprim17ROCPRIM_400000_NS6detail17trampoline_kernelINS0_14default_configENS1_27scan_by_key_config_selectorIiiEEZZNS1_16scan_by_key_implILNS1_25lookback_scan_determinismE0ELb0ES3_N6thrust23THRUST_200600_302600_NS6detail15normal_iteratorINS9_10device_ptrIiEEEENS9_18transform_iteratorINS9_6negateIiEESE_NS9_11use_defaultESI_EESE_iNS9_4plusIvEENS9_8equal_toIvEEiEE10hipError_tPvRmT2_T3_T4_T5_mT6_T7_P12ihipStream_tbENKUlT_T0_E_clISt17integral_constantIbLb1EES14_EEDaSZ_S10_EUlSZ_E_NS1_11comp_targetILNS1_3genE10ELNS1_11target_archE1201ELNS1_3gpuE5ELNS1_3repE0EEENS1_30default_config_static_selectorELNS0_4arch9wavefront6targetE0EEEvT1_,"axG",@progbits,_ZN7rocprim17ROCPRIM_400000_NS6detail17trampoline_kernelINS0_14default_configENS1_27scan_by_key_config_selectorIiiEEZZNS1_16scan_by_key_implILNS1_25lookback_scan_determinismE0ELb0ES3_N6thrust23THRUST_200600_302600_NS6detail15normal_iteratorINS9_10device_ptrIiEEEENS9_18transform_iteratorINS9_6negateIiEESE_NS9_11use_defaultESI_EESE_iNS9_4plusIvEENS9_8equal_toIvEEiEE10hipError_tPvRmT2_T3_T4_T5_mT6_T7_P12ihipStream_tbENKUlT_T0_E_clISt17integral_constantIbLb1EES14_EEDaSZ_S10_EUlSZ_E_NS1_11comp_targetILNS1_3genE10ELNS1_11target_archE1201ELNS1_3gpuE5ELNS1_3repE0EEENS1_30default_config_static_selectorELNS0_4arch9wavefront6targetE0EEEvT1_,comdat
.Lfunc_end939:
	.size	_ZN7rocprim17ROCPRIM_400000_NS6detail17trampoline_kernelINS0_14default_configENS1_27scan_by_key_config_selectorIiiEEZZNS1_16scan_by_key_implILNS1_25lookback_scan_determinismE0ELb0ES3_N6thrust23THRUST_200600_302600_NS6detail15normal_iteratorINS9_10device_ptrIiEEEENS9_18transform_iteratorINS9_6negateIiEESE_NS9_11use_defaultESI_EESE_iNS9_4plusIvEENS9_8equal_toIvEEiEE10hipError_tPvRmT2_T3_T4_T5_mT6_T7_P12ihipStream_tbENKUlT_T0_E_clISt17integral_constantIbLb1EES14_EEDaSZ_S10_EUlSZ_E_NS1_11comp_targetILNS1_3genE10ELNS1_11target_archE1201ELNS1_3gpuE5ELNS1_3repE0EEENS1_30default_config_static_selectorELNS0_4arch9wavefront6targetE0EEEvT1_, .Lfunc_end939-_ZN7rocprim17ROCPRIM_400000_NS6detail17trampoline_kernelINS0_14default_configENS1_27scan_by_key_config_selectorIiiEEZZNS1_16scan_by_key_implILNS1_25lookback_scan_determinismE0ELb0ES3_N6thrust23THRUST_200600_302600_NS6detail15normal_iteratorINS9_10device_ptrIiEEEENS9_18transform_iteratorINS9_6negateIiEESE_NS9_11use_defaultESI_EESE_iNS9_4plusIvEENS9_8equal_toIvEEiEE10hipError_tPvRmT2_T3_T4_T5_mT6_T7_P12ihipStream_tbENKUlT_T0_E_clISt17integral_constantIbLb1EES14_EEDaSZ_S10_EUlSZ_E_NS1_11comp_targetILNS1_3genE10ELNS1_11target_archE1201ELNS1_3gpuE5ELNS1_3repE0EEENS1_30default_config_static_selectorELNS0_4arch9wavefront6targetE0EEEvT1_
                                        ; -- End function
	.set _ZN7rocprim17ROCPRIM_400000_NS6detail17trampoline_kernelINS0_14default_configENS1_27scan_by_key_config_selectorIiiEEZZNS1_16scan_by_key_implILNS1_25lookback_scan_determinismE0ELb0ES3_N6thrust23THRUST_200600_302600_NS6detail15normal_iteratorINS9_10device_ptrIiEEEENS9_18transform_iteratorINS9_6negateIiEESE_NS9_11use_defaultESI_EESE_iNS9_4plusIvEENS9_8equal_toIvEEiEE10hipError_tPvRmT2_T3_T4_T5_mT6_T7_P12ihipStream_tbENKUlT_T0_E_clISt17integral_constantIbLb1EES14_EEDaSZ_S10_EUlSZ_E_NS1_11comp_targetILNS1_3genE10ELNS1_11target_archE1201ELNS1_3gpuE5ELNS1_3repE0EEENS1_30default_config_static_selectorELNS0_4arch9wavefront6targetE0EEEvT1_.num_vgpr, 0
	.set _ZN7rocprim17ROCPRIM_400000_NS6detail17trampoline_kernelINS0_14default_configENS1_27scan_by_key_config_selectorIiiEEZZNS1_16scan_by_key_implILNS1_25lookback_scan_determinismE0ELb0ES3_N6thrust23THRUST_200600_302600_NS6detail15normal_iteratorINS9_10device_ptrIiEEEENS9_18transform_iteratorINS9_6negateIiEESE_NS9_11use_defaultESI_EESE_iNS9_4plusIvEENS9_8equal_toIvEEiEE10hipError_tPvRmT2_T3_T4_T5_mT6_T7_P12ihipStream_tbENKUlT_T0_E_clISt17integral_constantIbLb1EES14_EEDaSZ_S10_EUlSZ_E_NS1_11comp_targetILNS1_3genE10ELNS1_11target_archE1201ELNS1_3gpuE5ELNS1_3repE0EEENS1_30default_config_static_selectorELNS0_4arch9wavefront6targetE0EEEvT1_.num_agpr, 0
	.set _ZN7rocprim17ROCPRIM_400000_NS6detail17trampoline_kernelINS0_14default_configENS1_27scan_by_key_config_selectorIiiEEZZNS1_16scan_by_key_implILNS1_25lookback_scan_determinismE0ELb0ES3_N6thrust23THRUST_200600_302600_NS6detail15normal_iteratorINS9_10device_ptrIiEEEENS9_18transform_iteratorINS9_6negateIiEESE_NS9_11use_defaultESI_EESE_iNS9_4plusIvEENS9_8equal_toIvEEiEE10hipError_tPvRmT2_T3_T4_T5_mT6_T7_P12ihipStream_tbENKUlT_T0_E_clISt17integral_constantIbLb1EES14_EEDaSZ_S10_EUlSZ_E_NS1_11comp_targetILNS1_3genE10ELNS1_11target_archE1201ELNS1_3gpuE5ELNS1_3repE0EEENS1_30default_config_static_selectorELNS0_4arch9wavefront6targetE0EEEvT1_.numbered_sgpr, 0
	.set _ZN7rocprim17ROCPRIM_400000_NS6detail17trampoline_kernelINS0_14default_configENS1_27scan_by_key_config_selectorIiiEEZZNS1_16scan_by_key_implILNS1_25lookback_scan_determinismE0ELb0ES3_N6thrust23THRUST_200600_302600_NS6detail15normal_iteratorINS9_10device_ptrIiEEEENS9_18transform_iteratorINS9_6negateIiEESE_NS9_11use_defaultESI_EESE_iNS9_4plusIvEENS9_8equal_toIvEEiEE10hipError_tPvRmT2_T3_T4_T5_mT6_T7_P12ihipStream_tbENKUlT_T0_E_clISt17integral_constantIbLb1EES14_EEDaSZ_S10_EUlSZ_E_NS1_11comp_targetILNS1_3genE10ELNS1_11target_archE1201ELNS1_3gpuE5ELNS1_3repE0EEENS1_30default_config_static_selectorELNS0_4arch9wavefront6targetE0EEEvT1_.num_named_barrier, 0
	.set _ZN7rocprim17ROCPRIM_400000_NS6detail17trampoline_kernelINS0_14default_configENS1_27scan_by_key_config_selectorIiiEEZZNS1_16scan_by_key_implILNS1_25lookback_scan_determinismE0ELb0ES3_N6thrust23THRUST_200600_302600_NS6detail15normal_iteratorINS9_10device_ptrIiEEEENS9_18transform_iteratorINS9_6negateIiEESE_NS9_11use_defaultESI_EESE_iNS9_4plusIvEENS9_8equal_toIvEEiEE10hipError_tPvRmT2_T3_T4_T5_mT6_T7_P12ihipStream_tbENKUlT_T0_E_clISt17integral_constantIbLb1EES14_EEDaSZ_S10_EUlSZ_E_NS1_11comp_targetILNS1_3genE10ELNS1_11target_archE1201ELNS1_3gpuE5ELNS1_3repE0EEENS1_30default_config_static_selectorELNS0_4arch9wavefront6targetE0EEEvT1_.private_seg_size, 0
	.set _ZN7rocprim17ROCPRIM_400000_NS6detail17trampoline_kernelINS0_14default_configENS1_27scan_by_key_config_selectorIiiEEZZNS1_16scan_by_key_implILNS1_25lookback_scan_determinismE0ELb0ES3_N6thrust23THRUST_200600_302600_NS6detail15normal_iteratorINS9_10device_ptrIiEEEENS9_18transform_iteratorINS9_6negateIiEESE_NS9_11use_defaultESI_EESE_iNS9_4plusIvEENS9_8equal_toIvEEiEE10hipError_tPvRmT2_T3_T4_T5_mT6_T7_P12ihipStream_tbENKUlT_T0_E_clISt17integral_constantIbLb1EES14_EEDaSZ_S10_EUlSZ_E_NS1_11comp_targetILNS1_3genE10ELNS1_11target_archE1201ELNS1_3gpuE5ELNS1_3repE0EEENS1_30default_config_static_selectorELNS0_4arch9wavefront6targetE0EEEvT1_.uses_vcc, 0
	.set _ZN7rocprim17ROCPRIM_400000_NS6detail17trampoline_kernelINS0_14default_configENS1_27scan_by_key_config_selectorIiiEEZZNS1_16scan_by_key_implILNS1_25lookback_scan_determinismE0ELb0ES3_N6thrust23THRUST_200600_302600_NS6detail15normal_iteratorINS9_10device_ptrIiEEEENS9_18transform_iteratorINS9_6negateIiEESE_NS9_11use_defaultESI_EESE_iNS9_4plusIvEENS9_8equal_toIvEEiEE10hipError_tPvRmT2_T3_T4_T5_mT6_T7_P12ihipStream_tbENKUlT_T0_E_clISt17integral_constantIbLb1EES14_EEDaSZ_S10_EUlSZ_E_NS1_11comp_targetILNS1_3genE10ELNS1_11target_archE1201ELNS1_3gpuE5ELNS1_3repE0EEENS1_30default_config_static_selectorELNS0_4arch9wavefront6targetE0EEEvT1_.uses_flat_scratch, 0
	.set _ZN7rocprim17ROCPRIM_400000_NS6detail17trampoline_kernelINS0_14default_configENS1_27scan_by_key_config_selectorIiiEEZZNS1_16scan_by_key_implILNS1_25lookback_scan_determinismE0ELb0ES3_N6thrust23THRUST_200600_302600_NS6detail15normal_iteratorINS9_10device_ptrIiEEEENS9_18transform_iteratorINS9_6negateIiEESE_NS9_11use_defaultESI_EESE_iNS9_4plusIvEENS9_8equal_toIvEEiEE10hipError_tPvRmT2_T3_T4_T5_mT6_T7_P12ihipStream_tbENKUlT_T0_E_clISt17integral_constantIbLb1EES14_EEDaSZ_S10_EUlSZ_E_NS1_11comp_targetILNS1_3genE10ELNS1_11target_archE1201ELNS1_3gpuE5ELNS1_3repE0EEENS1_30default_config_static_selectorELNS0_4arch9wavefront6targetE0EEEvT1_.has_dyn_sized_stack, 0
	.set _ZN7rocprim17ROCPRIM_400000_NS6detail17trampoline_kernelINS0_14default_configENS1_27scan_by_key_config_selectorIiiEEZZNS1_16scan_by_key_implILNS1_25lookback_scan_determinismE0ELb0ES3_N6thrust23THRUST_200600_302600_NS6detail15normal_iteratorINS9_10device_ptrIiEEEENS9_18transform_iteratorINS9_6negateIiEESE_NS9_11use_defaultESI_EESE_iNS9_4plusIvEENS9_8equal_toIvEEiEE10hipError_tPvRmT2_T3_T4_T5_mT6_T7_P12ihipStream_tbENKUlT_T0_E_clISt17integral_constantIbLb1EES14_EEDaSZ_S10_EUlSZ_E_NS1_11comp_targetILNS1_3genE10ELNS1_11target_archE1201ELNS1_3gpuE5ELNS1_3repE0EEENS1_30default_config_static_selectorELNS0_4arch9wavefront6targetE0EEEvT1_.has_recursion, 0
	.set _ZN7rocprim17ROCPRIM_400000_NS6detail17trampoline_kernelINS0_14default_configENS1_27scan_by_key_config_selectorIiiEEZZNS1_16scan_by_key_implILNS1_25lookback_scan_determinismE0ELb0ES3_N6thrust23THRUST_200600_302600_NS6detail15normal_iteratorINS9_10device_ptrIiEEEENS9_18transform_iteratorINS9_6negateIiEESE_NS9_11use_defaultESI_EESE_iNS9_4plusIvEENS9_8equal_toIvEEiEE10hipError_tPvRmT2_T3_T4_T5_mT6_T7_P12ihipStream_tbENKUlT_T0_E_clISt17integral_constantIbLb1EES14_EEDaSZ_S10_EUlSZ_E_NS1_11comp_targetILNS1_3genE10ELNS1_11target_archE1201ELNS1_3gpuE5ELNS1_3repE0EEENS1_30default_config_static_selectorELNS0_4arch9wavefront6targetE0EEEvT1_.has_indirect_call, 0
	.section	.AMDGPU.csdata,"",@progbits
; Kernel info:
; codeLenInByte = 0
; TotalNumSgprs: 0
; NumVgprs: 0
; ScratchSize: 0
; MemoryBound: 0
; FloatMode: 240
; IeeeMode: 1
; LDSByteSize: 0 bytes/workgroup (compile time only)
; SGPRBlocks: 0
; VGPRBlocks: 0
; NumSGPRsForWavesPerEU: 1
; NumVGPRsForWavesPerEU: 1
; NamedBarCnt: 0
; Occupancy: 16
; WaveLimiterHint : 0
; COMPUTE_PGM_RSRC2:SCRATCH_EN: 0
; COMPUTE_PGM_RSRC2:USER_SGPR: 2
; COMPUTE_PGM_RSRC2:TRAP_HANDLER: 0
; COMPUTE_PGM_RSRC2:TGID_X_EN: 1
; COMPUTE_PGM_RSRC2:TGID_Y_EN: 0
; COMPUTE_PGM_RSRC2:TGID_Z_EN: 0
; COMPUTE_PGM_RSRC2:TIDIG_COMP_CNT: 0
	.section	.text._ZN7rocprim17ROCPRIM_400000_NS6detail17trampoline_kernelINS0_14default_configENS1_27scan_by_key_config_selectorIiiEEZZNS1_16scan_by_key_implILNS1_25lookback_scan_determinismE0ELb0ES3_N6thrust23THRUST_200600_302600_NS6detail15normal_iteratorINS9_10device_ptrIiEEEENS9_18transform_iteratorINS9_6negateIiEESE_NS9_11use_defaultESI_EESE_iNS9_4plusIvEENS9_8equal_toIvEEiEE10hipError_tPvRmT2_T3_T4_T5_mT6_T7_P12ihipStream_tbENKUlT_T0_E_clISt17integral_constantIbLb1EES14_EEDaSZ_S10_EUlSZ_E_NS1_11comp_targetILNS1_3genE5ELNS1_11target_archE942ELNS1_3gpuE9ELNS1_3repE0EEENS1_30default_config_static_selectorELNS0_4arch9wavefront6targetE0EEEvT1_,"axG",@progbits,_ZN7rocprim17ROCPRIM_400000_NS6detail17trampoline_kernelINS0_14default_configENS1_27scan_by_key_config_selectorIiiEEZZNS1_16scan_by_key_implILNS1_25lookback_scan_determinismE0ELb0ES3_N6thrust23THRUST_200600_302600_NS6detail15normal_iteratorINS9_10device_ptrIiEEEENS9_18transform_iteratorINS9_6negateIiEESE_NS9_11use_defaultESI_EESE_iNS9_4plusIvEENS9_8equal_toIvEEiEE10hipError_tPvRmT2_T3_T4_T5_mT6_T7_P12ihipStream_tbENKUlT_T0_E_clISt17integral_constantIbLb1EES14_EEDaSZ_S10_EUlSZ_E_NS1_11comp_targetILNS1_3genE5ELNS1_11target_archE942ELNS1_3gpuE9ELNS1_3repE0EEENS1_30default_config_static_selectorELNS0_4arch9wavefront6targetE0EEEvT1_,comdat
	.protected	_ZN7rocprim17ROCPRIM_400000_NS6detail17trampoline_kernelINS0_14default_configENS1_27scan_by_key_config_selectorIiiEEZZNS1_16scan_by_key_implILNS1_25lookback_scan_determinismE0ELb0ES3_N6thrust23THRUST_200600_302600_NS6detail15normal_iteratorINS9_10device_ptrIiEEEENS9_18transform_iteratorINS9_6negateIiEESE_NS9_11use_defaultESI_EESE_iNS9_4plusIvEENS9_8equal_toIvEEiEE10hipError_tPvRmT2_T3_T4_T5_mT6_T7_P12ihipStream_tbENKUlT_T0_E_clISt17integral_constantIbLb1EES14_EEDaSZ_S10_EUlSZ_E_NS1_11comp_targetILNS1_3genE5ELNS1_11target_archE942ELNS1_3gpuE9ELNS1_3repE0EEENS1_30default_config_static_selectorELNS0_4arch9wavefront6targetE0EEEvT1_ ; -- Begin function _ZN7rocprim17ROCPRIM_400000_NS6detail17trampoline_kernelINS0_14default_configENS1_27scan_by_key_config_selectorIiiEEZZNS1_16scan_by_key_implILNS1_25lookback_scan_determinismE0ELb0ES3_N6thrust23THRUST_200600_302600_NS6detail15normal_iteratorINS9_10device_ptrIiEEEENS9_18transform_iteratorINS9_6negateIiEESE_NS9_11use_defaultESI_EESE_iNS9_4plusIvEENS9_8equal_toIvEEiEE10hipError_tPvRmT2_T3_T4_T5_mT6_T7_P12ihipStream_tbENKUlT_T0_E_clISt17integral_constantIbLb1EES14_EEDaSZ_S10_EUlSZ_E_NS1_11comp_targetILNS1_3genE5ELNS1_11target_archE942ELNS1_3gpuE9ELNS1_3repE0EEENS1_30default_config_static_selectorELNS0_4arch9wavefront6targetE0EEEvT1_
	.globl	_ZN7rocprim17ROCPRIM_400000_NS6detail17trampoline_kernelINS0_14default_configENS1_27scan_by_key_config_selectorIiiEEZZNS1_16scan_by_key_implILNS1_25lookback_scan_determinismE0ELb0ES3_N6thrust23THRUST_200600_302600_NS6detail15normal_iteratorINS9_10device_ptrIiEEEENS9_18transform_iteratorINS9_6negateIiEESE_NS9_11use_defaultESI_EESE_iNS9_4plusIvEENS9_8equal_toIvEEiEE10hipError_tPvRmT2_T3_T4_T5_mT6_T7_P12ihipStream_tbENKUlT_T0_E_clISt17integral_constantIbLb1EES14_EEDaSZ_S10_EUlSZ_E_NS1_11comp_targetILNS1_3genE5ELNS1_11target_archE942ELNS1_3gpuE9ELNS1_3repE0EEENS1_30default_config_static_selectorELNS0_4arch9wavefront6targetE0EEEvT1_
	.p2align	8
	.type	_ZN7rocprim17ROCPRIM_400000_NS6detail17trampoline_kernelINS0_14default_configENS1_27scan_by_key_config_selectorIiiEEZZNS1_16scan_by_key_implILNS1_25lookback_scan_determinismE0ELb0ES3_N6thrust23THRUST_200600_302600_NS6detail15normal_iteratorINS9_10device_ptrIiEEEENS9_18transform_iteratorINS9_6negateIiEESE_NS9_11use_defaultESI_EESE_iNS9_4plusIvEENS9_8equal_toIvEEiEE10hipError_tPvRmT2_T3_T4_T5_mT6_T7_P12ihipStream_tbENKUlT_T0_E_clISt17integral_constantIbLb1EES14_EEDaSZ_S10_EUlSZ_E_NS1_11comp_targetILNS1_3genE5ELNS1_11target_archE942ELNS1_3gpuE9ELNS1_3repE0EEENS1_30default_config_static_selectorELNS0_4arch9wavefront6targetE0EEEvT1_,@function
_ZN7rocprim17ROCPRIM_400000_NS6detail17trampoline_kernelINS0_14default_configENS1_27scan_by_key_config_selectorIiiEEZZNS1_16scan_by_key_implILNS1_25lookback_scan_determinismE0ELb0ES3_N6thrust23THRUST_200600_302600_NS6detail15normal_iteratorINS9_10device_ptrIiEEEENS9_18transform_iteratorINS9_6negateIiEESE_NS9_11use_defaultESI_EESE_iNS9_4plusIvEENS9_8equal_toIvEEiEE10hipError_tPvRmT2_T3_T4_T5_mT6_T7_P12ihipStream_tbENKUlT_T0_E_clISt17integral_constantIbLb1EES14_EEDaSZ_S10_EUlSZ_E_NS1_11comp_targetILNS1_3genE5ELNS1_11target_archE942ELNS1_3gpuE9ELNS1_3repE0EEENS1_30default_config_static_selectorELNS0_4arch9wavefront6targetE0EEEvT1_: ; @_ZN7rocprim17ROCPRIM_400000_NS6detail17trampoline_kernelINS0_14default_configENS1_27scan_by_key_config_selectorIiiEEZZNS1_16scan_by_key_implILNS1_25lookback_scan_determinismE0ELb0ES3_N6thrust23THRUST_200600_302600_NS6detail15normal_iteratorINS9_10device_ptrIiEEEENS9_18transform_iteratorINS9_6negateIiEESE_NS9_11use_defaultESI_EESE_iNS9_4plusIvEENS9_8equal_toIvEEiEE10hipError_tPvRmT2_T3_T4_T5_mT6_T7_P12ihipStream_tbENKUlT_T0_E_clISt17integral_constantIbLb1EES14_EEDaSZ_S10_EUlSZ_E_NS1_11comp_targetILNS1_3genE5ELNS1_11target_archE942ELNS1_3gpuE9ELNS1_3repE0EEENS1_30default_config_static_selectorELNS0_4arch9wavefront6targetE0EEEvT1_
; %bb.0:
	.section	.rodata,"a",@progbits
	.p2align	6, 0x0
	.amdhsa_kernel _ZN7rocprim17ROCPRIM_400000_NS6detail17trampoline_kernelINS0_14default_configENS1_27scan_by_key_config_selectorIiiEEZZNS1_16scan_by_key_implILNS1_25lookback_scan_determinismE0ELb0ES3_N6thrust23THRUST_200600_302600_NS6detail15normal_iteratorINS9_10device_ptrIiEEEENS9_18transform_iteratorINS9_6negateIiEESE_NS9_11use_defaultESI_EESE_iNS9_4plusIvEENS9_8equal_toIvEEiEE10hipError_tPvRmT2_T3_T4_T5_mT6_T7_P12ihipStream_tbENKUlT_T0_E_clISt17integral_constantIbLb1EES14_EEDaSZ_S10_EUlSZ_E_NS1_11comp_targetILNS1_3genE5ELNS1_11target_archE942ELNS1_3gpuE9ELNS1_3repE0EEENS1_30default_config_static_selectorELNS0_4arch9wavefront6targetE0EEEvT1_
		.amdhsa_group_segment_fixed_size 0
		.amdhsa_private_segment_fixed_size 0
		.amdhsa_kernarg_size 120
		.amdhsa_user_sgpr_count 2
		.amdhsa_user_sgpr_dispatch_ptr 0
		.amdhsa_user_sgpr_queue_ptr 0
		.amdhsa_user_sgpr_kernarg_segment_ptr 1
		.amdhsa_user_sgpr_dispatch_id 0
		.amdhsa_user_sgpr_kernarg_preload_length 0
		.amdhsa_user_sgpr_kernarg_preload_offset 0
		.amdhsa_user_sgpr_private_segment_size 0
		.amdhsa_wavefront_size32 1
		.amdhsa_uses_dynamic_stack 0
		.amdhsa_enable_private_segment 0
		.amdhsa_system_sgpr_workgroup_id_x 1
		.amdhsa_system_sgpr_workgroup_id_y 0
		.amdhsa_system_sgpr_workgroup_id_z 0
		.amdhsa_system_sgpr_workgroup_info 0
		.amdhsa_system_vgpr_workitem_id 0
		.amdhsa_next_free_vgpr 1
		.amdhsa_next_free_sgpr 1
		.amdhsa_named_barrier_count 0
		.amdhsa_reserve_vcc 0
		.amdhsa_float_round_mode_32 0
		.amdhsa_float_round_mode_16_64 0
		.amdhsa_float_denorm_mode_32 3
		.amdhsa_float_denorm_mode_16_64 3
		.amdhsa_fp16_overflow 0
		.amdhsa_memory_ordered 1
		.amdhsa_forward_progress 1
		.amdhsa_inst_pref_size 0
		.amdhsa_round_robin_scheduling 0
		.amdhsa_exception_fp_ieee_invalid_op 0
		.amdhsa_exception_fp_denorm_src 0
		.amdhsa_exception_fp_ieee_div_zero 0
		.amdhsa_exception_fp_ieee_overflow 0
		.amdhsa_exception_fp_ieee_underflow 0
		.amdhsa_exception_fp_ieee_inexact 0
		.amdhsa_exception_int_div_zero 0
	.end_amdhsa_kernel
	.section	.text._ZN7rocprim17ROCPRIM_400000_NS6detail17trampoline_kernelINS0_14default_configENS1_27scan_by_key_config_selectorIiiEEZZNS1_16scan_by_key_implILNS1_25lookback_scan_determinismE0ELb0ES3_N6thrust23THRUST_200600_302600_NS6detail15normal_iteratorINS9_10device_ptrIiEEEENS9_18transform_iteratorINS9_6negateIiEESE_NS9_11use_defaultESI_EESE_iNS9_4plusIvEENS9_8equal_toIvEEiEE10hipError_tPvRmT2_T3_T4_T5_mT6_T7_P12ihipStream_tbENKUlT_T0_E_clISt17integral_constantIbLb1EES14_EEDaSZ_S10_EUlSZ_E_NS1_11comp_targetILNS1_3genE5ELNS1_11target_archE942ELNS1_3gpuE9ELNS1_3repE0EEENS1_30default_config_static_selectorELNS0_4arch9wavefront6targetE0EEEvT1_,"axG",@progbits,_ZN7rocprim17ROCPRIM_400000_NS6detail17trampoline_kernelINS0_14default_configENS1_27scan_by_key_config_selectorIiiEEZZNS1_16scan_by_key_implILNS1_25lookback_scan_determinismE0ELb0ES3_N6thrust23THRUST_200600_302600_NS6detail15normal_iteratorINS9_10device_ptrIiEEEENS9_18transform_iteratorINS9_6negateIiEESE_NS9_11use_defaultESI_EESE_iNS9_4plusIvEENS9_8equal_toIvEEiEE10hipError_tPvRmT2_T3_T4_T5_mT6_T7_P12ihipStream_tbENKUlT_T0_E_clISt17integral_constantIbLb1EES14_EEDaSZ_S10_EUlSZ_E_NS1_11comp_targetILNS1_3genE5ELNS1_11target_archE942ELNS1_3gpuE9ELNS1_3repE0EEENS1_30default_config_static_selectorELNS0_4arch9wavefront6targetE0EEEvT1_,comdat
.Lfunc_end940:
	.size	_ZN7rocprim17ROCPRIM_400000_NS6detail17trampoline_kernelINS0_14default_configENS1_27scan_by_key_config_selectorIiiEEZZNS1_16scan_by_key_implILNS1_25lookback_scan_determinismE0ELb0ES3_N6thrust23THRUST_200600_302600_NS6detail15normal_iteratorINS9_10device_ptrIiEEEENS9_18transform_iteratorINS9_6negateIiEESE_NS9_11use_defaultESI_EESE_iNS9_4plusIvEENS9_8equal_toIvEEiEE10hipError_tPvRmT2_T3_T4_T5_mT6_T7_P12ihipStream_tbENKUlT_T0_E_clISt17integral_constantIbLb1EES14_EEDaSZ_S10_EUlSZ_E_NS1_11comp_targetILNS1_3genE5ELNS1_11target_archE942ELNS1_3gpuE9ELNS1_3repE0EEENS1_30default_config_static_selectorELNS0_4arch9wavefront6targetE0EEEvT1_, .Lfunc_end940-_ZN7rocprim17ROCPRIM_400000_NS6detail17trampoline_kernelINS0_14default_configENS1_27scan_by_key_config_selectorIiiEEZZNS1_16scan_by_key_implILNS1_25lookback_scan_determinismE0ELb0ES3_N6thrust23THRUST_200600_302600_NS6detail15normal_iteratorINS9_10device_ptrIiEEEENS9_18transform_iteratorINS9_6negateIiEESE_NS9_11use_defaultESI_EESE_iNS9_4plusIvEENS9_8equal_toIvEEiEE10hipError_tPvRmT2_T3_T4_T5_mT6_T7_P12ihipStream_tbENKUlT_T0_E_clISt17integral_constantIbLb1EES14_EEDaSZ_S10_EUlSZ_E_NS1_11comp_targetILNS1_3genE5ELNS1_11target_archE942ELNS1_3gpuE9ELNS1_3repE0EEENS1_30default_config_static_selectorELNS0_4arch9wavefront6targetE0EEEvT1_
                                        ; -- End function
	.set _ZN7rocprim17ROCPRIM_400000_NS6detail17trampoline_kernelINS0_14default_configENS1_27scan_by_key_config_selectorIiiEEZZNS1_16scan_by_key_implILNS1_25lookback_scan_determinismE0ELb0ES3_N6thrust23THRUST_200600_302600_NS6detail15normal_iteratorINS9_10device_ptrIiEEEENS9_18transform_iteratorINS9_6negateIiEESE_NS9_11use_defaultESI_EESE_iNS9_4plusIvEENS9_8equal_toIvEEiEE10hipError_tPvRmT2_T3_T4_T5_mT6_T7_P12ihipStream_tbENKUlT_T0_E_clISt17integral_constantIbLb1EES14_EEDaSZ_S10_EUlSZ_E_NS1_11comp_targetILNS1_3genE5ELNS1_11target_archE942ELNS1_3gpuE9ELNS1_3repE0EEENS1_30default_config_static_selectorELNS0_4arch9wavefront6targetE0EEEvT1_.num_vgpr, 0
	.set _ZN7rocprim17ROCPRIM_400000_NS6detail17trampoline_kernelINS0_14default_configENS1_27scan_by_key_config_selectorIiiEEZZNS1_16scan_by_key_implILNS1_25lookback_scan_determinismE0ELb0ES3_N6thrust23THRUST_200600_302600_NS6detail15normal_iteratorINS9_10device_ptrIiEEEENS9_18transform_iteratorINS9_6negateIiEESE_NS9_11use_defaultESI_EESE_iNS9_4plusIvEENS9_8equal_toIvEEiEE10hipError_tPvRmT2_T3_T4_T5_mT6_T7_P12ihipStream_tbENKUlT_T0_E_clISt17integral_constantIbLb1EES14_EEDaSZ_S10_EUlSZ_E_NS1_11comp_targetILNS1_3genE5ELNS1_11target_archE942ELNS1_3gpuE9ELNS1_3repE0EEENS1_30default_config_static_selectorELNS0_4arch9wavefront6targetE0EEEvT1_.num_agpr, 0
	.set _ZN7rocprim17ROCPRIM_400000_NS6detail17trampoline_kernelINS0_14default_configENS1_27scan_by_key_config_selectorIiiEEZZNS1_16scan_by_key_implILNS1_25lookback_scan_determinismE0ELb0ES3_N6thrust23THRUST_200600_302600_NS6detail15normal_iteratorINS9_10device_ptrIiEEEENS9_18transform_iteratorINS9_6negateIiEESE_NS9_11use_defaultESI_EESE_iNS9_4plusIvEENS9_8equal_toIvEEiEE10hipError_tPvRmT2_T3_T4_T5_mT6_T7_P12ihipStream_tbENKUlT_T0_E_clISt17integral_constantIbLb1EES14_EEDaSZ_S10_EUlSZ_E_NS1_11comp_targetILNS1_3genE5ELNS1_11target_archE942ELNS1_3gpuE9ELNS1_3repE0EEENS1_30default_config_static_selectorELNS0_4arch9wavefront6targetE0EEEvT1_.numbered_sgpr, 0
	.set _ZN7rocprim17ROCPRIM_400000_NS6detail17trampoline_kernelINS0_14default_configENS1_27scan_by_key_config_selectorIiiEEZZNS1_16scan_by_key_implILNS1_25lookback_scan_determinismE0ELb0ES3_N6thrust23THRUST_200600_302600_NS6detail15normal_iteratorINS9_10device_ptrIiEEEENS9_18transform_iteratorINS9_6negateIiEESE_NS9_11use_defaultESI_EESE_iNS9_4plusIvEENS9_8equal_toIvEEiEE10hipError_tPvRmT2_T3_T4_T5_mT6_T7_P12ihipStream_tbENKUlT_T0_E_clISt17integral_constantIbLb1EES14_EEDaSZ_S10_EUlSZ_E_NS1_11comp_targetILNS1_3genE5ELNS1_11target_archE942ELNS1_3gpuE9ELNS1_3repE0EEENS1_30default_config_static_selectorELNS0_4arch9wavefront6targetE0EEEvT1_.num_named_barrier, 0
	.set _ZN7rocprim17ROCPRIM_400000_NS6detail17trampoline_kernelINS0_14default_configENS1_27scan_by_key_config_selectorIiiEEZZNS1_16scan_by_key_implILNS1_25lookback_scan_determinismE0ELb0ES3_N6thrust23THRUST_200600_302600_NS6detail15normal_iteratorINS9_10device_ptrIiEEEENS9_18transform_iteratorINS9_6negateIiEESE_NS9_11use_defaultESI_EESE_iNS9_4plusIvEENS9_8equal_toIvEEiEE10hipError_tPvRmT2_T3_T4_T5_mT6_T7_P12ihipStream_tbENKUlT_T0_E_clISt17integral_constantIbLb1EES14_EEDaSZ_S10_EUlSZ_E_NS1_11comp_targetILNS1_3genE5ELNS1_11target_archE942ELNS1_3gpuE9ELNS1_3repE0EEENS1_30default_config_static_selectorELNS0_4arch9wavefront6targetE0EEEvT1_.private_seg_size, 0
	.set _ZN7rocprim17ROCPRIM_400000_NS6detail17trampoline_kernelINS0_14default_configENS1_27scan_by_key_config_selectorIiiEEZZNS1_16scan_by_key_implILNS1_25lookback_scan_determinismE0ELb0ES3_N6thrust23THRUST_200600_302600_NS6detail15normal_iteratorINS9_10device_ptrIiEEEENS9_18transform_iteratorINS9_6negateIiEESE_NS9_11use_defaultESI_EESE_iNS9_4plusIvEENS9_8equal_toIvEEiEE10hipError_tPvRmT2_T3_T4_T5_mT6_T7_P12ihipStream_tbENKUlT_T0_E_clISt17integral_constantIbLb1EES14_EEDaSZ_S10_EUlSZ_E_NS1_11comp_targetILNS1_3genE5ELNS1_11target_archE942ELNS1_3gpuE9ELNS1_3repE0EEENS1_30default_config_static_selectorELNS0_4arch9wavefront6targetE0EEEvT1_.uses_vcc, 0
	.set _ZN7rocprim17ROCPRIM_400000_NS6detail17trampoline_kernelINS0_14default_configENS1_27scan_by_key_config_selectorIiiEEZZNS1_16scan_by_key_implILNS1_25lookback_scan_determinismE0ELb0ES3_N6thrust23THRUST_200600_302600_NS6detail15normal_iteratorINS9_10device_ptrIiEEEENS9_18transform_iteratorINS9_6negateIiEESE_NS9_11use_defaultESI_EESE_iNS9_4plusIvEENS9_8equal_toIvEEiEE10hipError_tPvRmT2_T3_T4_T5_mT6_T7_P12ihipStream_tbENKUlT_T0_E_clISt17integral_constantIbLb1EES14_EEDaSZ_S10_EUlSZ_E_NS1_11comp_targetILNS1_3genE5ELNS1_11target_archE942ELNS1_3gpuE9ELNS1_3repE0EEENS1_30default_config_static_selectorELNS0_4arch9wavefront6targetE0EEEvT1_.uses_flat_scratch, 0
	.set _ZN7rocprim17ROCPRIM_400000_NS6detail17trampoline_kernelINS0_14default_configENS1_27scan_by_key_config_selectorIiiEEZZNS1_16scan_by_key_implILNS1_25lookback_scan_determinismE0ELb0ES3_N6thrust23THRUST_200600_302600_NS6detail15normal_iteratorINS9_10device_ptrIiEEEENS9_18transform_iteratorINS9_6negateIiEESE_NS9_11use_defaultESI_EESE_iNS9_4plusIvEENS9_8equal_toIvEEiEE10hipError_tPvRmT2_T3_T4_T5_mT6_T7_P12ihipStream_tbENKUlT_T0_E_clISt17integral_constantIbLb1EES14_EEDaSZ_S10_EUlSZ_E_NS1_11comp_targetILNS1_3genE5ELNS1_11target_archE942ELNS1_3gpuE9ELNS1_3repE0EEENS1_30default_config_static_selectorELNS0_4arch9wavefront6targetE0EEEvT1_.has_dyn_sized_stack, 0
	.set _ZN7rocprim17ROCPRIM_400000_NS6detail17trampoline_kernelINS0_14default_configENS1_27scan_by_key_config_selectorIiiEEZZNS1_16scan_by_key_implILNS1_25lookback_scan_determinismE0ELb0ES3_N6thrust23THRUST_200600_302600_NS6detail15normal_iteratorINS9_10device_ptrIiEEEENS9_18transform_iteratorINS9_6negateIiEESE_NS9_11use_defaultESI_EESE_iNS9_4plusIvEENS9_8equal_toIvEEiEE10hipError_tPvRmT2_T3_T4_T5_mT6_T7_P12ihipStream_tbENKUlT_T0_E_clISt17integral_constantIbLb1EES14_EEDaSZ_S10_EUlSZ_E_NS1_11comp_targetILNS1_3genE5ELNS1_11target_archE942ELNS1_3gpuE9ELNS1_3repE0EEENS1_30default_config_static_selectorELNS0_4arch9wavefront6targetE0EEEvT1_.has_recursion, 0
	.set _ZN7rocprim17ROCPRIM_400000_NS6detail17trampoline_kernelINS0_14default_configENS1_27scan_by_key_config_selectorIiiEEZZNS1_16scan_by_key_implILNS1_25lookback_scan_determinismE0ELb0ES3_N6thrust23THRUST_200600_302600_NS6detail15normal_iteratorINS9_10device_ptrIiEEEENS9_18transform_iteratorINS9_6negateIiEESE_NS9_11use_defaultESI_EESE_iNS9_4plusIvEENS9_8equal_toIvEEiEE10hipError_tPvRmT2_T3_T4_T5_mT6_T7_P12ihipStream_tbENKUlT_T0_E_clISt17integral_constantIbLb1EES14_EEDaSZ_S10_EUlSZ_E_NS1_11comp_targetILNS1_3genE5ELNS1_11target_archE942ELNS1_3gpuE9ELNS1_3repE0EEENS1_30default_config_static_selectorELNS0_4arch9wavefront6targetE0EEEvT1_.has_indirect_call, 0
	.section	.AMDGPU.csdata,"",@progbits
; Kernel info:
; codeLenInByte = 0
; TotalNumSgprs: 0
; NumVgprs: 0
; ScratchSize: 0
; MemoryBound: 0
; FloatMode: 240
; IeeeMode: 1
; LDSByteSize: 0 bytes/workgroup (compile time only)
; SGPRBlocks: 0
; VGPRBlocks: 0
; NumSGPRsForWavesPerEU: 1
; NumVGPRsForWavesPerEU: 1
; NamedBarCnt: 0
; Occupancy: 16
; WaveLimiterHint : 0
; COMPUTE_PGM_RSRC2:SCRATCH_EN: 0
; COMPUTE_PGM_RSRC2:USER_SGPR: 2
; COMPUTE_PGM_RSRC2:TRAP_HANDLER: 0
; COMPUTE_PGM_RSRC2:TGID_X_EN: 1
; COMPUTE_PGM_RSRC2:TGID_Y_EN: 0
; COMPUTE_PGM_RSRC2:TGID_Z_EN: 0
; COMPUTE_PGM_RSRC2:TIDIG_COMP_CNT: 0
	.section	.text._ZN7rocprim17ROCPRIM_400000_NS6detail17trampoline_kernelINS0_14default_configENS1_27scan_by_key_config_selectorIiiEEZZNS1_16scan_by_key_implILNS1_25lookback_scan_determinismE0ELb0ES3_N6thrust23THRUST_200600_302600_NS6detail15normal_iteratorINS9_10device_ptrIiEEEENS9_18transform_iteratorINS9_6negateIiEESE_NS9_11use_defaultESI_EESE_iNS9_4plusIvEENS9_8equal_toIvEEiEE10hipError_tPvRmT2_T3_T4_T5_mT6_T7_P12ihipStream_tbENKUlT_T0_E_clISt17integral_constantIbLb1EES14_EEDaSZ_S10_EUlSZ_E_NS1_11comp_targetILNS1_3genE4ELNS1_11target_archE910ELNS1_3gpuE8ELNS1_3repE0EEENS1_30default_config_static_selectorELNS0_4arch9wavefront6targetE0EEEvT1_,"axG",@progbits,_ZN7rocprim17ROCPRIM_400000_NS6detail17trampoline_kernelINS0_14default_configENS1_27scan_by_key_config_selectorIiiEEZZNS1_16scan_by_key_implILNS1_25lookback_scan_determinismE0ELb0ES3_N6thrust23THRUST_200600_302600_NS6detail15normal_iteratorINS9_10device_ptrIiEEEENS9_18transform_iteratorINS9_6negateIiEESE_NS9_11use_defaultESI_EESE_iNS9_4plusIvEENS9_8equal_toIvEEiEE10hipError_tPvRmT2_T3_T4_T5_mT6_T7_P12ihipStream_tbENKUlT_T0_E_clISt17integral_constantIbLb1EES14_EEDaSZ_S10_EUlSZ_E_NS1_11comp_targetILNS1_3genE4ELNS1_11target_archE910ELNS1_3gpuE8ELNS1_3repE0EEENS1_30default_config_static_selectorELNS0_4arch9wavefront6targetE0EEEvT1_,comdat
	.protected	_ZN7rocprim17ROCPRIM_400000_NS6detail17trampoline_kernelINS0_14default_configENS1_27scan_by_key_config_selectorIiiEEZZNS1_16scan_by_key_implILNS1_25lookback_scan_determinismE0ELb0ES3_N6thrust23THRUST_200600_302600_NS6detail15normal_iteratorINS9_10device_ptrIiEEEENS9_18transform_iteratorINS9_6negateIiEESE_NS9_11use_defaultESI_EESE_iNS9_4plusIvEENS9_8equal_toIvEEiEE10hipError_tPvRmT2_T3_T4_T5_mT6_T7_P12ihipStream_tbENKUlT_T0_E_clISt17integral_constantIbLb1EES14_EEDaSZ_S10_EUlSZ_E_NS1_11comp_targetILNS1_3genE4ELNS1_11target_archE910ELNS1_3gpuE8ELNS1_3repE0EEENS1_30default_config_static_selectorELNS0_4arch9wavefront6targetE0EEEvT1_ ; -- Begin function _ZN7rocprim17ROCPRIM_400000_NS6detail17trampoline_kernelINS0_14default_configENS1_27scan_by_key_config_selectorIiiEEZZNS1_16scan_by_key_implILNS1_25lookback_scan_determinismE0ELb0ES3_N6thrust23THRUST_200600_302600_NS6detail15normal_iteratorINS9_10device_ptrIiEEEENS9_18transform_iteratorINS9_6negateIiEESE_NS9_11use_defaultESI_EESE_iNS9_4plusIvEENS9_8equal_toIvEEiEE10hipError_tPvRmT2_T3_T4_T5_mT6_T7_P12ihipStream_tbENKUlT_T0_E_clISt17integral_constantIbLb1EES14_EEDaSZ_S10_EUlSZ_E_NS1_11comp_targetILNS1_3genE4ELNS1_11target_archE910ELNS1_3gpuE8ELNS1_3repE0EEENS1_30default_config_static_selectorELNS0_4arch9wavefront6targetE0EEEvT1_
	.globl	_ZN7rocprim17ROCPRIM_400000_NS6detail17trampoline_kernelINS0_14default_configENS1_27scan_by_key_config_selectorIiiEEZZNS1_16scan_by_key_implILNS1_25lookback_scan_determinismE0ELb0ES3_N6thrust23THRUST_200600_302600_NS6detail15normal_iteratorINS9_10device_ptrIiEEEENS9_18transform_iteratorINS9_6negateIiEESE_NS9_11use_defaultESI_EESE_iNS9_4plusIvEENS9_8equal_toIvEEiEE10hipError_tPvRmT2_T3_T4_T5_mT6_T7_P12ihipStream_tbENKUlT_T0_E_clISt17integral_constantIbLb1EES14_EEDaSZ_S10_EUlSZ_E_NS1_11comp_targetILNS1_3genE4ELNS1_11target_archE910ELNS1_3gpuE8ELNS1_3repE0EEENS1_30default_config_static_selectorELNS0_4arch9wavefront6targetE0EEEvT1_
	.p2align	8
	.type	_ZN7rocprim17ROCPRIM_400000_NS6detail17trampoline_kernelINS0_14default_configENS1_27scan_by_key_config_selectorIiiEEZZNS1_16scan_by_key_implILNS1_25lookback_scan_determinismE0ELb0ES3_N6thrust23THRUST_200600_302600_NS6detail15normal_iteratorINS9_10device_ptrIiEEEENS9_18transform_iteratorINS9_6negateIiEESE_NS9_11use_defaultESI_EESE_iNS9_4plusIvEENS9_8equal_toIvEEiEE10hipError_tPvRmT2_T3_T4_T5_mT6_T7_P12ihipStream_tbENKUlT_T0_E_clISt17integral_constantIbLb1EES14_EEDaSZ_S10_EUlSZ_E_NS1_11comp_targetILNS1_3genE4ELNS1_11target_archE910ELNS1_3gpuE8ELNS1_3repE0EEENS1_30default_config_static_selectorELNS0_4arch9wavefront6targetE0EEEvT1_,@function
_ZN7rocprim17ROCPRIM_400000_NS6detail17trampoline_kernelINS0_14default_configENS1_27scan_by_key_config_selectorIiiEEZZNS1_16scan_by_key_implILNS1_25lookback_scan_determinismE0ELb0ES3_N6thrust23THRUST_200600_302600_NS6detail15normal_iteratorINS9_10device_ptrIiEEEENS9_18transform_iteratorINS9_6negateIiEESE_NS9_11use_defaultESI_EESE_iNS9_4plusIvEENS9_8equal_toIvEEiEE10hipError_tPvRmT2_T3_T4_T5_mT6_T7_P12ihipStream_tbENKUlT_T0_E_clISt17integral_constantIbLb1EES14_EEDaSZ_S10_EUlSZ_E_NS1_11comp_targetILNS1_3genE4ELNS1_11target_archE910ELNS1_3gpuE8ELNS1_3repE0EEENS1_30default_config_static_selectorELNS0_4arch9wavefront6targetE0EEEvT1_: ; @_ZN7rocprim17ROCPRIM_400000_NS6detail17trampoline_kernelINS0_14default_configENS1_27scan_by_key_config_selectorIiiEEZZNS1_16scan_by_key_implILNS1_25lookback_scan_determinismE0ELb0ES3_N6thrust23THRUST_200600_302600_NS6detail15normal_iteratorINS9_10device_ptrIiEEEENS9_18transform_iteratorINS9_6negateIiEESE_NS9_11use_defaultESI_EESE_iNS9_4plusIvEENS9_8equal_toIvEEiEE10hipError_tPvRmT2_T3_T4_T5_mT6_T7_P12ihipStream_tbENKUlT_T0_E_clISt17integral_constantIbLb1EES14_EEDaSZ_S10_EUlSZ_E_NS1_11comp_targetILNS1_3genE4ELNS1_11target_archE910ELNS1_3gpuE8ELNS1_3repE0EEENS1_30default_config_static_selectorELNS0_4arch9wavefront6targetE0EEEvT1_
; %bb.0:
	.section	.rodata,"a",@progbits
	.p2align	6, 0x0
	.amdhsa_kernel _ZN7rocprim17ROCPRIM_400000_NS6detail17trampoline_kernelINS0_14default_configENS1_27scan_by_key_config_selectorIiiEEZZNS1_16scan_by_key_implILNS1_25lookback_scan_determinismE0ELb0ES3_N6thrust23THRUST_200600_302600_NS6detail15normal_iteratorINS9_10device_ptrIiEEEENS9_18transform_iteratorINS9_6negateIiEESE_NS9_11use_defaultESI_EESE_iNS9_4plusIvEENS9_8equal_toIvEEiEE10hipError_tPvRmT2_T3_T4_T5_mT6_T7_P12ihipStream_tbENKUlT_T0_E_clISt17integral_constantIbLb1EES14_EEDaSZ_S10_EUlSZ_E_NS1_11comp_targetILNS1_3genE4ELNS1_11target_archE910ELNS1_3gpuE8ELNS1_3repE0EEENS1_30default_config_static_selectorELNS0_4arch9wavefront6targetE0EEEvT1_
		.amdhsa_group_segment_fixed_size 0
		.amdhsa_private_segment_fixed_size 0
		.amdhsa_kernarg_size 120
		.amdhsa_user_sgpr_count 2
		.amdhsa_user_sgpr_dispatch_ptr 0
		.amdhsa_user_sgpr_queue_ptr 0
		.amdhsa_user_sgpr_kernarg_segment_ptr 1
		.amdhsa_user_sgpr_dispatch_id 0
		.amdhsa_user_sgpr_kernarg_preload_length 0
		.amdhsa_user_sgpr_kernarg_preload_offset 0
		.amdhsa_user_sgpr_private_segment_size 0
		.amdhsa_wavefront_size32 1
		.amdhsa_uses_dynamic_stack 0
		.amdhsa_enable_private_segment 0
		.amdhsa_system_sgpr_workgroup_id_x 1
		.amdhsa_system_sgpr_workgroup_id_y 0
		.amdhsa_system_sgpr_workgroup_id_z 0
		.amdhsa_system_sgpr_workgroup_info 0
		.amdhsa_system_vgpr_workitem_id 0
		.amdhsa_next_free_vgpr 1
		.amdhsa_next_free_sgpr 1
		.amdhsa_named_barrier_count 0
		.amdhsa_reserve_vcc 0
		.amdhsa_float_round_mode_32 0
		.amdhsa_float_round_mode_16_64 0
		.amdhsa_float_denorm_mode_32 3
		.amdhsa_float_denorm_mode_16_64 3
		.amdhsa_fp16_overflow 0
		.amdhsa_memory_ordered 1
		.amdhsa_forward_progress 1
		.amdhsa_inst_pref_size 0
		.amdhsa_round_robin_scheduling 0
		.amdhsa_exception_fp_ieee_invalid_op 0
		.amdhsa_exception_fp_denorm_src 0
		.amdhsa_exception_fp_ieee_div_zero 0
		.amdhsa_exception_fp_ieee_overflow 0
		.amdhsa_exception_fp_ieee_underflow 0
		.amdhsa_exception_fp_ieee_inexact 0
		.amdhsa_exception_int_div_zero 0
	.end_amdhsa_kernel
	.section	.text._ZN7rocprim17ROCPRIM_400000_NS6detail17trampoline_kernelINS0_14default_configENS1_27scan_by_key_config_selectorIiiEEZZNS1_16scan_by_key_implILNS1_25lookback_scan_determinismE0ELb0ES3_N6thrust23THRUST_200600_302600_NS6detail15normal_iteratorINS9_10device_ptrIiEEEENS9_18transform_iteratorINS9_6negateIiEESE_NS9_11use_defaultESI_EESE_iNS9_4plusIvEENS9_8equal_toIvEEiEE10hipError_tPvRmT2_T3_T4_T5_mT6_T7_P12ihipStream_tbENKUlT_T0_E_clISt17integral_constantIbLb1EES14_EEDaSZ_S10_EUlSZ_E_NS1_11comp_targetILNS1_3genE4ELNS1_11target_archE910ELNS1_3gpuE8ELNS1_3repE0EEENS1_30default_config_static_selectorELNS0_4arch9wavefront6targetE0EEEvT1_,"axG",@progbits,_ZN7rocprim17ROCPRIM_400000_NS6detail17trampoline_kernelINS0_14default_configENS1_27scan_by_key_config_selectorIiiEEZZNS1_16scan_by_key_implILNS1_25lookback_scan_determinismE0ELb0ES3_N6thrust23THRUST_200600_302600_NS6detail15normal_iteratorINS9_10device_ptrIiEEEENS9_18transform_iteratorINS9_6negateIiEESE_NS9_11use_defaultESI_EESE_iNS9_4plusIvEENS9_8equal_toIvEEiEE10hipError_tPvRmT2_T3_T4_T5_mT6_T7_P12ihipStream_tbENKUlT_T0_E_clISt17integral_constantIbLb1EES14_EEDaSZ_S10_EUlSZ_E_NS1_11comp_targetILNS1_3genE4ELNS1_11target_archE910ELNS1_3gpuE8ELNS1_3repE0EEENS1_30default_config_static_selectorELNS0_4arch9wavefront6targetE0EEEvT1_,comdat
.Lfunc_end941:
	.size	_ZN7rocprim17ROCPRIM_400000_NS6detail17trampoline_kernelINS0_14default_configENS1_27scan_by_key_config_selectorIiiEEZZNS1_16scan_by_key_implILNS1_25lookback_scan_determinismE0ELb0ES3_N6thrust23THRUST_200600_302600_NS6detail15normal_iteratorINS9_10device_ptrIiEEEENS9_18transform_iteratorINS9_6negateIiEESE_NS9_11use_defaultESI_EESE_iNS9_4plusIvEENS9_8equal_toIvEEiEE10hipError_tPvRmT2_T3_T4_T5_mT6_T7_P12ihipStream_tbENKUlT_T0_E_clISt17integral_constantIbLb1EES14_EEDaSZ_S10_EUlSZ_E_NS1_11comp_targetILNS1_3genE4ELNS1_11target_archE910ELNS1_3gpuE8ELNS1_3repE0EEENS1_30default_config_static_selectorELNS0_4arch9wavefront6targetE0EEEvT1_, .Lfunc_end941-_ZN7rocprim17ROCPRIM_400000_NS6detail17trampoline_kernelINS0_14default_configENS1_27scan_by_key_config_selectorIiiEEZZNS1_16scan_by_key_implILNS1_25lookback_scan_determinismE0ELb0ES3_N6thrust23THRUST_200600_302600_NS6detail15normal_iteratorINS9_10device_ptrIiEEEENS9_18transform_iteratorINS9_6negateIiEESE_NS9_11use_defaultESI_EESE_iNS9_4plusIvEENS9_8equal_toIvEEiEE10hipError_tPvRmT2_T3_T4_T5_mT6_T7_P12ihipStream_tbENKUlT_T0_E_clISt17integral_constantIbLb1EES14_EEDaSZ_S10_EUlSZ_E_NS1_11comp_targetILNS1_3genE4ELNS1_11target_archE910ELNS1_3gpuE8ELNS1_3repE0EEENS1_30default_config_static_selectorELNS0_4arch9wavefront6targetE0EEEvT1_
                                        ; -- End function
	.set _ZN7rocprim17ROCPRIM_400000_NS6detail17trampoline_kernelINS0_14default_configENS1_27scan_by_key_config_selectorIiiEEZZNS1_16scan_by_key_implILNS1_25lookback_scan_determinismE0ELb0ES3_N6thrust23THRUST_200600_302600_NS6detail15normal_iteratorINS9_10device_ptrIiEEEENS9_18transform_iteratorINS9_6negateIiEESE_NS9_11use_defaultESI_EESE_iNS9_4plusIvEENS9_8equal_toIvEEiEE10hipError_tPvRmT2_T3_T4_T5_mT6_T7_P12ihipStream_tbENKUlT_T0_E_clISt17integral_constantIbLb1EES14_EEDaSZ_S10_EUlSZ_E_NS1_11comp_targetILNS1_3genE4ELNS1_11target_archE910ELNS1_3gpuE8ELNS1_3repE0EEENS1_30default_config_static_selectorELNS0_4arch9wavefront6targetE0EEEvT1_.num_vgpr, 0
	.set _ZN7rocprim17ROCPRIM_400000_NS6detail17trampoline_kernelINS0_14default_configENS1_27scan_by_key_config_selectorIiiEEZZNS1_16scan_by_key_implILNS1_25lookback_scan_determinismE0ELb0ES3_N6thrust23THRUST_200600_302600_NS6detail15normal_iteratorINS9_10device_ptrIiEEEENS9_18transform_iteratorINS9_6negateIiEESE_NS9_11use_defaultESI_EESE_iNS9_4plusIvEENS9_8equal_toIvEEiEE10hipError_tPvRmT2_T3_T4_T5_mT6_T7_P12ihipStream_tbENKUlT_T0_E_clISt17integral_constantIbLb1EES14_EEDaSZ_S10_EUlSZ_E_NS1_11comp_targetILNS1_3genE4ELNS1_11target_archE910ELNS1_3gpuE8ELNS1_3repE0EEENS1_30default_config_static_selectorELNS0_4arch9wavefront6targetE0EEEvT1_.num_agpr, 0
	.set _ZN7rocprim17ROCPRIM_400000_NS6detail17trampoline_kernelINS0_14default_configENS1_27scan_by_key_config_selectorIiiEEZZNS1_16scan_by_key_implILNS1_25lookback_scan_determinismE0ELb0ES3_N6thrust23THRUST_200600_302600_NS6detail15normal_iteratorINS9_10device_ptrIiEEEENS9_18transform_iteratorINS9_6negateIiEESE_NS9_11use_defaultESI_EESE_iNS9_4plusIvEENS9_8equal_toIvEEiEE10hipError_tPvRmT2_T3_T4_T5_mT6_T7_P12ihipStream_tbENKUlT_T0_E_clISt17integral_constantIbLb1EES14_EEDaSZ_S10_EUlSZ_E_NS1_11comp_targetILNS1_3genE4ELNS1_11target_archE910ELNS1_3gpuE8ELNS1_3repE0EEENS1_30default_config_static_selectorELNS0_4arch9wavefront6targetE0EEEvT1_.numbered_sgpr, 0
	.set _ZN7rocprim17ROCPRIM_400000_NS6detail17trampoline_kernelINS0_14default_configENS1_27scan_by_key_config_selectorIiiEEZZNS1_16scan_by_key_implILNS1_25lookback_scan_determinismE0ELb0ES3_N6thrust23THRUST_200600_302600_NS6detail15normal_iteratorINS9_10device_ptrIiEEEENS9_18transform_iteratorINS9_6negateIiEESE_NS9_11use_defaultESI_EESE_iNS9_4plusIvEENS9_8equal_toIvEEiEE10hipError_tPvRmT2_T3_T4_T5_mT6_T7_P12ihipStream_tbENKUlT_T0_E_clISt17integral_constantIbLb1EES14_EEDaSZ_S10_EUlSZ_E_NS1_11comp_targetILNS1_3genE4ELNS1_11target_archE910ELNS1_3gpuE8ELNS1_3repE0EEENS1_30default_config_static_selectorELNS0_4arch9wavefront6targetE0EEEvT1_.num_named_barrier, 0
	.set _ZN7rocprim17ROCPRIM_400000_NS6detail17trampoline_kernelINS0_14default_configENS1_27scan_by_key_config_selectorIiiEEZZNS1_16scan_by_key_implILNS1_25lookback_scan_determinismE0ELb0ES3_N6thrust23THRUST_200600_302600_NS6detail15normal_iteratorINS9_10device_ptrIiEEEENS9_18transform_iteratorINS9_6negateIiEESE_NS9_11use_defaultESI_EESE_iNS9_4plusIvEENS9_8equal_toIvEEiEE10hipError_tPvRmT2_T3_T4_T5_mT6_T7_P12ihipStream_tbENKUlT_T0_E_clISt17integral_constantIbLb1EES14_EEDaSZ_S10_EUlSZ_E_NS1_11comp_targetILNS1_3genE4ELNS1_11target_archE910ELNS1_3gpuE8ELNS1_3repE0EEENS1_30default_config_static_selectorELNS0_4arch9wavefront6targetE0EEEvT1_.private_seg_size, 0
	.set _ZN7rocprim17ROCPRIM_400000_NS6detail17trampoline_kernelINS0_14default_configENS1_27scan_by_key_config_selectorIiiEEZZNS1_16scan_by_key_implILNS1_25lookback_scan_determinismE0ELb0ES3_N6thrust23THRUST_200600_302600_NS6detail15normal_iteratorINS9_10device_ptrIiEEEENS9_18transform_iteratorINS9_6negateIiEESE_NS9_11use_defaultESI_EESE_iNS9_4plusIvEENS9_8equal_toIvEEiEE10hipError_tPvRmT2_T3_T4_T5_mT6_T7_P12ihipStream_tbENKUlT_T0_E_clISt17integral_constantIbLb1EES14_EEDaSZ_S10_EUlSZ_E_NS1_11comp_targetILNS1_3genE4ELNS1_11target_archE910ELNS1_3gpuE8ELNS1_3repE0EEENS1_30default_config_static_selectorELNS0_4arch9wavefront6targetE0EEEvT1_.uses_vcc, 0
	.set _ZN7rocprim17ROCPRIM_400000_NS6detail17trampoline_kernelINS0_14default_configENS1_27scan_by_key_config_selectorIiiEEZZNS1_16scan_by_key_implILNS1_25lookback_scan_determinismE0ELb0ES3_N6thrust23THRUST_200600_302600_NS6detail15normal_iteratorINS9_10device_ptrIiEEEENS9_18transform_iteratorINS9_6negateIiEESE_NS9_11use_defaultESI_EESE_iNS9_4plusIvEENS9_8equal_toIvEEiEE10hipError_tPvRmT2_T3_T4_T5_mT6_T7_P12ihipStream_tbENKUlT_T0_E_clISt17integral_constantIbLb1EES14_EEDaSZ_S10_EUlSZ_E_NS1_11comp_targetILNS1_3genE4ELNS1_11target_archE910ELNS1_3gpuE8ELNS1_3repE0EEENS1_30default_config_static_selectorELNS0_4arch9wavefront6targetE0EEEvT1_.uses_flat_scratch, 0
	.set _ZN7rocprim17ROCPRIM_400000_NS6detail17trampoline_kernelINS0_14default_configENS1_27scan_by_key_config_selectorIiiEEZZNS1_16scan_by_key_implILNS1_25lookback_scan_determinismE0ELb0ES3_N6thrust23THRUST_200600_302600_NS6detail15normal_iteratorINS9_10device_ptrIiEEEENS9_18transform_iteratorINS9_6negateIiEESE_NS9_11use_defaultESI_EESE_iNS9_4plusIvEENS9_8equal_toIvEEiEE10hipError_tPvRmT2_T3_T4_T5_mT6_T7_P12ihipStream_tbENKUlT_T0_E_clISt17integral_constantIbLb1EES14_EEDaSZ_S10_EUlSZ_E_NS1_11comp_targetILNS1_3genE4ELNS1_11target_archE910ELNS1_3gpuE8ELNS1_3repE0EEENS1_30default_config_static_selectorELNS0_4arch9wavefront6targetE0EEEvT1_.has_dyn_sized_stack, 0
	.set _ZN7rocprim17ROCPRIM_400000_NS6detail17trampoline_kernelINS0_14default_configENS1_27scan_by_key_config_selectorIiiEEZZNS1_16scan_by_key_implILNS1_25lookback_scan_determinismE0ELb0ES3_N6thrust23THRUST_200600_302600_NS6detail15normal_iteratorINS9_10device_ptrIiEEEENS9_18transform_iteratorINS9_6negateIiEESE_NS9_11use_defaultESI_EESE_iNS9_4plusIvEENS9_8equal_toIvEEiEE10hipError_tPvRmT2_T3_T4_T5_mT6_T7_P12ihipStream_tbENKUlT_T0_E_clISt17integral_constantIbLb1EES14_EEDaSZ_S10_EUlSZ_E_NS1_11comp_targetILNS1_3genE4ELNS1_11target_archE910ELNS1_3gpuE8ELNS1_3repE0EEENS1_30default_config_static_selectorELNS0_4arch9wavefront6targetE0EEEvT1_.has_recursion, 0
	.set _ZN7rocprim17ROCPRIM_400000_NS6detail17trampoline_kernelINS0_14default_configENS1_27scan_by_key_config_selectorIiiEEZZNS1_16scan_by_key_implILNS1_25lookback_scan_determinismE0ELb0ES3_N6thrust23THRUST_200600_302600_NS6detail15normal_iteratorINS9_10device_ptrIiEEEENS9_18transform_iteratorINS9_6negateIiEESE_NS9_11use_defaultESI_EESE_iNS9_4plusIvEENS9_8equal_toIvEEiEE10hipError_tPvRmT2_T3_T4_T5_mT6_T7_P12ihipStream_tbENKUlT_T0_E_clISt17integral_constantIbLb1EES14_EEDaSZ_S10_EUlSZ_E_NS1_11comp_targetILNS1_3genE4ELNS1_11target_archE910ELNS1_3gpuE8ELNS1_3repE0EEENS1_30default_config_static_selectorELNS0_4arch9wavefront6targetE0EEEvT1_.has_indirect_call, 0
	.section	.AMDGPU.csdata,"",@progbits
; Kernel info:
; codeLenInByte = 0
; TotalNumSgprs: 0
; NumVgprs: 0
; ScratchSize: 0
; MemoryBound: 0
; FloatMode: 240
; IeeeMode: 1
; LDSByteSize: 0 bytes/workgroup (compile time only)
; SGPRBlocks: 0
; VGPRBlocks: 0
; NumSGPRsForWavesPerEU: 1
; NumVGPRsForWavesPerEU: 1
; NamedBarCnt: 0
; Occupancy: 16
; WaveLimiterHint : 0
; COMPUTE_PGM_RSRC2:SCRATCH_EN: 0
; COMPUTE_PGM_RSRC2:USER_SGPR: 2
; COMPUTE_PGM_RSRC2:TRAP_HANDLER: 0
; COMPUTE_PGM_RSRC2:TGID_X_EN: 1
; COMPUTE_PGM_RSRC2:TGID_Y_EN: 0
; COMPUTE_PGM_RSRC2:TGID_Z_EN: 0
; COMPUTE_PGM_RSRC2:TIDIG_COMP_CNT: 0
	.section	.text._ZN7rocprim17ROCPRIM_400000_NS6detail17trampoline_kernelINS0_14default_configENS1_27scan_by_key_config_selectorIiiEEZZNS1_16scan_by_key_implILNS1_25lookback_scan_determinismE0ELb0ES3_N6thrust23THRUST_200600_302600_NS6detail15normal_iteratorINS9_10device_ptrIiEEEENS9_18transform_iteratorINS9_6negateIiEESE_NS9_11use_defaultESI_EESE_iNS9_4plusIvEENS9_8equal_toIvEEiEE10hipError_tPvRmT2_T3_T4_T5_mT6_T7_P12ihipStream_tbENKUlT_T0_E_clISt17integral_constantIbLb1EES14_EEDaSZ_S10_EUlSZ_E_NS1_11comp_targetILNS1_3genE3ELNS1_11target_archE908ELNS1_3gpuE7ELNS1_3repE0EEENS1_30default_config_static_selectorELNS0_4arch9wavefront6targetE0EEEvT1_,"axG",@progbits,_ZN7rocprim17ROCPRIM_400000_NS6detail17trampoline_kernelINS0_14default_configENS1_27scan_by_key_config_selectorIiiEEZZNS1_16scan_by_key_implILNS1_25lookback_scan_determinismE0ELb0ES3_N6thrust23THRUST_200600_302600_NS6detail15normal_iteratorINS9_10device_ptrIiEEEENS9_18transform_iteratorINS9_6negateIiEESE_NS9_11use_defaultESI_EESE_iNS9_4plusIvEENS9_8equal_toIvEEiEE10hipError_tPvRmT2_T3_T4_T5_mT6_T7_P12ihipStream_tbENKUlT_T0_E_clISt17integral_constantIbLb1EES14_EEDaSZ_S10_EUlSZ_E_NS1_11comp_targetILNS1_3genE3ELNS1_11target_archE908ELNS1_3gpuE7ELNS1_3repE0EEENS1_30default_config_static_selectorELNS0_4arch9wavefront6targetE0EEEvT1_,comdat
	.protected	_ZN7rocprim17ROCPRIM_400000_NS6detail17trampoline_kernelINS0_14default_configENS1_27scan_by_key_config_selectorIiiEEZZNS1_16scan_by_key_implILNS1_25lookback_scan_determinismE0ELb0ES3_N6thrust23THRUST_200600_302600_NS6detail15normal_iteratorINS9_10device_ptrIiEEEENS9_18transform_iteratorINS9_6negateIiEESE_NS9_11use_defaultESI_EESE_iNS9_4plusIvEENS9_8equal_toIvEEiEE10hipError_tPvRmT2_T3_T4_T5_mT6_T7_P12ihipStream_tbENKUlT_T0_E_clISt17integral_constantIbLb1EES14_EEDaSZ_S10_EUlSZ_E_NS1_11comp_targetILNS1_3genE3ELNS1_11target_archE908ELNS1_3gpuE7ELNS1_3repE0EEENS1_30default_config_static_selectorELNS0_4arch9wavefront6targetE0EEEvT1_ ; -- Begin function _ZN7rocprim17ROCPRIM_400000_NS6detail17trampoline_kernelINS0_14default_configENS1_27scan_by_key_config_selectorIiiEEZZNS1_16scan_by_key_implILNS1_25lookback_scan_determinismE0ELb0ES3_N6thrust23THRUST_200600_302600_NS6detail15normal_iteratorINS9_10device_ptrIiEEEENS9_18transform_iteratorINS9_6negateIiEESE_NS9_11use_defaultESI_EESE_iNS9_4plusIvEENS9_8equal_toIvEEiEE10hipError_tPvRmT2_T3_T4_T5_mT6_T7_P12ihipStream_tbENKUlT_T0_E_clISt17integral_constantIbLb1EES14_EEDaSZ_S10_EUlSZ_E_NS1_11comp_targetILNS1_3genE3ELNS1_11target_archE908ELNS1_3gpuE7ELNS1_3repE0EEENS1_30default_config_static_selectorELNS0_4arch9wavefront6targetE0EEEvT1_
	.globl	_ZN7rocprim17ROCPRIM_400000_NS6detail17trampoline_kernelINS0_14default_configENS1_27scan_by_key_config_selectorIiiEEZZNS1_16scan_by_key_implILNS1_25lookback_scan_determinismE0ELb0ES3_N6thrust23THRUST_200600_302600_NS6detail15normal_iteratorINS9_10device_ptrIiEEEENS9_18transform_iteratorINS9_6negateIiEESE_NS9_11use_defaultESI_EESE_iNS9_4plusIvEENS9_8equal_toIvEEiEE10hipError_tPvRmT2_T3_T4_T5_mT6_T7_P12ihipStream_tbENKUlT_T0_E_clISt17integral_constantIbLb1EES14_EEDaSZ_S10_EUlSZ_E_NS1_11comp_targetILNS1_3genE3ELNS1_11target_archE908ELNS1_3gpuE7ELNS1_3repE0EEENS1_30default_config_static_selectorELNS0_4arch9wavefront6targetE0EEEvT1_
	.p2align	8
	.type	_ZN7rocprim17ROCPRIM_400000_NS6detail17trampoline_kernelINS0_14default_configENS1_27scan_by_key_config_selectorIiiEEZZNS1_16scan_by_key_implILNS1_25lookback_scan_determinismE0ELb0ES3_N6thrust23THRUST_200600_302600_NS6detail15normal_iteratorINS9_10device_ptrIiEEEENS9_18transform_iteratorINS9_6negateIiEESE_NS9_11use_defaultESI_EESE_iNS9_4plusIvEENS9_8equal_toIvEEiEE10hipError_tPvRmT2_T3_T4_T5_mT6_T7_P12ihipStream_tbENKUlT_T0_E_clISt17integral_constantIbLb1EES14_EEDaSZ_S10_EUlSZ_E_NS1_11comp_targetILNS1_3genE3ELNS1_11target_archE908ELNS1_3gpuE7ELNS1_3repE0EEENS1_30default_config_static_selectorELNS0_4arch9wavefront6targetE0EEEvT1_,@function
_ZN7rocprim17ROCPRIM_400000_NS6detail17trampoline_kernelINS0_14default_configENS1_27scan_by_key_config_selectorIiiEEZZNS1_16scan_by_key_implILNS1_25lookback_scan_determinismE0ELb0ES3_N6thrust23THRUST_200600_302600_NS6detail15normal_iteratorINS9_10device_ptrIiEEEENS9_18transform_iteratorINS9_6negateIiEESE_NS9_11use_defaultESI_EESE_iNS9_4plusIvEENS9_8equal_toIvEEiEE10hipError_tPvRmT2_T3_T4_T5_mT6_T7_P12ihipStream_tbENKUlT_T0_E_clISt17integral_constantIbLb1EES14_EEDaSZ_S10_EUlSZ_E_NS1_11comp_targetILNS1_3genE3ELNS1_11target_archE908ELNS1_3gpuE7ELNS1_3repE0EEENS1_30default_config_static_selectorELNS0_4arch9wavefront6targetE0EEEvT1_: ; @_ZN7rocprim17ROCPRIM_400000_NS6detail17trampoline_kernelINS0_14default_configENS1_27scan_by_key_config_selectorIiiEEZZNS1_16scan_by_key_implILNS1_25lookback_scan_determinismE0ELb0ES3_N6thrust23THRUST_200600_302600_NS6detail15normal_iteratorINS9_10device_ptrIiEEEENS9_18transform_iteratorINS9_6negateIiEESE_NS9_11use_defaultESI_EESE_iNS9_4plusIvEENS9_8equal_toIvEEiEE10hipError_tPvRmT2_T3_T4_T5_mT6_T7_P12ihipStream_tbENKUlT_T0_E_clISt17integral_constantIbLb1EES14_EEDaSZ_S10_EUlSZ_E_NS1_11comp_targetILNS1_3genE3ELNS1_11target_archE908ELNS1_3gpuE7ELNS1_3repE0EEENS1_30default_config_static_selectorELNS0_4arch9wavefront6targetE0EEEvT1_
; %bb.0:
	.section	.rodata,"a",@progbits
	.p2align	6, 0x0
	.amdhsa_kernel _ZN7rocprim17ROCPRIM_400000_NS6detail17trampoline_kernelINS0_14default_configENS1_27scan_by_key_config_selectorIiiEEZZNS1_16scan_by_key_implILNS1_25lookback_scan_determinismE0ELb0ES3_N6thrust23THRUST_200600_302600_NS6detail15normal_iteratorINS9_10device_ptrIiEEEENS9_18transform_iteratorINS9_6negateIiEESE_NS9_11use_defaultESI_EESE_iNS9_4plusIvEENS9_8equal_toIvEEiEE10hipError_tPvRmT2_T3_T4_T5_mT6_T7_P12ihipStream_tbENKUlT_T0_E_clISt17integral_constantIbLb1EES14_EEDaSZ_S10_EUlSZ_E_NS1_11comp_targetILNS1_3genE3ELNS1_11target_archE908ELNS1_3gpuE7ELNS1_3repE0EEENS1_30default_config_static_selectorELNS0_4arch9wavefront6targetE0EEEvT1_
		.amdhsa_group_segment_fixed_size 0
		.amdhsa_private_segment_fixed_size 0
		.amdhsa_kernarg_size 120
		.amdhsa_user_sgpr_count 2
		.amdhsa_user_sgpr_dispatch_ptr 0
		.amdhsa_user_sgpr_queue_ptr 0
		.amdhsa_user_sgpr_kernarg_segment_ptr 1
		.amdhsa_user_sgpr_dispatch_id 0
		.amdhsa_user_sgpr_kernarg_preload_length 0
		.amdhsa_user_sgpr_kernarg_preload_offset 0
		.amdhsa_user_sgpr_private_segment_size 0
		.amdhsa_wavefront_size32 1
		.amdhsa_uses_dynamic_stack 0
		.amdhsa_enable_private_segment 0
		.amdhsa_system_sgpr_workgroup_id_x 1
		.amdhsa_system_sgpr_workgroup_id_y 0
		.amdhsa_system_sgpr_workgroup_id_z 0
		.amdhsa_system_sgpr_workgroup_info 0
		.amdhsa_system_vgpr_workitem_id 0
		.amdhsa_next_free_vgpr 1
		.amdhsa_next_free_sgpr 1
		.amdhsa_named_barrier_count 0
		.amdhsa_reserve_vcc 0
		.amdhsa_float_round_mode_32 0
		.amdhsa_float_round_mode_16_64 0
		.amdhsa_float_denorm_mode_32 3
		.amdhsa_float_denorm_mode_16_64 3
		.amdhsa_fp16_overflow 0
		.amdhsa_memory_ordered 1
		.amdhsa_forward_progress 1
		.amdhsa_inst_pref_size 0
		.amdhsa_round_robin_scheduling 0
		.amdhsa_exception_fp_ieee_invalid_op 0
		.amdhsa_exception_fp_denorm_src 0
		.amdhsa_exception_fp_ieee_div_zero 0
		.amdhsa_exception_fp_ieee_overflow 0
		.amdhsa_exception_fp_ieee_underflow 0
		.amdhsa_exception_fp_ieee_inexact 0
		.amdhsa_exception_int_div_zero 0
	.end_amdhsa_kernel
	.section	.text._ZN7rocprim17ROCPRIM_400000_NS6detail17trampoline_kernelINS0_14default_configENS1_27scan_by_key_config_selectorIiiEEZZNS1_16scan_by_key_implILNS1_25lookback_scan_determinismE0ELb0ES3_N6thrust23THRUST_200600_302600_NS6detail15normal_iteratorINS9_10device_ptrIiEEEENS9_18transform_iteratorINS9_6negateIiEESE_NS9_11use_defaultESI_EESE_iNS9_4plusIvEENS9_8equal_toIvEEiEE10hipError_tPvRmT2_T3_T4_T5_mT6_T7_P12ihipStream_tbENKUlT_T0_E_clISt17integral_constantIbLb1EES14_EEDaSZ_S10_EUlSZ_E_NS1_11comp_targetILNS1_3genE3ELNS1_11target_archE908ELNS1_3gpuE7ELNS1_3repE0EEENS1_30default_config_static_selectorELNS0_4arch9wavefront6targetE0EEEvT1_,"axG",@progbits,_ZN7rocprim17ROCPRIM_400000_NS6detail17trampoline_kernelINS0_14default_configENS1_27scan_by_key_config_selectorIiiEEZZNS1_16scan_by_key_implILNS1_25lookback_scan_determinismE0ELb0ES3_N6thrust23THRUST_200600_302600_NS6detail15normal_iteratorINS9_10device_ptrIiEEEENS9_18transform_iteratorINS9_6negateIiEESE_NS9_11use_defaultESI_EESE_iNS9_4plusIvEENS9_8equal_toIvEEiEE10hipError_tPvRmT2_T3_T4_T5_mT6_T7_P12ihipStream_tbENKUlT_T0_E_clISt17integral_constantIbLb1EES14_EEDaSZ_S10_EUlSZ_E_NS1_11comp_targetILNS1_3genE3ELNS1_11target_archE908ELNS1_3gpuE7ELNS1_3repE0EEENS1_30default_config_static_selectorELNS0_4arch9wavefront6targetE0EEEvT1_,comdat
.Lfunc_end942:
	.size	_ZN7rocprim17ROCPRIM_400000_NS6detail17trampoline_kernelINS0_14default_configENS1_27scan_by_key_config_selectorIiiEEZZNS1_16scan_by_key_implILNS1_25lookback_scan_determinismE0ELb0ES3_N6thrust23THRUST_200600_302600_NS6detail15normal_iteratorINS9_10device_ptrIiEEEENS9_18transform_iteratorINS9_6negateIiEESE_NS9_11use_defaultESI_EESE_iNS9_4plusIvEENS9_8equal_toIvEEiEE10hipError_tPvRmT2_T3_T4_T5_mT6_T7_P12ihipStream_tbENKUlT_T0_E_clISt17integral_constantIbLb1EES14_EEDaSZ_S10_EUlSZ_E_NS1_11comp_targetILNS1_3genE3ELNS1_11target_archE908ELNS1_3gpuE7ELNS1_3repE0EEENS1_30default_config_static_selectorELNS0_4arch9wavefront6targetE0EEEvT1_, .Lfunc_end942-_ZN7rocprim17ROCPRIM_400000_NS6detail17trampoline_kernelINS0_14default_configENS1_27scan_by_key_config_selectorIiiEEZZNS1_16scan_by_key_implILNS1_25lookback_scan_determinismE0ELb0ES3_N6thrust23THRUST_200600_302600_NS6detail15normal_iteratorINS9_10device_ptrIiEEEENS9_18transform_iteratorINS9_6negateIiEESE_NS9_11use_defaultESI_EESE_iNS9_4plusIvEENS9_8equal_toIvEEiEE10hipError_tPvRmT2_T3_T4_T5_mT6_T7_P12ihipStream_tbENKUlT_T0_E_clISt17integral_constantIbLb1EES14_EEDaSZ_S10_EUlSZ_E_NS1_11comp_targetILNS1_3genE3ELNS1_11target_archE908ELNS1_3gpuE7ELNS1_3repE0EEENS1_30default_config_static_selectorELNS0_4arch9wavefront6targetE0EEEvT1_
                                        ; -- End function
	.set _ZN7rocprim17ROCPRIM_400000_NS6detail17trampoline_kernelINS0_14default_configENS1_27scan_by_key_config_selectorIiiEEZZNS1_16scan_by_key_implILNS1_25lookback_scan_determinismE0ELb0ES3_N6thrust23THRUST_200600_302600_NS6detail15normal_iteratorINS9_10device_ptrIiEEEENS9_18transform_iteratorINS9_6negateIiEESE_NS9_11use_defaultESI_EESE_iNS9_4plusIvEENS9_8equal_toIvEEiEE10hipError_tPvRmT2_T3_T4_T5_mT6_T7_P12ihipStream_tbENKUlT_T0_E_clISt17integral_constantIbLb1EES14_EEDaSZ_S10_EUlSZ_E_NS1_11comp_targetILNS1_3genE3ELNS1_11target_archE908ELNS1_3gpuE7ELNS1_3repE0EEENS1_30default_config_static_selectorELNS0_4arch9wavefront6targetE0EEEvT1_.num_vgpr, 0
	.set _ZN7rocprim17ROCPRIM_400000_NS6detail17trampoline_kernelINS0_14default_configENS1_27scan_by_key_config_selectorIiiEEZZNS1_16scan_by_key_implILNS1_25lookback_scan_determinismE0ELb0ES3_N6thrust23THRUST_200600_302600_NS6detail15normal_iteratorINS9_10device_ptrIiEEEENS9_18transform_iteratorINS9_6negateIiEESE_NS9_11use_defaultESI_EESE_iNS9_4plusIvEENS9_8equal_toIvEEiEE10hipError_tPvRmT2_T3_T4_T5_mT6_T7_P12ihipStream_tbENKUlT_T0_E_clISt17integral_constantIbLb1EES14_EEDaSZ_S10_EUlSZ_E_NS1_11comp_targetILNS1_3genE3ELNS1_11target_archE908ELNS1_3gpuE7ELNS1_3repE0EEENS1_30default_config_static_selectorELNS0_4arch9wavefront6targetE0EEEvT1_.num_agpr, 0
	.set _ZN7rocprim17ROCPRIM_400000_NS6detail17trampoline_kernelINS0_14default_configENS1_27scan_by_key_config_selectorIiiEEZZNS1_16scan_by_key_implILNS1_25lookback_scan_determinismE0ELb0ES3_N6thrust23THRUST_200600_302600_NS6detail15normal_iteratorINS9_10device_ptrIiEEEENS9_18transform_iteratorINS9_6negateIiEESE_NS9_11use_defaultESI_EESE_iNS9_4plusIvEENS9_8equal_toIvEEiEE10hipError_tPvRmT2_T3_T4_T5_mT6_T7_P12ihipStream_tbENKUlT_T0_E_clISt17integral_constantIbLb1EES14_EEDaSZ_S10_EUlSZ_E_NS1_11comp_targetILNS1_3genE3ELNS1_11target_archE908ELNS1_3gpuE7ELNS1_3repE0EEENS1_30default_config_static_selectorELNS0_4arch9wavefront6targetE0EEEvT1_.numbered_sgpr, 0
	.set _ZN7rocprim17ROCPRIM_400000_NS6detail17trampoline_kernelINS0_14default_configENS1_27scan_by_key_config_selectorIiiEEZZNS1_16scan_by_key_implILNS1_25lookback_scan_determinismE0ELb0ES3_N6thrust23THRUST_200600_302600_NS6detail15normal_iteratorINS9_10device_ptrIiEEEENS9_18transform_iteratorINS9_6negateIiEESE_NS9_11use_defaultESI_EESE_iNS9_4plusIvEENS9_8equal_toIvEEiEE10hipError_tPvRmT2_T3_T4_T5_mT6_T7_P12ihipStream_tbENKUlT_T0_E_clISt17integral_constantIbLb1EES14_EEDaSZ_S10_EUlSZ_E_NS1_11comp_targetILNS1_3genE3ELNS1_11target_archE908ELNS1_3gpuE7ELNS1_3repE0EEENS1_30default_config_static_selectorELNS0_4arch9wavefront6targetE0EEEvT1_.num_named_barrier, 0
	.set _ZN7rocprim17ROCPRIM_400000_NS6detail17trampoline_kernelINS0_14default_configENS1_27scan_by_key_config_selectorIiiEEZZNS1_16scan_by_key_implILNS1_25lookback_scan_determinismE0ELb0ES3_N6thrust23THRUST_200600_302600_NS6detail15normal_iteratorINS9_10device_ptrIiEEEENS9_18transform_iteratorINS9_6negateIiEESE_NS9_11use_defaultESI_EESE_iNS9_4plusIvEENS9_8equal_toIvEEiEE10hipError_tPvRmT2_T3_T4_T5_mT6_T7_P12ihipStream_tbENKUlT_T0_E_clISt17integral_constantIbLb1EES14_EEDaSZ_S10_EUlSZ_E_NS1_11comp_targetILNS1_3genE3ELNS1_11target_archE908ELNS1_3gpuE7ELNS1_3repE0EEENS1_30default_config_static_selectorELNS0_4arch9wavefront6targetE0EEEvT1_.private_seg_size, 0
	.set _ZN7rocprim17ROCPRIM_400000_NS6detail17trampoline_kernelINS0_14default_configENS1_27scan_by_key_config_selectorIiiEEZZNS1_16scan_by_key_implILNS1_25lookback_scan_determinismE0ELb0ES3_N6thrust23THRUST_200600_302600_NS6detail15normal_iteratorINS9_10device_ptrIiEEEENS9_18transform_iteratorINS9_6negateIiEESE_NS9_11use_defaultESI_EESE_iNS9_4plusIvEENS9_8equal_toIvEEiEE10hipError_tPvRmT2_T3_T4_T5_mT6_T7_P12ihipStream_tbENKUlT_T0_E_clISt17integral_constantIbLb1EES14_EEDaSZ_S10_EUlSZ_E_NS1_11comp_targetILNS1_3genE3ELNS1_11target_archE908ELNS1_3gpuE7ELNS1_3repE0EEENS1_30default_config_static_selectorELNS0_4arch9wavefront6targetE0EEEvT1_.uses_vcc, 0
	.set _ZN7rocprim17ROCPRIM_400000_NS6detail17trampoline_kernelINS0_14default_configENS1_27scan_by_key_config_selectorIiiEEZZNS1_16scan_by_key_implILNS1_25lookback_scan_determinismE0ELb0ES3_N6thrust23THRUST_200600_302600_NS6detail15normal_iteratorINS9_10device_ptrIiEEEENS9_18transform_iteratorINS9_6negateIiEESE_NS9_11use_defaultESI_EESE_iNS9_4plusIvEENS9_8equal_toIvEEiEE10hipError_tPvRmT2_T3_T4_T5_mT6_T7_P12ihipStream_tbENKUlT_T0_E_clISt17integral_constantIbLb1EES14_EEDaSZ_S10_EUlSZ_E_NS1_11comp_targetILNS1_3genE3ELNS1_11target_archE908ELNS1_3gpuE7ELNS1_3repE0EEENS1_30default_config_static_selectorELNS0_4arch9wavefront6targetE0EEEvT1_.uses_flat_scratch, 0
	.set _ZN7rocprim17ROCPRIM_400000_NS6detail17trampoline_kernelINS0_14default_configENS1_27scan_by_key_config_selectorIiiEEZZNS1_16scan_by_key_implILNS1_25lookback_scan_determinismE0ELb0ES3_N6thrust23THRUST_200600_302600_NS6detail15normal_iteratorINS9_10device_ptrIiEEEENS9_18transform_iteratorINS9_6negateIiEESE_NS9_11use_defaultESI_EESE_iNS9_4plusIvEENS9_8equal_toIvEEiEE10hipError_tPvRmT2_T3_T4_T5_mT6_T7_P12ihipStream_tbENKUlT_T0_E_clISt17integral_constantIbLb1EES14_EEDaSZ_S10_EUlSZ_E_NS1_11comp_targetILNS1_3genE3ELNS1_11target_archE908ELNS1_3gpuE7ELNS1_3repE0EEENS1_30default_config_static_selectorELNS0_4arch9wavefront6targetE0EEEvT1_.has_dyn_sized_stack, 0
	.set _ZN7rocprim17ROCPRIM_400000_NS6detail17trampoline_kernelINS0_14default_configENS1_27scan_by_key_config_selectorIiiEEZZNS1_16scan_by_key_implILNS1_25lookback_scan_determinismE0ELb0ES3_N6thrust23THRUST_200600_302600_NS6detail15normal_iteratorINS9_10device_ptrIiEEEENS9_18transform_iteratorINS9_6negateIiEESE_NS9_11use_defaultESI_EESE_iNS9_4plusIvEENS9_8equal_toIvEEiEE10hipError_tPvRmT2_T3_T4_T5_mT6_T7_P12ihipStream_tbENKUlT_T0_E_clISt17integral_constantIbLb1EES14_EEDaSZ_S10_EUlSZ_E_NS1_11comp_targetILNS1_3genE3ELNS1_11target_archE908ELNS1_3gpuE7ELNS1_3repE0EEENS1_30default_config_static_selectorELNS0_4arch9wavefront6targetE0EEEvT1_.has_recursion, 0
	.set _ZN7rocprim17ROCPRIM_400000_NS6detail17trampoline_kernelINS0_14default_configENS1_27scan_by_key_config_selectorIiiEEZZNS1_16scan_by_key_implILNS1_25lookback_scan_determinismE0ELb0ES3_N6thrust23THRUST_200600_302600_NS6detail15normal_iteratorINS9_10device_ptrIiEEEENS9_18transform_iteratorINS9_6negateIiEESE_NS9_11use_defaultESI_EESE_iNS9_4plusIvEENS9_8equal_toIvEEiEE10hipError_tPvRmT2_T3_T4_T5_mT6_T7_P12ihipStream_tbENKUlT_T0_E_clISt17integral_constantIbLb1EES14_EEDaSZ_S10_EUlSZ_E_NS1_11comp_targetILNS1_3genE3ELNS1_11target_archE908ELNS1_3gpuE7ELNS1_3repE0EEENS1_30default_config_static_selectorELNS0_4arch9wavefront6targetE0EEEvT1_.has_indirect_call, 0
	.section	.AMDGPU.csdata,"",@progbits
; Kernel info:
; codeLenInByte = 0
; TotalNumSgprs: 0
; NumVgprs: 0
; ScratchSize: 0
; MemoryBound: 0
; FloatMode: 240
; IeeeMode: 1
; LDSByteSize: 0 bytes/workgroup (compile time only)
; SGPRBlocks: 0
; VGPRBlocks: 0
; NumSGPRsForWavesPerEU: 1
; NumVGPRsForWavesPerEU: 1
; NamedBarCnt: 0
; Occupancy: 16
; WaveLimiterHint : 0
; COMPUTE_PGM_RSRC2:SCRATCH_EN: 0
; COMPUTE_PGM_RSRC2:USER_SGPR: 2
; COMPUTE_PGM_RSRC2:TRAP_HANDLER: 0
; COMPUTE_PGM_RSRC2:TGID_X_EN: 1
; COMPUTE_PGM_RSRC2:TGID_Y_EN: 0
; COMPUTE_PGM_RSRC2:TGID_Z_EN: 0
; COMPUTE_PGM_RSRC2:TIDIG_COMP_CNT: 0
	.section	.text._ZN7rocprim17ROCPRIM_400000_NS6detail17trampoline_kernelINS0_14default_configENS1_27scan_by_key_config_selectorIiiEEZZNS1_16scan_by_key_implILNS1_25lookback_scan_determinismE0ELb0ES3_N6thrust23THRUST_200600_302600_NS6detail15normal_iteratorINS9_10device_ptrIiEEEENS9_18transform_iteratorINS9_6negateIiEESE_NS9_11use_defaultESI_EESE_iNS9_4plusIvEENS9_8equal_toIvEEiEE10hipError_tPvRmT2_T3_T4_T5_mT6_T7_P12ihipStream_tbENKUlT_T0_E_clISt17integral_constantIbLb1EES14_EEDaSZ_S10_EUlSZ_E_NS1_11comp_targetILNS1_3genE2ELNS1_11target_archE906ELNS1_3gpuE6ELNS1_3repE0EEENS1_30default_config_static_selectorELNS0_4arch9wavefront6targetE0EEEvT1_,"axG",@progbits,_ZN7rocprim17ROCPRIM_400000_NS6detail17trampoline_kernelINS0_14default_configENS1_27scan_by_key_config_selectorIiiEEZZNS1_16scan_by_key_implILNS1_25lookback_scan_determinismE0ELb0ES3_N6thrust23THRUST_200600_302600_NS6detail15normal_iteratorINS9_10device_ptrIiEEEENS9_18transform_iteratorINS9_6negateIiEESE_NS9_11use_defaultESI_EESE_iNS9_4plusIvEENS9_8equal_toIvEEiEE10hipError_tPvRmT2_T3_T4_T5_mT6_T7_P12ihipStream_tbENKUlT_T0_E_clISt17integral_constantIbLb1EES14_EEDaSZ_S10_EUlSZ_E_NS1_11comp_targetILNS1_3genE2ELNS1_11target_archE906ELNS1_3gpuE6ELNS1_3repE0EEENS1_30default_config_static_selectorELNS0_4arch9wavefront6targetE0EEEvT1_,comdat
	.protected	_ZN7rocprim17ROCPRIM_400000_NS6detail17trampoline_kernelINS0_14default_configENS1_27scan_by_key_config_selectorIiiEEZZNS1_16scan_by_key_implILNS1_25lookback_scan_determinismE0ELb0ES3_N6thrust23THRUST_200600_302600_NS6detail15normal_iteratorINS9_10device_ptrIiEEEENS9_18transform_iteratorINS9_6negateIiEESE_NS9_11use_defaultESI_EESE_iNS9_4plusIvEENS9_8equal_toIvEEiEE10hipError_tPvRmT2_T3_T4_T5_mT6_T7_P12ihipStream_tbENKUlT_T0_E_clISt17integral_constantIbLb1EES14_EEDaSZ_S10_EUlSZ_E_NS1_11comp_targetILNS1_3genE2ELNS1_11target_archE906ELNS1_3gpuE6ELNS1_3repE0EEENS1_30default_config_static_selectorELNS0_4arch9wavefront6targetE0EEEvT1_ ; -- Begin function _ZN7rocprim17ROCPRIM_400000_NS6detail17trampoline_kernelINS0_14default_configENS1_27scan_by_key_config_selectorIiiEEZZNS1_16scan_by_key_implILNS1_25lookback_scan_determinismE0ELb0ES3_N6thrust23THRUST_200600_302600_NS6detail15normal_iteratorINS9_10device_ptrIiEEEENS9_18transform_iteratorINS9_6negateIiEESE_NS9_11use_defaultESI_EESE_iNS9_4plusIvEENS9_8equal_toIvEEiEE10hipError_tPvRmT2_T3_T4_T5_mT6_T7_P12ihipStream_tbENKUlT_T0_E_clISt17integral_constantIbLb1EES14_EEDaSZ_S10_EUlSZ_E_NS1_11comp_targetILNS1_3genE2ELNS1_11target_archE906ELNS1_3gpuE6ELNS1_3repE0EEENS1_30default_config_static_selectorELNS0_4arch9wavefront6targetE0EEEvT1_
	.globl	_ZN7rocprim17ROCPRIM_400000_NS6detail17trampoline_kernelINS0_14default_configENS1_27scan_by_key_config_selectorIiiEEZZNS1_16scan_by_key_implILNS1_25lookback_scan_determinismE0ELb0ES3_N6thrust23THRUST_200600_302600_NS6detail15normal_iteratorINS9_10device_ptrIiEEEENS9_18transform_iteratorINS9_6negateIiEESE_NS9_11use_defaultESI_EESE_iNS9_4plusIvEENS9_8equal_toIvEEiEE10hipError_tPvRmT2_T3_T4_T5_mT6_T7_P12ihipStream_tbENKUlT_T0_E_clISt17integral_constantIbLb1EES14_EEDaSZ_S10_EUlSZ_E_NS1_11comp_targetILNS1_3genE2ELNS1_11target_archE906ELNS1_3gpuE6ELNS1_3repE0EEENS1_30default_config_static_selectorELNS0_4arch9wavefront6targetE0EEEvT1_
	.p2align	8
	.type	_ZN7rocprim17ROCPRIM_400000_NS6detail17trampoline_kernelINS0_14default_configENS1_27scan_by_key_config_selectorIiiEEZZNS1_16scan_by_key_implILNS1_25lookback_scan_determinismE0ELb0ES3_N6thrust23THRUST_200600_302600_NS6detail15normal_iteratorINS9_10device_ptrIiEEEENS9_18transform_iteratorINS9_6negateIiEESE_NS9_11use_defaultESI_EESE_iNS9_4plusIvEENS9_8equal_toIvEEiEE10hipError_tPvRmT2_T3_T4_T5_mT6_T7_P12ihipStream_tbENKUlT_T0_E_clISt17integral_constantIbLb1EES14_EEDaSZ_S10_EUlSZ_E_NS1_11comp_targetILNS1_3genE2ELNS1_11target_archE906ELNS1_3gpuE6ELNS1_3repE0EEENS1_30default_config_static_selectorELNS0_4arch9wavefront6targetE0EEEvT1_,@function
_ZN7rocprim17ROCPRIM_400000_NS6detail17trampoline_kernelINS0_14default_configENS1_27scan_by_key_config_selectorIiiEEZZNS1_16scan_by_key_implILNS1_25lookback_scan_determinismE0ELb0ES3_N6thrust23THRUST_200600_302600_NS6detail15normal_iteratorINS9_10device_ptrIiEEEENS9_18transform_iteratorINS9_6negateIiEESE_NS9_11use_defaultESI_EESE_iNS9_4plusIvEENS9_8equal_toIvEEiEE10hipError_tPvRmT2_T3_T4_T5_mT6_T7_P12ihipStream_tbENKUlT_T0_E_clISt17integral_constantIbLb1EES14_EEDaSZ_S10_EUlSZ_E_NS1_11comp_targetILNS1_3genE2ELNS1_11target_archE906ELNS1_3gpuE6ELNS1_3repE0EEENS1_30default_config_static_selectorELNS0_4arch9wavefront6targetE0EEEvT1_: ; @_ZN7rocprim17ROCPRIM_400000_NS6detail17trampoline_kernelINS0_14default_configENS1_27scan_by_key_config_selectorIiiEEZZNS1_16scan_by_key_implILNS1_25lookback_scan_determinismE0ELb0ES3_N6thrust23THRUST_200600_302600_NS6detail15normal_iteratorINS9_10device_ptrIiEEEENS9_18transform_iteratorINS9_6negateIiEESE_NS9_11use_defaultESI_EESE_iNS9_4plusIvEENS9_8equal_toIvEEiEE10hipError_tPvRmT2_T3_T4_T5_mT6_T7_P12ihipStream_tbENKUlT_T0_E_clISt17integral_constantIbLb1EES14_EEDaSZ_S10_EUlSZ_E_NS1_11comp_targetILNS1_3genE2ELNS1_11target_archE906ELNS1_3gpuE6ELNS1_3repE0EEENS1_30default_config_static_selectorELNS0_4arch9wavefront6targetE0EEEvT1_
; %bb.0:
	.section	.rodata,"a",@progbits
	.p2align	6, 0x0
	.amdhsa_kernel _ZN7rocprim17ROCPRIM_400000_NS6detail17trampoline_kernelINS0_14default_configENS1_27scan_by_key_config_selectorIiiEEZZNS1_16scan_by_key_implILNS1_25lookback_scan_determinismE0ELb0ES3_N6thrust23THRUST_200600_302600_NS6detail15normal_iteratorINS9_10device_ptrIiEEEENS9_18transform_iteratorINS9_6negateIiEESE_NS9_11use_defaultESI_EESE_iNS9_4plusIvEENS9_8equal_toIvEEiEE10hipError_tPvRmT2_T3_T4_T5_mT6_T7_P12ihipStream_tbENKUlT_T0_E_clISt17integral_constantIbLb1EES14_EEDaSZ_S10_EUlSZ_E_NS1_11comp_targetILNS1_3genE2ELNS1_11target_archE906ELNS1_3gpuE6ELNS1_3repE0EEENS1_30default_config_static_selectorELNS0_4arch9wavefront6targetE0EEEvT1_
		.amdhsa_group_segment_fixed_size 0
		.amdhsa_private_segment_fixed_size 0
		.amdhsa_kernarg_size 120
		.amdhsa_user_sgpr_count 2
		.amdhsa_user_sgpr_dispatch_ptr 0
		.amdhsa_user_sgpr_queue_ptr 0
		.amdhsa_user_sgpr_kernarg_segment_ptr 1
		.amdhsa_user_sgpr_dispatch_id 0
		.amdhsa_user_sgpr_kernarg_preload_length 0
		.amdhsa_user_sgpr_kernarg_preload_offset 0
		.amdhsa_user_sgpr_private_segment_size 0
		.amdhsa_wavefront_size32 1
		.amdhsa_uses_dynamic_stack 0
		.amdhsa_enable_private_segment 0
		.amdhsa_system_sgpr_workgroup_id_x 1
		.amdhsa_system_sgpr_workgroup_id_y 0
		.amdhsa_system_sgpr_workgroup_id_z 0
		.amdhsa_system_sgpr_workgroup_info 0
		.amdhsa_system_vgpr_workitem_id 0
		.amdhsa_next_free_vgpr 1
		.amdhsa_next_free_sgpr 1
		.amdhsa_named_barrier_count 0
		.amdhsa_reserve_vcc 0
		.amdhsa_float_round_mode_32 0
		.amdhsa_float_round_mode_16_64 0
		.amdhsa_float_denorm_mode_32 3
		.amdhsa_float_denorm_mode_16_64 3
		.amdhsa_fp16_overflow 0
		.amdhsa_memory_ordered 1
		.amdhsa_forward_progress 1
		.amdhsa_inst_pref_size 0
		.amdhsa_round_robin_scheduling 0
		.amdhsa_exception_fp_ieee_invalid_op 0
		.amdhsa_exception_fp_denorm_src 0
		.amdhsa_exception_fp_ieee_div_zero 0
		.amdhsa_exception_fp_ieee_overflow 0
		.amdhsa_exception_fp_ieee_underflow 0
		.amdhsa_exception_fp_ieee_inexact 0
		.amdhsa_exception_int_div_zero 0
	.end_amdhsa_kernel
	.section	.text._ZN7rocprim17ROCPRIM_400000_NS6detail17trampoline_kernelINS0_14default_configENS1_27scan_by_key_config_selectorIiiEEZZNS1_16scan_by_key_implILNS1_25lookback_scan_determinismE0ELb0ES3_N6thrust23THRUST_200600_302600_NS6detail15normal_iteratorINS9_10device_ptrIiEEEENS9_18transform_iteratorINS9_6negateIiEESE_NS9_11use_defaultESI_EESE_iNS9_4plusIvEENS9_8equal_toIvEEiEE10hipError_tPvRmT2_T3_T4_T5_mT6_T7_P12ihipStream_tbENKUlT_T0_E_clISt17integral_constantIbLb1EES14_EEDaSZ_S10_EUlSZ_E_NS1_11comp_targetILNS1_3genE2ELNS1_11target_archE906ELNS1_3gpuE6ELNS1_3repE0EEENS1_30default_config_static_selectorELNS0_4arch9wavefront6targetE0EEEvT1_,"axG",@progbits,_ZN7rocprim17ROCPRIM_400000_NS6detail17trampoline_kernelINS0_14default_configENS1_27scan_by_key_config_selectorIiiEEZZNS1_16scan_by_key_implILNS1_25lookback_scan_determinismE0ELb0ES3_N6thrust23THRUST_200600_302600_NS6detail15normal_iteratorINS9_10device_ptrIiEEEENS9_18transform_iteratorINS9_6negateIiEESE_NS9_11use_defaultESI_EESE_iNS9_4plusIvEENS9_8equal_toIvEEiEE10hipError_tPvRmT2_T3_T4_T5_mT6_T7_P12ihipStream_tbENKUlT_T0_E_clISt17integral_constantIbLb1EES14_EEDaSZ_S10_EUlSZ_E_NS1_11comp_targetILNS1_3genE2ELNS1_11target_archE906ELNS1_3gpuE6ELNS1_3repE0EEENS1_30default_config_static_selectorELNS0_4arch9wavefront6targetE0EEEvT1_,comdat
.Lfunc_end943:
	.size	_ZN7rocprim17ROCPRIM_400000_NS6detail17trampoline_kernelINS0_14default_configENS1_27scan_by_key_config_selectorIiiEEZZNS1_16scan_by_key_implILNS1_25lookback_scan_determinismE0ELb0ES3_N6thrust23THRUST_200600_302600_NS6detail15normal_iteratorINS9_10device_ptrIiEEEENS9_18transform_iteratorINS9_6negateIiEESE_NS9_11use_defaultESI_EESE_iNS9_4plusIvEENS9_8equal_toIvEEiEE10hipError_tPvRmT2_T3_T4_T5_mT6_T7_P12ihipStream_tbENKUlT_T0_E_clISt17integral_constantIbLb1EES14_EEDaSZ_S10_EUlSZ_E_NS1_11comp_targetILNS1_3genE2ELNS1_11target_archE906ELNS1_3gpuE6ELNS1_3repE0EEENS1_30default_config_static_selectorELNS0_4arch9wavefront6targetE0EEEvT1_, .Lfunc_end943-_ZN7rocprim17ROCPRIM_400000_NS6detail17trampoline_kernelINS0_14default_configENS1_27scan_by_key_config_selectorIiiEEZZNS1_16scan_by_key_implILNS1_25lookback_scan_determinismE0ELb0ES3_N6thrust23THRUST_200600_302600_NS6detail15normal_iteratorINS9_10device_ptrIiEEEENS9_18transform_iteratorINS9_6negateIiEESE_NS9_11use_defaultESI_EESE_iNS9_4plusIvEENS9_8equal_toIvEEiEE10hipError_tPvRmT2_T3_T4_T5_mT6_T7_P12ihipStream_tbENKUlT_T0_E_clISt17integral_constantIbLb1EES14_EEDaSZ_S10_EUlSZ_E_NS1_11comp_targetILNS1_3genE2ELNS1_11target_archE906ELNS1_3gpuE6ELNS1_3repE0EEENS1_30default_config_static_selectorELNS0_4arch9wavefront6targetE0EEEvT1_
                                        ; -- End function
	.set _ZN7rocprim17ROCPRIM_400000_NS6detail17trampoline_kernelINS0_14default_configENS1_27scan_by_key_config_selectorIiiEEZZNS1_16scan_by_key_implILNS1_25lookback_scan_determinismE0ELb0ES3_N6thrust23THRUST_200600_302600_NS6detail15normal_iteratorINS9_10device_ptrIiEEEENS9_18transform_iteratorINS9_6negateIiEESE_NS9_11use_defaultESI_EESE_iNS9_4plusIvEENS9_8equal_toIvEEiEE10hipError_tPvRmT2_T3_T4_T5_mT6_T7_P12ihipStream_tbENKUlT_T0_E_clISt17integral_constantIbLb1EES14_EEDaSZ_S10_EUlSZ_E_NS1_11comp_targetILNS1_3genE2ELNS1_11target_archE906ELNS1_3gpuE6ELNS1_3repE0EEENS1_30default_config_static_selectorELNS0_4arch9wavefront6targetE0EEEvT1_.num_vgpr, 0
	.set _ZN7rocprim17ROCPRIM_400000_NS6detail17trampoline_kernelINS0_14default_configENS1_27scan_by_key_config_selectorIiiEEZZNS1_16scan_by_key_implILNS1_25lookback_scan_determinismE0ELb0ES3_N6thrust23THRUST_200600_302600_NS6detail15normal_iteratorINS9_10device_ptrIiEEEENS9_18transform_iteratorINS9_6negateIiEESE_NS9_11use_defaultESI_EESE_iNS9_4plusIvEENS9_8equal_toIvEEiEE10hipError_tPvRmT2_T3_T4_T5_mT6_T7_P12ihipStream_tbENKUlT_T0_E_clISt17integral_constantIbLb1EES14_EEDaSZ_S10_EUlSZ_E_NS1_11comp_targetILNS1_3genE2ELNS1_11target_archE906ELNS1_3gpuE6ELNS1_3repE0EEENS1_30default_config_static_selectorELNS0_4arch9wavefront6targetE0EEEvT1_.num_agpr, 0
	.set _ZN7rocprim17ROCPRIM_400000_NS6detail17trampoline_kernelINS0_14default_configENS1_27scan_by_key_config_selectorIiiEEZZNS1_16scan_by_key_implILNS1_25lookback_scan_determinismE0ELb0ES3_N6thrust23THRUST_200600_302600_NS6detail15normal_iteratorINS9_10device_ptrIiEEEENS9_18transform_iteratorINS9_6negateIiEESE_NS9_11use_defaultESI_EESE_iNS9_4plusIvEENS9_8equal_toIvEEiEE10hipError_tPvRmT2_T3_T4_T5_mT6_T7_P12ihipStream_tbENKUlT_T0_E_clISt17integral_constantIbLb1EES14_EEDaSZ_S10_EUlSZ_E_NS1_11comp_targetILNS1_3genE2ELNS1_11target_archE906ELNS1_3gpuE6ELNS1_3repE0EEENS1_30default_config_static_selectorELNS0_4arch9wavefront6targetE0EEEvT1_.numbered_sgpr, 0
	.set _ZN7rocprim17ROCPRIM_400000_NS6detail17trampoline_kernelINS0_14default_configENS1_27scan_by_key_config_selectorIiiEEZZNS1_16scan_by_key_implILNS1_25lookback_scan_determinismE0ELb0ES3_N6thrust23THRUST_200600_302600_NS6detail15normal_iteratorINS9_10device_ptrIiEEEENS9_18transform_iteratorINS9_6negateIiEESE_NS9_11use_defaultESI_EESE_iNS9_4plusIvEENS9_8equal_toIvEEiEE10hipError_tPvRmT2_T3_T4_T5_mT6_T7_P12ihipStream_tbENKUlT_T0_E_clISt17integral_constantIbLb1EES14_EEDaSZ_S10_EUlSZ_E_NS1_11comp_targetILNS1_3genE2ELNS1_11target_archE906ELNS1_3gpuE6ELNS1_3repE0EEENS1_30default_config_static_selectorELNS0_4arch9wavefront6targetE0EEEvT1_.num_named_barrier, 0
	.set _ZN7rocprim17ROCPRIM_400000_NS6detail17trampoline_kernelINS0_14default_configENS1_27scan_by_key_config_selectorIiiEEZZNS1_16scan_by_key_implILNS1_25lookback_scan_determinismE0ELb0ES3_N6thrust23THRUST_200600_302600_NS6detail15normal_iteratorINS9_10device_ptrIiEEEENS9_18transform_iteratorINS9_6negateIiEESE_NS9_11use_defaultESI_EESE_iNS9_4plusIvEENS9_8equal_toIvEEiEE10hipError_tPvRmT2_T3_T4_T5_mT6_T7_P12ihipStream_tbENKUlT_T0_E_clISt17integral_constantIbLb1EES14_EEDaSZ_S10_EUlSZ_E_NS1_11comp_targetILNS1_3genE2ELNS1_11target_archE906ELNS1_3gpuE6ELNS1_3repE0EEENS1_30default_config_static_selectorELNS0_4arch9wavefront6targetE0EEEvT1_.private_seg_size, 0
	.set _ZN7rocprim17ROCPRIM_400000_NS6detail17trampoline_kernelINS0_14default_configENS1_27scan_by_key_config_selectorIiiEEZZNS1_16scan_by_key_implILNS1_25lookback_scan_determinismE0ELb0ES3_N6thrust23THRUST_200600_302600_NS6detail15normal_iteratorINS9_10device_ptrIiEEEENS9_18transform_iteratorINS9_6negateIiEESE_NS9_11use_defaultESI_EESE_iNS9_4plusIvEENS9_8equal_toIvEEiEE10hipError_tPvRmT2_T3_T4_T5_mT6_T7_P12ihipStream_tbENKUlT_T0_E_clISt17integral_constantIbLb1EES14_EEDaSZ_S10_EUlSZ_E_NS1_11comp_targetILNS1_3genE2ELNS1_11target_archE906ELNS1_3gpuE6ELNS1_3repE0EEENS1_30default_config_static_selectorELNS0_4arch9wavefront6targetE0EEEvT1_.uses_vcc, 0
	.set _ZN7rocprim17ROCPRIM_400000_NS6detail17trampoline_kernelINS0_14default_configENS1_27scan_by_key_config_selectorIiiEEZZNS1_16scan_by_key_implILNS1_25lookback_scan_determinismE0ELb0ES3_N6thrust23THRUST_200600_302600_NS6detail15normal_iteratorINS9_10device_ptrIiEEEENS9_18transform_iteratorINS9_6negateIiEESE_NS9_11use_defaultESI_EESE_iNS9_4plusIvEENS9_8equal_toIvEEiEE10hipError_tPvRmT2_T3_T4_T5_mT6_T7_P12ihipStream_tbENKUlT_T0_E_clISt17integral_constantIbLb1EES14_EEDaSZ_S10_EUlSZ_E_NS1_11comp_targetILNS1_3genE2ELNS1_11target_archE906ELNS1_3gpuE6ELNS1_3repE0EEENS1_30default_config_static_selectorELNS0_4arch9wavefront6targetE0EEEvT1_.uses_flat_scratch, 0
	.set _ZN7rocprim17ROCPRIM_400000_NS6detail17trampoline_kernelINS0_14default_configENS1_27scan_by_key_config_selectorIiiEEZZNS1_16scan_by_key_implILNS1_25lookback_scan_determinismE0ELb0ES3_N6thrust23THRUST_200600_302600_NS6detail15normal_iteratorINS9_10device_ptrIiEEEENS9_18transform_iteratorINS9_6negateIiEESE_NS9_11use_defaultESI_EESE_iNS9_4plusIvEENS9_8equal_toIvEEiEE10hipError_tPvRmT2_T3_T4_T5_mT6_T7_P12ihipStream_tbENKUlT_T0_E_clISt17integral_constantIbLb1EES14_EEDaSZ_S10_EUlSZ_E_NS1_11comp_targetILNS1_3genE2ELNS1_11target_archE906ELNS1_3gpuE6ELNS1_3repE0EEENS1_30default_config_static_selectorELNS0_4arch9wavefront6targetE0EEEvT1_.has_dyn_sized_stack, 0
	.set _ZN7rocprim17ROCPRIM_400000_NS6detail17trampoline_kernelINS0_14default_configENS1_27scan_by_key_config_selectorIiiEEZZNS1_16scan_by_key_implILNS1_25lookback_scan_determinismE0ELb0ES3_N6thrust23THRUST_200600_302600_NS6detail15normal_iteratorINS9_10device_ptrIiEEEENS9_18transform_iteratorINS9_6negateIiEESE_NS9_11use_defaultESI_EESE_iNS9_4plusIvEENS9_8equal_toIvEEiEE10hipError_tPvRmT2_T3_T4_T5_mT6_T7_P12ihipStream_tbENKUlT_T0_E_clISt17integral_constantIbLb1EES14_EEDaSZ_S10_EUlSZ_E_NS1_11comp_targetILNS1_3genE2ELNS1_11target_archE906ELNS1_3gpuE6ELNS1_3repE0EEENS1_30default_config_static_selectorELNS0_4arch9wavefront6targetE0EEEvT1_.has_recursion, 0
	.set _ZN7rocprim17ROCPRIM_400000_NS6detail17trampoline_kernelINS0_14default_configENS1_27scan_by_key_config_selectorIiiEEZZNS1_16scan_by_key_implILNS1_25lookback_scan_determinismE0ELb0ES3_N6thrust23THRUST_200600_302600_NS6detail15normal_iteratorINS9_10device_ptrIiEEEENS9_18transform_iteratorINS9_6negateIiEESE_NS9_11use_defaultESI_EESE_iNS9_4plusIvEENS9_8equal_toIvEEiEE10hipError_tPvRmT2_T3_T4_T5_mT6_T7_P12ihipStream_tbENKUlT_T0_E_clISt17integral_constantIbLb1EES14_EEDaSZ_S10_EUlSZ_E_NS1_11comp_targetILNS1_3genE2ELNS1_11target_archE906ELNS1_3gpuE6ELNS1_3repE0EEENS1_30default_config_static_selectorELNS0_4arch9wavefront6targetE0EEEvT1_.has_indirect_call, 0
	.section	.AMDGPU.csdata,"",@progbits
; Kernel info:
; codeLenInByte = 0
; TotalNumSgprs: 0
; NumVgprs: 0
; ScratchSize: 0
; MemoryBound: 0
; FloatMode: 240
; IeeeMode: 1
; LDSByteSize: 0 bytes/workgroup (compile time only)
; SGPRBlocks: 0
; VGPRBlocks: 0
; NumSGPRsForWavesPerEU: 1
; NumVGPRsForWavesPerEU: 1
; NamedBarCnt: 0
; Occupancy: 16
; WaveLimiterHint : 0
; COMPUTE_PGM_RSRC2:SCRATCH_EN: 0
; COMPUTE_PGM_RSRC2:USER_SGPR: 2
; COMPUTE_PGM_RSRC2:TRAP_HANDLER: 0
; COMPUTE_PGM_RSRC2:TGID_X_EN: 1
; COMPUTE_PGM_RSRC2:TGID_Y_EN: 0
; COMPUTE_PGM_RSRC2:TGID_Z_EN: 0
; COMPUTE_PGM_RSRC2:TIDIG_COMP_CNT: 0
	.section	.text._ZN7rocprim17ROCPRIM_400000_NS6detail17trampoline_kernelINS0_14default_configENS1_27scan_by_key_config_selectorIiiEEZZNS1_16scan_by_key_implILNS1_25lookback_scan_determinismE0ELb0ES3_N6thrust23THRUST_200600_302600_NS6detail15normal_iteratorINS9_10device_ptrIiEEEENS9_18transform_iteratorINS9_6negateIiEESE_NS9_11use_defaultESI_EESE_iNS9_4plusIvEENS9_8equal_toIvEEiEE10hipError_tPvRmT2_T3_T4_T5_mT6_T7_P12ihipStream_tbENKUlT_T0_E_clISt17integral_constantIbLb1EES14_EEDaSZ_S10_EUlSZ_E_NS1_11comp_targetILNS1_3genE10ELNS1_11target_archE1200ELNS1_3gpuE4ELNS1_3repE0EEENS1_30default_config_static_selectorELNS0_4arch9wavefront6targetE0EEEvT1_,"axG",@progbits,_ZN7rocprim17ROCPRIM_400000_NS6detail17trampoline_kernelINS0_14default_configENS1_27scan_by_key_config_selectorIiiEEZZNS1_16scan_by_key_implILNS1_25lookback_scan_determinismE0ELb0ES3_N6thrust23THRUST_200600_302600_NS6detail15normal_iteratorINS9_10device_ptrIiEEEENS9_18transform_iteratorINS9_6negateIiEESE_NS9_11use_defaultESI_EESE_iNS9_4plusIvEENS9_8equal_toIvEEiEE10hipError_tPvRmT2_T3_T4_T5_mT6_T7_P12ihipStream_tbENKUlT_T0_E_clISt17integral_constantIbLb1EES14_EEDaSZ_S10_EUlSZ_E_NS1_11comp_targetILNS1_3genE10ELNS1_11target_archE1200ELNS1_3gpuE4ELNS1_3repE0EEENS1_30default_config_static_selectorELNS0_4arch9wavefront6targetE0EEEvT1_,comdat
	.protected	_ZN7rocprim17ROCPRIM_400000_NS6detail17trampoline_kernelINS0_14default_configENS1_27scan_by_key_config_selectorIiiEEZZNS1_16scan_by_key_implILNS1_25lookback_scan_determinismE0ELb0ES3_N6thrust23THRUST_200600_302600_NS6detail15normal_iteratorINS9_10device_ptrIiEEEENS9_18transform_iteratorINS9_6negateIiEESE_NS9_11use_defaultESI_EESE_iNS9_4plusIvEENS9_8equal_toIvEEiEE10hipError_tPvRmT2_T3_T4_T5_mT6_T7_P12ihipStream_tbENKUlT_T0_E_clISt17integral_constantIbLb1EES14_EEDaSZ_S10_EUlSZ_E_NS1_11comp_targetILNS1_3genE10ELNS1_11target_archE1200ELNS1_3gpuE4ELNS1_3repE0EEENS1_30default_config_static_selectorELNS0_4arch9wavefront6targetE0EEEvT1_ ; -- Begin function _ZN7rocprim17ROCPRIM_400000_NS6detail17trampoline_kernelINS0_14default_configENS1_27scan_by_key_config_selectorIiiEEZZNS1_16scan_by_key_implILNS1_25lookback_scan_determinismE0ELb0ES3_N6thrust23THRUST_200600_302600_NS6detail15normal_iteratorINS9_10device_ptrIiEEEENS9_18transform_iteratorINS9_6negateIiEESE_NS9_11use_defaultESI_EESE_iNS9_4plusIvEENS9_8equal_toIvEEiEE10hipError_tPvRmT2_T3_T4_T5_mT6_T7_P12ihipStream_tbENKUlT_T0_E_clISt17integral_constantIbLb1EES14_EEDaSZ_S10_EUlSZ_E_NS1_11comp_targetILNS1_3genE10ELNS1_11target_archE1200ELNS1_3gpuE4ELNS1_3repE0EEENS1_30default_config_static_selectorELNS0_4arch9wavefront6targetE0EEEvT1_
	.globl	_ZN7rocprim17ROCPRIM_400000_NS6detail17trampoline_kernelINS0_14default_configENS1_27scan_by_key_config_selectorIiiEEZZNS1_16scan_by_key_implILNS1_25lookback_scan_determinismE0ELb0ES3_N6thrust23THRUST_200600_302600_NS6detail15normal_iteratorINS9_10device_ptrIiEEEENS9_18transform_iteratorINS9_6negateIiEESE_NS9_11use_defaultESI_EESE_iNS9_4plusIvEENS9_8equal_toIvEEiEE10hipError_tPvRmT2_T3_T4_T5_mT6_T7_P12ihipStream_tbENKUlT_T0_E_clISt17integral_constantIbLb1EES14_EEDaSZ_S10_EUlSZ_E_NS1_11comp_targetILNS1_3genE10ELNS1_11target_archE1200ELNS1_3gpuE4ELNS1_3repE0EEENS1_30default_config_static_selectorELNS0_4arch9wavefront6targetE0EEEvT1_
	.p2align	8
	.type	_ZN7rocprim17ROCPRIM_400000_NS6detail17trampoline_kernelINS0_14default_configENS1_27scan_by_key_config_selectorIiiEEZZNS1_16scan_by_key_implILNS1_25lookback_scan_determinismE0ELb0ES3_N6thrust23THRUST_200600_302600_NS6detail15normal_iteratorINS9_10device_ptrIiEEEENS9_18transform_iteratorINS9_6negateIiEESE_NS9_11use_defaultESI_EESE_iNS9_4plusIvEENS9_8equal_toIvEEiEE10hipError_tPvRmT2_T3_T4_T5_mT6_T7_P12ihipStream_tbENKUlT_T0_E_clISt17integral_constantIbLb1EES14_EEDaSZ_S10_EUlSZ_E_NS1_11comp_targetILNS1_3genE10ELNS1_11target_archE1200ELNS1_3gpuE4ELNS1_3repE0EEENS1_30default_config_static_selectorELNS0_4arch9wavefront6targetE0EEEvT1_,@function
_ZN7rocprim17ROCPRIM_400000_NS6detail17trampoline_kernelINS0_14default_configENS1_27scan_by_key_config_selectorIiiEEZZNS1_16scan_by_key_implILNS1_25lookback_scan_determinismE0ELb0ES3_N6thrust23THRUST_200600_302600_NS6detail15normal_iteratorINS9_10device_ptrIiEEEENS9_18transform_iteratorINS9_6negateIiEESE_NS9_11use_defaultESI_EESE_iNS9_4plusIvEENS9_8equal_toIvEEiEE10hipError_tPvRmT2_T3_T4_T5_mT6_T7_P12ihipStream_tbENKUlT_T0_E_clISt17integral_constantIbLb1EES14_EEDaSZ_S10_EUlSZ_E_NS1_11comp_targetILNS1_3genE10ELNS1_11target_archE1200ELNS1_3gpuE4ELNS1_3repE0EEENS1_30default_config_static_selectorELNS0_4arch9wavefront6targetE0EEEvT1_: ; @_ZN7rocprim17ROCPRIM_400000_NS6detail17trampoline_kernelINS0_14default_configENS1_27scan_by_key_config_selectorIiiEEZZNS1_16scan_by_key_implILNS1_25lookback_scan_determinismE0ELb0ES3_N6thrust23THRUST_200600_302600_NS6detail15normal_iteratorINS9_10device_ptrIiEEEENS9_18transform_iteratorINS9_6negateIiEESE_NS9_11use_defaultESI_EESE_iNS9_4plusIvEENS9_8equal_toIvEEiEE10hipError_tPvRmT2_T3_T4_T5_mT6_T7_P12ihipStream_tbENKUlT_T0_E_clISt17integral_constantIbLb1EES14_EEDaSZ_S10_EUlSZ_E_NS1_11comp_targetILNS1_3genE10ELNS1_11target_archE1200ELNS1_3gpuE4ELNS1_3repE0EEENS1_30default_config_static_selectorELNS0_4arch9wavefront6targetE0EEEvT1_
; %bb.0:
	.section	.rodata,"a",@progbits
	.p2align	6, 0x0
	.amdhsa_kernel _ZN7rocprim17ROCPRIM_400000_NS6detail17trampoline_kernelINS0_14default_configENS1_27scan_by_key_config_selectorIiiEEZZNS1_16scan_by_key_implILNS1_25lookback_scan_determinismE0ELb0ES3_N6thrust23THRUST_200600_302600_NS6detail15normal_iteratorINS9_10device_ptrIiEEEENS9_18transform_iteratorINS9_6negateIiEESE_NS9_11use_defaultESI_EESE_iNS9_4plusIvEENS9_8equal_toIvEEiEE10hipError_tPvRmT2_T3_T4_T5_mT6_T7_P12ihipStream_tbENKUlT_T0_E_clISt17integral_constantIbLb1EES14_EEDaSZ_S10_EUlSZ_E_NS1_11comp_targetILNS1_3genE10ELNS1_11target_archE1200ELNS1_3gpuE4ELNS1_3repE0EEENS1_30default_config_static_selectorELNS0_4arch9wavefront6targetE0EEEvT1_
		.amdhsa_group_segment_fixed_size 0
		.amdhsa_private_segment_fixed_size 0
		.amdhsa_kernarg_size 120
		.amdhsa_user_sgpr_count 2
		.amdhsa_user_sgpr_dispatch_ptr 0
		.amdhsa_user_sgpr_queue_ptr 0
		.amdhsa_user_sgpr_kernarg_segment_ptr 1
		.amdhsa_user_sgpr_dispatch_id 0
		.amdhsa_user_sgpr_kernarg_preload_length 0
		.amdhsa_user_sgpr_kernarg_preload_offset 0
		.amdhsa_user_sgpr_private_segment_size 0
		.amdhsa_wavefront_size32 1
		.amdhsa_uses_dynamic_stack 0
		.amdhsa_enable_private_segment 0
		.amdhsa_system_sgpr_workgroup_id_x 1
		.amdhsa_system_sgpr_workgroup_id_y 0
		.amdhsa_system_sgpr_workgroup_id_z 0
		.amdhsa_system_sgpr_workgroup_info 0
		.amdhsa_system_vgpr_workitem_id 0
		.amdhsa_next_free_vgpr 1
		.amdhsa_next_free_sgpr 1
		.amdhsa_named_barrier_count 0
		.amdhsa_reserve_vcc 0
		.amdhsa_float_round_mode_32 0
		.amdhsa_float_round_mode_16_64 0
		.amdhsa_float_denorm_mode_32 3
		.amdhsa_float_denorm_mode_16_64 3
		.amdhsa_fp16_overflow 0
		.amdhsa_memory_ordered 1
		.amdhsa_forward_progress 1
		.amdhsa_inst_pref_size 0
		.amdhsa_round_robin_scheduling 0
		.amdhsa_exception_fp_ieee_invalid_op 0
		.amdhsa_exception_fp_denorm_src 0
		.amdhsa_exception_fp_ieee_div_zero 0
		.amdhsa_exception_fp_ieee_overflow 0
		.amdhsa_exception_fp_ieee_underflow 0
		.amdhsa_exception_fp_ieee_inexact 0
		.amdhsa_exception_int_div_zero 0
	.end_amdhsa_kernel
	.section	.text._ZN7rocprim17ROCPRIM_400000_NS6detail17trampoline_kernelINS0_14default_configENS1_27scan_by_key_config_selectorIiiEEZZNS1_16scan_by_key_implILNS1_25lookback_scan_determinismE0ELb0ES3_N6thrust23THRUST_200600_302600_NS6detail15normal_iteratorINS9_10device_ptrIiEEEENS9_18transform_iteratorINS9_6negateIiEESE_NS9_11use_defaultESI_EESE_iNS9_4plusIvEENS9_8equal_toIvEEiEE10hipError_tPvRmT2_T3_T4_T5_mT6_T7_P12ihipStream_tbENKUlT_T0_E_clISt17integral_constantIbLb1EES14_EEDaSZ_S10_EUlSZ_E_NS1_11comp_targetILNS1_3genE10ELNS1_11target_archE1200ELNS1_3gpuE4ELNS1_3repE0EEENS1_30default_config_static_selectorELNS0_4arch9wavefront6targetE0EEEvT1_,"axG",@progbits,_ZN7rocprim17ROCPRIM_400000_NS6detail17trampoline_kernelINS0_14default_configENS1_27scan_by_key_config_selectorIiiEEZZNS1_16scan_by_key_implILNS1_25lookback_scan_determinismE0ELb0ES3_N6thrust23THRUST_200600_302600_NS6detail15normal_iteratorINS9_10device_ptrIiEEEENS9_18transform_iteratorINS9_6negateIiEESE_NS9_11use_defaultESI_EESE_iNS9_4plusIvEENS9_8equal_toIvEEiEE10hipError_tPvRmT2_T3_T4_T5_mT6_T7_P12ihipStream_tbENKUlT_T0_E_clISt17integral_constantIbLb1EES14_EEDaSZ_S10_EUlSZ_E_NS1_11comp_targetILNS1_3genE10ELNS1_11target_archE1200ELNS1_3gpuE4ELNS1_3repE0EEENS1_30default_config_static_selectorELNS0_4arch9wavefront6targetE0EEEvT1_,comdat
.Lfunc_end944:
	.size	_ZN7rocprim17ROCPRIM_400000_NS6detail17trampoline_kernelINS0_14default_configENS1_27scan_by_key_config_selectorIiiEEZZNS1_16scan_by_key_implILNS1_25lookback_scan_determinismE0ELb0ES3_N6thrust23THRUST_200600_302600_NS6detail15normal_iteratorINS9_10device_ptrIiEEEENS9_18transform_iteratorINS9_6negateIiEESE_NS9_11use_defaultESI_EESE_iNS9_4plusIvEENS9_8equal_toIvEEiEE10hipError_tPvRmT2_T3_T4_T5_mT6_T7_P12ihipStream_tbENKUlT_T0_E_clISt17integral_constantIbLb1EES14_EEDaSZ_S10_EUlSZ_E_NS1_11comp_targetILNS1_3genE10ELNS1_11target_archE1200ELNS1_3gpuE4ELNS1_3repE0EEENS1_30default_config_static_selectorELNS0_4arch9wavefront6targetE0EEEvT1_, .Lfunc_end944-_ZN7rocprim17ROCPRIM_400000_NS6detail17trampoline_kernelINS0_14default_configENS1_27scan_by_key_config_selectorIiiEEZZNS1_16scan_by_key_implILNS1_25lookback_scan_determinismE0ELb0ES3_N6thrust23THRUST_200600_302600_NS6detail15normal_iteratorINS9_10device_ptrIiEEEENS9_18transform_iteratorINS9_6negateIiEESE_NS9_11use_defaultESI_EESE_iNS9_4plusIvEENS9_8equal_toIvEEiEE10hipError_tPvRmT2_T3_T4_T5_mT6_T7_P12ihipStream_tbENKUlT_T0_E_clISt17integral_constantIbLb1EES14_EEDaSZ_S10_EUlSZ_E_NS1_11comp_targetILNS1_3genE10ELNS1_11target_archE1200ELNS1_3gpuE4ELNS1_3repE0EEENS1_30default_config_static_selectorELNS0_4arch9wavefront6targetE0EEEvT1_
                                        ; -- End function
	.set _ZN7rocprim17ROCPRIM_400000_NS6detail17trampoline_kernelINS0_14default_configENS1_27scan_by_key_config_selectorIiiEEZZNS1_16scan_by_key_implILNS1_25lookback_scan_determinismE0ELb0ES3_N6thrust23THRUST_200600_302600_NS6detail15normal_iteratorINS9_10device_ptrIiEEEENS9_18transform_iteratorINS9_6negateIiEESE_NS9_11use_defaultESI_EESE_iNS9_4plusIvEENS9_8equal_toIvEEiEE10hipError_tPvRmT2_T3_T4_T5_mT6_T7_P12ihipStream_tbENKUlT_T0_E_clISt17integral_constantIbLb1EES14_EEDaSZ_S10_EUlSZ_E_NS1_11comp_targetILNS1_3genE10ELNS1_11target_archE1200ELNS1_3gpuE4ELNS1_3repE0EEENS1_30default_config_static_selectorELNS0_4arch9wavefront6targetE0EEEvT1_.num_vgpr, 0
	.set _ZN7rocprim17ROCPRIM_400000_NS6detail17trampoline_kernelINS0_14default_configENS1_27scan_by_key_config_selectorIiiEEZZNS1_16scan_by_key_implILNS1_25lookback_scan_determinismE0ELb0ES3_N6thrust23THRUST_200600_302600_NS6detail15normal_iteratorINS9_10device_ptrIiEEEENS9_18transform_iteratorINS9_6negateIiEESE_NS9_11use_defaultESI_EESE_iNS9_4plusIvEENS9_8equal_toIvEEiEE10hipError_tPvRmT2_T3_T4_T5_mT6_T7_P12ihipStream_tbENKUlT_T0_E_clISt17integral_constantIbLb1EES14_EEDaSZ_S10_EUlSZ_E_NS1_11comp_targetILNS1_3genE10ELNS1_11target_archE1200ELNS1_3gpuE4ELNS1_3repE0EEENS1_30default_config_static_selectorELNS0_4arch9wavefront6targetE0EEEvT1_.num_agpr, 0
	.set _ZN7rocprim17ROCPRIM_400000_NS6detail17trampoline_kernelINS0_14default_configENS1_27scan_by_key_config_selectorIiiEEZZNS1_16scan_by_key_implILNS1_25lookback_scan_determinismE0ELb0ES3_N6thrust23THRUST_200600_302600_NS6detail15normal_iteratorINS9_10device_ptrIiEEEENS9_18transform_iteratorINS9_6negateIiEESE_NS9_11use_defaultESI_EESE_iNS9_4plusIvEENS9_8equal_toIvEEiEE10hipError_tPvRmT2_T3_T4_T5_mT6_T7_P12ihipStream_tbENKUlT_T0_E_clISt17integral_constantIbLb1EES14_EEDaSZ_S10_EUlSZ_E_NS1_11comp_targetILNS1_3genE10ELNS1_11target_archE1200ELNS1_3gpuE4ELNS1_3repE0EEENS1_30default_config_static_selectorELNS0_4arch9wavefront6targetE0EEEvT1_.numbered_sgpr, 0
	.set _ZN7rocprim17ROCPRIM_400000_NS6detail17trampoline_kernelINS0_14default_configENS1_27scan_by_key_config_selectorIiiEEZZNS1_16scan_by_key_implILNS1_25lookback_scan_determinismE0ELb0ES3_N6thrust23THRUST_200600_302600_NS6detail15normal_iteratorINS9_10device_ptrIiEEEENS9_18transform_iteratorINS9_6negateIiEESE_NS9_11use_defaultESI_EESE_iNS9_4plusIvEENS9_8equal_toIvEEiEE10hipError_tPvRmT2_T3_T4_T5_mT6_T7_P12ihipStream_tbENKUlT_T0_E_clISt17integral_constantIbLb1EES14_EEDaSZ_S10_EUlSZ_E_NS1_11comp_targetILNS1_3genE10ELNS1_11target_archE1200ELNS1_3gpuE4ELNS1_3repE0EEENS1_30default_config_static_selectorELNS0_4arch9wavefront6targetE0EEEvT1_.num_named_barrier, 0
	.set _ZN7rocprim17ROCPRIM_400000_NS6detail17trampoline_kernelINS0_14default_configENS1_27scan_by_key_config_selectorIiiEEZZNS1_16scan_by_key_implILNS1_25lookback_scan_determinismE0ELb0ES3_N6thrust23THRUST_200600_302600_NS6detail15normal_iteratorINS9_10device_ptrIiEEEENS9_18transform_iteratorINS9_6negateIiEESE_NS9_11use_defaultESI_EESE_iNS9_4plusIvEENS9_8equal_toIvEEiEE10hipError_tPvRmT2_T3_T4_T5_mT6_T7_P12ihipStream_tbENKUlT_T0_E_clISt17integral_constantIbLb1EES14_EEDaSZ_S10_EUlSZ_E_NS1_11comp_targetILNS1_3genE10ELNS1_11target_archE1200ELNS1_3gpuE4ELNS1_3repE0EEENS1_30default_config_static_selectorELNS0_4arch9wavefront6targetE0EEEvT1_.private_seg_size, 0
	.set _ZN7rocprim17ROCPRIM_400000_NS6detail17trampoline_kernelINS0_14default_configENS1_27scan_by_key_config_selectorIiiEEZZNS1_16scan_by_key_implILNS1_25lookback_scan_determinismE0ELb0ES3_N6thrust23THRUST_200600_302600_NS6detail15normal_iteratorINS9_10device_ptrIiEEEENS9_18transform_iteratorINS9_6negateIiEESE_NS9_11use_defaultESI_EESE_iNS9_4plusIvEENS9_8equal_toIvEEiEE10hipError_tPvRmT2_T3_T4_T5_mT6_T7_P12ihipStream_tbENKUlT_T0_E_clISt17integral_constantIbLb1EES14_EEDaSZ_S10_EUlSZ_E_NS1_11comp_targetILNS1_3genE10ELNS1_11target_archE1200ELNS1_3gpuE4ELNS1_3repE0EEENS1_30default_config_static_selectorELNS0_4arch9wavefront6targetE0EEEvT1_.uses_vcc, 0
	.set _ZN7rocprim17ROCPRIM_400000_NS6detail17trampoline_kernelINS0_14default_configENS1_27scan_by_key_config_selectorIiiEEZZNS1_16scan_by_key_implILNS1_25lookback_scan_determinismE0ELb0ES3_N6thrust23THRUST_200600_302600_NS6detail15normal_iteratorINS9_10device_ptrIiEEEENS9_18transform_iteratorINS9_6negateIiEESE_NS9_11use_defaultESI_EESE_iNS9_4plusIvEENS9_8equal_toIvEEiEE10hipError_tPvRmT2_T3_T4_T5_mT6_T7_P12ihipStream_tbENKUlT_T0_E_clISt17integral_constantIbLb1EES14_EEDaSZ_S10_EUlSZ_E_NS1_11comp_targetILNS1_3genE10ELNS1_11target_archE1200ELNS1_3gpuE4ELNS1_3repE0EEENS1_30default_config_static_selectorELNS0_4arch9wavefront6targetE0EEEvT1_.uses_flat_scratch, 0
	.set _ZN7rocprim17ROCPRIM_400000_NS6detail17trampoline_kernelINS0_14default_configENS1_27scan_by_key_config_selectorIiiEEZZNS1_16scan_by_key_implILNS1_25lookback_scan_determinismE0ELb0ES3_N6thrust23THRUST_200600_302600_NS6detail15normal_iteratorINS9_10device_ptrIiEEEENS9_18transform_iteratorINS9_6negateIiEESE_NS9_11use_defaultESI_EESE_iNS9_4plusIvEENS9_8equal_toIvEEiEE10hipError_tPvRmT2_T3_T4_T5_mT6_T7_P12ihipStream_tbENKUlT_T0_E_clISt17integral_constantIbLb1EES14_EEDaSZ_S10_EUlSZ_E_NS1_11comp_targetILNS1_3genE10ELNS1_11target_archE1200ELNS1_3gpuE4ELNS1_3repE0EEENS1_30default_config_static_selectorELNS0_4arch9wavefront6targetE0EEEvT1_.has_dyn_sized_stack, 0
	.set _ZN7rocprim17ROCPRIM_400000_NS6detail17trampoline_kernelINS0_14default_configENS1_27scan_by_key_config_selectorIiiEEZZNS1_16scan_by_key_implILNS1_25lookback_scan_determinismE0ELb0ES3_N6thrust23THRUST_200600_302600_NS6detail15normal_iteratorINS9_10device_ptrIiEEEENS9_18transform_iteratorINS9_6negateIiEESE_NS9_11use_defaultESI_EESE_iNS9_4plusIvEENS9_8equal_toIvEEiEE10hipError_tPvRmT2_T3_T4_T5_mT6_T7_P12ihipStream_tbENKUlT_T0_E_clISt17integral_constantIbLb1EES14_EEDaSZ_S10_EUlSZ_E_NS1_11comp_targetILNS1_3genE10ELNS1_11target_archE1200ELNS1_3gpuE4ELNS1_3repE0EEENS1_30default_config_static_selectorELNS0_4arch9wavefront6targetE0EEEvT1_.has_recursion, 0
	.set _ZN7rocprim17ROCPRIM_400000_NS6detail17trampoline_kernelINS0_14default_configENS1_27scan_by_key_config_selectorIiiEEZZNS1_16scan_by_key_implILNS1_25lookback_scan_determinismE0ELb0ES3_N6thrust23THRUST_200600_302600_NS6detail15normal_iteratorINS9_10device_ptrIiEEEENS9_18transform_iteratorINS9_6negateIiEESE_NS9_11use_defaultESI_EESE_iNS9_4plusIvEENS9_8equal_toIvEEiEE10hipError_tPvRmT2_T3_T4_T5_mT6_T7_P12ihipStream_tbENKUlT_T0_E_clISt17integral_constantIbLb1EES14_EEDaSZ_S10_EUlSZ_E_NS1_11comp_targetILNS1_3genE10ELNS1_11target_archE1200ELNS1_3gpuE4ELNS1_3repE0EEENS1_30default_config_static_selectorELNS0_4arch9wavefront6targetE0EEEvT1_.has_indirect_call, 0
	.section	.AMDGPU.csdata,"",@progbits
; Kernel info:
; codeLenInByte = 0
; TotalNumSgprs: 0
; NumVgprs: 0
; ScratchSize: 0
; MemoryBound: 0
; FloatMode: 240
; IeeeMode: 1
; LDSByteSize: 0 bytes/workgroup (compile time only)
; SGPRBlocks: 0
; VGPRBlocks: 0
; NumSGPRsForWavesPerEU: 1
; NumVGPRsForWavesPerEU: 1
; NamedBarCnt: 0
; Occupancy: 16
; WaveLimiterHint : 0
; COMPUTE_PGM_RSRC2:SCRATCH_EN: 0
; COMPUTE_PGM_RSRC2:USER_SGPR: 2
; COMPUTE_PGM_RSRC2:TRAP_HANDLER: 0
; COMPUTE_PGM_RSRC2:TGID_X_EN: 1
; COMPUTE_PGM_RSRC2:TGID_Y_EN: 0
; COMPUTE_PGM_RSRC2:TGID_Z_EN: 0
; COMPUTE_PGM_RSRC2:TIDIG_COMP_CNT: 0
	.section	.text._ZN7rocprim17ROCPRIM_400000_NS6detail17trampoline_kernelINS0_14default_configENS1_27scan_by_key_config_selectorIiiEEZZNS1_16scan_by_key_implILNS1_25lookback_scan_determinismE0ELb0ES3_N6thrust23THRUST_200600_302600_NS6detail15normal_iteratorINS9_10device_ptrIiEEEENS9_18transform_iteratorINS9_6negateIiEESE_NS9_11use_defaultESI_EESE_iNS9_4plusIvEENS9_8equal_toIvEEiEE10hipError_tPvRmT2_T3_T4_T5_mT6_T7_P12ihipStream_tbENKUlT_T0_E_clISt17integral_constantIbLb1EES14_EEDaSZ_S10_EUlSZ_E_NS1_11comp_targetILNS1_3genE9ELNS1_11target_archE1100ELNS1_3gpuE3ELNS1_3repE0EEENS1_30default_config_static_selectorELNS0_4arch9wavefront6targetE0EEEvT1_,"axG",@progbits,_ZN7rocprim17ROCPRIM_400000_NS6detail17trampoline_kernelINS0_14default_configENS1_27scan_by_key_config_selectorIiiEEZZNS1_16scan_by_key_implILNS1_25lookback_scan_determinismE0ELb0ES3_N6thrust23THRUST_200600_302600_NS6detail15normal_iteratorINS9_10device_ptrIiEEEENS9_18transform_iteratorINS9_6negateIiEESE_NS9_11use_defaultESI_EESE_iNS9_4plusIvEENS9_8equal_toIvEEiEE10hipError_tPvRmT2_T3_T4_T5_mT6_T7_P12ihipStream_tbENKUlT_T0_E_clISt17integral_constantIbLb1EES14_EEDaSZ_S10_EUlSZ_E_NS1_11comp_targetILNS1_3genE9ELNS1_11target_archE1100ELNS1_3gpuE3ELNS1_3repE0EEENS1_30default_config_static_selectorELNS0_4arch9wavefront6targetE0EEEvT1_,comdat
	.protected	_ZN7rocprim17ROCPRIM_400000_NS6detail17trampoline_kernelINS0_14default_configENS1_27scan_by_key_config_selectorIiiEEZZNS1_16scan_by_key_implILNS1_25lookback_scan_determinismE0ELb0ES3_N6thrust23THRUST_200600_302600_NS6detail15normal_iteratorINS9_10device_ptrIiEEEENS9_18transform_iteratorINS9_6negateIiEESE_NS9_11use_defaultESI_EESE_iNS9_4plusIvEENS9_8equal_toIvEEiEE10hipError_tPvRmT2_T3_T4_T5_mT6_T7_P12ihipStream_tbENKUlT_T0_E_clISt17integral_constantIbLb1EES14_EEDaSZ_S10_EUlSZ_E_NS1_11comp_targetILNS1_3genE9ELNS1_11target_archE1100ELNS1_3gpuE3ELNS1_3repE0EEENS1_30default_config_static_selectorELNS0_4arch9wavefront6targetE0EEEvT1_ ; -- Begin function _ZN7rocprim17ROCPRIM_400000_NS6detail17trampoline_kernelINS0_14default_configENS1_27scan_by_key_config_selectorIiiEEZZNS1_16scan_by_key_implILNS1_25lookback_scan_determinismE0ELb0ES3_N6thrust23THRUST_200600_302600_NS6detail15normal_iteratorINS9_10device_ptrIiEEEENS9_18transform_iteratorINS9_6negateIiEESE_NS9_11use_defaultESI_EESE_iNS9_4plusIvEENS9_8equal_toIvEEiEE10hipError_tPvRmT2_T3_T4_T5_mT6_T7_P12ihipStream_tbENKUlT_T0_E_clISt17integral_constantIbLb1EES14_EEDaSZ_S10_EUlSZ_E_NS1_11comp_targetILNS1_3genE9ELNS1_11target_archE1100ELNS1_3gpuE3ELNS1_3repE0EEENS1_30default_config_static_selectorELNS0_4arch9wavefront6targetE0EEEvT1_
	.globl	_ZN7rocprim17ROCPRIM_400000_NS6detail17trampoline_kernelINS0_14default_configENS1_27scan_by_key_config_selectorIiiEEZZNS1_16scan_by_key_implILNS1_25lookback_scan_determinismE0ELb0ES3_N6thrust23THRUST_200600_302600_NS6detail15normal_iteratorINS9_10device_ptrIiEEEENS9_18transform_iteratorINS9_6negateIiEESE_NS9_11use_defaultESI_EESE_iNS9_4plusIvEENS9_8equal_toIvEEiEE10hipError_tPvRmT2_T3_T4_T5_mT6_T7_P12ihipStream_tbENKUlT_T0_E_clISt17integral_constantIbLb1EES14_EEDaSZ_S10_EUlSZ_E_NS1_11comp_targetILNS1_3genE9ELNS1_11target_archE1100ELNS1_3gpuE3ELNS1_3repE0EEENS1_30default_config_static_selectorELNS0_4arch9wavefront6targetE0EEEvT1_
	.p2align	8
	.type	_ZN7rocprim17ROCPRIM_400000_NS6detail17trampoline_kernelINS0_14default_configENS1_27scan_by_key_config_selectorIiiEEZZNS1_16scan_by_key_implILNS1_25lookback_scan_determinismE0ELb0ES3_N6thrust23THRUST_200600_302600_NS6detail15normal_iteratorINS9_10device_ptrIiEEEENS9_18transform_iteratorINS9_6negateIiEESE_NS9_11use_defaultESI_EESE_iNS9_4plusIvEENS9_8equal_toIvEEiEE10hipError_tPvRmT2_T3_T4_T5_mT6_T7_P12ihipStream_tbENKUlT_T0_E_clISt17integral_constantIbLb1EES14_EEDaSZ_S10_EUlSZ_E_NS1_11comp_targetILNS1_3genE9ELNS1_11target_archE1100ELNS1_3gpuE3ELNS1_3repE0EEENS1_30default_config_static_selectorELNS0_4arch9wavefront6targetE0EEEvT1_,@function
_ZN7rocprim17ROCPRIM_400000_NS6detail17trampoline_kernelINS0_14default_configENS1_27scan_by_key_config_selectorIiiEEZZNS1_16scan_by_key_implILNS1_25lookback_scan_determinismE0ELb0ES3_N6thrust23THRUST_200600_302600_NS6detail15normal_iteratorINS9_10device_ptrIiEEEENS9_18transform_iteratorINS9_6negateIiEESE_NS9_11use_defaultESI_EESE_iNS9_4plusIvEENS9_8equal_toIvEEiEE10hipError_tPvRmT2_T3_T4_T5_mT6_T7_P12ihipStream_tbENKUlT_T0_E_clISt17integral_constantIbLb1EES14_EEDaSZ_S10_EUlSZ_E_NS1_11comp_targetILNS1_3genE9ELNS1_11target_archE1100ELNS1_3gpuE3ELNS1_3repE0EEENS1_30default_config_static_selectorELNS0_4arch9wavefront6targetE0EEEvT1_: ; @_ZN7rocprim17ROCPRIM_400000_NS6detail17trampoline_kernelINS0_14default_configENS1_27scan_by_key_config_selectorIiiEEZZNS1_16scan_by_key_implILNS1_25lookback_scan_determinismE0ELb0ES3_N6thrust23THRUST_200600_302600_NS6detail15normal_iteratorINS9_10device_ptrIiEEEENS9_18transform_iteratorINS9_6negateIiEESE_NS9_11use_defaultESI_EESE_iNS9_4plusIvEENS9_8equal_toIvEEiEE10hipError_tPvRmT2_T3_T4_T5_mT6_T7_P12ihipStream_tbENKUlT_T0_E_clISt17integral_constantIbLb1EES14_EEDaSZ_S10_EUlSZ_E_NS1_11comp_targetILNS1_3genE9ELNS1_11target_archE1100ELNS1_3gpuE3ELNS1_3repE0EEENS1_30default_config_static_selectorELNS0_4arch9wavefront6targetE0EEEvT1_
; %bb.0:
	.section	.rodata,"a",@progbits
	.p2align	6, 0x0
	.amdhsa_kernel _ZN7rocprim17ROCPRIM_400000_NS6detail17trampoline_kernelINS0_14default_configENS1_27scan_by_key_config_selectorIiiEEZZNS1_16scan_by_key_implILNS1_25lookback_scan_determinismE0ELb0ES3_N6thrust23THRUST_200600_302600_NS6detail15normal_iteratorINS9_10device_ptrIiEEEENS9_18transform_iteratorINS9_6negateIiEESE_NS9_11use_defaultESI_EESE_iNS9_4plusIvEENS9_8equal_toIvEEiEE10hipError_tPvRmT2_T3_T4_T5_mT6_T7_P12ihipStream_tbENKUlT_T0_E_clISt17integral_constantIbLb1EES14_EEDaSZ_S10_EUlSZ_E_NS1_11comp_targetILNS1_3genE9ELNS1_11target_archE1100ELNS1_3gpuE3ELNS1_3repE0EEENS1_30default_config_static_selectorELNS0_4arch9wavefront6targetE0EEEvT1_
		.amdhsa_group_segment_fixed_size 0
		.amdhsa_private_segment_fixed_size 0
		.amdhsa_kernarg_size 120
		.amdhsa_user_sgpr_count 2
		.amdhsa_user_sgpr_dispatch_ptr 0
		.amdhsa_user_sgpr_queue_ptr 0
		.amdhsa_user_sgpr_kernarg_segment_ptr 1
		.amdhsa_user_sgpr_dispatch_id 0
		.amdhsa_user_sgpr_kernarg_preload_length 0
		.amdhsa_user_sgpr_kernarg_preload_offset 0
		.amdhsa_user_sgpr_private_segment_size 0
		.amdhsa_wavefront_size32 1
		.amdhsa_uses_dynamic_stack 0
		.amdhsa_enable_private_segment 0
		.amdhsa_system_sgpr_workgroup_id_x 1
		.amdhsa_system_sgpr_workgroup_id_y 0
		.amdhsa_system_sgpr_workgroup_id_z 0
		.amdhsa_system_sgpr_workgroup_info 0
		.amdhsa_system_vgpr_workitem_id 0
		.amdhsa_next_free_vgpr 1
		.amdhsa_next_free_sgpr 1
		.amdhsa_named_barrier_count 0
		.amdhsa_reserve_vcc 0
		.amdhsa_float_round_mode_32 0
		.amdhsa_float_round_mode_16_64 0
		.amdhsa_float_denorm_mode_32 3
		.amdhsa_float_denorm_mode_16_64 3
		.amdhsa_fp16_overflow 0
		.amdhsa_memory_ordered 1
		.amdhsa_forward_progress 1
		.amdhsa_inst_pref_size 0
		.amdhsa_round_robin_scheduling 0
		.amdhsa_exception_fp_ieee_invalid_op 0
		.amdhsa_exception_fp_denorm_src 0
		.amdhsa_exception_fp_ieee_div_zero 0
		.amdhsa_exception_fp_ieee_overflow 0
		.amdhsa_exception_fp_ieee_underflow 0
		.amdhsa_exception_fp_ieee_inexact 0
		.amdhsa_exception_int_div_zero 0
	.end_amdhsa_kernel
	.section	.text._ZN7rocprim17ROCPRIM_400000_NS6detail17trampoline_kernelINS0_14default_configENS1_27scan_by_key_config_selectorIiiEEZZNS1_16scan_by_key_implILNS1_25lookback_scan_determinismE0ELb0ES3_N6thrust23THRUST_200600_302600_NS6detail15normal_iteratorINS9_10device_ptrIiEEEENS9_18transform_iteratorINS9_6negateIiEESE_NS9_11use_defaultESI_EESE_iNS9_4plusIvEENS9_8equal_toIvEEiEE10hipError_tPvRmT2_T3_T4_T5_mT6_T7_P12ihipStream_tbENKUlT_T0_E_clISt17integral_constantIbLb1EES14_EEDaSZ_S10_EUlSZ_E_NS1_11comp_targetILNS1_3genE9ELNS1_11target_archE1100ELNS1_3gpuE3ELNS1_3repE0EEENS1_30default_config_static_selectorELNS0_4arch9wavefront6targetE0EEEvT1_,"axG",@progbits,_ZN7rocprim17ROCPRIM_400000_NS6detail17trampoline_kernelINS0_14default_configENS1_27scan_by_key_config_selectorIiiEEZZNS1_16scan_by_key_implILNS1_25lookback_scan_determinismE0ELb0ES3_N6thrust23THRUST_200600_302600_NS6detail15normal_iteratorINS9_10device_ptrIiEEEENS9_18transform_iteratorINS9_6negateIiEESE_NS9_11use_defaultESI_EESE_iNS9_4plusIvEENS9_8equal_toIvEEiEE10hipError_tPvRmT2_T3_T4_T5_mT6_T7_P12ihipStream_tbENKUlT_T0_E_clISt17integral_constantIbLb1EES14_EEDaSZ_S10_EUlSZ_E_NS1_11comp_targetILNS1_3genE9ELNS1_11target_archE1100ELNS1_3gpuE3ELNS1_3repE0EEENS1_30default_config_static_selectorELNS0_4arch9wavefront6targetE0EEEvT1_,comdat
.Lfunc_end945:
	.size	_ZN7rocprim17ROCPRIM_400000_NS6detail17trampoline_kernelINS0_14default_configENS1_27scan_by_key_config_selectorIiiEEZZNS1_16scan_by_key_implILNS1_25lookback_scan_determinismE0ELb0ES3_N6thrust23THRUST_200600_302600_NS6detail15normal_iteratorINS9_10device_ptrIiEEEENS9_18transform_iteratorINS9_6negateIiEESE_NS9_11use_defaultESI_EESE_iNS9_4plusIvEENS9_8equal_toIvEEiEE10hipError_tPvRmT2_T3_T4_T5_mT6_T7_P12ihipStream_tbENKUlT_T0_E_clISt17integral_constantIbLb1EES14_EEDaSZ_S10_EUlSZ_E_NS1_11comp_targetILNS1_3genE9ELNS1_11target_archE1100ELNS1_3gpuE3ELNS1_3repE0EEENS1_30default_config_static_selectorELNS0_4arch9wavefront6targetE0EEEvT1_, .Lfunc_end945-_ZN7rocprim17ROCPRIM_400000_NS6detail17trampoline_kernelINS0_14default_configENS1_27scan_by_key_config_selectorIiiEEZZNS1_16scan_by_key_implILNS1_25lookback_scan_determinismE0ELb0ES3_N6thrust23THRUST_200600_302600_NS6detail15normal_iteratorINS9_10device_ptrIiEEEENS9_18transform_iteratorINS9_6negateIiEESE_NS9_11use_defaultESI_EESE_iNS9_4plusIvEENS9_8equal_toIvEEiEE10hipError_tPvRmT2_T3_T4_T5_mT6_T7_P12ihipStream_tbENKUlT_T0_E_clISt17integral_constantIbLb1EES14_EEDaSZ_S10_EUlSZ_E_NS1_11comp_targetILNS1_3genE9ELNS1_11target_archE1100ELNS1_3gpuE3ELNS1_3repE0EEENS1_30default_config_static_selectorELNS0_4arch9wavefront6targetE0EEEvT1_
                                        ; -- End function
	.set _ZN7rocprim17ROCPRIM_400000_NS6detail17trampoline_kernelINS0_14default_configENS1_27scan_by_key_config_selectorIiiEEZZNS1_16scan_by_key_implILNS1_25lookback_scan_determinismE0ELb0ES3_N6thrust23THRUST_200600_302600_NS6detail15normal_iteratorINS9_10device_ptrIiEEEENS9_18transform_iteratorINS9_6negateIiEESE_NS9_11use_defaultESI_EESE_iNS9_4plusIvEENS9_8equal_toIvEEiEE10hipError_tPvRmT2_T3_T4_T5_mT6_T7_P12ihipStream_tbENKUlT_T0_E_clISt17integral_constantIbLb1EES14_EEDaSZ_S10_EUlSZ_E_NS1_11comp_targetILNS1_3genE9ELNS1_11target_archE1100ELNS1_3gpuE3ELNS1_3repE0EEENS1_30default_config_static_selectorELNS0_4arch9wavefront6targetE0EEEvT1_.num_vgpr, 0
	.set _ZN7rocprim17ROCPRIM_400000_NS6detail17trampoline_kernelINS0_14default_configENS1_27scan_by_key_config_selectorIiiEEZZNS1_16scan_by_key_implILNS1_25lookback_scan_determinismE0ELb0ES3_N6thrust23THRUST_200600_302600_NS6detail15normal_iteratorINS9_10device_ptrIiEEEENS9_18transform_iteratorINS9_6negateIiEESE_NS9_11use_defaultESI_EESE_iNS9_4plusIvEENS9_8equal_toIvEEiEE10hipError_tPvRmT2_T3_T4_T5_mT6_T7_P12ihipStream_tbENKUlT_T0_E_clISt17integral_constantIbLb1EES14_EEDaSZ_S10_EUlSZ_E_NS1_11comp_targetILNS1_3genE9ELNS1_11target_archE1100ELNS1_3gpuE3ELNS1_3repE0EEENS1_30default_config_static_selectorELNS0_4arch9wavefront6targetE0EEEvT1_.num_agpr, 0
	.set _ZN7rocprim17ROCPRIM_400000_NS6detail17trampoline_kernelINS0_14default_configENS1_27scan_by_key_config_selectorIiiEEZZNS1_16scan_by_key_implILNS1_25lookback_scan_determinismE0ELb0ES3_N6thrust23THRUST_200600_302600_NS6detail15normal_iteratorINS9_10device_ptrIiEEEENS9_18transform_iteratorINS9_6negateIiEESE_NS9_11use_defaultESI_EESE_iNS9_4plusIvEENS9_8equal_toIvEEiEE10hipError_tPvRmT2_T3_T4_T5_mT6_T7_P12ihipStream_tbENKUlT_T0_E_clISt17integral_constantIbLb1EES14_EEDaSZ_S10_EUlSZ_E_NS1_11comp_targetILNS1_3genE9ELNS1_11target_archE1100ELNS1_3gpuE3ELNS1_3repE0EEENS1_30default_config_static_selectorELNS0_4arch9wavefront6targetE0EEEvT1_.numbered_sgpr, 0
	.set _ZN7rocprim17ROCPRIM_400000_NS6detail17trampoline_kernelINS0_14default_configENS1_27scan_by_key_config_selectorIiiEEZZNS1_16scan_by_key_implILNS1_25lookback_scan_determinismE0ELb0ES3_N6thrust23THRUST_200600_302600_NS6detail15normal_iteratorINS9_10device_ptrIiEEEENS9_18transform_iteratorINS9_6negateIiEESE_NS9_11use_defaultESI_EESE_iNS9_4plusIvEENS9_8equal_toIvEEiEE10hipError_tPvRmT2_T3_T4_T5_mT6_T7_P12ihipStream_tbENKUlT_T0_E_clISt17integral_constantIbLb1EES14_EEDaSZ_S10_EUlSZ_E_NS1_11comp_targetILNS1_3genE9ELNS1_11target_archE1100ELNS1_3gpuE3ELNS1_3repE0EEENS1_30default_config_static_selectorELNS0_4arch9wavefront6targetE0EEEvT1_.num_named_barrier, 0
	.set _ZN7rocprim17ROCPRIM_400000_NS6detail17trampoline_kernelINS0_14default_configENS1_27scan_by_key_config_selectorIiiEEZZNS1_16scan_by_key_implILNS1_25lookback_scan_determinismE0ELb0ES3_N6thrust23THRUST_200600_302600_NS6detail15normal_iteratorINS9_10device_ptrIiEEEENS9_18transform_iteratorINS9_6negateIiEESE_NS9_11use_defaultESI_EESE_iNS9_4plusIvEENS9_8equal_toIvEEiEE10hipError_tPvRmT2_T3_T4_T5_mT6_T7_P12ihipStream_tbENKUlT_T0_E_clISt17integral_constantIbLb1EES14_EEDaSZ_S10_EUlSZ_E_NS1_11comp_targetILNS1_3genE9ELNS1_11target_archE1100ELNS1_3gpuE3ELNS1_3repE0EEENS1_30default_config_static_selectorELNS0_4arch9wavefront6targetE0EEEvT1_.private_seg_size, 0
	.set _ZN7rocprim17ROCPRIM_400000_NS6detail17trampoline_kernelINS0_14default_configENS1_27scan_by_key_config_selectorIiiEEZZNS1_16scan_by_key_implILNS1_25lookback_scan_determinismE0ELb0ES3_N6thrust23THRUST_200600_302600_NS6detail15normal_iteratorINS9_10device_ptrIiEEEENS9_18transform_iteratorINS9_6negateIiEESE_NS9_11use_defaultESI_EESE_iNS9_4plusIvEENS9_8equal_toIvEEiEE10hipError_tPvRmT2_T3_T4_T5_mT6_T7_P12ihipStream_tbENKUlT_T0_E_clISt17integral_constantIbLb1EES14_EEDaSZ_S10_EUlSZ_E_NS1_11comp_targetILNS1_3genE9ELNS1_11target_archE1100ELNS1_3gpuE3ELNS1_3repE0EEENS1_30default_config_static_selectorELNS0_4arch9wavefront6targetE0EEEvT1_.uses_vcc, 0
	.set _ZN7rocprim17ROCPRIM_400000_NS6detail17trampoline_kernelINS0_14default_configENS1_27scan_by_key_config_selectorIiiEEZZNS1_16scan_by_key_implILNS1_25lookback_scan_determinismE0ELb0ES3_N6thrust23THRUST_200600_302600_NS6detail15normal_iteratorINS9_10device_ptrIiEEEENS9_18transform_iteratorINS9_6negateIiEESE_NS9_11use_defaultESI_EESE_iNS9_4plusIvEENS9_8equal_toIvEEiEE10hipError_tPvRmT2_T3_T4_T5_mT6_T7_P12ihipStream_tbENKUlT_T0_E_clISt17integral_constantIbLb1EES14_EEDaSZ_S10_EUlSZ_E_NS1_11comp_targetILNS1_3genE9ELNS1_11target_archE1100ELNS1_3gpuE3ELNS1_3repE0EEENS1_30default_config_static_selectorELNS0_4arch9wavefront6targetE0EEEvT1_.uses_flat_scratch, 0
	.set _ZN7rocprim17ROCPRIM_400000_NS6detail17trampoline_kernelINS0_14default_configENS1_27scan_by_key_config_selectorIiiEEZZNS1_16scan_by_key_implILNS1_25lookback_scan_determinismE0ELb0ES3_N6thrust23THRUST_200600_302600_NS6detail15normal_iteratorINS9_10device_ptrIiEEEENS9_18transform_iteratorINS9_6negateIiEESE_NS9_11use_defaultESI_EESE_iNS9_4plusIvEENS9_8equal_toIvEEiEE10hipError_tPvRmT2_T3_T4_T5_mT6_T7_P12ihipStream_tbENKUlT_T0_E_clISt17integral_constantIbLb1EES14_EEDaSZ_S10_EUlSZ_E_NS1_11comp_targetILNS1_3genE9ELNS1_11target_archE1100ELNS1_3gpuE3ELNS1_3repE0EEENS1_30default_config_static_selectorELNS0_4arch9wavefront6targetE0EEEvT1_.has_dyn_sized_stack, 0
	.set _ZN7rocprim17ROCPRIM_400000_NS6detail17trampoline_kernelINS0_14default_configENS1_27scan_by_key_config_selectorIiiEEZZNS1_16scan_by_key_implILNS1_25lookback_scan_determinismE0ELb0ES3_N6thrust23THRUST_200600_302600_NS6detail15normal_iteratorINS9_10device_ptrIiEEEENS9_18transform_iteratorINS9_6negateIiEESE_NS9_11use_defaultESI_EESE_iNS9_4plusIvEENS9_8equal_toIvEEiEE10hipError_tPvRmT2_T3_T4_T5_mT6_T7_P12ihipStream_tbENKUlT_T0_E_clISt17integral_constantIbLb1EES14_EEDaSZ_S10_EUlSZ_E_NS1_11comp_targetILNS1_3genE9ELNS1_11target_archE1100ELNS1_3gpuE3ELNS1_3repE0EEENS1_30default_config_static_selectorELNS0_4arch9wavefront6targetE0EEEvT1_.has_recursion, 0
	.set _ZN7rocprim17ROCPRIM_400000_NS6detail17trampoline_kernelINS0_14default_configENS1_27scan_by_key_config_selectorIiiEEZZNS1_16scan_by_key_implILNS1_25lookback_scan_determinismE0ELb0ES3_N6thrust23THRUST_200600_302600_NS6detail15normal_iteratorINS9_10device_ptrIiEEEENS9_18transform_iteratorINS9_6negateIiEESE_NS9_11use_defaultESI_EESE_iNS9_4plusIvEENS9_8equal_toIvEEiEE10hipError_tPvRmT2_T3_T4_T5_mT6_T7_P12ihipStream_tbENKUlT_T0_E_clISt17integral_constantIbLb1EES14_EEDaSZ_S10_EUlSZ_E_NS1_11comp_targetILNS1_3genE9ELNS1_11target_archE1100ELNS1_3gpuE3ELNS1_3repE0EEENS1_30default_config_static_selectorELNS0_4arch9wavefront6targetE0EEEvT1_.has_indirect_call, 0
	.section	.AMDGPU.csdata,"",@progbits
; Kernel info:
; codeLenInByte = 0
; TotalNumSgprs: 0
; NumVgprs: 0
; ScratchSize: 0
; MemoryBound: 0
; FloatMode: 240
; IeeeMode: 1
; LDSByteSize: 0 bytes/workgroup (compile time only)
; SGPRBlocks: 0
; VGPRBlocks: 0
; NumSGPRsForWavesPerEU: 1
; NumVGPRsForWavesPerEU: 1
; NamedBarCnt: 0
; Occupancy: 16
; WaveLimiterHint : 0
; COMPUTE_PGM_RSRC2:SCRATCH_EN: 0
; COMPUTE_PGM_RSRC2:USER_SGPR: 2
; COMPUTE_PGM_RSRC2:TRAP_HANDLER: 0
; COMPUTE_PGM_RSRC2:TGID_X_EN: 1
; COMPUTE_PGM_RSRC2:TGID_Y_EN: 0
; COMPUTE_PGM_RSRC2:TGID_Z_EN: 0
; COMPUTE_PGM_RSRC2:TIDIG_COMP_CNT: 0
	.section	.text._ZN7rocprim17ROCPRIM_400000_NS6detail17trampoline_kernelINS0_14default_configENS1_27scan_by_key_config_selectorIiiEEZZNS1_16scan_by_key_implILNS1_25lookback_scan_determinismE0ELb0ES3_N6thrust23THRUST_200600_302600_NS6detail15normal_iteratorINS9_10device_ptrIiEEEENS9_18transform_iteratorINS9_6negateIiEESE_NS9_11use_defaultESI_EESE_iNS9_4plusIvEENS9_8equal_toIvEEiEE10hipError_tPvRmT2_T3_T4_T5_mT6_T7_P12ihipStream_tbENKUlT_T0_E_clISt17integral_constantIbLb1EES14_EEDaSZ_S10_EUlSZ_E_NS1_11comp_targetILNS1_3genE8ELNS1_11target_archE1030ELNS1_3gpuE2ELNS1_3repE0EEENS1_30default_config_static_selectorELNS0_4arch9wavefront6targetE0EEEvT1_,"axG",@progbits,_ZN7rocprim17ROCPRIM_400000_NS6detail17trampoline_kernelINS0_14default_configENS1_27scan_by_key_config_selectorIiiEEZZNS1_16scan_by_key_implILNS1_25lookback_scan_determinismE0ELb0ES3_N6thrust23THRUST_200600_302600_NS6detail15normal_iteratorINS9_10device_ptrIiEEEENS9_18transform_iteratorINS9_6negateIiEESE_NS9_11use_defaultESI_EESE_iNS9_4plusIvEENS9_8equal_toIvEEiEE10hipError_tPvRmT2_T3_T4_T5_mT6_T7_P12ihipStream_tbENKUlT_T0_E_clISt17integral_constantIbLb1EES14_EEDaSZ_S10_EUlSZ_E_NS1_11comp_targetILNS1_3genE8ELNS1_11target_archE1030ELNS1_3gpuE2ELNS1_3repE0EEENS1_30default_config_static_selectorELNS0_4arch9wavefront6targetE0EEEvT1_,comdat
	.protected	_ZN7rocprim17ROCPRIM_400000_NS6detail17trampoline_kernelINS0_14default_configENS1_27scan_by_key_config_selectorIiiEEZZNS1_16scan_by_key_implILNS1_25lookback_scan_determinismE0ELb0ES3_N6thrust23THRUST_200600_302600_NS6detail15normal_iteratorINS9_10device_ptrIiEEEENS9_18transform_iteratorINS9_6negateIiEESE_NS9_11use_defaultESI_EESE_iNS9_4plusIvEENS9_8equal_toIvEEiEE10hipError_tPvRmT2_T3_T4_T5_mT6_T7_P12ihipStream_tbENKUlT_T0_E_clISt17integral_constantIbLb1EES14_EEDaSZ_S10_EUlSZ_E_NS1_11comp_targetILNS1_3genE8ELNS1_11target_archE1030ELNS1_3gpuE2ELNS1_3repE0EEENS1_30default_config_static_selectorELNS0_4arch9wavefront6targetE0EEEvT1_ ; -- Begin function _ZN7rocprim17ROCPRIM_400000_NS6detail17trampoline_kernelINS0_14default_configENS1_27scan_by_key_config_selectorIiiEEZZNS1_16scan_by_key_implILNS1_25lookback_scan_determinismE0ELb0ES3_N6thrust23THRUST_200600_302600_NS6detail15normal_iteratorINS9_10device_ptrIiEEEENS9_18transform_iteratorINS9_6negateIiEESE_NS9_11use_defaultESI_EESE_iNS9_4plusIvEENS9_8equal_toIvEEiEE10hipError_tPvRmT2_T3_T4_T5_mT6_T7_P12ihipStream_tbENKUlT_T0_E_clISt17integral_constantIbLb1EES14_EEDaSZ_S10_EUlSZ_E_NS1_11comp_targetILNS1_3genE8ELNS1_11target_archE1030ELNS1_3gpuE2ELNS1_3repE0EEENS1_30default_config_static_selectorELNS0_4arch9wavefront6targetE0EEEvT1_
	.globl	_ZN7rocprim17ROCPRIM_400000_NS6detail17trampoline_kernelINS0_14default_configENS1_27scan_by_key_config_selectorIiiEEZZNS1_16scan_by_key_implILNS1_25lookback_scan_determinismE0ELb0ES3_N6thrust23THRUST_200600_302600_NS6detail15normal_iteratorINS9_10device_ptrIiEEEENS9_18transform_iteratorINS9_6negateIiEESE_NS9_11use_defaultESI_EESE_iNS9_4plusIvEENS9_8equal_toIvEEiEE10hipError_tPvRmT2_T3_T4_T5_mT6_T7_P12ihipStream_tbENKUlT_T0_E_clISt17integral_constantIbLb1EES14_EEDaSZ_S10_EUlSZ_E_NS1_11comp_targetILNS1_3genE8ELNS1_11target_archE1030ELNS1_3gpuE2ELNS1_3repE0EEENS1_30default_config_static_selectorELNS0_4arch9wavefront6targetE0EEEvT1_
	.p2align	8
	.type	_ZN7rocprim17ROCPRIM_400000_NS6detail17trampoline_kernelINS0_14default_configENS1_27scan_by_key_config_selectorIiiEEZZNS1_16scan_by_key_implILNS1_25lookback_scan_determinismE0ELb0ES3_N6thrust23THRUST_200600_302600_NS6detail15normal_iteratorINS9_10device_ptrIiEEEENS9_18transform_iteratorINS9_6negateIiEESE_NS9_11use_defaultESI_EESE_iNS9_4plusIvEENS9_8equal_toIvEEiEE10hipError_tPvRmT2_T3_T4_T5_mT6_T7_P12ihipStream_tbENKUlT_T0_E_clISt17integral_constantIbLb1EES14_EEDaSZ_S10_EUlSZ_E_NS1_11comp_targetILNS1_3genE8ELNS1_11target_archE1030ELNS1_3gpuE2ELNS1_3repE0EEENS1_30default_config_static_selectorELNS0_4arch9wavefront6targetE0EEEvT1_,@function
_ZN7rocprim17ROCPRIM_400000_NS6detail17trampoline_kernelINS0_14default_configENS1_27scan_by_key_config_selectorIiiEEZZNS1_16scan_by_key_implILNS1_25lookback_scan_determinismE0ELb0ES3_N6thrust23THRUST_200600_302600_NS6detail15normal_iteratorINS9_10device_ptrIiEEEENS9_18transform_iteratorINS9_6negateIiEESE_NS9_11use_defaultESI_EESE_iNS9_4plusIvEENS9_8equal_toIvEEiEE10hipError_tPvRmT2_T3_T4_T5_mT6_T7_P12ihipStream_tbENKUlT_T0_E_clISt17integral_constantIbLb1EES14_EEDaSZ_S10_EUlSZ_E_NS1_11comp_targetILNS1_3genE8ELNS1_11target_archE1030ELNS1_3gpuE2ELNS1_3repE0EEENS1_30default_config_static_selectorELNS0_4arch9wavefront6targetE0EEEvT1_: ; @_ZN7rocprim17ROCPRIM_400000_NS6detail17trampoline_kernelINS0_14default_configENS1_27scan_by_key_config_selectorIiiEEZZNS1_16scan_by_key_implILNS1_25lookback_scan_determinismE0ELb0ES3_N6thrust23THRUST_200600_302600_NS6detail15normal_iteratorINS9_10device_ptrIiEEEENS9_18transform_iteratorINS9_6negateIiEESE_NS9_11use_defaultESI_EESE_iNS9_4plusIvEENS9_8equal_toIvEEiEE10hipError_tPvRmT2_T3_T4_T5_mT6_T7_P12ihipStream_tbENKUlT_T0_E_clISt17integral_constantIbLb1EES14_EEDaSZ_S10_EUlSZ_E_NS1_11comp_targetILNS1_3genE8ELNS1_11target_archE1030ELNS1_3gpuE2ELNS1_3repE0EEENS1_30default_config_static_selectorELNS0_4arch9wavefront6targetE0EEEvT1_
; %bb.0:
	.section	.rodata,"a",@progbits
	.p2align	6, 0x0
	.amdhsa_kernel _ZN7rocprim17ROCPRIM_400000_NS6detail17trampoline_kernelINS0_14default_configENS1_27scan_by_key_config_selectorIiiEEZZNS1_16scan_by_key_implILNS1_25lookback_scan_determinismE0ELb0ES3_N6thrust23THRUST_200600_302600_NS6detail15normal_iteratorINS9_10device_ptrIiEEEENS9_18transform_iteratorINS9_6negateIiEESE_NS9_11use_defaultESI_EESE_iNS9_4plusIvEENS9_8equal_toIvEEiEE10hipError_tPvRmT2_T3_T4_T5_mT6_T7_P12ihipStream_tbENKUlT_T0_E_clISt17integral_constantIbLb1EES14_EEDaSZ_S10_EUlSZ_E_NS1_11comp_targetILNS1_3genE8ELNS1_11target_archE1030ELNS1_3gpuE2ELNS1_3repE0EEENS1_30default_config_static_selectorELNS0_4arch9wavefront6targetE0EEEvT1_
		.amdhsa_group_segment_fixed_size 0
		.amdhsa_private_segment_fixed_size 0
		.amdhsa_kernarg_size 120
		.amdhsa_user_sgpr_count 2
		.amdhsa_user_sgpr_dispatch_ptr 0
		.amdhsa_user_sgpr_queue_ptr 0
		.amdhsa_user_sgpr_kernarg_segment_ptr 1
		.amdhsa_user_sgpr_dispatch_id 0
		.amdhsa_user_sgpr_kernarg_preload_length 0
		.amdhsa_user_sgpr_kernarg_preload_offset 0
		.amdhsa_user_sgpr_private_segment_size 0
		.amdhsa_wavefront_size32 1
		.amdhsa_uses_dynamic_stack 0
		.amdhsa_enable_private_segment 0
		.amdhsa_system_sgpr_workgroup_id_x 1
		.amdhsa_system_sgpr_workgroup_id_y 0
		.amdhsa_system_sgpr_workgroup_id_z 0
		.amdhsa_system_sgpr_workgroup_info 0
		.amdhsa_system_vgpr_workitem_id 0
		.amdhsa_next_free_vgpr 1
		.amdhsa_next_free_sgpr 1
		.amdhsa_named_barrier_count 0
		.amdhsa_reserve_vcc 0
		.amdhsa_float_round_mode_32 0
		.amdhsa_float_round_mode_16_64 0
		.amdhsa_float_denorm_mode_32 3
		.amdhsa_float_denorm_mode_16_64 3
		.amdhsa_fp16_overflow 0
		.amdhsa_memory_ordered 1
		.amdhsa_forward_progress 1
		.amdhsa_inst_pref_size 0
		.amdhsa_round_robin_scheduling 0
		.amdhsa_exception_fp_ieee_invalid_op 0
		.amdhsa_exception_fp_denorm_src 0
		.amdhsa_exception_fp_ieee_div_zero 0
		.amdhsa_exception_fp_ieee_overflow 0
		.amdhsa_exception_fp_ieee_underflow 0
		.amdhsa_exception_fp_ieee_inexact 0
		.amdhsa_exception_int_div_zero 0
	.end_amdhsa_kernel
	.section	.text._ZN7rocprim17ROCPRIM_400000_NS6detail17trampoline_kernelINS0_14default_configENS1_27scan_by_key_config_selectorIiiEEZZNS1_16scan_by_key_implILNS1_25lookback_scan_determinismE0ELb0ES3_N6thrust23THRUST_200600_302600_NS6detail15normal_iteratorINS9_10device_ptrIiEEEENS9_18transform_iteratorINS9_6negateIiEESE_NS9_11use_defaultESI_EESE_iNS9_4plusIvEENS9_8equal_toIvEEiEE10hipError_tPvRmT2_T3_T4_T5_mT6_T7_P12ihipStream_tbENKUlT_T0_E_clISt17integral_constantIbLb1EES14_EEDaSZ_S10_EUlSZ_E_NS1_11comp_targetILNS1_3genE8ELNS1_11target_archE1030ELNS1_3gpuE2ELNS1_3repE0EEENS1_30default_config_static_selectorELNS0_4arch9wavefront6targetE0EEEvT1_,"axG",@progbits,_ZN7rocprim17ROCPRIM_400000_NS6detail17trampoline_kernelINS0_14default_configENS1_27scan_by_key_config_selectorIiiEEZZNS1_16scan_by_key_implILNS1_25lookback_scan_determinismE0ELb0ES3_N6thrust23THRUST_200600_302600_NS6detail15normal_iteratorINS9_10device_ptrIiEEEENS9_18transform_iteratorINS9_6negateIiEESE_NS9_11use_defaultESI_EESE_iNS9_4plusIvEENS9_8equal_toIvEEiEE10hipError_tPvRmT2_T3_T4_T5_mT6_T7_P12ihipStream_tbENKUlT_T0_E_clISt17integral_constantIbLb1EES14_EEDaSZ_S10_EUlSZ_E_NS1_11comp_targetILNS1_3genE8ELNS1_11target_archE1030ELNS1_3gpuE2ELNS1_3repE0EEENS1_30default_config_static_selectorELNS0_4arch9wavefront6targetE0EEEvT1_,comdat
.Lfunc_end946:
	.size	_ZN7rocprim17ROCPRIM_400000_NS6detail17trampoline_kernelINS0_14default_configENS1_27scan_by_key_config_selectorIiiEEZZNS1_16scan_by_key_implILNS1_25lookback_scan_determinismE0ELb0ES3_N6thrust23THRUST_200600_302600_NS6detail15normal_iteratorINS9_10device_ptrIiEEEENS9_18transform_iteratorINS9_6negateIiEESE_NS9_11use_defaultESI_EESE_iNS9_4plusIvEENS9_8equal_toIvEEiEE10hipError_tPvRmT2_T3_T4_T5_mT6_T7_P12ihipStream_tbENKUlT_T0_E_clISt17integral_constantIbLb1EES14_EEDaSZ_S10_EUlSZ_E_NS1_11comp_targetILNS1_3genE8ELNS1_11target_archE1030ELNS1_3gpuE2ELNS1_3repE0EEENS1_30default_config_static_selectorELNS0_4arch9wavefront6targetE0EEEvT1_, .Lfunc_end946-_ZN7rocprim17ROCPRIM_400000_NS6detail17trampoline_kernelINS0_14default_configENS1_27scan_by_key_config_selectorIiiEEZZNS1_16scan_by_key_implILNS1_25lookback_scan_determinismE0ELb0ES3_N6thrust23THRUST_200600_302600_NS6detail15normal_iteratorINS9_10device_ptrIiEEEENS9_18transform_iteratorINS9_6negateIiEESE_NS9_11use_defaultESI_EESE_iNS9_4plusIvEENS9_8equal_toIvEEiEE10hipError_tPvRmT2_T3_T4_T5_mT6_T7_P12ihipStream_tbENKUlT_T0_E_clISt17integral_constantIbLb1EES14_EEDaSZ_S10_EUlSZ_E_NS1_11comp_targetILNS1_3genE8ELNS1_11target_archE1030ELNS1_3gpuE2ELNS1_3repE0EEENS1_30default_config_static_selectorELNS0_4arch9wavefront6targetE0EEEvT1_
                                        ; -- End function
	.set _ZN7rocprim17ROCPRIM_400000_NS6detail17trampoline_kernelINS0_14default_configENS1_27scan_by_key_config_selectorIiiEEZZNS1_16scan_by_key_implILNS1_25lookback_scan_determinismE0ELb0ES3_N6thrust23THRUST_200600_302600_NS6detail15normal_iteratorINS9_10device_ptrIiEEEENS9_18transform_iteratorINS9_6negateIiEESE_NS9_11use_defaultESI_EESE_iNS9_4plusIvEENS9_8equal_toIvEEiEE10hipError_tPvRmT2_T3_T4_T5_mT6_T7_P12ihipStream_tbENKUlT_T0_E_clISt17integral_constantIbLb1EES14_EEDaSZ_S10_EUlSZ_E_NS1_11comp_targetILNS1_3genE8ELNS1_11target_archE1030ELNS1_3gpuE2ELNS1_3repE0EEENS1_30default_config_static_selectorELNS0_4arch9wavefront6targetE0EEEvT1_.num_vgpr, 0
	.set _ZN7rocprim17ROCPRIM_400000_NS6detail17trampoline_kernelINS0_14default_configENS1_27scan_by_key_config_selectorIiiEEZZNS1_16scan_by_key_implILNS1_25lookback_scan_determinismE0ELb0ES3_N6thrust23THRUST_200600_302600_NS6detail15normal_iteratorINS9_10device_ptrIiEEEENS9_18transform_iteratorINS9_6negateIiEESE_NS9_11use_defaultESI_EESE_iNS9_4plusIvEENS9_8equal_toIvEEiEE10hipError_tPvRmT2_T3_T4_T5_mT6_T7_P12ihipStream_tbENKUlT_T0_E_clISt17integral_constantIbLb1EES14_EEDaSZ_S10_EUlSZ_E_NS1_11comp_targetILNS1_3genE8ELNS1_11target_archE1030ELNS1_3gpuE2ELNS1_3repE0EEENS1_30default_config_static_selectorELNS0_4arch9wavefront6targetE0EEEvT1_.num_agpr, 0
	.set _ZN7rocprim17ROCPRIM_400000_NS6detail17trampoline_kernelINS0_14default_configENS1_27scan_by_key_config_selectorIiiEEZZNS1_16scan_by_key_implILNS1_25lookback_scan_determinismE0ELb0ES3_N6thrust23THRUST_200600_302600_NS6detail15normal_iteratorINS9_10device_ptrIiEEEENS9_18transform_iteratorINS9_6negateIiEESE_NS9_11use_defaultESI_EESE_iNS9_4plusIvEENS9_8equal_toIvEEiEE10hipError_tPvRmT2_T3_T4_T5_mT6_T7_P12ihipStream_tbENKUlT_T0_E_clISt17integral_constantIbLb1EES14_EEDaSZ_S10_EUlSZ_E_NS1_11comp_targetILNS1_3genE8ELNS1_11target_archE1030ELNS1_3gpuE2ELNS1_3repE0EEENS1_30default_config_static_selectorELNS0_4arch9wavefront6targetE0EEEvT1_.numbered_sgpr, 0
	.set _ZN7rocprim17ROCPRIM_400000_NS6detail17trampoline_kernelINS0_14default_configENS1_27scan_by_key_config_selectorIiiEEZZNS1_16scan_by_key_implILNS1_25lookback_scan_determinismE0ELb0ES3_N6thrust23THRUST_200600_302600_NS6detail15normal_iteratorINS9_10device_ptrIiEEEENS9_18transform_iteratorINS9_6negateIiEESE_NS9_11use_defaultESI_EESE_iNS9_4plusIvEENS9_8equal_toIvEEiEE10hipError_tPvRmT2_T3_T4_T5_mT6_T7_P12ihipStream_tbENKUlT_T0_E_clISt17integral_constantIbLb1EES14_EEDaSZ_S10_EUlSZ_E_NS1_11comp_targetILNS1_3genE8ELNS1_11target_archE1030ELNS1_3gpuE2ELNS1_3repE0EEENS1_30default_config_static_selectorELNS0_4arch9wavefront6targetE0EEEvT1_.num_named_barrier, 0
	.set _ZN7rocprim17ROCPRIM_400000_NS6detail17trampoline_kernelINS0_14default_configENS1_27scan_by_key_config_selectorIiiEEZZNS1_16scan_by_key_implILNS1_25lookback_scan_determinismE0ELb0ES3_N6thrust23THRUST_200600_302600_NS6detail15normal_iteratorINS9_10device_ptrIiEEEENS9_18transform_iteratorINS9_6negateIiEESE_NS9_11use_defaultESI_EESE_iNS9_4plusIvEENS9_8equal_toIvEEiEE10hipError_tPvRmT2_T3_T4_T5_mT6_T7_P12ihipStream_tbENKUlT_T0_E_clISt17integral_constantIbLb1EES14_EEDaSZ_S10_EUlSZ_E_NS1_11comp_targetILNS1_3genE8ELNS1_11target_archE1030ELNS1_3gpuE2ELNS1_3repE0EEENS1_30default_config_static_selectorELNS0_4arch9wavefront6targetE0EEEvT1_.private_seg_size, 0
	.set _ZN7rocprim17ROCPRIM_400000_NS6detail17trampoline_kernelINS0_14default_configENS1_27scan_by_key_config_selectorIiiEEZZNS1_16scan_by_key_implILNS1_25lookback_scan_determinismE0ELb0ES3_N6thrust23THRUST_200600_302600_NS6detail15normal_iteratorINS9_10device_ptrIiEEEENS9_18transform_iteratorINS9_6negateIiEESE_NS9_11use_defaultESI_EESE_iNS9_4plusIvEENS9_8equal_toIvEEiEE10hipError_tPvRmT2_T3_T4_T5_mT6_T7_P12ihipStream_tbENKUlT_T0_E_clISt17integral_constantIbLb1EES14_EEDaSZ_S10_EUlSZ_E_NS1_11comp_targetILNS1_3genE8ELNS1_11target_archE1030ELNS1_3gpuE2ELNS1_3repE0EEENS1_30default_config_static_selectorELNS0_4arch9wavefront6targetE0EEEvT1_.uses_vcc, 0
	.set _ZN7rocprim17ROCPRIM_400000_NS6detail17trampoline_kernelINS0_14default_configENS1_27scan_by_key_config_selectorIiiEEZZNS1_16scan_by_key_implILNS1_25lookback_scan_determinismE0ELb0ES3_N6thrust23THRUST_200600_302600_NS6detail15normal_iteratorINS9_10device_ptrIiEEEENS9_18transform_iteratorINS9_6negateIiEESE_NS9_11use_defaultESI_EESE_iNS9_4plusIvEENS9_8equal_toIvEEiEE10hipError_tPvRmT2_T3_T4_T5_mT6_T7_P12ihipStream_tbENKUlT_T0_E_clISt17integral_constantIbLb1EES14_EEDaSZ_S10_EUlSZ_E_NS1_11comp_targetILNS1_3genE8ELNS1_11target_archE1030ELNS1_3gpuE2ELNS1_3repE0EEENS1_30default_config_static_selectorELNS0_4arch9wavefront6targetE0EEEvT1_.uses_flat_scratch, 0
	.set _ZN7rocprim17ROCPRIM_400000_NS6detail17trampoline_kernelINS0_14default_configENS1_27scan_by_key_config_selectorIiiEEZZNS1_16scan_by_key_implILNS1_25lookback_scan_determinismE0ELb0ES3_N6thrust23THRUST_200600_302600_NS6detail15normal_iteratorINS9_10device_ptrIiEEEENS9_18transform_iteratorINS9_6negateIiEESE_NS9_11use_defaultESI_EESE_iNS9_4plusIvEENS9_8equal_toIvEEiEE10hipError_tPvRmT2_T3_T4_T5_mT6_T7_P12ihipStream_tbENKUlT_T0_E_clISt17integral_constantIbLb1EES14_EEDaSZ_S10_EUlSZ_E_NS1_11comp_targetILNS1_3genE8ELNS1_11target_archE1030ELNS1_3gpuE2ELNS1_3repE0EEENS1_30default_config_static_selectorELNS0_4arch9wavefront6targetE0EEEvT1_.has_dyn_sized_stack, 0
	.set _ZN7rocprim17ROCPRIM_400000_NS6detail17trampoline_kernelINS0_14default_configENS1_27scan_by_key_config_selectorIiiEEZZNS1_16scan_by_key_implILNS1_25lookback_scan_determinismE0ELb0ES3_N6thrust23THRUST_200600_302600_NS6detail15normal_iteratorINS9_10device_ptrIiEEEENS9_18transform_iteratorINS9_6negateIiEESE_NS9_11use_defaultESI_EESE_iNS9_4plusIvEENS9_8equal_toIvEEiEE10hipError_tPvRmT2_T3_T4_T5_mT6_T7_P12ihipStream_tbENKUlT_T0_E_clISt17integral_constantIbLb1EES14_EEDaSZ_S10_EUlSZ_E_NS1_11comp_targetILNS1_3genE8ELNS1_11target_archE1030ELNS1_3gpuE2ELNS1_3repE0EEENS1_30default_config_static_selectorELNS0_4arch9wavefront6targetE0EEEvT1_.has_recursion, 0
	.set _ZN7rocprim17ROCPRIM_400000_NS6detail17trampoline_kernelINS0_14default_configENS1_27scan_by_key_config_selectorIiiEEZZNS1_16scan_by_key_implILNS1_25lookback_scan_determinismE0ELb0ES3_N6thrust23THRUST_200600_302600_NS6detail15normal_iteratorINS9_10device_ptrIiEEEENS9_18transform_iteratorINS9_6negateIiEESE_NS9_11use_defaultESI_EESE_iNS9_4plusIvEENS9_8equal_toIvEEiEE10hipError_tPvRmT2_T3_T4_T5_mT6_T7_P12ihipStream_tbENKUlT_T0_E_clISt17integral_constantIbLb1EES14_EEDaSZ_S10_EUlSZ_E_NS1_11comp_targetILNS1_3genE8ELNS1_11target_archE1030ELNS1_3gpuE2ELNS1_3repE0EEENS1_30default_config_static_selectorELNS0_4arch9wavefront6targetE0EEEvT1_.has_indirect_call, 0
	.section	.AMDGPU.csdata,"",@progbits
; Kernel info:
; codeLenInByte = 0
; TotalNumSgprs: 0
; NumVgprs: 0
; ScratchSize: 0
; MemoryBound: 0
; FloatMode: 240
; IeeeMode: 1
; LDSByteSize: 0 bytes/workgroup (compile time only)
; SGPRBlocks: 0
; VGPRBlocks: 0
; NumSGPRsForWavesPerEU: 1
; NumVGPRsForWavesPerEU: 1
; NamedBarCnt: 0
; Occupancy: 16
; WaveLimiterHint : 0
; COMPUTE_PGM_RSRC2:SCRATCH_EN: 0
; COMPUTE_PGM_RSRC2:USER_SGPR: 2
; COMPUTE_PGM_RSRC2:TRAP_HANDLER: 0
; COMPUTE_PGM_RSRC2:TGID_X_EN: 1
; COMPUTE_PGM_RSRC2:TGID_Y_EN: 0
; COMPUTE_PGM_RSRC2:TGID_Z_EN: 0
; COMPUTE_PGM_RSRC2:TIDIG_COMP_CNT: 0
	.section	.text._ZN7rocprim17ROCPRIM_400000_NS6detail17trampoline_kernelINS0_14default_configENS1_27scan_by_key_config_selectorIiiEEZZNS1_16scan_by_key_implILNS1_25lookback_scan_determinismE0ELb0ES3_N6thrust23THRUST_200600_302600_NS6detail15normal_iteratorINS9_10device_ptrIiEEEENS9_18transform_iteratorINS9_6negateIiEESE_NS9_11use_defaultESI_EESE_iNS9_4plusIvEENS9_8equal_toIvEEiEE10hipError_tPvRmT2_T3_T4_T5_mT6_T7_P12ihipStream_tbENKUlT_T0_E_clISt17integral_constantIbLb1EES13_IbLb0EEEEDaSZ_S10_EUlSZ_E_NS1_11comp_targetILNS1_3genE0ELNS1_11target_archE4294967295ELNS1_3gpuE0ELNS1_3repE0EEENS1_30default_config_static_selectorELNS0_4arch9wavefront6targetE0EEEvT1_,"axG",@progbits,_ZN7rocprim17ROCPRIM_400000_NS6detail17trampoline_kernelINS0_14default_configENS1_27scan_by_key_config_selectorIiiEEZZNS1_16scan_by_key_implILNS1_25lookback_scan_determinismE0ELb0ES3_N6thrust23THRUST_200600_302600_NS6detail15normal_iteratorINS9_10device_ptrIiEEEENS9_18transform_iteratorINS9_6negateIiEESE_NS9_11use_defaultESI_EESE_iNS9_4plusIvEENS9_8equal_toIvEEiEE10hipError_tPvRmT2_T3_T4_T5_mT6_T7_P12ihipStream_tbENKUlT_T0_E_clISt17integral_constantIbLb1EES13_IbLb0EEEEDaSZ_S10_EUlSZ_E_NS1_11comp_targetILNS1_3genE0ELNS1_11target_archE4294967295ELNS1_3gpuE0ELNS1_3repE0EEENS1_30default_config_static_selectorELNS0_4arch9wavefront6targetE0EEEvT1_,comdat
	.protected	_ZN7rocprim17ROCPRIM_400000_NS6detail17trampoline_kernelINS0_14default_configENS1_27scan_by_key_config_selectorIiiEEZZNS1_16scan_by_key_implILNS1_25lookback_scan_determinismE0ELb0ES3_N6thrust23THRUST_200600_302600_NS6detail15normal_iteratorINS9_10device_ptrIiEEEENS9_18transform_iteratorINS9_6negateIiEESE_NS9_11use_defaultESI_EESE_iNS9_4plusIvEENS9_8equal_toIvEEiEE10hipError_tPvRmT2_T3_T4_T5_mT6_T7_P12ihipStream_tbENKUlT_T0_E_clISt17integral_constantIbLb1EES13_IbLb0EEEEDaSZ_S10_EUlSZ_E_NS1_11comp_targetILNS1_3genE0ELNS1_11target_archE4294967295ELNS1_3gpuE0ELNS1_3repE0EEENS1_30default_config_static_selectorELNS0_4arch9wavefront6targetE0EEEvT1_ ; -- Begin function _ZN7rocprim17ROCPRIM_400000_NS6detail17trampoline_kernelINS0_14default_configENS1_27scan_by_key_config_selectorIiiEEZZNS1_16scan_by_key_implILNS1_25lookback_scan_determinismE0ELb0ES3_N6thrust23THRUST_200600_302600_NS6detail15normal_iteratorINS9_10device_ptrIiEEEENS9_18transform_iteratorINS9_6negateIiEESE_NS9_11use_defaultESI_EESE_iNS9_4plusIvEENS9_8equal_toIvEEiEE10hipError_tPvRmT2_T3_T4_T5_mT6_T7_P12ihipStream_tbENKUlT_T0_E_clISt17integral_constantIbLb1EES13_IbLb0EEEEDaSZ_S10_EUlSZ_E_NS1_11comp_targetILNS1_3genE0ELNS1_11target_archE4294967295ELNS1_3gpuE0ELNS1_3repE0EEENS1_30default_config_static_selectorELNS0_4arch9wavefront6targetE0EEEvT1_
	.globl	_ZN7rocprim17ROCPRIM_400000_NS6detail17trampoline_kernelINS0_14default_configENS1_27scan_by_key_config_selectorIiiEEZZNS1_16scan_by_key_implILNS1_25lookback_scan_determinismE0ELb0ES3_N6thrust23THRUST_200600_302600_NS6detail15normal_iteratorINS9_10device_ptrIiEEEENS9_18transform_iteratorINS9_6negateIiEESE_NS9_11use_defaultESI_EESE_iNS9_4plusIvEENS9_8equal_toIvEEiEE10hipError_tPvRmT2_T3_T4_T5_mT6_T7_P12ihipStream_tbENKUlT_T0_E_clISt17integral_constantIbLb1EES13_IbLb0EEEEDaSZ_S10_EUlSZ_E_NS1_11comp_targetILNS1_3genE0ELNS1_11target_archE4294967295ELNS1_3gpuE0ELNS1_3repE0EEENS1_30default_config_static_selectorELNS0_4arch9wavefront6targetE0EEEvT1_
	.p2align	8
	.type	_ZN7rocprim17ROCPRIM_400000_NS6detail17trampoline_kernelINS0_14default_configENS1_27scan_by_key_config_selectorIiiEEZZNS1_16scan_by_key_implILNS1_25lookback_scan_determinismE0ELb0ES3_N6thrust23THRUST_200600_302600_NS6detail15normal_iteratorINS9_10device_ptrIiEEEENS9_18transform_iteratorINS9_6negateIiEESE_NS9_11use_defaultESI_EESE_iNS9_4plusIvEENS9_8equal_toIvEEiEE10hipError_tPvRmT2_T3_T4_T5_mT6_T7_P12ihipStream_tbENKUlT_T0_E_clISt17integral_constantIbLb1EES13_IbLb0EEEEDaSZ_S10_EUlSZ_E_NS1_11comp_targetILNS1_3genE0ELNS1_11target_archE4294967295ELNS1_3gpuE0ELNS1_3repE0EEENS1_30default_config_static_selectorELNS0_4arch9wavefront6targetE0EEEvT1_,@function
_ZN7rocprim17ROCPRIM_400000_NS6detail17trampoline_kernelINS0_14default_configENS1_27scan_by_key_config_selectorIiiEEZZNS1_16scan_by_key_implILNS1_25lookback_scan_determinismE0ELb0ES3_N6thrust23THRUST_200600_302600_NS6detail15normal_iteratorINS9_10device_ptrIiEEEENS9_18transform_iteratorINS9_6negateIiEESE_NS9_11use_defaultESI_EESE_iNS9_4plusIvEENS9_8equal_toIvEEiEE10hipError_tPvRmT2_T3_T4_T5_mT6_T7_P12ihipStream_tbENKUlT_T0_E_clISt17integral_constantIbLb1EES13_IbLb0EEEEDaSZ_S10_EUlSZ_E_NS1_11comp_targetILNS1_3genE0ELNS1_11target_archE4294967295ELNS1_3gpuE0ELNS1_3repE0EEENS1_30default_config_static_selectorELNS0_4arch9wavefront6targetE0EEEvT1_: ; @_ZN7rocprim17ROCPRIM_400000_NS6detail17trampoline_kernelINS0_14default_configENS1_27scan_by_key_config_selectorIiiEEZZNS1_16scan_by_key_implILNS1_25lookback_scan_determinismE0ELb0ES3_N6thrust23THRUST_200600_302600_NS6detail15normal_iteratorINS9_10device_ptrIiEEEENS9_18transform_iteratorINS9_6negateIiEESE_NS9_11use_defaultESI_EESE_iNS9_4plusIvEENS9_8equal_toIvEEiEE10hipError_tPvRmT2_T3_T4_T5_mT6_T7_P12ihipStream_tbENKUlT_T0_E_clISt17integral_constantIbLb1EES13_IbLb0EEEEDaSZ_S10_EUlSZ_E_NS1_11comp_targetILNS1_3genE0ELNS1_11target_archE4294967295ELNS1_3gpuE0ELNS1_3repE0EEENS1_30default_config_static_selectorELNS0_4arch9wavefront6targetE0EEEvT1_
; %bb.0:
	s_endpgm
	.section	.rodata,"a",@progbits
	.p2align	6, 0x0
	.amdhsa_kernel _ZN7rocprim17ROCPRIM_400000_NS6detail17trampoline_kernelINS0_14default_configENS1_27scan_by_key_config_selectorIiiEEZZNS1_16scan_by_key_implILNS1_25lookback_scan_determinismE0ELb0ES3_N6thrust23THRUST_200600_302600_NS6detail15normal_iteratorINS9_10device_ptrIiEEEENS9_18transform_iteratorINS9_6negateIiEESE_NS9_11use_defaultESI_EESE_iNS9_4plusIvEENS9_8equal_toIvEEiEE10hipError_tPvRmT2_T3_T4_T5_mT6_T7_P12ihipStream_tbENKUlT_T0_E_clISt17integral_constantIbLb1EES13_IbLb0EEEEDaSZ_S10_EUlSZ_E_NS1_11comp_targetILNS1_3genE0ELNS1_11target_archE4294967295ELNS1_3gpuE0ELNS1_3repE0EEENS1_30default_config_static_selectorELNS0_4arch9wavefront6targetE0EEEvT1_
		.amdhsa_group_segment_fixed_size 0
		.amdhsa_private_segment_fixed_size 0
		.amdhsa_kernarg_size 120
		.amdhsa_user_sgpr_count 2
		.amdhsa_user_sgpr_dispatch_ptr 0
		.amdhsa_user_sgpr_queue_ptr 0
		.amdhsa_user_sgpr_kernarg_segment_ptr 1
		.amdhsa_user_sgpr_dispatch_id 0
		.amdhsa_user_sgpr_kernarg_preload_length 0
		.amdhsa_user_sgpr_kernarg_preload_offset 0
		.amdhsa_user_sgpr_private_segment_size 0
		.amdhsa_wavefront_size32 1
		.amdhsa_uses_dynamic_stack 0
		.amdhsa_enable_private_segment 0
		.amdhsa_system_sgpr_workgroup_id_x 1
		.amdhsa_system_sgpr_workgroup_id_y 0
		.amdhsa_system_sgpr_workgroup_id_z 0
		.amdhsa_system_sgpr_workgroup_info 0
		.amdhsa_system_vgpr_workitem_id 0
		.amdhsa_next_free_vgpr 1
		.amdhsa_next_free_sgpr 1
		.amdhsa_named_barrier_count 0
		.amdhsa_reserve_vcc 0
		.amdhsa_float_round_mode_32 0
		.amdhsa_float_round_mode_16_64 0
		.amdhsa_float_denorm_mode_32 3
		.amdhsa_float_denorm_mode_16_64 3
		.amdhsa_fp16_overflow 0
		.amdhsa_memory_ordered 1
		.amdhsa_forward_progress 1
		.amdhsa_inst_pref_size 1
		.amdhsa_round_robin_scheduling 0
		.amdhsa_exception_fp_ieee_invalid_op 0
		.amdhsa_exception_fp_denorm_src 0
		.amdhsa_exception_fp_ieee_div_zero 0
		.amdhsa_exception_fp_ieee_overflow 0
		.amdhsa_exception_fp_ieee_underflow 0
		.amdhsa_exception_fp_ieee_inexact 0
		.amdhsa_exception_int_div_zero 0
	.end_amdhsa_kernel
	.section	.text._ZN7rocprim17ROCPRIM_400000_NS6detail17trampoline_kernelINS0_14default_configENS1_27scan_by_key_config_selectorIiiEEZZNS1_16scan_by_key_implILNS1_25lookback_scan_determinismE0ELb0ES3_N6thrust23THRUST_200600_302600_NS6detail15normal_iteratorINS9_10device_ptrIiEEEENS9_18transform_iteratorINS9_6negateIiEESE_NS9_11use_defaultESI_EESE_iNS9_4plusIvEENS9_8equal_toIvEEiEE10hipError_tPvRmT2_T3_T4_T5_mT6_T7_P12ihipStream_tbENKUlT_T0_E_clISt17integral_constantIbLb1EES13_IbLb0EEEEDaSZ_S10_EUlSZ_E_NS1_11comp_targetILNS1_3genE0ELNS1_11target_archE4294967295ELNS1_3gpuE0ELNS1_3repE0EEENS1_30default_config_static_selectorELNS0_4arch9wavefront6targetE0EEEvT1_,"axG",@progbits,_ZN7rocprim17ROCPRIM_400000_NS6detail17trampoline_kernelINS0_14default_configENS1_27scan_by_key_config_selectorIiiEEZZNS1_16scan_by_key_implILNS1_25lookback_scan_determinismE0ELb0ES3_N6thrust23THRUST_200600_302600_NS6detail15normal_iteratorINS9_10device_ptrIiEEEENS9_18transform_iteratorINS9_6negateIiEESE_NS9_11use_defaultESI_EESE_iNS9_4plusIvEENS9_8equal_toIvEEiEE10hipError_tPvRmT2_T3_T4_T5_mT6_T7_P12ihipStream_tbENKUlT_T0_E_clISt17integral_constantIbLb1EES13_IbLb0EEEEDaSZ_S10_EUlSZ_E_NS1_11comp_targetILNS1_3genE0ELNS1_11target_archE4294967295ELNS1_3gpuE0ELNS1_3repE0EEENS1_30default_config_static_selectorELNS0_4arch9wavefront6targetE0EEEvT1_,comdat
.Lfunc_end947:
	.size	_ZN7rocprim17ROCPRIM_400000_NS6detail17trampoline_kernelINS0_14default_configENS1_27scan_by_key_config_selectorIiiEEZZNS1_16scan_by_key_implILNS1_25lookback_scan_determinismE0ELb0ES3_N6thrust23THRUST_200600_302600_NS6detail15normal_iteratorINS9_10device_ptrIiEEEENS9_18transform_iteratorINS9_6negateIiEESE_NS9_11use_defaultESI_EESE_iNS9_4plusIvEENS9_8equal_toIvEEiEE10hipError_tPvRmT2_T3_T4_T5_mT6_T7_P12ihipStream_tbENKUlT_T0_E_clISt17integral_constantIbLb1EES13_IbLb0EEEEDaSZ_S10_EUlSZ_E_NS1_11comp_targetILNS1_3genE0ELNS1_11target_archE4294967295ELNS1_3gpuE0ELNS1_3repE0EEENS1_30default_config_static_selectorELNS0_4arch9wavefront6targetE0EEEvT1_, .Lfunc_end947-_ZN7rocprim17ROCPRIM_400000_NS6detail17trampoline_kernelINS0_14default_configENS1_27scan_by_key_config_selectorIiiEEZZNS1_16scan_by_key_implILNS1_25lookback_scan_determinismE0ELb0ES3_N6thrust23THRUST_200600_302600_NS6detail15normal_iteratorINS9_10device_ptrIiEEEENS9_18transform_iteratorINS9_6negateIiEESE_NS9_11use_defaultESI_EESE_iNS9_4plusIvEENS9_8equal_toIvEEiEE10hipError_tPvRmT2_T3_T4_T5_mT6_T7_P12ihipStream_tbENKUlT_T0_E_clISt17integral_constantIbLb1EES13_IbLb0EEEEDaSZ_S10_EUlSZ_E_NS1_11comp_targetILNS1_3genE0ELNS1_11target_archE4294967295ELNS1_3gpuE0ELNS1_3repE0EEENS1_30default_config_static_selectorELNS0_4arch9wavefront6targetE0EEEvT1_
                                        ; -- End function
	.set _ZN7rocprim17ROCPRIM_400000_NS6detail17trampoline_kernelINS0_14default_configENS1_27scan_by_key_config_selectorIiiEEZZNS1_16scan_by_key_implILNS1_25lookback_scan_determinismE0ELb0ES3_N6thrust23THRUST_200600_302600_NS6detail15normal_iteratorINS9_10device_ptrIiEEEENS9_18transform_iteratorINS9_6negateIiEESE_NS9_11use_defaultESI_EESE_iNS9_4plusIvEENS9_8equal_toIvEEiEE10hipError_tPvRmT2_T3_T4_T5_mT6_T7_P12ihipStream_tbENKUlT_T0_E_clISt17integral_constantIbLb1EES13_IbLb0EEEEDaSZ_S10_EUlSZ_E_NS1_11comp_targetILNS1_3genE0ELNS1_11target_archE4294967295ELNS1_3gpuE0ELNS1_3repE0EEENS1_30default_config_static_selectorELNS0_4arch9wavefront6targetE0EEEvT1_.num_vgpr, 0
	.set _ZN7rocprim17ROCPRIM_400000_NS6detail17trampoline_kernelINS0_14default_configENS1_27scan_by_key_config_selectorIiiEEZZNS1_16scan_by_key_implILNS1_25lookback_scan_determinismE0ELb0ES3_N6thrust23THRUST_200600_302600_NS6detail15normal_iteratorINS9_10device_ptrIiEEEENS9_18transform_iteratorINS9_6negateIiEESE_NS9_11use_defaultESI_EESE_iNS9_4plusIvEENS9_8equal_toIvEEiEE10hipError_tPvRmT2_T3_T4_T5_mT6_T7_P12ihipStream_tbENKUlT_T0_E_clISt17integral_constantIbLb1EES13_IbLb0EEEEDaSZ_S10_EUlSZ_E_NS1_11comp_targetILNS1_3genE0ELNS1_11target_archE4294967295ELNS1_3gpuE0ELNS1_3repE0EEENS1_30default_config_static_selectorELNS0_4arch9wavefront6targetE0EEEvT1_.num_agpr, 0
	.set _ZN7rocprim17ROCPRIM_400000_NS6detail17trampoline_kernelINS0_14default_configENS1_27scan_by_key_config_selectorIiiEEZZNS1_16scan_by_key_implILNS1_25lookback_scan_determinismE0ELb0ES3_N6thrust23THRUST_200600_302600_NS6detail15normal_iteratorINS9_10device_ptrIiEEEENS9_18transform_iteratorINS9_6negateIiEESE_NS9_11use_defaultESI_EESE_iNS9_4plusIvEENS9_8equal_toIvEEiEE10hipError_tPvRmT2_T3_T4_T5_mT6_T7_P12ihipStream_tbENKUlT_T0_E_clISt17integral_constantIbLb1EES13_IbLb0EEEEDaSZ_S10_EUlSZ_E_NS1_11comp_targetILNS1_3genE0ELNS1_11target_archE4294967295ELNS1_3gpuE0ELNS1_3repE0EEENS1_30default_config_static_selectorELNS0_4arch9wavefront6targetE0EEEvT1_.numbered_sgpr, 0
	.set _ZN7rocprim17ROCPRIM_400000_NS6detail17trampoline_kernelINS0_14default_configENS1_27scan_by_key_config_selectorIiiEEZZNS1_16scan_by_key_implILNS1_25lookback_scan_determinismE0ELb0ES3_N6thrust23THRUST_200600_302600_NS6detail15normal_iteratorINS9_10device_ptrIiEEEENS9_18transform_iteratorINS9_6negateIiEESE_NS9_11use_defaultESI_EESE_iNS9_4plusIvEENS9_8equal_toIvEEiEE10hipError_tPvRmT2_T3_T4_T5_mT6_T7_P12ihipStream_tbENKUlT_T0_E_clISt17integral_constantIbLb1EES13_IbLb0EEEEDaSZ_S10_EUlSZ_E_NS1_11comp_targetILNS1_3genE0ELNS1_11target_archE4294967295ELNS1_3gpuE0ELNS1_3repE0EEENS1_30default_config_static_selectorELNS0_4arch9wavefront6targetE0EEEvT1_.num_named_barrier, 0
	.set _ZN7rocprim17ROCPRIM_400000_NS6detail17trampoline_kernelINS0_14default_configENS1_27scan_by_key_config_selectorIiiEEZZNS1_16scan_by_key_implILNS1_25lookback_scan_determinismE0ELb0ES3_N6thrust23THRUST_200600_302600_NS6detail15normal_iteratorINS9_10device_ptrIiEEEENS9_18transform_iteratorINS9_6negateIiEESE_NS9_11use_defaultESI_EESE_iNS9_4plusIvEENS9_8equal_toIvEEiEE10hipError_tPvRmT2_T3_T4_T5_mT6_T7_P12ihipStream_tbENKUlT_T0_E_clISt17integral_constantIbLb1EES13_IbLb0EEEEDaSZ_S10_EUlSZ_E_NS1_11comp_targetILNS1_3genE0ELNS1_11target_archE4294967295ELNS1_3gpuE0ELNS1_3repE0EEENS1_30default_config_static_selectorELNS0_4arch9wavefront6targetE0EEEvT1_.private_seg_size, 0
	.set _ZN7rocprim17ROCPRIM_400000_NS6detail17trampoline_kernelINS0_14default_configENS1_27scan_by_key_config_selectorIiiEEZZNS1_16scan_by_key_implILNS1_25lookback_scan_determinismE0ELb0ES3_N6thrust23THRUST_200600_302600_NS6detail15normal_iteratorINS9_10device_ptrIiEEEENS9_18transform_iteratorINS9_6negateIiEESE_NS9_11use_defaultESI_EESE_iNS9_4plusIvEENS9_8equal_toIvEEiEE10hipError_tPvRmT2_T3_T4_T5_mT6_T7_P12ihipStream_tbENKUlT_T0_E_clISt17integral_constantIbLb1EES13_IbLb0EEEEDaSZ_S10_EUlSZ_E_NS1_11comp_targetILNS1_3genE0ELNS1_11target_archE4294967295ELNS1_3gpuE0ELNS1_3repE0EEENS1_30default_config_static_selectorELNS0_4arch9wavefront6targetE0EEEvT1_.uses_vcc, 0
	.set _ZN7rocprim17ROCPRIM_400000_NS6detail17trampoline_kernelINS0_14default_configENS1_27scan_by_key_config_selectorIiiEEZZNS1_16scan_by_key_implILNS1_25lookback_scan_determinismE0ELb0ES3_N6thrust23THRUST_200600_302600_NS6detail15normal_iteratorINS9_10device_ptrIiEEEENS9_18transform_iteratorINS9_6negateIiEESE_NS9_11use_defaultESI_EESE_iNS9_4plusIvEENS9_8equal_toIvEEiEE10hipError_tPvRmT2_T3_T4_T5_mT6_T7_P12ihipStream_tbENKUlT_T0_E_clISt17integral_constantIbLb1EES13_IbLb0EEEEDaSZ_S10_EUlSZ_E_NS1_11comp_targetILNS1_3genE0ELNS1_11target_archE4294967295ELNS1_3gpuE0ELNS1_3repE0EEENS1_30default_config_static_selectorELNS0_4arch9wavefront6targetE0EEEvT1_.uses_flat_scratch, 0
	.set _ZN7rocprim17ROCPRIM_400000_NS6detail17trampoline_kernelINS0_14default_configENS1_27scan_by_key_config_selectorIiiEEZZNS1_16scan_by_key_implILNS1_25lookback_scan_determinismE0ELb0ES3_N6thrust23THRUST_200600_302600_NS6detail15normal_iteratorINS9_10device_ptrIiEEEENS9_18transform_iteratorINS9_6negateIiEESE_NS9_11use_defaultESI_EESE_iNS9_4plusIvEENS9_8equal_toIvEEiEE10hipError_tPvRmT2_T3_T4_T5_mT6_T7_P12ihipStream_tbENKUlT_T0_E_clISt17integral_constantIbLb1EES13_IbLb0EEEEDaSZ_S10_EUlSZ_E_NS1_11comp_targetILNS1_3genE0ELNS1_11target_archE4294967295ELNS1_3gpuE0ELNS1_3repE0EEENS1_30default_config_static_selectorELNS0_4arch9wavefront6targetE0EEEvT1_.has_dyn_sized_stack, 0
	.set _ZN7rocprim17ROCPRIM_400000_NS6detail17trampoline_kernelINS0_14default_configENS1_27scan_by_key_config_selectorIiiEEZZNS1_16scan_by_key_implILNS1_25lookback_scan_determinismE0ELb0ES3_N6thrust23THRUST_200600_302600_NS6detail15normal_iteratorINS9_10device_ptrIiEEEENS9_18transform_iteratorINS9_6negateIiEESE_NS9_11use_defaultESI_EESE_iNS9_4plusIvEENS9_8equal_toIvEEiEE10hipError_tPvRmT2_T3_T4_T5_mT6_T7_P12ihipStream_tbENKUlT_T0_E_clISt17integral_constantIbLb1EES13_IbLb0EEEEDaSZ_S10_EUlSZ_E_NS1_11comp_targetILNS1_3genE0ELNS1_11target_archE4294967295ELNS1_3gpuE0ELNS1_3repE0EEENS1_30default_config_static_selectorELNS0_4arch9wavefront6targetE0EEEvT1_.has_recursion, 0
	.set _ZN7rocprim17ROCPRIM_400000_NS6detail17trampoline_kernelINS0_14default_configENS1_27scan_by_key_config_selectorIiiEEZZNS1_16scan_by_key_implILNS1_25lookback_scan_determinismE0ELb0ES3_N6thrust23THRUST_200600_302600_NS6detail15normal_iteratorINS9_10device_ptrIiEEEENS9_18transform_iteratorINS9_6negateIiEESE_NS9_11use_defaultESI_EESE_iNS9_4plusIvEENS9_8equal_toIvEEiEE10hipError_tPvRmT2_T3_T4_T5_mT6_T7_P12ihipStream_tbENKUlT_T0_E_clISt17integral_constantIbLb1EES13_IbLb0EEEEDaSZ_S10_EUlSZ_E_NS1_11comp_targetILNS1_3genE0ELNS1_11target_archE4294967295ELNS1_3gpuE0ELNS1_3repE0EEENS1_30default_config_static_selectorELNS0_4arch9wavefront6targetE0EEEvT1_.has_indirect_call, 0
	.section	.AMDGPU.csdata,"",@progbits
; Kernel info:
; codeLenInByte = 4
; TotalNumSgprs: 0
; NumVgprs: 0
; ScratchSize: 0
; MemoryBound: 0
; FloatMode: 240
; IeeeMode: 1
; LDSByteSize: 0 bytes/workgroup (compile time only)
; SGPRBlocks: 0
; VGPRBlocks: 0
; NumSGPRsForWavesPerEU: 1
; NumVGPRsForWavesPerEU: 1
; NamedBarCnt: 0
; Occupancy: 16
; WaveLimiterHint : 0
; COMPUTE_PGM_RSRC2:SCRATCH_EN: 0
; COMPUTE_PGM_RSRC2:USER_SGPR: 2
; COMPUTE_PGM_RSRC2:TRAP_HANDLER: 0
; COMPUTE_PGM_RSRC2:TGID_X_EN: 1
; COMPUTE_PGM_RSRC2:TGID_Y_EN: 0
; COMPUTE_PGM_RSRC2:TGID_Z_EN: 0
; COMPUTE_PGM_RSRC2:TIDIG_COMP_CNT: 0
	.section	.text._ZN7rocprim17ROCPRIM_400000_NS6detail17trampoline_kernelINS0_14default_configENS1_27scan_by_key_config_selectorIiiEEZZNS1_16scan_by_key_implILNS1_25lookback_scan_determinismE0ELb0ES3_N6thrust23THRUST_200600_302600_NS6detail15normal_iteratorINS9_10device_ptrIiEEEENS9_18transform_iteratorINS9_6negateIiEESE_NS9_11use_defaultESI_EESE_iNS9_4plusIvEENS9_8equal_toIvEEiEE10hipError_tPvRmT2_T3_T4_T5_mT6_T7_P12ihipStream_tbENKUlT_T0_E_clISt17integral_constantIbLb1EES13_IbLb0EEEEDaSZ_S10_EUlSZ_E_NS1_11comp_targetILNS1_3genE10ELNS1_11target_archE1201ELNS1_3gpuE5ELNS1_3repE0EEENS1_30default_config_static_selectorELNS0_4arch9wavefront6targetE0EEEvT1_,"axG",@progbits,_ZN7rocprim17ROCPRIM_400000_NS6detail17trampoline_kernelINS0_14default_configENS1_27scan_by_key_config_selectorIiiEEZZNS1_16scan_by_key_implILNS1_25lookback_scan_determinismE0ELb0ES3_N6thrust23THRUST_200600_302600_NS6detail15normal_iteratorINS9_10device_ptrIiEEEENS9_18transform_iteratorINS9_6negateIiEESE_NS9_11use_defaultESI_EESE_iNS9_4plusIvEENS9_8equal_toIvEEiEE10hipError_tPvRmT2_T3_T4_T5_mT6_T7_P12ihipStream_tbENKUlT_T0_E_clISt17integral_constantIbLb1EES13_IbLb0EEEEDaSZ_S10_EUlSZ_E_NS1_11comp_targetILNS1_3genE10ELNS1_11target_archE1201ELNS1_3gpuE5ELNS1_3repE0EEENS1_30default_config_static_selectorELNS0_4arch9wavefront6targetE0EEEvT1_,comdat
	.protected	_ZN7rocprim17ROCPRIM_400000_NS6detail17trampoline_kernelINS0_14default_configENS1_27scan_by_key_config_selectorIiiEEZZNS1_16scan_by_key_implILNS1_25lookback_scan_determinismE0ELb0ES3_N6thrust23THRUST_200600_302600_NS6detail15normal_iteratorINS9_10device_ptrIiEEEENS9_18transform_iteratorINS9_6negateIiEESE_NS9_11use_defaultESI_EESE_iNS9_4plusIvEENS9_8equal_toIvEEiEE10hipError_tPvRmT2_T3_T4_T5_mT6_T7_P12ihipStream_tbENKUlT_T0_E_clISt17integral_constantIbLb1EES13_IbLb0EEEEDaSZ_S10_EUlSZ_E_NS1_11comp_targetILNS1_3genE10ELNS1_11target_archE1201ELNS1_3gpuE5ELNS1_3repE0EEENS1_30default_config_static_selectorELNS0_4arch9wavefront6targetE0EEEvT1_ ; -- Begin function _ZN7rocprim17ROCPRIM_400000_NS6detail17trampoline_kernelINS0_14default_configENS1_27scan_by_key_config_selectorIiiEEZZNS1_16scan_by_key_implILNS1_25lookback_scan_determinismE0ELb0ES3_N6thrust23THRUST_200600_302600_NS6detail15normal_iteratorINS9_10device_ptrIiEEEENS9_18transform_iteratorINS9_6negateIiEESE_NS9_11use_defaultESI_EESE_iNS9_4plusIvEENS9_8equal_toIvEEiEE10hipError_tPvRmT2_T3_T4_T5_mT6_T7_P12ihipStream_tbENKUlT_T0_E_clISt17integral_constantIbLb1EES13_IbLb0EEEEDaSZ_S10_EUlSZ_E_NS1_11comp_targetILNS1_3genE10ELNS1_11target_archE1201ELNS1_3gpuE5ELNS1_3repE0EEENS1_30default_config_static_selectorELNS0_4arch9wavefront6targetE0EEEvT1_
	.globl	_ZN7rocprim17ROCPRIM_400000_NS6detail17trampoline_kernelINS0_14default_configENS1_27scan_by_key_config_selectorIiiEEZZNS1_16scan_by_key_implILNS1_25lookback_scan_determinismE0ELb0ES3_N6thrust23THRUST_200600_302600_NS6detail15normal_iteratorINS9_10device_ptrIiEEEENS9_18transform_iteratorINS9_6negateIiEESE_NS9_11use_defaultESI_EESE_iNS9_4plusIvEENS9_8equal_toIvEEiEE10hipError_tPvRmT2_T3_T4_T5_mT6_T7_P12ihipStream_tbENKUlT_T0_E_clISt17integral_constantIbLb1EES13_IbLb0EEEEDaSZ_S10_EUlSZ_E_NS1_11comp_targetILNS1_3genE10ELNS1_11target_archE1201ELNS1_3gpuE5ELNS1_3repE0EEENS1_30default_config_static_selectorELNS0_4arch9wavefront6targetE0EEEvT1_
	.p2align	8
	.type	_ZN7rocprim17ROCPRIM_400000_NS6detail17trampoline_kernelINS0_14default_configENS1_27scan_by_key_config_selectorIiiEEZZNS1_16scan_by_key_implILNS1_25lookback_scan_determinismE0ELb0ES3_N6thrust23THRUST_200600_302600_NS6detail15normal_iteratorINS9_10device_ptrIiEEEENS9_18transform_iteratorINS9_6negateIiEESE_NS9_11use_defaultESI_EESE_iNS9_4plusIvEENS9_8equal_toIvEEiEE10hipError_tPvRmT2_T3_T4_T5_mT6_T7_P12ihipStream_tbENKUlT_T0_E_clISt17integral_constantIbLb1EES13_IbLb0EEEEDaSZ_S10_EUlSZ_E_NS1_11comp_targetILNS1_3genE10ELNS1_11target_archE1201ELNS1_3gpuE5ELNS1_3repE0EEENS1_30default_config_static_selectorELNS0_4arch9wavefront6targetE0EEEvT1_,@function
_ZN7rocprim17ROCPRIM_400000_NS6detail17trampoline_kernelINS0_14default_configENS1_27scan_by_key_config_selectorIiiEEZZNS1_16scan_by_key_implILNS1_25lookback_scan_determinismE0ELb0ES3_N6thrust23THRUST_200600_302600_NS6detail15normal_iteratorINS9_10device_ptrIiEEEENS9_18transform_iteratorINS9_6negateIiEESE_NS9_11use_defaultESI_EESE_iNS9_4plusIvEENS9_8equal_toIvEEiEE10hipError_tPvRmT2_T3_T4_T5_mT6_T7_P12ihipStream_tbENKUlT_T0_E_clISt17integral_constantIbLb1EES13_IbLb0EEEEDaSZ_S10_EUlSZ_E_NS1_11comp_targetILNS1_3genE10ELNS1_11target_archE1201ELNS1_3gpuE5ELNS1_3repE0EEENS1_30default_config_static_selectorELNS0_4arch9wavefront6targetE0EEEvT1_: ; @_ZN7rocprim17ROCPRIM_400000_NS6detail17trampoline_kernelINS0_14default_configENS1_27scan_by_key_config_selectorIiiEEZZNS1_16scan_by_key_implILNS1_25lookback_scan_determinismE0ELb0ES3_N6thrust23THRUST_200600_302600_NS6detail15normal_iteratorINS9_10device_ptrIiEEEENS9_18transform_iteratorINS9_6negateIiEESE_NS9_11use_defaultESI_EESE_iNS9_4plusIvEENS9_8equal_toIvEEiEE10hipError_tPvRmT2_T3_T4_T5_mT6_T7_P12ihipStream_tbENKUlT_T0_E_clISt17integral_constantIbLb1EES13_IbLb0EEEEDaSZ_S10_EUlSZ_E_NS1_11comp_targetILNS1_3genE10ELNS1_11target_archE1201ELNS1_3gpuE5ELNS1_3repE0EEENS1_30default_config_static_selectorELNS0_4arch9wavefront6targetE0EEEvT1_
; %bb.0:
	.section	.rodata,"a",@progbits
	.p2align	6, 0x0
	.amdhsa_kernel _ZN7rocprim17ROCPRIM_400000_NS6detail17trampoline_kernelINS0_14default_configENS1_27scan_by_key_config_selectorIiiEEZZNS1_16scan_by_key_implILNS1_25lookback_scan_determinismE0ELb0ES3_N6thrust23THRUST_200600_302600_NS6detail15normal_iteratorINS9_10device_ptrIiEEEENS9_18transform_iteratorINS9_6negateIiEESE_NS9_11use_defaultESI_EESE_iNS9_4plusIvEENS9_8equal_toIvEEiEE10hipError_tPvRmT2_T3_T4_T5_mT6_T7_P12ihipStream_tbENKUlT_T0_E_clISt17integral_constantIbLb1EES13_IbLb0EEEEDaSZ_S10_EUlSZ_E_NS1_11comp_targetILNS1_3genE10ELNS1_11target_archE1201ELNS1_3gpuE5ELNS1_3repE0EEENS1_30default_config_static_selectorELNS0_4arch9wavefront6targetE0EEEvT1_
		.amdhsa_group_segment_fixed_size 0
		.amdhsa_private_segment_fixed_size 0
		.amdhsa_kernarg_size 120
		.amdhsa_user_sgpr_count 2
		.amdhsa_user_sgpr_dispatch_ptr 0
		.amdhsa_user_sgpr_queue_ptr 0
		.amdhsa_user_sgpr_kernarg_segment_ptr 1
		.amdhsa_user_sgpr_dispatch_id 0
		.amdhsa_user_sgpr_kernarg_preload_length 0
		.amdhsa_user_sgpr_kernarg_preload_offset 0
		.amdhsa_user_sgpr_private_segment_size 0
		.amdhsa_wavefront_size32 1
		.amdhsa_uses_dynamic_stack 0
		.amdhsa_enable_private_segment 0
		.amdhsa_system_sgpr_workgroup_id_x 1
		.amdhsa_system_sgpr_workgroup_id_y 0
		.amdhsa_system_sgpr_workgroup_id_z 0
		.amdhsa_system_sgpr_workgroup_info 0
		.amdhsa_system_vgpr_workitem_id 0
		.amdhsa_next_free_vgpr 1
		.amdhsa_next_free_sgpr 1
		.amdhsa_named_barrier_count 0
		.amdhsa_reserve_vcc 0
		.amdhsa_float_round_mode_32 0
		.amdhsa_float_round_mode_16_64 0
		.amdhsa_float_denorm_mode_32 3
		.amdhsa_float_denorm_mode_16_64 3
		.amdhsa_fp16_overflow 0
		.amdhsa_memory_ordered 1
		.amdhsa_forward_progress 1
		.amdhsa_inst_pref_size 0
		.amdhsa_round_robin_scheduling 0
		.amdhsa_exception_fp_ieee_invalid_op 0
		.amdhsa_exception_fp_denorm_src 0
		.amdhsa_exception_fp_ieee_div_zero 0
		.amdhsa_exception_fp_ieee_overflow 0
		.amdhsa_exception_fp_ieee_underflow 0
		.amdhsa_exception_fp_ieee_inexact 0
		.amdhsa_exception_int_div_zero 0
	.end_amdhsa_kernel
	.section	.text._ZN7rocprim17ROCPRIM_400000_NS6detail17trampoline_kernelINS0_14default_configENS1_27scan_by_key_config_selectorIiiEEZZNS1_16scan_by_key_implILNS1_25lookback_scan_determinismE0ELb0ES3_N6thrust23THRUST_200600_302600_NS6detail15normal_iteratorINS9_10device_ptrIiEEEENS9_18transform_iteratorINS9_6negateIiEESE_NS9_11use_defaultESI_EESE_iNS9_4plusIvEENS9_8equal_toIvEEiEE10hipError_tPvRmT2_T3_T4_T5_mT6_T7_P12ihipStream_tbENKUlT_T0_E_clISt17integral_constantIbLb1EES13_IbLb0EEEEDaSZ_S10_EUlSZ_E_NS1_11comp_targetILNS1_3genE10ELNS1_11target_archE1201ELNS1_3gpuE5ELNS1_3repE0EEENS1_30default_config_static_selectorELNS0_4arch9wavefront6targetE0EEEvT1_,"axG",@progbits,_ZN7rocprim17ROCPRIM_400000_NS6detail17trampoline_kernelINS0_14default_configENS1_27scan_by_key_config_selectorIiiEEZZNS1_16scan_by_key_implILNS1_25lookback_scan_determinismE0ELb0ES3_N6thrust23THRUST_200600_302600_NS6detail15normal_iteratorINS9_10device_ptrIiEEEENS9_18transform_iteratorINS9_6negateIiEESE_NS9_11use_defaultESI_EESE_iNS9_4plusIvEENS9_8equal_toIvEEiEE10hipError_tPvRmT2_T3_T4_T5_mT6_T7_P12ihipStream_tbENKUlT_T0_E_clISt17integral_constantIbLb1EES13_IbLb0EEEEDaSZ_S10_EUlSZ_E_NS1_11comp_targetILNS1_3genE10ELNS1_11target_archE1201ELNS1_3gpuE5ELNS1_3repE0EEENS1_30default_config_static_selectorELNS0_4arch9wavefront6targetE0EEEvT1_,comdat
.Lfunc_end948:
	.size	_ZN7rocprim17ROCPRIM_400000_NS6detail17trampoline_kernelINS0_14default_configENS1_27scan_by_key_config_selectorIiiEEZZNS1_16scan_by_key_implILNS1_25lookback_scan_determinismE0ELb0ES3_N6thrust23THRUST_200600_302600_NS6detail15normal_iteratorINS9_10device_ptrIiEEEENS9_18transform_iteratorINS9_6negateIiEESE_NS9_11use_defaultESI_EESE_iNS9_4plusIvEENS9_8equal_toIvEEiEE10hipError_tPvRmT2_T3_T4_T5_mT6_T7_P12ihipStream_tbENKUlT_T0_E_clISt17integral_constantIbLb1EES13_IbLb0EEEEDaSZ_S10_EUlSZ_E_NS1_11comp_targetILNS1_3genE10ELNS1_11target_archE1201ELNS1_3gpuE5ELNS1_3repE0EEENS1_30default_config_static_selectorELNS0_4arch9wavefront6targetE0EEEvT1_, .Lfunc_end948-_ZN7rocprim17ROCPRIM_400000_NS6detail17trampoline_kernelINS0_14default_configENS1_27scan_by_key_config_selectorIiiEEZZNS1_16scan_by_key_implILNS1_25lookback_scan_determinismE0ELb0ES3_N6thrust23THRUST_200600_302600_NS6detail15normal_iteratorINS9_10device_ptrIiEEEENS9_18transform_iteratorINS9_6negateIiEESE_NS9_11use_defaultESI_EESE_iNS9_4plusIvEENS9_8equal_toIvEEiEE10hipError_tPvRmT2_T3_T4_T5_mT6_T7_P12ihipStream_tbENKUlT_T0_E_clISt17integral_constantIbLb1EES13_IbLb0EEEEDaSZ_S10_EUlSZ_E_NS1_11comp_targetILNS1_3genE10ELNS1_11target_archE1201ELNS1_3gpuE5ELNS1_3repE0EEENS1_30default_config_static_selectorELNS0_4arch9wavefront6targetE0EEEvT1_
                                        ; -- End function
	.set _ZN7rocprim17ROCPRIM_400000_NS6detail17trampoline_kernelINS0_14default_configENS1_27scan_by_key_config_selectorIiiEEZZNS1_16scan_by_key_implILNS1_25lookback_scan_determinismE0ELb0ES3_N6thrust23THRUST_200600_302600_NS6detail15normal_iteratorINS9_10device_ptrIiEEEENS9_18transform_iteratorINS9_6negateIiEESE_NS9_11use_defaultESI_EESE_iNS9_4plusIvEENS9_8equal_toIvEEiEE10hipError_tPvRmT2_T3_T4_T5_mT6_T7_P12ihipStream_tbENKUlT_T0_E_clISt17integral_constantIbLb1EES13_IbLb0EEEEDaSZ_S10_EUlSZ_E_NS1_11comp_targetILNS1_3genE10ELNS1_11target_archE1201ELNS1_3gpuE5ELNS1_3repE0EEENS1_30default_config_static_selectorELNS0_4arch9wavefront6targetE0EEEvT1_.num_vgpr, 0
	.set _ZN7rocprim17ROCPRIM_400000_NS6detail17trampoline_kernelINS0_14default_configENS1_27scan_by_key_config_selectorIiiEEZZNS1_16scan_by_key_implILNS1_25lookback_scan_determinismE0ELb0ES3_N6thrust23THRUST_200600_302600_NS6detail15normal_iteratorINS9_10device_ptrIiEEEENS9_18transform_iteratorINS9_6negateIiEESE_NS9_11use_defaultESI_EESE_iNS9_4plusIvEENS9_8equal_toIvEEiEE10hipError_tPvRmT2_T3_T4_T5_mT6_T7_P12ihipStream_tbENKUlT_T0_E_clISt17integral_constantIbLb1EES13_IbLb0EEEEDaSZ_S10_EUlSZ_E_NS1_11comp_targetILNS1_3genE10ELNS1_11target_archE1201ELNS1_3gpuE5ELNS1_3repE0EEENS1_30default_config_static_selectorELNS0_4arch9wavefront6targetE0EEEvT1_.num_agpr, 0
	.set _ZN7rocprim17ROCPRIM_400000_NS6detail17trampoline_kernelINS0_14default_configENS1_27scan_by_key_config_selectorIiiEEZZNS1_16scan_by_key_implILNS1_25lookback_scan_determinismE0ELb0ES3_N6thrust23THRUST_200600_302600_NS6detail15normal_iteratorINS9_10device_ptrIiEEEENS9_18transform_iteratorINS9_6negateIiEESE_NS9_11use_defaultESI_EESE_iNS9_4plusIvEENS9_8equal_toIvEEiEE10hipError_tPvRmT2_T3_T4_T5_mT6_T7_P12ihipStream_tbENKUlT_T0_E_clISt17integral_constantIbLb1EES13_IbLb0EEEEDaSZ_S10_EUlSZ_E_NS1_11comp_targetILNS1_3genE10ELNS1_11target_archE1201ELNS1_3gpuE5ELNS1_3repE0EEENS1_30default_config_static_selectorELNS0_4arch9wavefront6targetE0EEEvT1_.numbered_sgpr, 0
	.set _ZN7rocprim17ROCPRIM_400000_NS6detail17trampoline_kernelINS0_14default_configENS1_27scan_by_key_config_selectorIiiEEZZNS1_16scan_by_key_implILNS1_25lookback_scan_determinismE0ELb0ES3_N6thrust23THRUST_200600_302600_NS6detail15normal_iteratorINS9_10device_ptrIiEEEENS9_18transform_iteratorINS9_6negateIiEESE_NS9_11use_defaultESI_EESE_iNS9_4plusIvEENS9_8equal_toIvEEiEE10hipError_tPvRmT2_T3_T4_T5_mT6_T7_P12ihipStream_tbENKUlT_T0_E_clISt17integral_constantIbLb1EES13_IbLb0EEEEDaSZ_S10_EUlSZ_E_NS1_11comp_targetILNS1_3genE10ELNS1_11target_archE1201ELNS1_3gpuE5ELNS1_3repE0EEENS1_30default_config_static_selectorELNS0_4arch9wavefront6targetE0EEEvT1_.num_named_barrier, 0
	.set _ZN7rocprim17ROCPRIM_400000_NS6detail17trampoline_kernelINS0_14default_configENS1_27scan_by_key_config_selectorIiiEEZZNS1_16scan_by_key_implILNS1_25lookback_scan_determinismE0ELb0ES3_N6thrust23THRUST_200600_302600_NS6detail15normal_iteratorINS9_10device_ptrIiEEEENS9_18transform_iteratorINS9_6negateIiEESE_NS9_11use_defaultESI_EESE_iNS9_4plusIvEENS9_8equal_toIvEEiEE10hipError_tPvRmT2_T3_T4_T5_mT6_T7_P12ihipStream_tbENKUlT_T0_E_clISt17integral_constantIbLb1EES13_IbLb0EEEEDaSZ_S10_EUlSZ_E_NS1_11comp_targetILNS1_3genE10ELNS1_11target_archE1201ELNS1_3gpuE5ELNS1_3repE0EEENS1_30default_config_static_selectorELNS0_4arch9wavefront6targetE0EEEvT1_.private_seg_size, 0
	.set _ZN7rocprim17ROCPRIM_400000_NS6detail17trampoline_kernelINS0_14default_configENS1_27scan_by_key_config_selectorIiiEEZZNS1_16scan_by_key_implILNS1_25lookback_scan_determinismE0ELb0ES3_N6thrust23THRUST_200600_302600_NS6detail15normal_iteratorINS9_10device_ptrIiEEEENS9_18transform_iteratorINS9_6negateIiEESE_NS9_11use_defaultESI_EESE_iNS9_4plusIvEENS9_8equal_toIvEEiEE10hipError_tPvRmT2_T3_T4_T5_mT6_T7_P12ihipStream_tbENKUlT_T0_E_clISt17integral_constantIbLb1EES13_IbLb0EEEEDaSZ_S10_EUlSZ_E_NS1_11comp_targetILNS1_3genE10ELNS1_11target_archE1201ELNS1_3gpuE5ELNS1_3repE0EEENS1_30default_config_static_selectorELNS0_4arch9wavefront6targetE0EEEvT1_.uses_vcc, 0
	.set _ZN7rocprim17ROCPRIM_400000_NS6detail17trampoline_kernelINS0_14default_configENS1_27scan_by_key_config_selectorIiiEEZZNS1_16scan_by_key_implILNS1_25lookback_scan_determinismE0ELb0ES3_N6thrust23THRUST_200600_302600_NS6detail15normal_iteratorINS9_10device_ptrIiEEEENS9_18transform_iteratorINS9_6negateIiEESE_NS9_11use_defaultESI_EESE_iNS9_4plusIvEENS9_8equal_toIvEEiEE10hipError_tPvRmT2_T3_T4_T5_mT6_T7_P12ihipStream_tbENKUlT_T0_E_clISt17integral_constantIbLb1EES13_IbLb0EEEEDaSZ_S10_EUlSZ_E_NS1_11comp_targetILNS1_3genE10ELNS1_11target_archE1201ELNS1_3gpuE5ELNS1_3repE0EEENS1_30default_config_static_selectorELNS0_4arch9wavefront6targetE0EEEvT1_.uses_flat_scratch, 0
	.set _ZN7rocprim17ROCPRIM_400000_NS6detail17trampoline_kernelINS0_14default_configENS1_27scan_by_key_config_selectorIiiEEZZNS1_16scan_by_key_implILNS1_25lookback_scan_determinismE0ELb0ES3_N6thrust23THRUST_200600_302600_NS6detail15normal_iteratorINS9_10device_ptrIiEEEENS9_18transform_iteratorINS9_6negateIiEESE_NS9_11use_defaultESI_EESE_iNS9_4plusIvEENS9_8equal_toIvEEiEE10hipError_tPvRmT2_T3_T4_T5_mT6_T7_P12ihipStream_tbENKUlT_T0_E_clISt17integral_constantIbLb1EES13_IbLb0EEEEDaSZ_S10_EUlSZ_E_NS1_11comp_targetILNS1_3genE10ELNS1_11target_archE1201ELNS1_3gpuE5ELNS1_3repE0EEENS1_30default_config_static_selectorELNS0_4arch9wavefront6targetE0EEEvT1_.has_dyn_sized_stack, 0
	.set _ZN7rocprim17ROCPRIM_400000_NS6detail17trampoline_kernelINS0_14default_configENS1_27scan_by_key_config_selectorIiiEEZZNS1_16scan_by_key_implILNS1_25lookback_scan_determinismE0ELb0ES3_N6thrust23THRUST_200600_302600_NS6detail15normal_iteratorINS9_10device_ptrIiEEEENS9_18transform_iteratorINS9_6negateIiEESE_NS9_11use_defaultESI_EESE_iNS9_4plusIvEENS9_8equal_toIvEEiEE10hipError_tPvRmT2_T3_T4_T5_mT6_T7_P12ihipStream_tbENKUlT_T0_E_clISt17integral_constantIbLb1EES13_IbLb0EEEEDaSZ_S10_EUlSZ_E_NS1_11comp_targetILNS1_3genE10ELNS1_11target_archE1201ELNS1_3gpuE5ELNS1_3repE0EEENS1_30default_config_static_selectorELNS0_4arch9wavefront6targetE0EEEvT1_.has_recursion, 0
	.set _ZN7rocprim17ROCPRIM_400000_NS6detail17trampoline_kernelINS0_14default_configENS1_27scan_by_key_config_selectorIiiEEZZNS1_16scan_by_key_implILNS1_25lookback_scan_determinismE0ELb0ES3_N6thrust23THRUST_200600_302600_NS6detail15normal_iteratorINS9_10device_ptrIiEEEENS9_18transform_iteratorINS9_6negateIiEESE_NS9_11use_defaultESI_EESE_iNS9_4plusIvEENS9_8equal_toIvEEiEE10hipError_tPvRmT2_T3_T4_T5_mT6_T7_P12ihipStream_tbENKUlT_T0_E_clISt17integral_constantIbLb1EES13_IbLb0EEEEDaSZ_S10_EUlSZ_E_NS1_11comp_targetILNS1_3genE10ELNS1_11target_archE1201ELNS1_3gpuE5ELNS1_3repE0EEENS1_30default_config_static_selectorELNS0_4arch9wavefront6targetE0EEEvT1_.has_indirect_call, 0
	.section	.AMDGPU.csdata,"",@progbits
; Kernel info:
; codeLenInByte = 0
; TotalNumSgprs: 0
; NumVgprs: 0
; ScratchSize: 0
; MemoryBound: 0
; FloatMode: 240
; IeeeMode: 1
; LDSByteSize: 0 bytes/workgroup (compile time only)
; SGPRBlocks: 0
; VGPRBlocks: 0
; NumSGPRsForWavesPerEU: 1
; NumVGPRsForWavesPerEU: 1
; NamedBarCnt: 0
; Occupancy: 16
; WaveLimiterHint : 0
; COMPUTE_PGM_RSRC2:SCRATCH_EN: 0
; COMPUTE_PGM_RSRC2:USER_SGPR: 2
; COMPUTE_PGM_RSRC2:TRAP_HANDLER: 0
; COMPUTE_PGM_RSRC2:TGID_X_EN: 1
; COMPUTE_PGM_RSRC2:TGID_Y_EN: 0
; COMPUTE_PGM_RSRC2:TGID_Z_EN: 0
; COMPUTE_PGM_RSRC2:TIDIG_COMP_CNT: 0
	.section	.text._ZN7rocprim17ROCPRIM_400000_NS6detail17trampoline_kernelINS0_14default_configENS1_27scan_by_key_config_selectorIiiEEZZNS1_16scan_by_key_implILNS1_25lookback_scan_determinismE0ELb0ES3_N6thrust23THRUST_200600_302600_NS6detail15normal_iteratorINS9_10device_ptrIiEEEENS9_18transform_iteratorINS9_6negateIiEESE_NS9_11use_defaultESI_EESE_iNS9_4plusIvEENS9_8equal_toIvEEiEE10hipError_tPvRmT2_T3_T4_T5_mT6_T7_P12ihipStream_tbENKUlT_T0_E_clISt17integral_constantIbLb1EES13_IbLb0EEEEDaSZ_S10_EUlSZ_E_NS1_11comp_targetILNS1_3genE5ELNS1_11target_archE942ELNS1_3gpuE9ELNS1_3repE0EEENS1_30default_config_static_selectorELNS0_4arch9wavefront6targetE0EEEvT1_,"axG",@progbits,_ZN7rocprim17ROCPRIM_400000_NS6detail17trampoline_kernelINS0_14default_configENS1_27scan_by_key_config_selectorIiiEEZZNS1_16scan_by_key_implILNS1_25lookback_scan_determinismE0ELb0ES3_N6thrust23THRUST_200600_302600_NS6detail15normal_iteratorINS9_10device_ptrIiEEEENS9_18transform_iteratorINS9_6negateIiEESE_NS9_11use_defaultESI_EESE_iNS9_4plusIvEENS9_8equal_toIvEEiEE10hipError_tPvRmT2_T3_T4_T5_mT6_T7_P12ihipStream_tbENKUlT_T0_E_clISt17integral_constantIbLb1EES13_IbLb0EEEEDaSZ_S10_EUlSZ_E_NS1_11comp_targetILNS1_3genE5ELNS1_11target_archE942ELNS1_3gpuE9ELNS1_3repE0EEENS1_30default_config_static_selectorELNS0_4arch9wavefront6targetE0EEEvT1_,comdat
	.protected	_ZN7rocprim17ROCPRIM_400000_NS6detail17trampoline_kernelINS0_14default_configENS1_27scan_by_key_config_selectorIiiEEZZNS1_16scan_by_key_implILNS1_25lookback_scan_determinismE0ELb0ES3_N6thrust23THRUST_200600_302600_NS6detail15normal_iteratorINS9_10device_ptrIiEEEENS9_18transform_iteratorINS9_6negateIiEESE_NS9_11use_defaultESI_EESE_iNS9_4plusIvEENS9_8equal_toIvEEiEE10hipError_tPvRmT2_T3_T4_T5_mT6_T7_P12ihipStream_tbENKUlT_T0_E_clISt17integral_constantIbLb1EES13_IbLb0EEEEDaSZ_S10_EUlSZ_E_NS1_11comp_targetILNS1_3genE5ELNS1_11target_archE942ELNS1_3gpuE9ELNS1_3repE0EEENS1_30default_config_static_selectorELNS0_4arch9wavefront6targetE0EEEvT1_ ; -- Begin function _ZN7rocprim17ROCPRIM_400000_NS6detail17trampoline_kernelINS0_14default_configENS1_27scan_by_key_config_selectorIiiEEZZNS1_16scan_by_key_implILNS1_25lookback_scan_determinismE0ELb0ES3_N6thrust23THRUST_200600_302600_NS6detail15normal_iteratorINS9_10device_ptrIiEEEENS9_18transform_iteratorINS9_6negateIiEESE_NS9_11use_defaultESI_EESE_iNS9_4plusIvEENS9_8equal_toIvEEiEE10hipError_tPvRmT2_T3_T4_T5_mT6_T7_P12ihipStream_tbENKUlT_T0_E_clISt17integral_constantIbLb1EES13_IbLb0EEEEDaSZ_S10_EUlSZ_E_NS1_11comp_targetILNS1_3genE5ELNS1_11target_archE942ELNS1_3gpuE9ELNS1_3repE0EEENS1_30default_config_static_selectorELNS0_4arch9wavefront6targetE0EEEvT1_
	.globl	_ZN7rocprim17ROCPRIM_400000_NS6detail17trampoline_kernelINS0_14default_configENS1_27scan_by_key_config_selectorIiiEEZZNS1_16scan_by_key_implILNS1_25lookback_scan_determinismE0ELb0ES3_N6thrust23THRUST_200600_302600_NS6detail15normal_iteratorINS9_10device_ptrIiEEEENS9_18transform_iteratorINS9_6negateIiEESE_NS9_11use_defaultESI_EESE_iNS9_4plusIvEENS9_8equal_toIvEEiEE10hipError_tPvRmT2_T3_T4_T5_mT6_T7_P12ihipStream_tbENKUlT_T0_E_clISt17integral_constantIbLb1EES13_IbLb0EEEEDaSZ_S10_EUlSZ_E_NS1_11comp_targetILNS1_3genE5ELNS1_11target_archE942ELNS1_3gpuE9ELNS1_3repE0EEENS1_30default_config_static_selectorELNS0_4arch9wavefront6targetE0EEEvT1_
	.p2align	8
	.type	_ZN7rocprim17ROCPRIM_400000_NS6detail17trampoline_kernelINS0_14default_configENS1_27scan_by_key_config_selectorIiiEEZZNS1_16scan_by_key_implILNS1_25lookback_scan_determinismE0ELb0ES3_N6thrust23THRUST_200600_302600_NS6detail15normal_iteratorINS9_10device_ptrIiEEEENS9_18transform_iteratorINS9_6negateIiEESE_NS9_11use_defaultESI_EESE_iNS9_4plusIvEENS9_8equal_toIvEEiEE10hipError_tPvRmT2_T3_T4_T5_mT6_T7_P12ihipStream_tbENKUlT_T0_E_clISt17integral_constantIbLb1EES13_IbLb0EEEEDaSZ_S10_EUlSZ_E_NS1_11comp_targetILNS1_3genE5ELNS1_11target_archE942ELNS1_3gpuE9ELNS1_3repE0EEENS1_30default_config_static_selectorELNS0_4arch9wavefront6targetE0EEEvT1_,@function
_ZN7rocprim17ROCPRIM_400000_NS6detail17trampoline_kernelINS0_14default_configENS1_27scan_by_key_config_selectorIiiEEZZNS1_16scan_by_key_implILNS1_25lookback_scan_determinismE0ELb0ES3_N6thrust23THRUST_200600_302600_NS6detail15normal_iteratorINS9_10device_ptrIiEEEENS9_18transform_iteratorINS9_6negateIiEESE_NS9_11use_defaultESI_EESE_iNS9_4plusIvEENS9_8equal_toIvEEiEE10hipError_tPvRmT2_T3_T4_T5_mT6_T7_P12ihipStream_tbENKUlT_T0_E_clISt17integral_constantIbLb1EES13_IbLb0EEEEDaSZ_S10_EUlSZ_E_NS1_11comp_targetILNS1_3genE5ELNS1_11target_archE942ELNS1_3gpuE9ELNS1_3repE0EEENS1_30default_config_static_selectorELNS0_4arch9wavefront6targetE0EEEvT1_: ; @_ZN7rocprim17ROCPRIM_400000_NS6detail17trampoline_kernelINS0_14default_configENS1_27scan_by_key_config_selectorIiiEEZZNS1_16scan_by_key_implILNS1_25lookback_scan_determinismE0ELb0ES3_N6thrust23THRUST_200600_302600_NS6detail15normal_iteratorINS9_10device_ptrIiEEEENS9_18transform_iteratorINS9_6negateIiEESE_NS9_11use_defaultESI_EESE_iNS9_4plusIvEENS9_8equal_toIvEEiEE10hipError_tPvRmT2_T3_T4_T5_mT6_T7_P12ihipStream_tbENKUlT_T0_E_clISt17integral_constantIbLb1EES13_IbLb0EEEEDaSZ_S10_EUlSZ_E_NS1_11comp_targetILNS1_3genE5ELNS1_11target_archE942ELNS1_3gpuE9ELNS1_3repE0EEENS1_30default_config_static_selectorELNS0_4arch9wavefront6targetE0EEEvT1_
; %bb.0:
	.section	.rodata,"a",@progbits
	.p2align	6, 0x0
	.amdhsa_kernel _ZN7rocprim17ROCPRIM_400000_NS6detail17trampoline_kernelINS0_14default_configENS1_27scan_by_key_config_selectorIiiEEZZNS1_16scan_by_key_implILNS1_25lookback_scan_determinismE0ELb0ES3_N6thrust23THRUST_200600_302600_NS6detail15normal_iteratorINS9_10device_ptrIiEEEENS9_18transform_iteratorINS9_6negateIiEESE_NS9_11use_defaultESI_EESE_iNS9_4plusIvEENS9_8equal_toIvEEiEE10hipError_tPvRmT2_T3_T4_T5_mT6_T7_P12ihipStream_tbENKUlT_T0_E_clISt17integral_constantIbLb1EES13_IbLb0EEEEDaSZ_S10_EUlSZ_E_NS1_11comp_targetILNS1_3genE5ELNS1_11target_archE942ELNS1_3gpuE9ELNS1_3repE0EEENS1_30default_config_static_selectorELNS0_4arch9wavefront6targetE0EEEvT1_
		.amdhsa_group_segment_fixed_size 0
		.amdhsa_private_segment_fixed_size 0
		.amdhsa_kernarg_size 120
		.amdhsa_user_sgpr_count 2
		.amdhsa_user_sgpr_dispatch_ptr 0
		.amdhsa_user_sgpr_queue_ptr 0
		.amdhsa_user_sgpr_kernarg_segment_ptr 1
		.amdhsa_user_sgpr_dispatch_id 0
		.amdhsa_user_sgpr_kernarg_preload_length 0
		.amdhsa_user_sgpr_kernarg_preload_offset 0
		.amdhsa_user_sgpr_private_segment_size 0
		.amdhsa_wavefront_size32 1
		.amdhsa_uses_dynamic_stack 0
		.amdhsa_enable_private_segment 0
		.amdhsa_system_sgpr_workgroup_id_x 1
		.amdhsa_system_sgpr_workgroup_id_y 0
		.amdhsa_system_sgpr_workgroup_id_z 0
		.amdhsa_system_sgpr_workgroup_info 0
		.amdhsa_system_vgpr_workitem_id 0
		.amdhsa_next_free_vgpr 1
		.amdhsa_next_free_sgpr 1
		.amdhsa_named_barrier_count 0
		.amdhsa_reserve_vcc 0
		.amdhsa_float_round_mode_32 0
		.amdhsa_float_round_mode_16_64 0
		.amdhsa_float_denorm_mode_32 3
		.amdhsa_float_denorm_mode_16_64 3
		.amdhsa_fp16_overflow 0
		.amdhsa_memory_ordered 1
		.amdhsa_forward_progress 1
		.amdhsa_inst_pref_size 0
		.amdhsa_round_robin_scheduling 0
		.amdhsa_exception_fp_ieee_invalid_op 0
		.amdhsa_exception_fp_denorm_src 0
		.amdhsa_exception_fp_ieee_div_zero 0
		.amdhsa_exception_fp_ieee_overflow 0
		.amdhsa_exception_fp_ieee_underflow 0
		.amdhsa_exception_fp_ieee_inexact 0
		.amdhsa_exception_int_div_zero 0
	.end_amdhsa_kernel
	.section	.text._ZN7rocprim17ROCPRIM_400000_NS6detail17trampoline_kernelINS0_14default_configENS1_27scan_by_key_config_selectorIiiEEZZNS1_16scan_by_key_implILNS1_25lookback_scan_determinismE0ELb0ES3_N6thrust23THRUST_200600_302600_NS6detail15normal_iteratorINS9_10device_ptrIiEEEENS9_18transform_iteratorINS9_6negateIiEESE_NS9_11use_defaultESI_EESE_iNS9_4plusIvEENS9_8equal_toIvEEiEE10hipError_tPvRmT2_T3_T4_T5_mT6_T7_P12ihipStream_tbENKUlT_T0_E_clISt17integral_constantIbLb1EES13_IbLb0EEEEDaSZ_S10_EUlSZ_E_NS1_11comp_targetILNS1_3genE5ELNS1_11target_archE942ELNS1_3gpuE9ELNS1_3repE0EEENS1_30default_config_static_selectorELNS0_4arch9wavefront6targetE0EEEvT1_,"axG",@progbits,_ZN7rocprim17ROCPRIM_400000_NS6detail17trampoline_kernelINS0_14default_configENS1_27scan_by_key_config_selectorIiiEEZZNS1_16scan_by_key_implILNS1_25lookback_scan_determinismE0ELb0ES3_N6thrust23THRUST_200600_302600_NS6detail15normal_iteratorINS9_10device_ptrIiEEEENS9_18transform_iteratorINS9_6negateIiEESE_NS9_11use_defaultESI_EESE_iNS9_4plusIvEENS9_8equal_toIvEEiEE10hipError_tPvRmT2_T3_T4_T5_mT6_T7_P12ihipStream_tbENKUlT_T0_E_clISt17integral_constantIbLb1EES13_IbLb0EEEEDaSZ_S10_EUlSZ_E_NS1_11comp_targetILNS1_3genE5ELNS1_11target_archE942ELNS1_3gpuE9ELNS1_3repE0EEENS1_30default_config_static_selectorELNS0_4arch9wavefront6targetE0EEEvT1_,comdat
.Lfunc_end949:
	.size	_ZN7rocprim17ROCPRIM_400000_NS6detail17trampoline_kernelINS0_14default_configENS1_27scan_by_key_config_selectorIiiEEZZNS1_16scan_by_key_implILNS1_25lookback_scan_determinismE0ELb0ES3_N6thrust23THRUST_200600_302600_NS6detail15normal_iteratorINS9_10device_ptrIiEEEENS9_18transform_iteratorINS9_6negateIiEESE_NS9_11use_defaultESI_EESE_iNS9_4plusIvEENS9_8equal_toIvEEiEE10hipError_tPvRmT2_T3_T4_T5_mT6_T7_P12ihipStream_tbENKUlT_T0_E_clISt17integral_constantIbLb1EES13_IbLb0EEEEDaSZ_S10_EUlSZ_E_NS1_11comp_targetILNS1_3genE5ELNS1_11target_archE942ELNS1_3gpuE9ELNS1_3repE0EEENS1_30default_config_static_selectorELNS0_4arch9wavefront6targetE0EEEvT1_, .Lfunc_end949-_ZN7rocprim17ROCPRIM_400000_NS6detail17trampoline_kernelINS0_14default_configENS1_27scan_by_key_config_selectorIiiEEZZNS1_16scan_by_key_implILNS1_25lookback_scan_determinismE0ELb0ES3_N6thrust23THRUST_200600_302600_NS6detail15normal_iteratorINS9_10device_ptrIiEEEENS9_18transform_iteratorINS9_6negateIiEESE_NS9_11use_defaultESI_EESE_iNS9_4plusIvEENS9_8equal_toIvEEiEE10hipError_tPvRmT2_T3_T4_T5_mT6_T7_P12ihipStream_tbENKUlT_T0_E_clISt17integral_constantIbLb1EES13_IbLb0EEEEDaSZ_S10_EUlSZ_E_NS1_11comp_targetILNS1_3genE5ELNS1_11target_archE942ELNS1_3gpuE9ELNS1_3repE0EEENS1_30default_config_static_selectorELNS0_4arch9wavefront6targetE0EEEvT1_
                                        ; -- End function
	.set _ZN7rocprim17ROCPRIM_400000_NS6detail17trampoline_kernelINS0_14default_configENS1_27scan_by_key_config_selectorIiiEEZZNS1_16scan_by_key_implILNS1_25lookback_scan_determinismE0ELb0ES3_N6thrust23THRUST_200600_302600_NS6detail15normal_iteratorINS9_10device_ptrIiEEEENS9_18transform_iteratorINS9_6negateIiEESE_NS9_11use_defaultESI_EESE_iNS9_4plusIvEENS9_8equal_toIvEEiEE10hipError_tPvRmT2_T3_T4_T5_mT6_T7_P12ihipStream_tbENKUlT_T0_E_clISt17integral_constantIbLb1EES13_IbLb0EEEEDaSZ_S10_EUlSZ_E_NS1_11comp_targetILNS1_3genE5ELNS1_11target_archE942ELNS1_3gpuE9ELNS1_3repE0EEENS1_30default_config_static_selectorELNS0_4arch9wavefront6targetE0EEEvT1_.num_vgpr, 0
	.set _ZN7rocprim17ROCPRIM_400000_NS6detail17trampoline_kernelINS0_14default_configENS1_27scan_by_key_config_selectorIiiEEZZNS1_16scan_by_key_implILNS1_25lookback_scan_determinismE0ELb0ES3_N6thrust23THRUST_200600_302600_NS6detail15normal_iteratorINS9_10device_ptrIiEEEENS9_18transform_iteratorINS9_6negateIiEESE_NS9_11use_defaultESI_EESE_iNS9_4plusIvEENS9_8equal_toIvEEiEE10hipError_tPvRmT2_T3_T4_T5_mT6_T7_P12ihipStream_tbENKUlT_T0_E_clISt17integral_constantIbLb1EES13_IbLb0EEEEDaSZ_S10_EUlSZ_E_NS1_11comp_targetILNS1_3genE5ELNS1_11target_archE942ELNS1_3gpuE9ELNS1_3repE0EEENS1_30default_config_static_selectorELNS0_4arch9wavefront6targetE0EEEvT1_.num_agpr, 0
	.set _ZN7rocprim17ROCPRIM_400000_NS6detail17trampoline_kernelINS0_14default_configENS1_27scan_by_key_config_selectorIiiEEZZNS1_16scan_by_key_implILNS1_25lookback_scan_determinismE0ELb0ES3_N6thrust23THRUST_200600_302600_NS6detail15normal_iteratorINS9_10device_ptrIiEEEENS9_18transform_iteratorINS9_6negateIiEESE_NS9_11use_defaultESI_EESE_iNS9_4plusIvEENS9_8equal_toIvEEiEE10hipError_tPvRmT2_T3_T4_T5_mT6_T7_P12ihipStream_tbENKUlT_T0_E_clISt17integral_constantIbLb1EES13_IbLb0EEEEDaSZ_S10_EUlSZ_E_NS1_11comp_targetILNS1_3genE5ELNS1_11target_archE942ELNS1_3gpuE9ELNS1_3repE0EEENS1_30default_config_static_selectorELNS0_4arch9wavefront6targetE0EEEvT1_.numbered_sgpr, 0
	.set _ZN7rocprim17ROCPRIM_400000_NS6detail17trampoline_kernelINS0_14default_configENS1_27scan_by_key_config_selectorIiiEEZZNS1_16scan_by_key_implILNS1_25lookback_scan_determinismE0ELb0ES3_N6thrust23THRUST_200600_302600_NS6detail15normal_iteratorINS9_10device_ptrIiEEEENS9_18transform_iteratorINS9_6negateIiEESE_NS9_11use_defaultESI_EESE_iNS9_4plusIvEENS9_8equal_toIvEEiEE10hipError_tPvRmT2_T3_T4_T5_mT6_T7_P12ihipStream_tbENKUlT_T0_E_clISt17integral_constantIbLb1EES13_IbLb0EEEEDaSZ_S10_EUlSZ_E_NS1_11comp_targetILNS1_3genE5ELNS1_11target_archE942ELNS1_3gpuE9ELNS1_3repE0EEENS1_30default_config_static_selectorELNS0_4arch9wavefront6targetE0EEEvT1_.num_named_barrier, 0
	.set _ZN7rocprim17ROCPRIM_400000_NS6detail17trampoline_kernelINS0_14default_configENS1_27scan_by_key_config_selectorIiiEEZZNS1_16scan_by_key_implILNS1_25lookback_scan_determinismE0ELb0ES3_N6thrust23THRUST_200600_302600_NS6detail15normal_iteratorINS9_10device_ptrIiEEEENS9_18transform_iteratorINS9_6negateIiEESE_NS9_11use_defaultESI_EESE_iNS9_4plusIvEENS9_8equal_toIvEEiEE10hipError_tPvRmT2_T3_T4_T5_mT6_T7_P12ihipStream_tbENKUlT_T0_E_clISt17integral_constantIbLb1EES13_IbLb0EEEEDaSZ_S10_EUlSZ_E_NS1_11comp_targetILNS1_3genE5ELNS1_11target_archE942ELNS1_3gpuE9ELNS1_3repE0EEENS1_30default_config_static_selectorELNS0_4arch9wavefront6targetE0EEEvT1_.private_seg_size, 0
	.set _ZN7rocprim17ROCPRIM_400000_NS6detail17trampoline_kernelINS0_14default_configENS1_27scan_by_key_config_selectorIiiEEZZNS1_16scan_by_key_implILNS1_25lookback_scan_determinismE0ELb0ES3_N6thrust23THRUST_200600_302600_NS6detail15normal_iteratorINS9_10device_ptrIiEEEENS9_18transform_iteratorINS9_6negateIiEESE_NS9_11use_defaultESI_EESE_iNS9_4plusIvEENS9_8equal_toIvEEiEE10hipError_tPvRmT2_T3_T4_T5_mT6_T7_P12ihipStream_tbENKUlT_T0_E_clISt17integral_constantIbLb1EES13_IbLb0EEEEDaSZ_S10_EUlSZ_E_NS1_11comp_targetILNS1_3genE5ELNS1_11target_archE942ELNS1_3gpuE9ELNS1_3repE0EEENS1_30default_config_static_selectorELNS0_4arch9wavefront6targetE0EEEvT1_.uses_vcc, 0
	.set _ZN7rocprim17ROCPRIM_400000_NS6detail17trampoline_kernelINS0_14default_configENS1_27scan_by_key_config_selectorIiiEEZZNS1_16scan_by_key_implILNS1_25lookback_scan_determinismE0ELb0ES3_N6thrust23THRUST_200600_302600_NS6detail15normal_iteratorINS9_10device_ptrIiEEEENS9_18transform_iteratorINS9_6negateIiEESE_NS9_11use_defaultESI_EESE_iNS9_4plusIvEENS9_8equal_toIvEEiEE10hipError_tPvRmT2_T3_T4_T5_mT6_T7_P12ihipStream_tbENKUlT_T0_E_clISt17integral_constantIbLb1EES13_IbLb0EEEEDaSZ_S10_EUlSZ_E_NS1_11comp_targetILNS1_3genE5ELNS1_11target_archE942ELNS1_3gpuE9ELNS1_3repE0EEENS1_30default_config_static_selectorELNS0_4arch9wavefront6targetE0EEEvT1_.uses_flat_scratch, 0
	.set _ZN7rocprim17ROCPRIM_400000_NS6detail17trampoline_kernelINS0_14default_configENS1_27scan_by_key_config_selectorIiiEEZZNS1_16scan_by_key_implILNS1_25lookback_scan_determinismE0ELb0ES3_N6thrust23THRUST_200600_302600_NS6detail15normal_iteratorINS9_10device_ptrIiEEEENS9_18transform_iteratorINS9_6negateIiEESE_NS9_11use_defaultESI_EESE_iNS9_4plusIvEENS9_8equal_toIvEEiEE10hipError_tPvRmT2_T3_T4_T5_mT6_T7_P12ihipStream_tbENKUlT_T0_E_clISt17integral_constantIbLb1EES13_IbLb0EEEEDaSZ_S10_EUlSZ_E_NS1_11comp_targetILNS1_3genE5ELNS1_11target_archE942ELNS1_3gpuE9ELNS1_3repE0EEENS1_30default_config_static_selectorELNS0_4arch9wavefront6targetE0EEEvT1_.has_dyn_sized_stack, 0
	.set _ZN7rocprim17ROCPRIM_400000_NS6detail17trampoline_kernelINS0_14default_configENS1_27scan_by_key_config_selectorIiiEEZZNS1_16scan_by_key_implILNS1_25lookback_scan_determinismE0ELb0ES3_N6thrust23THRUST_200600_302600_NS6detail15normal_iteratorINS9_10device_ptrIiEEEENS9_18transform_iteratorINS9_6negateIiEESE_NS9_11use_defaultESI_EESE_iNS9_4plusIvEENS9_8equal_toIvEEiEE10hipError_tPvRmT2_T3_T4_T5_mT6_T7_P12ihipStream_tbENKUlT_T0_E_clISt17integral_constantIbLb1EES13_IbLb0EEEEDaSZ_S10_EUlSZ_E_NS1_11comp_targetILNS1_3genE5ELNS1_11target_archE942ELNS1_3gpuE9ELNS1_3repE0EEENS1_30default_config_static_selectorELNS0_4arch9wavefront6targetE0EEEvT1_.has_recursion, 0
	.set _ZN7rocprim17ROCPRIM_400000_NS6detail17trampoline_kernelINS0_14default_configENS1_27scan_by_key_config_selectorIiiEEZZNS1_16scan_by_key_implILNS1_25lookback_scan_determinismE0ELb0ES3_N6thrust23THRUST_200600_302600_NS6detail15normal_iteratorINS9_10device_ptrIiEEEENS9_18transform_iteratorINS9_6negateIiEESE_NS9_11use_defaultESI_EESE_iNS9_4plusIvEENS9_8equal_toIvEEiEE10hipError_tPvRmT2_T3_T4_T5_mT6_T7_P12ihipStream_tbENKUlT_T0_E_clISt17integral_constantIbLb1EES13_IbLb0EEEEDaSZ_S10_EUlSZ_E_NS1_11comp_targetILNS1_3genE5ELNS1_11target_archE942ELNS1_3gpuE9ELNS1_3repE0EEENS1_30default_config_static_selectorELNS0_4arch9wavefront6targetE0EEEvT1_.has_indirect_call, 0
	.section	.AMDGPU.csdata,"",@progbits
; Kernel info:
; codeLenInByte = 0
; TotalNumSgprs: 0
; NumVgprs: 0
; ScratchSize: 0
; MemoryBound: 0
; FloatMode: 240
; IeeeMode: 1
; LDSByteSize: 0 bytes/workgroup (compile time only)
; SGPRBlocks: 0
; VGPRBlocks: 0
; NumSGPRsForWavesPerEU: 1
; NumVGPRsForWavesPerEU: 1
; NamedBarCnt: 0
; Occupancy: 16
; WaveLimiterHint : 0
; COMPUTE_PGM_RSRC2:SCRATCH_EN: 0
; COMPUTE_PGM_RSRC2:USER_SGPR: 2
; COMPUTE_PGM_RSRC2:TRAP_HANDLER: 0
; COMPUTE_PGM_RSRC2:TGID_X_EN: 1
; COMPUTE_PGM_RSRC2:TGID_Y_EN: 0
; COMPUTE_PGM_RSRC2:TGID_Z_EN: 0
; COMPUTE_PGM_RSRC2:TIDIG_COMP_CNT: 0
	.section	.text._ZN7rocprim17ROCPRIM_400000_NS6detail17trampoline_kernelINS0_14default_configENS1_27scan_by_key_config_selectorIiiEEZZNS1_16scan_by_key_implILNS1_25lookback_scan_determinismE0ELb0ES3_N6thrust23THRUST_200600_302600_NS6detail15normal_iteratorINS9_10device_ptrIiEEEENS9_18transform_iteratorINS9_6negateIiEESE_NS9_11use_defaultESI_EESE_iNS9_4plusIvEENS9_8equal_toIvEEiEE10hipError_tPvRmT2_T3_T4_T5_mT6_T7_P12ihipStream_tbENKUlT_T0_E_clISt17integral_constantIbLb1EES13_IbLb0EEEEDaSZ_S10_EUlSZ_E_NS1_11comp_targetILNS1_3genE4ELNS1_11target_archE910ELNS1_3gpuE8ELNS1_3repE0EEENS1_30default_config_static_selectorELNS0_4arch9wavefront6targetE0EEEvT1_,"axG",@progbits,_ZN7rocprim17ROCPRIM_400000_NS6detail17trampoline_kernelINS0_14default_configENS1_27scan_by_key_config_selectorIiiEEZZNS1_16scan_by_key_implILNS1_25lookback_scan_determinismE0ELb0ES3_N6thrust23THRUST_200600_302600_NS6detail15normal_iteratorINS9_10device_ptrIiEEEENS9_18transform_iteratorINS9_6negateIiEESE_NS9_11use_defaultESI_EESE_iNS9_4plusIvEENS9_8equal_toIvEEiEE10hipError_tPvRmT2_T3_T4_T5_mT6_T7_P12ihipStream_tbENKUlT_T0_E_clISt17integral_constantIbLb1EES13_IbLb0EEEEDaSZ_S10_EUlSZ_E_NS1_11comp_targetILNS1_3genE4ELNS1_11target_archE910ELNS1_3gpuE8ELNS1_3repE0EEENS1_30default_config_static_selectorELNS0_4arch9wavefront6targetE0EEEvT1_,comdat
	.protected	_ZN7rocprim17ROCPRIM_400000_NS6detail17trampoline_kernelINS0_14default_configENS1_27scan_by_key_config_selectorIiiEEZZNS1_16scan_by_key_implILNS1_25lookback_scan_determinismE0ELb0ES3_N6thrust23THRUST_200600_302600_NS6detail15normal_iteratorINS9_10device_ptrIiEEEENS9_18transform_iteratorINS9_6negateIiEESE_NS9_11use_defaultESI_EESE_iNS9_4plusIvEENS9_8equal_toIvEEiEE10hipError_tPvRmT2_T3_T4_T5_mT6_T7_P12ihipStream_tbENKUlT_T0_E_clISt17integral_constantIbLb1EES13_IbLb0EEEEDaSZ_S10_EUlSZ_E_NS1_11comp_targetILNS1_3genE4ELNS1_11target_archE910ELNS1_3gpuE8ELNS1_3repE0EEENS1_30default_config_static_selectorELNS0_4arch9wavefront6targetE0EEEvT1_ ; -- Begin function _ZN7rocprim17ROCPRIM_400000_NS6detail17trampoline_kernelINS0_14default_configENS1_27scan_by_key_config_selectorIiiEEZZNS1_16scan_by_key_implILNS1_25lookback_scan_determinismE0ELb0ES3_N6thrust23THRUST_200600_302600_NS6detail15normal_iteratorINS9_10device_ptrIiEEEENS9_18transform_iteratorINS9_6negateIiEESE_NS9_11use_defaultESI_EESE_iNS9_4plusIvEENS9_8equal_toIvEEiEE10hipError_tPvRmT2_T3_T4_T5_mT6_T7_P12ihipStream_tbENKUlT_T0_E_clISt17integral_constantIbLb1EES13_IbLb0EEEEDaSZ_S10_EUlSZ_E_NS1_11comp_targetILNS1_3genE4ELNS1_11target_archE910ELNS1_3gpuE8ELNS1_3repE0EEENS1_30default_config_static_selectorELNS0_4arch9wavefront6targetE0EEEvT1_
	.globl	_ZN7rocprim17ROCPRIM_400000_NS6detail17trampoline_kernelINS0_14default_configENS1_27scan_by_key_config_selectorIiiEEZZNS1_16scan_by_key_implILNS1_25lookback_scan_determinismE0ELb0ES3_N6thrust23THRUST_200600_302600_NS6detail15normal_iteratorINS9_10device_ptrIiEEEENS9_18transform_iteratorINS9_6negateIiEESE_NS9_11use_defaultESI_EESE_iNS9_4plusIvEENS9_8equal_toIvEEiEE10hipError_tPvRmT2_T3_T4_T5_mT6_T7_P12ihipStream_tbENKUlT_T0_E_clISt17integral_constantIbLb1EES13_IbLb0EEEEDaSZ_S10_EUlSZ_E_NS1_11comp_targetILNS1_3genE4ELNS1_11target_archE910ELNS1_3gpuE8ELNS1_3repE0EEENS1_30default_config_static_selectorELNS0_4arch9wavefront6targetE0EEEvT1_
	.p2align	8
	.type	_ZN7rocprim17ROCPRIM_400000_NS6detail17trampoline_kernelINS0_14default_configENS1_27scan_by_key_config_selectorIiiEEZZNS1_16scan_by_key_implILNS1_25lookback_scan_determinismE0ELb0ES3_N6thrust23THRUST_200600_302600_NS6detail15normal_iteratorINS9_10device_ptrIiEEEENS9_18transform_iteratorINS9_6negateIiEESE_NS9_11use_defaultESI_EESE_iNS9_4plusIvEENS9_8equal_toIvEEiEE10hipError_tPvRmT2_T3_T4_T5_mT6_T7_P12ihipStream_tbENKUlT_T0_E_clISt17integral_constantIbLb1EES13_IbLb0EEEEDaSZ_S10_EUlSZ_E_NS1_11comp_targetILNS1_3genE4ELNS1_11target_archE910ELNS1_3gpuE8ELNS1_3repE0EEENS1_30default_config_static_selectorELNS0_4arch9wavefront6targetE0EEEvT1_,@function
_ZN7rocprim17ROCPRIM_400000_NS6detail17trampoline_kernelINS0_14default_configENS1_27scan_by_key_config_selectorIiiEEZZNS1_16scan_by_key_implILNS1_25lookback_scan_determinismE0ELb0ES3_N6thrust23THRUST_200600_302600_NS6detail15normal_iteratorINS9_10device_ptrIiEEEENS9_18transform_iteratorINS9_6negateIiEESE_NS9_11use_defaultESI_EESE_iNS9_4plusIvEENS9_8equal_toIvEEiEE10hipError_tPvRmT2_T3_T4_T5_mT6_T7_P12ihipStream_tbENKUlT_T0_E_clISt17integral_constantIbLb1EES13_IbLb0EEEEDaSZ_S10_EUlSZ_E_NS1_11comp_targetILNS1_3genE4ELNS1_11target_archE910ELNS1_3gpuE8ELNS1_3repE0EEENS1_30default_config_static_selectorELNS0_4arch9wavefront6targetE0EEEvT1_: ; @_ZN7rocprim17ROCPRIM_400000_NS6detail17trampoline_kernelINS0_14default_configENS1_27scan_by_key_config_selectorIiiEEZZNS1_16scan_by_key_implILNS1_25lookback_scan_determinismE0ELb0ES3_N6thrust23THRUST_200600_302600_NS6detail15normal_iteratorINS9_10device_ptrIiEEEENS9_18transform_iteratorINS9_6negateIiEESE_NS9_11use_defaultESI_EESE_iNS9_4plusIvEENS9_8equal_toIvEEiEE10hipError_tPvRmT2_T3_T4_T5_mT6_T7_P12ihipStream_tbENKUlT_T0_E_clISt17integral_constantIbLb1EES13_IbLb0EEEEDaSZ_S10_EUlSZ_E_NS1_11comp_targetILNS1_3genE4ELNS1_11target_archE910ELNS1_3gpuE8ELNS1_3repE0EEENS1_30default_config_static_selectorELNS0_4arch9wavefront6targetE0EEEvT1_
; %bb.0:
	.section	.rodata,"a",@progbits
	.p2align	6, 0x0
	.amdhsa_kernel _ZN7rocprim17ROCPRIM_400000_NS6detail17trampoline_kernelINS0_14default_configENS1_27scan_by_key_config_selectorIiiEEZZNS1_16scan_by_key_implILNS1_25lookback_scan_determinismE0ELb0ES3_N6thrust23THRUST_200600_302600_NS6detail15normal_iteratorINS9_10device_ptrIiEEEENS9_18transform_iteratorINS9_6negateIiEESE_NS9_11use_defaultESI_EESE_iNS9_4plusIvEENS9_8equal_toIvEEiEE10hipError_tPvRmT2_T3_T4_T5_mT6_T7_P12ihipStream_tbENKUlT_T0_E_clISt17integral_constantIbLb1EES13_IbLb0EEEEDaSZ_S10_EUlSZ_E_NS1_11comp_targetILNS1_3genE4ELNS1_11target_archE910ELNS1_3gpuE8ELNS1_3repE0EEENS1_30default_config_static_selectorELNS0_4arch9wavefront6targetE0EEEvT1_
		.amdhsa_group_segment_fixed_size 0
		.amdhsa_private_segment_fixed_size 0
		.amdhsa_kernarg_size 120
		.amdhsa_user_sgpr_count 2
		.amdhsa_user_sgpr_dispatch_ptr 0
		.amdhsa_user_sgpr_queue_ptr 0
		.amdhsa_user_sgpr_kernarg_segment_ptr 1
		.amdhsa_user_sgpr_dispatch_id 0
		.amdhsa_user_sgpr_kernarg_preload_length 0
		.amdhsa_user_sgpr_kernarg_preload_offset 0
		.amdhsa_user_sgpr_private_segment_size 0
		.amdhsa_wavefront_size32 1
		.amdhsa_uses_dynamic_stack 0
		.amdhsa_enable_private_segment 0
		.amdhsa_system_sgpr_workgroup_id_x 1
		.amdhsa_system_sgpr_workgroup_id_y 0
		.amdhsa_system_sgpr_workgroup_id_z 0
		.amdhsa_system_sgpr_workgroup_info 0
		.amdhsa_system_vgpr_workitem_id 0
		.amdhsa_next_free_vgpr 1
		.amdhsa_next_free_sgpr 1
		.amdhsa_named_barrier_count 0
		.amdhsa_reserve_vcc 0
		.amdhsa_float_round_mode_32 0
		.amdhsa_float_round_mode_16_64 0
		.amdhsa_float_denorm_mode_32 3
		.amdhsa_float_denorm_mode_16_64 3
		.amdhsa_fp16_overflow 0
		.amdhsa_memory_ordered 1
		.amdhsa_forward_progress 1
		.amdhsa_inst_pref_size 0
		.amdhsa_round_robin_scheduling 0
		.amdhsa_exception_fp_ieee_invalid_op 0
		.amdhsa_exception_fp_denorm_src 0
		.amdhsa_exception_fp_ieee_div_zero 0
		.amdhsa_exception_fp_ieee_overflow 0
		.amdhsa_exception_fp_ieee_underflow 0
		.amdhsa_exception_fp_ieee_inexact 0
		.amdhsa_exception_int_div_zero 0
	.end_amdhsa_kernel
	.section	.text._ZN7rocprim17ROCPRIM_400000_NS6detail17trampoline_kernelINS0_14default_configENS1_27scan_by_key_config_selectorIiiEEZZNS1_16scan_by_key_implILNS1_25lookback_scan_determinismE0ELb0ES3_N6thrust23THRUST_200600_302600_NS6detail15normal_iteratorINS9_10device_ptrIiEEEENS9_18transform_iteratorINS9_6negateIiEESE_NS9_11use_defaultESI_EESE_iNS9_4plusIvEENS9_8equal_toIvEEiEE10hipError_tPvRmT2_T3_T4_T5_mT6_T7_P12ihipStream_tbENKUlT_T0_E_clISt17integral_constantIbLb1EES13_IbLb0EEEEDaSZ_S10_EUlSZ_E_NS1_11comp_targetILNS1_3genE4ELNS1_11target_archE910ELNS1_3gpuE8ELNS1_3repE0EEENS1_30default_config_static_selectorELNS0_4arch9wavefront6targetE0EEEvT1_,"axG",@progbits,_ZN7rocprim17ROCPRIM_400000_NS6detail17trampoline_kernelINS0_14default_configENS1_27scan_by_key_config_selectorIiiEEZZNS1_16scan_by_key_implILNS1_25lookback_scan_determinismE0ELb0ES3_N6thrust23THRUST_200600_302600_NS6detail15normal_iteratorINS9_10device_ptrIiEEEENS9_18transform_iteratorINS9_6negateIiEESE_NS9_11use_defaultESI_EESE_iNS9_4plusIvEENS9_8equal_toIvEEiEE10hipError_tPvRmT2_T3_T4_T5_mT6_T7_P12ihipStream_tbENKUlT_T0_E_clISt17integral_constantIbLb1EES13_IbLb0EEEEDaSZ_S10_EUlSZ_E_NS1_11comp_targetILNS1_3genE4ELNS1_11target_archE910ELNS1_3gpuE8ELNS1_3repE0EEENS1_30default_config_static_selectorELNS0_4arch9wavefront6targetE0EEEvT1_,comdat
.Lfunc_end950:
	.size	_ZN7rocprim17ROCPRIM_400000_NS6detail17trampoline_kernelINS0_14default_configENS1_27scan_by_key_config_selectorIiiEEZZNS1_16scan_by_key_implILNS1_25lookback_scan_determinismE0ELb0ES3_N6thrust23THRUST_200600_302600_NS6detail15normal_iteratorINS9_10device_ptrIiEEEENS9_18transform_iteratorINS9_6negateIiEESE_NS9_11use_defaultESI_EESE_iNS9_4plusIvEENS9_8equal_toIvEEiEE10hipError_tPvRmT2_T3_T4_T5_mT6_T7_P12ihipStream_tbENKUlT_T0_E_clISt17integral_constantIbLb1EES13_IbLb0EEEEDaSZ_S10_EUlSZ_E_NS1_11comp_targetILNS1_3genE4ELNS1_11target_archE910ELNS1_3gpuE8ELNS1_3repE0EEENS1_30default_config_static_selectorELNS0_4arch9wavefront6targetE0EEEvT1_, .Lfunc_end950-_ZN7rocprim17ROCPRIM_400000_NS6detail17trampoline_kernelINS0_14default_configENS1_27scan_by_key_config_selectorIiiEEZZNS1_16scan_by_key_implILNS1_25lookback_scan_determinismE0ELb0ES3_N6thrust23THRUST_200600_302600_NS6detail15normal_iteratorINS9_10device_ptrIiEEEENS9_18transform_iteratorINS9_6negateIiEESE_NS9_11use_defaultESI_EESE_iNS9_4plusIvEENS9_8equal_toIvEEiEE10hipError_tPvRmT2_T3_T4_T5_mT6_T7_P12ihipStream_tbENKUlT_T0_E_clISt17integral_constantIbLb1EES13_IbLb0EEEEDaSZ_S10_EUlSZ_E_NS1_11comp_targetILNS1_3genE4ELNS1_11target_archE910ELNS1_3gpuE8ELNS1_3repE0EEENS1_30default_config_static_selectorELNS0_4arch9wavefront6targetE0EEEvT1_
                                        ; -- End function
	.set _ZN7rocprim17ROCPRIM_400000_NS6detail17trampoline_kernelINS0_14default_configENS1_27scan_by_key_config_selectorIiiEEZZNS1_16scan_by_key_implILNS1_25lookback_scan_determinismE0ELb0ES3_N6thrust23THRUST_200600_302600_NS6detail15normal_iteratorINS9_10device_ptrIiEEEENS9_18transform_iteratorINS9_6negateIiEESE_NS9_11use_defaultESI_EESE_iNS9_4plusIvEENS9_8equal_toIvEEiEE10hipError_tPvRmT2_T3_T4_T5_mT6_T7_P12ihipStream_tbENKUlT_T0_E_clISt17integral_constantIbLb1EES13_IbLb0EEEEDaSZ_S10_EUlSZ_E_NS1_11comp_targetILNS1_3genE4ELNS1_11target_archE910ELNS1_3gpuE8ELNS1_3repE0EEENS1_30default_config_static_selectorELNS0_4arch9wavefront6targetE0EEEvT1_.num_vgpr, 0
	.set _ZN7rocprim17ROCPRIM_400000_NS6detail17trampoline_kernelINS0_14default_configENS1_27scan_by_key_config_selectorIiiEEZZNS1_16scan_by_key_implILNS1_25lookback_scan_determinismE0ELb0ES3_N6thrust23THRUST_200600_302600_NS6detail15normal_iteratorINS9_10device_ptrIiEEEENS9_18transform_iteratorINS9_6negateIiEESE_NS9_11use_defaultESI_EESE_iNS9_4plusIvEENS9_8equal_toIvEEiEE10hipError_tPvRmT2_T3_T4_T5_mT6_T7_P12ihipStream_tbENKUlT_T0_E_clISt17integral_constantIbLb1EES13_IbLb0EEEEDaSZ_S10_EUlSZ_E_NS1_11comp_targetILNS1_3genE4ELNS1_11target_archE910ELNS1_3gpuE8ELNS1_3repE0EEENS1_30default_config_static_selectorELNS0_4arch9wavefront6targetE0EEEvT1_.num_agpr, 0
	.set _ZN7rocprim17ROCPRIM_400000_NS6detail17trampoline_kernelINS0_14default_configENS1_27scan_by_key_config_selectorIiiEEZZNS1_16scan_by_key_implILNS1_25lookback_scan_determinismE0ELb0ES3_N6thrust23THRUST_200600_302600_NS6detail15normal_iteratorINS9_10device_ptrIiEEEENS9_18transform_iteratorINS9_6negateIiEESE_NS9_11use_defaultESI_EESE_iNS9_4plusIvEENS9_8equal_toIvEEiEE10hipError_tPvRmT2_T3_T4_T5_mT6_T7_P12ihipStream_tbENKUlT_T0_E_clISt17integral_constantIbLb1EES13_IbLb0EEEEDaSZ_S10_EUlSZ_E_NS1_11comp_targetILNS1_3genE4ELNS1_11target_archE910ELNS1_3gpuE8ELNS1_3repE0EEENS1_30default_config_static_selectorELNS0_4arch9wavefront6targetE0EEEvT1_.numbered_sgpr, 0
	.set _ZN7rocprim17ROCPRIM_400000_NS6detail17trampoline_kernelINS0_14default_configENS1_27scan_by_key_config_selectorIiiEEZZNS1_16scan_by_key_implILNS1_25lookback_scan_determinismE0ELb0ES3_N6thrust23THRUST_200600_302600_NS6detail15normal_iteratorINS9_10device_ptrIiEEEENS9_18transform_iteratorINS9_6negateIiEESE_NS9_11use_defaultESI_EESE_iNS9_4plusIvEENS9_8equal_toIvEEiEE10hipError_tPvRmT2_T3_T4_T5_mT6_T7_P12ihipStream_tbENKUlT_T0_E_clISt17integral_constantIbLb1EES13_IbLb0EEEEDaSZ_S10_EUlSZ_E_NS1_11comp_targetILNS1_3genE4ELNS1_11target_archE910ELNS1_3gpuE8ELNS1_3repE0EEENS1_30default_config_static_selectorELNS0_4arch9wavefront6targetE0EEEvT1_.num_named_barrier, 0
	.set _ZN7rocprim17ROCPRIM_400000_NS6detail17trampoline_kernelINS0_14default_configENS1_27scan_by_key_config_selectorIiiEEZZNS1_16scan_by_key_implILNS1_25lookback_scan_determinismE0ELb0ES3_N6thrust23THRUST_200600_302600_NS6detail15normal_iteratorINS9_10device_ptrIiEEEENS9_18transform_iteratorINS9_6negateIiEESE_NS9_11use_defaultESI_EESE_iNS9_4plusIvEENS9_8equal_toIvEEiEE10hipError_tPvRmT2_T3_T4_T5_mT6_T7_P12ihipStream_tbENKUlT_T0_E_clISt17integral_constantIbLb1EES13_IbLb0EEEEDaSZ_S10_EUlSZ_E_NS1_11comp_targetILNS1_3genE4ELNS1_11target_archE910ELNS1_3gpuE8ELNS1_3repE0EEENS1_30default_config_static_selectorELNS0_4arch9wavefront6targetE0EEEvT1_.private_seg_size, 0
	.set _ZN7rocprim17ROCPRIM_400000_NS6detail17trampoline_kernelINS0_14default_configENS1_27scan_by_key_config_selectorIiiEEZZNS1_16scan_by_key_implILNS1_25lookback_scan_determinismE0ELb0ES3_N6thrust23THRUST_200600_302600_NS6detail15normal_iteratorINS9_10device_ptrIiEEEENS9_18transform_iteratorINS9_6negateIiEESE_NS9_11use_defaultESI_EESE_iNS9_4plusIvEENS9_8equal_toIvEEiEE10hipError_tPvRmT2_T3_T4_T5_mT6_T7_P12ihipStream_tbENKUlT_T0_E_clISt17integral_constantIbLb1EES13_IbLb0EEEEDaSZ_S10_EUlSZ_E_NS1_11comp_targetILNS1_3genE4ELNS1_11target_archE910ELNS1_3gpuE8ELNS1_3repE0EEENS1_30default_config_static_selectorELNS0_4arch9wavefront6targetE0EEEvT1_.uses_vcc, 0
	.set _ZN7rocprim17ROCPRIM_400000_NS6detail17trampoline_kernelINS0_14default_configENS1_27scan_by_key_config_selectorIiiEEZZNS1_16scan_by_key_implILNS1_25lookback_scan_determinismE0ELb0ES3_N6thrust23THRUST_200600_302600_NS6detail15normal_iteratorINS9_10device_ptrIiEEEENS9_18transform_iteratorINS9_6negateIiEESE_NS9_11use_defaultESI_EESE_iNS9_4plusIvEENS9_8equal_toIvEEiEE10hipError_tPvRmT2_T3_T4_T5_mT6_T7_P12ihipStream_tbENKUlT_T0_E_clISt17integral_constantIbLb1EES13_IbLb0EEEEDaSZ_S10_EUlSZ_E_NS1_11comp_targetILNS1_3genE4ELNS1_11target_archE910ELNS1_3gpuE8ELNS1_3repE0EEENS1_30default_config_static_selectorELNS0_4arch9wavefront6targetE0EEEvT1_.uses_flat_scratch, 0
	.set _ZN7rocprim17ROCPRIM_400000_NS6detail17trampoline_kernelINS0_14default_configENS1_27scan_by_key_config_selectorIiiEEZZNS1_16scan_by_key_implILNS1_25lookback_scan_determinismE0ELb0ES3_N6thrust23THRUST_200600_302600_NS6detail15normal_iteratorINS9_10device_ptrIiEEEENS9_18transform_iteratorINS9_6negateIiEESE_NS9_11use_defaultESI_EESE_iNS9_4plusIvEENS9_8equal_toIvEEiEE10hipError_tPvRmT2_T3_T4_T5_mT6_T7_P12ihipStream_tbENKUlT_T0_E_clISt17integral_constantIbLb1EES13_IbLb0EEEEDaSZ_S10_EUlSZ_E_NS1_11comp_targetILNS1_3genE4ELNS1_11target_archE910ELNS1_3gpuE8ELNS1_3repE0EEENS1_30default_config_static_selectorELNS0_4arch9wavefront6targetE0EEEvT1_.has_dyn_sized_stack, 0
	.set _ZN7rocprim17ROCPRIM_400000_NS6detail17trampoline_kernelINS0_14default_configENS1_27scan_by_key_config_selectorIiiEEZZNS1_16scan_by_key_implILNS1_25lookback_scan_determinismE0ELb0ES3_N6thrust23THRUST_200600_302600_NS6detail15normal_iteratorINS9_10device_ptrIiEEEENS9_18transform_iteratorINS9_6negateIiEESE_NS9_11use_defaultESI_EESE_iNS9_4plusIvEENS9_8equal_toIvEEiEE10hipError_tPvRmT2_T3_T4_T5_mT6_T7_P12ihipStream_tbENKUlT_T0_E_clISt17integral_constantIbLb1EES13_IbLb0EEEEDaSZ_S10_EUlSZ_E_NS1_11comp_targetILNS1_3genE4ELNS1_11target_archE910ELNS1_3gpuE8ELNS1_3repE0EEENS1_30default_config_static_selectorELNS0_4arch9wavefront6targetE0EEEvT1_.has_recursion, 0
	.set _ZN7rocprim17ROCPRIM_400000_NS6detail17trampoline_kernelINS0_14default_configENS1_27scan_by_key_config_selectorIiiEEZZNS1_16scan_by_key_implILNS1_25lookback_scan_determinismE0ELb0ES3_N6thrust23THRUST_200600_302600_NS6detail15normal_iteratorINS9_10device_ptrIiEEEENS9_18transform_iteratorINS9_6negateIiEESE_NS9_11use_defaultESI_EESE_iNS9_4plusIvEENS9_8equal_toIvEEiEE10hipError_tPvRmT2_T3_T4_T5_mT6_T7_P12ihipStream_tbENKUlT_T0_E_clISt17integral_constantIbLb1EES13_IbLb0EEEEDaSZ_S10_EUlSZ_E_NS1_11comp_targetILNS1_3genE4ELNS1_11target_archE910ELNS1_3gpuE8ELNS1_3repE0EEENS1_30default_config_static_selectorELNS0_4arch9wavefront6targetE0EEEvT1_.has_indirect_call, 0
	.section	.AMDGPU.csdata,"",@progbits
; Kernel info:
; codeLenInByte = 0
; TotalNumSgprs: 0
; NumVgprs: 0
; ScratchSize: 0
; MemoryBound: 0
; FloatMode: 240
; IeeeMode: 1
; LDSByteSize: 0 bytes/workgroup (compile time only)
; SGPRBlocks: 0
; VGPRBlocks: 0
; NumSGPRsForWavesPerEU: 1
; NumVGPRsForWavesPerEU: 1
; NamedBarCnt: 0
; Occupancy: 16
; WaveLimiterHint : 0
; COMPUTE_PGM_RSRC2:SCRATCH_EN: 0
; COMPUTE_PGM_RSRC2:USER_SGPR: 2
; COMPUTE_PGM_RSRC2:TRAP_HANDLER: 0
; COMPUTE_PGM_RSRC2:TGID_X_EN: 1
; COMPUTE_PGM_RSRC2:TGID_Y_EN: 0
; COMPUTE_PGM_RSRC2:TGID_Z_EN: 0
; COMPUTE_PGM_RSRC2:TIDIG_COMP_CNT: 0
	.section	.text._ZN7rocprim17ROCPRIM_400000_NS6detail17trampoline_kernelINS0_14default_configENS1_27scan_by_key_config_selectorIiiEEZZNS1_16scan_by_key_implILNS1_25lookback_scan_determinismE0ELb0ES3_N6thrust23THRUST_200600_302600_NS6detail15normal_iteratorINS9_10device_ptrIiEEEENS9_18transform_iteratorINS9_6negateIiEESE_NS9_11use_defaultESI_EESE_iNS9_4plusIvEENS9_8equal_toIvEEiEE10hipError_tPvRmT2_T3_T4_T5_mT6_T7_P12ihipStream_tbENKUlT_T0_E_clISt17integral_constantIbLb1EES13_IbLb0EEEEDaSZ_S10_EUlSZ_E_NS1_11comp_targetILNS1_3genE3ELNS1_11target_archE908ELNS1_3gpuE7ELNS1_3repE0EEENS1_30default_config_static_selectorELNS0_4arch9wavefront6targetE0EEEvT1_,"axG",@progbits,_ZN7rocprim17ROCPRIM_400000_NS6detail17trampoline_kernelINS0_14default_configENS1_27scan_by_key_config_selectorIiiEEZZNS1_16scan_by_key_implILNS1_25lookback_scan_determinismE0ELb0ES3_N6thrust23THRUST_200600_302600_NS6detail15normal_iteratorINS9_10device_ptrIiEEEENS9_18transform_iteratorINS9_6negateIiEESE_NS9_11use_defaultESI_EESE_iNS9_4plusIvEENS9_8equal_toIvEEiEE10hipError_tPvRmT2_T3_T4_T5_mT6_T7_P12ihipStream_tbENKUlT_T0_E_clISt17integral_constantIbLb1EES13_IbLb0EEEEDaSZ_S10_EUlSZ_E_NS1_11comp_targetILNS1_3genE3ELNS1_11target_archE908ELNS1_3gpuE7ELNS1_3repE0EEENS1_30default_config_static_selectorELNS0_4arch9wavefront6targetE0EEEvT1_,comdat
	.protected	_ZN7rocprim17ROCPRIM_400000_NS6detail17trampoline_kernelINS0_14default_configENS1_27scan_by_key_config_selectorIiiEEZZNS1_16scan_by_key_implILNS1_25lookback_scan_determinismE0ELb0ES3_N6thrust23THRUST_200600_302600_NS6detail15normal_iteratorINS9_10device_ptrIiEEEENS9_18transform_iteratorINS9_6negateIiEESE_NS9_11use_defaultESI_EESE_iNS9_4plusIvEENS9_8equal_toIvEEiEE10hipError_tPvRmT2_T3_T4_T5_mT6_T7_P12ihipStream_tbENKUlT_T0_E_clISt17integral_constantIbLb1EES13_IbLb0EEEEDaSZ_S10_EUlSZ_E_NS1_11comp_targetILNS1_3genE3ELNS1_11target_archE908ELNS1_3gpuE7ELNS1_3repE0EEENS1_30default_config_static_selectorELNS0_4arch9wavefront6targetE0EEEvT1_ ; -- Begin function _ZN7rocprim17ROCPRIM_400000_NS6detail17trampoline_kernelINS0_14default_configENS1_27scan_by_key_config_selectorIiiEEZZNS1_16scan_by_key_implILNS1_25lookback_scan_determinismE0ELb0ES3_N6thrust23THRUST_200600_302600_NS6detail15normal_iteratorINS9_10device_ptrIiEEEENS9_18transform_iteratorINS9_6negateIiEESE_NS9_11use_defaultESI_EESE_iNS9_4plusIvEENS9_8equal_toIvEEiEE10hipError_tPvRmT2_T3_T4_T5_mT6_T7_P12ihipStream_tbENKUlT_T0_E_clISt17integral_constantIbLb1EES13_IbLb0EEEEDaSZ_S10_EUlSZ_E_NS1_11comp_targetILNS1_3genE3ELNS1_11target_archE908ELNS1_3gpuE7ELNS1_3repE0EEENS1_30default_config_static_selectorELNS0_4arch9wavefront6targetE0EEEvT1_
	.globl	_ZN7rocprim17ROCPRIM_400000_NS6detail17trampoline_kernelINS0_14default_configENS1_27scan_by_key_config_selectorIiiEEZZNS1_16scan_by_key_implILNS1_25lookback_scan_determinismE0ELb0ES3_N6thrust23THRUST_200600_302600_NS6detail15normal_iteratorINS9_10device_ptrIiEEEENS9_18transform_iteratorINS9_6negateIiEESE_NS9_11use_defaultESI_EESE_iNS9_4plusIvEENS9_8equal_toIvEEiEE10hipError_tPvRmT2_T3_T4_T5_mT6_T7_P12ihipStream_tbENKUlT_T0_E_clISt17integral_constantIbLb1EES13_IbLb0EEEEDaSZ_S10_EUlSZ_E_NS1_11comp_targetILNS1_3genE3ELNS1_11target_archE908ELNS1_3gpuE7ELNS1_3repE0EEENS1_30default_config_static_selectorELNS0_4arch9wavefront6targetE0EEEvT1_
	.p2align	8
	.type	_ZN7rocprim17ROCPRIM_400000_NS6detail17trampoline_kernelINS0_14default_configENS1_27scan_by_key_config_selectorIiiEEZZNS1_16scan_by_key_implILNS1_25lookback_scan_determinismE0ELb0ES3_N6thrust23THRUST_200600_302600_NS6detail15normal_iteratorINS9_10device_ptrIiEEEENS9_18transform_iteratorINS9_6negateIiEESE_NS9_11use_defaultESI_EESE_iNS9_4plusIvEENS9_8equal_toIvEEiEE10hipError_tPvRmT2_T3_T4_T5_mT6_T7_P12ihipStream_tbENKUlT_T0_E_clISt17integral_constantIbLb1EES13_IbLb0EEEEDaSZ_S10_EUlSZ_E_NS1_11comp_targetILNS1_3genE3ELNS1_11target_archE908ELNS1_3gpuE7ELNS1_3repE0EEENS1_30default_config_static_selectorELNS0_4arch9wavefront6targetE0EEEvT1_,@function
_ZN7rocprim17ROCPRIM_400000_NS6detail17trampoline_kernelINS0_14default_configENS1_27scan_by_key_config_selectorIiiEEZZNS1_16scan_by_key_implILNS1_25lookback_scan_determinismE0ELb0ES3_N6thrust23THRUST_200600_302600_NS6detail15normal_iteratorINS9_10device_ptrIiEEEENS9_18transform_iteratorINS9_6negateIiEESE_NS9_11use_defaultESI_EESE_iNS9_4plusIvEENS9_8equal_toIvEEiEE10hipError_tPvRmT2_T3_T4_T5_mT6_T7_P12ihipStream_tbENKUlT_T0_E_clISt17integral_constantIbLb1EES13_IbLb0EEEEDaSZ_S10_EUlSZ_E_NS1_11comp_targetILNS1_3genE3ELNS1_11target_archE908ELNS1_3gpuE7ELNS1_3repE0EEENS1_30default_config_static_selectorELNS0_4arch9wavefront6targetE0EEEvT1_: ; @_ZN7rocprim17ROCPRIM_400000_NS6detail17trampoline_kernelINS0_14default_configENS1_27scan_by_key_config_selectorIiiEEZZNS1_16scan_by_key_implILNS1_25lookback_scan_determinismE0ELb0ES3_N6thrust23THRUST_200600_302600_NS6detail15normal_iteratorINS9_10device_ptrIiEEEENS9_18transform_iteratorINS9_6negateIiEESE_NS9_11use_defaultESI_EESE_iNS9_4plusIvEENS9_8equal_toIvEEiEE10hipError_tPvRmT2_T3_T4_T5_mT6_T7_P12ihipStream_tbENKUlT_T0_E_clISt17integral_constantIbLb1EES13_IbLb0EEEEDaSZ_S10_EUlSZ_E_NS1_11comp_targetILNS1_3genE3ELNS1_11target_archE908ELNS1_3gpuE7ELNS1_3repE0EEENS1_30default_config_static_selectorELNS0_4arch9wavefront6targetE0EEEvT1_
; %bb.0:
	.section	.rodata,"a",@progbits
	.p2align	6, 0x0
	.amdhsa_kernel _ZN7rocprim17ROCPRIM_400000_NS6detail17trampoline_kernelINS0_14default_configENS1_27scan_by_key_config_selectorIiiEEZZNS1_16scan_by_key_implILNS1_25lookback_scan_determinismE0ELb0ES3_N6thrust23THRUST_200600_302600_NS6detail15normal_iteratorINS9_10device_ptrIiEEEENS9_18transform_iteratorINS9_6negateIiEESE_NS9_11use_defaultESI_EESE_iNS9_4plusIvEENS9_8equal_toIvEEiEE10hipError_tPvRmT2_T3_T4_T5_mT6_T7_P12ihipStream_tbENKUlT_T0_E_clISt17integral_constantIbLb1EES13_IbLb0EEEEDaSZ_S10_EUlSZ_E_NS1_11comp_targetILNS1_3genE3ELNS1_11target_archE908ELNS1_3gpuE7ELNS1_3repE0EEENS1_30default_config_static_selectorELNS0_4arch9wavefront6targetE0EEEvT1_
		.amdhsa_group_segment_fixed_size 0
		.amdhsa_private_segment_fixed_size 0
		.amdhsa_kernarg_size 120
		.amdhsa_user_sgpr_count 2
		.amdhsa_user_sgpr_dispatch_ptr 0
		.amdhsa_user_sgpr_queue_ptr 0
		.amdhsa_user_sgpr_kernarg_segment_ptr 1
		.amdhsa_user_sgpr_dispatch_id 0
		.amdhsa_user_sgpr_kernarg_preload_length 0
		.amdhsa_user_sgpr_kernarg_preload_offset 0
		.amdhsa_user_sgpr_private_segment_size 0
		.amdhsa_wavefront_size32 1
		.amdhsa_uses_dynamic_stack 0
		.amdhsa_enable_private_segment 0
		.amdhsa_system_sgpr_workgroup_id_x 1
		.amdhsa_system_sgpr_workgroup_id_y 0
		.amdhsa_system_sgpr_workgroup_id_z 0
		.amdhsa_system_sgpr_workgroup_info 0
		.amdhsa_system_vgpr_workitem_id 0
		.amdhsa_next_free_vgpr 1
		.amdhsa_next_free_sgpr 1
		.amdhsa_named_barrier_count 0
		.amdhsa_reserve_vcc 0
		.amdhsa_float_round_mode_32 0
		.amdhsa_float_round_mode_16_64 0
		.amdhsa_float_denorm_mode_32 3
		.amdhsa_float_denorm_mode_16_64 3
		.amdhsa_fp16_overflow 0
		.amdhsa_memory_ordered 1
		.amdhsa_forward_progress 1
		.amdhsa_inst_pref_size 0
		.amdhsa_round_robin_scheduling 0
		.amdhsa_exception_fp_ieee_invalid_op 0
		.amdhsa_exception_fp_denorm_src 0
		.amdhsa_exception_fp_ieee_div_zero 0
		.amdhsa_exception_fp_ieee_overflow 0
		.amdhsa_exception_fp_ieee_underflow 0
		.amdhsa_exception_fp_ieee_inexact 0
		.amdhsa_exception_int_div_zero 0
	.end_amdhsa_kernel
	.section	.text._ZN7rocprim17ROCPRIM_400000_NS6detail17trampoline_kernelINS0_14default_configENS1_27scan_by_key_config_selectorIiiEEZZNS1_16scan_by_key_implILNS1_25lookback_scan_determinismE0ELb0ES3_N6thrust23THRUST_200600_302600_NS6detail15normal_iteratorINS9_10device_ptrIiEEEENS9_18transform_iteratorINS9_6negateIiEESE_NS9_11use_defaultESI_EESE_iNS9_4plusIvEENS9_8equal_toIvEEiEE10hipError_tPvRmT2_T3_T4_T5_mT6_T7_P12ihipStream_tbENKUlT_T0_E_clISt17integral_constantIbLb1EES13_IbLb0EEEEDaSZ_S10_EUlSZ_E_NS1_11comp_targetILNS1_3genE3ELNS1_11target_archE908ELNS1_3gpuE7ELNS1_3repE0EEENS1_30default_config_static_selectorELNS0_4arch9wavefront6targetE0EEEvT1_,"axG",@progbits,_ZN7rocprim17ROCPRIM_400000_NS6detail17trampoline_kernelINS0_14default_configENS1_27scan_by_key_config_selectorIiiEEZZNS1_16scan_by_key_implILNS1_25lookback_scan_determinismE0ELb0ES3_N6thrust23THRUST_200600_302600_NS6detail15normal_iteratorINS9_10device_ptrIiEEEENS9_18transform_iteratorINS9_6negateIiEESE_NS9_11use_defaultESI_EESE_iNS9_4plusIvEENS9_8equal_toIvEEiEE10hipError_tPvRmT2_T3_T4_T5_mT6_T7_P12ihipStream_tbENKUlT_T0_E_clISt17integral_constantIbLb1EES13_IbLb0EEEEDaSZ_S10_EUlSZ_E_NS1_11comp_targetILNS1_3genE3ELNS1_11target_archE908ELNS1_3gpuE7ELNS1_3repE0EEENS1_30default_config_static_selectorELNS0_4arch9wavefront6targetE0EEEvT1_,comdat
.Lfunc_end951:
	.size	_ZN7rocprim17ROCPRIM_400000_NS6detail17trampoline_kernelINS0_14default_configENS1_27scan_by_key_config_selectorIiiEEZZNS1_16scan_by_key_implILNS1_25lookback_scan_determinismE0ELb0ES3_N6thrust23THRUST_200600_302600_NS6detail15normal_iteratorINS9_10device_ptrIiEEEENS9_18transform_iteratorINS9_6negateIiEESE_NS9_11use_defaultESI_EESE_iNS9_4plusIvEENS9_8equal_toIvEEiEE10hipError_tPvRmT2_T3_T4_T5_mT6_T7_P12ihipStream_tbENKUlT_T0_E_clISt17integral_constantIbLb1EES13_IbLb0EEEEDaSZ_S10_EUlSZ_E_NS1_11comp_targetILNS1_3genE3ELNS1_11target_archE908ELNS1_3gpuE7ELNS1_3repE0EEENS1_30default_config_static_selectorELNS0_4arch9wavefront6targetE0EEEvT1_, .Lfunc_end951-_ZN7rocprim17ROCPRIM_400000_NS6detail17trampoline_kernelINS0_14default_configENS1_27scan_by_key_config_selectorIiiEEZZNS1_16scan_by_key_implILNS1_25lookback_scan_determinismE0ELb0ES3_N6thrust23THRUST_200600_302600_NS6detail15normal_iteratorINS9_10device_ptrIiEEEENS9_18transform_iteratorINS9_6negateIiEESE_NS9_11use_defaultESI_EESE_iNS9_4plusIvEENS9_8equal_toIvEEiEE10hipError_tPvRmT2_T3_T4_T5_mT6_T7_P12ihipStream_tbENKUlT_T0_E_clISt17integral_constantIbLb1EES13_IbLb0EEEEDaSZ_S10_EUlSZ_E_NS1_11comp_targetILNS1_3genE3ELNS1_11target_archE908ELNS1_3gpuE7ELNS1_3repE0EEENS1_30default_config_static_selectorELNS0_4arch9wavefront6targetE0EEEvT1_
                                        ; -- End function
	.set _ZN7rocprim17ROCPRIM_400000_NS6detail17trampoline_kernelINS0_14default_configENS1_27scan_by_key_config_selectorIiiEEZZNS1_16scan_by_key_implILNS1_25lookback_scan_determinismE0ELb0ES3_N6thrust23THRUST_200600_302600_NS6detail15normal_iteratorINS9_10device_ptrIiEEEENS9_18transform_iteratorINS9_6negateIiEESE_NS9_11use_defaultESI_EESE_iNS9_4plusIvEENS9_8equal_toIvEEiEE10hipError_tPvRmT2_T3_T4_T5_mT6_T7_P12ihipStream_tbENKUlT_T0_E_clISt17integral_constantIbLb1EES13_IbLb0EEEEDaSZ_S10_EUlSZ_E_NS1_11comp_targetILNS1_3genE3ELNS1_11target_archE908ELNS1_3gpuE7ELNS1_3repE0EEENS1_30default_config_static_selectorELNS0_4arch9wavefront6targetE0EEEvT1_.num_vgpr, 0
	.set _ZN7rocprim17ROCPRIM_400000_NS6detail17trampoline_kernelINS0_14default_configENS1_27scan_by_key_config_selectorIiiEEZZNS1_16scan_by_key_implILNS1_25lookback_scan_determinismE0ELb0ES3_N6thrust23THRUST_200600_302600_NS6detail15normal_iteratorINS9_10device_ptrIiEEEENS9_18transform_iteratorINS9_6negateIiEESE_NS9_11use_defaultESI_EESE_iNS9_4plusIvEENS9_8equal_toIvEEiEE10hipError_tPvRmT2_T3_T4_T5_mT6_T7_P12ihipStream_tbENKUlT_T0_E_clISt17integral_constantIbLb1EES13_IbLb0EEEEDaSZ_S10_EUlSZ_E_NS1_11comp_targetILNS1_3genE3ELNS1_11target_archE908ELNS1_3gpuE7ELNS1_3repE0EEENS1_30default_config_static_selectorELNS0_4arch9wavefront6targetE0EEEvT1_.num_agpr, 0
	.set _ZN7rocprim17ROCPRIM_400000_NS6detail17trampoline_kernelINS0_14default_configENS1_27scan_by_key_config_selectorIiiEEZZNS1_16scan_by_key_implILNS1_25lookback_scan_determinismE0ELb0ES3_N6thrust23THRUST_200600_302600_NS6detail15normal_iteratorINS9_10device_ptrIiEEEENS9_18transform_iteratorINS9_6negateIiEESE_NS9_11use_defaultESI_EESE_iNS9_4plusIvEENS9_8equal_toIvEEiEE10hipError_tPvRmT2_T3_T4_T5_mT6_T7_P12ihipStream_tbENKUlT_T0_E_clISt17integral_constantIbLb1EES13_IbLb0EEEEDaSZ_S10_EUlSZ_E_NS1_11comp_targetILNS1_3genE3ELNS1_11target_archE908ELNS1_3gpuE7ELNS1_3repE0EEENS1_30default_config_static_selectorELNS0_4arch9wavefront6targetE0EEEvT1_.numbered_sgpr, 0
	.set _ZN7rocprim17ROCPRIM_400000_NS6detail17trampoline_kernelINS0_14default_configENS1_27scan_by_key_config_selectorIiiEEZZNS1_16scan_by_key_implILNS1_25lookback_scan_determinismE0ELb0ES3_N6thrust23THRUST_200600_302600_NS6detail15normal_iteratorINS9_10device_ptrIiEEEENS9_18transform_iteratorINS9_6negateIiEESE_NS9_11use_defaultESI_EESE_iNS9_4plusIvEENS9_8equal_toIvEEiEE10hipError_tPvRmT2_T3_T4_T5_mT6_T7_P12ihipStream_tbENKUlT_T0_E_clISt17integral_constantIbLb1EES13_IbLb0EEEEDaSZ_S10_EUlSZ_E_NS1_11comp_targetILNS1_3genE3ELNS1_11target_archE908ELNS1_3gpuE7ELNS1_3repE0EEENS1_30default_config_static_selectorELNS0_4arch9wavefront6targetE0EEEvT1_.num_named_barrier, 0
	.set _ZN7rocprim17ROCPRIM_400000_NS6detail17trampoline_kernelINS0_14default_configENS1_27scan_by_key_config_selectorIiiEEZZNS1_16scan_by_key_implILNS1_25lookback_scan_determinismE0ELb0ES3_N6thrust23THRUST_200600_302600_NS6detail15normal_iteratorINS9_10device_ptrIiEEEENS9_18transform_iteratorINS9_6negateIiEESE_NS9_11use_defaultESI_EESE_iNS9_4plusIvEENS9_8equal_toIvEEiEE10hipError_tPvRmT2_T3_T4_T5_mT6_T7_P12ihipStream_tbENKUlT_T0_E_clISt17integral_constantIbLb1EES13_IbLb0EEEEDaSZ_S10_EUlSZ_E_NS1_11comp_targetILNS1_3genE3ELNS1_11target_archE908ELNS1_3gpuE7ELNS1_3repE0EEENS1_30default_config_static_selectorELNS0_4arch9wavefront6targetE0EEEvT1_.private_seg_size, 0
	.set _ZN7rocprim17ROCPRIM_400000_NS6detail17trampoline_kernelINS0_14default_configENS1_27scan_by_key_config_selectorIiiEEZZNS1_16scan_by_key_implILNS1_25lookback_scan_determinismE0ELb0ES3_N6thrust23THRUST_200600_302600_NS6detail15normal_iteratorINS9_10device_ptrIiEEEENS9_18transform_iteratorINS9_6negateIiEESE_NS9_11use_defaultESI_EESE_iNS9_4plusIvEENS9_8equal_toIvEEiEE10hipError_tPvRmT2_T3_T4_T5_mT6_T7_P12ihipStream_tbENKUlT_T0_E_clISt17integral_constantIbLb1EES13_IbLb0EEEEDaSZ_S10_EUlSZ_E_NS1_11comp_targetILNS1_3genE3ELNS1_11target_archE908ELNS1_3gpuE7ELNS1_3repE0EEENS1_30default_config_static_selectorELNS0_4arch9wavefront6targetE0EEEvT1_.uses_vcc, 0
	.set _ZN7rocprim17ROCPRIM_400000_NS6detail17trampoline_kernelINS0_14default_configENS1_27scan_by_key_config_selectorIiiEEZZNS1_16scan_by_key_implILNS1_25lookback_scan_determinismE0ELb0ES3_N6thrust23THRUST_200600_302600_NS6detail15normal_iteratorINS9_10device_ptrIiEEEENS9_18transform_iteratorINS9_6negateIiEESE_NS9_11use_defaultESI_EESE_iNS9_4plusIvEENS9_8equal_toIvEEiEE10hipError_tPvRmT2_T3_T4_T5_mT6_T7_P12ihipStream_tbENKUlT_T0_E_clISt17integral_constantIbLb1EES13_IbLb0EEEEDaSZ_S10_EUlSZ_E_NS1_11comp_targetILNS1_3genE3ELNS1_11target_archE908ELNS1_3gpuE7ELNS1_3repE0EEENS1_30default_config_static_selectorELNS0_4arch9wavefront6targetE0EEEvT1_.uses_flat_scratch, 0
	.set _ZN7rocprim17ROCPRIM_400000_NS6detail17trampoline_kernelINS0_14default_configENS1_27scan_by_key_config_selectorIiiEEZZNS1_16scan_by_key_implILNS1_25lookback_scan_determinismE0ELb0ES3_N6thrust23THRUST_200600_302600_NS6detail15normal_iteratorINS9_10device_ptrIiEEEENS9_18transform_iteratorINS9_6negateIiEESE_NS9_11use_defaultESI_EESE_iNS9_4plusIvEENS9_8equal_toIvEEiEE10hipError_tPvRmT2_T3_T4_T5_mT6_T7_P12ihipStream_tbENKUlT_T0_E_clISt17integral_constantIbLb1EES13_IbLb0EEEEDaSZ_S10_EUlSZ_E_NS1_11comp_targetILNS1_3genE3ELNS1_11target_archE908ELNS1_3gpuE7ELNS1_3repE0EEENS1_30default_config_static_selectorELNS0_4arch9wavefront6targetE0EEEvT1_.has_dyn_sized_stack, 0
	.set _ZN7rocprim17ROCPRIM_400000_NS6detail17trampoline_kernelINS0_14default_configENS1_27scan_by_key_config_selectorIiiEEZZNS1_16scan_by_key_implILNS1_25lookback_scan_determinismE0ELb0ES3_N6thrust23THRUST_200600_302600_NS6detail15normal_iteratorINS9_10device_ptrIiEEEENS9_18transform_iteratorINS9_6negateIiEESE_NS9_11use_defaultESI_EESE_iNS9_4plusIvEENS9_8equal_toIvEEiEE10hipError_tPvRmT2_T3_T4_T5_mT6_T7_P12ihipStream_tbENKUlT_T0_E_clISt17integral_constantIbLb1EES13_IbLb0EEEEDaSZ_S10_EUlSZ_E_NS1_11comp_targetILNS1_3genE3ELNS1_11target_archE908ELNS1_3gpuE7ELNS1_3repE0EEENS1_30default_config_static_selectorELNS0_4arch9wavefront6targetE0EEEvT1_.has_recursion, 0
	.set _ZN7rocprim17ROCPRIM_400000_NS6detail17trampoline_kernelINS0_14default_configENS1_27scan_by_key_config_selectorIiiEEZZNS1_16scan_by_key_implILNS1_25lookback_scan_determinismE0ELb0ES3_N6thrust23THRUST_200600_302600_NS6detail15normal_iteratorINS9_10device_ptrIiEEEENS9_18transform_iteratorINS9_6negateIiEESE_NS9_11use_defaultESI_EESE_iNS9_4plusIvEENS9_8equal_toIvEEiEE10hipError_tPvRmT2_T3_T4_T5_mT6_T7_P12ihipStream_tbENKUlT_T0_E_clISt17integral_constantIbLb1EES13_IbLb0EEEEDaSZ_S10_EUlSZ_E_NS1_11comp_targetILNS1_3genE3ELNS1_11target_archE908ELNS1_3gpuE7ELNS1_3repE0EEENS1_30default_config_static_selectorELNS0_4arch9wavefront6targetE0EEEvT1_.has_indirect_call, 0
	.section	.AMDGPU.csdata,"",@progbits
; Kernel info:
; codeLenInByte = 0
; TotalNumSgprs: 0
; NumVgprs: 0
; ScratchSize: 0
; MemoryBound: 0
; FloatMode: 240
; IeeeMode: 1
; LDSByteSize: 0 bytes/workgroup (compile time only)
; SGPRBlocks: 0
; VGPRBlocks: 0
; NumSGPRsForWavesPerEU: 1
; NumVGPRsForWavesPerEU: 1
; NamedBarCnt: 0
; Occupancy: 16
; WaveLimiterHint : 0
; COMPUTE_PGM_RSRC2:SCRATCH_EN: 0
; COMPUTE_PGM_RSRC2:USER_SGPR: 2
; COMPUTE_PGM_RSRC2:TRAP_HANDLER: 0
; COMPUTE_PGM_RSRC2:TGID_X_EN: 1
; COMPUTE_PGM_RSRC2:TGID_Y_EN: 0
; COMPUTE_PGM_RSRC2:TGID_Z_EN: 0
; COMPUTE_PGM_RSRC2:TIDIG_COMP_CNT: 0
	.section	.text._ZN7rocprim17ROCPRIM_400000_NS6detail17trampoline_kernelINS0_14default_configENS1_27scan_by_key_config_selectorIiiEEZZNS1_16scan_by_key_implILNS1_25lookback_scan_determinismE0ELb0ES3_N6thrust23THRUST_200600_302600_NS6detail15normal_iteratorINS9_10device_ptrIiEEEENS9_18transform_iteratorINS9_6negateIiEESE_NS9_11use_defaultESI_EESE_iNS9_4plusIvEENS9_8equal_toIvEEiEE10hipError_tPvRmT2_T3_T4_T5_mT6_T7_P12ihipStream_tbENKUlT_T0_E_clISt17integral_constantIbLb1EES13_IbLb0EEEEDaSZ_S10_EUlSZ_E_NS1_11comp_targetILNS1_3genE2ELNS1_11target_archE906ELNS1_3gpuE6ELNS1_3repE0EEENS1_30default_config_static_selectorELNS0_4arch9wavefront6targetE0EEEvT1_,"axG",@progbits,_ZN7rocprim17ROCPRIM_400000_NS6detail17trampoline_kernelINS0_14default_configENS1_27scan_by_key_config_selectorIiiEEZZNS1_16scan_by_key_implILNS1_25lookback_scan_determinismE0ELb0ES3_N6thrust23THRUST_200600_302600_NS6detail15normal_iteratorINS9_10device_ptrIiEEEENS9_18transform_iteratorINS9_6negateIiEESE_NS9_11use_defaultESI_EESE_iNS9_4plusIvEENS9_8equal_toIvEEiEE10hipError_tPvRmT2_T3_T4_T5_mT6_T7_P12ihipStream_tbENKUlT_T0_E_clISt17integral_constantIbLb1EES13_IbLb0EEEEDaSZ_S10_EUlSZ_E_NS1_11comp_targetILNS1_3genE2ELNS1_11target_archE906ELNS1_3gpuE6ELNS1_3repE0EEENS1_30default_config_static_selectorELNS0_4arch9wavefront6targetE0EEEvT1_,comdat
	.protected	_ZN7rocprim17ROCPRIM_400000_NS6detail17trampoline_kernelINS0_14default_configENS1_27scan_by_key_config_selectorIiiEEZZNS1_16scan_by_key_implILNS1_25lookback_scan_determinismE0ELb0ES3_N6thrust23THRUST_200600_302600_NS6detail15normal_iteratorINS9_10device_ptrIiEEEENS9_18transform_iteratorINS9_6negateIiEESE_NS9_11use_defaultESI_EESE_iNS9_4plusIvEENS9_8equal_toIvEEiEE10hipError_tPvRmT2_T3_T4_T5_mT6_T7_P12ihipStream_tbENKUlT_T0_E_clISt17integral_constantIbLb1EES13_IbLb0EEEEDaSZ_S10_EUlSZ_E_NS1_11comp_targetILNS1_3genE2ELNS1_11target_archE906ELNS1_3gpuE6ELNS1_3repE0EEENS1_30default_config_static_selectorELNS0_4arch9wavefront6targetE0EEEvT1_ ; -- Begin function _ZN7rocprim17ROCPRIM_400000_NS6detail17trampoline_kernelINS0_14default_configENS1_27scan_by_key_config_selectorIiiEEZZNS1_16scan_by_key_implILNS1_25lookback_scan_determinismE0ELb0ES3_N6thrust23THRUST_200600_302600_NS6detail15normal_iteratorINS9_10device_ptrIiEEEENS9_18transform_iteratorINS9_6negateIiEESE_NS9_11use_defaultESI_EESE_iNS9_4plusIvEENS9_8equal_toIvEEiEE10hipError_tPvRmT2_T3_T4_T5_mT6_T7_P12ihipStream_tbENKUlT_T0_E_clISt17integral_constantIbLb1EES13_IbLb0EEEEDaSZ_S10_EUlSZ_E_NS1_11comp_targetILNS1_3genE2ELNS1_11target_archE906ELNS1_3gpuE6ELNS1_3repE0EEENS1_30default_config_static_selectorELNS0_4arch9wavefront6targetE0EEEvT1_
	.globl	_ZN7rocprim17ROCPRIM_400000_NS6detail17trampoline_kernelINS0_14default_configENS1_27scan_by_key_config_selectorIiiEEZZNS1_16scan_by_key_implILNS1_25lookback_scan_determinismE0ELb0ES3_N6thrust23THRUST_200600_302600_NS6detail15normal_iteratorINS9_10device_ptrIiEEEENS9_18transform_iteratorINS9_6negateIiEESE_NS9_11use_defaultESI_EESE_iNS9_4plusIvEENS9_8equal_toIvEEiEE10hipError_tPvRmT2_T3_T4_T5_mT6_T7_P12ihipStream_tbENKUlT_T0_E_clISt17integral_constantIbLb1EES13_IbLb0EEEEDaSZ_S10_EUlSZ_E_NS1_11comp_targetILNS1_3genE2ELNS1_11target_archE906ELNS1_3gpuE6ELNS1_3repE0EEENS1_30default_config_static_selectorELNS0_4arch9wavefront6targetE0EEEvT1_
	.p2align	8
	.type	_ZN7rocprim17ROCPRIM_400000_NS6detail17trampoline_kernelINS0_14default_configENS1_27scan_by_key_config_selectorIiiEEZZNS1_16scan_by_key_implILNS1_25lookback_scan_determinismE0ELb0ES3_N6thrust23THRUST_200600_302600_NS6detail15normal_iteratorINS9_10device_ptrIiEEEENS9_18transform_iteratorINS9_6negateIiEESE_NS9_11use_defaultESI_EESE_iNS9_4plusIvEENS9_8equal_toIvEEiEE10hipError_tPvRmT2_T3_T4_T5_mT6_T7_P12ihipStream_tbENKUlT_T0_E_clISt17integral_constantIbLb1EES13_IbLb0EEEEDaSZ_S10_EUlSZ_E_NS1_11comp_targetILNS1_3genE2ELNS1_11target_archE906ELNS1_3gpuE6ELNS1_3repE0EEENS1_30default_config_static_selectorELNS0_4arch9wavefront6targetE0EEEvT1_,@function
_ZN7rocprim17ROCPRIM_400000_NS6detail17trampoline_kernelINS0_14default_configENS1_27scan_by_key_config_selectorIiiEEZZNS1_16scan_by_key_implILNS1_25lookback_scan_determinismE0ELb0ES3_N6thrust23THRUST_200600_302600_NS6detail15normal_iteratorINS9_10device_ptrIiEEEENS9_18transform_iteratorINS9_6negateIiEESE_NS9_11use_defaultESI_EESE_iNS9_4plusIvEENS9_8equal_toIvEEiEE10hipError_tPvRmT2_T3_T4_T5_mT6_T7_P12ihipStream_tbENKUlT_T0_E_clISt17integral_constantIbLb1EES13_IbLb0EEEEDaSZ_S10_EUlSZ_E_NS1_11comp_targetILNS1_3genE2ELNS1_11target_archE906ELNS1_3gpuE6ELNS1_3repE0EEENS1_30default_config_static_selectorELNS0_4arch9wavefront6targetE0EEEvT1_: ; @_ZN7rocprim17ROCPRIM_400000_NS6detail17trampoline_kernelINS0_14default_configENS1_27scan_by_key_config_selectorIiiEEZZNS1_16scan_by_key_implILNS1_25lookback_scan_determinismE0ELb0ES3_N6thrust23THRUST_200600_302600_NS6detail15normal_iteratorINS9_10device_ptrIiEEEENS9_18transform_iteratorINS9_6negateIiEESE_NS9_11use_defaultESI_EESE_iNS9_4plusIvEENS9_8equal_toIvEEiEE10hipError_tPvRmT2_T3_T4_T5_mT6_T7_P12ihipStream_tbENKUlT_T0_E_clISt17integral_constantIbLb1EES13_IbLb0EEEEDaSZ_S10_EUlSZ_E_NS1_11comp_targetILNS1_3genE2ELNS1_11target_archE906ELNS1_3gpuE6ELNS1_3repE0EEENS1_30default_config_static_selectorELNS0_4arch9wavefront6targetE0EEEvT1_
; %bb.0:
	.section	.rodata,"a",@progbits
	.p2align	6, 0x0
	.amdhsa_kernel _ZN7rocprim17ROCPRIM_400000_NS6detail17trampoline_kernelINS0_14default_configENS1_27scan_by_key_config_selectorIiiEEZZNS1_16scan_by_key_implILNS1_25lookback_scan_determinismE0ELb0ES3_N6thrust23THRUST_200600_302600_NS6detail15normal_iteratorINS9_10device_ptrIiEEEENS9_18transform_iteratorINS9_6negateIiEESE_NS9_11use_defaultESI_EESE_iNS9_4plusIvEENS9_8equal_toIvEEiEE10hipError_tPvRmT2_T3_T4_T5_mT6_T7_P12ihipStream_tbENKUlT_T0_E_clISt17integral_constantIbLb1EES13_IbLb0EEEEDaSZ_S10_EUlSZ_E_NS1_11comp_targetILNS1_3genE2ELNS1_11target_archE906ELNS1_3gpuE6ELNS1_3repE0EEENS1_30default_config_static_selectorELNS0_4arch9wavefront6targetE0EEEvT1_
		.amdhsa_group_segment_fixed_size 0
		.amdhsa_private_segment_fixed_size 0
		.amdhsa_kernarg_size 120
		.amdhsa_user_sgpr_count 2
		.amdhsa_user_sgpr_dispatch_ptr 0
		.amdhsa_user_sgpr_queue_ptr 0
		.amdhsa_user_sgpr_kernarg_segment_ptr 1
		.amdhsa_user_sgpr_dispatch_id 0
		.amdhsa_user_sgpr_kernarg_preload_length 0
		.amdhsa_user_sgpr_kernarg_preload_offset 0
		.amdhsa_user_sgpr_private_segment_size 0
		.amdhsa_wavefront_size32 1
		.amdhsa_uses_dynamic_stack 0
		.amdhsa_enable_private_segment 0
		.amdhsa_system_sgpr_workgroup_id_x 1
		.amdhsa_system_sgpr_workgroup_id_y 0
		.amdhsa_system_sgpr_workgroup_id_z 0
		.amdhsa_system_sgpr_workgroup_info 0
		.amdhsa_system_vgpr_workitem_id 0
		.amdhsa_next_free_vgpr 1
		.amdhsa_next_free_sgpr 1
		.amdhsa_named_barrier_count 0
		.amdhsa_reserve_vcc 0
		.amdhsa_float_round_mode_32 0
		.amdhsa_float_round_mode_16_64 0
		.amdhsa_float_denorm_mode_32 3
		.amdhsa_float_denorm_mode_16_64 3
		.amdhsa_fp16_overflow 0
		.amdhsa_memory_ordered 1
		.amdhsa_forward_progress 1
		.amdhsa_inst_pref_size 0
		.amdhsa_round_robin_scheduling 0
		.amdhsa_exception_fp_ieee_invalid_op 0
		.amdhsa_exception_fp_denorm_src 0
		.amdhsa_exception_fp_ieee_div_zero 0
		.amdhsa_exception_fp_ieee_overflow 0
		.amdhsa_exception_fp_ieee_underflow 0
		.amdhsa_exception_fp_ieee_inexact 0
		.amdhsa_exception_int_div_zero 0
	.end_amdhsa_kernel
	.section	.text._ZN7rocprim17ROCPRIM_400000_NS6detail17trampoline_kernelINS0_14default_configENS1_27scan_by_key_config_selectorIiiEEZZNS1_16scan_by_key_implILNS1_25lookback_scan_determinismE0ELb0ES3_N6thrust23THRUST_200600_302600_NS6detail15normal_iteratorINS9_10device_ptrIiEEEENS9_18transform_iteratorINS9_6negateIiEESE_NS9_11use_defaultESI_EESE_iNS9_4plusIvEENS9_8equal_toIvEEiEE10hipError_tPvRmT2_T3_T4_T5_mT6_T7_P12ihipStream_tbENKUlT_T0_E_clISt17integral_constantIbLb1EES13_IbLb0EEEEDaSZ_S10_EUlSZ_E_NS1_11comp_targetILNS1_3genE2ELNS1_11target_archE906ELNS1_3gpuE6ELNS1_3repE0EEENS1_30default_config_static_selectorELNS0_4arch9wavefront6targetE0EEEvT1_,"axG",@progbits,_ZN7rocprim17ROCPRIM_400000_NS6detail17trampoline_kernelINS0_14default_configENS1_27scan_by_key_config_selectorIiiEEZZNS1_16scan_by_key_implILNS1_25lookback_scan_determinismE0ELb0ES3_N6thrust23THRUST_200600_302600_NS6detail15normal_iteratorINS9_10device_ptrIiEEEENS9_18transform_iteratorINS9_6negateIiEESE_NS9_11use_defaultESI_EESE_iNS9_4plusIvEENS9_8equal_toIvEEiEE10hipError_tPvRmT2_T3_T4_T5_mT6_T7_P12ihipStream_tbENKUlT_T0_E_clISt17integral_constantIbLb1EES13_IbLb0EEEEDaSZ_S10_EUlSZ_E_NS1_11comp_targetILNS1_3genE2ELNS1_11target_archE906ELNS1_3gpuE6ELNS1_3repE0EEENS1_30default_config_static_selectorELNS0_4arch9wavefront6targetE0EEEvT1_,comdat
.Lfunc_end952:
	.size	_ZN7rocprim17ROCPRIM_400000_NS6detail17trampoline_kernelINS0_14default_configENS1_27scan_by_key_config_selectorIiiEEZZNS1_16scan_by_key_implILNS1_25lookback_scan_determinismE0ELb0ES3_N6thrust23THRUST_200600_302600_NS6detail15normal_iteratorINS9_10device_ptrIiEEEENS9_18transform_iteratorINS9_6negateIiEESE_NS9_11use_defaultESI_EESE_iNS9_4plusIvEENS9_8equal_toIvEEiEE10hipError_tPvRmT2_T3_T4_T5_mT6_T7_P12ihipStream_tbENKUlT_T0_E_clISt17integral_constantIbLb1EES13_IbLb0EEEEDaSZ_S10_EUlSZ_E_NS1_11comp_targetILNS1_3genE2ELNS1_11target_archE906ELNS1_3gpuE6ELNS1_3repE0EEENS1_30default_config_static_selectorELNS0_4arch9wavefront6targetE0EEEvT1_, .Lfunc_end952-_ZN7rocprim17ROCPRIM_400000_NS6detail17trampoline_kernelINS0_14default_configENS1_27scan_by_key_config_selectorIiiEEZZNS1_16scan_by_key_implILNS1_25lookback_scan_determinismE0ELb0ES3_N6thrust23THRUST_200600_302600_NS6detail15normal_iteratorINS9_10device_ptrIiEEEENS9_18transform_iteratorINS9_6negateIiEESE_NS9_11use_defaultESI_EESE_iNS9_4plusIvEENS9_8equal_toIvEEiEE10hipError_tPvRmT2_T3_T4_T5_mT6_T7_P12ihipStream_tbENKUlT_T0_E_clISt17integral_constantIbLb1EES13_IbLb0EEEEDaSZ_S10_EUlSZ_E_NS1_11comp_targetILNS1_3genE2ELNS1_11target_archE906ELNS1_3gpuE6ELNS1_3repE0EEENS1_30default_config_static_selectorELNS0_4arch9wavefront6targetE0EEEvT1_
                                        ; -- End function
	.set _ZN7rocprim17ROCPRIM_400000_NS6detail17trampoline_kernelINS0_14default_configENS1_27scan_by_key_config_selectorIiiEEZZNS1_16scan_by_key_implILNS1_25lookback_scan_determinismE0ELb0ES3_N6thrust23THRUST_200600_302600_NS6detail15normal_iteratorINS9_10device_ptrIiEEEENS9_18transform_iteratorINS9_6negateIiEESE_NS9_11use_defaultESI_EESE_iNS9_4plusIvEENS9_8equal_toIvEEiEE10hipError_tPvRmT2_T3_T4_T5_mT6_T7_P12ihipStream_tbENKUlT_T0_E_clISt17integral_constantIbLb1EES13_IbLb0EEEEDaSZ_S10_EUlSZ_E_NS1_11comp_targetILNS1_3genE2ELNS1_11target_archE906ELNS1_3gpuE6ELNS1_3repE0EEENS1_30default_config_static_selectorELNS0_4arch9wavefront6targetE0EEEvT1_.num_vgpr, 0
	.set _ZN7rocprim17ROCPRIM_400000_NS6detail17trampoline_kernelINS0_14default_configENS1_27scan_by_key_config_selectorIiiEEZZNS1_16scan_by_key_implILNS1_25lookback_scan_determinismE0ELb0ES3_N6thrust23THRUST_200600_302600_NS6detail15normal_iteratorINS9_10device_ptrIiEEEENS9_18transform_iteratorINS9_6negateIiEESE_NS9_11use_defaultESI_EESE_iNS9_4plusIvEENS9_8equal_toIvEEiEE10hipError_tPvRmT2_T3_T4_T5_mT6_T7_P12ihipStream_tbENKUlT_T0_E_clISt17integral_constantIbLb1EES13_IbLb0EEEEDaSZ_S10_EUlSZ_E_NS1_11comp_targetILNS1_3genE2ELNS1_11target_archE906ELNS1_3gpuE6ELNS1_3repE0EEENS1_30default_config_static_selectorELNS0_4arch9wavefront6targetE0EEEvT1_.num_agpr, 0
	.set _ZN7rocprim17ROCPRIM_400000_NS6detail17trampoline_kernelINS0_14default_configENS1_27scan_by_key_config_selectorIiiEEZZNS1_16scan_by_key_implILNS1_25lookback_scan_determinismE0ELb0ES3_N6thrust23THRUST_200600_302600_NS6detail15normal_iteratorINS9_10device_ptrIiEEEENS9_18transform_iteratorINS9_6negateIiEESE_NS9_11use_defaultESI_EESE_iNS9_4plusIvEENS9_8equal_toIvEEiEE10hipError_tPvRmT2_T3_T4_T5_mT6_T7_P12ihipStream_tbENKUlT_T0_E_clISt17integral_constantIbLb1EES13_IbLb0EEEEDaSZ_S10_EUlSZ_E_NS1_11comp_targetILNS1_3genE2ELNS1_11target_archE906ELNS1_3gpuE6ELNS1_3repE0EEENS1_30default_config_static_selectorELNS0_4arch9wavefront6targetE0EEEvT1_.numbered_sgpr, 0
	.set _ZN7rocprim17ROCPRIM_400000_NS6detail17trampoline_kernelINS0_14default_configENS1_27scan_by_key_config_selectorIiiEEZZNS1_16scan_by_key_implILNS1_25lookback_scan_determinismE0ELb0ES3_N6thrust23THRUST_200600_302600_NS6detail15normal_iteratorINS9_10device_ptrIiEEEENS9_18transform_iteratorINS9_6negateIiEESE_NS9_11use_defaultESI_EESE_iNS9_4plusIvEENS9_8equal_toIvEEiEE10hipError_tPvRmT2_T3_T4_T5_mT6_T7_P12ihipStream_tbENKUlT_T0_E_clISt17integral_constantIbLb1EES13_IbLb0EEEEDaSZ_S10_EUlSZ_E_NS1_11comp_targetILNS1_3genE2ELNS1_11target_archE906ELNS1_3gpuE6ELNS1_3repE0EEENS1_30default_config_static_selectorELNS0_4arch9wavefront6targetE0EEEvT1_.num_named_barrier, 0
	.set _ZN7rocprim17ROCPRIM_400000_NS6detail17trampoline_kernelINS0_14default_configENS1_27scan_by_key_config_selectorIiiEEZZNS1_16scan_by_key_implILNS1_25lookback_scan_determinismE0ELb0ES3_N6thrust23THRUST_200600_302600_NS6detail15normal_iteratorINS9_10device_ptrIiEEEENS9_18transform_iteratorINS9_6negateIiEESE_NS9_11use_defaultESI_EESE_iNS9_4plusIvEENS9_8equal_toIvEEiEE10hipError_tPvRmT2_T3_T4_T5_mT6_T7_P12ihipStream_tbENKUlT_T0_E_clISt17integral_constantIbLb1EES13_IbLb0EEEEDaSZ_S10_EUlSZ_E_NS1_11comp_targetILNS1_3genE2ELNS1_11target_archE906ELNS1_3gpuE6ELNS1_3repE0EEENS1_30default_config_static_selectorELNS0_4arch9wavefront6targetE0EEEvT1_.private_seg_size, 0
	.set _ZN7rocprim17ROCPRIM_400000_NS6detail17trampoline_kernelINS0_14default_configENS1_27scan_by_key_config_selectorIiiEEZZNS1_16scan_by_key_implILNS1_25lookback_scan_determinismE0ELb0ES3_N6thrust23THRUST_200600_302600_NS6detail15normal_iteratorINS9_10device_ptrIiEEEENS9_18transform_iteratorINS9_6negateIiEESE_NS9_11use_defaultESI_EESE_iNS9_4plusIvEENS9_8equal_toIvEEiEE10hipError_tPvRmT2_T3_T4_T5_mT6_T7_P12ihipStream_tbENKUlT_T0_E_clISt17integral_constantIbLb1EES13_IbLb0EEEEDaSZ_S10_EUlSZ_E_NS1_11comp_targetILNS1_3genE2ELNS1_11target_archE906ELNS1_3gpuE6ELNS1_3repE0EEENS1_30default_config_static_selectorELNS0_4arch9wavefront6targetE0EEEvT1_.uses_vcc, 0
	.set _ZN7rocprim17ROCPRIM_400000_NS6detail17trampoline_kernelINS0_14default_configENS1_27scan_by_key_config_selectorIiiEEZZNS1_16scan_by_key_implILNS1_25lookback_scan_determinismE0ELb0ES3_N6thrust23THRUST_200600_302600_NS6detail15normal_iteratorINS9_10device_ptrIiEEEENS9_18transform_iteratorINS9_6negateIiEESE_NS9_11use_defaultESI_EESE_iNS9_4plusIvEENS9_8equal_toIvEEiEE10hipError_tPvRmT2_T3_T4_T5_mT6_T7_P12ihipStream_tbENKUlT_T0_E_clISt17integral_constantIbLb1EES13_IbLb0EEEEDaSZ_S10_EUlSZ_E_NS1_11comp_targetILNS1_3genE2ELNS1_11target_archE906ELNS1_3gpuE6ELNS1_3repE0EEENS1_30default_config_static_selectorELNS0_4arch9wavefront6targetE0EEEvT1_.uses_flat_scratch, 0
	.set _ZN7rocprim17ROCPRIM_400000_NS6detail17trampoline_kernelINS0_14default_configENS1_27scan_by_key_config_selectorIiiEEZZNS1_16scan_by_key_implILNS1_25lookback_scan_determinismE0ELb0ES3_N6thrust23THRUST_200600_302600_NS6detail15normal_iteratorINS9_10device_ptrIiEEEENS9_18transform_iteratorINS9_6negateIiEESE_NS9_11use_defaultESI_EESE_iNS9_4plusIvEENS9_8equal_toIvEEiEE10hipError_tPvRmT2_T3_T4_T5_mT6_T7_P12ihipStream_tbENKUlT_T0_E_clISt17integral_constantIbLb1EES13_IbLb0EEEEDaSZ_S10_EUlSZ_E_NS1_11comp_targetILNS1_3genE2ELNS1_11target_archE906ELNS1_3gpuE6ELNS1_3repE0EEENS1_30default_config_static_selectorELNS0_4arch9wavefront6targetE0EEEvT1_.has_dyn_sized_stack, 0
	.set _ZN7rocprim17ROCPRIM_400000_NS6detail17trampoline_kernelINS0_14default_configENS1_27scan_by_key_config_selectorIiiEEZZNS1_16scan_by_key_implILNS1_25lookback_scan_determinismE0ELb0ES3_N6thrust23THRUST_200600_302600_NS6detail15normal_iteratorINS9_10device_ptrIiEEEENS9_18transform_iteratorINS9_6negateIiEESE_NS9_11use_defaultESI_EESE_iNS9_4plusIvEENS9_8equal_toIvEEiEE10hipError_tPvRmT2_T3_T4_T5_mT6_T7_P12ihipStream_tbENKUlT_T0_E_clISt17integral_constantIbLb1EES13_IbLb0EEEEDaSZ_S10_EUlSZ_E_NS1_11comp_targetILNS1_3genE2ELNS1_11target_archE906ELNS1_3gpuE6ELNS1_3repE0EEENS1_30default_config_static_selectorELNS0_4arch9wavefront6targetE0EEEvT1_.has_recursion, 0
	.set _ZN7rocprim17ROCPRIM_400000_NS6detail17trampoline_kernelINS0_14default_configENS1_27scan_by_key_config_selectorIiiEEZZNS1_16scan_by_key_implILNS1_25lookback_scan_determinismE0ELb0ES3_N6thrust23THRUST_200600_302600_NS6detail15normal_iteratorINS9_10device_ptrIiEEEENS9_18transform_iteratorINS9_6negateIiEESE_NS9_11use_defaultESI_EESE_iNS9_4plusIvEENS9_8equal_toIvEEiEE10hipError_tPvRmT2_T3_T4_T5_mT6_T7_P12ihipStream_tbENKUlT_T0_E_clISt17integral_constantIbLb1EES13_IbLb0EEEEDaSZ_S10_EUlSZ_E_NS1_11comp_targetILNS1_3genE2ELNS1_11target_archE906ELNS1_3gpuE6ELNS1_3repE0EEENS1_30default_config_static_selectorELNS0_4arch9wavefront6targetE0EEEvT1_.has_indirect_call, 0
	.section	.AMDGPU.csdata,"",@progbits
; Kernel info:
; codeLenInByte = 0
; TotalNumSgprs: 0
; NumVgprs: 0
; ScratchSize: 0
; MemoryBound: 0
; FloatMode: 240
; IeeeMode: 1
; LDSByteSize: 0 bytes/workgroup (compile time only)
; SGPRBlocks: 0
; VGPRBlocks: 0
; NumSGPRsForWavesPerEU: 1
; NumVGPRsForWavesPerEU: 1
; NamedBarCnt: 0
; Occupancy: 16
; WaveLimiterHint : 0
; COMPUTE_PGM_RSRC2:SCRATCH_EN: 0
; COMPUTE_PGM_RSRC2:USER_SGPR: 2
; COMPUTE_PGM_RSRC2:TRAP_HANDLER: 0
; COMPUTE_PGM_RSRC2:TGID_X_EN: 1
; COMPUTE_PGM_RSRC2:TGID_Y_EN: 0
; COMPUTE_PGM_RSRC2:TGID_Z_EN: 0
; COMPUTE_PGM_RSRC2:TIDIG_COMP_CNT: 0
	.section	.text._ZN7rocprim17ROCPRIM_400000_NS6detail17trampoline_kernelINS0_14default_configENS1_27scan_by_key_config_selectorIiiEEZZNS1_16scan_by_key_implILNS1_25lookback_scan_determinismE0ELb0ES3_N6thrust23THRUST_200600_302600_NS6detail15normal_iteratorINS9_10device_ptrIiEEEENS9_18transform_iteratorINS9_6negateIiEESE_NS9_11use_defaultESI_EESE_iNS9_4plusIvEENS9_8equal_toIvEEiEE10hipError_tPvRmT2_T3_T4_T5_mT6_T7_P12ihipStream_tbENKUlT_T0_E_clISt17integral_constantIbLb1EES13_IbLb0EEEEDaSZ_S10_EUlSZ_E_NS1_11comp_targetILNS1_3genE10ELNS1_11target_archE1200ELNS1_3gpuE4ELNS1_3repE0EEENS1_30default_config_static_selectorELNS0_4arch9wavefront6targetE0EEEvT1_,"axG",@progbits,_ZN7rocprim17ROCPRIM_400000_NS6detail17trampoline_kernelINS0_14default_configENS1_27scan_by_key_config_selectorIiiEEZZNS1_16scan_by_key_implILNS1_25lookback_scan_determinismE0ELb0ES3_N6thrust23THRUST_200600_302600_NS6detail15normal_iteratorINS9_10device_ptrIiEEEENS9_18transform_iteratorINS9_6negateIiEESE_NS9_11use_defaultESI_EESE_iNS9_4plusIvEENS9_8equal_toIvEEiEE10hipError_tPvRmT2_T3_T4_T5_mT6_T7_P12ihipStream_tbENKUlT_T0_E_clISt17integral_constantIbLb1EES13_IbLb0EEEEDaSZ_S10_EUlSZ_E_NS1_11comp_targetILNS1_3genE10ELNS1_11target_archE1200ELNS1_3gpuE4ELNS1_3repE0EEENS1_30default_config_static_selectorELNS0_4arch9wavefront6targetE0EEEvT1_,comdat
	.protected	_ZN7rocprim17ROCPRIM_400000_NS6detail17trampoline_kernelINS0_14default_configENS1_27scan_by_key_config_selectorIiiEEZZNS1_16scan_by_key_implILNS1_25lookback_scan_determinismE0ELb0ES3_N6thrust23THRUST_200600_302600_NS6detail15normal_iteratorINS9_10device_ptrIiEEEENS9_18transform_iteratorINS9_6negateIiEESE_NS9_11use_defaultESI_EESE_iNS9_4plusIvEENS9_8equal_toIvEEiEE10hipError_tPvRmT2_T3_T4_T5_mT6_T7_P12ihipStream_tbENKUlT_T0_E_clISt17integral_constantIbLb1EES13_IbLb0EEEEDaSZ_S10_EUlSZ_E_NS1_11comp_targetILNS1_3genE10ELNS1_11target_archE1200ELNS1_3gpuE4ELNS1_3repE0EEENS1_30default_config_static_selectorELNS0_4arch9wavefront6targetE0EEEvT1_ ; -- Begin function _ZN7rocprim17ROCPRIM_400000_NS6detail17trampoline_kernelINS0_14default_configENS1_27scan_by_key_config_selectorIiiEEZZNS1_16scan_by_key_implILNS1_25lookback_scan_determinismE0ELb0ES3_N6thrust23THRUST_200600_302600_NS6detail15normal_iteratorINS9_10device_ptrIiEEEENS9_18transform_iteratorINS9_6negateIiEESE_NS9_11use_defaultESI_EESE_iNS9_4plusIvEENS9_8equal_toIvEEiEE10hipError_tPvRmT2_T3_T4_T5_mT6_T7_P12ihipStream_tbENKUlT_T0_E_clISt17integral_constantIbLb1EES13_IbLb0EEEEDaSZ_S10_EUlSZ_E_NS1_11comp_targetILNS1_3genE10ELNS1_11target_archE1200ELNS1_3gpuE4ELNS1_3repE0EEENS1_30default_config_static_selectorELNS0_4arch9wavefront6targetE0EEEvT1_
	.globl	_ZN7rocprim17ROCPRIM_400000_NS6detail17trampoline_kernelINS0_14default_configENS1_27scan_by_key_config_selectorIiiEEZZNS1_16scan_by_key_implILNS1_25lookback_scan_determinismE0ELb0ES3_N6thrust23THRUST_200600_302600_NS6detail15normal_iteratorINS9_10device_ptrIiEEEENS9_18transform_iteratorINS9_6negateIiEESE_NS9_11use_defaultESI_EESE_iNS9_4plusIvEENS9_8equal_toIvEEiEE10hipError_tPvRmT2_T3_T4_T5_mT6_T7_P12ihipStream_tbENKUlT_T0_E_clISt17integral_constantIbLb1EES13_IbLb0EEEEDaSZ_S10_EUlSZ_E_NS1_11comp_targetILNS1_3genE10ELNS1_11target_archE1200ELNS1_3gpuE4ELNS1_3repE0EEENS1_30default_config_static_selectorELNS0_4arch9wavefront6targetE0EEEvT1_
	.p2align	8
	.type	_ZN7rocprim17ROCPRIM_400000_NS6detail17trampoline_kernelINS0_14default_configENS1_27scan_by_key_config_selectorIiiEEZZNS1_16scan_by_key_implILNS1_25lookback_scan_determinismE0ELb0ES3_N6thrust23THRUST_200600_302600_NS6detail15normal_iteratorINS9_10device_ptrIiEEEENS9_18transform_iteratorINS9_6negateIiEESE_NS9_11use_defaultESI_EESE_iNS9_4plusIvEENS9_8equal_toIvEEiEE10hipError_tPvRmT2_T3_T4_T5_mT6_T7_P12ihipStream_tbENKUlT_T0_E_clISt17integral_constantIbLb1EES13_IbLb0EEEEDaSZ_S10_EUlSZ_E_NS1_11comp_targetILNS1_3genE10ELNS1_11target_archE1200ELNS1_3gpuE4ELNS1_3repE0EEENS1_30default_config_static_selectorELNS0_4arch9wavefront6targetE0EEEvT1_,@function
_ZN7rocprim17ROCPRIM_400000_NS6detail17trampoline_kernelINS0_14default_configENS1_27scan_by_key_config_selectorIiiEEZZNS1_16scan_by_key_implILNS1_25lookback_scan_determinismE0ELb0ES3_N6thrust23THRUST_200600_302600_NS6detail15normal_iteratorINS9_10device_ptrIiEEEENS9_18transform_iteratorINS9_6negateIiEESE_NS9_11use_defaultESI_EESE_iNS9_4plusIvEENS9_8equal_toIvEEiEE10hipError_tPvRmT2_T3_T4_T5_mT6_T7_P12ihipStream_tbENKUlT_T0_E_clISt17integral_constantIbLb1EES13_IbLb0EEEEDaSZ_S10_EUlSZ_E_NS1_11comp_targetILNS1_3genE10ELNS1_11target_archE1200ELNS1_3gpuE4ELNS1_3repE0EEENS1_30default_config_static_selectorELNS0_4arch9wavefront6targetE0EEEvT1_: ; @_ZN7rocprim17ROCPRIM_400000_NS6detail17trampoline_kernelINS0_14default_configENS1_27scan_by_key_config_selectorIiiEEZZNS1_16scan_by_key_implILNS1_25lookback_scan_determinismE0ELb0ES3_N6thrust23THRUST_200600_302600_NS6detail15normal_iteratorINS9_10device_ptrIiEEEENS9_18transform_iteratorINS9_6negateIiEESE_NS9_11use_defaultESI_EESE_iNS9_4plusIvEENS9_8equal_toIvEEiEE10hipError_tPvRmT2_T3_T4_T5_mT6_T7_P12ihipStream_tbENKUlT_T0_E_clISt17integral_constantIbLb1EES13_IbLb0EEEEDaSZ_S10_EUlSZ_E_NS1_11comp_targetILNS1_3genE10ELNS1_11target_archE1200ELNS1_3gpuE4ELNS1_3repE0EEENS1_30default_config_static_selectorELNS0_4arch9wavefront6targetE0EEEvT1_
; %bb.0:
	.section	.rodata,"a",@progbits
	.p2align	6, 0x0
	.amdhsa_kernel _ZN7rocprim17ROCPRIM_400000_NS6detail17trampoline_kernelINS0_14default_configENS1_27scan_by_key_config_selectorIiiEEZZNS1_16scan_by_key_implILNS1_25lookback_scan_determinismE0ELb0ES3_N6thrust23THRUST_200600_302600_NS6detail15normal_iteratorINS9_10device_ptrIiEEEENS9_18transform_iteratorINS9_6negateIiEESE_NS9_11use_defaultESI_EESE_iNS9_4plusIvEENS9_8equal_toIvEEiEE10hipError_tPvRmT2_T3_T4_T5_mT6_T7_P12ihipStream_tbENKUlT_T0_E_clISt17integral_constantIbLb1EES13_IbLb0EEEEDaSZ_S10_EUlSZ_E_NS1_11comp_targetILNS1_3genE10ELNS1_11target_archE1200ELNS1_3gpuE4ELNS1_3repE0EEENS1_30default_config_static_selectorELNS0_4arch9wavefront6targetE0EEEvT1_
		.amdhsa_group_segment_fixed_size 0
		.amdhsa_private_segment_fixed_size 0
		.amdhsa_kernarg_size 120
		.amdhsa_user_sgpr_count 2
		.amdhsa_user_sgpr_dispatch_ptr 0
		.amdhsa_user_sgpr_queue_ptr 0
		.amdhsa_user_sgpr_kernarg_segment_ptr 1
		.amdhsa_user_sgpr_dispatch_id 0
		.amdhsa_user_sgpr_kernarg_preload_length 0
		.amdhsa_user_sgpr_kernarg_preload_offset 0
		.amdhsa_user_sgpr_private_segment_size 0
		.amdhsa_wavefront_size32 1
		.amdhsa_uses_dynamic_stack 0
		.amdhsa_enable_private_segment 0
		.amdhsa_system_sgpr_workgroup_id_x 1
		.amdhsa_system_sgpr_workgroup_id_y 0
		.amdhsa_system_sgpr_workgroup_id_z 0
		.amdhsa_system_sgpr_workgroup_info 0
		.amdhsa_system_vgpr_workitem_id 0
		.amdhsa_next_free_vgpr 1
		.amdhsa_next_free_sgpr 1
		.amdhsa_named_barrier_count 0
		.amdhsa_reserve_vcc 0
		.amdhsa_float_round_mode_32 0
		.amdhsa_float_round_mode_16_64 0
		.amdhsa_float_denorm_mode_32 3
		.amdhsa_float_denorm_mode_16_64 3
		.amdhsa_fp16_overflow 0
		.amdhsa_memory_ordered 1
		.amdhsa_forward_progress 1
		.amdhsa_inst_pref_size 0
		.amdhsa_round_robin_scheduling 0
		.amdhsa_exception_fp_ieee_invalid_op 0
		.amdhsa_exception_fp_denorm_src 0
		.amdhsa_exception_fp_ieee_div_zero 0
		.amdhsa_exception_fp_ieee_overflow 0
		.amdhsa_exception_fp_ieee_underflow 0
		.amdhsa_exception_fp_ieee_inexact 0
		.amdhsa_exception_int_div_zero 0
	.end_amdhsa_kernel
	.section	.text._ZN7rocprim17ROCPRIM_400000_NS6detail17trampoline_kernelINS0_14default_configENS1_27scan_by_key_config_selectorIiiEEZZNS1_16scan_by_key_implILNS1_25lookback_scan_determinismE0ELb0ES3_N6thrust23THRUST_200600_302600_NS6detail15normal_iteratorINS9_10device_ptrIiEEEENS9_18transform_iteratorINS9_6negateIiEESE_NS9_11use_defaultESI_EESE_iNS9_4plusIvEENS9_8equal_toIvEEiEE10hipError_tPvRmT2_T3_T4_T5_mT6_T7_P12ihipStream_tbENKUlT_T0_E_clISt17integral_constantIbLb1EES13_IbLb0EEEEDaSZ_S10_EUlSZ_E_NS1_11comp_targetILNS1_3genE10ELNS1_11target_archE1200ELNS1_3gpuE4ELNS1_3repE0EEENS1_30default_config_static_selectorELNS0_4arch9wavefront6targetE0EEEvT1_,"axG",@progbits,_ZN7rocprim17ROCPRIM_400000_NS6detail17trampoline_kernelINS0_14default_configENS1_27scan_by_key_config_selectorIiiEEZZNS1_16scan_by_key_implILNS1_25lookback_scan_determinismE0ELb0ES3_N6thrust23THRUST_200600_302600_NS6detail15normal_iteratorINS9_10device_ptrIiEEEENS9_18transform_iteratorINS9_6negateIiEESE_NS9_11use_defaultESI_EESE_iNS9_4plusIvEENS9_8equal_toIvEEiEE10hipError_tPvRmT2_T3_T4_T5_mT6_T7_P12ihipStream_tbENKUlT_T0_E_clISt17integral_constantIbLb1EES13_IbLb0EEEEDaSZ_S10_EUlSZ_E_NS1_11comp_targetILNS1_3genE10ELNS1_11target_archE1200ELNS1_3gpuE4ELNS1_3repE0EEENS1_30default_config_static_selectorELNS0_4arch9wavefront6targetE0EEEvT1_,comdat
.Lfunc_end953:
	.size	_ZN7rocprim17ROCPRIM_400000_NS6detail17trampoline_kernelINS0_14default_configENS1_27scan_by_key_config_selectorIiiEEZZNS1_16scan_by_key_implILNS1_25lookback_scan_determinismE0ELb0ES3_N6thrust23THRUST_200600_302600_NS6detail15normal_iteratorINS9_10device_ptrIiEEEENS9_18transform_iteratorINS9_6negateIiEESE_NS9_11use_defaultESI_EESE_iNS9_4plusIvEENS9_8equal_toIvEEiEE10hipError_tPvRmT2_T3_T4_T5_mT6_T7_P12ihipStream_tbENKUlT_T0_E_clISt17integral_constantIbLb1EES13_IbLb0EEEEDaSZ_S10_EUlSZ_E_NS1_11comp_targetILNS1_3genE10ELNS1_11target_archE1200ELNS1_3gpuE4ELNS1_3repE0EEENS1_30default_config_static_selectorELNS0_4arch9wavefront6targetE0EEEvT1_, .Lfunc_end953-_ZN7rocprim17ROCPRIM_400000_NS6detail17trampoline_kernelINS0_14default_configENS1_27scan_by_key_config_selectorIiiEEZZNS1_16scan_by_key_implILNS1_25lookback_scan_determinismE0ELb0ES3_N6thrust23THRUST_200600_302600_NS6detail15normal_iteratorINS9_10device_ptrIiEEEENS9_18transform_iteratorINS9_6negateIiEESE_NS9_11use_defaultESI_EESE_iNS9_4plusIvEENS9_8equal_toIvEEiEE10hipError_tPvRmT2_T3_T4_T5_mT6_T7_P12ihipStream_tbENKUlT_T0_E_clISt17integral_constantIbLb1EES13_IbLb0EEEEDaSZ_S10_EUlSZ_E_NS1_11comp_targetILNS1_3genE10ELNS1_11target_archE1200ELNS1_3gpuE4ELNS1_3repE0EEENS1_30default_config_static_selectorELNS0_4arch9wavefront6targetE0EEEvT1_
                                        ; -- End function
	.set _ZN7rocprim17ROCPRIM_400000_NS6detail17trampoline_kernelINS0_14default_configENS1_27scan_by_key_config_selectorIiiEEZZNS1_16scan_by_key_implILNS1_25lookback_scan_determinismE0ELb0ES3_N6thrust23THRUST_200600_302600_NS6detail15normal_iteratorINS9_10device_ptrIiEEEENS9_18transform_iteratorINS9_6negateIiEESE_NS9_11use_defaultESI_EESE_iNS9_4plusIvEENS9_8equal_toIvEEiEE10hipError_tPvRmT2_T3_T4_T5_mT6_T7_P12ihipStream_tbENKUlT_T0_E_clISt17integral_constantIbLb1EES13_IbLb0EEEEDaSZ_S10_EUlSZ_E_NS1_11comp_targetILNS1_3genE10ELNS1_11target_archE1200ELNS1_3gpuE4ELNS1_3repE0EEENS1_30default_config_static_selectorELNS0_4arch9wavefront6targetE0EEEvT1_.num_vgpr, 0
	.set _ZN7rocprim17ROCPRIM_400000_NS6detail17trampoline_kernelINS0_14default_configENS1_27scan_by_key_config_selectorIiiEEZZNS1_16scan_by_key_implILNS1_25lookback_scan_determinismE0ELb0ES3_N6thrust23THRUST_200600_302600_NS6detail15normal_iteratorINS9_10device_ptrIiEEEENS9_18transform_iteratorINS9_6negateIiEESE_NS9_11use_defaultESI_EESE_iNS9_4plusIvEENS9_8equal_toIvEEiEE10hipError_tPvRmT2_T3_T4_T5_mT6_T7_P12ihipStream_tbENKUlT_T0_E_clISt17integral_constantIbLb1EES13_IbLb0EEEEDaSZ_S10_EUlSZ_E_NS1_11comp_targetILNS1_3genE10ELNS1_11target_archE1200ELNS1_3gpuE4ELNS1_3repE0EEENS1_30default_config_static_selectorELNS0_4arch9wavefront6targetE0EEEvT1_.num_agpr, 0
	.set _ZN7rocprim17ROCPRIM_400000_NS6detail17trampoline_kernelINS0_14default_configENS1_27scan_by_key_config_selectorIiiEEZZNS1_16scan_by_key_implILNS1_25lookback_scan_determinismE0ELb0ES3_N6thrust23THRUST_200600_302600_NS6detail15normal_iteratorINS9_10device_ptrIiEEEENS9_18transform_iteratorINS9_6negateIiEESE_NS9_11use_defaultESI_EESE_iNS9_4plusIvEENS9_8equal_toIvEEiEE10hipError_tPvRmT2_T3_T4_T5_mT6_T7_P12ihipStream_tbENKUlT_T0_E_clISt17integral_constantIbLb1EES13_IbLb0EEEEDaSZ_S10_EUlSZ_E_NS1_11comp_targetILNS1_3genE10ELNS1_11target_archE1200ELNS1_3gpuE4ELNS1_3repE0EEENS1_30default_config_static_selectorELNS0_4arch9wavefront6targetE0EEEvT1_.numbered_sgpr, 0
	.set _ZN7rocprim17ROCPRIM_400000_NS6detail17trampoline_kernelINS0_14default_configENS1_27scan_by_key_config_selectorIiiEEZZNS1_16scan_by_key_implILNS1_25lookback_scan_determinismE0ELb0ES3_N6thrust23THRUST_200600_302600_NS6detail15normal_iteratorINS9_10device_ptrIiEEEENS9_18transform_iteratorINS9_6negateIiEESE_NS9_11use_defaultESI_EESE_iNS9_4plusIvEENS9_8equal_toIvEEiEE10hipError_tPvRmT2_T3_T4_T5_mT6_T7_P12ihipStream_tbENKUlT_T0_E_clISt17integral_constantIbLb1EES13_IbLb0EEEEDaSZ_S10_EUlSZ_E_NS1_11comp_targetILNS1_3genE10ELNS1_11target_archE1200ELNS1_3gpuE4ELNS1_3repE0EEENS1_30default_config_static_selectorELNS0_4arch9wavefront6targetE0EEEvT1_.num_named_barrier, 0
	.set _ZN7rocprim17ROCPRIM_400000_NS6detail17trampoline_kernelINS0_14default_configENS1_27scan_by_key_config_selectorIiiEEZZNS1_16scan_by_key_implILNS1_25lookback_scan_determinismE0ELb0ES3_N6thrust23THRUST_200600_302600_NS6detail15normal_iteratorINS9_10device_ptrIiEEEENS9_18transform_iteratorINS9_6negateIiEESE_NS9_11use_defaultESI_EESE_iNS9_4plusIvEENS9_8equal_toIvEEiEE10hipError_tPvRmT2_T3_T4_T5_mT6_T7_P12ihipStream_tbENKUlT_T0_E_clISt17integral_constantIbLb1EES13_IbLb0EEEEDaSZ_S10_EUlSZ_E_NS1_11comp_targetILNS1_3genE10ELNS1_11target_archE1200ELNS1_3gpuE4ELNS1_3repE0EEENS1_30default_config_static_selectorELNS0_4arch9wavefront6targetE0EEEvT1_.private_seg_size, 0
	.set _ZN7rocprim17ROCPRIM_400000_NS6detail17trampoline_kernelINS0_14default_configENS1_27scan_by_key_config_selectorIiiEEZZNS1_16scan_by_key_implILNS1_25lookback_scan_determinismE0ELb0ES3_N6thrust23THRUST_200600_302600_NS6detail15normal_iteratorINS9_10device_ptrIiEEEENS9_18transform_iteratorINS9_6negateIiEESE_NS9_11use_defaultESI_EESE_iNS9_4plusIvEENS9_8equal_toIvEEiEE10hipError_tPvRmT2_T3_T4_T5_mT6_T7_P12ihipStream_tbENKUlT_T0_E_clISt17integral_constantIbLb1EES13_IbLb0EEEEDaSZ_S10_EUlSZ_E_NS1_11comp_targetILNS1_3genE10ELNS1_11target_archE1200ELNS1_3gpuE4ELNS1_3repE0EEENS1_30default_config_static_selectorELNS0_4arch9wavefront6targetE0EEEvT1_.uses_vcc, 0
	.set _ZN7rocprim17ROCPRIM_400000_NS6detail17trampoline_kernelINS0_14default_configENS1_27scan_by_key_config_selectorIiiEEZZNS1_16scan_by_key_implILNS1_25lookback_scan_determinismE0ELb0ES3_N6thrust23THRUST_200600_302600_NS6detail15normal_iteratorINS9_10device_ptrIiEEEENS9_18transform_iteratorINS9_6negateIiEESE_NS9_11use_defaultESI_EESE_iNS9_4plusIvEENS9_8equal_toIvEEiEE10hipError_tPvRmT2_T3_T4_T5_mT6_T7_P12ihipStream_tbENKUlT_T0_E_clISt17integral_constantIbLb1EES13_IbLb0EEEEDaSZ_S10_EUlSZ_E_NS1_11comp_targetILNS1_3genE10ELNS1_11target_archE1200ELNS1_3gpuE4ELNS1_3repE0EEENS1_30default_config_static_selectorELNS0_4arch9wavefront6targetE0EEEvT1_.uses_flat_scratch, 0
	.set _ZN7rocprim17ROCPRIM_400000_NS6detail17trampoline_kernelINS0_14default_configENS1_27scan_by_key_config_selectorIiiEEZZNS1_16scan_by_key_implILNS1_25lookback_scan_determinismE0ELb0ES3_N6thrust23THRUST_200600_302600_NS6detail15normal_iteratorINS9_10device_ptrIiEEEENS9_18transform_iteratorINS9_6negateIiEESE_NS9_11use_defaultESI_EESE_iNS9_4plusIvEENS9_8equal_toIvEEiEE10hipError_tPvRmT2_T3_T4_T5_mT6_T7_P12ihipStream_tbENKUlT_T0_E_clISt17integral_constantIbLb1EES13_IbLb0EEEEDaSZ_S10_EUlSZ_E_NS1_11comp_targetILNS1_3genE10ELNS1_11target_archE1200ELNS1_3gpuE4ELNS1_3repE0EEENS1_30default_config_static_selectorELNS0_4arch9wavefront6targetE0EEEvT1_.has_dyn_sized_stack, 0
	.set _ZN7rocprim17ROCPRIM_400000_NS6detail17trampoline_kernelINS0_14default_configENS1_27scan_by_key_config_selectorIiiEEZZNS1_16scan_by_key_implILNS1_25lookback_scan_determinismE0ELb0ES3_N6thrust23THRUST_200600_302600_NS6detail15normal_iteratorINS9_10device_ptrIiEEEENS9_18transform_iteratorINS9_6negateIiEESE_NS9_11use_defaultESI_EESE_iNS9_4plusIvEENS9_8equal_toIvEEiEE10hipError_tPvRmT2_T3_T4_T5_mT6_T7_P12ihipStream_tbENKUlT_T0_E_clISt17integral_constantIbLb1EES13_IbLb0EEEEDaSZ_S10_EUlSZ_E_NS1_11comp_targetILNS1_3genE10ELNS1_11target_archE1200ELNS1_3gpuE4ELNS1_3repE0EEENS1_30default_config_static_selectorELNS0_4arch9wavefront6targetE0EEEvT1_.has_recursion, 0
	.set _ZN7rocprim17ROCPRIM_400000_NS6detail17trampoline_kernelINS0_14default_configENS1_27scan_by_key_config_selectorIiiEEZZNS1_16scan_by_key_implILNS1_25lookback_scan_determinismE0ELb0ES3_N6thrust23THRUST_200600_302600_NS6detail15normal_iteratorINS9_10device_ptrIiEEEENS9_18transform_iteratorINS9_6negateIiEESE_NS9_11use_defaultESI_EESE_iNS9_4plusIvEENS9_8equal_toIvEEiEE10hipError_tPvRmT2_T3_T4_T5_mT6_T7_P12ihipStream_tbENKUlT_T0_E_clISt17integral_constantIbLb1EES13_IbLb0EEEEDaSZ_S10_EUlSZ_E_NS1_11comp_targetILNS1_3genE10ELNS1_11target_archE1200ELNS1_3gpuE4ELNS1_3repE0EEENS1_30default_config_static_selectorELNS0_4arch9wavefront6targetE0EEEvT1_.has_indirect_call, 0
	.section	.AMDGPU.csdata,"",@progbits
; Kernel info:
; codeLenInByte = 0
; TotalNumSgprs: 0
; NumVgprs: 0
; ScratchSize: 0
; MemoryBound: 0
; FloatMode: 240
; IeeeMode: 1
; LDSByteSize: 0 bytes/workgroup (compile time only)
; SGPRBlocks: 0
; VGPRBlocks: 0
; NumSGPRsForWavesPerEU: 1
; NumVGPRsForWavesPerEU: 1
; NamedBarCnt: 0
; Occupancy: 16
; WaveLimiterHint : 0
; COMPUTE_PGM_RSRC2:SCRATCH_EN: 0
; COMPUTE_PGM_RSRC2:USER_SGPR: 2
; COMPUTE_PGM_RSRC2:TRAP_HANDLER: 0
; COMPUTE_PGM_RSRC2:TGID_X_EN: 1
; COMPUTE_PGM_RSRC2:TGID_Y_EN: 0
; COMPUTE_PGM_RSRC2:TGID_Z_EN: 0
; COMPUTE_PGM_RSRC2:TIDIG_COMP_CNT: 0
	.section	.text._ZN7rocprim17ROCPRIM_400000_NS6detail17trampoline_kernelINS0_14default_configENS1_27scan_by_key_config_selectorIiiEEZZNS1_16scan_by_key_implILNS1_25lookback_scan_determinismE0ELb0ES3_N6thrust23THRUST_200600_302600_NS6detail15normal_iteratorINS9_10device_ptrIiEEEENS9_18transform_iteratorINS9_6negateIiEESE_NS9_11use_defaultESI_EESE_iNS9_4plusIvEENS9_8equal_toIvEEiEE10hipError_tPvRmT2_T3_T4_T5_mT6_T7_P12ihipStream_tbENKUlT_T0_E_clISt17integral_constantIbLb1EES13_IbLb0EEEEDaSZ_S10_EUlSZ_E_NS1_11comp_targetILNS1_3genE9ELNS1_11target_archE1100ELNS1_3gpuE3ELNS1_3repE0EEENS1_30default_config_static_selectorELNS0_4arch9wavefront6targetE0EEEvT1_,"axG",@progbits,_ZN7rocprim17ROCPRIM_400000_NS6detail17trampoline_kernelINS0_14default_configENS1_27scan_by_key_config_selectorIiiEEZZNS1_16scan_by_key_implILNS1_25lookback_scan_determinismE0ELb0ES3_N6thrust23THRUST_200600_302600_NS6detail15normal_iteratorINS9_10device_ptrIiEEEENS9_18transform_iteratorINS9_6negateIiEESE_NS9_11use_defaultESI_EESE_iNS9_4plusIvEENS9_8equal_toIvEEiEE10hipError_tPvRmT2_T3_T4_T5_mT6_T7_P12ihipStream_tbENKUlT_T0_E_clISt17integral_constantIbLb1EES13_IbLb0EEEEDaSZ_S10_EUlSZ_E_NS1_11comp_targetILNS1_3genE9ELNS1_11target_archE1100ELNS1_3gpuE3ELNS1_3repE0EEENS1_30default_config_static_selectorELNS0_4arch9wavefront6targetE0EEEvT1_,comdat
	.protected	_ZN7rocprim17ROCPRIM_400000_NS6detail17trampoline_kernelINS0_14default_configENS1_27scan_by_key_config_selectorIiiEEZZNS1_16scan_by_key_implILNS1_25lookback_scan_determinismE0ELb0ES3_N6thrust23THRUST_200600_302600_NS6detail15normal_iteratorINS9_10device_ptrIiEEEENS9_18transform_iteratorINS9_6negateIiEESE_NS9_11use_defaultESI_EESE_iNS9_4plusIvEENS9_8equal_toIvEEiEE10hipError_tPvRmT2_T3_T4_T5_mT6_T7_P12ihipStream_tbENKUlT_T0_E_clISt17integral_constantIbLb1EES13_IbLb0EEEEDaSZ_S10_EUlSZ_E_NS1_11comp_targetILNS1_3genE9ELNS1_11target_archE1100ELNS1_3gpuE3ELNS1_3repE0EEENS1_30default_config_static_selectorELNS0_4arch9wavefront6targetE0EEEvT1_ ; -- Begin function _ZN7rocprim17ROCPRIM_400000_NS6detail17trampoline_kernelINS0_14default_configENS1_27scan_by_key_config_selectorIiiEEZZNS1_16scan_by_key_implILNS1_25lookback_scan_determinismE0ELb0ES3_N6thrust23THRUST_200600_302600_NS6detail15normal_iteratorINS9_10device_ptrIiEEEENS9_18transform_iteratorINS9_6negateIiEESE_NS9_11use_defaultESI_EESE_iNS9_4plusIvEENS9_8equal_toIvEEiEE10hipError_tPvRmT2_T3_T4_T5_mT6_T7_P12ihipStream_tbENKUlT_T0_E_clISt17integral_constantIbLb1EES13_IbLb0EEEEDaSZ_S10_EUlSZ_E_NS1_11comp_targetILNS1_3genE9ELNS1_11target_archE1100ELNS1_3gpuE3ELNS1_3repE0EEENS1_30default_config_static_selectorELNS0_4arch9wavefront6targetE0EEEvT1_
	.globl	_ZN7rocprim17ROCPRIM_400000_NS6detail17trampoline_kernelINS0_14default_configENS1_27scan_by_key_config_selectorIiiEEZZNS1_16scan_by_key_implILNS1_25lookback_scan_determinismE0ELb0ES3_N6thrust23THRUST_200600_302600_NS6detail15normal_iteratorINS9_10device_ptrIiEEEENS9_18transform_iteratorINS9_6negateIiEESE_NS9_11use_defaultESI_EESE_iNS9_4plusIvEENS9_8equal_toIvEEiEE10hipError_tPvRmT2_T3_T4_T5_mT6_T7_P12ihipStream_tbENKUlT_T0_E_clISt17integral_constantIbLb1EES13_IbLb0EEEEDaSZ_S10_EUlSZ_E_NS1_11comp_targetILNS1_3genE9ELNS1_11target_archE1100ELNS1_3gpuE3ELNS1_3repE0EEENS1_30default_config_static_selectorELNS0_4arch9wavefront6targetE0EEEvT1_
	.p2align	8
	.type	_ZN7rocprim17ROCPRIM_400000_NS6detail17trampoline_kernelINS0_14default_configENS1_27scan_by_key_config_selectorIiiEEZZNS1_16scan_by_key_implILNS1_25lookback_scan_determinismE0ELb0ES3_N6thrust23THRUST_200600_302600_NS6detail15normal_iteratorINS9_10device_ptrIiEEEENS9_18transform_iteratorINS9_6negateIiEESE_NS9_11use_defaultESI_EESE_iNS9_4plusIvEENS9_8equal_toIvEEiEE10hipError_tPvRmT2_T3_T4_T5_mT6_T7_P12ihipStream_tbENKUlT_T0_E_clISt17integral_constantIbLb1EES13_IbLb0EEEEDaSZ_S10_EUlSZ_E_NS1_11comp_targetILNS1_3genE9ELNS1_11target_archE1100ELNS1_3gpuE3ELNS1_3repE0EEENS1_30default_config_static_selectorELNS0_4arch9wavefront6targetE0EEEvT1_,@function
_ZN7rocprim17ROCPRIM_400000_NS6detail17trampoline_kernelINS0_14default_configENS1_27scan_by_key_config_selectorIiiEEZZNS1_16scan_by_key_implILNS1_25lookback_scan_determinismE0ELb0ES3_N6thrust23THRUST_200600_302600_NS6detail15normal_iteratorINS9_10device_ptrIiEEEENS9_18transform_iteratorINS9_6negateIiEESE_NS9_11use_defaultESI_EESE_iNS9_4plusIvEENS9_8equal_toIvEEiEE10hipError_tPvRmT2_T3_T4_T5_mT6_T7_P12ihipStream_tbENKUlT_T0_E_clISt17integral_constantIbLb1EES13_IbLb0EEEEDaSZ_S10_EUlSZ_E_NS1_11comp_targetILNS1_3genE9ELNS1_11target_archE1100ELNS1_3gpuE3ELNS1_3repE0EEENS1_30default_config_static_selectorELNS0_4arch9wavefront6targetE0EEEvT1_: ; @_ZN7rocprim17ROCPRIM_400000_NS6detail17trampoline_kernelINS0_14default_configENS1_27scan_by_key_config_selectorIiiEEZZNS1_16scan_by_key_implILNS1_25lookback_scan_determinismE0ELb0ES3_N6thrust23THRUST_200600_302600_NS6detail15normal_iteratorINS9_10device_ptrIiEEEENS9_18transform_iteratorINS9_6negateIiEESE_NS9_11use_defaultESI_EESE_iNS9_4plusIvEENS9_8equal_toIvEEiEE10hipError_tPvRmT2_T3_T4_T5_mT6_T7_P12ihipStream_tbENKUlT_T0_E_clISt17integral_constantIbLb1EES13_IbLb0EEEEDaSZ_S10_EUlSZ_E_NS1_11comp_targetILNS1_3genE9ELNS1_11target_archE1100ELNS1_3gpuE3ELNS1_3repE0EEENS1_30default_config_static_selectorELNS0_4arch9wavefront6targetE0EEEvT1_
; %bb.0:
	.section	.rodata,"a",@progbits
	.p2align	6, 0x0
	.amdhsa_kernel _ZN7rocprim17ROCPRIM_400000_NS6detail17trampoline_kernelINS0_14default_configENS1_27scan_by_key_config_selectorIiiEEZZNS1_16scan_by_key_implILNS1_25lookback_scan_determinismE0ELb0ES3_N6thrust23THRUST_200600_302600_NS6detail15normal_iteratorINS9_10device_ptrIiEEEENS9_18transform_iteratorINS9_6negateIiEESE_NS9_11use_defaultESI_EESE_iNS9_4plusIvEENS9_8equal_toIvEEiEE10hipError_tPvRmT2_T3_T4_T5_mT6_T7_P12ihipStream_tbENKUlT_T0_E_clISt17integral_constantIbLb1EES13_IbLb0EEEEDaSZ_S10_EUlSZ_E_NS1_11comp_targetILNS1_3genE9ELNS1_11target_archE1100ELNS1_3gpuE3ELNS1_3repE0EEENS1_30default_config_static_selectorELNS0_4arch9wavefront6targetE0EEEvT1_
		.amdhsa_group_segment_fixed_size 0
		.amdhsa_private_segment_fixed_size 0
		.amdhsa_kernarg_size 120
		.amdhsa_user_sgpr_count 2
		.amdhsa_user_sgpr_dispatch_ptr 0
		.amdhsa_user_sgpr_queue_ptr 0
		.amdhsa_user_sgpr_kernarg_segment_ptr 1
		.amdhsa_user_sgpr_dispatch_id 0
		.amdhsa_user_sgpr_kernarg_preload_length 0
		.amdhsa_user_sgpr_kernarg_preload_offset 0
		.amdhsa_user_sgpr_private_segment_size 0
		.amdhsa_wavefront_size32 1
		.amdhsa_uses_dynamic_stack 0
		.amdhsa_enable_private_segment 0
		.amdhsa_system_sgpr_workgroup_id_x 1
		.amdhsa_system_sgpr_workgroup_id_y 0
		.amdhsa_system_sgpr_workgroup_id_z 0
		.amdhsa_system_sgpr_workgroup_info 0
		.amdhsa_system_vgpr_workitem_id 0
		.amdhsa_next_free_vgpr 1
		.amdhsa_next_free_sgpr 1
		.amdhsa_named_barrier_count 0
		.amdhsa_reserve_vcc 0
		.amdhsa_float_round_mode_32 0
		.amdhsa_float_round_mode_16_64 0
		.amdhsa_float_denorm_mode_32 3
		.amdhsa_float_denorm_mode_16_64 3
		.amdhsa_fp16_overflow 0
		.amdhsa_memory_ordered 1
		.amdhsa_forward_progress 1
		.amdhsa_inst_pref_size 0
		.amdhsa_round_robin_scheduling 0
		.amdhsa_exception_fp_ieee_invalid_op 0
		.amdhsa_exception_fp_denorm_src 0
		.amdhsa_exception_fp_ieee_div_zero 0
		.amdhsa_exception_fp_ieee_overflow 0
		.amdhsa_exception_fp_ieee_underflow 0
		.amdhsa_exception_fp_ieee_inexact 0
		.amdhsa_exception_int_div_zero 0
	.end_amdhsa_kernel
	.section	.text._ZN7rocprim17ROCPRIM_400000_NS6detail17trampoline_kernelINS0_14default_configENS1_27scan_by_key_config_selectorIiiEEZZNS1_16scan_by_key_implILNS1_25lookback_scan_determinismE0ELb0ES3_N6thrust23THRUST_200600_302600_NS6detail15normal_iteratorINS9_10device_ptrIiEEEENS9_18transform_iteratorINS9_6negateIiEESE_NS9_11use_defaultESI_EESE_iNS9_4plusIvEENS9_8equal_toIvEEiEE10hipError_tPvRmT2_T3_T4_T5_mT6_T7_P12ihipStream_tbENKUlT_T0_E_clISt17integral_constantIbLb1EES13_IbLb0EEEEDaSZ_S10_EUlSZ_E_NS1_11comp_targetILNS1_3genE9ELNS1_11target_archE1100ELNS1_3gpuE3ELNS1_3repE0EEENS1_30default_config_static_selectorELNS0_4arch9wavefront6targetE0EEEvT1_,"axG",@progbits,_ZN7rocprim17ROCPRIM_400000_NS6detail17trampoline_kernelINS0_14default_configENS1_27scan_by_key_config_selectorIiiEEZZNS1_16scan_by_key_implILNS1_25lookback_scan_determinismE0ELb0ES3_N6thrust23THRUST_200600_302600_NS6detail15normal_iteratorINS9_10device_ptrIiEEEENS9_18transform_iteratorINS9_6negateIiEESE_NS9_11use_defaultESI_EESE_iNS9_4plusIvEENS9_8equal_toIvEEiEE10hipError_tPvRmT2_T3_T4_T5_mT6_T7_P12ihipStream_tbENKUlT_T0_E_clISt17integral_constantIbLb1EES13_IbLb0EEEEDaSZ_S10_EUlSZ_E_NS1_11comp_targetILNS1_3genE9ELNS1_11target_archE1100ELNS1_3gpuE3ELNS1_3repE0EEENS1_30default_config_static_selectorELNS0_4arch9wavefront6targetE0EEEvT1_,comdat
.Lfunc_end954:
	.size	_ZN7rocprim17ROCPRIM_400000_NS6detail17trampoline_kernelINS0_14default_configENS1_27scan_by_key_config_selectorIiiEEZZNS1_16scan_by_key_implILNS1_25lookback_scan_determinismE0ELb0ES3_N6thrust23THRUST_200600_302600_NS6detail15normal_iteratorINS9_10device_ptrIiEEEENS9_18transform_iteratorINS9_6negateIiEESE_NS9_11use_defaultESI_EESE_iNS9_4plusIvEENS9_8equal_toIvEEiEE10hipError_tPvRmT2_T3_T4_T5_mT6_T7_P12ihipStream_tbENKUlT_T0_E_clISt17integral_constantIbLb1EES13_IbLb0EEEEDaSZ_S10_EUlSZ_E_NS1_11comp_targetILNS1_3genE9ELNS1_11target_archE1100ELNS1_3gpuE3ELNS1_3repE0EEENS1_30default_config_static_selectorELNS0_4arch9wavefront6targetE0EEEvT1_, .Lfunc_end954-_ZN7rocprim17ROCPRIM_400000_NS6detail17trampoline_kernelINS0_14default_configENS1_27scan_by_key_config_selectorIiiEEZZNS1_16scan_by_key_implILNS1_25lookback_scan_determinismE0ELb0ES3_N6thrust23THRUST_200600_302600_NS6detail15normal_iteratorINS9_10device_ptrIiEEEENS9_18transform_iteratorINS9_6negateIiEESE_NS9_11use_defaultESI_EESE_iNS9_4plusIvEENS9_8equal_toIvEEiEE10hipError_tPvRmT2_T3_T4_T5_mT6_T7_P12ihipStream_tbENKUlT_T0_E_clISt17integral_constantIbLb1EES13_IbLb0EEEEDaSZ_S10_EUlSZ_E_NS1_11comp_targetILNS1_3genE9ELNS1_11target_archE1100ELNS1_3gpuE3ELNS1_3repE0EEENS1_30default_config_static_selectorELNS0_4arch9wavefront6targetE0EEEvT1_
                                        ; -- End function
	.set _ZN7rocprim17ROCPRIM_400000_NS6detail17trampoline_kernelINS0_14default_configENS1_27scan_by_key_config_selectorIiiEEZZNS1_16scan_by_key_implILNS1_25lookback_scan_determinismE0ELb0ES3_N6thrust23THRUST_200600_302600_NS6detail15normal_iteratorINS9_10device_ptrIiEEEENS9_18transform_iteratorINS9_6negateIiEESE_NS9_11use_defaultESI_EESE_iNS9_4plusIvEENS9_8equal_toIvEEiEE10hipError_tPvRmT2_T3_T4_T5_mT6_T7_P12ihipStream_tbENKUlT_T0_E_clISt17integral_constantIbLb1EES13_IbLb0EEEEDaSZ_S10_EUlSZ_E_NS1_11comp_targetILNS1_3genE9ELNS1_11target_archE1100ELNS1_3gpuE3ELNS1_3repE0EEENS1_30default_config_static_selectorELNS0_4arch9wavefront6targetE0EEEvT1_.num_vgpr, 0
	.set _ZN7rocprim17ROCPRIM_400000_NS6detail17trampoline_kernelINS0_14default_configENS1_27scan_by_key_config_selectorIiiEEZZNS1_16scan_by_key_implILNS1_25lookback_scan_determinismE0ELb0ES3_N6thrust23THRUST_200600_302600_NS6detail15normal_iteratorINS9_10device_ptrIiEEEENS9_18transform_iteratorINS9_6negateIiEESE_NS9_11use_defaultESI_EESE_iNS9_4plusIvEENS9_8equal_toIvEEiEE10hipError_tPvRmT2_T3_T4_T5_mT6_T7_P12ihipStream_tbENKUlT_T0_E_clISt17integral_constantIbLb1EES13_IbLb0EEEEDaSZ_S10_EUlSZ_E_NS1_11comp_targetILNS1_3genE9ELNS1_11target_archE1100ELNS1_3gpuE3ELNS1_3repE0EEENS1_30default_config_static_selectorELNS0_4arch9wavefront6targetE0EEEvT1_.num_agpr, 0
	.set _ZN7rocprim17ROCPRIM_400000_NS6detail17trampoline_kernelINS0_14default_configENS1_27scan_by_key_config_selectorIiiEEZZNS1_16scan_by_key_implILNS1_25lookback_scan_determinismE0ELb0ES3_N6thrust23THRUST_200600_302600_NS6detail15normal_iteratorINS9_10device_ptrIiEEEENS9_18transform_iteratorINS9_6negateIiEESE_NS9_11use_defaultESI_EESE_iNS9_4plusIvEENS9_8equal_toIvEEiEE10hipError_tPvRmT2_T3_T4_T5_mT6_T7_P12ihipStream_tbENKUlT_T0_E_clISt17integral_constantIbLb1EES13_IbLb0EEEEDaSZ_S10_EUlSZ_E_NS1_11comp_targetILNS1_3genE9ELNS1_11target_archE1100ELNS1_3gpuE3ELNS1_3repE0EEENS1_30default_config_static_selectorELNS0_4arch9wavefront6targetE0EEEvT1_.numbered_sgpr, 0
	.set _ZN7rocprim17ROCPRIM_400000_NS6detail17trampoline_kernelINS0_14default_configENS1_27scan_by_key_config_selectorIiiEEZZNS1_16scan_by_key_implILNS1_25lookback_scan_determinismE0ELb0ES3_N6thrust23THRUST_200600_302600_NS6detail15normal_iteratorINS9_10device_ptrIiEEEENS9_18transform_iteratorINS9_6negateIiEESE_NS9_11use_defaultESI_EESE_iNS9_4plusIvEENS9_8equal_toIvEEiEE10hipError_tPvRmT2_T3_T4_T5_mT6_T7_P12ihipStream_tbENKUlT_T0_E_clISt17integral_constantIbLb1EES13_IbLb0EEEEDaSZ_S10_EUlSZ_E_NS1_11comp_targetILNS1_3genE9ELNS1_11target_archE1100ELNS1_3gpuE3ELNS1_3repE0EEENS1_30default_config_static_selectorELNS0_4arch9wavefront6targetE0EEEvT1_.num_named_barrier, 0
	.set _ZN7rocprim17ROCPRIM_400000_NS6detail17trampoline_kernelINS0_14default_configENS1_27scan_by_key_config_selectorIiiEEZZNS1_16scan_by_key_implILNS1_25lookback_scan_determinismE0ELb0ES3_N6thrust23THRUST_200600_302600_NS6detail15normal_iteratorINS9_10device_ptrIiEEEENS9_18transform_iteratorINS9_6negateIiEESE_NS9_11use_defaultESI_EESE_iNS9_4plusIvEENS9_8equal_toIvEEiEE10hipError_tPvRmT2_T3_T4_T5_mT6_T7_P12ihipStream_tbENKUlT_T0_E_clISt17integral_constantIbLb1EES13_IbLb0EEEEDaSZ_S10_EUlSZ_E_NS1_11comp_targetILNS1_3genE9ELNS1_11target_archE1100ELNS1_3gpuE3ELNS1_3repE0EEENS1_30default_config_static_selectorELNS0_4arch9wavefront6targetE0EEEvT1_.private_seg_size, 0
	.set _ZN7rocprim17ROCPRIM_400000_NS6detail17trampoline_kernelINS0_14default_configENS1_27scan_by_key_config_selectorIiiEEZZNS1_16scan_by_key_implILNS1_25lookback_scan_determinismE0ELb0ES3_N6thrust23THRUST_200600_302600_NS6detail15normal_iteratorINS9_10device_ptrIiEEEENS9_18transform_iteratorINS9_6negateIiEESE_NS9_11use_defaultESI_EESE_iNS9_4plusIvEENS9_8equal_toIvEEiEE10hipError_tPvRmT2_T3_T4_T5_mT6_T7_P12ihipStream_tbENKUlT_T0_E_clISt17integral_constantIbLb1EES13_IbLb0EEEEDaSZ_S10_EUlSZ_E_NS1_11comp_targetILNS1_3genE9ELNS1_11target_archE1100ELNS1_3gpuE3ELNS1_3repE0EEENS1_30default_config_static_selectorELNS0_4arch9wavefront6targetE0EEEvT1_.uses_vcc, 0
	.set _ZN7rocprim17ROCPRIM_400000_NS6detail17trampoline_kernelINS0_14default_configENS1_27scan_by_key_config_selectorIiiEEZZNS1_16scan_by_key_implILNS1_25lookback_scan_determinismE0ELb0ES3_N6thrust23THRUST_200600_302600_NS6detail15normal_iteratorINS9_10device_ptrIiEEEENS9_18transform_iteratorINS9_6negateIiEESE_NS9_11use_defaultESI_EESE_iNS9_4plusIvEENS9_8equal_toIvEEiEE10hipError_tPvRmT2_T3_T4_T5_mT6_T7_P12ihipStream_tbENKUlT_T0_E_clISt17integral_constantIbLb1EES13_IbLb0EEEEDaSZ_S10_EUlSZ_E_NS1_11comp_targetILNS1_3genE9ELNS1_11target_archE1100ELNS1_3gpuE3ELNS1_3repE0EEENS1_30default_config_static_selectorELNS0_4arch9wavefront6targetE0EEEvT1_.uses_flat_scratch, 0
	.set _ZN7rocprim17ROCPRIM_400000_NS6detail17trampoline_kernelINS0_14default_configENS1_27scan_by_key_config_selectorIiiEEZZNS1_16scan_by_key_implILNS1_25lookback_scan_determinismE0ELb0ES3_N6thrust23THRUST_200600_302600_NS6detail15normal_iteratorINS9_10device_ptrIiEEEENS9_18transform_iteratorINS9_6negateIiEESE_NS9_11use_defaultESI_EESE_iNS9_4plusIvEENS9_8equal_toIvEEiEE10hipError_tPvRmT2_T3_T4_T5_mT6_T7_P12ihipStream_tbENKUlT_T0_E_clISt17integral_constantIbLb1EES13_IbLb0EEEEDaSZ_S10_EUlSZ_E_NS1_11comp_targetILNS1_3genE9ELNS1_11target_archE1100ELNS1_3gpuE3ELNS1_3repE0EEENS1_30default_config_static_selectorELNS0_4arch9wavefront6targetE0EEEvT1_.has_dyn_sized_stack, 0
	.set _ZN7rocprim17ROCPRIM_400000_NS6detail17trampoline_kernelINS0_14default_configENS1_27scan_by_key_config_selectorIiiEEZZNS1_16scan_by_key_implILNS1_25lookback_scan_determinismE0ELb0ES3_N6thrust23THRUST_200600_302600_NS6detail15normal_iteratorINS9_10device_ptrIiEEEENS9_18transform_iteratorINS9_6negateIiEESE_NS9_11use_defaultESI_EESE_iNS9_4plusIvEENS9_8equal_toIvEEiEE10hipError_tPvRmT2_T3_T4_T5_mT6_T7_P12ihipStream_tbENKUlT_T0_E_clISt17integral_constantIbLb1EES13_IbLb0EEEEDaSZ_S10_EUlSZ_E_NS1_11comp_targetILNS1_3genE9ELNS1_11target_archE1100ELNS1_3gpuE3ELNS1_3repE0EEENS1_30default_config_static_selectorELNS0_4arch9wavefront6targetE0EEEvT1_.has_recursion, 0
	.set _ZN7rocprim17ROCPRIM_400000_NS6detail17trampoline_kernelINS0_14default_configENS1_27scan_by_key_config_selectorIiiEEZZNS1_16scan_by_key_implILNS1_25lookback_scan_determinismE0ELb0ES3_N6thrust23THRUST_200600_302600_NS6detail15normal_iteratorINS9_10device_ptrIiEEEENS9_18transform_iteratorINS9_6negateIiEESE_NS9_11use_defaultESI_EESE_iNS9_4plusIvEENS9_8equal_toIvEEiEE10hipError_tPvRmT2_T3_T4_T5_mT6_T7_P12ihipStream_tbENKUlT_T0_E_clISt17integral_constantIbLb1EES13_IbLb0EEEEDaSZ_S10_EUlSZ_E_NS1_11comp_targetILNS1_3genE9ELNS1_11target_archE1100ELNS1_3gpuE3ELNS1_3repE0EEENS1_30default_config_static_selectorELNS0_4arch9wavefront6targetE0EEEvT1_.has_indirect_call, 0
	.section	.AMDGPU.csdata,"",@progbits
; Kernel info:
; codeLenInByte = 0
; TotalNumSgprs: 0
; NumVgprs: 0
; ScratchSize: 0
; MemoryBound: 0
; FloatMode: 240
; IeeeMode: 1
; LDSByteSize: 0 bytes/workgroup (compile time only)
; SGPRBlocks: 0
; VGPRBlocks: 0
; NumSGPRsForWavesPerEU: 1
; NumVGPRsForWavesPerEU: 1
; NamedBarCnt: 0
; Occupancy: 16
; WaveLimiterHint : 0
; COMPUTE_PGM_RSRC2:SCRATCH_EN: 0
; COMPUTE_PGM_RSRC2:USER_SGPR: 2
; COMPUTE_PGM_RSRC2:TRAP_HANDLER: 0
; COMPUTE_PGM_RSRC2:TGID_X_EN: 1
; COMPUTE_PGM_RSRC2:TGID_Y_EN: 0
; COMPUTE_PGM_RSRC2:TGID_Z_EN: 0
; COMPUTE_PGM_RSRC2:TIDIG_COMP_CNT: 0
	.section	.text._ZN7rocprim17ROCPRIM_400000_NS6detail17trampoline_kernelINS0_14default_configENS1_27scan_by_key_config_selectorIiiEEZZNS1_16scan_by_key_implILNS1_25lookback_scan_determinismE0ELb0ES3_N6thrust23THRUST_200600_302600_NS6detail15normal_iteratorINS9_10device_ptrIiEEEENS9_18transform_iteratorINS9_6negateIiEESE_NS9_11use_defaultESI_EESE_iNS9_4plusIvEENS9_8equal_toIvEEiEE10hipError_tPvRmT2_T3_T4_T5_mT6_T7_P12ihipStream_tbENKUlT_T0_E_clISt17integral_constantIbLb1EES13_IbLb0EEEEDaSZ_S10_EUlSZ_E_NS1_11comp_targetILNS1_3genE8ELNS1_11target_archE1030ELNS1_3gpuE2ELNS1_3repE0EEENS1_30default_config_static_selectorELNS0_4arch9wavefront6targetE0EEEvT1_,"axG",@progbits,_ZN7rocprim17ROCPRIM_400000_NS6detail17trampoline_kernelINS0_14default_configENS1_27scan_by_key_config_selectorIiiEEZZNS1_16scan_by_key_implILNS1_25lookback_scan_determinismE0ELb0ES3_N6thrust23THRUST_200600_302600_NS6detail15normal_iteratorINS9_10device_ptrIiEEEENS9_18transform_iteratorINS9_6negateIiEESE_NS9_11use_defaultESI_EESE_iNS9_4plusIvEENS9_8equal_toIvEEiEE10hipError_tPvRmT2_T3_T4_T5_mT6_T7_P12ihipStream_tbENKUlT_T0_E_clISt17integral_constantIbLb1EES13_IbLb0EEEEDaSZ_S10_EUlSZ_E_NS1_11comp_targetILNS1_3genE8ELNS1_11target_archE1030ELNS1_3gpuE2ELNS1_3repE0EEENS1_30default_config_static_selectorELNS0_4arch9wavefront6targetE0EEEvT1_,comdat
	.protected	_ZN7rocprim17ROCPRIM_400000_NS6detail17trampoline_kernelINS0_14default_configENS1_27scan_by_key_config_selectorIiiEEZZNS1_16scan_by_key_implILNS1_25lookback_scan_determinismE0ELb0ES3_N6thrust23THRUST_200600_302600_NS6detail15normal_iteratorINS9_10device_ptrIiEEEENS9_18transform_iteratorINS9_6negateIiEESE_NS9_11use_defaultESI_EESE_iNS9_4plusIvEENS9_8equal_toIvEEiEE10hipError_tPvRmT2_T3_T4_T5_mT6_T7_P12ihipStream_tbENKUlT_T0_E_clISt17integral_constantIbLb1EES13_IbLb0EEEEDaSZ_S10_EUlSZ_E_NS1_11comp_targetILNS1_3genE8ELNS1_11target_archE1030ELNS1_3gpuE2ELNS1_3repE0EEENS1_30default_config_static_selectorELNS0_4arch9wavefront6targetE0EEEvT1_ ; -- Begin function _ZN7rocprim17ROCPRIM_400000_NS6detail17trampoline_kernelINS0_14default_configENS1_27scan_by_key_config_selectorIiiEEZZNS1_16scan_by_key_implILNS1_25lookback_scan_determinismE0ELb0ES3_N6thrust23THRUST_200600_302600_NS6detail15normal_iteratorINS9_10device_ptrIiEEEENS9_18transform_iteratorINS9_6negateIiEESE_NS9_11use_defaultESI_EESE_iNS9_4plusIvEENS9_8equal_toIvEEiEE10hipError_tPvRmT2_T3_T4_T5_mT6_T7_P12ihipStream_tbENKUlT_T0_E_clISt17integral_constantIbLb1EES13_IbLb0EEEEDaSZ_S10_EUlSZ_E_NS1_11comp_targetILNS1_3genE8ELNS1_11target_archE1030ELNS1_3gpuE2ELNS1_3repE0EEENS1_30default_config_static_selectorELNS0_4arch9wavefront6targetE0EEEvT1_
	.globl	_ZN7rocprim17ROCPRIM_400000_NS6detail17trampoline_kernelINS0_14default_configENS1_27scan_by_key_config_selectorIiiEEZZNS1_16scan_by_key_implILNS1_25lookback_scan_determinismE0ELb0ES3_N6thrust23THRUST_200600_302600_NS6detail15normal_iteratorINS9_10device_ptrIiEEEENS9_18transform_iteratorINS9_6negateIiEESE_NS9_11use_defaultESI_EESE_iNS9_4plusIvEENS9_8equal_toIvEEiEE10hipError_tPvRmT2_T3_T4_T5_mT6_T7_P12ihipStream_tbENKUlT_T0_E_clISt17integral_constantIbLb1EES13_IbLb0EEEEDaSZ_S10_EUlSZ_E_NS1_11comp_targetILNS1_3genE8ELNS1_11target_archE1030ELNS1_3gpuE2ELNS1_3repE0EEENS1_30default_config_static_selectorELNS0_4arch9wavefront6targetE0EEEvT1_
	.p2align	8
	.type	_ZN7rocprim17ROCPRIM_400000_NS6detail17trampoline_kernelINS0_14default_configENS1_27scan_by_key_config_selectorIiiEEZZNS1_16scan_by_key_implILNS1_25lookback_scan_determinismE0ELb0ES3_N6thrust23THRUST_200600_302600_NS6detail15normal_iteratorINS9_10device_ptrIiEEEENS9_18transform_iteratorINS9_6negateIiEESE_NS9_11use_defaultESI_EESE_iNS9_4plusIvEENS9_8equal_toIvEEiEE10hipError_tPvRmT2_T3_T4_T5_mT6_T7_P12ihipStream_tbENKUlT_T0_E_clISt17integral_constantIbLb1EES13_IbLb0EEEEDaSZ_S10_EUlSZ_E_NS1_11comp_targetILNS1_3genE8ELNS1_11target_archE1030ELNS1_3gpuE2ELNS1_3repE0EEENS1_30default_config_static_selectorELNS0_4arch9wavefront6targetE0EEEvT1_,@function
_ZN7rocprim17ROCPRIM_400000_NS6detail17trampoline_kernelINS0_14default_configENS1_27scan_by_key_config_selectorIiiEEZZNS1_16scan_by_key_implILNS1_25lookback_scan_determinismE0ELb0ES3_N6thrust23THRUST_200600_302600_NS6detail15normal_iteratorINS9_10device_ptrIiEEEENS9_18transform_iteratorINS9_6negateIiEESE_NS9_11use_defaultESI_EESE_iNS9_4plusIvEENS9_8equal_toIvEEiEE10hipError_tPvRmT2_T3_T4_T5_mT6_T7_P12ihipStream_tbENKUlT_T0_E_clISt17integral_constantIbLb1EES13_IbLb0EEEEDaSZ_S10_EUlSZ_E_NS1_11comp_targetILNS1_3genE8ELNS1_11target_archE1030ELNS1_3gpuE2ELNS1_3repE0EEENS1_30default_config_static_selectorELNS0_4arch9wavefront6targetE0EEEvT1_: ; @_ZN7rocprim17ROCPRIM_400000_NS6detail17trampoline_kernelINS0_14default_configENS1_27scan_by_key_config_selectorIiiEEZZNS1_16scan_by_key_implILNS1_25lookback_scan_determinismE0ELb0ES3_N6thrust23THRUST_200600_302600_NS6detail15normal_iteratorINS9_10device_ptrIiEEEENS9_18transform_iteratorINS9_6negateIiEESE_NS9_11use_defaultESI_EESE_iNS9_4plusIvEENS9_8equal_toIvEEiEE10hipError_tPvRmT2_T3_T4_T5_mT6_T7_P12ihipStream_tbENKUlT_T0_E_clISt17integral_constantIbLb1EES13_IbLb0EEEEDaSZ_S10_EUlSZ_E_NS1_11comp_targetILNS1_3genE8ELNS1_11target_archE1030ELNS1_3gpuE2ELNS1_3repE0EEENS1_30default_config_static_selectorELNS0_4arch9wavefront6targetE0EEEvT1_
; %bb.0:
	.section	.rodata,"a",@progbits
	.p2align	6, 0x0
	.amdhsa_kernel _ZN7rocprim17ROCPRIM_400000_NS6detail17trampoline_kernelINS0_14default_configENS1_27scan_by_key_config_selectorIiiEEZZNS1_16scan_by_key_implILNS1_25lookback_scan_determinismE0ELb0ES3_N6thrust23THRUST_200600_302600_NS6detail15normal_iteratorINS9_10device_ptrIiEEEENS9_18transform_iteratorINS9_6negateIiEESE_NS9_11use_defaultESI_EESE_iNS9_4plusIvEENS9_8equal_toIvEEiEE10hipError_tPvRmT2_T3_T4_T5_mT6_T7_P12ihipStream_tbENKUlT_T0_E_clISt17integral_constantIbLb1EES13_IbLb0EEEEDaSZ_S10_EUlSZ_E_NS1_11comp_targetILNS1_3genE8ELNS1_11target_archE1030ELNS1_3gpuE2ELNS1_3repE0EEENS1_30default_config_static_selectorELNS0_4arch9wavefront6targetE0EEEvT1_
		.amdhsa_group_segment_fixed_size 0
		.amdhsa_private_segment_fixed_size 0
		.amdhsa_kernarg_size 120
		.amdhsa_user_sgpr_count 2
		.amdhsa_user_sgpr_dispatch_ptr 0
		.amdhsa_user_sgpr_queue_ptr 0
		.amdhsa_user_sgpr_kernarg_segment_ptr 1
		.amdhsa_user_sgpr_dispatch_id 0
		.amdhsa_user_sgpr_kernarg_preload_length 0
		.amdhsa_user_sgpr_kernarg_preload_offset 0
		.amdhsa_user_sgpr_private_segment_size 0
		.amdhsa_wavefront_size32 1
		.amdhsa_uses_dynamic_stack 0
		.amdhsa_enable_private_segment 0
		.amdhsa_system_sgpr_workgroup_id_x 1
		.amdhsa_system_sgpr_workgroup_id_y 0
		.amdhsa_system_sgpr_workgroup_id_z 0
		.amdhsa_system_sgpr_workgroup_info 0
		.amdhsa_system_vgpr_workitem_id 0
		.amdhsa_next_free_vgpr 1
		.amdhsa_next_free_sgpr 1
		.amdhsa_named_barrier_count 0
		.amdhsa_reserve_vcc 0
		.amdhsa_float_round_mode_32 0
		.amdhsa_float_round_mode_16_64 0
		.amdhsa_float_denorm_mode_32 3
		.amdhsa_float_denorm_mode_16_64 3
		.amdhsa_fp16_overflow 0
		.amdhsa_memory_ordered 1
		.amdhsa_forward_progress 1
		.amdhsa_inst_pref_size 0
		.amdhsa_round_robin_scheduling 0
		.amdhsa_exception_fp_ieee_invalid_op 0
		.amdhsa_exception_fp_denorm_src 0
		.amdhsa_exception_fp_ieee_div_zero 0
		.amdhsa_exception_fp_ieee_overflow 0
		.amdhsa_exception_fp_ieee_underflow 0
		.amdhsa_exception_fp_ieee_inexact 0
		.amdhsa_exception_int_div_zero 0
	.end_amdhsa_kernel
	.section	.text._ZN7rocprim17ROCPRIM_400000_NS6detail17trampoline_kernelINS0_14default_configENS1_27scan_by_key_config_selectorIiiEEZZNS1_16scan_by_key_implILNS1_25lookback_scan_determinismE0ELb0ES3_N6thrust23THRUST_200600_302600_NS6detail15normal_iteratorINS9_10device_ptrIiEEEENS9_18transform_iteratorINS9_6negateIiEESE_NS9_11use_defaultESI_EESE_iNS9_4plusIvEENS9_8equal_toIvEEiEE10hipError_tPvRmT2_T3_T4_T5_mT6_T7_P12ihipStream_tbENKUlT_T0_E_clISt17integral_constantIbLb1EES13_IbLb0EEEEDaSZ_S10_EUlSZ_E_NS1_11comp_targetILNS1_3genE8ELNS1_11target_archE1030ELNS1_3gpuE2ELNS1_3repE0EEENS1_30default_config_static_selectorELNS0_4arch9wavefront6targetE0EEEvT1_,"axG",@progbits,_ZN7rocprim17ROCPRIM_400000_NS6detail17trampoline_kernelINS0_14default_configENS1_27scan_by_key_config_selectorIiiEEZZNS1_16scan_by_key_implILNS1_25lookback_scan_determinismE0ELb0ES3_N6thrust23THRUST_200600_302600_NS6detail15normal_iteratorINS9_10device_ptrIiEEEENS9_18transform_iteratorINS9_6negateIiEESE_NS9_11use_defaultESI_EESE_iNS9_4plusIvEENS9_8equal_toIvEEiEE10hipError_tPvRmT2_T3_T4_T5_mT6_T7_P12ihipStream_tbENKUlT_T0_E_clISt17integral_constantIbLb1EES13_IbLb0EEEEDaSZ_S10_EUlSZ_E_NS1_11comp_targetILNS1_3genE8ELNS1_11target_archE1030ELNS1_3gpuE2ELNS1_3repE0EEENS1_30default_config_static_selectorELNS0_4arch9wavefront6targetE0EEEvT1_,comdat
.Lfunc_end955:
	.size	_ZN7rocprim17ROCPRIM_400000_NS6detail17trampoline_kernelINS0_14default_configENS1_27scan_by_key_config_selectorIiiEEZZNS1_16scan_by_key_implILNS1_25lookback_scan_determinismE0ELb0ES3_N6thrust23THRUST_200600_302600_NS6detail15normal_iteratorINS9_10device_ptrIiEEEENS9_18transform_iteratorINS9_6negateIiEESE_NS9_11use_defaultESI_EESE_iNS9_4plusIvEENS9_8equal_toIvEEiEE10hipError_tPvRmT2_T3_T4_T5_mT6_T7_P12ihipStream_tbENKUlT_T0_E_clISt17integral_constantIbLb1EES13_IbLb0EEEEDaSZ_S10_EUlSZ_E_NS1_11comp_targetILNS1_3genE8ELNS1_11target_archE1030ELNS1_3gpuE2ELNS1_3repE0EEENS1_30default_config_static_selectorELNS0_4arch9wavefront6targetE0EEEvT1_, .Lfunc_end955-_ZN7rocprim17ROCPRIM_400000_NS6detail17trampoline_kernelINS0_14default_configENS1_27scan_by_key_config_selectorIiiEEZZNS1_16scan_by_key_implILNS1_25lookback_scan_determinismE0ELb0ES3_N6thrust23THRUST_200600_302600_NS6detail15normal_iteratorINS9_10device_ptrIiEEEENS9_18transform_iteratorINS9_6negateIiEESE_NS9_11use_defaultESI_EESE_iNS9_4plusIvEENS9_8equal_toIvEEiEE10hipError_tPvRmT2_T3_T4_T5_mT6_T7_P12ihipStream_tbENKUlT_T0_E_clISt17integral_constantIbLb1EES13_IbLb0EEEEDaSZ_S10_EUlSZ_E_NS1_11comp_targetILNS1_3genE8ELNS1_11target_archE1030ELNS1_3gpuE2ELNS1_3repE0EEENS1_30default_config_static_selectorELNS0_4arch9wavefront6targetE0EEEvT1_
                                        ; -- End function
	.set _ZN7rocprim17ROCPRIM_400000_NS6detail17trampoline_kernelINS0_14default_configENS1_27scan_by_key_config_selectorIiiEEZZNS1_16scan_by_key_implILNS1_25lookback_scan_determinismE0ELb0ES3_N6thrust23THRUST_200600_302600_NS6detail15normal_iteratorINS9_10device_ptrIiEEEENS9_18transform_iteratorINS9_6negateIiEESE_NS9_11use_defaultESI_EESE_iNS9_4plusIvEENS9_8equal_toIvEEiEE10hipError_tPvRmT2_T3_T4_T5_mT6_T7_P12ihipStream_tbENKUlT_T0_E_clISt17integral_constantIbLb1EES13_IbLb0EEEEDaSZ_S10_EUlSZ_E_NS1_11comp_targetILNS1_3genE8ELNS1_11target_archE1030ELNS1_3gpuE2ELNS1_3repE0EEENS1_30default_config_static_selectorELNS0_4arch9wavefront6targetE0EEEvT1_.num_vgpr, 0
	.set _ZN7rocprim17ROCPRIM_400000_NS6detail17trampoline_kernelINS0_14default_configENS1_27scan_by_key_config_selectorIiiEEZZNS1_16scan_by_key_implILNS1_25lookback_scan_determinismE0ELb0ES3_N6thrust23THRUST_200600_302600_NS6detail15normal_iteratorINS9_10device_ptrIiEEEENS9_18transform_iteratorINS9_6negateIiEESE_NS9_11use_defaultESI_EESE_iNS9_4plusIvEENS9_8equal_toIvEEiEE10hipError_tPvRmT2_T3_T4_T5_mT6_T7_P12ihipStream_tbENKUlT_T0_E_clISt17integral_constantIbLb1EES13_IbLb0EEEEDaSZ_S10_EUlSZ_E_NS1_11comp_targetILNS1_3genE8ELNS1_11target_archE1030ELNS1_3gpuE2ELNS1_3repE0EEENS1_30default_config_static_selectorELNS0_4arch9wavefront6targetE0EEEvT1_.num_agpr, 0
	.set _ZN7rocprim17ROCPRIM_400000_NS6detail17trampoline_kernelINS0_14default_configENS1_27scan_by_key_config_selectorIiiEEZZNS1_16scan_by_key_implILNS1_25lookback_scan_determinismE0ELb0ES3_N6thrust23THRUST_200600_302600_NS6detail15normal_iteratorINS9_10device_ptrIiEEEENS9_18transform_iteratorINS9_6negateIiEESE_NS9_11use_defaultESI_EESE_iNS9_4plusIvEENS9_8equal_toIvEEiEE10hipError_tPvRmT2_T3_T4_T5_mT6_T7_P12ihipStream_tbENKUlT_T0_E_clISt17integral_constantIbLb1EES13_IbLb0EEEEDaSZ_S10_EUlSZ_E_NS1_11comp_targetILNS1_3genE8ELNS1_11target_archE1030ELNS1_3gpuE2ELNS1_3repE0EEENS1_30default_config_static_selectorELNS0_4arch9wavefront6targetE0EEEvT1_.numbered_sgpr, 0
	.set _ZN7rocprim17ROCPRIM_400000_NS6detail17trampoline_kernelINS0_14default_configENS1_27scan_by_key_config_selectorIiiEEZZNS1_16scan_by_key_implILNS1_25lookback_scan_determinismE0ELb0ES3_N6thrust23THRUST_200600_302600_NS6detail15normal_iteratorINS9_10device_ptrIiEEEENS9_18transform_iteratorINS9_6negateIiEESE_NS9_11use_defaultESI_EESE_iNS9_4plusIvEENS9_8equal_toIvEEiEE10hipError_tPvRmT2_T3_T4_T5_mT6_T7_P12ihipStream_tbENKUlT_T0_E_clISt17integral_constantIbLb1EES13_IbLb0EEEEDaSZ_S10_EUlSZ_E_NS1_11comp_targetILNS1_3genE8ELNS1_11target_archE1030ELNS1_3gpuE2ELNS1_3repE0EEENS1_30default_config_static_selectorELNS0_4arch9wavefront6targetE0EEEvT1_.num_named_barrier, 0
	.set _ZN7rocprim17ROCPRIM_400000_NS6detail17trampoline_kernelINS0_14default_configENS1_27scan_by_key_config_selectorIiiEEZZNS1_16scan_by_key_implILNS1_25lookback_scan_determinismE0ELb0ES3_N6thrust23THRUST_200600_302600_NS6detail15normal_iteratorINS9_10device_ptrIiEEEENS9_18transform_iteratorINS9_6negateIiEESE_NS9_11use_defaultESI_EESE_iNS9_4plusIvEENS9_8equal_toIvEEiEE10hipError_tPvRmT2_T3_T4_T5_mT6_T7_P12ihipStream_tbENKUlT_T0_E_clISt17integral_constantIbLb1EES13_IbLb0EEEEDaSZ_S10_EUlSZ_E_NS1_11comp_targetILNS1_3genE8ELNS1_11target_archE1030ELNS1_3gpuE2ELNS1_3repE0EEENS1_30default_config_static_selectorELNS0_4arch9wavefront6targetE0EEEvT1_.private_seg_size, 0
	.set _ZN7rocprim17ROCPRIM_400000_NS6detail17trampoline_kernelINS0_14default_configENS1_27scan_by_key_config_selectorIiiEEZZNS1_16scan_by_key_implILNS1_25lookback_scan_determinismE0ELb0ES3_N6thrust23THRUST_200600_302600_NS6detail15normal_iteratorINS9_10device_ptrIiEEEENS9_18transform_iteratorINS9_6negateIiEESE_NS9_11use_defaultESI_EESE_iNS9_4plusIvEENS9_8equal_toIvEEiEE10hipError_tPvRmT2_T3_T4_T5_mT6_T7_P12ihipStream_tbENKUlT_T0_E_clISt17integral_constantIbLb1EES13_IbLb0EEEEDaSZ_S10_EUlSZ_E_NS1_11comp_targetILNS1_3genE8ELNS1_11target_archE1030ELNS1_3gpuE2ELNS1_3repE0EEENS1_30default_config_static_selectorELNS0_4arch9wavefront6targetE0EEEvT1_.uses_vcc, 0
	.set _ZN7rocprim17ROCPRIM_400000_NS6detail17trampoline_kernelINS0_14default_configENS1_27scan_by_key_config_selectorIiiEEZZNS1_16scan_by_key_implILNS1_25lookback_scan_determinismE0ELb0ES3_N6thrust23THRUST_200600_302600_NS6detail15normal_iteratorINS9_10device_ptrIiEEEENS9_18transform_iteratorINS9_6negateIiEESE_NS9_11use_defaultESI_EESE_iNS9_4plusIvEENS9_8equal_toIvEEiEE10hipError_tPvRmT2_T3_T4_T5_mT6_T7_P12ihipStream_tbENKUlT_T0_E_clISt17integral_constantIbLb1EES13_IbLb0EEEEDaSZ_S10_EUlSZ_E_NS1_11comp_targetILNS1_3genE8ELNS1_11target_archE1030ELNS1_3gpuE2ELNS1_3repE0EEENS1_30default_config_static_selectorELNS0_4arch9wavefront6targetE0EEEvT1_.uses_flat_scratch, 0
	.set _ZN7rocprim17ROCPRIM_400000_NS6detail17trampoline_kernelINS0_14default_configENS1_27scan_by_key_config_selectorIiiEEZZNS1_16scan_by_key_implILNS1_25lookback_scan_determinismE0ELb0ES3_N6thrust23THRUST_200600_302600_NS6detail15normal_iteratorINS9_10device_ptrIiEEEENS9_18transform_iteratorINS9_6negateIiEESE_NS9_11use_defaultESI_EESE_iNS9_4plusIvEENS9_8equal_toIvEEiEE10hipError_tPvRmT2_T3_T4_T5_mT6_T7_P12ihipStream_tbENKUlT_T0_E_clISt17integral_constantIbLb1EES13_IbLb0EEEEDaSZ_S10_EUlSZ_E_NS1_11comp_targetILNS1_3genE8ELNS1_11target_archE1030ELNS1_3gpuE2ELNS1_3repE0EEENS1_30default_config_static_selectorELNS0_4arch9wavefront6targetE0EEEvT1_.has_dyn_sized_stack, 0
	.set _ZN7rocprim17ROCPRIM_400000_NS6detail17trampoline_kernelINS0_14default_configENS1_27scan_by_key_config_selectorIiiEEZZNS1_16scan_by_key_implILNS1_25lookback_scan_determinismE0ELb0ES3_N6thrust23THRUST_200600_302600_NS6detail15normal_iteratorINS9_10device_ptrIiEEEENS9_18transform_iteratorINS9_6negateIiEESE_NS9_11use_defaultESI_EESE_iNS9_4plusIvEENS9_8equal_toIvEEiEE10hipError_tPvRmT2_T3_T4_T5_mT6_T7_P12ihipStream_tbENKUlT_T0_E_clISt17integral_constantIbLb1EES13_IbLb0EEEEDaSZ_S10_EUlSZ_E_NS1_11comp_targetILNS1_3genE8ELNS1_11target_archE1030ELNS1_3gpuE2ELNS1_3repE0EEENS1_30default_config_static_selectorELNS0_4arch9wavefront6targetE0EEEvT1_.has_recursion, 0
	.set _ZN7rocprim17ROCPRIM_400000_NS6detail17trampoline_kernelINS0_14default_configENS1_27scan_by_key_config_selectorIiiEEZZNS1_16scan_by_key_implILNS1_25lookback_scan_determinismE0ELb0ES3_N6thrust23THRUST_200600_302600_NS6detail15normal_iteratorINS9_10device_ptrIiEEEENS9_18transform_iteratorINS9_6negateIiEESE_NS9_11use_defaultESI_EESE_iNS9_4plusIvEENS9_8equal_toIvEEiEE10hipError_tPvRmT2_T3_T4_T5_mT6_T7_P12ihipStream_tbENKUlT_T0_E_clISt17integral_constantIbLb1EES13_IbLb0EEEEDaSZ_S10_EUlSZ_E_NS1_11comp_targetILNS1_3genE8ELNS1_11target_archE1030ELNS1_3gpuE2ELNS1_3repE0EEENS1_30default_config_static_selectorELNS0_4arch9wavefront6targetE0EEEvT1_.has_indirect_call, 0
	.section	.AMDGPU.csdata,"",@progbits
; Kernel info:
; codeLenInByte = 0
; TotalNumSgprs: 0
; NumVgprs: 0
; ScratchSize: 0
; MemoryBound: 0
; FloatMode: 240
; IeeeMode: 1
; LDSByteSize: 0 bytes/workgroup (compile time only)
; SGPRBlocks: 0
; VGPRBlocks: 0
; NumSGPRsForWavesPerEU: 1
; NumVGPRsForWavesPerEU: 1
; NamedBarCnt: 0
; Occupancy: 16
; WaveLimiterHint : 0
; COMPUTE_PGM_RSRC2:SCRATCH_EN: 0
; COMPUTE_PGM_RSRC2:USER_SGPR: 2
; COMPUTE_PGM_RSRC2:TRAP_HANDLER: 0
; COMPUTE_PGM_RSRC2:TGID_X_EN: 1
; COMPUTE_PGM_RSRC2:TGID_Y_EN: 0
; COMPUTE_PGM_RSRC2:TGID_Z_EN: 0
; COMPUTE_PGM_RSRC2:TIDIG_COMP_CNT: 0
	.section	.text._ZN7rocprim17ROCPRIM_400000_NS6detail17trampoline_kernelINS0_14default_configENS1_27scan_by_key_config_selectorIiiEEZZNS1_16scan_by_key_implILNS1_25lookback_scan_determinismE0ELb0ES3_N6thrust23THRUST_200600_302600_NS6detail15normal_iteratorINS9_10device_ptrIiEEEENS9_18transform_iteratorINS9_6negateIiEESE_NS9_11use_defaultESI_EESE_iNS9_4plusIvEENS9_8equal_toIvEEiEE10hipError_tPvRmT2_T3_T4_T5_mT6_T7_P12ihipStream_tbENKUlT_T0_E_clISt17integral_constantIbLb0EES13_IbLb1EEEEDaSZ_S10_EUlSZ_E_NS1_11comp_targetILNS1_3genE0ELNS1_11target_archE4294967295ELNS1_3gpuE0ELNS1_3repE0EEENS1_30default_config_static_selectorELNS0_4arch9wavefront6targetE0EEEvT1_,"axG",@progbits,_ZN7rocprim17ROCPRIM_400000_NS6detail17trampoline_kernelINS0_14default_configENS1_27scan_by_key_config_selectorIiiEEZZNS1_16scan_by_key_implILNS1_25lookback_scan_determinismE0ELb0ES3_N6thrust23THRUST_200600_302600_NS6detail15normal_iteratorINS9_10device_ptrIiEEEENS9_18transform_iteratorINS9_6negateIiEESE_NS9_11use_defaultESI_EESE_iNS9_4plusIvEENS9_8equal_toIvEEiEE10hipError_tPvRmT2_T3_T4_T5_mT6_T7_P12ihipStream_tbENKUlT_T0_E_clISt17integral_constantIbLb0EES13_IbLb1EEEEDaSZ_S10_EUlSZ_E_NS1_11comp_targetILNS1_3genE0ELNS1_11target_archE4294967295ELNS1_3gpuE0ELNS1_3repE0EEENS1_30default_config_static_selectorELNS0_4arch9wavefront6targetE0EEEvT1_,comdat
	.protected	_ZN7rocprim17ROCPRIM_400000_NS6detail17trampoline_kernelINS0_14default_configENS1_27scan_by_key_config_selectorIiiEEZZNS1_16scan_by_key_implILNS1_25lookback_scan_determinismE0ELb0ES3_N6thrust23THRUST_200600_302600_NS6detail15normal_iteratorINS9_10device_ptrIiEEEENS9_18transform_iteratorINS9_6negateIiEESE_NS9_11use_defaultESI_EESE_iNS9_4plusIvEENS9_8equal_toIvEEiEE10hipError_tPvRmT2_T3_T4_T5_mT6_T7_P12ihipStream_tbENKUlT_T0_E_clISt17integral_constantIbLb0EES13_IbLb1EEEEDaSZ_S10_EUlSZ_E_NS1_11comp_targetILNS1_3genE0ELNS1_11target_archE4294967295ELNS1_3gpuE0ELNS1_3repE0EEENS1_30default_config_static_selectorELNS0_4arch9wavefront6targetE0EEEvT1_ ; -- Begin function _ZN7rocprim17ROCPRIM_400000_NS6detail17trampoline_kernelINS0_14default_configENS1_27scan_by_key_config_selectorIiiEEZZNS1_16scan_by_key_implILNS1_25lookback_scan_determinismE0ELb0ES3_N6thrust23THRUST_200600_302600_NS6detail15normal_iteratorINS9_10device_ptrIiEEEENS9_18transform_iteratorINS9_6negateIiEESE_NS9_11use_defaultESI_EESE_iNS9_4plusIvEENS9_8equal_toIvEEiEE10hipError_tPvRmT2_T3_T4_T5_mT6_T7_P12ihipStream_tbENKUlT_T0_E_clISt17integral_constantIbLb0EES13_IbLb1EEEEDaSZ_S10_EUlSZ_E_NS1_11comp_targetILNS1_3genE0ELNS1_11target_archE4294967295ELNS1_3gpuE0ELNS1_3repE0EEENS1_30default_config_static_selectorELNS0_4arch9wavefront6targetE0EEEvT1_
	.globl	_ZN7rocprim17ROCPRIM_400000_NS6detail17trampoline_kernelINS0_14default_configENS1_27scan_by_key_config_selectorIiiEEZZNS1_16scan_by_key_implILNS1_25lookback_scan_determinismE0ELb0ES3_N6thrust23THRUST_200600_302600_NS6detail15normal_iteratorINS9_10device_ptrIiEEEENS9_18transform_iteratorINS9_6negateIiEESE_NS9_11use_defaultESI_EESE_iNS9_4plusIvEENS9_8equal_toIvEEiEE10hipError_tPvRmT2_T3_T4_T5_mT6_T7_P12ihipStream_tbENKUlT_T0_E_clISt17integral_constantIbLb0EES13_IbLb1EEEEDaSZ_S10_EUlSZ_E_NS1_11comp_targetILNS1_3genE0ELNS1_11target_archE4294967295ELNS1_3gpuE0ELNS1_3repE0EEENS1_30default_config_static_selectorELNS0_4arch9wavefront6targetE0EEEvT1_
	.p2align	8
	.type	_ZN7rocprim17ROCPRIM_400000_NS6detail17trampoline_kernelINS0_14default_configENS1_27scan_by_key_config_selectorIiiEEZZNS1_16scan_by_key_implILNS1_25lookback_scan_determinismE0ELb0ES3_N6thrust23THRUST_200600_302600_NS6detail15normal_iteratorINS9_10device_ptrIiEEEENS9_18transform_iteratorINS9_6negateIiEESE_NS9_11use_defaultESI_EESE_iNS9_4plusIvEENS9_8equal_toIvEEiEE10hipError_tPvRmT2_T3_T4_T5_mT6_T7_P12ihipStream_tbENKUlT_T0_E_clISt17integral_constantIbLb0EES13_IbLb1EEEEDaSZ_S10_EUlSZ_E_NS1_11comp_targetILNS1_3genE0ELNS1_11target_archE4294967295ELNS1_3gpuE0ELNS1_3repE0EEENS1_30default_config_static_selectorELNS0_4arch9wavefront6targetE0EEEvT1_,@function
_ZN7rocprim17ROCPRIM_400000_NS6detail17trampoline_kernelINS0_14default_configENS1_27scan_by_key_config_selectorIiiEEZZNS1_16scan_by_key_implILNS1_25lookback_scan_determinismE0ELb0ES3_N6thrust23THRUST_200600_302600_NS6detail15normal_iteratorINS9_10device_ptrIiEEEENS9_18transform_iteratorINS9_6negateIiEESE_NS9_11use_defaultESI_EESE_iNS9_4plusIvEENS9_8equal_toIvEEiEE10hipError_tPvRmT2_T3_T4_T5_mT6_T7_P12ihipStream_tbENKUlT_T0_E_clISt17integral_constantIbLb0EES13_IbLb1EEEEDaSZ_S10_EUlSZ_E_NS1_11comp_targetILNS1_3genE0ELNS1_11target_archE4294967295ELNS1_3gpuE0ELNS1_3repE0EEENS1_30default_config_static_selectorELNS0_4arch9wavefront6targetE0EEEvT1_: ; @_ZN7rocprim17ROCPRIM_400000_NS6detail17trampoline_kernelINS0_14default_configENS1_27scan_by_key_config_selectorIiiEEZZNS1_16scan_by_key_implILNS1_25lookback_scan_determinismE0ELb0ES3_N6thrust23THRUST_200600_302600_NS6detail15normal_iteratorINS9_10device_ptrIiEEEENS9_18transform_iteratorINS9_6negateIiEESE_NS9_11use_defaultESI_EESE_iNS9_4plusIvEENS9_8equal_toIvEEiEE10hipError_tPvRmT2_T3_T4_T5_mT6_T7_P12ihipStream_tbENKUlT_T0_E_clISt17integral_constantIbLb0EES13_IbLb1EEEEDaSZ_S10_EUlSZ_E_NS1_11comp_targetILNS1_3genE0ELNS1_11target_archE4294967295ELNS1_3gpuE0ELNS1_3repE0EEENS1_30default_config_static_selectorELNS0_4arch9wavefront6targetE0EEEvT1_
; %bb.0:
	s_clause 0x3
	s_load_b128 s[4:7], s[0:1], 0x0
	s_load_b64 s[8:9], s[0:1], 0x10
	s_load_b128 s[24:27], s[0:1], 0x30
	s_load_b64 s[34:35], s[0:1], 0x40
	v_cmp_ne_u32_e64 s3, 0, v0
	v_cmp_eq_u32_e64 s2, 0, v0
	s_and_saveexec_b32 s10, s2
	s_cbranch_execz .LBB956_4
; %bb.1:
	s_mov_b32 s12, exec_lo
	s_mov_b32 s11, exec_lo
	v_mbcnt_lo_u32_b32 v1, s12, 0
                                        ; implicit-def: $vgpr2
	s_delay_alu instid0(VALU_DEP_1)
	v_cmpx_eq_u32_e32 0, v1
	s_cbranch_execz .LBB956_3
; %bb.2:
	s_load_b64 s[14:15], s[0:1], 0x70
	s_bcnt1_i32_b32 s12, s12
	s_delay_alu instid0(SALU_CYCLE_1)
	v_dual_mov_b32 v2, 0 :: v_dual_mov_b32 v3, s12
	s_wait_xcnt 0x0
	s_wait_kmcnt 0x0
	global_atomic_add_u32 v2, v2, v3, s[14:15] th:TH_ATOMIC_RETURN scope:SCOPE_DEV
.LBB956_3:
	s_wait_xcnt 0x0
	s_or_b32 exec_lo, exec_lo, s11
	s_wait_loadcnt 0x0
	v_readfirstlane_b32 s11, v2
	s_delay_alu instid0(VALU_DEP_1)
	v_dual_mov_b32 v2, 0 :: v_dual_add_nc_u32 v1, s11, v1
	ds_store_b32 v2, v1
.LBB956_4:
	s_or_b32 exec_lo, exec_lo, s10
	v_mov_b32_e32 v1, 0
	s_clause 0x2
	s_load_b64 s[28:29], s[0:1], 0x20
	s_load_b32 s36, s[0:1], 0x48
	s_load_b256 s[16:23], s[0:1], 0x50
	s_wait_dscnt 0x0
	s_barrier_signal -1
	s_barrier_wait -1
	ds_load_b32 v2, v1
	s_mov_b32 s37, 0
	s_wait_kmcnt 0x0
	s_lshl_b64 s[30:31], s[6:7], 2
	s_wait_dscnt 0x0
	s_add_nc_u64 s[0:1], s[4:5], s[30:31]
	s_add_nc_u64 s[4:5], s[8:9], s[30:31]
	s_mov_b32 s9, s37
	s_barrier_signal -1
	s_barrier_wait -1
	s_barrier_signal -1
	s_barrier_wait -1
	s_mul_u64 s[6:7], s[34:35], s[36:37]
	s_cmp_lg_u64 s[20:21], 0
	s_cselect_b32 s42, -1, 0
	v_readfirstlane_b32 s36, v2
	s_add_nc_u64 s[38:39], s[6:7], s[36:37]
	s_add_nc_u64 s[6:7], s[16:17], -1
	s_mul_i32 s8, s36, 0xc00
	v_cmp_ge_u64_e64 s27, s[38:39], s[6:7]
	s_lshl_b64 s[16:17], s[8:9], 2
	s_mul_i32 s33, s6, 0xfffff400
	s_add_nc_u64 s[20:21], s[0:1], s[16:17]
	s_add_nc_u64 s[14:15], s[4:5], s[16:17]
	s_and_b32 vcc_lo, exec_lo, s27
	s_cbranch_vccz .LBB956_32
; %bb.5:
	flat_load_b32 v1, v1, s[20:21]
	s_add_co_i32 s43, s33, s26
	s_delay_alu instid0(SALU_CYCLE_1)
	v_cmp_gt_u32_e64 s0, s43, v0
	s_wait_loadcnt_dscnt 0x0
	v_mov_b32_e32 v2, v1
	s_and_saveexec_b32 s1, s0
	s_cbranch_execz .LBB956_7
; %bb.6:
	flat_load_b32 v2, v0, s[20:21] scale_offset
.LBB956_7:
	s_wait_xcnt 0x0
	s_or_b32 exec_lo, exec_lo, s1
	v_or_b32_e32 v3, 0x100, v0
	v_mov_b32_e32 v4, v1
	s_delay_alu instid0(VALU_DEP_2)
	v_cmp_gt_u32_e64 s1, s43, v3
	s_and_saveexec_b32 s4, s1
	s_cbranch_execz .LBB956_9
; %bb.8:
	flat_load_b32 v4, v0, s[20:21] offset:1024 scale_offset
.LBB956_9:
	s_wait_xcnt 0x0
	s_or_b32 exec_lo, exec_lo, s4
	v_or_b32_e32 v3, 0x200, v0
	v_mov_b32_e32 v5, v1
	s_delay_alu instid0(VALU_DEP_2)
	v_cmp_gt_u32_e64 s4, s43, v3
	s_and_saveexec_b32 s5, s4
	s_cbranch_execz .LBB956_11
; %bb.10:
	flat_load_b32 v5, v0, s[20:21] offset:2048 scale_offset
.LBB956_11:
	;; [unrolled: 11-line block ×10, first 2 shown]
	s_wait_xcnt 0x0
	s_or_b32 exec_lo, exec_lo, s13
	v_or_b32_e32 v3, 0xb00, v0
	s_mov_b32 s37, exec_lo
	s_delay_alu instid0(VALU_DEP_1) | instskip(SKIP_2) | instid1(SALU_CYCLE_1)
	v_cmp_gt_u32_e64 s13, s43, v3
	v_cmpx_le_u32_e64 s43, v3
	s_xor_b32 s37, exec_lo, s37
	s_and_not1_saveexec_b32 s37, s37
	s_cbranch_execz .LBB956_29
; %bb.28:
	flat_load_b32 v1, v0, s[20:21] offset:11264 scale_offset
.LBB956_29:
	s_wait_xcnt 0x0
	s_or_b32 exec_lo, exec_lo, s37
	v_lshlrev_b32_e32 v3, 2, v0
	s_cmp_eq_u64 s[38:39], 0
	s_mov_b64 s[40:41], s[20:21]
	s_wait_loadcnt_dscnt 0x0
	ds_store_2addr_stride64_b32 v3, v2, v4 offset1:4
	ds_store_2addr_stride64_b32 v3, v5, v6 offset0:8 offset1:12
	ds_store_2addr_stride64_b32 v3, v7, v8 offset0:16 offset1:20
	;; [unrolled: 1-line block ×5, first 2 shown]
	v_mad_u32_u24 v1, v0, 44, v3
	s_wait_dscnt 0x0
	s_barrier_signal -1
	s_barrier_wait -1
	ds_load_b128 v[14:17], v1
	ds_load_b128 v[10:13], v1 offset:16
	ds_load_b128 v[6:9], v1 offset:32
	s_cbranch_scc1 .LBB956_35
; %bb.30:
	s_and_not1_b32 vcc_lo, exec_lo, s42
	s_cbranch_vccnz .LBB956_33
; %bb.31:
	s_lshl_b64 s[40:41], s[38:39], 2
	s_mov_b32 s37, 0
	s_add_nc_u64 s[40:41], s[22:23], s[40:41]
	s_delay_alu instid0(SALU_CYCLE_1)
	s_add_nc_u64 s[40:41], s[40:41], -4
	s_branch .LBB956_34
.LBB956_32:
                                        ; implicit-def: $sgpr4
                                        ; implicit-def: $vgpr5
                                        ; implicit-def: $vgpr18_vgpr19
                                        ; implicit-def: $vgpr42_vgpr43
                                        ; implicit-def: $vgpr46_vgpr47
                                        ; implicit-def: $vgpr44_vgpr45
                                        ; implicit-def: $vgpr48_vgpr49
                                        ; implicit-def: $vgpr50_vgpr51
                                        ; implicit-def: $vgpr52_vgpr53
                                        ; implicit-def: $vgpr54_vgpr55
                                        ; implicit-def: $vgpr56_vgpr57
                                        ; implicit-def: $vgpr58_vgpr59
                                        ; implicit-def: $vgpr38_vgpr39
                                        ; implicit-def: $vgpr36_vgpr37
                                        ; implicit-def: $vgpr34_vgpr35
                                        ; implicit-def: $vgpr32_vgpr33
                                        ; implicit-def: $vgpr30_vgpr31
                                        ; implicit-def: $vgpr28_vgpr29
                                        ; implicit-def: $vgpr26_vgpr27
                                        ; implicit-def: $vgpr24_vgpr25
                                        ; implicit-def: $vgpr22_vgpr23
                                        ; implicit-def: $vgpr20_vgpr21
	v_lshlrev_b32_e32 v16, 2, v0
	s_cbranch_execnz .LBB956_73
	s_branch .LBB956_92
.LBB956_33:
	s_add_nc_u64 s[40:41], s[20:21], -4
	s_mov_b32 s37, -1
.LBB956_34:
	s_delay_alu instid0(SALU_CYCLE_1)
	s_and_not1_b32 vcc_lo, exec_lo, s37
.LBB956_35:
	v_mov_b32_e32 v2, 0
	v_mad_i32_i24 v4, 0xffffffd4, v0, v1
	flat_load_b32 v2, v2, s[40:41]
	s_wait_dscnt 0x1
	ds_store_b32 v4, v9 offset:12288
	s_wait_loadcnt_dscnt 0x0
	s_barrier_signal -1
	s_barrier_wait -1
	s_and_saveexec_b32 s37, s3
; %bb.36:
	v_mul_i32_i24_e32 v2, 0xffffffd4, v0
	s_delay_alu instid0(VALU_DEP_1)
	v_add_nc_u32_e32 v2, v1, v2
	ds_load_b32 v2, v2 offset:12284
; %bb.37:
	s_or_b32 exec_lo, exec_lo, s37
	s_wait_dscnt 0x0
	s_barrier_signal -1
	s_barrier_wait -1
                                        ; implicit-def: $vgpr5
	s_and_saveexec_b32 s37, s0
	s_cbranch_execnz .LBB956_76
; %bb.38:
	s_or_b32 exec_lo, exec_lo, s37
                                        ; implicit-def: $vgpr18
	s_and_saveexec_b32 s0, s1
	s_cbranch_execnz .LBB956_77
.LBB956_39:
	s_or_b32 exec_lo, exec_lo, s0
                                        ; implicit-def: $vgpr19
	s_and_saveexec_b32 s0, s4
	s_cbranch_execnz .LBB956_78
.LBB956_40:
	s_or_b32 exec_lo, exec_lo, s0
                                        ; implicit-def: $vgpr20
	s_and_saveexec_b32 s0, s5
	s_cbranch_execnz .LBB956_79
.LBB956_41:
	s_or_b32 exec_lo, exec_lo, s0
                                        ; implicit-def: $vgpr21
	s_and_saveexec_b32 s0, s6
	s_cbranch_execnz .LBB956_80
.LBB956_42:
	s_or_b32 exec_lo, exec_lo, s0
                                        ; implicit-def: $vgpr22
	s_and_saveexec_b32 s0, s7
	s_cbranch_execnz .LBB956_81
.LBB956_43:
	s_or_b32 exec_lo, exec_lo, s0
                                        ; implicit-def: $vgpr23
	s_and_saveexec_b32 s0, s8
	s_cbranch_execnz .LBB956_82
.LBB956_44:
	s_or_b32 exec_lo, exec_lo, s0
                                        ; implicit-def: $vgpr24
	s_and_saveexec_b32 s0, s9
	s_cbranch_execnz .LBB956_83
.LBB956_45:
	s_or_b32 exec_lo, exec_lo, s0
                                        ; implicit-def: $vgpr25
	s_and_saveexec_b32 s0, s10
	s_cbranch_execnz .LBB956_84
.LBB956_46:
	s_or_b32 exec_lo, exec_lo, s0
                                        ; implicit-def: $vgpr26
	s_and_saveexec_b32 s0, s11
	s_cbranch_execnz .LBB956_85
.LBB956_47:
	s_or_b32 exec_lo, exec_lo, s0
                                        ; implicit-def: $vgpr27
	s_and_saveexec_b32 s0, s12
	s_cbranch_execnz .LBB956_86
.LBB956_48:
	s_or_b32 exec_lo, exec_lo, s0
                                        ; implicit-def: $vgpr28
	s_and_saveexec_b32 s0, s13
	s_cbranch_execz .LBB956_50
.LBB956_49:
	global_load_b32 v4, v0, s[14:15] offset:11264 scale_offset
	s_wait_loadcnt 0x0
	v_sub_nc_u32_e32 v28, 0, v4
.LBB956_50:
	s_or_b32 exec_lo, exec_lo, s0
	ds_store_2addr_stride64_b32 v3, v5, v18 offset1:4
	ds_store_2addr_stride64_b32 v3, v19, v20 offset0:8 offset1:12
	ds_store_2addr_stride64_b32 v3, v21, v22 offset0:16 offset1:20
	;; [unrolled: 1-line block ×5, first 2 shown]
	v_mov_b64_e32 v[18:19], 0
	v_mov_b64_e32 v[42:43], 0
	;; [unrolled: 1-line block ×20, first 2 shown]
	v_mul_u32_u24_e32 v4, 12, v0
	s_mov_b32 s1, 0
	s_mov_b32 s37, 0
	s_mov_b32 s5, exec_lo
	s_wait_dscnt 0x0
	s_barrier_signal -1
	s_barrier_wait -1
                                        ; implicit-def: $sgpr4
                                        ; implicit-def: $vgpr5
	v_cmpx_gt_u32_e64 s43, v4
	s_cbranch_execz .LBB956_72
; %bb.51:
	ds_load_b32 v18, v1
	v_cmp_ne_u32_e32 vcc_lo, v2, v14
	v_mov_b64_e32 v[42:43], 0
	v_mov_b64_e32 v[46:47], 0
	;; [unrolled: 1-line block ×18, first 2 shown]
	v_or_b32_e32 v3, 1, v4
	v_cndmask_b32_e64 v19, 0, 1, vcc_lo
	s_mov_b32 s0, 0
	s_mov_b32 s6, exec_lo
                                        ; implicit-def: $sgpr4
                                        ; implicit-def: $vgpr5
	s_delay_alu instid0(VALU_DEP_2)
	v_cmpx_gt_u32_e64 s43, v3
	s_cbranch_execz .LBB956_71
; %bb.52:
	ds_load_2addr_b32 v[42:43], v1 offset0:1 offset1:2
	v_cmp_ne_u32_e32 vcc_lo, v14, v15
	v_mov_b64_e32 v[46:47], 0
	v_mov_b64_e32 v[44:45], 0
	;; [unrolled: 1-line block ×16, first 2 shown]
	v_or_b32_e32 v3, 2, v4
	v_cndmask_b32_e64 v2, 0, 1, vcc_lo
	s_mov_b32 s7, exec_lo
                                        ; implicit-def: $sgpr4
                                        ; implicit-def: $vgpr5
	s_delay_alu instid0(VALU_DEP_2)
	v_cmpx_gt_u32_e64 s43, v3
	s_cbranch_execz .LBB956_70
; %bb.53:
	v_cmp_ne_u32_e32 vcc_lo, v15, v16
	v_mov_b64_e32 v[44:45], 0
	v_mov_b64_e32 v[48:49], 0
	v_mov_b64_e32 v[50:51], 0
	v_mov_b64_e32 v[52:53], 0
	v_mov_b64_e32 v[54:55], 0
	v_mov_b64_e32 v[56:57], 0
	v_mov_b64_e32 v[58:59], 0
	v_mov_b64_e32 v[32:33], 0
	v_mov_b64_e32 v[30:31], 0
	v_mov_b64_e32 v[28:29], 0
	v_mov_b64_e32 v[26:27], 0
	v_mov_b64_e32 v[24:25], 0
	v_mov_b64_e32 v[22:23], 0
	v_mov_b64_e32 v[20:21], 0
	v_or_b32_e32 v3, 3, v4
	v_cndmask_b32_e64 v47, 0, 1, vcc_lo
	s_mov_b32 s8, exec_lo
                                        ; implicit-def: $sgpr4
                                        ; implicit-def: $vgpr5
	s_delay_alu instid0(VALU_DEP_2)
	v_cmpx_gt_u32_e64 s43, v3
	s_cbranch_execz .LBB956_69
; %bb.54:
	ds_load_2addr_b32 v[44:45], v1 offset0:3 offset1:4
	v_add_nc_u32_e32 v5, 4, v4
	v_cmp_ne_u32_e32 vcc_lo, v16, v17
	v_mov_b64_e32 v[48:49], 0
	v_mov_b64_e32 v[50:51], 0
	;; [unrolled: 1-line block ×12, first 2 shown]
	v_cndmask_b32_e64 v3, 0, 1, vcc_lo
	v_cmp_gt_u32_e32 vcc_lo, s43, v5
                                        ; implicit-def: $sgpr4
                                        ; implicit-def: $vgpr5
	s_and_saveexec_b32 s9, vcc_lo
	s_cbranch_execz .LBB956_68
; %bb.55:
	v_add_nc_u32_e32 v5, 5, v4
	v_cmp_ne_u32_e32 vcc_lo, v17, v10
	v_mov_b64_e32 v[50:51], 0
	v_mov_b64_e32 v[52:53], 0
	v_mov_b64_e32 v[54:55], 0
	v_mov_b64_e32 v[56:57], 0
	v_mov_b64_e32 v[58:59], 0
	v_mov_b64_e32 v[28:29], 0
	v_mov_b64_e32 v[26:27], 0
	v_mov_b64_e32 v[24:25], 0
	v_mov_b64_e32 v[22:23], 0
	v_mov_b64_e32 v[20:21], 0
	v_cndmask_b32_e64 v49, 0, 1, vcc_lo
	v_cmp_gt_u32_e32 vcc_lo, s43, v5
                                        ; implicit-def: $sgpr4
                                        ; implicit-def: $vgpr5
	s_and_saveexec_b32 s10, vcc_lo
	s_cbranch_execz .LBB956_67
; %bb.56:
	ds_load_2addr_b32 v[50:51], v1 offset0:5 offset1:6
	v_add_nc_u32_e32 v5, 6, v4
	v_cmp_ne_u32_e32 vcc_lo, v10, v11
	v_mov_b64_e32 v[52:53], 0
	v_mov_b64_e32 v[54:55], 0
	;; [unrolled: 1-line block ×8, first 2 shown]
	v_cndmask_b32_e64 v10, 0, 1, vcc_lo
	v_cmp_gt_u32_e32 vcc_lo, s43, v5
                                        ; implicit-def: $sgpr4
                                        ; implicit-def: $vgpr5
	s_and_saveexec_b32 s11, vcc_lo
	s_cbranch_execz .LBB956_66
; %bb.57:
	v_add_nc_u32_e32 v5, 7, v4
	v_cmp_ne_u32_e32 vcc_lo, v11, v12
	v_mov_b64_e32 v[54:55], 0
	v_mov_b64_e32 v[56:57], 0
	v_mov_b64_e32 v[58:59], 0
	v_mov_b64_e32 v[24:25], 0
	v_mov_b64_e32 v[22:23], 0
	v_mov_b64_e32 v[20:21], 0
	v_cndmask_b32_e64 v53, 0, 1, vcc_lo
	v_cmp_gt_u32_e32 vcc_lo, s43, v5
                                        ; implicit-def: $sgpr4
                                        ; implicit-def: $vgpr5
	s_and_saveexec_b32 s12, vcc_lo
	s_cbranch_execz .LBB956_65
; %bb.58:
	ds_load_2addr_b32 v[54:55], v1 offset0:7 offset1:8
	v_add_nc_u32_e32 v5, 8, v4
	v_cmp_ne_u32_e32 vcc_lo, v12, v13
	v_mov_b64_e32 v[56:57], 0
	v_mov_b64_e32 v[58:59], 0
	;; [unrolled: 1-line block ×4, first 2 shown]
	v_cndmask_b32_e64 v11, 0, 1, vcc_lo
	v_cmp_gt_u32_e32 vcc_lo, s43, v5
                                        ; implicit-def: $sgpr4
                                        ; implicit-def: $vgpr5
	s_and_saveexec_b32 s13, vcc_lo
	s_cbranch_execz .LBB956_64
; %bb.59:
	v_add_nc_u32_e32 v5, 9, v4
	v_cmp_ne_u32_e32 vcc_lo, v13, v6
	v_mov_b64_e32 v[58:59], 0
	v_mov_b64_e32 v[20:21], 0
                                        ; implicit-def: $sgpr4
	v_cndmask_b32_e64 v57, 0, 1, vcc_lo
	v_cmp_gt_u32_e32 vcc_lo, s43, v5
                                        ; implicit-def: $vgpr5
	s_and_saveexec_b32 s37, vcc_lo
	s_cbranch_execz .LBB956_63
; %bb.60:
	ds_load_2addr_b32 v[58:59], v1 offset0:9 offset1:10
	v_add_nc_u32_e32 v5, 10, v4
	v_cmp_ne_u32_e32 vcc_lo, v6, v7
	v_mov_b64_e32 v[20:21], 0
                                        ; implicit-def: $sgpr4
	v_cndmask_b32_e64 v6, 0, 1, vcc_lo
	s_delay_alu instid0(VALU_DEP_4) | instskip(SKIP_1) | instid1(SALU_CYCLE_1)
	v_cmp_gt_u32_e32 vcc_lo, s43, v5
                                        ; implicit-def: $vgpr5
	s_and_saveexec_b32 s40, vcc_lo
	s_xor_b32 s40, exec_lo, s40
	s_cbranch_execz .LBB956_62
; %bb.61:
	ds_load_b32 v5, v1 offset:44
	s_wait_dscnt 0x1
	v_dual_mov_b32 v20, v59 :: v_dual_add_nc_u32 v1, 11, v4
	v_cmp_ne_u32_e64 s0, v7, v8
	v_cmp_ne_u32_e64 s4, v8, v9
	s_delay_alu instid0(VALU_DEP_3) | instskip(NEXT) | instid1(VALU_DEP_3)
	v_cmp_gt_u32_e32 vcc_lo, s43, v1
	v_cndmask_b32_e64 v21, 0, 1, s0
	s_and_b32 s0, vcc_lo, exec_lo
.LBB956_62:
	s_or_b32 exec_lo, exec_lo, s40
	s_wait_dscnt 0x0
	v_mov_b32_e32 v59, v6
	s_and_b32 s0, s0, exec_lo
.LBB956_63:
	s_or_b32 exec_lo, exec_lo, s37
	s_delay_alu instid0(VALU_DEP_1)
	v_mov_b64_e32 v[22:23], v[58:59]
	s_wait_dscnt 0x0
	v_mov_b32_e32 v56, v55
	s_and_b32 s0, s0, exec_lo
.LBB956_64:
	s_or_b32 exec_lo, exec_lo, s13
	s_delay_alu instid0(VALU_DEP_1)
	v_mov_b64_e32 v[24:25], v[56:57]
	s_wait_dscnt 0x0
	v_mov_b32_e32 v55, v11
	s_and_b32 s0, s0, exec_lo
.LBB956_65:
	s_or_b32 exec_lo, exec_lo, s12
	s_delay_alu instid0(VALU_DEP_1)
	v_mov_b64_e32 v[26:27], v[54:55]
	s_wait_dscnt 0x0
	v_mov_b32_e32 v52, v51
	s_and_b32 s0, s0, exec_lo
.LBB956_66:
	s_or_b32 exec_lo, exec_lo, s11
	s_delay_alu instid0(VALU_DEP_1)
	v_mov_b64_e32 v[28:29], v[52:53]
	s_wait_dscnt 0x0
	v_mov_b32_e32 v51, v10
	s_and_b32 s0, s0, exec_lo
.LBB956_67:
	s_or_b32 exec_lo, exec_lo, s10
	s_delay_alu instid0(VALU_DEP_1)
	v_mov_b64_e32 v[30:31], v[50:51]
	s_wait_dscnt 0x0
	v_mov_b32_e32 v48, v45
	s_and_b32 s0, s0, exec_lo
.LBB956_68:
	s_or_b32 exec_lo, exec_lo, s9
	s_delay_alu instid0(VALU_DEP_1)
	v_mov_b64_e32 v[32:33], v[48:49]
	s_wait_dscnt 0x0
	v_mov_b32_e32 v45, v3
	s_and_b32 s0, s0, exec_lo
.LBB956_69:
	s_or_b32 exec_lo, exec_lo, s8
	s_delay_alu instid0(VALU_DEP_1)
	v_mov_b64_e32 v[34:35], v[44:45]
	s_wait_dscnt 0x0
	v_mov_b32_e32 v46, v43
	s_and_b32 s0, s0, exec_lo
.LBB956_70:
	s_or_b32 exec_lo, exec_lo, s7
	s_delay_alu instid0(VALU_DEP_1)
	v_mov_b64_e32 v[36:37], v[46:47]
	s_wait_dscnt 0x0
	v_mov_b32_e32 v43, v2
	s_and_b32 s0, s0, exec_lo
.LBB956_71:
	s_or_b32 exec_lo, exec_lo, s6
	s_delay_alu instid0(VALU_DEP_1)
	v_mov_b64_e32 v[38:39], v[42:43]
	s_and_b32 s37, s0, exec_lo
.LBB956_72:
	s_or_b32 exec_lo, exec_lo, s5
	v_lshlrev_b32_e32 v16, 2, v0
	s_and_b32 vcc_lo, exec_lo, s1
	s_cbranch_vccz .LBB956_92
.LBB956_73:
	s_clause 0xb
	flat_load_b32 v2, v0, s[20:21] scale_offset
	flat_load_b32 v3, v0, s[20:21] offset:1024 scale_offset
	flat_load_b32 v4, v0, s[20:21] offset:2048 scale_offset
	;; [unrolled: 1-line block ×11, first 2 shown]
	v_mad_u32_u24 v1, v0, 44, v16
	v_mov_b32_e32 v14, 0
	s_cmp_eq_u64 s[38:39], 0
	s_wait_loadcnt_dscnt 0xa0a
	ds_store_2addr_stride64_b32 v16, v2, v3 offset1:4
	s_wait_loadcnt_dscnt 0x809
	ds_store_2addr_stride64_b32 v16, v4, v5 offset0:8 offset1:12
	s_wait_loadcnt_dscnt 0x608
	ds_store_2addr_stride64_b32 v16, v6, v7 offset0:16 offset1:20
	;; [unrolled: 2-line block ×5, first 2 shown]
	s_wait_dscnt 0x0
	s_barrier_signal -1
	s_barrier_wait -1
	ds_load_b128 v[2:5], v1
	ds_load_b128 v[10:13], v1 offset:16
	ds_load_b128 v[6:9], v1 offset:32
	s_cbranch_scc1 .LBB956_89
; %bb.74:
	s_and_not1_b32 vcc_lo, exec_lo, s42
	s_cbranch_vccnz .LBB956_87
; %bb.75:
	s_lshl_b64 s[0:1], s[38:39], 2
	s_delay_alu instid0(SALU_CYCLE_1) | instskip(NEXT) | instid1(SALU_CYCLE_1)
	s_add_nc_u64 s[0:1], s[22:23], s[0:1]
	s_add_nc_u64 s[20:21], s[0:1], -4
	s_mov_b32 s0, 0
	s_branch .LBB956_88
.LBB956_76:
	global_load_b32 v4, v0, s[14:15] scale_offset
	s_wait_loadcnt 0x0
	v_sub_nc_u32_e32 v5, 0, v4
	s_or_b32 exec_lo, exec_lo, s37
                                        ; implicit-def: $vgpr18
	s_and_saveexec_b32 s0, s1
	s_cbranch_execz .LBB956_39
.LBB956_77:
	global_load_b32 v4, v0, s[14:15] offset:1024 scale_offset
	s_wait_loadcnt 0x0
	v_sub_nc_u32_e32 v18, 0, v4
	s_or_b32 exec_lo, exec_lo, s0
                                        ; implicit-def: $vgpr19
	s_and_saveexec_b32 s0, s4
	s_cbranch_execz .LBB956_40
.LBB956_78:
	global_load_b32 v4, v0, s[14:15] offset:2048 scale_offset
	s_wait_loadcnt 0x0
	v_sub_nc_u32_e32 v19, 0, v4
	s_or_b32 exec_lo, exec_lo, s0
                                        ; implicit-def: $vgpr20
	s_and_saveexec_b32 s0, s5
	s_cbranch_execz .LBB956_41
.LBB956_79:
	global_load_b32 v4, v0, s[14:15] offset:3072 scale_offset
	s_wait_loadcnt 0x0
	v_sub_nc_u32_e32 v20, 0, v4
	s_or_b32 exec_lo, exec_lo, s0
                                        ; implicit-def: $vgpr21
	s_and_saveexec_b32 s0, s6
	s_cbranch_execz .LBB956_42
.LBB956_80:
	global_load_b32 v4, v0, s[14:15] offset:4096 scale_offset
	s_wait_loadcnt 0x0
	v_sub_nc_u32_e32 v21, 0, v4
	s_or_b32 exec_lo, exec_lo, s0
                                        ; implicit-def: $vgpr22
	s_and_saveexec_b32 s0, s7
	s_cbranch_execz .LBB956_43
.LBB956_81:
	global_load_b32 v4, v0, s[14:15] offset:5120 scale_offset
	s_wait_loadcnt 0x0
	v_sub_nc_u32_e32 v22, 0, v4
	s_or_b32 exec_lo, exec_lo, s0
                                        ; implicit-def: $vgpr23
	s_and_saveexec_b32 s0, s8
	s_cbranch_execz .LBB956_44
.LBB956_82:
	global_load_b32 v4, v0, s[14:15] offset:6144 scale_offset
	s_wait_loadcnt 0x0
	v_sub_nc_u32_e32 v23, 0, v4
	s_or_b32 exec_lo, exec_lo, s0
                                        ; implicit-def: $vgpr24
	s_and_saveexec_b32 s0, s9
	s_cbranch_execz .LBB956_45
.LBB956_83:
	global_load_b32 v4, v0, s[14:15] offset:7168 scale_offset
	s_wait_loadcnt 0x0
	v_sub_nc_u32_e32 v24, 0, v4
	s_or_b32 exec_lo, exec_lo, s0
                                        ; implicit-def: $vgpr25
	s_and_saveexec_b32 s0, s10
	s_cbranch_execz .LBB956_46
.LBB956_84:
	global_load_b32 v4, v0, s[14:15] offset:8192 scale_offset
	s_wait_loadcnt 0x0
	v_sub_nc_u32_e32 v25, 0, v4
	s_or_b32 exec_lo, exec_lo, s0
                                        ; implicit-def: $vgpr26
	s_and_saveexec_b32 s0, s11
	s_cbranch_execz .LBB956_47
.LBB956_85:
	global_load_b32 v4, v0, s[14:15] offset:9216 scale_offset
	s_wait_loadcnt 0x0
	v_sub_nc_u32_e32 v26, 0, v4
	s_or_b32 exec_lo, exec_lo, s0
                                        ; implicit-def: $vgpr27
	s_and_saveexec_b32 s0, s12
	s_cbranch_execz .LBB956_48
.LBB956_86:
	global_load_b32 v4, v0, s[14:15] offset:10240 scale_offset
	s_wait_loadcnt 0x0
	v_sub_nc_u32_e32 v27, 0, v4
	s_or_b32 exec_lo, exec_lo, s0
                                        ; implicit-def: $vgpr28
	s_and_saveexec_b32 s0, s13
	s_cbranch_execnz .LBB956_49
	s_branch .LBB956_50
.LBB956_87:
	s_add_nc_u64 s[20:21], s[20:21], -4
	s_mov_b32 s0, -1
.LBB956_88:
	s_delay_alu instid0(SALU_CYCLE_1)
	s_and_not1_b32 vcc_lo, exec_lo, s0
.LBB956_89:
	flat_load_b32 v14, v14, s[20:21]
	v_mad_i32_i24 v15, 0xffffffd4, v0, v1
	s_wait_dscnt 0x1
	ds_store_b32 v15, v9 offset:12288
	s_wait_loadcnt_dscnt 0x0
	s_barrier_signal -1
	s_barrier_wait -1
	s_and_saveexec_b32 s0, s3
; %bb.90:
	v_mul_i32_i24_e32 v14, 0xffffffd4, v0
	s_delay_alu instid0(VALU_DEP_1)
	v_add_nc_u32_e32 v14, v1, v14
	ds_load_b32 v14, v14 offset:12284
; %bb.91:
	s_or_b32 exec_lo, exec_lo, s0
	s_wait_dscnt 0x0
	s_barrier_signal -1
	s_barrier_wait -1
	s_clause 0xb
	global_load_b32 v15, v0, s[14:15] scale_offset
	global_load_b32 v17, v0, s[14:15] offset:1024 scale_offset
	global_load_b32 v18, v0, s[14:15] offset:2048 scale_offset
	;; [unrolled: 1-line block ×11, first 2 shown]
	v_cmp_ne_u32_e32 vcc_lo, v14, v2
	v_cmp_ne_u32_e64 s4, v8, v9
	s_mov_b32 s37, -1
	v_cndmask_b32_e64 v19, 0, 1, vcc_lo
	v_cmp_ne_u32_e32 vcc_lo, v2, v3
	v_cndmask_b32_e64 v43, 0, 1, vcc_lo
	v_cmp_ne_u32_e32 vcc_lo, v3, v4
	;; [unrolled: 2-line block ×10, first 2 shown]
	s_wait_loadcnt 0xa
	v_dual_sub_nc_u32 v2, 0, v15 :: v_dual_sub_nc_u32 v9, 0, v17
	s_wait_loadcnt 0x8
	v_dual_sub_nc_u32 v14, 0, v18 :: v_dual_sub_nc_u32 v15, 0, v20
	;; [unrolled: 2-line block ×6, first 2 shown]
	ds_store_2addr_stride64_b32 v16, v2, v9 offset1:4
	ds_store_2addr_stride64_b32 v16, v14, v15 offset0:8 offset1:12
	ds_store_2addr_stride64_b32 v16, v17, v18 offset0:16 offset1:20
	;; [unrolled: 1-line block ×5, first 2 shown]
	s_wait_dscnt 0x0
	s_barrier_signal -1
	s_barrier_wait -1
	ds_load_b128 v[22:25], v1
	ds_load_b128 v[26:29], v1 offset:16
	ds_load_b128 v[2:5], v1 offset:32
	v_cndmask_b32_e64 v21, 0, 1, vcc_lo
	s_wait_dscnt 0x2
	v_dual_mov_b32 v18, v22 :: v_dual_mov_b32 v42, v23
	v_dual_mov_b32 v46, v24 :: v_dual_mov_b32 v44, v25
	s_wait_dscnt 0x1
	v_dual_mov_b32 v48, v26 :: v_dual_mov_b32 v50, v27
	v_dual_mov_b32 v52, v28 :: v_dual_mov_b32 v54, v29
	s_wait_dscnt 0x0
	v_dual_mov_b32 v56, v2 :: v_dual_mov_b32 v58, v3
	v_mov_b64_e32 v[38:39], v[42:43]
	v_mov_b64_e32 v[36:37], v[46:47]
	;; [unrolled: 1-line block ×9, first 2 shown]
	v_mov_b32_e32 v20, v4
.LBB956_92:
	v_mov_b64_e32 v[40:41], 0
	s_and_saveexec_b32 s0, s37
	s_cbranch_execz .LBB956_94
; %bb.93:
	v_mov_b64_e32 v[22:23], v[58:59]
	v_mov_b64_e32 v[24:25], v[56:57]
	v_mov_b64_e32 v[26:27], v[54:55]
	v_mov_b64_e32 v[28:29], v[52:53]
	v_mov_b64_e32 v[30:31], v[50:51]
	v_mov_b64_e32 v[32:33], v[48:49]
	v_mov_b64_e32 v[34:35], v[44:45]
	v_mov_b64_e32 v[36:37], v[46:47]
	v_mov_b64_e32 v[38:39], v[42:43]
	v_cndmask_b32_e64 v41, 0, 1, s4
	v_mov_b32_e32 v40, v5
.LBB956_94:
	s_or_b32 exec_lo, exec_lo, s0
	v_dual_lshrrev_b32 v1, 2, v0 :: v_dual_bitop2_b32 v42, v27, v25 bitop3:0x54
	v_or_b32_e32 v17, v23, v21
	s_cmp_lg_u32 s36, 0
	s_wait_dscnt 0x0
	v_cmp_gt_u32_e32 vcc_lo, 32, v0
	s_barrier_signal -1
	s_barrier_wait -1
	s_cbranch_scc0 .LBB956_122
; %bb.95:
	s_mov_b64 s[12:13], 0x100000000
	v_or3_b32 v3, v42, v29, v31
	v_cmp_gt_u64_e64 s0, s[12:13], v[38:39]
	v_cmp_gt_u64_e64 s1, s[12:13], v[36:37]
	v_cmp_gt_u64_e64 s4, s[12:13], v[34:35]
	v_cmp_gt_u64_e64 s5, s[12:13], v[32:33]
	v_cmp_gt_u64_e64 s6, s[12:13], v[30:31]
	v_cmp_gt_u64_e64 s7, s[12:13], v[28:29]
	v_cmp_gt_u64_e64 s8, s[12:13], v[26:27]
	v_dual_cndmask_b32 v2, 0, v18, s0 :: v_dual_bitop2_b32 v5, 56, v1 bitop3:0x40
	v_cmp_gt_u64_e64 s9, s[12:13], v[24:25]
	v_cmp_gt_u64_e64 s10, s[12:13], v[22:23]
	;; [unrolled: 1-line block ×4, first 2 shown]
	v_add_nc_u32_e32 v2, v2, v38
	v_or3_b32 v3, v3, v33, v35
	v_lshl_add_u32 v5, v0, 3, v5
	s_delay_alu instid0(VALU_DEP_3) | instskip(NEXT) | instid1(VALU_DEP_3)
	v_cndmask_b32_e64 v2, 0, v2, s1
	v_or3_b32 v3, v3, v37, v39
	s_delay_alu instid0(VALU_DEP_2) | instskip(NEXT) | instid1(VALU_DEP_2)
	v_add_nc_u32_e32 v2, v2, v36
	v_or3_b32 v3, v41, v17, v3
	s_delay_alu instid0(VALU_DEP_2) | instskip(NEXT) | instid1(VALU_DEP_2)
	v_cndmask_b32_e64 v2, 0, v2, s4
	v_and_b32_e32 v3, 0xff, v3
	s_delay_alu instid0(VALU_DEP_2) | instskip(NEXT) | instid1(VALU_DEP_1)
	v_add_nc_u32_e32 v2, v2, v34
	v_cndmask_b32_e64 v2, 0, v2, s5
	s_delay_alu instid0(VALU_DEP_1) | instskip(NEXT) | instid1(VALU_DEP_1)
	v_add_nc_u32_e32 v2, v2, v32
	v_cndmask_b32_e64 v2, 0, v2, s6
	s_delay_alu instid0(VALU_DEP_1) | instskip(NEXT) | instid1(VALU_DEP_1)
	;; [unrolled: 3-line block ×7, first 2 shown]
	v_dual_add_nc_u32 v4, v2, v20 :: v_dual_mov_b32 v2, 0
	v_cndmask_b32_e64 v4, 0, v4, s12
	s_delay_alu instid0(VALU_DEP_2) | instskip(NEXT) | instid1(VALU_DEP_1)
	v_cmp_eq_u64_e64 s13, 0, v[2:3]
	v_dual_add_nc_u32 v12, v4, v40 :: v_dual_cndmask_b32 v13, 1, v19, s13
	ds_store_b32 v5, v12
	ds_store_b8 v5, v13 offset:4
	s_wait_dscnt 0x0
	s_barrier_signal -1
	s_barrier_wait -1
	s_and_saveexec_b32 s14, vcc_lo
	s_cbranch_execz .LBB956_105
; %bb.96:
	v_dual_lshlrev_b32 v2, 1, v0 :: v_dual_lshlrev_b32 v3, 6, v0
	s_mov_b32 s15, exec_lo
	s_delay_alu instid0(VALU_DEP_1) | instskip(NEXT) | instid1(VALU_DEP_1)
	v_and_b32_e32 v2, 0x1f8, v2
	v_add_nc_u32_e32 v4, v2, v3
	ds_load_u8 v5, v4 offset:12
	ds_load_b64 v[2:3], v4
	ds_load_2addr_b32 v[6:7], v4 offset0:2 offset1:4
	ds_load_u8 v10, v4 offset:20
	ds_load_u8 v11, v4 offset:28
	ds_load_u8 v14, v4 offset:36
	ds_load_u8 v15, v4 offset:44
	ds_load_u8 v43, v4 offset:52
	ds_load_b32 v44, v4 offset:56
	s_wait_dscnt 0x8
	v_cmp_eq_u16_e64 s13, 0, v5
	s_wait_dscnt 0x5
	s_delay_alu instid0(VALU_DEP_1)
	v_dual_cndmask_b32 v45, 0, v2, s13 :: v_dual_bitop2_b32 v5, v10, v5 bitop3:0x54
	ds_load_2addr_b32 v[8:9], v4 offset0:6 offset1:8
	v_cmp_eq_u16_e64 s13, 0, v10
	s_wait_dscnt 0x4
	v_bitop3_b16 v5, v5, v14, v11 bitop3:0xfe
	v_add_nc_u32_e32 v6, v45, v6
	s_delay_alu instid0(VALU_DEP_1) | instskip(SKIP_1) | instid1(VALU_DEP_2)
	v_cndmask_b32_e64 v6, 0, v6, s13
	v_cmp_eq_u16_e64 s13, 0, v11
	v_add_nc_u32_e32 v6, v6, v7
	s_delay_alu instid0(VALU_DEP_1)
	v_cndmask_b32_e64 v45, 0, v6, s13
	ds_load_2addr_b32 v[6:7], v4 offset0:10 offset1:12
	v_cmp_eq_u16_e64 s13, 0, v14
	s_wait_dscnt 0x1
	v_add_nc_u32_e32 v8, v45, v8
	ds_load_u8 v45, v4 offset:60
	v_cndmask_b32_e64 v8, 0, v8, s13
	v_cmp_eq_u16_e64 s13, 0, v15
	s_delay_alu instid0(VALU_DEP_2) | instskip(SKIP_1) | instid1(VALU_DEP_2)
	v_add_nc_u32_e32 v8, v8, v9
	v_bitop3_b16 v9, v5, v43, v15 bitop3:0xfe
	v_dual_cndmask_b32 v8, 0, v8, s13 :: v_dual_bitop2_b32 v5, 1, v3 bitop3:0x40
	s_delay_alu instid0(VALU_DEP_2) | instskip(SKIP_1) | instid1(VALU_DEP_2)
	v_cmp_eq_u16_e64 s13, 0, v9
	s_wait_dscnt 0x0
	v_dual_add_nc_u32 v6, v8, v6 :: v_dual_bitop2_b32 v8, 1, v45 bitop3:0x40
	s_delay_alu instid0(VALU_DEP_2) | instskip(SKIP_1) | instid1(VALU_DEP_1)
	v_cndmask_b32_e64 v9, 1, v5, s13
	v_cmp_eq_u16_e64 s13, 0, v43
	v_cndmask_b32_e64 v6, 0, v6, s13
	s_delay_alu instid0(VALU_DEP_4) | instskip(SKIP_1) | instid1(VALU_DEP_2)
	v_cmp_eq_u32_e64 s13, 1, v8
	v_mbcnt_lo_u32_b32 v8, -1, 0
	v_cndmask_b32_e64 v9, v9, 1, s13
	v_cmp_eq_u16_e64 s13, 0, v45
	s_delay_alu instid0(VALU_DEP_2) | instskip(SKIP_2) | instid1(VALU_DEP_1)
	v_and_b32_e32 v10, 0xffff, v9
	v_add_nc_u32_e32 v7, v6, v7
	v_and_b32_e32 v6, 0xffffff00, v3
	v_dual_cndmask_b32 v7, 0, v7, s13 :: v_dual_bitop2_b32 v11, v6, v10 bitop3:0x54
	v_and_b32_e32 v10, 15, v8
	s_delay_alu instid0(VALU_DEP_2) | instskip(NEXT) | instid1(VALU_DEP_3)
	v_mov_b32_dpp v15, v11 row_shr:1 row_mask:0xf bank_mask:0xf
	v_add_nc_u32_e32 v7, v7, v44
	s_delay_alu instid0(VALU_DEP_1) | instskip(NEXT) | instid1(VALU_DEP_4)
	v_mov_b32_dpp v14, v7 row_shr:1 row_mask:0xf bank_mask:0xf
	v_cmpx_ne_u32_e32 0, v10
	s_cbranch_execz .LBB956_98
; %bb.97:
	v_and_b32_e32 v11, 1, v9
	v_and_b32_e32 v15, 1, v15
	s_delay_alu instid0(VALU_DEP_2) | instskip(NEXT) | instid1(VALU_DEP_1)
	v_cmp_eq_u32_e64 s13, 1, v11
	v_cndmask_b32_e64 v15, v15, 1, s13
	v_cmp_eq_u16_e64 s13, 0, v9
	s_delay_alu instid0(VALU_DEP_2) | instskip(NEXT) | instid1(VALU_DEP_1)
	v_and_b32_e32 v11, 0xffff, v15
	v_dual_cndmask_b32 v9, 0, v14, s13 :: v_dual_bitop2_b32 v11, v6, v11 bitop3:0x54
	s_delay_alu instid0(VALU_DEP_1)
	v_dual_add_nc_u32 v7, v9, v7 :: v_dual_mov_b32 v9, v15
.LBB956_98:
	s_or_b32 exec_lo, exec_lo, s15
	s_delay_alu instid0(VALU_DEP_1) | instskip(NEXT) | instid1(VALU_DEP_3)
	v_mov_b32_dpp v14, v7 row_shr:2 row_mask:0xf bank_mask:0xf
	v_mov_b32_dpp v15, v11 row_shr:2 row_mask:0xf bank_mask:0xf
	s_mov_b32 s15, exec_lo
	v_cmpx_lt_u32_e32 1, v10
	s_cbranch_execz .LBB956_100
; %bb.99:
	v_and_b32_e32 v11, 1, v9
	v_and_b32_e32 v15, 1, v15
	s_delay_alu instid0(VALU_DEP_2) | instskip(NEXT) | instid1(VALU_DEP_1)
	v_cmp_eq_u32_e64 s13, 1, v11
	v_cndmask_b32_e64 v15, v15, 1, s13
	v_cmp_eq_u16_e64 s13, 0, v9
	s_delay_alu instid0(VALU_DEP_2) | instskip(NEXT) | instid1(VALU_DEP_1)
	v_and_b32_e32 v11, 0xffff, v15
	v_dual_cndmask_b32 v9, 0, v14, s13 :: v_dual_bitop2_b32 v11, v6, v11 bitop3:0x54
	s_delay_alu instid0(VALU_DEP_1)
	v_dual_add_nc_u32 v7, v9, v7 :: v_dual_mov_b32 v9, v15
.LBB956_100:
	s_or_b32 exec_lo, exec_lo, s15
	s_delay_alu instid0(VALU_DEP_1) | instskip(NEXT) | instid1(VALU_DEP_3)
	v_mov_b32_dpp v14, v7 row_shr:4 row_mask:0xf bank_mask:0xf
	v_mov_b32_dpp v15, v11 row_shr:4 row_mask:0xf bank_mask:0xf
	s_mov_b32 s15, exec_lo
	v_cmpx_lt_u32_e32 3, v10
	;; [unrolled: 20-line block ×3, first 2 shown]
	s_cbranch_execz .LBB956_104
; %bb.103:
	v_and_b32_e32 v10, 1, v9
	v_and_b32_e32 v11, 1, v15
	s_delay_alu instid0(VALU_DEP_2) | instskip(NEXT) | instid1(VALU_DEP_1)
	v_cmp_eq_u32_e64 s13, 1, v10
	v_cndmask_b32_e64 v10, v11, 1, s13
	v_cmp_eq_u16_e64 s13, 0, v9
	s_delay_alu instid0(VALU_DEP_2) | instskip(NEXT) | instid1(VALU_DEP_1)
	v_and_b32_e32 v11, 0xffff, v10
	v_dual_cndmask_b32 v9, 0, v14, s13 :: v_dual_bitop2_b32 v11, v6, v11 bitop3:0x54
	s_delay_alu instid0(VALU_DEP_1)
	v_dual_add_nc_u32 v7, v9, v7 :: v_dual_mov_b32 v9, v10
.LBB956_104:
	s_or_b32 exec_lo, exec_lo, s15
	ds_swizzle_b32 v10, v11 offset:swizzle(BROADCAST,32,15)
	ds_swizzle_b32 v11, v7 offset:swizzle(BROADCAST,32,15)
	v_and_b32_e32 v14, 1, v9
	v_bfe_i32 v43, v8, 4, 1
	v_and_b32_e32 v3, 0xff, v3
	; wave barrier
	s_delay_alu instid0(VALU_DEP_3) | instskip(SKIP_2) | instid1(VALU_DEP_1)
	v_cmp_eq_u32_e64 s13, 1, v14
	s_wait_dscnt 0x1
	v_dual_add_nc_u32 v14, -1, v8 :: v_dual_bitop2_b32 v10, 1, v10 bitop3:0x40
	v_cndmask_b32_e64 v10, v10, 1, s13
	v_and_b32_e32 v15, 16, v8
	v_cmp_eq_u16_e64 s13, 0, v9
	s_wait_dscnt 0x0
	s_delay_alu instid0(VALU_DEP_1) | instskip(NEXT) | instid1(VALU_DEP_3)
	v_cndmask_b32_e64 v11, 0, v11, s13
	v_cmp_eq_u32_e64 s13, 0, v15
	s_delay_alu instid0(VALU_DEP_1) | instskip(SKIP_1) | instid1(VALU_DEP_4)
	v_cndmask_b32_e64 v9, v10, v9, s13
	v_cmp_gt_i32_e64 s13, 0, v14
	v_and_b32_e32 v10, v43, v11
	s_delay_alu instid0(VALU_DEP_3) | instskip(NEXT) | instid1(VALU_DEP_3)
	v_and_b32_e32 v9, 0xffff, v9
	v_cndmask_b32_e64 v8, v14, v8, s13
	s_delay_alu instid0(VALU_DEP_3) | instskip(SKIP_1) | instid1(VALU_DEP_3)
	v_add_nc_u32_e32 v7, v10, v7
	v_cmp_eq_u16_e64 s13, 0, v3
	v_lshlrev_b32_e32 v8, 2, v8
	ds_bpermute_b32 v7, v8, v7
	s_wait_dscnt 0x0
	v_dual_cndmask_b32 v3, 0, v7, s13 :: v_dual_bitop2_b32 v6, v6, v9 bitop3:0x54
	ds_bpermute_b32 v6, v8, v6
	v_cmp_eq_u32_e64 s13, 1, v5
	v_add_nc_u32_e32 v2, v3, v2
	s_wait_dscnt 0x0
	s_delay_alu instid0(VALU_DEP_1) | instskip(NEXT) | instid1(VALU_DEP_1)
	v_dual_cndmask_b32 v5, v2, v12, s2 :: v_dual_bitop2_b32 v6, 1, v6 bitop3:0x40
	v_cndmask_b32_e64 v3, v6, 1, s13
	s_delay_alu instid0(VALU_DEP_1)
	v_cndmask_b32_e64 v8, v3, v13, s2
	ds_store_b32 v4, v5
	ds_store_b8 v4, v8 offset:4
	; wave barrier
	ds_load_u8 v9, v4 offset:12
	ds_load_2addr_b32 v[2:3], v4 offset0:2 offset1:4
	ds_load_u8 v10, v4 offset:20
	ds_load_u8 v11, v4 offset:28
	;; [unrolled: 1-line block ×5, first 2 shown]
	ds_load_b32 v44, v4 offset:56
	ds_load_u8 v45, v4 offset:60
	ds_load_2addr_b32 v[6:7], v4 offset0:6 offset1:8
	s_wait_dscnt 0x9
	v_cmp_eq_u16_e64 s13, 0, v9
	v_and_b32_e32 v9, 1, v9
	s_delay_alu instid0(VALU_DEP_2) | instskip(SKIP_2) | instid1(VALU_DEP_2)
	v_cndmask_b32_e64 v5, 0, v5, s13
	s_wait_dscnt 0x7
	v_cmp_eq_u16_e64 s13, 0, v10
	v_add_nc_u32_e32 v5, v5, v2
	s_delay_alu instid0(VALU_DEP_1) | instskip(SKIP_2) | instid1(VALU_DEP_2)
	v_cndmask_b32_e64 v2, 0, v5, s13
	s_wait_dscnt 0x6
	v_cmp_eq_u16_e64 s13, 0, v11
	v_add_nc_u32_e32 v46, v2, v3
	ds_load_2addr_b32 v[2:3], v4 offset0:10 offset1:12
	v_cndmask_b32_e64 v47, 0, v46, s13
	s_wait_dscnt 0x6
	v_cmp_eq_u16_e64 s13, 0, v14
	ds_store_2addr_b32 v4, v5, v46 offset0:2 offset1:4
	s_wait_dscnt 0x2
	v_add_nc_u32_e32 v6, v47, v6
	s_delay_alu instid0(VALU_DEP_1) | instskip(SKIP_3) | instid1(VALU_DEP_4)
	v_cndmask_b32_e64 v47, 0, v6, s13
	v_and_b32_e32 v10, 1, v10
	v_cmp_eq_u32_e64 s13, 1, v9
	v_and_b32_e32 v9, 1, v11
	v_dual_add_nc_u32 v7, v47, v7 :: v_dual_bitop2_b32 v11, 1, v14 bitop3:0x40
	s_delay_alu instid0(VALU_DEP_3) | instskip(SKIP_1) | instid1(VALU_DEP_1)
	v_cndmask_b32_e64 v8, v8, 1, s13
	v_cmp_eq_u32_e64 s13, 1, v10
	v_cndmask_b32_e64 v10, v8, 1, s13
	v_cmp_eq_u16_e64 s13, 0, v15
	s_delay_alu instid0(VALU_DEP_1) | instskip(SKIP_2) | instid1(VALU_DEP_2)
	v_cndmask_b32_e64 v14, 0, v7, s13
	v_cmp_eq_u32_e64 s13, 1, v9
	s_wait_dscnt 0x1
	v_dual_add_nc_u32 v2, v14, v2 :: v_dual_bitop2_b32 v15, 1, v15 bitop3:0x40
	s_delay_alu instid0(VALU_DEP_2) | instskip(SKIP_1) | instid1(VALU_DEP_1)
	v_cndmask_b32_e64 v9, v10, 1, s13
	v_cmp_eq_u32_e64 s13, 1, v11
	v_cndmask_b32_e64 v11, v9, 1, s13
	v_cmp_eq_u16_e64 s13, 0, v43
	s_delay_alu instid0(VALU_DEP_1) | instskip(SKIP_1) | instid1(VALU_DEP_2)
	v_dual_cndmask_b32 v43, 0, v2, s13 :: v_dual_bitop2_b32 v14, 1, v43 bitop3:0x40
	v_cmp_eq_u32_e64 s13, 1, v15
	v_add_nc_u32_e32 v3, v43, v3
	s_delay_alu instid0(VALU_DEP_2) | instskip(NEXT) | instid1(VALU_DEP_4)
	v_cndmask_b32_e64 v15, v11, 1, s13
	v_cmp_eq_u32_e64 s13, 1, v14
	ds_store_2addr_b32 v4, v6, v7 offset0:6 offset1:8
	ds_store_2addr_b32 v4, v2, v3 offset0:10 offset1:12
	v_cndmask_b32_e64 v14, v15, 1, s13
	v_cmp_eq_u16_e64 s13, 0, v45
	s_delay_alu instid0(VALU_DEP_1) | instskip(NEXT) | instid1(VALU_DEP_1)
	v_dual_cndmask_b32 v5, 0, v3, s13 :: v_dual_bitop2_b32 v47, 1, v45 bitop3:0x40
	v_cmp_eq_u32_e64 s13, 1, v47
	s_delay_alu instid0(VALU_DEP_2) | instskip(NEXT) | instid1(VALU_DEP_2)
	v_add_nc_u32_e32 v2, v5, v44
	v_cndmask_b32_e64 v43, v14, 1, s13
	ds_store_b8 v4, v8 offset:12
	ds_store_b8 v4, v10 offset:20
	;; [unrolled: 1-line block ×6, first 2 shown]
	ds_store_b32 v4, v2 offset:56
	ds_store_b8 v4, v43 offset:60
.LBB956_105:
	s_or_b32 exec_lo, exec_lo, s14
	s_wait_dscnt 0x0
	s_barrier_signal -1
	s_barrier_wait -1
	s_and_saveexec_b32 s13, s3
	s_cbranch_execz .LBB956_107
; %bb.106:
	v_add_nc_u32_e32 v2, -1, v0
	s_delay_alu instid0(VALU_DEP_1) | instskip(NEXT) | instid1(VALU_DEP_1)
	v_lshrrev_b32_e32 v3, 2, v2
	v_and_b32_e32 v3, 0x3ffffff8, v3
	s_delay_alu instid0(VALU_DEP_1)
	v_lshl_add_u32 v2, v2, 3, v3
	ds_load_b32 v12, v2
	ds_load_u8 v13, v2 offset:4
.LBB956_107:
	s_or_b32 exec_lo, exec_lo, s13
	s_and_saveexec_b32 s22, vcc_lo
	s_cbranch_execz .LBB956_167
; %bb.108:
	v_mov_b32_e32 v5, 0
	v_mbcnt_lo_u32_b32 v14, -1, 0
	s_mov_b32 s15, 0
	ds_load_b64 v[2:3], v5 offset:2096
	v_cmp_eq_u32_e64 s13, 0, v14
	s_and_saveexec_b32 s20, s13
	s_cbranch_execz .LBB956_110
; %bb.109:
	s_add_co_i32 s14, s36, 32
	v_mov_b32_e32 v4, 1
	s_lshl_b64 s[14:15], s[14:15], 4
	s_delay_alu instid0(SALU_CYCLE_1) | instskip(NEXT) | instid1(SALU_CYCLE_1)
	s_add_nc_u64 s[14:15], s[24:25], s[14:15]
	v_mov_b64_e32 v[6:7], s[14:15]
	s_wait_dscnt 0x0
	;;#ASMSTART
	global_store_b128 v[6:7], v[2:5] off scope:SCOPE_DEV	
s_wait_storecnt 0x0
	;;#ASMEND
.LBB956_110:
	s_or_b32 exec_lo, exec_lo, s20
	v_xad_u32 v8, v14, -1, s36
	s_mov_b32 s14, exec_lo
	s_delay_alu instid0(VALU_DEP_1) | instskip(NEXT) | instid1(VALU_DEP_1)
	v_add_nc_u32_e32 v4, 32, v8
	v_lshl_add_u64 v[10:11], v[4:5], 4, s[24:25]
	;;#ASMSTART
	global_load_b128 v[4:7], v[10:11] off scope:SCOPE_DEV	
s_wait_loadcnt 0x0
	;;#ASMEND
	v_and_b32_e32 v7, 0xff, v6
	v_and_b32_e32 v5, 0xff, v5
	s_delay_alu instid0(VALU_DEP_2)
	v_cmpx_eq_u16_e32 0, v7
	s_cbranch_execz .LBB956_114
; %bb.111:
	s_mov_b32 s15, 0
.LBB956_112:                            ; =>This Inner Loop Header: Depth=1
	;;#ASMSTART
	global_load_b128 v[4:7], v[10:11] off scope:SCOPE_DEV	
s_wait_loadcnt 0x0
	;;#ASMEND
	v_and_b32_e32 v7, 0xff, v6
	s_delay_alu instid0(VALU_DEP_1) | instskip(SKIP_1) | instid1(SALU_CYCLE_1)
	v_cmp_ne_u16_e32 vcc_lo, 0, v7
	s_or_b32 s15, vcc_lo, s15
	s_and_not1_b32 exec_lo, exec_lo, s15
	s_cbranch_execnz .LBB956_112
; %bb.113:
	s_or_b32 exec_lo, exec_lo, s15
	v_and_b32_e32 v5, 0xff, v5
.LBB956_114:
	s_or_b32 exec_lo, exec_lo, s14
	v_cmp_ne_u32_e32 vcc_lo, 31, v14
	v_and_b32_e32 v9, 0xff, v6
	v_lshlrev_b32_e64 v43, v14, -1
	s_mov_b64 s[20:21], 0x100000000
	v_lshl_or_b32 v52, v14, 2, 64
	v_add_co_ci_u32_e64 v7, null, 0, v14, vcc_lo
	v_cmp_eq_u16_e32 vcc_lo, 2, v9
	v_cmp_gt_u64_e64 s14, s[20:21], v[4:5]
	s_delay_alu instid0(VALU_DEP_3) | instskip(SKIP_1) | instid1(VALU_DEP_2)
	v_dual_lshlrev_b32 v15, 2, v7 :: v_dual_bitop2_b32 v10, 1, v5 bitop3:0x40
	v_and_or_b32 v9, vcc_lo, v43, 0x80000000
	v_cmp_eq_u32_e32 vcc_lo, 1, v10
	ds_bpermute_b32 v7, v15, v5
	ds_bpermute_b32 v10, v15, v4
	v_ctz_i32_b32_e32 v9, v9
	s_wait_dscnt 0x1
	v_and_b32_e32 v7, 1, v7
	s_delay_alu instid0(VALU_DEP_1) | instskip(SKIP_1) | instid1(VALU_DEP_2)
	v_cndmask_b32_e64 v7, v7, 1, vcc_lo
	v_cmp_gt_u32_e32 vcc_lo, 30, v14
	v_and_b32_e32 v45, 0xffff, v7
	v_cndmask_b32_e64 v11, 0, 2, vcc_lo
	v_cmp_lt_u32_e32 vcc_lo, v14, v9
	s_delay_alu instid0(VALU_DEP_2) | instskip(NEXT) | instid1(VALU_DEP_4)
	v_add_lshl_u32 v44, v11, v14, 2
	v_dual_cndmask_b32 v11, v5, v45, vcc_lo :: v_dual_cndmask_b32 v7, v5, v7, vcc_lo
	s_and_b32 vcc_lo, vcc_lo, s14
	v_add_nc_u32_e32 v45, 2, v14
	s_wait_dscnt 0x0
	v_cndmask_b32_e32 v10, 0, v10, vcc_lo
	ds_bpermute_b32 v5, v44, v11
	v_and_b32_e32 v46, 1, v7
	v_and_b32_e32 v48, 0xff, v7
	v_add_nc_u32_e32 v4, v10, v4
	s_delay_alu instid0(VALU_DEP_3) | instskip(NEXT) | instid1(VALU_DEP_3)
	v_cmp_eq_u32_e32 vcc_lo, 1, v46
	v_cmp_eq_u16_e64 s14, 0, v48
	ds_bpermute_b32 v10, v44, v4
	s_wait_dscnt 0x1
	v_and_b32_e32 v5, 1, v5
	s_delay_alu instid0(VALU_DEP_1) | instskip(SKIP_3) | instid1(VALU_DEP_3)
	v_cndmask_b32_e64 v5, v5, 1, vcc_lo
	v_cmp_gt_u32_e32 vcc_lo, 28, v14
	s_wait_dscnt 0x0
	v_cndmask_b32_e64 v10, 0, v10, s14
	v_and_b32_e32 v47, 0xffff, v5
	v_cndmask_b32_e64 v46, 0, 4, vcc_lo
	v_cmp_gt_u32_e32 vcc_lo, v45, v9
	s_delay_alu instid0(VALU_DEP_2) | instskip(SKIP_3) | instid1(VALU_DEP_2)
	v_add_lshl_u32 v46, v46, v14, 2
	v_cndmask_b32_e32 v5, v5, v7, vcc_lo
	v_cndmask_b32_e64 v10, v10, 0, vcc_lo
	v_dual_cndmask_b32 v7, v47, v11, vcc_lo :: v_dual_add_nc_u32 v47, 4, v14
	v_dual_add_nc_u32 v4, v10, v4 :: v_dual_bitop2_b32 v48, 1, v5 bitop3:0x40
	ds_bpermute_b32 v11, v46, v7
	v_cmp_eq_u32_e32 vcc_lo, 1, v48
	ds_bpermute_b32 v10, v46, v4
	v_and_b32_e32 v48, 0xff, v5
	s_delay_alu instid0(VALU_DEP_1) | instskip(SKIP_1) | instid1(VALU_DEP_1)
	v_cmp_eq_u16_e64 s14, 0, v48
	s_wait_dscnt 0x0
	v_dual_cndmask_b32 v10, 0, v10, s14 :: v_dual_bitop2_b32 v11, 1, v11 bitop3:0x40
	s_delay_alu instid0(VALU_DEP_1) | instskip(SKIP_1) | instid1(VALU_DEP_2)
	v_cndmask_b32_e64 v11, v11, 1, vcc_lo
	v_cmp_gt_u32_e32 vcc_lo, 24, v14
	v_and_b32_e32 v50, 0xffff, v11
	v_cndmask_b32_e64 v49, 0, 8, vcc_lo
	v_cmp_gt_u32_e32 vcc_lo, v47, v9
	s_delay_alu instid0(VALU_DEP_2) | instskip(NEXT) | instid1(VALU_DEP_4)
	v_add_lshl_u32 v48, v49, v14, 2
	v_dual_cndmask_b32 v5, v11, v5, vcc_lo :: v_dual_cndmask_b32 v7, v50, v7, vcc_lo
	v_cndmask_b32_e64 v10, v10, 0, vcc_lo
	s_delay_alu instid0(VALU_DEP_2)
	v_dual_add_nc_u32 v49, 8, v14 :: v_dual_bitop2_b32 v50, 1, v5 bitop3:0x40
	ds_bpermute_b32 v11, v48, v7
	v_add_nc_u32_e32 v4, v10, v4
	v_and_b32_e32 v51, 0xff, v5
	v_cmp_eq_u32_e32 vcc_lo, 1, v50
	ds_bpermute_b32 v10, v48, v4
	s_wait_dscnt 0x1
	v_and_b32_e32 v11, 1, v11
	s_delay_alu instid0(VALU_DEP_1) | instskip(SKIP_1) | instid1(VALU_DEP_2)
	v_cndmask_b32_e64 v11, v11, 1, vcc_lo
	v_cmp_eq_u16_e32 vcc_lo, 0, v51
	v_and_b32_e32 v50, 0xffff, v11
	s_wait_dscnt 0x0
	v_cndmask_b32_e32 v10, 0, v10, vcc_lo
	v_cmp_gt_u32_e32 vcc_lo, v49, v9
	s_delay_alu instid0(VALU_DEP_3) | instskip(NEXT) | instid1(VALU_DEP_3)
	v_dual_cndmask_b32 v5, v11, v5, vcc_lo :: v_dual_cndmask_b32 v7, v50, v7, vcc_lo
	v_cndmask_b32_e64 v10, v10, 0, vcc_lo
	s_delay_alu instid0(VALU_DEP_2) | instskip(SKIP_3) | instid1(VALU_DEP_1)
	v_and_b32_e32 v50, 1, v5
	ds_bpermute_b32 v7, v52, v7
	v_add_nc_u32_e32 v4, v10, v4
	v_and_b32_e32 v11, 0xff, v5
	v_cmp_eq_u16_e32 vcc_lo, 0, v11
	s_wait_dscnt 0x0
	v_and_b32_e32 v7, 1, v7
	ds_bpermute_b32 v10, v52, v4
	s_wait_dscnt 0x0
	v_cndmask_b32_e32 v10, 0, v10, vcc_lo
	v_cmp_eq_u32_e32 vcc_lo, 1, v50
	v_cndmask_b32_e64 v7, v7, 1, vcc_lo
	v_add_nc_u32_e32 v53, 16, v14
	s_delay_alu instid0(VALU_DEP_1) | instskip(NEXT) | instid1(VALU_DEP_3)
	v_cmp_gt_u32_e32 vcc_lo, v53, v9
	v_dual_mov_b32 v9, 0 :: v_dual_cndmask_b32 v5, v7, v5, vcc_lo
	v_cndmask_b32_e64 v7, v10, 0, vcc_lo
	s_delay_alu instid0(VALU_DEP_1)
	v_add_nc_u32_e32 v4, v7, v4
	s_branch .LBB956_118
.LBB956_115:                            ;   in Loop: Header=BB956_118 Depth=1
	s_or_b32 exec_lo, exec_lo, s15
	v_and_b32_e32 v5, 0xff, v5
.LBB956_116:                            ;   in Loop: Header=BB956_118 Depth=1
	s_or_b32 exec_lo, exec_lo, s14
	ds_bpermute_b32 v7, v15, v5
	v_and_b32_e32 v10, 0xff, v6
	v_cmp_gt_u64_e64 s14, s[20:21], v[4:5]
	v_subrev_nc_u32_e32 v8, 32, v8
	s_delay_alu instid0(VALU_DEP_3) | instskip(SKIP_2) | instid1(VALU_DEP_2)
	v_cmp_eq_u16_e32 vcc_lo, 2, v10
	v_and_b32_e32 v10, 1, v5
	v_and_or_b32 v11, vcc_lo, v43, 0x80000000
	v_cmp_eq_u32_e32 vcc_lo, 1, v10
	s_delay_alu instid0(VALU_DEP_2) | instskip(SKIP_3) | instid1(VALU_DEP_1)
	v_ctz_i32_b32_e32 v10, v11
	ds_bpermute_b32 v11, v15, v4
	s_wait_dscnt 0x1
	v_and_b32_e32 v7, 1, v7
	v_cndmask_b32_e64 v7, v7, 1, vcc_lo
	v_cmp_lt_u32_e32 vcc_lo, v14, v10
	s_delay_alu instid0(VALU_DEP_2) | instskip(NEXT) | instid1(VALU_DEP_1)
	v_and_b32_e32 v54, 0xffff, v7
	v_dual_cndmask_b32 v7, v5, v7 :: v_dual_cndmask_b32 v54, v5, v54
	s_and_b32 vcc_lo, vcc_lo, s14
	s_delay_alu instid0(VALU_DEP_1)
	v_and_b32_e32 v56, 0xff, v7
	v_and_b32_e32 v55, 1, v7
	ds_bpermute_b32 v5, v44, v54
	s_wait_dscnt 0x1
	v_cndmask_b32_e32 v11, 0, v11, vcc_lo
	v_cmp_eq_u16_e64 s14, 0, v56
	v_cmp_eq_u32_e32 vcc_lo, 1, v55
	s_wait_dscnt 0x0
	s_delay_alu instid0(VALU_DEP_3) | instskip(NEXT) | instid1(VALU_DEP_1)
	v_dual_add_nc_u32 v4, v11, v4 :: v_dual_bitop2_b32 v5, 1, v5 bitop3:0x40
	v_cndmask_b32_e64 v5, v5, 1, vcc_lo
	ds_bpermute_b32 v11, v44, v4
	v_cmp_gt_u32_e32 vcc_lo, v45, v10
	v_and_b32_e32 v55, 0xffff, v5
	s_delay_alu instid0(VALU_DEP_1) | instskip(NEXT) | instid1(VALU_DEP_1)
	v_dual_cndmask_b32 v5, v5, v7, vcc_lo :: v_dual_cndmask_b32 v7, v55, v54, vcc_lo
	v_and_b32_e32 v55, 1, v5
	ds_bpermute_b32 v54, v46, v7
	s_wait_dscnt 0x1
	v_cndmask_b32_e64 v11, 0, v11, s14
	s_delay_alu instid0(VALU_DEP_1) | instskip(SKIP_2) | instid1(VALU_DEP_3)
	v_cndmask_b32_e64 v11, v11, 0, vcc_lo
	v_cmp_eq_u32_e32 vcc_lo, 1, v55
	v_and_b32_e32 v55, 0xff, v5
	v_add_nc_u32_e32 v4, v11, v4
	s_delay_alu instid0(VALU_DEP_2)
	v_cmp_eq_u16_e64 s14, 0, v55
	s_wait_dscnt 0x0
	v_and_b32_e32 v54, 1, v54
	ds_bpermute_b32 v11, v46, v4
	v_cndmask_b32_e64 v54, v54, 1, vcc_lo
	v_cmp_gt_u32_e32 vcc_lo, v47, v10
	s_delay_alu instid0(VALU_DEP_2) | instskip(SKIP_3) | instid1(VALU_DEP_1)
	v_and_b32_e32 v56, 0xffff, v54
	s_wait_dscnt 0x0
	v_dual_cndmask_b32 v5, v54, v5, vcc_lo :: v_dual_cndmask_b32 v11, 0, v11, s14
	s_mov_b32 s14, 0
	v_cndmask_b32_e64 v11, v11, 0, vcc_lo
	v_cndmask_b32_e32 v7, v56, v7, vcc_lo
	s_delay_alu instid0(VALU_DEP_3) | instskip(NEXT) | instid1(VALU_DEP_3)
	v_and_b32_e32 v56, 0xff, v5
	v_add_nc_u32_e32 v4, v11, v4
	ds_bpermute_b32 v54, v48, v7
	ds_bpermute_b32 v11, v48, v4
	v_and_b32_e32 v55, 1, v5
	s_delay_alu instid0(VALU_DEP_1) | instskip(SKIP_2) | instid1(VALU_DEP_1)
	v_cmp_eq_u32_e32 vcc_lo, 1, v55
	s_wait_dscnt 0x1
	v_and_b32_e32 v54, 1, v54
	v_cndmask_b32_e64 v54, v54, 1, vcc_lo
	v_cmp_eq_u16_e32 vcc_lo, 0, v56
	s_delay_alu instid0(VALU_DEP_2) | instskip(SKIP_3) | instid1(VALU_DEP_2)
	v_and_b32_e32 v55, 0xffff, v54
	s_wait_dscnt 0x0
	v_cndmask_b32_e32 v11, 0, v11, vcc_lo
	v_cmp_gt_u32_e32 vcc_lo, v49, v10
	v_cndmask_b32_e64 v11, v11, 0, vcc_lo
	v_dual_cndmask_b32 v7, v55, v7, vcc_lo :: v_dual_cndmask_b32 v5, v54, v5, vcc_lo
	s_delay_alu instid0(VALU_DEP_2) | instskip(SKIP_4) | instid1(VALU_DEP_1)
	v_add_nc_u32_e32 v4, v11, v4
	ds_bpermute_b32 v7, v52, v7
	v_and_b32_e32 v55, 0xff, v5
	ds_bpermute_b32 v11, v52, v4
	v_and_b32_e32 v54, 1, v5
	v_cmp_eq_u32_e32 vcc_lo, 1, v54
	s_wait_dscnt 0x1
	v_cndmask_b32_e64 v7, v7, 1, vcc_lo
	v_cmp_eq_u16_e32 vcc_lo, 0, v55
	s_wait_dscnt 0x0
	v_cndmask_b32_e32 v11, 0, v11, vcc_lo
	v_cmp_gt_u32_e32 vcc_lo, v53, v10
	v_and_b32_e32 v10, 0xff, v50
	v_cndmask_b32_e32 v5, v7, v5, vcc_lo
	s_delay_alu instid0(VALU_DEP_4) | instskip(NEXT) | instid1(VALU_DEP_3)
	v_cndmask_b32_e64 v7, v11, 0, vcc_lo
	v_cmp_eq_u16_e32 vcc_lo, 0, v10
	s_delay_alu instid0(VALU_DEP_2) | instskip(NEXT) | instid1(VALU_DEP_1)
	v_dual_add_nc_u32 v4, v7, v4 :: v_dual_bitop2_b32 v7, 1, v50 bitop3:0x40
	v_dual_cndmask_b32 v4, 0, v4, vcc_lo :: v_dual_bitop2_b32 v5, 1, v5 bitop3:0x40
	s_delay_alu instid0(VALU_DEP_2) | instskip(NEXT) | instid1(VALU_DEP_2)
	v_cmp_eq_u32_e32 vcc_lo, 1, v7
	v_add_nc_u32_e32 v4, v4, v51
	s_delay_alu instid0(VALU_DEP_3)
	v_cndmask_b32_e64 v5, v5, 1, vcc_lo
.LBB956_117:                            ;   in Loop: Header=BB956_118 Depth=1
	s_and_b32 vcc_lo, exec_lo, s14
	s_cbranch_vccnz .LBB956_163
.LBB956_118:                            ; =>This Loop Header: Depth=1
                                        ;     Child Loop BB956_121 Depth 2
	v_and_b32_e32 v6, 0xff, v6
	s_delay_alu instid0(VALU_DEP_2) | instskip(SKIP_1) | instid1(VALU_DEP_2)
	v_dual_mov_b32 v50, v5 :: v_dual_mov_b32 v51, v4
	s_mov_b32 s14, -1
                                        ; implicit-def: $vgpr5
                                        ; implicit-def: $vgpr4
	v_cmp_ne_u16_e32 vcc_lo, 2, v6
                                        ; implicit-def: $vgpr6
	s_cmp_lg_u32 vcc_lo, exec_lo
	s_cbranch_scc1 .LBB956_117
; %bb.119:                              ;   in Loop: Header=BB956_118 Depth=1
	v_lshl_add_u64 v[10:11], v[8:9], 4, s[24:25]
	;;#ASMSTART
	global_load_b128 v[4:7], v[10:11] off scope:SCOPE_DEV	
s_wait_loadcnt 0x0
	;;#ASMEND
	v_and_b32_e32 v7, 0xff, v6
	v_and_b32_e32 v5, 0xff, v5
	s_mov_b32 s14, exec_lo
	s_delay_alu instid0(VALU_DEP_2)
	v_cmpx_eq_u16_e32 0, v7
	s_cbranch_execz .LBB956_116
; %bb.120:                              ;   in Loop: Header=BB956_118 Depth=1
	s_mov_b32 s15, 0
.LBB956_121:                            ;   Parent Loop BB956_118 Depth=1
                                        ; =>  This Inner Loop Header: Depth=2
	;;#ASMSTART
	global_load_b128 v[4:7], v[10:11] off scope:SCOPE_DEV	
s_wait_loadcnt 0x0
	;;#ASMEND
	v_and_b32_e32 v7, 0xff, v6
	s_delay_alu instid0(VALU_DEP_1) | instskip(SKIP_1) | instid1(SALU_CYCLE_1)
	v_cmp_ne_u16_e32 vcc_lo, 0, v7
	s_or_b32 s15, vcc_lo, s15
	s_and_not1_b32 exec_lo, exec_lo, s15
	s_cbranch_execnz .LBB956_121
	s_branch .LBB956_115
.LBB956_122:
                                        ; implicit-def: $vgpr13
                                        ; implicit-def: $vgpr5
                                        ; implicit-def: $vgpr9
                                        ; implicit-def: $vgpr14_vgpr15
	s_cbranch_execnz .LBB956_168
.LBB956_123:
	s_add_nc_u64 s[0:1], s[28:29], s[30:31]
	s_and_b32 vcc_lo, exec_lo, s27
	s_add_nc_u64 s[0:1], s[0:1], s[16:17]
	s_cbranch_vccz .LBB956_185
.LBB956_124:
	v_mul_u32_u24_e32 v1, 12, v0
	s_add_co_i32 s33, s33, s26
	s_mov_b32 s2, exec_lo
	s_delay_alu instid0(VALU_DEP_1)
	v_cmpx_gt_u32_e64 s33, v1
	s_cbranch_execz .LBB956_140
; %bb.125:
	v_or_b32_e32 v17, 1, v1
	s_mov_b32 s3, exec_lo
	s_delay_alu instid0(VALU_DEP_1)
	v_cmpx_gt_u32_e64 s33, v17
	s_cbranch_execz .LBB956_139
; %bb.126:
	v_or_b32_e32 v17, 2, v1
	;; [unrolled: 6-line block ×3, first 2 shown]
	s_mov_b32 s5, exec_lo
	s_delay_alu instid0(VALU_DEP_1)
	v_cmpx_gt_u32_e64 s33, v17
	s_cbranch_execz .LBB956_137
; %bb.128:
	v_add_nc_u32_e32 v17, 4, v1
	s_mov_b32 s6, exec_lo
	s_delay_alu instid0(VALU_DEP_1)
	v_cmpx_gt_u32_e64 s33, v17
	s_cbranch_execz .LBB956_136
; %bb.129:
	v_add_nc_u32_e32 v17, 5, v1
	;; [unrolled: 6-line block ×4, first 2 shown]
	s_mov_b32 s9, exec_lo
	s_delay_alu instid0(VALU_DEP_1)
	v_cmpx_gt_u32_e64 s33, v17
; %bb.132:
	v_add_nc_u32_e32 v17, 8, v1
	s_mov_b32 s10, exec_lo
	s_delay_alu instid0(VALU_DEP_1)
	v_cmpx_gt_u32_e64 s33, v17
	s_or_b32 exec_lo, exec_lo, s10
; %bb.133:
	s_delay_alu instid0(SALU_CYCLE_1)
	s_or_b32 exec_lo, exec_lo, s9
.LBB956_134:
	s_delay_alu instid0(SALU_CYCLE_1)
	s_or_b32 exec_lo, exec_lo, s8
.LBB956_135:
	s_delay_alu instid0(SALU_CYCLE_1)
	s_or_b32 exec_lo, exec_lo, s7
.LBB956_136:
	s_delay_alu instid0(SALU_CYCLE_1)
	s_or_b32 exec_lo, exec_lo, s6
.LBB956_137:
	s_delay_alu instid0(SALU_CYCLE_1)
	s_or_b32 exec_lo, exec_lo, s5
.LBB956_138:
	s_delay_alu instid0(SALU_CYCLE_1)
	s_or_b32 exec_lo, exec_lo, s4
.LBB956_139:
	s_delay_alu instid0(SALU_CYCLE_1)
	s_or_b32 exec_lo, exec_lo, s3
.LBB956_140:
	s_delay_alu instid0(SALU_CYCLE_1)
	s_or_b32 exec_lo, exec_lo, s2
	v_dual_lshlrev_b32 v1, 2, v1 :: v_dual_mov_b32 v17, 0
	s_barrier_signal -1
	s_barrier_wait -1
	ds_store_b128 v1, v[6:9]
	ds_store_b128 v1, v[2:5] offset:16
	ds_store_b128 v1, v[10:13] offset:32
	v_mad_i32_i24 v6, 0xffffffd4, v0, v1
	s_wait_dscnt 0x0
	s_barrier_signal -1
	s_barrier_wait -1
	ds_load_2addr_stride64_b32 v[26:27], v6 offset0:4 offset1:8
	ds_load_2addr_stride64_b32 v[24:25], v6 offset0:12 offset1:16
	ds_load_2addr_stride64_b32 v[22:23], v6 offset0:20 offset1:24
	ds_load_2addr_stride64_b32 v[20:21], v6 offset0:28 offset1:32
	ds_load_2addr_stride64_b32 v[18:19], v6 offset0:36 offset1:40
	ds_load_b32 v7, v6 offset:11264
	v_add_nc_u64_e32 v[16:17], s[0:1], v[16:17]
	s_mov_b32 s2, exec_lo
	v_cmpx_gt_u32_e64 s33, v0
	s_cbranch_execz .LBB956_142
; %bb.141:
	v_mul_i32_i24_e32 v6, 0xffffffd4, v0
	s_delay_alu instid0(VALU_DEP_1)
	v_add_nc_u32_e32 v1, v1, v6
	ds_load_b32 v1, v1
	s_wait_dscnt 0x0
	flat_store_b32 v[16:17], v1
.LBB956_142:
	s_wait_xcnt 0x0
	s_or_b32 exec_lo, exec_lo, s2
	v_or_b32_e32 v1, 0x100, v0
	s_mov_b32 s2, exec_lo
	s_delay_alu instid0(VALU_DEP_1)
	v_cmpx_gt_u32_e64 s33, v1
	s_cbranch_execz .LBB956_144
; %bb.143:
	s_wait_dscnt 0x5
	flat_store_b32 v[16:17], v26 offset:1024
.LBB956_144:
	s_wait_xcnt 0x0
	s_or_b32 exec_lo, exec_lo, s2
	v_or_b32_e32 v1, 0x200, v0
	s_mov_b32 s2, exec_lo
	s_delay_alu instid0(VALU_DEP_1)
	v_cmpx_gt_u32_e64 s33, v1
	s_cbranch_execz .LBB956_146
; %bb.145:
	s_wait_dscnt 0x5
	flat_store_b32 v[16:17], v27 offset:2048
.LBB956_146:
	;; [unrolled: 11-line block ×10, first 2 shown]
	s_wait_xcnt 0x0
	s_or_b32 exec_lo, exec_lo, s2
	v_or_b32_e32 v1, 0xb00, v0
	s_delay_alu instid0(VALU_DEP_1)
	v_cmp_gt_u32_e64 s2, s33, v1
	s_branch .LBB956_187
.LBB956_163:
	s_and_saveexec_b32 s14, s13
	s_cbranch_execz .LBB956_165
; %bb.164:
	v_and_b32_e32 v4, 0xff, v3
	s_mov_b32 s21, 0
	s_add_co_i32 s20, s36, 32
	v_and_b32_e32 v5, 1, v50
	s_lshl_b64 s[20:21], s[20:21], 4
	v_cmp_eq_u32_e32 vcc_lo, 0, v4
	s_add_nc_u64 s[20:21], s[24:25], s[20:21]
	s_delay_alu instid0(SALU_CYCLE_1) | instskip(SKIP_1) | instid1(VALU_DEP_1)
	v_mov_b64_e32 v[6:7], s[20:21]
	v_cndmask_b32_e32 v4, 0, v51, vcc_lo
	v_dual_add_nc_u32 v2, v4, v2 :: v_dual_bitop2_b32 v3, 1, v3 bitop3:0x40
	s_delay_alu instid0(VALU_DEP_1)
	v_cmp_eq_u32_e32 vcc_lo, 1, v3
	v_mov_b32_e32 v4, 2
	v_cndmask_b32_e64 v3, v5, 1, vcc_lo
	v_mov_b32_e32 v5, 0
	;;#ASMSTART
	global_store_b128 v[6:7], v[2:5] off scope:SCOPE_DEV	
s_wait_storecnt 0x0
	;;#ASMEND
.LBB956_165:
	s_or_b32 exec_lo, exec_lo, s14
	s_delay_alu instid0(SALU_CYCLE_1)
	s_and_b32 exec_lo, exec_lo, s2
	s_cbranch_execz .LBB956_167
; %bb.166:
	v_mov_b32_e32 v2, 0
	ds_store_b32 v2, v51
	ds_store_b8 v2, v50 offset:4
.LBB956_167:
	s_or_b32 exec_lo, exec_lo, s22
	v_dual_mov_b32 v2, 0 :: v_dual_bitop2_b32 v3, 1, v19 bitop3:0x40
	s_wait_dscnt 0x0
	s_barrier_signal -1
	s_barrier_wait -1
	s_delay_alu instid0(VALU_DEP_1) | instskip(SKIP_4) | instid1(VALU_DEP_2)
	v_cmp_eq_u32_e32 vcc_lo, 1, v3
	ds_load_b32 v2, v2
	s_mov_b64 s[14:15], 0x100000000
	v_cndmask_b32_e64 v3, v13, 1, vcc_lo
	v_cmp_gt_u64_e32 vcc_lo, s[14:15], v[18:19]
	v_dual_cndmask_b32 v3, v3, v19, s2 :: v_dual_cndmask_b32 v4, 0, v12, vcc_lo
	s_delay_alu instid0(VALU_DEP_1) | instskip(NEXT) | instid1(VALU_DEP_2)
	v_and_b32_e32 v3, 0xff, v3
	v_cndmask_b32_e64 v4, v4, 0, s2
	s_delay_alu instid0(VALU_DEP_2) | instskip(SKIP_2) | instid1(VALU_DEP_1)
	v_cmp_eq_u16_e32 vcc_lo, 0, v3
	s_wait_dscnt 0x0
	v_cndmask_b32_e32 v2, 0, v2, vcc_lo
	v_add3_u32 v6, v4, v18, v2
	s_delay_alu instid0(VALU_DEP_1) | instskip(NEXT) | instid1(VALU_DEP_1)
	v_cndmask_b32_e64 v2, 0, v6, s0
	v_add_nc_u32_e32 v7, v2, v38
	s_delay_alu instid0(VALU_DEP_1) | instskip(NEXT) | instid1(VALU_DEP_1)
	v_cndmask_b32_e64 v2, 0, v7, s1
	v_add_nc_u32_e32 v8, v2, v36
	v_mov_b64_e32 v[14:15], v[6:7]
	s_delay_alu instid0(VALU_DEP_2) | instskip(NEXT) | instid1(VALU_DEP_1)
	v_cndmask_b32_e64 v2, 0, v8, s4
	v_add_nc_u32_e32 v9, v2, v34
	s_delay_alu instid0(VALU_DEP_1) | instskip(NEXT) | instid1(VALU_DEP_1)
	v_cndmask_b32_e64 v2, 0, v9, s5
	v_add_nc_u32_e32 v2, v2, v32
	s_delay_alu instid0(VALU_DEP_1) | instskip(NEXT) | instid1(VALU_DEP_1)
	;; [unrolled: 3-line block ×8, first 2 shown]
	v_cndmask_b32_e64 v13, 0, v12, s12
	v_add_nc_u32_e32 v13, v13, v40
	s_branch .LBB956_123
.LBB956_168:
	s_cmp_lg_u64 s[34:35], 0
	s_cselect_b32 s0, -1, 0
	s_cmp_lg_u64 s[18:19], 0
	s_cselect_b32 s1, -1, 0
	s_delay_alu instid0(SALU_CYCLE_1) | instskip(NEXT) | instid1(SALU_CYCLE_1)
	s_and_b32 s0, s0, s1
	s_and_b32 s1, s2, s0
	s_delay_alu instid0(SALU_CYCLE_1)
	s_and_saveexec_b32 s0, s1
	s_cbranch_execz .LBB956_170
; %bb.169:
	s_mov_b64 s[4:5], 0x100000000
	s_delay_alu instid0(SALU_CYCLE_1)
	v_cmp_gt_u64_e32 vcc_lo, s[4:5], v[18:19]
	v_mov_b32_e32 v2, 0
	s_clause 0x1
	global_load_b32 v3, v2, s[18:19]
	global_load_u8 v4, v2, s[18:19] offset:4
	s_wait_loadcnt 0x1
	v_cndmask_b32_e32 v5, 0, v3, vcc_lo
	v_and_b32_e32 v3, 1, v19
	s_wait_loadcnt 0x0
	s_delay_alu instid0(VALU_DEP_2) | instskip(NEXT) | instid1(VALU_DEP_2)
	v_dual_add_nc_u32 v18, v5, v18 :: v_dual_bitop2_b32 v4, 1, v4 bitop3:0x40
	v_cmp_eq_u64_e32 vcc_lo, 0, v[2:3]
	s_delay_alu instid0(VALU_DEP_2)
	v_cndmask_b32_e32 v19, 1, v4, vcc_lo
.LBB956_170:
	s_or_b32 exec_lo, exec_lo, s0
	s_mov_b64 s[12:13], 0x100000000
	v_or3_b32 v12, v42, v29, v31
	v_cmp_gt_u64_e32 vcc_lo, s[12:13], v[38:39]
	v_cmp_gt_u64_e64 s6, s[12:13], v[28:29]
	v_cmp_gt_u64_e64 s0, s[12:13], v[36:37]
	;; [unrolled: 1-line block ×6, first 2 shown]
	v_cndmask_b32_e32 v2, 0, v18, vcc_lo
	v_cmp_gt_u64_e64 s8, s[12:13], v[24:25]
	v_cmp_gt_u64_e64 s10, s[12:13], v[20:21]
	;; [unrolled: 1-line block ×3, first 2 shown]
	v_dual_mov_b32 v14, 0 :: v_dual_bitop2_b32 v1, 56, v1 bitop3:0x40
	v_add_nc_u32_e32 v7, v2, v38
	v_cmp_gt_u64_e64 s11, s[12:13], v[40:41]
	s_mov_b32 s13, exec_lo
	v_lshl_add_u32 v1, v0, 3, v1
	v_cndmask_b32_e64 v2, 0, v7, s0
	s_delay_alu instid0(VALU_DEP_1) | instskip(NEXT) | instid1(VALU_DEP_1)
	v_add_nc_u32_e32 v8, v2, v36
	v_cndmask_b32_e64 v2, 0, v8, s1
	s_delay_alu instid0(VALU_DEP_1) | instskip(NEXT) | instid1(VALU_DEP_1)
	v_add_nc_u32_e32 v9, v2, v34
	;; [unrolled: 3-line block ×7, first 2 shown]
	v_cndmask_b32_e64 v6, 0, v10, s9
	s_delay_alu instid0(VALU_DEP_1) | instskip(SKIP_1) | instid1(VALU_DEP_2)
	v_add_nc_u32_e32 v11, v6, v22
	v_or3_b32 v6, v12, v33, v35
	v_cndmask_b32_e64 v12, 0, v11, s10
	s_delay_alu instid0(VALU_DEP_2) | instskip(NEXT) | instid1(VALU_DEP_2)
	v_or3_b32 v6, v6, v37, v39
	v_add_nc_u32_e32 v12, v12, v20
	s_delay_alu instid0(VALU_DEP_2) | instskip(NEXT) | instid1(VALU_DEP_1)
	v_or3_b32 v6, v41, v17, v6
	v_and_b32_e32 v15, 0xff, v6
	s_delay_alu instid0(VALU_DEP_1) | instskip(NEXT) | instid1(VALU_DEP_1)
	v_cmp_eq_u64_e64 s12, 0, v[14:15]
	v_dual_cndmask_b32 v13, 0, v12, s11 :: v_dual_cndmask_b32 v6, 1, v19, s12
	s_delay_alu instid0(VALU_DEP_1)
	v_add_nc_u32_e32 v13, v13, v40
	ds_store_b32 v1, v13
	ds_store_b8 v1, v6 offset:4
	s_wait_dscnt 0x0
	s_barrier_signal -1
	s_barrier_wait -1
	v_cmpx_gt_u32_e32 32, v0
	s_cbranch_execz .LBB956_180
; %bb.171:
	v_dual_lshlrev_b32 v1, 1, v0 :: v_dual_lshlrev_b32 v14, 6, v0
	s_mov_b32 s14, exec_lo
	s_delay_alu instid0(VALU_DEP_1) | instskip(NEXT) | instid1(VALU_DEP_1)
	v_and_b32_e32 v1, 0x1f8, v1
	v_add_nc_u32_e32 v1, v1, v14
	ds_load_u8 v17, v1 offset:12
	ds_load_b64 v[14:15], v1
	ds_load_2addr_b32 v[42:43], v1 offset0:2 offset1:4
	ds_load_u8 v21, v1 offset:20
	ds_load_u8 v23, v1 offset:28
	;; [unrolled: 1-line block ×5, first 2 shown]
	ds_load_b32 v33, v1 offset:56
	s_wait_dscnt 0x8
	v_cmp_eq_u16_e64 s12, 0, v17
	s_wait_dscnt 0x5
	s_delay_alu instid0(VALU_DEP_1)
	v_dual_cndmask_b32 v31, 0, v14, s12 :: v_dual_bitop2_b32 v17, v21, v17 bitop3:0x54
	ds_load_2addr_b32 v[44:45], v1 offset0:6 offset1:8
	v_cmp_eq_u16_e64 s12, 0, v21
	ds_load_u8 v35, v1 offset:60
	s_wait_dscnt 0x5
	v_bitop3_b16 v17, v17, v25, v23 bitop3:0xfe
	v_add_nc_u32_e32 v31, v31, v42
	s_delay_alu instid0(VALU_DEP_1)
	v_cndmask_b32_e64 v31, 0, v31, s12
	v_cmp_eq_u16_e64 s12, 0, v23
	s_wait_dscnt 0x3
	v_bitop3_b16 v23, v17, v29, v27 bitop3:0xfe
	v_and_b32_e32 v17, 1, v15
	v_add_nc_u32_e32 v31, v31, v43
	ds_load_2addr_b32 v[42:43], v1 offset0:10 offset1:12
	v_cndmask_b32_e64 v31, 0, v31, s12
	v_cmp_eq_u16_e64 s12, 0, v25
	s_wait_dscnt 0x1
	s_delay_alu instid0(VALU_DEP_2) | instskip(NEXT) | instid1(VALU_DEP_1)
	v_dual_add_nc_u32 v31, v31, v44 :: v_dual_bitop2_b32 v25, 1, v35 bitop3:0x40
	v_cndmask_b32_e64 v31, 0, v31, s12
	v_cmp_eq_u16_e64 s12, 0, v27
	s_delay_alu instid0(VALU_DEP_2) | instskip(NEXT) | instid1(VALU_DEP_1)
	v_add_nc_u32_e32 v21, v31, v45
	v_cndmask_b32_e64 v21, 0, v21, s12
	v_cmp_eq_u16_e64 s12, 0, v23
	s_wait_dscnt 0x0
	s_delay_alu instid0(VALU_DEP_1) | instskip(SKIP_1) | instid1(VALU_DEP_1)
	v_dual_add_nc_u32 v21, v21, v42 :: v_dual_cndmask_b32 v23, 1, v17, s12
	v_cmp_eq_u16_e64 s12, 0, v29
	v_cndmask_b32_e64 v21, 0, v21, s12
	v_cmp_eq_u32_e64 s12, 1, v25
	v_mbcnt_lo_u32_b32 v25, -1, 0
	s_delay_alu instid0(VALU_DEP_2) | instskip(SKIP_1) | instid1(VALU_DEP_2)
	v_cndmask_b32_e64 v27, v23, 1, s12
	v_cmp_eq_u16_e64 s12, 0, v35
	v_and_b32_e32 v29, 0xffff, v27
	v_add_nc_u32_e32 v23, v21, v43
	v_and_b32_e32 v21, 0xffffff00, v15
	s_delay_alu instid0(VALU_DEP_1) | instskip(SKIP_1) | instid1(VALU_DEP_2)
	v_dual_cndmask_b32 v23, 0, v23, s12 :: v_dual_bitop2_b32 v31, v21, v29 bitop3:0x54
	v_and_b32_e32 v29, 15, v25
	v_mov_b32_dpp v35, v31 row_shr:1 row_mask:0xf bank_mask:0xf
	s_delay_alu instid0(VALU_DEP_3) | instskip(NEXT) | instid1(VALU_DEP_1)
	v_add_nc_u32_e32 v23, v23, v33
	v_mov_b32_dpp v33, v23 row_shr:1 row_mask:0xf bank_mask:0xf
	s_delay_alu instid0(VALU_DEP_4)
	v_cmpx_ne_u32_e32 0, v29
	s_cbranch_execz .LBB956_173
; %bb.172:
	v_and_b32_e32 v31, 1, v27
	v_and_b32_e32 v35, 1, v35
	s_delay_alu instid0(VALU_DEP_2) | instskip(NEXT) | instid1(VALU_DEP_1)
	v_cmp_eq_u32_e64 s12, 1, v31
	v_cndmask_b32_e64 v35, v35, 1, s12
	v_cmp_eq_u16_e64 s12, 0, v27
	s_delay_alu instid0(VALU_DEP_2) | instskip(NEXT) | instid1(VALU_DEP_1)
	v_and_b32_e32 v31, 0xffff, v35
	v_dual_cndmask_b32 v27, 0, v33, s12 :: v_dual_bitop2_b32 v31, v21, v31 bitop3:0x54
	s_delay_alu instid0(VALU_DEP_1)
	v_add_nc_u32_e32 v23, v27, v23
	v_mov_b32_e32 v27, v35
.LBB956_173:
	s_or_b32 exec_lo, exec_lo, s14
	s_delay_alu instid0(VALU_DEP_2)
	v_mov_b32_dpp v33, v23 row_shr:2 row_mask:0xf bank_mask:0xf
	v_mov_b32_dpp v35, v31 row_shr:2 row_mask:0xf bank_mask:0xf
	s_mov_b32 s14, exec_lo
	v_cmpx_lt_u32_e32 1, v29
	s_cbranch_execz .LBB956_175
; %bb.174:
	v_and_b32_e32 v31, 1, v27
	v_and_b32_e32 v35, 1, v35
	s_delay_alu instid0(VALU_DEP_2) | instskip(NEXT) | instid1(VALU_DEP_1)
	v_cmp_eq_u32_e64 s12, 1, v31
	v_cndmask_b32_e64 v35, v35, 1, s12
	v_cmp_eq_u16_e64 s12, 0, v27
	s_delay_alu instid0(VALU_DEP_2) | instskip(NEXT) | instid1(VALU_DEP_1)
	v_and_b32_e32 v31, 0xffff, v35
	v_dual_cndmask_b32 v27, 0, v33, s12 :: v_dual_bitop2_b32 v31, v21, v31 bitop3:0x54
	s_delay_alu instid0(VALU_DEP_1)
	v_add_nc_u32_e32 v23, v27, v23
	v_mov_b32_e32 v27, v35
.LBB956_175:
	s_or_b32 exec_lo, exec_lo, s14
	s_delay_alu instid0(VALU_DEP_2)
	v_mov_b32_dpp v33, v23 row_shr:4 row_mask:0xf bank_mask:0xf
	v_mov_b32_dpp v35, v31 row_shr:4 row_mask:0xf bank_mask:0xf
	s_mov_b32 s14, exec_lo
	v_cmpx_lt_u32_e32 3, v29
	s_cbranch_execz .LBB956_177
; %bb.176:
	v_and_b32_e32 v31, 1, v27
	v_and_b32_e32 v35, 1, v35
	s_delay_alu instid0(VALU_DEP_2) | instskip(NEXT) | instid1(VALU_DEP_1)
	v_cmp_eq_u32_e64 s12, 1, v31
	v_cndmask_b32_e64 v35, v35, 1, s12
	v_cmp_eq_u16_e64 s12, 0, v27
	s_delay_alu instid0(VALU_DEP_2) | instskip(NEXT) | instid1(VALU_DEP_1)
	v_and_b32_e32 v31, 0xffff, v35
	v_dual_cndmask_b32 v27, 0, v33, s12 :: v_dual_bitop2_b32 v31, v21, v31 bitop3:0x54
	s_delay_alu instid0(VALU_DEP_1)
	v_add_nc_u32_e32 v23, v27, v23
	v_mov_b32_e32 v27, v35
.LBB956_177:
	s_or_b32 exec_lo, exec_lo, s14
	s_delay_alu instid0(VALU_DEP_2)
	v_mov_b32_dpp v33, v23 row_shr:8 row_mask:0xf bank_mask:0xf
	v_mov_b32_dpp v35, v31 row_shr:8 row_mask:0xf bank_mask:0xf
	s_mov_b32 s14, exec_lo
	v_cmpx_lt_u32_e32 7, v29
	s_cbranch_execz .LBB956_179
; %bb.178:
	v_and_b32_e32 v29, 1, v27
	v_and_b32_e32 v31, 1, v35
	s_delay_alu instid0(VALU_DEP_2) | instskip(NEXT) | instid1(VALU_DEP_1)
	v_cmp_eq_u32_e64 s12, 1, v29
	v_cndmask_b32_e64 v29, v31, 1, s12
	v_cmp_eq_u16_e64 s12, 0, v27
	s_delay_alu instid0(VALU_DEP_2) | instskip(NEXT) | instid1(VALU_DEP_1)
	v_and_b32_e32 v31, 0xffff, v29
	v_dual_cndmask_b32 v27, 0, v33, s12 :: v_dual_bitop2_b32 v31, v21, v31 bitop3:0x54
	s_delay_alu instid0(VALU_DEP_1)
	v_dual_add_nc_u32 v23, v27, v23 :: v_dual_mov_b32 v27, v29
.LBB956_179:
	s_or_b32 exec_lo, exec_lo, s14
	ds_swizzle_b32 v29, v31 offset:swizzle(BROADCAST,32,15)
	ds_swizzle_b32 v31, v23 offset:swizzle(BROADCAST,32,15)
	v_and_b32_e32 v33, 1, v27
	v_and_b32_e32 v35, 16, v25
	v_bfe_i32 v37, v25, 4, 1
	v_and_b32_e32 v15, 0xff, v15
	s_delay_alu instid0(VALU_DEP_4) | instskip(SKIP_3) | instid1(VALU_DEP_1)
	v_cmp_eq_u32_e64 s12, 1, v33
	v_add_nc_u32_e32 v33, -1, v25
	; wave barrier
	s_wait_dscnt 0x1
	v_and_b32_e32 v29, 1, v29
	v_cndmask_b32_e64 v29, v29, 1, s12
	v_cmp_eq_u16_e64 s12, 0, v27
	s_wait_dscnt 0x0
	s_delay_alu instid0(VALU_DEP_1) | instskip(SKIP_1) | instid1(VALU_DEP_1)
	v_cndmask_b32_e64 v31, 0, v31, s12
	v_cmp_eq_u32_e64 s12, 0, v35
	v_cndmask_b32_e64 v27, v29, v27, s12
	v_cmp_gt_i32_e64 s12, 0, v33
	s_delay_alu instid0(VALU_DEP_2) | instskip(NEXT) | instid1(VALU_DEP_2)
	v_and_b32_e32 v27, 0xffff, v27
	v_cndmask_b32_e64 v25, v33, v25, s12
	v_and_b32_e32 v29, v37, v31
	v_cmp_eq_u16_e64 s12, 0, v15
	s_delay_alu instid0(VALU_DEP_3)
	v_dual_lshlrev_b32 v25, 2, v25 :: v_dual_bitop2_b32 v21, v21, v27 bitop3:0x54
	ds_bpermute_b32 v21, v25, v21
	s_wait_dscnt 0x0
	v_dual_add_nc_u32 v23, v29, v23 :: v_dual_bitop2_b32 v21, 1, v21 bitop3:0x40
	ds_bpermute_b32 v23, v25, v23
	s_wait_dscnt 0x0
	v_cndmask_b32_e64 v15, 0, v23, s12
	v_cmp_eq_u32_e64 s12, 1, v17
	s_delay_alu instid0(VALU_DEP_2) | instskip(NEXT) | instid1(VALU_DEP_2)
	v_add_nc_u32_e32 v14, v15, v14
	v_cndmask_b32_e64 v15, v21, 1, s12
	s_delay_alu instid0(VALU_DEP_1)
	v_dual_cndmask_b32 v17, v14, v13, s2 :: v_dual_cndmask_b32 v6, v15, v6, s2
	ds_store_b32 v1, v17
	ds_store_b8 v1, v6 offset:4
	; wave barrier
	ds_load_u8 v21, v1 offset:12
	ds_load_2addr_b32 v[14:15], v1 offset0:2 offset1:4
	ds_load_u8 v23, v1 offset:20
	ds_load_u8 v25, v1 offset:28
	;; [unrolled: 1-line block ×5, first 2 shown]
	ds_load_b32 v33, v1 offset:56
	ds_load_u8 v35, v1 offset:60
	ds_load_2addr_b32 v[42:43], v1 offset0:6 offset1:8
	s_wait_dscnt 0x9
	v_cmp_eq_u16_e64 s12, 0, v21
	s_delay_alu instid0(VALU_DEP_1) | instskip(SKIP_2) | instid1(VALU_DEP_2)
	v_cndmask_b32_e64 v17, 0, v17, s12
	s_wait_dscnt 0x7
	v_cmp_eq_u16_e64 s12, 0, v23
	v_add_nc_u32_e32 v17, v17, v14
	s_delay_alu instid0(VALU_DEP_1) | instskip(SKIP_2) | instid1(VALU_DEP_2)
	v_cndmask_b32_e64 v14, 0, v17, s12
	s_wait_dscnt 0x6
	v_cmp_eq_u16_e64 s12, 0, v25
	v_add_nc_u32_e32 v37, v14, v15
	ds_load_2addr_b32 v[14:15], v1 offset0:10 offset1:12
	v_cndmask_b32_e64 v39, 0, v37, s12
	s_wait_dscnt 0x6
	v_cmp_eq_u16_e64 s12, 0, v27
	ds_store_2addr_b32 v1, v17, v37 offset0:2 offset1:4
	s_wait_dscnt 0x2
	v_dual_add_nc_u32 v39, v39, v42 :: v_dual_bitop2_b32 v21, 1, v21 bitop3:0x40
	v_and_b32_e32 v42, 1, v35
	s_delay_alu instid0(VALU_DEP_2) | instskip(NEXT) | instid1(VALU_DEP_3)
	v_cndmask_b32_e64 v41, 0, v39, s12
	v_cmp_eq_u32_e64 s12, 1, v21
	s_delay_alu instid0(VALU_DEP_2) | instskip(SKIP_1) | instid1(VALU_DEP_3)
	v_dual_add_nc_u32 v25, v41, v43 :: v_dual_bitop2_b32 v21, 1, v25 bitop3:0x40
	v_and_b32_e32 v23, 1, v23
	v_cndmask_b32_e64 v6, v6, 1, s12
	s_delay_alu instid0(VALU_DEP_2) | instskip(NEXT) | instid1(VALU_DEP_1)
	v_cmp_eq_u32_e64 s12, 1, v23
	v_cndmask_b32_e64 v23, v6, 1, s12
	v_cmp_eq_u16_e64 s12, 0, v29
	s_delay_alu instid0(VALU_DEP_1) | instskip(SKIP_2) | instid1(VALU_DEP_2)
	v_dual_cndmask_b32 v41, 0, v25, s12 :: v_dual_bitop2_b32 v27, 1, v27 bitop3:0x40
	v_cmp_eq_u32_e64 s12, 1, v21
	s_wait_dscnt 0x1
	v_dual_add_nc_u32 v14, v41, v14 :: v_dual_bitop2_b32 v41, 1, v31 bitop3:0x40
	s_delay_alu instid0(VALU_DEP_2) | instskip(SKIP_1) | instid1(VALU_DEP_1)
	v_cndmask_b32_e64 v21, v23, 1, s12
	v_cmp_eq_u32_e64 s12, 1, v27
	v_cndmask_b32_e64 v27, v21, 1, s12
	v_cmp_eq_u16_e64 s12, 0, v31
	s_delay_alu instid0(VALU_DEP_1) | instskip(NEXT) | instid1(VALU_DEP_1)
	v_dual_cndmask_b32 v31, 0, v14, s12 :: v_dual_bitop2_b32 v29, 1, v29 bitop3:0x40
	v_cmp_eq_u32_e64 s12, 1, v29
	s_delay_alu instid0(VALU_DEP_2) | instskip(NEXT) | instid1(VALU_DEP_2)
	v_add_nc_u32_e32 v15, v31, v15
	v_cndmask_b32_e64 v29, v27, 1, s12
	v_cmp_eq_u32_e64 s12, 1, v41
	ds_store_2addr_b32 v1, v39, v25 offset0:6 offset1:8
	ds_store_2addr_b32 v1, v14, v15 offset0:10 offset1:12
	v_cndmask_b32_e64 v31, v29, 1, s12
	v_cmp_eq_u16_e64 s12, 0, v35
	s_delay_alu instid0(VALU_DEP_1) | instskip(SKIP_1) | instid1(VALU_DEP_2)
	v_cndmask_b32_e64 v17, 0, v15, s12
	v_cmp_eq_u32_e64 s12, 1, v42
	v_add_nc_u32_e32 v14, v17, v33
	s_delay_alu instid0(VALU_DEP_2)
	v_cndmask_b32_e64 v35, v31, 1, s12
	ds_store_b8 v1, v6 offset:12
	ds_store_b8 v1, v23 offset:20
	;; [unrolled: 1-line block ×6, first 2 shown]
	ds_store_b32 v1, v14 offset:56
	ds_store_b8 v1, v35 offset:60
.LBB956_180:
	s_or_b32 exec_lo, exec_lo, s13
	v_mov_b32_e32 v6, v18
	s_wait_dscnt 0x0
	s_barrier_signal -1
	s_barrier_wait -1
	s_delay_alu instid0(VALU_DEP_1)
	v_mov_b64_e32 v[14:15], v[6:7]
	s_and_saveexec_b32 s12, s3
	s_cbranch_execz .LBB956_182
; %bb.181:
	v_add_nc_u32_e32 v1, -1, v0
	v_and_b32_e32 v3, 0xff, v19
	s_delay_alu instid0(VALU_DEP_2) | instskip(NEXT) | instid1(VALU_DEP_1)
	v_lshrrev_b32_e32 v2, 2, v1
	v_and_b32_e32 v2, 0x3ffffff8, v2
	s_delay_alu instid0(VALU_DEP_1)
	v_lshl_add_u32 v1, v1, 3, v2
	v_mov_b32_e32 v2, 0
	ds_load_b32 v1, v1
	v_cmp_eq_u64_e64 s3, 0, v[2:3]
	;;#ASMSTART
	;;#ASMEND
	s_wait_dscnt 0x0
	s_delay_alu instid0(VALU_DEP_1) | instskip(NEXT) | instid1(VALU_DEP_1)
	v_cndmask_b32_e64 v1, 0, v1, s3
	v_add_nc_u32_e32 v14, v1, v18
	s_delay_alu instid0(VALU_DEP_1) | instskip(NEXT) | instid1(VALU_DEP_1)
	v_cndmask_b32_e32 v1, 0, v14, vcc_lo
	v_add_nc_u32_e32 v15, v1, v38
	s_delay_alu instid0(VALU_DEP_1) | instskip(NEXT) | instid1(VALU_DEP_1)
	v_dual_cndmask_b32 v1, 0, v15, s0 :: v_dual_mov_b32 v18, v14
	v_dual_mov_b32 v7, v15 :: v_dual_add_nc_u32 v8, v1, v36
	s_delay_alu instid0(VALU_DEP_1) | instskip(NEXT) | instid1(VALU_DEP_1)
	v_cndmask_b32_e64 v1, 0, v8, s1
	v_add_nc_u32_e32 v9, v1, v34
	s_delay_alu instid0(VALU_DEP_1) | instskip(NEXT) | instid1(VALU_DEP_1)
	v_cndmask_b32_e64 v1, 0, v9, s4
	v_add_nc_u32_e32 v2, v1, v32
	;; [unrolled: 3-line block ×9, first 2 shown]
.LBB956_182:
	s_or_b32 exec_lo, exec_lo, s12
	s_and_saveexec_b32 s0, s2
	s_cbranch_execz .LBB956_184
; %bb.183:
	v_dual_mov_b32 v23, 0 :: v_dual_mov_b32 v22, 2
	s_add_nc_u64 s[2:3], s[24:25], 0x200
	ds_load_b32 v20, v23 offset:2096
	ds_load_u8 v21, v23 offset:2100
	v_mov_b64_e32 v[24:25], s[2:3]
	s_wait_dscnt 0x0
	;;#ASMSTART
	global_store_b128 v[24:25], v[20:23] off scope:SCOPE_DEV	
s_wait_storecnt 0x0
	;;#ASMEND
.LBB956_184:
	s_or_b32 exec_lo, exec_lo, s0
	v_mov_b32_e32 v6, v18
	s_add_nc_u64 s[0:1], s[28:29], s[30:31]
	s_and_b32 vcc_lo, exec_lo, s27
	s_add_nc_u64 s[0:1], s[0:1], s[16:17]
	s_cbranch_vccnz .LBB956_124
.LBB956_185:
	s_mov_b32 s2, 0
                                        ; implicit-def: $vgpr7
	s_cbranch_execz .LBB956_187
; %bb.186:
	v_mul_u32_u24_e32 v1, 48, v0
	v_dual_mov_b32 v16, v8 :: v_dual_mov_b32 v17, v9
	v_mul_i32_i24_e32 v6, 0xffffffd4, v0
	s_wait_storecnt_dscnt 0x0
	s_barrier_signal -1
	s_barrier_wait -1
	ds_store_b128 v1, v[14:17]
	ds_store_b128 v1, v[2:5] offset:16
	ds_store_b128 v1, v[10:13] offset:32
	v_mad_u32_u24 v1, v0, 48, v6
	s_wait_dscnt 0x0
	s_barrier_signal -1
	s_barrier_wait -1
	ds_load_2addr_stride64_b32 v[2:3], v1 offset1:4
	ds_load_2addr_stride64_b32 v[4:5], v1 offset0:8 offset1:12
	ds_load_2addr_stride64_b32 v[8:9], v1 offset0:16 offset1:20
	;; [unrolled: 1-line block ×5, first 2 shown]
	s_or_b32 s2, s2, exec_lo
	s_wait_dscnt 0x5
	s_clause 0x1
	flat_store_b32 v0, v2, s[0:1] scale_offset
	flat_store_b32 v0, v3, s[0:1] offset:1024 scale_offset
	s_wait_dscnt 0x6
	s_clause 0x1
	flat_store_b32 v0, v4, s[0:1] offset:2048 scale_offset
	flat_store_b32 v0, v5, s[0:1] offset:3072 scale_offset
	s_wait_dscnt 0x7
	s_clause 0x1
	flat_store_b32 v0, v8, s[0:1] offset:4096 scale_offset
	;; [unrolled: 4-line block ×4, first 2 shown]
	flat_store_b32 v0, v13, s[0:1] offset:9216 scale_offset
	s_wait_dscnt 0xa
	flat_store_b32 v0, v6, s[0:1] offset:10240 scale_offset
.LBB956_187:
	s_wait_xcnt 0x0
	s_delay_alu instid0(VALU_DEP_1)
	s_and_saveexec_b32 s3, s2
	s_cbranch_execnz .LBB956_189
; %bb.188:
	s_endpgm
.LBB956_189:
	s_wait_dscnt 0x0
	flat_store_b32 v0, v7, s[0:1] offset:11264 scale_offset
	s_endpgm
	.section	.rodata,"a",@progbits
	.p2align	6, 0x0
	.amdhsa_kernel _ZN7rocprim17ROCPRIM_400000_NS6detail17trampoline_kernelINS0_14default_configENS1_27scan_by_key_config_selectorIiiEEZZNS1_16scan_by_key_implILNS1_25lookback_scan_determinismE0ELb0ES3_N6thrust23THRUST_200600_302600_NS6detail15normal_iteratorINS9_10device_ptrIiEEEENS9_18transform_iteratorINS9_6negateIiEESE_NS9_11use_defaultESI_EESE_iNS9_4plusIvEENS9_8equal_toIvEEiEE10hipError_tPvRmT2_T3_T4_T5_mT6_T7_P12ihipStream_tbENKUlT_T0_E_clISt17integral_constantIbLb0EES13_IbLb1EEEEDaSZ_S10_EUlSZ_E_NS1_11comp_targetILNS1_3genE0ELNS1_11target_archE4294967295ELNS1_3gpuE0ELNS1_3repE0EEENS1_30default_config_static_selectorELNS0_4arch9wavefront6targetE0EEEvT1_
		.amdhsa_group_segment_fixed_size 14336
		.amdhsa_private_segment_fixed_size 0
		.amdhsa_kernarg_size 120
		.amdhsa_user_sgpr_count 2
		.amdhsa_user_sgpr_dispatch_ptr 0
		.amdhsa_user_sgpr_queue_ptr 0
		.amdhsa_user_sgpr_kernarg_segment_ptr 1
		.amdhsa_user_sgpr_dispatch_id 0
		.amdhsa_user_sgpr_kernarg_preload_length 0
		.amdhsa_user_sgpr_kernarg_preload_offset 0
		.amdhsa_user_sgpr_private_segment_size 0
		.amdhsa_wavefront_size32 1
		.amdhsa_uses_dynamic_stack 0
		.amdhsa_enable_private_segment 0
		.amdhsa_system_sgpr_workgroup_id_x 1
		.amdhsa_system_sgpr_workgroup_id_y 0
		.amdhsa_system_sgpr_workgroup_id_z 0
		.amdhsa_system_sgpr_workgroup_info 0
		.amdhsa_system_vgpr_workitem_id 0
		.amdhsa_next_free_vgpr 60
		.amdhsa_next_free_sgpr 44
		.amdhsa_named_barrier_count 0
		.amdhsa_reserve_vcc 1
		.amdhsa_float_round_mode_32 0
		.amdhsa_float_round_mode_16_64 0
		.amdhsa_float_denorm_mode_32 3
		.amdhsa_float_denorm_mode_16_64 3
		.amdhsa_fp16_overflow 0
		.amdhsa_memory_ordered 1
		.amdhsa_forward_progress 1
		.amdhsa_inst_pref_size 96
		.amdhsa_round_robin_scheduling 0
		.amdhsa_exception_fp_ieee_invalid_op 0
		.amdhsa_exception_fp_denorm_src 0
		.amdhsa_exception_fp_ieee_div_zero 0
		.amdhsa_exception_fp_ieee_overflow 0
		.amdhsa_exception_fp_ieee_underflow 0
		.amdhsa_exception_fp_ieee_inexact 0
		.amdhsa_exception_int_div_zero 0
	.end_amdhsa_kernel
	.section	.text._ZN7rocprim17ROCPRIM_400000_NS6detail17trampoline_kernelINS0_14default_configENS1_27scan_by_key_config_selectorIiiEEZZNS1_16scan_by_key_implILNS1_25lookback_scan_determinismE0ELb0ES3_N6thrust23THRUST_200600_302600_NS6detail15normal_iteratorINS9_10device_ptrIiEEEENS9_18transform_iteratorINS9_6negateIiEESE_NS9_11use_defaultESI_EESE_iNS9_4plusIvEENS9_8equal_toIvEEiEE10hipError_tPvRmT2_T3_T4_T5_mT6_T7_P12ihipStream_tbENKUlT_T0_E_clISt17integral_constantIbLb0EES13_IbLb1EEEEDaSZ_S10_EUlSZ_E_NS1_11comp_targetILNS1_3genE0ELNS1_11target_archE4294967295ELNS1_3gpuE0ELNS1_3repE0EEENS1_30default_config_static_selectorELNS0_4arch9wavefront6targetE0EEEvT1_,"axG",@progbits,_ZN7rocprim17ROCPRIM_400000_NS6detail17trampoline_kernelINS0_14default_configENS1_27scan_by_key_config_selectorIiiEEZZNS1_16scan_by_key_implILNS1_25lookback_scan_determinismE0ELb0ES3_N6thrust23THRUST_200600_302600_NS6detail15normal_iteratorINS9_10device_ptrIiEEEENS9_18transform_iteratorINS9_6negateIiEESE_NS9_11use_defaultESI_EESE_iNS9_4plusIvEENS9_8equal_toIvEEiEE10hipError_tPvRmT2_T3_T4_T5_mT6_T7_P12ihipStream_tbENKUlT_T0_E_clISt17integral_constantIbLb0EES13_IbLb1EEEEDaSZ_S10_EUlSZ_E_NS1_11comp_targetILNS1_3genE0ELNS1_11target_archE4294967295ELNS1_3gpuE0ELNS1_3repE0EEENS1_30default_config_static_selectorELNS0_4arch9wavefront6targetE0EEEvT1_,comdat
.Lfunc_end956:
	.size	_ZN7rocprim17ROCPRIM_400000_NS6detail17trampoline_kernelINS0_14default_configENS1_27scan_by_key_config_selectorIiiEEZZNS1_16scan_by_key_implILNS1_25lookback_scan_determinismE0ELb0ES3_N6thrust23THRUST_200600_302600_NS6detail15normal_iteratorINS9_10device_ptrIiEEEENS9_18transform_iteratorINS9_6negateIiEESE_NS9_11use_defaultESI_EESE_iNS9_4plusIvEENS9_8equal_toIvEEiEE10hipError_tPvRmT2_T3_T4_T5_mT6_T7_P12ihipStream_tbENKUlT_T0_E_clISt17integral_constantIbLb0EES13_IbLb1EEEEDaSZ_S10_EUlSZ_E_NS1_11comp_targetILNS1_3genE0ELNS1_11target_archE4294967295ELNS1_3gpuE0ELNS1_3repE0EEENS1_30default_config_static_selectorELNS0_4arch9wavefront6targetE0EEEvT1_, .Lfunc_end956-_ZN7rocprim17ROCPRIM_400000_NS6detail17trampoline_kernelINS0_14default_configENS1_27scan_by_key_config_selectorIiiEEZZNS1_16scan_by_key_implILNS1_25lookback_scan_determinismE0ELb0ES3_N6thrust23THRUST_200600_302600_NS6detail15normal_iteratorINS9_10device_ptrIiEEEENS9_18transform_iteratorINS9_6negateIiEESE_NS9_11use_defaultESI_EESE_iNS9_4plusIvEENS9_8equal_toIvEEiEE10hipError_tPvRmT2_T3_T4_T5_mT6_T7_P12ihipStream_tbENKUlT_T0_E_clISt17integral_constantIbLb0EES13_IbLb1EEEEDaSZ_S10_EUlSZ_E_NS1_11comp_targetILNS1_3genE0ELNS1_11target_archE4294967295ELNS1_3gpuE0ELNS1_3repE0EEENS1_30default_config_static_selectorELNS0_4arch9wavefront6targetE0EEEvT1_
                                        ; -- End function
	.set _ZN7rocprim17ROCPRIM_400000_NS6detail17trampoline_kernelINS0_14default_configENS1_27scan_by_key_config_selectorIiiEEZZNS1_16scan_by_key_implILNS1_25lookback_scan_determinismE0ELb0ES3_N6thrust23THRUST_200600_302600_NS6detail15normal_iteratorINS9_10device_ptrIiEEEENS9_18transform_iteratorINS9_6negateIiEESE_NS9_11use_defaultESI_EESE_iNS9_4plusIvEENS9_8equal_toIvEEiEE10hipError_tPvRmT2_T3_T4_T5_mT6_T7_P12ihipStream_tbENKUlT_T0_E_clISt17integral_constantIbLb0EES13_IbLb1EEEEDaSZ_S10_EUlSZ_E_NS1_11comp_targetILNS1_3genE0ELNS1_11target_archE4294967295ELNS1_3gpuE0ELNS1_3repE0EEENS1_30default_config_static_selectorELNS0_4arch9wavefront6targetE0EEEvT1_.num_vgpr, 60
	.set _ZN7rocprim17ROCPRIM_400000_NS6detail17trampoline_kernelINS0_14default_configENS1_27scan_by_key_config_selectorIiiEEZZNS1_16scan_by_key_implILNS1_25lookback_scan_determinismE0ELb0ES3_N6thrust23THRUST_200600_302600_NS6detail15normal_iteratorINS9_10device_ptrIiEEEENS9_18transform_iteratorINS9_6negateIiEESE_NS9_11use_defaultESI_EESE_iNS9_4plusIvEENS9_8equal_toIvEEiEE10hipError_tPvRmT2_T3_T4_T5_mT6_T7_P12ihipStream_tbENKUlT_T0_E_clISt17integral_constantIbLb0EES13_IbLb1EEEEDaSZ_S10_EUlSZ_E_NS1_11comp_targetILNS1_3genE0ELNS1_11target_archE4294967295ELNS1_3gpuE0ELNS1_3repE0EEENS1_30default_config_static_selectorELNS0_4arch9wavefront6targetE0EEEvT1_.num_agpr, 0
	.set _ZN7rocprim17ROCPRIM_400000_NS6detail17trampoline_kernelINS0_14default_configENS1_27scan_by_key_config_selectorIiiEEZZNS1_16scan_by_key_implILNS1_25lookback_scan_determinismE0ELb0ES3_N6thrust23THRUST_200600_302600_NS6detail15normal_iteratorINS9_10device_ptrIiEEEENS9_18transform_iteratorINS9_6negateIiEESE_NS9_11use_defaultESI_EESE_iNS9_4plusIvEENS9_8equal_toIvEEiEE10hipError_tPvRmT2_T3_T4_T5_mT6_T7_P12ihipStream_tbENKUlT_T0_E_clISt17integral_constantIbLb0EES13_IbLb1EEEEDaSZ_S10_EUlSZ_E_NS1_11comp_targetILNS1_3genE0ELNS1_11target_archE4294967295ELNS1_3gpuE0ELNS1_3repE0EEENS1_30default_config_static_selectorELNS0_4arch9wavefront6targetE0EEEvT1_.numbered_sgpr, 44
	.set _ZN7rocprim17ROCPRIM_400000_NS6detail17trampoline_kernelINS0_14default_configENS1_27scan_by_key_config_selectorIiiEEZZNS1_16scan_by_key_implILNS1_25lookback_scan_determinismE0ELb0ES3_N6thrust23THRUST_200600_302600_NS6detail15normal_iteratorINS9_10device_ptrIiEEEENS9_18transform_iteratorINS9_6negateIiEESE_NS9_11use_defaultESI_EESE_iNS9_4plusIvEENS9_8equal_toIvEEiEE10hipError_tPvRmT2_T3_T4_T5_mT6_T7_P12ihipStream_tbENKUlT_T0_E_clISt17integral_constantIbLb0EES13_IbLb1EEEEDaSZ_S10_EUlSZ_E_NS1_11comp_targetILNS1_3genE0ELNS1_11target_archE4294967295ELNS1_3gpuE0ELNS1_3repE0EEENS1_30default_config_static_selectorELNS0_4arch9wavefront6targetE0EEEvT1_.num_named_barrier, 0
	.set _ZN7rocprim17ROCPRIM_400000_NS6detail17trampoline_kernelINS0_14default_configENS1_27scan_by_key_config_selectorIiiEEZZNS1_16scan_by_key_implILNS1_25lookback_scan_determinismE0ELb0ES3_N6thrust23THRUST_200600_302600_NS6detail15normal_iteratorINS9_10device_ptrIiEEEENS9_18transform_iteratorINS9_6negateIiEESE_NS9_11use_defaultESI_EESE_iNS9_4plusIvEENS9_8equal_toIvEEiEE10hipError_tPvRmT2_T3_T4_T5_mT6_T7_P12ihipStream_tbENKUlT_T0_E_clISt17integral_constantIbLb0EES13_IbLb1EEEEDaSZ_S10_EUlSZ_E_NS1_11comp_targetILNS1_3genE0ELNS1_11target_archE4294967295ELNS1_3gpuE0ELNS1_3repE0EEENS1_30default_config_static_selectorELNS0_4arch9wavefront6targetE0EEEvT1_.private_seg_size, 0
	.set _ZN7rocprim17ROCPRIM_400000_NS6detail17trampoline_kernelINS0_14default_configENS1_27scan_by_key_config_selectorIiiEEZZNS1_16scan_by_key_implILNS1_25lookback_scan_determinismE0ELb0ES3_N6thrust23THRUST_200600_302600_NS6detail15normal_iteratorINS9_10device_ptrIiEEEENS9_18transform_iteratorINS9_6negateIiEESE_NS9_11use_defaultESI_EESE_iNS9_4plusIvEENS9_8equal_toIvEEiEE10hipError_tPvRmT2_T3_T4_T5_mT6_T7_P12ihipStream_tbENKUlT_T0_E_clISt17integral_constantIbLb0EES13_IbLb1EEEEDaSZ_S10_EUlSZ_E_NS1_11comp_targetILNS1_3genE0ELNS1_11target_archE4294967295ELNS1_3gpuE0ELNS1_3repE0EEENS1_30default_config_static_selectorELNS0_4arch9wavefront6targetE0EEEvT1_.uses_vcc, 1
	.set _ZN7rocprim17ROCPRIM_400000_NS6detail17trampoline_kernelINS0_14default_configENS1_27scan_by_key_config_selectorIiiEEZZNS1_16scan_by_key_implILNS1_25lookback_scan_determinismE0ELb0ES3_N6thrust23THRUST_200600_302600_NS6detail15normal_iteratorINS9_10device_ptrIiEEEENS9_18transform_iteratorINS9_6negateIiEESE_NS9_11use_defaultESI_EESE_iNS9_4plusIvEENS9_8equal_toIvEEiEE10hipError_tPvRmT2_T3_T4_T5_mT6_T7_P12ihipStream_tbENKUlT_T0_E_clISt17integral_constantIbLb0EES13_IbLb1EEEEDaSZ_S10_EUlSZ_E_NS1_11comp_targetILNS1_3genE0ELNS1_11target_archE4294967295ELNS1_3gpuE0ELNS1_3repE0EEENS1_30default_config_static_selectorELNS0_4arch9wavefront6targetE0EEEvT1_.uses_flat_scratch, 1
	.set _ZN7rocprim17ROCPRIM_400000_NS6detail17trampoline_kernelINS0_14default_configENS1_27scan_by_key_config_selectorIiiEEZZNS1_16scan_by_key_implILNS1_25lookback_scan_determinismE0ELb0ES3_N6thrust23THRUST_200600_302600_NS6detail15normal_iteratorINS9_10device_ptrIiEEEENS9_18transform_iteratorINS9_6negateIiEESE_NS9_11use_defaultESI_EESE_iNS9_4plusIvEENS9_8equal_toIvEEiEE10hipError_tPvRmT2_T3_T4_T5_mT6_T7_P12ihipStream_tbENKUlT_T0_E_clISt17integral_constantIbLb0EES13_IbLb1EEEEDaSZ_S10_EUlSZ_E_NS1_11comp_targetILNS1_3genE0ELNS1_11target_archE4294967295ELNS1_3gpuE0ELNS1_3repE0EEENS1_30default_config_static_selectorELNS0_4arch9wavefront6targetE0EEEvT1_.has_dyn_sized_stack, 0
	.set _ZN7rocprim17ROCPRIM_400000_NS6detail17trampoline_kernelINS0_14default_configENS1_27scan_by_key_config_selectorIiiEEZZNS1_16scan_by_key_implILNS1_25lookback_scan_determinismE0ELb0ES3_N6thrust23THRUST_200600_302600_NS6detail15normal_iteratorINS9_10device_ptrIiEEEENS9_18transform_iteratorINS9_6negateIiEESE_NS9_11use_defaultESI_EESE_iNS9_4plusIvEENS9_8equal_toIvEEiEE10hipError_tPvRmT2_T3_T4_T5_mT6_T7_P12ihipStream_tbENKUlT_T0_E_clISt17integral_constantIbLb0EES13_IbLb1EEEEDaSZ_S10_EUlSZ_E_NS1_11comp_targetILNS1_3genE0ELNS1_11target_archE4294967295ELNS1_3gpuE0ELNS1_3repE0EEENS1_30default_config_static_selectorELNS0_4arch9wavefront6targetE0EEEvT1_.has_recursion, 0
	.set _ZN7rocprim17ROCPRIM_400000_NS6detail17trampoline_kernelINS0_14default_configENS1_27scan_by_key_config_selectorIiiEEZZNS1_16scan_by_key_implILNS1_25lookback_scan_determinismE0ELb0ES3_N6thrust23THRUST_200600_302600_NS6detail15normal_iteratorINS9_10device_ptrIiEEEENS9_18transform_iteratorINS9_6negateIiEESE_NS9_11use_defaultESI_EESE_iNS9_4plusIvEENS9_8equal_toIvEEiEE10hipError_tPvRmT2_T3_T4_T5_mT6_T7_P12ihipStream_tbENKUlT_T0_E_clISt17integral_constantIbLb0EES13_IbLb1EEEEDaSZ_S10_EUlSZ_E_NS1_11comp_targetILNS1_3genE0ELNS1_11target_archE4294967295ELNS1_3gpuE0ELNS1_3repE0EEENS1_30default_config_static_selectorELNS0_4arch9wavefront6targetE0EEEvT1_.has_indirect_call, 0
	.section	.AMDGPU.csdata,"",@progbits
; Kernel info:
; codeLenInByte = 12200
; TotalNumSgprs: 46
; NumVgprs: 60
; ScratchSize: 0
; MemoryBound: 0
; FloatMode: 240
; IeeeMode: 1
; LDSByteSize: 14336 bytes/workgroup (compile time only)
; SGPRBlocks: 0
; VGPRBlocks: 3
; NumSGPRsForWavesPerEU: 46
; NumVGPRsForWavesPerEU: 60
; NamedBarCnt: 0
; Occupancy: 16
; WaveLimiterHint : 1
; COMPUTE_PGM_RSRC2:SCRATCH_EN: 0
; COMPUTE_PGM_RSRC2:USER_SGPR: 2
; COMPUTE_PGM_RSRC2:TRAP_HANDLER: 0
; COMPUTE_PGM_RSRC2:TGID_X_EN: 1
; COMPUTE_PGM_RSRC2:TGID_Y_EN: 0
; COMPUTE_PGM_RSRC2:TGID_Z_EN: 0
; COMPUTE_PGM_RSRC2:TIDIG_COMP_CNT: 0
	.section	.text._ZN7rocprim17ROCPRIM_400000_NS6detail17trampoline_kernelINS0_14default_configENS1_27scan_by_key_config_selectorIiiEEZZNS1_16scan_by_key_implILNS1_25lookback_scan_determinismE0ELb0ES3_N6thrust23THRUST_200600_302600_NS6detail15normal_iteratorINS9_10device_ptrIiEEEENS9_18transform_iteratorINS9_6negateIiEESE_NS9_11use_defaultESI_EESE_iNS9_4plusIvEENS9_8equal_toIvEEiEE10hipError_tPvRmT2_T3_T4_T5_mT6_T7_P12ihipStream_tbENKUlT_T0_E_clISt17integral_constantIbLb0EES13_IbLb1EEEEDaSZ_S10_EUlSZ_E_NS1_11comp_targetILNS1_3genE10ELNS1_11target_archE1201ELNS1_3gpuE5ELNS1_3repE0EEENS1_30default_config_static_selectorELNS0_4arch9wavefront6targetE0EEEvT1_,"axG",@progbits,_ZN7rocprim17ROCPRIM_400000_NS6detail17trampoline_kernelINS0_14default_configENS1_27scan_by_key_config_selectorIiiEEZZNS1_16scan_by_key_implILNS1_25lookback_scan_determinismE0ELb0ES3_N6thrust23THRUST_200600_302600_NS6detail15normal_iteratorINS9_10device_ptrIiEEEENS9_18transform_iteratorINS9_6negateIiEESE_NS9_11use_defaultESI_EESE_iNS9_4plusIvEENS9_8equal_toIvEEiEE10hipError_tPvRmT2_T3_T4_T5_mT6_T7_P12ihipStream_tbENKUlT_T0_E_clISt17integral_constantIbLb0EES13_IbLb1EEEEDaSZ_S10_EUlSZ_E_NS1_11comp_targetILNS1_3genE10ELNS1_11target_archE1201ELNS1_3gpuE5ELNS1_3repE0EEENS1_30default_config_static_selectorELNS0_4arch9wavefront6targetE0EEEvT1_,comdat
	.protected	_ZN7rocprim17ROCPRIM_400000_NS6detail17trampoline_kernelINS0_14default_configENS1_27scan_by_key_config_selectorIiiEEZZNS1_16scan_by_key_implILNS1_25lookback_scan_determinismE0ELb0ES3_N6thrust23THRUST_200600_302600_NS6detail15normal_iteratorINS9_10device_ptrIiEEEENS9_18transform_iteratorINS9_6negateIiEESE_NS9_11use_defaultESI_EESE_iNS9_4plusIvEENS9_8equal_toIvEEiEE10hipError_tPvRmT2_T3_T4_T5_mT6_T7_P12ihipStream_tbENKUlT_T0_E_clISt17integral_constantIbLb0EES13_IbLb1EEEEDaSZ_S10_EUlSZ_E_NS1_11comp_targetILNS1_3genE10ELNS1_11target_archE1201ELNS1_3gpuE5ELNS1_3repE0EEENS1_30default_config_static_selectorELNS0_4arch9wavefront6targetE0EEEvT1_ ; -- Begin function _ZN7rocprim17ROCPRIM_400000_NS6detail17trampoline_kernelINS0_14default_configENS1_27scan_by_key_config_selectorIiiEEZZNS1_16scan_by_key_implILNS1_25lookback_scan_determinismE0ELb0ES3_N6thrust23THRUST_200600_302600_NS6detail15normal_iteratorINS9_10device_ptrIiEEEENS9_18transform_iteratorINS9_6negateIiEESE_NS9_11use_defaultESI_EESE_iNS9_4plusIvEENS9_8equal_toIvEEiEE10hipError_tPvRmT2_T3_T4_T5_mT6_T7_P12ihipStream_tbENKUlT_T0_E_clISt17integral_constantIbLb0EES13_IbLb1EEEEDaSZ_S10_EUlSZ_E_NS1_11comp_targetILNS1_3genE10ELNS1_11target_archE1201ELNS1_3gpuE5ELNS1_3repE0EEENS1_30default_config_static_selectorELNS0_4arch9wavefront6targetE0EEEvT1_
	.globl	_ZN7rocprim17ROCPRIM_400000_NS6detail17trampoline_kernelINS0_14default_configENS1_27scan_by_key_config_selectorIiiEEZZNS1_16scan_by_key_implILNS1_25lookback_scan_determinismE0ELb0ES3_N6thrust23THRUST_200600_302600_NS6detail15normal_iteratorINS9_10device_ptrIiEEEENS9_18transform_iteratorINS9_6negateIiEESE_NS9_11use_defaultESI_EESE_iNS9_4plusIvEENS9_8equal_toIvEEiEE10hipError_tPvRmT2_T3_T4_T5_mT6_T7_P12ihipStream_tbENKUlT_T0_E_clISt17integral_constantIbLb0EES13_IbLb1EEEEDaSZ_S10_EUlSZ_E_NS1_11comp_targetILNS1_3genE10ELNS1_11target_archE1201ELNS1_3gpuE5ELNS1_3repE0EEENS1_30default_config_static_selectorELNS0_4arch9wavefront6targetE0EEEvT1_
	.p2align	8
	.type	_ZN7rocprim17ROCPRIM_400000_NS6detail17trampoline_kernelINS0_14default_configENS1_27scan_by_key_config_selectorIiiEEZZNS1_16scan_by_key_implILNS1_25lookback_scan_determinismE0ELb0ES3_N6thrust23THRUST_200600_302600_NS6detail15normal_iteratorINS9_10device_ptrIiEEEENS9_18transform_iteratorINS9_6negateIiEESE_NS9_11use_defaultESI_EESE_iNS9_4plusIvEENS9_8equal_toIvEEiEE10hipError_tPvRmT2_T3_T4_T5_mT6_T7_P12ihipStream_tbENKUlT_T0_E_clISt17integral_constantIbLb0EES13_IbLb1EEEEDaSZ_S10_EUlSZ_E_NS1_11comp_targetILNS1_3genE10ELNS1_11target_archE1201ELNS1_3gpuE5ELNS1_3repE0EEENS1_30default_config_static_selectorELNS0_4arch9wavefront6targetE0EEEvT1_,@function
_ZN7rocprim17ROCPRIM_400000_NS6detail17trampoline_kernelINS0_14default_configENS1_27scan_by_key_config_selectorIiiEEZZNS1_16scan_by_key_implILNS1_25lookback_scan_determinismE0ELb0ES3_N6thrust23THRUST_200600_302600_NS6detail15normal_iteratorINS9_10device_ptrIiEEEENS9_18transform_iteratorINS9_6negateIiEESE_NS9_11use_defaultESI_EESE_iNS9_4plusIvEENS9_8equal_toIvEEiEE10hipError_tPvRmT2_T3_T4_T5_mT6_T7_P12ihipStream_tbENKUlT_T0_E_clISt17integral_constantIbLb0EES13_IbLb1EEEEDaSZ_S10_EUlSZ_E_NS1_11comp_targetILNS1_3genE10ELNS1_11target_archE1201ELNS1_3gpuE5ELNS1_3repE0EEENS1_30default_config_static_selectorELNS0_4arch9wavefront6targetE0EEEvT1_: ; @_ZN7rocprim17ROCPRIM_400000_NS6detail17trampoline_kernelINS0_14default_configENS1_27scan_by_key_config_selectorIiiEEZZNS1_16scan_by_key_implILNS1_25lookback_scan_determinismE0ELb0ES3_N6thrust23THRUST_200600_302600_NS6detail15normal_iteratorINS9_10device_ptrIiEEEENS9_18transform_iteratorINS9_6negateIiEESE_NS9_11use_defaultESI_EESE_iNS9_4plusIvEENS9_8equal_toIvEEiEE10hipError_tPvRmT2_T3_T4_T5_mT6_T7_P12ihipStream_tbENKUlT_T0_E_clISt17integral_constantIbLb0EES13_IbLb1EEEEDaSZ_S10_EUlSZ_E_NS1_11comp_targetILNS1_3genE10ELNS1_11target_archE1201ELNS1_3gpuE5ELNS1_3repE0EEENS1_30default_config_static_selectorELNS0_4arch9wavefront6targetE0EEEvT1_
; %bb.0:
	.section	.rodata,"a",@progbits
	.p2align	6, 0x0
	.amdhsa_kernel _ZN7rocprim17ROCPRIM_400000_NS6detail17trampoline_kernelINS0_14default_configENS1_27scan_by_key_config_selectorIiiEEZZNS1_16scan_by_key_implILNS1_25lookback_scan_determinismE0ELb0ES3_N6thrust23THRUST_200600_302600_NS6detail15normal_iteratorINS9_10device_ptrIiEEEENS9_18transform_iteratorINS9_6negateIiEESE_NS9_11use_defaultESI_EESE_iNS9_4plusIvEENS9_8equal_toIvEEiEE10hipError_tPvRmT2_T3_T4_T5_mT6_T7_P12ihipStream_tbENKUlT_T0_E_clISt17integral_constantIbLb0EES13_IbLb1EEEEDaSZ_S10_EUlSZ_E_NS1_11comp_targetILNS1_3genE10ELNS1_11target_archE1201ELNS1_3gpuE5ELNS1_3repE0EEENS1_30default_config_static_selectorELNS0_4arch9wavefront6targetE0EEEvT1_
		.amdhsa_group_segment_fixed_size 0
		.amdhsa_private_segment_fixed_size 0
		.amdhsa_kernarg_size 120
		.amdhsa_user_sgpr_count 2
		.amdhsa_user_sgpr_dispatch_ptr 0
		.amdhsa_user_sgpr_queue_ptr 0
		.amdhsa_user_sgpr_kernarg_segment_ptr 1
		.amdhsa_user_sgpr_dispatch_id 0
		.amdhsa_user_sgpr_kernarg_preload_length 0
		.amdhsa_user_sgpr_kernarg_preload_offset 0
		.amdhsa_user_sgpr_private_segment_size 0
		.amdhsa_wavefront_size32 1
		.amdhsa_uses_dynamic_stack 0
		.amdhsa_enable_private_segment 0
		.amdhsa_system_sgpr_workgroup_id_x 1
		.amdhsa_system_sgpr_workgroup_id_y 0
		.amdhsa_system_sgpr_workgroup_id_z 0
		.amdhsa_system_sgpr_workgroup_info 0
		.amdhsa_system_vgpr_workitem_id 0
		.amdhsa_next_free_vgpr 1
		.amdhsa_next_free_sgpr 1
		.amdhsa_named_barrier_count 0
		.amdhsa_reserve_vcc 0
		.amdhsa_float_round_mode_32 0
		.amdhsa_float_round_mode_16_64 0
		.amdhsa_float_denorm_mode_32 3
		.amdhsa_float_denorm_mode_16_64 3
		.amdhsa_fp16_overflow 0
		.amdhsa_memory_ordered 1
		.amdhsa_forward_progress 1
		.amdhsa_inst_pref_size 0
		.amdhsa_round_robin_scheduling 0
		.amdhsa_exception_fp_ieee_invalid_op 0
		.amdhsa_exception_fp_denorm_src 0
		.amdhsa_exception_fp_ieee_div_zero 0
		.amdhsa_exception_fp_ieee_overflow 0
		.amdhsa_exception_fp_ieee_underflow 0
		.amdhsa_exception_fp_ieee_inexact 0
		.amdhsa_exception_int_div_zero 0
	.end_amdhsa_kernel
	.section	.text._ZN7rocprim17ROCPRIM_400000_NS6detail17trampoline_kernelINS0_14default_configENS1_27scan_by_key_config_selectorIiiEEZZNS1_16scan_by_key_implILNS1_25lookback_scan_determinismE0ELb0ES3_N6thrust23THRUST_200600_302600_NS6detail15normal_iteratorINS9_10device_ptrIiEEEENS9_18transform_iteratorINS9_6negateIiEESE_NS9_11use_defaultESI_EESE_iNS9_4plusIvEENS9_8equal_toIvEEiEE10hipError_tPvRmT2_T3_T4_T5_mT6_T7_P12ihipStream_tbENKUlT_T0_E_clISt17integral_constantIbLb0EES13_IbLb1EEEEDaSZ_S10_EUlSZ_E_NS1_11comp_targetILNS1_3genE10ELNS1_11target_archE1201ELNS1_3gpuE5ELNS1_3repE0EEENS1_30default_config_static_selectorELNS0_4arch9wavefront6targetE0EEEvT1_,"axG",@progbits,_ZN7rocprim17ROCPRIM_400000_NS6detail17trampoline_kernelINS0_14default_configENS1_27scan_by_key_config_selectorIiiEEZZNS1_16scan_by_key_implILNS1_25lookback_scan_determinismE0ELb0ES3_N6thrust23THRUST_200600_302600_NS6detail15normal_iteratorINS9_10device_ptrIiEEEENS9_18transform_iteratorINS9_6negateIiEESE_NS9_11use_defaultESI_EESE_iNS9_4plusIvEENS9_8equal_toIvEEiEE10hipError_tPvRmT2_T3_T4_T5_mT6_T7_P12ihipStream_tbENKUlT_T0_E_clISt17integral_constantIbLb0EES13_IbLb1EEEEDaSZ_S10_EUlSZ_E_NS1_11comp_targetILNS1_3genE10ELNS1_11target_archE1201ELNS1_3gpuE5ELNS1_3repE0EEENS1_30default_config_static_selectorELNS0_4arch9wavefront6targetE0EEEvT1_,comdat
.Lfunc_end957:
	.size	_ZN7rocprim17ROCPRIM_400000_NS6detail17trampoline_kernelINS0_14default_configENS1_27scan_by_key_config_selectorIiiEEZZNS1_16scan_by_key_implILNS1_25lookback_scan_determinismE0ELb0ES3_N6thrust23THRUST_200600_302600_NS6detail15normal_iteratorINS9_10device_ptrIiEEEENS9_18transform_iteratorINS9_6negateIiEESE_NS9_11use_defaultESI_EESE_iNS9_4plusIvEENS9_8equal_toIvEEiEE10hipError_tPvRmT2_T3_T4_T5_mT6_T7_P12ihipStream_tbENKUlT_T0_E_clISt17integral_constantIbLb0EES13_IbLb1EEEEDaSZ_S10_EUlSZ_E_NS1_11comp_targetILNS1_3genE10ELNS1_11target_archE1201ELNS1_3gpuE5ELNS1_3repE0EEENS1_30default_config_static_selectorELNS0_4arch9wavefront6targetE0EEEvT1_, .Lfunc_end957-_ZN7rocprim17ROCPRIM_400000_NS6detail17trampoline_kernelINS0_14default_configENS1_27scan_by_key_config_selectorIiiEEZZNS1_16scan_by_key_implILNS1_25lookback_scan_determinismE0ELb0ES3_N6thrust23THRUST_200600_302600_NS6detail15normal_iteratorINS9_10device_ptrIiEEEENS9_18transform_iteratorINS9_6negateIiEESE_NS9_11use_defaultESI_EESE_iNS9_4plusIvEENS9_8equal_toIvEEiEE10hipError_tPvRmT2_T3_T4_T5_mT6_T7_P12ihipStream_tbENKUlT_T0_E_clISt17integral_constantIbLb0EES13_IbLb1EEEEDaSZ_S10_EUlSZ_E_NS1_11comp_targetILNS1_3genE10ELNS1_11target_archE1201ELNS1_3gpuE5ELNS1_3repE0EEENS1_30default_config_static_selectorELNS0_4arch9wavefront6targetE0EEEvT1_
                                        ; -- End function
	.set _ZN7rocprim17ROCPRIM_400000_NS6detail17trampoline_kernelINS0_14default_configENS1_27scan_by_key_config_selectorIiiEEZZNS1_16scan_by_key_implILNS1_25lookback_scan_determinismE0ELb0ES3_N6thrust23THRUST_200600_302600_NS6detail15normal_iteratorINS9_10device_ptrIiEEEENS9_18transform_iteratorINS9_6negateIiEESE_NS9_11use_defaultESI_EESE_iNS9_4plusIvEENS9_8equal_toIvEEiEE10hipError_tPvRmT2_T3_T4_T5_mT6_T7_P12ihipStream_tbENKUlT_T0_E_clISt17integral_constantIbLb0EES13_IbLb1EEEEDaSZ_S10_EUlSZ_E_NS1_11comp_targetILNS1_3genE10ELNS1_11target_archE1201ELNS1_3gpuE5ELNS1_3repE0EEENS1_30default_config_static_selectorELNS0_4arch9wavefront6targetE0EEEvT1_.num_vgpr, 0
	.set _ZN7rocprim17ROCPRIM_400000_NS6detail17trampoline_kernelINS0_14default_configENS1_27scan_by_key_config_selectorIiiEEZZNS1_16scan_by_key_implILNS1_25lookback_scan_determinismE0ELb0ES3_N6thrust23THRUST_200600_302600_NS6detail15normal_iteratorINS9_10device_ptrIiEEEENS9_18transform_iteratorINS9_6negateIiEESE_NS9_11use_defaultESI_EESE_iNS9_4plusIvEENS9_8equal_toIvEEiEE10hipError_tPvRmT2_T3_T4_T5_mT6_T7_P12ihipStream_tbENKUlT_T0_E_clISt17integral_constantIbLb0EES13_IbLb1EEEEDaSZ_S10_EUlSZ_E_NS1_11comp_targetILNS1_3genE10ELNS1_11target_archE1201ELNS1_3gpuE5ELNS1_3repE0EEENS1_30default_config_static_selectorELNS0_4arch9wavefront6targetE0EEEvT1_.num_agpr, 0
	.set _ZN7rocprim17ROCPRIM_400000_NS6detail17trampoline_kernelINS0_14default_configENS1_27scan_by_key_config_selectorIiiEEZZNS1_16scan_by_key_implILNS1_25lookback_scan_determinismE0ELb0ES3_N6thrust23THRUST_200600_302600_NS6detail15normal_iteratorINS9_10device_ptrIiEEEENS9_18transform_iteratorINS9_6negateIiEESE_NS9_11use_defaultESI_EESE_iNS9_4plusIvEENS9_8equal_toIvEEiEE10hipError_tPvRmT2_T3_T4_T5_mT6_T7_P12ihipStream_tbENKUlT_T0_E_clISt17integral_constantIbLb0EES13_IbLb1EEEEDaSZ_S10_EUlSZ_E_NS1_11comp_targetILNS1_3genE10ELNS1_11target_archE1201ELNS1_3gpuE5ELNS1_3repE0EEENS1_30default_config_static_selectorELNS0_4arch9wavefront6targetE0EEEvT1_.numbered_sgpr, 0
	.set _ZN7rocprim17ROCPRIM_400000_NS6detail17trampoline_kernelINS0_14default_configENS1_27scan_by_key_config_selectorIiiEEZZNS1_16scan_by_key_implILNS1_25lookback_scan_determinismE0ELb0ES3_N6thrust23THRUST_200600_302600_NS6detail15normal_iteratorINS9_10device_ptrIiEEEENS9_18transform_iteratorINS9_6negateIiEESE_NS9_11use_defaultESI_EESE_iNS9_4plusIvEENS9_8equal_toIvEEiEE10hipError_tPvRmT2_T3_T4_T5_mT6_T7_P12ihipStream_tbENKUlT_T0_E_clISt17integral_constantIbLb0EES13_IbLb1EEEEDaSZ_S10_EUlSZ_E_NS1_11comp_targetILNS1_3genE10ELNS1_11target_archE1201ELNS1_3gpuE5ELNS1_3repE0EEENS1_30default_config_static_selectorELNS0_4arch9wavefront6targetE0EEEvT1_.num_named_barrier, 0
	.set _ZN7rocprim17ROCPRIM_400000_NS6detail17trampoline_kernelINS0_14default_configENS1_27scan_by_key_config_selectorIiiEEZZNS1_16scan_by_key_implILNS1_25lookback_scan_determinismE0ELb0ES3_N6thrust23THRUST_200600_302600_NS6detail15normal_iteratorINS9_10device_ptrIiEEEENS9_18transform_iteratorINS9_6negateIiEESE_NS9_11use_defaultESI_EESE_iNS9_4plusIvEENS9_8equal_toIvEEiEE10hipError_tPvRmT2_T3_T4_T5_mT6_T7_P12ihipStream_tbENKUlT_T0_E_clISt17integral_constantIbLb0EES13_IbLb1EEEEDaSZ_S10_EUlSZ_E_NS1_11comp_targetILNS1_3genE10ELNS1_11target_archE1201ELNS1_3gpuE5ELNS1_3repE0EEENS1_30default_config_static_selectorELNS0_4arch9wavefront6targetE0EEEvT1_.private_seg_size, 0
	.set _ZN7rocprim17ROCPRIM_400000_NS6detail17trampoline_kernelINS0_14default_configENS1_27scan_by_key_config_selectorIiiEEZZNS1_16scan_by_key_implILNS1_25lookback_scan_determinismE0ELb0ES3_N6thrust23THRUST_200600_302600_NS6detail15normal_iteratorINS9_10device_ptrIiEEEENS9_18transform_iteratorINS9_6negateIiEESE_NS9_11use_defaultESI_EESE_iNS9_4plusIvEENS9_8equal_toIvEEiEE10hipError_tPvRmT2_T3_T4_T5_mT6_T7_P12ihipStream_tbENKUlT_T0_E_clISt17integral_constantIbLb0EES13_IbLb1EEEEDaSZ_S10_EUlSZ_E_NS1_11comp_targetILNS1_3genE10ELNS1_11target_archE1201ELNS1_3gpuE5ELNS1_3repE0EEENS1_30default_config_static_selectorELNS0_4arch9wavefront6targetE0EEEvT1_.uses_vcc, 0
	.set _ZN7rocprim17ROCPRIM_400000_NS6detail17trampoline_kernelINS0_14default_configENS1_27scan_by_key_config_selectorIiiEEZZNS1_16scan_by_key_implILNS1_25lookback_scan_determinismE0ELb0ES3_N6thrust23THRUST_200600_302600_NS6detail15normal_iteratorINS9_10device_ptrIiEEEENS9_18transform_iteratorINS9_6negateIiEESE_NS9_11use_defaultESI_EESE_iNS9_4plusIvEENS9_8equal_toIvEEiEE10hipError_tPvRmT2_T3_T4_T5_mT6_T7_P12ihipStream_tbENKUlT_T0_E_clISt17integral_constantIbLb0EES13_IbLb1EEEEDaSZ_S10_EUlSZ_E_NS1_11comp_targetILNS1_3genE10ELNS1_11target_archE1201ELNS1_3gpuE5ELNS1_3repE0EEENS1_30default_config_static_selectorELNS0_4arch9wavefront6targetE0EEEvT1_.uses_flat_scratch, 0
	.set _ZN7rocprim17ROCPRIM_400000_NS6detail17trampoline_kernelINS0_14default_configENS1_27scan_by_key_config_selectorIiiEEZZNS1_16scan_by_key_implILNS1_25lookback_scan_determinismE0ELb0ES3_N6thrust23THRUST_200600_302600_NS6detail15normal_iteratorINS9_10device_ptrIiEEEENS9_18transform_iteratorINS9_6negateIiEESE_NS9_11use_defaultESI_EESE_iNS9_4plusIvEENS9_8equal_toIvEEiEE10hipError_tPvRmT2_T3_T4_T5_mT6_T7_P12ihipStream_tbENKUlT_T0_E_clISt17integral_constantIbLb0EES13_IbLb1EEEEDaSZ_S10_EUlSZ_E_NS1_11comp_targetILNS1_3genE10ELNS1_11target_archE1201ELNS1_3gpuE5ELNS1_3repE0EEENS1_30default_config_static_selectorELNS0_4arch9wavefront6targetE0EEEvT1_.has_dyn_sized_stack, 0
	.set _ZN7rocprim17ROCPRIM_400000_NS6detail17trampoline_kernelINS0_14default_configENS1_27scan_by_key_config_selectorIiiEEZZNS1_16scan_by_key_implILNS1_25lookback_scan_determinismE0ELb0ES3_N6thrust23THRUST_200600_302600_NS6detail15normal_iteratorINS9_10device_ptrIiEEEENS9_18transform_iteratorINS9_6negateIiEESE_NS9_11use_defaultESI_EESE_iNS9_4plusIvEENS9_8equal_toIvEEiEE10hipError_tPvRmT2_T3_T4_T5_mT6_T7_P12ihipStream_tbENKUlT_T0_E_clISt17integral_constantIbLb0EES13_IbLb1EEEEDaSZ_S10_EUlSZ_E_NS1_11comp_targetILNS1_3genE10ELNS1_11target_archE1201ELNS1_3gpuE5ELNS1_3repE0EEENS1_30default_config_static_selectorELNS0_4arch9wavefront6targetE0EEEvT1_.has_recursion, 0
	.set _ZN7rocprim17ROCPRIM_400000_NS6detail17trampoline_kernelINS0_14default_configENS1_27scan_by_key_config_selectorIiiEEZZNS1_16scan_by_key_implILNS1_25lookback_scan_determinismE0ELb0ES3_N6thrust23THRUST_200600_302600_NS6detail15normal_iteratorINS9_10device_ptrIiEEEENS9_18transform_iteratorINS9_6negateIiEESE_NS9_11use_defaultESI_EESE_iNS9_4plusIvEENS9_8equal_toIvEEiEE10hipError_tPvRmT2_T3_T4_T5_mT6_T7_P12ihipStream_tbENKUlT_T0_E_clISt17integral_constantIbLb0EES13_IbLb1EEEEDaSZ_S10_EUlSZ_E_NS1_11comp_targetILNS1_3genE10ELNS1_11target_archE1201ELNS1_3gpuE5ELNS1_3repE0EEENS1_30default_config_static_selectorELNS0_4arch9wavefront6targetE0EEEvT1_.has_indirect_call, 0
	.section	.AMDGPU.csdata,"",@progbits
; Kernel info:
; codeLenInByte = 0
; TotalNumSgprs: 0
; NumVgprs: 0
; ScratchSize: 0
; MemoryBound: 0
; FloatMode: 240
; IeeeMode: 1
; LDSByteSize: 0 bytes/workgroup (compile time only)
; SGPRBlocks: 0
; VGPRBlocks: 0
; NumSGPRsForWavesPerEU: 1
; NumVGPRsForWavesPerEU: 1
; NamedBarCnt: 0
; Occupancy: 16
; WaveLimiterHint : 0
; COMPUTE_PGM_RSRC2:SCRATCH_EN: 0
; COMPUTE_PGM_RSRC2:USER_SGPR: 2
; COMPUTE_PGM_RSRC2:TRAP_HANDLER: 0
; COMPUTE_PGM_RSRC2:TGID_X_EN: 1
; COMPUTE_PGM_RSRC2:TGID_Y_EN: 0
; COMPUTE_PGM_RSRC2:TGID_Z_EN: 0
; COMPUTE_PGM_RSRC2:TIDIG_COMP_CNT: 0
	.section	.text._ZN7rocprim17ROCPRIM_400000_NS6detail17trampoline_kernelINS0_14default_configENS1_27scan_by_key_config_selectorIiiEEZZNS1_16scan_by_key_implILNS1_25lookback_scan_determinismE0ELb0ES3_N6thrust23THRUST_200600_302600_NS6detail15normal_iteratorINS9_10device_ptrIiEEEENS9_18transform_iteratorINS9_6negateIiEESE_NS9_11use_defaultESI_EESE_iNS9_4plusIvEENS9_8equal_toIvEEiEE10hipError_tPvRmT2_T3_T4_T5_mT6_T7_P12ihipStream_tbENKUlT_T0_E_clISt17integral_constantIbLb0EES13_IbLb1EEEEDaSZ_S10_EUlSZ_E_NS1_11comp_targetILNS1_3genE5ELNS1_11target_archE942ELNS1_3gpuE9ELNS1_3repE0EEENS1_30default_config_static_selectorELNS0_4arch9wavefront6targetE0EEEvT1_,"axG",@progbits,_ZN7rocprim17ROCPRIM_400000_NS6detail17trampoline_kernelINS0_14default_configENS1_27scan_by_key_config_selectorIiiEEZZNS1_16scan_by_key_implILNS1_25lookback_scan_determinismE0ELb0ES3_N6thrust23THRUST_200600_302600_NS6detail15normal_iteratorINS9_10device_ptrIiEEEENS9_18transform_iteratorINS9_6negateIiEESE_NS9_11use_defaultESI_EESE_iNS9_4plusIvEENS9_8equal_toIvEEiEE10hipError_tPvRmT2_T3_T4_T5_mT6_T7_P12ihipStream_tbENKUlT_T0_E_clISt17integral_constantIbLb0EES13_IbLb1EEEEDaSZ_S10_EUlSZ_E_NS1_11comp_targetILNS1_3genE5ELNS1_11target_archE942ELNS1_3gpuE9ELNS1_3repE0EEENS1_30default_config_static_selectorELNS0_4arch9wavefront6targetE0EEEvT1_,comdat
	.protected	_ZN7rocprim17ROCPRIM_400000_NS6detail17trampoline_kernelINS0_14default_configENS1_27scan_by_key_config_selectorIiiEEZZNS1_16scan_by_key_implILNS1_25lookback_scan_determinismE0ELb0ES3_N6thrust23THRUST_200600_302600_NS6detail15normal_iteratorINS9_10device_ptrIiEEEENS9_18transform_iteratorINS9_6negateIiEESE_NS9_11use_defaultESI_EESE_iNS9_4plusIvEENS9_8equal_toIvEEiEE10hipError_tPvRmT2_T3_T4_T5_mT6_T7_P12ihipStream_tbENKUlT_T0_E_clISt17integral_constantIbLb0EES13_IbLb1EEEEDaSZ_S10_EUlSZ_E_NS1_11comp_targetILNS1_3genE5ELNS1_11target_archE942ELNS1_3gpuE9ELNS1_3repE0EEENS1_30default_config_static_selectorELNS0_4arch9wavefront6targetE0EEEvT1_ ; -- Begin function _ZN7rocprim17ROCPRIM_400000_NS6detail17trampoline_kernelINS0_14default_configENS1_27scan_by_key_config_selectorIiiEEZZNS1_16scan_by_key_implILNS1_25lookback_scan_determinismE0ELb0ES3_N6thrust23THRUST_200600_302600_NS6detail15normal_iteratorINS9_10device_ptrIiEEEENS9_18transform_iteratorINS9_6negateIiEESE_NS9_11use_defaultESI_EESE_iNS9_4plusIvEENS9_8equal_toIvEEiEE10hipError_tPvRmT2_T3_T4_T5_mT6_T7_P12ihipStream_tbENKUlT_T0_E_clISt17integral_constantIbLb0EES13_IbLb1EEEEDaSZ_S10_EUlSZ_E_NS1_11comp_targetILNS1_3genE5ELNS1_11target_archE942ELNS1_3gpuE9ELNS1_3repE0EEENS1_30default_config_static_selectorELNS0_4arch9wavefront6targetE0EEEvT1_
	.globl	_ZN7rocprim17ROCPRIM_400000_NS6detail17trampoline_kernelINS0_14default_configENS1_27scan_by_key_config_selectorIiiEEZZNS1_16scan_by_key_implILNS1_25lookback_scan_determinismE0ELb0ES3_N6thrust23THRUST_200600_302600_NS6detail15normal_iteratorINS9_10device_ptrIiEEEENS9_18transform_iteratorINS9_6negateIiEESE_NS9_11use_defaultESI_EESE_iNS9_4plusIvEENS9_8equal_toIvEEiEE10hipError_tPvRmT2_T3_T4_T5_mT6_T7_P12ihipStream_tbENKUlT_T0_E_clISt17integral_constantIbLb0EES13_IbLb1EEEEDaSZ_S10_EUlSZ_E_NS1_11comp_targetILNS1_3genE5ELNS1_11target_archE942ELNS1_3gpuE9ELNS1_3repE0EEENS1_30default_config_static_selectorELNS0_4arch9wavefront6targetE0EEEvT1_
	.p2align	8
	.type	_ZN7rocprim17ROCPRIM_400000_NS6detail17trampoline_kernelINS0_14default_configENS1_27scan_by_key_config_selectorIiiEEZZNS1_16scan_by_key_implILNS1_25lookback_scan_determinismE0ELb0ES3_N6thrust23THRUST_200600_302600_NS6detail15normal_iteratorINS9_10device_ptrIiEEEENS9_18transform_iteratorINS9_6negateIiEESE_NS9_11use_defaultESI_EESE_iNS9_4plusIvEENS9_8equal_toIvEEiEE10hipError_tPvRmT2_T3_T4_T5_mT6_T7_P12ihipStream_tbENKUlT_T0_E_clISt17integral_constantIbLb0EES13_IbLb1EEEEDaSZ_S10_EUlSZ_E_NS1_11comp_targetILNS1_3genE5ELNS1_11target_archE942ELNS1_3gpuE9ELNS1_3repE0EEENS1_30default_config_static_selectorELNS0_4arch9wavefront6targetE0EEEvT1_,@function
_ZN7rocprim17ROCPRIM_400000_NS6detail17trampoline_kernelINS0_14default_configENS1_27scan_by_key_config_selectorIiiEEZZNS1_16scan_by_key_implILNS1_25lookback_scan_determinismE0ELb0ES3_N6thrust23THRUST_200600_302600_NS6detail15normal_iteratorINS9_10device_ptrIiEEEENS9_18transform_iteratorINS9_6negateIiEESE_NS9_11use_defaultESI_EESE_iNS9_4plusIvEENS9_8equal_toIvEEiEE10hipError_tPvRmT2_T3_T4_T5_mT6_T7_P12ihipStream_tbENKUlT_T0_E_clISt17integral_constantIbLb0EES13_IbLb1EEEEDaSZ_S10_EUlSZ_E_NS1_11comp_targetILNS1_3genE5ELNS1_11target_archE942ELNS1_3gpuE9ELNS1_3repE0EEENS1_30default_config_static_selectorELNS0_4arch9wavefront6targetE0EEEvT1_: ; @_ZN7rocprim17ROCPRIM_400000_NS6detail17trampoline_kernelINS0_14default_configENS1_27scan_by_key_config_selectorIiiEEZZNS1_16scan_by_key_implILNS1_25lookback_scan_determinismE0ELb0ES3_N6thrust23THRUST_200600_302600_NS6detail15normal_iteratorINS9_10device_ptrIiEEEENS9_18transform_iteratorINS9_6negateIiEESE_NS9_11use_defaultESI_EESE_iNS9_4plusIvEENS9_8equal_toIvEEiEE10hipError_tPvRmT2_T3_T4_T5_mT6_T7_P12ihipStream_tbENKUlT_T0_E_clISt17integral_constantIbLb0EES13_IbLb1EEEEDaSZ_S10_EUlSZ_E_NS1_11comp_targetILNS1_3genE5ELNS1_11target_archE942ELNS1_3gpuE9ELNS1_3repE0EEENS1_30default_config_static_selectorELNS0_4arch9wavefront6targetE0EEEvT1_
; %bb.0:
	.section	.rodata,"a",@progbits
	.p2align	6, 0x0
	.amdhsa_kernel _ZN7rocprim17ROCPRIM_400000_NS6detail17trampoline_kernelINS0_14default_configENS1_27scan_by_key_config_selectorIiiEEZZNS1_16scan_by_key_implILNS1_25lookback_scan_determinismE0ELb0ES3_N6thrust23THRUST_200600_302600_NS6detail15normal_iteratorINS9_10device_ptrIiEEEENS9_18transform_iteratorINS9_6negateIiEESE_NS9_11use_defaultESI_EESE_iNS9_4plusIvEENS9_8equal_toIvEEiEE10hipError_tPvRmT2_T3_T4_T5_mT6_T7_P12ihipStream_tbENKUlT_T0_E_clISt17integral_constantIbLb0EES13_IbLb1EEEEDaSZ_S10_EUlSZ_E_NS1_11comp_targetILNS1_3genE5ELNS1_11target_archE942ELNS1_3gpuE9ELNS1_3repE0EEENS1_30default_config_static_selectorELNS0_4arch9wavefront6targetE0EEEvT1_
		.amdhsa_group_segment_fixed_size 0
		.amdhsa_private_segment_fixed_size 0
		.amdhsa_kernarg_size 120
		.amdhsa_user_sgpr_count 2
		.amdhsa_user_sgpr_dispatch_ptr 0
		.amdhsa_user_sgpr_queue_ptr 0
		.amdhsa_user_sgpr_kernarg_segment_ptr 1
		.amdhsa_user_sgpr_dispatch_id 0
		.amdhsa_user_sgpr_kernarg_preload_length 0
		.amdhsa_user_sgpr_kernarg_preload_offset 0
		.amdhsa_user_sgpr_private_segment_size 0
		.amdhsa_wavefront_size32 1
		.amdhsa_uses_dynamic_stack 0
		.amdhsa_enable_private_segment 0
		.amdhsa_system_sgpr_workgroup_id_x 1
		.amdhsa_system_sgpr_workgroup_id_y 0
		.amdhsa_system_sgpr_workgroup_id_z 0
		.amdhsa_system_sgpr_workgroup_info 0
		.amdhsa_system_vgpr_workitem_id 0
		.amdhsa_next_free_vgpr 1
		.amdhsa_next_free_sgpr 1
		.amdhsa_named_barrier_count 0
		.amdhsa_reserve_vcc 0
		.amdhsa_float_round_mode_32 0
		.amdhsa_float_round_mode_16_64 0
		.amdhsa_float_denorm_mode_32 3
		.amdhsa_float_denorm_mode_16_64 3
		.amdhsa_fp16_overflow 0
		.amdhsa_memory_ordered 1
		.amdhsa_forward_progress 1
		.amdhsa_inst_pref_size 0
		.amdhsa_round_robin_scheduling 0
		.amdhsa_exception_fp_ieee_invalid_op 0
		.amdhsa_exception_fp_denorm_src 0
		.amdhsa_exception_fp_ieee_div_zero 0
		.amdhsa_exception_fp_ieee_overflow 0
		.amdhsa_exception_fp_ieee_underflow 0
		.amdhsa_exception_fp_ieee_inexact 0
		.amdhsa_exception_int_div_zero 0
	.end_amdhsa_kernel
	.section	.text._ZN7rocprim17ROCPRIM_400000_NS6detail17trampoline_kernelINS0_14default_configENS1_27scan_by_key_config_selectorIiiEEZZNS1_16scan_by_key_implILNS1_25lookback_scan_determinismE0ELb0ES3_N6thrust23THRUST_200600_302600_NS6detail15normal_iteratorINS9_10device_ptrIiEEEENS9_18transform_iteratorINS9_6negateIiEESE_NS9_11use_defaultESI_EESE_iNS9_4plusIvEENS9_8equal_toIvEEiEE10hipError_tPvRmT2_T3_T4_T5_mT6_T7_P12ihipStream_tbENKUlT_T0_E_clISt17integral_constantIbLb0EES13_IbLb1EEEEDaSZ_S10_EUlSZ_E_NS1_11comp_targetILNS1_3genE5ELNS1_11target_archE942ELNS1_3gpuE9ELNS1_3repE0EEENS1_30default_config_static_selectorELNS0_4arch9wavefront6targetE0EEEvT1_,"axG",@progbits,_ZN7rocprim17ROCPRIM_400000_NS6detail17trampoline_kernelINS0_14default_configENS1_27scan_by_key_config_selectorIiiEEZZNS1_16scan_by_key_implILNS1_25lookback_scan_determinismE0ELb0ES3_N6thrust23THRUST_200600_302600_NS6detail15normal_iteratorINS9_10device_ptrIiEEEENS9_18transform_iteratorINS9_6negateIiEESE_NS9_11use_defaultESI_EESE_iNS9_4plusIvEENS9_8equal_toIvEEiEE10hipError_tPvRmT2_T3_T4_T5_mT6_T7_P12ihipStream_tbENKUlT_T0_E_clISt17integral_constantIbLb0EES13_IbLb1EEEEDaSZ_S10_EUlSZ_E_NS1_11comp_targetILNS1_3genE5ELNS1_11target_archE942ELNS1_3gpuE9ELNS1_3repE0EEENS1_30default_config_static_selectorELNS0_4arch9wavefront6targetE0EEEvT1_,comdat
.Lfunc_end958:
	.size	_ZN7rocprim17ROCPRIM_400000_NS6detail17trampoline_kernelINS0_14default_configENS1_27scan_by_key_config_selectorIiiEEZZNS1_16scan_by_key_implILNS1_25lookback_scan_determinismE0ELb0ES3_N6thrust23THRUST_200600_302600_NS6detail15normal_iteratorINS9_10device_ptrIiEEEENS9_18transform_iteratorINS9_6negateIiEESE_NS9_11use_defaultESI_EESE_iNS9_4plusIvEENS9_8equal_toIvEEiEE10hipError_tPvRmT2_T3_T4_T5_mT6_T7_P12ihipStream_tbENKUlT_T0_E_clISt17integral_constantIbLb0EES13_IbLb1EEEEDaSZ_S10_EUlSZ_E_NS1_11comp_targetILNS1_3genE5ELNS1_11target_archE942ELNS1_3gpuE9ELNS1_3repE0EEENS1_30default_config_static_selectorELNS0_4arch9wavefront6targetE0EEEvT1_, .Lfunc_end958-_ZN7rocprim17ROCPRIM_400000_NS6detail17trampoline_kernelINS0_14default_configENS1_27scan_by_key_config_selectorIiiEEZZNS1_16scan_by_key_implILNS1_25lookback_scan_determinismE0ELb0ES3_N6thrust23THRUST_200600_302600_NS6detail15normal_iteratorINS9_10device_ptrIiEEEENS9_18transform_iteratorINS9_6negateIiEESE_NS9_11use_defaultESI_EESE_iNS9_4plusIvEENS9_8equal_toIvEEiEE10hipError_tPvRmT2_T3_T4_T5_mT6_T7_P12ihipStream_tbENKUlT_T0_E_clISt17integral_constantIbLb0EES13_IbLb1EEEEDaSZ_S10_EUlSZ_E_NS1_11comp_targetILNS1_3genE5ELNS1_11target_archE942ELNS1_3gpuE9ELNS1_3repE0EEENS1_30default_config_static_selectorELNS0_4arch9wavefront6targetE0EEEvT1_
                                        ; -- End function
	.set _ZN7rocprim17ROCPRIM_400000_NS6detail17trampoline_kernelINS0_14default_configENS1_27scan_by_key_config_selectorIiiEEZZNS1_16scan_by_key_implILNS1_25lookback_scan_determinismE0ELb0ES3_N6thrust23THRUST_200600_302600_NS6detail15normal_iteratorINS9_10device_ptrIiEEEENS9_18transform_iteratorINS9_6negateIiEESE_NS9_11use_defaultESI_EESE_iNS9_4plusIvEENS9_8equal_toIvEEiEE10hipError_tPvRmT2_T3_T4_T5_mT6_T7_P12ihipStream_tbENKUlT_T0_E_clISt17integral_constantIbLb0EES13_IbLb1EEEEDaSZ_S10_EUlSZ_E_NS1_11comp_targetILNS1_3genE5ELNS1_11target_archE942ELNS1_3gpuE9ELNS1_3repE0EEENS1_30default_config_static_selectorELNS0_4arch9wavefront6targetE0EEEvT1_.num_vgpr, 0
	.set _ZN7rocprim17ROCPRIM_400000_NS6detail17trampoline_kernelINS0_14default_configENS1_27scan_by_key_config_selectorIiiEEZZNS1_16scan_by_key_implILNS1_25lookback_scan_determinismE0ELb0ES3_N6thrust23THRUST_200600_302600_NS6detail15normal_iteratorINS9_10device_ptrIiEEEENS9_18transform_iteratorINS9_6negateIiEESE_NS9_11use_defaultESI_EESE_iNS9_4plusIvEENS9_8equal_toIvEEiEE10hipError_tPvRmT2_T3_T4_T5_mT6_T7_P12ihipStream_tbENKUlT_T0_E_clISt17integral_constantIbLb0EES13_IbLb1EEEEDaSZ_S10_EUlSZ_E_NS1_11comp_targetILNS1_3genE5ELNS1_11target_archE942ELNS1_3gpuE9ELNS1_3repE0EEENS1_30default_config_static_selectorELNS0_4arch9wavefront6targetE0EEEvT1_.num_agpr, 0
	.set _ZN7rocprim17ROCPRIM_400000_NS6detail17trampoline_kernelINS0_14default_configENS1_27scan_by_key_config_selectorIiiEEZZNS1_16scan_by_key_implILNS1_25lookback_scan_determinismE0ELb0ES3_N6thrust23THRUST_200600_302600_NS6detail15normal_iteratorINS9_10device_ptrIiEEEENS9_18transform_iteratorINS9_6negateIiEESE_NS9_11use_defaultESI_EESE_iNS9_4plusIvEENS9_8equal_toIvEEiEE10hipError_tPvRmT2_T3_T4_T5_mT6_T7_P12ihipStream_tbENKUlT_T0_E_clISt17integral_constantIbLb0EES13_IbLb1EEEEDaSZ_S10_EUlSZ_E_NS1_11comp_targetILNS1_3genE5ELNS1_11target_archE942ELNS1_3gpuE9ELNS1_3repE0EEENS1_30default_config_static_selectorELNS0_4arch9wavefront6targetE0EEEvT1_.numbered_sgpr, 0
	.set _ZN7rocprim17ROCPRIM_400000_NS6detail17trampoline_kernelINS0_14default_configENS1_27scan_by_key_config_selectorIiiEEZZNS1_16scan_by_key_implILNS1_25lookback_scan_determinismE0ELb0ES3_N6thrust23THRUST_200600_302600_NS6detail15normal_iteratorINS9_10device_ptrIiEEEENS9_18transform_iteratorINS9_6negateIiEESE_NS9_11use_defaultESI_EESE_iNS9_4plusIvEENS9_8equal_toIvEEiEE10hipError_tPvRmT2_T3_T4_T5_mT6_T7_P12ihipStream_tbENKUlT_T0_E_clISt17integral_constantIbLb0EES13_IbLb1EEEEDaSZ_S10_EUlSZ_E_NS1_11comp_targetILNS1_3genE5ELNS1_11target_archE942ELNS1_3gpuE9ELNS1_3repE0EEENS1_30default_config_static_selectorELNS0_4arch9wavefront6targetE0EEEvT1_.num_named_barrier, 0
	.set _ZN7rocprim17ROCPRIM_400000_NS6detail17trampoline_kernelINS0_14default_configENS1_27scan_by_key_config_selectorIiiEEZZNS1_16scan_by_key_implILNS1_25lookback_scan_determinismE0ELb0ES3_N6thrust23THRUST_200600_302600_NS6detail15normal_iteratorINS9_10device_ptrIiEEEENS9_18transform_iteratorINS9_6negateIiEESE_NS9_11use_defaultESI_EESE_iNS9_4plusIvEENS9_8equal_toIvEEiEE10hipError_tPvRmT2_T3_T4_T5_mT6_T7_P12ihipStream_tbENKUlT_T0_E_clISt17integral_constantIbLb0EES13_IbLb1EEEEDaSZ_S10_EUlSZ_E_NS1_11comp_targetILNS1_3genE5ELNS1_11target_archE942ELNS1_3gpuE9ELNS1_3repE0EEENS1_30default_config_static_selectorELNS0_4arch9wavefront6targetE0EEEvT1_.private_seg_size, 0
	.set _ZN7rocprim17ROCPRIM_400000_NS6detail17trampoline_kernelINS0_14default_configENS1_27scan_by_key_config_selectorIiiEEZZNS1_16scan_by_key_implILNS1_25lookback_scan_determinismE0ELb0ES3_N6thrust23THRUST_200600_302600_NS6detail15normal_iteratorINS9_10device_ptrIiEEEENS9_18transform_iteratorINS9_6negateIiEESE_NS9_11use_defaultESI_EESE_iNS9_4plusIvEENS9_8equal_toIvEEiEE10hipError_tPvRmT2_T3_T4_T5_mT6_T7_P12ihipStream_tbENKUlT_T0_E_clISt17integral_constantIbLb0EES13_IbLb1EEEEDaSZ_S10_EUlSZ_E_NS1_11comp_targetILNS1_3genE5ELNS1_11target_archE942ELNS1_3gpuE9ELNS1_3repE0EEENS1_30default_config_static_selectorELNS0_4arch9wavefront6targetE0EEEvT1_.uses_vcc, 0
	.set _ZN7rocprim17ROCPRIM_400000_NS6detail17trampoline_kernelINS0_14default_configENS1_27scan_by_key_config_selectorIiiEEZZNS1_16scan_by_key_implILNS1_25lookback_scan_determinismE0ELb0ES3_N6thrust23THRUST_200600_302600_NS6detail15normal_iteratorINS9_10device_ptrIiEEEENS9_18transform_iteratorINS9_6negateIiEESE_NS9_11use_defaultESI_EESE_iNS9_4plusIvEENS9_8equal_toIvEEiEE10hipError_tPvRmT2_T3_T4_T5_mT6_T7_P12ihipStream_tbENKUlT_T0_E_clISt17integral_constantIbLb0EES13_IbLb1EEEEDaSZ_S10_EUlSZ_E_NS1_11comp_targetILNS1_3genE5ELNS1_11target_archE942ELNS1_3gpuE9ELNS1_3repE0EEENS1_30default_config_static_selectorELNS0_4arch9wavefront6targetE0EEEvT1_.uses_flat_scratch, 0
	.set _ZN7rocprim17ROCPRIM_400000_NS6detail17trampoline_kernelINS0_14default_configENS1_27scan_by_key_config_selectorIiiEEZZNS1_16scan_by_key_implILNS1_25lookback_scan_determinismE0ELb0ES3_N6thrust23THRUST_200600_302600_NS6detail15normal_iteratorINS9_10device_ptrIiEEEENS9_18transform_iteratorINS9_6negateIiEESE_NS9_11use_defaultESI_EESE_iNS9_4plusIvEENS9_8equal_toIvEEiEE10hipError_tPvRmT2_T3_T4_T5_mT6_T7_P12ihipStream_tbENKUlT_T0_E_clISt17integral_constantIbLb0EES13_IbLb1EEEEDaSZ_S10_EUlSZ_E_NS1_11comp_targetILNS1_3genE5ELNS1_11target_archE942ELNS1_3gpuE9ELNS1_3repE0EEENS1_30default_config_static_selectorELNS0_4arch9wavefront6targetE0EEEvT1_.has_dyn_sized_stack, 0
	.set _ZN7rocprim17ROCPRIM_400000_NS6detail17trampoline_kernelINS0_14default_configENS1_27scan_by_key_config_selectorIiiEEZZNS1_16scan_by_key_implILNS1_25lookback_scan_determinismE0ELb0ES3_N6thrust23THRUST_200600_302600_NS6detail15normal_iteratorINS9_10device_ptrIiEEEENS9_18transform_iteratorINS9_6negateIiEESE_NS9_11use_defaultESI_EESE_iNS9_4plusIvEENS9_8equal_toIvEEiEE10hipError_tPvRmT2_T3_T4_T5_mT6_T7_P12ihipStream_tbENKUlT_T0_E_clISt17integral_constantIbLb0EES13_IbLb1EEEEDaSZ_S10_EUlSZ_E_NS1_11comp_targetILNS1_3genE5ELNS1_11target_archE942ELNS1_3gpuE9ELNS1_3repE0EEENS1_30default_config_static_selectorELNS0_4arch9wavefront6targetE0EEEvT1_.has_recursion, 0
	.set _ZN7rocprim17ROCPRIM_400000_NS6detail17trampoline_kernelINS0_14default_configENS1_27scan_by_key_config_selectorIiiEEZZNS1_16scan_by_key_implILNS1_25lookback_scan_determinismE0ELb0ES3_N6thrust23THRUST_200600_302600_NS6detail15normal_iteratorINS9_10device_ptrIiEEEENS9_18transform_iteratorINS9_6negateIiEESE_NS9_11use_defaultESI_EESE_iNS9_4plusIvEENS9_8equal_toIvEEiEE10hipError_tPvRmT2_T3_T4_T5_mT6_T7_P12ihipStream_tbENKUlT_T0_E_clISt17integral_constantIbLb0EES13_IbLb1EEEEDaSZ_S10_EUlSZ_E_NS1_11comp_targetILNS1_3genE5ELNS1_11target_archE942ELNS1_3gpuE9ELNS1_3repE0EEENS1_30default_config_static_selectorELNS0_4arch9wavefront6targetE0EEEvT1_.has_indirect_call, 0
	.section	.AMDGPU.csdata,"",@progbits
; Kernel info:
; codeLenInByte = 0
; TotalNumSgprs: 0
; NumVgprs: 0
; ScratchSize: 0
; MemoryBound: 0
; FloatMode: 240
; IeeeMode: 1
; LDSByteSize: 0 bytes/workgroup (compile time only)
; SGPRBlocks: 0
; VGPRBlocks: 0
; NumSGPRsForWavesPerEU: 1
; NumVGPRsForWavesPerEU: 1
; NamedBarCnt: 0
; Occupancy: 16
; WaveLimiterHint : 0
; COMPUTE_PGM_RSRC2:SCRATCH_EN: 0
; COMPUTE_PGM_RSRC2:USER_SGPR: 2
; COMPUTE_PGM_RSRC2:TRAP_HANDLER: 0
; COMPUTE_PGM_RSRC2:TGID_X_EN: 1
; COMPUTE_PGM_RSRC2:TGID_Y_EN: 0
; COMPUTE_PGM_RSRC2:TGID_Z_EN: 0
; COMPUTE_PGM_RSRC2:TIDIG_COMP_CNT: 0
	.section	.text._ZN7rocprim17ROCPRIM_400000_NS6detail17trampoline_kernelINS0_14default_configENS1_27scan_by_key_config_selectorIiiEEZZNS1_16scan_by_key_implILNS1_25lookback_scan_determinismE0ELb0ES3_N6thrust23THRUST_200600_302600_NS6detail15normal_iteratorINS9_10device_ptrIiEEEENS9_18transform_iteratorINS9_6negateIiEESE_NS9_11use_defaultESI_EESE_iNS9_4plusIvEENS9_8equal_toIvEEiEE10hipError_tPvRmT2_T3_T4_T5_mT6_T7_P12ihipStream_tbENKUlT_T0_E_clISt17integral_constantIbLb0EES13_IbLb1EEEEDaSZ_S10_EUlSZ_E_NS1_11comp_targetILNS1_3genE4ELNS1_11target_archE910ELNS1_3gpuE8ELNS1_3repE0EEENS1_30default_config_static_selectorELNS0_4arch9wavefront6targetE0EEEvT1_,"axG",@progbits,_ZN7rocprim17ROCPRIM_400000_NS6detail17trampoline_kernelINS0_14default_configENS1_27scan_by_key_config_selectorIiiEEZZNS1_16scan_by_key_implILNS1_25lookback_scan_determinismE0ELb0ES3_N6thrust23THRUST_200600_302600_NS6detail15normal_iteratorINS9_10device_ptrIiEEEENS9_18transform_iteratorINS9_6negateIiEESE_NS9_11use_defaultESI_EESE_iNS9_4plusIvEENS9_8equal_toIvEEiEE10hipError_tPvRmT2_T3_T4_T5_mT6_T7_P12ihipStream_tbENKUlT_T0_E_clISt17integral_constantIbLb0EES13_IbLb1EEEEDaSZ_S10_EUlSZ_E_NS1_11comp_targetILNS1_3genE4ELNS1_11target_archE910ELNS1_3gpuE8ELNS1_3repE0EEENS1_30default_config_static_selectorELNS0_4arch9wavefront6targetE0EEEvT1_,comdat
	.protected	_ZN7rocprim17ROCPRIM_400000_NS6detail17trampoline_kernelINS0_14default_configENS1_27scan_by_key_config_selectorIiiEEZZNS1_16scan_by_key_implILNS1_25lookback_scan_determinismE0ELb0ES3_N6thrust23THRUST_200600_302600_NS6detail15normal_iteratorINS9_10device_ptrIiEEEENS9_18transform_iteratorINS9_6negateIiEESE_NS9_11use_defaultESI_EESE_iNS9_4plusIvEENS9_8equal_toIvEEiEE10hipError_tPvRmT2_T3_T4_T5_mT6_T7_P12ihipStream_tbENKUlT_T0_E_clISt17integral_constantIbLb0EES13_IbLb1EEEEDaSZ_S10_EUlSZ_E_NS1_11comp_targetILNS1_3genE4ELNS1_11target_archE910ELNS1_3gpuE8ELNS1_3repE0EEENS1_30default_config_static_selectorELNS0_4arch9wavefront6targetE0EEEvT1_ ; -- Begin function _ZN7rocprim17ROCPRIM_400000_NS6detail17trampoline_kernelINS0_14default_configENS1_27scan_by_key_config_selectorIiiEEZZNS1_16scan_by_key_implILNS1_25lookback_scan_determinismE0ELb0ES3_N6thrust23THRUST_200600_302600_NS6detail15normal_iteratorINS9_10device_ptrIiEEEENS9_18transform_iteratorINS9_6negateIiEESE_NS9_11use_defaultESI_EESE_iNS9_4plusIvEENS9_8equal_toIvEEiEE10hipError_tPvRmT2_T3_T4_T5_mT6_T7_P12ihipStream_tbENKUlT_T0_E_clISt17integral_constantIbLb0EES13_IbLb1EEEEDaSZ_S10_EUlSZ_E_NS1_11comp_targetILNS1_3genE4ELNS1_11target_archE910ELNS1_3gpuE8ELNS1_3repE0EEENS1_30default_config_static_selectorELNS0_4arch9wavefront6targetE0EEEvT1_
	.globl	_ZN7rocprim17ROCPRIM_400000_NS6detail17trampoline_kernelINS0_14default_configENS1_27scan_by_key_config_selectorIiiEEZZNS1_16scan_by_key_implILNS1_25lookback_scan_determinismE0ELb0ES3_N6thrust23THRUST_200600_302600_NS6detail15normal_iteratorINS9_10device_ptrIiEEEENS9_18transform_iteratorINS9_6negateIiEESE_NS9_11use_defaultESI_EESE_iNS9_4plusIvEENS9_8equal_toIvEEiEE10hipError_tPvRmT2_T3_T4_T5_mT6_T7_P12ihipStream_tbENKUlT_T0_E_clISt17integral_constantIbLb0EES13_IbLb1EEEEDaSZ_S10_EUlSZ_E_NS1_11comp_targetILNS1_3genE4ELNS1_11target_archE910ELNS1_3gpuE8ELNS1_3repE0EEENS1_30default_config_static_selectorELNS0_4arch9wavefront6targetE0EEEvT1_
	.p2align	8
	.type	_ZN7rocprim17ROCPRIM_400000_NS6detail17trampoline_kernelINS0_14default_configENS1_27scan_by_key_config_selectorIiiEEZZNS1_16scan_by_key_implILNS1_25lookback_scan_determinismE0ELb0ES3_N6thrust23THRUST_200600_302600_NS6detail15normal_iteratorINS9_10device_ptrIiEEEENS9_18transform_iteratorINS9_6negateIiEESE_NS9_11use_defaultESI_EESE_iNS9_4plusIvEENS9_8equal_toIvEEiEE10hipError_tPvRmT2_T3_T4_T5_mT6_T7_P12ihipStream_tbENKUlT_T0_E_clISt17integral_constantIbLb0EES13_IbLb1EEEEDaSZ_S10_EUlSZ_E_NS1_11comp_targetILNS1_3genE4ELNS1_11target_archE910ELNS1_3gpuE8ELNS1_3repE0EEENS1_30default_config_static_selectorELNS0_4arch9wavefront6targetE0EEEvT1_,@function
_ZN7rocprim17ROCPRIM_400000_NS6detail17trampoline_kernelINS0_14default_configENS1_27scan_by_key_config_selectorIiiEEZZNS1_16scan_by_key_implILNS1_25lookback_scan_determinismE0ELb0ES3_N6thrust23THRUST_200600_302600_NS6detail15normal_iteratorINS9_10device_ptrIiEEEENS9_18transform_iteratorINS9_6negateIiEESE_NS9_11use_defaultESI_EESE_iNS9_4plusIvEENS9_8equal_toIvEEiEE10hipError_tPvRmT2_T3_T4_T5_mT6_T7_P12ihipStream_tbENKUlT_T0_E_clISt17integral_constantIbLb0EES13_IbLb1EEEEDaSZ_S10_EUlSZ_E_NS1_11comp_targetILNS1_3genE4ELNS1_11target_archE910ELNS1_3gpuE8ELNS1_3repE0EEENS1_30default_config_static_selectorELNS0_4arch9wavefront6targetE0EEEvT1_: ; @_ZN7rocprim17ROCPRIM_400000_NS6detail17trampoline_kernelINS0_14default_configENS1_27scan_by_key_config_selectorIiiEEZZNS1_16scan_by_key_implILNS1_25lookback_scan_determinismE0ELb0ES3_N6thrust23THRUST_200600_302600_NS6detail15normal_iteratorINS9_10device_ptrIiEEEENS9_18transform_iteratorINS9_6negateIiEESE_NS9_11use_defaultESI_EESE_iNS9_4plusIvEENS9_8equal_toIvEEiEE10hipError_tPvRmT2_T3_T4_T5_mT6_T7_P12ihipStream_tbENKUlT_T0_E_clISt17integral_constantIbLb0EES13_IbLb1EEEEDaSZ_S10_EUlSZ_E_NS1_11comp_targetILNS1_3genE4ELNS1_11target_archE910ELNS1_3gpuE8ELNS1_3repE0EEENS1_30default_config_static_selectorELNS0_4arch9wavefront6targetE0EEEvT1_
; %bb.0:
	.section	.rodata,"a",@progbits
	.p2align	6, 0x0
	.amdhsa_kernel _ZN7rocprim17ROCPRIM_400000_NS6detail17trampoline_kernelINS0_14default_configENS1_27scan_by_key_config_selectorIiiEEZZNS1_16scan_by_key_implILNS1_25lookback_scan_determinismE0ELb0ES3_N6thrust23THRUST_200600_302600_NS6detail15normal_iteratorINS9_10device_ptrIiEEEENS9_18transform_iteratorINS9_6negateIiEESE_NS9_11use_defaultESI_EESE_iNS9_4plusIvEENS9_8equal_toIvEEiEE10hipError_tPvRmT2_T3_T4_T5_mT6_T7_P12ihipStream_tbENKUlT_T0_E_clISt17integral_constantIbLb0EES13_IbLb1EEEEDaSZ_S10_EUlSZ_E_NS1_11comp_targetILNS1_3genE4ELNS1_11target_archE910ELNS1_3gpuE8ELNS1_3repE0EEENS1_30default_config_static_selectorELNS0_4arch9wavefront6targetE0EEEvT1_
		.amdhsa_group_segment_fixed_size 0
		.amdhsa_private_segment_fixed_size 0
		.amdhsa_kernarg_size 120
		.amdhsa_user_sgpr_count 2
		.amdhsa_user_sgpr_dispatch_ptr 0
		.amdhsa_user_sgpr_queue_ptr 0
		.amdhsa_user_sgpr_kernarg_segment_ptr 1
		.amdhsa_user_sgpr_dispatch_id 0
		.amdhsa_user_sgpr_kernarg_preload_length 0
		.amdhsa_user_sgpr_kernarg_preload_offset 0
		.amdhsa_user_sgpr_private_segment_size 0
		.amdhsa_wavefront_size32 1
		.amdhsa_uses_dynamic_stack 0
		.amdhsa_enable_private_segment 0
		.amdhsa_system_sgpr_workgroup_id_x 1
		.amdhsa_system_sgpr_workgroup_id_y 0
		.amdhsa_system_sgpr_workgroup_id_z 0
		.amdhsa_system_sgpr_workgroup_info 0
		.amdhsa_system_vgpr_workitem_id 0
		.amdhsa_next_free_vgpr 1
		.amdhsa_next_free_sgpr 1
		.amdhsa_named_barrier_count 0
		.amdhsa_reserve_vcc 0
		.amdhsa_float_round_mode_32 0
		.amdhsa_float_round_mode_16_64 0
		.amdhsa_float_denorm_mode_32 3
		.amdhsa_float_denorm_mode_16_64 3
		.amdhsa_fp16_overflow 0
		.amdhsa_memory_ordered 1
		.amdhsa_forward_progress 1
		.amdhsa_inst_pref_size 0
		.amdhsa_round_robin_scheduling 0
		.amdhsa_exception_fp_ieee_invalid_op 0
		.amdhsa_exception_fp_denorm_src 0
		.amdhsa_exception_fp_ieee_div_zero 0
		.amdhsa_exception_fp_ieee_overflow 0
		.amdhsa_exception_fp_ieee_underflow 0
		.amdhsa_exception_fp_ieee_inexact 0
		.amdhsa_exception_int_div_zero 0
	.end_amdhsa_kernel
	.section	.text._ZN7rocprim17ROCPRIM_400000_NS6detail17trampoline_kernelINS0_14default_configENS1_27scan_by_key_config_selectorIiiEEZZNS1_16scan_by_key_implILNS1_25lookback_scan_determinismE0ELb0ES3_N6thrust23THRUST_200600_302600_NS6detail15normal_iteratorINS9_10device_ptrIiEEEENS9_18transform_iteratorINS9_6negateIiEESE_NS9_11use_defaultESI_EESE_iNS9_4plusIvEENS9_8equal_toIvEEiEE10hipError_tPvRmT2_T3_T4_T5_mT6_T7_P12ihipStream_tbENKUlT_T0_E_clISt17integral_constantIbLb0EES13_IbLb1EEEEDaSZ_S10_EUlSZ_E_NS1_11comp_targetILNS1_3genE4ELNS1_11target_archE910ELNS1_3gpuE8ELNS1_3repE0EEENS1_30default_config_static_selectorELNS0_4arch9wavefront6targetE0EEEvT1_,"axG",@progbits,_ZN7rocprim17ROCPRIM_400000_NS6detail17trampoline_kernelINS0_14default_configENS1_27scan_by_key_config_selectorIiiEEZZNS1_16scan_by_key_implILNS1_25lookback_scan_determinismE0ELb0ES3_N6thrust23THRUST_200600_302600_NS6detail15normal_iteratorINS9_10device_ptrIiEEEENS9_18transform_iteratorINS9_6negateIiEESE_NS9_11use_defaultESI_EESE_iNS9_4plusIvEENS9_8equal_toIvEEiEE10hipError_tPvRmT2_T3_T4_T5_mT6_T7_P12ihipStream_tbENKUlT_T0_E_clISt17integral_constantIbLb0EES13_IbLb1EEEEDaSZ_S10_EUlSZ_E_NS1_11comp_targetILNS1_3genE4ELNS1_11target_archE910ELNS1_3gpuE8ELNS1_3repE0EEENS1_30default_config_static_selectorELNS0_4arch9wavefront6targetE0EEEvT1_,comdat
.Lfunc_end959:
	.size	_ZN7rocprim17ROCPRIM_400000_NS6detail17trampoline_kernelINS0_14default_configENS1_27scan_by_key_config_selectorIiiEEZZNS1_16scan_by_key_implILNS1_25lookback_scan_determinismE0ELb0ES3_N6thrust23THRUST_200600_302600_NS6detail15normal_iteratorINS9_10device_ptrIiEEEENS9_18transform_iteratorINS9_6negateIiEESE_NS9_11use_defaultESI_EESE_iNS9_4plusIvEENS9_8equal_toIvEEiEE10hipError_tPvRmT2_T3_T4_T5_mT6_T7_P12ihipStream_tbENKUlT_T0_E_clISt17integral_constantIbLb0EES13_IbLb1EEEEDaSZ_S10_EUlSZ_E_NS1_11comp_targetILNS1_3genE4ELNS1_11target_archE910ELNS1_3gpuE8ELNS1_3repE0EEENS1_30default_config_static_selectorELNS0_4arch9wavefront6targetE0EEEvT1_, .Lfunc_end959-_ZN7rocprim17ROCPRIM_400000_NS6detail17trampoline_kernelINS0_14default_configENS1_27scan_by_key_config_selectorIiiEEZZNS1_16scan_by_key_implILNS1_25lookback_scan_determinismE0ELb0ES3_N6thrust23THRUST_200600_302600_NS6detail15normal_iteratorINS9_10device_ptrIiEEEENS9_18transform_iteratorINS9_6negateIiEESE_NS9_11use_defaultESI_EESE_iNS9_4plusIvEENS9_8equal_toIvEEiEE10hipError_tPvRmT2_T3_T4_T5_mT6_T7_P12ihipStream_tbENKUlT_T0_E_clISt17integral_constantIbLb0EES13_IbLb1EEEEDaSZ_S10_EUlSZ_E_NS1_11comp_targetILNS1_3genE4ELNS1_11target_archE910ELNS1_3gpuE8ELNS1_3repE0EEENS1_30default_config_static_selectorELNS0_4arch9wavefront6targetE0EEEvT1_
                                        ; -- End function
	.set _ZN7rocprim17ROCPRIM_400000_NS6detail17trampoline_kernelINS0_14default_configENS1_27scan_by_key_config_selectorIiiEEZZNS1_16scan_by_key_implILNS1_25lookback_scan_determinismE0ELb0ES3_N6thrust23THRUST_200600_302600_NS6detail15normal_iteratorINS9_10device_ptrIiEEEENS9_18transform_iteratorINS9_6negateIiEESE_NS9_11use_defaultESI_EESE_iNS9_4plusIvEENS9_8equal_toIvEEiEE10hipError_tPvRmT2_T3_T4_T5_mT6_T7_P12ihipStream_tbENKUlT_T0_E_clISt17integral_constantIbLb0EES13_IbLb1EEEEDaSZ_S10_EUlSZ_E_NS1_11comp_targetILNS1_3genE4ELNS1_11target_archE910ELNS1_3gpuE8ELNS1_3repE0EEENS1_30default_config_static_selectorELNS0_4arch9wavefront6targetE0EEEvT1_.num_vgpr, 0
	.set _ZN7rocprim17ROCPRIM_400000_NS6detail17trampoline_kernelINS0_14default_configENS1_27scan_by_key_config_selectorIiiEEZZNS1_16scan_by_key_implILNS1_25lookback_scan_determinismE0ELb0ES3_N6thrust23THRUST_200600_302600_NS6detail15normal_iteratorINS9_10device_ptrIiEEEENS9_18transform_iteratorINS9_6negateIiEESE_NS9_11use_defaultESI_EESE_iNS9_4plusIvEENS9_8equal_toIvEEiEE10hipError_tPvRmT2_T3_T4_T5_mT6_T7_P12ihipStream_tbENKUlT_T0_E_clISt17integral_constantIbLb0EES13_IbLb1EEEEDaSZ_S10_EUlSZ_E_NS1_11comp_targetILNS1_3genE4ELNS1_11target_archE910ELNS1_3gpuE8ELNS1_3repE0EEENS1_30default_config_static_selectorELNS0_4arch9wavefront6targetE0EEEvT1_.num_agpr, 0
	.set _ZN7rocprim17ROCPRIM_400000_NS6detail17trampoline_kernelINS0_14default_configENS1_27scan_by_key_config_selectorIiiEEZZNS1_16scan_by_key_implILNS1_25lookback_scan_determinismE0ELb0ES3_N6thrust23THRUST_200600_302600_NS6detail15normal_iteratorINS9_10device_ptrIiEEEENS9_18transform_iteratorINS9_6negateIiEESE_NS9_11use_defaultESI_EESE_iNS9_4plusIvEENS9_8equal_toIvEEiEE10hipError_tPvRmT2_T3_T4_T5_mT6_T7_P12ihipStream_tbENKUlT_T0_E_clISt17integral_constantIbLb0EES13_IbLb1EEEEDaSZ_S10_EUlSZ_E_NS1_11comp_targetILNS1_3genE4ELNS1_11target_archE910ELNS1_3gpuE8ELNS1_3repE0EEENS1_30default_config_static_selectorELNS0_4arch9wavefront6targetE0EEEvT1_.numbered_sgpr, 0
	.set _ZN7rocprim17ROCPRIM_400000_NS6detail17trampoline_kernelINS0_14default_configENS1_27scan_by_key_config_selectorIiiEEZZNS1_16scan_by_key_implILNS1_25lookback_scan_determinismE0ELb0ES3_N6thrust23THRUST_200600_302600_NS6detail15normal_iteratorINS9_10device_ptrIiEEEENS9_18transform_iteratorINS9_6negateIiEESE_NS9_11use_defaultESI_EESE_iNS9_4plusIvEENS9_8equal_toIvEEiEE10hipError_tPvRmT2_T3_T4_T5_mT6_T7_P12ihipStream_tbENKUlT_T0_E_clISt17integral_constantIbLb0EES13_IbLb1EEEEDaSZ_S10_EUlSZ_E_NS1_11comp_targetILNS1_3genE4ELNS1_11target_archE910ELNS1_3gpuE8ELNS1_3repE0EEENS1_30default_config_static_selectorELNS0_4arch9wavefront6targetE0EEEvT1_.num_named_barrier, 0
	.set _ZN7rocprim17ROCPRIM_400000_NS6detail17trampoline_kernelINS0_14default_configENS1_27scan_by_key_config_selectorIiiEEZZNS1_16scan_by_key_implILNS1_25lookback_scan_determinismE0ELb0ES3_N6thrust23THRUST_200600_302600_NS6detail15normal_iteratorINS9_10device_ptrIiEEEENS9_18transform_iteratorINS9_6negateIiEESE_NS9_11use_defaultESI_EESE_iNS9_4plusIvEENS9_8equal_toIvEEiEE10hipError_tPvRmT2_T3_T4_T5_mT6_T7_P12ihipStream_tbENKUlT_T0_E_clISt17integral_constantIbLb0EES13_IbLb1EEEEDaSZ_S10_EUlSZ_E_NS1_11comp_targetILNS1_3genE4ELNS1_11target_archE910ELNS1_3gpuE8ELNS1_3repE0EEENS1_30default_config_static_selectorELNS0_4arch9wavefront6targetE0EEEvT1_.private_seg_size, 0
	.set _ZN7rocprim17ROCPRIM_400000_NS6detail17trampoline_kernelINS0_14default_configENS1_27scan_by_key_config_selectorIiiEEZZNS1_16scan_by_key_implILNS1_25lookback_scan_determinismE0ELb0ES3_N6thrust23THRUST_200600_302600_NS6detail15normal_iteratorINS9_10device_ptrIiEEEENS9_18transform_iteratorINS9_6negateIiEESE_NS9_11use_defaultESI_EESE_iNS9_4plusIvEENS9_8equal_toIvEEiEE10hipError_tPvRmT2_T3_T4_T5_mT6_T7_P12ihipStream_tbENKUlT_T0_E_clISt17integral_constantIbLb0EES13_IbLb1EEEEDaSZ_S10_EUlSZ_E_NS1_11comp_targetILNS1_3genE4ELNS1_11target_archE910ELNS1_3gpuE8ELNS1_3repE0EEENS1_30default_config_static_selectorELNS0_4arch9wavefront6targetE0EEEvT1_.uses_vcc, 0
	.set _ZN7rocprim17ROCPRIM_400000_NS6detail17trampoline_kernelINS0_14default_configENS1_27scan_by_key_config_selectorIiiEEZZNS1_16scan_by_key_implILNS1_25lookback_scan_determinismE0ELb0ES3_N6thrust23THRUST_200600_302600_NS6detail15normal_iteratorINS9_10device_ptrIiEEEENS9_18transform_iteratorINS9_6negateIiEESE_NS9_11use_defaultESI_EESE_iNS9_4plusIvEENS9_8equal_toIvEEiEE10hipError_tPvRmT2_T3_T4_T5_mT6_T7_P12ihipStream_tbENKUlT_T0_E_clISt17integral_constantIbLb0EES13_IbLb1EEEEDaSZ_S10_EUlSZ_E_NS1_11comp_targetILNS1_3genE4ELNS1_11target_archE910ELNS1_3gpuE8ELNS1_3repE0EEENS1_30default_config_static_selectorELNS0_4arch9wavefront6targetE0EEEvT1_.uses_flat_scratch, 0
	.set _ZN7rocprim17ROCPRIM_400000_NS6detail17trampoline_kernelINS0_14default_configENS1_27scan_by_key_config_selectorIiiEEZZNS1_16scan_by_key_implILNS1_25lookback_scan_determinismE0ELb0ES3_N6thrust23THRUST_200600_302600_NS6detail15normal_iteratorINS9_10device_ptrIiEEEENS9_18transform_iteratorINS9_6negateIiEESE_NS9_11use_defaultESI_EESE_iNS9_4plusIvEENS9_8equal_toIvEEiEE10hipError_tPvRmT2_T3_T4_T5_mT6_T7_P12ihipStream_tbENKUlT_T0_E_clISt17integral_constantIbLb0EES13_IbLb1EEEEDaSZ_S10_EUlSZ_E_NS1_11comp_targetILNS1_3genE4ELNS1_11target_archE910ELNS1_3gpuE8ELNS1_3repE0EEENS1_30default_config_static_selectorELNS0_4arch9wavefront6targetE0EEEvT1_.has_dyn_sized_stack, 0
	.set _ZN7rocprim17ROCPRIM_400000_NS6detail17trampoline_kernelINS0_14default_configENS1_27scan_by_key_config_selectorIiiEEZZNS1_16scan_by_key_implILNS1_25lookback_scan_determinismE0ELb0ES3_N6thrust23THRUST_200600_302600_NS6detail15normal_iteratorINS9_10device_ptrIiEEEENS9_18transform_iteratorINS9_6negateIiEESE_NS9_11use_defaultESI_EESE_iNS9_4plusIvEENS9_8equal_toIvEEiEE10hipError_tPvRmT2_T3_T4_T5_mT6_T7_P12ihipStream_tbENKUlT_T0_E_clISt17integral_constantIbLb0EES13_IbLb1EEEEDaSZ_S10_EUlSZ_E_NS1_11comp_targetILNS1_3genE4ELNS1_11target_archE910ELNS1_3gpuE8ELNS1_3repE0EEENS1_30default_config_static_selectorELNS0_4arch9wavefront6targetE0EEEvT1_.has_recursion, 0
	.set _ZN7rocprim17ROCPRIM_400000_NS6detail17trampoline_kernelINS0_14default_configENS1_27scan_by_key_config_selectorIiiEEZZNS1_16scan_by_key_implILNS1_25lookback_scan_determinismE0ELb0ES3_N6thrust23THRUST_200600_302600_NS6detail15normal_iteratorINS9_10device_ptrIiEEEENS9_18transform_iteratorINS9_6negateIiEESE_NS9_11use_defaultESI_EESE_iNS9_4plusIvEENS9_8equal_toIvEEiEE10hipError_tPvRmT2_T3_T4_T5_mT6_T7_P12ihipStream_tbENKUlT_T0_E_clISt17integral_constantIbLb0EES13_IbLb1EEEEDaSZ_S10_EUlSZ_E_NS1_11comp_targetILNS1_3genE4ELNS1_11target_archE910ELNS1_3gpuE8ELNS1_3repE0EEENS1_30default_config_static_selectorELNS0_4arch9wavefront6targetE0EEEvT1_.has_indirect_call, 0
	.section	.AMDGPU.csdata,"",@progbits
; Kernel info:
; codeLenInByte = 0
; TotalNumSgprs: 0
; NumVgprs: 0
; ScratchSize: 0
; MemoryBound: 0
; FloatMode: 240
; IeeeMode: 1
; LDSByteSize: 0 bytes/workgroup (compile time only)
; SGPRBlocks: 0
; VGPRBlocks: 0
; NumSGPRsForWavesPerEU: 1
; NumVGPRsForWavesPerEU: 1
; NamedBarCnt: 0
; Occupancy: 16
; WaveLimiterHint : 0
; COMPUTE_PGM_RSRC2:SCRATCH_EN: 0
; COMPUTE_PGM_RSRC2:USER_SGPR: 2
; COMPUTE_PGM_RSRC2:TRAP_HANDLER: 0
; COMPUTE_PGM_RSRC2:TGID_X_EN: 1
; COMPUTE_PGM_RSRC2:TGID_Y_EN: 0
; COMPUTE_PGM_RSRC2:TGID_Z_EN: 0
; COMPUTE_PGM_RSRC2:TIDIG_COMP_CNT: 0
	.section	.text._ZN7rocprim17ROCPRIM_400000_NS6detail17trampoline_kernelINS0_14default_configENS1_27scan_by_key_config_selectorIiiEEZZNS1_16scan_by_key_implILNS1_25lookback_scan_determinismE0ELb0ES3_N6thrust23THRUST_200600_302600_NS6detail15normal_iteratorINS9_10device_ptrIiEEEENS9_18transform_iteratorINS9_6negateIiEESE_NS9_11use_defaultESI_EESE_iNS9_4plusIvEENS9_8equal_toIvEEiEE10hipError_tPvRmT2_T3_T4_T5_mT6_T7_P12ihipStream_tbENKUlT_T0_E_clISt17integral_constantIbLb0EES13_IbLb1EEEEDaSZ_S10_EUlSZ_E_NS1_11comp_targetILNS1_3genE3ELNS1_11target_archE908ELNS1_3gpuE7ELNS1_3repE0EEENS1_30default_config_static_selectorELNS0_4arch9wavefront6targetE0EEEvT1_,"axG",@progbits,_ZN7rocprim17ROCPRIM_400000_NS6detail17trampoline_kernelINS0_14default_configENS1_27scan_by_key_config_selectorIiiEEZZNS1_16scan_by_key_implILNS1_25lookback_scan_determinismE0ELb0ES3_N6thrust23THRUST_200600_302600_NS6detail15normal_iteratorINS9_10device_ptrIiEEEENS9_18transform_iteratorINS9_6negateIiEESE_NS9_11use_defaultESI_EESE_iNS9_4plusIvEENS9_8equal_toIvEEiEE10hipError_tPvRmT2_T3_T4_T5_mT6_T7_P12ihipStream_tbENKUlT_T0_E_clISt17integral_constantIbLb0EES13_IbLb1EEEEDaSZ_S10_EUlSZ_E_NS1_11comp_targetILNS1_3genE3ELNS1_11target_archE908ELNS1_3gpuE7ELNS1_3repE0EEENS1_30default_config_static_selectorELNS0_4arch9wavefront6targetE0EEEvT1_,comdat
	.protected	_ZN7rocprim17ROCPRIM_400000_NS6detail17trampoline_kernelINS0_14default_configENS1_27scan_by_key_config_selectorIiiEEZZNS1_16scan_by_key_implILNS1_25lookback_scan_determinismE0ELb0ES3_N6thrust23THRUST_200600_302600_NS6detail15normal_iteratorINS9_10device_ptrIiEEEENS9_18transform_iteratorINS9_6negateIiEESE_NS9_11use_defaultESI_EESE_iNS9_4plusIvEENS9_8equal_toIvEEiEE10hipError_tPvRmT2_T3_T4_T5_mT6_T7_P12ihipStream_tbENKUlT_T0_E_clISt17integral_constantIbLb0EES13_IbLb1EEEEDaSZ_S10_EUlSZ_E_NS1_11comp_targetILNS1_3genE3ELNS1_11target_archE908ELNS1_3gpuE7ELNS1_3repE0EEENS1_30default_config_static_selectorELNS0_4arch9wavefront6targetE0EEEvT1_ ; -- Begin function _ZN7rocprim17ROCPRIM_400000_NS6detail17trampoline_kernelINS0_14default_configENS1_27scan_by_key_config_selectorIiiEEZZNS1_16scan_by_key_implILNS1_25lookback_scan_determinismE0ELb0ES3_N6thrust23THRUST_200600_302600_NS6detail15normal_iteratorINS9_10device_ptrIiEEEENS9_18transform_iteratorINS9_6negateIiEESE_NS9_11use_defaultESI_EESE_iNS9_4plusIvEENS9_8equal_toIvEEiEE10hipError_tPvRmT2_T3_T4_T5_mT6_T7_P12ihipStream_tbENKUlT_T0_E_clISt17integral_constantIbLb0EES13_IbLb1EEEEDaSZ_S10_EUlSZ_E_NS1_11comp_targetILNS1_3genE3ELNS1_11target_archE908ELNS1_3gpuE7ELNS1_3repE0EEENS1_30default_config_static_selectorELNS0_4arch9wavefront6targetE0EEEvT1_
	.globl	_ZN7rocprim17ROCPRIM_400000_NS6detail17trampoline_kernelINS0_14default_configENS1_27scan_by_key_config_selectorIiiEEZZNS1_16scan_by_key_implILNS1_25lookback_scan_determinismE0ELb0ES3_N6thrust23THRUST_200600_302600_NS6detail15normal_iteratorINS9_10device_ptrIiEEEENS9_18transform_iteratorINS9_6negateIiEESE_NS9_11use_defaultESI_EESE_iNS9_4plusIvEENS9_8equal_toIvEEiEE10hipError_tPvRmT2_T3_T4_T5_mT6_T7_P12ihipStream_tbENKUlT_T0_E_clISt17integral_constantIbLb0EES13_IbLb1EEEEDaSZ_S10_EUlSZ_E_NS1_11comp_targetILNS1_3genE3ELNS1_11target_archE908ELNS1_3gpuE7ELNS1_3repE0EEENS1_30default_config_static_selectorELNS0_4arch9wavefront6targetE0EEEvT1_
	.p2align	8
	.type	_ZN7rocprim17ROCPRIM_400000_NS6detail17trampoline_kernelINS0_14default_configENS1_27scan_by_key_config_selectorIiiEEZZNS1_16scan_by_key_implILNS1_25lookback_scan_determinismE0ELb0ES3_N6thrust23THRUST_200600_302600_NS6detail15normal_iteratorINS9_10device_ptrIiEEEENS9_18transform_iteratorINS9_6negateIiEESE_NS9_11use_defaultESI_EESE_iNS9_4plusIvEENS9_8equal_toIvEEiEE10hipError_tPvRmT2_T3_T4_T5_mT6_T7_P12ihipStream_tbENKUlT_T0_E_clISt17integral_constantIbLb0EES13_IbLb1EEEEDaSZ_S10_EUlSZ_E_NS1_11comp_targetILNS1_3genE3ELNS1_11target_archE908ELNS1_3gpuE7ELNS1_3repE0EEENS1_30default_config_static_selectorELNS0_4arch9wavefront6targetE0EEEvT1_,@function
_ZN7rocprim17ROCPRIM_400000_NS6detail17trampoline_kernelINS0_14default_configENS1_27scan_by_key_config_selectorIiiEEZZNS1_16scan_by_key_implILNS1_25lookback_scan_determinismE0ELb0ES3_N6thrust23THRUST_200600_302600_NS6detail15normal_iteratorINS9_10device_ptrIiEEEENS9_18transform_iteratorINS9_6negateIiEESE_NS9_11use_defaultESI_EESE_iNS9_4plusIvEENS9_8equal_toIvEEiEE10hipError_tPvRmT2_T3_T4_T5_mT6_T7_P12ihipStream_tbENKUlT_T0_E_clISt17integral_constantIbLb0EES13_IbLb1EEEEDaSZ_S10_EUlSZ_E_NS1_11comp_targetILNS1_3genE3ELNS1_11target_archE908ELNS1_3gpuE7ELNS1_3repE0EEENS1_30default_config_static_selectorELNS0_4arch9wavefront6targetE0EEEvT1_: ; @_ZN7rocprim17ROCPRIM_400000_NS6detail17trampoline_kernelINS0_14default_configENS1_27scan_by_key_config_selectorIiiEEZZNS1_16scan_by_key_implILNS1_25lookback_scan_determinismE0ELb0ES3_N6thrust23THRUST_200600_302600_NS6detail15normal_iteratorINS9_10device_ptrIiEEEENS9_18transform_iteratorINS9_6negateIiEESE_NS9_11use_defaultESI_EESE_iNS9_4plusIvEENS9_8equal_toIvEEiEE10hipError_tPvRmT2_T3_T4_T5_mT6_T7_P12ihipStream_tbENKUlT_T0_E_clISt17integral_constantIbLb0EES13_IbLb1EEEEDaSZ_S10_EUlSZ_E_NS1_11comp_targetILNS1_3genE3ELNS1_11target_archE908ELNS1_3gpuE7ELNS1_3repE0EEENS1_30default_config_static_selectorELNS0_4arch9wavefront6targetE0EEEvT1_
; %bb.0:
	.section	.rodata,"a",@progbits
	.p2align	6, 0x0
	.amdhsa_kernel _ZN7rocprim17ROCPRIM_400000_NS6detail17trampoline_kernelINS0_14default_configENS1_27scan_by_key_config_selectorIiiEEZZNS1_16scan_by_key_implILNS1_25lookback_scan_determinismE0ELb0ES3_N6thrust23THRUST_200600_302600_NS6detail15normal_iteratorINS9_10device_ptrIiEEEENS9_18transform_iteratorINS9_6negateIiEESE_NS9_11use_defaultESI_EESE_iNS9_4plusIvEENS9_8equal_toIvEEiEE10hipError_tPvRmT2_T3_T4_T5_mT6_T7_P12ihipStream_tbENKUlT_T0_E_clISt17integral_constantIbLb0EES13_IbLb1EEEEDaSZ_S10_EUlSZ_E_NS1_11comp_targetILNS1_3genE3ELNS1_11target_archE908ELNS1_3gpuE7ELNS1_3repE0EEENS1_30default_config_static_selectorELNS0_4arch9wavefront6targetE0EEEvT1_
		.amdhsa_group_segment_fixed_size 0
		.amdhsa_private_segment_fixed_size 0
		.amdhsa_kernarg_size 120
		.amdhsa_user_sgpr_count 2
		.amdhsa_user_sgpr_dispatch_ptr 0
		.amdhsa_user_sgpr_queue_ptr 0
		.amdhsa_user_sgpr_kernarg_segment_ptr 1
		.amdhsa_user_sgpr_dispatch_id 0
		.amdhsa_user_sgpr_kernarg_preload_length 0
		.amdhsa_user_sgpr_kernarg_preload_offset 0
		.amdhsa_user_sgpr_private_segment_size 0
		.amdhsa_wavefront_size32 1
		.amdhsa_uses_dynamic_stack 0
		.amdhsa_enable_private_segment 0
		.amdhsa_system_sgpr_workgroup_id_x 1
		.amdhsa_system_sgpr_workgroup_id_y 0
		.amdhsa_system_sgpr_workgroup_id_z 0
		.amdhsa_system_sgpr_workgroup_info 0
		.amdhsa_system_vgpr_workitem_id 0
		.amdhsa_next_free_vgpr 1
		.amdhsa_next_free_sgpr 1
		.amdhsa_named_barrier_count 0
		.amdhsa_reserve_vcc 0
		.amdhsa_float_round_mode_32 0
		.amdhsa_float_round_mode_16_64 0
		.amdhsa_float_denorm_mode_32 3
		.amdhsa_float_denorm_mode_16_64 3
		.amdhsa_fp16_overflow 0
		.amdhsa_memory_ordered 1
		.amdhsa_forward_progress 1
		.amdhsa_inst_pref_size 0
		.amdhsa_round_robin_scheduling 0
		.amdhsa_exception_fp_ieee_invalid_op 0
		.amdhsa_exception_fp_denorm_src 0
		.amdhsa_exception_fp_ieee_div_zero 0
		.amdhsa_exception_fp_ieee_overflow 0
		.amdhsa_exception_fp_ieee_underflow 0
		.amdhsa_exception_fp_ieee_inexact 0
		.amdhsa_exception_int_div_zero 0
	.end_amdhsa_kernel
	.section	.text._ZN7rocprim17ROCPRIM_400000_NS6detail17trampoline_kernelINS0_14default_configENS1_27scan_by_key_config_selectorIiiEEZZNS1_16scan_by_key_implILNS1_25lookback_scan_determinismE0ELb0ES3_N6thrust23THRUST_200600_302600_NS6detail15normal_iteratorINS9_10device_ptrIiEEEENS9_18transform_iteratorINS9_6negateIiEESE_NS9_11use_defaultESI_EESE_iNS9_4plusIvEENS9_8equal_toIvEEiEE10hipError_tPvRmT2_T3_T4_T5_mT6_T7_P12ihipStream_tbENKUlT_T0_E_clISt17integral_constantIbLb0EES13_IbLb1EEEEDaSZ_S10_EUlSZ_E_NS1_11comp_targetILNS1_3genE3ELNS1_11target_archE908ELNS1_3gpuE7ELNS1_3repE0EEENS1_30default_config_static_selectorELNS0_4arch9wavefront6targetE0EEEvT1_,"axG",@progbits,_ZN7rocprim17ROCPRIM_400000_NS6detail17trampoline_kernelINS0_14default_configENS1_27scan_by_key_config_selectorIiiEEZZNS1_16scan_by_key_implILNS1_25lookback_scan_determinismE0ELb0ES3_N6thrust23THRUST_200600_302600_NS6detail15normal_iteratorINS9_10device_ptrIiEEEENS9_18transform_iteratorINS9_6negateIiEESE_NS9_11use_defaultESI_EESE_iNS9_4plusIvEENS9_8equal_toIvEEiEE10hipError_tPvRmT2_T3_T4_T5_mT6_T7_P12ihipStream_tbENKUlT_T0_E_clISt17integral_constantIbLb0EES13_IbLb1EEEEDaSZ_S10_EUlSZ_E_NS1_11comp_targetILNS1_3genE3ELNS1_11target_archE908ELNS1_3gpuE7ELNS1_3repE0EEENS1_30default_config_static_selectorELNS0_4arch9wavefront6targetE0EEEvT1_,comdat
.Lfunc_end960:
	.size	_ZN7rocprim17ROCPRIM_400000_NS6detail17trampoline_kernelINS0_14default_configENS1_27scan_by_key_config_selectorIiiEEZZNS1_16scan_by_key_implILNS1_25lookback_scan_determinismE0ELb0ES3_N6thrust23THRUST_200600_302600_NS6detail15normal_iteratorINS9_10device_ptrIiEEEENS9_18transform_iteratorINS9_6negateIiEESE_NS9_11use_defaultESI_EESE_iNS9_4plusIvEENS9_8equal_toIvEEiEE10hipError_tPvRmT2_T3_T4_T5_mT6_T7_P12ihipStream_tbENKUlT_T0_E_clISt17integral_constantIbLb0EES13_IbLb1EEEEDaSZ_S10_EUlSZ_E_NS1_11comp_targetILNS1_3genE3ELNS1_11target_archE908ELNS1_3gpuE7ELNS1_3repE0EEENS1_30default_config_static_selectorELNS0_4arch9wavefront6targetE0EEEvT1_, .Lfunc_end960-_ZN7rocprim17ROCPRIM_400000_NS6detail17trampoline_kernelINS0_14default_configENS1_27scan_by_key_config_selectorIiiEEZZNS1_16scan_by_key_implILNS1_25lookback_scan_determinismE0ELb0ES3_N6thrust23THRUST_200600_302600_NS6detail15normal_iteratorINS9_10device_ptrIiEEEENS9_18transform_iteratorINS9_6negateIiEESE_NS9_11use_defaultESI_EESE_iNS9_4plusIvEENS9_8equal_toIvEEiEE10hipError_tPvRmT2_T3_T4_T5_mT6_T7_P12ihipStream_tbENKUlT_T0_E_clISt17integral_constantIbLb0EES13_IbLb1EEEEDaSZ_S10_EUlSZ_E_NS1_11comp_targetILNS1_3genE3ELNS1_11target_archE908ELNS1_3gpuE7ELNS1_3repE0EEENS1_30default_config_static_selectorELNS0_4arch9wavefront6targetE0EEEvT1_
                                        ; -- End function
	.set _ZN7rocprim17ROCPRIM_400000_NS6detail17trampoline_kernelINS0_14default_configENS1_27scan_by_key_config_selectorIiiEEZZNS1_16scan_by_key_implILNS1_25lookback_scan_determinismE0ELb0ES3_N6thrust23THRUST_200600_302600_NS6detail15normal_iteratorINS9_10device_ptrIiEEEENS9_18transform_iteratorINS9_6negateIiEESE_NS9_11use_defaultESI_EESE_iNS9_4plusIvEENS9_8equal_toIvEEiEE10hipError_tPvRmT2_T3_T4_T5_mT6_T7_P12ihipStream_tbENKUlT_T0_E_clISt17integral_constantIbLb0EES13_IbLb1EEEEDaSZ_S10_EUlSZ_E_NS1_11comp_targetILNS1_3genE3ELNS1_11target_archE908ELNS1_3gpuE7ELNS1_3repE0EEENS1_30default_config_static_selectorELNS0_4arch9wavefront6targetE0EEEvT1_.num_vgpr, 0
	.set _ZN7rocprim17ROCPRIM_400000_NS6detail17trampoline_kernelINS0_14default_configENS1_27scan_by_key_config_selectorIiiEEZZNS1_16scan_by_key_implILNS1_25lookback_scan_determinismE0ELb0ES3_N6thrust23THRUST_200600_302600_NS6detail15normal_iteratorINS9_10device_ptrIiEEEENS9_18transform_iteratorINS9_6negateIiEESE_NS9_11use_defaultESI_EESE_iNS9_4plusIvEENS9_8equal_toIvEEiEE10hipError_tPvRmT2_T3_T4_T5_mT6_T7_P12ihipStream_tbENKUlT_T0_E_clISt17integral_constantIbLb0EES13_IbLb1EEEEDaSZ_S10_EUlSZ_E_NS1_11comp_targetILNS1_3genE3ELNS1_11target_archE908ELNS1_3gpuE7ELNS1_3repE0EEENS1_30default_config_static_selectorELNS0_4arch9wavefront6targetE0EEEvT1_.num_agpr, 0
	.set _ZN7rocprim17ROCPRIM_400000_NS6detail17trampoline_kernelINS0_14default_configENS1_27scan_by_key_config_selectorIiiEEZZNS1_16scan_by_key_implILNS1_25lookback_scan_determinismE0ELb0ES3_N6thrust23THRUST_200600_302600_NS6detail15normal_iteratorINS9_10device_ptrIiEEEENS9_18transform_iteratorINS9_6negateIiEESE_NS9_11use_defaultESI_EESE_iNS9_4plusIvEENS9_8equal_toIvEEiEE10hipError_tPvRmT2_T3_T4_T5_mT6_T7_P12ihipStream_tbENKUlT_T0_E_clISt17integral_constantIbLb0EES13_IbLb1EEEEDaSZ_S10_EUlSZ_E_NS1_11comp_targetILNS1_3genE3ELNS1_11target_archE908ELNS1_3gpuE7ELNS1_3repE0EEENS1_30default_config_static_selectorELNS0_4arch9wavefront6targetE0EEEvT1_.numbered_sgpr, 0
	.set _ZN7rocprim17ROCPRIM_400000_NS6detail17trampoline_kernelINS0_14default_configENS1_27scan_by_key_config_selectorIiiEEZZNS1_16scan_by_key_implILNS1_25lookback_scan_determinismE0ELb0ES3_N6thrust23THRUST_200600_302600_NS6detail15normal_iteratorINS9_10device_ptrIiEEEENS9_18transform_iteratorINS9_6negateIiEESE_NS9_11use_defaultESI_EESE_iNS9_4plusIvEENS9_8equal_toIvEEiEE10hipError_tPvRmT2_T3_T4_T5_mT6_T7_P12ihipStream_tbENKUlT_T0_E_clISt17integral_constantIbLb0EES13_IbLb1EEEEDaSZ_S10_EUlSZ_E_NS1_11comp_targetILNS1_3genE3ELNS1_11target_archE908ELNS1_3gpuE7ELNS1_3repE0EEENS1_30default_config_static_selectorELNS0_4arch9wavefront6targetE0EEEvT1_.num_named_barrier, 0
	.set _ZN7rocprim17ROCPRIM_400000_NS6detail17trampoline_kernelINS0_14default_configENS1_27scan_by_key_config_selectorIiiEEZZNS1_16scan_by_key_implILNS1_25lookback_scan_determinismE0ELb0ES3_N6thrust23THRUST_200600_302600_NS6detail15normal_iteratorINS9_10device_ptrIiEEEENS9_18transform_iteratorINS9_6negateIiEESE_NS9_11use_defaultESI_EESE_iNS9_4plusIvEENS9_8equal_toIvEEiEE10hipError_tPvRmT2_T3_T4_T5_mT6_T7_P12ihipStream_tbENKUlT_T0_E_clISt17integral_constantIbLb0EES13_IbLb1EEEEDaSZ_S10_EUlSZ_E_NS1_11comp_targetILNS1_3genE3ELNS1_11target_archE908ELNS1_3gpuE7ELNS1_3repE0EEENS1_30default_config_static_selectorELNS0_4arch9wavefront6targetE0EEEvT1_.private_seg_size, 0
	.set _ZN7rocprim17ROCPRIM_400000_NS6detail17trampoline_kernelINS0_14default_configENS1_27scan_by_key_config_selectorIiiEEZZNS1_16scan_by_key_implILNS1_25lookback_scan_determinismE0ELb0ES3_N6thrust23THRUST_200600_302600_NS6detail15normal_iteratorINS9_10device_ptrIiEEEENS9_18transform_iteratorINS9_6negateIiEESE_NS9_11use_defaultESI_EESE_iNS9_4plusIvEENS9_8equal_toIvEEiEE10hipError_tPvRmT2_T3_T4_T5_mT6_T7_P12ihipStream_tbENKUlT_T0_E_clISt17integral_constantIbLb0EES13_IbLb1EEEEDaSZ_S10_EUlSZ_E_NS1_11comp_targetILNS1_3genE3ELNS1_11target_archE908ELNS1_3gpuE7ELNS1_3repE0EEENS1_30default_config_static_selectorELNS0_4arch9wavefront6targetE0EEEvT1_.uses_vcc, 0
	.set _ZN7rocprim17ROCPRIM_400000_NS6detail17trampoline_kernelINS0_14default_configENS1_27scan_by_key_config_selectorIiiEEZZNS1_16scan_by_key_implILNS1_25lookback_scan_determinismE0ELb0ES3_N6thrust23THRUST_200600_302600_NS6detail15normal_iteratorINS9_10device_ptrIiEEEENS9_18transform_iteratorINS9_6negateIiEESE_NS9_11use_defaultESI_EESE_iNS9_4plusIvEENS9_8equal_toIvEEiEE10hipError_tPvRmT2_T3_T4_T5_mT6_T7_P12ihipStream_tbENKUlT_T0_E_clISt17integral_constantIbLb0EES13_IbLb1EEEEDaSZ_S10_EUlSZ_E_NS1_11comp_targetILNS1_3genE3ELNS1_11target_archE908ELNS1_3gpuE7ELNS1_3repE0EEENS1_30default_config_static_selectorELNS0_4arch9wavefront6targetE0EEEvT1_.uses_flat_scratch, 0
	.set _ZN7rocprim17ROCPRIM_400000_NS6detail17trampoline_kernelINS0_14default_configENS1_27scan_by_key_config_selectorIiiEEZZNS1_16scan_by_key_implILNS1_25lookback_scan_determinismE0ELb0ES3_N6thrust23THRUST_200600_302600_NS6detail15normal_iteratorINS9_10device_ptrIiEEEENS9_18transform_iteratorINS9_6negateIiEESE_NS9_11use_defaultESI_EESE_iNS9_4plusIvEENS9_8equal_toIvEEiEE10hipError_tPvRmT2_T3_T4_T5_mT6_T7_P12ihipStream_tbENKUlT_T0_E_clISt17integral_constantIbLb0EES13_IbLb1EEEEDaSZ_S10_EUlSZ_E_NS1_11comp_targetILNS1_3genE3ELNS1_11target_archE908ELNS1_3gpuE7ELNS1_3repE0EEENS1_30default_config_static_selectorELNS0_4arch9wavefront6targetE0EEEvT1_.has_dyn_sized_stack, 0
	.set _ZN7rocprim17ROCPRIM_400000_NS6detail17trampoline_kernelINS0_14default_configENS1_27scan_by_key_config_selectorIiiEEZZNS1_16scan_by_key_implILNS1_25lookback_scan_determinismE0ELb0ES3_N6thrust23THRUST_200600_302600_NS6detail15normal_iteratorINS9_10device_ptrIiEEEENS9_18transform_iteratorINS9_6negateIiEESE_NS9_11use_defaultESI_EESE_iNS9_4plusIvEENS9_8equal_toIvEEiEE10hipError_tPvRmT2_T3_T4_T5_mT6_T7_P12ihipStream_tbENKUlT_T0_E_clISt17integral_constantIbLb0EES13_IbLb1EEEEDaSZ_S10_EUlSZ_E_NS1_11comp_targetILNS1_3genE3ELNS1_11target_archE908ELNS1_3gpuE7ELNS1_3repE0EEENS1_30default_config_static_selectorELNS0_4arch9wavefront6targetE0EEEvT1_.has_recursion, 0
	.set _ZN7rocprim17ROCPRIM_400000_NS6detail17trampoline_kernelINS0_14default_configENS1_27scan_by_key_config_selectorIiiEEZZNS1_16scan_by_key_implILNS1_25lookback_scan_determinismE0ELb0ES3_N6thrust23THRUST_200600_302600_NS6detail15normal_iteratorINS9_10device_ptrIiEEEENS9_18transform_iteratorINS9_6negateIiEESE_NS9_11use_defaultESI_EESE_iNS9_4plusIvEENS9_8equal_toIvEEiEE10hipError_tPvRmT2_T3_T4_T5_mT6_T7_P12ihipStream_tbENKUlT_T0_E_clISt17integral_constantIbLb0EES13_IbLb1EEEEDaSZ_S10_EUlSZ_E_NS1_11comp_targetILNS1_3genE3ELNS1_11target_archE908ELNS1_3gpuE7ELNS1_3repE0EEENS1_30default_config_static_selectorELNS0_4arch9wavefront6targetE0EEEvT1_.has_indirect_call, 0
	.section	.AMDGPU.csdata,"",@progbits
; Kernel info:
; codeLenInByte = 0
; TotalNumSgprs: 0
; NumVgprs: 0
; ScratchSize: 0
; MemoryBound: 0
; FloatMode: 240
; IeeeMode: 1
; LDSByteSize: 0 bytes/workgroup (compile time only)
; SGPRBlocks: 0
; VGPRBlocks: 0
; NumSGPRsForWavesPerEU: 1
; NumVGPRsForWavesPerEU: 1
; NamedBarCnt: 0
; Occupancy: 16
; WaveLimiterHint : 0
; COMPUTE_PGM_RSRC2:SCRATCH_EN: 0
; COMPUTE_PGM_RSRC2:USER_SGPR: 2
; COMPUTE_PGM_RSRC2:TRAP_HANDLER: 0
; COMPUTE_PGM_RSRC2:TGID_X_EN: 1
; COMPUTE_PGM_RSRC2:TGID_Y_EN: 0
; COMPUTE_PGM_RSRC2:TGID_Z_EN: 0
; COMPUTE_PGM_RSRC2:TIDIG_COMP_CNT: 0
	.section	.text._ZN7rocprim17ROCPRIM_400000_NS6detail17trampoline_kernelINS0_14default_configENS1_27scan_by_key_config_selectorIiiEEZZNS1_16scan_by_key_implILNS1_25lookback_scan_determinismE0ELb0ES3_N6thrust23THRUST_200600_302600_NS6detail15normal_iteratorINS9_10device_ptrIiEEEENS9_18transform_iteratorINS9_6negateIiEESE_NS9_11use_defaultESI_EESE_iNS9_4plusIvEENS9_8equal_toIvEEiEE10hipError_tPvRmT2_T3_T4_T5_mT6_T7_P12ihipStream_tbENKUlT_T0_E_clISt17integral_constantIbLb0EES13_IbLb1EEEEDaSZ_S10_EUlSZ_E_NS1_11comp_targetILNS1_3genE2ELNS1_11target_archE906ELNS1_3gpuE6ELNS1_3repE0EEENS1_30default_config_static_selectorELNS0_4arch9wavefront6targetE0EEEvT1_,"axG",@progbits,_ZN7rocprim17ROCPRIM_400000_NS6detail17trampoline_kernelINS0_14default_configENS1_27scan_by_key_config_selectorIiiEEZZNS1_16scan_by_key_implILNS1_25lookback_scan_determinismE0ELb0ES3_N6thrust23THRUST_200600_302600_NS6detail15normal_iteratorINS9_10device_ptrIiEEEENS9_18transform_iteratorINS9_6negateIiEESE_NS9_11use_defaultESI_EESE_iNS9_4plusIvEENS9_8equal_toIvEEiEE10hipError_tPvRmT2_T3_T4_T5_mT6_T7_P12ihipStream_tbENKUlT_T0_E_clISt17integral_constantIbLb0EES13_IbLb1EEEEDaSZ_S10_EUlSZ_E_NS1_11comp_targetILNS1_3genE2ELNS1_11target_archE906ELNS1_3gpuE6ELNS1_3repE0EEENS1_30default_config_static_selectorELNS0_4arch9wavefront6targetE0EEEvT1_,comdat
	.protected	_ZN7rocprim17ROCPRIM_400000_NS6detail17trampoline_kernelINS0_14default_configENS1_27scan_by_key_config_selectorIiiEEZZNS1_16scan_by_key_implILNS1_25lookback_scan_determinismE0ELb0ES3_N6thrust23THRUST_200600_302600_NS6detail15normal_iteratorINS9_10device_ptrIiEEEENS9_18transform_iteratorINS9_6negateIiEESE_NS9_11use_defaultESI_EESE_iNS9_4plusIvEENS9_8equal_toIvEEiEE10hipError_tPvRmT2_T3_T4_T5_mT6_T7_P12ihipStream_tbENKUlT_T0_E_clISt17integral_constantIbLb0EES13_IbLb1EEEEDaSZ_S10_EUlSZ_E_NS1_11comp_targetILNS1_3genE2ELNS1_11target_archE906ELNS1_3gpuE6ELNS1_3repE0EEENS1_30default_config_static_selectorELNS0_4arch9wavefront6targetE0EEEvT1_ ; -- Begin function _ZN7rocprim17ROCPRIM_400000_NS6detail17trampoline_kernelINS0_14default_configENS1_27scan_by_key_config_selectorIiiEEZZNS1_16scan_by_key_implILNS1_25lookback_scan_determinismE0ELb0ES3_N6thrust23THRUST_200600_302600_NS6detail15normal_iteratorINS9_10device_ptrIiEEEENS9_18transform_iteratorINS9_6negateIiEESE_NS9_11use_defaultESI_EESE_iNS9_4plusIvEENS9_8equal_toIvEEiEE10hipError_tPvRmT2_T3_T4_T5_mT6_T7_P12ihipStream_tbENKUlT_T0_E_clISt17integral_constantIbLb0EES13_IbLb1EEEEDaSZ_S10_EUlSZ_E_NS1_11comp_targetILNS1_3genE2ELNS1_11target_archE906ELNS1_3gpuE6ELNS1_3repE0EEENS1_30default_config_static_selectorELNS0_4arch9wavefront6targetE0EEEvT1_
	.globl	_ZN7rocprim17ROCPRIM_400000_NS6detail17trampoline_kernelINS0_14default_configENS1_27scan_by_key_config_selectorIiiEEZZNS1_16scan_by_key_implILNS1_25lookback_scan_determinismE0ELb0ES3_N6thrust23THRUST_200600_302600_NS6detail15normal_iteratorINS9_10device_ptrIiEEEENS9_18transform_iteratorINS9_6negateIiEESE_NS9_11use_defaultESI_EESE_iNS9_4plusIvEENS9_8equal_toIvEEiEE10hipError_tPvRmT2_T3_T4_T5_mT6_T7_P12ihipStream_tbENKUlT_T0_E_clISt17integral_constantIbLb0EES13_IbLb1EEEEDaSZ_S10_EUlSZ_E_NS1_11comp_targetILNS1_3genE2ELNS1_11target_archE906ELNS1_3gpuE6ELNS1_3repE0EEENS1_30default_config_static_selectorELNS0_4arch9wavefront6targetE0EEEvT1_
	.p2align	8
	.type	_ZN7rocprim17ROCPRIM_400000_NS6detail17trampoline_kernelINS0_14default_configENS1_27scan_by_key_config_selectorIiiEEZZNS1_16scan_by_key_implILNS1_25lookback_scan_determinismE0ELb0ES3_N6thrust23THRUST_200600_302600_NS6detail15normal_iteratorINS9_10device_ptrIiEEEENS9_18transform_iteratorINS9_6negateIiEESE_NS9_11use_defaultESI_EESE_iNS9_4plusIvEENS9_8equal_toIvEEiEE10hipError_tPvRmT2_T3_T4_T5_mT6_T7_P12ihipStream_tbENKUlT_T0_E_clISt17integral_constantIbLb0EES13_IbLb1EEEEDaSZ_S10_EUlSZ_E_NS1_11comp_targetILNS1_3genE2ELNS1_11target_archE906ELNS1_3gpuE6ELNS1_3repE0EEENS1_30default_config_static_selectorELNS0_4arch9wavefront6targetE0EEEvT1_,@function
_ZN7rocprim17ROCPRIM_400000_NS6detail17trampoline_kernelINS0_14default_configENS1_27scan_by_key_config_selectorIiiEEZZNS1_16scan_by_key_implILNS1_25lookback_scan_determinismE0ELb0ES3_N6thrust23THRUST_200600_302600_NS6detail15normal_iteratorINS9_10device_ptrIiEEEENS9_18transform_iteratorINS9_6negateIiEESE_NS9_11use_defaultESI_EESE_iNS9_4plusIvEENS9_8equal_toIvEEiEE10hipError_tPvRmT2_T3_T4_T5_mT6_T7_P12ihipStream_tbENKUlT_T0_E_clISt17integral_constantIbLb0EES13_IbLb1EEEEDaSZ_S10_EUlSZ_E_NS1_11comp_targetILNS1_3genE2ELNS1_11target_archE906ELNS1_3gpuE6ELNS1_3repE0EEENS1_30default_config_static_selectorELNS0_4arch9wavefront6targetE0EEEvT1_: ; @_ZN7rocprim17ROCPRIM_400000_NS6detail17trampoline_kernelINS0_14default_configENS1_27scan_by_key_config_selectorIiiEEZZNS1_16scan_by_key_implILNS1_25lookback_scan_determinismE0ELb0ES3_N6thrust23THRUST_200600_302600_NS6detail15normal_iteratorINS9_10device_ptrIiEEEENS9_18transform_iteratorINS9_6negateIiEESE_NS9_11use_defaultESI_EESE_iNS9_4plusIvEENS9_8equal_toIvEEiEE10hipError_tPvRmT2_T3_T4_T5_mT6_T7_P12ihipStream_tbENKUlT_T0_E_clISt17integral_constantIbLb0EES13_IbLb1EEEEDaSZ_S10_EUlSZ_E_NS1_11comp_targetILNS1_3genE2ELNS1_11target_archE906ELNS1_3gpuE6ELNS1_3repE0EEENS1_30default_config_static_selectorELNS0_4arch9wavefront6targetE0EEEvT1_
; %bb.0:
	.section	.rodata,"a",@progbits
	.p2align	6, 0x0
	.amdhsa_kernel _ZN7rocprim17ROCPRIM_400000_NS6detail17trampoline_kernelINS0_14default_configENS1_27scan_by_key_config_selectorIiiEEZZNS1_16scan_by_key_implILNS1_25lookback_scan_determinismE0ELb0ES3_N6thrust23THRUST_200600_302600_NS6detail15normal_iteratorINS9_10device_ptrIiEEEENS9_18transform_iteratorINS9_6negateIiEESE_NS9_11use_defaultESI_EESE_iNS9_4plusIvEENS9_8equal_toIvEEiEE10hipError_tPvRmT2_T3_T4_T5_mT6_T7_P12ihipStream_tbENKUlT_T0_E_clISt17integral_constantIbLb0EES13_IbLb1EEEEDaSZ_S10_EUlSZ_E_NS1_11comp_targetILNS1_3genE2ELNS1_11target_archE906ELNS1_3gpuE6ELNS1_3repE0EEENS1_30default_config_static_selectorELNS0_4arch9wavefront6targetE0EEEvT1_
		.amdhsa_group_segment_fixed_size 0
		.amdhsa_private_segment_fixed_size 0
		.amdhsa_kernarg_size 120
		.amdhsa_user_sgpr_count 2
		.amdhsa_user_sgpr_dispatch_ptr 0
		.amdhsa_user_sgpr_queue_ptr 0
		.amdhsa_user_sgpr_kernarg_segment_ptr 1
		.amdhsa_user_sgpr_dispatch_id 0
		.amdhsa_user_sgpr_kernarg_preload_length 0
		.amdhsa_user_sgpr_kernarg_preload_offset 0
		.amdhsa_user_sgpr_private_segment_size 0
		.amdhsa_wavefront_size32 1
		.amdhsa_uses_dynamic_stack 0
		.amdhsa_enable_private_segment 0
		.amdhsa_system_sgpr_workgroup_id_x 1
		.amdhsa_system_sgpr_workgroup_id_y 0
		.amdhsa_system_sgpr_workgroup_id_z 0
		.amdhsa_system_sgpr_workgroup_info 0
		.amdhsa_system_vgpr_workitem_id 0
		.amdhsa_next_free_vgpr 1
		.amdhsa_next_free_sgpr 1
		.amdhsa_named_barrier_count 0
		.amdhsa_reserve_vcc 0
		.amdhsa_float_round_mode_32 0
		.amdhsa_float_round_mode_16_64 0
		.amdhsa_float_denorm_mode_32 3
		.amdhsa_float_denorm_mode_16_64 3
		.amdhsa_fp16_overflow 0
		.amdhsa_memory_ordered 1
		.amdhsa_forward_progress 1
		.amdhsa_inst_pref_size 0
		.amdhsa_round_robin_scheduling 0
		.amdhsa_exception_fp_ieee_invalid_op 0
		.amdhsa_exception_fp_denorm_src 0
		.amdhsa_exception_fp_ieee_div_zero 0
		.amdhsa_exception_fp_ieee_overflow 0
		.amdhsa_exception_fp_ieee_underflow 0
		.amdhsa_exception_fp_ieee_inexact 0
		.amdhsa_exception_int_div_zero 0
	.end_amdhsa_kernel
	.section	.text._ZN7rocprim17ROCPRIM_400000_NS6detail17trampoline_kernelINS0_14default_configENS1_27scan_by_key_config_selectorIiiEEZZNS1_16scan_by_key_implILNS1_25lookback_scan_determinismE0ELb0ES3_N6thrust23THRUST_200600_302600_NS6detail15normal_iteratorINS9_10device_ptrIiEEEENS9_18transform_iteratorINS9_6negateIiEESE_NS9_11use_defaultESI_EESE_iNS9_4plusIvEENS9_8equal_toIvEEiEE10hipError_tPvRmT2_T3_T4_T5_mT6_T7_P12ihipStream_tbENKUlT_T0_E_clISt17integral_constantIbLb0EES13_IbLb1EEEEDaSZ_S10_EUlSZ_E_NS1_11comp_targetILNS1_3genE2ELNS1_11target_archE906ELNS1_3gpuE6ELNS1_3repE0EEENS1_30default_config_static_selectorELNS0_4arch9wavefront6targetE0EEEvT1_,"axG",@progbits,_ZN7rocprim17ROCPRIM_400000_NS6detail17trampoline_kernelINS0_14default_configENS1_27scan_by_key_config_selectorIiiEEZZNS1_16scan_by_key_implILNS1_25lookback_scan_determinismE0ELb0ES3_N6thrust23THRUST_200600_302600_NS6detail15normal_iteratorINS9_10device_ptrIiEEEENS9_18transform_iteratorINS9_6negateIiEESE_NS9_11use_defaultESI_EESE_iNS9_4plusIvEENS9_8equal_toIvEEiEE10hipError_tPvRmT2_T3_T4_T5_mT6_T7_P12ihipStream_tbENKUlT_T0_E_clISt17integral_constantIbLb0EES13_IbLb1EEEEDaSZ_S10_EUlSZ_E_NS1_11comp_targetILNS1_3genE2ELNS1_11target_archE906ELNS1_3gpuE6ELNS1_3repE0EEENS1_30default_config_static_selectorELNS0_4arch9wavefront6targetE0EEEvT1_,comdat
.Lfunc_end961:
	.size	_ZN7rocprim17ROCPRIM_400000_NS6detail17trampoline_kernelINS0_14default_configENS1_27scan_by_key_config_selectorIiiEEZZNS1_16scan_by_key_implILNS1_25lookback_scan_determinismE0ELb0ES3_N6thrust23THRUST_200600_302600_NS6detail15normal_iteratorINS9_10device_ptrIiEEEENS9_18transform_iteratorINS9_6negateIiEESE_NS9_11use_defaultESI_EESE_iNS9_4plusIvEENS9_8equal_toIvEEiEE10hipError_tPvRmT2_T3_T4_T5_mT6_T7_P12ihipStream_tbENKUlT_T0_E_clISt17integral_constantIbLb0EES13_IbLb1EEEEDaSZ_S10_EUlSZ_E_NS1_11comp_targetILNS1_3genE2ELNS1_11target_archE906ELNS1_3gpuE6ELNS1_3repE0EEENS1_30default_config_static_selectorELNS0_4arch9wavefront6targetE0EEEvT1_, .Lfunc_end961-_ZN7rocprim17ROCPRIM_400000_NS6detail17trampoline_kernelINS0_14default_configENS1_27scan_by_key_config_selectorIiiEEZZNS1_16scan_by_key_implILNS1_25lookback_scan_determinismE0ELb0ES3_N6thrust23THRUST_200600_302600_NS6detail15normal_iteratorINS9_10device_ptrIiEEEENS9_18transform_iteratorINS9_6negateIiEESE_NS9_11use_defaultESI_EESE_iNS9_4plusIvEENS9_8equal_toIvEEiEE10hipError_tPvRmT2_T3_T4_T5_mT6_T7_P12ihipStream_tbENKUlT_T0_E_clISt17integral_constantIbLb0EES13_IbLb1EEEEDaSZ_S10_EUlSZ_E_NS1_11comp_targetILNS1_3genE2ELNS1_11target_archE906ELNS1_3gpuE6ELNS1_3repE0EEENS1_30default_config_static_selectorELNS0_4arch9wavefront6targetE0EEEvT1_
                                        ; -- End function
	.set _ZN7rocprim17ROCPRIM_400000_NS6detail17trampoline_kernelINS0_14default_configENS1_27scan_by_key_config_selectorIiiEEZZNS1_16scan_by_key_implILNS1_25lookback_scan_determinismE0ELb0ES3_N6thrust23THRUST_200600_302600_NS6detail15normal_iteratorINS9_10device_ptrIiEEEENS9_18transform_iteratorINS9_6negateIiEESE_NS9_11use_defaultESI_EESE_iNS9_4plusIvEENS9_8equal_toIvEEiEE10hipError_tPvRmT2_T3_T4_T5_mT6_T7_P12ihipStream_tbENKUlT_T0_E_clISt17integral_constantIbLb0EES13_IbLb1EEEEDaSZ_S10_EUlSZ_E_NS1_11comp_targetILNS1_3genE2ELNS1_11target_archE906ELNS1_3gpuE6ELNS1_3repE0EEENS1_30default_config_static_selectorELNS0_4arch9wavefront6targetE0EEEvT1_.num_vgpr, 0
	.set _ZN7rocprim17ROCPRIM_400000_NS6detail17trampoline_kernelINS0_14default_configENS1_27scan_by_key_config_selectorIiiEEZZNS1_16scan_by_key_implILNS1_25lookback_scan_determinismE0ELb0ES3_N6thrust23THRUST_200600_302600_NS6detail15normal_iteratorINS9_10device_ptrIiEEEENS9_18transform_iteratorINS9_6negateIiEESE_NS9_11use_defaultESI_EESE_iNS9_4plusIvEENS9_8equal_toIvEEiEE10hipError_tPvRmT2_T3_T4_T5_mT6_T7_P12ihipStream_tbENKUlT_T0_E_clISt17integral_constantIbLb0EES13_IbLb1EEEEDaSZ_S10_EUlSZ_E_NS1_11comp_targetILNS1_3genE2ELNS1_11target_archE906ELNS1_3gpuE6ELNS1_3repE0EEENS1_30default_config_static_selectorELNS0_4arch9wavefront6targetE0EEEvT1_.num_agpr, 0
	.set _ZN7rocprim17ROCPRIM_400000_NS6detail17trampoline_kernelINS0_14default_configENS1_27scan_by_key_config_selectorIiiEEZZNS1_16scan_by_key_implILNS1_25lookback_scan_determinismE0ELb0ES3_N6thrust23THRUST_200600_302600_NS6detail15normal_iteratorINS9_10device_ptrIiEEEENS9_18transform_iteratorINS9_6negateIiEESE_NS9_11use_defaultESI_EESE_iNS9_4plusIvEENS9_8equal_toIvEEiEE10hipError_tPvRmT2_T3_T4_T5_mT6_T7_P12ihipStream_tbENKUlT_T0_E_clISt17integral_constantIbLb0EES13_IbLb1EEEEDaSZ_S10_EUlSZ_E_NS1_11comp_targetILNS1_3genE2ELNS1_11target_archE906ELNS1_3gpuE6ELNS1_3repE0EEENS1_30default_config_static_selectorELNS0_4arch9wavefront6targetE0EEEvT1_.numbered_sgpr, 0
	.set _ZN7rocprim17ROCPRIM_400000_NS6detail17trampoline_kernelINS0_14default_configENS1_27scan_by_key_config_selectorIiiEEZZNS1_16scan_by_key_implILNS1_25lookback_scan_determinismE0ELb0ES3_N6thrust23THRUST_200600_302600_NS6detail15normal_iteratorINS9_10device_ptrIiEEEENS9_18transform_iteratorINS9_6negateIiEESE_NS9_11use_defaultESI_EESE_iNS9_4plusIvEENS9_8equal_toIvEEiEE10hipError_tPvRmT2_T3_T4_T5_mT6_T7_P12ihipStream_tbENKUlT_T0_E_clISt17integral_constantIbLb0EES13_IbLb1EEEEDaSZ_S10_EUlSZ_E_NS1_11comp_targetILNS1_3genE2ELNS1_11target_archE906ELNS1_3gpuE6ELNS1_3repE0EEENS1_30default_config_static_selectorELNS0_4arch9wavefront6targetE0EEEvT1_.num_named_barrier, 0
	.set _ZN7rocprim17ROCPRIM_400000_NS6detail17trampoline_kernelINS0_14default_configENS1_27scan_by_key_config_selectorIiiEEZZNS1_16scan_by_key_implILNS1_25lookback_scan_determinismE0ELb0ES3_N6thrust23THRUST_200600_302600_NS6detail15normal_iteratorINS9_10device_ptrIiEEEENS9_18transform_iteratorINS9_6negateIiEESE_NS9_11use_defaultESI_EESE_iNS9_4plusIvEENS9_8equal_toIvEEiEE10hipError_tPvRmT2_T3_T4_T5_mT6_T7_P12ihipStream_tbENKUlT_T0_E_clISt17integral_constantIbLb0EES13_IbLb1EEEEDaSZ_S10_EUlSZ_E_NS1_11comp_targetILNS1_3genE2ELNS1_11target_archE906ELNS1_3gpuE6ELNS1_3repE0EEENS1_30default_config_static_selectorELNS0_4arch9wavefront6targetE0EEEvT1_.private_seg_size, 0
	.set _ZN7rocprim17ROCPRIM_400000_NS6detail17trampoline_kernelINS0_14default_configENS1_27scan_by_key_config_selectorIiiEEZZNS1_16scan_by_key_implILNS1_25lookback_scan_determinismE0ELb0ES3_N6thrust23THRUST_200600_302600_NS6detail15normal_iteratorINS9_10device_ptrIiEEEENS9_18transform_iteratorINS9_6negateIiEESE_NS9_11use_defaultESI_EESE_iNS9_4plusIvEENS9_8equal_toIvEEiEE10hipError_tPvRmT2_T3_T4_T5_mT6_T7_P12ihipStream_tbENKUlT_T0_E_clISt17integral_constantIbLb0EES13_IbLb1EEEEDaSZ_S10_EUlSZ_E_NS1_11comp_targetILNS1_3genE2ELNS1_11target_archE906ELNS1_3gpuE6ELNS1_3repE0EEENS1_30default_config_static_selectorELNS0_4arch9wavefront6targetE0EEEvT1_.uses_vcc, 0
	.set _ZN7rocprim17ROCPRIM_400000_NS6detail17trampoline_kernelINS0_14default_configENS1_27scan_by_key_config_selectorIiiEEZZNS1_16scan_by_key_implILNS1_25lookback_scan_determinismE0ELb0ES3_N6thrust23THRUST_200600_302600_NS6detail15normal_iteratorINS9_10device_ptrIiEEEENS9_18transform_iteratorINS9_6negateIiEESE_NS9_11use_defaultESI_EESE_iNS9_4plusIvEENS9_8equal_toIvEEiEE10hipError_tPvRmT2_T3_T4_T5_mT6_T7_P12ihipStream_tbENKUlT_T0_E_clISt17integral_constantIbLb0EES13_IbLb1EEEEDaSZ_S10_EUlSZ_E_NS1_11comp_targetILNS1_3genE2ELNS1_11target_archE906ELNS1_3gpuE6ELNS1_3repE0EEENS1_30default_config_static_selectorELNS0_4arch9wavefront6targetE0EEEvT1_.uses_flat_scratch, 0
	.set _ZN7rocprim17ROCPRIM_400000_NS6detail17trampoline_kernelINS0_14default_configENS1_27scan_by_key_config_selectorIiiEEZZNS1_16scan_by_key_implILNS1_25lookback_scan_determinismE0ELb0ES3_N6thrust23THRUST_200600_302600_NS6detail15normal_iteratorINS9_10device_ptrIiEEEENS9_18transform_iteratorINS9_6negateIiEESE_NS9_11use_defaultESI_EESE_iNS9_4plusIvEENS9_8equal_toIvEEiEE10hipError_tPvRmT2_T3_T4_T5_mT6_T7_P12ihipStream_tbENKUlT_T0_E_clISt17integral_constantIbLb0EES13_IbLb1EEEEDaSZ_S10_EUlSZ_E_NS1_11comp_targetILNS1_3genE2ELNS1_11target_archE906ELNS1_3gpuE6ELNS1_3repE0EEENS1_30default_config_static_selectorELNS0_4arch9wavefront6targetE0EEEvT1_.has_dyn_sized_stack, 0
	.set _ZN7rocprim17ROCPRIM_400000_NS6detail17trampoline_kernelINS0_14default_configENS1_27scan_by_key_config_selectorIiiEEZZNS1_16scan_by_key_implILNS1_25lookback_scan_determinismE0ELb0ES3_N6thrust23THRUST_200600_302600_NS6detail15normal_iteratorINS9_10device_ptrIiEEEENS9_18transform_iteratorINS9_6negateIiEESE_NS9_11use_defaultESI_EESE_iNS9_4plusIvEENS9_8equal_toIvEEiEE10hipError_tPvRmT2_T3_T4_T5_mT6_T7_P12ihipStream_tbENKUlT_T0_E_clISt17integral_constantIbLb0EES13_IbLb1EEEEDaSZ_S10_EUlSZ_E_NS1_11comp_targetILNS1_3genE2ELNS1_11target_archE906ELNS1_3gpuE6ELNS1_3repE0EEENS1_30default_config_static_selectorELNS0_4arch9wavefront6targetE0EEEvT1_.has_recursion, 0
	.set _ZN7rocprim17ROCPRIM_400000_NS6detail17trampoline_kernelINS0_14default_configENS1_27scan_by_key_config_selectorIiiEEZZNS1_16scan_by_key_implILNS1_25lookback_scan_determinismE0ELb0ES3_N6thrust23THRUST_200600_302600_NS6detail15normal_iteratorINS9_10device_ptrIiEEEENS9_18transform_iteratorINS9_6negateIiEESE_NS9_11use_defaultESI_EESE_iNS9_4plusIvEENS9_8equal_toIvEEiEE10hipError_tPvRmT2_T3_T4_T5_mT6_T7_P12ihipStream_tbENKUlT_T0_E_clISt17integral_constantIbLb0EES13_IbLb1EEEEDaSZ_S10_EUlSZ_E_NS1_11comp_targetILNS1_3genE2ELNS1_11target_archE906ELNS1_3gpuE6ELNS1_3repE0EEENS1_30default_config_static_selectorELNS0_4arch9wavefront6targetE0EEEvT1_.has_indirect_call, 0
	.section	.AMDGPU.csdata,"",@progbits
; Kernel info:
; codeLenInByte = 0
; TotalNumSgprs: 0
; NumVgprs: 0
; ScratchSize: 0
; MemoryBound: 0
; FloatMode: 240
; IeeeMode: 1
; LDSByteSize: 0 bytes/workgroup (compile time only)
; SGPRBlocks: 0
; VGPRBlocks: 0
; NumSGPRsForWavesPerEU: 1
; NumVGPRsForWavesPerEU: 1
; NamedBarCnt: 0
; Occupancy: 16
; WaveLimiterHint : 0
; COMPUTE_PGM_RSRC2:SCRATCH_EN: 0
; COMPUTE_PGM_RSRC2:USER_SGPR: 2
; COMPUTE_PGM_RSRC2:TRAP_HANDLER: 0
; COMPUTE_PGM_RSRC2:TGID_X_EN: 1
; COMPUTE_PGM_RSRC2:TGID_Y_EN: 0
; COMPUTE_PGM_RSRC2:TGID_Z_EN: 0
; COMPUTE_PGM_RSRC2:TIDIG_COMP_CNT: 0
	.section	.text._ZN7rocprim17ROCPRIM_400000_NS6detail17trampoline_kernelINS0_14default_configENS1_27scan_by_key_config_selectorIiiEEZZNS1_16scan_by_key_implILNS1_25lookback_scan_determinismE0ELb0ES3_N6thrust23THRUST_200600_302600_NS6detail15normal_iteratorINS9_10device_ptrIiEEEENS9_18transform_iteratorINS9_6negateIiEESE_NS9_11use_defaultESI_EESE_iNS9_4plusIvEENS9_8equal_toIvEEiEE10hipError_tPvRmT2_T3_T4_T5_mT6_T7_P12ihipStream_tbENKUlT_T0_E_clISt17integral_constantIbLb0EES13_IbLb1EEEEDaSZ_S10_EUlSZ_E_NS1_11comp_targetILNS1_3genE10ELNS1_11target_archE1200ELNS1_3gpuE4ELNS1_3repE0EEENS1_30default_config_static_selectorELNS0_4arch9wavefront6targetE0EEEvT1_,"axG",@progbits,_ZN7rocprim17ROCPRIM_400000_NS6detail17trampoline_kernelINS0_14default_configENS1_27scan_by_key_config_selectorIiiEEZZNS1_16scan_by_key_implILNS1_25lookback_scan_determinismE0ELb0ES3_N6thrust23THRUST_200600_302600_NS6detail15normal_iteratorINS9_10device_ptrIiEEEENS9_18transform_iteratorINS9_6negateIiEESE_NS9_11use_defaultESI_EESE_iNS9_4plusIvEENS9_8equal_toIvEEiEE10hipError_tPvRmT2_T3_T4_T5_mT6_T7_P12ihipStream_tbENKUlT_T0_E_clISt17integral_constantIbLb0EES13_IbLb1EEEEDaSZ_S10_EUlSZ_E_NS1_11comp_targetILNS1_3genE10ELNS1_11target_archE1200ELNS1_3gpuE4ELNS1_3repE0EEENS1_30default_config_static_selectorELNS0_4arch9wavefront6targetE0EEEvT1_,comdat
	.protected	_ZN7rocprim17ROCPRIM_400000_NS6detail17trampoline_kernelINS0_14default_configENS1_27scan_by_key_config_selectorIiiEEZZNS1_16scan_by_key_implILNS1_25lookback_scan_determinismE0ELb0ES3_N6thrust23THRUST_200600_302600_NS6detail15normal_iteratorINS9_10device_ptrIiEEEENS9_18transform_iteratorINS9_6negateIiEESE_NS9_11use_defaultESI_EESE_iNS9_4plusIvEENS9_8equal_toIvEEiEE10hipError_tPvRmT2_T3_T4_T5_mT6_T7_P12ihipStream_tbENKUlT_T0_E_clISt17integral_constantIbLb0EES13_IbLb1EEEEDaSZ_S10_EUlSZ_E_NS1_11comp_targetILNS1_3genE10ELNS1_11target_archE1200ELNS1_3gpuE4ELNS1_3repE0EEENS1_30default_config_static_selectorELNS0_4arch9wavefront6targetE0EEEvT1_ ; -- Begin function _ZN7rocprim17ROCPRIM_400000_NS6detail17trampoline_kernelINS0_14default_configENS1_27scan_by_key_config_selectorIiiEEZZNS1_16scan_by_key_implILNS1_25lookback_scan_determinismE0ELb0ES3_N6thrust23THRUST_200600_302600_NS6detail15normal_iteratorINS9_10device_ptrIiEEEENS9_18transform_iteratorINS9_6negateIiEESE_NS9_11use_defaultESI_EESE_iNS9_4plusIvEENS9_8equal_toIvEEiEE10hipError_tPvRmT2_T3_T4_T5_mT6_T7_P12ihipStream_tbENKUlT_T0_E_clISt17integral_constantIbLb0EES13_IbLb1EEEEDaSZ_S10_EUlSZ_E_NS1_11comp_targetILNS1_3genE10ELNS1_11target_archE1200ELNS1_3gpuE4ELNS1_3repE0EEENS1_30default_config_static_selectorELNS0_4arch9wavefront6targetE0EEEvT1_
	.globl	_ZN7rocprim17ROCPRIM_400000_NS6detail17trampoline_kernelINS0_14default_configENS1_27scan_by_key_config_selectorIiiEEZZNS1_16scan_by_key_implILNS1_25lookback_scan_determinismE0ELb0ES3_N6thrust23THRUST_200600_302600_NS6detail15normal_iteratorINS9_10device_ptrIiEEEENS9_18transform_iteratorINS9_6negateIiEESE_NS9_11use_defaultESI_EESE_iNS9_4plusIvEENS9_8equal_toIvEEiEE10hipError_tPvRmT2_T3_T4_T5_mT6_T7_P12ihipStream_tbENKUlT_T0_E_clISt17integral_constantIbLb0EES13_IbLb1EEEEDaSZ_S10_EUlSZ_E_NS1_11comp_targetILNS1_3genE10ELNS1_11target_archE1200ELNS1_3gpuE4ELNS1_3repE0EEENS1_30default_config_static_selectorELNS0_4arch9wavefront6targetE0EEEvT1_
	.p2align	8
	.type	_ZN7rocprim17ROCPRIM_400000_NS6detail17trampoline_kernelINS0_14default_configENS1_27scan_by_key_config_selectorIiiEEZZNS1_16scan_by_key_implILNS1_25lookback_scan_determinismE0ELb0ES3_N6thrust23THRUST_200600_302600_NS6detail15normal_iteratorINS9_10device_ptrIiEEEENS9_18transform_iteratorINS9_6negateIiEESE_NS9_11use_defaultESI_EESE_iNS9_4plusIvEENS9_8equal_toIvEEiEE10hipError_tPvRmT2_T3_T4_T5_mT6_T7_P12ihipStream_tbENKUlT_T0_E_clISt17integral_constantIbLb0EES13_IbLb1EEEEDaSZ_S10_EUlSZ_E_NS1_11comp_targetILNS1_3genE10ELNS1_11target_archE1200ELNS1_3gpuE4ELNS1_3repE0EEENS1_30default_config_static_selectorELNS0_4arch9wavefront6targetE0EEEvT1_,@function
_ZN7rocprim17ROCPRIM_400000_NS6detail17trampoline_kernelINS0_14default_configENS1_27scan_by_key_config_selectorIiiEEZZNS1_16scan_by_key_implILNS1_25lookback_scan_determinismE0ELb0ES3_N6thrust23THRUST_200600_302600_NS6detail15normal_iteratorINS9_10device_ptrIiEEEENS9_18transform_iteratorINS9_6negateIiEESE_NS9_11use_defaultESI_EESE_iNS9_4plusIvEENS9_8equal_toIvEEiEE10hipError_tPvRmT2_T3_T4_T5_mT6_T7_P12ihipStream_tbENKUlT_T0_E_clISt17integral_constantIbLb0EES13_IbLb1EEEEDaSZ_S10_EUlSZ_E_NS1_11comp_targetILNS1_3genE10ELNS1_11target_archE1200ELNS1_3gpuE4ELNS1_3repE0EEENS1_30default_config_static_selectorELNS0_4arch9wavefront6targetE0EEEvT1_: ; @_ZN7rocprim17ROCPRIM_400000_NS6detail17trampoline_kernelINS0_14default_configENS1_27scan_by_key_config_selectorIiiEEZZNS1_16scan_by_key_implILNS1_25lookback_scan_determinismE0ELb0ES3_N6thrust23THRUST_200600_302600_NS6detail15normal_iteratorINS9_10device_ptrIiEEEENS9_18transform_iteratorINS9_6negateIiEESE_NS9_11use_defaultESI_EESE_iNS9_4plusIvEENS9_8equal_toIvEEiEE10hipError_tPvRmT2_T3_T4_T5_mT6_T7_P12ihipStream_tbENKUlT_T0_E_clISt17integral_constantIbLb0EES13_IbLb1EEEEDaSZ_S10_EUlSZ_E_NS1_11comp_targetILNS1_3genE10ELNS1_11target_archE1200ELNS1_3gpuE4ELNS1_3repE0EEENS1_30default_config_static_selectorELNS0_4arch9wavefront6targetE0EEEvT1_
; %bb.0:
	.section	.rodata,"a",@progbits
	.p2align	6, 0x0
	.amdhsa_kernel _ZN7rocprim17ROCPRIM_400000_NS6detail17trampoline_kernelINS0_14default_configENS1_27scan_by_key_config_selectorIiiEEZZNS1_16scan_by_key_implILNS1_25lookback_scan_determinismE0ELb0ES3_N6thrust23THRUST_200600_302600_NS6detail15normal_iteratorINS9_10device_ptrIiEEEENS9_18transform_iteratorINS9_6negateIiEESE_NS9_11use_defaultESI_EESE_iNS9_4plusIvEENS9_8equal_toIvEEiEE10hipError_tPvRmT2_T3_T4_T5_mT6_T7_P12ihipStream_tbENKUlT_T0_E_clISt17integral_constantIbLb0EES13_IbLb1EEEEDaSZ_S10_EUlSZ_E_NS1_11comp_targetILNS1_3genE10ELNS1_11target_archE1200ELNS1_3gpuE4ELNS1_3repE0EEENS1_30default_config_static_selectorELNS0_4arch9wavefront6targetE0EEEvT1_
		.amdhsa_group_segment_fixed_size 0
		.amdhsa_private_segment_fixed_size 0
		.amdhsa_kernarg_size 120
		.amdhsa_user_sgpr_count 2
		.amdhsa_user_sgpr_dispatch_ptr 0
		.amdhsa_user_sgpr_queue_ptr 0
		.amdhsa_user_sgpr_kernarg_segment_ptr 1
		.amdhsa_user_sgpr_dispatch_id 0
		.amdhsa_user_sgpr_kernarg_preload_length 0
		.amdhsa_user_sgpr_kernarg_preload_offset 0
		.amdhsa_user_sgpr_private_segment_size 0
		.amdhsa_wavefront_size32 1
		.amdhsa_uses_dynamic_stack 0
		.amdhsa_enable_private_segment 0
		.amdhsa_system_sgpr_workgroup_id_x 1
		.amdhsa_system_sgpr_workgroup_id_y 0
		.amdhsa_system_sgpr_workgroup_id_z 0
		.amdhsa_system_sgpr_workgroup_info 0
		.amdhsa_system_vgpr_workitem_id 0
		.amdhsa_next_free_vgpr 1
		.amdhsa_next_free_sgpr 1
		.amdhsa_named_barrier_count 0
		.amdhsa_reserve_vcc 0
		.amdhsa_float_round_mode_32 0
		.amdhsa_float_round_mode_16_64 0
		.amdhsa_float_denorm_mode_32 3
		.amdhsa_float_denorm_mode_16_64 3
		.amdhsa_fp16_overflow 0
		.amdhsa_memory_ordered 1
		.amdhsa_forward_progress 1
		.amdhsa_inst_pref_size 0
		.amdhsa_round_robin_scheduling 0
		.amdhsa_exception_fp_ieee_invalid_op 0
		.amdhsa_exception_fp_denorm_src 0
		.amdhsa_exception_fp_ieee_div_zero 0
		.amdhsa_exception_fp_ieee_overflow 0
		.amdhsa_exception_fp_ieee_underflow 0
		.amdhsa_exception_fp_ieee_inexact 0
		.amdhsa_exception_int_div_zero 0
	.end_amdhsa_kernel
	.section	.text._ZN7rocprim17ROCPRIM_400000_NS6detail17trampoline_kernelINS0_14default_configENS1_27scan_by_key_config_selectorIiiEEZZNS1_16scan_by_key_implILNS1_25lookback_scan_determinismE0ELb0ES3_N6thrust23THRUST_200600_302600_NS6detail15normal_iteratorINS9_10device_ptrIiEEEENS9_18transform_iteratorINS9_6negateIiEESE_NS9_11use_defaultESI_EESE_iNS9_4plusIvEENS9_8equal_toIvEEiEE10hipError_tPvRmT2_T3_T4_T5_mT6_T7_P12ihipStream_tbENKUlT_T0_E_clISt17integral_constantIbLb0EES13_IbLb1EEEEDaSZ_S10_EUlSZ_E_NS1_11comp_targetILNS1_3genE10ELNS1_11target_archE1200ELNS1_3gpuE4ELNS1_3repE0EEENS1_30default_config_static_selectorELNS0_4arch9wavefront6targetE0EEEvT1_,"axG",@progbits,_ZN7rocprim17ROCPRIM_400000_NS6detail17trampoline_kernelINS0_14default_configENS1_27scan_by_key_config_selectorIiiEEZZNS1_16scan_by_key_implILNS1_25lookback_scan_determinismE0ELb0ES3_N6thrust23THRUST_200600_302600_NS6detail15normal_iteratorINS9_10device_ptrIiEEEENS9_18transform_iteratorINS9_6negateIiEESE_NS9_11use_defaultESI_EESE_iNS9_4plusIvEENS9_8equal_toIvEEiEE10hipError_tPvRmT2_T3_T4_T5_mT6_T7_P12ihipStream_tbENKUlT_T0_E_clISt17integral_constantIbLb0EES13_IbLb1EEEEDaSZ_S10_EUlSZ_E_NS1_11comp_targetILNS1_3genE10ELNS1_11target_archE1200ELNS1_3gpuE4ELNS1_3repE0EEENS1_30default_config_static_selectorELNS0_4arch9wavefront6targetE0EEEvT1_,comdat
.Lfunc_end962:
	.size	_ZN7rocprim17ROCPRIM_400000_NS6detail17trampoline_kernelINS0_14default_configENS1_27scan_by_key_config_selectorIiiEEZZNS1_16scan_by_key_implILNS1_25lookback_scan_determinismE0ELb0ES3_N6thrust23THRUST_200600_302600_NS6detail15normal_iteratorINS9_10device_ptrIiEEEENS9_18transform_iteratorINS9_6negateIiEESE_NS9_11use_defaultESI_EESE_iNS9_4plusIvEENS9_8equal_toIvEEiEE10hipError_tPvRmT2_T3_T4_T5_mT6_T7_P12ihipStream_tbENKUlT_T0_E_clISt17integral_constantIbLb0EES13_IbLb1EEEEDaSZ_S10_EUlSZ_E_NS1_11comp_targetILNS1_3genE10ELNS1_11target_archE1200ELNS1_3gpuE4ELNS1_3repE0EEENS1_30default_config_static_selectorELNS0_4arch9wavefront6targetE0EEEvT1_, .Lfunc_end962-_ZN7rocprim17ROCPRIM_400000_NS6detail17trampoline_kernelINS0_14default_configENS1_27scan_by_key_config_selectorIiiEEZZNS1_16scan_by_key_implILNS1_25lookback_scan_determinismE0ELb0ES3_N6thrust23THRUST_200600_302600_NS6detail15normal_iteratorINS9_10device_ptrIiEEEENS9_18transform_iteratorINS9_6negateIiEESE_NS9_11use_defaultESI_EESE_iNS9_4plusIvEENS9_8equal_toIvEEiEE10hipError_tPvRmT2_T3_T4_T5_mT6_T7_P12ihipStream_tbENKUlT_T0_E_clISt17integral_constantIbLb0EES13_IbLb1EEEEDaSZ_S10_EUlSZ_E_NS1_11comp_targetILNS1_3genE10ELNS1_11target_archE1200ELNS1_3gpuE4ELNS1_3repE0EEENS1_30default_config_static_selectorELNS0_4arch9wavefront6targetE0EEEvT1_
                                        ; -- End function
	.set _ZN7rocprim17ROCPRIM_400000_NS6detail17trampoline_kernelINS0_14default_configENS1_27scan_by_key_config_selectorIiiEEZZNS1_16scan_by_key_implILNS1_25lookback_scan_determinismE0ELb0ES3_N6thrust23THRUST_200600_302600_NS6detail15normal_iteratorINS9_10device_ptrIiEEEENS9_18transform_iteratorINS9_6negateIiEESE_NS9_11use_defaultESI_EESE_iNS9_4plusIvEENS9_8equal_toIvEEiEE10hipError_tPvRmT2_T3_T4_T5_mT6_T7_P12ihipStream_tbENKUlT_T0_E_clISt17integral_constantIbLb0EES13_IbLb1EEEEDaSZ_S10_EUlSZ_E_NS1_11comp_targetILNS1_3genE10ELNS1_11target_archE1200ELNS1_3gpuE4ELNS1_3repE0EEENS1_30default_config_static_selectorELNS0_4arch9wavefront6targetE0EEEvT1_.num_vgpr, 0
	.set _ZN7rocprim17ROCPRIM_400000_NS6detail17trampoline_kernelINS0_14default_configENS1_27scan_by_key_config_selectorIiiEEZZNS1_16scan_by_key_implILNS1_25lookback_scan_determinismE0ELb0ES3_N6thrust23THRUST_200600_302600_NS6detail15normal_iteratorINS9_10device_ptrIiEEEENS9_18transform_iteratorINS9_6negateIiEESE_NS9_11use_defaultESI_EESE_iNS9_4plusIvEENS9_8equal_toIvEEiEE10hipError_tPvRmT2_T3_T4_T5_mT6_T7_P12ihipStream_tbENKUlT_T0_E_clISt17integral_constantIbLb0EES13_IbLb1EEEEDaSZ_S10_EUlSZ_E_NS1_11comp_targetILNS1_3genE10ELNS1_11target_archE1200ELNS1_3gpuE4ELNS1_3repE0EEENS1_30default_config_static_selectorELNS0_4arch9wavefront6targetE0EEEvT1_.num_agpr, 0
	.set _ZN7rocprim17ROCPRIM_400000_NS6detail17trampoline_kernelINS0_14default_configENS1_27scan_by_key_config_selectorIiiEEZZNS1_16scan_by_key_implILNS1_25lookback_scan_determinismE0ELb0ES3_N6thrust23THRUST_200600_302600_NS6detail15normal_iteratorINS9_10device_ptrIiEEEENS9_18transform_iteratorINS9_6negateIiEESE_NS9_11use_defaultESI_EESE_iNS9_4plusIvEENS9_8equal_toIvEEiEE10hipError_tPvRmT2_T3_T4_T5_mT6_T7_P12ihipStream_tbENKUlT_T0_E_clISt17integral_constantIbLb0EES13_IbLb1EEEEDaSZ_S10_EUlSZ_E_NS1_11comp_targetILNS1_3genE10ELNS1_11target_archE1200ELNS1_3gpuE4ELNS1_3repE0EEENS1_30default_config_static_selectorELNS0_4arch9wavefront6targetE0EEEvT1_.numbered_sgpr, 0
	.set _ZN7rocprim17ROCPRIM_400000_NS6detail17trampoline_kernelINS0_14default_configENS1_27scan_by_key_config_selectorIiiEEZZNS1_16scan_by_key_implILNS1_25lookback_scan_determinismE0ELb0ES3_N6thrust23THRUST_200600_302600_NS6detail15normal_iteratorINS9_10device_ptrIiEEEENS9_18transform_iteratorINS9_6negateIiEESE_NS9_11use_defaultESI_EESE_iNS9_4plusIvEENS9_8equal_toIvEEiEE10hipError_tPvRmT2_T3_T4_T5_mT6_T7_P12ihipStream_tbENKUlT_T0_E_clISt17integral_constantIbLb0EES13_IbLb1EEEEDaSZ_S10_EUlSZ_E_NS1_11comp_targetILNS1_3genE10ELNS1_11target_archE1200ELNS1_3gpuE4ELNS1_3repE0EEENS1_30default_config_static_selectorELNS0_4arch9wavefront6targetE0EEEvT1_.num_named_barrier, 0
	.set _ZN7rocprim17ROCPRIM_400000_NS6detail17trampoline_kernelINS0_14default_configENS1_27scan_by_key_config_selectorIiiEEZZNS1_16scan_by_key_implILNS1_25lookback_scan_determinismE0ELb0ES3_N6thrust23THRUST_200600_302600_NS6detail15normal_iteratorINS9_10device_ptrIiEEEENS9_18transform_iteratorINS9_6negateIiEESE_NS9_11use_defaultESI_EESE_iNS9_4plusIvEENS9_8equal_toIvEEiEE10hipError_tPvRmT2_T3_T4_T5_mT6_T7_P12ihipStream_tbENKUlT_T0_E_clISt17integral_constantIbLb0EES13_IbLb1EEEEDaSZ_S10_EUlSZ_E_NS1_11comp_targetILNS1_3genE10ELNS1_11target_archE1200ELNS1_3gpuE4ELNS1_3repE0EEENS1_30default_config_static_selectorELNS0_4arch9wavefront6targetE0EEEvT1_.private_seg_size, 0
	.set _ZN7rocprim17ROCPRIM_400000_NS6detail17trampoline_kernelINS0_14default_configENS1_27scan_by_key_config_selectorIiiEEZZNS1_16scan_by_key_implILNS1_25lookback_scan_determinismE0ELb0ES3_N6thrust23THRUST_200600_302600_NS6detail15normal_iteratorINS9_10device_ptrIiEEEENS9_18transform_iteratorINS9_6negateIiEESE_NS9_11use_defaultESI_EESE_iNS9_4plusIvEENS9_8equal_toIvEEiEE10hipError_tPvRmT2_T3_T4_T5_mT6_T7_P12ihipStream_tbENKUlT_T0_E_clISt17integral_constantIbLb0EES13_IbLb1EEEEDaSZ_S10_EUlSZ_E_NS1_11comp_targetILNS1_3genE10ELNS1_11target_archE1200ELNS1_3gpuE4ELNS1_3repE0EEENS1_30default_config_static_selectorELNS0_4arch9wavefront6targetE0EEEvT1_.uses_vcc, 0
	.set _ZN7rocprim17ROCPRIM_400000_NS6detail17trampoline_kernelINS0_14default_configENS1_27scan_by_key_config_selectorIiiEEZZNS1_16scan_by_key_implILNS1_25lookback_scan_determinismE0ELb0ES3_N6thrust23THRUST_200600_302600_NS6detail15normal_iteratorINS9_10device_ptrIiEEEENS9_18transform_iteratorINS9_6negateIiEESE_NS9_11use_defaultESI_EESE_iNS9_4plusIvEENS9_8equal_toIvEEiEE10hipError_tPvRmT2_T3_T4_T5_mT6_T7_P12ihipStream_tbENKUlT_T0_E_clISt17integral_constantIbLb0EES13_IbLb1EEEEDaSZ_S10_EUlSZ_E_NS1_11comp_targetILNS1_3genE10ELNS1_11target_archE1200ELNS1_3gpuE4ELNS1_3repE0EEENS1_30default_config_static_selectorELNS0_4arch9wavefront6targetE0EEEvT1_.uses_flat_scratch, 0
	.set _ZN7rocprim17ROCPRIM_400000_NS6detail17trampoline_kernelINS0_14default_configENS1_27scan_by_key_config_selectorIiiEEZZNS1_16scan_by_key_implILNS1_25lookback_scan_determinismE0ELb0ES3_N6thrust23THRUST_200600_302600_NS6detail15normal_iteratorINS9_10device_ptrIiEEEENS9_18transform_iteratorINS9_6negateIiEESE_NS9_11use_defaultESI_EESE_iNS9_4plusIvEENS9_8equal_toIvEEiEE10hipError_tPvRmT2_T3_T4_T5_mT6_T7_P12ihipStream_tbENKUlT_T0_E_clISt17integral_constantIbLb0EES13_IbLb1EEEEDaSZ_S10_EUlSZ_E_NS1_11comp_targetILNS1_3genE10ELNS1_11target_archE1200ELNS1_3gpuE4ELNS1_3repE0EEENS1_30default_config_static_selectorELNS0_4arch9wavefront6targetE0EEEvT1_.has_dyn_sized_stack, 0
	.set _ZN7rocprim17ROCPRIM_400000_NS6detail17trampoline_kernelINS0_14default_configENS1_27scan_by_key_config_selectorIiiEEZZNS1_16scan_by_key_implILNS1_25lookback_scan_determinismE0ELb0ES3_N6thrust23THRUST_200600_302600_NS6detail15normal_iteratorINS9_10device_ptrIiEEEENS9_18transform_iteratorINS9_6negateIiEESE_NS9_11use_defaultESI_EESE_iNS9_4plusIvEENS9_8equal_toIvEEiEE10hipError_tPvRmT2_T3_T4_T5_mT6_T7_P12ihipStream_tbENKUlT_T0_E_clISt17integral_constantIbLb0EES13_IbLb1EEEEDaSZ_S10_EUlSZ_E_NS1_11comp_targetILNS1_3genE10ELNS1_11target_archE1200ELNS1_3gpuE4ELNS1_3repE0EEENS1_30default_config_static_selectorELNS0_4arch9wavefront6targetE0EEEvT1_.has_recursion, 0
	.set _ZN7rocprim17ROCPRIM_400000_NS6detail17trampoline_kernelINS0_14default_configENS1_27scan_by_key_config_selectorIiiEEZZNS1_16scan_by_key_implILNS1_25lookback_scan_determinismE0ELb0ES3_N6thrust23THRUST_200600_302600_NS6detail15normal_iteratorINS9_10device_ptrIiEEEENS9_18transform_iteratorINS9_6negateIiEESE_NS9_11use_defaultESI_EESE_iNS9_4plusIvEENS9_8equal_toIvEEiEE10hipError_tPvRmT2_T3_T4_T5_mT6_T7_P12ihipStream_tbENKUlT_T0_E_clISt17integral_constantIbLb0EES13_IbLb1EEEEDaSZ_S10_EUlSZ_E_NS1_11comp_targetILNS1_3genE10ELNS1_11target_archE1200ELNS1_3gpuE4ELNS1_3repE0EEENS1_30default_config_static_selectorELNS0_4arch9wavefront6targetE0EEEvT1_.has_indirect_call, 0
	.section	.AMDGPU.csdata,"",@progbits
; Kernel info:
; codeLenInByte = 0
; TotalNumSgprs: 0
; NumVgprs: 0
; ScratchSize: 0
; MemoryBound: 0
; FloatMode: 240
; IeeeMode: 1
; LDSByteSize: 0 bytes/workgroup (compile time only)
; SGPRBlocks: 0
; VGPRBlocks: 0
; NumSGPRsForWavesPerEU: 1
; NumVGPRsForWavesPerEU: 1
; NamedBarCnt: 0
; Occupancy: 16
; WaveLimiterHint : 0
; COMPUTE_PGM_RSRC2:SCRATCH_EN: 0
; COMPUTE_PGM_RSRC2:USER_SGPR: 2
; COMPUTE_PGM_RSRC2:TRAP_HANDLER: 0
; COMPUTE_PGM_RSRC2:TGID_X_EN: 1
; COMPUTE_PGM_RSRC2:TGID_Y_EN: 0
; COMPUTE_PGM_RSRC2:TGID_Z_EN: 0
; COMPUTE_PGM_RSRC2:TIDIG_COMP_CNT: 0
	.section	.text._ZN7rocprim17ROCPRIM_400000_NS6detail17trampoline_kernelINS0_14default_configENS1_27scan_by_key_config_selectorIiiEEZZNS1_16scan_by_key_implILNS1_25lookback_scan_determinismE0ELb0ES3_N6thrust23THRUST_200600_302600_NS6detail15normal_iteratorINS9_10device_ptrIiEEEENS9_18transform_iteratorINS9_6negateIiEESE_NS9_11use_defaultESI_EESE_iNS9_4plusIvEENS9_8equal_toIvEEiEE10hipError_tPvRmT2_T3_T4_T5_mT6_T7_P12ihipStream_tbENKUlT_T0_E_clISt17integral_constantIbLb0EES13_IbLb1EEEEDaSZ_S10_EUlSZ_E_NS1_11comp_targetILNS1_3genE9ELNS1_11target_archE1100ELNS1_3gpuE3ELNS1_3repE0EEENS1_30default_config_static_selectorELNS0_4arch9wavefront6targetE0EEEvT1_,"axG",@progbits,_ZN7rocprim17ROCPRIM_400000_NS6detail17trampoline_kernelINS0_14default_configENS1_27scan_by_key_config_selectorIiiEEZZNS1_16scan_by_key_implILNS1_25lookback_scan_determinismE0ELb0ES3_N6thrust23THRUST_200600_302600_NS6detail15normal_iteratorINS9_10device_ptrIiEEEENS9_18transform_iteratorINS9_6negateIiEESE_NS9_11use_defaultESI_EESE_iNS9_4plusIvEENS9_8equal_toIvEEiEE10hipError_tPvRmT2_T3_T4_T5_mT6_T7_P12ihipStream_tbENKUlT_T0_E_clISt17integral_constantIbLb0EES13_IbLb1EEEEDaSZ_S10_EUlSZ_E_NS1_11comp_targetILNS1_3genE9ELNS1_11target_archE1100ELNS1_3gpuE3ELNS1_3repE0EEENS1_30default_config_static_selectorELNS0_4arch9wavefront6targetE0EEEvT1_,comdat
	.protected	_ZN7rocprim17ROCPRIM_400000_NS6detail17trampoline_kernelINS0_14default_configENS1_27scan_by_key_config_selectorIiiEEZZNS1_16scan_by_key_implILNS1_25lookback_scan_determinismE0ELb0ES3_N6thrust23THRUST_200600_302600_NS6detail15normal_iteratorINS9_10device_ptrIiEEEENS9_18transform_iteratorINS9_6negateIiEESE_NS9_11use_defaultESI_EESE_iNS9_4plusIvEENS9_8equal_toIvEEiEE10hipError_tPvRmT2_T3_T4_T5_mT6_T7_P12ihipStream_tbENKUlT_T0_E_clISt17integral_constantIbLb0EES13_IbLb1EEEEDaSZ_S10_EUlSZ_E_NS1_11comp_targetILNS1_3genE9ELNS1_11target_archE1100ELNS1_3gpuE3ELNS1_3repE0EEENS1_30default_config_static_selectorELNS0_4arch9wavefront6targetE0EEEvT1_ ; -- Begin function _ZN7rocprim17ROCPRIM_400000_NS6detail17trampoline_kernelINS0_14default_configENS1_27scan_by_key_config_selectorIiiEEZZNS1_16scan_by_key_implILNS1_25lookback_scan_determinismE0ELb0ES3_N6thrust23THRUST_200600_302600_NS6detail15normal_iteratorINS9_10device_ptrIiEEEENS9_18transform_iteratorINS9_6negateIiEESE_NS9_11use_defaultESI_EESE_iNS9_4plusIvEENS9_8equal_toIvEEiEE10hipError_tPvRmT2_T3_T4_T5_mT6_T7_P12ihipStream_tbENKUlT_T0_E_clISt17integral_constantIbLb0EES13_IbLb1EEEEDaSZ_S10_EUlSZ_E_NS1_11comp_targetILNS1_3genE9ELNS1_11target_archE1100ELNS1_3gpuE3ELNS1_3repE0EEENS1_30default_config_static_selectorELNS0_4arch9wavefront6targetE0EEEvT1_
	.globl	_ZN7rocprim17ROCPRIM_400000_NS6detail17trampoline_kernelINS0_14default_configENS1_27scan_by_key_config_selectorIiiEEZZNS1_16scan_by_key_implILNS1_25lookback_scan_determinismE0ELb0ES3_N6thrust23THRUST_200600_302600_NS6detail15normal_iteratorINS9_10device_ptrIiEEEENS9_18transform_iteratorINS9_6negateIiEESE_NS9_11use_defaultESI_EESE_iNS9_4plusIvEENS9_8equal_toIvEEiEE10hipError_tPvRmT2_T3_T4_T5_mT6_T7_P12ihipStream_tbENKUlT_T0_E_clISt17integral_constantIbLb0EES13_IbLb1EEEEDaSZ_S10_EUlSZ_E_NS1_11comp_targetILNS1_3genE9ELNS1_11target_archE1100ELNS1_3gpuE3ELNS1_3repE0EEENS1_30default_config_static_selectorELNS0_4arch9wavefront6targetE0EEEvT1_
	.p2align	8
	.type	_ZN7rocprim17ROCPRIM_400000_NS6detail17trampoline_kernelINS0_14default_configENS1_27scan_by_key_config_selectorIiiEEZZNS1_16scan_by_key_implILNS1_25lookback_scan_determinismE0ELb0ES3_N6thrust23THRUST_200600_302600_NS6detail15normal_iteratorINS9_10device_ptrIiEEEENS9_18transform_iteratorINS9_6negateIiEESE_NS9_11use_defaultESI_EESE_iNS9_4plusIvEENS9_8equal_toIvEEiEE10hipError_tPvRmT2_T3_T4_T5_mT6_T7_P12ihipStream_tbENKUlT_T0_E_clISt17integral_constantIbLb0EES13_IbLb1EEEEDaSZ_S10_EUlSZ_E_NS1_11comp_targetILNS1_3genE9ELNS1_11target_archE1100ELNS1_3gpuE3ELNS1_3repE0EEENS1_30default_config_static_selectorELNS0_4arch9wavefront6targetE0EEEvT1_,@function
_ZN7rocprim17ROCPRIM_400000_NS6detail17trampoline_kernelINS0_14default_configENS1_27scan_by_key_config_selectorIiiEEZZNS1_16scan_by_key_implILNS1_25lookback_scan_determinismE0ELb0ES3_N6thrust23THRUST_200600_302600_NS6detail15normal_iteratorINS9_10device_ptrIiEEEENS9_18transform_iteratorINS9_6negateIiEESE_NS9_11use_defaultESI_EESE_iNS9_4plusIvEENS9_8equal_toIvEEiEE10hipError_tPvRmT2_T3_T4_T5_mT6_T7_P12ihipStream_tbENKUlT_T0_E_clISt17integral_constantIbLb0EES13_IbLb1EEEEDaSZ_S10_EUlSZ_E_NS1_11comp_targetILNS1_3genE9ELNS1_11target_archE1100ELNS1_3gpuE3ELNS1_3repE0EEENS1_30default_config_static_selectorELNS0_4arch9wavefront6targetE0EEEvT1_: ; @_ZN7rocprim17ROCPRIM_400000_NS6detail17trampoline_kernelINS0_14default_configENS1_27scan_by_key_config_selectorIiiEEZZNS1_16scan_by_key_implILNS1_25lookback_scan_determinismE0ELb0ES3_N6thrust23THRUST_200600_302600_NS6detail15normal_iteratorINS9_10device_ptrIiEEEENS9_18transform_iteratorINS9_6negateIiEESE_NS9_11use_defaultESI_EESE_iNS9_4plusIvEENS9_8equal_toIvEEiEE10hipError_tPvRmT2_T3_T4_T5_mT6_T7_P12ihipStream_tbENKUlT_T0_E_clISt17integral_constantIbLb0EES13_IbLb1EEEEDaSZ_S10_EUlSZ_E_NS1_11comp_targetILNS1_3genE9ELNS1_11target_archE1100ELNS1_3gpuE3ELNS1_3repE0EEENS1_30default_config_static_selectorELNS0_4arch9wavefront6targetE0EEEvT1_
; %bb.0:
	.section	.rodata,"a",@progbits
	.p2align	6, 0x0
	.amdhsa_kernel _ZN7rocprim17ROCPRIM_400000_NS6detail17trampoline_kernelINS0_14default_configENS1_27scan_by_key_config_selectorIiiEEZZNS1_16scan_by_key_implILNS1_25lookback_scan_determinismE0ELb0ES3_N6thrust23THRUST_200600_302600_NS6detail15normal_iteratorINS9_10device_ptrIiEEEENS9_18transform_iteratorINS9_6negateIiEESE_NS9_11use_defaultESI_EESE_iNS9_4plusIvEENS9_8equal_toIvEEiEE10hipError_tPvRmT2_T3_T4_T5_mT6_T7_P12ihipStream_tbENKUlT_T0_E_clISt17integral_constantIbLb0EES13_IbLb1EEEEDaSZ_S10_EUlSZ_E_NS1_11comp_targetILNS1_3genE9ELNS1_11target_archE1100ELNS1_3gpuE3ELNS1_3repE0EEENS1_30default_config_static_selectorELNS0_4arch9wavefront6targetE0EEEvT1_
		.amdhsa_group_segment_fixed_size 0
		.amdhsa_private_segment_fixed_size 0
		.amdhsa_kernarg_size 120
		.amdhsa_user_sgpr_count 2
		.amdhsa_user_sgpr_dispatch_ptr 0
		.amdhsa_user_sgpr_queue_ptr 0
		.amdhsa_user_sgpr_kernarg_segment_ptr 1
		.amdhsa_user_sgpr_dispatch_id 0
		.amdhsa_user_sgpr_kernarg_preload_length 0
		.amdhsa_user_sgpr_kernarg_preload_offset 0
		.amdhsa_user_sgpr_private_segment_size 0
		.amdhsa_wavefront_size32 1
		.amdhsa_uses_dynamic_stack 0
		.amdhsa_enable_private_segment 0
		.amdhsa_system_sgpr_workgroup_id_x 1
		.amdhsa_system_sgpr_workgroup_id_y 0
		.amdhsa_system_sgpr_workgroup_id_z 0
		.amdhsa_system_sgpr_workgroup_info 0
		.amdhsa_system_vgpr_workitem_id 0
		.amdhsa_next_free_vgpr 1
		.amdhsa_next_free_sgpr 1
		.amdhsa_named_barrier_count 0
		.amdhsa_reserve_vcc 0
		.amdhsa_float_round_mode_32 0
		.amdhsa_float_round_mode_16_64 0
		.amdhsa_float_denorm_mode_32 3
		.amdhsa_float_denorm_mode_16_64 3
		.amdhsa_fp16_overflow 0
		.amdhsa_memory_ordered 1
		.amdhsa_forward_progress 1
		.amdhsa_inst_pref_size 0
		.amdhsa_round_robin_scheduling 0
		.amdhsa_exception_fp_ieee_invalid_op 0
		.amdhsa_exception_fp_denorm_src 0
		.amdhsa_exception_fp_ieee_div_zero 0
		.amdhsa_exception_fp_ieee_overflow 0
		.amdhsa_exception_fp_ieee_underflow 0
		.amdhsa_exception_fp_ieee_inexact 0
		.amdhsa_exception_int_div_zero 0
	.end_amdhsa_kernel
	.section	.text._ZN7rocprim17ROCPRIM_400000_NS6detail17trampoline_kernelINS0_14default_configENS1_27scan_by_key_config_selectorIiiEEZZNS1_16scan_by_key_implILNS1_25lookback_scan_determinismE0ELb0ES3_N6thrust23THRUST_200600_302600_NS6detail15normal_iteratorINS9_10device_ptrIiEEEENS9_18transform_iteratorINS9_6negateIiEESE_NS9_11use_defaultESI_EESE_iNS9_4plusIvEENS9_8equal_toIvEEiEE10hipError_tPvRmT2_T3_T4_T5_mT6_T7_P12ihipStream_tbENKUlT_T0_E_clISt17integral_constantIbLb0EES13_IbLb1EEEEDaSZ_S10_EUlSZ_E_NS1_11comp_targetILNS1_3genE9ELNS1_11target_archE1100ELNS1_3gpuE3ELNS1_3repE0EEENS1_30default_config_static_selectorELNS0_4arch9wavefront6targetE0EEEvT1_,"axG",@progbits,_ZN7rocprim17ROCPRIM_400000_NS6detail17trampoline_kernelINS0_14default_configENS1_27scan_by_key_config_selectorIiiEEZZNS1_16scan_by_key_implILNS1_25lookback_scan_determinismE0ELb0ES3_N6thrust23THRUST_200600_302600_NS6detail15normal_iteratorINS9_10device_ptrIiEEEENS9_18transform_iteratorINS9_6negateIiEESE_NS9_11use_defaultESI_EESE_iNS9_4plusIvEENS9_8equal_toIvEEiEE10hipError_tPvRmT2_T3_T4_T5_mT6_T7_P12ihipStream_tbENKUlT_T0_E_clISt17integral_constantIbLb0EES13_IbLb1EEEEDaSZ_S10_EUlSZ_E_NS1_11comp_targetILNS1_3genE9ELNS1_11target_archE1100ELNS1_3gpuE3ELNS1_3repE0EEENS1_30default_config_static_selectorELNS0_4arch9wavefront6targetE0EEEvT1_,comdat
.Lfunc_end963:
	.size	_ZN7rocprim17ROCPRIM_400000_NS6detail17trampoline_kernelINS0_14default_configENS1_27scan_by_key_config_selectorIiiEEZZNS1_16scan_by_key_implILNS1_25lookback_scan_determinismE0ELb0ES3_N6thrust23THRUST_200600_302600_NS6detail15normal_iteratorINS9_10device_ptrIiEEEENS9_18transform_iteratorINS9_6negateIiEESE_NS9_11use_defaultESI_EESE_iNS9_4plusIvEENS9_8equal_toIvEEiEE10hipError_tPvRmT2_T3_T4_T5_mT6_T7_P12ihipStream_tbENKUlT_T0_E_clISt17integral_constantIbLb0EES13_IbLb1EEEEDaSZ_S10_EUlSZ_E_NS1_11comp_targetILNS1_3genE9ELNS1_11target_archE1100ELNS1_3gpuE3ELNS1_3repE0EEENS1_30default_config_static_selectorELNS0_4arch9wavefront6targetE0EEEvT1_, .Lfunc_end963-_ZN7rocprim17ROCPRIM_400000_NS6detail17trampoline_kernelINS0_14default_configENS1_27scan_by_key_config_selectorIiiEEZZNS1_16scan_by_key_implILNS1_25lookback_scan_determinismE0ELb0ES3_N6thrust23THRUST_200600_302600_NS6detail15normal_iteratorINS9_10device_ptrIiEEEENS9_18transform_iteratorINS9_6negateIiEESE_NS9_11use_defaultESI_EESE_iNS9_4plusIvEENS9_8equal_toIvEEiEE10hipError_tPvRmT2_T3_T4_T5_mT6_T7_P12ihipStream_tbENKUlT_T0_E_clISt17integral_constantIbLb0EES13_IbLb1EEEEDaSZ_S10_EUlSZ_E_NS1_11comp_targetILNS1_3genE9ELNS1_11target_archE1100ELNS1_3gpuE3ELNS1_3repE0EEENS1_30default_config_static_selectorELNS0_4arch9wavefront6targetE0EEEvT1_
                                        ; -- End function
	.set _ZN7rocprim17ROCPRIM_400000_NS6detail17trampoline_kernelINS0_14default_configENS1_27scan_by_key_config_selectorIiiEEZZNS1_16scan_by_key_implILNS1_25lookback_scan_determinismE0ELb0ES3_N6thrust23THRUST_200600_302600_NS6detail15normal_iteratorINS9_10device_ptrIiEEEENS9_18transform_iteratorINS9_6negateIiEESE_NS9_11use_defaultESI_EESE_iNS9_4plusIvEENS9_8equal_toIvEEiEE10hipError_tPvRmT2_T3_T4_T5_mT6_T7_P12ihipStream_tbENKUlT_T0_E_clISt17integral_constantIbLb0EES13_IbLb1EEEEDaSZ_S10_EUlSZ_E_NS1_11comp_targetILNS1_3genE9ELNS1_11target_archE1100ELNS1_3gpuE3ELNS1_3repE0EEENS1_30default_config_static_selectorELNS0_4arch9wavefront6targetE0EEEvT1_.num_vgpr, 0
	.set _ZN7rocprim17ROCPRIM_400000_NS6detail17trampoline_kernelINS0_14default_configENS1_27scan_by_key_config_selectorIiiEEZZNS1_16scan_by_key_implILNS1_25lookback_scan_determinismE0ELb0ES3_N6thrust23THRUST_200600_302600_NS6detail15normal_iteratorINS9_10device_ptrIiEEEENS9_18transform_iteratorINS9_6negateIiEESE_NS9_11use_defaultESI_EESE_iNS9_4plusIvEENS9_8equal_toIvEEiEE10hipError_tPvRmT2_T3_T4_T5_mT6_T7_P12ihipStream_tbENKUlT_T0_E_clISt17integral_constantIbLb0EES13_IbLb1EEEEDaSZ_S10_EUlSZ_E_NS1_11comp_targetILNS1_3genE9ELNS1_11target_archE1100ELNS1_3gpuE3ELNS1_3repE0EEENS1_30default_config_static_selectorELNS0_4arch9wavefront6targetE0EEEvT1_.num_agpr, 0
	.set _ZN7rocprim17ROCPRIM_400000_NS6detail17trampoline_kernelINS0_14default_configENS1_27scan_by_key_config_selectorIiiEEZZNS1_16scan_by_key_implILNS1_25lookback_scan_determinismE0ELb0ES3_N6thrust23THRUST_200600_302600_NS6detail15normal_iteratorINS9_10device_ptrIiEEEENS9_18transform_iteratorINS9_6negateIiEESE_NS9_11use_defaultESI_EESE_iNS9_4plusIvEENS9_8equal_toIvEEiEE10hipError_tPvRmT2_T3_T4_T5_mT6_T7_P12ihipStream_tbENKUlT_T0_E_clISt17integral_constantIbLb0EES13_IbLb1EEEEDaSZ_S10_EUlSZ_E_NS1_11comp_targetILNS1_3genE9ELNS1_11target_archE1100ELNS1_3gpuE3ELNS1_3repE0EEENS1_30default_config_static_selectorELNS0_4arch9wavefront6targetE0EEEvT1_.numbered_sgpr, 0
	.set _ZN7rocprim17ROCPRIM_400000_NS6detail17trampoline_kernelINS0_14default_configENS1_27scan_by_key_config_selectorIiiEEZZNS1_16scan_by_key_implILNS1_25lookback_scan_determinismE0ELb0ES3_N6thrust23THRUST_200600_302600_NS6detail15normal_iteratorINS9_10device_ptrIiEEEENS9_18transform_iteratorINS9_6negateIiEESE_NS9_11use_defaultESI_EESE_iNS9_4plusIvEENS9_8equal_toIvEEiEE10hipError_tPvRmT2_T3_T4_T5_mT6_T7_P12ihipStream_tbENKUlT_T0_E_clISt17integral_constantIbLb0EES13_IbLb1EEEEDaSZ_S10_EUlSZ_E_NS1_11comp_targetILNS1_3genE9ELNS1_11target_archE1100ELNS1_3gpuE3ELNS1_3repE0EEENS1_30default_config_static_selectorELNS0_4arch9wavefront6targetE0EEEvT1_.num_named_barrier, 0
	.set _ZN7rocprim17ROCPRIM_400000_NS6detail17trampoline_kernelINS0_14default_configENS1_27scan_by_key_config_selectorIiiEEZZNS1_16scan_by_key_implILNS1_25lookback_scan_determinismE0ELb0ES3_N6thrust23THRUST_200600_302600_NS6detail15normal_iteratorINS9_10device_ptrIiEEEENS9_18transform_iteratorINS9_6negateIiEESE_NS9_11use_defaultESI_EESE_iNS9_4plusIvEENS9_8equal_toIvEEiEE10hipError_tPvRmT2_T3_T4_T5_mT6_T7_P12ihipStream_tbENKUlT_T0_E_clISt17integral_constantIbLb0EES13_IbLb1EEEEDaSZ_S10_EUlSZ_E_NS1_11comp_targetILNS1_3genE9ELNS1_11target_archE1100ELNS1_3gpuE3ELNS1_3repE0EEENS1_30default_config_static_selectorELNS0_4arch9wavefront6targetE0EEEvT1_.private_seg_size, 0
	.set _ZN7rocprim17ROCPRIM_400000_NS6detail17trampoline_kernelINS0_14default_configENS1_27scan_by_key_config_selectorIiiEEZZNS1_16scan_by_key_implILNS1_25lookback_scan_determinismE0ELb0ES3_N6thrust23THRUST_200600_302600_NS6detail15normal_iteratorINS9_10device_ptrIiEEEENS9_18transform_iteratorINS9_6negateIiEESE_NS9_11use_defaultESI_EESE_iNS9_4plusIvEENS9_8equal_toIvEEiEE10hipError_tPvRmT2_T3_T4_T5_mT6_T7_P12ihipStream_tbENKUlT_T0_E_clISt17integral_constantIbLb0EES13_IbLb1EEEEDaSZ_S10_EUlSZ_E_NS1_11comp_targetILNS1_3genE9ELNS1_11target_archE1100ELNS1_3gpuE3ELNS1_3repE0EEENS1_30default_config_static_selectorELNS0_4arch9wavefront6targetE0EEEvT1_.uses_vcc, 0
	.set _ZN7rocprim17ROCPRIM_400000_NS6detail17trampoline_kernelINS0_14default_configENS1_27scan_by_key_config_selectorIiiEEZZNS1_16scan_by_key_implILNS1_25lookback_scan_determinismE0ELb0ES3_N6thrust23THRUST_200600_302600_NS6detail15normal_iteratorINS9_10device_ptrIiEEEENS9_18transform_iteratorINS9_6negateIiEESE_NS9_11use_defaultESI_EESE_iNS9_4plusIvEENS9_8equal_toIvEEiEE10hipError_tPvRmT2_T3_T4_T5_mT6_T7_P12ihipStream_tbENKUlT_T0_E_clISt17integral_constantIbLb0EES13_IbLb1EEEEDaSZ_S10_EUlSZ_E_NS1_11comp_targetILNS1_3genE9ELNS1_11target_archE1100ELNS1_3gpuE3ELNS1_3repE0EEENS1_30default_config_static_selectorELNS0_4arch9wavefront6targetE0EEEvT1_.uses_flat_scratch, 0
	.set _ZN7rocprim17ROCPRIM_400000_NS6detail17trampoline_kernelINS0_14default_configENS1_27scan_by_key_config_selectorIiiEEZZNS1_16scan_by_key_implILNS1_25lookback_scan_determinismE0ELb0ES3_N6thrust23THRUST_200600_302600_NS6detail15normal_iteratorINS9_10device_ptrIiEEEENS9_18transform_iteratorINS9_6negateIiEESE_NS9_11use_defaultESI_EESE_iNS9_4plusIvEENS9_8equal_toIvEEiEE10hipError_tPvRmT2_T3_T4_T5_mT6_T7_P12ihipStream_tbENKUlT_T0_E_clISt17integral_constantIbLb0EES13_IbLb1EEEEDaSZ_S10_EUlSZ_E_NS1_11comp_targetILNS1_3genE9ELNS1_11target_archE1100ELNS1_3gpuE3ELNS1_3repE0EEENS1_30default_config_static_selectorELNS0_4arch9wavefront6targetE0EEEvT1_.has_dyn_sized_stack, 0
	.set _ZN7rocprim17ROCPRIM_400000_NS6detail17trampoline_kernelINS0_14default_configENS1_27scan_by_key_config_selectorIiiEEZZNS1_16scan_by_key_implILNS1_25lookback_scan_determinismE0ELb0ES3_N6thrust23THRUST_200600_302600_NS6detail15normal_iteratorINS9_10device_ptrIiEEEENS9_18transform_iteratorINS9_6negateIiEESE_NS9_11use_defaultESI_EESE_iNS9_4plusIvEENS9_8equal_toIvEEiEE10hipError_tPvRmT2_T3_T4_T5_mT6_T7_P12ihipStream_tbENKUlT_T0_E_clISt17integral_constantIbLb0EES13_IbLb1EEEEDaSZ_S10_EUlSZ_E_NS1_11comp_targetILNS1_3genE9ELNS1_11target_archE1100ELNS1_3gpuE3ELNS1_3repE0EEENS1_30default_config_static_selectorELNS0_4arch9wavefront6targetE0EEEvT1_.has_recursion, 0
	.set _ZN7rocprim17ROCPRIM_400000_NS6detail17trampoline_kernelINS0_14default_configENS1_27scan_by_key_config_selectorIiiEEZZNS1_16scan_by_key_implILNS1_25lookback_scan_determinismE0ELb0ES3_N6thrust23THRUST_200600_302600_NS6detail15normal_iteratorINS9_10device_ptrIiEEEENS9_18transform_iteratorINS9_6negateIiEESE_NS9_11use_defaultESI_EESE_iNS9_4plusIvEENS9_8equal_toIvEEiEE10hipError_tPvRmT2_T3_T4_T5_mT6_T7_P12ihipStream_tbENKUlT_T0_E_clISt17integral_constantIbLb0EES13_IbLb1EEEEDaSZ_S10_EUlSZ_E_NS1_11comp_targetILNS1_3genE9ELNS1_11target_archE1100ELNS1_3gpuE3ELNS1_3repE0EEENS1_30default_config_static_selectorELNS0_4arch9wavefront6targetE0EEEvT1_.has_indirect_call, 0
	.section	.AMDGPU.csdata,"",@progbits
; Kernel info:
; codeLenInByte = 0
; TotalNumSgprs: 0
; NumVgprs: 0
; ScratchSize: 0
; MemoryBound: 0
; FloatMode: 240
; IeeeMode: 1
; LDSByteSize: 0 bytes/workgroup (compile time only)
; SGPRBlocks: 0
; VGPRBlocks: 0
; NumSGPRsForWavesPerEU: 1
; NumVGPRsForWavesPerEU: 1
; NamedBarCnt: 0
; Occupancy: 16
; WaveLimiterHint : 0
; COMPUTE_PGM_RSRC2:SCRATCH_EN: 0
; COMPUTE_PGM_RSRC2:USER_SGPR: 2
; COMPUTE_PGM_RSRC2:TRAP_HANDLER: 0
; COMPUTE_PGM_RSRC2:TGID_X_EN: 1
; COMPUTE_PGM_RSRC2:TGID_Y_EN: 0
; COMPUTE_PGM_RSRC2:TGID_Z_EN: 0
; COMPUTE_PGM_RSRC2:TIDIG_COMP_CNT: 0
	.section	.text._ZN7rocprim17ROCPRIM_400000_NS6detail17trampoline_kernelINS0_14default_configENS1_27scan_by_key_config_selectorIiiEEZZNS1_16scan_by_key_implILNS1_25lookback_scan_determinismE0ELb0ES3_N6thrust23THRUST_200600_302600_NS6detail15normal_iteratorINS9_10device_ptrIiEEEENS9_18transform_iteratorINS9_6negateIiEESE_NS9_11use_defaultESI_EESE_iNS9_4plusIvEENS9_8equal_toIvEEiEE10hipError_tPvRmT2_T3_T4_T5_mT6_T7_P12ihipStream_tbENKUlT_T0_E_clISt17integral_constantIbLb0EES13_IbLb1EEEEDaSZ_S10_EUlSZ_E_NS1_11comp_targetILNS1_3genE8ELNS1_11target_archE1030ELNS1_3gpuE2ELNS1_3repE0EEENS1_30default_config_static_selectorELNS0_4arch9wavefront6targetE0EEEvT1_,"axG",@progbits,_ZN7rocprim17ROCPRIM_400000_NS6detail17trampoline_kernelINS0_14default_configENS1_27scan_by_key_config_selectorIiiEEZZNS1_16scan_by_key_implILNS1_25lookback_scan_determinismE0ELb0ES3_N6thrust23THRUST_200600_302600_NS6detail15normal_iteratorINS9_10device_ptrIiEEEENS9_18transform_iteratorINS9_6negateIiEESE_NS9_11use_defaultESI_EESE_iNS9_4plusIvEENS9_8equal_toIvEEiEE10hipError_tPvRmT2_T3_T4_T5_mT6_T7_P12ihipStream_tbENKUlT_T0_E_clISt17integral_constantIbLb0EES13_IbLb1EEEEDaSZ_S10_EUlSZ_E_NS1_11comp_targetILNS1_3genE8ELNS1_11target_archE1030ELNS1_3gpuE2ELNS1_3repE0EEENS1_30default_config_static_selectorELNS0_4arch9wavefront6targetE0EEEvT1_,comdat
	.protected	_ZN7rocprim17ROCPRIM_400000_NS6detail17trampoline_kernelINS0_14default_configENS1_27scan_by_key_config_selectorIiiEEZZNS1_16scan_by_key_implILNS1_25lookback_scan_determinismE0ELb0ES3_N6thrust23THRUST_200600_302600_NS6detail15normal_iteratorINS9_10device_ptrIiEEEENS9_18transform_iteratorINS9_6negateIiEESE_NS9_11use_defaultESI_EESE_iNS9_4plusIvEENS9_8equal_toIvEEiEE10hipError_tPvRmT2_T3_T4_T5_mT6_T7_P12ihipStream_tbENKUlT_T0_E_clISt17integral_constantIbLb0EES13_IbLb1EEEEDaSZ_S10_EUlSZ_E_NS1_11comp_targetILNS1_3genE8ELNS1_11target_archE1030ELNS1_3gpuE2ELNS1_3repE0EEENS1_30default_config_static_selectorELNS0_4arch9wavefront6targetE0EEEvT1_ ; -- Begin function _ZN7rocprim17ROCPRIM_400000_NS6detail17trampoline_kernelINS0_14default_configENS1_27scan_by_key_config_selectorIiiEEZZNS1_16scan_by_key_implILNS1_25lookback_scan_determinismE0ELb0ES3_N6thrust23THRUST_200600_302600_NS6detail15normal_iteratorINS9_10device_ptrIiEEEENS9_18transform_iteratorINS9_6negateIiEESE_NS9_11use_defaultESI_EESE_iNS9_4plusIvEENS9_8equal_toIvEEiEE10hipError_tPvRmT2_T3_T4_T5_mT6_T7_P12ihipStream_tbENKUlT_T0_E_clISt17integral_constantIbLb0EES13_IbLb1EEEEDaSZ_S10_EUlSZ_E_NS1_11comp_targetILNS1_3genE8ELNS1_11target_archE1030ELNS1_3gpuE2ELNS1_3repE0EEENS1_30default_config_static_selectorELNS0_4arch9wavefront6targetE0EEEvT1_
	.globl	_ZN7rocprim17ROCPRIM_400000_NS6detail17trampoline_kernelINS0_14default_configENS1_27scan_by_key_config_selectorIiiEEZZNS1_16scan_by_key_implILNS1_25lookback_scan_determinismE0ELb0ES3_N6thrust23THRUST_200600_302600_NS6detail15normal_iteratorINS9_10device_ptrIiEEEENS9_18transform_iteratorINS9_6negateIiEESE_NS9_11use_defaultESI_EESE_iNS9_4plusIvEENS9_8equal_toIvEEiEE10hipError_tPvRmT2_T3_T4_T5_mT6_T7_P12ihipStream_tbENKUlT_T0_E_clISt17integral_constantIbLb0EES13_IbLb1EEEEDaSZ_S10_EUlSZ_E_NS1_11comp_targetILNS1_3genE8ELNS1_11target_archE1030ELNS1_3gpuE2ELNS1_3repE0EEENS1_30default_config_static_selectorELNS0_4arch9wavefront6targetE0EEEvT1_
	.p2align	8
	.type	_ZN7rocprim17ROCPRIM_400000_NS6detail17trampoline_kernelINS0_14default_configENS1_27scan_by_key_config_selectorIiiEEZZNS1_16scan_by_key_implILNS1_25lookback_scan_determinismE0ELb0ES3_N6thrust23THRUST_200600_302600_NS6detail15normal_iteratorINS9_10device_ptrIiEEEENS9_18transform_iteratorINS9_6negateIiEESE_NS9_11use_defaultESI_EESE_iNS9_4plusIvEENS9_8equal_toIvEEiEE10hipError_tPvRmT2_T3_T4_T5_mT6_T7_P12ihipStream_tbENKUlT_T0_E_clISt17integral_constantIbLb0EES13_IbLb1EEEEDaSZ_S10_EUlSZ_E_NS1_11comp_targetILNS1_3genE8ELNS1_11target_archE1030ELNS1_3gpuE2ELNS1_3repE0EEENS1_30default_config_static_selectorELNS0_4arch9wavefront6targetE0EEEvT1_,@function
_ZN7rocprim17ROCPRIM_400000_NS6detail17trampoline_kernelINS0_14default_configENS1_27scan_by_key_config_selectorIiiEEZZNS1_16scan_by_key_implILNS1_25lookback_scan_determinismE0ELb0ES3_N6thrust23THRUST_200600_302600_NS6detail15normal_iteratorINS9_10device_ptrIiEEEENS9_18transform_iteratorINS9_6negateIiEESE_NS9_11use_defaultESI_EESE_iNS9_4plusIvEENS9_8equal_toIvEEiEE10hipError_tPvRmT2_T3_T4_T5_mT6_T7_P12ihipStream_tbENKUlT_T0_E_clISt17integral_constantIbLb0EES13_IbLb1EEEEDaSZ_S10_EUlSZ_E_NS1_11comp_targetILNS1_3genE8ELNS1_11target_archE1030ELNS1_3gpuE2ELNS1_3repE0EEENS1_30default_config_static_selectorELNS0_4arch9wavefront6targetE0EEEvT1_: ; @_ZN7rocprim17ROCPRIM_400000_NS6detail17trampoline_kernelINS0_14default_configENS1_27scan_by_key_config_selectorIiiEEZZNS1_16scan_by_key_implILNS1_25lookback_scan_determinismE0ELb0ES3_N6thrust23THRUST_200600_302600_NS6detail15normal_iteratorINS9_10device_ptrIiEEEENS9_18transform_iteratorINS9_6negateIiEESE_NS9_11use_defaultESI_EESE_iNS9_4plusIvEENS9_8equal_toIvEEiEE10hipError_tPvRmT2_T3_T4_T5_mT6_T7_P12ihipStream_tbENKUlT_T0_E_clISt17integral_constantIbLb0EES13_IbLb1EEEEDaSZ_S10_EUlSZ_E_NS1_11comp_targetILNS1_3genE8ELNS1_11target_archE1030ELNS1_3gpuE2ELNS1_3repE0EEENS1_30default_config_static_selectorELNS0_4arch9wavefront6targetE0EEEvT1_
; %bb.0:
	.section	.rodata,"a",@progbits
	.p2align	6, 0x0
	.amdhsa_kernel _ZN7rocprim17ROCPRIM_400000_NS6detail17trampoline_kernelINS0_14default_configENS1_27scan_by_key_config_selectorIiiEEZZNS1_16scan_by_key_implILNS1_25lookback_scan_determinismE0ELb0ES3_N6thrust23THRUST_200600_302600_NS6detail15normal_iteratorINS9_10device_ptrIiEEEENS9_18transform_iteratorINS9_6negateIiEESE_NS9_11use_defaultESI_EESE_iNS9_4plusIvEENS9_8equal_toIvEEiEE10hipError_tPvRmT2_T3_T4_T5_mT6_T7_P12ihipStream_tbENKUlT_T0_E_clISt17integral_constantIbLb0EES13_IbLb1EEEEDaSZ_S10_EUlSZ_E_NS1_11comp_targetILNS1_3genE8ELNS1_11target_archE1030ELNS1_3gpuE2ELNS1_3repE0EEENS1_30default_config_static_selectorELNS0_4arch9wavefront6targetE0EEEvT1_
		.amdhsa_group_segment_fixed_size 0
		.amdhsa_private_segment_fixed_size 0
		.amdhsa_kernarg_size 120
		.amdhsa_user_sgpr_count 2
		.amdhsa_user_sgpr_dispatch_ptr 0
		.amdhsa_user_sgpr_queue_ptr 0
		.amdhsa_user_sgpr_kernarg_segment_ptr 1
		.amdhsa_user_sgpr_dispatch_id 0
		.amdhsa_user_sgpr_kernarg_preload_length 0
		.amdhsa_user_sgpr_kernarg_preload_offset 0
		.amdhsa_user_sgpr_private_segment_size 0
		.amdhsa_wavefront_size32 1
		.amdhsa_uses_dynamic_stack 0
		.amdhsa_enable_private_segment 0
		.amdhsa_system_sgpr_workgroup_id_x 1
		.amdhsa_system_sgpr_workgroup_id_y 0
		.amdhsa_system_sgpr_workgroup_id_z 0
		.amdhsa_system_sgpr_workgroup_info 0
		.amdhsa_system_vgpr_workitem_id 0
		.amdhsa_next_free_vgpr 1
		.amdhsa_next_free_sgpr 1
		.amdhsa_named_barrier_count 0
		.amdhsa_reserve_vcc 0
		.amdhsa_float_round_mode_32 0
		.amdhsa_float_round_mode_16_64 0
		.amdhsa_float_denorm_mode_32 3
		.amdhsa_float_denorm_mode_16_64 3
		.amdhsa_fp16_overflow 0
		.amdhsa_memory_ordered 1
		.amdhsa_forward_progress 1
		.amdhsa_inst_pref_size 0
		.amdhsa_round_robin_scheduling 0
		.amdhsa_exception_fp_ieee_invalid_op 0
		.amdhsa_exception_fp_denorm_src 0
		.amdhsa_exception_fp_ieee_div_zero 0
		.amdhsa_exception_fp_ieee_overflow 0
		.amdhsa_exception_fp_ieee_underflow 0
		.amdhsa_exception_fp_ieee_inexact 0
		.amdhsa_exception_int_div_zero 0
	.end_amdhsa_kernel
	.section	.text._ZN7rocprim17ROCPRIM_400000_NS6detail17trampoline_kernelINS0_14default_configENS1_27scan_by_key_config_selectorIiiEEZZNS1_16scan_by_key_implILNS1_25lookback_scan_determinismE0ELb0ES3_N6thrust23THRUST_200600_302600_NS6detail15normal_iteratorINS9_10device_ptrIiEEEENS9_18transform_iteratorINS9_6negateIiEESE_NS9_11use_defaultESI_EESE_iNS9_4plusIvEENS9_8equal_toIvEEiEE10hipError_tPvRmT2_T3_T4_T5_mT6_T7_P12ihipStream_tbENKUlT_T0_E_clISt17integral_constantIbLb0EES13_IbLb1EEEEDaSZ_S10_EUlSZ_E_NS1_11comp_targetILNS1_3genE8ELNS1_11target_archE1030ELNS1_3gpuE2ELNS1_3repE0EEENS1_30default_config_static_selectorELNS0_4arch9wavefront6targetE0EEEvT1_,"axG",@progbits,_ZN7rocprim17ROCPRIM_400000_NS6detail17trampoline_kernelINS0_14default_configENS1_27scan_by_key_config_selectorIiiEEZZNS1_16scan_by_key_implILNS1_25lookback_scan_determinismE0ELb0ES3_N6thrust23THRUST_200600_302600_NS6detail15normal_iteratorINS9_10device_ptrIiEEEENS9_18transform_iteratorINS9_6negateIiEESE_NS9_11use_defaultESI_EESE_iNS9_4plusIvEENS9_8equal_toIvEEiEE10hipError_tPvRmT2_T3_T4_T5_mT6_T7_P12ihipStream_tbENKUlT_T0_E_clISt17integral_constantIbLb0EES13_IbLb1EEEEDaSZ_S10_EUlSZ_E_NS1_11comp_targetILNS1_3genE8ELNS1_11target_archE1030ELNS1_3gpuE2ELNS1_3repE0EEENS1_30default_config_static_selectorELNS0_4arch9wavefront6targetE0EEEvT1_,comdat
.Lfunc_end964:
	.size	_ZN7rocprim17ROCPRIM_400000_NS6detail17trampoline_kernelINS0_14default_configENS1_27scan_by_key_config_selectorIiiEEZZNS1_16scan_by_key_implILNS1_25lookback_scan_determinismE0ELb0ES3_N6thrust23THRUST_200600_302600_NS6detail15normal_iteratorINS9_10device_ptrIiEEEENS9_18transform_iteratorINS9_6negateIiEESE_NS9_11use_defaultESI_EESE_iNS9_4plusIvEENS9_8equal_toIvEEiEE10hipError_tPvRmT2_T3_T4_T5_mT6_T7_P12ihipStream_tbENKUlT_T0_E_clISt17integral_constantIbLb0EES13_IbLb1EEEEDaSZ_S10_EUlSZ_E_NS1_11comp_targetILNS1_3genE8ELNS1_11target_archE1030ELNS1_3gpuE2ELNS1_3repE0EEENS1_30default_config_static_selectorELNS0_4arch9wavefront6targetE0EEEvT1_, .Lfunc_end964-_ZN7rocprim17ROCPRIM_400000_NS6detail17trampoline_kernelINS0_14default_configENS1_27scan_by_key_config_selectorIiiEEZZNS1_16scan_by_key_implILNS1_25lookback_scan_determinismE0ELb0ES3_N6thrust23THRUST_200600_302600_NS6detail15normal_iteratorINS9_10device_ptrIiEEEENS9_18transform_iteratorINS9_6negateIiEESE_NS9_11use_defaultESI_EESE_iNS9_4plusIvEENS9_8equal_toIvEEiEE10hipError_tPvRmT2_T3_T4_T5_mT6_T7_P12ihipStream_tbENKUlT_T0_E_clISt17integral_constantIbLb0EES13_IbLb1EEEEDaSZ_S10_EUlSZ_E_NS1_11comp_targetILNS1_3genE8ELNS1_11target_archE1030ELNS1_3gpuE2ELNS1_3repE0EEENS1_30default_config_static_selectorELNS0_4arch9wavefront6targetE0EEEvT1_
                                        ; -- End function
	.set _ZN7rocprim17ROCPRIM_400000_NS6detail17trampoline_kernelINS0_14default_configENS1_27scan_by_key_config_selectorIiiEEZZNS1_16scan_by_key_implILNS1_25lookback_scan_determinismE0ELb0ES3_N6thrust23THRUST_200600_302600_NS6detail15normal_iteratorINS9_10device_ptrIiEEEENS9_18transform_iteratorINS9_6negateIiEESE_NS9_11use_defaultESI_EESE_iNS9_4plusIvEENS9_8equal_toIvEEiEE10hipError_tPvRmT2_T3_T4_T5_mT6_T7_P12ihipStream_tbENKUlT_T0_E_clISt17integral_constantIbLb0EES13_IbLb1EEEEDaSZ_S10_EUlSZ_E_NS1_11comp_targetILNS1_3genE8ELNS1_11target_archE1030ELNS1_3gpuE2ELNS1_3repE0EEENS1_30default_config_static_selectorELNS0_4arch9wavefront6targetE0EEEvT1_.num_vgpr, 0
	.set _ZN7rocprim17ROCPRIM_400000_NS6detail17trampoline_kernelINS0_14default_configENS1_27scan_by_key_config_selectorIiiEEZZNS1_16scan_by_key_implILNS1_25lookback_scan_determinismE0ELb0ES3_N6thrust23THRUST_200600_302600_NS6detail15normal_iteratorINS9_10device_ptrIiEEEENS9_18transform_iteratorINS9_6negateIiEESE_NS9_11use_defaultESI_EESE_iNS9_4plusIvEENS9_8equal_toIvEEiEE10hipError_tPvRmT2_T3_T4_T5_mT6_T7_P12ihipStream_tbENKUlT_T0_E_clISt17integral_constantIbLb0EES13_IbLb1EEEEDaSZ_S10_EUlSZ_E_NS1_11comp_targetILNS1_3genE8ELNS1_11target_archE1030ELNS1_3gpuE2ELNS1_3repE0EEENS1_30default_config_static_selectorELNS0_4arch9wavefront6targetE0EEEvT1_.num_agpr, 0
	.set _ZN7rocprim17ROCPRIM_400000_NS6detail17trampoline_kernelINS0_14default_configENS1_27scan_by_key_config_selectorIiiEEZZNS1_16scan_by_key_implILNS1_25lookback_scan_determinismE0ELb0ES3_N6thrust23THRUST_200600_302600_NS6detail15normal_iteratorINS9_10device_ptrIiEEEENS9_18transform_iteratorINS9_6negateIiEESE_NS9_11use_defaultESI_EESE_iNS9_4plusIvEENS9_8equal_toIvEEiEE10hipError_tPvRmT2_T3_T4_T5_mT6_T7_P12ihipStream_tbENKUlT_T0_E_clISt17integral_constantIbLb0EES13_IbLb1EEEEDaSZ_S10_EUlSZ_E_NS1_11comp_targetILNS1_3genE8ELNS1_11target_archE1030ELNS1_3gpuE2ELNS1_3repE0EEENS1_30default_config_static_selectorELNS0_4arch9wavefront6targetE0EEEvT1_.numbered_sgpr, 0
	.set _ZN7rocprim17ROCPRIM_400000_NS6detail17trampoline_kernelINS0_14default_configENS1_27scan_by_key_config_selectorIiiEEZZNS1_16scan_by_key_implILNS1_25lookback_scan_determinismE0ELb0ES3_N6thrust23THRUST_200600_302600_NS6detail15normal_iteratorINS9_10device_ptrIiEEEENS9_18transform_iteratorINS9_6negateIiEESE_NS9_11use_defaultESI_EESE_iNS9_4plusIvEENS9_8equal_toIvEEiEE10hipError_tPvRmT2_T3_T4_T5_mT6_T7_P12ihipStream_tbENKUlT_T0_E_clISt17integral_constantIbLb0EES13_IbLb1EEEEDaSZ_S10_EUlSZ_E_NS1_11comp_targetILNS1_3genE8ELNS1_11target_archE1030ELNS1_3gpuE2ELNS1_3repE0EEENS1_30default_config_static_selectorELNS0_4arch9wavefront6targetE0EEEvT1_.num_named_barrier, 0
	.set _ZN7rocprim17ROCPRIM_400000_NS6detail17trampoline_kernelINS0_14default_configENS1_27scan_by_key_config_selectorIiiEEZZNS1_16scan_by_key_implILNS1_25lookback_scan_determinismE0ELb0ES3_N6thrust23THRUST_200600_302600_NS6detail15normal_iteratorINS9_10device_ptrIiEEEENS9_18transform_iteratorINS9_6negateIiEESE_NS9_11use_defaultESI_EESE_iNS9_4plusIvEENS9_8equal_toIvEEiEE10hipError_tPvRmT2_T3_T4_T5_mT6_T7_P12ihipStream_tbENKUlT_T0_E_clISt17integral_constantIbLb0EES13_IbLb1EEEEDaSZ_S10_EUlSZ_E_NS1_11comp_targetILNS1_3genE8ELNS1_11target_archE1030ELNS1_3gpuE2ELNS1_3repE0EEENS1_30default_config_static_selectorELNS0_4arch9wavefront6targetE0EEEvT1_.private_seg_size, 0
	.set _ZN7rocprim17ROCPRIM_400000_NS6detail17trampoline_kernelINS0_14default_configENS1_27scan_by_key_config_selectorIiiEEZZNS1_16scan_by_key_implILNS1_25lookback_scan_determinismE0ELb0ES3_N6thrust23THRUST_200600_302600_NS6detail15normal_iteratorINS9_10device_ptrIiEEEENS9_18transform_iteratorINS9_6negateIiEESE_NS9_11use_defaultESI_EESE_iNS9_4plusIvEENS9_8equal_toIvEEiEE10hipError_tPvRmT2_T3_T4_T5_mT6_T7_P12ihipStream_tbENKUlT_T0_E_clISt17integral_constantIbLb0EES13_IbLb1EEEEDaSZ_S10_EUlSZ_E_NS1_11comp_targetILNS1_3genE8ELNS1_11target_archE1030ELNS1_3gpuE2ELNS1_3repE0EEENS1_30default_config_static_selectorELNS0_4arch9wavefront6targetE0EEEvT1_.uses_vcc, 0
	.set _ZN7rocprim17ROCPRIM_400000_NS6detail17trampoline_kernelINS0_14default_configENS1_27scan_by_key_config_selectorIiiEEZZNS1_16scan_by_key_implILNS1_25lookback_scan_determinismE0ELb0ES3_N6thrust23THRUST_200600_302600_NS6detail15normal_iteratorINS9_10device_ptrIiEEEENS9_18transform_iteratorINS9_6negateIiEESE_NS9_11use_defaultESI_EESE_iNS9_4plusIvEENS9_8equal_toIvEEiEE10hipError_tPvRmT2_T3_T4_T5_mT6_T7_P12ihipStream_tbENKUlT_T0_E_clISt17integral_constantIbLb0EES13_IbLb1EEEEDaSZ_S10_EUlSZ_E_NS1_11comp_targetILNS1_3genE8ELNS1_11target_archE1030ELNS1_3gpuE2ELNS1_3repE0EEENS1_30default_config_static_selectorELNS0_4arch9wavefront6targetE0EEEvT1_.uses_flat_scratch, 0
	.set _ZN7rocprim17ROCPRIM_400000_NS6detail17trampoline_kernelINS0_14default_configENS1_27scan_by_key_config_selectorIiiEEZZNS1_16scan_by_key_implILNS1_25lookback_scan_determinismE0ELb0ES3_N6thrust23THRUST_200600_302600_NS6detail15normal_iteratorINS9_10device_ptrIiEEEENS9_18transform_iteratorINS9_6negateIiEESE_NS9_11use_defaultESI_EESE_iNS9_4plusIvEENS9_8equal_toIvEEiEE10hipError_tPvRmT2_T3_T4_T5_mT6_T7_P12ihipStream_tbENKUlT_T0_E_clISt17integral_constantIbLb0EES13_IbLb1EEEEDaSZ_S10_EUlSZ_E_NS1_11comp_targetILNS1_3genE8ELNS1_11target_archE1030ELNS1_3gpuE2ELNS1_3repE0EEENS1_30default_config_static_selectorELNS0_4arch9wavefront6targetE0EEEvT1_.has_dyn_sized_stack, 0
	.set _ZN7rocprim17ROCPRIM_400000_NS6detail17trampoline_kernelINS0_14default_configENS1_27scan_by_key_config_selectorIiiEEZZNS1_16scan_by_key_implILNS1_25lookback_scan_determinismE0ELb0ES3_N6thrust23THRUST_200600_302600_NS6detail15normal_iteratorINS9_10device_ptrIiEEEENS9_18transform_iteratorINS9_6negateIiEESE_NS9_11use_defaultESI_EESE_iNS9_4plusIvEENS9_8equal_toIvEEiEE10hipError_tPvRmT2_T3_T4_T5_mT6_T7_P12ihipStream_tbENKUlT_T0_E_clISt17integral_constantIbLb0EES13_IbLb1EEEEDaSZ_S10_EUlSZ_E_NS1_11comp_targetILNS1_3genE8ELNS1_11target_archE1030ELNS1_3gpuE2ELNS1_3repE0EEENS1_30default_config_static_selectorELNS0_4arch9wavefront6targetE0EEEvT1_.has_recursion, 0
	.set _ZN7rocprim17ROCPRIM_400000_NS6detail17trampoline_kernelINS0_14default_configENS1_27scan_by_key_config_selectorIiiEEZZNS1_16scan_by_key_implILNS1_25lookback_scan_determinismE0ELb0ES3_N6thrust23THRUST_200600_302600_NS6detail15normal_iteratorINS9_10device_ptrIiEEEENS9_18transform_iteratorINS9_6negateIiEESE_NS9_11use_defaultESI_EESE_iNS9_4plusIvEENS9_8equal_toIvEEiEE10hipError_tPvRmT2_T3_T4_T5_mT6_T7_P12ihipStream_tbENKUlT_T0_E_clISt17integral_constantIbLb0EES13_IbLb1EEEEDaSZ_S10_EUlSZ_E_NS1_11comp_targetILNS1_3genE8ELNS1_11target_archE1030ELNS1_3gpuE2ELNS1_3repE0EEENS1_30default_config_static_selectorELNS0_4arch9wavefront6targetE0EEEvT1_.has_indirect_call, 0
	.section	.AMDGPU.csdata,"",@progbits
; Kernel info:
; codeLenInByte = 0
; TotalNumSgprs: 0
; NumVgprs: 0
; ScratchSize: 0
; MemoryBound: 0
; FloatMode: 240
; IeeeMode: 1
; LDSByteSize: 0 bytes/workgroup (compile time only)
; SGPRBlocks: 0
; VGPRBlocks: 0
; NumSGPRsForWavesPerEU: 1
; NumVGPRsForWavesPerEU: 1
; NamedBarCnt: 0
; Occupancy: 16
; WaveLimiterHint : 0
; COMPUTE_PGM_RSRC2:SCRATCH_EN: 0
; COMPUTE_PGM_RSRC2:USER_SGPR: 2
; COMPUTE_PGM_RSRC2:TRAP_HANDLER: 0
; COMPUTE_PGM_RSRC2:TGID_X_EN: 1
; COMPUTE_PGM_RSRC2:TGID_Y_EN: 0
; COMPUTE_PGM_RSRC2:TGID_Z_EN: 0
; COMPUTE_PGM_RSRC2:TIDIG_COMP_CNT: 0
	.section	.text._ZN7rocprim17ROCPRIM_400000_NS6detail17trampoline_kernelINS0_14default_configENS1_27scan_by_key_config_selectorIssEEZZNS1_16scan_by_key_implILNS1_25lookback_scan_determinismE0ELb0ES3_N6thrust23THRUST_200600_302600_NS6detail15normal_iteratorINS9_10device_ptrIsEEEENS9_18transform_iteratorINS9_6negateIsEESE_NS9_11use_defaultESI_EESE_sNS9_4plusIvEENS9_8equal_toIvEEsEE10hipError_tPvRmT2_T3_T4_T5_mT6_T7_P12ihipStream_tbENKUlT_T0_E_clISt17integral_constantIbLb0EES14_EEDaSZ_S10_EUlSZ_E_NS1_11comp_targetILNS1_3genE0ELNS1_11target_archE4294967295ELNS1_3gpuE0ELNS1_3repE0EEENS1_30default_config_static_selectorELNS0_4arch9wavefront6targetE0EEEvT1_,"axG",@progbits,_ZN7rocprim17ROCPRIM_400000_NS6detail17trampoline_kernelINS0_14default_configENS1_27scan_by_key_config_selectorIssEEZZNS1_16scan_by_key_implILNS1_25lookback_scan_determinismE0ELb0ES3_N6thrust23THRUST_200600_302600_NS6detail15normal_iteratorINS9_10device_ptrIsEEEENS9_18transform_iteratorINS9_6negateIsEESE_NS9_11use_defaultESI_EESE_sNS9_4plusIvEENS9_8equal_toIvEEsEE10hipError_tPvRmT2_T3_T4_T5_mT6_T7_P12ihipStream_tbENKUlT_T0_E_clISt17integral_constantIbLb0EES14_EEDaSZ_S10_EUlSZ_E_NS1_11comp_targetILNS1_3genE0ELNS1_11target_archE4294967295ELNS1_3gpuE0ELNS1_3repE0EEENS1_30default_config_static_selectorELNS0_4arch9wavefront6targetE0EEEvT1_,comdat
	.protected	_ZN7rocprim17ROCPRIM_400000_NS6detail17trampoline_kernelINS0_14default_configENS1_27scan_by_key_config_selectorIssEEZZNS1_16scan_by_key_implILNS1_25lookback_scan_determinismE0ELb0ES3_N6thrust23THRUST_200600_302600_NS6detail15normal_iteratorINS9_10device_ptrIsEEEENS9_18transform_iteratorINS9_6negateIsEESE_NS9_11use_defaultESI_EESE_sNS9_4plusIvEENS9_8equal_toIvEEsEE10hipError_tPvRmT2_T3_T4_T5_mT6_T7_P12ihipStream_tbENKUlT_T0_E_clISt17integral_constantIbLb0EES14_EEDaSZ_S10_EUlSZ_E_NS1_11comp_targetILNS1_3genE0ELNS1_11target_archE4294967295ELNS1_3gpuE0ELNS1_3repE0EEENS1_30default_config_static_selectorELNS0_4arch9wavefront6targetE0EEEvT1_ ; -- Begin function _ZN7rocprim17ROCPRIM_400000_NS6detail17trampoline_kernelINS0_14default_configENS1_27scan_by_key_config_selectorIssEEZZNS1_16scan_by_key_implILNS1_25lookback_scan_determinismE0ELb0ES3_N6thrust23THRUST_200600_302600_NS6detail15normal_iteratorINS9_10device_ptrIsEEEENS9_18transform_iteratorINS9_6negateIsEESE_NS9_11use_defaultESI_EESE_sNS9_4plusIvEENS9_8equal_toIvEEsEE10hipError_tPvRmT2_T3_T4_T5_mT6_T7_P12ihipStream_tbENKUlT_T0_E_clISt17integral_constantIbLb0EES14_EEDaSZ_S10_EUlSZ_E_NS1_11comp_targetILNS1_3genE0ELNS1_11target_archE4294967295ELNS1_3gpuE0ELNS1_3repE0EEENS1_30default_config_static_selectorELNS0_4arch9wavefront6targetE0EEEvT1_
	.globl	_ZN7rocprim17ROCPRIM_400000_NS6detail17trampoline_kernelINS0_14default_configENS1_27scan_by_key_config_selectorIssEEZZNS1_16scan_by_key_implILNS1_25lookback_scan_determinismE0ELb0ES3_N6thrust23THRUST_200600_302600_NS6detail15normal_iteratorINS9_10device_ptrIsEEEENS9_18transform_iteratorINS9_6negateIsEESE_NS9_11use_defaultESI_EESE_sNS9_4plusIvEENS9_8equal_toIvEEsEE10hipError_tPvRmT2_T3_T4_T5_mT6_T7_P12ihipStream_tbENKUlT_T0_E_clISt17integral_constantIbLb0EES14_EEDaSZ_S10_EUlSZ_E_NS1_11comp_targetILNS1_3genE0ELNS1_11target_archE4294967295ELNS1_3gpuE0ELNS1_3repE0EEENS1_30default_config_static_selectorELNS0_4arch9wavefront6targetE0EEEvT1_
	.p2align	8
	.type	_ZN7rocprim17ROCPRIM_400000_NS6detail17trampoline_kernelINS0_14default_configENS1_27scan_by_key_config_selectorIssEEZZNS1_16scan_by_key_implILNS1_25lookback_scan_determinismE0ELb0ES3_N6thrust23THRUST_200600_302600_NS6detail15normal_iteratorINS9_10device_ptrIsEEEENS9_18transform_iteratorINS9_6negateIsEESE_NS9_11use_defaultESI_EESE_sNS9_4plusIvEENS9_8equal_toIvEEsEE10hipError_tPvRmT2_T3_T4_T5_mT6_T7_P12ihipStream_tbENKUlT_T0_E_clISt17integral_constantIbLb0EES14_EEDaSZ_S10_EUlSZ_E_NS1_11comp_targetILNS1_3genE0ELNS1_11target_archE4294967295ELNS1_3gpuE0ELNS1_3repE0EEENS1_30default_config_static_selectorELNS0_4arch9wavefront6targetE0EEEvT1_,@function
_ZN7rocprim17ROCPRIM_400000_NS6detail17trampoline_kernelINS0_14default_configENS1_27scan_by_key_config_selectorIssEEZZNS1_16scan_by_key_implILNS1_25lookback_scan_determinismE0ELb0ES3_N6thrust23THRUST_200600_302600_NS6detail15normal_iteratorINS9_10device_ptrIsEEEENS9_18transform_iteratorINS9_6negateIsEESE_NS9_11use_defaultESI_EESE_sNS9_4plusIvEENS9_8equal_toIvEEsEE10hipError_tPvRmT2_T3_T4_T5_mT6_T7_P12ihipStream_tbENKUlT_T0_E_clISt17integral_constantIbLb0EES14_EEDaSZ_S10_EUlSZ_E_NS1_11comp_targetILNS1_3genE0ELNS1_11target_archE4294967295ELNS1_3gpuE0ELNS1_3repE0EEENS1_30default_config_static_selectorELNS0_4arch9wavefront6targetE0EEEvT1_: ; @_ZN7rocprim17ROCPRIM_400000_NS6detail17trampoline_kernelINS0_14default_configENS1_27scan_by_key_config_selectorIssEEZZNS1_16scan_by_key_implILNS1_25lookback_scan_determinismE0ELb0ES3_N6thrust23THRUST_200600_302600_NS6detail15normal_iteratorINS9_10device_ptrIsEEEENS9_18transform_iteratorINS9_6negateIsEESE_NS9_11use_defaultESI_EESE_sNS9_4plusIvEENS9_8equal_toIvEEsEE10hipError_tPvRmT2_T3_T4_T5_mT6_T7_P12ihipStream_tbENKUlT_T0_E_clISt17integral_constantIbLb0EES14_EEDaSZ_S10_EUlSZ_E_NS1_11comp_targetILNS1_3genE0ELNS1_11target_archE4294967295ELNS1_3gpuE0ELNS1_3repE0EEENS1_30default_config_static_selectorELNS0_4arch9wavefront6targetE0EEEvT1_
; %bb.0:
	s_clause 0x4
	s_load_b128 s[4:7], s[0:1], 0x0
	s_load_b256 s[24:31], s[0:1], 0x50
	s_load_b96 s[40:42], s[0:1], 0x40
	s_load_b64 s[8:9], s[0:1], 0x10
	s_load_b128 s[36:39], s[0:1], 0x30
	s_getreg_b32 s10, hwreg(HW_REG_IB_STS2, 6, 4)
	s_mov_b32 s3, 0
	s_barrier_signal -1
	s_barrier_wait -1
	s_wait_kmcnt 0x0
	s_lshl_b64 s[34:35], s[6:7], 1
	s_cmp_lg_u64 s[28:29], 0
	s_mov_b32 s2, s42
	s_cselect_b32 s39, -1, 0
	s_bfe_u32 s6, ttmp6, 0x4000c
	s_and_b32 s7, ttmp6, 15
	s_add_co_i32 s6, s6, 1
	s_mov_b32 s29, s3
	s_mul_i32 s6, ttmp9, s6
	s_add_nc_u64 s[4:5], s[4:5], s[34:35]
	s_add_co_i32 s11, s7, s6
	s_cmp_eq_u32 s10, 0
	s_mul_u64 s[6:7], s[40:41], s[2:3]
	s_cselect_b32 s28, ttmp9, s11
	s_add_nc_u64 s[8:9], s[8:9], s[34:35]
	s_add_nc_u64 s[44:45], s[6:7], s[28:29]
	s_add_nc_u64 s[6:7], s[24:25], -1
	s_mul_i32 s2, s28, 0x1400
	v_cmp_ge_u64_e64 s29, s[44:45], s[6:7]
	s_lshl_b64 s[24:25], s[2:3], 1
	s_mul_i32 s33, s6, 0xffffec00
	s_add_nc_u64 s[42:43], s[4:5], s[24:25]
	s_add_nc_u64 s[22:23], s[8:9], s[24:25]
	s_and_b32 vcc_lo, exec_lo, s29
	s_cbranch_vccz .LBB965_44
; %bb.1:
	v_mov_b32_e32 v1, 0
	s_add_co_i32 s48, s33, s38
	s_delay_alu instid0(SALU_CYCLE_1)
	v_cmp_gt_u32_e64 s2, s48, v0
	flat_load_u16 v2, v1, s[42:43]
	s_wait_loadcnt_dscnt 0x0
	v_mov_b32_e32 v3, v2
	s_and_saveexec_b32 s3, s2
	s_cbranch_execz .LBB965_3
; %bb.2:
	flat_load_u16 v3, v0, s[42:43] scale_offset
.LBB965_3:
	s_wait_xcnt 0x0
	s_or_b32 exec_lo, exec_lo, s3
	v_or_b32_e32 v1, 0x100, v0
	v_mov_b32_e32 v4, v2
	s_delay_alu instid0(VALU_DEP_2)
	v_cmp_gt_u32_e64 s3, s48, v1
	s_and_saveexec_b32 s4, s3
	s_cbranch_execz .LBB965_5
; %bb.4:
	flat_load_u16 v4, v0, s[42:43] offset:512 scale_offset
.LBB965_5:
	s_wait_xcnt 0x0
	s_or_b32 exec_lo, exec_lo, s4
	v_or_b32_e32 v1, 0x200, v0
	v_mov_b32_e32 v5, v2
	s_delay_alu instid0(VALU_DEP_2)
	v_cmp_gt_u32_e64 s4, s48, v1
	s_and_saveexec_b32 s5, s4
	s_cbranch_execz .LBB965_7
; %bb.6:
	flat_load_u16 v5, v0, s[42:43] offset:1024 scale_offset
.LBB965_7:
	;; [unrolled: 11-line block ×18, first 2 shown]
	s_wait_xcnt 0x0
	s_or_b32 exec_lo, exec_lo, s21
	v_or_b32_e32 v1, 0x1300, v0
	s_mov_b32 s46, exec_lo
	s_delay_alu instid0(VALU_DEP_1) | instskip(SKIP_2) | instid1(SALU_CYCLE_1)
	v_cmp_gt_u32_e64 s21, s48, v1
	v_cmpx_le_u32_e64 s48, v1
	s_xor_b32 s46, exec_lo, s46
	s_and_not1_saveexec_b32 s46, s46
	s_cbranch_execz .LBB965_41
; %bb.40:
	flat_load_u16 v2, v0, s[42:43] offset:9728 scale_offset
.LBB965_41:
	s_wait_xcnt 0x0
	s_or_b32 exec_lo, exec_lo, s46
	v_lshlrev_b32_e32 v1, 1, v0
	s_cmp_eq_u64 s[44:45], 0
	s_mov_b64 s[46:47], s[42:43]
	s_wait_loadcnt_dscnt 0x0
	ds_store_b16 v1, v3
	ds_store_b16 v1, v4 offset:512
	ds_store_b16 v1, v5 offset:1024
	;; [unrolled: 1-line block ×19, first 2 shown]
	v_mad_u32_u24 v47, v0, 38, v1
	s_wait_dscnt 0x0
	s_barrier_signal -1
	s_barrier_wait -1
	ds_load_2addr_b64 v[10:13], v47 offset1:1
	ds_load_2addr_b64 v[6:9], v47 offset0:2 offset1:3
	ds_load_b64 v[14:15], v47 offset:32
	s_cbranch_scc1 .LBB965_47
; %bb.42:
	s_and_not1_b32 vcc_lo, exec_lo, s39
	s_cbranch_vccnz .LBB965_45
; %bb.43:
	s_lshl_b64 s[46:47], s[44:45], 1
	s_mov_b32 s49, 0
	s_add_nc_u64 s[46:47], s[30:31], s[46:47]
	s_delay_alu instid0(SALU_CYCLE_1)
	s_add_nc_u64 s[46:47], s[46:47], -2
	s_branch .LBB965_46
.LBB965_44:
                                        ; implicit-def: $sgpr5
                                        ; implicit-def: $vgpr41
                                        ; implicit-def: $vgpr30
                                        ; implicit-def: $vgpr2
                                        ; implicit-def: $vgpr43
                                        ; implicit-def: $vgpr53
                                        ; implicit-def: $vgpr50
                                        ; implicit-def: $vgpr51
                                        ; implicit-def: $vgpr49
                                        ; implicit-def: $vgpr46
                                        ; implicit-def: $vgpr45
                                        ; implicit-def: $vgpr44
                                        ; implicit-def: $vgpr42
                                        ; implicit-def: $vgpr40
                                        ; implicit-def: $vgpr39
                                        ; implicit-def: $vgpr38
                                        ; implicit-def: $vgpr37
                                        ; implicit-def: $vgpr36
                                        ; implicit-def: $vgpr34
                                        ; implicit-def: $vgpr35
                                        ; implicit-def: $vgpr33
                                        ; implicit-def: $vgpr32
                                        ; implicit-def: $vgpr31
                                        ; implicit-def: $vgpr29
                                        ; implicit-def: $vgpr28
                                        ; implicit-def: $vgpr27
                                        ; implicit-def: $vgpr26
                                        ; implicit-def: $vgpr25
                                        ; implicit-def: $vgpr24
                                        ; implicit-def: $vgpr23
                                        ; implicit-def: $vgpr22
                                        ; implicit-def: $vgpr21
                                        ; implicit-def: $vgpr20
                                        ; implicit-def: $vgpr19
                                        ; implicit-def: $vgpr18
                                        ; implicit-def: $vgpr17
                                        ; implicit-def: $vgpr16
                                        ; implicit-def: $vgpr1
	v_lshlrev_b32_e32 v10, 1, v0
	s_cbranch_execnz .LBB965_109
	s_branch .LBB965_136
.LBB965_45:
	s_add_nc_u64 s[46:47], s[42:43], -2
	s_mov_b32 s49, -1
.LBB965_46:
	s_delay_alu instid0(SALU_CYCLE_1)
	s_and_not1_b32 vcc_lo, exec_lo, s49
.LBB965_47:
	s_wait_dscnt 0x0
	v_dual_mov_b32 v2, 0 :: v_dual_lshrrev_b32 v48, 16, v15
	flat_load_u16 v3, v2, s[46:47]
	s_wait_xcnt 0x0
	v_mad_i32_i24 v2, 0xffffffda, v0, v47
	s_mov_b32 s46, exec_lo
	ds_store_b16 v2, v48 offset:10240
	s_wait_loadcnt_dscnt 0x0
	s_barrier_signal -1
	s_barrier_wait -1
	v_cmpx_ne_u32_e32 0, v0
; %bb.48:
	v_mul_i32_i24_e32 v2, 0xffffffda, v0
	s_delay_alu instid0(VALU_DEP_1)
	v_add_nc_u32_e32 v2, v47, v2
	ds_load_u16 v3, v2 offset:10238
; %bb.49:
	s_or_b32 exec_lo, exec_lo, s46
	s_wait_dscnt 0x0
	s_barrier_signal -1
	s_barrier_wait -1
                                        ; implicit-def: $vgpr2
	s_and_saveexec_b32 s46, s2
	s_cbranch_execnz .LBB965_112
; %bb.50:
	s_or_b32 exec_lo, exec_lo, s46
                                        ; implicit-def: $vgpr4
	s_and_saveexec_b32 s2, s3
	s_cbranch_execnz .LBB965_113
.LBB965_51:
	s_or_b32 exec_lo, exec_lo, s2
                                        ; implicit-def: $vgpr5
	s_and_saveexec_b32 s2, s4
	s_cbranch_execnz .LBB965_114
.LBB965_52:
	s_or_b32 exec_lo, exec_lo, s2
                                        ; implicit-def: $vgpr16
	s_and_saveexec_b32 s2, s5
	s_cbranch_execnz .LBB965_115
.LBB965_53:
	s_or_b32 exec_lo, exec_lo, s2
                                        ; implicit-def: $vgpr17
	s_and_saveexec_b32 s2, s6
	s_cbranch_execnz .LBB965_116
.LBB965_54:
	s_or_b32 exec_lo, exec_lo, s2
                                        ; implicit-def: $vgpr18
	s_and_saveexec_b32 s2, s7
	s_cbranch_execnz .LBB965_117
.LBB965_55:
	s_or_b32 exec_lo, exec_lo, s2
                                        ; implicit-def: $vgpr19
	s_and_saveexec_b32 s2, s8
	s_cbranch_execnz .LBB965_118
.LBB965_56:
	s_or_b32 exec_lo, exec_lo, s2
                                        ; implicit-def: $vgpr20
	s_and_saveexec_b32 s2, s9
	s_cbranch_execnz .LBB965_119
.LBB965_57:
	s_or_b32 exec_lo, exec_lo, s2
                                        ; implicit-def: $vgpr21
	s_and_saveexec_b32 s2, s10
	s_cbranch_execnz .LBB965_120
.LBB965_58:
	s_or_b32 exec_lo, exec_lo, s2
                                        ; implicit-def: $vgpr22
	s_and_saveexec_b32 s2, s11
	s_cbranch_execnz .LBB965_121
.LBB965_59:
	s_or_b32 exec_lo, exec_lo, s2
                                        ; implicit-def: $vgpr23
	s_and_saveexec_b32 s2, s12
	s_cbranch_execnz .LBB965_122
.LBB965_60:
	s_or_b32 exec_lo, exec_lo, s2
                                        ; implicit-def: $vgpr24
	s_and_saveexec_b32 s2, s13
	s_cbranch_execnz .LBB965_123
.LBB965_61:
	s_or_b32 exec_lo, exec_lo, s2
                                        ; implicit-def: $vgpr25
	s_and_saveexec_b32 s2, s14
	s_cbranch_execnz .LBB965_124
.LBB965_62:
	s_or_b32 exec_lo, exec_lo, s2
                                        ; implicit-def: $vgpr26
	s_and_saveexec_b32 s2, s15
	s_cbranch_execnz .LBB965_125
.LBB965_63:
	s_or_b32 exec_lo, exec_lo, s2
                                        ; implicit-def: $vgpr27
	s_and_saveexec_b32 s2, s16
	s_cbranch_execnz .LBB965_126
.LBB965_64:
	s_or_b32 exec_lo, exec_lo, s2
                                        ; implicit-def: $vgpr28
	s_and_saveexec_b32 s2, s17
	s_cbranch_execnz .LBB965_127
.LBB965_65:
	s_or_b32 exec_lo, exec_lo, s2
                                        ; implicit-def: $vgpr29
	s_and_saveexec_b32 s2, s18
	s_cbranch_execnz .LBB965_128
.LBB965_66:
	s_or_b32 exec_lo, exec_lo, s2
                                        ; implicit-def: $vgpr30
	s_and_saveexec_b32 s2, s19
	s_cbranch_execnz .LBB965_129
.LBB965_67:
	s_or_b32 exec_lo, exec_lo, s2
                                        ; implicit-def: $vgpr31
	s_and_saveexec_b32 s2, s20
	s_cbranch_execnz .LBB965_130
.LBB965_68:
	s_or_b32 exec_lo, exec_lo, s2
                                        ; implicit-def: $vgpr32
	s_and_saveexec_b32 s2, s21
	s_cbranch_execz .LBB965_70
.LBB965_69:
	global_load_u16 v32, v0, s[22:23] offset:9728 scale_offset
	s_wait_loadcnt 0x0
	v_sub_nc_u16 v32, 0, v32
.LBB965_70:
	s_or_b32 exec_lo, exec_lo, s2
	v_mul_u32_u24_e32 v52, 20, v0
	ds_store_b16 v1, v2
	ds_store_b16 v1, v4 offset:512
	ds_store_b16 v1, v5 offset:1024
	;; [unrolled: 1-line block ×19, first 2 shown]
	v_dual_mov_b32 v30, 0 :: v_dual_mov_b32 v2, 0
	v_dual_mov_b32 v43, 0 :: v_dual_mov_b32 v53, 0
	v_cmp_gt_u32_e32 vcc_lo, s48, v52
	v_dual_mov_b32 v50, 0 :: v_dual_mov_b32 v51, 0
	v_dual_mov_b32 v49, 0 :: v_dual_mov_b32 v46, 0
	;; [unrolled: 1-line block ×16, first 2 shown]
	s_mov_b32 s2, 0
	s_mov_b32 s3, 0
	s_wait_dscnt 0x0
	s_barrier_signal -1
	s_barrier_wait -1
                                        ; implicit-def: $sgpr5
                                        ; implicit-def: $vgpr41
	s_and_saveexec_b32 s4, vcc_lo
	s_cbranch_execz .LBB965_108
; %bb.71:
	ds_load_u16 v30, v47
	v_dual_mov_b32 v2, 0 :: v_dual_bitop2_b32 v1, 1, v52 bitop3:0x54
	v_cmp_eq_u16_e32 vcc_lo, v3, v10
	v_dual_mov_b32 v43, 0 :: v_dual_mov_b32 v53, 0
	v_dual_mov_b32 v50, 0 :: v_dual_mov_b32 v51, 0
	v_cndmask_b32_e64 v33, 0x10000, 0, vcc_lo
	v_cmp_gt_u32_e32 vcc_lo, s48, v1
	v_dual_mov_b32 v49, 0 :: v_dual_mov_b32 v46, 0
	v_dual_mov_b32 v45, 0 :: v_dual_mov_b32 v44, 0
	v_dual_mov_b32 v42, 0 :: v_dual_mov_b32 v40, 0
	v_dual_mov_b32 v39, 0 :: v_dual_mov_b32 v38, 0
	v_dual_mov_b32 v37, 0 :: v_dual_mov_b32 v36, 0
	v_dual_mov_b32 v34, 0 :: v_dual_mov_b32 v35, 0
	v_dual_mov_b32 v32, 0 :: v_dual_mov_b32 v31, 0
	v_dual_mov_b32 v29, 0 :: v_dual_mov_b32 v28, 0
	v_dual_mov_b32 v27, 0 :: v_dual_mov_b32 v26, 0
	v_dual_mov_b32 v25, 0 :: v_dual_mov_b32 v24, 0
	v_dual_mov_b32 v23, 0 :: v_dual_mov_b32 v22, 0
	v_dual_mov_b32 v21, 0 :: v_dual_mov_b32 v20, 0
	v_dual_mov_b32 v19, 0 :: v_dual_mov_b32 v18, 0
	v_dual_mov_b32 v17, 0 :: v_dual_mov_b32 v16, 0
	v_mov_b32_e32 v1, 0
	s_mov_b32 s6, 0
                                        ; implicit-def: $sgpr5
                                        ; implicit-def: $vgpr41
	s_and_saveexec_b32 s3, vcc_lo
	s_cbranch_execz .LBB965_107
; %bb.72:
	ds_load_b128 v[2:5], v47 offset:2
	v_dual_lshrrev_b32 v54, 16, v10 :: v_dual_bitop2_b32 v1, 2, v52 bitop3:0x54
	v_dual_mov_b32 v43, 0 :: v_dual_mov_b32 v53, 0
	v_dual_mov_b32 v50, 0 :: v_dual_mov_b32 v51, 0
	s_delay_alu instid0(VALU_DEP_3)
	v_cmp_eq_u16_e32 vcc_lo, v10, v54
	v_dual_mov_b32 v49, 0 :: v_dual_mov_b32 v46, 0
	v_dual_mov_b32 v45, 0 :: v_dual_mov_b32 v44, 0
	v_cndmask_b32_e64 v32, 0x10000, 0, vcc_lo
	v_cmp_gt_u32_e32 vcc_lo, s48, v1
	v_dual_mov_b32 v42, 0 :: v_dual_mov_b32 v40, 0
	v_dual_mov_b32 v39, 0 :: v_dual_mov_b32 v38, 0
	;; [unrolled: 1-line block ×12, first 2 shown]
	s_mov_b32 s7, 0
                                        ; implicit-def: $sgpr5
                                        ; implicit-def: $vgpr41
	s_and_saveexec_b32 s6, vcc_lo
	s_cbranch_execz .LBB965_106
; %bb.73:
	s_wait_dscnt 0x0
	v_dual_lshrrev_b32 v31, 16, v2 :: v_dual_bitop2_b32 v1, 3, v52 bitop3:0x54
	v_cmp_eq_u16_e32 vcc_lo, v54, v11
	v_dual_mov_b32 v53, 0 :: v_dual_mov_b32 v50, 0
	v_dual_mov_b32 v51, 0 :: v_dual_mov_b32 v49, 0
	v_cndmask_b32_e64 v43, 0x10000, 0, vcc_lo
	v_cmp_gt_u32_e32 vcc_lo, s48, v1
	v_dual_mov_b32 v46, 0 :: v_dual_mov_b32 v45, 0
	v_dual_mov_b32 v44, 0 :: v_dual_mov_b32 v42, 0
	;; [unrolled: 1-line block ×13, first 2 shown]
	s_mov_b32 s8, 0
                                        ; implicit-def: $sgpr5
                                        ; implicit-def: $vgpr41
	s_and_saveexec_b32 s7, vcc_lo
	s_cbranch_execz .LBB965_105
; %bb.74:
	v_dual_lshrrev_b32 v10, 16, v11 :: v_dual_add_nc_u32 v1, 4, v52
	v_dual_mov_b32 v50, 0 :: v_dual_mov_b32 v51, 0
	v_dual_mov_b32 v49, 0 :: v_dual_mov_b32 v46, 0
	s_delay_alu instid0(VALU_DEP_3)
	v_cmp_eq_u16_e32 vcc_lo, v11, v10
	v_dual_mov_b32 v45, 0 :: v_dual_mov_b32 v44, 0
	v_dual_mov_b32 v42, 0 :: v_dual_mov_b32 v40, 0
	v_cndmask_b32_e64 v29, 0x10000, 0, vcc_lo
	v_cmp_gt_u32_e32 vcc_lo, s48, v1
	v_dual_mov_b32 v39, 0 :: v_dual_mov_b32 v38, 0
	v_dual_mov_b32 v37, 0 :: v_dual_mov_b32 v36, 0
	;; [unrolled: 1-line block ×10, first 2 shown]
	s_mov_b32 s9, 0
                                        ; implicit-def: $sgpr5
                                        ; implicit-def: $vgpr41
	s_and_saveexec_b32 s8, vcc_lo
	s_cbranch_execz .LBB965_104
; %bb.75:
	v_dual_add_nc_u32 v1, 5, v52 :: v_dual_lshrrev_b32 v28, 16, v3
	v_cmp_eq_u16_e32 vcc_lo, v10, v12
	v_dual_mov_b32 v51, 0 :: v_dual_mov_b32 v49, 0
	v_dual_mov_b32 v46, 0 :: v_dual_mov_b32 v45, 0
	v_cndmask_b32_e64 v50, 0x10000, 0, vcc_lo
	v_cmp_gt_u32_e32 vcc_lo, s48, v1
	v_dual_mov_b32 v44, 0 :: v_dual_mov_b32 v42, 0
	v_dual_mov_b32 v40, 0 :: v_dual_mov_b32 v39, 0
	;; [unrolled: 1-line block ×11, first 2 shown]
	s_mov_b32 s10, 0
                                        ; implicit-def: $sgpr5
                                        ; implicit-def: $vgpr41
	s_and_saveexec_b32 s9, vcc_lo
	s_cbranch_execz .LBB965_103
; %bb.76:
	v_dual_mov_b32 v49, 0 :: v_dual_lshrrev_b32 v10, 16, v12
	v_dual_mov_b32 v46, 0 :: v_dual_add_nc_u32 v1, 6, v52
	v_dual_mov_b32 v45, 0 :: v_dual_mov_b32 v44, 0
	s_delay_alu instid0(VALU_DEP_3)
	v_cmp_eq_u16_e32 vcc_lo, v12, v10
	v_dual_mov_b32 v42, 0 :: v_dual_mov_b32 v40, 0
	v_dual_mov_b32 v39, 0 :: v_dual_mov_b32 v38, 0
	v_cndmask_b32_e64 v27, 0x10000, 0, vcc_lo
	v_cmp_gt_u32_e32 vcc_lo, s48, v1
	v_dual_mov_b32 v37, 0 :: v_dual_mov_b32 v36, 0
	v_dual_mov_b32 v34, 0 :: v_dual_mov_b32 v35, 0
	;; [unrolled: 1-line block ×8, first 2 shown]
	s_mov_b32 s11, 0
                                        ; implicit-def: $sgpr5
                                        ; implicit-def: $vgpr41
	s_and_saveexec_b32 s10, vcc_lo
	s_cbranch_execz .LBB965_102
; %bb.77:
	v_dual_mov_b32 v46, 0 :: v_dual_add_nc_u32 v1, 7, v52
	v_cmp_eq_u16_e32 vcc_lo, v10, v13
	v_dual_mov_b32 v45, 0 :: v_dual_lshrrev_b32 v26, 16, v4
	v_dual_mov_b32 v44, 0 :: v_dual_mov_b32 v42, 0
	v_cndmask_b32_e64 v49, 0x10000, 0, vcc_lo
	v_cmp_gt_u32_e32 vcc_lo, s48, v1
	v_dual_mov_b32 v40, 0 :: v_dual_mov_b32 v39, 0
	v_dual_mov_b32 v38, 0 :: v_dual_mov_b32 v37, 0
	;; [unrolled: 1-line block ×9, first 2 shown]
	s_mov_b32 s12, 0
                                        ; implicit-def: $sgpr5
                                        ; implicit-def: $vgpr41
	s_and_saveexec_b32 s11, vcc_lo
	s_cbranch_execz .LBB965_101
; %bb.78:
	v_dual_lshrrev_b32 v10, 16, v13 :: v_dual_add_nc_u32 v1, 8, v52
	v_dual_mov_b32 v45, 0 :: v_dual_mov_b32 v44, 0
	v_dual_mov_b32 v42, 0 :: v_dual_mov_b32 v40, 0
	s_delay_alu instid0(VALU_DEP_3)
	v_cmp_eq_u16_e32 vcc_lo, v13, v10
	v_dual_mov_b32 v39, 0 :: v_dual_mov_b32 v38, 0
	v_dual_mov_b32 v37, 0 :: v_dual_mov_b32 v36, 0
	v_cndmask_b32_e64 v25, 0x10000, 0, vcc_lo
	v_cmp_gt_u32_e32 vcc_lo, s48, v1
	v_dual_mov_b32 v34, 0 :: v_dual_mov_b32 v35, 0
	v_dual_mov_b32 v24, 0 :: v_dual_mov_b32 v23, 0
	;; [unrolled: 1-line block ×6, first 2 shown]
	s_mov_b32 s13, 0
                                        ; implicit-def: $sgpr5
                                        ; implicit-def: $vgpr41
	s_and_saveexec_b32 s12, vcc_lo
	s_cbranch_execz .LBB965_100
; %bb.79:
	v_dual_add_nc_u32 v1, 9, v52 :: v_dual_lshrrev_b32 v24, 16, v5
	v_cmp_eq_u16_e32 vcc_lo, v10, v6
	v_dual_mov_b32 v44, 0 :: v_dual_mov_b32 v42, 0
	v_dual_mov_b32 v40, 0 :: v_dual_mov_b32 v39, 0
	v_cndmask_b32_e64 v45, 0x10000, 0, vcc_lo
	v_cmp_gt_u32_e32 vcc_lo, s48, v1
	v_dual_mov_b32 v38, 0 :: v_dual_mov_b32 v37, 0
	v_dual_mov_b32 v36, 0 :: v_dual_mov_b32 v34, 0
	;; [unrolled: 1-line block ×7, first 2 shown]
	s_mov_b32 s14, 0
                                        ; implicit-def: $sgpr5
                                        ; implicit-def: $vgpr41
	s_and_saveexec_b32 s13, vcc_lo
	s_cbranch_execz .LBB965_99
; %bb.80:
	ds_load_b128 v[10:13], v47 offset:18
	v_dual_lshrrev_b32 v23, 16, v6 :: v_dual_add_nc_u32 v1, 10, v52
	v_dual_mov_b32 v42, 0 :: v_dual_mov_b32 v40, 0
	v_dual_mov_b32 v39, 0 :: v_dual_mov_b32 v38, 0
	s_delay_alu instid0(VALU_DEP_3)
	v_cmp_eq_u16_e32 vcc_lo, v6, v23
	v_dual_mov_b32 v37, 0 :: v_dual_mov_b32 v36, 0
	v_dual_mov_b32 v34, 0 :: v_dual_mov_b32 v35, 0
	v_cndmask_b32_e64 v6, 0x10000, 0, vcc_lo
	v_cmp_gt_u32_e32 vcc_lo, s48, v1
	v_dual_mov_b32 v22, 0 :: v_dual_mov_b32 v21, 0
	v_dual_mov_b32 v20, 0 :: v_dual_mov_b32 v19, 0
	;; [unrolled: 1-line block ×4, first 2 shown]
	s_mov_b32 s15, 0
                                        ; implicit-def: $sgpr5
                                        ; implicit-def: $vgpr41
	s_and_saveexec_b32 s14, vcc_lo
	s_cbranch_execz .LBB965_98
; %bb.81:
	s_wait_dscnt 0x0
	v_dual_add_nc_u32 v1, 11, v52 :: v_dual_lshrrev_b32 v22, 16, v10
	v_cmp_eq_u16_e32 vcc_lo, v23, v7
	v_dual_mov_b32 v40, 0 :: v_dual_mov_b32 v39, 0
	v_dual_mov_b32 v38, 0 :: v_dual_mov_b32 v37, 0
	v_cndmask_b32_e64 v23, 0x10000, 0, vcc_lo
	v_cmp_gt_u32_e32 vcc_lo, s48, v1
	v_dual_mov_b32 v36, 0 :: v_dual_mov_b32 v34, 0
	v_dual_mov_b32 v35, 0 :: v_dual_mov_b32 v21, 0
	;; [unrolled: 1-line block ×5, first 2 shown]
	s_mov_b32 s16, 0
                                        ; implicit-def: $sgpr5
                                        ; implicit-def: $vgpr41
	s_and_saveexec_b32 s15, vcc_lo
	s_cbranch_execz .LBB965_97
; %bb.82:
	v_dual_lshrrev_b32 v21, 16, v7 :: v_dual_add_nc_u32 v1, 12, v52
	v_dual_mov_b32 v39, 0 :: v_dual_mov_b32 v38, 0
	v_dual_mov_b32 v37, 0 :: v_dual_mov_b32 v36, 0
	s_delay_alu instid0(VALU_DEP_3)
	v_cmp_eq_u16_e32 vcc_lo, v7, v21
	v_dual_mov_b32 v34, 0 :: v_dual_mov_b32 v35, 0
	v_dual_mov_b32 v20, 0 :: v_dual_mov_b32 v19, 0
	v_cndmask_b32_e64 v7, 0x10000, 0, vcc_lo
	v_cmp_gt_u32_e32 vcc_lo, s48, v1
	v_dual_mov_b32 v18, 0 :: v_dual_mov_b32 v17, 0
	v_dual_mov_b32 v16, 0 :: v_dual_mov_b32 v1, 0
	s_mov_b32 s17, 0
                                        ; implicit-def: $sgpr5
                                        ; implicit-def: $vgpr41
	s_and_saveexec_b32 s16, vcc_lo
	s_cbranch_execz .LBB965_96
; %bb.83:
	v_dual_add_nc_u32 v1, 13, v52 :: v_dual_lshrrev_b32 v20, 16, v11
	v_cmp_eq_u16_e32 vcc_lo, v21, v8
	v_dual_mov_b32 v38, 0 :: v_dual_mov_b32 v37, 0
	v_dual_mov_b32 v36, 0 :: v_dual_mov_b32 v34, 0
	v_cndmask_b32_e64 v21, 0x10000, 0, vcc_lo
	v_cmp_gt_u32_e32 vcc_lo, s48, v1
	v_dual_mov_b32 v35, 0 :: v_dual_mov_b32 v19, 0
	v_dual_mov_b32 v18, 0 :: v_dual_mov_b32 v17, 0
	v_dual_mov_b32 v16, 0 :: v_dual_mov_b32 v1, 0
	s_mov_b32 s18, 0
                                        ; implicit-def: $sgpr5
                                        ; implicit-def: $vgpr41
	s_and_saveexec_b32 s17, vcc_lo
	s_cbranch_execz .LBB965_95
; %bb.84:
	v_dual_lshrrev_b32 v19, 16, v8 :: v_dual_mov_b32 v37, 0
	v_dual_mov_b32 v36, 0 :: v_dual_add_nc_u32 v1, 14, v52
	v_dual_mov_b32 v34, 0 :: v_dual_mov_b32 v35, 0
	s_delay_alu instid0(VALU_DEP_3)
	v_cmp_eq_u16_e32 vcc_lo, v8, v19
	v_dual_mov_b32 v18, 0 :: v_dual_mov_b32 v17, 0
	v_mov_b32_e32 v16, 0
	s_mov_b32 s19, 0
	v_cndmask_b32_e64 v8, 0x10000, 0, vcc_lo
	v_cmp_gt_u32_e32 vcc_lo, s48, v1
	v_mov_b32_e32 v1, 0
                                        ; implicit-def: $sgpr5
                                        ; implicit-def: $vgpr41
	s_and_saveexec_b32 s18, vcc_lo
	s_cbranch_execz .LBB965_94
; %bb.85:
	v_dual_mov_b32 v36, 0 :: v_dual_add_nc_u32 v1, 15, v52
	v_cmp_eq_u16_e32 vcc_lo, v19, v9
	v_dual_lshrrev_b32 v18, 16, v12 :: v_dual_mov_b32 v34, 0
	v_dual_mov_b32 v35, 0 :: v_dual_mov_b32 v17, 0
	v_cndmask_b32_e64 v19, 0x10000, 0, vcc_lo
	v_cmp_gt_u32_e32 vcc_lo, s48, v1
	v_dual_mov_b32 v16, 0 :: v_dual_mov_b32 v1, 0
	s_mov_b32 s20, 0
                                        ; implicit-def: $sgpr5
                                        ; implicit-def: $vgpr41
	s_and_saveexec_b32 s19, vcc_lo
	s_cbranch_execz .LBB965_93
; %bb.86:
	v_dual_lshrrev_b32 v17, 16, v9 :: v_dual_add_nc_u32 v1, 16, v52
	v_dual_mov_b32 v34, 0 :: v_dual_mov_b32 v35, 0
	v_mov_b32_e32 v16, 0
	s_delay_alu instid0(VALU_DEP_3)
	v_cmp_eq_u16_e32 vcc_lo, v9, v17
	s_mov_b32 s21, 0
                                        ; implicit-def: $sgpr5
                                        ; implicit-def: $vgpr41
	v_cndmask_b32_e64 v9, 0x10000, 0, vcc_lo
	v_cmp_gt_u32_e32 vcc_lo, s48, v1
	v_mov_b32_e32 v1, 0
	s_and_saveexec_b32 s20, vcc_lo
	s_cbranch_execz .LBB965_92
; %bb.87:
	v_dual_add_nc_u32 v1, 17, v52 :: v_dual_lshrrev_b32 v16, 16, v13
	v_cmp_eq_u16_e32 vcc_lo, v17, v14
	v_mov_b32_e32 v35, 0
	s_mov_b32 s46, 0
                                        ; implicit-def: $sgpr5
                                        ; implicit-def: $vgpr41
	v_cndmask_b32_e64 v17, 0x10000, 0, vcc_lo
	v_cmp_gt_u32_e32 vcc_lo, s48, v1
	v_mov_b32_e32 v1, 0
	s_and_saveexec_b32 s21, vcc_lo
	s_cbranch_execz .LBB965_91
; %bb.88:
	ds_load_u16 v34, v47 offset:34
	v_dual_lshrrev_b32 v35, 16, v14 :: v_dual_add_nc_u32 v36, 18, v52
	v_mov_b32_e32 v1, 0
	s_mov_b32 s47, 0
	s_mov_b32 s46, exec_lo
	s_delay_alu instid0(VALU_DEP_2)
	v_cmp_eq_u16_e32 vcc_lo, v14, v35
                                        ; implicit-def: $sgpr5
                                        ; implicit-def: $vgpr41
	v_cndmask_b32_e64 v14, 0x10000, 0, vcc_lo
	v_cmpx_gt_u32_e64 s48, v36
	s_xor_b32 s46, exec_lo, s46
	s_cbranch_execz .LBB965_90
; %bb.89:
	ds_load_b32 v1, v47 offset:36
	v_cmp_eq_u16_e32 vcc_lo, v35, v15
	v_add_nc_u32_e32 v36, 19, v52
	v_cmp_ne_u16_e64 s5, v15, v48
	v_cndmask_b32_e64 v35, 0x10000, 0, vcc_lo
	s_wait_dscnt 0x0
	v_lshrrev_b32_e32 v41, 16, v1
	v_cmp_gt_u32_e32 vcc_lo, s48, v36
	s_delay_alu instid0(VALU_DEP_3)
	v_and_or_b32 v1, 0xffff, v1, v35
	s_and_b32 s47, vcc_lo, exec_lo
.LBB965_90:
	s_or_b32 exec_lo, exec_lo, s46
	s_wait_dscnt 0x0
	v_or_b32_e32 v35, v14, v34
	s_and_b32 s46, s47, exec_lo
.LBB965_91:
	s_or_b32 exec_lo, exec_lo, s21
	s_delay_alu instid0(VALU_DEP_1)
	v_dual_mov_b32 v16, v35 :: v_dual_bitop2_b32 v34, v17, v16 bitop3:0x54
	s_and_b32 s21, s46, exec_lo
.LBB965_92:
	s_or_b32 exec_lo, exec_lo, s20
	v_and_or_b32 v36, 0xffff, v13, v9
	s_delay_alu instid0(VALU_DEP_2)
	v_mov_b32_e32 v17, v34
	s_and_b32 s20, s21, exec_lo
.LBB965_93:
	s_or_b32 exec_lo, exec_lo, s19
	s_delay_alu instid0(VALU_DEP_2)
	v_dual_mov_b32 v18, v36 :: v_dual_bitop2_b32 v37, v19, v18 bitop3:0x54
	s_and_b32 s19, s20, exec_lo
.LBB965_94:
	s_or_b32 exec_lo, exec_lo, s18
	v_and_or_b32 v38, 0xffff, v12, v8
	s_delay_alu instid0(VALU_DEP_2)
	v_mov_b32_e32 v19, v37
	s_and_b32 s18, s19, exec_lo
.LBB965_95:
	s_or_b32 exec_lo, exec_lo, s17
	s_delay_alu instid0(VALU_DEP_2)
	v_dual_mov_b32 v20, v38 :: v_dual_bitop2_b32 v39, v21, v20 bitop3:0x54
	s_and_b32 s17, s18, exec_lo
.LBB965_96:
	s_or_b32 exec_lo, exec_lo, s16
	v_and_or_b32 v40, 0xffff, v11, v7
	s_delay_alu instid0(VALU_DEP_2)
	v_mov_b32_e32 v21, v39
	s_and_b32 s16, s17, exec_lo
.LBB965_97:
	s_or_b32 exec_lo, exec_lo, s15
	s_delay_alu instid0(VALU_DEP_2)
	v_dual_mov_b32 v22, v40 :: v_dual_bitop2_b32 v42, v23, v22 bitop3:0x54
	s_and_b32 s15, s16, exec_lo
.LBB965_98:
	s_or_b32 exec_lo, exec_lo, s14
	s_wait_dscnt 0x0
	v_and_or_b32 v44, 0xffff, v10, v6
	v_mov_b32_e32 v23, v42
	s_and_b32 s14, s15, exec_lo
.LBB965_99:
	s_or_b32 exec_lo, exec_lo, s13
	s_delay_alu instid0(VALU_DEP_2)
	v_dual_mov_b32 v24, v44 :: v_dual_bitop2_b32 v45, v45, v24 bitop3:0x54
	s_and_b32 s13, s14, exec_lo
.LBB965_100:
	s_or_b32 exec_lo, exec_lo, s12
	v_and_or_b32 v46, 0xffff, v5, v25
	s_delay_alu instid0(VALU_DEP_2)
	v_mov_b32_e32 v25, v45
	s_and_b32 s12, s13, exec_lo
.LBB965_101:
	s_or_b32 exec_lo, exec_lo, s11
	s_delay_alu instid0(VALU_DEP_2)
	v_dual_mov_b32 v26, v46 :: v_dual_bitop2_b32 v49, v49, v26 bitop3:0x54
	s_and_b32 s11, s12, exec_lo
.LBB965_102:
	s_or_b32 exec_lo, exec_lo, s10
	v_and_or_b32 v51, 0xffff, v4, v27
	s_delay_alu instid0(VALU_DEP_2)
	v_mov_b32_e32 v27, v49
	s_and_b32 s10, s11, exec_lo
.LBB965_103:
	s_or_b32 exec_lo, exec_lo, s9
	s_delay_alu instid0(VALU_DEP_2)
	v_dual_mov_b32 v28, v51 :: v_dual_bitop2_b32 v50, v50, v28 bitop3:0x54
	s_and_b32 s9, s10, exec_lo
.LBB965_104:
	s_or_b32 exec_lo, exec_lo, s8
	v_and_or_b32 v53, 0xffff, v3, v29
	s_delay_alu instid0(VALU_DEP_2)
	v_mov_b32_e32 v29, v50
	s_and_b32 s8, s9, exec_lo
.LBB965_105:
	s_or_b32 exec_lo, exec_lo, s7
	s_delay_alu instid0(VALU_DEP_2)
	v_dual_mov_b32 v31, v53 :: v_dual_bitop2_b32 v43, v43, v31 bitop3:0x54
	s_and_b32 s7, s8, exec_lo
.LBB965_106:
	s_or_b32 exec_lo, exec_lo, s6
	s_wait_dscnt 0x0
	v_and_or_b32 v2, 0xffff, v2, v32
	v_mov_b32_e32 v32, v43
	s_and_b32 s6, s7, exec_lo
.LBB965_107:
	s_or_b32 exec_lo, exec_lo, s3
	s_wait_dscnt 0x0
	v_dual_mov_b32 v33, v2 :: v_dual_bitop2_b32 v30, v33, v30 bitop3:0x54
	s_and_b32 s3, s6, exec_lo
.LBB965_108:
	s_or_b32 exec_lo, exec_lo, s4
	v_lshlrev_b32_e32 v10, 1, v0
	s_and_b32 vcc_lo, exec_lo, s2
	s_cbranch_vccz .LBB965_136
.LBB965_109:
	s_clause 0x13
	flat_load_u16 v2, v0, s[42:43] scale_offset
	flat_load_u16 v3, v0, s[42:43] offset:512 scale_offset
	flat_load_u16 v4, v0, s[42:43] offset:1024 scale_offset
	;; [unrolled: 1-line block ×19, first 2 shown]
	v_mad_u32_u24 v1, v0, 38, v10
	s_cmp_eq_u64 s[44:45], 0
	s_wait_loadcnt_dscnt 0x1313
	ds_store_b16 v10, v2
	s_wait_loadcnt_dscnt 0x1213
	ds_store_b16 v10, v3 offset:512
	s_wait_loadcnt_dscnt 0x1113
	ds_store_b16 v10, v4 offset:1024
	;; [unrolled: 2-line block ×19, first 2 shown]
	s_wait_dscnt 0x0
	s_barrier_signal -1
	s_barrier_wait -1
	ds_load_2addr_b64 v[6:9], v1 offset1:1
	ds_load_2addr_b64 v[2:5], v1 offset0:2 offset1:3
	ds_load_b64 v[12:13], v1 offset:32
	v_mov_b32_e32 v11, 0
	s_cbranch_scc1 .LBB965_133
; %bb.110:
	s_and_not1_b32 vcc_lo, exec_lo, s39
	s_cbranch_vccnz .LBB965_131
; %bb.111:
	s_lshl_b64 s[2:3], s[44:45], 1
	s_delay_alu instid0(SALU_CYCLE_1) | instskip(NEXT) | instid1(SALU_CYCLE_1)
	s_add_nc_u64 s[2:3], s[30:31], s[2:3]
	s_add_nc_u64 s[42:43], s[2:3], -2
	s_mov_b32 s2, 0
	s_branch .LBB965_132
.LBB965_112:
	global_load_u16 v2, v0, s[22:23] scale_offset
	s_wait_loadcnt 0x0
	v_sub_nc_u16 v2, 0, v2
	s_or_b32 exec_lo, exec_lo, s46
                                        ; implicit-def: $vgpr4
	s_and_saveexec_b32 s2, s3
	s_cbranch_execz .LBB965_51
.LBB965_113:
	global_load_u16 v4, v0, s[22:23] offset:512 scale_offset
	s_wait_loadcnt 0x0
	v_sub_nc_u16 v4, 0, v4
	s_or_b32 exec_lo, exec_lo, s2
                                        ; implicit-def: $vgpr5
	s_and_saveexec_b32 s2, s4
	s_cbranch_execz .LBB965_52
.LBB965_114:
	global_load_u16 v5, v0, s[22:23] offset:1024 scale_offset
	s_wait_loadcnt 0x0
	v_sub_nc_u16 v5, 0, v5
	s_or_b32 exec_lo, exec_lo, s2
                                        ; implicit-def: $vgpr16
	s_and_saveexec_b32 s2, s5
	s_cbranch_execz .LBB965_53
.LBB965_115:
	global_load_u16 v16, v0, s[22:23] offset:1536 scale_offset
	s_wait_loadcnt 0x0
	v_sub_nc_u16 v16, 0, v16
	s_or_b32 exec_lo, exec_lo, s2
                                        ; implicit-def: $vgpr17
	s_and_saveexec_b32 s2, s6
	s_cbranch_execz .LBB965_54
.LBB965_116:
	global_load_u16 v17, v0, s[22:23] offset:2048 scale_offset
	s_wait_loadcnt 0x0
	v_sub_nc_u16 v17, 0, v17
	s_or_b32 exec_lo, exec_lo, s2
                                        ; implicit-def: $vgpr18
	s_and_saveexec_b32 s2, s7
	s_cbranch_execz .LBB965_55
.LBB965_117:
	global_load_u16 v18, v0, s[22:23] offset:2560 scale_offset
	s_wait_loadcnt 0x0
	v_sub_nc_u16 v18, 0, v18
	s_or_b32 exec_lo, exec_lo, s2
                                        ; implicit-def: $vgpr19
	s_and_saveexec_b32 s2, s8
	s_cbranch_execz .LBB965_56
.LBB965_118:
	global_load_u16 v19, v0, s[22:23] offset:3072 scale_offset
	s_wait_loadcnt 0x0
	v_sub_nc_u16 v19, 0, v19
	s_or_b32 exec_lo, exec_lo, s2
                                        ; implicit-def: $vgpr20
	s_and_saveexec_b32 s2, s9
	s_cbranch_execz .LBB965_57
.LBB965_119:
	global_load_u16 v20, v0, s[22:23] offset:3584 scale_offset
	s_wait_loadcnt 0x0
	v_sub_nc_u16 v20, 0, v20
	s_or_b32 exec_lo, exec_lo, s2
                                        ; implicit-def: $vgpr21
	s_and_saveexec_b32 s2, s10
	s_cbranch_execz .LBB965_58
.LBB965_120:
	global_load_u16 v21, v0, s[22:23] offset:4096 scale_offset
	s_wait_loadcnt 0x0
	v_sub_nc_u16 v21, 0, v21
	s_or_b32 exec_lo, exec_lo, s2
                                        ; implicit-def: $vgpr22
	s_and_saveexec_b32 s2, s11
	s_cbranch_execz .LBB965_59
.LBB965_121:
	global_load_u16 v22, v0, s[22:23] offset:4608 scale_offset
	s_wait_loadcnt 0x0
	v_sub_nc_u16 v22, 0, v22
	s_or_b32 exec_lo, exec_lo, s2
                                        ; implicit-def: $vgpr23
	s_and_saveexec_b32 s2, s12
	s_cbranch_execz .LBB965_60
.LBB965_122:
	global_load_u16 v23, v0, s[22:23] offset:5120 scale_offset
	s_wait_loadcnt 0x0
	v_sub_nc_u16 v23, 0, v23
	s_or_b32 exec_lo, exec_lo, s2
                                        ; implicit-def: $vgpr24
	s_and_saveexec_b32 s2, s13
	s_cbranch_execz .LBB965_61
.LBB965_123:
	global_load_u16 v24, v0, s[22:23] offset:5632 scale_offset
	s_wait_loadcnt 0x0
	v_sub_nc_u16 v24, 0, v24
	s_or_b32 exec_lo, exec_lo, s2
                                        ; implicit-def: $vgpr25
	s_and_saveexec_b32 s2, s14
	s_cbranch_execz .LBB965_62
.LBB965_124:
	global_load_u16 v25, v0, s[22:23] offset:6144 scale_offset
	s_wait_loadcnt 0x0
	v_sub_nc_u16 v25, 0, v25
	s_or_b32 exec_lo, exec_lo, s2
                                        ; implicit-def: $vgpr26
	s_and_saveexec_b32 s2, s15
	s_cbranch_execz .LBB965_63
.LBB965_125:
	global_load_u16 v26, v0, s[22:23] offset:6656 scale_offset
	s_wait_loadcnt 0x0
	v_sub_nc_u16 v26, 0, v26
	s_or_b32 exec_lo, exec_lo, s2
                                        ; implicit-def: $vgpr27
	s_and_saveexec_b32 s2, s16
	s_cbranch_execz .LBB965_64
.LBB965_126:
	global_load_u16 v27, v0, s[22:23] offset:7168 scale_offset
	s_wait_loadcnt 0x0
	v_sub_nc_u16 v27, 0, v27
	s_or_b32 exec_lo, exec_lo, s2
                                        ; implicit-def: $vgpr28
	s_and_saveexec_b32 s2, s17
	s_cbranch_execz .LBB965_65
.LBB965_127:
	global_load_u16 v28, v0, s[22:23] offset:7680 scale_offset
	s_wait_loadcnt 0x0
	v_sub_nc_u16 v28, 0, v28
	s_or_b32 exec_lo, exec_lo, s2
                                        ; implicit-def: $vgpr29
	s_and_saveexec_b32 s2, s18
	s_cbranch_execz .LBB965_66
.LBB965_128:
	global_load_u16 v29, v0, s[22:23] offset:8192 scale_offset
	s_wait_loadcnt 0x0
	v_sub_nc_u16 v29, 0, v29
	s_or_b32 exec_lo, exec_lo, s2
                                        ; implicit-def: $vgpr30
	s_and_saveexec_b32 s2, s19
	s_cbranch_execz .LBB965_67
.LBB965_129:
	global_load_u16 v30, v0, s[22:23] offset:8704 scale_offset
	s_wait_loadcnt 0x0
	v_sub_nc_u16 v30, 0, v30
	s_or_b32 exec_lo, exec_lo, s2
                                        ; implicit-def: $vgpr31
	s_and_saveexec_b32 s2, s20
	s_cbranch_execz .LBB965_68
.LBB965_130:
	global_load_u16 v31, v0, s[22:23] offset:9216 scale_offset
	s_wait_loadcnt 0x0
	v_sub_nc_u16 v31, 0, v31
	s_or_b32 exec_lo, exec_lo, s2
                                        ; implicit-def: $vgpr32
	s_and_saveexec_b32 s2, s21
	s_cbranch_execnz .LBB965_69
	s_branch .LBB965_70
.LBB965_131:
	s_add_nc_u64 s[42:43], s[42:43], -2
	s_mov_b32 s2, -1
.LBB965_132:
	s_delay_alu instid0(SALU_CYCLE_1)
	s_and_not1_b32 vcc_lo, exec_lo, s2
.LBB965_133:
	flat_load_u16 v14, v11, s[42:43]
	s_wait_dscnt 0x1
	s_wait_xcnt 0x0
	v_lshrrev_b32_e32 v11, 16, v13
	v_mad_i32_i24 v15, 0xffffffda, v0, v1
	s_mov_b32 s2, exec_lo
	ds_store_b16 v15, v11 offset:10240
	s_wait_loadcnt_dscnt 0x0
	s_barrier_signal -1
	s_barrier_wait -1
	v_cmpx_ne_u32_e32 0, v0
; %bb.134:
	v_mul_i32_i24_e32 v14, 0xffffffda, v0
	s_delay_alu instid0(VALU_DEP_1)
	v_add_nc_u32_e32 v14, v1, v14
	ds_load_u16 v14, v14 offset:10238
; %bb.135:
	s_or_b32 exec_lo, exec_lo, s2
	s_wait_dscnt 0x0
	s_barrier_signal -1
	s_barrier_wait -1
	s_clause 0x13
	global_load_u16 v15, v0, s[22:23] scale_offset
	global_load_u16 v16, v0, s[22:23] offset:512 scale_offset
	global_load_u16 v17, v0, s[22:23] offset:1024 scale_offset
	;; [unrolled: 1-line block ×19, first 2 shown]
	v_dual_lshrrev_b32 v35, 16, v6 :: v_dual_lshrrev_b32 v36, 16, v7
	v_cmp_eq_u16_e32 vcc_lo, v14, v6
	v_cmp_ne_u16_e64 s5, v13, v11
	v_dual_lshrrev_b32 v37, 16, v8 :: v_dual_lshrrev_b32 v38, 16, v9
	v_dual_lshrrev_b32 v39, 16, v2 :: v_dual_lshrrev_b32 v40, 16, v3
	v_cndmask_b32_e64 v11, 0x10000, 0, vcc_lo
	v_cmp_eq_u16_e32 vcc_lo, v6, v35
	v_dual_lshrrev_b32 v41, 16, v4 :: v_dual_lshrrev_b32 v42, 16, v5
	s_mov_b32 s3, -1
	v_cndmask_b32_e64 v44, 0x10000, 0, vcc_lo
	v_cmp_eq_u16_e32 vcc_lo, v35, v7
	v_cndmask_b32_e64 v35, 0x10000, 0, vcc_lo
	v_cmp_eq_u16_e32 vcc_lo, v7, v36
	;; [unrolled: 2-line block ×9, first 2 shown]
	s_wait_loadcnt 0x13
	v_sub_nc_u16 v2, 0, v15
	s_wait_loadcnt 0x12
	v_sub_nc_u16 v6, 0, v16
	;; [unrolled: 2-line block ×20, first 2 shown]
	ds_store_b16 v10, v2
	ds_store_b16 v10, v6 offset:512
	ds_store_b16 v10, v7 offset:1024
	;; [unrolled: 1-line block ×19, first 2 shown]
	v_cndmask_b32_e64 v18, 0x10000, 0, vcc_lo
	v_cmp_eq_u16_e32 vcc_lo, v3, v40
	s_wait_dscnt 0x0
	s_barrier_signal -1
	s_barrier_wait -1
	v_cndmask_b32_e64 v19, 0x10000, 0, vcc_lo
	v_cmp_eq_u16_e32 vcc_lo, v40, v4
	ds_load_2addr_b64 v[6:9], v1 offset1:1
	ds_load_2addr_b64 v[14:17], v1 offset0:2 offset1:3
	ds_load_b64 v[2:3], v1 offset:32
	v_lshrrev_b32_e32 v43, 16, v12
	v_cndmask_b32_e64 v20, 0x10000, 0, vcc_lo
	v_cmp_eq_u16_e32 vcc_lo, v4, v41
	v_cndmask_b32_e64 v4, 0x10000, 0, vcc_lo
	v_cmp_eq_u16_e32 vcc_lo, v41, v5
	;; [unrolled: 2-line block ×3, first 2 shown]
	s_wait_dscnt 0x2
	v_dual_lshrrev_b32 v22, 16, v6 :: v_dual_lshrrev_b32 v23, 16, v7
	v_lshrrev_b32_e32 v24, 16, v8
	v_cndmask_b32_e64 v5, 0x10000, 0, vcc_lo
	v_cmp_eq_u16_e32 vcc_lo, v42, v12
	s_wait_dscnt 0x1
	v_dual_lshrrev_b32 v25, 16, v9 :: v_dual_lshrrev_b32 v26, 16, v14
	v_dual_lshrrev_b32 v27, 16, v15 :: v_dual_lshrrev_b32 v28, 16, v16
	v_cndmask_b32_e64 v21, 0x10000, 0, vcc_lo
	v_cmp_eq_u16_e32 vcc_lo, v12, v43
	s_wait_dscnt 0x0
	v_dual_lshrrev_b32 v29, 16, v17 :: v_dual_lshrrev_b32 v31, 16, v2
	v_lshrrev_b32_e32 v41, 16, v3
	v_and_or_b32 v50, 0xffff, v8, v36
	v_cndmask_b32_e64 v12, 0x10000, 0, vcc_lo
	v_cmp_eq_u16_e32 vcc_lo, v43, v13
	v_and_or_b32 v43, 0xffff, v7, v35
	v_and_or_b32 v49, 0xffff, v9, v37
	;; [unrolled: 1-line block ×4, first 2 shown]
	v_cndmask_b32_e64 v13, 0x10000, 0, vcc_lo
	v_and_or_b32 v39, 0xffff, v16, v20
	v_and_or_b32 v37, 0xffff, v17, v1
	;; [unrolled: 1-line block ×3, first 2 shown]
	v_or_b32_e32 v2, v44, v22
	v_dual_mov_b32 v32, v43 :: v_dual_bitop2_b32 v53, v46, v23 bitop3:0x54
	v_or_b32_e32 v51, v47, v24
	v_or_b32_e32 v46, v48, v25
	v_dual_mov_b32 v25, v45 :: v_dual_bitop2_b32 v44, v52, v26 bitop3:0x54
	v_dual_mov_b32 v23, v42 :: v_dual_bitop2_b32 v40, v19, v27 bitop3:0x54
	;; [unrolled: 1-line block ×5, first 2 shown]
	v_and_or_b32 v30, 0xffff, v6, v11
	v_and_or_b32 v1, 0xffff, v3, v13
	v_dual_mov_b32 v29, v50 :: v_dual_mov_b32 v27, v49
	v_dual_mov_b32 v33, v2 :: v_dual_mov_b32 v31, v53
	;; [unrolled: 1-line block ×5, first 2 shown]
	v_mov_b32_e32 v16, v35
.LBB965_136:
	v_mov_b32_e32 v11, 0
	s_and_saveexec_b32 s2, s3
	s_cbranch_execz .LBB965_138
; %bb.137:
	v_and_b32_e32 v3, 0xffff, v41
	v_cndmask_b32_e64 v4, 0, 0x10000, s5
	v_dual_mov_b32 v16, v35 :: v_dual_mov_b32 v17, v34
	v_dual_mov_b32 v18, v36 :: v_dual_mov_b32 v19, v37
	s_delay_alu instid0(VALU_DEP_3)
	v_dual_mov_b32 v20, v38 :: v_dual_bitop2_b32 v11, v4, v3 bitop3:0x54
	v_dual_mov_b32 v21, v39 :: v_dual_mov_b32 v22, v40
	v_dual_mov_b32 v23, v42 :: v_dual_mov_b32 v24, v44
	;; [unrolled: 1-line block ×6, first 2 shown]
.LBB965_138:
	s_or_b32 exec_lo, exec_lo, s2
	v_dual_lshrrev_b32 v45, 3, v0 :: v_dual_bitop2_b32 v2, v26, v25 bitop3:0x54
	v_or_b32_e32 v3, v18, v17
	v_or_b32_e32 v43, v16, v1
	v_cmp_gt_u32_e64 s20, 0x10000, v33
	v_cmp_gt_u32_e64 s19, 0x10000, v32
	;; [unrolled: 1-line block ×8, first 2 shown]
	v_or3_b32 v44, v2, v27, v28
	v_cmp_gt_u32_e64 s13, 0x10000, v24
	v_cmp_gt_u32_e64 s11, 0x10000, v23
	;; [unrolled: 1-line block ×8, first 2 shown]
	v_or3_b32 v46, v3, v19, v20
	v_cmp_gt_u32_e64 s5, 0x10000, v16
	v_cmp_gt_u32_e64 s3, 0x10000, v1
	;; [unrolled: 1-line block ×3, first 2 shown]
	s_cmp_lg_u32 s28, 0
	v_cmp_gt_u32_e32 vcc_lo, 32, v0
	s_barrier_signal -1
	s_barrier_wait -1
	s_cbranch_scc0 .LBB965_188
; %bb.139:
	v_or3_b32 v3, v46, v21, v22
	v_or3_b32 v4, v44, v29, v31
	v_dual_cndmask_b32 v2, 0, v30, s20 :: v_dual_bitop2_b32 v5, 28, v45 bitop3:0x40
	v_lshrrev_b32_e32 v12, 16, v30
	s_delay_alu instid0(VALU_DEP_4) | instskip(NEXT) | instid1(VALU_DEP_4)
	v_or3_b32 v3, v3, v23, v24
	v_or3_b32 v4, v4, v32, v33
	s_delay_alu instid0(VALU_DEP_4) | instskip(NEXT) | instid1(VALU_DEP_3)
	v_add_nc_u16 v2, v2, v33
	v_or3_b32 v3, v11, v43, v3
	s_delay_alu instid0(VALU_DEP_1) | instskip(SKIP_1) | instid1(VALU_DEP_2)
	v_bitop3_b32 v3, v3, 0xff0000, v4 bitop3:0xc8
	v_lshl_add_u32 v4, v0, 2, v5
	v_cmp_eq_u32_e64 s21, 0, v3
	s_delay_alu instid0(VALU_DEP_1) | instskip(NEXT) | instid1(VALU_DEP_1)
	v_dual_cndmask_b32 v2, 0, v2, s19 :: v_dual_cndmask_b32 v14, 1, v12, s21
	v_add_nc_u16 v2, v2, v32
	s_delay_alu instid0(VALU_DEP_1) | instskip(NEXT) | instid1(VALU_DEP_1)
	v_cndmask_b32_e64 v2, 0, v2, s18
	v_add_nc_u16 v2, v2, v31
	s_delay_alu instid0(VALU_DEP_1) | instskip(NEXT) | instid1(VALU_DEP_1)
	v_cndmask_b32_e64 v2, 0, v2, s17
	;; [unrolled: 3-line block ×17, first 2 shown]
	v_add_nc_u16 v13, v2, v11
	ds_store_b16 v4, v13
	ds_store_b8 v4, v14 offset:2
	s_wait_dscnt 0x0
	s_barrier_signal -1
	s_barrier_wait -1
	s_and_saveexec_b32 s22, vcc_lo
	s_cbranch_execz .LBB965_151
; %bb.140:
	v_and_b32_e32 v2, 0xfc, v0
	v_lshlrev_b32_e32 v3, 5, v0
	s_mov_b32 s23, exec_lo
	s_delay_alu instid0(VALU_DEP_1)
	v_add_nc_u32_e32 v2, v2, v3
	ds_load_u8 v4, v2 offset:6
	ds_load_b32 v3, v2
	ds_load_u16 v5, v2 offset:4
	ds_load_u8 v6, v2 offset:10
	ds_load_u16 v7, v2 offset:8
	ds_load_u16 v8, v2 offset:12
	ds_load_u8 v9, v2 offset:14
	ds_load_u16 v15, v2 offset:16
	s_wait_dscnt 0x7
	v_cmp_eq_u16_e64 s21, 0, v4
	s_wait_dscnt 0x4
	s_delay_alu instid0(VALU_DEP_1) | instskip(SKIP_1) | instid1(VALU_DEP_2)
	v_dual_cndmask_b32 v34, 0, v3, s21 :: v_dual_bitop2_b32 v4, v6, v4 bitop3:0x54
	v_cmp_eq_u16_e64 s21, 0, v6
	v_add_nc_u16 v5, v34, v5
	ds_load_u8 v34, v2 offset:18
	v_cndmask_b32_e64 v5, 0, v5, s21
	s_wait_dscnt 0x2
	v_cmp_eq_u16_e64 s21, 0, v9
	s_delay_alu instid0(VALU_DEP_2) | instskip(SKIP_2) | instid1(VALU_DEP_1)
	v_add_nc_u16 v5, v5, v7
	ds_load_u8 v7, v2 offset:22
	v_cndmask_b32_e64 v5, 0, v5, s21
	v_add_nc_u16 v5, v5, v8
	ds_load_u16 v8, v2 offset:20
	ds_load_u16 v35, v2 offset:24
	ds_load_u8 v36, v2 offset:26
	ds_load_u16 v37, v2 offset:28
	ds_load_u8 v38, v2 offset:30
	s_wait_dscnt 0x6
	v_cmp_eq_u16_e64 s21, 0, v34
	v_bitop3_b16 v6, v4, v34, v9 bitop3:0xfe
	v_and_b32_e32 v4, 0x10000, v3
	s_delay_alu instid0(VALU_DEP_3)
	v_cndmask_b32_e64 v5, 0, v5, s21
	s_wait_dscnt 0x5
	v_cmp_eq_u16_e64 s21, 0, v7
	s_wait_dscnt 0x2
	v_bitop3_b16 v6, v6, v36, v7 bitop3:0xfe
	s_wait_dscnt 0x0
	v_and_b32_e32 v7, 1, v38
	v_add_nc_u16 v5, v5, v15
	s_delay_alu instid0(VALU_DEP_1) | instskip(SKIP_1) | instid1(VALU_DEP_2)
	v_cndmask_b32_e64 v5, 0, v5, s21
	v_cmp_eq_u16_e64 s21, 0, v36
	v_add_nc_u16 v5, v5, v8
	s_delay_alu instid0(VALU_DEP_1) | instskip(SKIP_1) | instid1(VALU_DEP_2)
	v_cndmask_b32_e64 v5, 0, v5, s21
	v_cmp_eq_u16_e64 s21, 0, v38
	;; [unrolled: 4-line block ×3, first 2 shown]
	v_add_nc_u16 v6, v5, v37
	s_delay_alu instid0(VALU_DEP_2) | instskip(SKIP_4) | instid1(VALU_DEP_4)
	v_cndmask_b32_e64 v8, 0x10000, v4, s21
	v_cmp_eq_u32_e64 s21, 1, v7
	v_and_b32_e32 v5, 0xff000000, v3
	v_mbcnt_lo_u32_b32 v7, -1, 0
	v_and_b32_e32 v9, 0xffff, v6
	v_cndmask_b32_e64 v8, v8, 0x10000, s21
	s_delay_alu instid0(VALU_DEP_1) | instskip(NEXT) | instid1(VALU_DEP_3)
	v_or_b32_e32 v15, v8, v5
	v_or3_b32 v34, v5, v9, v8
	v_and_b32_e32 v8, 15, v7
	s_delay_alu instid0(VALU_DEP_3) | instskip(NEXT) | instid1(VALU_DEP_3)
	v_lshrrev_b32_e32 v9, 16, v15
	v_mov_b32_dpp v35, v34 row_shr:1 row_mask:0xf bank_mask:0xf
	s_delay_alu instid0(VALU_DEP_3)
	v_cmpx_ne_u32_e32 0, v8
	s_cbranch_execz .LBB965_142
; %bb.141:
	s_delay_alu instid0(VALU_DEP_2) | instskip(SKIP_2) | instid1(VALU_DEP_3)
	v_lshrrev_b32_e32 v34, 16, v35
	v_lshrrev_b32_e32 v9, 16, v15
	v_and_b32_e32 v15, 0x10000, v15
	v_and_b32_e32 v34, 1, v34
	s_delay_alu instid0(VALU_DEP_3) | instskip(NEXT) | instid1(VALU_DEP_1)
	v_and_b32_e32 v9, 0xff, v9
	v_cmp_eq_u16_e64 s21, 0, v9
	s_delay_alu instid0(VALU_DEP_1) | instskip(SKIP_1) | instid1(VALU_DEP_2)
	v_cndmask_b32_e64 v35, 0, v35, s21
	v_cmp_ne_u32_e64 s21, 0, v15
	v_add_nc_u16 v6, v35, v6
	s_delay_alu instid0(VALU_DEP_2) | instskip(NEXT) | instid1(VALU_DEP_2)
	v_cndmask_b32_e64 v9, v34, 1, s21
	v_and_b32_e32 v34, 0xffff, v6
	s_delay_alu instid0(VALU_DEP_2) | instskip(NEXT) | instid1(VALU_DEP_1)
	v_lshlrev_b32_e32 v15, 16, v9
	v_or3_b32 v34, v15, v34, v5
.LBB965_142:
	s_or_b32 exec_lo, exec_lo, s23
	s_delay_alu instid0(VALU_DEP_1)
	v_lshrrev_b32_e32 v15, 16, v34
	v_mov_b32_dpp v35, v34 row_shr:2 row_mask:0xf bank_mask:0xf
	s_mov_b32 s23, exec_lo
	v_cmpx_lt_u32_e32 1, v8
	s_cbranch_execz .LBB965_144
; %bb.143:
	v_and_b32_e32 v15, 0xff, v15
	v_and_b32_e32 v34, 0x10000, v34
	s_delay_alu instid0(VALU_DEP_2) | instskip(NEXT) | instid1(VALU_DEP_1)
	v_cmp_eq_u16_e64 s21, 0, v15
	v_dual_lshrrev_b32 v9, 16, v35 :: v_dual_cndmask_b32 v15, 0, v35, s21
	s_delay_alu instid0(VALU_DEP_1) | instskip(NEXT) | instid1(VALU_DEP_4)
	v_and_b32_e32 v9, 1, v9
	v_cmp_ne_u32_e64 s21, 0, v34
	s_delay_alu instid0(VALU_DEP_3) | instskip(NEXT) | instid1(VALU_DEP_2)
	v_add_nc_u16 v6, v15, v6
	v_cndmask_b32_e64 v9, v9, 1, s21
	s_delay_alu instid0(VALU_DEP_2) | instskip(NEXT) | instid1(VALU_DEP_2)
	v_and_b32_e32 v34, 0xffff, v6
	v_lshlrev_b32_e32 v15, 16, v9
	s_delay_alu instid0(VALU_DEP_1)
	v_or3_b32 v34, v15, v34, v5
	v_mov_b32_e32 v15, v9
.LBB965_144:
	s_or_b32 exec_lo, exec_lo, s23
	s_delay_alu instid0(VALU_DEP_2)
	v_mov_b32_dpp v35, v34 row_shr:4 row_mask:0xf bank_mask:0xf
	s_mov_b32 s23, exec_lo
	v_cmpx_lt_u32_e32 3, v8
	s_cbranch_execz .LBB965_146
; %bb.145:
	v_and_b32_e32 v34, 0xff, v15
	v_and_b32_e32 v15, 1, v15
	s_delay_alu instid0(VALU_DEP_2) | instskip(NEXT) | instid1(VALU_DEP_1)
	v_cmp_eq_u16_e64 s21, 0, v34
	v_dual_lshrrev_b32 v9, 16, v35 :: v_dual_cndmask_b32 v34, 0, v35, s21
	s_delay_alu instid0(VALU_DEP_1) | instskip(NEXT) | instid1(VALU_DEP_4)
	v_and_b32_e32 v9, 1, v9
	v_cmp_eq_u32_e64 s21, 1, v15
	s_delay_alu instid0(VALU_DEP_3) | instskip(NEXT) | instid1(VALU_DEP_2)
	v_add_nc_u16 v6, v34, v6
	v_cndmask_b32_e64 v9, v9, 1, s21
	s_delay_alu instid0(VALU_DEP_2) | instskip(NEXT) | instid1(VALU_DEP_2)
	v_and_b32_e32 v34, 0xffff, v6
	v_lshlrev_b32_e32 v15, 16, v9
	s_delay_alu instid0(VALU_DEP_1)
	v_or3_b32 v34, v15, v34, v5
	v_mov_b32_e32 v15, v9
.LBB965_146:
	s_or_b32 exec_lo, exec_lo, s23
	s_delay_alu instid0(VALU_DEP_2)
	v_mov_b32_dpp v35, v34 row_shr:8 row_mask:0xf bank_mask:0xf
	s_mov_b32 s23, exec_lo
	v_cmpx_lt_u32_e32 7, v8
	s_cbranch_execz .LBB965_148
; %bb.147:
	v_and_b32_e32 v9, 0xff, v15
	v_and_b32_e32 v15, 1, v15
	s_delay_alu instid0(VALU_DEP_2) | instskip(NEXT) | instid1(VALU_DEP_1)
	v_cmp_eq_u16_e64 s21, 0, v9
	v_dual_lshrrev_b32 v8, 16, v35 :: v_dual_cndmask_b32 v34, 0, v35, s21
	s_delay_alu instid0(VALU_DEP_1) | instskip(NEXT) | instid1(VALU_DEP_4)
	v_and_b32_e32 v8, 1, v8
	v_cmp_eq_u32_e64 s21, 1, v15
	s_delay_alu instid0(VALU_DEP_3) | instskip(NEXT) | instid1(VALU_DEP_2)
	v_add_nc_u16 v6, v34, v6
	v_cndmask_b32_e64 v9, v8, 1, s21
	s_delay_alu instid0(VALU_DEP_2) | instskip(NEXT) | instid1(VALU_DEP_2)
	v_and_b32_e32 v15, 0xffff, v6
	v_lshlrev_b32_e32 v8, 16, v9
	s_delay_alu instid0(VALU_DEP_1)
	v_or3_b32 v34, v8, v15, v5
	v_mov_b32_e32 v15, v9
.LBB965_148:
	s_or_b32 exec_lo, exec_lo, s23
	ds_swizzle_b32 v8, v34 offset:swizzle(BROADCAST,32,15)
	v_and_b32_e32 v34, 16, v7
	s_mov_b32 s23, exec_lo
	s_delay_alu instid0(VALU_DEP_1)
	v_cmpx_ne_u32_e32 0, v34
	s_cbranch_execz .LBB965_150
; %bb.149:
	v_and_b32_e32 v9, 0xff, v15
	s_delay_alu instid0(VALU_DEP_1) | instskip(SKIP_2) | instid1(VALU_DEP_1)
	v_cmp_eq_u16_e64 s21, 0, v9
	s_wait_dscnt 0x0
	v_dual_lshrrev_b32 v34, 16, v8 :: v_dual_bitop2_b32 v9, 1, v15 bitop3:0x40
	v_dual_cndmask_b32 v8, 0, v8, s21 :: v_dual_bitop2_b32 v15, 1, v34 bitop3:0x40
	s_delay_alu instid0(VALU_DEP_2) | instskip(NEXT) | instid1(VALU_DEP_2)
	v_cmp_eq_u32_e64 s21, 1, v9
	v_add_nc_u16 v6, v8, v6
	s_delay_alu instid0(VALU_DEP_2)
	v_cndmask_b32_e64 v9, v15, 1, s21
.LBB965_150:
	s_or_b32 exec_lo, exec_lo, s23
	s_wait_dscnt 0x0
	s_delay_alu instid0(VALU_DEP_1) | instskip(SKIP_2) | instid1(VALU_DEP_3)
	v_and_b32_e32 v8, 0xff, v9
	v_add_nc_u32_e32 v9, -1, v7
	v_and_b32_e32 v6, 0xffff, v6
	; wave barrier
	v_lshlrev_b32_e32 v8, 16, v8
	s_delay_alu instid0(VALU_DEP_3) | instskip(NEXT) | instid1(VALU_DEP_2)
	v_cmp_gt_i32_e64 s21, 0, v9
	v_or3_b32 v5, v8, v6, v5
	s_delay_alu instid0(VALU_DEP_2) | instskip(NEXT) | instid1(VALU_DEP_1)
	v_cndmask_b32_e64 v7, v9, v7, s21
	v_lshlrev_b32_e32 v6, 2, v7
	ds_bpermute_b32 v5, v6, v5
	v_and_b32_e32 v6, 0xff0000, v3
	s_delay_alu instid0(VALU_DEP_1) | instskip(SKIP_1) | instid1(VALU_DEP_1)
	v_cmp_eq_u32_e64 s21, 0, v6
	s_wait_dscnt 0x0
	v_dual_lshrrev_b32 v7, 16, v5 :: v_dual_cndmask_b32 v5, 0, v5, s21
	v_cmp_eq_u32_e64 s21, 0, v4
	s_delay_alu instid0(VALU_DEP_2) | instskip(NEXT) | instid1(VALU_DEP_3)
	v_add_nc_u16 v3, v5, v3
	v_and_b32_e32 v6, 1, v7
	s_delay_alu instid0(VALU_DEP_1) | instskip(SKIP_1) | instid1(VALU_DEP_1)
	v_cndmask_b32_e64 v4, 1, v6, s21
	v_cmp_eq_u32_e64 s21, 0, v0
	v_dual_cndmask_b32 v3, v3, v13, s21 :: v_dual_cndmask_b32 v4, v4, v14, s21
	ds_store_b16 v2, v3
	ds_store_b8 v2, v4 offset:2
	; wave barrier
	ds_load_u8 v5, v2 offset:6
	ds_load_u16 v6, v2 offset:4
	ds_load_u8 v7, v2 offset:10
	ds_load_u16 v8, v2 offset:8
	ds_load_u16 v9, v2 offset:12
	ds_load_u8 v15, v2 offset:14
	ds_load_u16 v34, v2 offset:16
	ds_load_u8 v35, v2 offset:18
	s_wait_dscnt 0x7
	v_cmp_eq_u16_e64 s21, 0, v5
	s_delay_alu instid0(VALU_DEP_1) | instskip(SKIP_2) | instid1(VALU_DEP_2)
	v_cndmask_b32_e64 v3, 0, v3, s21
	s_wait_dscnt 0x5
	v_cmp_eq_u16_e64 s21, 0, v7
	v_add_nc_u16 v3, v3, v6
	s_delay_alu instid0(VALU_DEP_1) | instskip(SKIP_2) | instid1(VALU_DEP_2)
	v_cndmask_b32_e64 v6, 0, v3, s21
	s_wait_dscnt 0x2
	v_cmp_eq_u16_e64 s21, 0, v15
	v_add_nc_u16 v6, v6, v8
	v_and_b32_e32 v5, 1, v5
	ds_load_u8 v8, v2 offset:22
	ds_load_u16 v37, v2 offset:20
	ds_load_u8 v38, v2 offset:26
	ds_load_u8 v39, v2 offset:30
	v_cndmask_b32_e64 v36, 0, v6, s21
	v_cmp_eq_u32_e64 s21, 1, v5
	v_and_b32_e32 v5, 1, v15
	s_delay_alu instid0(VALU_DEP_3) | instskip(NEXT) | instid1(VALU_DEP_3)
	v_add_nc_u16 v9, v36, v9
	v_cndmask_b32_e64 v4, v4, 1, s21
	s_wait_dscnt 0x4
	v_cmp_eq_u16_e64 s21, 0, v35
	v_and_b32_e32 v7, 1, v7
	ds_load_u16 v36, v2 offset:24
	ds_load_u16 v40, v2 offset:28
	v_cndmask_b32_e64 v15, 0, v9, s21
	v_cmp_eq_u32_e64 s21, 1, v7
	s_delay_alu instid0(VALU_DEP_2) | instskip(NEXT) | instid1(VALU_DEP_2)
	v_add_nc_u16 v15, v15, v34
	v_cndmask_b32_e64 v7, v4, 1, s21
	v_cmp_eq_u32_e64 s21, 1, v5
	v_and_b32_e32 v34, 1, v35
	s_wait_dscnt 0x2
	v_and_b32_e32 v41, 1, v39
	s_delay_alu instid0(VALU_DEP_3) | instskip(SKIP_1) | instid1(VALU_DEP_1)
	v_cndmask_b32_e64 v5, v7, 1, s21
	v_cmp_eq_u16_e64 s21, 0, v8
	v_dual_cndmask_b32 v35, 0, v15, s21 :: v_dual_bitop2_b32 v8, 1, v8 bitop3:0x40
	v_cmp_eq_u32_e64 s21, 1, v34
	s_delay_alu instid0(VALU_DEP_2) | instskip(NEXT) | instid1(VALU_DEP_2)
	v_add_nc_u16 v35, v35, v37
	v_cndmask_b32_e64 v34, v5, 1, s21
	s_delay_alu instid0(VALU_DEP_4)
	v_cmp_eq_u32_e64 s21, 1, v8
	v_and_b32_e32 v37, 1, v38
	ds_store_b16 v2, v3 offset:4
	ds_store_b8 v2, v4 offset:6
	ds_store_b16 v2, v6 offset:8
	ds_store_b8 v2, v7 offset:10
	;; [unrolled: 2-line block ×4, first 2 shown]
	v_cndmask_b32_e64 v8, v34, 1, s21
	v_cmp_eq_u16_e64 s21, 0, v38
	s_delay_alu instid0(VALU_DEP_1) | instskip(SKIP_2) | instid1(VALU_DEP_2)
	v_cndmask_b32_e64 v38, 0, v35, s21
	v_cmp_eq_u32_e64 s21, 1, v37
	s_wait_dscnt 0x9
	v_add_nc_u16 v36, v38, v36
	s_delay_alu instid0(VALU_DEP_2) | instskip(SKIP_1) | instid1(VALU_DEP_1)
	v_cndmask_b32_e64 v37, v8, 1, s21
	v_cmp_eq_u32_e64 s21, 1, v41
	v_cndmask_b32_e64 v38, v37, 1, s21
	v_cmp_eq_u16_e64 s21, 0, v39
	s_delay_alu instid0(VALU_DEP_1) | instskip(SKIP_1) | instid1(VALU_DEP_1)
	v_cndmask_b32_e64 v39, 0, v36, s21
	s_wait_dscnt 0x8
	v_add_nc_u16 v3, v39, v40
	ds_store_b16 v2, v35 offset:20
	ds_store_b8 v2, v8 offset:22
	ds_store_b16 v2, v36 offset:24
	ds_store_b8 v2, v37 offset:26
	;; [unrolled: 2-line block ×3, first 2 shown]
.LBB965_151:
	s_or_b32 exec_lo, exec_lo, s22
	v_cmp_eq_u32_e64 s21, 0, v0
	s_mov_b32 s23, exec_lo
	s_wait_dscnt 0x0
	s_barrier_signal -1
	s_barrier_wait -1
	v_cmpx_ne_u32_e32 0, v0
	s_cbranch_execz .LBB965_153
; %bb.152:
	v_add_nc_u32_e32 v2, -1, v0
	s_delay_alu instid0(VALU_DEP_1) | instskip(NEXT) | instid1(VALU_DEP_1)
	v_lshrrev_b32_e32 v3, 3, v2
	v_and_b32_e32 v3, 0x1ffffffc, v3
	s_delay_alu instid0(VALU_DEP_1)
	v_lshl_add_u32 v2, v2, 2, v3
	ds_load_u16 v13, v2
	ds_load_u8 v14, v2 offset:2
.LBB965_153:
	s_or_b32 exec_lo, exec_lo, s23
	s_and_saveexec_b32 s23, vcc_lo
	s_cbranch_execz .LBB965_193
; %bb.154:
	v_mov_b32_e32 v9, 0
	v_mbcnt_lo_u32_b32 v15, -1, 0
	ds_load_b32 v2, v9 offset:1048
	v_cmp_eq_u32_e64 s22, 0, v15
	s_and_saveexec_b32 s30, s22
	s_cbranch_execz .LBB965_156
; %bb.155:
	s_add_co_i32 s31, s28, 32
	s_delay_alu instid0(SALU_CYCLE_1)
	v_dual_mov_b32 v3, 1 :: v_dual_mov_b32 v4, s31
	s_wait_dscnt 0x0
	global_store_b64 v4, v[2:3], s[36:37] scale_offset scope:SCOPE_DEV
.LBB965_156:
	s_wait_xcnt 0x0
	s_or_b32 exec_lo, exec_lo, s30
	v_xad_u32 v4, v15, -1, s28
	s_mov_b32 s30, exec_lo
	s_delay_alu instid0(VALU_DEP_1) | instskip(SKIP_4) | instid1(VALU_DEP_1)
	v_add_nc_u32_e32 v8, 32, v4
	global_load_b64 v[6:7], v8, s[36:37] scale_offset scope:SCOPE_DEV
	s_wait_loadcnt 0x0
	v_and_b32_e32 v3, 0xff, v7
	s_wait_xcnt 0x0
	v_cmpx_eq_u16_e32 0, v3
	s_cbranch_execz .LBB965_160
; %bb.157:
	v_lshl_add_u64 v[8:9], v[8:9], 3, s[36:37]
	s_mov_b32 s31, 0
.LBB965_158:                            ; =>This Inner Loop Header: Depth=1
	global_load_b64 v[6:7], v[8:9], off scope:SCOPE_DEV
	s_wait_loadcnt 0x0
	v_and_b32_e32 v3, 0xff, v7
	s_delay_alu instid0(VALU_DEP_1)
	v_cmp_ne_u16_e32 vcc_lo, 0, v3
	s_or_b32 s31, vcc_lo, s31
	s_wait_xcnt 0x0
	s_and_not1_b32 exec_lo, exec_lo, s31
	s_cbranch_execnz .LBB965_158
; %bb.159:
	s_or_b32 exec_lo, exec_lo, s31
.LBB965_160:
	s_delay_alu instid0(SALU_CYCLE_1)
	s_or_b32 exec_lo, exec_lo, s30
	v_cmp_ne_u32_e32 vcc_lo, 31, v15
	v_and_b32_e32 v42, 0xffffff, v6
	v_and_b32_e32 v5, 0xff, v7
	v_lshlrev_b32_e64 v34, v15, -1
	v_bfe_u32 v9, v6, 16, 8
	v_add_co_ci_u32_e64 v3, null, 0, v15, vcc_lo
	s_delay_alu instid0(VALU_DEP_4) | instskip(SKIP_1) | instid1(VALU_DEP_2)
	v_cmp_eq_u16_e32 vcc_lo, 2, v5
	s_mov_b32 s30, exec_lo
	v_dual_lshrrev_b32 v8, 16, v6 :: v_dual_lshlrev_b32 v3, 2, v3
	v_and_or_b32 v5, vcc_lo, v34, 0x80000000
	ds_bpermute_b32 v35, v3, v42
	v_ctz_i32_b32_e32 v5, v5
	s_delay_alu instid0(VALU_DEP_1)
	v_cmpx_lt_u32_e64 v15, v5
	s_cbranch_execz .LBB965_162
; %bb.161:
	v_and_b32_e32 v8, 0xff0000, v6
	s_delay_alu instid0(VALU_DEP_1) | instskip(SKIP_3) | instid1(VALU_DEP_1)
	v_and_b32_e32 v36, 0x10000, v8
	v_cmp_eq_u32_e32 vcc_lo, 0, v8
	s_wait_dscnt 0x0
	v_dual_lshrrev_b32 v9, 16, v35 :: v_dual_cndmask_b32 v35, 0, v35, vcc_lo
	v_and_b32_e32 v9, 1, v9
	v_cmp_ne_u32_e32 vcc_lo, 0, v36
	s_delay_alu instid0(VALU_DEP_3) | instskip(NEXT) | instid1(VALU_DEP_3)
	v_add_nc_u16 v6, v35, v6
	v_cndmask_b32_e64 v8, v9, 1, vcc_lo
	s_delay_alu instid0(VALU_DEP_2) | instskip(NEXT) | instid1(VALU_DEP_2)
	v_and_b32_e32 v35, 0xffff, v6
	v_lshlrev_b32_e32 v9, 16, v8
	s_delay_alu instid0(VALU_DEP_1)
	v_dual_mov_b32 v9, v8 :: v_dual_bitop2_b32 v42, v9, v35 bitop3:0x54
.LBB965_162:
	s_or_b32 exec_lo, exec_lo, s30
	v_cmp_gt_u32_e32 vcc_lo, 30, v15
	v_add_nc_u32_e32 v36, 2, v15
	s_mov_b32 s30, exec_lo
	s_wait_dscnt 0x0
	v_cndmask_b32_e64 v35, 0, 2, vcc_lo
	s_delay_alu instid0(VALU_DEP_1)
	v_add_lshl_u32 v35, v35, v15, 2
	ds_bpermute_b32 v37, v35, v42
	v_cmpx_le_u32_e64 v36, v5
	s_cbranch_execz .LBB965_164
; %bb.163:
	v_cmp_eq_u16_e32 vcc_lo, 0, v9
	s_wait_dscnt 0x0
	v_lshrrev_b32_e32 v8, 16, v37
	v_and_b32_e32 v9, 1, v9
	s_delay_alu instid0(VALU_DEP_2) | instskip(NEXT) | instid1(VALU_DEP_2)
	v_dual_cndmask_b32 v37, 0, v37, vcc_lo :: v_dual_bitop2_b32 v8, 1, v8 bitop3:0x40
	v_cmp_eq_u32_e32 vcc_lo, 1, v9
	s_delay_alu instid0(VALU_DEP_2) | instskip(NEXT) | instid1(VALU_DEP_3)
	v_add_nc_u16 v6, v37, v6
	v_cndmask_b32_e64 v8, v8, 1, vcc_lo
	s_delay_alu instid0(VALU_DEP_2) | instskip(NEXT) | instid1(VALU_DEP_2)
	v_and_b32_e32 v9, 0xffff, v6
	v_lshlrev_b32_e32 v37, 16, v8
	s_delay_alu instid0(VALU_DEP_1)
	v_dual_mov_b32 v9, v8 :: v_dual_bitop2_b32 v42, v37, v9 bitop3:0x54
.LBB965_164:
	s_or_b32 exec_lo, exec_lo, s30
	v_cmp_gt_u32_e32 vcc_lo, 28, v15
	v_add_nc_u32_e32 v38, 4, v15
	s_mov_b32 s30, exec_lo
	s_wait_dscnt 0x0
	v_cndmask_b32_e64 v37, 0, 4, vcc_lo
	s_delay_alu instid0(VALU_DEP_1)
	v_add_lshl_u32 v37, v37, v15, 2
	ds_bpermute_b32 v39, v37, v42
	v_cmpx_le_u32_e64 v38, v5
	s_cbranch_execz .LBB965_166
; %bb.165:
	v_cmp_eq_u16_e32 vcc_lo, 0, v9
	s_wait_dscnt 0x0
	v_dual_lshrrev_b32 v8, 16, v39 :: v_dual_bitop2_b32 v9, 1, v9 bitop3:0x40
	s_delay_alu instid0(VALU_DEP_1) | instskip(NEXT) | instid1(VALU_DEP_2)
	v_dual_cndmask_b32 v39, 0, v39, vcc_lo :: v_dual_bitop2_b32 v8, 1, v8 bitop3:0x40
	v_cmp_eq_u32_e32 vcc_lo, 1, v9
	s_delay_alu instid0(VALU_DEP_2) | instskip(NEXT) | instid1(VALU_DEP_3)
	v_add_nc_u16 v6, v39, v6
	v_cndmask_b32_e64 v8, v8, 1, vcc_lo
	s_delay_alu instid0(VALU_DEP_2) | instskip(NEXT) | instid1(VALU_DEP_2)
	v_and_b32_e32 v9, 0xffff, v6
	v_lshlrev_b32_e32 v39, 16, v8
	s_delay_alu instid0(VALU_DEP_1)
	v_dual_mov_b32 v9, v8 :: v_dual_bitop2_b32 v42, v39, v9 bitop3:0x54
.LBB965_166:
	s_or_b32 exec_lo, exec_lo, s30
	v_cmp_gt_u32_e32 vcc_lo, 24, v15
	v_add_nc_u32_e32 v40, 8, v15
	s_mov_b32 s30, exec_lo
	s_wait_dscnt 0x0
	v_cndmask_b32_e64 v39, 0, 8, vcc_lo
	s_delay_alu instid0(VALU_DEP_1)
	v_add_lshl_u32 v39, v39, v15, 2
	ds_bpermute_b32 v41, v39, v42
	v_cmpx_le_u32_e64 v40, v5
	s_cbranch_execz .LBB965_168
; %bb.167:
	v_cmp_eq_u16_e32 vcc_lo, 0, v9
	s_wait_dscnt 0x0
	v_lshrrev_b32_e32 v8, 16, v41
	v_and_b32_e32 v9, 1, v9
	s_delay_alu instid0(VALU_DEP_2) | instskip(NEXT) | instid1(VALU_DEP_2)
	v_dual_cndmask_b32 v41, 0, v41, vcc_lo :: v_dual_bitop2_b32 v8, 1, v8 bitop3:0x40
	v_cmp_eq_u32_e32 vcc_lo, 1, v9
	s_delay_alu instid0(VALU_DEP_2) | instskip(NEXT) | instid1(VALU_DEP_3)
	v_add_nc_u16 v6, v41, v6
	v_cndmask_b32_e64 v8, v8, 1, vcc_lo
	s_delay_alu instid0(VALU_DEP_2) | instskip(NEXT) | instid1(VALU_DEP_2)
	v_and_b32_e32 v9, 0xffff, v6
	v_lshlrev_b32_e32 v41, 16, v8
	s_delay_alu instid0(VALU_DEP_1)
	v_dual_mov_b32 v9, v8 :: v_dual_bitop2_b32 v42, v41, v9 bitop3:0x54
.LBB965_168:
	s_or_b32 exec_lo, exec_lo, s30
	s_wait_dscnt 0x0
	v_lshl_or_b32 v41, v15, 2, 64
	v_add_nc_u32_e32 v47, 16, v15
	s_mov_b32 s30, exec_lo
	ds_bpermute_b32 v42, v41, v42
	v_cmpx_le_u32_e64 v47, v5
	s_cbranch_execz .LBB965_170
; %bb.169:
	v_cmp_eq_u16_e32 vcc_lo, 0, v9
	s_wait_dscnt 0x0
	v_dual_lshrrev_b32 v5, 16, v42 :: v_dual_bitop2_b32 v9, 1, v9 bitop3:0x40
	s_delay_alu instid0(VALU_DEP_1) | instskip(NEXT) | instid1(VALU_DEP_2)
	v_dual_cndmask_b32 v8, 0, v42, vcc_lo :: v_dual_bitop2_b32 v5, 1, v5 bitop3:0x40
	v_cmp_eq_u32_e32 vcc_lo, 1, v9
	s_delay_alu instid0(VALU_DEP_2) | instskip(NEXT) | instid1(VALU_DEP_3)
	v_add_nc_u16 v6, v8, v6
	v_cndmask_b32_e64 v8, v5, 1, vcc_lo
.LBB965_170:
	s_or_b32 exec_lo, exec_lo, s30
	v_mov_b32_e32 v5, 0
	s_branch .LBB965_173
.LBB965_171:                            ;   in Loop: Header=BB965_173 Depth=1
	s_or_b32 exec_lo, exec_lo, s30
	v_and_b32_e32 v8, 0xff, v42
	v_subrev_nc_u32_e32 v4, 32, v4
	s_mov_b32 s30, 0
	v_and_b32_e32 v9, 1, v9
	s_delay_alu instid0(VALU_DEP_3) | instskip(SKIP_2) | instid1(VALU_DEP_2)
	v_cmp_eq_u16_e32 vcc_lo, 0, v8
	v_and_b32_e32 v8, 1, v42
	v_cndmask_b32_e32 v6, 0, v6, vcc_lo
	v_cmp_eq_u32_e32 vcc_lo, 1, v8
	s_delay_alu instid0(VALU_DEP_2)
	v_add_nc_u16 v6, v6, v48
	v_cndmask_b32_e64 v8, v9, 1, vcc_lo
.LBB965_172:                            ;   in Loop: Header=BB965_173 Depth=1
	s_and_b32 vcc_lo, exec_lo, s30
	s_cbranch_vccnz .LBB965_189
.LBB965_173:                            ; =>This Loop Header: Depth=1
                                        ;     Child Loop BB965_176 Depth 2
	v_and_b32_e32 v7, 0xff, v7
	s_wait_dscnt 0x0
	v_dual_mov_b32 v42, v8 :: v_dual_mov_b32 v48, v6
	s_mov_b32 s30, -1
                                        ; implicit-def: $vgpr8
	s_delay_alu instid0(VALU_DEP_2)
	v_cmp_ne_u16_e32 vcc_lo, 2, v7
                                        ; implicit-def: $vgpr6
	s_cmp_lg_u32 vcc_lo, exec_lo
	s_cbranch_scc1 .LBB965_172
; %bb.174:                              ;   in Loop: Header=BB965_173 Depth=1
	global_load_b64 v[6:7], v4, s[36:37] scale_offset scope:SCOPE_DEV
	s_mov_b32 s30, exec_lo
	s_wait_loadcnt 0x0
	v_and_b32_e32 v8, 0xff, v7
	s_wait_xcnt 0x0
	s_delay_alu instid0(VALU_DEP_1)
	v_cmpx_eq_u16_e32 0, v8
	s_cbranch_execz .LBB965_178
; %bb.175:                              ;   in Loop: Header=BB965_173 Depth=1
	v_lshl_add_u64 v[8:9], v[4:5], 3, s[36:37]
	s_mov_b32 s31, 0
.LBB965_176:                            ;   Parent Loop BB965_173 Depth=1
                                        ; =>  This Inner Loop Header: Depth=2
	global_load_b64 v[6:7], v[8:9], off scope:SCOPE_DEV
	s_wait_loadcnt 0x0
	v_and_b32_e32 v49, 0xff, v7
	s_delay_alu instid0(VALU_DEP_1)
	v_cmp_ne_u16_e32 vcc_lo, 0, v49
	s_or_b32 s31, vcc_lo, s31
	s_wait_xcnt 0x0
	s_and_not1_b32 exec_lo, exec_lo, s31
	s_cbranch_execnz .LBB965_176
; %bb.177:                              ;   in Loop: Header=BB965_173 Depth=1
	s_or_b32 exec_lo, exec_lo, s31
.LBB965_178:                            ;   in Loop: Header=BB965_173 Depth=1
	s_delay_alu instid0(SALU_CYCLE_1)
	s_or_b32 exec_lo, exec_lo, s30
	v_and_b32_e32 v50, 0xffffff, v6
	v_and_b32_e32 v8, 0xff, v7
	v_lshrrev_b32_e32 v9, 16, v6
	v_bfe_u32 v49, v6, 16, 8
	s_mov_b32 s30, exec_lo
	ds_bpermute_b32 v51, v3, v50
	v_cmp_eq_u16_e32 vcc_lo, 2, v8
	v_and_or_b32 v8, vcc_lo, v34, 0x80000000
	s_delay_alu instid0(VALU_DEP_1) | instskip(NEXT) | instid1(VALU_DEP_1)
	v_ctz_i32_b32_e32 v8, v8
	v_cmpx_lt_u32_e64 v15, v8
	s_cbranch_execz .LBB965_180
; %bb.179:                              ;   in Loop: Header=BB965_173 Depth=1
	v_and_b32_e32 v9, 0xff0000, v6
	s_delay_alu instid0(VALU_DEP_1) | instskip(SKIP_3) | instid1(VALU_DEP_1)
	v_and_b32_e32 v50, 0x10000, v9
	v_cmp_eq_u32_e32 vcc_lo, 0, v9
	s_wait_dscnt 0x0
	v_dual_lshrrev_b32 v49, 16, v51 :: v_dual_cndmask_b32 v51, 0, v51, vcc_lo
	v_and_b32_e32 v49, 1, v49
	v_cmp_ne_u32_e32 vcc_lo, 0, v50
	s_delay_alu instid0(VALU_DEP_3) | instskip(NEXT) | instid1(VALU_DEP_3)
	v_add_nc_u16 v6, v51, v6
	v_cndmask_b32_e64 v9, v49, 1, vcc_lo
	s_delay_alu instid0(VALU_DEP_2) | instskip(NEXT) | instid1(VALU_DEP_2)
	v_and_b32_e32 v50, 0xffff, v6
	v_lshlrev_b32_e32 v49, 16, v9
	s_delay_alu instid0(VALU_DEP_1)
	v_or_b32_e32 v50, v49, v50
	v_mov_b32_e32 v49, v9
.LBB965_180:                            ;   in Loop: Header=BB965_173 Depth=1
	s_or_b32 exec_lo, exec_lo, s30
	s_wait_dscnt 0x0
	ds_bpermute_b32 v51, v35, v50
	s_mov_b32 s30, exec_lo
	v_cmpx_le_u32_e64 v36, v8
	s_cbranch_execz .LBB965_182
; %bb.181:                              ;   in Loop: Header=BB965_173 Depth=1
	v_cmp_eq_u16_e32 vcc_lo, 0, v49
	s_wait_dscnt 0x0
	v_dual_lshrrev_b32 v9, 16, v51 :: v_dual_bitop2_b32 v49, 1, v49 bitop3:0x40
	s_delay_alu instid0(VALU_DEP_1) | instskip(NEXT) | instid1(VALU_DEP_2)
	v_dual_cndmask_b32 v50, 0, v51, vcc_lo :: v_dual_bitop2_b32 v9, 1, v9 bitop3:0x40
	v_cmp_eq_u32_e32 vcc_lo, 1, v49
	s_delay_alu instid0(VALU_DEP_2) | instskip(NEXT) | instid1(VALU_DEP_3)
	v_add_nc_u16 v6, v50, v6
	v_cndmask_b32_e64 v9, v9, 1, vcc_lo
	s_delay_alu instid0(VALU_DEP_2) | instskip(NEXT) | instid1(VALU_DEP_2)
	v_and_b32_e32 v49, 0xffff, v6
	v_lshlrev_b32_e32 v50, 16, v9
	s_delay_alu instid0(VALU_DEP_1)
	v_dual_mov_b32 v49, v9 :: v_dual_bitop2_b32 v50, v50, v49 bitop3:0x54
.LBB965_182:                            ;   in Loop: Header=BB965_173 Depth=1
	s_or_b32 exec_lo, exec_lo, s30
	s_wait_dscnt 0x0
	ds_bpermute_b32 v51, v37, v50
	s_mov_b32 s30, exec_lo
	v_cmpx_le_u32_e64 v38, v8
	s_cbranch_execz .LBB965_184
; %bb.183:                              ;   in Loop: Header=BB965_173 Depth=1
	v_cmp_eq_u16_e32 vcc_lo, 0, v49
	s_wait_dscnt 0x0
	v_dual_lshrrev_b32 v9, 16, v51 :: v_dual_bitop2_b32 v49, 1, v49 bitop3:0x40
	s_delay_alu instid0(VALU_DEP_1) | instskip(NEXT) | instid1(VALU_DEP_2)
	v_dual_cndmask_b32 v50, 0, v51, vcc_lo :: v_dual_bitop2_b32 v9, 1, v9 bitop3:0x40
	v_cmp_eq_u32_e32 vcc_lo, 1, v49
	s_delay_alu instid0(VALU_DEP_2) | instskip(NEXT) | instid1(VALU_DEP_3)
	v_add_nc_u16 v6, v50, v6
	v_cndmask_b32_e64 v9, v9, 1, vcc_lo
	s_delay_alu instid0(VALU_DEP_2) | instskip(NEXT) | instid1(VALU_DEP_2)
	v_and_b32_e32 v49, 0xffff, v6
	v_lshlrev_b32_e32 v50, 16, v9
	s_delay_alu instid0(VALU_DEP_1)
	v_dual_mov_b32 v49, v9 :: v_dual_bitop2_b32 v50, v50, v49 bitop3:0x54
.LBB965_184:                            ;   in Loop: Header=BB965_173 Depth=1
	;; [unrolled: 22-line block ×3, first 2 shown]
	s_or_b32 exec_lo, exec_lo, s30
	ds_bpermute_b32 v50, v41, v50
	s_mov_b32 s30, exec_lo
	v_cmpx_le_u32_e64 v47, v8
	s_cbranch_execz .LBB965_171
; %bb.187:                              ;   in Loop: Header=BB965_173 Depth=1
	v_cmp_eq_u16_e32 vcc_lo, 0, v49
	s_wait_dscnt 0x0
	v_dual_lshrrev_b32 v49, 16, v50 :: v_dual_bitop2_b32 v9, 1, v49 bitop3:0x40
	v_cndmask_b32_e32 v8, 0, v50, vcc_lo
	s_delay_alu instid0(VALU_DEP_2) | instskip(NEXT) | instid1(VALU_DEP_2)
	v_cmp_eq_u32_e32 vcc_lo, 1, v9
	v_add_nc_u16 v6, v8, v6
	s_delay_alu instid0(VALU_DEP_4)
	v_cndmask_b32_e64 v9, v49, 1, vcc_lo
	s_branch .LBB965_171
.LBB965_188:
                                        ; implicit-def: $vgpr47
                                        ; implicit-def: $vgpr4
                                        ; implicit-def: $vgpr5
                                        ; implicit-def: $vgpr6
                                        ; implicit-def: $vgpr7
                                        ; implicit-def: $vgpr8
                                        ; implicit-def: $vgpr9
                                        ; implicit-def: $vgpr13
                                        ; implicit-def: $vgpr12
                                        ; implicit-def: $vgpr14
                                        ; implicit-def: $vgpr15
                                        ; implicit-def: $vgpr34
                                        ; implicit-def: $vgpr35
                                        ; implicit-def: $vgpr36
                                        ; implicit-def: $vgpr37
                                        ; implicit-def: $vgpr39
                                        ; implicit-def: $vgpr38
                                        ; implicit-def: $vgpr40
                                        ; implicit-def: $vgpr41
                                        ; implicit-def: $vgpr42
	s_cbranch_execnz .LBB965_194
	s_branch .LBB965_213
.LBB965_189:
	s_and_saveexec_b32 s30, s22
	s_cbranch_execz .LBB965_191
; %bb.190:
	v_and_b32_e32 v3, 0xff0000, v2
	v_and_b32_e32 v5, 0x10000, v2
	s_add_co_i32 s22, s28, 32
	s_delay_alu instid0(VALU_DEP_2) | instskip(SKIP_1) | instid1(VALU_DEP_1)
	v_cmp_eq_u32_e32 vcc_lo, 0, v3
	v_dual_cndmask_b32 v3, 0, v48, vcc_lo :: v_dual_bitop2_b32 v4, 1, v42 bitop3:0x40
	v_lshlrev_b32_e32 v4, 16, v4
	v_cmp_eq_u32_e32 vcc_lo, 0, v5
	s_delay_alu instid0(VALU_DEP_3) | instskip(NEXT) | instid1(VALU_DEP_3)
	v_add_nc_u16 v2, v3, v2
	v_dual_mov_b32 v3, 2 :: v_dual_cndmask_b32 v4, 0x10000, v4
	s_delay_alu instid0(VALU_DEP_2) | instskip(NEXT) | instid1(VALU_DEP_1)
	v_and_b32_e32 v2, 0xffff, v2
	v_dual_mov_b32 v4, s22 :: v_dual_bitop2_b32 v2, v4, v2 bitop3:0x54
	global_store_b64 v4, v[2:3], s[36:37] scale_offset scope:SCOPE_DEV
.LBB965_191:
	s_wait_xcnt 0x0
	s_or_b32 exec_lo, exec_lo, s30
	s_delay_alu instid0(SALU_CYCLE_1)
	s_and_b32 exec_lo, exec_lo, s21
	s_cbranch_execz .LBB965_193
; %bb.192:
	v_mov_b32_e32 v2, 0
	ds_store_b16 v2, v48
	ds_store_b8 v2, v42 offset:2
.LBB965_193:
	s_or_b32 exec_lo, exec_lo, s23
	v_and_b32_e32 v3, 0x10000, v30
	s_wait_storecnt_dscnt 0x0
	s_barrier_signal -1
	s_barrier_wait -1
	s_delay_alu instid0(VALU_DEP_1)
	v_cmp_ne_u32_e32 vcc_lo, 0, v3
	v_cndmask_b32_e64 v3, v14, 1, vcc_lo
	v_cmp_gt_u32_e32 vcc_lo, 0x10000, v30
	v_dual_mov_b32 v2, 0 :: v_dual_cndmask_b32 v4, 0, v13, vcc_lo
	ds_load_b32 v2, v2
	v_cndmask_b32_e64 v3, v3, v12, s21
	v_cndmask_b32_e64 v4, v4, 0, s21
	s_delay_alu instid0(VALU_DEP_2) | instskip(NEXT) | instid1(VALU_DEP_2)
	v_and_b32_e32 v3, 0xff, v3
	v_add_nc_u16 v4, v4, v30
	s_delay_alu instid0(VALU_DEP_2) | instskip(SKIP_2) | instid1(VALU_DEP_1)
	v_cmp_eq_u16_e32 vcc_lo, 0, v3
	s_wait_dscnt 0x0
	v_cndmask_b32_e32 v2, 0, v2, vcc_lo
	v_add_nc_u16 v2, v4, v2
	s_delay_alu instid0(VALU_DEP_1) | instskip(SKIP_1) | instid1(VALU_DEP_2)
	v_cndmask_b32_e64 v3, 0, v2, s20
	v_and_b32_e32 v47, 0xffff, v2
	v_add_nc_u16 v4, v3, v33
	s_delay_alu instid0(VALU_DEP_1) | instskip(NEXT) | instid1(VALU_DEP_1)
	v_cndmask_b32_e64 v3, 0, v4, s19
	v_add_nc_u16 v5, v3, v32
	s_delay_alu instid0(VALU_DEP_1) | instskip(NEXT) | instid1(VALU_DEP_1)
	v_cndmask_b32_e64 v3, 0, v5, s18
	;; [unrolled: 3-line block ×18, first 2 shown]
	v_add_nc_u16 v42, v3, v11
	s_branch .LBB965_213
.LBB965_194:
	s_cmp_lg_u64 s[40:41], 0
	v_cmp_eq_u32_e32 vcc_lo, 0, v0
	s_cselect_b32 s3, -1, 0
	s_cmp_lg_u64 s[26:27], 0
	v_cmp_ne_u32_e64 s2, 0, v0
	s_cselect_b32 s4, -1, 0
	s_delay_alu instid0(SALU_CYCLE_1) | instskip(NEXT) | instid1(SALU_CYCLE_1)
	s_and_b32 s3, s3, s4
	s_and_b32 s3, vcc_lo, s3
	s_delay_alu instid0(SALU_CYCLE_1)
	s_and_saveexec_b32 s4, s3
	s_cbranch_execz .LBB965_196
; %bb.195:
	v_mov_b32_e32 v2, 0
	v_cmp_gt_u32_e64 s3, 0x10000, v30
	s_clause 0x1
	global_load_u16 v3, v2, s[26:27]
	global_load_u8 v4, v2, s[26:27] offset:2
	s_wait_loadcnt 0x0
	v_dual_cndmask_b32 v2, 0, v3, s3 :: v_dual_bitop2_b32 v3, 1, v4 bitop3:0x40
	v_and_b32_e32 v4, 0x10000, v30
	s_delay_alu instid0(VALU_DEP_2) | instskip(NEXT) | instid1(VALU_DEP_3)
	v_lshlrev_b32_e32 v3, 16, v3
	v_add_nc_u16 v2, v2, v30
	s_delay_alu instid0(VALU_DEP_3) | instskip(NEXT) | instid1(VALU_DEP_2)
	v_cmp_eq_u32_e64 s3, 0, v4
	v_and_b32_e32 v2, 0xffff, v2
	s_delay_alu instid0(VALU_DEP_2) | instskip(NEXT) | instid1(VALU_DEP_1)
	v_cndmask_b32_e64 v3, 0x10000, v3, s3
	v_or_b32_e32 v30, v3, v2
.LBB965_196:
	s_or_b32 exec_lo, exec_lo, s4
	v_cmp_gt_u32_e64 s3, 0x10000, v33
	v_cmp_gt_u32_e64 s20, 0x10000, v1
	;; [unrolled: 1-line block ×5, first 2 shown]
	v_cndmask_b32_e64 v2, 0, v30, s3
	v_cmp_gt_u32_e64 s21, 0x10000, v11
	v_cmp_gt_u32_e64 s7, 0x10000, v28
	;; [unrolled: 1-line block ×4, first 2 shown]
	v_add_nc_u16 v4, v2, v33
	v_cmp_gt_u32_e64 s10, 0x10000, v25
	v_cmp_gt_u32_e64 s11, 0x10000, v24
	;; [unrolled: 1-line block ×4, first 2 shown]
	v_dual_cndmask_b32 v2, 0, v4, s4 :: v_dual_bitop2_b32 v42, 28, v45 bitop3:0x40
	v_cmp_gt_u32_e64 s14, 0x10000, v21
	v_cmp_gt_u32_e64 s15, 0x10000, v20
	;; [unrolled: 1-line block ×3, first 2 shown]
	s_delay_alu instid0(VALU_DEP_4)
	v_add_nc_u16 v5, v2, v32
	v_cmp_gt_u32_e64 s17, 0x10000, v18
	v_cmp_gt_u32_e64 s18, 0x10000, v17
	;; [unrolled: 1-line block ×3, first 2 shown]
	v_or3_b32 v3, v44, v29, v31
	v_cndmask_b32_e64 v2, 0, v5, s5
	v_lshl_add_u32 v44, v0, 2, v42
	s_mov_b32 s23, exec_lo
	s_delay_alu instid0(VALU_DEP_3) | instskip(NEXT) | instid1(VALU_DEP_3)
	v_or3_b32 v3, v3, v32, v33
	v_add_nc_u16 v6, v2, v31
	s_delay_alu instid0(VALU_DEP_1) | instskip(NEXT) | instid1(VALU_DEP_1)
	v_cndmask_b32_e64 v2, 0, v6, s6
	v_add_nc_u16 v7, v2, v29
	s_delay_alu instid0(VALU_DEP_1) | instskip(NEXT) | instid1(VALU_DEP_1)
	v_cndmask_b32_e64 v2, 0, v7, s7
	;; [unrolled: 3-line block ×14, first 2 shown]
	v_add_nc_u16 v40, v2, v16
	v_or3_b32 v2, v46, v21, v22
	s_delay_alu instid0(VALU_DEP_2) | instskip(NEXT) | instid1(VALU_DEP_2)
	v_cndmask_b32_e64 v41, 0, v40, s20
	v_or3_b32 v2, v2, v23, v24
	s_delay_alu instid0(VALU_DEP_2) | instskip(NEXT) | instid1(VALU_DEP_2)
	v_add_nc_u16 v41, v41, v1
	v_or3_b32 v2, v11, v43, v2
	s_delay_alu instid0(VALU_DEP_2) | instskip(NEXT) | instid1(VALU_DEP_2)
	v_cndmask_b32_e64 v43, 0, v41, s21
	v_bitop3_b32 v2, v2, 0xff0000, v3 bitop3:0xc8
	v_lshrrev_b32_e32 v3, 16, v30
	s_delay_alu instid0(VALU_DEP_3) | instskip(NEXT) | instid1(VALU_DEP_3)
	v_add_nc_u16 v42, v43, v11
	v_cmp_eq_u32_e64 s22, 0, v2
	s_delay_alu instid0(VALU_DEP_1)
	v_cndmask_b32_e64 v3, 1, v3, s22
	ds_store_b16 v44, v42
	ds_store_b8 v44, v3 offset:2
	s_wait_dscnt 0x0
	s_barrier_signal -1
	s_barrier_wait -1
	v_cmpx_gt_u32_e32 32, v0
	s_cbranch_execz .LBB965_208
; %bb.197:
	v_and_b32_e32 v2, 0xfc, v0
	v_lshlrev_b32_e32 v43, 5, v0
	s_mov_b32 s26, exec_lo
	s_delay_alu instid0(VALU_DEP_1)
	v_add_nc_u32_e32 v2, v2, v43
	ds_load_u8 v44, v2 offset:6
	ds_load_b32 v43, v2
	ds_load_u16 v45, v2 offset:4
	ds_load_u8 v46, v2 offset:10
	ds_load_u16 v47, v2 offset:8
	ds_load_u16 v48, v2 offset:12
	ds_load_u8 v49, v2 offset:14
	ds_load_u16 v50, v2 offset:16
	s_wait_dscnt 0x7
	v_cmp_eq_u16_e64 s22, 0, v44
	s_wait_dscnt 0x4
	s_delay_alu instid0(VALU_DEP_1) | instskip(SKIP_1) | instid1(VALU_DEP_2)
	v_dual_cndmask_b32 v51, 0, v43, s22 :: v_dual_bitop2_b32 v44, v46, v44 bitop3:0x54
	v_cmp_eq_u16_e64 s22, 0, v46
	v_add_nc_u16 v45, v51, v45
	ds_load_u8 v51, v2 offset:18
	v_cndmask_b32_e64 v45, 0, v45, s22
	s_wait_dscnt 0x2
	v_cmp_eq_u16_e64 s22, 0, v49
	s_delay_alu instid0(VALU_DEP_2) | instskip(SKIP_2) | instid1(VALU_DEP_1)
	v_add_nc_u16 v45, v45, v47
	ds_load_u8 v47, v2 offset:22
	v_cndmask_b32_e64 v45, 0, v45, s22
	v_add_nc_u16 v45, v45, v48
	ds_load_u16 v48, v2 offset:20
	ds_load_u16 v52, v2 offset:24
	ds_load_u8 v53, v2 offset:26
	ds_load_u16 v54, v2 offset:28
	ds_load_u8 v55, v2 offset:30
	s_wait_dscnt 0x6
	v_cmp_eq_u16_e64 s22, 0, v51
	v_bitop3_b16 v46, v44, v51, v49 bitop3:0xfe
	v_and_b32_e32 v44, 0x10000, v43
	s_delay_alu instid0(VALU_DEP_3)
	v_cndmask_b32_e64 v45, 0, v45, s22
	s_wait_dscnt 0x5
	v_cmp_eq_u16_e64 s22, 0, v47
	s_wait_dscnt 0x2
	v_bitop3_b16 v46, v46, v53, v47 bitop3:0xfe
	s_wait_dscnt 0x0
	v_and_b32_e32 v47, 1, v55
	v_add_nc_u16 v45, v45, v50
	s_delay_alu instid0(VALU_DEP_1) | instskip(SKIP_1) | instid1(VALU_DEP_2)
	v_cndmask_b32_e64 v45, 0, v45, s22
	v_cmp_eq_u16_e64 s22, 0, v53
	v_add_nc_u16 v45, v45, v48
	s_delay_alu instid0(VALU_DEP_1) | instskip(SKIP_1) | instid1(VALU_DEP_2)
	v_cndmask_b32_e64 v45, 0, v45, s22
	v_cmp_eq_u16_e64 s22, 0, v55
	;; [unrolled: 4-line block ×3, first 2 shown]
	v_add_nc_u16 v46, v45, v54
	s_delay_alu instid0(VALU_DEP_2) | instskip(SKIP_4) | instid1(VALU_DEP_4)
	v_cndmask_b32_e64 v48, 0x10000, v44, s22
	v_cmp_eq_u32_e64 s22, 1, v47
	v_and_b32_e32 v45, 0xff000000, v43
	v_mbcnt_lo_u32_b32 v47, -1, 0
	v_and_b32_e32 v49, 0xffff, v46
	v_cndmask_b32_e64 v48, v48, 0x10000, s22
	s_delay_alu instid0(VALU_DEP_1) | instskip(NEXT) | instid1(VALU_DEP_3)
	v_or_b32_e32 v50, v48, v45
	v_or3_b32 v51, v45, v49, v48
	s_delay_alu instid0(VALU_DEP_2) | instskip(NEXT) | instid1(VALU_DEP_2)
	v_dual_lshrrev_b32 v49, 16, v50 :: v_dual_bitop2_b32 v48, 15, v47 bitop3:0x40
	v_mov_b32_dpp v52, v51 row_shr:1 row_mask:0xf bank_mask:0xf
	s_delay_alu instid0(VALU_DEP_2)
	v_cmpx_ne_u32_e32 0, v48
	s_cbranch_execz .LBB965_199
; %bb.198:
	s_delay_alu instid0(VALU_DEP_2) | instskip(SKIP_1) | instid1(VALU_DEP_2)
	v_dual_lshrrev_b32 v49, 16, v50 :: v_dual_lshrrev_b32 v51, 16, v52
	v_and_b32_e32 v50, 0x10000, v50
	v_and_b32_e32 v49, 0xff, v49
	s_delay_alu instid0(VALU_DEP_1) | instskip(NEXT) | instid1(VALU_DEP_1)
	v_cmp_eq_u16_e64 s22, 0, v49
	v_dual_cndmask_b32 v52, 0, v52, s22 :: v_dual_bitop2_b32 v51, 1, v51 bitop3:0x40
	s_delay_alu instid0(VALU_DEP_4) | instskip(NEXT) | instid1(VALU_DEP_2)
	v_cmp_ne_u32_e64 s22, 0, v50
	v_add_nc_u16 v46, v52, v46
	s_delay_alu instid0(VALU_DEP_2) | instskip(NEXT) | instid1(VALU_DEP_2)
	v_cndmask_b32_e64 v49, v51, 1, s22
	v_and_b32_e32 v51, 0xffff, v46
	s_delay_alu instid0(VALU_DEP_2) | instskip(NEXT) | instid1(VALU_DEP_1)
	v_lshlrev_b32_e32 v50, 16, v49
	v_or3_b32 v51, v50, v51, v45
.LBB965_199:
	s_or_b32 exec_lo, exec_lo, s26
	s_delay_alu instid0(VALU_DEP_1)
	v_lshrrev_b32_e32 v50, 16, v51
	v_mov_b32_dpp v52, v51 row_shr:2 row_mask:0xf bank_mask:0xf
	s_mov_b32 s26, exec_lo
	v_cmpx_lt_u32_e32 1, v48
	s_cbranch_execz .LBB965_201
; %bb.200:
	v_and_b32_e32 v50, 0xff, v50
	v_and_b32_e32 v51, 0x10000, v51
	s_delay_alu instid0(VALU_DEP_2) | instskip(NEXT) | instid1(VALU_DEP_1)
	v_cmp_eq_u16_e64 s22, 0, v50
	v_dual_lshrrev_b32 v49, 16, v52 :: v_dual_cndmask_b32 v50, 0, v52, s22
	s_delay_alu instid0(VALU_DEP_1) | instskip(NEXT) | instid1(VALU_DEP_4)
	v_and_b32_e32 v49, 1, v49
	v_cmp_ne_u32_e64 s22, 0, v51
	s_delay_alu instid0(VALU_DEP_3) | instskip(NEXT) | instid1(VALU_DEP_2)
	v_add_nc_u16 v46, v50, v46
	v_cndmask_b32_e64 v49, v49, 1, s22
	s_delay_alu instid0(VALU_DEP_2) | instskip(NEXT) | instid1(VALU_DEP_2)
	v_and_b32_e32 v51, 0xffff, v46
	v_lshlrev_b32_e32 v50, 16, v49
	s_delay_alu instid0(VALU_DEP_1)
	v_or3_b32 v51, v50, v51, v45
	v_mov_b32_e32 v50, v49
.LBB965_201:
	s_or_b32 exec_lo, exec_lo, s26
	s_delay_alu instid0(VALU_DEP_2)
	v_mov_b32_dpp v52, v51 row_shr:4 row_mask:0xf bank_mask:0xf
	s_mov_b32 s26, exec_lo
	v_cmpx_lt_u32_e32 3, v48
	s_cbranch_execz .LBB965_203
; %bb.202:
	v_and_b32_e32 v51, 0xff, v50
	v_dual_lshrrev_b32 v49, 16, v52 :: v_dual_bitop2_b32 v50, 1, v50 bitop3:0x40
	s_delay_alu instid0(VALU_DEP_2) | instskip(NEXT) | instid1(VALU_DEP_1)
	v_cmp_eq_u16_e64 s22, 0, v51
	v_dual_cndmask_b32 v51, 0, v52, s22 :: v_dual_bitop2_b32 v49, 1, v49 bitop3:0x40
	s_delay_alu instid0(VALU_DEP_3) | instskip(NEXT) | instid1(VALU_DEP_2)
	v_cmp_eq_u32_e64 s22, 1, v50
	v_add_nc_u16 v46, v51, v46
	s_delay_alu instid0(VALU_DEP_2) | instskip(NEXT) | instid1(VALU_DEP_2)
	v_cndmask_b32_e64 v49, v49, 1, s22
	v_and_b32_e32 v51, 0xffff, v46
	s_delay_alu instid0(VALU_DEP_2) | instskip(NEXT) | instid1(VALU_DEP_1)
	v_lshlrev_b32_e32 v50, 16, v49
	v_or3_b32 v51, v50, v51, v45
	v_mov_b32_e32 v50, v49
.LBB965_203:
	s_or_b32 exec_lo, exec_lo, s26
	s_delay_alu instid0(VALU_DEP_2)
	v_mov_b32_dpp v52, v51 row_shr:8 row_mask:0xf bank_mask:0xf
	s_mov_b32 s26, exec_lo
	v_cmpx_lt_u32_e32 7, v48
	s_cbranch_execz .LBB965_205
; %bb.204:
	v_and_b32_e32 v49, 0xff, v50
	v_dual_lshrrev_b32 v48, 16, v52 :: v_dual_bitop2_b32 v50, 1, v50 bitop3:0x40
	s_delay_alu instid0(VALU_DEP_2) | instskip(NEXT) | instid1(VALU_DEP_2)
	v_cmp_eq_u16_e64 s22, 0, v49
	v_and_b32_e32 v48, 1, v48
	s_delay_alu instid0(VALU_DEP_2) | instskip(NEXT) | instid1(VALU_DEP_4)
	v_cndmask_b32_e64 v51, 0, v52, s22
	v_cmp_eq_u32_e64 s22, 1, v50
	s_delay_alu instid0(VALU_DEP_1) | instskip(NEXT) | instid1(VALU_DEP_1)
	v_cndmask_b32_e64 v49, v48, 1, s22
	v_lshlrev_b32_e32 v48, 16, v49
	s_delay_alu instid0(VALU_DEP_4) | instskip(NEXT) | instid1(VALU_DEP_1)
	v_add_nc_u16 v46, v51, v46
	v_and_b32_e32 v50, 0xffff, v46
	s_delay_alu instid0(VALU_DEP_1)
	v_or3_b32 v51, v48, v50, v45
	v_mov_b32_e32 v50, v49
.LBB965_205:
	s_or_b32 exec_lo, exec_lo, s26
	ds_swizzle_b32 v48, v51 offset:swizzle(BROADCAST,32,15)
	v_and_b32_e32 v51, 16, v47
	s_mov_b32 s26, exec_lo
	s_delay_alu instid0(VALU_DEP_1)
	v_cmpx_ne_u32_e32 0, v51
	s_cbranch_execz .LBB965_207
; %bb.206:
	v_and_b32_e32 v49, 0xff, v50
	s_delay_alu instid0(VALU_DEP_1) | instskip(SKIP_2) | instid1(VALU_DEP_1)
	v_cmp_eq_u16_e64 s22, 0, v49
	s_wait_dscnt 0x0
	v_dual_lshrrev_b32 v51, 16, v48 :: v_dual_bitop2_b32 v49, 1, v50 bitop3:0x40
	v_dual_cndmask_b32 v48, 0, v48, s22 :: v_dual_bitop2_b32 v50, 1, v51 bitop3:0x40
	s_delay_alu instid0(VALU_DEP_2) | instskip(NEXT) | instid1(VALU_DEP_2)
	v_cmp_eq_u32_e64 s22, 1, v49
	v_add_nc_u16 v46, v48, v46
	s_delay_alu instid0(VALU_DEP_2)
	v_cndmask_b32_e64 v49, v50, 1, s22
.LBB965_207:
	s_or_b32 exec_lo, exec_lo, s26
	s_wait_dscnt 0x0
	s_delay_alu instid0(VALU_DEP_1) | instskip(SKIP_2) | instid1(VALU_DEP_3)
	v_and_b32_e32 v48, 0xff, v49
	v_add_nc_u32_e32 v49, -1, v47
	v_and_b32_e32 v46, 0xffff, v46
	; wave barrier
	v_lshlrev_b32_e32 v48, 16, v48
	s_delay_alu instid0(VALU_DEP_3) | instskip(NEXT) | instid1(VALU_DEP_2)
	v_cmp_gt_i32_e64 s22, 0, v49
	v_or3_b32 v45, v48, v46, v45
	s_delay_alu instid0(VALU_DEP_2) | instskip(NEXT) | instid1(VALU_DEP_1)
	v_cndmask_b32_e64 v47, v49, v47, s22
	v_lshlrev_b32_e32 v46, 2, v47
	ds_bpermute_b32 v45, v46, v45
	v_and_b32_e32 v46, 0xff0000, v43
	s_delay_alu instid0(VALU_DEP_1) | instskip(SKIP_1) | instid1(VALU_DEP_1)
	v_cmp_eq_u32_e64 s22, 0, v46
	s_wait_dscnt 0x0
	v_dual_lshrrev_b32 v47, 16, v45 :: v_dual_cndmask_b32 v45, 0, v45, s22
	v_cmp_eq_u32_e64 s22, 0, v44
	s_delay_alu instid0(VALU_DEP_2) | instskip(NEXT) | instid1(VALU_DEP_1)
	v_add_nc_u16 v43, v45, v43
	v_dual_cndmask_b32 v43, v43, v42, vcc_lo :: v_dual_bitop2_b32 v46, 1, v47 bitop3:0x40
	s_delay_alu instid0(VALU_DEP_1) | instskip(NEXT) | instid1(VALU_DEP_1)
	v_cndmask_b32_e64 v44, 1, v46, s22
	v_cndmask_b32_e32 v3, v44, v3, vcc_lo
	ds_store_b16 v2, v43
	ds_store_b8 v2, v3 offset:2
	; wave barrier
	ds_load_u8 v44, v2 offset:6
	ds_load_u16 v45, v2 offset:4
	ds_load_u8 v46, v2 offset:10
	ds_load_u16 v47, v2 offset:8
	ds_load_u16 v48, v2 offset:12
	ds_load_u8 v49, v2 offset:14
	ds_load_u16 v50, v2 offset:16
	ds_load_u8 v51, v2 offset:18
	s_wait_dscnt 0x7
	v_cmp_eq_u16_e64 s22, 0, v44
	s_delay_alu instid0(VALU_DEP_1) | instskip(SKIP_3) | instid1(VALU_DEP_3)
	v_dual_cndmask_b32 v43, 0, v43, s22 :: v_dual_bitop2_b32 v44, 1, v44 bitop3:0x40
	s_wait_dscnt 0x5
	v_cmp_eq_u16_e64 s22, 0, v46
	v_and_b32_e32 v46, 1, v46
	v_add_nc_u16 v43, v43, v45
	s_delay_alu instid0(VALU_DEP_1) | instskip(SKIP_2) | instid1(VALU_DEP_2)
	v_cndmask_b32_e64 v45, 0, v43, s22
	s_wait_dscnt 0x2
	v_cmp_eq_u16_e64 s22, 0, v49
	v_add_nc_u16 v45, v45, v47
	ds_load_u8 v47, v2 offset:22
	ds_load_u16 v53, v2 offset:20
	ds_load_u8 v54, v2 offset:26
	ds_load_u8 v55, v2 offset:30
	v_cndmask_b32_e64 v52, 0, v45, s22
	v_cmp_eq_u32_e64 s22, 1, v44
	v_and_b32_e32 v44, 1, v49
	s_delay_alu instid0(VALU_DEP_3) | instskip(NEXT) | instid1(VALU_DEP_3)
	v_add_nc_u16 v48, v52, v48
	v_cndmask_b32_e64 v3, v3, 1, s22
	s_wait_dscnt 0x4
	v_cmp_eq_u16_e64 s22, 0, v51
	ds_load_u16 v52, v2 offset:24
	ds_load_u16 v56, v2 offset:28
	v_cndmask_b32_e64 v49, 0, v48, s22
	v_cmp_eq_u32_e64 s22, 1, v46
	s_delay_alu instid0(VALU_DEP_2) | instskip(NEXT) | instid1(VALU_DEP_2)
	v_add_nc_u16 v49, v49, v50
	v_cndmask_b32_e64 v46, v3, 1, s22
	v_cmp_eq_u32_e64 s22, 1, v44
	v_and_b32_e32 v50, 1, v51
	s_wait_dscnt 0x2
	v_and_b32_e32 v57, 1, v55
	s_delay_alu instid0(VALU_DEP_3) | instskip(SKIP_1) | instid1(VALU_DEP_1)
	v_cndmask_b32_e64 v44, v46, 1, s22
	v_cmp_eq_u16_e64 s22, 0, v47
	v_dual_cndmask_b32 v51, 0, v49, s22 :: v_dual_bitop2_b32 v47, 1, v47 bitop3:0x40
	v_cmp_eq_u32_e64 s22, 1, v50
	s_delay_alu instid0(VALU_DEP_2) | instskip(NEXT) | instid1(VALU_DEP_2)
	v_add_nc_u16 v51, v51, v53
	v_cndmask_b32_e64 v50, v44, 1, s22
	s_delay_alu instid0(VALU_DEP_4)
	v_cmp_eq_u32_e64 s22, 1, v47
	v_and_b32_e32 v53, 1, v54
	ds_store_b16 v2, v43 offset:4
	ds_store_b8 v2, v3 offset:6
	ds_store_b16 v2, v45 offset:8
	ds_store_b8 v2, v46 offset:10
	;; [unrolled: 2-line block ×4, first 2 shown]
	v_cndmask_b32_e64 v47, v50, 1, s22
	v_cmp_eq_u16_e64 s22, 0, v54
	s_delay_alu instid0(VALU_DEP_1) | instskip(SKIP_2) | instid1(VALU_DEP_2)
	v_cndmask_b32_e64 v54, 0, v51, s22
	v_cmp_eq_u32_e64 s22, 1, v53
	s_wait_dscnt 0x9
	v_add_nc_u16 v52, v54, v52
	s_delay_alu instid0(VALU_DEP_2) | instskip(SKIP_1) | instid1(VALU_DEP_1)
	v_cndmask_b32_e64 v53, v47, 1, s22
	v_cmp_eq_u32_e64 s22, 1, v57
	v_cndmask_b32_e64 v54, v53, 1, s22
	v_cmp_eq_u16_e64 s22, 0, v55
	s_delay_alu instid0(VALU_DEP_1) | instskip(SKIP_1) | instid1(VALU_DEP_1)
	v_cndmask_b32_e64 v55, 0, v52, s22
	s_wait_dscnt 0x8
	v_add_nc_u16 v3, v55, v56
	ds_store_b16 v2, v51 offset:20
	ds_store_b8 v2, v47 offset:22
	ds_store_b16 v2, v52 offset:24
	ds_store_b8 v2, v53 offset:26
	;; [unrolled: 2-line block ×3, first 2 shown]
.LBB965_208:
	s_or_b32 exec_lo, exec_lo, s23
	s_wait_dscnt 0x0
	s_barrier_signal -1
	s_barrier_wait -1
	s_and_saveexec_b32 s22, s2
	s_cbranch_execz .LBB965_210
; %bb.209:
	v_add_nc_u32_e32 v2, -1, v0
	v_cmp_gt_u32_e64 s2, 0x10000, v30
	s_delay_alu instid0(VALU_DEP_2) | instskip(NEXT) | instid1(VALU_DEP_1)
	v_lshrrev_b32_e32 v3, 3, v2
	v_and_b32_e32 v3, 0x1ffffffc, v3
	s_delay_alu instid0(VALU_DEP_1) | instskip(SKIP_4) | instid1(VALU_DEP_1)
	v_lshl_add_u32 v2, v2, 2, v3
	ds_load_u16 v2, v2
	;;#ASMSTART
	;;#ASMEND
	s_wait_dscnt 0x0
	v_cndmask_b32_e64 v2, 0, v2, s2
	v_add_nc_u32_e32 v30, v2, v30
	s_delay_alu instid0(VALU_DEP_1) | instskip(NEXT) | instid1(VALU_DEP_1)
	v_cndmask_b32_e64 v2, 0, v30, s3
	v_add_nc_u16 v4, v2, v33
	s_delay_alu instid0(VALU_DEP_1) | instskip(NEXT) | instid1(VALU_DEP_1)
	v_cndmask_b32_e64 v2, 0, v4, s4
	v_add_nc_u16 v5, v2, v32
	;; [unrolled: 3-line block ×19, first 2 shown]
.LBB965_210:
	s_or_b32 exec_lo, exec_lo, s22
	s_and_saveexec_b32 s2, vcc_lo
	s_cbranch_execz .LBB965_212
; %bb.211:
	v_mov_b32_e32 v1, 0
	ds_load_u8 v2, v1 offset:1050
	ds_load_u16 v3, v1 offset:1048
	s_wait_dscnt 0x1
	v_lshlrev_b32_e32 v2, 16, v2
	s_wait_dscnt 0x0
	v_and_b32_e32 v3, 0xffff, v3
	s_delay_alu instid0(VALU_DEP_1)
	v_dual_mov_b32 v3, 2 :: v_dual_bitop2_b32 v2, v2, v3 bitop3:0x54
	global_store_b64 v1, v[2:3], s[36:37] offset:256 scope:SCOPE_DEV
.LBB965_212:
	s_wait_xcnt 0x0
	s_or_b32 exec_lo, exec_lo, s2
	v_mov_b32_e32 v47, v30
.LBB965_213:
	s_load_b64 s[0:1], s[0:1], 0x20
	s_and_b32 vcc_lo, exec_lo, s29
	s_wait_kmcnt 0x0
	s_add_nc_u64 s[0:1], s[0:1], s[34:35]
	s_delay_alu instid0(SALU_CYCLE_1)
	s_add_nc_u64 s[0:1], s[0:1], s[24:25]
	s_cbranch_vccz .LBB965_285
; %bb.214:
	v_mul_u32_u24_e32 v1, 20, v0
	s_add_co_i32 s33, s33, s38
	s_mov_b32 s2, exec_lo
	s_delay_alu instid0(VALU_DEP_1)
	v_cmpx_gt_u32_e64 s33, v1
	s_cbranch_execz .LBB965_246
; %bb.215:
	v_or_b32_e32 v2, 1, v1
	s_mov_b32 s3, exec_lo
	s_delay_alu instid0(VALU_DEP_1)
	v_cmpx_gt_u32_e64 s33, v2
	s_cbranch_execz .LBB965_245
; %bb.216:
	v_or_b32_e32 v2, 2, v1
	;; [unrolled: 6-line block ×3, first 2 shown]
	s_mov_b32 s5, exec_lo
	s_delay_alu instid0(VALU_DEP_1)
	v_cmpx_gt_u32_e64 s33, v2
	s_cbranch_execz .LBB965_243
; %bb.218:
	v_add_nc_u32_e32 v2, 4, v1
	s_mov_b32 s6, exec_lo
	s_delay_alu instid0(VALU_DEP_1)
	v_cmpx_gt_u32_e64 s33, v2
	s_cbranch_execz .LBB965_242
; %bb.219:
	v_add_nc_u32_e32 v2, 5, v1
	;; [unrolled: 6-line block ×12, first 2 shown]
	s_mov_b32 s17, exec_lo
	s_delay_alu instid0(VALU_DEP_1)
	v_cmpx_gt_u32_e64 s33, v2
; %bb.230:
	v_add_nc_u32_e32 v2, 16, v1
	s_mov_b32 s18, exec_lo
	s_delay_alu instid0(VALU_DEP_1)
	v_cmpx_gt_u32_e64 s33, v2
	s_or_b32 exec_lo, exec_lo, s18
; %bb.231:
	s_delay_alu instid0(SALU_CYCLE_1)
	s_or_b32 exec_lo, exec_lo, s17
.LBB965_232:
	s_delay_alu instid0(SALU_CYCLE_1)
	s_or_b32 exec_lo, exec_lo, s16
.LBB965_233:
	s_delay_alu instid0(SALU_CYCLE_1)
	s_or_b32 exec_lo, exec_lo, s15
.LBB965_234:
	s_delay_alu instid0(SALU_CYCLE_1)
	s_or_b32 exec_lo, exec_lo, s14
.LBB965_235:
	s_delay_alu instid0(SALU_CYCLE_1)
	s_or_b32 exec_lo, exec_lo, s13
.LBB965_236:
	s_delay_alu instid0(SALU_CYCLE_1)
	s_or_b32 exec_lo, exec_lo, s12
.LBB965_237:
	s_delay_alu instid0(SALU_CYCLE_1)
	s_or_b32 exec_lo, exec_lo, s11
.LBB965_238:
	s_delay_alu instid0(SALU_CYCLE_1)
	s_or_b32 exec_lo, exec_lo, s10
.LBB965_239:
	s_delay_alu instid0(SALU_CYCLE_1)
	s_or_b32 exec_lo, exec_lo, s9
.LBB965_240:
	s_delay_alu instid0(SALU_CYCLE_1)
	s_or_b32 exec_lo, exec_lo, s8
.LBB965_241:
	s_delay_alu instid0(SALU_CYCLE_1)
	s_or_b32 exec_lo, exec_lo, s7
.LBB965_242:
	s_delay_alu instid0(SALU_CYCLE_1)
	s_or_b32 exec_lo, exec_lo, s6
.LBB965_243:
	s_delay_alu instid0(SALU_CYCLE_1)
	s_or_b32 exec_lo, exec_lo, s5
.LBB965_244:
	s_delay_alu instid0(SALU_CYCLE_1)
	s_or_b32 exec_lo, exec_lo, s4
.LBB965_245:
	s_delay_alu instid0(SALU_CYCLE_1)
	s_or_b32 exec_lo, exec_lo, s3
.LBB965_246:
	s_delay_alu instid0(SALU_CYCLE_1)
	s_or_b32 exec_lo, exec_lo, s2
	v_dual_lshlrev_b32 v31, 1, v1 :: v_dual_mov_b32 v11, 0
	v_perm_b32 v3, v13, v9, 0x5040100
	v_perm_b32 v2, v8, v7, 0x5040100
	;; [unrolled: 1-line block ×4, first 2 shown]
	v_mad_i32_i24 v1, 0xffffffda, v0, v31
	v_perm_b32 v19, v39, v37, 0x5040100
	v_perm_b32 v18, v36, v35, 0x5040100
	;; [unrolled: 1-line block ×6, first 2 shown]
	s_wait_storecnt 0x0
	s_barrier_signal -1
	s_barrier_wait -1
	ds_store_2addr_b64 v31, v[16:17], v[2:3] offset1:1
	ds_store_2addr_b64 v31, v[20:21], v[18:19] offset0:2 offset1:3
	ds_store_b64 v31, v[22:23] offset:32
	s_wait_dscnt 0x0
	s_barrier_signal -1
	s_barrier_wait -1
	ds_load_u16 v43, v1 offset:512
	ds_load_u16 v33, v1 offset:1024
	;; [unrolled: 1-line block ×19, first 2 shown]
	v_add_nc_u64_e32 v[2:3], s[0:1], v[10:11]
	s_mov_b32 s2, exec_lo
	v_cmpx_gt_u32_e64 s33, v0
	s_cbranch_execz .LBB965_248
; %bb.247:
	v_mul_i32_i24_e32 v10, 0xffffffda, v0
	s_delay_alu instid0(VALU_DEP_1)
	v_add_nc_u32_e32 v10, v31, v10
	ds_load_u16 v10, v10
	s_wait_dscnt 0x0
	flat_store_b16 v[2:3], v10
.LBB965_248:
	s_wait_xcnt 0x0
	s_or_b32 exec_lo, exec_lo, s2
	v_or_b32_e32 v10, 0x100, v0
	s_mov_b32 s2, exec_lo
	s_delay_alu instid0(VALU_DEP_1)
	v_cmpx_gt_u32_e64 s33, v10
	s_cbranch_execz .LBB965_250
; %bb.249:
	s_wait_dscnt 0x12
	flat_store_b16 v[2:3], v43 offset:512
.LBB965_250:
	s_wait_xcnt 0x0
	s_or_b32 exec_lo, exec_lo, s2
	v_or_b32_e32 v10, 0x200, v0
	s_mov_b32 s2, exec_lo
	s_delay_alu instid0(VALU_DEP_1)
	v_cmpx_gt_u32_e64 s33, v10
	s_cbranch_execz .LBB965_252
; %bb.251:
	s_wait_dscnt 0x11
	flat_store_b16 v[2:3], v33 offset:1024
.LBB965_252:
	;; [unrolled: 11-line block ×18, first 2 shown]
	s_wait_xcnt 0x0
	s_or_b32 exec_lo, exec_lo, s2
	v_or_b32_e32 v2, 0x1300, v0
	s_delay_alu instid0(VALU_DEP_1)
	v_cmp_gt_u32_e64 s2, s33, v2
	s_branch .LBB965_287
.LBB965_285:
	s_mov_b32 s2, 0
                                        ; implicit-def: $vgpr1
	s_cbranch_execz .LBB965_287
; %bb.286:
	s_wait_dscnt 0x0
	v_mul_u32_u24_e32 v1, 40, v0
	v_perm_b32 v3, v13, v9, 0x5040100
	v_perm_b32 v2, v8, v7, 0x5040100
	v_perm_b32 v5, v6, v5, 0x5040100
	v_perm_b32 v4, v4, v47, 0x5040100
	v_perm_b32 v8, v14, v12, 0x5040100
	v_mul_i32_i24_e32 v12, 0xffffffda, v0
	v_perm_b32 v7, v39, v37, 0x5040100
	v_perm_b32 v6, v36, v35, 0x5040100
	;; [unrolled: 1-line block ×5, first 2 shown]
	s_wait_storecnt 0x0
	s_barrier_signal -1
	s_barrier_wait -1
	ds_store_2addr_b64 v1, v[4:5], v[2:3] offset1:1
	ds_store_2addr_b64 v1, v[8:9], v[6:7] offset0:2 offset1:3
	ds_store_b64 v1, v[10:11] offset:32
	v_mad_u32_u24 v1, v0, 40, v12
	s_wait_dscnt 0x0
	s_barrier_signal -1
	s_barrier_wait -1
	ds_load_u16 v2, v1
	ds_load_u16 v3, v1 offset:512
	ds_load_u16 v4, v1 offset:1024
	;; [unrolled: 1-line block ×19, first 2 shown]
	s_or_b32 s2, s2, exec_lo
	s_wait_dscnt 0x13
	flat_store_b16 v0, v2, s[0:1] scale_offset
	s_wait_dscnt 0x13
	flat_store_b16 v0, v3, s[0:1] offset:512 scale_offset
	s_wait_dscnt 0x13
	flat_store_b16 v0, v4, s[0:1] offset:1024 scale_offset
	;; [unrolled: 2-line block ×18, first 2 shown]
.LBB965_287:
	s_wait_xcnt 0x0
	s_delay_alu instid0(VALU_DEP_1)
	s_and_saveexec_b32 s3, s2
	s_cbranch_execnz .LBB965_289
; %bb.288:
	s_endpgm
.LBB965_289:
	s_wait_dscnt 0x0
	flat_store_b16 v0, v1, s[0:1] offset:9728 scale_offset
	s_endpgm
	.section	.rodata,"a",@progbits
	.p2align	6, 0x0
	.amdhsa_kernel _ZN7rocprim17ROCPRIM_400000_NS6detail17trampoline_kernelINS0_14default_configENS1_27scan_by_key_config_selectorIssEEZZNS1_16scan_by_key_implILNS1_25lookback_scan_determinismE0ELb0ES3_N6thrust23THRUST_200600_302600_NS6detail15normal_iteratorINS9_10device_ptrIsEEEENS9_18transform_iteratorINS9_6negateIsEESE_NS9_11use_defaultESI_EESE_sNS9_4plusIvEENS9_8equal_toIvEEsEE10hipError_tPvRmT2_T3_T4_T5_mT6_T7_P12ihipStream_tbENKUlT_T0_E_clISt17integral_constantIbLb0EES14_EEDaSZ_S10_EUlSZ_E_NS1_11comp_targetILNS1_3genE0ELNS1_11target_archE4294967295ELNS1_3gpuE0ELNS1_3repE0EEENS1_30default_config_static_selectorELNS0_4arch9wavefront6targetE0EEEvT1_
		.amdhsa_group_segment_fixed_size 11264
		.amdhsa_private_segment_fixed_size 0
		.amdhsa_kernarg_size 120
		.amdhsa_user_sgpr_count 2
		.amdhsa_user_sgpr_dispatch_ptr 0
		.amdhsa_user_sgpr_queue_ptr 0
		.amdhsa_user_sgpr_kernarg_segment_ptr 1
		.amdhsa_user_sgpr_dispatch_id 0
		.amdhsa_user_sgpr_kernarg_preload_length 0
		.amdhsa_user_sgpr_kernarg_preload_offset 0
		.amdhsa_user_sgpr_private_segment_size 0
		.amdhsa_wavefront_size32 1
		.amdhsa_uses_dynamic_stack 0
		.amdhsa_enable_private_segment 0
		.amdhsa_system_sgpr_workgroup_id_x 1
		.amdhsa_system_sgpr_workgroup_id_y 0
		.amdhsa_system_sgpr_workgroup_id_z 0
		.amdhsa_system_sgpr_workgroup_info 0
		.amdhsa_system_vgpr_workitem_id 0
		.amdhsa_next_free_vgpr 58
		.amdhsa_next_free_sgpr 50
		.amdhsa_named_barrier_count 0
		.amdhsa_reserve_vcc 1
		.amdhsa_float_round_mode_32 0
		.amdhsa_float_round_mode_16_64 0
		.amdhsa_float_denorm_mode_32 3
		.amdhsa_float_denorm_mode_16_64 3
		.amdhsa_fp16_overflow 0
		.amdhsa_memory_ordered 1
		.amdhsa_forward_progress 1
		.amdhsa_inst_pref_size 151
		.amdhsa_round_robin_scheduling 0
		.amdhsa_exception_fp_ieee_invalid_op 0
		.amdhsa_exception_fp_denorm_src 0
		.amdhsa_exception_fp_ieee_div_zero 0
		.amdhsa_exception_fp_ieee_overflow 0
		.amdhsa_exception_fp_ieee_underflow 0
		.amdhsa_exception_fp_ieee_inexact 0
		.amdhsa_exception_int_div_zero 0
	.end_amdhsa_kernel
	.section	.text._ZN7rocprim17ROCPRIM_400000_NS6detail17trampoline_kernelINS0_14default_configENS1_27scan_by_key_config_selectorIssEEZZNS1_16scan_by_key_implILNS1_25lookback_scan_determinismE0ELb0ES3_N6thrust23THRUST_200600_302600_NS6detail15normal_iteratorINS9_10device_ptrIsEEEENS9_18transform_iteratorINS9_6negateIsEESE_NS9_11use_defaultESI_EESE_sNS9_4plusIvEENS9_8equal_toIvEEsEE10hipError_tPvRmT2_T3_T4_T5_mT6_T7_P12ihipStream_tbENKUlT_T0_E_clISt17integral_constantIbLb0EES14_EEDaSZ_S10_EUlSZ_E_NS1_11comp_targetILNS1_3genE0ELNS1_11target_archE4294967295ELNS1_3gpuE0ELNS1_3repE0EEENS1_30default_config_static_selectorELNS0_4arch9wavefront6targetE0EEEvT1_,"axG",@progbits,_ZN7rocprim17ROCPRIM_400000_NS6detail17trampoline_kernelINS0_14default_configENS1_27scan_by_key_config_selectorIssEEZZNS1_16scan_by_key_implILNS1_25lookback_scan_determinismE0ELb0ES3_N6thrust23THRUST_200600_302600_NS6detail15normal_iteratorINS9_10device_ptrIsEEEENS9_18transform_iteratorINS9_6negateIsEESE_NS9_11use_defaultESI_EESE_sNS9_4plusIvEENS9_8equal_toIvEEsEE10hipError_tPvRmT2_T3_T4_T5_mT6_T7_P12ihipStream_tbENKUlT_T0_E_clISt17integral_constantIbLb0EES14_EEDaSZ_S10_EUlSZ_E_NS1_11comp_targetILNS1_3genE0ELNS1_11target_archE4294967295ELNS1_3gpuE0ELNS1_3repE0EEENS1_30default_config_static_selectorELNS0_4arch9wavefront6targetE0EEEvT1_,comdat
.Lfunc_end965:
	.size	_ZN7rocprim17ROCPRIM_400000_NS6detail17trampoline_kernelINS0_14default_configENS1_27scan_by_key_config_selectorIssEEZZNS1_16scan_by_key_implILNS1_25lookback_scan_determinismE0ELb0ES3_N6thrust23THRUST_200600_302600_NS6detail15normal_iteratorINS9_10device_ptrIsEEEENS9_18transform_iteratorINS9_6negateIsEESE_NS9_11use_defaultESI_EESE_sNS9_4plusIvEENS9_8equal_toIvEEsEE10hipError_tPvRmT2_T3_T4_T5_mT6_T7_P12ihipStream_tbENKUlT_T0_E_clISt17integral_constantIbLb0EES14_EEDaSZ_S10_EUlSZ_E_NS1_11comp_targetILNS1_3genE0ELNS1_11target_archE4294967295ELNS1_3gpuE0ELNS1_3repE0EEENS1_30default_config_static_selectorELNS0_4arch9wavefront6targetE0EEEvT1_, .Lfunc_end965-_ZN7rocprim17ROCPRIM_400000_NS6detail17trampoline_kernelINS0_14default_configENS1_27scan_by_key_config_selectorIssEEZZNS1_16scan_by_key_implILNS1_25lookback_scan_determinismE0ELb0ES3_N6thrust23THRUST_200600_302600_NS6detail15normal_iteratorINS9_10device_ptrIsEEEENS9_18transform_iteratorINS9_6negateIsEESE_NS9_11use_defaultESI_EESE_sNS9_4plusIvEENS9_8equal_toIvEEsEE10hipError_tPvRmT2_T3_T4_T5_mT6_T7_P12ihipStream_tbENKUlT_T0_E_clISt17integral_constantIbLb0EES14_EEDaSZ_S10_EUlSZ_E_NS1_11comp_targetILNS1_3genE0ELNS1_11target_archE4294967295ELNS1_3gpuE0ELNS1_3repE0EEENS1_30default_config_static_selectorELNS0_4arch9wavefront6targetE0EEEvT1_
                                        ; -- End function
	.set _ZN7rocprim17ROCPRIM_400000_NS6detail17trampoline_kernelINS0_14default_configENS1_27scan_by_key_config_selectorIssEEZZNS1_16scan_by_key_implILNS1_25lookback_scan_determinismE0ELb0ES3_N6thrust23THRUST_200600_302600_NS6detail15normal_iteratorINS9_10device_ptrIsEEEENS9_18transform_iteratorINS9_6negateIsEESE_NS9_11use_defaultESI_EESE_sNS9_4plusIvEENS9_8equal_toIvEEsEE10hipError_tPvRmT2_T3_T4_T5_mT6_T7_P12ihipStream_tbENKUlT_T0_E_clISt17integral_constantIbLb0EES14_EEDaSZ_S10_EUlSZ_E_NS1_11comp_targetILNS1_3genE0ELNS1_11target_archE4294967295ELNS1_3gpuE0ELNS1_3repE0EEENS1_30default_config_static_selectorELNS0_4arch9wavefront6targetE0EEEvT1_.num_vgpr, 58
	.set _ZN7rocprim17ROCPRIM_400000_NS6detail17trampoline_kernelINS0_14default_configENS1_27scan_by_key_config_selectorIssEEZZNS1_16scan_by_key_implILNS1_25lookback_scan_determinismE0ELb0ES3_N6thrust23THRUST_200600_302600_NS6detail15normal_iteratorINS9_10device_ptrIsEEEENS9_18transform_iteratorINS9_6negateIsEESE_NS9_11use_defaultESI_EESE_sNS9_4plusIvEENS9_8equal_toIvEEsEE10hipError_tPvRmT2_T3_T4_T5_mT6_T7_P12ihipStream_tbENKUlT_T0_E_clISt17integral_constantIbLb0EES14_EEDaSZ_S10_EUlSZ_E_NS1_11comp_targetILNS1_3genE0ELNS1_11target_archE4294967295ELNS1_3gpuE0ELNS1_3repE0EEENS1_30default_config_static_selectorELNS0_4arch9wavefront6targetE0EEEvT1_.num_agpr, 0
	.set _ZN7rocprim17ROCPRIM_400000_NS6detail17trampoline_kernelINS0_14default_configENS1_27scan_by_key_config_selectorIssEEZZNS1_16scan_by_key_implILNS1_25lookback_scan_determinismE0ELb0ES3_N6thrust23THRUST_200600_302600_NS6detail15normal_iteratorINS9_10device_ptrIsEEEENS9_18transform_iteratorINS9_6negateIsEESE_NS9_11use_defaultESI_EESE_sNS9_4plusIvEENS9_8equal_toIvEEsEE10hipError_tPvRmT2_T3_T4_T5_mT6_T7_P12ihipStream_tbENKUlT_T0_E_clISt17integral_constantIbLb0EES14_EEDaSZ_S10_EUlSZ_E_NS1_11comp_targetILNS1_3genE0ELNS1_11target_archE4294967295ELNS1_3gpuE0ELNS1_3repE0EEENS1_30default_config_static_selectorELNS0_4arch9wavefront6targetE0EEEvT1_.numbered_sgpr, 50
	.set _ZN7rocprim17ROCPRIM_400000_NS6detail17trampoline_kernelINS0_14default_configENS1_27scan_by_key_config_selectorIssEEZZNS1_16scan_by_key_implILNS1_25lookback_scan_determinismE0ELb0ES3_N6thrust23THRUST_200600_302600_NS6detail15normal_iteratorINS9_10device_ptrIsEEEENS9_18transform_iteratorINS9_6negateIsEESE_NS9_11use_defaultESI_EESE_sNS9_4plusIvEENS9_8equal_toIvEEsEE10hipError_tPvRmT2_T3_T4_T5_mT6_T7_P12ihipStream_tbENKUlT_T0_E_clISt17integral_constantIbLb0EES14_EEDaSZ_S10_EUlSZ_E_NS1_11comp_targetILNS1_3genE0ELNS1_11target_archE4294967295ELNS1_3gpuE0ELNS1_3repE0EEENS1_30default_config_static_selectorELNS0_4arch9wavefront6targetE0EEEvT1_.num_named_barrier, 0
	.set _ZN7rocprim17ROCPRIM_400000_NS6detail17trampoline_kernelINS0_14default_configENS1_27scan_by_key_config_selectorIssEEZZNS1_16scan_by_key_implILNS1_25lookback_scan_determinismE0ELb0ES3_N6thrust23THRUST_200600_302600_NS6detail15normal_iteratorINS9_10device_ptrIsEEEENS9_18transform_iteratorINS9_6negateIsEESE_NS9_11use_defaultESI_EESE_sNS9_4plusIvEENS9_8equal_toIvEEsEE10hipError_tPvRmT2_T3_T4_T5_mT6_T7_P12ihipStream_tbENKUlT_T0_E_clISt17integral_constantIbLb0EES14_EEDaSZ_S10_EUlSZ_E_NS1_11comp_targetILNS1_3genE0ELNS1_11target_archE4294967295ELNS1_3gpuE0ELNS1_3repE0EEENS1_30default_config_static_selectorELNS0_4arch9wavefront6targetE0EEEvT1_.private_seg_size, 0
	.set _ZN7rocprim17ROCPRIM_400000_NS6detail17trampoline_kernelINS0_14default_configENS1_27scan_by_key_config_selectorIssEEZZNS1_16scan_by_key_implILNS1_25lookback_scan_determinismE0ELb0ES3_N6thrust23THRUST_200600_302600_NS6detail15normal_iteratorINS9_10device_ptrIsEEEENS9_18transform_iteratorINS9_6negateIsEESE_NS9_11use_defaultESI_EESE_sNS9_4plusIvEENS9_8equal_toIvEEsEE10hipError_tPvRmT2_T3_T4_T5_mT6_T7_P12ihipStream_tbENKUlT_T0_E_clISt17integral_constantIbLb0EES14_EEDaSZ_S10_EUlSZ_E_NS1_11comp_targetILNS1_3genE0ELNS1_11target_archE4294967295ELNS1_3gpuE0ELNS1_3repE0EEENS1_30default_config_static_selectorELNS0_4arch9wavefront6targetE0EEEvT1_.uses_vcc, 1
	.set _ZN7rocprim17ROCPRIM_400000_NS6detail17trampoline_kernelINS0_14default_configENS1_27scan_by_key_config_selectorIssEEZZNS1_16scan_by_key_implILNS1_25lookback_scan_determinismE0ELb0ES3_N6thrust23THRUST_200600_302600_NS6detail15normal_iteratorINS9_10device_ptrIsEEEENS9_18transform_iteratorINS9_6negateIsEESE_NS9_11use_defaultESI_EESE_sNS9_4plusIvEENS9_8equal_toIvEEsEE10hipError_tPvRmT2_T3_T4_T5_mT6_T7_P12ihipStream_tbENKUlT_T0_E_clISt17integral_constantIbLb0EES14_EEDaSZ_S10_EUlSZ_E_NS1_11comp_targetILNS1_3genE0ELNS1_11target_archE4294967295ELNS1_3gpuE0ELNS1_3repE0EEENS1_30default_config_static_selectorELNS0_4arch9wavefront6targetE0EEEvT1_.uses_flat_scratch, 1
	.set _ZN7rocprim17ROCPRIM_400000_NS6detail17trampoline_kernelINS0_14default_configENS1_27scan_by_key_config_selectorIssEEZZNS1_16scan_by_key_implILNS1_25lookback_scan_determinismE0ELb0ES3_N6thrust23THRUST_200600_302600_NS6detail15normal_iteratorINS9_10device_ptrIsEEEENS9_18transform_iteratorINS9_6negateIsEESE_NS9_11use_defaultESI_EESE_sNS9_4plusIvEENS9_8equal_toIvEEsEE10hipError_tPvRmT2_T3_T4_T5_mT6_T7_P12ihipStream_tbENKUlT_T0_E_clISt17integral_constantIbLb0EES14_EEDaSZ_S10_EUlSZ_E_NS1_11comp_targetILNS1_3genE0ELNS1_11target_archE4294967295ELNS1_3gpuE0ELNS1_3repE0EEENS1_30default_config_static_selectorELNS0_4arch9wavefront6targetE0EEEvT1_.has_dyn_sized_stack, 0
	.set _ZN7rocprim17ROCPRIM_400000_NS6detail17trampoline_kernelINS0_14default_configENS1_27scan_by_key_config_selectorIssEEZZNS1_16scan_by_key_implILNS1_25lookback_scan_determinismE0ELb0ES3_N6thrust23THRUST_200600_302600_NS6detail15normal_iteratorINS9_10device_ptrIsEEEENS9_18transform_iteratorINS9_6negateIsEESE_NS9_11use_defaultESI_EESE_sNS9_4plusIvEENS9_8equal_toIvEEsEE10hipError_tPvRmT2_T3_T4_T5_mT6_T7_P12ihipStream_tbENKUlT_T0_E_clISt17integral_constantIbLb0EES14_EEDaSZ_S10_EUlSZ_E_NS1_11comp_targetILNS1_3genE0ELNS1_11target_archE4294967295ELNS1_3gpuE0ELNS1_3repE0EEENS1_30default_config_static_selectorELNS0_4arch9wavefront6targetE0EEEvT1_.has_recursion, 0
	.set _ZN7rocprim17ROCPRIM_400000_NS6detail17trampoline_kernelINS0_14default_configENS1_27scan_by_key_config_selectorIssEEZZNS1_16scan_by_key_implILNS1_25lookback_scan_determinismE0ELb0ES3_N6thrust23THRUST_200600_302600_NS6detail15normal_iteratorINS9_10device_ptrIsEEEENS9_18transform_iteratorINS9_6negateIsEESE_NS9_11use_defaultESI_EESE_sNS9_4plusIvEENS9_8equal_toIvEEsEE10hipError_tPvRmT2_T3_T4_T5_mT6_T7_P12ihipStream_tbENKUlT_T0_E_clISt17integral_constantIbLb0EES14_EEDaSZ_S10_EUlSZ_E_NS1_11comp_targetILNS1_3genE0ELNS1_11target_archE4294967295ELNS1_3gpuE0ELNS1_3repE0EEENS1_30default_config_static_selectorELNS0_4arch9wavefront6targetE0EEEvT1_.has_indirect_call, 0
	.section	.AMDGPU.csdata,"",@progbits
; Kernel info:
; codeLenInByte = 19280
; TotalNumSgprs: 52
; NumVgprs: 58
; ScratchSize: 0
; MemoryBound: 0
; FloatMode: 240
; IeeeMode: 1
; LDSByteSize: 11264 bytes/workgroup (compile time only)
; SGPRBlocks: 0
; VGPRBlocks: 3
; NumSGPRsForWavesPerEU: 52
; NumVGPRsForWavesPerEU: 58
; NamedBarCnt: 0
; Occupancy: 16
; WaveLimiterHint : 1
; COMPUTE_PGM_RSRC2:SCRATCH_EN: 0
; COMPUTE_PGM_RSRC2:USER_SGPR: 2
; COMPUTE_PGM_RSRC2:TRAP_HANDLER: 0
; COMPUTE_PGM_RSRC2:TGID_X_EN: 1
; COMPUTE_PGM_RSRC2:TGID_Y_EN: 0
; COMPUTE_PGM_RSRC2:TGID_Z_EN: 0
; COMPUTE_PGM_RSRC2:TIDIG_COMP_CNT: 0
	.section	.text._ZN7rocprim17ROCPRIM_400000_NS6detail17trampoline_kernelINS0_14default_configENS1_27scan_by_key_config_selectorIssEEZZNS1_16scan_by_key_implILNS1_25lookback_scan_determinismE0ELb0ES3_N6thrust23THRUST_200600_302600_NS6detail15normal_iteratorINS9_10device_ptrIsEEEENS9_18transform_iteratorINS9_6negateIsEESE_NS9_11use_defaultESI_EESE_sNS9_4plusIvEENS9_8equal_toIvEEsEE10hipError_tPvRmT2_T3_T4_T5_mT6_T7_P12ihipStream_tbENKUlT_T0_E_clISt17integral_constantIbLb0EES14_EEDaSZ_S10_EUlSZ_E_NS1_11comp_targetILNS1_3genE10ELNS1_11target_archE1201ELNS1_3gpuE5ELNS1_3repE0EEENS1_30default_config_static_selectorELNS0_4arch9wavefront6targetE0EEEvT1_,"axG",@progbits,_ZN7rocprim17ROCPRIM_400000_NS6detail17trampoline_kernelINS0_14default_configENS1_27scan_by_key_config_selectorIssEEZZNS1_16scan_by_key_implILNS1_25lookback_scan_determinismE0ELb0ES3_N6thrust23THRUST_200600_302600_NS6detail15normal_iteratorINS9_10device_ptrIsEEEENS9_18transform_iteratorINS9_6negateIsEESE_NS9_11use_defaultESI_EESE_sNS9_4plusIvEENS9_8equal_toIvEEsEE10hipError_tPvRmT2_T3_T4_T5_mT6_T7_P12ihipStream_tbENKUlT_T0_E_clISt17integral_constantIbLb0EES14_EEDaSZ_S10_EUlSZ_E_NS1_11comp_targetILNS1_3genE10ELNS1_11target_archE1201ELNS1_3gpuE5ELNS1_3repE0EEENS1_30default_config_static_selectorELNS0_4arch9wavefront6targetE0EEEvT1_,comdat
	.protected	_ZN7rocprim17ROCPRIM_400000_NS6detail17trampoline_kernelINS0_14default_configENS1_27scan_by_key_config_selectorIssEEZZNS1_16scan_by_key_implILNS1_25lookback_scan_determinismE0ELb0ES3_N6thrust23THRUST_200600_302600_NS6detail15normal_iteratorINS9_10device_ptrIsEEEENS9_18transform_iteratorINS9_6negateIsEESE_NS9_11use_defaultESI_EESE_sNS9_4plusIvEENS9_8equal_toIvEEsEE10hipError_tPvRmT2_T3_T4_T5_mT6_T7_P12ihipStream_tbENKUlT_T0_E_clISt17integral_constantIbLb0EES14_EEDaSZ_S10_EUlSZ_E_NS1_11comp_targetILNS1_3genE10ELNS1_11target_archE1201ELNS1_3gpuE5ELNS1_3repE0EEENS1_30default_config_static_selectorELNS0_4arch9wavefront6targetE0EEEvT1_ ; -- Begin function _ZN7rocprim17ROCPRIM_400000_NS6detail17trampoline_kernelINS0_14default_configENS1_27scan_by_key_config_selectorIssEEZZNS1_16scan_by_key_implILNS1_25lookback_scan_determinismE0ELb0ES3_N6thrust23THRUST_200600_302600_NS6detail15normal_iteratorINS9_10device_ptrIsEEEENS9_18transform_iteratorINS9_6negateIsEESE_NS9_11use_defaultESI_EESE_sNS9_4plusIvEENS9_8equal_toIvEEsEE10hipError_tPvRmT2_T3_T4_T5_mT6_T7_P12ihipStream_tbENKUlT_T0_E_clISt17integral_constantIbLb0EES14_EEDaSZ_S10_EUlSZ_E_NS1_11comp_targetILNS1_3genE10ELNS1_11target_archE1201ELNS1_3gpuE5ELNS1_3repE0EEENS1_30default_config_static_selectorELNS0_4arch9wavefront6targetE0EEEvT1_
	.globl	_ZN7rocprim17ROCPRIM_400000_NS6detail17trampoline_kernelINS0_14default_configENS1_27scan_by_key_config_selectorIssEEZZNS1_16scan_by_key_implILNS1_25lookback_scan_determinismE0ELb0ES3_N6thrust23THRUST_200600_302600_NS6detail15normal_iteratorINS9_10device_ptrIsEEEENS9_18transform_iteratorINS9_6negateIsEESE_NS9_11use_defaultESI_EESE_sNS9_4plusIvEENS9_8equal_toIvEEsEE10hipError_tPvRmT2_T3_T4_T5_mT6_T7_P12ihipStream_tbENKUlT_T0_E_clISt17integral_constantIbLb0EES14_EEDaSZ_S10_EUlSZ_E_NS1_11comp_targetILNS1_3genE10ELNS1_11target_archE1201ELNS1_3gpuE5ELNS1_3repE0EEENS1_30default_config_static_selectorELNS0_4arch9wavefront6targetE0EEEvT1_
	.p2align	8
	.type	_ZN7rocprim17ROCPRIM_400000_NS6detail17trampoline_kernelINS0_14default_configENS1_27scan_by_key_config_selectorIssEEZZNS1_16scan_by_key_implILNS1_25lookback_scan_determinismE0ELb0ES3_N6thrust23THRUST_200600_302600_NS6detail15normal_iteratorINS9_10device_ptrIsEEEENS9_18transform_iteratorINS9_6negateIsEESE_NS9_11use_defaultESI_EESE_sNS9_4plusIvEENS9_8equal_toIvEEsEE10hipError_tPvRmT2_T3_T4_T5_mT6_T7_P12ihipStream_tbENKUlT_T0_E_clISt17integral_constantIbLb0EES14_EEDaSZ_S10_EUlSZ_E_NS1_11comp_targetILNS1_3genE10ELNS1_11target_archE1201ELNS1_3gpuE5ELNS1_3repE0EEENS1_30default_config_static_selectorELNS0_4arch9wavefront6targetE0EEEvT1_,@function
_ZN7rocprim17ROCPRIM_400000_NS6detail17trampoline_kernelINS0_14default_configENS1_27scan_by_key_config_selectorIssEEZZNS1_16scan_by_key_implILNS1_25lookback_scan_determinismE0ELb0ES3_N6thrust23THRUST_200600_302600_NS6detail15normal_iteratorINS9_10device_ptrIsEEEENS9_18transform_iteratorINS9_6negateIsEESE_NS9_11use_defaultESI_EESE_sNS9_4plusIvEENS9_8equal_toIvEEsEE10hipError_tPvRmT2_T3_T4_T5_mT6_T7_P12ihipStream_tbENKUlT_T0_E_clISt17integral_constantIbLb0EES14_EEDaSZ_S10_EUlSZ_E_NS1_11comp_targetILNS1_3genE10ELNS1_11target_archE1201ELNS1_3gpuE5ELNS1_3repE0EEENS1_30default_config_static_selectorELNS0_4arch9wavefront6targetE0EEEvT1_: ; @_ZN7rocprim17ROCPRIM_400000_NS6detail17trampoline_kernelINS0_14default_configENS1_27scan_by_key_config_selectorIssEEZZNS1_16scan_by_key_implILNS1_25lookback_scan_determinismE0ELb0ES3_N6thrust23THRUST_200600_302600_NS6detail15normal_iteratorINS9_10device_ptrIsEEEENS9_18transform_iteratorINS9_6negateIsEESE_NS9_11use_defaultESI_EESE_sNS9_4plusIvEENS9_8equal_toIvEEsEE10hipError_tPvRmT2_T3_T4_T5_mT6_T7_P12ihipStream_tbENKUlT_T0_E_clISt17integral_constantIbLb0EES14_EEDaSZ_S10_EUlSZ_E_NS1_11comp_targetILNS1_3genE10ELNS1_11target_archE1201ELNS1_3gpuE5ELNS1_3repE0EEENS1_30default_config_static_selectorELNS0_4arch9wavefront6targetE0EEEvT1_
; %bb.0:
	.section	.rodata,"a",@progbits
	.p2align	6, 0x0
	.amdhsa_kernel _ZN7rocprim17ROCPRIM_400000_NS6detail17trampoline_kernelINS0_14default_configENS1_27scan_by_key_config_selectorIssEEZZNS1_16scan_by_key_implILNS1_25lookback_scan_determinismE0ELb0ES3_N6thrust23THRUST_200600_302600_NS6detail15normal_iteratorINS9_10device_ptrIsEEEENS9_18transform_iteratorINS9_6negateIsEESE_NS9_11use_defaultESI_EESE_sNS9_4plusIvEENS9_8equal_toIvEEsEE10hipError_tPvRmT2_T3_T4_T5_mT6_T7_P12ihipStream_tbENKUlT_T0_E_clISt17integral_constantIbLb0EES14_EEDaSZ_S10_EUlSZ_E_NS1_11comp_targetILNS1_3genE10ELNS1_11target_archE1201ELNS1_3gpuE5ELNS1_3repE0EEENS1_30default_config_static_selectorELNS0_4arch9wavefront6targetE0EEEvT1_
		.amdhsa_group_segment_fixed_size 0
		.amdhsa_private_segment_fixed_size 0
		.amdhsa_kernarg_size 120
		.amdhsa_user_sgpr_count 2
		.amdhsa_user_sgpr_dispatch_ptr 0
		.amdhsa_user_sgpr_queue_ptr 0
		.amdhsa_user_sgpr_kernarg_segment_ptr 1
		.amdhsa_user_sgpr_dispatch_id 0
		.amdhsa_user_sgpr_kernarg_preload_length 0
		.amdhsa_user_sgpr_kernarg_preload_offset 0
		.amdhsa_user_sgpr_private_segment_size 0
		.amdhsa_wavefront_size32 1
		.amdhsa_uses_dynamic_stack 0
		.amdhsa_enable_private_segment 0
		.amdhsa_system_sgpr_workgroup_id_x 1
		.amdhsa_system_sgpr_workgroup_id_y 0
		.amdhsa_system_sgpr_workgroup_id_z 0
		.amdhsa_system_sgpr_workgroup_info 0
		.amdhsa_system_vgpr_workitem_id 0
		.amdhsa_next_free_vgpr 1
		.amdhsa_next_free_sgpr 1
		.amdhsa_named_barrier_count 0
		.amdhsa_reserve_vcc 0
		.amdhsa_float_round_mode_32 0
		.amdhsa_float_round_mode_16_64 0
		.amdhsa_float_denorm_mode_32 3
		.amdhsa_float_denorm_mode_16_64 3
		.amdhsa_fp16_overflow 0
		.amdhsa_memory_ordered 1
		.amdhsa_forward_progress 1
		.amdhsa_inst_pref_size 0
		.amdhsa_round_robin_scheduling 0
		.amdhsa_exception_fp_ieee_invalid_op 0
		.amdhsa_exception_fp_denorm_src 0
		.amdhsa_exception_fp_ieee_div_zero 0
		.amdhsa_exception_fp_ieee_overflow 0
		.amdhsa_exception_fp_ieee_underflow 0
		.amdhsa_exception_fp_ieee_inexact 0
		.amdhsa_exception_int_div_zero 0
	.end_amdhsa_kernel
	.section	.text._ZN7rocprim17ROCPRIM_400000_NS6detail17trampoline_kernelINS0_14default_configENS1_27scan_by_key_config_selectorIssEEZZNS1_16scan_by_key_implILNS1_25lookback_scan_determinismE0ELb0ES3_N6thrust23THRUST_200600_302600_NS6detail15normal_iteratorINS9_10device_ptrIsEEEENS9_18transform_iteratorINS9_6negateIsEESE_NS9_11use_defaultESI_EESE_sNS9_4plusIvEENS9_8equal_toIvEEsEE10hipError_tPvRmT2_T3_T4_T5_mT6_T7_P12ihipStream_tbENKUlT_T0_E_clISt17integral_constantIbLb0EES14_EEDaSZ_S10_EUlSZ_E_NS1_11comp_targetILNS1_3genE10ELNS1_11target_archE1201ELNS1_3gpuE5ELNS1_3repE0EEENS1_30default_config_static_selectorELNS0_4arch9wavefront6targetE0EEEvT1_,"axG",@progbits,_ZN7rocprim17ROCPRIM_400000_NS6detail17trampoline_kernelINS0_14default_configENS1_27scan_by_key_config_selectorIssEEZZNS1_16scan_by_key_implILNS1_25lookback_scan_determinismE0ELb0ES3_N6thrust23THRUST_200600_302600_NS6detail15normal_iteratorINS9_10device_ptrIsEEEENS9_18transform_iteratorINS9_6negateIsEESE_NS9_11use_defaultESI_EESE_sNS9_4plusIvEENS9_8equal_toIvEEsEE10hipError_tPvRmT2_T3_T4_T5_mT6_T7_P12ihipStream_tbENKUlT_T0_E_clISt17integral_constantIbLb0EES14_EEDaSZ_S10_EUlSZ_E_NS1_11comp_targetILNS1_3genE10ELNS1_11target_archE1201ELNS1_3gpuE5ELNS1_3repE0EEENS1_30default_config_static_selectorELNS0_4arch9wavefront6targetE0EEEvT1_,comdat
.Lfunc_end966:
	.size	_ZN7rocprim17ROCPRIM_400000_NS6detail17trampoline_kernelINS0_14default_configENS1_27scan_by_key_config_selectorIssEEZZNS1_16scan_by_key_implILNS1_25lookback_scan_determinismE0ELb0ES3_N6thrust23THRUST_200600_302600_NS6detail15normal_iteratorINS9_10device_ptrIsEEEENS9_18transform_iteratorINS9_6negateIsEESE_NS9_11use_defaultESI_EESE_sNS9_4plusIvEENS9_8equal_toIvEEsEE10hipError_tPvRmT2_T3_T4_T5_mT6_T7_P12ihipStream_tbENKUlT_T0_E_clISt17integral_constantIbLb0EES14_EEDaSZ_S10_EUlSZ_E_NS1_11comp_targetILNS1_3genE10ELNS1_11target_archE1201ELNS1_3gpuE5ELNS1_3repE0EEENS1_30default_config_static_selectorELNS0_4arch9wavefront6targetE0EEEvT1_, .Lfunc_end966-_ZN7rocprim17ROCPRIM_400000_NS6detail17trampoline_kernelINS0_14default_configENS1_27scan_by_key_config_selectorIssEEZZNS1_16scan_by_key_implILNS1_25lookback_scan_determinismE0ELb0ES3_N6thrust23THRUST_200600_302600_NS6detail15normal_iteratorINS9_10device_ptrIsEEEENS9_18transform_iteratorINS9_6negateIsEESE_NS9_11use_defaultESI_EESE_sNS9_4plusIvEENS9_8equal_toIvEEsEE10hipError_tPvRmT2_T3_T4_T5_mT6_T7_P12ihipStream_tbENKUlT_T0_E_clISt17integral_constantIbLb0EES14_EEDaSZ_S10_EUlSZ_E_NS1_11comp_targetILNS1_3genE10ELNS1_11target_archE1201ELNS1_3gpuE5ELNS1_3repE0EEENS1_30default_config_static_selectorELNS0_4arch9wavefront6targetE0EEEvT1_
                                        ; -- End function
	.set _ZN7rocprim17ROCPRIM_400000_NS6detail17trampoline_kernelINS0_14default_configENS1_27scan_by_key_config_selectorIssEEZZNS1_16scan_by_key_implILNS1_25lookback_scan_determinismE0ELb0ES3_N6thrust23THRUST_200600_302600_NS6detail15normal_iteratorINS9_10device_ptrIsEEEENS9_18transform_iteratorINS9_6negateIsEESE_NS9_11use_defaultESI_EESE_sNS9_4plusIvEENS9_8equal_toIvEEsEE10hipError_tPvRmT2_T3_T4_T5_mT6_T7_P12ihipStream_tbENKUlT_T0_E_clISt17integral_constantIbLb0EES14_EEDaSZ_S10_EUlSZ_E_NS1_11comp_targetILNS1_3genE10ELNS1_11target_archE1201ELNS1_3gpuE5ELNS1_3repE0EEENS1_30default_config_static_selectorELNS0_4arch9wavefront6targetE0EEEvT1_.num_vgpr, 0
	.set _ZN7rocprim17ROCPRIM_400000_NS6detail17trampoline_kernelINS0_14default_configENS1_27scan_by_key_config_selectorIssEEZZNS1_16scan_by_key_implILNS1_25lookback_scan_determinismE0ELb0ES3_N6thrust23THRUST_200600_302600_NS6detail15normal_iteratorINS9_10device_ptrIsEEEENS9_18transform_iteratorINS9_6negateIsEESE_NS9_11use_defaultESI_EESE_sNS9_4plusIvEENS9_8equal_toIvEEsEE10hipError_tPvRmT2_T3_T4_T5_mT6_T7_P12ihipStream_tbENKUlT_T0_E_clISt17integral_constantIbLb0EES14_EEDaSZ_S10_EUlSZ_E_NS1_11comp_targetILNS1_3genE10ELNS1_11target_archE1201ELNS1_3gpuE5ELNS1_3repE0EEENS1_30default_config_static_selectorELNS0_4arch9wavefront6targetE0EEEvT1_.num_agpr, 0
	.set _ZN7rocprim17ROCPRIM_400000_NS6detail17trampoline_kernelINS0_14default_configENS1_27scan_by_key_config_selectorIssEEZZNS1_16scan_by_key_implILNS1_25lookback_scan_determinismE0ELb0ES3_N6thrust23THRUST_200600_302600_NS6detail15normal_iteratorINS9_10device_ptrIsEEEENS9_18transform_iteratorINS9_6negateIsEESE_NS9_11use_defaultESI_EESE_sNS9_4plusIvEENS9_8equal_toIvEEsEE10hipError_tPvRmT2_T3_T4_T5_mT6_T7_P12ihipStream_tbENKUlT_T0_E_clISt17integral_constantIbLb0EES14_EEDaSZ_S10_EUlSZ_E_NS1_11comp_targetILNS1_3genE10ELNS1_11target_archE1201ELNS1_3gpuE5ELNS1_3repE0EEENS1_30default_config_static_selectorELNS0_4arch9wavefront6targetE0EEEvT1_.numbered_sgpr, 0
	.set _ZN7rocprim17ROCPRIM_400000_NS6detail17trampoline_kernelINS0_14default_configENS1_27scan_by_key_config_selectorIssEEZZNS1_16scan_by_key_implILNS1_25lookback_scan_determinismE0ELb0ES3_N6thrust23THRUST_200600_302600_NS6detail15normal_iteratorINS9_10device_ptrIsEEEENS9_18transform_iteratorINS9_6negateIsEESE_NS9_11use_defaultESI_EESE_sNS9_4plusIvEENS9_8equal_toIvEEsEE10hipError_tPvRmT2_T3_T4_T5_mT6_T7_P12ihipStream_tbENKUlT_T0_E_clISt17integral_constantIbLb0EES14_EEDaSZ_S10_EUlSZ_E_NS1_11comp_targetILNS1_3genE10ELNS1_11target_archE1201ELNS1_3gpuE5ELNS1_3repE0EEENS1_30default_config_static_selectorELNS0_4arch9wavefront6targetE0EEEvT1_.num_named_barrier, 0
	.set _ZN7rocprim17ROCPRIM_400000_NS6detail17trampoline_kernelINS0_14default_configENS1_27scan_by_key_config_selectorIssEEZZNS1_16scan_by_key_implILNS1_25lookback_scan_determinismE0ELb0ES3_N6thrust23THRUST_200600_302600_NS6detail15normal_iteratorINS9_10device_ptrIsEEEENS9_18transform_iteratorINS9_6negateIsEESE_NS9_11use_defaultESI_EESE_sNS9_4plusIvEENS9_8equal_toIvEEsEE10hipError_tPvRmT2_T3_T4_T5_mT6_T7_P12ihipStream_tbENKUlT_T0_E_clISt17integral_constantIbLb0EES14_EEDaSZ_S10_EUlSZ_E_NS1_11comp_targetILNS1_3genE10ELNS1_11target_archE1201ELNS1_3gpuE5ELNS1_3repE0EEENS1_30default_config_static_selectorELNS0_4arch9wavefront6targetE0EEEvT1_.private_seg_size, 0
	.set _ZN7rocprim17ROCPRIM_400000_NS6detail17trampoline_kernelINS0_14default_configENS1_27scan_by_key_config_selectorIssEEZZNS1_16scan_by_key_implILNS1_25lookback_scan_determinismE0ELb0ES3_N6thrust23THRUST_200600_302600_NS6detail15normal_iteratorINS9_10device_ptrIsEEEENS9_18transform_iteratorINS9_6negateIsEESE_NS9_11use_defaultESI_EESE_sNS9_4plusIvEENS9_8equal_toIvEEsEE10hipError_tPvRmT2_T3_T4_T5_mT6_T7_P12ihipStream_tbENKUlT_T0_E_clISt17integral_constantIbLb0EES14_EEDaSZ_S10_EUlSZ_E_NS1_11comp_targetILNS1_3genE10ELNS1_11target_archE1201ELNS1_3gpuE5ELNS1_3repE0EEENS1_30default_config_static_selectorELNS0_4arch9wavefront6targetE0EEEvT1_.uses_vcc, 0
	.set _ZN7rocprim17ROCPRIM_400000_NS6detail17trampoline_kernelINS0_14default_configENS1_27scan_by_key_config_selectorIssEEZZNS1_16scan_by_key_implILNS1_25lookback_scan_determinismE0ELb0ES3_N6thrust23THRUST_200600_302600_NS6detail15normal_iteratorINS9_10device_ptrIsEEEENS9_18transform_iteratorINS9_6negateIsEESE_NS9_11use_defaultESI_EESE_sNS9_4plusIvEENS9_8equal_toIvEEsEE10hipError_tPvRmT2_T3_T4_T5_mT6_T7_P12ihipStream_tbENKUlT_T0_E_clISt17integral_constantIbLb0EES14_EEDaSZ_S10_EUlSZ_E_NS1_11comp_targetILNS1_3genE10ELNS1_11target_archE1201ELNS1_3gpuE5ELNS1_3repE0EEENS1_30default_config_static_selectorELNS0_4arch9wavefront6targetE0EEEvT1_.uses_flat_scratch, 0
	.set _ZN7rocprim17ROCPRIM_400000_NS6detail17trampoline_kernelINS0_14default_configENS1_27scan_by_key_config_selectorIssEEZZNS1_16scan_by_key_implILNS1_25lookback_scan_determinismE0ELb0ES3_N6thrust23THRUST_200600_302600_NS6detail15normal_iteratorINS9_10device_ptrIsEEEENS9_18transform_iteratorINS9_6negateIsEESE_NS9_11use_defaultESI_EESE_sNS9_4plusIvEENS9_8equal_toIvEEsEE10hipError_tPvRmT2_T3_T4_T5_mT6_T7_P12ihipStream_tbENKUlT_T0_E_clISt17integral_constantIbLb0EES14_EEDaSZ_S10_EUlSZ_E_NS1_11comp_targetILNS1_3genE10ELNS1_11target_archE1201ELNS1_3gpuE5ELNS1_3repE0EEENS1_30default_config_static_selectorELNS0_4arch9wavefront6targetE0EEEvT1_.has_dyn_sized_stack, 0
	.set _ZN7rocprim17ROCPRIM_400000_NS6detail17trampoline_kernelINS0_14default_configENS1_27scan_by_key_config_selectorIssEEZZNS1_16scan_by_key_implILNS1_25lookback_scan_determinismE0ELb0ES3_N6thrust23THRUST_200600_302600_NS6detail15normal_iteratorINS9_10device_ptrIsEEEENS9_18transform_iteratorINS9_6negateIsEESE_NS9_11use_defaultESI_EESE_sNS9_4plusIvEENS9_8equal_toIvEEsEE10hipError_tPvRmT2_T3_T4_T5_mT6_T7_P12ihipStream_tbENKUlT_T0_E_clISt17integral_constantIbLb0EES14_EEDaSZ_S10_EUlSZ_E_NS1_11comp_targetILNS1_3genE10ELNS1_11target_archE1201ELNS1_3gpuE5ELNS1_3repE0EEENS1_30default_config_static_selectorELNS0_4arch9wavefront6targetE0EEEvT1_.has_recursion, 0
	.set _ZN7rocprim17ROCPRIM_400000_NS6detail17trampoline_kernelINS0_14default_configENS1_27scan_by_key_config_selectorIssEEZZNS1_16scan_by_key_implILNS1_25lookback_scan_determinismE0ELb0ES3_N6thrust23THRUST_200600_302600_NS6detail15normal_iteratorINS9_10device_ptrIsEEEENS9_18transform_iteratorINS9_6negateIsEESE_NS9_11use_defaultESI_EESE_sNS9_4plusIvEENS9_8equal_toIvEEsEE10hipError_tPvRmT2_T3_T4_T5_mT6_T7_P12ihipStream_tbENKUlT_T0_E_clISt17integral_constantIbLb0EES14_EEDaSZ_S10_EUlSZ_E_NS1_11comp_targetILNS1_3genE10ELNS1_11target_archE1201ELNS1_3gpuE5ELNS1_3repE0EEENS1_30default_config_static_selectorELNS0_4arch9wavefront6targetE0EEEvT1_.has_indirect_call, 0
	.section	.AMDGPU.csdata,"",@progbits
; Kernel info:
; codeLenInByte = 0
; TotalNumSgprs: 0
; NumVgprs: 0
; ScratchSize: 0
; MemoryBound: 0
; FloatMode: 240
; IeeeMode: 1
; LDSByteSize: 0 bytes/workgroup (compile time only)
; SGPRBlocks: 0
; VGPRBlocks: 0
; NumSGPRsForWavesPerEU: 1
; NumVGPRsForWavesPerEU: 1
; NamedBarCnt: 0
; Occupancy: 16
; WaveLimiterHint : 0
; COMPUTE_PGM_RSRC2:SCRATCH_EN: 0
; COMPUTE_PGM_RSRC2:USER_SGPR: 2
; COMPUTE_PGM_RSRC2:TRAP_HANDLER: 0
; COMPUTE_PGM_RSRC2:TGID_X_EN: 1
; COMPUTE_PGM_RSRC2:TGID_Y_EN: 0
; COMPUTE_PGM_RSRC2:TGID_Z_EN: 0
; COMPUTE_PGM_RSRC2:TIDIG_COMP_CNT: 0
	.section	.text._ZN7rocprim17ROCPRIM_400000_NS6detail17trampoline_kernelINS0_14default_configENS1_27scan_by_key_config_selectorIssEEZZNS1_16scan_by_key_implILNS1_25lookback_scan_determinismE0ELb0ES3_N6thrust23THRUST_200600_302600_NS6detail15normal_iteratorINS9_10device_ptrIsEEEENS9_18transform_iteratorINS9_6negateIsEESE_NS9_11use_defaultESI_EESE_sNS9_4plusIvEENS9_8equal_toIvEEsEE10hipError_tPvRmT2_T3_T4_T5_mT6_T7_P12ihipStream_tbENKUlT_T0_E_clISt17integral_constantIbLb0EES14_EEDaSZ_S10_EUlSZ_E_NS1_11comp_targetILNS1_3genE5ELNS1_11target_archE942ELNS1_3gpuE9ELNS1_3repE0EEENS1_30default_config_static_selectorELNS0_4arch9wavefront6targetE0EEEvT1_,"axG",@progbits,_ZN7rocprim17ROCPRIM_400000_NS6detail17trampoline_kernelINS0_14default_configENS1_27scan_by_key_config_selectorIssEEZZNS1_16scan_by_key_implILNS1_25lookback_scan_determinismE0ELb0ES3_N6thrust23THRUST_200600_302600_NS6detail15normal_iteratorINS9_10device_ptrIsEEEENS9_18transform_iteratorINS9_6negateIsEESE_NS9_11use_defaultESI_EESE_sNS9_4plusIvEENS9_8equal_toIvEEsEE10hipError_tPvRmT2_T3_T4_T5_mT6_T7_P12ihipStream_tbENKUlT_T0_E_clISt17integral_constantIbLb0EES14_EEDaSZ_S10_EUlSZ_E_NS1_11comp_targetILNS1_3genE5ELNS1_11target_archE942ELNS1_3gpuE9ELNS1_3repE0EEENS1_30default_config_static_selectorELNS0_4arch9wavefront6targetE0EEEvT1_,comdat
	.protected	_ZN7rocprim17ROCPRIM_400000_NS6detail17trampoline_kernelINS0_14default_configENS1_27scan_by_key_config_selectorIssEEZZNS1_16scan_by_key_implILNS1_25lookback_scan_determinismE0ELb0ES3_N6thrust23THRUST_200600_302600_NS6detail15normal_iteratorINS9_10device_ptrIsEEEENS9_18transform_iteratorINS9_6negateIsEESE_NS9_11use_defaultESI_EESE_sNS9_4plusIvEENS9_8equal_toIvEEsEE10hipError_tPvRmT2_T3_T4_T5_mT6_T7_P12ihipStream_tbENKUlT_T0_E_clISt17integral_constantIbLb0EES14_EEDaSZ_S10_EUlSZ_E_NS1_11comp_targetILNS1_3genE5ELNS1_11target_archE942ELNS1_3gpuE9ELNS1_3repE0EEENS1_30default_config_static_selectorELNS0_4arch9wavefront6targetE0EEEvT1_ ; -- Begin function _ZN7rocprim17ROCPRIM_400000_NS6detail17trampoline_kernelINS0_14default_configENS1_27scan_by_key_config_selectorIssEEZZNS1_16scan_by_key_implILNS1_25lookback_scan_determinismE0ELb0ES3_N6thrust23THRUST_200600_302600_NS6detail15normal_iteratorINS9_10device_ptrIsEEEENS9_18transform_iteratorINS9_6negateIsEESE_NS9_11use_defaultESI_EESE_sNS9_4plusIvEENS9_8equal_toIvEEsEE10hipError_tPvRmT2_T3_T4_T5_mT6_T7_P12ihipStream_tbENKUlT_T0_E_clISt17integral_constantIbLb0EES14_EEDaSZ_S10_EUlSZ_E_NS1_11comp_targetILNS1_3genE5ELNS1_11target_archE942ELNS1_3gpuE9ELNS1_3repE0EEENS1_30default_config_static_selectorELNS0_4arch9wavefront6targetE0EEEvT1_
	.globl	_ZN7rocprim17ROCPRIM_400000_NS6detail17trampoline_kernelINS0_14default_configENS1_27scan_by_key_config_selectorIssEEZZNS1_16scan_by_key_implILNS1_25lookback_scan_determinismE0ELb0ES3_N6thrust23THRUST_200600_302600_NS6detail15normal_iteratorINS9_10device_ptrIsEEEENS9_18transform_iteratorINS9_6negateIsEESE_NS9_11use_defaultESI_EESE_sNS9_4plusIvEENS9_8equal_toIvEEsEE10hipError_tPvRmT2_T3_T4_T5_mT6_T7_P12ihipStream_tbENKUlT_T0_E_clISt17integral_constantIbLb0EES14_EEDaSZ_S10_EUlSZ_E_NS1_11comp_targetILNS1_3genE5ELNS1_11target_archE942ELNS1_3gpuE9ELNS1_3repE0EEENS1_30default_config_static_selectorELNS0_4arch9wavefront6targetE0EEEvT1_
	.p2align	8
	.type	_ZN7rocprim17ROCPRIM_400000_NS6detail17trampoline_kernelINS0_14default_configENS1_27scan_by_key_config_selectorIssEEZZNS1_16scan_by_key_implILNS1_25lookback_scan_determinismE0ELb0ES3_N6thrust23THRUST_200600_302600_NS6detail15normal_iteratorINS9_10device_ptrIsEEEENS9_18transform_iteratorINS9_6negateIsEESE_NS9_11use_defaultESI_EESE_sNS9_4plusIvEENS9_8equal_toIvEEsEE10hipError_tPvRmT2_T3_T4_T5_mT6_T7_P12ihipStream_tbENKUlT_T0_E_clISt17integral_constantIbLb0EES14_EEDaSZ_S10_EUlSZ_E_NS1_11comp_targetILNS1_3genE5ELNS1_11target_archE942ELNS1_3gpuE9ELNS1_3repE0EEENS1_30default_config_static_selectorELNS0_4arch9wavefront6targetE0EEEvT1_,@function
_ZN7rocprim17ROCPRIM_400000_NS6detail17trampoline_kernelINS0_14default_configENS1_27scan_by_key_config_selectorIssEEZZNS1_16scan_by_key_implILNS1_25lookback_scan_determinismE0ELb0ES3_N6thrust23THRUST_200600_302600_NS6detail15normal_iteratorINS9_10device_ptrIsEEEENS9_18transform_iteratorINS9_6negateIsEESE_NS9_11use_defaultESI_EESE_sNS9_4plusIvEENS9_8equal_toIvEEsEE10hipError_tPvRmT2_T3_T4_T5_mT6_T7_P12ihipStream_tbENKUlT_T0_E_clISt17integral_constantIbLb0EES14_EEDaSZ_S10_EUlSZ_E_NS1_11comp_targetILNS1_3genE5ELNS1_11target_archE942ELNS1_3gpuE9ELNS1_3repE0EEENS1_30default_config_static_selectorELNS0_4arch9wavefront6targetE0EEEvT1_: ; @_ZN7rocprim17ROCPRIM_400000_NS6detail17trampoline_kernelINS0_14default_configENS1_27scan_by_key_config_selectorIssEEZZNS1_16scan_by_key_implILNS1_25lookback_scan_determinismE0ELb0ES3_N6thrust23THRUST_200600_302600_NS6detail15normal_iteratorINS9_10device_ptrIsEEEENS9_18transform_iteratorINS9_6negateIsEESE_NS9_11use_defaultESI_EESE_sNS9_4plusIvEENS9_8equal_toIvEEsEE10hipError_tPvRmT2_T3_T4_T5_mT6_T7_P12ihipStream_tbENKUlT_T0_E_clISt17integral_constantIbLb0EES14_EEDaSZ_S10_EUlSZ_E_NS1_11comp_targetILNS1_3genE5ELNS1_11target_archE942ELNS1_3gpuE9ELNS1_3repE0EEENS1_30default_config_static_selectorELNS0_4arch9wavefront6targetE0EEEvT1_
; %bb.0:
	.section	.rodata,"a",@progbits
	.p2align	6, 0x0
	.amdhsa_kernel _ZN7rocprim17ROCPRIM_400000_NS6detail17trampoline_kernelINS0_14default_configENS1_27scan_by_key_config_selectorIssEEZZNS1_16scan_by_key_implILNS1_25lookback_scan_determinismE0ELb0ES3_N6thrust23THRUST_200600_302600_NS6detail15normal_iteratorINS9_10device_ptrIsEEEENS9_18transform_iteratorINS9_6negateIsEESE_NS9_11use_defaultESI_EESE_sNS9_4plusIvEENS9_8equal_toIvEEsEE10hipError_tPvRmT2_T3_T4_T5_mT6_T7_P12ihipStream_tbENKUlT_T0_E_clISt17integral_constantIbLb0EES14_EEDaSZ_S10_EUlSZ_E_NS1_11comp_targetILNS1_3genE5ELNS1_11target_archE942ELNS1_3gpuE9ELNS1_3repE0EEENS1_30default_config_static_selectorELNS0_4arch9wavefront6targetE0EEEvT1_
		.amdhsa_group_segment_fixed_size 0
		.amdhsa_private_segment_fixed_size 0
		.amdhsa_kernarg_size 120
		.amdhsa_user_sgpr_count 2
		.amdhsa_user_sgpr_dispatch_ptr 0
		.amdhsa_user_sgpr_queue_ptr 0
		.amdhsa_user_sgpr_kernarg_segment_ptr 1
		.amdhsa_user_sgpr_dispatch_id 0
		.amdhsa_user_sgpr_kernarg_preload_length 0
		.amdhsa_user_sgpr_kernarg_preload_offset 0
		.amdhsa_user_sgpr_private_segment_size 0
		.amdhsa_wavefront_size32 1
		.amdhsa_uses_dynamic_stack 0
		.amdhsa_enable_private_segment 0
		.amdhsa_system_sgpr_workgroup_id_x 1
		.amdhsa_system_sgpr_workgroup_id_y 0
		.amdhsa_system_sgpr_workgroup_id_z 0
		.amdhsa_system_sgpr_workgroup_info 0
		.amdhsa_system_vgpr_workitem_id 0
		.amdhsa_next_free_vgpr 1
		.amdhsa_next_free_sgpr 1
		.amdhsa_named_barrier_count 0
		.amdhsa_reserve_vcc 0
		.amdhsa_float_round_mode_32 0
		.amdhsa_float_round_mode_16_64 0
		.amdhsa_float_denorm_mode_32 3
		.amdhsa_float_denorm_mode_16_64 3
		.amdhsa_fp16_overflow 0
		.amdhsa_memory_ordered 1
		.amdhsa_forward_progress 1
		.amdhsa_inst_pref_size 0
		.amdhsa_round_robin_scheduling 0
		.amdhsa_exception_fp_ieee_invalid_op 0
		.amdhsa_exception_fp_denorm_src 0
		.amdhsa_exception_fp_ieee_div_zero 0
		.amdhsa_exception_fp_ieee_overflow 0
		.amdhsa_exception_fp_ieee_underflow 0
		.amdhsa_exception_fp_ieee_inexact 0
		.amdhsa_exception_int_div_zero 0
	.end_amdhsa_kernel
	.section	.text._ZN7rocprim17ROCPRIM_400000_NS6detail17trampoline_kernelINS0_14default_configENS1_27scan_by_key_config_selectorIssEEZZNS1_16scan_by_key_implILNS1_25lookback_scan_determinismE0ELb0ES3_N6thrust23THRUST_200600_302600_NS6detail15normal_iteratorINS9_10device_ptrIsEEEENS9_18transform_iteratorINS9_6negateIsEESE_NS9_11use_defaultESI_EESE_sNS9_4plusIvEENS9_8equal_toIvEEsEE10hipError_tPvRmT2_T3_T4_T5_mT6_T7_P12ihipStream_tbENKUlT_T0_E_clISt17integral_constantIbLb0EES14_EEDaSZ_S10_EUlSZ_E_NS1_11comp_targetILNS1_3genE5ELNS1_11target_archE942ELNS1_3gpuE9ELNS1_3repE0EEENS1_30default_config_static_selectorELNS0_4arch9wavefront6targetE0EEEvT1_,"axG",@progbits,_ZN7rocprim17ROCPRIM_400000_NS6detail17trampoline_kernelINS0_14default_configENS1_27scan_by_key_config_selectorIssEEZZNS1_16scan_by_key_implILNS1_25lookback_scan_determinismE0ELb0ES3_N6thrust23THRUST_200600_302600_NS6detail15normal_iteratorINS9_10device_ptrIsEEEENS9_18transform_iteratorINS9_6negateIsEESE_NS9_11use_defaultESI_EESE_sNS9_4plusIvEENS9_8equal_toIvEEsEE10hipError_tPvRmT2_T3_T4_T5_mT6_T7_P12ihipStream_tbENKUlT_T0_E_clISt17integral_constantIbLb0EES14_EEDaSZ_S10_EUlSZ_E_NS1_11comp_targetILNS1_3genE5ELNS1_11target_archE942ELNS1_3gpuE9ELNS1_3repE0EEENS1_30default_config_static_selectorELNS0_4arch9wavefront6targetE0EEEvT1_,comdat
.Lfunc_end967:
	.size	_ZN7rocprim17ROCPRIM_400000_NS6detail17trampoline_kernelINS0_14default_configENS1_27scan_by_key_config_selectorIssEEZZNS1_16scan_by_key_implILNS1_25lookback_scan_determinismE0ELb0ES3_N6thrust23THRUST_200600_302600_NS6detail15normal_iteratorINS9_10device_ptrIsEEEENS9_18transform_iteratorINS9_6negateIsEESE_NS9_11use_defaultESI_EESE_sNS9_4plusIvEENS9_8equal_toIvEEsEE10hipError_tPvRmT2_T3_T4_T5_mT6_T7_P12ihipStream_tbENKUlT_T0_E_clISt17integral_constantIbLb0EES14_EEDaSZ_S10_EUlSZ_E_NS1_11comp_targetILNS1_3genE5ELNS1_11target_archE942ELNS1_3gpuE9ELNS1_3repE0EEENS1_30default_config_static_selectorELNS0_4arch9wavefront6targetE0EEEvT1_, .Lfunc_end967-_ZN7rocprim17ROCPRIM_400000_NS6detail17trampoline_kernelINS0_14default_configENS1_27scan_by_key_config_selectorIssEEZZNS1_16scan_by_key_implILNS1_25lookback_scan_determinismE0ELb0ES3_N6thrust23THRUST_200600_302600_NS6detail15normal_iteratorINS9_10device_ptrIsEEEENS9_18transform_iteratorINS9_6negateIsEESE_NS9_11use_defaultESI_EESE_sNS9_4plusIvEENS9_8equal_toIvEEsEE10hipError_tPvRmT2_T3_T4_T5_mT6_T7_P12ihipStream_tbENKUlT_T0_E_clISt17integral_constantIbLb0EES14_EEDaSZ_S10_EUlSZ_E_NS1_11comp_targetILNS1_3genE5ELNS1_11target_archE942ELNS1_3gpuE9ELNS1_3repE0EEENS1_30default_config_static_selectorELNS0_4arch9wavefront6targetE0EEEvT1_
                                        ; -- End function
	.set _ZN7rocprim17ROCPRIM_400000_NS6detail17trampoline_kernelINS0_14default_configENS1_27scan_by_key_config_selectorIssEEZZNS1_16scan_by_key_implILNS1_25lookback_scan_determinismE0ELb0ES3_N6thrust23THRUST_200600_302600_NS6detail15normal_iteratorINS9_10device_ptrIsEEEENS9_18transform_iteratorINS9_6negateIsEESE_NS9_11use_defaultESI_EESE_sNS9_4plusIvEENS9_8equal_toIvEEsEE10hipError_tPvRmT2_T3_T4_T5_mT6_T7_P12ihipStream_tbENKUlT_T0_E_clISt17integral_constantIbLb0EES14_EEDaSZ_S10_EUlSZ_E_NS1_11comp_targetILNS1_3genE5ELNS1_11target_archE942ELNS1_3gpuE9ELNS1_3repE0EEENS1_30default_config_static_selectorELNS0_4arch9wavefront6targetE0EEEvT1_.num_vgpr, 0
	.set _ZN7rocprim17ROCPRIM_400000_NS6detail17trampoline_kernelINS0_14default_configENS1_27scan_by_key_config_selectorIssEEZZNS1_16scan_by_key_implILNS1_25lookback_scan_determinismE0ELb0ES3_N6thrust23THRUST_200600_302600_NS6detail15normal_iteratorINS9_10device_ptrIsEEEENS9_18transform_iteratorINS9_6negateIsEESE_NS9_11use_defaultESI_EESE_sNS9_4plusIvEENS9_8equal_toIvEEsEE10hipError_tPvRmT2_T3_T4_T5_mT6_T7_P12ihipStream_tbENKUlT_T0_E_clISt17integral_constantIbLb0EES14_EEDaSZ_S10_EUlSZ_E_NS1_11comp_targetILNS1_3genE5ELNS1_11target_archE942ELNS1_3gpuE9ELNS1_3repE0EEENS1_30default_config_static_selectorELNS0_4arch9wavefront6targetE0EEEvT1_.num_agpr, 0
	.set _ZN7rocprim17ROCPRIM_400000_NS6detail17trampoline_kernelINS0_14default_configENS1_27scan_by_key_config_selectorIssEEZZNS1_16scan_by_key_implILNS1_25lookback_scan_determinismE0ELb0ES3_N6thrust23THRUST_200600_302600_NS6detail15normal_iteratorINS9_10device_ptrIsEEEENS9_18transform_iteratorINS9_6negateIsEESE_NS9_11use_defaultESI_EESE_sNS9_4plusIvEENS9_8equal_toIvEEsEE10hipError_tPvRmT2_T3_T4_T5_mT6_T7_P12ihipStream_tbENKUlT_T0_E_clISt17integral_constantIbLb0EES14_EEDaSZ_S10_EUlSZ_E_NS1_11comp_targetILNS1_3genE5ELNS1_11target_archE942ELNS1_3gpuE9ELNS1_3repE0EEENS1_30default_config_static_selectorELNS0_4arch9wavefront6targetE0EEEvT1_.numbered_sgpr, 0
	.set _ZN7rocprim17ROCPRIM_400000_NS6detail17trampoline_kernelINS0_14default_configENS1_27scan_by_key_config_selectorIssEEZZNS1_16scan_by_key_implILNS1_25lookback_scan_determinismE0ELb0ES3_N6thrust23THRUST_200600_302600_NS6detail15normal_iteratorINS9_10device_ptrIsEEEENS9_18transform_iteratorINS9_6negateIsEESE_NS9_11use_defaultESI_EESE_sNS9_4plusIvEENS9_8equal_toIvEEsEE10hipError_tPvRmT2_T3_T4_T5_mT6_T7_P12ihipStream_tbENKUlT_T0_E_clISt17integral_constantIbLb0EES14_EEDaSZ_S10_EUlSZ_E_NS1_11comp_targetILNS1_3genE5ELNS1_11target_archE942ELNS1_3gpuE9ELNS1_3repE0EEENS1_30default_config_static_selectorELNS0_4arch9wavefront6targetE0EEEvT1_.num_named_barrier, 0
	.set _ZN7rocprim17ROCPRIM_400000_NS6detail17trampoline_kernelINS0_14default_configENS1_27scan_by_key_config_selectorIssEEZZNS1_16scan_by_key_implILNS1_25lookback_scan_determinismE0ELb0ES3_N6thrust23THRUST_200600_302600_NS6detail15normal_iteratorINS9_10device_ptrIsEEEENS9_18transform_iteratorINS9_6negateIsEESE_NS9_11use_defaultESI_EESE_sNS9_4plusIvEENS9_8equal_toIvEEsEE10hipError_tPvRmT2_T3_T4_T5_mT6_T7_P12ihipStream_tbENKUlT_T0_E_clISt17integral_constantIbLb0EES14_EEDaSZ_S10_EUlSZ_E_NS1_11comp_targetILNS1_3genE5ELNS1_11target_archE942ELNS1_3gpuE9ELNS1_3repE0EEENS1_30default_config_static_selectorELNS0_4arch9wavefront6targetE0EEEvT1_.private_seg_size, 0
	.set _ZN7rocprim17ROCPRIM_400000_NS6detail17trampoline_kernelINS0_14default_configENS1_27scan_by_key_config_selectorIssEEZZNS1_16scan_by_key_implILNS1_25lookback_scan_determinismE0ELb0ES3_N6thrust23THRUST_200600_302600_NS6detail15normal_iteratorINS9_10device_ptrIsEEEENS9_18transform_iteratorINS9_6negateIsEESE_NS9_11use_defaultESI_EESE_sNS9_4plusIvEENS9_8equal_toIvEEsEE10hipError_tPvRmT2_T3_T4_T5_mT6_T7_P12ihipStream_tbENKUlT_T0_E_clISt17integral_constantIbLb0EES14_EEDaSZ_S10_EUlSZ_E_NS1_11comp_targetILNS1_3genE5ELNS1_11target_archE942ELNS1_3gpuE9ELNS1_3repE0EEENS1_30default_config_static_selectorELNS0_4arch9wavefront6targetE0EEEvT1_.uses_vcc, 0
	.set _ZN7rocprim17ROCPRIM_400000_NS6detail17trampoline_kernelINS0_14default_configENS1_27scan_by_key_config_selectorIssEEZZNS1_16scan_by_key_implILNS1_25lookback_scan_determinismE0ELb0ES3_N6thrust23THRUST_200600_302600_NS6detail15normal_iteratorINS9_10device_ptrIsEEEENS9_18transform_iteratorINS9_6negateIsEESE_NS9_11use_defaultESI_EESE_sNS9_4plusIvEENS9_8equal_toIvEEsEE10hipError_tPvRmT2_T3_T4_T5_mT6_T7_P12ihipStream_tbENKUlT_T0_E_clISt17integral_constantIbLb0EES14_EEDaSZ_S10_EUlSZ_E_NS1_11comp_targetILNS1_3genE5ELNS1_11target_archE942ELNS1_3gpuE9ELNS1_3repE0EEENS1_30default_config_static_selectorELNS0_4arch9wavefront6targetE0EEEvT1_.uses_flat_scratch, 0
	.set _ZN7rocprim17ROCPRIM_400000_NS6detail17trampoline_kernelINS0_14default_configENS1_27scan_by_key_config_selectorIssEEZZNS1_16scan_by_key_implILNS1_25lookback_scan_determinismE0ELb0ES3_N6thrust23THRUST_200600_302600_NS6detail15normal_iteratorINS9_10device_ptrIsEEEENS9_18transform_iteratorINS9_6negateIsEESE_NS9_11use_defaultESI_EESE_sNS9_4plusIvEENS9_8equal_toIvEEsEE10hipError_tPvRmT2_T3_T4_T5_mT6_T7_P12ihipStream_tbENKUlT_T0_E_clISt17integral_constantIbLb0EES14_EEDaSZ_S10_EUlSZ_E_NS1_11comp_targetILNS1_3genE5ELNS1_11target_archE942ELNS1_3gpuE9ELNS1_3repE0EEENS1_30default_config_static_selectorELNS0_4arch9wavefront6targetE0EEEvT1_.has_dyn_sized_stack, 0
	.set _ZN7rocprim17ROCPRIM_400000_NS6detail17trampoline_kernelINS0_14default_configENS1_27scan_by_key_config_selectorIssEEZZNS1_16scan_by_key_implILNS1_25lookback_scan_determinismE0ELb0ES3_N6thrust23THRUST_200600_302600_NS6detail15normal_iteratorINS9_10device_ptrIsEEEENS9_18transform_iteratorINS9_6negateIsEESE_NS9_11use_defaultESI_EESE_sNS9_4plusIvEENS9_8equal_toIvEEsEE10hipError_tPvRmT2_T3_T4_T5_mT6_T7_P12ihipStream_tbENKUlT_T0_E_clISt17integral_constantIbLb0EES14_EEDaSZ_S10_EUlSZ_E_NS1_11comp_targetILNS1_3genE5ELNS1_11target_archE942ELNS1_3gpuE9ELNS1_3repE0EEENS1_30default_config_static_selectorELNS0_4arch9wavefront6targetE0EEEvT1_.has_recursion, 0
	.set _ZN7rocprim17ROCPRIM_400000_NS6detail17trampoline_kernelINS0_14default_configENS1_27scan_by_key_config_selectorIssEEZZNS1_16scan_by_key_implILNS1_25lookback_scan_determinismE0ELb0ES3_N6thrust23THRUST_200600_302600_NS6detail15normal_iteratorINS9_10device_ptrIsEEEENS9_18transform_iteratorINS9_6negateIsEESE_NS9_11use_defaultESI_EESE_sNS9_4plusIvEENS9_8equal_toIvEEsEE10hipError_tPvRmT2_T3_T4_T5_mT6_T7_P12ihipStream_tbENKUlT_T0_E_clISt17integral_constantIbLb0EES14_EEDaSZ_S10_EUlSZ_E_NS1_11comp_targetILNS1_3genE5ELNS1_11target_archE942ELNS1_3gpuE9ELNS1_3repE0EEENS1_30default_config_static_selectorELNS0_4arch9wavefront6targetE0EEEvT1_.has_indirect_call, 0
	.section	.AMDGPU.csdata,"",@progbits
; Kernel info:
; codeLenInByte = 0
; TotalNumSgprs: 0
; NumVgprs: 0
; ScratchSize: 0
; MemoryBound: 0
; FloatMode: 240
; IeeeMode: 1
; LDSByteSize: 0 bytes/workgroup (compile time only)
; SGPRBlocks: 0
; VGPRBlocks: 0
; NumSGPRsForWavesPerEU: 1
; NumVGPRsForWavesPerEU: 1
; NamedBarCnt: 0
; Occupancy: 16
; WaveLimiterHint : 0
; COMPUTE_PGM_RSRC2:SCRATCH_EN: 0
; COMPUTE_PGM_RSRC2:USER_SGPR: 2
; COMPUTE_PGM_RSRC2:TRAP_HANDLER: 0
; COMPUTE_PGM_RSRC2:TGID_X_EN: 1
; COMPUTE_PGM_RSRC2:TGID_Y_EN: 0
; COMPUTE_PGM_RSRC2:TGID_Z_EN: 0
; COMPUTE_PGM_RSRC2:TIDIG_COMP_CNT: 0
	.section	.text._ZN7rocprim17ROCPRIM_400000_NS6detail17trampoline_kernelINS0_14default_configENS1_27scan_by_key_config_selectorIssEEZZNS1_16scan_by_key_implILNS1_25lookback_scan_determinismE0ELb0ES3_N6thrust23THRUST_200600_302600_NS6detail15normal_iteratorINS9_10device_ptrIsEEEENS9_18transform_iteratorINS9_6negateIsEESE_NS9_11use_defaultESI_EESE_sNS9_4plusIvEENS9_8equal_toIvEEsEE10hipError_tPvRmT2_T3_T4_T5_mT6_T7_P12ihipStream_tbENKUlT_T0_E_clISt17integral_constantIbLb0EES14_EEDaSZ_S10_EUlSZ_E_NS1_11comp_targetILNS1_3genE4ELNS1_11target_archE910ELNS1_3gpuE8ELNS1_3repE0EEENS1_30default_config_static_selectorELNS0_4arch9wavefront6targetE0EEEvT1_,"axG",@progbits,_ZN7rocprim17ROCPRIM_400000_NS6detail17trampoline_kernelINS0_14default_configENS1_27scan_by_key_config_selectorIssEEZZNS1_16scan_by_key_implILNS1_25lookback_scan_determinismE0ELb0ES3_N6thrust23THRUST_200600_302600_NS6detail15normal_iteratorINS9_10device_ptrIsEEEENS9_18transform_iteratorINS9_6negateIsEESE_NS9_11use_defaultESI_EESE_sNS9_4plusIvEENS9_8equal_toIvEEsEE10hipError_tPvRmT2_T3_T4_T5_mT6_T7_P12ihipStream_tbENKUlT_T0_E_clISt17integral_constantIbLb0EES14_EEDaSZ_S10_EUlSZ_E_NS1_11comp_targetILNS1_3genE4ELNS1_11target_archE910ELNS1_3gpuE8ELNS1_3repE0EEENS1_30default_config_static_selectorELNS0_4arch9wavefront6targetE0EEEvT1_,comdat
	.protected	_ZN7rocprim17ROCPRIM_400000_NS6detail17trampoline_kernelINS0_14default_configENS1_27scan_by_key_config_selectorIssEEZZNS1_16scan_by_key_implILNS1_25lookback_scan_determinismE0ELb0ES3_N6thrust23THRUST_200600_302600_NS6detail15normal_iteratorINS9_10device_ptrIsEEEENS9_18transform_iteratorINS9_6negateIsEESE_NS9_11use_defaultESI_EESE_sNS9_4plusIvEENS9_8equal_toIvEEsEE10hipError_tPvRmT2_T3_T4_T5_mT6_T7_P12ihipStream_tbENKUlT_T0_E_clISt17integral_constantIbLb0EES14_EEDaSZ_S10_EUlSZ_E_NS1_11comp_targetILNS1_3genE4ELNS1_11target_archE910ELNS1_3gpuE8ELNS1_3repE0EEENS1_30default_config_static_selectorELNS0_4arch9wavefront6targetE0EEEvT1_ ; -- Begin function _ZN7rocprim17ROCPRIM_400000_NS6detail17trampoline_kernelINS0_14default_configENS1_27scan_by_key_config_selectorIssEEZZNS1_16scan_by_key_implILNS1_25lookback_scan_determinismE0ELb0ES3_N6thrust23THRUST_200600_302600_NS6detail15normal_iteratorINS9_10device_ptrIsEEEENS9_18transform_iteratorINS9_6negateIsEESE_NS9_11use_defaultESI_EESE_sNS9_4plusIvEENS9_8equal_toIvEEsEE10hipError_tPvRmT2_T3_T4_T5_mT6_T7_P12ihipStream_tbENKUlT_T0_E_clISt17integral_constantIbLb0EES14_EEDaSZ_S10_EUlSZ_E_NS1_11comp_targetILNS1_3genE4ELNS1_11target_archE910ELNS1_3gpuE8ELNS1_3repE0EEENS1_30default_config_static_selectorELNS0_4arch9wavefront6targetE0EEEvT1_
	.globl	_ZN7rocprim17ROCPRIM_400000_NS6detail17trampoline_kernelINS0_14default_configENS1_27scan_by_key_config_selectorIssEEZZNS1_16scan_by_key_implILNS1_25lookback_scan_determinismE0ELb0ES3_N6thrust23THRUST_200600_302600_NS6detail15normal_iteratorINS9_10device_ptrIsEEEENS9_18transform_iteratorINS9_6negateIsEESE_NS9_11use_defaultESI_EESE_sNS9_4plusIvEENS9_8equal_toIvEEsEE10hipError_tPvRmT2_T3_T4_T5_mT6_T7_P12ihipStream_tbENKUlT_T0_E_clISt17integral_constantIbLb0EES14_EEDaSZ_S10_EUlSZ_E_NS1_11comp_targetILNS1_3genE4ELNS1_11target_archE910ELNS1_3gpuE8ELNS1_3repE0EEENS1_30default_config_static_selectorELNS0_4arch9wavefront6targetE0EEEvT1_
	.p2align	8
	.type	_ZN7rocprim17ROCPRIM_400000_NS6detail17trampoline_kernelINS0_14default_configENS1_27scan_by_key_config_selectorIssEEZZNS1_16scan_by_key_implILNS1_25lookback_scan_determinismE0ELb0ES3_N6thrust23THRUST_200600_302600_NS6detail15normal_iteratorINS9_10device_ptrIsEEEENS9_18transform_iteratorINS9_6negateIsEESE_NS9_11use_defaultESI_EESE_sNS9_4plusIvEENS9_8equal_toIvEEsEE10hipError_tPvRmT2_T3_T4_T5_mT6_T7_P12ihipStream_tbENKUlT_T0_E_clISt17integral_constantIbLb0EES14_EEDaSZ_S10_EUlSZ_E_NS1_11comp_targetILNS1_3genE4ELNS1_11target_archE910ELNS1_3gpuE8ELNS1_3repE0EEENS1_30default_config_static_selectorELNS0_4arch9wavefront6targetE0EEEvT1_,@function
_ZN7rocprim17ROCPRIM_400000_NS6detail17trampoline_kernelINS0_14default_configENS1_27scan_by_key_config_selectorIssEEZZNS1_16scan_by_key_implILNS1_25lookback_scan_determinismE0ELb0ES3_N6thrust23THRUST_200600_302600_NS6detail15normal_iteratorINS9_10device_ptrIsEEEENS9_18transform_iteratorINS9_6negateIsEESE_NS9_11use_defaultESI_EESE_sNS9_4plusIvEENS9_8equal_toIvEEsEE10hipError_tPvRmT2_T3_T4_T5_mT6_T7_P12ihipStream_tbENKUlT_T0_E_clISt17integral_constantIbLb0EES14_EEDaSZ_S10_EUlSZ_E_NS1_11comp_targetILNS1_3genE4ELNS1_11target_archE910ELNS1_3gpuE8ELNS1_3repE0EEENS1_30default_config_static_selectorELNS0_4arch9wavefront6targetE0EEEvT1_: ; @_ZN7rocprim17ROCPRIM_400000_NS6detail17trampoline_kernelINS0_14default_configENS1_27scan_by_key_config_selectorIssEEZZNS1_16scan_by_key_implILNS1_25lookback_scan_determinismE0ELb0ES3_N6thrust23THRUST_200600_302600_NS6detail15normal_iteratorINS9_10device_ptrIsEEEENS9_18transform_iteratorINS9_6negateIsEESE_NS9_11use_defaultESI_EESE_sNS9_4plusIvEENS9_8equal_toIvEEsEE10hipError_tPvRmT2_T3_T4_T5_mT6_T7_P12ihipStream_tbENKUlT_T0_E_clISt17integral_constantIbLb0EES14_EEDaSZ_S10_EUlSZ_E_NS1_11comp_targetILNS1_3genE4ELNS1_11target_archE910ELNS1_3gpuE8ELNS1_3repE0EEENS1_30default_config_static_selectorELNS0_4arch9wavefront6targetE0EEEvT1_
; %bb.0:
	.section	.rodata,"a",@progbits
	.p2align	6, 0x0
	.amdhsa_kernel _ZN7rocprim17ROCPRIM_400000_NS6detail17trampoline_kernelINS0_14default_configENS1_27scan_by_key_config_selectorIssEEZZNS1_16scan_by_key_implILNS1_25lookback_scan_determinismE0ELb0ES3_N6thrust23THRUST_200600_302600_NS6detail15normal_iteratorINS9_10device_ptrIsEEEENS9_18transform_iteratorINS9_6negateIsEESE_NS9_11use_defaultESI_EESE_sNS9_4plusIvEENS9_8equal_toIvEEsEE10hipError_tPvRmT2_T3_T4_T5_mT6_T7_P12ihipStream_tbENKUlT_T0_E_clISt17integral_constantIbLb0EES14_EEDaSZ_S10_EUlSZ_E_NS1_11comp_targetILNS1_3genE4ELNS1_11target_archE910ELNS1_3gpuE8ELNS1_3repE0EEENS1_30default_config_static_selectorELNS0_4arch9wavefront6targetE0EEEvT1_
		.amdhsa_group_segment_fixed_size 0
		.amdhsa_private_segment_fixed_size 0
		.amdhsa_kernarg_size 120
		.amdhsa_user_sgpr_count 2
		.amdhsa_user_sgpr_dispatch_ptr 0
		.amdhsa_user_sgpr_queue_ptr 0
		.amdhsa_user_sgpr_kernarg_segment_ptr 1
		.amdhsa_user_sgpr_dispatch_id 0
		.amdhsa_user_sgpr_kernarg_preload_length 0
		.amdhsa_user_sgpr_kernarg_preload_offset 0
		.amdhsa_user_sgpr_private_segment_size 0
		.amdhsa_wavefront_size32 1
		.amdhsa_uses_dynamic_stack 0
		.amdhsa_enable_private_segment 0
		.amdhsa_system_sgpr_workgroup_id_x 1
		.amdhsa_system_sgpr_workgroup_id_y 0
		.amdhsa_system_sgpr_workgroup_id_z 0
		.amdhsa_system_sgpr_workgroup_info 0
		.amdhsa_system_vgpr_workitem_id 0
		.amdhsa_next_free_vgpr 1
		.amdhsa_next_free_sgpr 1
		.amdhsa_named_barrier_count 0
		.amdhsa_reserve_vcc 0
		.amdhsa_float_round_mode_32 0
		.amdhsa_float_round_mode_16_64 0
		.amdhsa_float_denorm_mode_32 3
		.amdhsa_float_denorm_mode_16_64 3
		.amdhsa_fp16_overflow 0
		.amdhsa_memory_ordered 1
		.amdhsa_forward_progress 1
		.amdhsa_inst_pref_size 0
		.amdhsa_round_robin_scheduling 0
		.amdhsa_exception_fp_ieee_invalid_op 0
		.amdhsa_exception_fp_denorm_src 0
		.amdhsa_exception_fp_ieee_div_zero 0
		.amdhsa_exception_fp_ieee_overflow 0
		.amdhsa_exception_fp_ieee_underflow 0
		.amdhsa_exception_fp_ieee_inexact 0
		.amdhsa_exception_int_div_zero 0
	.end_amdhsa_kernel
	.section	.text._ZN7rocprim17ROCPRIM_400000_NS6detail17trampoline_kernelINS0_14default_configENS1_27scan_by_key_config_selectorIssEEZZNS1_16scan_by_key_implILNS1_25lookback_scan_determinismE0ELb0ES3_N6thrust23THRUST_200600_302600_NS6detail15normal_iteratorINS9_10device_ptrIsEEEENS9_18transform_iteratorINS9_6negateIsEESE_NS9_11use_defaultESI_EESE_sNS9_4plusIvEENS9_8equal_toIvEEsEE10hipError_tPvRmT2_T3_T4_T5_mT6_T7_P12ihipStream_tbENKUlT_T0_E_clISt17integral_constantIbLb0EES14_EEDaSZ_S10_EUlSZ_E_NS1_11comp_targetILNS1_3genE4ELNS1_11target_archE910ELNS1_3gpuE8ELNS1_3repE0EEENS1_30default_config_static_selectorELNS0_4arch9wavefront6targetE0EEEvT1_,"axG",@progbits,_ZN7rocprim17ROCPRIM_400000_NS6detail17trampoline_kernelINS0_14default_configENS1_27scan_by_key_config_selectorIssEEZZNS1_16scan_by_key_implILNS1_25lookback_scan_determinismE0ELb0ES3_N6thrust23THRUST_200600_302600_NS6detail15normal_iteratorINS9_10device_ptrIsEEEENS9_18transform_iteratorINS9_6negateIsEESE_NS9_11use_defaultESI_EESE_sNS9_4plusIvEENS9_8equal_toIvEEsEE10hipError_tPvRmT2_T3_T4_T5_mT6_T7_P12ihipStream_tbENKUlT_T0_E_clISt17integral_constantIbLb0EES14_EEDaSZ_S10_EUlSZ_E_NS1_11comp_targetILNS1_3genE4ELNS1_11target_archE910ELNS1_3gpuE8ELNS1_3repE0EEENS1_30default_config_static_selectorELNS0_4arch9wavefront6targetE0EEEvT1_,comdat
.Lfunc_end968:
	.size	_ZN7rocprim17ROCPRIM_400000_NS6detail17trampoline_kernelINS0_14default_configENS1_27scan_by_key_config_selectorIssEEZZNS1_16scan_by_key_implILNS1_25lookback_scan_determinismE0ELb0ES3_N6thrust23THRUST_200600_302600_NS6detail15normal_iteratorINS9_10device_ptrIsEEEENS9_18transform_iteratorINS9_6negateIsEESE_NS9_11use_defaultESI_EESE_sNS9_4plusIvEENS9_8equal_toIvEEsEE10hipError_tPvRmT2_T3_T4_T5_mT6_T7_P12ihipStream_tbENKUlT_T0_E_clISt17integral_constantIbLb0EES14_EEDaSZ_S10_EUlSZ_E_NS1_11comp_targetILNS1_3genE4ELNS1_11target_archE910ELNS1_3gpuE8ELNS1_3repE0EEENS1_30default_config_static_selectorELNS0_4arch9wavefront6targetE0EEEvT1_, .Lfunc_end968-_ZN7rocprim17ROCPRIM_400000_NS6detail17trampoline_kernelINS0_14default_configENS1_27scan_by_key_config_selectorIssEEZZNS1_16scan_by_key_implILNS1_25lookback_scan_determinismE0ELb0ES3_N6thrust23THRUST_200600_302600_NS6detail15normal_iteratorINS9_10device_ptrIsEEEENS9_18transform_iteratorINS9_6negateIsEESE_NS9_11use_defaultESI_EESE_sNS9_4plusIvEENS9_8equal_toIvEEsEE10hipError_tPvRmT2_T3_T4_T5_mT6_T7_P12ihipStream_tbENKUlT_T0_E_clISt17integral_constantIbLb0EES14_EEDaSZ_S10_EUlSZ_E_NS1_11comp_targetILNS1_3genE4ELNS1_11target_archE910ELNS1_3gpuE8ELNS1_3repE0EEENS1_30default_config_static_selectorELNS0_4arch9wavefront6targetE0EEEvT1_
                                        ; -- End function
	.set _ZN7rocprim17ROCPRIM_400000_NS6detail17trampoline_kernelINS0_14default_configENS1_27scan_by_key_config_selectorIssEEZZNS1_16scan_by_key_implILNS1_25lookback_scan_determinismE0ELb0ES3_N6thrust23THRUST_200600_302600_NS6detail15normal_iteratorINS9_10device_ptrIsEEEENS9_18transform_iteratorINS9_6negateIsEESE_NS9_11use_defaultESI_EESE_sNS9_4plusIvEENS9_8equal_toIvEEsEE10hipError_tPvRmT2_T3_T4_T5_mT6_T7_P12ihipStream_tbENKUlT_T0_E_clISt17integral_constantIbLb0EES14_EEDaSZ_S10_EUlSZ_E_NS1_11comp_targetILNS1_3genE4ELNS1_11target_archE910ELNS1_3gpuE8ELNS1_3repE0EEENS1_30default_config_static_selectorELNS0_4arch9wavefront6targetE0EEEvT1_.num_vgpr, 0
	.set _ZN7rocprim17ROCPRIM_400000_NS6detail17trampoline_kernelINS0_14default_configENS1_27scan_by_key_config_selectorIssEEZZNS1_16scan_by_key_implILNS1_25lookback_scan_determinismE0ELb0ES3_N6thrust23THRUST_200600_302600_NS6detail15normal_iteratorINS9_10device_ptrIsEEEENS9_18transform_iteratorINS9_6negateIsEESE_NS9_11use_defaultESI_EESE_sNS9_4plusIvEENS9_8equal_toIvEEsEE10hipError_tPvRmT2_T3_T4_T5_mT6_T7_P12ihipStream_tbENKUlT_T0_E_clISt17integral_constantIbLb0EES14_EEDaSZ_S10_EUlSZ_E_NS1_11comp_targetILNS1_3genE4ELNS1_11target_archE910ELNS1_3gpuE8ELNS1_3repE0EEENS1_30default_config_static_selectorELNS0_4arch9wavefront6targetE0EEEvT1_.num_agpr, 0
	.set _ZN7rocprim17ROCPRIM_400000_NS6detail17trampoline_kernelINS0_14default_configENS1_27scan_by_key_config_selectorIssEEZZNS1_16scan_by_key_implILNS1_25lookback_scan_determinismE0ELb0ES3_N6thrust23THRUST_200600_302600_NS6detail15normal_iteratorINS9_10device_ptrIsEEEENS9_18transform_iteratorINS9_6negateIsEESE_NS9_11use_defaultESI_EESE_sNS9_4plusIvEENS9_8equal_toIvEEsEE10hipError_tPvRmT2_T3_T4_T5_mT6_T7_P12ihipStream_tbENKUlT_T0_E_clISt17integral_constantIbLb0EES14_EEDaSZ_S10_EUlSZ_E_NS1_11comp_targetILNS1_3genE4ELNS1_11target_archE910ELNS1_3gpuE8ELNS1_3repE0EEENS1_30default_config_static_selectorELNS0_4arch9wavefront6targetE0EEEvT1_.numbered_sgpr, 0
	.set _ZN7rocprim17ROCPRIM_400000_NS6detail17trampoline_kernelINS0_14default_configENS1_27scan_by_key_config_selectorIssEEZZNS1_16scan_by_key_implILNS1_25lookback_scan_determinismE0ELb0ES3_N6thrust23THRUST_200600_302600_NS6detail15normal_iteratorINS9_10device_ptrIsEEEENS9_18transform_iteratorINS9_6negateIsEESE_NS9_11use_defaultESI_EESE_sNS9_4plusIvEENS9_8equal_toIvEEsEE10hipError_tPvRmT2_T3_T4_T5_mT6_T7_P12ihipStream_tbENKUlT_T0_E_clISt17integral_constantIbLb0EES14_EEDaSZ_S10_EUlSZ_E_NS1_11comp_targetILNS1_3genE4ELNS1_11target_archE910ELNS1_3gpuE8ELNS1_3repE0EEENS1_30default_config_static_selectorELNS0_4arch9wavefront6targetE0EEEvT1_.num_named_barrier, 0
	.set _ZN7rocprim17ROCPRIM_400000_NS6detail17trampoline_kernelINS0_14default_configENS1_27scan_by_key_config_selectorIssEEZZNS1_16scan_by_key_implILNS1_25lookback_scan_determinismE0ELb0ES3_N6thrust23THRUST_200600_302600_NS6detail15normal_iteratorINS9_10device_ptrIsEEEENS9_18transform_iteratorINS9_6negateIsEESE_NS9_11use_defaultESI_EESE_sNS9_4plusIvEENS9_8equal_toIvEEsEE10hipError_tPvRmT2_T3_T4_T5_mT6_T7_P12ihipStream_tbENKUlT_T0_E_clISt17integral_constantIbLb0EES14_EEDaSZ_S10_EUlSZ_E_NS1_11comp_targetILNS1_3genE4ELNS1_11target_archE910ELNS1_3gpuE8ELNS1_3repE0EEENS1_30default_config_static_selectorELNS0_4arch9wavefront6targetE0EEEvT1_.private_seg_size, 0
	.set _ZN7rocprim17ROCPRIM_400000_NS6detail17trampoline_kernelINS0_14default_configENS1_27scan_by_key_config_selectorIssEEZZNS1_16scan_by_key_implILNS1_25lookback_scan_determinismE0ELb0ES3_N6thrust23THRUST_200600_302600_NS6detail15normal_iteratorINS9_10device_ptrIsEEEENS9_18transform_iteratorINS9_6negateIsEESE_NS9_11use_defaultESI_EESE_sNS9_4plusIvEENS9_8equal_toIvEEsEE10hipError_tPvRmT2_T3_T4_T5_mT6_T7_P12ihipStream_tbENKUlT_T0_E_clISt17integral_constantIbLb0EES14_EEDaSZ_S10_EUlSZ_E_NS1_11comp_targetILNS1_3genE4ELNS1_11target_archE910ELNS1_3gpuE8ELNS1_3repE0EEENS1_30default_config_static_selectorELNS0_4arch9wavefront6targetE0EEEvT1_.uses_vcc, 0
	.set _ZN7rocprim17ROCPRIM_400000_NS6detail17trampoline_kernelINS0_14default_configENS1_27scan_by_key_config_selectorIssEEZZNS1_16scan_by_key_implILNS1_25lookback_scan_determinismE0ELb0ES3_N6thrust23THRUST_200600_302600_NS6detail15normal_iteratorINS9_10device_ptrIsEEEENS9_18transform_iteratorINS9_6negateIsEESE_NS9_11use_defaultESI_EESE_sNS9_4plusIvEENS9_8equal_toIvEEsEE10hipError_tPvRmT2_T3_T4_T5_mT6_T7_P12ihipStream_tbENKUlT_T0_E_clISt17integral_constantIbLb0EES14_EEDaSZ_S10_EUlSZ_E_NS1_11comp_targetILNS1_3genE4ELNS1_11target_archE910ELNS1_3gpuE8ELNS1_3repE0EEENS1_30default_config_static_selectorELNS0_4arch9wavefront6targetE0EEEvT1_.uses_flat_scratch, 0
	.set _ZN7rocprim17ROCPRIM_400000_NS6detail17trampoline_kernelINS0_14default_configENS1_27scan_by_key_config_selectorIssEEZZNS1_16scan_by_key_implILNS1_25lookback_scan_determinismE0ELb0ES3_N6thrust23THRUST_200600_302600_NS6detail15normal_iteratorINS9_10device_ptrIsEEEENS9_18transform_iteratorINS9_6negateIsEESE_NS9_11use_defaultESI_EESE_sNS9_4plusIvEENS9_8equal_toIvEEsEE10hipError_tPvRmT2_T3_T4_T5_mT6_T7_P12ihipStream_tbENKUlT_T0_E_clISt17integral_constantIbLb0EES14_EEDaSZ_S10_EUlSZ_E_NS1_11comp_targetILNS1_3genE4ELNS1_11target_archE910ELNS1_3gpuE8ELNS1_3repE0EEENS1_30default_config_static_selectorELNS0_4arch9wavefront6targetE0EEEvT1_.has_dyn_sized_stack, 0
	.set _ZN7rocprim17ROCPRIM_400000_NS6detail17trampoline_kernelINS0_14default_configENS1_27scan_by_key_config_selectorIssEEZZNS1_16scan_by_key_implILNS1_25lookback_scan_determinismE0ELb0ES3_N6thrust23THRUST_200600_302600_NS6detail15normal_iteratorINS9_10device_ptrIsEEEENS9_18transform_iteratorINS9_6negateIsEESE_NS9_11use_defaultESI_EESE_sNS9_4plusIvEENS9_8equal_toIvEEsEE10hipError_tPvRmT2_T3_T4_T5_mT6_T7_P12ihipStream_tbENKUlT_T0_E_clISt17integral_constantIbLb0EES14_EEDaSZ_S10_EUlSZ_E_NS1_11comp_targetILNS1_3genE4ELNS1_11target_archE910ELNS1_3gpuE8ELNS1_3repE0EEENS1_30default_config_static_selectorELNS0_4arch9wavefront6targetE0EEEvT1_.has_recursion, 0
	.set _ZN7rocprim17ROCPRIM_400000_NS6detail17trampoline_kernelINS0_14default_configENS1_27scan_by_key_config_selectorIssEEZZNS1_16scan_by_key_implILNS1_25lookback_scan_determinismE0ELb0ES3_N6thrust23THRUST_200600_302600_NS6detail15normal_iteratorINS9_10device_ptrIsEEEENS9_18transform_iteratorINS9_6negateIsEESE_NS9_11use_defaultESI_EESE_sNS9_4plusIvEENS9_8equal_toIvEEsEE10hipError_tPvRmT2_T3_T4_T5_mT6_T7_P12ihipStream_tbENKUlT_T0_E_clISt17integral_constantIbLb0EES14_EEDaSZ_S10_EUlSZ_E_NS1_11comp_targetILNS1_3genE4ELNS1_11target_archE910ELNS1_3gpuE8ELNS1_3repE0EEENS1_30default_config_static_selectorELNS0_4arch9wavefront6targetE0EEEvT1_.has_indirect_call, 0
	.section	.AMDGPU.csdata,"",@progbits
; Kernel info:
; codeLenInByte = 0
; TotalNumSgprs: 0
; NumVgprs: 0
; ScratchSize: 0
; MemoryBound: 0
; FloatMode: 240
; IeeeMode: 1
; LDSByteSize: 0 bytes/workgroup (compile time only)
; SGPRBlocks: 0
; VGPRBlocks: 0
; NumSGPRsForWavesPerEU: 1
; NumVGPRsForWavesPerEU: 1
; NamedBarCnt: 0
; Occupancy: 16
; WaveLimiterHint : 0
; COMPUTE_PGM_RSRC2:SCRATCH_EN: 0
; COMPUTE_PGM_RSRC2:USER_SGPR: 2
; COMPUTE_PGM_RSRC2:TRAP_HANDLER: 0
; COMPUTE_PGM_RSRC2:TGID_X_EN: 1
; COMPUTE_PGM_RSRC2:TGID_Y_EN: 0
; COMPUTE_PGM_RSRC2:TGID_Z_EN: 0
; COMPUTE_PGM_RSRC2:TIDIG_COMP_CNT: 0
	.section	.text._ZN7rocprim17ROCPRIM_400000_NS6detail17trampoline_kernelINS0_14default_configENS1_27scan_by_key_config_selectorIssEEZZNS1_16scan_by_key_implILNS1_25lookback_scan_determinismE0ELb0ES3_N6thrust23THRUST_200600_302600_NS6detail15normal_iteratorINS9_10device_ptrIsEEEENS9_18transform_iteratorINS9_6negateIsEESE_NS9_11use_defaultESI_EESE_sNS9_4plusIvEENS9_8equal_toIvEEsEE10hipError_tPvRmT2_T3_T4_T5_mT6_T7_P12ihipStream_tbENKUlT_T0_E_clISt17integral_constantIbLb0EES14_EEDaSZ_S10_EUlSZ_E_NS1_11comp_targetILNS1_3genE3ELNS1_11target_archE908ELNS1_3gpuE7ELNS1_3repE0EEENS1_30default_config_static_selectorELNS0_4arch9wavefront6targetE0EEEvT1_,"axG",@progbits,_ZN7rocprim17ROCPRIM_400000_NS6detail17trampoline_kernelINS0_14default_configENS1_27scan_by_key_config_selectorIssEEZZNS1_16scan_by_key_implILNS1_25lookback_scan_determinismE0ELb0ES3_N6thrust23THRUST_200600_302600_NS6detail15normal_iteratorINS9_10device_ptrIsEEEENS9_18transform_iteratorINS9_6negateIsEESE_NS9_11use_defaultESI_EESE_sNS9_4plusIvEENS9_8equal_toIvEEsEE10hipError_tPvRmT2_T3_T4_T5_mT6_T7_P12ihipStream_tbENKUlT_T0_E_clISt17integral_constantIbLb0EES14_EEDaSZ_S10_EUlSZ_E_NS1_11comp_targetILNS1_3genE3ELNS1_11target_archE908ELNS1_3gpuE7ELNS1_3repE0EEENS1_30default_config_static_selectorELNS0_4arch9wavefront6targetE0EEEvT1_,comdat
	.protected	_ZN7rocprim17ROCPRIM_400000_NS6detail17trampoline_kernelINS0_14default_configENS1_27scan_by_key_config_selectorIssEEZZNS1_16scan_by_key_implILNS1_25lookback_scan_determinismE0ELb0ES3_N6thrust23THRUST_200600_302600_NS6detail15normal_iteratorINS9_10device_ptrIsEEEENS9_18transform_iteratorINS9_6negateIsEESE_NS9_11use_defaultESI_EESE_sNS9_4plusIvEENS9_8equal_toIvEEsEE10hipError_tPvRmT2_T3_T4_T5_mT6_T7_P12ihipStream_tbENKUlT_T0_E_clISt17integral_constantIbLb0EES14_EEDaSZ_S10_EUlSZ_E_NS1_11comp_targetILNS1_3genE3ELNS1_11target_archE908ELNS1_3gpuE7ELNS1_3repE0EEENS1_30default_config_static_selectorELNS0_4arch9wavefront6targetE0EEEvT1_ ; -- Begin function _ZN7rocprim17ROCPRIM_400000_NS6detail17trampoline_kernelINS0_14default_configENS1_27scan_by_key_config_selectorIssEEZZNS1_16scan_by_key_implILNS1_25lookback_scan_determinismE0ELb0ES3_N6thrust23THRUST_200600_302600_NS6detail15normal_iteratorINS9_10device_ptrIsEEEENS9_18transform_iteratorINS9_6negateIsEESE_NS9_11use_defaultESI_EESE_sNS9_4plusIvEENS9_8equal_toIvEEsEE10hipError_tPvRmT2_T3_T4_T5_mT6_T7_P12ihipStream_tbENKUlT_T0_E_clISt17integral_constantIbLb0EES14_EEDaSZ_S10_EUlSZ_E_NS1_11comp_targetILNS1_3genE3ELNS1_11target_archE908ELNS1_3gpuE7ELNS1_3repE0EEENS1_30default_config_static_selectorELNS0_4arch9wavefront6targetE0EEEvT1_
	.globl	_ZN7rocprim17ROCPRIM_400000_NS6detail17trampoline_kernelINS0_14default_configENS1_27scan_by_key_config_selectorIssEEZZNS1_16scan_by_key_implILNS1_25lookback_scan_determinismE0ELb0ES3_N6thrust23THRUST_200600_302600_NS6detail15normal_iteratorINS9_10device_ptrIsEEEENS9_18transform_iteratorINS9_6negateIsEESE_NS9_11use_defaultESI_EESE_sNS9_4plusIvEENS9_8equal_toIvEEsEE10hipError_tPvRmT2_T3_T4_T5_mT6_T7_P12ihipStream_tbENKUlT_T0_E_clISt17integral_constantIbLb0EES14_EEDaSZ_S10_EUlSZ_E_NS1_11comp_targetILNS1_3genE3ELNS1_11target_archE908ELNS1_3gpuE7ELNS1_3repE0EEENS1_30default_config_static_selectorELNS0_4arch9wavefront6targetE0EEEvT1_
	.p2align	8
	.type	_ZN7rocprim17ROCPRIM_400000_NS6detail17trampoline_kernelINS0_14default_configENS1_27scan_by_key_config_selectorIssEEZZNS1_16scan_by_key_implILNS1_25lookback_scan_determinismE0ELb0ES3_N6thrust23THRUST_200600_302600_NS6detail15normal_iteratorINS9_10device_ptrIsEEEENS9_18transform_iteratorINS9_6negateIsEESE_NS9_11use_defaultESI_EESE_sNS9_4plusIvEENS9_8equal_toIvEEsEE10hipError_tPvRmT2_T3_T4_T5_mT6_T7_P12ihipStream_tbENKUlT_T0_E_clISt17integral_constantIbLb0EES14_EEDaSZ_S10_EUlSZ_E_NS1_11comp_targetILNS1_3genE3ELNS1_11target_archE908ELNS1_3gpuE7ELNS1_3repE0EEENS1_30default_config_static_selectorELNS0_4arch9wavefront6targetE0EEEvT1_,@function
_ZN7rocprim17ROCPRIM_400000_NS6detail17trampoline_kernelINS0_14default_configENS1_27scan_by_key_config_selectorIssEEZZNS1_16scan_by_key_implILNS1_25lookback_scan_determinismE0ELb0ES3_N6thrust23THRUST_200600_302600_NS6detail15normal_iteratorINS9_10device_ptrIsEEEENS9_18transform_iteratorINS9_6negateIsEESE_NS9_11use_defaultESI_EESE_sNS9_4plusIvEENS9_8equal_toIvEEsEE10hipError_tPvRmT2_T3_T4_T5_mT6_T7_P12ihipStream_tbENKUlT_T0_E_clISt17integral_constantIbLb0EES14_EEDaSZ_S10_EUlSZ_E_NS1_11comp_targetILNS1_3genE3ELNS1_11target_archE908ELNS1_3gpuE7ELNS1_3repE0EEENS1_30default_config_static_selectorELNS0_4arch9wavefront6targetE0EEEvT1_: ; @_ZN7rocprim17ROCPRIM_400000_NS6detail17trampoline_kernelINS0_14default_configENS1_27scan_by_key_config_selectorIssEEZZNS1_16scan_by_key_implILNS1_25lookback_scan_determinismE0ELb0ES3_N6thrust23THRUST_200600_302600_NS6detail15normal_iteratorINS9_10device_ptrIsEEEENS9_18transform_iteratorINS9_6negateIsEESE_NS9_11use_defaultESI_EESE_sNS9_4plusIvEENS9_8equal_toIvEEsEE10hipError_tPvRmT2_T3_T4_T5_mT6_T7_P12ihipStream_tbENKUlT_T0_E_clISt17integral_constantIbLb0EES14_EEDaSZ_S10_EUlSZ_E_NS1_11comp_targetILNS1_3genE3ELNS1_11target_archE908ELNS1_3gpuE7ELNS1_3repE0EEENS1_30default_config_static_selectorELNS0_4arch9wavefront6targetE0EEEvT1_
; %bb.0:
	.section	.rodata,"a",@progbits
	.p2align	6, 0x0
	.amdhsa_kernel _ZN7rocprim17ROCPRIM_400000_NS6detail17trampoline_kernelINS0_14default_configENS1_27scan_by_key_config_selectorIssEEZZNS1_16scan_by_key_implILNS1_25lookback_scan_determinismE0ELb0ES3_N6thrust23THRUST_200600_302600_NS6detail15normal_iteratorINS9_10device_ptrIsEEEENS9_18transform_iteratorINS9_6negateIsEESE_NS9_11use_defaultESI_EESE_sNS9_4plusIvEENS9_8equal_toIvEEsEE10hipError_tPvRmT2_T3_T4_T5_mT6_T7_P12ihipStream_tbENKUlT_T0_E_clISt17integral_constantIbLb0EES14_EEDaSZ_S10_EUlSZ_E_NS1_11comp_targetILNS1_3genE3ELNS1_11target_archE908ELNS1_3gpuE7ELNS1_3repE0EEENS1_30default_config_static_selectorELNS0_4arch9wavefront6targetE0EEEvT1_
		.amdhsa_group_segment_fixed_size 0
		.amdhsa_private_segment_fixed_size 0
		.amdhsa_kernarg_size 120
		.amdhsa_user_sgpr_count 2
		.amdhsa_user_sgpr_dispatch_ptr 0
		.amdhsa_user_sgpr_queue_ptr 0
		.amdhsa_user_sgpr_kernarg_segment_ptr 1
		.amdhsa_user_sgpr_dispatch_id 0
		.amdhsa_user_sgpr_kernarg_preload_length 0
		.amdhsa_user_sgpr_kernarg_preload_offset 0
		.amdhsa_user_sgpr_private_segment_size 0
		.amdhsa_wavefront_size32 1
		.amdhsa_uses_dynamic_stack 0
		.amdhsa_enable_private_segment 0
		.amdhsa_system_sgpr_workgroup_id_x 1
		.amdhsa_system_sgpr_workgroup_id_y 0
		.amdhsa_system_sgpr_workgroup_id_z 0
		.amdhsa_system_sgpr_workgroup_info 0
		.amdhsa_system_vgpr_workitem_id 0
		.amdhsa_next_free_vgpr 1
		.amdhsa_next_free_sgpr 1
		.amdhsa_named_barrier_count 0
		.amdhsa_reserve_vcc 0
		.amdhsa_float_round_mode_32 0
		.amdhsa_float_round_mode_16_64 0
		.amdhsa_float_denorm_mode_32 3
		.amdhsa_float_denorm_mode_16_64 3
		.amdhsa_fp16_overflow 0
		.amdhsa_memory_ordered 1
		.amdhsa_forward_progress 1
		.amdhsa_inst_pref_size 0
		.amdhsa_round_robin_scheduling 0
		.amdhsa_exception_fp_ieee_invalid_op 0
		.amdhsa_exception_fp_denorm_src 0
		.amdhsa_exception_fp_ieee_div_zero 0
		.amdhsa_exception_fp_ieee_overflow 0
		.amdhsa_exception_fp_ieee_underflow 0
		.amdhsa_exception_fp_ieee_inexact 0
		.amdhsa_exception_int_div_zero 0
	.end_amdhsa_kernel
	.section	.text._ZN7rocprim17ROCPRIM_400000_NS6detail17trampoline_kernelINS0_14default_configENS1_27scan_by_key_config_selectorIssEEZZNS1_16scan_by_key_implILNS1_25lookback_scan_determinismE0ELb0ES3_N6thrust23THRUST_200600_302600_NS6detail15normal_iteratorINS9_10device_ptrIsEEEENS9_18transform_iteratorINS9_6negateIsEESE_NS9_11use_defaultESI_EESE_sNS9_4plusIvEENS9_8equal_toIvEEsEE10hipError_tPvRmT2_T3_T4_T5_mT6_T7_P12ihipStream_tbENKUlT_T0_E_clISt17integral_constantIbLb0EES14_EEDaSZ_S10_EUlSZ_E_NS1_11comp_targetILNS1_3genE3ELNS1_11target_archE908ELNS1_3gpuE7ELNS1_3repE0EEENS1_30default_config_static_selectorELNS0_4arch9wavefront6targetE0EEEvT1_,"axG",@progbits,_ZN7rocprim17ROCPRIM_400000_NS6detail17trampoline_kernelINS0_14default_configENS1_27scan_by_key_config_selectorIssEEZZNS1_16scan_by_key_implILNS1_25lookback_scan_determinismE0ELb0ES3_N6thrust23THRUST_200600_302600_NS6detail15normal_iteratorINS9_10device_ptrIsEEEENS9_18transform_iteratorINS9_6negateIsEESE_NS9_11use_defaultESI_EESE_sNS9_4plusIvEENS9_8equal_toIvEEsEE10hipError_tPvRmT2_T3_T4_T5_mT6_T7_P12ihipStream_tbENKUlT_T0_E_clISt17integral_constantIbLb0EES14_EEDaSZ_S10_EUlSZ_E_NS1_11comp_targetILNS1_3genE3ELNS1_11target_archE908ELNS1_3gpuE7ELNS1_3repE0EEENS1_30default_config_static_selectorELNS0_4arch9wavefront6targetE0EEEvT1_,comdat
.Lfunc_end969:
	.size	_ZN7rocprim17ROCPRIM_400000_NS6detail17trampoline_kernelINS0_14default_configENS1_27scan_by_key_config_selectorIssEEZZNS1_16scan_by_key_implILNS1_25lookback_scan_determinismE0ELb0ES3_N6thrust23THRUST_200600_302600_NS6detail15normal_iteratorINS9_10device_ptrIsEEEENS9_18transform_iteratorINS9_6negateIsEESE_NS9_11use_defaultESI_EESE_sNS9_4plusIvEENS9_8equal_toIvEEsEE10hipError_tPvRmT2_T3_T4_T5_mT6_T7_P12ihipStream_tbENKUlT_T0_E_clISt17integral_constantIbLb0EES14_EEDaSZ_S10_EUlSZ_E_NS1_11comp_targetILNS1_3genE3ELNS1_11target_archE908ELNS1_3gpuE7ELNS1_3repE0EEENS1_30default_config_static_selectorELNS0_4arch9wavefront6targetE0EEEvT1_, .Lfunc_end969-_ZN7rocprim17ROCPRIM_400000_NS6detail17trampoline_kernelINS0_14default_configENS1_27scan_by_key_config_selectorIssEEZZNS1_16scan_by_key_implILNS1_25lookback_scan_determinismE0ELb0ES3_N6thrust23THRUST_200600_302600_NS6detail15normal_iteratorINS9_10device_ptrIsEEEENS9_18transform_iteratorINS9_6negateIsEESE_NS9_11use_defaultESI_EESE_sNS9_4plusIvEENS9_8equal_toIvEEsEE10hipError_tPvRmT2_T3_T4_T5_mT6_T7_P12ihipStream_tbENKUlT_T0_E_clISt17integral_constantIbLb0EES14_EEDaSZ_S10_EUlSZ_E_NS1_11comp_targetILNS1_3genE3ELNS1_11target_archE908ELNS1_3gpuE7ELNS1_3repE0EEENS1_30default_config_static_selectorELNS0_4arch9wavefront6targetE0EEEvT1_
                                        ; -- End function
	.set _ZN7rocprim17ROCPRIM_400000_NS6detail17trampoline_kernelINS0_14default_configENS1_27scan_by_key_config_selectorIssEEZZNS1_16scan_by_key_implILNS1_25lookback_scan_determinismE0ELb0ES3_N6thrust23THRUST_200600_302600_NS6detail15normal_iteratorINS9_10device_ptrIsEEEENS9_18transform_iteratorINS9_6negateIsEESE_NS9_11use_defaultESI_EESE_sNS9_4plusIvEENS9_8equal_toIvEEsEE10hipError_tPvRmT2_T3_T4_T5_mT6_T7_P12ihipStream_tbENKUlT_T0_E_clISt17integral_constantIbLb0EES14_EEDaSZ_S10_EUlSZ_E_NS1_11comp_targetILNS1_3genE3ELNS1_11target_archE908ELNS1_3gpuE7ELNS1_3repE0EEENS1_30default_config_static_selectorELNS0_4arch9wavefront6targetE0EEEvT1_.num_vgpr, 0
	.set _ZN7rocprim17ROCPRIM_400000_NS6detail17trampoline_kernelINS0_14default_configENS1_27scan_by_key_config_selectorIssEEZZNS1_16scan_by_key_implILNS1_25lookback_scan_determinismE0ELb0ES3_N6thrust23THRUST_200600_302600_NS6detail15normal_iteratorINS9_10device_ptrIsEEEENS9_18transform_iteratorINS9_6negateIsEESE_NS9_11use_defaultESI_EESE_sNS9_4plusIvEENS9_8equal_toIvEEsEE10hipError_tPvRmT2_T3_T4_T5_mT6_T7_P12ihipStream_tbENKUlT_T0_E_clISt17integral_constantIbLb0EES14_EEDaSZ_S10_EUlSZ_E_NS1_11comp_targetILNS1_3genE3ELNS1_11target_archE908ELNS1_3gpuE7ELNS1_3repE0EEENS1_30default_config_static_selectorELNS0_4arch9wavefront6targetE0EEEvT1_.num_agpr, 0
	.set _ZN7rocprim17ROCPRIM_400000_NS6detail17trampoline_kernelINS0_14default_configENS1_27scan_by_key_config_selectorIssEEZZNS1_16scan_by_key_implILNS1_25lookback_scan_determinismE0ELb0ES3_N6thrust23THRUST_200600_302600_NS6detail15normal_iteratorINS9_10device_ptrIsEEEENS9_18transform_iteratorINS9_6negateIsEESE_NS9_11use_defaultESI_EESE_sNS9_4plusIvEENS9_8equal_toIvEEsEE10hipError_tPvRmT2_T3_T4_T5_mT6_T7_P12ihipStream_tbENKUlT_T0_E_clISt17integral_constantIbLb0EES14_EEDaSZ_S10_EUlSZ_E_NS1_11comp_targetILNS1_3genE3ELNS1_11target_archE908ELNS1_3gpuE7ELNS1_3repE0EEENS1_30default_config_static_selectorELNS0_4arch9wavefront6targetE0EEEvT1_.numbered_sgpr, 0
	.set _ZN7rocprim17ROCPRIM_400000_NS6detail17trampoline_kernelINS0_14default_configENS1_27scan_by_key_config_selectorIssEEZZNS1_16scan_by_key_implILNS1_25lookback_scan_determinismE0ELb0ES3_N6thrust23THRUST_200600_302600_NS6detail15normal_iteratorINS9_10device_ptrIsEEEENS9_18transform_iteratorINS9_6negateIsEESE_NS9_11use_defaultESI_EESE_sNS9_4plusIvEENS9_8equal_toIvEEsEE10hipError_tPvRmT2_T3_T4_T5_mT6_T7_P12ihipStream_tbENKUlT_T0_E_clISt17integral_constantIbLb0EES14_EEDaSZ_S10_EUlSZ_E_NS1_11comp_targetILNS1_3genE3ELNS1_11target_archE908ELNS1_3gpuE7ELNS1_3repE0EEENS1_30default_config_static_selectorELNS0_4arch9wavefront6targetE0EEEvT1_.num_named_barrier, 0
	.set _ZN7rocprim17ROCPRIM_400000_NS6detail17trampoline_kernelINS0_14default_configENS1_27scan_by_key_config_selectorIssEEZZNS1_16scan_by_key_implILNS1_25lookback_scan_determinismE0ELb0ES3_N6thrust23THRUST_200600_302600_NS6detail15normal_iteratorINS9_10device_ptrIsEEEENS9_18transform_iteratorINS9_6negateIsEESE_NS9_11use_defaultESI_EESE_sNS9_4plusIvEENS9_8equal_toIvEEsEE10hipError_tPvRmT2_T3_T4_T5_mT6_T7_P12ihipStream_tbENKUlT_T0_E_clISt17integral_constantIbLb0EES14_EEDaSZ_S10_EUlSZ_E_NS1_11comp_targetILNS1_3genE3ELNS1_11target_archE908ELNS1_3gpuE7ELNS1_3repE0EEENS1_30default_config_static_selectorELNS0_4arch9wavefront6targetE0EEEvT1_.private_seg_size, 0
	.set _ZN7rocprim17ROCPRIM_400000_NS6detail17trampoline_kernelINS0_14default_configENS1_27scan_by_key_config_selectorIssEEZZNS1_16scan_by_key_implILNS1_25lookback_scan_determinismE0ELb0ES3_N6thrust23THRUST_200600_302600_NS6detail15normal_iteratorINS9_10device_ptrIsEEEENS9_18transform_iteratorINS9_6negateIsEESE_NS9_11use_defaultESI_EESE_sNS9_4plusIvEENS9_8equal_toIvEEsEE10hipError_tPvRmT2_T3_T4_T5_mT6_T7_P12ihipStream_tbENKUlT_T0_E_clISt17integral_constantIbLb0EES14_EEDaSZ_S10_EUlSZ_E_NS1_11comp_targetILNS1_3genE3ELNS1_11target_archE908ELNS1_3gpuE7ELNS1_3repE0EEENS1_30default_config_static_selectorELNS0_4arch9wavefront6targetE0EEEvT1_.uses_vcc, 0
	.set _ZN7rocprim17ROCPRIM_400000_NS6detail17trampoline_kernelINS0_14default_configENS1_27scan_by_key_config_selectorIssEEZZNS1_16scan_by_key_implILNS1_25lookback_scan_determinismE0ELb0ES3_N6thrust23THRUST_200600_302600_NS6detail15normal_iteratorINS9_10device_ptrIsEEEENS9_18transform_iteratorINS9_6negateIsEESE_NS9_11use_defaultESI_EESE_sNS9_4plusIvEENS9_8equal_toIvEEsEE10hipError_tPvRmT2_T3_T4_T5_mT6_T7_P12ihipStream_tbENKUlT_T0_E_clISt17integral_constantIbLb0EES14_EEDaSZ_S10_EUlSZ_E_NS1_11comp_targetILNS1_3genE3ELNS1_11target_archE908ELNS1_3gpuE7ELNS1_3repE0EEENS1_30default_config_static_selectorELNS0_4arch9wavefront6targetE0EEEvT1_.uses_flat_scratch, 0
	.set _ZN7rocprim17ROCPRIM_400000_NS6detail17trampoline_kernelINS0_14default_configENS1_27scan_by_key_config_selectorIssEEZZNS1_16scan_by_key_implILNS1_25lookback_scan_determinismE0ELb0ES3_N6thrust23THRUST_200600_302600_NS6detail15normal_iteratorINS9_10device_ptrIsEEEENS9_18transform_iteratorINS9_6negateIsEESE_NS9_11use_defaultESI_EESE_sNS9_4plusIvEENS9_8equal_toIvEEsEE10hipError_tPvRmT2_T3_T4_T5_mT6_T7_P12ihipStream_tbENKUlT_T0_E_clISt17integral_constantIbLb0EES14_EEDaSZ_S10_EUlSZ_E_NS1_11comp_targetILNS1_3genE3ELNS1_11target_archE908ELNS1_3gpuE7ELNS1_3repE0EEENS1_30default_config_static_selectorELNS0_4arch9wavefront6targetE0EEEvT1_.has_dyn_sized_stack, 0
	.set _ZN7rocprim17ROCPRIM_400000_NS6detail17trampoline_kernelINS0_14default_configENS1_27scan_by_key_config_selectorIssEEZZNS1_16scan_by_key_implILNS1_25lookback_scan_determinismE0ELb0ES3_N6thrust23THRUST_200600_302600_NS6detail15normal_iteratorINS9_10device_ptrIsEEEENS9_18transform_iteratorINS9_6negateIsEESE_NS9_11use_defaultESI_EESE_sNS9_4plusIvEENS9_8equal_toIvEEsEE10hipError_tPvRmT2_T3_T4_T5_mT6_T7_P12ihipStream_tbENKUlT_T0_E_clISt17integral_constantIbLb0EES14_EEDaSZ_S10_EUlSZ_E_NS1_11comp_targetILNS1_3genE3ELNS1_11target_archE908ELNS1_3gpuE7ELNS1_3repE0EEENS1_30default_config_static_selectorELNS0_4arch9wavefront6targetE0EEEvT1_.has_recursion, 0
	.set _ZN7rocprim17ROCPRIM_400000_NS6detail17trampoline_kernelINS0_14default_configENS1_27scan_by_key_config_selectorIssEEZZNS1_16scan_by_key_implILNS1_25lookback_scan_determinismE0ELb0ES3_N6thrust23THRUST_200600_302600_NS6detail15normal_iteratorINS9_10device_ptrIsEEEENS9_18transform_iteratorINS9_6negateIsEESE_NS9_11use_defaultESI_EESE_sNS9_4plusIvEENS9_8equal_toIvEEsEE10hipError_tPvRmT2_T3_T4_T5_mT6_T7_P12ihipStream_tbENKUlT_T0_E_clISt17integral_constantIbLb0EES14_EEDaSZ_S10_EUlSZ_E_NS1_11comp_targetILNS1_3genE3ELNS1_11target_archE908ELNS1_3gpuE7ELNS1_3repE0EEENS1_30default_config_static_selectorELNS0_4arch9wavefront6targetE0EEEvT1_.has_indirect_call, 0
	.section	.AMDGPU.csdata,"",@progbits
; Kernel info:
; codeLenInByte = 0
; TotalNumSgprs: 0
; NumVgprs: 0
; ScratchSize: 0
; MemoryBound: 0
; FloatMode: 240
; IeeeMode: 1
; LDSByteSize: 0 bytes/workgroup (compile time only)
; SGPRBlocks: 0
; VGPRBlocks: 0
; NumSGPRsForWavesPerEU: 1
; NumVGPRsForWavesPerEU: 1
; NamedBarCnt: 0
; Occupancy: 16
; WaveLimiterHint : 0
; COMPUTE_PGM_RSRC2:SCRATCH_EN: 0
; COMPUTE_PGM_RSRC2:USER_SGPR: 2
; COMPUTE_PGM_RSRC2:TRAP_HANDLER: 0
; COMPUTE_PGM_RSRC2:TGID_X_EN: 1
; COMPUTE_PGM_RSRC2:TGID_Y_EN: 0
; COMPUTE_PGM_RSRC2:TGID_Z_EN: 0
; COMPUTE_PGM_RSRC2:TIDIG_COMP_CNT: 0
	.section	.text._ZN7rocprim17ROCPRIM_400000_NS6detail17trampoline_kernelINS0_14default_configENS1_27scan_by_key_config_selectorIssEEZZNS1_16scan_by_key_implILNS1_25lookback_scan_determinismE0ELb0ES3_N6thrust23THRUST_200600_302600_NS6detail15normal_iteratorINS9_10device_ptrIsEEEENS9_18transform_iteratorINS9_6negateIsEESE_NS9_11use_defaultESI_EESE_sNS9_4plusIvEENS9_8equal_toIvEEsEE10hipError_tPvRmT2_T3_T4_T5_mT6_T7_P12ihipStream_tbENKUlT_T0_E_clISt17integral_constantIbLb0EES14_EEDaSZ_S10_EUlSZ_E_NS1_11comp_targetILNS1_3genE2ELNS1_11target_archE906ELNS1_3gpuE6ELNS1_3repE0EEENS1_30default_config_static_selectorELNS0_4arch9wavefront6targetE0EEEvT1_,"axG",@progbits,_ZN7rocprim17ROCPRIM_400000_NS6detail17trampoline_kernelINS0_14default_configENS1_27scan_by_key_config_selectorIssEEZZNS1_16scan_by_key_implILNS1_25lookback_scan_determinismE0ELb0ES3_N6thrust23THRUST_200600_302600_NS6detail15normal_iteratorINS9_10device_ptrIsEEEENS9_18transform_iteratorINS9_6negateIsEESE_NS9_11use_defaultESI_EESE_sNS9_4plusIvEENS9_8equal_toIvEEsEE10hipError_tPvRmT2_T3_T4_T5_mT6_T7_P12ihipStream_tbENKUlT_T0_E_clISt17integral_constantIbLb0EES14_EEDaSZ_S10_EUlSZ_E_NS1_11comp_targetILNS1_3genE2ELNS1_11target_archE906ELNS1_3gpuE6ELNS1_3repE0EEENS1_30default_config_static_selectorELNS0_4arch9wavefront6targetE0EEEvT1_,comdat
	.protected	_ZN7rocprim17ROCPRIM_400000_NS6detail17trampoline_kernelINS0_14default_configENS1_27scan_by_key_config_selectorIssEEZZNS1_16scan_by_key_implILNS1_25lookback_scan_determinismE0ELb0ES3_N6thrust23THRUST_200600_302600_NS6detail15normal_iteratorINS9_10device_ptrIsEEEENS9_18transform_iteratorINS9_6negateIsEESE_NS9_11use_defaultESI_EESE_sNS9_4plusIvEENS9_8equal_toIvEEsEE10hipError_tPvRmT2_T3_T4_T5_mT6_T7_P12ihipStream_tbENKUlT_T0_E_clISt17integral_constantIbLb0EES14_EEDaSZ_S10_EUlSZ_E_NS1_11comp_targetILNS1_3genE2ELNS1_11target_archE906ELNS1_3gpuE6ELNS1_3repE0EEENS1_30default_config_static_selectorELNS0_4arch9wavefront6targetE0EEEvT1_ ; -- Begin function _ZN7rocprim17ROCPRIM_400000_NS6detail17trampoline_kernelINS0_14default_configENS1_27scan_by_key_config_selectorIssEEZZNS1_16scan_by_key_implILNS1_25lookback_scan_determinismE0ELb0ES3_N6thrust23THRUST_200600_302600_NS6detail15normal_iteratorINS9_10device_ptrIsEEEENS9_18transform_iteratorINS9_6negateIsEESE_NS9_11use_defaultESI_EESE_sNS9_4plusIvEENS9_8equal_toIvEEsEE10hipError_tPvRmT2_T3_T4_T5_mT6_T7_P12ihipStream_tbENKUlT_T0_E_clISt17integral_constantIbLb0EES14_EEDaSZ_S10_EUlSZ_E_NS1_11comp_targetILNS1_3genE2ELNS1_11target_archE906ELNS1_3gpuE6ELNS1_3repE0EEENS1_30default_config_static_selectorELNS0_4arch9wavefront6targetE0EEEvT1_
	.globl	_ZN7rocprim17ROCPRIM_400000_NS6detail17trampoline_kernelINS0_14default_configENS1_27scan_by_key_config_selectorIssEEZZNS1_16scan_by_key_implILNS1_25lookback_scan_determinismE0ELb0ES3_N6thrust23THRUST_200600_302600_NS6detail15normal_iteratorINS9_10device_ptrIsEEEENS9_18transform_iteratorINS9_6negateIsEESE_NS9_11use_defaultESI_EESE_sNS9_4plusIvEENS9_8equal_toIvEEsEE10hipError_tPvRmT2_T3_T4_T5_mT6_T7_P12ihipStream_tbENKUlT_T0_E_clISt17integral_constantIbLb0EES14_EEDaSZ_S10_EUlSZ_E_NS1_11comp_targetILNS1_3genE2ELNS1_11target_archE906ELNS1_3gpuE6ELNS1_3repE0EEENS1_30default_config_static_selectorELNS0_4arch9wavefront6targetE0EEEvT1_
	.p2align	8
	.type	_ZN7rocprim17ROCPRIM_400000_NS6detail17trampoline_kernelINS0_14default_configENS1_27scan_by_key_config_selectorIssEEZZNS1_16scan_by_key_implILNS1_25lookback_scan_determinismE0ELb0ES3_N6thrust23THRUST_200600_302600_NS6detail15normal_iteratorINS9_10device_ptrIsEEEENS9_18transform_iteratorINS9_6negateIsEESE_NS9_11use_defaultESI_EESE_sNS9_4plusIvEENS9_8equal_toIvEEsEE10hipError_tPvRmT2_T3_T4_T5_mT6_T7_P12ihipStream_tbENKUlT_T0_E_clISt17integral_constantIbLb0EES14_EEDaSZ_S10_EUlSZ_E_NS1_11comp_targetILNS1_3genE2ELNS1_11target_archE906ELNS1_3gpuE6ELNS1_3repE0EEENS1_30default_config_static_selectorELNS0_4arch9wavefront6targetE0EEEvT1_,@function
_ZN7rocprim17ROCPRIM_400000_NS6detail17trampoline_kernelINS0_14default_configENS1_27scan_by_key_config_selectorIssEEZZNS1_16scan_by_key_implILNS1_25lookback_scan_determinismE0ELb0ES3_N6thrust23THRUST_200600_302600_NS6detail15normal_iteratorINS9_10device_ptrIsEEEENS9_18transform_iteratorINS9_6negateIsEESE_NS9_11use_defaultESI_EESE_sNS9_4plusIvEENS9_8equal_toIvEEsEE10hipError_tPvRmT2_T3_T4_T5_mT6_T7_P12ihipStream_tbENKUlT_T0_E_clISt17integral_constantIbLb0EES14_EEDaSZ_S10_EUlSZ_E_NS1_11comp_targetILNS1_3genE2ELNS1_11target_archE906ELNS1_3gpuE6ELNS1_3repE0EEENS1_30default_config_static_selectorELNS0_4arch9wavefront6targetE0EEEvT1_: ; @_ZN7rocprim17ROCPRIM_400000_NS6detail17trampoline_kernelINS0_14default_configENS1_27scan_by_key_config_selectorIssEEZZNS1_16scan_by_key_implILNS1_25lookback_scan_determinismE0ELb0ES3_N6thrust23THRUST_200600_302600_NS6detail15normal_iteratorINS9_10device_ptrIsEEEENS9_18transform_iteratorINS9_6negateIsEESE_NS9_11use_defaultESI_EESE_sNS9_4plusIvEENS9_8equal_toIvEEsEE10hipError_tPvRmT2_T3_T4_T5_mT6_T7_P12ihipStream_tbENKUlT_T0_E_clISt17integral_constantIbLb0EES14_EEDaSZ_S10_EUlSZ_E_NS1_11comp_targetILNS1_3genE2ELNS1_11target_archE906ELNS1_3gpuE6ELNS1_3repE0EEENS1_30default_config_static_selectorELNS0_4arch9wavefront6targetE0EEEvT1_
; %bb.0:
	.section	.rodata,"a",@progbits
	.p2align	6, 0x0
	.amdhsa_kernel _ZN7rocprim17ROCPRIM_400000_NS6detail17trampoline_kernelINS0_14default_configENS1_27scan_by_key_config_selectorIssEEZZNS1_16scan_by_key_implILNS1_25lookback_scan_determinismE0ELb0ES3_N6thrust23THRUST_200600_302600_NS6detail15normal_iteratorINS9_10device_ptrIsEEEENS9_18transform_iteratorINS9_6negateIsEESE_NS9_11use_defaultESI_EESE_sNS9_4plusIvEENS9_8equal_toIvEEsEE10hipError_tPvRmT2_T3_T4_T5_mT6_T7_P12ihipStream_tbENKUlT_T0_E_clISt17integral_constantIbLb0EES14_EEDaSZ_S10_EUlSZ_E_NS1_11comp_targetILNS1_3genE2ELNS1_11target_archE906ELNS1_3gpuE6ELNS1_3repE0EEENS1_30default_config_static_selectorELNS0_4arch9wavefront6targetE0EEEvT1_
		.amdhsa_group_segment_fixed_size 0
		.amdhsa_private_segment_fixed_size 0
		.amdhsa_kernarg_size 120
		.amdhsa_user_sgpr_count 2
		.amdhsa_user_sgpr_dispatch_ptr 0
		.amdhsa_user_sgpr_queue_ptr 0
		.amdhsa_user_sgpr_kernarg_segment_ptr 1
		.amdhsa_user_sgpr_dispatch_id 0
		.amdhsa_user_sgpr_kernarg_preload_length 0
		.amdhsa_user_sgpr_kernarg_preload_offset 0
		.amdhsa_user_sgpr_private_segment_size 0
		.amdhsa_wavefront_size32 1
		.amdhsa_uses_dynamic_stack 0
		.amdhsa_enable_private_segment 0
		.amdhsa_system_sgpr_workgroup_id_x 1
		.amdhsa_system_sgpr_workgroup_id_y 0
		.amdhsa_system_sgpr_workgroup_id_z 0
		.amdhsa_system_sgpr_workgroup_info 0
		.amdhsa_system_vgpr_workitem_id 0
		.amdhsa_next_free_vgpr 1
		.amdhsa_next_free_sgpr 1
		.amdhsa_named_barrier_count 0
		.amdhsa_reserve_vcc 0
		.amdhsa_float_round_mode_32 0
		.amdhsa_float_round_mode_16_64 0
		.amdhsa_float_denorm_mode_32 3
		.amdhsa_float_denorm_mode_16_64 3
		.amdhsa_fp16_overflow 0
		.amdhsa_memory_ordered 1
		.amdhsa_forward_progress 1
		.amdhsa_inst_pref_size 0
		.amdhsa_round_robin_scheduling 0
		.amdhsa_exception_fp_ieee_invalid_op 0
		.amdhsa_exception_fp_denorm_src 0
		.amdhsa_exception_fp_ieee_div_zero 0
		.amdhsa_exception_fp_ieee_overflow 0
		.amdhsa_exception_fp_ieee_underflow 0
		.amdhsa_exception_fp_ieee_inexact 0
		.amdhsa_exception_int_div_zero 0
	.end_amdhsa_kernel
	.section	.text._ZN7rocprim17ROCPRIM_400000_NS6detail17trampoline_kernelINS0_14default_configENS1_27scan_by_key_config_selectorIssEEZZNS1_16scan_by_key_implILNS1_25lookback_scan_determinismE0ELb0ES3_N6thrust23THRUST_200600_302600_NS6detail15normal_iteratorINS9_10device_ptrIsEEEENS9_18transform_iteratorINS9_6negateIsEESE_NS9_11use_defaultESI_EESE_sNS9_4plusIvEENS9_8equal_toIvEEsEE10hipError_tPvRmT2_T3_T4_T5_mT6_T7_P12ihipStream_tbENKUlT_T0_E_clISt17integral_constantIbLb0EES14_EEDaSZ_S10_EUlSZ_E_NS1_11comp_targetILNS1_3genE2ELNS1_11target_archE906ELNS1_3gpuE6ELNS1_3repE0EEENS1_30default_config_static_selectorELNS0_4arch9wavefront6targetE0EEEvT1_,"axG",@progbits,_ZN7rocprim17ROCPRIM_400000_NS6detail17trampoline_kernelINS0_14default_configENS1_27scan_by_key_config_selectorIssEEZZNS1_16scan_by_key_implILNS1_25lookback_scan_determinismE0ELb0ES3_N6thrust23THRUST_200600_302600_NS6detail15normal_iteratorINS9_10device_ptrIsEEEENS9_18transform_iteratorINS9_6negateIsEESE_NS9_11use_defaultESI_EESE_sNS9_4plusIvEENS9_8equal_toIvEEsEE10hipError_tPvRmT2_T3_T4_T5_mT6_T7_P12ihipStream_tbENKUlT_T0_E_clISt17integral_constantIbLb0EES14_EEDaSZ_S10_EUlSZ_E_NS1_11comp_targetILNS1_3genE2ELNS1_11target_archE906ELNS1_3gpuE6ELNS1_3repE0EEENS1_30default_config_static_selectorELNS0_4arch9wavefront6targetE0EEEvT1_,comdat
.Lfunc_end970:
	.size	_ZN7rocprim17ROCPRIM_400000_NS6detail17trampoline_kernelINS0_14default_configENS1_27scan_by_key_config_selectorIssEEZZNS1_16scan_by_key_implILNS1_25lookback_scan_determinismE0ELb0ES3_N6thrust23THRUST_200600_302600_NS6detail15normal_iteratorINS9_10device_ptrIsEEEENS9_18transform_iteratorINS9_6negateIsEESE_NS9_11use_defaultESI_EESE_sNS9_4plusIvEENS9_8equal_toIvEEsEE10hipError_tPvRmT2_T3_T4_T5_mT6_T7_P12ihipStream_tbENKUlT_T0_E_clISt17integral_constantIbLb0EES14_EEDaSZ_S10_EUlSZ_E_NS1_11comp_targetILNS1_3genE2ELNS1_11target_archE906ELNS1_3gpuE6ELNS1_3repE0EEENS1_30default_config_static_selectorELNS0_4arch9wavefront6targetE0EEEvT1_, .Lfunc_end970-_ZN7rocprim17ROCPRIM_400000_NS6detail17trampoline_kernelINS0_14default_configENS1_27scan_by_key_config_selectorIssEEZZNS1_16scan_by_key_implILNS1_25lookback_scan_determinismE0ELb0ES3_N6thrust23THRUST_200600_302600_NS6detail15normal_iteratorINS9_10device_ptrIsEEEENS9_18transform_iteratorINS9_6negateIsEESE_NS9_11use_defaultESI_EESE_sNS9_4plusIvEENS9_8equal_toIvEEsEE10hipError_tPvRmT2_T3_T4_T5_mT6_T7_P12ihipStream_tbENKUlT_T0_E_clISt17integral_constantIbLb0EES14_EEDaSZ_S10_EUlSZ_E_NS1_11comp_targetILNS1_3genE2ELNS1_11target_archE906ELNS1_3gpuE6ELNS1_3repE0EEENS1_30default_config_static_selectorELNS0_4arch9wavefront6targetE0EEEvT1_
                                        ; -- End function
	.set _ZN7rocprim17ROCPRIM_400000_NS6detail17trampoline_kernelINS0_14default_configENS1_27scan_by_key_config_selectorIssEEZZNS1_16scan_by_key_implILNS1_25lookback_scan_determinismE0ELb0ES3_N6thrust23THRUST_200600_302600_NS6detail15normal_iteratorINS9_10device_ptrIsEEEENS9_18transform_iteratorINS9_6negateIsEESE_NS9_11use_defaultESI_EESE_sNS9_4plusIvEENS9_8equal_toIvEEsEE10hipError_tPvRmT2_T3_T4_T5_mT6_T7_P12ihipStream_tbENKUlT_T0_E_clISt17integral_constantIbLb0EES14_EEDaSZ_S10_EUlSZ_E_NS1_11comp_targetILNS1_3genE2ELNS1_11target_archE906ELNS1_3gpuE6ELNS1_3repE0EEENS1_30default_config_static_selectorELNS0_4arch9wavefront6targetE0EEEvT1_.num_vgpr, 0
	.set _ZN7rocprim17ROCPRIM_400000_NS6detail17trampoline_kernelINS0_14default_configENS1_27scan_by_key_config_selectorIssEEZZNS1_16scan_by_key_implILNS1_25lookback_scan_determinismE0ELb0ES3_N6thrust23THRUST_200600_302600_NS6detail15normal_iteratorINS9_10device_ptrIsEEEENS9_18transform_iteratorINS9_6negateIsEESE_NS9_11use_defaultESI_EESE_sNS9_4plusIvEENS9_8equal_toIvEEsEE10hipError_tPvRmT2_T3_T4_T5_mT6_T7_P12ihipStream_tbENKUlT_T0_E_clISt17integral_constantIbLb0EES14_EEDaSZ_S10_EUlSZ_E_NS1_11comp_targetILNS1_3genE2ELNS1_11target_archE906ELNS1_3gpuE6ELNS1_3repE0EEENS1_30default_config_static_selectorELNS0_4arch9wavefront6targetE0EEEvT1_.num_agpr, 0
	.set _ZN7rocprim17ROCPRIM_400000_NS6detail17trampoline_kernelINS0_14default_configENS1_27scan_by_key_config_selectorIssEEZZNS1_16scan_by_key_implILNS1_25lookback_scan_determinismE0ELb0ES3_N6thrust23THRUST_200600_302600_NS6detail15normal_iteratorINS9_10device_ptrIsEEEENS9_18transform_iteratorINS9_6negateIsEESE_NS9_11use_defaultESI_EESE_sNS9_4plusIvEENS9_8equal_toIvEEsEE10hipError_tPvRmT2_T3_T4_T5_mT6_T7_P12ihipStream_tbENKUlT_T0_E_clISt17integral_constantIbLb0EES14_EEDaSZ_S10_EUlSZ_E_NS1_11comp_targetILNS1_3genE2ELNS1_11target_archE906ELNS1_3gpuE6ELNS1_3repE0EEENS1_30default_config_static_selectorELNS0_4arch9wavefront6targetE0EEEvT1_.numbered_sgpr, 0
	.set _ZN7rocprim17ROCPRIM_400000_NS6detail17trampoline_kernelINS0_14default_configENS1_27scan_by_key_config_selectorIssEEZZNS1_16scan_by_key_implILNS1_25lookback_scan_determinismE0ELb0ES3_N6thrust23THRUST_200600_302600_NS6detail15normal_iteratorINS9_10device_ptrIsEEEENS9_18transform_iteratorINS9_6negateIsEESE_NS9_11use_defaultESI_EESE_sNS9_4plusIvEENS9_8equal_toIvEEsEE10hipError_tPvRmT2_T3_T4_T5_mT6_T7_P12ihipStream_tbENKUlT_T0_E_clISt17integral_constantIbLb0EES14_EEDaSZ_S10_EUlSZ_E_NS1_11comp_targetILNS1_3genE2ELNS1_11target_archE906ELNS1_3gpuE6ELNS1_3repE0EEENS1_30default_config_static_selectorELNS0_4arch9wavefront6targetE0EEEvT1_.num_named_barrier, 0
	.set _ZN7rocprim17ROCPRIM_400000_NS6detail17trampoline_kernelINS0_14default_configENS1_27scan_by_key_config_selectorIssEEZZNS1_16scan_by_key_implILNS1_25lookback_scan_determinismE0ELb0ES3_N6thrust23THRUST_200600_302600_NS6detail15normal_iteratorINS9_10device_ptrIsEEEENS9_18transform_iteratorINS9_6negateIsEESE_NS9_11use_defaultESI_EESE_sNS9_4plusIvEENS9_8equal_toIvEEsEE10hipError_tPvRmT2_T3_T4_T5_mT6_T7_P12ihipStream_tbENKUlT_T0_E_clISt17integral_constantIbLb0EES14_EEDaSZ_S10_EUlSZ_E_NS1_11comp_targetILNS1_3genE2ELNS1_11target_archE906ELNS1_3gpuE6ELNS1_3repE0EEENS1_30default_config_static_selectorELNS0_4arch9wavefront6targetE0EEEvT1_.private_seg_size, 0
	.set _ZN7rocprim17ROCPRIM_400000_NS6detail17trampoline_kernelINS0_14default_configENS1_27scan_by_key_config_selectorIssEEZZNS1_16scan_by_key_implILNS1_25lookback_scan_determinismE0ELb0ES3_N6thrust23THRUST_200600_302600_NS6detail15normal_iteratorINS9_10device_ptrIsEEEENS9_18transform_iteratorINS9_6negateIsEESE_NS9_11use_defaultESI_EESE_sNS9_4plusIvEENS9_8equal_toIvEEsEE10hipError_tPvRmT2_T3_T4_T5_mT6_T7_P12ihipStream_tbENKUlT_T0_E_clISt17integral_constantIbLb0EES14_EEDaSZ_S10_EUlSZ_E_NS1_11comp_targetILNS1_3genE2ELNS1_11target_archE906ELNS1_3gpuE6ELNS1_3repE0EEENS1_30default_config_static_selectorELNS0_4arch9wavefront6targetE0EEEvT1_.uses_vcc, 0
	.set _ZN7rocprim17ROCPRIM_400000_NS6detail17trampoline_kernelINS0_14default_configENS1_27scan_by_key_config_selectorIssEEZZNS1_16scan_by_key_implILNS1_25lookback_scan_determinismE0ELb0ES3_N6thrust23THRUST_200600_302600_NS6detail15normal_iteratorINS9_10device_ptrIsEEEENS9_18transform_iteratorINS9_6negateIsEESE_NS9_11use_defaultESI_EESE_sNS9_4plusIvEENS9_8equal_toIvEEsEE10hipError_tPvRmT2_T3_T4_T5_mT6_T7_P12ihipStream_tbENKUlT_T0_E_clISt17integral_constantIbLb0EES14_EEDaSZ_S10_EUlSZ_E_NS1_11comp_targetILNS1_3genE2ELNS1_11target_archE906ELNS1_3gpuE6ELNS1_3repE0EEENS1_30default_config_static_selectorELNS0_4arch9wavefront6targetE0EEEvT1_.uses_flat_scratch, 0
	.set _ZN7rocprim17ROCPRIM_400000_NS6detail17trampoline_kernelINS0_14default_configENS1_27scan_by_key_config_selectorIssEEZZNS1_16scan_by_key_implILNS1_25lookback_scan_determinismE0ELb0ES3_N6thrust23THRUST_200600_302600_NS6detail15normal_iteratorINS9_10device_ptrIsEEEENS9_18transform_iteratorINS9_6negateIsEESE_NS9_11use_defaultESI_EESE_sNS9_4plusIvEENS9_8equal_toIvEEsEE10hipError_tPvRmT2_T3_T4_T5_mT6_T7_P12ihipStream_tbENKUlT_T0_E_clISt17integral_constantIbLb0EES14_EEDaSZ_S10_EUlSZ_E_NS1_11comp_targetILNS1_3genE2ELNS1_11target_archE906ELNS1_3gpuE6ELNS1_3repE0EEENS1_30default_config_static_selectorELNS0_4arch9wavefront6targetE0EEEvT1_.has_dyn_sized_stack, 0
	.set _ZN7rocprim17ROCPRIM_400000_NS6detail17trampoline_kernelINS0_14default_configENS1_27scan_by_key_config_selectorIssEEZZNS1_16scan_by_key_implILNS1_25lookback_scan_determinismE0ELb0ES3_N6thrust23THRUST_200600_302600_NS6detail15normal_iteratorINS9_10device_ptrIsEEEENS9_18transform_iteratorINS9_6negateIsEESE_NS9_11use_defaultESI_EESE_sNS9_4plusIvEENS9_8equal_toIvEEsEE10hipError_tPvRmT2_T3_T4_T5_mT6_T7_P12ihipStream_tbENKUlT_T0_E_clISt17integral_constantIbLb0EES14_EEDaSZ_S10_EUlSZ_E_NS1_11comp_targetILNS1_3genE2ELNS1_11target_archE906ELNS1_3gpuE6ELNS1_3repE0EEENS1_30default_config_static_selectorELNS0_4arch9wavefront6targetE0EEEvT1_.has_recursion, 0
	.set _ZN7rocprim17ROCPRIM_400000_NS6detail17trampoline_kernelINS0_14default_configENS1_27scan_by_key_config_selectorIssEEZZNS1_16scan_by_key_implILNS1_25lookback_scan_determinismE0ELb0ES3_N6thrust23THRUST_200600_302600_NS6detail15normal_iteratorINS9_10device_ptrIsEEEENS9_18transform_iteratorINS9_6negateIsEESE_NS9_11use_defaultESI_EESE_sNS9_4plusIvEENS9_8equal_toIvEEsEE10hipError_tPvRmT2_T3_T4_T5_mT6_T7_P12ihipStream_tbENKUlT_T0_E_clISt17integral_constantIbLb0EES14_EEDaSZ_S10_EUlSZ_E_NS1_11comp_targetILNS1_3genE2ELNS1_11target_archE906ELNS1_3gpuE6ELNS1_3repE0EEENS1_30default_config_static_selectorELNS0_4arch9wavefront6targetE0EEEvT1_.has_indirect_call, 0
	.section	.AMDGPU.csdata,"",@progbits
; Kernel info:
; codeLenInByte = 0
; TotalNumSgprs: 0
; NumVgprs: 0
; ScratchSize: 0
; MemoryBound: 0
; FloatMode: 240
; IeeeMode: 1
; LDSByteSize: 0 bytes/workgroup (compile time only)
; SGPRBlocks: 0
; VGPRBlocks: 0
; NumSGPRsForWavesPerEU: 1
; NumVGPRsForWavesPerEU: 1
; NamedBarCnt: 0
; Occupancy: 16
; WaveLimiterHint : 0
; COMPUTE_PGM_RSRC2:SCRATCH_EN: 0
; COMPUTE_PGM_RSRC2:USER_SGPR: 2
; COMPUTE_PGM_RSRC2:TRAP_HANDLER: 0
; COMPUTE_PGM_RSRC2:TGID_X_EN: 1
; COMPUTE_PGM_RSRC2:TGID_Y_EN: 0
; COMPUTE_PGM_RSRC2:TGID_Z_EN: 0
; COMPUTE_PGM_RSRC2:TIDIG_COMP_CNT: 0
	.section	.text._ZN7rocprim17ROCPRIM_400000_NS6detail17trampoline_kernelINS0_14default_configENS1_27scan_by_key_config_selectorIssEEZZNS1_16scan_by_key_implILNS1_25lookback_scan_determinismE0ELb0ES3_N6thrust23THRUST_200600_302600_NS6detail15normal_iteratorINS9_10device_ptrIsEEEENS9_18transform_iteratorINS9_6negateIsEESE_NS9_11use_defaultESI_EESE_sNS9_4plusIvEENS9_8equal_toIvEEsEE10hipError_tPvRmT2_T3_T4_T5_mT6_T7_P12ihipStream_tbENKUlT_T0_E_clISt17integral_constantIbLb0EES14_EEDaSZ_S10_EUlSZ_E_NS1_11comp_targetILNS1_3genE10ELNS1_11target_archE1200ELNS1_3gpuE4ELNS1_3repE0EEENS1_30default_config_static_selectorELNS0_4arch9wavefront6targetE0EEEvT1_,"axG",@progbits,_ZN7rocprim17ROCPRIM_400000_NS6detail17trampoline_kernelINS0_14default_configENS1_27scan_by_key_config_selectorIssEEZZNS1_16scan_by_key_implILNS1_25lookback_scan_determinismE0ELb0ES3_N6thrust23THRUST_200600_302600_NS6detail15normal_iteratorINS9_10device_ptrIsEEEENS9_18transform_iteratorINS9_6negateIsEESE_NS9_11use_defaultESI_EESE_sNS9_4plusIvEENS9_8equal_toIvEEsEE10hipError_tPvRmT2_T3_T4_T5_mT6_T7_P12ihipStream_tbENKUlT_T0_E_clISt17integral_constantIbLb0EES14_EEDaSZ_S10_EUlSZ_E_NS1_11comp_targetILNS1_3genE10ELNS1_11target_archE1200ELNS1_3gpuE4ELNS1_3repE0EEENS1_30default_config_static_selectorELNS0_4arch9wavefront6targetE0EEEvT1_,comdat
	.protected	_ZN7rocprim17ROCPRIM_400000_NS6detail17trampoline_kernelINS0_14default_configENS1_27scan_by_key_config_selectorIssEEZZNS1_16scan_by_key_implILNS1_25lookback_scan_determinismE0ELb0ES3_N6thrust23THRUST_200600_302600_NS6detail15normal_iteratorINS9_10device_ptrIsEEEENS9_18transform_iteratorINS9_6negateIsEESE_NS9_11use_defaultESI_EESE_sNS9_4plusIvEENS9_8equal_toIvEEsEE10hipError_tPvRmT2_T3_T4_T5_mT6_T7_P12ihipStream_tbENKUlT_T0_E_clISt17integral_constantIbLb0EES14_EEDaSZ_S10_EUlSZ_E_NS1_11comp_targetILNS1_3genE10ELNS1_11target_archE1200ELNS1_3gpuE4ELNS1_3repE0EEENS1_30default_config_static_selectorELNS0_4arch9wavefront6targetE0EEEvT1_ ; -- Begin function _ZN7rocprim17ROCPRIM_400000_NS6detail17trampoline_kernelINS0_14default_configENS1_27scan_by_key_config_selectorIssEEZZNS1_16scan_by_key_implILNS1_25lookback_scan_determinismE0ELb0ES3_N6thrust23THRUST_200600_302600_NS6detail15normal_iteratorINS9_10device_ptrIsEEEENS9_18transform_iteratorINS9_6negateIsEESE_NS9_11use_defaultESI_EESE_sNS9_4plusIvEENS9_8equal_toIvEEsEE10hipError_tPvRmT2_T3_T4_T5_mT6_T7_P12ihipStream_tbENKUlT_T0_E_clISt17integral_constantIbLb0EES14_EEDaSZ_S10_EUlSZ_E_NS1_11comp_targetILNS1_3genE10ELNS1_11target_archE1200ELNS1_3gpuE4ELNS1_3repE0EEENS1_30default_config_static_selectorELNS0_4arch9wavefront6targetE0EEEvT1_
	.globl	_ZN7rocprim17ROCPRIM_400000_NS6detail17trampoline_kernelINS0_14default_configENS1_27scan_by_key_config_selectorIssEEZZNS1_16scan_by_key_implILNS1_25lookback_scan_determinismE0ELb0ES3_N6thrust23THRUST_200600_302600_NS6detail15normal_iteratorINS9_10device_ptrIsEEEENS9_18transform_iteratorINS9_6negateIsEESE_NS9_11use_defaultESI_EESE_sNS9_4plusIvEENS9_8equal_toIvEEsEE10hipError_tPvRmT2_T3_T4_T5_mT6_T7_P12ihipStream_tbENKUlT_T0_E_clISt17integral_constantIbLb0EES14_EEDaSZ_S10_EUlSZ_E_NS1_11comp_targetILNS1_3genE10ELNS1_11target_archE1200ELNS1_3gpuE4ELNS1_3repE0EEENS1_30default_config_static_selectorELNS0_4arch9wavefront6targetE0EEEvT1_
	.p2align	8
	.type	_ZN7rocprim17ROCPRIM_400000_NS6detail17trampoline_kernelINS0_14default_configENS1_27scan_by_key_config_selectorIssEEZZNS1_16scan_by_key_implILNS1_25lookback_scan_determinismE0ELb0ES3_N6thrust23THRUST_200600_302600_NS6detail15normal_iteratorINS9_10device_ptrIsEEEENS9_18transform_iteratorINS9_6negateIsEESE_NS9_11use_defaultESI_EESE_sNS9_4plusIvEENS9_8equal_toIvEEsEE10hipError_tPvRmT2_T3_T4_T5_mT6_T7_P12ihipStream_tbENKUlT_T0_E_clISt17integral_constantIbLb0EES14_EEDaSZ_S10_EUlSZ_E_NS1_11comp_targetILNS1_3genE10ELNS1_11target_archE1200ELNS1_3gpuE4ELNS1_3repE0EEENS1_30default_config_static_selectorELNS0_4arch9wavefront6targetE0EEEvT1_,@function
_ZN7rocprim17ROCPRIM_400000_NS6detail17trampoline_kernelINS0_14default_configENS1_27scan_by_key_config_selectorIssEEZZNS1_16scan_by_key_implILNS1_25lookback_scan_determinismE0ELb0ES3_N6thrust23THRUST_200600_302600_NS6detail15normal_iteratorINS9_10device_ptrIsEEEENS9_18transform_iteratorINS9_6negateIsEESE_NS9_11use_defaultESI_EESE_sNS9_4plusIvEENS9_8equal_toIvEEsEE10hipError_tPvRmT2_T3_T4_T5_mT6_T7_P12ihipStream_tbENKUlT_T0_E_clISt17integral_constantIbLb0EES14_EEDaSZ_S10_EUlSZ_E_NS1_11comp_targetILNS1_3genE10ELNS1_11target_archE1200ELNS1_3gpuE4ELNS1_3repE0EEENS1_30default_config_static_selectorELNS0_4arch9wavefront6targetE0EEEvT1_: ; @_ZN7rocprim17ROCPRIM_400000_NS6detail17trampoline_kernelINS0_14default_configENS1_27scan_by_key_config_selectorIssEEZZNS1_16scan_by_key_implILNS1_25lookback_scan_determinismE0ELb0ES3_N6thrust23THRUST_200600_302600_NS6detail15normal_iteratorINS9_10device_ptrIsEEEENS9_18transform_iteratorINS9_6negateIsEESE_NS9_11use_defaultESI_EESE_sNS9_4plusIvEENS9_8equal_toIvEEsEE10hipError_tPvRmT2_T3_T4_T5_mT6_T7_P12ihipStream_tbENKUlT_T0_E_clISt17integral_constantIbLb0EES14_EEDaSZ_S10_EUlSZ_E_NS1_11comp_targetILNS1_3genE10ELNS1_11target_archE1200ELNS1_3gpuE4ELNS1_3repE0EEENS1_30default_config_static_selectorELNS0_4arch9wavefront6targetE0EEEvT1_
; %bb.0:
	.section	.rodata,"a",@progbits
	.p2align	6, 0x0
	.amdhsa_kernel _ZN7rocprim17ROCPRIM_400000_NS6detail17trampoline_kernelINS0_14default_configENS1_27scan_by_key_config_selectorIssEEZZNS1_16scan_by_key_implILNS1_25lookback_scan_determinismE0ELb0ES3_N6thrust23THRUST_200600_302600_NS6detail15normal_iteratorINS9_10device_ptrIsEEEENS9_18transform_iteratorINS9_6negateIsEESE_NS9_11use_defaultESI_EESE_sNS9_4plusIvEENS9_8equal_toIvEEsEE10hipError_tPvRmT2_T3_T4_T5_mT6_T7_P12ihipStream_tbENKUlT_T0_E_clISt17integral_constantIbLb0EES14_EEDaSZ_S10_EUlSZ_E_NS1_11comp_targetILNS1_3genE10ELNS1_11target_archE1200ELNS1_3gpuE4ELNS1_3repE0EEENS1_30default_config_static_selectorELNS0_4arch9wavefront6targetE0EEEvT1_
		.amdhsa_group_segment_fixed_size 0
		.amdhsa_private_segment_fixed_size 0
		.amdhsa_kernarg_size 120
		.amdhsa_user_sgpr_count 2
		.amdhsa_user_sgpr_dispatch_ptr 0
		.amdhsa_user_sgpr_queue_ptr 0
		.amdhsa_user_sgpr_kernarg_segment_ptr 1
		.amdhsa_user_sgpr_dispatch_id 0
		.amdhsa_user_sgpr_kernarg_preload_length 0
		.amdhsa_user_sgpr_kernarg_preload_offset 0
		.amdhsa_user_sgpr_private_segment_size 0
		.amdhsa_wavefront_size32 1
		.amdhsa_uses_dynamic_stack 0
		.amdhsa_enable_private_segment 0
		.amdhsa_system_sgpr_workgroup_id_x 1
		.amdhsa_system_sgpr_workgroup_id_y 0
		.amdhsa_system_sgpr_workgroup_id_z 0
		.amdhsa_system_sgpr_workgroup_info 0
		.amdhsa_system_vgpr_workitem_id 0
		.amdhsa_next_free_vgpr 1
		.amdhsa_next_free_sgpr 1
		.amdhsa_named_barrier_count 0
		.amdhsa_reserve_vcc 0
		.amdhsa_float_round_mode_32 0
		.amdhsa_float_round_mode_16_64 0
		.amdhsa_float_denorm_mode_32 3
		.amdhsa_float_denorm_mode_16_64 3
		.amdhsa_fp16_overflow 0
		.amdhsa_memory_ordered 1
		.amdhsa_forward_progress 1
		.amdhsa_inst_pref_size 0
		.amdhsa_round_robin_scheduling 0
		.amdhsa_exception_fp_ieee_invalid_op 0
		.amdhsa_exception_fp_denorm_src 0
		.amdhsa_exception_fp_ieee_div_zero 0
		.amdhsa_exception_fp_ieee_overflow 0
		.amdhsa_exception_fp_ieee_underflow 0
		.amdhsa_exception_fp_ieee_inexact 0
		.amdhsa_exception_int_div_zero 0
	.end_amdhsa_kernel
	.section	.text._ZN7rocprim17ROCPRIM_400000_NS6detail17trampoline_kernelINS0_14default_configENS1_27scan_by_key_config_selectorIssEEZZNS1_16scan_by_key_implILNS1_25lookback_scan_determinismE0ELb0ES3_N6thrust23THRUST_200600_302600_NS6detail15normal_iteratorINS9_10device_ptrIsEEEENS9_18transform_iteratorINS9_6negateIsEESE_NS9_11use_defaultESI_EESE_sNS9_4plusIvEENS9_8equal_toIvEEsEE10hipError_tPvRmT2_T3_T4_T5_mT6_T7_P12ihipStream_tbENKUlT_T0_E_clISt17integral_constantIbLb0EES14_EEDaSZ_S10_EUlSZ_E_NS1_11comp_targetILNS1_3genE10ELNS1_11target_archE1200ELNS1_3gpuE4ELNS1_3repE0EEENS1_30default_config_static_selectorELNS0_4arch9wavefront6targetE0EEEvT1_,"axG",@progbits,_ZN7rocprim17ROCPRIM_400000_NS6detail17trampoline_kernelINS0_14default_configENS1_27scan_by_key_config_selectorIssEEZZNS1_16scan_by_key_implILNS1_25lookback_scan_determinismE0ELb0ES3_N6thrust23THRUST_200600_302600_NS6detail15normal_iteratorINS9_10device_ptrIsEEEENS9_18transform_iteratorINS9_6negateIsEESE_NS9_11use_defaultESI_EESE_sNS9_4plusIvEENS9_8equal_toIvEEsEE10hipError_tPvRmT2_T3_T4_T5_mT6_T7_P12ihipStream_tbENKUlT_T0_E_clISt17integral_constantIbLb0EES14_EEDaSZ_S10_EUlSZ_E_NS1_11comp_targetILNS1_3genE10ELNS1_11target_archE1200ELNS1_3gpuE4ELNS1_3repE0EEENS1_30default_config_static_selectorELNS0_4arch9wavefront6targetE0EEEvT1_,comdat
.Lfunc_end971:
	.size	_ZN7rocprim17ROCPRIM_400000_NS6detail17trampoline_kernelINS0_14default_configENS1_27scan_by_key_config_selectorIssEEZZNS1_16scan_by_key_implILNS1_25lookback_scan_determinismE0ELb0ES3_N6thrust23THRUST_200600_302600_NS6detail15normal_iteratorINS9_10device_ptrIsEEEENS9_18transform_iteratorINS9_6negateIsEESE_NS9_11use_defaultESI_EESE_sNS9_4plusIvEENS9_8equal_toIvEEsEE10hipError_tPvRmT2_T3_T4_T5_mT6_T7_P12ihipStream_tbENKUlT_T0_E_clISt17integral_constantIbLb0EES14_EEDaSZ_S10_EUlSZ_E_NS1_11comp_targetILNS1_3genE10ELNS1_11target_archE1200ELNS1_3gpuE4ELNS1_3repE0EEENS1_30default_config_static_selectorELNS0_4arch9wavefront6targetE0EEEvT1_, .Lfunc_end971-_ZN7rocprim17ROCPRIM_400000_NS6detail17trampoline_kernelINS0_14default_configENS1_27scan_by_key_config_selectorIssEEZZNS1_16scan_by_key_implILNS1_25lookback_scan_determinismE0ELb0ES3_N6thrust23THRUST_200600_302600_NS6detail15normal_iteratorINS9_10device_ptrIsEEEENS9_18transform_iteratorINS9_6negateIsEESE_NS9_11use_defaultESI_EESE_sNS9_4plusIvEENS9_8equal_toIvEEsEE10hipError_tPvRmT2_T3_T4_T5_mT6_T7_P12ihipStream_tbENKUlT_T0_E_clISt17integral_constantIbLb0EES14_EEDaSZ_S10_EUlSZ_E_NS1_11comp_targetILNS1_3genE10ELNS1_11target_archE1200ELNS1_3gpuE4ELNS1_3repE0EEENS1_30default_config_static_selectorELNS0_4arch9wavefront6targetE0EEEvT1_
                                        ; -- End function
	.set _ZN7rocprim17ROCPRIM_400000_NS6detail17trampoline_kernelINS0_14default_configENS1_27scan_by_key_config_selectorIssEEZZNS1_16scan_by_key_implILNS1_25lookback_scan_determinismE0ELb0ES3_N6thrust23THRUST_200600_302600_NS6detail15normal_iteratorINS9_10device_ptrIsEEEENS9_18transform_iteratorINS9_6negateIsEESE_NS9_11use_defaultESI_EESE_sNS9_4plusIvEENS9_8equal_toIvEEsEE10hipError_tPvRmT2_T3_T4_T5_mT6_T7_P12ihipStream_tbENKUlT_T0_E_clISt17integral_constantIbLb0EES14_EEDaSZ_S10_EUlSZ_E_NS1_11comp_targetILNS1_3genE10ELNS1_11target_archE1200ELNS1_3gpuE4ELNS1_3repE0EEENS1_30default_config_static_selectorELNS0_4arch9wavefront6targetE0EEEvT1_.num_vgpr, 0
	.set _ZN7rocprim17ROCPRIM_400000_NS6detail17trampoline_kernelINS0_14default_configENS1_27scan_by_key_config_selectorIssEEZZNS1_16scan_by_key_implILNS1_25lookback_scan_determinismE0ELb0ES3_N6thrust23THRUST_200600_302600_NS6detail15normal_iteratorINS9_10device_ptrIsEEEENS9_18transform_iteratorINS9_6negateIsEESE_NS9_11use_defaultESI_EESE_sNS9_4plusIvEENS9_8equal_toIvEEsEE10hipError_tPvRmT2_T3_T4_T5_mT6_T7_P12ihipStream_tbENKUlT_T0_E_clISt17integral_constantIbLb0EES14_EEDaSZ_S10_EUlSZ_E_NS1_11comp_targetILNS1_3genE10ELNS1_11target_archE1200ELNS1_3gpuE4ELNS1_3repE0EEENS1_30default_config_static_selectorELNS0_4arch9wavefront6targetE0EEEvT1_.num_agpr, 0
	.set _ZN7rocprim17ROCPRIM_400000_NS6detail17trampoline_kernelINS0_14default_configENS1_27scan_by_key_config_selectorIssEEZZNS1_16scan_by_key_implILNS1_25lookback_scan_determinismE0ELb0ES3_N6thrust23THRUST_200600_302600_NS6detail15normal_iteratorINS9_10device_ptrIsEEEENS9_18transform_iteratorINS9_6negateIsEESE_NS9_11use_defaultESI_EESE_sNS9_4plusIvEENS9_8equal_toIvEEsEE10hipError_tPvRmT2_T3_T4_T5_mT6_T7_P12ihipStream_tbENKUlT_T0_E_clISt17integral_constantIbLb0EES14_EEDaSZ_S10_EUlSZ_E_NS1_11comp_targetILNS1_3genE10ELNS1_11target_archE1200ELNS1_3gpuE4ELNS1_3repE0EEENS1_30default_config_static_selectorELNS0_4arch9wavefront6targetE0EEEvT1_.numbered_sgpr, 0
	.set _ZN7rocprim17ROCPRIM_400000_NS6detail17trampoline_kernelINS0_14default_configENS1_27scan_by_key_config_selectorIssEEZZNS1_16scan_by_key_implILNS1_25lookback_scan_determinismE0ELb0ES3_N6thrust23THRUST_200600_302600_NS6detail15normal_iteratorINS9_10device_ptrIsEEEENS9_18transform_iteratorINS9_6negateIsEESE_NS9_11use_defaultESI_EESE_sNS9_4plusIvEENS9_8equal_toIvEEsEE10hipError_tPvRmT2_T3_T4_T5_mT6_T7_P12ihipStream_tbENKUlT_T0_E_clISt17integral_constantIbLb0EES14_EEDaSZ_S10_EUlSZ_E_NS1_11comp_targetILNS1_3genE10ELNS1_11target_archE1200ELNS1_3gpuE4ELNS1_3repE0EEENS1_30default_config_static_selectorELNS0_4arch9wavefront6targetE0EEEvT1_.num_named_barrier, 0
	.set _ZN7rocprim17ROCPRIM_400000_NS6detail17trampoline_kernelINS0_14default_configENS1_27scan_by_key_config_selectorIssEEZZNS1_16scan_by_key_implILNS1_25lookback_scan_determinismE0ELb0ES3_N6thrust23THRUST_200600_302600_NS6detail15normal_iteratorINS9_10device_ptrIsEEEENS9_18transform_iteratorINS9_6negateIsEESE_NS9_11use_defaultESI_EESE_sNS9_4plusIvEENS9_8equal_toIvEEsEE10hipError_tPvRmT2_T3_T4_T5_mT6_T7_P12ihipStream_tbENKUlT_T0_E_clISt17integral_constantIbLb0EES14_EEDaSZ_S10_EUlSZ_E_NS1_11comp_targetILNS1_3genE10ELNS1_11target_archE1200ELNS1_3gpuE4ELNS1_3repE0EEENS1_30default_config_static_selectorELNS0_4arch9wavefront6targetE0EEEvT1_.private_seg_size, 0
	.set _ZN7rocprim17ROCPRIM_400000_NS6detail17trampoline_kernelINS0_14default_configENS1_27scan_by_key_config_selectorIssEEZZNS1_16scan_by_key_implILNS1_25lookback_scan_determinismE0ELb0ES3_N6thrust23THRUST_200600_302600_NS6detail15normal_iteratorINS9_10device_ptrIsEEEENS9_18transform_iteratorINS9_6negateIsEESE_NS9_11use_defaultESI_EESE_sNS9_4plusIvEENS9_8equal_toIvEEsEE10hipError_tPvRmT2_T3_T4_T5_mT6_T7_P12ihipStream_tbENKUlT_T0_E_clISt17integral_constantIbLb0EES14_EEDaSZ_S10_EUlSZ_E_NS1_11comp_targetILNS1_3genE10ELNS1_11target_archE1200ELNS1_3gpuE4ELNS1_3repE0EEENS1_30default_config_static_selectorELNS0_4arch9wavefront6targetE0EEEvT1_.uses_vcc, 0
	.set _ZN7rocprim17ROCPRIM_400000_NS6detail17trampoline_kernelINS0_14default_configENS1_27scan_by_key_config_selectorIssEEZZNS1_16scan_by_key_implILNS1_25lookback_scan_determinismE0ELb0ES3_N6thrust23THRUST_200600_302600_NS6detail15normal_iteratorINS9_10device_ptrIsEEEENS9_18transform_iteratorINS9_6negateIsEESE_NS9_11use_defaultESI_EESE_sNS9_4plusIvEENS9_8equal_toIvEEsEE10hipError_tPvRmT2_T3_T4_T5_mT6_T7_P12ihipStream_tbENKUlT_T0_E_clISt17integral_constantIbLb0EES14_EEDaSZ_S10_EUlSZ_E_NS1_11comp_targetILNS1_3genE10ELNS1_11target_archE1200ELNS1_3gpuE4ELNS1_3repE0EEENS1_30default_config_static_selectorELNS0_4arch9wavefront6targetE0EEEvT1_.uses_flat_scratch, 0
	.set _ZN7rocprim17ROCPRIM_400000_NS6detail17trampoline_kernelINS0_14default_configENS1_27scan_by_key_config_selectorIssEEZZNS1_16scan_by_key_implILNS1_25lookback_scan_determinismE0ELb0ES3_N6thrust23THRUST_200600_302600_NS6detail15normal_iteratorINS9_10device_ptrIsEEEENS9_18transform_iteratorINS9_6negateIsEESE_NS9_11use_defaultESI_EESE_sNS9_4plusIvEENS9_8equal_toIvEEsEE10hipError_tPvRmT2_T3_T4_T5_mT6_T7_P12ihipStream_tbENKUlT_T0_E_clISt17integral_constantIbLb0EES14_EEDaSZ_S10_EUlSZ_E_NS1_11comp_targetILNS1_3genE10ELNS1_11target_archE1200ELNS1_3gpuE4ELNS1_3repE0EEENS1_30default_config_static_selectorELNS0_4arch9wavefront6targetE0EEEvT1_.has_dyn_sized_stack, 0
	.set _ZN7rocprim17ROCPRIM_400000_NS6detail17trampoline_kernelINS0_14default_configENS1_27scan_by_key_config_selectorIssEEZZNS1_16scan_by_key_implILNS1_25lookback_scan_determinismE0ELb0ES3_N6thrust23THRUST_200600_302600_NS6detail15normal_iteratorINS9_10device_ptrIsEEEENS9_18transform_iteratorINS9_6negateIsEESE_NS9_11use_defaultESI_EESE_sNS9_4plusIvEENS9_8equal_toIvEEsEE10hipError_tPvRmT2_T3_T4_T5_mT6_T7_P12ihipStream_tbENKUlT_T0_E_clISt17integral_constantIbLb0EES14_EEDaSZ_S10_EUlSZ_E_NS1_11comp_targetILNS1_3genE10ELNS1_11target_archE1200ELNS1_3gpuE4ELNS1_3repE0EEENS1_30default_config_static_selectorELNS0_4arch9wavefront6targetE0EEEvT1_.has_recursion, 0
	.set _ZN7rocprim17ROCPRIM_400000_NS6detail17trampoline_kernelINS0_14default_configENS1_27scan_by_key_config_selectorIssEEZZNS1_16scan_by_key_implILNS1_25lookback_scan_determinismE0ELb0ES3_N6thrust23THRUST_200600_302600_NS6detail15normal_iteratorINS9_10device_ptrIsEEEENS9_18transform_iteratorINS9_6negateIsEESE_NS9_11use_defaultESI_EESE_sNS9_4plusIvEENS9_8equal_toIvEEsEE10hipError_tPvRmT2_T3_T4_T5_mT6_T7_P12ihipStream_tbENKUlT_T0_E_clISt17integral_constantIbLb0EES14_EEDaSZ_S10_EUlSZ_E_NS1_11comp_targetILNS1_3genE10ELNS1_11target_archE1200ELNS1_3gpuE4ELNS1_3repE0EEENS1_30default_config_static_selectorELNS0_4arch9wavefront6targetE0EEEvT1_.has_indirect_call, 0
	.section	.AMDGPU.csdata,"",@progbits
; Kernel info:
; codeLenInByte = 0
; TotalNumSgprs: 0
; NumVgprs: 0
; ScratchSize: 0
; MemoryBound: 0
; FloatMode: 240
; IeeeMode: 1
; LDSByteSize: 0 bytes/workgroup (compile time only)
; SGPRBlocks: 0
; VGPRBlocks: 0
; NumSGPRsForWavesPerEU: 1
; NumVGPRsForWavesPerEU: 1
; NamedBarCnt: 0
; Occupancy: 16
; WaveLimiterHint : 0
; COMPUTE_PGM_RSRC2:SCRATCH_EN: 0
; COMPUTE_PGM_RSRC2:USER_SGPR: 2
; COMPUTE_PGM_RSRC2:TRAP_HANDLER: 0
; COMPUTE_PGM_RSRC2:TGID_X_EN: 1
; COMPUTE_PGM_RSRC2:TGID_Y_EN: 0
; COMPUTE_PGM_RSRC2:TGID_Z_EN: 0
; COMPUTE_PGM_RSRC2:TIDIG_COMP_CNT: 0
	.section	.text._ZN7rocprim17ROCPRIM_400000_NS6detail17trampoline_kernelINS0_14default_configENS1_27scan_by_key_config_selectorIssEEZZNS1_16scan_by_key_implILNS1_25lookback_scan_determinismE0ELb0ES3_N6thrust23THRUST_200600_302600_NS6detail15normal_iteratorINS9_10device_ptrIsEEEENS9_18transform_iteratorINS9_6negateIsEESE_NS9_11use_defaultESI_EESE_sNS9_4plusIvEENS9_8equal_toIvEEsEE10hipError_tPvRmT2_T3_T4_T5_mT6_T7_P12ihipStream_tbENKUlT_T0_E_clISt17integral_constantIbLb0EES14_EEDaSZ_S10_EUlSZ_E_NS1_11comp_targetILNS1_3genE9ELNS1_11target_archE1100ELNS1_3gpuE3ELNS1_3repE0EEENS1_30default_config_static_selectorELNS0_4arch9wavefront6targetE0EEEvT1_,"axG",@progbits,_ZN7rocprim17ROCPRIM_400000_NS6detail17trampoline_kernelINS0_14default_configENS1_27scan_by_key_config_selectorIssEEZZNS1_16scan_by_key_implILNS1_25lookback_scan_determinismE0ELb0ES3_N6thrust23THRUST_200600_302600_NS6detail15normal_iteratorINS9_10device_ptrIsEEEENS9_18transform_iteratorINS9_6negateIsEESE_NS9_11use_defaultESI_EESE_sNS9_4plusIvEENS9_8equal_toIvEEsEE10hipError_tPvRmT2_T3_T4_T5_mT6_T7_P12ihipStream_tbENKUlT_T0_E_clISt17integral_constantIbLb0EES14_EEDaSZ_S10_EUlSZ_E_NS1_11comp_targetILNS1_3genE9ELNS1_11target_archE1100ELNS1_3gpuE3ELNS1_3repE0EEENS1_30default_config_static_selectorELNS0_4arch9wavefront6targetE0EEEvT1_,comdat
	.protected	_ZN7rocprim17ROCPRIM_400000_NS6detail17trampoline_kernelINS0_14default_configENS1_27scan_by_key_config_selectorIssEEZZNS1_16scan_by_key_implILNS1_25lookback_scan_determinismE0ELb0ES3_N6thrust23THRUST_200600_302600_NS6detail15normal_iteratorINS9_10device_ptrIsEEEENS9_18transform_iteratorINS9_6negateIsEESE_NS9_11use_defaultESI_EESE_sNS9_4plusIvEENS9_8equal_toIvEEsEE10hipError_tPvRmT2_T3_T4_T5_mT6_T7_P12ihipStream_tbENKUlT_T0_E_clISt17integral_constantIbLb0EES14_EEDaSZ_S10_EUlSZ_E_NS1_11comp_targetILNS1_3genE9ELNS1_11target_archE1100ELNS1_3gpuE3ELNS1_3repE0EEENS1_30default_config_static_selectorELNS0_4arch9wavefront6targetE0EEEvT1_ ; -- Begin function _ZN7rocprim17ROCPRIM_400000_NS6detail17trampoline_kernelINS0_14default_configENS1_27scan_by_key_config_selectorIssEEZZNS1_16scan_by_key_implILNS1_25lookback_scan_determinismE0ELb0ES3_N6thrust23THRUST_200600_302600_NS6detail15normal_iteratorINS9_10device_ptrIsEEEENS9_18transform_iteratorINS9_6negateIsEESE_NS9_11use_defaultESI_EESE_sNS9_4plusIvEENS9_8equal_toIvEEsEE10hipError_tPvRmT2_T3_T4_T5_mT6_T7_P12ihipStream_tbENKUlT_T0_E_clISt17integral_constantIbLb0EES14_EEDaSZ_S10_EUlSZ_E_NS1_11comp_targetILNS1_3genE9ELNS1_11target_archE1100ELNS1_3gpuE3ELNS1_3repE0EEENS1_30default_config_static_selectorELNS0_4arch9wavefront6targetE0EEEvT1_
	.globl	_ZN7rocprim17ROCPRIM_400000_NS6detail17trampoline_kernelINS0_14default_configENS1_27scan_by_key_config_selectorIssEEZZNS1_16scan_by_key_implILNS1_25lookback_scan_determinismE0ELb0ES3_N6thrust23THRUST_200600_302600_NS6detail15normal_iteratorINS9_10device_ptrIsEEEENS9_18transform_iteratorINS9_6negateIsEESE_NS9_11use_defaultESI_EESE_sNS9_4plusIvEENS9_8equal_toIvEEsEE10hipError_tPvRmT2_T3_T4_T5_mT6_T7_P12ihipStream_tbENKUlT_T0_E_clISt17integral_constantIbLb0EES14_EEDaSZ_S10_EUlSZ_E_NS1_11comp_targetILNS1_3genE9ELNS1_11target_archE1100ELNS1_3gpuE3ELNS1_3repE0EEENS1_30default_config_static_selectorELNS0_4arch9wavefront6targetE0EEEvT1_
	.p2align	8
	.type	_ZN7rocprim17ROCPRIM_400000_NS6detail17trampoline_kernelINS0_14default_configENS1_27scan_by_key_config_selectorIssEEZZNS1_16scan_by_key_implILNS1_25lookback_scan_determinismE0ELb0ES3_N6thrust23THRUST_200600_302600_NS6detail15normal_iteratorINS9_10device_ptrIsEEEENS9_18transform_iteratorINS9_6negateIsEESE_NS9_11use_defaultESI_EESE_sNS9_4plusIvEENS9_8equal_toIvEEsEE10hipError_tPvRmT2_T3_T4_T5_mT6_T7_P12ihipStream_tbENKUlT_T0_E_clISt17integral_constantIbLb0EES14_EEDaSZ_S10_EUlSZ_E_NS1_11comp_targetILNS1_3genE9ELNS1_11target_archE1100ELNS1_3gpuE3ELNS1_3repE0EEENS1_30default_config_static_selectorELNS0_4arch9wavefront6targetE0EEEvT1_,@function
_ZN7rocprim17ROCPRIM_400000_NS6detail17trampoline_kernelINS0_14default_configENS1_27scan_by_key_config_selectorIssEEZZNS1_16scan_by_key_implILNS1_25lookback_scan_determinismE0ELb0ES3_N6thrust23THRUST_200600_302600_NS6detail15normal_iteratorINS9_10device_ptrIsEEEENS9_18transform_iteratorINS9_6negateIsEESE_NS9_11use_defaultESI_EESE_sNS9_4plusIvEENS9_8equal_toIvEEsEE10hipError_tPvRmT2_T3_T4_T5_mT6_T7_P12ihipStream_tbENKUlT_T0_E_clISt17integral_constantIbLb0EES14_EEDaSZ_S10_EUlSZ_E_NS1_11comp_targetILNS1_3genE9ELNS1_11target_archE1100ELNS1_3gpuE3ELNS1_3repE0EEENS1_30default_config_static_selectorELNS0_4arch9wavefront6targetE0EEEvT1_: ; @_ZN7rocprim17ROCPRIM_400000_NS6detail17trampoline_kernelINS0_14default_configENS1_27scan_by_key_config_selectorIssEEZZNS1_16scan_by_key_implILNS1_25lookback_scan_determinismE0ELb0ES3_N6thrust23THRUST_200600_302600_NS6detail15normal_iteratorINS9_10device_ptrIsEEEENS9_18transform_iteratorINS9_6negateIsEESE_NS9_11use_defaultESI_EESE_sNS9_4plusIvEENS9_8equal_toIvEEsEE10hipError_tPvRmT2_T3_T4_T5_mT6_T7_P12ihipStream_tbENKUlT_T0_E_clISt17integral_constantIbLb0EES14_EEDaSZ_S10_EUlSZ_E_NS1_11comp_targetILNS1_3genE9ELNS1_11target_archE1100ELNS1_3gpuE3ELNS1_3repE0EEENS1_30default_config_static_selectorELNS0_4arch9wavefront6targetE0EEEvT1_
; %bb.0:
	.section	.rodata,"a",@progbits
	.p2align	6, 0x0
	.amdhsa_kernel _ZN7rocprim17ROCPRIM_400000_NS6detail17trampoline_kernelINS0_14default_configENS1_27scan_by_key_config_selectorIssEEZZNS1_16scan_by_key_implILNS1_25lookback_scan_determinismE0ELb0ES3_N6thrust23THRUST_200600_302600_NS6detail15normal_iteratorINS9_10device_ptrIsEEEENS9_18transform_iteratorINS9_6negateIsEESE_NS9_11use_defaultESI_EESE_sNS9_4plusIvEENS9_8equal_toIvEEsEE10hipError_tPvRmT2_T3_T4_T5_mT6_T7_P12ihipStream_tbENKUlT_T0_E_clISt17integral_constantIbLb0EES14_EEDaSZ_S10_EUlSZ_E_NS1_11comp_targetILNS1_3genE9ELNS1_11target_archE1100ELNS1_3gpuE3ELNS1_3repE0EEENS1_30default_config_static_selectorELNS0_4arch9wavefront6targetE0EEEvT1_
		.amdhsa_group_segment_fixed_size 0
		.amdhsa_private_segment_fixed_size 0
		.amdhsa_kernarg_size 120
		.amdhsa_user_sgpr_count 2
		.amdhsa_user_sgpr_dispatch_ptr 0
		.amdhsa_user_sgpr_queue_ptr 0
		.amdhsa_user_sgpr_kernarg_segment_ptr 1
		.amdhsa_user_sgpr_dispatch_id 0
		.amdhsa_user_sgpr_kernarg_preload_length 0
		.amdhsa_user_sgpr_kernarg_preload_offset 0
		.amdhsa_user_sgpr_private_segment_size 0
		.amdhsa_wavefront_size32 1
		.amdhsa_uses_dynamic_stack 0
		.amdhsa_enable_private_segment 0
		.amdhsa_system_sgpr_workgroup_id_x 1
		.amdhsa_system_sgpr_workgroup_id_y 0
		.amdhsa_system_sgpr_workgroup_id_z 0
		.amdhsa_system_sgpr_workgroup_info 0
		.amdhsa_system_vgpr_workitem_id 0
		.amdhsa_next_free_vgpr 1
		.amdhsa_next_free_sgpr 1
		.amdhsa_named_barrier_count 0
		.amdhsa_reserve_vcc 0
		.amdhsa_float_round_mode_32 0
		.amdhsa_float_round_mode_16_64 0
		.amdhsa_float_denorm_mode_32 3
		.amdhsa_float_denorm_mode_16_64 3
		.amdhsa_fp16_overflow 0
		.amdhsa_memory_ordered 1
		.amdhsa_forward_progress 1
		.amdhsa_inst_pref_size 0
		.amdhsa_round_robin_scheduling 0
		.amdhsa_exception_fp_ieee_invalid_op 0
		.amdhsa_exception_fp_denorm_src 0
		.amdhsa_exception_fp_ieee_div_zero 0
		.amdhsa_exception_fp_ieee_overflow 0
		.amdhsa_exception_fp_ieee_underflow 0
		.amdhsa_exception_fp_ieee_inexact 0
		.amdhsa_exception_int_div_zero 0
	.end_amdhsa_kernel
	.section	.text._ZN7rocprim17ROCPRIM_400000_NS6detail17trampoline_kernelINS0_14default_configENS1_27scan_by_key_config_selectorIssEEZZNS1_16scan_by_key_implILNS1_25lookback_scan_determinismE0ELb0ES3_N6thrust23THRUST_200600_302600_NS6detail15normal_iteratorINS9_10device_ptrIsEEEENS9_18transform_iteratorINS9_6negateIsEESE_NS9_11use_defaultESI_EESE_sNS9_4plusIvEENS9_8equal_toIvEEsEE10hipError_tPvRmT2_T3_T4_T5_mT6_T7_P12ihipStream_tbENKUlT_T0_E_clISt17integral_constantIbLb0EES14_EEDaSZ_S10_EUlSZ_E_NS1_11comp_targetILNS1_3genE9ELNS1_11target_archE1100ELNS1_3gpuE3ELNS1_3repE0EEENS1_30default_config_static_selectorELNS0_4arch9wavefront6targetE0EEEvT1_,"axG",@progbits,_ZN7rocprim17ROCPRIM_400000_NS6detail17trampoline_kernelINS0_14default_configENS1_27scan_by_key_config_selectorIssEEZZNS1_16scan_by_key_implILNS1_25lookback_scan_determinismE0ELb0ES3_N6thrust23THRUST_200600_302600_NS6detail15normal_iteratorINS9_10device_ptrIsEEEENS9_18transform_iteratorINS9_6negateIsEESE_NS9_11use_defaultESI_EESE_sNS9_4plusIvEENS9_8equal_toIvEEsEE10hipError_tPvRmT2_T3_T4_T5_mT6_T7_P12ihipStream_tbENKUlT_T0_E_clISt17integral_constantIbLb0EES14_EEDaSZ_S10_EUlSZ_E_NS1_11comp_targetILNS1_3genE9ELNS1_11target_archE1100ELNS1_3gpuE3ELNS1_3repE0EEENS1_30default_config_static_selectorELNS0_4arch9wavefront6targetE0EEEvT1_,comdat
.Lfunc_end972:
	.size	_ZN7rocprim17ROCPRIM_400000_NS6detail17trampoline_kernelINS0_14default_configENS1_27scan_by_key_config_selectorIssEEZZNS1_16scan_by_key_implILNS1_25lookback_scan_determinismE0ELb0ES3_N6thrust23THRUST_200600_302600_NS6detail15normal_iteratorINS9_10device_ptrIsEEEENS9_18transform_iteratorINS9_6negateIsEESE_NS9_11use_defaultESI_EESE_sNS9_4plusIvEENS9_8equal_toIvEEsEE10hipError_tPvRmT2_T3_T4_T5_mT6_T7_P12ihipStream_tbENKUlT_T0_E_clISt17integral_constantIbLb0EES14_EEDaSZ_S10_EUlSZ_E_NS1_11comp_targetILNS1_3genE9ELNS1_11target_archE1100ELNS1_3gpuE3ELNS1_3repE0EEENS1_30default_config_static_selectorELNS0_4arch9wavefront6targetE0EEEvT1_, .Lfunc_end972-_ZN7rocprim17ROCPRIM_400000_NS6detail17trampoline_kernelINS0_14default_configENS1_27scan_by_key_config_selectorIssEEZZNS1_16scan_by_key_implILNS1_25lookback_scan_determinismE0ELb0ES3_N6thrust23THRUST_200600_302600_NS6detail15normal_iteratorINS9_10device_ptrIsEEEENS9_18transform_iteratorINS9_6negateIsEESE_NS9_11use_defaultESI_EESE_sNS9_4plusIvEENS9_8equal_toIvEEsEE10hipError_tPvRmT2_T3_T4_T5_mT6_T7_P12ihipStream_tbENKUlT_T0_E_clISt17integral_constantIbLb0EES14_EEDaSZ_S10_EUlSZ_E_NS1_11comp_targetILNS1_3genE9ELNS1_11target_archE1100ELNS1_3gpuE3ELNS1_3repE0EEENS1_30default_config_static_selectorELNS0_4arch9wavefront6targetE0EEEvT1_
                                        ; -- End function
	.set _ZN7rocprim17ROCPRIM_400000_NS6detail17trampoline_kernelINS0_14default_configENS1_27scan_by_key_config_selectorIssEEZZNS1_16scan_by_key_implILNS1_25lookback_scan_determinismE0ELb0ES3_N6thrust23THRUST_200600_302600_NS6detail15normal_iteratorINS9_10device_ptrIsEEEENS9_18transform_iteratorINS9_6negateIsEESE_NS9_11use_defaultESI_EESE_sNS9_4plusIvEENS9_8equal_toIvEEsEE10hipError_tPvRmT2_T3_T4_T5_mT6_T7_P12ihipStream_tbENKUlT_T0_E_clISt17integral_constantIbLb0EES14_EEDaSZ_S10_EUlSZ_E_NS1_11comp_targetILNS1_3genE9ELNS1_11target_archE1100ELNS1_3gpuE3ELNS1_3repE0EEENS1_30default_config_static_selectorELNS0_4arch9wavefront6targetE0EEEvT1_.num_vgpr, 0
	.set _ZN7rocprim17ROCPRIM_400000_NS6detail17trampoline_kernelINS0_14default_configENS1_27scan_by_key_config_selectorIssEEZZNS1_16scan_by_key_implILNS1_25lookback_scan_determinismE0ELb0ES3_N6thrust23THRUST_200600_302600_NS6detail15normal_iteratorINS9_10device_ptrIsEEEENS9_18transform_iteratorINS9_6negateIsEESE_NS9_11use_defaultESI_EESE_sNS9_4plusIvEENS9_8equal_toIvEEsEE10hipError_tPvRmT2_T3_T4_T5_mT6_T7_P12ihipStream_tbENKUlT_T0_E_clISt17integral_constantIbLb0EES14_EEDaSZ_S10_EUlSZ_E_NS1_11comp_targetILNS1_3genE9ELNS1_11target_archE1100ELNS1_3gpuE3ELNS1_3repE0EEENS1_30default_config_static_selectorELNS0_4arch9wavefront6targetE0EEEvT1_.num_agpr, 0
	.set _ZN7rocprim17ROCPRIM_400000_NS6detail17trampoline_kernelINS0_14default_configENS1_27scan_by_key_config_selectorIssEEZZNS1_16scan_by_key_implILNS1_25lookback_scan_determinismE0ELb0ES3_N6thrust23THRUST_200600_302600_NS6detail15normal_iteratorINS9_10device_ptrIsEEEENS9_18transform_iteratorINS9_6negateIsEESE_NS9_11use_defaultESI_EESE_sNS9_4plusIvEENS9_8equal_toIvEEsEE10hipError_tPvRmT2_T3_T4_T5_mT6_T7_P12ihipStream_tbENKUlT_T0_E_clISt17integral_constantIbLb0EES14_EEDaSZ_S10_EUlSZ_E_NS1_11comp_targetILNS1_3genE9ELNS1_11target_archE1100ELNS1_3gpuE3ELNS1_3repE0EEENS1_30default_config_static_selectorELNS0_4arch9wavefront6targetE0EEEvT1_.numbered_sgpr, 0
	.set _ZN7rocprim17ROCPRIM_400000_NS6detail17trampoline_kernelINS0_14default_configENS1_27scan_by_key_config_selectorIssEEZZNS1_16scan_by_key_implILNS1_25lookback_scan_determinismE0ELb0ES3_N6thrust23THRUST_200600_302600_NS6detail15normal_iteratorINS9_10device_ptrIsEEEENS9_18transform_iteratorINS9_6negateIsEESE_NS9_11use_defaultESI_EESE_sNS9_4plusIvEENS9_8equal_toIvEEsEE10hipError_tPvRmT2_T3_T4_T5_mT6_T7_P12ihipStream_tbENKUlT_T0_E_clISt17integral_constantIbLb0EES14_EEDaSZ_S10_EUlSZ_E_NS1_11comp_targetILNS1_3genE9ELNS1_11target_archE1100ELNS1_3gpuE3ELNS1_3repE0EEENS1_30default_config_static_selectorELNS0_4arch9wavefront6targetE0EEEvT1_.num_named_barrier, 0
	.set _ZN7rocprim17ROCPRIM_400000_NS6detail17trampoline_kernelINS0_14default_configENS1_27scan_by_key_config_selectorIssEEZZNS1_16scan_by_key_implILNS1_25lookback_scan_determinismE0ELb0ES3_N6thrust23THRUST_200600_302600_NS6detail15normal_iteratorINS9_10device_ptrIsEEEENS9_18transform_iteratorINS9_6negateIsEESE_NS9_11use_defaultESI_EESE_sNS9_4plusIvEENS9_8equal_toIvEEsEE10hipError_tPvRmT2_T3_T4_T5_mT6_T7_P12ihipStream_tbENKUlT_T0_E_clISt17integral_constantIbLb0EES14_EEDaSZ_S10_EUlSZ_E_NS1_11comp_targetILNS1_3genE9ELNS1_11target_archE1100ELNS1_3gpuE3ELNS1_3repE0EEENS1_30default_config_static_selectorELNS0_4arch9wavefront6targetE0EEEvT1_.private_seg_size, 0
	.set _ZN7rocprim17ROCPRIM_400000_NS6detail17trampoline_kernelINS0_14default_configENS1_27scan_by_key_config_selectorIssEEZZNS1_16scan_by_key_implILNS1_25lookback_scan_determinismE0ELb0ES3_N6thrust23THRUST_200600_302600_NS6detail15normal_iteratorINS9_10device_ptrIsEEEENS9_18transform_iteratorINS9_6negateIsEESE_NS9_11use_defaultESI_EESE_sNS9_4plusIvEENS9_8equal_toIvEEsEE10hipError_tPvRmT2_T3_T4_T5_mT6_T7_P12ihipStream_tbENKUlT_T0_E_clISt17integral_constantIbLb0EES14_EEDaSZ_S10_EUlSZ_E_NS1_11comp_targetILNS1_3genE9ELNS1_11target_archE1100ELNS1_3gpuE3ELNS1_3repE0EEENS1_30default_config_static_selectorELNS0_4arch9wavefront6targetE0EEEvT1_.uses_vcc, 0
	.set _ZN7rocprim17ROCPRIM_400000_NS6detail17trampoline_kernelINS0_14default_configENS1_27scan_by_key_config_selectorIssEEZZNS1_16scan_by_key_implILNS1_25lookback_scan_determinismE0ELb0ES3_N6thrust23THRUST_200600_302600_NS6detail15normal_iteratorINS9_10device_ptrIsEEEENS9_18transform_iteratorINS9_6negateIsEESE_NS9_11use_defaultESI_EESE_sNS9_4plusIvEENS9_8equal_toIvEEsEE10hipError_tPvRmT2_T3_T4_T5_mT6_T7_P12ihipStream_tbENKUlT_T0_E_clISt17integral_constantIbLb0EES14_EEDaSZ_S10_EUlSZ_E_NS1_11comp_targetILNS1_3genE9ELNS1_11target_archE1100ELNS1_3gpuE3ELNS1_3repE0EEENS1_30default_config_static_selectorELNS0_4arch9wavefront6targetE0EEEvT1_.uses_flat_scratch, 0
	.set _ZN7rocprim17ROCPRIM_400000_NS6detail17trampoline_kernelINS0_14default_configENS1_27scan_by_key_config_selectorIssEEZZNS1_16scan_by_key_implILNS1_25lookback_scan_determinismE0ELb0ES3_N6thrust23THRUST_200600_302600_NS6detail15normal_iteratorINS9_10device_ptrIsEEEENS9_18transform_iteratorINS9_6negateIsEESE_NS9_11use_defaultESI_EESE_sNS9_4plusIvEENS9_8equal_toIvEEsEE10hipError_tPvRmT2_T3_T4_T5_mT6_T7_P12ihipStream_tbENKUlT_T0_E_clISt17integral_constantIbLb0EES14_EEDaSZ_S10_EUlSZ_E_NS1_11comp_targetILNS1_3genE9ELNS1_11target_archE1100ELNS1_3gpuE3ELNS1_3repE0EEENS1_30default_config_static_selectorELNS0_4arch9wavefront6targetE0EEEvT1_.has_dyn_sized_stack, 0
	.set _ZN7rocprim17ROCPRIM_400000_NS6detail17trampoline_kernelINS0_14default_configENS1_27scan_by_key_config_selectorIssEEZZNS1_16scan_by_key_implILNS1_25lookback_scan_determinismE0ELb0ES3_N6thrust23THRUST_200600_302600_NS6detail15normal_iteratorINS9_10device_ptrIsEEEENS9_18transform_iteratorINS9_6negateIsEESE_NS9_11use_defaultESI_EESE_sNS9_4plusIvEENS9_8equal_toIvEEsEE10hipError_tPvRmT2_T3_T4_T5_mT6_T7_P12ihipStream_tbENKUlT_T0_E_clISt17integral_constantIbLb0EES14_EEDaSZ_S10_EUlSZ_E_NS1_11comp_targetILNS1_3genE9ELNS1_11target_archE1100ELNS1_3gpuE3ELNS1_3repE0EEENS1_30default_config_static_selectorELNS0_4arch9wavefront6targetE0EEEvT1_.has_recursion, 0
	.set _ZN7rocprim17ROCPRIM_400000_NS6detail17trampoline_kernelINS0_14default_configENS1_27scan_by_key_config_selectorIssEEZZNS1_16scan_by_key_implILNS1_25lookback_scan_determinismE0ELb0ES3_N6thrust23THRUST_200600_302600_NS6detail15normal_iteratorINS9_10device_ptrIsEEEENS9_18transform_iteratorINS9_6negateIsEESE_NS9_11use_defaultESI_EESE_sNS9_4plusIvEENS9_8equal_toIvEEsEE10hipError_tPvRmT2_T3_T4_T5_mT6_T7_P12ihipStream_tbENKUlT_T0_E_clISt17integral_constantIbLb0EES14_EEDaSZ_S10_EUlSZ_E_NS1_11comp_targetILNS1_3genE9ELNS1_11target_archE1100ELNS1_3gpuE3ELNS1_3repE0EEENS1_30default_config_static_selectorELNS0_4arch9wavefront6targetE0EEEvT1_.has_indirect_call, 0
	.section	.AMDGPU.csdata,"",@progbits
; Kernel info:
; codeLenInByte = 0
; TotalNumSgprs: 0
; NumVgprs: 0
; ScratchSize: 0
; MemoryBound: 0
; FloatMode: 240
; IeeeMode: 1
; LDSByteSize: 0 bytes/workgroup (compile time only)
; SGPRBlocks: 0
; VGPRBlocks: 0
; NumSGPRsForWavesPerEU: 1
; NumVGPRsForWavesPerEU: 1
; NamedBarCnt: 0
; Occupancy: 16
; WaveLimiterHint : 0
; COMPUTE_PGM_RSRC2:SCRATCH_EN: 0
; COMPUTE_PGM_RSRC2:USER_SGPR: 2
; COMPUTE_PGM_RSRC2:TRAP_HANDLER: 0
; COMPUTE_PGM_RSRC2:TGID_X_EN: 1
; COMPUTE_PGM_RSRC2:TGID_Y_EN: 0
; COMPUTE_PGM_RSRC2:TGID_Z_EN: 0
; COMPUTE_PGM_RSRC2:TIDIG_COMP_CNT: 0
	.section	.text._ZN7rocprim17ROCPRIM_400000_NS6detail17trampoline_kernelINS0_14default_configENS1_27scan_by_key_config_selectorIssEEZZNS1_16scan_by_key_implILNS1_25lookback_scan_determinismE0ELb0ES3_N6thrust23THRUST_200600_302600_NS6detail15normal_iteratorINS9_10device_ptrIsEEEENS9_18transform_iteratorINS9_6negateIsEESE_NS9_11use_defaultESI_EESE_sNS9_4plusIvEENS9_8equal_toIvEEsEE10hipError_tPvRmT2_T3_T4_T5_mT6_T7_P12ihipStream_tbENKUlT_T0_E_clISt17integral_constantIbLb0EES14_EEDaSZ_S10_EUlSZ_E_NS1_11comp_targetILNS1_3genE8ELNS1_11target_archE1030ELNS1_3gpuE2ELNS1_3repE0EEENS1_30default_config_static_selectorELNS0_4arch9wavefront6targetE0EEEvT1_,"axG",@progbits,_ZN7rocprim17ROCPRIM_400000_NS6detail17trampoline_kernelINS0_14default_configENS1_27scan_by_key_config_selectorIssEEZZNS1_16scan_by_key_implILNS1_25lookback_scan_determinismE0ELb0ES3_N6thrust23THRUST_200600_302600_NS6detail15normal_iteratorINS9_10device_ptrIsEEEENS9_18transform_iteratorINS9_6negateIsEESE_NS9_11use_defaultESI_EESE_sNS9_4plusIvEENS9_8equal_toIvEEsEE10hipError_tPvRmT2_T3_T4_T5_mT6_T7_P12ihipStream_tbENKUlT_T0_E_clISt17integral_constantIbLb0EES14_EEDaSZ_S10_EUlSZ_E_NS1_11comp_targetILNS1_3genE8ELNS1_11target_archE1030ELNS1_3gpuE2ELNS1_3repE0EEENS1_30default_config_static_selectorELNS0_4arch9wavefront6targetE0EEEvT1_,comdat
	.protected	_ZN7rocprim17ROCPRIM_400000_NS6detail17trampoline_kernelINS0_14default_configENS1_27scan_by_key_config_selectorIssEEZZNS1_16scan_by_key_implILNS1_25lookback_scan_determinismE0ELb0ES3_N6thrust23THRUST_200600_302600_NS6detail15normal_iteratorINS9_10device_ptrIsEEEENS9_18transform_iteratorINS9_6negateIsEESE_NS9_11use_defaultESI_EESE_sNS9_4plusIvEENS9_8equal_toIvEEsEE10hipError_tPvRmT2_T3_T4_T5_mT6_T7_P12ihipStream_tbENKUlT_T0_E_clISt17integral_constantIbLb0EES14_EEDaSZ_S10_EUlSZ_E_NS1_11comp_targetILNS1_3genE8ELNS1_11target_archE1030ELNS1_3gpuE2ELNS1_3repE0EEENS1_30default_config_static_selectorELNS0_4arch9wavefront6targetE0EEEvT1_ ; -- Begin function _ZN7rocprim17ROCPRIM_400000_NS6detail17trampoline_kernelINS0_14default_configENS1_27scan_by_key_config_selectorIssEEZZNS1_16scan_by_key_implILNS1_25lookback_scan_determinismE0ELb0ES3_N6thrust23THRUST_200600_302600_NS6detail15normal_iteratorINS9_10device_ptrIsEEEENS9_18transform_iteratorINS9_6negateIsEESE_NS9_11use_defaultESI_EESE_sNS9_4plusIvEENS9_8equal_toIvEEsEE10hipError_tPvRmT2_T3_T4_T5_mT6_T7_P12ihipStream_tbENKUlT_T0_E_clISt17integral_constantIbLb0EES14_EEDaSZ_S10_EUlSZ_E_NS1_11comp_targetILNS1_3genE8ELNS1_11target_archE1030ELNS1_3gpuE2ELNS1_3repE0EEENS1_30default_config_static_selectorELNS0_4arch9wavefront6targetE0EEEvT1_
	.globl	_ZN7rocprim17ROCPRIM_400000_NS6detail17trampoline_kernelINS0_14default_configENS1_27scan_by_key_config_selectorIssEEZZNS1_16scan_by_key_implILNS1_25lookback_scan_determinismE0ELb0ES3_N6thrust23THRUST_200600_302600_NS6detail15normal_iteratorINS9_10device_ptrIsEEEENS9_18transform_iteratorINS9_6negateIsEESE_NS9_11use_defaultESI_EESE_sNS9_4plusIvEENS9_8equal_toIvEEsEE10hipError_tPvRmT2_T3_T4_T5_mT6_T7_P12ihipStream_tbENKUlT_T0_E_clISt17integral_constantIbLb0EES14_EEDaSZ_S10_EUlSZ_E_NS1_11comp_targetILNS1_3genE8ELNS1_11target_archE1030ELNS1_3gpuE2ELNS1_3repE0EEENS1_30default_config_static_selectorELNS0_4arch9wavefront6targetE0EEEvT1_
	.p2align	8
	.type	_ZN7rocprim17ROCPRIM_400000_NS6detail17trampoline_kernelINS0_14default_configENS1_27scan_by_key_config_selectorIssEEZZNS1_16scan_by_key_implILNS1_25lookback_scan_determinismE0ELb0ES3_N6thrust23THRUST_200600_302600_NS6detail15normal_iteratorINS9_10device_ptrIsEEEENS9_18transform_iteratorINS9_6negateIsEESE_NS9_11use_defaultESI_EESE_sNS9_4plusIvEENS9_8equal_toIvEEsEE10hipError_tPvRmT2_T3_T4_T5_mT6_T7_P12ihipStream_tbENKUlT_T0_E_clISt17integral_constantIbLb0EES14_EEDaSZ_S10_EUlSZ_E_NS1_11comp_targetILNS1_3genE8ELNS1_11target_archE1030ELNS1_3gpuE2ELNS1_3repE0EEENS1_30default_config_static_selectorELNS0_4arch9wavefront6targetE0EEEvT1_,@function
_ZN7rocprim17ROCPRIM_400000_NS6detail17trampoline_kernelINS0_14default_configENS1_27scan_by_key_config_selectorIssEEZZNS1_16scan_by_key_implILNS1_25lookback_scan_determinismE0ELb0ES3_N6thrust23THRUST_200600_302600_NS6detail15normal_iteratorINS9_10device_ptrIsEEEENS9_18transform_iteratorINS9_6negateIsEESE_NS9_11use_defaultESI_EESE_sNS9_4plusIvEENS9_8equal_toIvEEsEE10hipError_tPvRmT2_T3_T4_T5_mT6_T7_P12ihipStream_tbENKUlT_T0_E_clISt17integral_constantIbLb0EES14_EEDaSZ_S10_EUlSZ_E_NS1_11comp_targetILNS1_3genE8ELNS1_11target_archE1030ELNS1_3gpuE2ELNS1_3repE0EEENS1_30default_config_static_selectorELNS0_4arch9wavefront6targetE0EEEvT1_: ; @_ZN7rocprim17ROCPRIM_400000_NS6detail17trampoline_kernelINS0_14default_configENS1_27scan_by_key_config_selectorIssEEZZNS1_16scan_by_key_implILNS1_25lookback_scan_determinismE0ELb0ES3_N6thrust23THRUST_200600_302600_NS6detail15normal_iteratorINS9_10device_ptrIsEEEENS9_18transform_iteratorINS9_6negateIsEESE_NS9_11use_defaultESI_EESE_sNS9_4plusIvEENS9_8equal_toIvEEsEE10hipError_tPvRmT2_T3_T4_T5_mT6_T7_P12ihipStream_tbENKUlT_T0_E_clISt17integral_constantIbLb0EES14_EEDaSZ_S10_EUlSZ_E_NS1_11comp_targetILNS1_3genE8ELNS1_11target_archE1030ELNS1_3gpuE2ELNS1_3repE0EEENS1_30default_config_static_selectorELNS0_4arch9wavefront6targetE0EEEvT1_
; %bb.0:
	.section	.rodata,"a",@progbits
	.p2align	6, 0x0
	.amdhsa_kernel _ZN7rocprim17ROCPRIM_400000_NS6detail17trampoline_kernelINS0_14default_configENS1_27scan_by_key_config_selectorIssEEZZNS1_16scan_by_key_implILNS1_25lookback_scan_determinismE0ELb0ES3_N6thrust23THRUST_200600_302600_NS6detail15normal_iteratorINS9_10device_ptrIsEEEENS9_18transform_iteratorINS9_6negateIsEESE_NS9_11use_defaultESI_EESE_sNS9_4plusIvEENS9_8equal_toIvEEsEE10hipError_tPvRmT2_T3_T4_T5_mT6_T7_P12ihipStream_tbENKUlT_T0_E_clISt17integral_constantIbLb0EES14_EEDaSZ_S10_EUlSZ_E_NS1_11comp_targetILNS1_3genE8ELNS1_11target_archE1030ELNS1_3gpuE2ELNS1_3repE0EEENS1_30default_config_static_selectorELNS0_4arch9wavefront6targetE0EEEvT1_
		.amdhsa_group_segment_fixed_size 0
		.amdhsa_private_segment_fixed_size 0
		.amdhsa_kernarg_size 120
		.amdhsa_user_sgpr_count 2
		.amdhsa_user_sgpr_dispatch_ptr 0
		.amdhsa_user_sgpr_queue_ptr 0
		.amdhsa_user_sgpr_kernarg_segment_ptr 1
		.amdhsa_user_sgpr_dispatch_id 0
		.amdhsa_user_sgpr_kernarg_preload_length 0
		.amdhsa_user_sgpr_kernarg_preload_offset 0
		.amdhsa_user_sgpr_private_segment_size 0
		.amdhsa_wavefront_size32 1
		.amdhsa_uses_dynamic_stack 0
		.amdhsa_enable_private_segment 0
		.amdhsa_system_sgpr_workgroup_id_x 1
		.amdhsa_system_sgpr_workgroup_id_y 0
		.amdhsa_system_sgpr_workgroup_id_z 0
		.amdhsa_system_sgpr_workgroup_info 0
		.amdhsa_system_vgpr_workitem_id 0
		.amdhsa_next_free_vgpr 1
		.amdhsa_next_free_sgpr 1
		.amdhsa_named_barrier_count 0
		.amdhsa_reserve_vcc 0
		.amdhsa_float_round_mode_32 0
		.amdhsa_float_round_mode_16_64 0
		.amdhsa_float_denorm_mode_32 3
		.amdhsa_float_denorm_mode_16_64 3
		.amdhsa_fp16_overflow 0
		.amdhsa_memory_ordered 1
		.amdhsa_forward_progress 1
		.amdhsa_inst_pref_size 0
		.amdhsa_round_robin_scheduling 0
		.amdhsa_exception_fp_ieee_invalid_op 0
		.amdhsa_exception_fp_denorm_src 0
		.amdhsa_exception_fp_ieee_div_zero 0
		.amdhsa_exception_fp_ieee_overflow 0
		.amdhsa_exception_fp_ieee_underflow 0
		.amdhsa_exception_fp_ieee_inexact 0
		.amdhsa_exception_int_div_zero 0
	.end_amdhsa_kernel
	.section	.text._ZN7rocprim17ROCPRIM_400000_NS6detail17trampoline_kernelINS0_14default_configENS1_27scan_by_key_config_selectorIssEEZZNS1_16scan_by_key_implILNS1_25lookback_scan_determinismE0ELb0ES3_N6thrust23THRUST_200600_302600_NS6detail15normal_iteratorINS9_10device_ptrIsEEEENS9_18transform_iteratorINS9_6negateIsEESE_NS9_11use_defaultESI_EESE_sNS9_4plusIvEENS9_8equal_toIvEEsEE10hipError_tPvRmT2_T3_T4_T5_mT6_T7_P12ihipStream_tbENKUlT_T0_E_clISt17integral_constantIbLb0EES14_EEDaSZ_S10_EUlSZ_E_NS1_11comp_targetILNS1_3genE8ELNS1_11target_archE1030ELNS1_3gpuE2ELNS1_3repE0EEENS1_30default_config_static_selectorELNS0_4arch9wavefront6targetE0EEEvT1_,"axG",@progbits,_ZN7rocprim17ROCPRIM_400000_NS6detail17trampoline_kernelINS0_14default_configENS1_27scan_by_key_config_selectorIssEEZZNS1_16scan_by_key_implILNS1_25lookback_scan_determinismE0ELb0ES3_N6thrust23THRUST_200600_302600_NS6detail15normal_iteratorINS9_10device_ptrIsEEEENS9_18transform_iteratorINS9_6negateIsEESE_NS9_11use_defaultESI_EESE_sNS9_4plusIvEENS9_8equal_toIvEEsEE10hipError_tPvRmT2_T3_T4_T5_mT6_T7_P12ihipStream_tbENKUlT_T0_E_clISt17integral_constantIbLb0EES14_EEDaSZ_S10_EUlSZ_E_NS1_11comp_targetILNS1_3genE8ELNS1_11target_archE1030ELNS1_3gpuE2ELNS1_3repE0EEENS1_30default_config_static_selectorELNS0_4arch9wavefront6targetE0EEEvT1_,comdat
.Lfunc_end973:
	.size	_ZN7rocprim17ROCPRIM_400000_NS6detail17trampoline_kernelINS0_14default_configENS1_27scan_by_key_config_selectorIssEEZZNS1_16scan_by_key_implILNS1_25lookback_scan_determinismE0ELb0ES3_N6thrust23THRUST_200600_302600_NS6detail15normal_iteratorINS9_10device_ptrIsEEEENS9_18transform_iteratorINS9_6negateIsEESE_NS9_11use_defaultESI_EESE_sNS9_4plusIvEENS9_8equal_toIvEEsEE10hipError_tPvRmT2_T3_T4_T5_mT6_T7_P12ihipStream_tbENKUlT_T0_E_clISt17integral_constantIbLb0EES14_EEDaSZ_S10_EUlSZ_E_NS1_11comp_targetILNS1_3genE8ELNS1_11target_archE1030ELNS1_3gpuE2ELNS1_3repE0EEENS1_30default_config_static_selectorELNS0_4arch9wavefront6targetE0EEEvT1_, .Lfunc_end973-_ZN7rocprim17ROCPRIM_400000_NS6detail17trampoline_kernelINS0_14default_configENS1_27scan_by_key_config_selectorIssEEZZNS1_16scan_by_key_implILNS1_25lookback_scan_determinismE0ELb0ES3_N6thrust23THRUST_200600_302600_NS6detail15normal_iteratorINS9_10device_ptrIsEEEENS9_18transform_iteratorINS9_6negateIsEESE_NS9_11use_defaultESI_EESE_sNS9_4plusIvEENS9_8equal_toIvEEsEE10hipError_tPvRmT2_T3_T4_T5_mT6_T7_P12ihipStream_tbENKUlT_T0_E_clISt17integral_constantIbLb0EES14_EEDaSZ_S10_EUlSZ_E_NS1_11comp_targetILNS1_3genE8ELNS1_11target_archE1030ELNS1_3gpuE2ELNS1_3repE0EEENS1_30default_config_static_selectorELNS0_4arch9wavefront6targetE0EEEvT1_
                                        ; -- End function
	.set _ZN7rocprim17ROCPRIM_400000_NS6detail17trampoline_kernelINS0_14default_configENS1_27scan_by_key_config_selectorIssEEZZNS1_16scan_by_key_implILNS1_25lookback_scan_determinismE0ELb0ES3_N6thrust23THRUST_200600_302600_NS6detail15normal_iteratorINS9_10device_ptrIsEEEENS9_18transform_iteratorINS9_6negateIsEESE_NS9_11use_defaultESI_EESE_sNS9_4plusIvEENS9_8equal_toIvEEsEE10hipError_tPvRmT2_T3_T4_T5_mT6_T7_P12ihipStream_tbENKUlT_T0_E_clISt17integral_constantIbLb0EES14_EEDaSZ_S10_EUlSZ_E_NS1_11comp_targetILNS1_3genE8ELNS1_11target_archE1030ELNS1_3gpuE2ELNS1_3repE0EEENS1_30default_config_static_selectorELNS0_4arch9wavefront6targetE0EEEvT1_.num_vgpr, 0
	.set _ZN7rocprim17ROCPRIM_400000_NS6detail17trampoline_kernelINS0_14default_configENS1_27scan_by_key_config_selectorIssEEZZNS1_16scan_by_key_implILNS1_25lookback_scan_determinismE0ELb0ES3_N6thrust23THRUST_200600_302600_NS6detail15normal_iteratorINS9_10device_ptrIsEEEENS9_18transform_iteratorINS9_6negateIsEESE_NS9_11use_defaultESI_EESE_sNS9_4plusIvEENS9_8equal_toIvEEsEE10hipError_tPvRmT2_T3_T4_T5_mT6_T7_P12ihipStream_tbENKUlT_T0_E_clISt17integral_constantIbLb0EES14_EEDaSZ_S10_EUlSZ_E_NS1_11comp_targetILNS1_3genE8ELNS1_11target_archE1030ELNS1_3gpuE2ELNS1_3repE0EEENS1_30default_config_static_selectorELNS0_4arch9wavefront6targetE0EEEvT1_.num_agpr, 0
	.set _ZN7rocprim17ROCPRIM_400000_NS6detail17trampoline_kernelINS0_14default_configENS1_27scan_by_key_config_selectorIssEEZZNS1_16scan_by_key_implILNS1_25lookback_scan_determinismE0ELb0ES3_N6thrust23THRUST_200600_302600_NS6detail15normal_iteratorINS9_10device_ptrIsEEEENS9_18transform_iteratorINS9_6negateIsEESE_NS9_11use_defaultESI_EESE_sNS9_4plusIvEENS9_8equal_toIvEEsEE10hipError_tPvRmT2_T3_T4_T5_mT6_T7_P12ihipStream_tbENKUlT_T0_E_clISt17integral_constantIbLb0EES14_EEDaSZ_S10_EUlSZ_E_NS1_11comp_targetILNS1_3genE8ELNS1_11target_archE1030ELNS1_3gpuE2ELNS1_3repE0EEENS1_30default_config_static_selectorELNS0_4arch9wavefront6targetE0EEEvT1_.numbered_sgpr, 0
	.set _ZN7rocprim17ROCPRIM_400000_NS6detail17trampoline_kernelINS0_14default_configENS1_27scan_by_key_config_selectorIssEEZZNS1_16scan_by_key_implILNS1_25lookback_scan_determinismE0ELb0ES3_N6thrust23THRUST_200600_302600_NS6detail15normal_iteratorINS9_10device_ptrIsEEEENS9_18transform_iteratorINS9_6negateIsEESE_NS9_11use_defaultESI_EESE_sNS9_4plusIvEENS9_8equal_toIvEEsEE10hipError_tPvRmT2_T3_T4_T5_mT6_T7_P12ihipStream_tbENKUlT_T0_E_clISt17integral_constantIbLb0EES14_EEDaSZ_S10_EUlSZ_E_NS1_11comp_targetILNS1_3genE8ELNS1_11target_archE1030ELNS1_3gpuE2ELNS1_3repE0EEENS1_30default_config_static_selectorELNS0_4arch9wavefront6targetE0EEEvT1_.num_named_barrier, 0
	.set _ZN7rocprim17ROCPRIM_400000_NS6detail17trampoline_kernelINS0_14default_configENS1_27scan_by_key_config_selectorIssEEZZNS1_16scan_by_key_implILNS1_25lookback_scan_determinismE0ELb0ES3_N6thrust23THRUST_200600_302600_NS6detail15normal_iteratorINS9_10device_ptrIsEEEENS9_18transform_iteratorINS9_6negateIsEESE_NS9_11use_defaultESI_EESE_sNS9_4plusIvEENS9_8equal_toIvEEsEE10hipError_tPvRmT2_T3_T4_T5_mT6_T7_P12ihipStream_tbENKUlT_T0_E_clISt17integral_constantIbLb0EES14_EEDaSZ_S10_EUlSZ_E_NS1_11comp_targetILNS1_3genE8ELNS1_11target_archE1030ELNS1_3gpuE2ELNS1_3repE0EEENS1_30default_config_static_selectorELNS0_4arch9wavefront6targetE0EEEvT1_.private_seg_size, 0
	.set _ZN7rocprim17ROCPRIM_400000_NS6detail17trampoline_kernelINS0_14default_configENS1_27scan_by_key_config_selectorIssEEZZNS1_16scan_by_key_implILNS1_25lookback_scan_determinismE0ELb0ES3_N6thrust23THRUST_200600_302600_NS6detail15normal_iteratorINS9_10device_ptrIsEEEENS9_18transform_iteratorINS9_6negateIsEESE_NS9_11use_defaultESI_EESE_sNS9_4plusIvEENS9_8equal_toIvEEsEE10hipError_tPvRmT2_T3_T4_T5_mT6_T7_P12ihipStream_tbENKUlT_T0_E_clISt17integral_constantIbLb0EES14_EEDaSZ_S10_EUlSZ_E_NS1_11comp_targetILNS1_3genE8ELNS1_11target_archE1030ELNS1_3gpuE2ELNS1_3repE0EEENS1_30default_config_static_selectorELNS0_4arch9wavefront6targetE0EEEvT1_.uses_vcc, 0
	.set _ZN7rocprim17ROCPRIM_400000_NS6detail17trampoline_kernelINS0_14default_configENS1_27scan_by_key_config_selectorIssEEZZNS1_16scan_by_key_implILNS1_25lookback_scan_determinismE0ELb0ES3_N6thrust23THRUST_200600_302600_NS6detail15normal_iteratorINS9_10device_ptrIsEEEENS9_18transform_iteratorINS9_6negateIsEESE_NS9_11use_defaultESI_EESE_sNS9_4plusIvEENS9_8equal_toIvEEsEE10hipError_tPvRmT2_T3_T4_T5_mT6_T7_P12ihipStream_tbENKUlT_T0_E_clISt17integral_constantIbLb0EES14_EEDaSZ_S10_EUlSZ_E_NS1_11comp_targetILNS1_3genE8ELNS1_11target_archE1030ELNS1_3gpuE2ELNS1_3repE0EEENS1_30default_config_static_selectorELNS0_4arch9wavefront6targetE0EEEvT1_.uses_flat_scratch, 0
	.set _ZN7rocprim17ROCPRIM_400000_NS6detail17trampoline_kernelINS0_14default_configENS1_27scan_by_key_config_selectorIssEEZZNS1_16scan_by_key_implILNS1_25lookback_scan_determinismE0ELb0ES3_N6thrust23THRUST_200600_302600_NS6detail15normal_iteratorINS9_10device_ptrIsEEEENS9_18transform_iteratorINS9_6negateIsEESE_NS9_11use_defaultESI_EESE_sNS9_4plusIvEENS9_8equal_toIvEEsEE10hipError_tPvRmT2_T3_T4_T5_mT6_T7_P12ihipStream_tbENKUlT_T0_E_clISt17integral_constantIbLb0EES14_EEDaSZ_S10_EUlSZ_E_NS1_11comp_targetILNS1_3genE8ELNS1_11target_archE1030ELNS1_3gpuE2ELNS1_3repE0EEENS1_30default_config_static_selectorELNS0_4arch9wavefront6targetE0EEEvT1_.has_dyn_sized_stack, 0
	.set _ZN7rocprim17ROCPRIM_400000_NS6detail17trampoline_kernelINS0_14default_configENS1_27scan_by_key_config_selectorIssEEZZNS1_16scan_by_key_implILNS1_25lookback_scan_determinismE0ELb0ES3_N6thrust23THRUST_200600_302600_NS6detail15normal_iteratorINS9_10device_ptrIsEEEENS9_18transform_iteratorINS9_6negateIsEESE_NS9_11use_defaultESI_EESE_sNS9_4plusIvEENS9_8equal_toIvEEsEE10hipError_tPvRmT2_T3_T4_T5_mT6_T7_P12ihipStream_tbENKUlT_T0_E_clISt17integral_constantIbLb0EES14_EEDaSZ_S10_EUlSZ_E_NS1_11comp_targetILNS1_3genE8ELNS1_11target_archE1030ELNS1_3gpuE2ELNS1_3repE0EEENS1_30default_config_static_selectorELNS0_4arch9wavefront6targetE0EEEvT1_.has_recursion, 0
	.set _ZN7rocprim17ROCPRIM_400000_NS6detail17trampoline_kernelINS0_14default_configENS1_27scan_by_key_config_selectorIssEEZZNS1_16scan_by_key_implILNS1_25lookback_scan_determinismE0ELb0ES3_N6thrust23THRUST_200600_302600_NS6detail15normal_iteratorINS9_10device_ptrIsEEEENS9_18transform_iteratorINS9_6negateIsEESE_NS9_11use_defaultESI_EESE_sNS9_4plusIvEENS9_8equal_toIvEEsEE10hipError_tPvRmT2_T3_T4_T5_mT6_T7_P12ihipStream_tbENKUlT_T0_E_clISt17integral_constantIbLb0EES14_EEDaSZ_S10_EUlSZ_E_NS1_11comp_targetILNS1_3genE8ELNS1_11target_archE1030ELNS1_3gpuE2ELNS1_3repE0EEENS1_30default_config_static_selectorELNS0_4arch9wavefront6targetE0EEEvT1_.has_indirect_call, 0
	.section	.AMDGPU.csdata,"",@progbits
; Kernel info:
; codeLenInByte = 0
; TotalNumSgprs: 0
; NumVgprs: 0
; ScratchSize: 0
; MemoryBound: 0
; FloatMode: 240
; IeeeMode: 1
; LDSByteSize: 0 bytes/workgroup (compile time only)
; SGPRBlocks: 0
; VGPRBlocks: 0
; NumSGPRsForWavesPerEU: 1
; NumVGPRsForWavesPerEU: 1
; NamedBarCnt: 0
; Occupancy: 16
; WaveLimiterHint : 0
; COMPUTE_PGM_RSRC2:SCRATCH_EN: 0
; COMPUTE_PGM_RSRC2:USER_SGPR: 2
; COMPUTE_PGM_RSRC2:TRAP_HANDLER: 0
; COMPUTE_PGM_RSRC2:TGID_X_EN: 1
; COMPUTE_PGM_RSRC2:TGID_Y_EN: 0
; COMPUTE_PGM_RSRC2:TGID_Z_EN: 0
; COMPUTE_PGM_RSRC2:TIDIG_COMP_CNT: 0
	.section	.text._ZN7rocprim17ROCPRIM_400000_NS6detail17trampoline_kernelINS0_14default_configENS1_27scan_by_key_config_selectorIssEEZZNS1_16scan_by_key_implILNS1_25lookback_scan_determinismE0ELb0ES3_N6thrust23THRUST_200600_302600_NS6detail15normal_iteratorINS9_10device_ptrIsEEEENS9_18transform_iteratorINS9_6negateIsEESE_NS9_11use_defaultESI_EESE_sNS9_4plusIvEENS9_8equal_toIvEEsEE10hipError_tPvRmT2_T3_T4_T5_mT6_T7_P12ihipStream_tbENKUlT_T0_E_clISt17integral_constantIbLb1EES14_EEDaSZ_S10_EUlSZ_E_NS1_11comp_targetILNS1_3genE0ELNS1_11target_archE4294967295ELNS1_3gpuE0ELNS1_3repE0EEENS1_30default_config_static_selectorELNS0_4arch9wavefront6targetE0EEEvT1_,"axG",@progbits,_ZN7rocprim17ROCPRIM_400000_NS6detail17trampoline_kernelINS0_14default_configENS1_27scan_by_key_config_selectorIssEEZZNS1_16scan_by_key_implILNS1_25lookback_scan_determinismE0ELb0ES3_N6thrust23THRUST_200600_302600_NS6detail15normal_iteratorINS9_10device_ptrIsEEEENS9_18transform_iteratorINS9_6negateIsEESE_NS9_11use_defaultESI_EESE_sNS9_4plusIvEENS9_8equal_toIvEEsEE10hipError_tPvRmT2_T3_T4_T5_mT6_T7_P12ihipStream_tbENKUlT_T0_E_clISt17integral_constantIbLb1EES14_EEDaSZ_S10_EUlSZ_E_NS1_11comp_targetILNS1_3genE0ELNS1_11target_archE4294967295ELNS1_3gpuE0ELNS1_3repE0EEENS1_30default_config_static_selectorELNS0_4arch9wavefront6targetE0EEEvT1_,comdat
	.protected	_ZN7rocprim17ROCPRIM_400000_NS6detail17trampoline_kernelINS0_14default_configENS1_27scan_by_key_config_selectorIssEEZZNS1_16scan_by_key_implILNS1_25lookback_scan_determinismE0ELb0ES3_N6thrust23THRUST_200600_302600_NS6detail15normal_iteratorINS9_10device_ptrIsEEEENS9_18transform_iteratorINS9_6negateIsEESE_NS9_11use_defaultESI_EESE_sNS9_4plusIvEENS9_8equal_toIvEEsEE10hipError_tPvRmT2_T3_T4_T5_mT6_T7_P12ihipStream_tbENKUlT_T0_E_clISt17integral_constantIbLb1EES14_EEDaSZ_S10_EUlSZ_E_NS1_11comp_targetILNS1_3genE0ELNS1_11target_archE4294967295ELNS1_3gpuE0ELNS1_3repE0EEENS1_30default_config_static_selectorELNS0_4arch9wavefront6targetE0EEEvT1_ ; -- Begin function _ZN7rocprim17ROCPRIM_400000_NS6detail17trampoline_kernelINS0_14default_configENS1_27scan_by_key_config_selectorIssEEZZNS1_16scan_by_key_implILNS1_25lookback_scan_determinismE0ELb0ES3_N6thrust23THRUST_200600_302600_NS6detail15normal_iteratorINS9_10device_ptrIsEEEENS9_18transform_iteratorINS9_6negateIsEESE_NS9_11use_defaultESI_EESE_sNS9_4plusIvEENS9_8equal_toIvEEsEE10hipError_tPvRmT2_T3_T4_T5_mT6_T7_P12ihipStream_tbENKUlT_T0_E_clISt17integral_constantIbLb1EES14_EEDaSZ_S10_EUlSZ_E_NS1_11comp_targetILNS1_3genE0ELNS1_11target_archE4294967295ELNS1_3gpuE0ELNS1_3repE0EEENS1_30default_config_static_selectorELNS0_4arch9wavefront6targetE0EEEvT1_
	.globl	_ZN7rocprim17ROCPRIM_400000_NS6detail17trampoline_kernelINS0_14default_configENS1_27scan_by_key_config_selectorIssEEZZNS1_16scan_by_key_implILNS1_25lookback_scan_determinismE0ELb0ES3_N6thrust23THRUST_200600_302600_NS6detail15normal_iteratorINS9_10device_ptrIsEEEENS9_18transform_iteratorINS9_6negateIsEESE_NS9_11use_defaultESI_EESE_sNS9_4plusIvEENS9_8equal_toIvEEsEE10hipError_tPvRmT2_T3_T4_T5_mT6_T7_P12ihipStream_tbENKUlT_T0_E_clISt17integral_constantIbLb1EES14_EEDaSZ_S10_EUlSZ_E_NS1_11comp_targetILNS1_3genE0ELNS1_11target_archE4294967295ELNS1_3gpuE0ELNS1_3repE0EEENS1_30default_config_static_selectorELNS0_4arch9wavefront6targetE0EEEvT1_
	.p2align	8
	.type	_ZN7rocprim17ROCPRIM_400000_NS6detail17trampoline_kernelINS0_14default_configENS1_27scan_by_key_config_selectorIssEEZZNS1_16scan_by_key_implILNS1_25lookback_scan_determinismE0ELb0ES3_N6thrust23THRUST_200600_302600_NS6detail15normal_iteratorINS9_10device_ptrIsEEEENS9_18transform_iteratorINS9_6negateIsEESE_NS9_11use_defaultESI_EESE_sNS9_4plusIvEENS9_8equal_toIvEEsEE10hipError_tPvRmT2_T3_T4_T5_mT6_T7_P12ihipStream_tbENKUlT_T0_E_clISt17integral_constantIbLb1EES14_EEDaSZ_S10_EUlSZ_E_NS1_11comp_targetILNS1_3genE0ELNS1_11target_archE4294967295ELNS1_3gpuE0ELNS1_3repE0EEENS1_30default_config_static_selectorELNS0_4arch9wavefront6targetE0EEEvT1_,@function
_ZN7rocprim17ROCPRIM_400000_NS6detail17trampoline_kernelINS0_14default_configENS1_27scan_by_key_config_selectorIssEEZZNS1_16scan_by_key_implILNS1_25lookback_scan_determinismE0ELb0ES3_N6thrust23THRUST_200600_302600_NS6detail15normal_iteratorINS9_10device_ptrIsEEEENS9_18transform_iteratorINS9_6negateIsEESE_NS9_11use_defaultESI_EESE_sNS9_4plusIvEENS9_8equal_toIvEEsEE10hipError_tPvRmT2_T3_T4_T5_mT6_T7_P12ihipStream_tbENKUlT_T0_E_clISt17integral_constantIbLb1EES14_EEDaSZ_S10_EUlSZ_E_NS1_11comp_targetILNS1_3genE0ELNS1_11target_archE4294967295ELNS1_3gpuE0ELNS1_3repE0EEENS1_30default_config_static_selectorELNS0_4arch9wavefront6targetE0EEEvT1_: ; @_ZN7rocprim17ROCPRIM_400000_NS6detail17trampoline_kernelINS0_14default_configENS1_27scan_by_key_config_selectorIssEEZZNS1_16scan_by_key_implILNS1_25lookback_scan_determinismE0ELb0ES3_N6thrust23THRUST_200600_302600_NS6detail15normal_iteratorINS9_10device_ptrIsEEEENS9_18transform_iteratorINS9_6negateIsEESE_NS9_11use_defaultESI_EESE_sNS9_4plusIvEENS9_8equal_toIvEEsEE10hipError_tPvRmT2_T3_T4_T5_mT6_T7_P12ihipStream_tbENKUlT_T0_E_clISt17integral_constantIbLb1EES14_EEDaSZ_S10_EUlSZ_E_NS1_11comp_targetILNS1_3genE0ELNS1_11target_archE4294967295ELNS1_3gpuE0ELNS1_3repE0EEENS1_30default_config_static_selectorELNS0_4arch9wavefront6targetE0EEEvT1_
; %bb.0:
	s_endpgm
	.section	.rodata,"a",@progbits
	.p2align	6, 0x0
	.amdhsa_kernel _ZN7rocprim17ROCPRIM_400000_NS6detail17trampoline_kernelINS0_14default_configENS1_27scan_by_key_config_selectorIssEEZZNS1_16scan_by_key_implILNS1_25lookback_scan_determinismE0ELb0ES3_N6thrust23THRUST_200600_302600_NS6detail15normal_iteratorINS9_10device_ptrIsEEEENS9_18transform_iteratorINS9_6negateIsEESE_NS9_11use_defaultESI_EESE_sNS9_4plusIvEENS9_8equal_toIvEEsEE10hipError_tPvRmT2_T3_T4_T5_mT6_T7_P12ihipStream_tbENKUlT_T0_E_clISt17integral_constantIbLb1EES14_EEDaSZ_S10_EUlSZ_E_NS1_11comp_targetILNS1_3genE0ELNS1_11target_archE4294967295ELNS1_3gpuE0ELNS1_3repE0EEENS1_30default_config_static_selectorELNS0_4arch9wavefront6targetE0EEEvT1_
		.amdhsa_group_segment_fixed_size 0
		.amdhsa_private_segment_fixed_size 0
		.amdhsa_kernarg_size 120
		.amdhsa_user_sgpr_count 2
		.amdhsa_user_sgpr_dispatch_ptr 0
		.amdhsa_user_sgpr_queue_ptr 0
		.amdhsa_user_sgpr_kernarg_segment_ptr 1
		.amdhsa_user_sgpr_dispatch_id 0
		.amdhsa_user_sgpr_kernarg_preload_length 0
		.amdhsa_user_sgpr_kernarg_preload_offset 0
		.amdhsa_user_sgpr_private_segment_size 0
		.amdhsa_wavefront_size32 1
		.amdhsa_uses_dynamic_stack 0
		.amdhsa_enable_private_segment 0
		.amdhsa_system_sgpr_workgroup_id_x 1
		.amdhsa_system_sgpr_workgroup_id_y 0
		.amdhsa_system_sgpr_workgroup_id_z 0
		.amdhsa_system_sgpr_workgroup_info 0
		.amdhsa_system_vgpr_workitem_id 0
		.amdhsa_next_free_vgpr 1
		.amdhsa_next_free_sgpr 1
		.amdhsa_named_barrier_count 0
		.amdhsa_reserve_vcc 0
		.amdhsa_float_round_mode_32 0
		.amdhsa_float_round_mode_16_64 0
		.amdhsa_float_denorm_mode_32 3
		.amdhsa_float_denorm_mode_16_64 3
		.amdhsa_fp16_overflow 0
		.amdhsa_memory_ordered 1
		.amdhsa_forward_progress 1
		.amdhsa_inst_pref_size 1
		.amdhsa_round_robin_scheduling 0
		.amdhsa_exception_fp_ieee_invalid_op 0
		.amdhsa_exception_fp_denorm_src 0
		.amdhsa_exception_fp_ieee_div_zero 0
		.amdhsa_exception_fp_ieee_overflow 0
		.amdhsa_exception_fp_ieee_underflow 0
		.amdhsa_exception_fp_ieee_inexact 0
		.amdhsa_exception_int_div_zero 0
	.end_amdhsa_kernel
	.section	.text._ZN7rocprim17ROCPRIM_400000_NS6detail17trampoline_kernelINS0_14default_configENS1_27scan_by_key_config_selectorIssEEZZNS1_16scan_by_key_implILNS1_25lookback_scan_determinismE0ELb0ES3_N6thrust23THRUST_200600_302600_NS6detail15normal_iteratorINS9_10device_ptrIsEEEENS9_18transform_iteratorINS9_6negateIsEESE_NS9_11use_defaultESI_EESE_sNS9_4plusIvEENS9_8equal_toIvEEsEE10hipError_tPvRmT2_T3_T4_T5_mT6_T7_P12ihipStream_tbENKUlT_T0_E_clISt17integral_constantIbLb1EES14_EEDaSZ_S10_EUlSZ_E_NS1_11comp_targetILNS1_3genE0ELNS1_11target_archE4294967295ELNS1_3gpuE0ELNS1_3repE0EEENS1_30default_config_static_selectorELNS0_4arch9wavefront6targetE0EEEvT1_,"axG",@progbits,_ZN7rocprim17ROCPRIM_400000_NS6detail17trampoline_kernelINS0_14default_configENS1_27scan_by_key_config_selectorIssEEZZNS1_16scan_by_key_implILNS1_25lookback_scan_determinismE0ELb0ES3_N6thrust23THRUST_200600_302600_NS6detail15normal_iteratorINS9_10device_ptrIsEEEENS9_18transform_iteratorINS9_6negateIsEESE_NS9_11use_defaultESI_EESE_sNS9_4plusIvEENS9_8equal_toIvEEsEE10hipError_tPvRmT2_T3_T4_T5_mT6_T7_P12ihipStream_tbENKUlT_T0_E_clISt17integral_constantIbLb1EES14_EEDaSZ_S10_EUlSZ_E_NS1_11comp_targetILNS1_3genE0ELNS1_11target_archE4294967295ELNS1_3gpuE0ELNS1_3repE0EEENS1_30default_config_static_selectorELNS0_4arch9wavefront6targetE0EEEvT1_,comdat
.Lfunc_end974:
	.size	_ZN7rocprim17ROCPRIM_400000_NS6detail17trampoline_kernelINS0_14default_configENS1_27scan_by_key_config_selectorIssEEZZNS1_16scan_by_key_implILNS1_25lookback_scan_determinismE0ELb0ES3_N6thrust23THRUST_200600_302600_NS6detail15normal_iteratorINS9_10device_ptrIsEEEENS9_18transform_iteratorINS9_6negateIsEESE_NS9_11use_defaultESI_EESE_sNS9_4plusIvEENS9_8equal_toIvEEsEE10hipError_tPvRmT2_T3_T4_T5_mT6_T7_P12ihipStream_tbENKUlT_T0_E_clISt17integral_constantIbLb1EES14_EEDaSZ_S10_EUlSZ_E_NS1_11comp_targetILNS1_3genE0ELNS1_11target_archE4294967295ELNS1_3gpuE0ELNS1_3repE0EEENS1_30default_config_static_selectorELNS0_4arch9wavefront6targetE0EEEvT1_, .Lfunc_end974-_ZN7rocprim17ROCPRIM_400000_NS6detail17trampoline_kernelINS0_14default_configENS1_27scan_by_key_config_selectorIssEEZZNS1_16scan_by_key_implILNS1_25lookback_scan_determinismE0ELb0ES3_N6thrust23THRUST_200600_302600_NS6detail15normal_iteratorINS9_10device_ptrIsEEEENS9_18transform_iteratorINS9_6negateIsEESE_NS9_11use_defaultESI_EESE_sNS9_4plusIvEENS9_8equal_toIvEEsEE10hipError_tPvRmT2_T3_T4_T5_mT6_T7_P12ihipStream_tbENKUlT_T0_E_clISt17integral_constantIbLb1EES14_EEDaSZ_S10_EUlSZ_E_NS1_11comp_targetILNS1_3genE0ELNS1_11target_archE4294967295ELNS1_3gpuE0ELNS1_3repE0EEENS1_30default_config_static_selectorELNS0_4arch9wavefront6targetE0EEEvT1_
                                        ; -- End function
	.set _ZN7rocprim17ROCPRIM_400000_NS6detail17trampoline_kernelINS0_14default_configENS1_27scan_by_key_config_selectorIssEEZZNS1_16scan_by_key_implILNS1_25lookback_scan_determinismE0ELb0ES3_N6thrust23THRUST_200600_302600_NS6detail15normal_iteratorINS9_10device_ptrIsEEEENS9_18transform_iteratorINS9_6negateIsEESE_NS9_11use_defaultESI_EESE_sNS9_4plusIvEENS9_8equal_toIvEEsEE10hipError_tPvRmT2_T3_T4_T5_mT6_T7_P12ihipStream_tbENKUlT_T0_E_clISt17integral_constantIbLb1EES14_EEDaSZ_S10_EUlSZ_E_NS1_11comp_targetILNS1_3genE0ELNS1_11target_archE4294967295ELNS1_3gpuE0ELNS1_3repE0EEENS1_30default_config_static_selectorELNS0_4arch9wavefront6targetE0EEEvT1_.num_vgpr, 0
	.set _ZN7rocprim17ROCPRIM_400000_NS6detail17trampoline_kernelINS0_14default_configENS1_27scan_by_key_config_selectorIssEEZZNS1_16scan_by_key_implILNS1_25lookback_scan_determinismE0ELb0ES3_N6thrust23THRUST_200600_302600_NS6detail15normal_iteratorINS9_10device_ptrIsEEEENS9_18transform_iteratorINS9_6negateIsEESE_NS9_11use_defaultESI_EESE_sNS9_4plusIvEENS9_8equal_toIvEEsEE10hipError_tPvRmT2_T3_T4_T5_mT6_T7_P12ihipStream_tbENKUlT_T0_E_clISt17integral_constantIbLb1EES14_EEDaSZ_S10_EUlSZ_E_NS1_11comp_targetILNS1_3genE0ELNS1_11target_archE4294967295ELNS1_3gpuE0ELNS1_3repE0EEENS1_30default_config_static_selectorELNS0_4arch9wavefront6targetE0EEEvT1_.num_agpr, 0
	.set _ZN7rocprim17ROCPRIM_400000_NS6detail17trampoline_kernelINS0_14default_configENS1_27scan_by_key_config_selectorIssEEZZNS1_16scan_by_key_implILNS1_25lookback_scan_determinismE0ELb0ES3_N6thrust23THRUST_200600_302600_NS6detail15normal_iteratorINS9_10device_ptrIsEEEENS9_18transform_iteratorINS9_6negateIsEESE_NS9_11use_defaultESI_EESE_sNS9_4plusIvEENS9_8equal_toIvEEsEE10hipError_tPvRmT2_T3_T4_T5_mT6_T7_P12ihipStream_tbENKUlT_T0_E_clISt17integral_constantIbLb1EES14_EEDaSZ_S10_EUlSZ_E_NS1_11comp_targetILNS1_3genE0ELNS1_11target_archE4294967295ELNS1_3gpuE0ELNS1_3repE0EEENS1_30default_config_static_selectorELNS0_4arch9wavefront6targetE0EEEvT1_.numbered_sgpr, 0
	.set _ZN7rocprim17ROCPRIM_400000_NS6detail17trampoline_kernelINS0_14default_configENS1_27scan_by_key_config_selectorIssEEZZNS1_16scan_by_key_implILNS1_25lookback_scan_determinismE0ELb0ES3_N6thrust23THRUST_200600_302600_NS6detail15normal_iteratorINS9_10device_ptrIsEEEENS9_18transform_iteratorINS9_6negateIsEESE_NS9_11use_defaultESI_EESE_sNS9_4plusIvEENS9_8equal_toIvEEsEE10hipError_tPvRmT2_T3_T4_T5_mT6_T7_P12ihipStream_tbENKUlT_T0_E_clISt17integral_constantIbLb1EES14_EEDaSZ_S10_EUlSZ_E_NS1_11comp_targetILNS1_3genE0ELNS1_11target_archE4294967295ELNS1_3gpuE0ELNS1_3repE0EEENS1_30default_config_static_selectorELNS0_4arch9wavefront6targetE0EEEvT1_.num_named_barrier, 0
	.set _ZN7rocprim17ROCPRIM_400000_NS6detail17trampoline_kernelINS0_14default_configENS1_27scan_by_key_config_selectorIssEEZZNS1_16scan_by_key_implILNS1_25lookback_scan_determinismE0ELb0ES3_N6thrust23THRUST_200600_302600_NS6detail15normal_iteratorINS9_10device_ptrIsEEEENS9_18transform_iteratorINS9_6negateIsEESE_NS9_11use_defaultESI_EESE_sNS9_4plusIvEENS9_8equal_toIvEEsEE10hipError_tPvRmT2_T3_T4_T5_mT6_T7_P12ihipStream_tbENKUlT_T0_E_clISt17integral_constantIbLb1EES14_EEDaSZ_S10_EUlSZ_E_NS1_11comp_targetILNS1_3genE0ELNS1_11target_archE4294967295ELNS1_3gpuE0ELNS1_3repE0EEENS1_30default_config_static_selectorELNS0_4arch9wavefront6targetE0EEEvT1_.private_seg_size, 0
	.set _ZN7rocprim17ROCPRIM_400000_NS6detail17trampoline_kernelINS0_14default_configENS1_27scan_by_key_config_selectorIssEEZZNS1_16scan_by_key_implILNS1_25lookback_scan_determinismE0ELb0ES3_N6thrust23THRUST_200600_302600_NS6detail15normal_iteratorINS9_10device_ptrIsEEEENS9_18transform_iteratorINS9_6negateIsEESE_NS9_11use_defaultESI_EESE_sNS9_4plusIvEENS9_8equal_toIvEEsEE10hipError_tPvRmT2_T3_T4_T5_mT6_T7_P12ihipStream_tbENKUlT_T0_E_clISt17integral_constantIbLb1EES14_EEDaSZ_S10_EUlSZ_E_NS1_11comp_targetILNS1_3genE0ELNS1_11target_archE4294967295ELNS1_3gpuE0ELNS1_3repE0EEENS1_30default_config_static_selectorELNS0_4arch9wavefront6targetE0EEEvT1_.uses_vcc, 0
	.set _ZN7rocprim17ROCPRIM_400000_NS6detail17trampoline_kernelINS0_14default_configENS1_27scan_by_key_config_selectorIssEEZZNS1_16scan_by_key_implILNS1_25lookback_scan_determinismE0ELb0ES3_N6thrust23THRUST_200600_302600_NS6detail15normal_iteratorINS9_10device_ptrIsEEEENS9_18transform_iteratorINS9_6negateIsEESE_NS9_11use_defaultESI_EESE_sNS9_4plusIvEENS9_8equal_toIvEEsEE10hipError_tPvRmT2_T3_T4_T5_mT6_T7_P12ihipStream_tbENKUlT_T0_E_clISt17integral_constantIbLb1EES14_EEDaSZ_S10_EUlSZ_E_NS1_11comp_targetILNS1_3genE0ELNS1_11target_archE4294967295ELNS1_3gpuE0ELNS1_3repE0EEENS1_30default_config_static_selectorELNS0_4arch9wavefront6targetE0EEEvT1_.uses_flat_scratch, 0
	.set _ZN7rocprim17ROCPRIM_400000_NS6detail17trampoline_kernelINS0_14default_configENS1_27scan_by_key_config_selectorIssEEZZNS1_16scan_by_key_implILNS1_25lookback_scan_determinismE0ELb0ES3_N6thrust23THRUST_200600_302600_NS6detail15normal_iteratorINS9_10device_ptrIsEEEENS9_18transform_iteratorINS9_6negateIsEESE_NS9_11use_defaultESI_EESE_sNS9_4plusIvEENS9_8equal_toIvEEsEE10hipError_tPvRmT2_T3_T4_T5_mT6_T7_P12ihipStream_tbENKUlT_T0_E_clISt17integral_constantIbLb1EES14_EEDaSZ_S10_EUlSZ_E_NS1_11comp_targetILNS1_3genE0ELNS1_11target_archE4294967295ELNS1_3gpuE0ELNS1_3repE0EEENS1_30default_config_static_selectorELNS0_4arch9wavefront6targetE0EEEvT1_.has_dyn_sized_stack, 0
	.set _ZN7rocprim17ROCPRIM_400000_NS6detail17trampoline_kernelINS0_14default_configENS1_27scan_by_key_config_selectorIssEEZZNS1_16scan_by_key_implILNS1_25lookback_scan_determinismE0ELb0ES3_N6thrust23THRUST_200600_302600_NS6detail15normal_iteratorINS9_10device_ptrIsEEEENS9_18transform_iteratorINS9_6negateIsEESE_NS9_11use_defaultESI_EESE_sNS9_4plusIvEENS9_8equal_toIvEEsEE10hipError_tPvRmT2_T3_T4_T5_mT6_T7_P12ihipStream_tbENKUlT_T0_E_clISt17integral_constantIbLb1EES14_EEDaSZ_S10_EUlSZ_E_NS1_11comp_targetILNS1_3genE0ELNS1_11target_archE4294967295ELNS1_3gpuE0ELNS1_3repE0EEENS1_30default_config_static_selectorELNS0_4arch9wavefront6targetE0EEEvT1_.has_recursion, 0
	.set _ZN7rocprim17ROCPRIM_400000_NS6detail17trampoline_kernelINS0_14default_configENS1_27scan_by_key_config_selectorIssEEZZNS1_16scan_by_key_implILNS1_25lookback_scan_determinismE0ELb0ES3_N6thrust23THRUST_200600_302600_NS6detail15normal_iteratorINS9_10device_ptrIsEEEENS9_18transform_iteratorINS9_6negateIsEESE_NS9_11use_defaultESI_EESE_sNS9_4plusIvEENS9_8equal_toIvEEsEE10hipError_tPvRmT2_T3_T4_T5_mT6_T7_P12ihipStream_tbENKUlT_T0_E_clISt17integral_constantIbLb1EES14_EEDaSZ_S10_EUlSZ_E_NS1_11comp_targetILNS1_3genE0ELNS1_11target_archE4294967295ELNS1_3gpuE0ELNS1_3repE0EEENS1_30default_config_static_selectorELNS0_4arch9wavefront6targetE0EEEvT1_.has_indirect_call, 0
	.section	.AMDGPU.csdata,"",@progbits
; Kernel info:
; codeLenInByte = 4
; TotalNumSgprs: 0
; NumVgprs: 0
; ScratchSize: 0
; MemoryBound: 0
; FloatMode: 240
; IeeeMode: 1
; LDSByteSize: 0 bytes/workgroup (compile time only)
; SGPRBlocks: 0
; VGPRBlocks: 0
; NumSGPRsForWavesPerEU: 1
; NumVGPRsForWavesPerEU: 1
; NamedBarCnt: 0
; Occupancy: 16
; WaveLimiterHint : 0
; COMPUTE_PGM_RSRC2:SCRATCH_EN: 0
; COMPUTE_PGM_RSRC2:USER_SGPR: 2
; COMPUTE_PGM_RSRC2:TRAP_HANDLER: 0
; COMPUTE_PGM_RSRC2:TGID_X_EN: 1
; COMPUTE_PGM_RSRC2:TGID_Y_EN: 0
; COMPUTE_PGM_RSRC2:TGID_Z_EN: 0
; COMPUTE_PGM_RSRC2:TIDIG_COMP_CNT: 0
	.section	.text._ZN7rocprim17ROCPRIM_400000_NS6detail17trampoline_kernelINS0_14default_configENS1_27scan_by_key_config_selectorIssEEZZNS1_16scan_by_key_implILNS1_25lookback_scan_determinismE0ELb0ES3_N6thrust23THRUST_200600_302600_NS6detail15normal_iteratorINS9_10device_ptrIsEEEENS9_18transform_iteratorINS9_6negateIsEESE_NS9_11use_defaultESI_EESE_sNS9_4plusIvEENS9_8equal_toIvEEsEE10hipError_tPvRmT2_T3_T4_T5_mT6_T7_P12ihipStream_tbENKUlT_T0_E_clISt17integral_constantIbLb1EES14_EEDaSZ_S10_EUlSZ_E_NS1_11comp_targetILNS1_3genE10ELNS1_11target_archE1201ELNS1_3gpuE5ELNS1_3repE0EEENS1_30default_config_static_selectorELNS0_4arch9wavefront6targetE0EEEvT1_,"axG",@progbits,_ZN7rocprim17ROCPRIM_400000_NS6detail17trampoline_kernelINS0_14default_configENS1_27scan_by_key_config_selectorIssEEZZNS1_16scan_by_key_implILNS1_25lookback_scan_determinismE0ELb0ES3_N6thrust23THRUST_200600_302600_NS6detail15normal_iteratorINS9_10device_ptrIsEEEENS9_18transform_iteratorINS9_6negateIsEESE_NS9_11use_defaultESI_EESE_sNS9_4plusIvEENS9_8equal_toIvEEsEE10hipError_tPvRmT2_T3_T4_T5_mT6_T7_P12ihipStream_tbENKUlT_T0_E_clISt17integral_constantIbLb1EES14_EEDaSZ_S10_EUlSZ_E_NS1_11comp_targetILNS1_3genE10ELNS1_11target_archE1201ELNS1_3gpuE5ELNS1_3repE0EEENS1_30default_config_static_selectorELNS0_4arch9wavefront6targetE0EEEvT1_,comdat
	.protected	_ZN7rocprim17ROCPRIM_400000_NS6detail17trampoline_kernelINS0_14default_configENS1_27scan_by_key_config_selectorIssEEZZNS1_16scan_by_key_implILNS1_25lookback_scan_determinismE0ELb0ES3_N6thrust23THRUST_200600_302600_NS6detail15normal_iteratorINS9_10device_ptrIsEEEENS9_18transform_iteratorINS9_6negateIsEESE_NS9_11use_defaultESI_EESE_sNS9_4plusIvEENS9_8equal_toIvEEsEE10hipError_tPvRmT2_T3_T4_T5_mT6_T7_P12ihipStream_tbENKUlT_T0_E_clISt17integral_constantIbLb1EES14_EEDaSZ_S10_EUlSZ_E_NS1_11comp_targetILNS1_3genE10ELNS1_11target_archE1201ELNS1_3gpuE5ELNS1_3repE0EEENS1_30default_config_static_selectorELNS0_4arch9wavefront6targetE0EEEvT1_ ; -- Begin function _ZN7rocprim17ROCPRIM_400000_NS6detail17trampoline_kernelINS0_14default_configENS1_27scan_by_key_config_selectorIssEEZZNS1_16scan_by_key_implILNS1_25lookback_scan_determinismE0ELb0ES3_N6thrust23THRUST_200600_302600_NS6detail15normal_iteratorINS9_10device_ptrIsEEEENS9_18transform_iteratorINS9_6negateIsEESE_NS9_11use_defaultESI_EESE_sNS9_4plusIvEENS9_8equal_toIvEEsEE10hipError_tPvRmT2_T3_T4_T5_mT6_T7_P12ihipStream_tbENKUlT_T0_E_clISt17integral_constantIbLb1EES14_EEDaSZ_S10_EUlSZ_E_NS1_11comp_targetILNS1_3genE10ELNS1_11target_archE1201ELNS1_3gpuE5ELNS1_3repE0EEENS1_30default_config_static_selectorELNS0_4arch9wavefront6targetE0EEEvT1_
	.globl	_ZN7rocprim17ROCPRIM_400000_NS6detail17trampoline_kernelINS0_14default_configENS1_27scan_by_key_config_selectorIssEEZZNS1_16scan_by_key_implILNS1_25lookback_scan_determinismE0ELb0ES3_N6thrust23THRUST_200600_302600_NS6detail15normal_iteratorINS9_10device_ptrIsEEEENS9_18transform_iteratorINS9_6negateIsEESE_NS9_11use_defaultESI_EESE_sNS9_4plusIvEENS9_8equal_toIvEEsEE10hipError_tPvRmT2_T3_T4_T5_mT6_T7_P12ihipStream_tbENKUlT_T0_E_clISt17integral_constantIbLb1EES14_EEDaSZ_S10_EUlSZ_E_NS1_11comp_targetILNS1_3genE10ELNS1_11target_archE1201ELNS1_3gpuE5ELNS1_3repE0EEENS1_30default_config_static_selectorELNS0_4arch9wavefront6targetE0EEEvT1_
	.p2align	8
	.type	_ZN7rocprim17ROCPRIM_400000_NS6detail17trampoline_kernelINS0_14default_configENS1_27scan_by_key_config_selectorIssEEZZNS1_16scan_by_key_implILNS1_25lookback_scan_determinismE0ELb0ES3_N6thrust23THRUST_200600_302600_NS6detail15normal_iteratorINS9_10device_ptrIsEEEENS9_18transform_iteratorINS9_6negateIsEESE_NS9_11use_defaultESI_EESE_sNS9_4plusIvEENS9_8equal_toIvEEsEE10hipError_tPvRmT2_T3_T4_T5_mT6_T7_P12ihipStream_tbENKUlT_T0_E_clISt17integral_constantIbLb1EES14_EEDaSZ_S10_EUlSZ_E_NS1_11comp_targetILNS1_3genE10ELNS1_11target_archE1201ELNS1_3gpuE5ELNS1_3repE0EEENS1_30default_config_static_selectorELNS0_4arch9wavefront6targetE0EEEvT1_,@function
_ZN7rocprim17ROCPRIM_400000_NS6detail17trampoline_kernelINS0_14default_configENS1_27scan_by_key_config_selectorIssEEZZNS1_16scan_by_key_implILNS1_25lookback_scan_determinismE0ELb0ES3_N6thrust23THRUST_200600_302600_NS6detail15normal_iteratorINS9_10device_ptrIsEEEENS9_18transform_iteratorINS9_6negateIsEESE_NS9_11use_defaultESI_EESE_sNS9_4plusIvEENS9_8equal_toIvEEsEE10hipError_tPvRmT2_T3_T4_T5_mT6_T7_P12ihipStream_tbENKUlT_T0_E_clISt17integral_constantIbLb1EES14_EEDaSZ_S10_EUlSZ_E_NS1_11comp_targetILNS1_3genE10ELNS1_11target_archE1201ELNS1_3gpuE5ELNS1_3repE0EEENS1_30default_config_static_selectorELNS0_4arch9wavefront6targetE0EEEvT1_: ; @_ZN7rocprim17ROCPRIM_400000_NS6detail17trampoline_kernelINS0_14default_configENS1_27scan_by_key_config_selectorIssEEZZNS1_16scan_by_key_implILNS1_25lookback_scan_determinismE0ELb0ES3_N6thrust23THRUST_200600_302600_NS6detail15normal_iteratorINS9_10device_ptrIsEEEENS9_18transform_iteratorINS9_6negateIsEESE_NS9_11use_defaultESI_EESE_sNS9_4plusIvEENS9_8equal_toIvEEsEE10hipError_tPvRmT2_T3_T4_T5_mT6_T7_P12ihipStream_tbENKUlT_T0_E_clISt17integral_constantIbLb1EES14_EEDaSZ_S10_EUlSZ_E_NS1_11comp_targetILNS1_3genE10ELNS1_11target_archE1201ELNS1_3gpuE5ELNS1_3repE0EEENS1_30default_config_static_selectorELNS0_4arch9wavefront6targetE0EEEvT1_
; %bb.0:
	.section	.rodata,"a",@progbits
	.p2align	6, 0x0
	.amdhsa_kernel _ZN7rocprim17ROCPRIM_400000_NS6detail17trampoline_kernelINS0_14default_configENS1_27scan_by_key_config_selectorIssEEZZNS1_16scan_by_key_implILNS1_25lookback_scan_determinismE0ELb0ES3_N6thrust23THRUST_200600_302600_NS6detail15normal_iteratorINS9_10device_ptrIsEEEENS9_18transform_iteratorINS9_6negateIsEESE_NS9_11use_defaultESI_EESE_sNS9_4plusIvEENS9_8equal_toIvEEsEE10hipError_tPvRmT2_T3_T4_T5_mT6_T7_P12ihipStream_tbENKUlT_T0_E_clISt17integral_constantIbLb1EES14_EEDaSZ_S10_EUlSZ_E_NS1_11comp_targetILNS1_3genE10ELNS1_11target_archE1201ELNS1_3gpuE5ELNS1_3repE0EEENS1_30default_config_static_selectorELNS0_4arch9wavefront6targetE0EEEvT1_
		.amdhsa_group_segment_fixed_size 0
		.amdhsa_private_segment_fixed_size 0
		.amdhsa_kernarg_size 120
		.amdhsa_user_sgpr_count 2
		.amdhsa_user_sgpr_dispatch_ptr 0
		.amdhsa_user_sgpr_queue_ptr 0
		.amdhsa_user_sgpr_kernarg_segment_ptr 1
		.amdhsa_user_sgpr_dispatch_id 0
		.amdhsa_user_sgpr_kernarg_preload_length 0
		.amdhsa_user_sgpr_kernarg_preload_offset 0
		.amdhsa_user_sgpr_private_segment_size 0
		.amdhsa_wavefront_size32 1
		.amdhsa_uses_dynamic_stack 0
		.amdhsa_enable_private_segment 0
		.amdhsa_system_sgpr_workgroup_id_x 1
		.amdhsa_system_sgpr_workgroup_id_y 0
		.amdhsa_system_sgpr_workgroup_id_z 0
		.amdhsa_system_sgpr_workgroup_info 0
		.amdhsa_system_vgpr_workitem_id 0
		.amdhsa_next_free_vgpr 1
		.amdhsa_next_free_sgpr 1
		.amdhsa_named_barrier_count 0
		.amdhsa_reserve_vcc 0
		.amdhsa_float_round_mode_32 0
		.amdhsa_float_round_mode_16_64 0
		.amdhsa_float_denorm_mode_32 3
		.amdhsa_float_denorm_mode_16_64 3
		.amdhsa_fp16_overflow 0
		.amdhsa_memory_ordered 1
		.amdhsa_forward_progress 1
		.amdhsa_inst_pref_size 0
		.amdhsa_round_robin_scheduling 0
		.amdhsa_exception_fp_ieee_invalid_op 0
		.amdhsa_exception_fp_denorm_src 0
		.amdhsa_exception_fp_ieee_div_zero 0
		.amdhsa_exception_fp_ieee_overflow 0
		.amdhsa_exception_fp_ieee_underflow 0
		.amdhsa_exception_fp_ieee_inexact 0
		.amdhsa_exception_int_div_zero 0
	.end_amdhsa_kernel
	.section	.text._ZN7rocprim17ROCPRIM_400000_NS6detail17trampoline_kernelINS0_14default_configENS1_27scan_by_key_config_selectorIssEEZZNS1_16scan_by_key_implILNS1_25lookback_scan_determinismE0ELb0ES3_N6thrust23THRUST_200600_302600_NS6detail15normal_iteratorINS9_10device_ptrIsEEEENS9_18transform_iteratorINS9_6negateIsEESE_NS9_11use_defaultESI_EESE_sNS9_4plusIvEENS9_8equal_toIvEEsEE10hipError_tPvRmT2_T3_T4_T5_mT6_T7_P12ihipStream_tbENKUlT_T0_E_clISt17integral_constantIbLb1EES14_EEDaSZ_S10_EUlSZ_E_NS1_11comp_targetILNS1_3genE10ELNS1_11target_archE1201ELNS1_3gpuE5ELNS1_3repE0EEENS1_30default_config_static_selectorELNS0_4arch9wavefront6targetE0EEEvT1_,"axG",@progbits,_ZN7rocprim17ROCPRIM_400000_NS6detail17trampoline_kernelINS0_14default_configENS1_27scan_by_key_config_selectorIssEEZZNS1_16scan_by_key_implILNS1_25lookback_scan_determinismE0ELb0ES3_N6thrust23THRUST_200600_302600_NS6detail15normal_iteratorINS9_10device_ptrIsEEEENS9_18transform_iteratorINS9_6negateIsEESE_NS9_11use_defaultESI_EESE_sNS9_4plusIvEENS9_8equal_toIvEEsEE10hipError_tPvRmT2_T3_T4_T5_mT6_T7_P12ihipStream_tbENKUlT_T0_E_clISt17integral_constantIbLb1EES14_EEDaSZ_S10_EUlSZ_E_NS1_11comp_targetILNS1_3genE10ELNS1_11target_archE1201ELNS1_3gpuE5ELNS1_3repE0EEENS1_30default_config_static_selectorELNS0_4arch9wavefront6targetE0EEEvT1_,comdat
.Lfunc_end975:
	.size	_ZN7rocprim17ROCPRIM_400000_NS6detail17trampoline_kernelINS0_14default_configENS1_27scan_by_key_config_selectorIssEEZZNS1_16scan_by_key_implILNS1_25lookback_scan_determinismE0ELb0ES3_N6thrust23THRUST_200600_302600_NS6detail15normal_iteratorINS9_10device_ptrIsEEEENS9_18transform_iteratorINS9_6negateIsEESE_NS9_11use_defaultESI_EESE_sNS9_4plusIvEENS9_8equal_toIvEEsEE10hipError_tPvRmT2_T3_T4_T5_mT6_T7_P12ihipStream_tbENKUlT_T0_E_clISt17integral_constantIbLb1EES14_EEDaSZ_S10_EUlSZ_E_NS1_11comp_targetILNS1_3genE10ELNS1_11target_archE1201ELNS1_3gpuE5ELNS1_3repE0EEENS1_30default_config_static_selectorELNS0_4arch9wavefront6targetE0EEEvT1_, .Lfunc_end975-_ZN7rocprim17ROCPRIM_400000_NS6detail17trampoline_kernelINS0_14default_configENS1_27scan_by_key_config_selectorIssEEZZNS1_16scan_by_key_implILNS1_25lookback_scan_determinismE0ELb0ES3_N6thrust23THRUST_200600_302600_NS6detail15normal_iteratorINS9_10device_ptrIsEEEENS9_18transform_iteratorINS9_6negateIsEESE_NS9_11use_defaultESI_EESE_sNS9_4plusIvEENS9_8equal_toIvEEsEE10hipError_tPvRmT2_T3_T4_T5_mT6_T7_P12ihipStream_tbENKUlT_T0_E_clISt17integral_constantIbLb1EES14_EEDaSZ_S10_EUlSZ_E_NS1_11comp_targetILNS1_3genE10ELNS1_11target_archE1201ELNS1_3gpuE5ELNS1_3repE0EEENS1_30default_config_static_selectorELNS0_4arch9wavefront6targetE0EEEvT1_
                                        ; -- End function
	.set _ZN7rocprim17ROCPRIM_400000_NS6detail17trampoline_kernelINS0_14default_configENS1_27scan_by_key_config_selectorIssEEZZNS1_16scan_by_key_implILNS1_25lookback_scan_determinismE0ELb0ES3_N6thrust23THRUST_200600_302600_NS6detail15normal_iteratorINS9_10device_ptrIsEEEENS9_18transform_iteratorINS9_6negateIsEESE_NS9_11use_defaultESI_EESE_sNS9_4plusIvEENS9_8equal_toIvEEsEE10hipError_tPvRmT2_T3_T4_T5_mT6_T7_P12ihipStream_tbENKUlT_T0_E_clISt17integral_constantIbLb1EES14_EEDaSZ_S10_EUlSZ_E_NS1_11comp_targetILNS1_3genE10ELNS1_11target_archE1201ELNS1_3gpuE5ELNS1_3repE0EEENS1_30default_config_static_selectorELNS0_4arch9wavefront6targetE0EEEvT1_.num_vgpr, 0
	.set _ZN7rocprim17ROCPRIM_400000_NS6detail17trampoline_kernelINS0_14default_configENS1_27scan_by_key_config_selectorIssEEZZNS1_16scan_by_key_implILNS1_25lookback_scan_determinismE0ELb0ES3_N6thrust23THRUST_200600_302600_NS6detail15normal_iteratorINS9_10device_ptrIsEEEENS9_18transform_iteratorINS9_6negateIsEESE_NS9_11use_defaultESI_EESE_sNS9_4plusIvEENS9_8equal_toIvEEsEE10hipError_tPvRmT2_T3_T4_T5_mT6_T7_P12ihipStream_tbENKUlT_T0_E_clISt17integral_constantIbLb1EES14_EEDaSZ_S10_EUlSZ_E_NS1_11comp_targetILNS1_3genE10ELNS1_11target_archE1201ELNS1_3gpuE5ELNS1_3repE0EEENS1_30default_config_static_selectorELNS0_4arch9wavefront6targetE0EEEvT1_.num_agpr, 0
	.set _ZN7rocprim17ROCPRIM_400000_NS6detail17trampoline_kernelINS0_14default_configENS1_27scan_by_key_config_selectorIssEEZZNS1_16scan_by_key_implILNS1_25lookback_scan_determinismE0ELb0ES3_N6thrust23THRUST_200600_302600_NS6detail15normal_iteratorINS9_10device_ptrIsEEEENS9_18transform_iteratorINS9_6negateIsEESE_NS9_11use_defaultESI_EESE_sNS9_4plusIvEENS9_8equal_toIvEEsEE10hipError_tPvRmT2_T3_T4_T5_mT6_T7_P12ihipStream_tbENKUlT_T0_E_clISt17integral_constantIbLb1EES14_EEDaSZ_S10_EUlSZ_E_NS1_11comp_targetILNS1_3genE10ELNS1_11target_archE1201ELNS1_3gpuE5ELNS1_3repE0EEENS1_30default_config_static_selectorELNS0_4arch9wavefront6targetE0EEEvT1_.numbered_sgpr, 0
	.set _ZN7rocprim17ROCPRIM_400000_NS6detail17trampoline_kernelINS0_14default_configENS1_27scan_by_key_config_selectorIssEEZZNS1_16scan_by_key_implILNS1_25lookback_scan_determinismE0ELb0ES3_N6thrust23THRUST_200600_302600_NS6detail15normal_iteratorINS9_10device_ptrIsEEEENS9_18transform_iteratorINS9_6negateIsEESE_NS9_11use_defaultESI_EESE_sNS9_4plusIvEENS9_8equal_toIvEEsEE10hipError_tPvRmT2_T3_T4_T5_mT6_T7_P12ihipStream_tbENKUlT_T0_E_clISt17integral_constantIbLb1EES14_EEDaSZ_S10_EUlSZ_E_NS1_11comp_targetILNS1_3genE10ELNS1_11target_archE1201ELNS1_3gpuE5ELNS1_3repE0EEENS1_30default_config_static_selectorELNS0_4arch9wavefront6targetE0EEEvT1_.num_named_barrier, 0
	.set _ZN7rocprim17ROCPRIM_400000_NS6detail17trampoline_kernelINS0_14default_configENS1_27scan_by_key_config_selectorIssEEZZNS1_16scan_by_key_implILNS1_25lookback_scan_determinismE0ELb0ES3_N6thrust23THRUST_200600_302600_NS6detail15normal_iteratorINS9_10device_ptrIsEEEENS9_18transform_iteratorINS9_6negateIsEESE_NS9_11use_defaultESI_EESE_sNS9_4plusIvEENS9_8equal_toIvEEsEE10hipError_tPvRmT2_T3_T4_T5_mT6_T7_P12ihipStream_tbENKUlT_T0_E_clISt17integral_constantIbLb1EES14_EEDaSZ_S10_EUlSZ_E_NS1_11comp_targetILNS1_3genE10ELNS1_11target_archE1201ELNS1_3gpuE5ELNS1_3repE0EEENS1_30default_config_static_selectorELNS0_4arch9wavefront6targetE0EEEvT1_.private_seg_size, 0
	.set _ZN7rocprim17ROCPRIM_400000_NS6detail17trampoline_kernelINS0_14default_configENS1_27scan_by_key_config_selectorIssEEZZNS1_16scan_by_key_implILNS1_25lookback_scan_determinismE0ELb0ES3_N6thrust23THRUST_200600_302600_NS6detail15normal_iteratorINS9_10device_ptrIsEEEENS9_18transform_iteratorINS9_6negateIsEESE_NS9_11use_defaultESI_EESE_sNS9_4plusIvEENS9_8equal_toIvEEsEE10hipError_tPvRmT2_T3_T4_T5_mT6_T7_P12ihipStream_tbENKUlT_T0_E_clISt17integral_constantIbLb1EES14_EEDaSZ_S10_EUlSZ_E_NS1_11comp_targetILNS1_3genE10ELNS1_11target_archE1201ELNS1_3gpuE5ELNS1_3repE0EEENS1_30default_config_static_selectorELNS0_4arch9wavefront6targetE0EEEvT1_.uses_vcc, 0
	.set _ZN7rocprim17ROCPRIM_400000_NS6detail17trampoline_kernelINS0_14default_configENS1_27scan_by_key_config_selectorIssEEZZNS1_16scan_by_key_implILNS1_25lookback_scan_determinismE0ELb0ES3_N6thrust23THRUST_200600_302600_NS6detail15normal_iteratorINS9_10device_ptrIsEEEENS9_18transform_iteratorINS9_6negateIsEESE_NS9_11use_defaultESI_EESE_sNS9_4plusIvEENS9_8equal_toIvEEsEE10hipError_tPvRmT2_T3_T4_T5_mT6_T7_P12ihipStream_tbENKUlT_T0_E_clISt17integral_constantIbLb1EES14_EEDaSZ_S10_EUlSZ_E_NS1_11comp_targetILNS1_3genE10ELNS1_11target_archE1201ELNS1_3gpuE5ELNS1_3repE0EEENS1_30default_config_static_selectorELNS0_4arch9wavefront6targetE0EEEvT1_.uses_flat_scratch, 0
	.set _ZN7rocprim17ROCPRIM_400000_NS6detail17trampoline_kernelINS0_14default_configENS1_27scan_by_key_config_selectorIssEEZZNS1_16scan_by_key_implILNS1_25lookback_scan_determinismE0ELb0ES3_N6thrust23THRUST_200600_302600_NS6detail15normal_iteratorINS9_10device_ptrIsEEEENS9_18transform_iteratorINS9_6negateIsEESE_NS9_11use_defaultESI_EESE_sNS9_4plusIvEENS9_8equal_toIvEEsEE10hipError_tPvRmT2_T3_T4_T5_mT6_T7_P12ihipStream_tbENKUlT_T0_E_clISt17integral_constantIbLb1EES14_EEDaSZ_S10_EUlSZ_E_NS1_11comp_targetILNS1_3genE10ELNS1_11target_archE1201ELNS1_3gpuE5ELNS1_3repE0EEENS1_30default_config_static_selectorELNS0_4arch9wavefront6targetE0EEEvT1_.has_dyn_sized_stack, 0
	.set _ZN7rocprim17ROCPRIM_400000_NS6detail17trampoline_kernelINS0_14default_configENS1_27scan_by_key_config_selectorIssEEZZNS1_16scan_by_key_implILNS1_25lookback_scan_determinismE0ELb0ES3_N6thrust23THRUST_200600_302600_NS6detail15normal_iteratorINS9_10device_ptrIsEEEENS9_18transform_iteratorINS9_6negateIsEESE_NS9_11use_defaultESI_EESE_sNS9_4plusIvEENS9_8equal_toIvEEsEE10hipError_tPvRmT2_T3_T4_T5_mT6_T7_P12ihipStream_tbENKUlT_T0_E_clISt17integral_constantIbLb1EES14_EEDaSZ_S10_EUlSZ_E_NS1_11comp_targetILNS1_3genE10ELNS1_11target_archE1201ELNS1_3gpuE5ELNS1_3repE0EEENS1_30default_config_static_selectorELNS0_4arch9wavefront6targetE0EEEvT1_.has_recursion, 0
	.set _ZN7rocprim17ROCPRIM_400000_NS6detail17trampoline_kernelINS0_14default_configENS1_27scan_by_key_config_selectorIssEEZZNS1_16scan_by_key_implILNS1_25lookback_scan_determinismE0ELb0ES3_N6thrust23THRUST_200600_302600_NS6detail15normal_iteratorINS9_10device_ptrIsEEEENS9_18transform_iteratorINS9_6negateIsEESE_NS9_11use_defaultESI_EESE_sNS9_4plusIvEENS9_8equal_toIvEEsEE10hipError_tPvRmT2_T3_T4_T5_mT6_T7_P12ihipStream_tbENKUlT_T0_E_clISt17integral_constantIbLb1EES14_EEDaSZ_S10_EUlSZ_E_NS1_11comp_targetILNS1_3genE10ELNS1_11target_archE1201ELNS1_3gpuE5ELNS1_3repE0EEENS1_30default_config_static_selectorELNS0_4arch9wavefront6targetE0EEEvT1_.has_indirect_call, 0
	.section	.AMDGPU.csdata,"",@progbits
; Kernel info:
; codeLenInByte = 0
; TotalNumSgprs: 0
; NumVgprs: 0
; ScratchSize: 0
; MemoryBound: 0
; FloatMode: 240
; IeeeMode: 1
; LDSByteSize: 0 bytes/workgroup (compile time only)
; SGPRBlocks: 0
; VGPRBlocks: 0
; NumSGPRsForWavesPerEU: 1
; NumVGPRsForWavesPerEU: 1
; NamedBarCnt: 0
; Occupancy: 16
; WaveLimiterHint : 0
; COMPUTE_PGM_RSRC2:SCRATCH_EN: 0
; COMPUTE_PGM_RSRC2:USER_SGPR: 2
; COMPUTE_PGM_RSRC2:TRAP_HANDLER: 0
; COMPUTE_PGM_RSRC2:TGID_X_EN: 1
; COMPUTE_PGM_RSRC2:TGID_Y_EN: 0
; COMPUTE_PGM_RSRC2:TGID_Z_EN: 0
; COMPUTE_PGM_RSRC2:TIDIG_COMP_CNT: 0
	.section	.text._ZN7rocprim17ROCPRIM_400000_NS6detail17trampoline_kernelINS0_14default_configENS1_27scan_by_key_config_selectorIssEEZZNS1_16scan_by_key_implILNS1_25lookback_scan_determinismE0ELb0ES3_N6thrust23THRUST_200600_302600_NS6detail15normal_iteratorINS9_10device_ptrIsEEEENS9_18transform_iteratorINS9_6negateIsEESE_NS9_11use_defaultESI_EESE_sNS9_4plusIvEENS9_8equal_toIvEEsEE10hipError_tPvRmT2_T3_T4_T5_mT6_T7_P12ihipStream_tbENKUlT_T0_E_clISt17integral_constantIbLb1EES14_EEDaSZ_S10_EUlSZ_E_NS1_11comp_targetILNS1_3genE5ELNS1_11target_archE942ELNS1_3gpuE9ELNS1_3repE0EEENS1_30default_config_static_selectorELNS0_4arch9wavefront6targetE0EEEvT1_,"axG",@progbits,_ZN7rocprim17ROCPRIM_400000_NS6detail17trampoline_kernelINS0_14default_configENS1_27scan_by_key_config_selectorIssEEZZNS1_16scan_by_key_implILNS1_25lookback_scan_determinismE0ELb0ES3_N6thrust23THRUST_200600_302600_NS6detail15normal_iteratorINS9_10device_ptrIsEEEENS9_18transform_iteratorINS9_6negateIsEESE_NS9_11use_defaultESI_EESE_sNS9_4plusIvEENS9_8equal_toIvEEsEE10hipError_tPvRmT2_T3_T4_T5_mT6_T7_P12ihipStream_tbENKUlT_T0_E_clISt17integral_constantIbLb1EES14_EEDaSZ_S10_EUlSZ_E_NS1_11comp_targetILNS1_3genE5ELNS1_11target_archE942ELNS1_3gpuE9ELNS1_3repE0EEENS1_30default_config_static_selectorELNS0_4arch9wavefront6targetE0EEEvT1_,comdat
	.protected	_ZN7rocprim17ROCPRIM_400000_NS6detail17trampoline_kernelINS0_14default_configENS1_27scan_by_key_config_selectorIssEEZZNS1_16scan_by_key_implILNS1_25lookback_scan_determinismE0ELb0ES3_N6thrust23THRUST_200600_302600_NS6detail15normal_iteratorINS9_10device_ptrIsEEEENS9_18transform_iteratorINS9_6negateIsEESE_NS9_11use_defaultESI_EESE_sNS9_4plusIvEENS9_8equal_toIvEEsEE10hipError_tPvRmT2_T3_T4_T5_mT6_T7_P12ihipStream_tbENKUlT_T0_E_clISt17integral_constantIbLb1EES14_EEDaSZ_S10_EUlSZ_E_NS1_11comp_targetILNS1_3genE5ELNS1_11target_archE942ELNS1_3gpuE9ELNS1_3repE0EEENS1_30default_config_static_selectorELNS0_4arch9wavefront6targetE0EEEvT1_ ; -- Begin function _ZN7rocprim17ROCPRIM_400000_NS6detail17trampoline_kernelINS0_14default_configENS1_27scan_by_key_config_selectorIssEEZZNS1_16scan_by_key_implILNS1_25lookback_scan_determinismE0ELb0ES3_N6thrust23THRUST_200600_302600_NS6detail15normal_iteratorINS9_10device_ptrIsEEEENS9_18transform_iteratorINS9_6negateIsEESE_NS9_11use_defaultESI_EESE_sNS9_4plusIvEENS9_8equal_toIvEEsEE10hipError_tPvRmT2_T3_T4_T5_mT6_T7_P12ihipStream_tbENKUlT_T0_E_clISt17integral_constantIbLb1EES14_EEDaSZ_S10_EUlSZ_E_NS1_11comp_targetILNS1_3genE5ELNS1_11target_archE942ELNS1_3gpuE9ELNS1_3repE0EEENS1_30default_config_static_selectorELNS0_4arch9wavefront6targetE0EEEvT1_
	.globl	_ZN7rocprim17ROCPRIM_400000_NS6detail17trampoline_kernelINS0_14default_configENS1_27scan_by_key_config_selectorIssEEZZNS1_16scan_by_key_implILNS1_25lookback_scan_determinismE0ELb0ES3_N6thrust23THRUST_200600_302600_NS6detail15normal_iteratorINS9_10device_ptrIsEEEENS9_18transform_iteratorINS9_6negateIsEESE_NS9_11use_defaultESI_EESE_sNS9_4plusIvEENS9_8equal_toIvEEsEE10hipError_tPvRmT2_T3_T4_T5_mT6_T7_P12ihipStream_tbENKUlT_T0_E_clISt17integral_constantIbLb1EES14_EEDaSZ_S10_EUlSZ_E_NS1_11comp_targetILNS1_3genE5ELNS1_11target_archE942ELNS1_3gpuE9ELNS1_3repE0EEENS1_30default_config_static_selectorELNS0_4arch9wavefront6targetE0EEEvT1_
	.p2align	8
	.type	_ZN7rocprim17ROCPRIM_400000_NS6detail17trampoline_kernelINS0_14default_configENS1_27scan_by_key_config_selectorIssEEZZNS1_16scan_by_key_implILNS1_25lookback_scan_determinismE0ELb0ES3_N6thrust23THRUST_200600_302600_NS6detail15normal_iteratorINS9_10device_ptrIsEEEENS9_18transform_iteratorINS9_6negateIsEESE_NS9_11use_defaultESI_EESE_sNS9_4plusIvEENS9_8equal_toIvEEsEE10hipError_tPvRmT2_T3_T4_T5_mT6_T7_P12ihipStream_tbENKUlT_T0_E_clISt17integral_constantIbLb1EES14_EEDaSZ_S10_EUlSZ_E_NS1_11comp_targetILNS1_3genE5ELNS1_11target_archE942ELNS1_3gpuE9ELNS1_3repE0EEENS1_30default_config_static_selectorELNS0_4arch9wavefront6targetE0EEEvT1_,@function
_ZN7rocprim17ROCPRIM_400000_NS6detail17trampoline_kernelINS0_14default_configENS1_27scan_by_key_config_selectorIssEEZZNS1_16scan_by_key_implILNS1_25lookback_scan_determinismE0ELb0ES3_N6thrust23THRUST_200600_302600_NS6detail15normal_iteratorINS9_10device_ptrIsEEEENS9_18transform_iteratorINS9_6negateIsEESE_NS9_11use_defaultESI_EESE_sNS9_4plusIvEENS9_8equal_toIvEEsEE10hipError_tPvRmT2_T3_T4_T5_mT6_T7_P12ihipStream_tbENKUlT_T0_E_clISt17integral_constantIbLb1EES14_EEDaSZ_S10_EUlSZ_E_NS1_11comp_targetILNS1_3genE5ELNS1_11target_archE942ELNS1_3gpuE9ELNS1_3repE0EEENS1_30default_config_static_selectorELNS0_4arch9wavefront6targetE0EEEvT1_: ; @_ZN7rocprim17ROCPRIM_400000_NS6detail17trampoline_kernelINS0_14default_configENS1_27scan_by_key_config_selectorIssEEZZNS1_16scan_by_key_implILNS1_25lookback_scan_determinismE0ELb0ES3_N6thrust23THRUST_200600_302600_NS6detail15normal_iteratorINS9_10device_ptrIsEEEENS9_18transform_iteratorINS9_6negateIsEESE_NS9_11use_defaultESI_EESE_sNS9_4plusIvEENS9_8equal_toIvEEsEE10hipError_tPvRmT2_T3_T4_T5_mT6_T7_P12ihipStream_tbENKUlT_T0_E_clISt17integral_constantIbLb1EES14_EEDaSZ_S10_EUlSZ_E_NS1_11comp_targetILNS1_3genE5ELNS1_11target_archE942ELNS1_3gpuE9ELNS1_3repE0EEENS1_30default_config_static_selectorELNS0_4arch9wavefront6targetE0EEEvT1_
; %bb.0:
	.section	.rodata,"a",@progbits
	.p2align	6, 0x0
	.amdhsa_kernel _ZN7rocprim17ROCPRIM_400000_NS6detail17trampoline_kernelINS0_14default_configENS1_27scan_by_key_config_selectorIssEEZZNS1_16scan_by_key_implILNS1_25lookback_scan_determinismE0ELb0ES3_N6thrust23THRUST_200600_302600_NS6detail15normal_iteratorINS9_10device_ptrIsEEEENS9_18transform_iteratorINS9_6negateIsEESE_NS9_11use_defaultESI_EESE_sNS9_4plusIvEENS9_8equal_toIvEEsEE10hipError_tPvRmT2_T3_T4_T5_mT6_T7_P12ihipStream_tbENKUlT_T0_E_clISt17integral_constantIbLb1EES14_EEDaSZ_S10_EUlSZ_E_NS1_11comp_targetILNS1_3genE5ELNS1_11target_archE942ELNS1_3gpuE9ELNS1_3repE0EEENS1_30default_config_static_selectorELNS0_4arch9wavefront6targetE0EEEvT1_
		.amdhsa_group_segment_fixed_size 0
		.amdhsa_private_segment_fixed_size 0
		.amdhsa_kernarg_size 120
		.amdhsa_user_sgpr_count 2
		.amdhsa_user_sgpr_dispatch_ptr 0
		.amdhsa_user_sgpr_queue_ptr 0
		.amdhsa_user_sgpr_kernarg_segment_ptr 1
		.amdhsa_user_sgpr_dispatch_id 0
		.amdhsa_user_sgpr_kernarg_preload_length 0
		.amdhsa_user_sgpr_kernarg_preload_offset 0
		.amdhsa_user_sgpr_private_segment_size 0
		.amdhsa_wavefront_size32 1
		.amdhsa_uses_dynamic_stack 0
		.amdhsa_enable_private_segment 0
		.amdhsa_system_sgpr_workgroup_id_x 1
		.amdhsa_system_sgpr_workgroup_id_y 0
		.amdhsa_system_sgpr_workgroup_id_z 0
		.amdhsa_system_sgpr_workgroup_info 0
		.amdhsa_system_vgpr_workitem_id 0
		.amdhsa_next_free_vgpr 1
		.amdhsa_next_free_sgpr 1
		.amdhsa_named_barrier_count 0
		.amdhsa_reserve_vcc 0
		.amdhsa_float_round_mode_32 0
		.amdhsa_float_round_mode_16_64 0
		.amdhsa_float_denorm_mode_32 3
		.amdhsa_float_denorm_mode_16_64 3
		.amdhsa_fp16_overflow 0
		.amdhsa_memory_ordered 1
		.amdhsa_forward_progress 1
		.amdhsa_inst_pref_size 0
		.amdhsa_round_robin_scheduling 0
		.amdhsa_exception_fp_ieee_invalid_op 0
		.amdhsa_exception_fp_denorm_src 0
		.amdhsa_exception_fp_ieee_div_zero 0
		.amdhsa_exception_fp_ieee_overflow 0
		.amdhsa_exception_fp_ieee_underflow 0
		.amdhsa_exception_fp_ieee_inexact 0
		.amdhsa_exception_int_div_zero 0
	.end_amdhsa_kernel
	.section	.text._ZN7rocprim17ROCPRIM_400000_NS6detail17trampoline_kernelINS0_14default_configENS1_27scan_by_key_config_selectorIssEEZZNS1_16scan_by_key_implILNS1_25lookback_scan_determinismE0ELb0ES3_N6thrust23THRUST_200600_302600_NS6detail15normal_iteratorINS9_10device_ptrIsEEEENS9_18transform_iteratorINS9_6negateIsEESE_NS9_11use_defaultESI_EESE_sNS9_4plusIvEENS9_8equal_toIvEEsEE10hipError_tPvRmT2_T3_T4_T5_mT6_T7_P12ihipStream_tbENKUlT_T0_E_clISt17integral_constantIbLb1EES14_EEDaSZ_S10_EUlSZ_E_NS1_11comp_targetILNS1_3genE5ELNS1_11target_archE942ELNS1_3gpuE9ELNS1_3repE0EEENS1_30default_config_static_selectorELNS0_4arch9wavefront6targetE0EEEvT1_,"axG",@progbits,_ZN7rocprim17ROCPRIM_400000_NS6detail17trampoline_kernelINS0_14default_configENS1_27scan_by_key_config_selectorIssEEZZNS1_16scan_by_key_implILNS1_25lookback_scan_determinismE0ELb0ES3_N6thrust23THRUST_200600_302600_NS6detail15normal_iteratorINS9_10device_ptrIsEEEENS9_18transform_iteratorINS9_6negateIsEESE_NS9_11use_defaultESI_EESE_sNS9_4plusIvEENS9_8equal_toIvEEsEE10hipError_tPvRmT2_T3_T4_T5_mT6_T7_P12ihipStream_tbENKUlT_T0_E_clISt17integral_constantIbLb1EES14_EEDaSZ_S10_EUlSZ_E_NS1_11comp_targetILNS1_3genE5ELNS1_11target_archE942ELNS1_3gpuE9ELNS1_3repE0EEENS1_30default_config_static_selectorELNS0_4arch9wavefront6targetE0EEEvT1_,comdat
.Lfunc_end976:
	.size	_ZN7rocprim17ROCPRIM_400000_NS6detail17trampoline_kernelINS0_14default_configENS1_27scan_by_key_config_selectorIssEEZZNS1_16scan_by_key_implILNS1_25lookback_scan_determinismE0ELb0ES3_N6thrust23THRUST_200600_302600_NS6detail15normal_iteratorINS9_10device_ptrIsEEEENS9_18transform_iteratorINS9_6negateIsEESE_NS9_11use_defaultESI_EESE_sNS9_4plusIvEENS9_8equal_toIvEEsEE10hipError_tPvRmT2_T3_T4_T5_mT6_T7_P12ihipStream_tbENKUlT_T0_E_clISt17integral_constantIbLb1EES14_EEDaSZ_S10_EUlSZ_E_NS1_11comp_targetILNS1_3genE5ELNS1_11target_archE942ELNS1_3gpuE9ELNS1_3repE0EEENS1_30default_config_static_selectorELNS0_4arch9wavefront6targetE0EEEvT1_, .Lfunc_end976-_ZN7rocprim17ROCPRIM_400000_NS6detail17trampoline_kernelINS0_14default_configENS1_27scan_by_key_config_selectorIssEEZZNS1_16scan_by_key_implILNS1_25lookback_scan_determinismE0ELb0ES3_N6thrust23THRUST_200600_302600_NS6detail15normal_iteratorINS9_10device_ptrIsEEEENS9_18transform_iteratorINS9_6negateIsEESE_NS9_11use_defaultESI_EESE_sNS9_4plusIvEENS9_8equal_toIvEEsEE10hipError_tPvRmT2_T3_T4_T5_mT6_T7_P12ihipStream_tbENKUlT_T0_E_clISt17integral_constantIbLb1EES14_EEDaSZ_S10_EUlSZ_E_NS1_11comp_targetILNS1_3genE5ELNS1_11target_archE942ELNS1_3gpuE9ELNS1_3repE0EEENS1_30default_config_static_selectorELNS0_4arch9wavefront6targetE0EEEvT1_
                                        ; -- End function
	.set _ZN7rocprim17ROCPRIM_400000_NS6detail17trampoline_kernelINS0_14default_configENS1_27scan_by_key_config_selectorIssEEZZNS1_16scan_by_key_implILNS1_25lookback_scan_determinismE0ELb0ES3_N6thrust23THRUST_200600_302600_NS6detail15normal_iteratorINS9_10device_ptrIsEEEENS9_18transform_iteratorINS9_6negateIsEESE_NS9_11use_defaultESI_EESE_sNS9_4plusIvEENS9_8equal_toIvEEsEE10hipError_tPvRmT2_T3_T4_T5_mT6_T7_P12ihipStream_tbENKUlT_T0_E_clISt17integral_constantIbLb1EES14_EEDaSZ_S10_EUlSZ_E_NS1_11comp_targetILNS1_3genE5ELNS1_11target_archE942ELNS1_3gpuE9ELNS1_3repE0EEENS1_30default_config_static_selectorELNS0_4arch9wavefront6targetE0EEEvT1_.num_vgpr, 0
	.set _ZN7rocprim17ROCPRIM_400000_NS6detail17trampoline_kernelINS0_14default_configENS1_27scan_by_key_config_selectorIssEEZZNS1_16scan_by_key_implILNS1_25lookback_scan_determinismE0ELb0ES3_N6thrust23THRUST_200600_302600_NS6detail15normal_iteratorINS9_10device_ptrIsEEEENS9_18transform_iteratorINS9_6negateIsEESE_NS9_11use_defaultESI_EESE_sNS9_4plusIvEENS9_8equal_toIvEEsEE10hipError_tPvRmT2_T3_T4_T5_mT6_T7_P12ihipStream_tbENKUlT_T0_E_clISt17integral_constantIbLb1EES14_EEDaSZ_S10_EUlSZ_E_NS1_11comp_targetILNS1_3genE5ELNS1_11target_archE942ELNS1_3gpuE9ELNS1_3repE0EEENS1_30default_config_static_selectorELNS0_4arch9wavefront6targetE0EEEvT1_.num_agpr, 0
	.set _ZN7rocprim17ROCPRIM_400000_NS6detail17trampoline_kernelINS0_14default_configENS1_27scan_by_key_config_selectorIssEEZZNS1_16scan_by_key_implILNS1_25lookback_scan_determinismE0ELb0ES3_N6thrust23THRUST_200600_302600_NS6detail15normal_iteratorINS9_10device_ptrIsEEEENS9_18transform_iteratorINS9_6negateIsEESE_NS9_11use_defaultESI_EESE_sNS9_4plusIvEENS9_8equal_toIvEEsEE10hipError_tPvRmT2_T3_T4_T5_mT6_T7_P12ihipStream_tbENKUlT_T0_E_clISt17integral_constantIbLb1EES14_EEDaSZ_S10_EUlSZ_E_NS1_11comp_targetILNS1_3genE5ELNS1_11target_archE942ELNS1_3gpuE9ELNS1_3repE0EEENS1_30default_config_static_selectorELNS0_4arch9wavefront6targetE0EEEvT1_.numbered_sgpr, 0
	.set _ZN7rocprim17ROCPRIM_400000_NS6detail17trampoline_kernelINS0_14default_configENS1_27scan_by_key_config_selectorIssEEZZNS1_16scan_by_key_implILNS1_25lookback_scan_determinismE0ELb0ES3_N6thrust23THRUST_200600_302600_NS6detail15normal_iteratorINS9_10device_ptrIsEEEENS9_18transform_iteratorINS9_6negateIsEESE_NS9_11use_defaultESI_EESE_sNS9_4plusIvEENS9_8equal_toIvEEsEE10hipError_tPvRmT2_T3_T4_T5_mT6_T7_P12ihipStream_tbENKUlT_T0_E_clISt17integral_constantIbLb1EES14_EEDaSZ_S10_EUlSZ_E_NS1_11comp_targetILNS1_3genE5ELNS1_11target_archE942ELNS1_3gpuE9ELNS1_3repE0EEENS1_30default_config_static_selectorELNS0_4arch9wavefront6targetE0EEEvT1_.num_named_barrier, 0
	.set _ZN7rocprim17ROCPRIM_400000_NS6detail17trampoline_kernelINS0_14default_configENS1_27scan_by_key_config_selectorIssEEZZNS1_16scan_by_key_implILNS1_25lookback_scan_determinismE0ELb0ES3_N6thrust23THRUST_200600_302600_NS6detail15normal_iteratorINS9_10device_ptrIsEEEENS9_18transform_iteratorINS9_6negateIsEESE_NS9_11use_defaultESI_EESE_sNS9_4plusIvEENS9_8equal_toIvEEsEE10hipError_tPvRmT2_T3_T4_T5_mT6_T7_P12ihipStream_tbENKUlT_T0_E_clISt17integral_constantIbLb1EES14_EEDaSZ_S10_EUlSZ_E_NS1_11comp_targetILNS1_3genE5ELNS1_11target_archE942ELNS1_3gpuE9ELNS1_3repE0EEENS1_30default_config_static_selectorELNS0_4arch9wavefront6targetE0EEEvT1_.private_seg_size, 0
	.set _ZN7rocprim17ROCPRIM_400000_NS6detail17trampoline_kernelINS0_14default_configENS1_27scan_by_key_config_selectorIssEEZZNS1_16scan_by_key_implILNS1_25lookback_scan_determinismE0ELb0ES3_N6thrust23THRUST_200600_302600_NS6detail15normal_iteratorINS9_10device_ptrIsEEEENS9_18transform_iteratorINS9_6negateIsEESE_NS9_11use_defaultESI_EESE_sNS9_4plusIvEENS9_8equal_toIvEEsEE10hipError_tPvRmT2_T3_T4_T5_mT6_T7_P12ihipStream_tbENKUlT_T0_E_clISt17integral_constantIbLb1EES14_EEDaSZ_S10_EUlSZ_E_NS1_11comp_targetILNS1_3genE5ELNS1_11target_archE942ELNS1_3gpuE9ELNS1_3repE0EEENS1_30default_config_static_selectorELNS0_4arch9wavefront6targetE0EEEvT1_.uses_vcc, 0
	.set _ZN7rocprim17ROCPRIM_400000_NS6detail17trampoline_kernelINS0_14default_configENS1_27scan_by_key_config_selectorIssEEZZNS1_16scan_by_key_implILNS1_25lookback_scan_determinismE0ELb0ES3_N6thrust23THRUST_200600_302600_NS6detail15normal_iteratorINS9_10device_ptrIsEEEENS9_18transform_iteratorINS9_6negateIsEESE_NS9_11use_defaultESI_EESE_sNS9_4plusIvEENS9_8equal_toIvEEsEE10hipError_tPvRmT2_T3_T4_T5_mT6_T7_P12ihipStream_tbENKUlT_T0_E_clISt17integral_constantIbLb1EES14_EEDaSZ_S10_EUlSZ_E_NS1_11comp_targetILNS1_3genE5ELNS1_11target_archE942ELNS1_3gpuE9ELNS1_3repE0EEENS1_30default_config_static_selectorELNS0_4arch9wavefront6targetE0EEEvT1_.uses_flat_scratch, 0
	.set _ZN7rocprim17ROCPRIM_400000_NS6detail17trampoline_kernelINS0_14default_configENS1_27scan_by_key_config_selectorIssEEZZNS1_16scan_by_key_implILNS1_25lookback_scan_determinismE0ELb0ES3_N6thrust23THRUST_200600_302600_NS6detail15normal_iteratorINS9_10device_ptrIsEEEENS9_18transform_iteratorINS9_6negateIsEESE_NS9_11use_defaultESI_EESE_sNS9_4plusIvEENS9_8equal_toIvEEsEE10hipError_tPvRmT2_T3_T4_T5_mT6_T7_P12ihipStream_tbENKUlT_T0_E_clISt17integral_constantIbLb1EES14_EEDaSZ_S10_EUlSZ_E_NS1_11comp_targetILNS1_3genE5ELNS1_11target_archE942ELNS1_3gpuE9ELNS1_3repE0EEENS1_30default_config_static_selectorELNS0_4arch9wavefront6targetE0EEEvT1_.has_dyn_sized_stack, 0
	.set _ZN7rocprim17ROCPRIM_400000_NS6detail17trampoline_kernelINS0_14default_configENS1_27scan_by_key_config_selectorIssEEZZNS1_16scan_by_key_implILNS1_25lookback_scan_determinismE0ELb0ES3_N6thrust23THRUST_200600_302600_NS6detail15normal_iteratorINS9_10device_ptrIsEEEENS9_18transform_iteratorINS9_6negateIsEESE_NS9_11use_defaultESI_EESE_sNS9_4plusIvEENS9_8equal_toIvEEsEE10hipError_tPvRmT2_T3_T4_T5_mT6_T7_P12ihipStream_tbENKUlT_T0_E_clISt17integral_constantIbLb1EES14_EEDaSZ_S10_EUlSZ_E_NS1_11comp_targetILNS1_3genE5ELNS1_11target_archE942ELNS1_3gpuE9ELNS1_3repE0EEENS1_30default_config_static_selectorELNS0_4arch9wavefront6targetE0EEEvT1_.has_recursion, 0
	.set _ZN7rocprim17ROCPRIM_400000_NS6detail17trampoline_kernelINS0_14default_configENS1_27scan_by_key_config_selectorIssEEZZNS1_16scan_by_key_implILNS1_25lookback_scan_determinismE0ELb0ES3_N6thrust23THRUST_200600_302600_NS6detail15normal_iteratorINS9_10device_ptrIsEEEENS9_18transform_iteratorINS9_6negateIsEESE_NS9_11use_defaultESI_EESE_sNS9_4plusIvEENS9_8equal_toIvEEsEE10hipError_tPvRmT2_T3_T4_T5_mT6_T7_P12ihipStream_tbENKUlT_T0_E_clISt17integral_constantIbLb1EES14_EEDaSZ_S10_EUlSZ_E_NS1_11comp_targetILNS1_3genE5ELNS1_11target_archE942ELNS1_3gpuE9ELNS1_3repE0EEENS1_30default_config_static_selectorELNS0_4arch9wavefront6targetE0EEEvT1_.has_indirect_call, 0
	.section	.AMDGPU.csdata,"",@progbits
; Kernel info:
; codeLenInByte = 0
; TotalNumSgprs: 0
; NumVgprs: 0
; ScratchSize: 0
; MemoryBound: 0
; FloatMode: 240
; IeeeMode: 1
; LDSByteSize: 0 bytes/workgroup (compile time only)
; SGPRBlocks: 0
; VGPRBlocks: 0
; NumSGPRsForWavesPerEU: 1
; NumVGPRsForWavesPerEU: 1
; NamedBarCnt: 0
; Occupancy: 16
; WaveLimiterHint : 0
; COMPUTE_PGM_RSRC2:SCRATCH_EN: 0
; COMPUTE_PGM_RSRC2:USER_SGPR: 2
; COMPUTE_PGM_RSRC2:TRAP_HANDLER: 0
; COMPUTE_PGM_RSRC2:TGID_X_EN: 1
; COMPUTE_PGM_RSRC2:TGID_Y_EN: 0
; COMPUTE_PGM_RSRC2:TGID_Z_EN: 0
; COMPUTE_PGM_RSRC2:TIDIG_COMP_CNT: 0
	.section	.text._ZN7rocprim17ROCPRIM_400000_NS6detail17trampoline_kernelINS0_14default_configENS1_27scan_by_key_config_selectorIssEEZZNS1_16scan_by_key_implILNS1_25lookback_scan_determinismE0ELb0ES3_N6thrust23THRUST_200600_302600_NS6detail15normal_iteratorINS9_10device_ptrIsEEEENS9_18transform_iteratorINS9_6negateIsEESE_NS9_11use_defaultESI_EESE_sNS9_4plusIvEENS9_8equal_toIvEEsEE10hipError_tPvRmT2_T3_T4_T5_mT6_T7_P12ihipStream_tbENKUlT_T0_E_clISt17integral_constantIbLb1EES14_EEDaSZ_S10_EUlSZ_E_NS1_11comp_targetILNS1_3genE4ELNS1_11target_archE910ELNS1_3gpuE8ELNS1_3repE0EEENS1_30default_config_static_selectorELNS0_4arch9wavefront6targetE0EEEvT1_,"axG",@progbits,_ZN7rocprim17ROCPRIM_400000_NS6detail17trampoline_kernelINS0_14default_configENS1_27scan_by_key_config_selectorIssEEZZNS1_16scan_by_key_implILNS1_25lookback_scan_determinismE0ELb0ES3_N6thrust23THRUST_200600_302600_NS6detail15normal_iteratorINS9_10device_ptrIsEEEENS9_18transform_iteratorINS9_6negateIsEESE_NS9_11use_defaultESI_EESE_sNS9_4plusIvEENS9_8equal_toIvEEsEE10hipError_tPvRmT2_T3_T4_T5_mT6_T7_P12ihipStream_tbENKUlT_T0_E_clISt17integral_constantIbLb1EES14_EEDaSZ_S10_EUlSZ_E_NS1_11comp_targetILNS1_3genE4ELNS1_11target_archE910ELNS1_3gpuE8ELNS1_3repE0EEENS1_30default_config_static_selectorELNS0_4arch9wavefront6targetE0EEEvT1_,comdat
	.protected	_ZN7rocprim17ROCPRIM_400000_NS6detail17trampoline_kernelINS0_14default_configENS1_27scan_by_key_config_selectorIssEEZZNS1_16scan_by_key_implILNS1_25lookback_scan_determinismE0ELb0ES3_N6thrust23THRUST_200600_302600_NS6detail15normal_iteratorINS9_10device_ptrIsEEEENS9_18transform_iteratorINS9_6negateIsEESE_NS9_11use_defaultESI_EESE_sNS9_4plusIvEENS9_8equal_toIvEEsEE10hipError_tPvRmT2_T3_T4_T5_mT6_T7_P12ihipStream_tbENKUlT_T0_E_clISt17integral_constantIbLb1EES14_EEDaSZ_S10_EUlSZ_E_NS1_11comp_targetILNS1_3genE4ELNS1_11target_archE910ELNS1_3gpuE8ELNS1_3repE0EEENS1_30default_config_static_selectorELNS0_4arch9wavefront6targetE0EEEvT1_ ; -- Begin function _ZN7rocprim17ROCPRIM_400000_NS6detail17trampoline_kernelINS0_14default_configENS1_27scan_by_key_config_selectorIssEEZZNS1_16scan_by_key_implILNS1_25lookback_scan_determinismE0ELb0ES3_N6thrust23THRUST_200600_302600_NS6detail15normal_iteratorINS9_10device_ptrIsEEEENS9_18transform_iteratorINS9_6negateIsEESE_NS9_11use_defaultESI_EESE_sNS9_4plusIvEENS9_8equal_toIvEEsEE10hipError_tPvRmT2_T3_T4_T5_mT6_T7_P12ihipStream_tbENKUlT_T0_E_clISt17integral_constantIbLb1EES14_EEDaSZ_S10_EUlSZ_E_NS1_11comp_targetILNS1_3genE4ELNS1_11target_archE910ELNS1_3gpuE8ELNS1_3repE0EEENS1_30default_config_static_selectorELNS0_4arch9wavefront6targetE0EEEvT1_
	.globl	_ZN7rocprim17ROCPRIM_400000_NS6detail17trampoline_kernelINS0_14default_configENS1_27scan_by_key_config_selectorIssEEZZNS1_16scan_by_key_implILNS1_25lookback_scan_determinismE0ELb0ES3_N6thrust23THRUST_200600_302600_NS6detail15normal_iteratorINS9_10device_ptrIsEEEENS9_18transform_iteratorINS9_6negateIsEESE_NS9_11use_defaultESI_EESE_sNS9_4plusIvEENS9_8equal_toIvEEsEE10hipError_tPvRmT2_T3_T4_T5_mT6_T7_P12ihipStream_tbENKUlT_T0_E_clISt17integral_constantIbLb1EES14_EEDaSZ_S10_EUlSZ_E_NS1_11comp_targetILNS1_3genE4ELNS1_11target_archE910ELNS1_3gpuE8ELNS1_3repE0EEENS1_30default_config_static_selectorELNS0_4arch9wavefront6targetE0EEEvT1_
	.p2align	8
	.type	_ZN7rocprim17ROCPRIM_400000_NS6detail17trampoline_kernelINS0_14default_configENS1_27scan_by_key_config_selectorIssEEZZNS1_16scan_by_key_implILNS1_25lookback_scan_determinismE0ELb0ES3_N6thrust23THRUST_200600_302600_NS6detail15normal_iteratorINS9_10device_ptrIsEEEENS9_18transform_iteratorINS9_6negateIsEESE_NS9_11use_defaultESI_EESE_sNS9_4plusIvEENS9_8equal_toIvEEsEE10hipError_tPvRmT2_T3_T4_T5_mT6_T7_P12ihipStream_tbENKUlT_T0_E_clISt17integral_constantIbLb1EES14_EEDaSZ_S10_EUlSZ_E_NS1_11comp_targetILNS1_3genE4ELNS1_11target_archE910ELNS1_3gpuE8ELNS1_3repE0EEENS1_30default_config_static_selectorELNS0_4arch9wavefront6targetE0EEEvT1_,@function
_ZN7rocprim17ROCPRIM_400000_NS6detail17trampoline_kernelINS0_14default_configENS1_27scan_by_key_config_selectorIssEEZZNS1_16scan_by_key_implILNS1_25lookback_scan_determinismE0ELb0ES3_N6thrust23THRUST_200600_302600_NS6detail15normal_iteratorINS9_10device_ptrIsEEEENS9_18transform_iteratorINS9_6negateIsEESE_NS9_11use_defaultESI_EESE_sNS9_4plusIvEENS9_8equal_toIvEEsEE10hipError_tPvRmT2_T3_T4_T5_mT6_T7_P12ihipStream_tbENKUlT_T0_E_clISt17integral_constantIbLb1EES14_EEDaSZ_S10_EUlSZ_E_NS1_11comp_targetILNS1_3genE4ELNS1_11target_archE910ELNS1_3gpuE8ELNS1_3repE0EEENS1_30default_config_static_selectorELNS0_4arch9wavefront6targetE0EEEvT1_: ; @_ZN7rocprim17ROCPRIM_400000_NS6detail17trampoline_kernelINS0_14default_configENS1_27scan_by_key_config_selectorIssEEZZNS1_16scan_by_key_implILNS1_25lookback_scan_determinismE0ELb0ES3_N6thrust23THRUST_200600_302600_NS6detail15normal_iteratorINS9_10device_ptrIsEEEENS9_18transform_iteratorINS9_6negateIsEESE_NS9_11use_defaultESI_EESE_sNS9_4plusIvEENS9_8equal_toIvEEsEE10hipError_tPvRmT2_T3_T4_T5_mT6_T7_P12ihipStream_tbENKUlT_T0_E_clISt17integral_constantIbLb1EES14_EEDaSZ_S10_EUlSZ_E_NS1_11comp_targetILNS1_3genE4ELNS1_11target_archE910ELNS1_3gpuE8ELNS1_3repE0EEENS1_30default_config_static_selectorELNS0_4arch9wavefront6targetE0EEEvT1_
; %bb.0:
	.section	.rodata,"a",@progbits
	.p2align	6, 0x0
	.amdhsa_kernel _ZN7rocprim17ROCPRIM_400000_NS6detail17trampoline_kernelINS0_14default_configENS1_27scan_by_key_config_selectorIssEEZZNS1_16scan_by_key_implILNS1_25lookback_scan_determinismE0ELb0ES3_N6thrust23THRUST_200600_302600_NS6detail15normal_iteratorINS9_10device_ptrIsEEEENS9_18transform_iteratorINS9_6negateIsEESE_NS9_11use_defaultESI_EESE_sNS9_4plusIvEENS9_8equal_toIvEEsEE10hipError_tPvRmT2_T3_T4_T5_mT6_T7_P12ihipStream_tbENKUlT_T0_E_clISt17integral_constantIbLb1EES14_EEDaSZ_S10_EUlSZ_E_NS1_11comp_targetILNS1_3genE4ELNS1_11target_archE910ELNS1_3gpuE8ELNS1_3repE0EEENS1_30default_config_static_selectorELNS0_4arch9wavefront6targetE0EEEvT1_
		.amdhsa_group_segment_fixed_size 0
		.amdhsa_private_segment_fixed_size 0
		.amdhsa_kernarg_size 120
		.amdhsa_user_sgpr_count 2
		.amdhsa_user_sgpr_dispatch_ptr 0
		.amdhsa_user_sgpr_queue_ptr 0
		.amdhsa_user_sgpr_kernarg_segment_ptr 1
		.amdhsa_user_sgpr_dispatch_id 0
		.amdhsa_user_sgpr_kernarg_preload_length 0
		.amdhsa_user_sgpr_kernarg_preload_offset 0
		.amdhsa_user_sgpr_private_segment_size 0
		.amdhsa_wavefront_size32 1
		.amdhsa_uses_dynamic_stack 0
		.amdhsa_enable_private_segment 0
		.amdhsa_system_sgpr_workgroup_id_x 1
		.amdhsa_system_sgpr_workgroup_id_y 0
		.amdhsa_system_sgpr_workgroup_id_z 0
		.amdhsa_system_sgpr_workgroup_info 0
		.amdhsa_system_vgpr_workitem_id 0
		.amdhsa_next_free_vgpr 1
		.amdhsa_next_free_sgpr 1
		.amdhsa_named_barrier_count 0
		.amdhsa_reserve_vcc 0
		.amdhsa_float_round_mode_32 0
		.amdhsa_float_round_mode_16_64 0
		.amdhsa_float_denorm_mode_32 3
		.amdhsa_float_denorm_mode_16_64 3
		.amdhsa_fp16_overflow 0
		.amdhsa_memory_ordered 1
		.amdhsa_forward_progress 1
		.amdhsa_inst_pref_size 0
		.amdhsa_round_robin_scheduling 0
		.amdhsa_exception_fp_ieee_invalid_op 0
		.amdhsa_exception_fp_denorm_src 0
		.amdhsa_exception_fp_ieee_div_zero 0
		.amdhsa_exception_fp_ieee_overflow 0
		.amdhsa_exception_fp_ieee_underflow 0
		.amdhsa_exception_fp_ieee_inexact 0
		.amdhsa_exception_int_div_zero 0
	.end_amdhsa_kernel
	.section	.text._ZN7rocprim17ROCPRIM_400000_NS6detail17trampoline_kernelINS0_14default_configENS1_27scan_by_key_config_selectorIssEEZZNS1_16scan_by_key_implILNS1_25lookback_scan_determinismE0ELb0ES3_N6thrust23THRUST_200600_302600_NS6detail15normal_iteratorINS9_10device_ptrIsEEEENS9_18transform_iteratorINS9_6negateIsEESE_NS9_11use_defaultESI_EESE_sNS9_4plusIvEENS9_8equal_toIvEEsEE10hipError_tPvRmT2_T3_T4_T5_mT6_T7_P12ihipStream_tbENKUlT_T0_E_clISt17integral_constantIbLb1EES14_EEDaSZ_S10_EUlSZ_E_NS1_11comp_targetILNS1_3genE4ELNS1_11target_archE910ELNS1_3gpuE8ELNS1_3repE0EEENS1_30default_config_static_selectorELNS0_4arch9wavefront6targetE0EEEvT1_,"axG",@progbits,_ZN7rocprim17ROCPRIM_400000_NS6detail17trampoline_kernelINS0_14default_configENS1_27scan_by_key_config_selectorIssEEZZNS1_16scan_by_key_implILNS1_25lookback_scan_determinismE0ELb0ES3_N6thrust23THRUST_200600_302600_NS6detail15normal_iteratorINS9_10device_ptrIsEEEENS9_18transform_iteratorINS9_6negateIsEESE_NS9_11use_defaultESI_EESE_sNS9_4plusIvEENS9_8equal_toIvEEsEE10hipError_tPvRmT2_T3_T4_T5_mT6_T7_P12ihipStream_tbENKUlT_T0_E_clISt17integral_constantIbLb1EES14_EEDaSZ_S10_EUlSZ_E_NS1_11comp_targetILNS1_3genE4ELNS1_11target_archE910ELNS1_3gpuE8ELNS1_3repE0EEENS1_30default_config_static_selectorELNS0_4arch9wavefront6targetE0EEEvT1_,comdat
.Lfunc_end977:
	.size	_ZN7rocprim17ROCPRIM_400000_NS6detail17trampoline_kernelINS0_14default_configENS1_27scan_by_key_config_selectorIssEEZZNS1_16scan_by_key_implILNS1_25lookback_scan_determinismE0ELb0ES3_N6thrust23THRUST_200600_302600_NS6detail15normal_iteratorINS9_10device_ptrIsEEEENS9_18transform_iteratorINS9_6negateIsEESE_NS9_11use_defaultESI_EESE_sNS9_4plusIvEENS9_8equal_toIvEEsEE10hipError_tPvRmT2_T3_T4_T5_mT6_T7_P12ihipStream_tbENKUlT_T0_E_clISt17integral_constantIbLb1EES14_EEDaSZ_S10_EUlSZ_E_NS1_11comp_targetILNS1_3genE4ELNS1_11target_archE910ELNS1_3gpuE8ELNS1_3repE0EEENS1_30default_config_static_selectorELNS0_4arch9wavefront6targetE0EEEvT1_, .Lfunc_end977-_ZN7rocprim17ROCPRIM_400000_NS6detail17trampoline_kernelINS0_14default_configENS1_27scan_by_key_config_selectorIssEEZZNS1_16scan_by_key_implILNS1_25lookback_scan_determinismE0ELb0ES3_N6thrust23THRUST_200600_302600_NS6detail15normal_iteratorINS9_10device_ptrIsEEEENS9_18transform_iteratorINS9_6negateIsEESE_NS9_11use_defaultESI_EESE_sNS9_4plusIvEENS9_8equal_toIvEEsEE10hipError_tPvRmT2_T3_T4_T5_mT6_T7_P12ihipStream_tbENKUlT_T0_E_clISt17integral_constantIbLb1EES14_EEDaSZ_S10_EUlSZ_E_NS1_11comp_targetILNS1_3genE4ELNS1_11target_archE910ELNS1_3gpuE8ELNS1_3repE0EEENS1_30default_config_static_selectorELNS0_4arch9wavefront6targetE0EEEvT1_
                                        ; -- End function
	.set _ZN7rocprim17ROCPRIM_400000_NS6detail17trampoline_kernelINS0_14default_configENS1_27scan_by_key_config_selectorIssEEZZNS1_16scan_by_key_implILNS1_25lookback_scan_determinismE0ELb0ES3_N6thrust23THRUST_200600_302600_NS6detail15normal_iteratorINS9_10device_ptrIsEEEENS9_18transform_iteratorINS9_6negateIsEESE_NS9_11use_defaultESI_EESE_sNS9_4plusIvEENS9_8equal_toIvEEsEE10hipError_tPvRmT2_T3_T4_T5_mT6_T7_P12ihipStream_tbENKUlT_T0_E_clISt17integral_constantIbLb1EES14_EEDaSZ_S10_EUlSZ_E_NS1_11comp_targetILNS1_3genE4ELNS1_11target_archE910ELNS1_3gpuE8ELNS1_3repE0EEENS1_30default_config_static_selectorELNS0_4arch9wavefront6targetE0EEEvT1_.num_vgpr, 0
	.set _ZN7rocprim17ROCPRIM_400000_NS6detail17trampoline_kernelINS0_14default_configENS1_27scan_by_key_config_selectorIssEEZZNS1_16scan_by_key_implILNS1_25lookback_scan_determinismE0ELb0ES3_N6thrust23THRUST_200600_302600_NS6detail15normal_iteratorINS9_10device_ptrIsEEEENS9_18transform_iteratorINS9_6negateIsEESE_NS9_11use_defaultESI_EESE_sNS9_4plusIvEENS9_8equal_toIvEEsEE10hipError_tPvRmT2_T3_T4_T5_mT6_T7_P12ihipStream_tbENKUlT_T0_E_clISt17integral_constantIbLb1EES14_EEDaSZ_S10_EUlSZ_E_NS1_11comp_targetILNS1_3genE4ELNS1_11target_archE910ELNS1_3gpuE8ELNS1_3repE0EEENS1_30default_config_static_selectorELNS0_4arch9wavefront6targetE0EEEvT1_.num_agpr, 0
	.set _ZN7rocprim17ROCPRIM_400000_NS6detail17trampoline_kernelINS0_14default_configENS1_27scan_by_key_config_selectorIssEEZZNS1_16scan_by_key_implILNS1_25lookback_scan_determinismE0ELb0ES3_N6thrust23THRUST_200600_302600_NS6detail15normal_iteratorINS9_10device_ptrIsEEEENS9_18transform_iteratorINS9_6negateIsEESE_NS9_11use_defaultESI_EESE_sNS9_4plusIvEENS9_8equal_toIvEEsEE10hipError_tPvRmT2_T3_T4_T5_mT6_T7_P12ihipStream_tbENKUlT_T0_E_clISt17integral_constantIbLb1EES14_EEDaSZ_S10_EUlSZ_E_NS1_11comp_targetILNS1_3genE4ELNS1_11target_archE910ELNS1_3gpuE8ELNS1_3repE0EEENS1_30default_config_static_selectorELNS0_4arch9wavefront6targetE0EEEvT1_.numbered_sgpr, 0
	.set _ZN7rocprim17ROCPRIM_400000_NS6detail17trampoline_kernelINS0_14default_configENS1_27scan_by_key_config_selectorIssEEZZNS1_16scan_by_key_implILNS1_25lookback_scan_determinismE0ELb0ES3_N6thrust23THRUST_200600_302600_NS6detail15normal_iteratorINS9_10device_ptrIsEEEENS9_18transform_iteratorINS9_6negateIsEESE_NS9_11use_defaultESI_EESE_sNS9_4plusIvEENS9_8equal_toIvEEsEE10hipError_tPvRmT2_T3_T4_T5_mT6_T7_P12ihipStream_tbENKUlT_T0_E_clISt17integral_constantIbLb1EES14_EEDaSZ_S10_EUlSZ_E_NS1_11comp_targetILNS1_3genE4ELNS1_11target_archE910ELNS1_3gpuE8ELNS1_3repE0EEENS1_30default_config_static_selectorELNS0_4arch9wavefront6targetE0EEEvT1_.num_named_barrier, 0
	.set _ZN7rocprim17ROCPRIM_400000_NS6detail17trampoline_kernelINS0_14default_configENS1_27scan_by_key_config_selectorIssEEZZNS1_16scan_by_key_implILNS1_25lookback_scan_determinismE0ELb0ES3_N6thrust23THRUST_200600_302600_NS6detail15normal_iteratorINS9_10device_ptrIsEEEENS9_18transform_iteratorINS9_6negateIsEESE_NS9_11use_defaultESI_EESE_sNS9_4plusIvEENS9_8equal_toIvEEsEE10hipError_tPvRmT2_T3_T4_T5_mT6_T7_P12ihipStream_tbENKUlT_T0_E_clISt17integral_constantIbLb1EES14_EEDaSZ_S10_EUlSZ_E_NS1_11comp_targetILNS1_3genE4ELNS1_11target_archE910ELNS1_3gpuE8ELNS1_3repE0EEENS1_30default_config_static_selectorELNS0_4arch9wavefront6targetE0EEEvT1_.private_seg_size, 0
	.set _ZN7rocprim17ROCPRIM_400000_NS6detail17trampoline_kernelINS0_14default_configENS1_27scan_by_key_config_selectorIssEEZZNS1_16scan_by_key_implILNS1_25lookback_scan_determinismE0ELb0ES3_N6thrust23THRUST_200600_302600_NS6detail15normal_iteratorINS9_10device_ptrIsEEEENS9_18transform_iteratorINS9_6negateIsEESE_NS9_11use_defaultESI_EESE_sNS9_4plusIvEENS9_8equal_toIvEEsEE10hipError_tPvRmT2_T3_T4_T5_mT6_T7_P12ihipStream_tbENKUlT_T0_E_clISt17integral_constantIbLb1EES14_EEDaSZ_S10_EUlSZ_E_NS1_11comp_targetILNS1_3genE4ELNS1_11target_archE910ELNS1_3gpuE8ELNS1_3repE0EEENS1_30default_config_static_selectorELNS0_4arch9wavefront6targetE0EEEvT1_.uses_vcc, 0
	.set _ZN7rocprim17ROCPRIM_400000_NS6detail17trampoline_kernelINS0_14default_configENS1_27scan_by_key_config_selectorIssEEZZNS1_16scan_by_key_implILNS1_25lookback_scan_determinismE0ELb0ES3_N6thrust23THRUST_200600_302600_NS6detail15normal_iteratorINS9_10device_ptrIsEEEENS9_18transform_iteratorINS9_6negateIsEESE_NS9_11use_defaultESI_EESE_sNS9_4plusIvEENS9_8equal_toIvEEsEE10hipError_tPvRmT2_T3_T4_T5_mT6_T7_P12ihipStream_tbENKUlT_T0_E_clISt17integral_constantIbLb1EES14_EEDaSZ_S10_EUlSZ_E_NS1_11comp_targetILNS1_3genE4ELNS1_11target_archE910ELNS1_3gpuE8ELNS1_3repE0EEENS1_30default_config_static_selectorELNS0_4arch9wavefront6targetE0EEEvT1_.uses_flat_scratch, 0
	.set _ZN7rocprim17ROCPRIM_400000_NS6detail17trampoline_kernelINS0_14default_configENS1_27scan_by_key_config_selectorIssEEZZNS1_16scan_by_key_implILNS1_25lookback_scan_determinismE0ELb0ES3_N6thrust23THRUST_200600_302600_NS6detail15normal_iteratorINS9_10device_ptrIsEEEENS9_18transform_iteratorINS9_6negateIsEESE_NS9_11use_defaultESI_EESE_sNS9_4plusIvEENS9_8equal_toIvEEsEE10hipError_tPvRmT2_T3_T4_T5_mT6_T7_P12ihipStream_tbENKUlT_T0_E_clISt17integral_constantIbLb1EES14_EEDaSZ_S10_EUlSZ_E_NS1_11comp_targetILNS1_3genE4ELNS1_11target_archE910ELNS1_3gpuE8ELNS1_3repE0EEENS1_30default_config_static_selectorELNS0_4arch9wavefront6targetE0EEEvT1_.has_dyn_sized_stack, 0
	.set _ZN7rocprim17ROCPRIM_400000_NS6detail17trampoline_kernelINS0_14default_configENS1_27scan_by_key_config_selectorIssEEZZNS1_16scan_by_key_implILNS1_25lookback_scan_determinismE0ELb0ES3_N6thrust23THRUST_200600_302600_NS6detail15normal_iteratorINS9_10device_ptrIsEEEENS9_18transform_iteratorINS9_6negateIsEESE_NS9_11use_defaultESI_EESE_sNS9_4plusIvEENS9_8equal_toIvEEsEE10hipError_tPvRmT2_T3_T4_T5_mT6_T7_P12ihipStream_tbENKUlT_T0_E_clISt17integral_constantIbLb1EES14_EEDaSZ_S10_EUlSZ_E_NS1_11comp_targetILNS1_3genE4ELNS1_11target_archE910ELNS1_3gpuE8ELNS1_3repE0EEENS1_30default_config_static_selectorELNS0_4arch9wavefront6targetE0EEEvT1_.has_recursion, 0
	.set _ZN7rocprim17ROCPRIM_400000_NS6detail17trampoline_kernelINS0_14default_configENS1_27scan_by_key_config_selectorIssEEZZNS1_16scan_by_key_implILNS1_25lookback_scan_determinismE0ELb0ES3_N6thrust23THRUST_200600_302600_NS6detail15normal_iteratorINS9_10device_ptrIsEEEENS9_18transform_iteratorINS9_6negateIsEESE_NS9_11use_defaultESI_EESE_sNS9_4plusIvEENS9_8equal_toIvEEsEE10hipError_tPvRmT2_T3_T4_T5_mT6_T7_P12ihipStream_tbENKUlT_T0_E_clISt17integral_constantIbLb1EES14_EEDaSZ_S10_EUlSZ_E_NS1_11comp_targetILNS1_3genE4ELNS1_11target_archE910ELNS1_3gpuE8ELNS1_3repE0EEENS1_30default_config_static_selectorELNS0_4arch9wavefront6targetE0EEEvT1_.has_indirect_call, 0
	.section	.AMDGPU.csdata,"",@progbits
; Kernel info:
; codeLenInByte = 0
; TotalNumSgprs: 0
; NumVgprs: 0
; ScratchSize: 0
; MemoryBound: 0
; FloatMode: 240
; IeeeMode: 1
; LDSByteSize: 0 bytes/workgroup (compile time only)
; SGPRBlocks: 0
; VGPRBlocks: 0
; NumSGPRsForWavesPerEU: 1
; NumVGPRsForWavesPerEU: 1
; NamedBarCnt: 0
; Occupancy: 16
; WaveLimiterHint : 0
; COMPUTE_PGM_RSRC2:SCRATCH_EN: 0
; COMPUTE_PGM_RSRC2:USER_SGPR: 2
; COMPUTE_PGM_RSRC2:TRAP_HANDLER: 0
; COMPUTE_PGM_RSRC2:TGID_X_EN: 1
; COMPUTE_PGM_RSRC2:TGID_Y_EN: 0
; COMPUTE_PGM_RSRC2:TGID_Z_EN: 0
; COMPUTE_PGM_RSRC2:TIDIG_COMP_CNT: 0
	.section	.text._ZN7rocprim17ROCPRIM_400000_NS6detail17trampoline_kernelINS0_14default_configENS1_27scan_by_key_config_selectorIssEEZZNS1_16scan_by_key_implILNS1_25lookback_scan_determinismE0ELb0ES3_N6thrust23THRUST_200600_302600_NS6detail15normal_iteratorINS9_10device_ptrIsEEEENS9_18transform_iteratorINS9_6negateIsEESE_NS9_11use_defaultESI_EESE_sNS9_4plusIvEENS9_8equal_toIvEEsEE10hipError_tPvRmT2_T3_T4_T5_mT6_T7_P12ihipStream_tbENKUlT_T0_E_clISt17integral_constantIbLb1EES14_EEDaSZ_S10_EUlSZ_E_NS1_11comp_targetILNS1_3genE3ELNS1_11target_archE908ELNS1_3gpuE7ELNS1_3repE0EEENS1_30default_config_static_selectorELNS0_4arch9wavefront6targetE0EEEvT1_,"axG",@progbits,_ZN7rocprim17ROCPRIM_400000_NS6detail17trampoline_kernelINS0_14default_configENS1_27scan_by_key_config_selectorIssEEZZNS1_16scan_by_key_implILNS1_25lookback_scan_determinismE0ELb0ES3_N6thrust23THRUST_200600_302600_NS6detail15normal_iteratorINS9_10device_ptrIsEEEENS9_18transform_iteratorINS9_6negateIsEESE_NS9_11use_defaultESI_EESE_sNS9_4plusIvEENS9_8equal_toIvEEsEE10hipError_tPvRmT2_T3_T4_T5_mT6_T7_P12ihipStream_tbENKUlT_T0_E_clISt17integral_constantIbLb1EES14_EEDaSZ_S10_EUlSZ_E_NS1_11comp_targetILNS1_3genE3ELNS1_11target_archE908ELNS1_3gpuE7ELNS1_3repE0EEENS1_30default_config_static_selectorELNS0_4arch9wavefront6targetE0EEEvT1_,comdat
	.protected	_ZN7rocprim17ROCPRIM_400000_NS6detail17trampoline_kernelINS0_14default_configENS1_27scan_by_key_config_selectorIssEEZZNS1_16scan_by_key_implILNS1_25lookback_scan_determinismE0ELb0ES3_N6thrust23THRUST_200600_302600_NS6detail15normal_iteratorINS9_10device_ptrIsEEEENS9_18transform_iteratorINS9_6negateIsEESE_NS9_11use_defaultESI_EESE_sNS9_4plusIvEENS9_8equal_toIvEEsEE10hipError_tPvRmT2_T3_T4_T5_mT6_T7_P12ihipStream_tbENKUlT_T0_E_clISt17integral_constantIbLb1EES14_EEDaSZ_S10_EUlSZ_E_NS1_11comp_targetILNS1_3genE3ELNS1_11target_archE908ELNS1_3gpuE7ELNS1_3repE0EEENS1_30default_config_static_selectorELNS0_4arch9wavefront6targetE0EEEvT1_ ; -- Begin function _ZN7rocprim17ROCPRIM_400000_NS6detail17trampoline_kernelINS0_14default_configENS1_27scan_by_key_config_selectorIssEEZZNS1_16scan_by_key_implILNS1_25lookback_scan_determinismE0ELb0ES3_N6thrust23THRUST_200600_302600_NS6detail15normal_iteratorINS9_10device_ptrIsEEEENS9_18transform_iteratorINS9_6negateIsEESE_NS9_11use_defaultESI_EESE_sNS9_4plusIvEENS9_8equal_toIvEEsEE10hipError_tPvRmT2_T3_T4_T5_mT6_T7_P12ihipStream_tbENKUlT_T0_E_clISt17integral_constantIbLb1EES14_EEDaSZ_S10_EUlSZ_E_NS1_11comp_targetILNS1_3genE3ELNS1_11target_archE908ELNS1_3gpuE7ELNS1_3repE0EEENS1_30default_config_static_selectorELNS0_4arch9wavefront6targetE0EEEvT1_
	.globl	_ZN7rocprim17ROCPRIM_400000_NS6detail17trampoline_kernelINS0_14default_configENS1_27scan_by_key_config_selectorIssEEZZNS1_16scan_by_key_implILNS1_25lookback_scan_determinismE0ELb0ES3_N6thrust23THRUST_200600_302600_NS6detail15normal_iteratorINS9_10device_ptrIsEEEENS9_18transform_iteratorINS9_6negateIsEESE_NS9_11use_defaultESI_EESE_sNS9_4plusIvEENS9_8equal_toIvEEsEE10hipError_tPvRmT2_T3_T4_T5_mT6_T7_P12ihipStream_tbENKUlT_T0_E_clISt17integral_constantIbLb1EES14_EEDaSZ_S10_EUlSZ_E_NS1_11comp_targetILNS1_3genE3ELNS1_11target_archE908ELNS1_3gpuE7ELNS1_3repE0EEENS1_30default_config_static_selectorELNS0_4arch9wavefront6targetE0EEEvT1_
	.p2align	8
	.type	_ZN7rocprim17ROCPRIM_400000_NS6detail17trampoline_kernelINS0_14default_configENS1_27scan_by_key_config_selectorIssEEZZNS1_16scan_by_key_implILNS1_25lookback_scan_determinismE0ELb0ES3_N6thrust23THRUST_200600_302600_NS6detail15normal_iteratorINS9_10device_ptrIsEEEENS9_18transform_iteratorINS9_6negateIsEESE_NS9_11use_defaultESI_EESE_sNS9_4plusIvEENS9_8equal_toIvEEsEE10hipError_tPvRmT2_T3_T4_T5_mT6_T7_P12ihipStream_tbENKUlT_T0_E_clISt17integral_constantIbLb1EES14_EEDaSZ_S10_EUlSZ_E_NS1_11comp_targetILNS1_3genE3ELNS1_11target_archE908ELNS1_3gpuE7ELNS1_3repE0EEENS1_30default_config_static_selectorELNS0_4arch9wavefront6targetE0EEEvT1_,@function
_ZN7rocprim17ROCPRIM_400000_NS6detail17trampoline_kernelINS0_14default_configENS1_27scan_by_key_config_selectorIssEEZZNS1_16scan_by_key_implILNS1_25lookback_scan_determinismE0ELb0ES3_N6thrust23THRUST_200600_302600_NS6detail15normal_iteratorINS9_10device_ptrIsEEEENS9_18transform_iteratorINS9_6negateIsEESE_NS9_11use_defaultESI_EESE_sNS9_4plusIvEENS9_8equal_toIvEEsEE10hipError_tPvRmT2_T3_T4_T5_mT6_T7_P12ihipStream_tbENKUlT_T0_E_clISt17integral_constantIbLb1EES14_EEDaSZ_S10_EUlSZ_E_NS1_11comp_targetILNS1_3genE3ELNS1_11target_archE908ELNS1_3gpuE7ELNS1_3repE0EEENS1_30default_config_static_selectorELNS0_4arch9wavefront6targetE0EEEvT1_: ; @_ZN7rocprim17ROCPRIM_400000_NS6detail17trampoline_kernelINS0_14default_configENS1_27scan_by_key_config_selectorIssEEZZNS1_16scan_by_key_implILNS1_25lookback_scan_determinismE0ELb0ES3_N6thrust23THRUST_200600_302600_NS6detail15normal_iteratorINS9_10device_ptrIsEEEENS9_18transform_iteratorINS9_6negateIsEESE_NS9_11use_defaultESI_EESE_sNS9_4plusIvEENS9_8equal_toIvEEsEE10hipError_tPvRmT2_T3_T4_T5_mT6_T7_P12ihipStream_tbENKUlT_T0_E_clISt17integral_constantIbLb1EES14_EEDaSZ_S10_EUlSZ_E_NS1_11comp_targetILNS1_3genE3ELNS1_11target_archE908ELNS1_3gpuE7ELNS1_3repE0EEENS1_30default_config_static_selectorELNS0_4arch9wavefront6targetE0EEEvT1_
; %bb.0:
	.section	.rodata,"a",@progbits
	.p2align	6, 0x0
	.amdhsa_kernel _ZN7rocprim17ROCPRIM_400000_NS6detail17trampoline_kernelINS0_14default_configENS1_27scan_by_key_config_selectorIssEEZZNS1_16scan_by_key_implILNS1_25lookback_scan_determinismE0ELb0ES3_N6thrust23THRUST_200600_302600_NS6detail15normal_iteratorINS9_10device_ptrIsEEEENS9_18transform_iteratorINS9_6negateIsEESE_NS9_11use_defaultESI_EESE_sNS9_4plusIvEENS9_8equal_toIvEEsEE10hipError_tPvRmT2_T3_T4_T5_mT6_T7_P12ihipStream_tbENKUlT_T0_E_clISt17integral_constantIbLb1EES14_EEDaSZ_S10_EUlSZ_E_NS1_11comp_targetILNS1_3genE3ELNS1_11target_archE908ELNS1_3gpuE7ELNS1_3repE0EEENS1_30default_config_static_selectorELNS0_4arch9wavefront6targetE0EEEvT1_
		.amdhsa_group_segment_fixed_size 0
		.amdhsa_private_segment_fixed_size 0
		.amdhsa_kernarg_size 120
		.amdhsa_user_sgpr_count 2
		.amdhsa_user_sgpr_dispatch_ptr 0
		.amdhsa_user_sgpr_queue_ptr 0
		.amdhsa_user_sgpr_kernarg_segment_ptr 1
		.amdhsa_user_sgpr_dispatch_id 0
		.amdhsa_user_sgpr_kernarg_preload_length 0
		.amdhsa_user_sgpr_kernarg_preload_offset 0
		.amdhsa_user_sgpr_private_segment_size 0
		.amdhsa_wavefront_size32 1
		.amdhsa_uses_dynamic_stack 0
		.amdhsa_enable_private_segment 0
		.amdhsa_system_sgpr_workgroup_id_x 1
		.amdhsa_system_sgpr_workgroup_id_y 0
		.amdhsa_system_sgpr_workgroup_id_z 0
		.amdhsa_system_sgpr_workgroup_info 0
		.amdhsa_system_vgpr_workitem_id 0
		.amdhsa_next_free_vgpr 1
		.amdhsa_next_free_sgpr 1
		.amdhsa_named_barrier_count 0
		.amdhsa_reserve_vcc 0
		.amdhsa_float_round_mode_32 0
		.amdhsa_float_round_mode_16_64 0
		.amdhsa_float_denorm_mode_32 3
		.amdhsa_float_denorm_mode_16_64 3
		.amdhsa_fp16_overflow 0
		.amdhsa_memory_ordered 1
		.amdhsa_forward_progress 1
		.amdhsa_inst_pref_size 0
		.amdhsa_round_robin_scheduling 0
		.amdhsa_exception_fp_ieee_invalid_op 0
		.amdhsa_exception_fp_denorm_src 0
		.amdhsa_exception_fp_ieee_div_zero 0
		.amdhsa_exception_fp_ieee_overflow 0
		.amdhsa_exception_fp_ieee_underflow 0
		.amdhsa_exception_fp_ieee_inexact 0
		.amdhsa_exception_int_div_zero 0
	.end_amdhsa_kernel
	.section	.text._ZN7rocprim17ROCPRIM_400000_NS6detail17trampoline_kernelINS0_14default_configENS1_27scan_by_key_config_selectorIssEEZZNS1_16scan_by_key_implILNS1_25lookback_scan_determinismE0ELb0ES3_N6thrust23THRUST_200600_302600_NS6detail15normal_iteratorINS9_10device_ptrIsEEEENS9_18transform_iteratorINS9_6negateIsEESE_NS9_11use_defaultESI_EESE_sNS9_4plusIvEENS9_8equal_toIvEEsEE10hipError_tPvRmT2_T3_T4_T5_mT6_T7_P12ihipStream_tbENKUlT_T0_E_clISt17integral_constantIbLb1EES14_EEDaSZ_S10_EUlSZ_E_NS1_11comp_targetILNS1_3genE3ELNS1_11target_archE908ELNS1_3gpuE7ELNS1_3repE0EEENS1_30default_config_static_selectorELNS0_4arch9wavefront6targetE0EEEvT1_,"axG",@progbits,_ZN7rocprim17ROCPRIM_400000_NS6detail17trampoline_kernelINS0_14default_configENS1_27scan_by_key_config_selectorIssEEZZNS1_16scan_by_key_implILNS1_25lookback_scan_determinismE0ELb0ES3_N6thrust23THRUST_200600_302600_NS6detail15normal_iteratorINS9_10device_ptrIsEEEENS9_18transform_iteratorINS9_6negateIsEESE_NS9_11use_defaultESI_EESE_sNS9_4plusIvEENS9_8equal_toIvEEsEE10hipError_tPvRmT2_T3_T4_T5_mT6_T7_P12ihipStream_tbENKUlT_T0_E_clISt17integral_constantIbLb1EES14_EEDaSZ_S10_EUlSZ_E_NS1_11comp_targetILNS1_3genE3ELNS1_11target_archE908ELNS1_3gpuE7ELNS1_3repE0EEENS1_30default_config_static_selectorELNS0_4arch9wavefront6targetE0EEEvT1_,comdat
.Lfunc_end978:
	.size	_ZN7rocprim17ROCPRIM_400000_NS6detail17trampoline_kernelINS0_14default_configENS1_27scan_by_key_config_selectorIssEEZZNS1_16scan_by_key_implILNS1_25lookback_scan_determinismE0ELb0ES3_N6thrust23THRUST_200600_302600_NS6detail15normal_iteratorINS9_10device_ptrIsEEEENS9_18transform_iteratorINS9_6negateIsEESE_NS9_11use_defaultESI_EESE_sNS9_4plusIvEENS9_8equal_toIvEEsEE10hipError_tPvRmT2_T3_T4_T5_mT6_T7_P12ihipStream_tbENKUlT_T0_E_clISt17integral_constantIbLb1EES14_EEDaSZ_S10_EUlSZ_E_NS1_11comp_targetILNS1_3genE3ELNS1_11target_archE908ELNS1_3gpuE7ELNS1_3repE0EEENS1_30default_config_static_selectorELNS0_4arch9wavefront6targetE0EEEvT1_, .Lfunc_end978-_ZN7rocprim17ROCPRIM_400000_NS6detail17trampoline_kernelINS0_14default_configENS1_27scan_by_key_config_selectorIssEEZZNS1_16scan_by_key_implILNS1_25lookback_scan_determinismE0ELb0ES3_N6thrust23THRUST_200600_302600_NS6detail15normal_iteratorINS9_10device_ptrIsEEEENS9_18transform_iteratorINS9_6negateIsEESE_NS9_11use_defaultESI_EESE_sNS9_4plusIvEENS9_8equal_toIvEEsEE10hipError_tPvRmT2_T3_T4_T5_mT6_T7_P12ihipStream_tbENKUlT_T0_E_clISt17integral_constantIbLb1EES14_EEDaSZ_S10_EUlSZ_E_NS1_11comp_targetILNS1_3genE3ELNS1_11target_archE908ELNS1_3gpuE7ELNS1_3repE0EEENS1_30default_config_static_selectorELNS0_4arch9wavefront6targetE0EEEvT1_
                                        ; -- End function
	.set _ZN7rocprim17ROCPRIM_400000_NS6detail17trampoline_kernelINS0_14default_configENS1_27scan_by_key_config_selectorIssEEZZNS1_16scan_by_key_implILNS1_25lookback_scan_determinismE0ELb0ES3_N6thrust23THRUST_200600_302600_NS6detail15normal_iteratorINS9_10device_ptrIsEEEENS9_18transform_iteratorINS9_6negateIsEESE_NS9_11use_defaultESI_EESE_sNS9_4plusIvEENS9_8equal_toIvEEsEE10hipError_tPvRmT2_T3_T4_T5_mT6_T7_P12ihipStream_tbENKUlT_T0_E_clISt17integral_constantIbLb1EES14_EEDaSZ_S10_EUlSZ_E_NS1_11comp_targetILNS1_3genE3ELNS1_11target_archE908ELNS1_3gpuE7ELNS1_3repE0EEENS1_30default_config_static_selectorELNS0_4arch9wavefront6targetE0EEEvT1_.num_vgpr, 0
	.set _ZN7rocprim17ROCPRIM_400000_NS6detail17trampoline_kernelINS0_14default_configENS1_27scan_by_key_config_selectorIssEEZZNS1_16scan_by_key_implILNS1_25lookback_scan_determinismE0ELb0ES3_N6thrust23THRUST_200600_302600_NS6detail15normal_iteratorINS9_10device_ptrIsEEEENS9_18transform_iteratorINS9_6negateIsEESE_NS9_11use_defaultESI_EESE_sNS9_4plusIvEENS9_8equal_toIvEEsEE10hipError_tPvRmT2_T3_T4_T5_mT6_T7_P12ihipStream_tbENKUlT_T0_E_clISt17integral_constantIbLb1EES14_EEDaSZ_S10_EUlSZ_E_NS1_11comp_targetILNS1_3genE3ELNS1_11target_archE908ELNS1_3gpuE7ELNS1_3repE0EEENS1_30default_config_static_selectorELNS0_4arch9wavefront6targetE0EEEvT1_.num_agpr, 0
	.set _ZN7rocprim17ROCPRIM_400000_NS6detail17trampoline_kernelINS0_14default_configENS1_27scan_by_key_config_selectorIssEEZZNS1_16scan_by_key_implILNS1_25lookback_scan_determinismE0ELb0ES3_N6thrust23THRUST_200600_302600_NS6detail15normal_iteratorINS9_10device_ptrIsEEEENS9_18transform_iteratorINS9_6negateIsEESE_NS9_11use_defaultESI_EESE_sNS9_4plusIvEENS9_8equal_toIvEEsEE10hipError_tPvRmT2_T3_T4_T5_mT6_T7_P12ihipStream_tbENKUlT_T0_E_clISt17integral_constantIbLb1EES14_EEDaSZ_S10_EUlSZ_E_NS1_11comp_targetILNS1_3genE3ELNS1_11target_archE908ELNS1_3gpuE7ELNS1_3repE0EEENS1_30default_config_static_selectorELNS0_4arch9wavefront6targetE0EEEvT1_.numbered_sgpr, 0
	.set _ZN7rocprim17ROCPRIM_400000_NS6detail17trampoline_kernelINS0_14default_configENS1_27scan_by_key_config_selectorIssEEZZNS1_16scan_by_key_implILNS1_25lookback_scan_determinismE0ELb0ES3_N6thrust23THRUST_200600_302600_NS6detail15normal_iteratorINS9_10device_ptrIsEEEENS9_18transform_iteratorINS9_6negateIsEESE_NS9_11use_defaultESI_EESE_sNS9_4plusIvEENS9_8equal_toIvEEsEE10hipError_tPvRmT2_T3_T4_T5_mT6_T7_P12ihipStream_tbENKUlT_T0_E_clISt17integral_constantIbLb1EES14_EEDaSZ_S10_EUlSZ_E_NS1_11comp_targetILNS1_3genE3ELNS1_11target_archE908ELNS1_3gpuE7ELNS1_3repE0EEENS1_30default_config_static_selectorELNS0_4arch9wavefront6targetE0EEEvT1_.num_named_barrier, 0
	.set _ZN7rocprim17ROCPRIM_400000_NS6detail17trampoline_kernelINS0_14default_configENS1_27scan_by_key_config_selectorIssEEZZNS1_16scan_by_key_implILNS1_25lookback_scan_determinismE0ELb0ES3_N6thrust23THRUST_200600_302600_NS6detail15normal_iteratorINS9_10device_ptrIsEEEENS9_18transform_iteratorINS9_6negateIsEESE_NS9_11use_defaultESI_EESE_sNS9_4plusIvEENS9_8equal_toIvEEsEE10hipError_tPvRmT2_T3_T4_T5_mT6_T7_P12ihipStream_tbENKUlT_T0_E_clISt17integral_constantIbLb1EES14_EEDaSZ_S10_EUlSZ_E_NS1_11comp_targetILNS1_3genE3ELNS1_11target_archE908ELNS1_3gpuE7ELNS1_3repE0EEENS1_30default_config_static_selectorELNS0_4arch9wavefront6targetE0EEEvT1_.private_seg_size, 0
	.set _ZN7rocprim17ROCPRIM_400000_NS6detail17trampoline_kernelINS0_14default_configENS1_27scan_by_key_config_selectorIssEEZZNS1_16scan_by_key_implILNS1_25lookback_scan_determinismE0ELb0ES3_N6thrust23THRUST_200600_302600_NS6detail15normal_iteratorINS9_10device_ptrIsEEEENS9_18transform_iteratorINS9_6negateIsEESE_NS9_11use_defaultESI_EESE_sNS9_4plusIvEENS9_8equal_toIvEEsEE10hipError_tPvRmT2_T3_T4_T5_mT6_T7_P12ihipStream_tbENKUlT_T0_E_clISt17integral_constantIbLb1EES14_EEDaSZ_S10_EUlSZ_E_NS1_11comp_targetILNS1_3genE3ELNS1_11target_archE908ELNS1_3gpuE7ELNS1_3repE0EEENS1_30default_config_static_selectorELNS0_4arch9wavefront6targetE0EEEvT1_.uses_vcc, 0
	.set _ZN7rocprim17ROCPRIM_400000_NS6detail17trampoline_kernelINS0_14default_configENS1_27scan_by_key_config_selectorIssEEZZNS1_16scan_by_key_implILNS1_25lookback_scan_determinismE0ELb0ES3_N6thrust23THRUST_200600_302600_NS6detail15normal_iteratorINS9_10device_ptrIsEEEENS9_18transform_iteratorINS9_6negateIsEESE_NS9_11use_defaultESI_EESE_sNS9_4plusIvEENS9_8equal_toIvEEsEE10hipError_tPvRmT2_T3_T4_T5_mT6_T7_P12ihipStream_tbENKUlT_T0_E_clISt17integral_constantIbLb1EES14_EEDaSZ_S10_EUlSZ_E_NS1_11comp_targetILNS1_3genE3ELNS1_11target_archE908ELNS1_3gpuE7ELNS1_3repE0EEENS1_30default_config_static_selectorELNS0_4arch9wavefront6targetE0EEEvT1_.uses_flat_scratch, 0
	.set _ZN7rocprim17ROCPRIM_400000_NS6detail17trampoline_kernelINS0_14default_configENS1_27scan_by_key_config_selectorIssEEZZNS1_16scan_by_key_implILNS1_25lookback_scan_determinismE0ELb0ES3_N6thrust23THRUST_200600_302600_NS6detail15normal_iteratorINS9_10device_ptrIsEEEENS9_18transform_iteratorINS9_6negateIsEESE_NS9_11use_defaultESI_EESE_sNS9_4plusIvEENS9_8equal_toIvEEsEE10hipError_tPvRmT2_T3_T4_T5_mT6_T7_P12ihipStream_tbENKUlT_T0_E_clISt17integral_constantIbLb1EES14_EEDaSZ_S10_EUlSZ_E_NS1_11comp_targetILNS1_3genE3ELNS1_11target_archE908ELNS1_3gpuE7ELNS1_3repE0EEENS1_30default_config_static_selectorELNS0_4arch9wavefront6targetE0EEEvT1_.has_dyn_sized_stack, 0
	.set _ZN7rocprim17ROCPRIM_400000_NS6detail17trampoline_kernelINS0_14default_configENS1_27scan_by_key_config_selectorIssEEZZNS1_16scan_by_key_implILNS1_25lookback_scan_determinismE0ELb0ES3_N6thrust23THRUST_200600_302600_NS6detail15normal_iteratorINS9_10device_ptrIsEEEENS9_18transform_iteratorINS9_6negateIsEESE_NS9_11use_defaultESI_EESE_sNS9_4plusIvEENS9_8equal_toIvEEsEE10hipError_tPvRmT2_T3_T4_T5_mT6_T7_P12ihipStream_tbENKUlT_T0_E_clISt17integral_constantIbLb1EES14_EEDaSZ_S10_EUlSZ_E_NS1_11comp_targetILNS1_3genE3ELNS1_11target_archE908ELNS1_3gpuE7ELNS1_3repE0EEENS1_30default_config_static_selectorELNS0_4arch9wavefront6targetE0EEEvT1_.has_recursion, 0
	.set _ZN7rocprim17ROCPRIM_400000_NS6detail17trampoline_kernelINS0_14default_configENS1_27scan_by_key_config_selectorIssEEZZNS1_16scan_by_key_implILNS1_25lookback_scan_determinismE0ELb0ES3_N6thrust23THRUST_200600_302600_NS6detail15normal_iteratorINS9_10device_ptrIsEEEENS9_18transform_iteratorINS9_6negateIsEESE_NS9_11use_defaultESI_EESE_sNS9_4plusIvEENS9_8equal_toIvEEsEE10hipError_tPvRmT2_T3_T4_T5_mT6_T7_P12ihipStream_tbENKUlT_T0_E_clISt17integral_constantIbLb1EES14_EEDaSZ_S10_EUlSZ_E_NS1_11comp_targetILNS1_3genE3ELNS1_11target_archE908ELNS1_3gpuE7ELNS1_3repE0EEENS1_30default_config_static_selectorELNS0_4arch9wavefront6targetE0EEEvT1_.has_indirect_call, 0
	.section	.AMDGPU.csdata,"",@progbits
; Kernel info:
; codeLenInByte = 0
; TotalNumSgprs: 0
; NumVgprs: 0
; ScratchSize: 0
; MemoryBound: 0
; FloatMode: 240
; IeeeMode: 1
; LDSByteSize: 0 bytes/workgroup (compile time only)
; SGPRBlocks: 0
; VGPRBlocks: 0
; NumSGPRsForWavesPerEU: 1
; NumVGPRsForWavesPerEU: 1
; NamedBarCnt: 0
; Occupancy: 16
; WaveLimiterHint : 0
; COMPUTE_PGM_RSRC2:SCRATCH_EN: 0
; COMPUTE_PGM_RSRC2:USER_SGPR: 2
; COMPUTE_PGM_RSRC2:TRAP_HANDLER: 0
; COMPUTE_PGM_RSRC2:TGID_X_EN: 1
; COMPUTE_PGM_RSRC2:TGID_Y_EN: 0
; COMPUTE_PGM_RSRC2:TGID_Z_EN: 0
; COMPUTE_PGM_RSRC2:TIDIG_COMP_CNT: 0
	.section	.text._ZN7rocprim17ROCPRIM_400000_NS6detail17trampoline_kernelINS0_14default_configENS1_27scan_by_key_config_selectorIssEEZZNS1_16scan_by_key_implILNS1_25lookback_scan_determinismE0ELb0ES3_N6thrust23THRUST_200600_302600_NS6detail15normal_iteratorINS9_10device_ptrIsEEEENS9_18transform_iteratorINS9_6negateIsEESE_NS9_11use_defaultESI_EESE_sNS9_4plusIvEENS9_8equal_toIvEEsEE10hipError_tPvRmT2_T3_T4_T5_mT6_T7_P12ihipStream_tbENKUlT_T0_E_clISt17integral_constantIbLb1EES14_EEDaSZ_S10_EUlSZ_E_NS1_11comp_targetILNS1_3genE2ELNS1_11target_archE906ELNS1_3gpuE6ELNS1_3repE0EEENS1_30default_config_static_selectorELNS0_4arch9wavefront6targetE0EEEvT1_,"axG",@progbits,_ZN7rocprim17ROCPRIM_400000_NS6detail17trampoline_kernelINS0_14default_configENS1_27scan_by_key_config_selectorIssEEZZNS1_16scan_by_key_implILNS1_25lookback_scan_determinismE0ELb0ES3_N6thrust23THRUST_200600_302600_NS6detail15normal_iteratorINS9_10device_ptrIsEEEENS9_18transform_iteratorINS9_6negateIsEESE_NS9_11use_defaultESI_EESE_sNS9_4plusIvEENS9_8equal_toIvEEsEE10hipError_tPvRmT2_T3_T4_T5_mT6_T7_P12ihipStream_tbENKUlT_T0_E_clISt17integral_constantIbLb1EES14_EEDaSZ_S10_EUlSZ_E_NS1_11comp_targetILNS1_3genE2ELNS1_11target_archE906ELNS1_3gpuE6ELNS1_3repE0EEENS1_30default_config_static_selectorELNS0_4arch9wavefront6targetE0EEEvT1_,comdat
	.protected	_ZN7rocprim17ROCPRIM_400000_NS6detail17trampoline_kernelINS0_14default_configENS1_27scan_by_key_config_selectorIssEEZZNS1_16scan_by_key_implILNS1_25lookback_scan_determinismE0ELb0ES3_N6thrust23THRUST_200600_302600_NS6detail15normal_iteratorINS9_10device_ptrIsEEEENS9_18transform_iteratorINS9_6negateIsEESE_NS9_11use_defaultESI_EESE_sNS9_4plusIvEENS9_8equal_toIvEEsEE10hipError_tPvRmT2_T3_T4_T5_mT6_T7_P12ihipStream_tbENKUlT_T0_E_clISt17integral_constantIbLb1EES14_EEDaSZ_S10_EUlSZ_E_NS1_11comp_targetILNS1_3genE2ELNS1_11target_archE906ELNS1_3gpuE6ELNS1_3repE0EEENS1_30default_config_static_selectorELNS0_4arch9wavefront6targetE0EEEvT1_ ; -- Begin function _ZN7rocprim17ROCPRIM_400000_NS6detail17trampoline_kernelINS0_14default_configENS1_27scan_by_key_config_selectorIssEEZZNS1_16scan_by_key_implILNS1_25lookback_scan_determinismE0ELb0ES3_N6thrust23THRUST_200600_302600_NS6detail15normal_iteratorINS9_10device_ptrIsEEEENS9_18transform_iteratorINS9_6negateIsEESE_NS9_11use_defaultESI_EESE_sNS9_4plusIvEENS9_8equal_toIvEEsEE10hipError_tPvRmT2_T3_T4_T5_mT6_T7_P12ihipStream_tbENKUlT_T0_E_clISt17integral_constantIbLb1EES14_EEDaSZ_S10_EUlSZ_E_NS1_11comp_targetILNS1_3genE2ELNS1_11target_archE906ELNS1_3gpuE6ELNS1_3repE0EEENS1_30default_config_static_selectorELNS0_4arch9wavefront6targetE0EEEvT1_
	.globl	_ZN7rocprim17ROCPRIM_400000_NS6detail17trampoline_kernelINS0_14default_configENS1_27scan_by_key_config_selectorIssEEZZNS1_16scan_by_key_implILNS1_25lookback_scan_determinismE0ELb0ES3_N6thrust23THRUST_200600_302600_NS6detail15normal_iteratorINS9_10device_ptrIsEEEENS9_18transform_iteratorINS9_6negateIsEESE_NS9_11use_defaultESI_EESE_sNS9_4plusIvEENS9_8equal_toIvEEsEE10hipError_tPvRmT2_T3_T4_T5_mT6_T7_P12ihipStream_tbENKUlT_T0_E_clISt17integral_constantIbLb1EES14_EEDaSZ_S10_EUlSZ_E_NS1_11comp_targetILNS1_3genE2ELNS1_11target_archE906ELNS1_3gpuE6ELNS1_3repE0EEENS1_30default_config_static_selectorELNS0_4arch9wavefront6targetE0EEEvT1_
	.p2align	8
	.type	_ZN7rocprim17ROCPRIM_400000_NS6detail17trampoline_kernelINS0_14default_configENS1_27scan_by_key_config_selectorIssEEZZNS1_16scan_by_key_implILNS1_25lookback_scan_determinismE0ELb0ES3_N6thrust23THRUST_200600_302600_NS6detail15normal_iteratorINS9_10device_ptrIsEEEENS9_18transform_iteratorINS9_6negateIsEESE_NS9_11use_defaultESI_EESE_sNS9_4plusIvEENS9_8equal_toIvEEsEE10hipError_tPvRmT2_T3_T4_T5_mT6_T7_P12ihipStream_tbENKUlT_T0_E_clISt17integral_constantIbLb1EES14_EEDaSZ_S10_EUlSZ_E_NS1_11comp_targetILNS1_3genE2ELNS1_11target_archE906ELNS1_3gpuE6ELNS1_3repE0EEENS1_30default_config_static_selectorELNS0_4arch9wavefront6targetE0EEEvT1_,@function
_ZN7rocprim17ROCPRIM_400000_NS6detail17trampoline_kernelINS0_14default_configENS1_27scan_by_key_config_selectorIssEEZZNS1_16scan_by_key_implILNS1_25lookback_scan_determinismE0ELb0ES3_N6thrust23THRUST_200600_302600_NS6detail15normal_iteratorINS9_10device_ptrIsEEEENS9_18transform_iteratorINS9_6negateIsEESE_NS9_11use_defaultESI_EESE_sNS9_4plusIvEENS9_8equal_toIvEEsEE10hipError_tPvRmT2_T3_T4_T5_mT6_T7_P12ihipStream_tbENKUlT_T0_E_clISt17integral_constantIbLb1EES14_EEDaSZ_S10_EUlSZ_E_NS1_11comp_targetILNS1_3genE2ELNS1_11target_archE906ELNS1_3gpuE6ELNS1_3repE0EEENS1_30default_config_static_selectorELNS0_4arch9wavefront6targetE0EEEvT1_: ; @_ZN7rocprim17ROCPRIM_400000_NS6detail17trampoline_kernelINS0_14default_configENS1_27scan_by_key_config_selectorIssEEZZNS1_16scan_by_key_implILNS1_25lookback_scan_determinismE0ELb0ES3_N6thrust23THRUST_200600_302600_NS6detail15normal_iteratorINS9_10device_ptrIsEEEENS9_18transform_iteratorINS9_6negateIsEESE_NS9_11use_defaultESI_EESE_sNS9_4plusIvEENS9_8equal_toIvEEsEE10hipError_tPvRmT2_T3_T4_T5_mT6_T7_P12ihipStream_tbENKUlT_T0_E_clISt17integral_constantIbLb1EES14_EEDaSZ_S10_EUlSZ_E_NS1_11comp_targetILNS1_3genE2ELNS1_11target_archE906ELNS1_3gpuE6ELNS1_3repE0EEENS1_30default_config_static_selectorELNS0_4arch9wavefront6targetE0EEEvT1_
; %bb.0:
	.section	.rodata,"a",@progbits
	.p2align	6, 0x0
	.amdhsa_kernel _ZN7rocprim17ROCPRIM_400000_NS6detail17trampoline_kernelINS0_14default_configENS1_27scan_by_key_config_selectorIssEEZZNS1_16scan_by_key_implILNS1_25lookback_scan_determinismE0ELb0ES3_N6thrust23THRUST_200600_302600_NS6detail15normal_iteratorINS9_10device_ptrIsEEEENS9_18transform_iteratorINS9_6negateIsEESE_NS9_11use_defaultESI_EESE_sNS9_4plusIvEENS9_8equal_toIvEEsEE10hipError_tPvRmT2_T3_T4_T5_mT6_T7_P12ihipStream_tbENKUlT_T0_E_clISt17integral_constantIbLb1EES14_EEDaSZ_S10_EUlSZ_E_NS1_11comp_targetILNS1_3genE2ELNS1_11target_archE906ELNS1_3gpuE6ELNS1_3repE0EEENS1_30default_config_static_selectorELNS0_4arch9wavefront6targetE0EEEvT1_
		.amdhsa_group_segment_fixed_size 0
		.amdhsa_private_segment_fixed_size 0
		.amdhsa_kernarg_size 120
		.amdhsa_user_sgpr_count 2
		.amdhsa_user_sgpr_dispatch_ptr 0
		.amdhsa_user_sgpr_queue_ptr 0
		.amdhsa_user_sgpr_kernarg_segment_ptr 1
		.amdhsa_user_sgpr_dispatch_id 0
		.amdhsa_user_sgpr_kernarg_preload_length 0
		.amdhsa_user_sgpr_kernarg_preload_offset 0
		.amdhsa_user_sgpr_private_segment_size 0
		.amdhsa_wavefront_size32 1
		.amdhsa_uses_dynamic_stack 0
		.amdhsa_enable_private_segment 0
		.amdhsa_system_sgpr_workgroup_id_x 1
		.amdhsa_system_sgpr_workgroup_id_y 0
		.amdhsa_system_sgpr_workgroup_id_z 0
		.amdhsa_system_sgpr_workgroup_info 0
		.amdhsa_system_vgpr_workitem_id 0
		.amdhsa_next_free_vgpr 1
		.amdhsa_next_free_sgpr 1
		.amdhsa_named_barrier_count 0
		.amdhsa_reserve_vcc 0
		.amdhsa_float_round_mode_32 0
		.amdhsa_float_round_mode_16_64 0
		.amdhsa_float_denorm_mode_32 3
		.amdhsa_float_denorm_mode_16_64 3
		.amdhsa_fp16_overflow 0
		.amdhsa_memory_ordered 1
		.amdhsa_forward_progress 1
		.amdhsa_inst_pref_size 0
		.amdhsa_round_robin_scheduling 0
		.amdhsa_exception_fp_ieee_invalid_op 0
		.amdhsa_exception_fp_denorm_src 0
		.amdhsa_exception_fp_ieee_div_zero 0
		.amdhsa_exception_fp_ieee_overflow 0
		.amdhsa_exception_fp_ieee_underflow 0
		.amdhsa_exception_fp_ieee_inexact 0
		.amdhsa_exception_int_div_zero 0
	.end_amdhsa_kernel
	.section	.text._ZN7rocprim17ROCPRIM_400000_NS6detail17trampoline_kernelINS0_14default_configENS1_27scan_by_key_config_selectorIssEEZZNS1_16scan_by_key_implILNS1_25lookback_scan_determinismE0ELb0ES3_N6thrust23THRUST_200600_302600_NS6detail15normal_iteratorINS9_10device_ptrIsEEEENS9_18transform_iteratorINS9_6negateIsEESE_NS9_11use_defaultESI_EESE_sNS9_4plusIvEENS9_8equal_toIvEEsEE10hipError_tPvRmT2_T3_T4_T5_mT6_T7_P12ihipStream_tbENKUlT_T0_E_clISt17integral_constantIbLb1EES14_EEDaSZ_S10_EUlSZ_E_NS1_11comp_targetILNS1_3genE2ELNS1_11target_archE906ELNS1_3gpuE6ELNS1_3repE0EEENS1_30default_config_static_selectorELNS0_4arch9wavefront6targetE0EEEvT1_,"axG",@progbits,_ZN7rocprim17ROCPRIM_400000_NS6detail17trampoline_kernelINS0_14default_configENS1_27scan_by_key_config_selectorIssEEZZNS1_16scan_by_key_implILNS1_25lookback_scan_determinismE0ELb0ES3_N6thrust23THRUST_200600_302600_NS6detail15normal_iteratorINS9_10device_ptrIsEEEENS9_18transform_iteratorINS9_6negateIsEESE_NS9_11use_defaultESI_EESE_sNS9_4plusIvEENS9_8equal_toIvEEsEE10hipError_tPvRmT2_T3_T4_T5_mT6_T7_P12ihipStream_tbENKUlT_T0_E_clISt17integral_constantIbLb1EES14_EEDaSZ_S10_EUlSZ_E_NS1_11comp_targetILNS1_3genE2ELNS1_11target_archE906ELNS1_3gpuE6ELNS1_3repE0EEENS1_30default_config_static_selectorELNS0_4arch9wavefront6targetE0EEEvT1_,comdat
.Lfunc_end979:
	.size	_ZN7rocprim17ROCPRIM_400000_NS6detail17trampoline_kernelINS0_14default_configENS1_27scan_by_key_config_selectorIssEEZZNS1_16scan_by_key_implILNS1_25lookback_scan_determinismE0ELb0ES3_N6thrust23THRUST_200600_302600_NS6detail15normal_iteratorINS9_10device_ptrIsEEEENS9_18transform_iteratorINS9_6negateIsEESE_NS9_11use_defaultESI_EESE_sNS9_4plusIvEENS9_8equal_toIvEEsEE10hipError_tPvRmT2_T3_T4_T5_mT6_T7_P12ihipStream_tbENKUlT_T0_E_clISt17integral_constantIbLb1EES14_EEDaSZ_S10_EUlSZ_E_NS1_11comp_targetILNS1_3genE2ELNS1_11target_archE906ELNS1_3gpuE6ELNS1_3repE0EEENS1_30default_config_static_selectorELNS0_4arch9wavefront6targetE0EEEvT1_, .Lfunc_end979-_ZN7rocprim17ROCPRIM_400000_NS6detail17trampoline_kernelINS0_14default_configENS1_27scan_by_key_config_selectorIssEEZZNS1_16scan_by_key_implILNS1_25lookback_scan_determinismE0ELb0ES3_N6thrust23THRUST_200600_302600_NS6detail15normal_iteratorINS9_10device_ptrIsEEEENS9_18transform_iteratorINS9_6negateIsEESE_NS9_11use_defaultESI_EESE_sNS9_4plusIvEENS9_8equal_toIvEEsEE10hipError_tPvRmT2_T3_T4_T5_mT6_T7_P12ihipStream_tbENKUlT_T0_E_clISt17integral_constantIbLb1EES14_EEDaSZ_S10_EUlSZ_E_NS1_11comp_targetILNS1_3genE2ELNS1_11target_archE906ELNS1_3gpuE6ELNS1_3repE0EEENS1_30default_config_static_selectorELNS0_4arch9wavefront6targetE0EEEvT1_
                                        ; -- End function
	.set _ZN7rocprim17ROCPRIM_400000_NS6detail17trampoline_kernelINS0_14default_configENS1_27scan_by_key_config_selectorIssEEZZNS1_16scan_by_key_implILNS1_25lookback_scan_determinismE0ELb0ES3_N6thrust23THRUST_200600_302600_NS6detail15normal_iteratorINS9_10device_ptrIsEEEENS9_18transform_iteratorINS9_6negateIsEESE_NS9_11use_defaultESI_EESE_sNS9_4plusIvEENS9_8equal_toIvEEsEE10hipError_tPvRmT2_T3_T4_T5_mT6_T7_P12ihipStream_tbENKUlT_T0_E_clISt17integral_constantIbLb1EES14_EEDaSZ_S10_EUlSZ_E_NS1_11comp_targetILNS1_3genE2ELNS1_11target_archE906ELNS1_3gpuE6ELNS1_3repE0EEENS1_30default_config_static_selectorELNS0_4arch9wavefront6targetE0EEEvT1_.num_vgpr, 0
	.set _ZN7rocprim17ROCPRIM_400000_NS6detail17trampoline_kernelINS0_14default_configENS1_27scan_by_key_config_selectorIssEEZZNS1_16scan_by_key_implILNS1_25lookback_scan_determinismE0ELb0ES3_N6thrust23THRUST_200600_302600_NS6detail15normal_iteratorINS9_10device_ptrIsEEEENS9_18transform_iteratorINS9_6negateIsEESE_NS9_11use_defaultESI_EESE_sNS9_4plusIvEENS9_8equal_toIvEEsEE10hipError_tPvRmT2_T3_T4_T5_mT6_T7_P12ihipStream_tbENKUlT_T0_E_clISt17integral_constantIbLb1EES14_EEDaSZ_S10_EUlSZ_E_NS1_11comp_targetILNS1_3genE2ELNS1_11target_archE906ELNS1_3gpuE6ELNS1_3repE0EEENS1_30default_config_static_selectorELNS0_4arch9wavefront6targetE0EEEvT1_.num_agpr, 0
	.set _ZN7rocprim17ROCPRIM_400000_NS6detail17trampoline_kernelINS0_14default_configENS1_27scan_by_key_config_selectorIssEEZZNS1_16scan_by_key_implILNS1_25lookback_scan_determinismE0ELb0ES3_N6thrust23THRUST_200600_302600_NS6detail15normal_iteratorINS9_10device_ptrIsEEEENS9_18transform_iteratorINS9_6negateIsEESE_NS9_11use_defaultESI_EESE_sNS9_4plusIvEENS9_8equal_toIvEEsEE10hipError_tPvRmT2_T3_T4_T5_mT6_T7_P12ihipStream_tbENKUlT_T0_E_clISt17integral_constantIbLb1EES14_EEDaSZ_S10_EUlSZ_E_NS1_11comp_targetILNS1_3genE2ELNS1_11target_archE906ELNS1_3gpuE6ELNS1_3repE0EEENS1_30default_config_static_selectorELNS0_4arch9wavefront6targetE0EEEvT1_.numbered_sgpr, 0
	.set _ZN7rocprim17ROCPRIM_400000_NS6detail17trampoline_kernelINS0_14default_configENS1_27scan_by_key_config_selectorIssEEZZNS1_16scan_by_key_implILNS1_25lookback_scan_determinismE0ELb0ES3_N6thrust23THRUST_200600_302600_NS6detail15normal_iteratorINS9_10device_ptrIsEEEENS9_18transform_iteratorINS9_6negateIsEESE_NS9_11use_defaultESI_EESE_sNS9_4plusIvEENS9_8equal_toIvEEsEE10hipError_tPvRmT2_T3_T4_T5_mT6_T7_P12ihipStream_tbENKUlT_T0_E_clISt17integral_constantIbLb1EES14_EEDaSZ_S10_EUlSZ_E_NS1_11comp_targetILNS1_3genE2ELNS1_11target_archE906ELNS1_3gpuE6ELNS1_3repE0EEENS1_30default_config_static_selectorELNS0_4arch9wavefront6targetE0EEEvT1_.num_named_barrier, 0
	.set _ZN7rocprim17ROCPRIM_400000_NS6detail17trampoline_kernelINS0_14default_configENS1_27scan_by_key_config_selectorIssEEZZNS1_16scan_by_key_implILNS1_25lookback_scan_determinismE0ELb0ES3_N6thrust23THRUST_200600_302600_NS6detail15normal_iteratorINS9_10device_ptrIsEEEENS9_18transform_iteratorINS9_6negateIsEESE_NS9_11use_defaultESI_EESE_sNS9_4plusIvEENS9_8equal_toIvEEsEE10hipError_tPvRmT2_T3_T4_T5_mT6_T7_P12ihipStream_tbENKUlT_T0_E_clISt17integral_constantIbLb1EES14_EEDaSZ_S10_EUlSZ_E_NS1_11comp_targetILNS1_3genE2ELNS1_11target_archE906ELNS1_3gpuE6ELNS1_3repE0EEENS1_30default_config_static_selectorELNS0_4arch9wavefront6targetE0EEEvT1_.private_seg_size, 0
	.set _ZN7rocprim17ROCPRIM_400000_NS6detail17trampoline_kernelINS0_14default_configENS1_27scan_by_key_config_selectorIssEEZZNS1_16scan_by_key_implILNS1_25lookback_scan_determinismE0ELb0ES3_N6thrust23THRUST_200600_302600_NS6detail15normal_iteratorINS9_10device_ptrIsEEEENS9_18transform_iteratorINS9_6negateIsEESE_NS9_11use_defaultESI_EESE_sNS9_4plusIvEENS9_8equal_toIvEEsEE10hipError_tPvRmT2_T3_T4_T5_mT6_T7_P12ihipStream_tbENKUlT_T0_E_clISt17integral_constantIbLb1EES14_EEDaSZ_S10_EUlSZ_E_NS1_11comp_targetILNS1_3genE2ELNS1_11target_archE906ELNS1_3gpuE6ELNS1_3repE0EEENS1_30default_config_static_selectorELNS0_4arch9wavefront6targetE0EEEvT1_.uses_vcc, 0
	.set _ZN7rocprim17ROCPRIM_400000_NS6detail17trampoline_kernelINS0_14default_configENS1_27scan_by_key_config_selectorIssEEZZNS1_16scan_by_key_implILNS1_25lookback_scan_determinismE0ELb0ES3_N6thrust23THRUST_200600_302600_NS6detail15normal_iteratorINS9_10device_ptrIsEEEENS9_18transform_iteratorINS9_6negateIsEESE_NS9_11use_defaultESI_EESE_sNS9_4plusIvEENS9_8equal_toIvEEsEE10hipError_tPvRmT2_T3_T4_T5_mT6_T7_P12ihipStream_tbENKUlT_T0_E_clISt17integral_constantIbLb1EES14_EEDaSZ_S10_EUlSZ_E_NS1_11comp_targetILNS1_3genE2ELNS1_11target_archE906ELNS1_3gpuE6ELNS1_3repE0EEENS1_30default_config_static_selectorELNS0_4arch9wavefront6targetE0EEEvT1_.uses_flat_scratch, 0
	.set _ZN7rocprim17ROCPRIM_400000_NS6detail17trampoline_kernelINS0_14default_configENS1_27scan_by_key_config_selectorIssEEZZNS1_16scan_by_key_implILNS1_25lookback_scan_determinismE0ELb0ES3_N6thrust23THRUST_200600_302600_NS6detail15normal_iteratorINS9_10device_ptrIsEEEENS9_18transform_iteratorINS9_6negateIsEESE_NS9_11use_defaultESI_EESE_sNS9_4plusIvEENS9_8equal_toIvEEsEE10hipError_tPvRmT2_T3_T4_T5_mT6_T7_P12ihipStream_tbENKUlT_T0_E_clISt17integral_constantIbLb1EES14_EEDaSZ_S10_EUlSZ_E_NS1_11comp_targetILNS1_3genE2ELNS1_11target_archE906ELNS1_3gpuE6ELNS1_3repE0EEENS1_30default_config_static_selectorELNS0_4arch9wavefront6targetE0EEEvT1_.has_dyn_sized_stack, 0
	.set _ZN7rocprim17ROCPRIM_400000_NS6detail17trampoline_kernelINS0_14default_configENS1_27scan_by_key_config_selectorIssEEZZNS1_16scan_by_key_implILNS1_25lookback_scan_determinismE0ELb0ES3_N6thrust23THRUST_200600_302600_NS6detail15normal_iteratorINS9_10device_ptrIsEEEENS9_18transform_iteratorINS9_6negateIsEESE_NS9_11use_defaultESI_EESE_sNS9_4plusIvEENS9_8equal_toIvEEsEE10hipError_tPvRmT2_T3_T4_T5_mT6_T7_P12ihipStream_tbENKUlT_T0_E_clISt17integral_constantIbLb1EES14_EEDaSZ_S10_EUlSZ_E_NS1_11comp_targetILNS1_3genE2ELNS1_11target_archE906ELNS1_3gpuE6ELNS1_3repE0EEENS1_30default_config_static_selectorELNS0_4arch9wavefront6targetE0EEEvT1_.has_recursion, 0
	.set _ZN7rocprim17ROCPRIM_400000_NS6detail17trampoline_kernelINS0_14default_configENS1_27scan_by_key_config_selectorIssEEZZNS1_16scan_by_key_implILNS1_25lookback_scan_determinismE0ELb0ES3_N6thrust23THRUST_200600_302600_NS6detail15normal_iteratorINS9_10device_ptrIsEEEENS9_18transform_iteratorINS9_6negateIsEESE_NS9_11use_defaultESI_EESE_sNS9_4plusIvEENS9_8equal_toIvEEsEE10hipError_tPvRmT2_T3_T4_T5_mT6_T7_P12ihipStream_tbENKUlT_T0_E_clISt17integral_constantIbLb1EES14_EEDaSZ_S10_EUlSZ_E_NS1_11comp_targetILNS1_3genE2ELNS1_11target_archE906ELNS1_3gpuE6ELNS1_3repE0EEENS1_30default_config_static_selectorELNS0_4arch9wavefront6targetE0EEEvT1_.has_indirect_call, 0
	.section	.AMDGPU.csdata,"",@progbits
; Kernel info:
; codeLenInByte = 0
; TotalNumSgprs: 0
; NumVgprs: 0
; ScratchSize: 0
; MemoryBound: 0
; FloatMode: 240
; IeeeMode: 1
; LDSByteSize: 0 bytes/workgroup (compile time only)
; SGPRBlocks: 0
; VGPRBlocks: 0
; NumSGPRsForWavesPerEU: 1
; NumVGPRsForWavesPerEU: 1
; NamedBarCnt: 0
; Occupancy: 16
; WaveLimiterHint : 0
; COMPUTE_PGM_RSRC2:SCRATCH_EN: 0
; COMPUTE_PGM_RSRC2:USER_SGPR: 2
; COMPUTE_PGM_RSRC2:TRAP_HANDLER: 0
; COMPUTE_PGM_RSRC2:TGID_X_EN: 1
; COMPUTE_PGM_RSRC2:TGID_Y_EN: 0
; COMPUTE_PGM_RSRC2:TGID_Z_EN: 0
; COMPUTE_PGM_RSRC2:TIDIG_COMP_CNT: 0
	.section	.text._ZN7rocprim17ROCPRIM_400000_NS6detail17trampoline_kernelINS0_14default_configENS1_27scan_by_key_config_selectorIssEEZZNS1_16scan_by_key_implILNS1_25lookback_scan_determinismE0ELb0ES3_N6thrust23THRUST_200600_302600_NS6detail15normal_iteratorINS9_10device_ptrIsEEEENS9_18transform_iteratorINS9_6negateIsEESE_NS9_11use_defaultESI_EESE_sNS9_4plusIvEENS9_8equal_toIvEEsEE10hipError_tPvRmT2_T3_T4_T5_mT6_T7_P12ihipStream_tbENKUlT_T0_E_clISt17integral_constantIbLb1EES14_EEDaSZ_S10_EUlSZ_E_NS1_11comp_targetILNS1_3genE10ELNS1_11target_archE1200ELNS1_3gpuE4ELNS1_3repE0EEENS1_30default_config_static_selectorELNS0_4arch9wavefront6targetE0EEEvT1_,"axG",@progbits,_ZN7rocprim17ROCPRIM_400000_NS6detail17trampoline_kernelINS0_14default_configENS1_27scan_by_key_config_selectorIssEEZZNS1_16scan_by_key_implILNS1_25lookback_scan_determinismE0ELb0ES3_N6thrust23THRUST_200600_302600_NS6detail15normal_iteratorINS9_10device_ptrIsEEEENS9_18transform_iteratorINS9_6negateIsEESE_NS9_11use_defaultESI_EESE_sNS9_4plusIvEENS9_8equal_toIvEEsEE10hipError_tPvRmT2_T3_T4_T5_mT6_T7_P12ihipStream_tbENKUlT_T0_E_clISt17integral_constantIbLb1EES14_EEDaSZ_S10_EUlSZ_E_NS1_11comp_targetILNS1_3genE10ELNS1_11target_archE1200ELNS1_3gpuE4ELNS1_3repE0EEENS1_30default_config_static_selectorELNS0_4arch9wavefront6targetE0EEEvT1_,comdat
	.protected	_ZN7rocprim17ROCPRIM_400000_NS6detail17trampoline_kernelINS0_14default_configENS1_27scan_by_key_config_selectorIssEEZZNS1_16scan_by_key_implILNS1_25lookback_scan_determinismE0ELb0ES3_N6thrust23THRUST_200600_302600_NS6detail15normal_iteratorINS9_10device_ptrIsEEEENS9_18transform_iteratorINS9_6negateIsEESE_NS9_11use_defaultESI_EESE_sNS9_4plusIvEENS9_8equal_toIvEEsEE10hipError_tPvRmT2_T3_T4_T5_mT6_T7_P12ihipStream_tbENKUlT_T0_E_clISt17integral_constantIbLb1EES14_EEDaSZ_S10_EUlSZ_E_NS1_11comp_targetILNS1_3genE10ELNS1_11target_archE1200ELNS1_3gpuE4ELNS1_3repE0EEENS1_30default_config_static_selectorELNS0_4arch9wavefront6targetE0EEEvT1_ ; -- Begin function _ZN7rocprim17ROCPRIM_400000_NS6detail17trampoline_kernelINS0_14default_configENS1_27scan_by_key_config_selectorIssEEZZNS1_16scan_by_key_implILNS1_25lookback_scan_determinismE0ELb0ES3_N6thrust23THRUST_200600_302600_NS6detail15normal_iteratorINS9_10device_ptrIsEEEENS9_18transform_iteratorINS9_6negateIsEESE_NS9_11use_defaultESI_EESE_sNS9_4plusIvEENS9_8equal_toIvEEsEE10hipError_tPvRmT2_T3_T4_T5_mT6_T7_P12ihipStream_tbENKUlT_T0_E_clISt17integral_constantIbLb1EES14_EEDaSZ_S10_EUlSZ_E_NS1_11comp_targetILNS1_3genE10ELNS1_11target_archE1200ELNS1_3gpuE4ELNS1_3repE0EEENS1_30default_config_static_selectorELNS0_4arch9wavefront6targetE0EEEvT1_
	.globl	_ZN7rocprim17ROCPRIM_400000_NS6detail17trampoline_kernelINS0_14default_configENS1_27scan_by_key_config_selectorIssEEZZNS1_16scan_by_key_implILNS1_25lookback_scan_determinismE0ELb0ES3_N6thrust23THRUST_200600_302600_NS6detail15normal_iteratorINS9_10device_ptrIsEEEENS9_18transform_iteratorINS9_6negateIsEESE_NS9_11use_defaultESI_EESE_sNS9_4plusIvEENS9_8equal_toIvEEsEE10hipError_tPvRmT2_T3_T4_T5_mT6_T7_P12ihipStream_tbENKUlT_T0_E_clISt17integral_constantIbLb1EES14_EEDaSZ_S10_EUlSZ_E_NS1_11comp_targetILNS1_3genE10ELNS1_11target_archE1200ELNS1_3gpuE4ELNS1_3repE0EEENS1_30default_config_static_selectorELNS0_4arch9wavefront6targetE0EEEvT1_
	.p2align	8
	.type	_ZN7rocprim17ROCPRIM_400000_NS6detail17trampoline_kernelINS0_14default_configENS1_27scan_by_key_config_selectorIssEEZZNS1_16scan_by_key_implILNS1_25lookback_scan_determinismE0ELb0ES3_N6thrust23THRUST_200600_302600_NS6detail15normal_iteratorINS9_10device_ptrIsEEEENS9_18transform_iteratorINS9_6negateIsEESE_NS9_11use_defaultESI_EESE_sNS9_4plusIvEENS9_8equal_toIvEEsEE10hipError_tPvRmT2_T3_T4_T5_mT6_T7_P12ihipStream_tbENKUlT_T0_E_clISt17integral_constantIbLb1EES14_EEDaSZ_S10_EUlSZ_E_NS1_11comp_targetILNS1_3genE10ELNS1_11target_archE1200ELNS1_3gpuE4ELNS1_3repE0EEENS1_30default_config_static_selectorELNS0_4arch9wavefront6targetE0EEEvT1_,@function
_ZN7rocprim17ROCPRIM_400000_NS6detail17trampoline_kernelINS0_14default_configENS1_27scan_by_key_config_selectorIssEEZZNS1_16scan_by_key_implILNS1_25lookback_scan_determinismE0ELb0ES3_N6thrust23THRUST_200600_302600_NS6detail15normal_iteratorINS9_10device_ptrIsEEEENS9_18transform_iteratorINS9_6negateIsEESE_NS9_11use_defaultESI_EESE_sNS9_4plusIvEENS9_8equal_toIvEEsEE10hipError_tPvRmT2_T3_T4_T5_mT6_T7_P12ihipStream_tbENKUlT_T0_E_clISt17integral_constantIbLb1EES14_EEDaSZ_S10_EUlSZ_E_NS1_11comp_targetILNS1_3genE10ELNS1_11target_archE1200ELNS1_3gpuE4ELNS1_3repE0EEENS1_30default_config_static_selectorELNS0_4arch9wavefront6targetE0EEEvT1_: ; @_ZN7rocprim17ROCPRIM_400000_NS6detail17trampoline_kernelINS0_14default_configENS1_27scan_by_key_config_selectorIssEEZZNS1_16scan_by_key_implILNS1_25lookback_scan_determinismE0ELb0ES3_N6thrust23THRUST_200600_302600_NS6detail15normal_iteratorINS9_10device_ptrIsEEEENS9_18transform_iteratorINS9_6negateIsEESE_NS9_11use_defaultESI_EESE_sNS9_4plusIvEENS9_8equal_toIvEEsEE10hipError_tPvRmT2_T3_T4_T5_mT6_T7_P12ihipStream_tbENKUlT_T0_E_clISt17integral_constantIbLb1EES14_EEDaSZ_S10_EUlSZ_E_NS1_11comp_targetILNS1_3genE10ELNS1_11target_archE1200ELNS1_3gpuE4ELNS1_3repE0EEENS1_30default_config_static_selectorELNS0_4arch9wavefront6targetE0EEEvT1_
; %bb.0:
	.section	.rodata,"a",@progbits
	.p2align	6, 0x0
	.amdhsa_kernel _ZN7rocprim17ROCPRIM_400000_NS6detail17trampoline_kernelINS0_14default_configENS1_27scan_by_key_config_selectorIssEEZZNS1_16scan_by_key_implILNS1_25lookback_scan_determinismE0ELb0ES3_N6thrust23THRUST_200600_302600_NS6detail15normal_iteratorINS9_10device_ptrIsEEEENS9_18transform_iteratorINS9_6negateIsEESE_NS9_11use_defaultESI_EESE_sNS9_4plusIvEENS9_8equal_toIvEEsEE10hipError_tPvRmT2_T3_T4_T5_mT6_T7_P12ihipStream_tbENKUlT_T0_E_clISt17integral_constantIbLb1EES14_EEDaSZ_S10_EUlSZ_E_NS1_11comp_targetILNS1_3genE10ELNS1_11target_archE1200ELNS1_3gpuE4ELNS1_3repE0EEENS1_30default_config_static_selectorELNS0_4arch9wavefront6targetE0EEEvT1_
		.amdhsa_group_segment_fixed_size 0
		.amdhsa_private_segment_fixed_size 0
		.amdhsa_kernarg_size 120
		.amdhsa_user_sgpr_count 2
		.amdhsa_user_sgpr_dispatch_ptr 0
		.amdhsa_user_sgpr_queue_ptr 0
		.amdhsa_user_sgpr_kernarg_segment_ptr 1
		.amdhsa_user_sgpr_dispatch_id 0
		.amdhsa_user_sgpr_kernarg_preload_length 0
		.amdhsa_user_sgpr_kernarg_preload_offset 0
		.amdhsa_user_sgpr_private_segment_size 0
		.amdhsa_wavefront_size32 1
		.amdhsa_uses_dynamic_stack 0
		.amdhsa_enable_private_segment 0
		.amdhsa_system_sgpr_workgroup_id_x 1
		.amdhsa_system_sgpr_workgroup_id_y 0
		.amdhsa_system_sgpr_workgroup_id_z 0
		.amdhsa_system_sgpr_workgroup_info 0
		.amdhsa_system_vgpr_workitem_id 0
		.amdhsa_next_free_vgpr 1
		.amdhsa_next_free_sgpr 1
		.amdhsa_named_barrier_count 0
		.amdhsa_reserve_vcc 0
		.amdhsa_float_round_mode_32 0
		.amdhsa_float_round_mode_16_64 0
		.amdhsa_float_denorm_mode_32 3
		.amdhsa_float_denorm_mode_16_64 3
		.amdhsa_fp16_overflow 0
		.amdhsa_memory_ordered 1
		.amdhsa_forward_progress 1
		.amdhsa_inst_pref_size 0
		.amdhsa_round_robin_scheduling 0
		.amdhsa_exception_fp_ieee_invalid_op 0
		.amdhsa_exception_fp_denorm_src 0
		.amdhsa_exception_fp_ieee_div_zero 0
		.amdhsa_exception_fp_ieee_overflow 0
		.amdhsa_exception_fp_ieee_underflow 0
		.amdhsa_exception_fp_ieee_inexact 0
		.amdhsa_exception_int_div_zero 0
	.end_amdhsa_kernel
	.section	.text._ZN7rocprim17ROCPRIM_400000_NS6detail17trampoline_kernelINS0_14default_configENS1_27scan_by_key_config_selectorIssEEZZNS1_16scan_by_key_implILNS1_25lookback_scan_determinismE0ELb0ES3_N6thrust23THRUST_200600_302600_NS6detail15normal_iteratorINS9_10device_ptrIsEEEENS9_18transform_iteratorINS9_6negateIsEESE_NS9_11use_defaultESI_EESE_sNS9_4plusIvEENS9_8equal_toIvEEsEE10hipError_tPvRmT2_T3_T4_T5_mT6_T7_P12ihipStream_tbENKUlT_T0_E_clISt17integral_constantIbLb1EES14_EEDaSZ_S10_EUlSZ_E_NS1_11comp_targetILNS1_3genE10ELNS1_11target_archE1200ELNS1_3gpuE4ELNS1_3repE0EEENS1_30default_config_static_selectorELNS0_4arch9wavefront6targetE0EEEvT1_,"axG",@progbits,_ZN7rocprim17ROCPRIM_400000_NS6detail17trampoline_kernelINS0_14default_configENS1_27scan_by_key_config_selectorIssEEZZNS1_16scan_by_key_implILNS1_25lookback_scan_determinismE0ELb0ES3_N6thrust23THRUST_200600_302600_NS6detail15normal_iteratorINS9_10device_ptrIsEEEENS9_18transform_iteratorINS9_6negateIsEESE_NS9_11use_defaultESI_EESE_sNS9_4plusIvEENS9_8equal_toIvEEsEE10hipError_tPvRmT2_T3_T4_T5_mT6_T7_P12ihipStream_tbENKUlT_T0_E_clISt17integral_constantIbLb1EES14_EEDaSZ_S10_EUlSZ_E_NS1_11comp_targetILNS1_3genE10ELNS1_11target_archE1200ELNS1_3gpuE4ELNS1_3repE0EEENS1_30default_config_static_selectorELNS0_4arch9wavefront6targetE0EEEvT1_,comdat
.Lfunc_end980:
	.size	_ZN7rocprim17ROCPRIM_400000_NS6detail17trampoline_kernelINS0_14default_configENS1_27scan_by_key_config_selectorIssEEZZNS1_16scan_by_key_implILNS1_25lookback_scan_determinismE0ELb0ES3_N6thrust23THRUST_200600_302600_NS6detail15normal_iteratorINS9_10device_ptrIsEEEENS9_18transform_iteratorINS9_6negateIsEESE_NS9_11use_defaultESI_EESE_sNS9_4plusIvEENS9_8equal_toIvEEsEE10hipError_tPvRmT2_T3_T4_T5_mT6_T7_P12ihipStream_tbENKUlT_T0_E_clISt17integral_constantIbLb1EES14_EEDaSZ_S10_EUlSZ_E_NS1_11comp_targetILNS1_3genE10ELNS1_11target_archE1200ELNS1_3gpuE4ELNS1_3repE0EEENS1_30default_config_static_selectorELNS0_4arch9wavefront6targetE0EEEvT1_, .Lfunc_end980-_ZN7rocprim17ROCPRIM_400000_NS6detail17trampoline_kernelINS0_14default_configENS1_27scan_by_key_config_selectorIssEEZZNS1_16scan_by_key_implILNS1_25lookback_scan_determinismE0ELb0ES3_N6thrust23THRUST_200600_302600_NS6detail15normal_iteratorINS9_10device_ptrIsEEEENS9_18transform_iteratorINS9_6negateIsEESE_NS9_11use_defaultESI_EESE_sNS9_4plusIvEENS9_8equal_toIvEEsEE10hipError_tPvRmT2_T3_T4_T5_mT6_T7_P12ihipStream_tbENKUlT_T0_E_clISt17integral_constantIbLb1EES14_EEDaSZ_S10_EUlSZ_E_NS1_11comp_targetILNS1_3genE10ELNS1_11target_archE1200ELNS1_3gpuE4ELNS1_3repE0EEENS1_30default_config_static_selectorELNS0_4arch9wavefront6targetE0EEEvT1_
                                        ; -- End function
	.set _ZN7rocprim17ROCPRIM_400000_NS6detail17trampoline_kernelINS0_14default_configENS1_27scan_by_key_config_selectorIssEEZZNS1_16scan_by_key_implILNS1_25lookback_scan_determinismE0ELb0ES3_N6thrust23THRUST_200600_302600_NS6detail15normal_iteratorINS9_10device_ptrIsEEEENS9_18transform_iteratorINS9_6negateIsEESE_NS9_11use_defaultESI_EESE_sNS9_4plusIvEENS9_8equal_toIvEEsEE10hipError_tPvRmT2_T3_T4_T5_mT6_T7_P12ihipStream_tbENKUlT_T0_E_clISt17integral_constantIbLb1EES14_EEDaSZ_S10_EUlSZ_E_NS1_11comp_targetILNS1_3genE10ELNS1_11target_archE1200ELNS1_3gpuE4ELNS1_3repE0EEENS1_30default_config_static_selectorELNS0_4arch9wavefront6targetE0EEEvT1_.num_vgpr, 0
	.set _ZN7rocprim17ROCPRIM_400000_NS6detail17trampoline_kernelINS0_14default_configENS1_27scan_by_key_config_selectorIssEEZZNS1_16scan_by_key_implILNS1_25lookback_scan_determinismE0ELb0ES3_N6thrust23THRUST_200600_302600_NS6detail15normal_iteratorINS9_10device_ptrIsEEEENS9_18transform_iteratorINS9_6negateIsEESE_NS9_11use_defaultESI_EESE_sNS9_4plusIvEENS9_8equal_toIvEEsEE10hipError_tPvRmT2_T3_T4_T5_mT6_T7_P12ihipStream_tbENKUlT_T0_E_clISt17integral_constantIbLb1EES14_EEDaSZ_S10_EUlSZ_E_NS1_11comp_targetILNS1_3genE10ELNS1_11target_archE1200ELNS1_3gpuE4ELNS1_3repE0EEENS1_30default_config_static_selectorELNS0_4arch9wavefront6targetE0EEEvT1_.num_agpr, 0
	.set _ZN7rocprim17ROCPRIM_400000_NS6detail17trampoline_kernelINS0_14default_configENS1_27scan_by_key_config_selectorIssEEZZNS1_16scan_by_key_implILNS1_25lookback_scan_determinismE0ELb0ES3_N6thrust23THRUST_200600_302600_NS6detail15normal_iteratorINS9_10device_ptrIsEEEENS9_18transform_iteratorINS9_6negateIsEESE_NS9_11use_defaultESI_EESE_sNS9_4plusIvEENS9_8equal_toIvEEsEE10hipError_tPvRmT2_T3_T4_T5_mT6_T7_P12ihipStream_tbENKUlT_T0_E_clISt17integral_constantIbLb1EES14_EEDaSZ_S10_EUlSZ_E_NS1_11comp_targetILNS1_3genE10ELNS1_11target_archE1200ELNS1_3gpuE4ELNS1_3repE0EEENS1_30default_config_static_selectorELNS0_4arch9wavefront6targetE0EEEvT1_.numbered_sgpr, 0
	.set _ZN7rocprim17ROCPRIM_400000_NS6detail17trampoline_kernelINS0_14default_configENS1_27scan_by_key_config_selectorIssEEZZNS1_16scan_by_key_implILNS1_25lookback_scan_determinismE0ELb0ES3_N6thrust23THRUST_200600_302600_NS6detail15normal_iteratorINS9_10device_ptrIsEEEENS9_18transform_iteratorINS9_6negateIsEESE_NS9_11use_defaultESI_EESE_sNS9_4plusIvEENS9_8equal_toIvEEsEE10hipError_tPvRmT2_T3_T4_T5_mT6_T7_P12ihipStream_tbENKUlT_T0_E_clISt17integral_constantIbLb1EES14_EEDaSZ_S10_EUlSZ_E_NS1_11comp_targetILNS1_3genE10ELNS1_11target_archE1200ELNS1_3gpuE4ELNS1_3repE0EEENS1_30default_config_static_selectorELNS0_4arch9wavefront6targetE0EEEvT1_.num_named_barrier, 0
	.set _ZN7rocprim17ROCPRIM_400000_NS6detail17trampoline_kernelINS0_14default_configENS1_27scan_by_key_config_selectorIssEEZZNS1_16scan_by_key_implILNS1_25lookback_scan_determinismE0ELb0ES3_N6thrust23THRUST_200600_302600_NS6detail15normal_iteratorINS9_10device_ptrIsEEEENS9_18transform_iteratorINS9_6negateIsEESE_NS9_11use_defaultESI_EESE_sNS9_4plusIvEENS9_8equal_toIvEEsEE10hipError_tPvRmT2_T3_T4_T5_mT6_T7_P12ihipStream_tbENKUlT_T0_E_clISt17integral_constantIbLb1EES14_EEDaSZ_S10_EUlSZ_E_NS1_11comp_targetILNS1_3genE10ELNS1_11target_archE1200ELNS1_3gpuE4ELNS1_3repE0EEENS1_30default_config_static_selectorELNS0_4arch9wavefront6targetE0EEEvT1_.private_seg_size, 0
	.set _ZN7rocprim17ROCPRIM_400000_NS6detail17trampoline_kernelINS0_14default_configENS1_27scan_by_key_config_selectorIssEEZZNS1_16scan_by_key_implILNS1_25lookback_scan_determinismE0ELb0ES3_N6thrust23THRUST_200600_302600_NS6detail15normal_iteratorINS9_10device_ptrIsEEEENS9_18transform_iteratorINS9_6negateIsEESE_NS9_11use_defaultESI_EESE_sNS9_4plusIvEENS9_8equal_toIvEEsEE10hipError_tPvRmT2_T3_T4_T5_mT6_T7_P12ihipStream_tbENKUlT_T0_E_clISt17integral_constantIbLb1EES14_EEDaSZ_S10_EUlSZ_E_NS1_11comp_targetILNS1_3genE10ELNS1_11target_archE1200ELNS1_3gpuE4ELNS1_3repE0EEENS1_30default_config_static_selectorELNS0_4arch9wavefront6targetE0EEEvT1_.uses_vcc, 0
	.set _ZN7rocprim17ROCPRIM_400000_NS6detail17trampoline_kernelINS0_14default_configENS1_27scan_by_key_config_selectorIssEEZZNS1_16scan_by_key_implILNS1_25lookback_scan_determinismE0ELb0ES3_N6thrust23THRUST_200600_302600_NS6detail15normal_iteratorINS9_10device_ptrIsEEEENS9_18transform_iteratorINS9_6negateIsEESE_NS9_11use_defaultESI_EESE_sNS9_4plusIvEENS9_8equal_toIvEEsEE10hipError_tPvRmT2_T3_T4_T5_mT6_T7_P12ihipStream_tbENKUlT_T0_E_clISt17integral_constantIbLb1EES14_EEDaSZ_S10_EUlSZ_E_NS1_11comp_targetILNS1_3genE10ELNS1_11target_archE1200ELNS1_3gpuE4ELNS1_3repE0EEENS1_30default_config_static_selectorELNS0_4arch9wavefront6targetE0EEEvT1_.uses_flat_scratch, 0
	.set _ZN7rocprim17ROCPRIM_400000_NS6detail17trampoline_kernelINS0_14default_configENS1_27scan_by_key_config_selectorIssEEZZNS1_16scan_by_key_implILNS1_25lookback_scan_determinismE0ELb0ES3_N6thrust23THRUST_200600_302600_NS6detail15normal_iteratorINS9_10device_ptrIsEEEENS9_18transform_iteratorINS9_6negateIsEESE_NS9_11use_defaultESI_EESE_sNS9_4plusIvEENS9_8equal_toIvEEsEE10hipError_tPvRmT2_T3_T4_T5_mT6_T7_P12ihipStream_tbENKUlT_T0_E_clISt17integral_constantIbLb1EES14_EEDaSZ_S10_EUlSZ_E_NS1_11comp_targetILNS1_3genE10ELNS1_11target_archE1200ELNS1_3gpuE4ELNS1_3repE0EEENS1_30default_config_static_selectorELNS0_4arch9wavefront6targetE0EEEvT1_.has_dyn_sized_stack, 0
	.set _ZN7rocprim17ROCPRIM_400000_NS6detail17trampoline_kernelINS0_14default_configENS1_27scan_by_key_config_selectorIssEEZZNS1_16scan_by_key_implILNS1_25lookback_scan_determinismE0ELb0ES3_N6thrust23THRUST_200600_302600_NS6detail15normal_iteratorINS9_10device_ptrIsEEEENS9_18transform_iteratorINS9_6negateIsEESE_NS9_11use_defaultESI_EESE_sNS9_4plusIvEENS9_8equal_toIvEEsEE10hipError_tPvRmT2_T3_T4_T5_mT6_T7_P12ihipStream_tbENKUlT_T0_E_clISt17integral_constantIbLb1EES14_EEDaSZ_S10_EUlSZ_E_NS1_11comp_targetILNS1_3genE10ELNS1_11target_archE1200ELNS1_3gpuE4ELNS1_3repE0EEENS1_30default_config_static_selectorELNS0_4arch9wavefront6targetE0EEEvT1_.has_recursion, 0
	.set _ZN7rocprim17ROCPRIM_400000_NS6detail17trampoline_kernelINS0_14default_configENS1_27scan_by_key_config_selectorIssEEZZNS1_16scan_by_key_implILNS1_25lookback_scan_determinismE0ELb0ES3_N6thrust23THRUST_200600_302600_NS6detail15normal_iteratorINS9_10device_ptrIsEEEENS9_18transform_iteratorINS9_6negateIsEESE_NS9_11use_defaultESI_EESE_sNS9_4plusIvEENS9_8equal_toIvEEsEE10hipError_tPvRmT2_T3_T4_T5_mT6_T7_P12ihipStream_tbENKUlT_T0_E_clISt17integral_constantIbLb1EES14_EEDaSZ_S10_EUlSZ_E_NS1_11comp_targetILNS1_3genE10ELNS1_11target_archE1200ELNS1_3gpuE4ELNS1_3repE0EEENS1_30default_config_static_selectorELNS0_4arch9wavefront6targetE0EEEvT1_.has_indirect_call, 0
	.section	.AMDGPU.csdata,"",@progbits
; Kernel info:
; codeLenInByte = 0
; TotalNumSgprs: 0
; NumVgprs: 0
; ScratchSize: 0
; MemoryBound: 0
; FloatMode: 240
; IeeeMode: 1
; LDSByteSize: 0 bytes/workgroup (compile time only)
; SGPRBlocks: 0
; VGPRBlocks: 0
; NumSGPRsForWavesPerEU: 1
; NumVGPRsForWavesPerEU: 1
; NamedBarCnt: 0
; Occupancy: 16
; WaveLimiterHint : 0
; COMPUTE_PGM_RSRC2:SCRATCH_EN: 0
; COMPUTE_PGM_RSRC2:USER_SGPR: 2
; COMPUTE_PGM_RSRC2:TRAP_HANDLER: 0
; COMPUTE_PGM_RSRC2:TGID_X_EN: 1
; COMPUTE_PGM_RSRC2:TGID_Y_EN: 0
; COMPUTE_PGM_RSRC2:TGID_Z_EN: 0
; COMPUTE_PGM_RSRC2:TIDIG_COMP_CNT: 0
	.section	.text._ZN7rocprim17ROCPRIM_400000_NS6detail17trampoline_kernelINS0_14default_configENS1_27scan_by_key_config_selectorIssEEZZNS1_16scan_by_key_implILNS1_25lookback_scan_determinismE0ELb0ES3_N6thrust23THRUST_200600_302600_NS6detail15normal_iteratorINS9_10device_ptrIsEEEENS9_18transform_iteratorINS9_6negateIsEESE_NS9_11use_defaultESI_EESE_sNS9_4plusIvEENS9_8equal_toIvEEsEE10hipError_tPvRmT2_T3_T4_T5_mT6_T7_P12ihipStream_tbENKUlT_T0_E_clISt17integral_constantIbLb1EES14_EEDaSZ_S10_EUlSZ_E_NS1_11comp_targetILNS1_3genE9ELNS1_11target_archE1100ELNS1_3gpuE3ELNS1_3repE0EEENS1_30default_config_static_selectorELNS0_4arch9wavefront6targetE0EEEvT1_,"axG",@progbits,_ZN7rocprim17ROCPRIM_400000_NS6detail17trampoline_kernelINS0_14default_configENS1_27scan_by_key_config_selectorIssEEZZNS1_16scan_by_key_implILNS1_25lookback_scan_determinismE0ELb0ES3_N6thrust23THRUST_200600_302600_NS6detail15normal_iteratorINS9_10device_ptrIsEEEENS9_18transform_iteratorINS9_6negateIsEESE_NS9_11use_defaultESI_EESE_sNS9_4plusIvEENS9_8equal_toIvEEsEE10hipError_tPvRmT2_T3_T4_T5_mT6_T7_P12ihipStream_tbENKUlT_T0_E_clISt17integral_constantIbLb1EES14_EEDaSZ_S10_EUlSZ_E_NS1_11comp_targetILNS1_3genE9ELNS1_11target_archE1100ELNS1_3gpuE3ELNS1_3repE0EEENS1_30default_config_static_selectorELNS0_4arch9wavefront6targetE0EEEvT1_,comdat
	.protected	_ZN7rocprim17ROCPRIM_400000_NS6detail17trampoline_kernelINS0_14default_configENS1_27scan_by_key_config_selectorIssEEZZNS1_16scan_by_key_implILNS1_25lookback_scan_determinismE0ELb0ES3_N6thrust23THRUST_200600_302600_NS6detail15normal_iteratorINS9_10device_ptrIsEEEENS9_18transform_iteratorINS9_6negateIsEESE_NS9_11use_defaultESI_EESE_sNS9_4plusIvEENS9_8equal_toIvEEsEE10hipError_tPvRmT2_T3_T4_T5_mT6_T7_P12ihipStream_tbENKUlT_T0_E_clISt17integral_constantIbLb1EES14_EEDaSZ_S10_EUlSZ_E_NS1_11comp_targetILNS1_3genE9ELNS1_11target_archE1100ELNS1_3gpuE3ELNS1_3repE0EEENS1_30default_config_static_selectorELNS0_4arch9wavefront6targetE0EEEvT1_ ; -- Begin function _ZN7rocprim17ROCPRIM_400000_NS6detail17trampoline_kernelINS0_14default_configENS1_27scan_by_key_config_selectorIssEEZZNS1_16scan_by_key_implILNS1_25lookback_scan_determinismE0ELb0ES3_N6thrust23THRUST_200600_302600_NS6detail15normal_iteratorINS9_10device_ptrIsEEEENS9_18transform_iteratorINS9_6negateIsEESE_NS9_11use_defaultESI_EESE_sNS9_4plusIvEENS9_8equal_toIvEEsEE10hipError_tPvRmT2_T3_T4_T5_mT6_T7_P12ihipStream_tbENKUlT_T0_E_clISt17integral_constantIbLb1EES14_EEDaSZ_S10_EUlSZ_E_NS1_11comp_targetILNS1_3genE9ELNS1_11target_archE1100ELNS1_3gpuE3ELNS1_3repE0EEENS1_30default_config_static_selectorELNS0_4arch9wavefront6targetE0EEEvT1_
	.globl	_ZN7rocprim17ROCPRIM_400000_NS6detail17trampoline_kernelINS0_14default_configENS1_27scan_by_key_config_selectorIssEEZZNS1_16scan_by_key_implILNS1_25lookback_scan_determinismE0ELb0ES3_N6thrust23THRUST_200600_302600_NS6detail15normal_iteratorINS9_10device_ptrIsEEEENS9_18transform_iteratorINS9_6negateIsEESE_NS9_11use_defaultESI_EESE_sNS9_4plusIvEENS9_8equal_toIvEEsEE10hipError_tPvRmT2_T3_T4_T5_mT6_T7_P12ihipStream_tbENKUlT_T0_E_clISt17integral_constantIbLb1EES14_EEDaSZ_S10_EUlSZ_E_NS1_11comp_targetILNS1_3genE9ELNS1_11target_archE1100ELNS1_3gpuE3ELNS1_3repE0EEENS1_30default_config_static_selectorELNS0_4arch9wavefront6targetE0EEEvT1_
	.p2align	8
	.type	_ZN7rocprim17ROCPRIM_400000_NS6detail17trampoline_kernelINS0_14default_configENS1_27scan_by_key_config_selectorIssEEZZNS1_16scan_by_key_implILNS1_25lookback_scan_determinismE0ELb0ES3_N6thrust23THRUST_200600_302600_NS6detail15normal_iteratorINS9_10device_ptrIsEEEENS9_18transform_iteratorINS9_6negateIsEESE_NS9_11use_defaultESI_EESE_sNS9_4plusIvEENS9_8equal_toIvEEsEE10hipError_tPvRmT2_T3_T4_T5_mT6_T7_P12ihipStream_tbENKUlT_T0_E_clISt17integral_constantIbLb1EES14_EEDaSZ_S10_EUlSZ_E_NS1_11comp_targetILNS1_3genE9ELNS1_11target_archE1100ELNS1_3gpuE3ELNS1_3repE0EEENS1_30default_config_static_selectorELNS0_4arch9wavefront6targetE0EEEvT1_,@function
_ZN7rocprim17ROCPRIM_400000_NS6detail17trampoline_kernelINS0_14default_configENS1_27scan_by_key_config_selectorIssEEZZNS1_16scan_by_key_implILNS1_25lookback_scan_determinismE0ELb0ES3_N6thrust23THRUST_200600_302600_NS6detail15normal_iteratorINS9_10device_ptrIsEEEENS9_18transform_iteratorINS9_6negateIsEESE_NS9_11use_defaultESI_EESE_sNS9_4plusIvEENS9_8equal_toIvEEsEE10hipError_tPvRmT2_T3_T4_T5_mT6_T7_P12ihipStream_tbENKUlT_T0_E_clISt17integral_constantIbLb1EES14_EEDaSZ_S10_EUlSZ_E_NS1_11comp_targetILNS1_3genE9ELNS1_11target_archE1100ELNS1_3gpuE3ELNS1_3repE0EEENS1_30default_config_static_selectorELNS0_4arch9wavefront6targetE0EEEvT1_: ; @_ZN7rocprim17ROCPRIM_400000_NS6detail17trampoline_kernelINS0_14default_configENS1_27scan_by_key_config_selectorIssEEZZNS1_16scan_by_key_implILNS1_25lookback_scan_determinismE0ELb0ES3_N6thrust23THRUST_200600_302600_NS6detail15normal_iteratorINS9_10device_ptrIsEEEENS9_18transform_iteratorINS9_6negateIsEESE_NS9_11use_defaultESI_EESE_sNS9_4plusIvEENS9_8equal_toIvEEsEE10hipError_tPvRmT2_T3_T4_T5_mT6_T7_P12ihipStream_tbENKUlT_T0_E_clISt17integral_constantIbLb1EES14_EEDaSZ_S10_EUlSZ_E_NS1_11comp_targetILNS1_3genE9ELNS1_11target_archE1100ELNS1_3gpuE3ELNS1_3repE0EEENS1_30default_config_static_selectorELNS0_4arch9wavefront6targetE0EEEvT1_
; %bb.0:
	.section	.rodata,"a",@progbits
	.p2align	6, 0x0
	.amdhsa_kernel _ZN7rocprim17ROCPRIM_400000_NS6detail17trampoline_kernelINS0_14default_configENS1_27scan_by_key_config_selectorIssEEZZNS1_16scan_by_key_implILNS1_25lookback_scan_determinismE0ELb0ES3_N6thrust23THRUST_200600_302600_NS6detail15normal_iteratorINS9_10device_ptrIsEEEENS9_18transform_iteratorINS9_6negateIsEESE_NS9_11use_defaultESI_EESE_sNS9_4plusIvEENS9_8equal_toIvEEsEE10hipError_tPvRmT2_T3_T4_T5_mT6_T7_P12ihipStream_tbENKUlT_T0_E_clISt17integral_constantIbLb1EES14_EEDaSZ_S10_EUlSZ_E_NS1_11comp_targetILNS1_3genE9ELNS1_11target_archE1100ELNS1_3gpuE3ELNS1_3repE0EEENS1_30default_config_static_selectorELNS0_4arch9wavefront6targetE0EEEvT1_
		.amdhsa_group_segment_fixed_size 0
		.amdhsa_private_segment_fixed_size 0
		.amdhsa_kernarg_size 120
		.amdhsa_user_sgpr_count 2
		.amdhsa_user_sgpr_dispatch_ptr 0
		.amdhsa_user_sgpr_queue_ptr 0
		.amdhsa_user_sgpr_kernarg_segment_ptr 1
		.amdhsa_user_sgpr_dispatch_id 0
		.amdhsa_user_sgpr_kernarg_preload_length 0
		.amdhsa_user_sgpr_kernarg_preload_offset 0
		.amdhsa_user_sgpr_private_segment_size 0
		.amdhsa_wavefront_size32 1
		.amdhsa_uses_dynamic_stack 0
		.amdhsa_enable_private_segment 0
		.amdhsa_system_sgpr_workgroup_id_x 1
		.amdhsa_system_sgpr_workgroup_id_y 0
		.amdhsa_system_sgpr_workgroup_id_z 0
		.amdhsa_system_sgpr_workgroup_info 0
		.amdhsa_system_vgpr_workitem_id 0
		.amdhsa_next_free_vgpr 1
		.amdhsa_next_free_sgpr 1
		.amdhsa_named_barrier_count 0
		.amdhsa_reserve_vcc 0
		.amdhsa_float_round_mode_32 0
		.amdhsa_float_round_mode_16_64 0
		.amdhsa_float_denorm_mode_32 3
		.amdhsa_float_denorm_mode_16_64 3
		.amdhsa_fp16_overflow 0
		.amdhsa_memory_ordered 1
		.amdhsa_forward_progress 1
		.amdhsa_inst_pref_size 0
		.amdhsa_round_robin_scheduling 0
		.amdhsa_exception_fp_ieee_invalid_op 0
		.amdhsa_exception_fp_denorm_src 0
		.amdhsa_exception_fp_ieee_div_zero 0
		.amdhsa_exception_fp_ieee_overflow 0
		.amdhsa_exception_fp_ieee_underflow 0
		.amdhsa_exception_fp_ieee_inexact 0
		.amdhsa_exception_int_div_zero 0
	.end_amdhsa_kernel
	.section	.text._ZN7rocprim17ROCPRIM_400000_NS6detail17trampoline_kernelINS0_14default_configENS1_27scan_by_key_config_selectorIssEEZZNS1_16scan_by_key_implILNS1_25lookback_scan_determinismE0ELb0ES3_N6thrust23THRUST_200600_302600_NS6detail15normal_iteratorINS9_10device_ptrIsEEEENS9_18transform_iteratorINS9_6negateIsEESE_NS9_11use_defaultESI_EESE_sNS9_4plusIvEENS9_8equal_toIvEEsEE10hipError_tPvRmT2_T3_T4_T5_mT6_T7_P12ihipStream_tbENKUlT_T0_E_clISt17integral_constantIbLb1EES14_EEDaSZ_S10_EUlSZ_E_NS1_11comp_targetILNS1_3genE9ELNS1_11target_archE1100ELNS1_3gpuE3ELNS1_3repE0EEENS1_30default_config_static_selectorELNS0_4arch9wavefront6targetE0EEEvT1_,"axG",@progbits,_ZN7rocprim17ROCPRIM_400000_NS6detail17trampoline_kernelINS0_14default_configENS1_27scan_by_key_config_selectorIssEEZZNS1_16scan_by_key_implILNS1_25lookback_scan_determinismE0ELb0ES3_N6thrust23THRUST_200600_302600_NS6detail15normal_iteratorINS9_10device_ptrIsEEEENS9_18transform_iteratorINS9_6negateIsEESE_NS9_11use_defaultESI_EESE_sNS9_4plusIvEENS9_8equal_toIvEEsEE10hipError_tPvRmT2_T3_T4_T5_mT6_T7_P12ihipStream_tbENKUlT_T0_E_clISt17integral_constantIbLb1EES14_EEDaSZ_S10_EUlSZ_E_NS1_11comp_targetILNS1_3genE9ELNS1_11target_archE1100ELNS1_3gpuE3ELNS1_3repE0EEENS1_30default_config_static_selectorELNS0_4arch9wavefront6targetE0EEEvT1_,comdat
.Lfunc_end981:
	.size	_ZN7rocprim17ROCPRIM_400000_NS6detail17trampoline_kernelINS0_14default_configENS1_27scan_by_key_config_selectorIssEEZZNS1_16scan_by_key_implILNS1_25lookback_scan_determinismE0ELb0ES3_N6thrust23THRUST_200600_302600_NS6detail15normal_iteratorINS9_10device_ptrIsEEEENS9_18transform_iteratorINS9_6negateIsEESE_NS9_11use_defaultESI_EESE_sNS9_4plusIvEENS9_8equal_toIvEEsEE10hipError_tPvRmT2_T3_T4_T5_mT6_T7_P12ihipStream_tbENKUlT_T0_E_clISt17integral_constantIbLb1EES14_EEDaSZ_S10_EUlSZ_E_NS1_11comp_targetILNS1_3genE9ELNS1_11target_archE1100ELNS1_3gpuE3ELNS1_3repE0EEENS1_30default_config_static_selectorELNS0_4arch9wavefront6targetE0EEEvT1_, .Lfunc_end981-_ZN7rocprim17ROCPRIM_400000_NS6detail17trampoline_kernelINS0_14default_configENS1_27scan_by_key_config_selectorIssEEZZNS1_16scan_by_key_implILNS1_25lookback_scan_determinismE0ELb0ES3_N6thrust23THRUST_200600_302600_NS6detail15normal_iteratorINS9_10device_ptrIsEEEENS9_18transform_iteratorINS9_6negateIsEESE_NS9_11use_defaultESI_EESE_sNS9_4plusIvEENS9_8equal_toIvEEsEE10hipError_tPvRmT2_T3_T4_T5_mT6_T7_P12ihipStream_tbENKUlT_T0_E_clISt17integral_constantIbLb1EES14_EEDaSZ_S10_EUlSZ_E_NS1_11comp_targetILNS1_3genE9ELNS1_11target_archE1100ELNS1_3gpuE3ELNS1_3repE0EEENS1_30default_config_static_selectorELNS0_4arch9wavefront6targetE0EEEvT1_
                                        ; -- End function
	.set _ZN7rocprim17ROCPRIM_400000_NS6detail17trampoline_kernelINS0_14default_configENS1_27scan_by_key_config_selectorIssEEZZNS1_16scan_by_key_implILNS1_25lookback_scan_determinismE0ELb0ES3_N6thrust23THRUST_200600_302600_NS6detail15normal_iteratorINS9_10device_ptrIsEEEENS9_18transform_iteratorINS9_6negateIsEESE_NS9_11use_defaultESI_EESE_sNS9_4plusIvEENS9_8equal_toIvEEsEE10hipError_tPvRmT2_T3_T4_T5_mT6_T7_P12ihipStream_tbENKUlT_T0_E_clISt17integral_constantIbLb1EES14_EEDaSZ_S10_EUlSZ_E_NS1_11comp_targetILNS1_3genE9ELNS1_11target_archE1100ELNS1_3gpuE3ELNS1_3repE0EEENS1_30default_config_static_selectorELNS0_4arch9wavefront6targetE0EEEvT1_.num_vgpr, 0
	.set _ZN7rocprim17ROCPRIM_400000_NS6detail17trampoline_kernelINS0_14default_configENS1_27scan_by_key_config_selectorIssEEZZNS1_16scan_by_key_implILNS1_25lookback_scan_determinismE0ELb0ES3_N6thrust23THRUST_200600_302600_NS6detail15normal_iteratorINS9_10device_ptrIsEEEENS9_18transform_iteratorINS9_6negateIsEESE_NS9_11use_defaultESI_EESE_sNS9_4plusIvEENS9_8equal_toIvEEsEE10hipError_tPvRmT2_T3_T4_T5_mT6_T7_P12ihipStream_tbENKUlT_T0_E_clISt17integral_constantIbLb1EES14_EEDaSZ_S10_EUlSZ_E_NS1_11comp_targetILNS1_3genE9ELNS1_11target_archE1100ELNS1_3gpuE3ELNS1_3repE0EEENS1_30default_config_static_selectorELNS0_4arch9wavefront6targetE0EEEvT1_.num_agpr, 0
	.set _ZN7rocprim17ROCPRIM_400000_NS6detail17trampoline_kernelINS0_14default_configENS1_27scan_by_key_config_selectorIssEEZZNS1_16scan_by_key_implILNS1_25lookback_scan_determinismE0ELb0ES3_N6thrust23THRUST_200600_302600_NS6detail15normal_iteratorINS9_10device_ptrIsEEEENS9_18transform_iteratorINS9_6negateIsEESE_NS9_11use_defaultESI_EESE_sNS9_4plusIvEENS9_8equal_toIvEEsEE10hipError_tPvRmT2_T3_T4_T5_mT6_T7_P12ihipStream_tbENKUlT_T0_E_clISt17integral_constantIbLb1EES14_EEDaSZ_S10_EUlSZ_E_NS1_11comp_targetILNS1_3genE9ELNS1_11target_archE1100ELNS1_3gpuE3ELNS1_3repE0EEENS1_30default_config_static_selectorELNS0_4arch9wavefront6targetE0EEEvT1_.numbered_sgpr, 0
	.set _ZN7rocprim17ROCPRIM_400000_NS6detail17trampoline_kernelINS0_14default_configENS1_27scan_by_key_config_selectorIssEEZZNS1_16scan_by_key_implILNS1_25lookback_scan_determinismE0ELb0ES3_N6thrust23THRUST_200600_302600_NS6detail15normal_iteratorINS9_10device_ptrIsEEEENS9_18transform_iteratorINS9_6negateIsEESE_NS9_11use_defaultESI_EESE_sNS9_4plusIvEENS9_8equal_toIvEEsEE10hipError_tPvRmT2_T3_T4_T5_mT6_T7_P12ihipStream_tbENKUlT_T0_E_clISt17integral_constantIbLb1EES14_EEDaSZ_S10_EUlSZ_E_NS1_11comp_targetILNS1_3genE9ELNS1_11target_archE1100ELNS1_3gpuE3ELNS1_3repE0EEENS1_30default_config_static_selectorELNS0_4arch9wavefront6targetE0EEEvT1_.num_named_barrier, 0
	.set _ZN7rocprim17ROCPRIM_400000_NS6detail17trampoline_kernelINS0_14default_configENS1_27scan_by_key_config_selectorIssEEZZNS1_16scan_by_key_implILNS1_25lookback_scan_determinismE0ELb0ES3_N6thrust23THRUST_200600_302600_NS6detail15normal_iteratorINS9_10device_ptrIsEEEENS9_18transform_iteratorINS9_6negateIsEESE_NS9_11use_defaultESI_EESE_sNS9_4plusIvEENS9_8equal_toIvEEsEE10hipError_tPvRmT2_T3_T4_T5_mT6_T7_P12ihipStream_tbENKUlT_T0_E_clISt17integral_constantIbLb1EES14_EEDaSZ_S10_EUlSZ_E_NS1_11comp_targetILNS1_3genE9ELNS1_11target_archE1100ELNS1_3gpuE3ELNS1_3repE0EEENS1_30default_config_static_selectorELNS0_4arch9wavefront6targetE0EEEvT1_.private_seg_size, 0
	.set _ZN7rocprim17ROCPRIM_400000_NS6detail17trampoline_kernelINS0_14default_configENS1_27scan_by_key_config_selectorIssEEZZNS1_16scan_by_key_implILNS1_25lookback_scan_determinismE0ELb0ES3_N6thrust23THRUST_200600_302600_NS6detail15normal_iteratorINS9_10device_ptrIsEEEENS9_18transform_iteratorINS9_6negateIsEESE_NS9_11use_defaultESI_EESE_sNS9_4plusIvEENS9_8equal_toIvEEsEE10hipError_tPvRmT2_T3_T4_T5_mT6_T7_P12ihipStream_tbENKUlT_T0_E_clISt17integral_constantIbLb1EES14_EEDaSZ_S10_EUlSZ_E_NS1_11comp_targetILNS1_3genE9ELNS1_11target_archE1100ELNS1_3gpuE3ELNS1_3repE0EEENS1_30default_config_static_selectorELNS0_4arch9wavefront6targetE0EEEvT1_.uses_vcc, 0
	.set _ZN7rocprim17ROCPRIM_400000_NS6detail17trampoline_kernelINS0_14default_configENS1_27scan_by_key_config_selectorIssEEZZNS1_16scan_by_key_implILNS1_25lookback_scan_determinismE0ELb0ES3_N6thrust23THRUST_200600_302600_NS6detail15normal_iteratorINS9_10device_ptrIsEEEENS9_18transform_iteratorINS9_6negateIsEESE_NS9_11use_defaultESI_EESE_sNS9_4plusIvEENS9_8equal_toIvEEsEE10hipError_tPvRmT2_T3_T4_T5_mT6_T7_P12ihipStream_tbENKUlT_T0_E_clISt17integral_constantIbLb1EES14_EEDaSZ_S10_EUlSZ_E_NS1_11comp_targetILNS1_3genE9ELNS1_11target_archE1100ELNS1_3gpuE3ELNS1_3repE0EEENS1_30default_config_static_selectorELNS0_4arch9wavefront6targetE0EEEvT1_.uses_flat_scratch, 0
	.set _ZN7rocprim17ROCPRIM_400000_NS6detail17trampoline_kernelINS0_14default_configENS1_27scan_by_key_config_selectorIssEEZZNS1_16scan_by_key_implILNS1_25lookback_scan_determinismE0ELb0ES3_N6thrust23THRUST_200600_302600_NS6detail15normal_iteratorINS9_10device_ptrIsEEEENS9_18transform_iteratorINS9_6negateIsEESE_NS9_11use_defaultESI_EESE_sNS9_4plusIvEENS9_8equal_toIvEEsEE10hipError_tPvRmT2_T3_T4_T5_mT6_T7_P12ihipStream_tbENKUlT_T0_E_clISt17integral_constantIbLb1EES14_EEDaSZ_S10_EUlSZ_E_NS1_11comp_targetILNS1_3genE9ELNS1_11target_archE1100ELNS1_3gpuE3ELNS1_3repE0EEENS1_30default_config_static_selectorELNS0_4arch9wavefront6targetE0EEEvT1_.has_dyn_sized_stack, 0
	.set _ZN7rocprim17ROCPRIM_400000_NS6detail17trampoline_kernelINS0_14default_configENS1_27scan_by_key_config_selectorIssEEZZNS1_16scan_by_key_implILNS1_25lookback_scan_determinismE0ELb0ES3_N6thrust23THRUST_200600_302600_NS6detail15normal_iteratorINS9_10device_ptrIsEEEENS9_18transform_iteratorINS9_6negateIsEESE_NS9_11use_defaultESI_EESE_sNS9_4plusIvEENS9_8equal_toIvEEsEE10hipError_tPvRmT2_T3_T4_T5_mT6_T7_P12ihipStream_tbENKUlT_T0_E_clISt17integral_constantIbLb1EES14_EEDaSZ_S10_EUlSZ_E_NS1_11comp_targetILNS1_3genE9ELNS1_11target_archE1100ELNS1_3gpuE3ELNS1_3repE0EEENS1_30default_config_static_selectorELNS0_4arch9wavefront6targetE0EEEvT1_.has_recursion, 0
	.set _ZN7rocprim17ROCPRIM_400000_NS6detail17trampoline_kernelINS0_14default_configENS1_27scan_by_key_config_selectorIssEEZZNS1_16scan_by_key_implILNS1_25lookback_scan_determinismE0ELb0ES3_N6thrust23THRUST_200600_302600_NS6detail15normal_iteratorINS9_10device_ptrIsEEEENS9_18transform_iteratorINS9_6negateIsEESE_NS9_11use_defaultESI_EESE_sNS9_4plusIvEENS9_8equal_toIvEEsEE10hipError_tPvRmT2_T3_T4_T5_mT6_T7_P12ihipStream_tbENKUlT_T0_E_clISt17integral_constantIbLb1EES14_EEDaSZ_S10_EUlSZ_E_NS1_11comp_targetILNS1_3genE9ELNS1_11target_archE1100ELNS1_3gpuE3ELNS1_3repE0EEENS1_30default_config_static_selectorELNS0_4arch9wavefront6targetE0EEEvT1_.has_indirect_call, 0
	.section	.AMDGPU.csdata,"",@progbits
; Kernel info:
; codeLenInByte = 0
; TotalNumSgprs: 0
; NumVgprs: 0
; ScratchSize: 0
; MemoryBound: 0
; FloatMode: 240
; IeeeMode: 1
; LDSByteSize: 0 bytes/workgroup (compile time only)
; SGPRBlocks: 0
; VGPRBlocks: 0
; NumSGPRsForWavesPerEU: 1
; NumVGPRsForWavesPerEU: 1
; NamedBarCnt: 0
; Occupancy: 16
; WaveLimiterHint : 0
; COMPUTE_PGM_RSRC2:SCRATCH_EN: 0
; COMPUTE_PGM_RSRC2:USER_SGPR: 2
; COMPUTE_PGM_RSRC2:TRAP_HANDLER: 0
; COMPUTE_PGM_RSRC2:TGID_X_EN: 1
; COMPUTE_PGM_RSRC2:TGID_Y_EN: 0
; COMPUTE_PGM_RSRC2:TGID_Z_EN: 0
; COMPUTE_PGM_RSRC2:TIDIG_COMP_CNT: 0
	.section	.text._ZN7rocprim17ROCPRIM_400000_NS6detail17trampoline_kernelINS0_14default_configENS1_27scan_by_key_config_selectorIssEEZZNS1_16scan_by_key_implILNS1_25lookback_scan_determinismE0ELb0ES3_N6thrust23THRUST_200600_302600_NS6detail15normal_iteratorINS9_10device_ptrIsEEEENS9_18transform_iteratorINS9_6negateIsEESE_NS9_11use_defaultESI_EESE_sNS9_4plusIvEENS9_8equal_toIvEEsEE10hipError_tPvRmT2_T3_T4_T5_mT6_T7_P12ihipStream_tbENKUlT_T0_E_clISt17integral_constantIbLb1EES14_EEDaSZ_S10_EUlSZ_E_NS1_11comp_targetILNS1_3genE8ELNS1_11target_archE1030ELNS1_3gpuE2ELNS1_3repE0EEENS1_30default_config_static_selectorELNS0_4arch9wavefront6targetE0EEEvT1_,"axG",@progbits,_ZN7rocprim17ROCPRIM_400000_NS6detail17trampoline_kernelINS0_14default_configENS1_27scan_by_key_config_selectorIssEEZZNS1_16scan_by_key_implILNS1_25lookback_scan_determinismE0ELb0ES3_N6thrust23THRUST_200600_302600_NS6detail15normal_iteratorINS9_10device_ptrIsEEEENS9_18transform_iteratorINS9_6negateIsEESE_NS9_11use_defaultESI_EESE_sNS9_4plusIvEENS9_8equal_toIvEEsEE10hipError_tPvRmT2_T3_T4_T5_mT6_T7_P12ihipStream_tbENKUlT_T0_E_clISt17integral_constantIbLb1EES14_EEDaSZ_S10_EUlSZ_E_NS1_11comp_targetILNS1_3genE8ELNS1_11target_archE1030ELNS1_3gpuE2ELNS1_3repE0EEENS1_30default_config_static_selectorELNS0_4arch9wavefront6targetE0EEEvT1_,comdat
	.protected	_ZN7rocprim17ROCPRIM_400000_NS6detail17trampoline_kernelINS0_14default_configENS1_27scan_by_key_config_selectorIssEEZZNS1_16scan_by_key_implILNS1_25lookback_scan_determinismE0ELb0ES3_N6thrust23THRUST_200600_302600_NS6detail15normal_iteratorINS9_10device_ptrIsEEEENS9_18transform_iteratorINS9_6negateIsEESE_NS9_11use_defaultESI_EESE_sNS9_4plusIvEENS9_8equal_toIvEEsEE10hipError_tPvRmT2_T3_T4_T5_mT6_T7_P12ihipStream_tbENKUlT_T0_E_clISt17integral_constantIbLb1EES14_EEDaSZ_S10_EUlSZ_E_NS1_11comp_targetILNS1_3genE8ELNS1_11target_archE1030ELNS1_3gpuE2ELNS1_3repE0EEENS1_30default_config_static_selectorELNS0_4arch9wavefront6targetE0EEEvT1_ ; -- Begin function _ZN7rocprim17ROCPRIM_400000_NS6detail17trampoline_kernelINS0_14default_configENS1_27scan_by_key_config_selectorIssEEZZNS1_16scan_by_key_implILNS1_25lookback_scan_determinismE0ELb0ES3_N6thrust23THRUST_200600_302600_NS6detail15normal_iteratorINS9_10device_ptrIsEEEENS9_18transform_iteratorINS9_6negateIsEESE_NS9_11use_defaultESI_EESE_sNS9_4plusIvEENS9_8equal_toIvEEsEE10hipError_tPvRmT2_T3_T4_T5_mT6_T7_P12ihipStream_tbENKUlT_T0_E_clISt17integral_constantIbLb1EES14_EEDaSZ_S10_EUlSZ_E_NS1_11comp_targetILNS1_3genE8ELNS1_11target_archE1030ELNS1_3gpuE2ELNS1_3repE0EEENS1_30default_config_static_selectorELNS0_4arch9wavefront6targetE0EEEvT1_
	.globl	_ZN7rocprim17ROCPRIM_400000_NS6detail17trampoline_kernelINS0_14default_configENS1_27scan_by_key_config_selectorIssEEZZNS1_16scan_by_key_implILNS1_25lookback_scan_determinismE0ELb0ES3_N6thrust23THRUST_200600_302600_NS6detail15normal_iteratorINS9_10device_ptrIsEEEENS9_18transform_iteratorINS9_6negateIsEESE_NS9_11use_defaultESI_EESE_sNS9_4plusIvEENS9_8equal_toIvEEsEE10hipError_tPvRmT2_T3_T4_T5_mT6_T7_P12ihipStream_tbENKUlT_T0_E_clISt17integral_constantIbLb1EES14_EEDaSZ_S10_EUlSZ_E_NS1_11comp_targetILNS1_3genE8ELNS1_11target_archE1030ELNS1_3gpuE2ELNS1_3repE0EEENS1_30default_config_static_selectorELNS0_4arch9wavefront6targetE0EEEvT1_
	.p2align	8
	.type	_ZN7rocprim17ROCPRIM_400000_NS6detail17trampoline_kernelINS0_14default_configENS1_27scan_by_key_config_selectorIssEEZZNS1_16scan_by_key_implILNS1_25lookback_scan_determinismE0ELb0ES3_N6thrust23THRUST_200600_302600_NS6detail15normal_iteratorINS9_10device_ptrIsEEEENS9_18transform_iteratorINS9_6negateIsEESE_NS9_11use_defaultESI_EESE_sNS9_4plusIvEENS9_8equal_toIvEEsEE10hipError_tPvRmT2_T3_T4_T5_mT6_T7_P12ihipStream_tbENKUlT_T0_E_clISt17integral_constantIbLb1EES14_EEDaSZ_S10_EUlSZ_E_NS1_11comp_targetILNS1_3genE8ELNS1_11target_archE1030ELNS1_3gpuE2ELNS1_3repE0EEENS1_30default_config_static_selectorELNS0_4arch9wavefront6targetE0EEEvT1_,@function
_ZN7rocprim17ROCPRIM_400000_NS6detail17trampoline_kernelINS0_14default_configENS1_27scan_by_key_config_selectorIssEEZZNS1_16scan_by_key_implILNS1_25lookback_scan_determinismE0ELb0ES3_N6thrust23THRUST_200600_302600_NS6detail15normal_iteratorINS9_10device_ptrIsEEEENS9_18transform_iteratorINS9_6negateIsEESE_NS9_11use_defaultESI_EESE_sNS9_4plusIvEENS9_8equal_toIvEEsEE10hipError_tPvRmT2_T3_T4_T5_mT6_T7_P12ihipStream_tbENKUlT_T0_E_clISt17integral_constantIbLb1EES14_EEDaSZ_S10_EUlSZ_E_NS1_11comp_targetILNS1_3genE8ELNS1_11target_archE1030ELNS1_3gpuE2ELNS1_3repE0EEENS1_30default_config_static_selectorELNS0_4arch9wavefront6targetE0EEEvT1_: ; @_ZN7rocprim17ROCPRIM_400000_NS6detail17trampoline_kernelINS0_14default_configENS1_27scan_by_key_config_selectorIssEEZZNS1_16scan_by_key_implILNS1_25lookback_scan_determinismE0ELb0ES3_N6thrust23THRUST_200600_302600_NS6detail15normal_iteratorINS9_10device_ptrIsEEEENS9_18transform_iteratorINS9_6negateIsEESE_NS9_11use_defaultESI_EESE_sNS9_4plusIvEENS9_8equal_toIvEEsEE10hipError_tPvRmT2_T3_T4_T5_mT6_T7_P12ihipStream_tbENKUlT_T0_E_clISt17integral_constantIbLb1EES14_EEDaSZ_S10_EUlSZ_E_NS1_11comp_targetILNS1_3genE8ELNS1_11target_archE1030ELNS1_3gpuE2ELNS1_3repE0EEENS1_30default_config_static_selectorELNS0_4arch9wavefront6targetE0EEEvT1_
; %bb.0:
	.section	.rodata,"a",@progbits
	.p2align	6, 0x0
	.amdhsa_kernel _ZN7rocprim17ROCPRIM_400000_NS6detail17trampoline_kernelINS0_14default_configENS1_27scan_by_key_config_selectorIssEEZZNS1_16scan_by_key_implILNS1_25lookback_scan_determinismE0ELb0ES3_N6thrust23THRUST_200600_302600_NS6detail15normal_iteratorINS9_10device_ptrIsEEEENS9_18transform_iteratorINS9_6negateIsEESE_NS9_11use_defaultESI_EESE_sNS9_4plusIvEENS9_8equal_toIvEEsEE10hipError_tPvRmT2_T3_T4_T5_mT6_T7_P12ihipStream_tbENKUlT_T0_E_clISt17integral_constantIbLb1EES14_EEDaSZ_S10_EUlSZ_E_NS1_11comp_targetILNS1_3genE8ELNS1_11target_archE1030ELNS1_3gpuE2ELNS1_3repE0EEENS1_30default_config_static_selectorELNS0_4arch9wavefront6targetE0EEEvT1_
		.amdhsa_group_segment_fixed_size 0
		.amdhsa_private_segment_fixed_size 0
		.amdhsa_kernarg_size 120
		.amdhsa_user_sgpr_count 2
		.amdhsa_user_sgpr_dispatch_ptr 0
		.amdhsa_user_sgpr_queue_ptr 0
		.amdhsa_user_sgpr_kernarg_segment_ptr 1
		.amdhsa_user_sgpr_dispatch_id 0
		.amdhsa_user_sgpr_kernarg_preload_length 0
		.amdhsa_user_sgpr_kernarg_preload_offset 0
		.amdhsa_user_sgpr_private_segment_size 0
		.amdhsa_wavefront_size32 1
		.amdhsa_uses_dynamic_stack 0
		.amdhsa_enable_private_segment 0
		.amdhsa_system_sgpr_workgroup_id_x 1
		.amdhsa_system_sgpr_workgroup_id_y 0
		.amdhsa_system_sgpr_workgroup_id_z 0
		.amdhsa_system_sgpr_workgroup_info 0
		.amdhsa_system_vgpr_workitem_id 0
		.amdhsa_next_free_vgpr 1
		.amdhsa_next_free_sgpr 1
		.amdhsa_named_barrier_count 0
		.amdhsa_reserve_vcc 0
		.amdhsa_float_round_mode_32 0
		.amdhsa_float_round_mode_16_64 0
		.amdhsa_float_denorm_mode_32 3
		.amdhsa_float_denorm_mode_16_64 3
		.amdhsa_fp16_overflow 0
		.amdhsa_memory_ordered 1
		.amdhsa_forward_progress 1
		.amdhsa_inst_pref_size 0
		.amdhsa_round_robin_scheduling 0
		.amdhsa_exception_fp_ieee_invalid_op 0
		.amdhsa_exception_fp_denorm_src 0
		.amdhsa_exception_fp_ieee_div_zero 0
		.amdhsa_exception_fp_ieee_overflow 0
		.amdhsa_exception_fp_ieee_underflow 0
		.amdhsa_exception_fp_ieee_inexact 0
		.amdhsa_exception_int_div_zero 0
	.end_amdhsa_kernel
	.section	.text._ZN7rocprim17ROCPRIM_400000_NS6detail17trampoline_kernelINS0_14default_configENS1_27scan_by_key_config_selectorIssEEZZNS1_16scan_by_key_implILNS1_25lookback_scan_determinismE0ELb0ES3_N6thrust23THRUST_200600_302600_NS6detail15normal_iteratorINS9_10device_ptrIsEEEENS9_18transform_iteratorINS9_6negateIsEESE_NS9_11use_defaultESI_EESE_sNS9_4plusIvEENS9_8equal_toIvEEsEE10hipError_tPvRmT2_T3_T4_T5_mT6_T7_P12ihipStream_tbENKUlT_T0_E_clISt17integral_constantIbLb1EES14_EEDaSZ_S10_EUlSZ_E_NS1_11comp_targetILNS1_3genE8ELNS1_11target_archE1030ELNS1_3gpuE2ELNS1_3repE0EEENS1_30default_config_static_selectorELNS0_4arch9wavefront6targetE0EEEvT1_,"axG",@progbits,_ZN7rocprim17ROCPRIM_400000_NS6detail17trampoline_kernelINS0_14default_configENS1_27scan_by_key_config_selectorIssEEZZNS1_16scan_by_key_implILNS1_25lookback_scan_determinismE0ELb0ES3_N6thrust23THRUST_200600_302600_NS6detail15normal_iteratorINS9_10device_ptrIsEEEENS9_18transform_iteratorINS9_6negateIsEESE_NS9_11use_defaultESI_EESE_sNS9_4plusIvEENS9_8equal_toIvEEsEE10hipError_tPvRmT2_T3_T4_T5_mT6_T7_P12ihipStream_tbENKUlT_T0_E_clISt17integral_constantIbLb1EES14_EEDaSZ_S10_EUlSZ_E_NS1_11comp_targetILNS1_3genE8ELNS1_11target_archE1030ELNS1_3gpuE2ELNS1_3repE0EEENS1_30default_config_static_selectorELNS0_4arch9wavefront6targetE0EEEvT1_,comdat
.Lfunc_end982:
	.size	_ZN7rocprim17ROCPRIM_400000_NS6detail17trampoline_kernelINS0_14default_configENS1_27scan_by_key_config_selectorIssEEZZNS1_16scan_by_key_implILNS1_25lookback_scan_determinismE0ELb0ES3_N6thrust23THRUST_200600_302600_NS6detail15normal_iteratorINS9_10device_ptrIsEEEENS9_18transform_iteratorINS9_6negateIsEESE_NS9_11use_defaultESI_EESE_sNS9_4plusIvEENS9_8equal_toIvEEsEE10hipError_tPvRmT2_T3_T4_T5_mT6_T7_P12ihipStream_tbENKUlT_T0_E_clISt17integral_constantIbLb1EES14_EEDaSZ_S10_EUlSZ_E_NS1_11comp_targetILNS1_3genE8ELNS1_11target_archE1030ELNS1_3gpuE2ELNS1_3repE0EEENS1_30default_config_static_selectorELNS0_4arch9wavefront6targetE0EEEvT1_, .Lfunc_end982-_ZN7rocprim17ROCPRIM_400000_NS6detail17trampoline_kernelINS0_14default_configENS1_27scan_by_key_config_selectorIssEEZZNS1_16scan_by_key_implILNS1_25lookback_scan_determinismE0ELb0ES3_N6thrust23THRUST_200600_302600_NS6detail15normal_iteratorINS9_10device_ptrIsEEEENS9_18transform_iteratorINS9_6negateIsEESE_NS9_11use_defaultESI_EESE_sNS9_4plusIvEENS9_8equal_toIvEEsEE10hipError_tPvRmT2_T3_T4_T5_mT6_T7_P12ihipStream_tbENKUlT_T0_E_clISt17integral_constantIbLb1EES14_EEDaSZ_S10_EUlSZ_E_NS1_11comp_targetILNS1_3genE8ELNS1_11target_archE1030ELNS1_3gpuE2ELNS1_3repE0EEENS1_30default_config_static_selectorELNS0_4arch9wavefront6targetE0EEEvT1_
                                        ; -- End function
	.set _ZN7rocprim17ROCPRIM_400000_NS6detail17trampoline_kernelINS0_14default_configENS1_27scan_by_key_config_selectorIssEEZZNS1_16scan_by_key_implILNS1_25lookback_scan_determinismE0ELb0ES3_N6thrust23THRUST_200600_302600_NS6detail15normal_iteratorINS9_10device_ptrIsEEEENS9_18transform_iteratorINS9_6negateIsEESE_NS9_11use_defaultESI_EESE_sNS9_4plusIvEENS9_8equal_toIvEEsEE10hipError_tPvRmT2_T3_T4_T5_mT6_T7_P12ihipStream_tbENKUlT_T0_E_clISt17integral_constantIbLb1EES14_EEDaSZ_S10_EUlSZ_E_NS1_11comp_targetILNS1_3genE8ELNS1_11target_archE1030ELNS1_3gpuE2ELNS1_3repE0EEENS1_30default_config_static_selectorELNS0_4arch9wavefront6targetE0EEEvT1_.num_vgpr, 0
	.set _ZN7rocprim17ROCPRIM_400000_NS6detail17trampoline_kernelINS0_14default_configENS1_27scan_by_key_config_selectorIssEEZZNS1_16scan_by_key_implILNS1_25lookback_scan_determinismE0ELb0ES3_N6thrust23THRUST_200600_302600_NS6detail15normal_iteratorINS9_10device_ptrIsEEEENS9_18transform_iteratorINS9_6negateIsEESE_NS9_11use_defaultESI_EESE_sNS9_4plusIvEENS9_8equal_toIvEEsEE10hipError_tPvRmT2_T3_T4_T5_mT6_T7_P12ihipStream_tbENKUlT_T0_E_clISt17integral_constantIbLb1EES14_EEDaSZ_S10_EUlSZ_E_NS1_11comp_targetILNS1_3genE8ELNS1_11target_archE1030ELNS1_3gpuE2ELNS1_3repE0EEENS1_30default_config_static_selectorELNS0_4arch9wavefront6targetE0EEEvT1_.num_agpr, 0
	.set _ZN7rocprim17ROCPRIM_400000_NS6detail17trampoline_kernelINS0_14default_configENS1_27scan_by_key_config_selectorIssEEZZNS1_16scan_by_key_implILNS1_25lookback_scan_determinismE0ELb0ES3_N6thrust23THRUST_200600_302600_NS6detail15normal_iteratorINS9_10device_ptrIsEEEENS9_18transform_iteratorINS9_6negateIsEESE_NS9_11use_defaultESI_EESE_sNS9_4plusIvEENS9_8equal_toIvEEsEE10hipError_tPvRmT2_T3_T4_T5_mT6_T7_P12ihipStream_tbENKUlT_T0_E_clISt17integral_constantIbLb1EES14_EEDaSZ_S10_EUlSZ_E_NS1_11comp_targetILNS1_3genE8ELNS1_11target_archE1030ELNS1_3gpuE2ELNS1_3repE0EEENS1_30default_config_static_selectorELNS0_4arch9wavefront6targetE0EEEvT1_.numbered_sgpr, 0
	.set _ZN7rocprim17ROCPRIM_400000_NS6detail17trampoline_kernelINS0_14default_configENS1_27scan_by_key_config_selectorIssEEZZNS1_16scan_by_key_implILNS1_25lookback_scan_determinismE0ELb0ES3_N6thrust23THRUST_200600_302600_NS6detail15normal_iteratorINS9_10device_ptrIsEEEENS9_18transform_iteratorINS9_6negateIsEESE_NS9_11use_defaultESI_EESE_sNS9_4plusIvEENS9_8equal_toIvEEsEE10hipError_tPvRmT2_T3_T4_T5_mT6_T7_P12ihipStream_tbENKUlT_T0_E_clISt17integral_constantIbLb1EES14_EEDaSZ_S10_EUlSZ_E_NS1_11comp_targetILNS1_3genE8ELNS1_11target_archE1030ELNS1_3gpuE2ELNS1_3repE0EEENS1_30default_config_static_selectorELNS0_4arch9wavefront6targetE0EEEvT1_.num_named_barrier, 0
	.set _ZN7rocprim17ROCPRIM_400000_NS6detail17trampoline_kernelINS0_14default_configENS1_27scan_by_key_config_selectorIssEEZZNS1_16scan_by_key_implILNS1_25lookback_scan_determinismE0ELb0ES3_N6thrust23THRUST_200600_302600_NS6detail15normal_iteratorINS9_10device_ptrIsEEEENS9_18transform_iteratorINS9_6negateIsEESE_NS9_11use_defaultESI_EESE_sNS9_4plusIvEENS9_8equal_toIvEEsEE10hipError_tPvRmT2_T3_T4_T5_mT6_T7_P12ihipStream_tbENKUlT_T0_E_clISt17integral_constantIbLb1EES14_EEDaSZ_S10_EUlSZ_E_NS1_11comp_targetILNS1_3genE8ELNS1_11target_archE1030ELNS1_3gpuE2ELNS1_3repE0EEENS1_30default_config_static_selectorELNS0_4arch9wavefront6targetE0EEEvT1_.private_seg_size, 0
	.set _ZN7rocprim17ROCPRIM_400000_NS6detail17trampoline_kernelINS0_14default_configENS1_27scan_by_key_config_selectorIssEEZZNS1_16scan_by_key_implILNS1_25lookback_scan_determinismE0ELb0ES3_N6thrust23THRUST_200600_302600_NS6detail15normal_iteratorINS9_10device_ptrIsEEEENS9_18transform_iteratorINS9_6negateIsEESE_NS9_11use_defaultESI_EESE_sNS9_4plusIvEENS9_8equal_toIvEEsEE10hipError_tPvRmT2_T3_T4_T5_mT6_T7_P12ihipStream_tbENKUlT_T0_E_clISt17integral_constantIbLb1EES14_EEDaSZ_S10_EUlSZ_E_NS1_11comp_targetILNS1_3genE8ELNS1_11target_archE1030ELNS1_3gpuE2ELNS1_3repE0EEENS1_30default_config_static_selectorELNS0_4arch9wavefront6targetE0EEEvT1_.uses_vcc, 0
	.set _ZN7rocprim17ROCPRIM_400000_NS6detail17trampoline_kernelINS0_14default_configENS1_27scan_by_key_config_selectorIssEEZZNS1_16scan_by_key_implILNS1_25lookback_scan_determinismE0ELb0ES3_N6thrust23THRUST_200600_302600_NS6detail15normal_iteratorINS9_10device_ptrIsEEEENS9_18transform_iteratorINS9_6negateIsEESE_NS9_11use_defaultESI_EESE_sNS9_4plusIvEENS9_8equal_toIvEEsEE10hipError_tPvRmT2_T3_T4_T5_mT6_T7_P12ihipStream_tbENKUlT_T0_E_clISt17integral_constantIbLb1EES14_EEDaSZ_S10_EUlSZ_E_NS1_11comp_targetILNS1_3genE8ELNS1_11target_archE1030ELNS1_3gpuE2ELNS1_3repE0EEENS1_30default_config_static_selectorELNS0_4arch9wavefront6targetE0EEEvT1_.uses_flat_scratch, 0
	.set _ZN7rocprim17ROCPRIM_400000_NS6detail17trampoline_kernelINS0_14default_configENS1_27scan_by_key_config_selectorIssEEZZNS1_16scan_by_key_implILNS1_25lookback_scan_determinismE0ELb0ES3_N6thrust23THRUST_200600_302600_NS6detail15normal_iteratorINS9_10device_ptrIsEEEENS9_18transform_iteratorINS9_6negateIsEESE_NS9_11use_defaultESI_EESE_sNS9_4plusIvEENS9_8equal_toIvEEsEE10hipError_tPvRmT2_T3_T4_T5_mT6_T7_P12ihipStream_tbENKUlT_T0_E_clISt17integral_constantIbLb1EES14_EEDaSZ_S10_EUlSZ_E_NS1_11comp_targetILNS1_3genE8ELNS1_11target_archE1030ELNS1_3gpuE2ELNS1_3repE0EEENS1_30default_config_static_selectorELNS0_4arch9wavefront6targetE0EEEvT1_.has_dyn_sized_stack, 0
	.set _ZN7rocprim17ROCPRIM_400000_NS6detail17trampoline_kernelINS0_14default_configENS1_27scan_by_key_config_selectorIssEEZZNS1_16scan_by_key_implILNS1_25lookback_scan_determinismE0ELb0ES3_N6thrust23THRUST_200600_302600_NS6detail15normal_iteratorINS9_10device_ptrIsEEEENS9_18transform_iteratorINS9_6negateIsEESE_NS9_11use_defaultESI_EESE_sNS9_4plusIvEENS9_8equal_toIvEEsEE10hipError_tPvRmT2_T3_T4_T5_mT6_T7_P12ihipStream_tbENKUlT_T0_E_clISt17integral_constantIbLb1EES14_EEDaSZ_S10_EUlSZ_E_NS1_11comp_targetILNS1_3genE8ELNS1_11target_archE1030ELNS1_3gpuE2ELNS1_3repE0EEENS1_30default_config_static_selectorELNS0_4arch9wavefront6targetE0EEEvT1_.has_recursion, 0
	.set _ZN7rocprim17ROCPRIM_400000_NS6detail17trampoline_kernelINS0_14default_configENS1_27scan_by_key_config_selectorIssEEZZNS1_16scan_by_key_implILNS1_25lookback_scan_determinismE0ELb0ES3_N6thrust23THRUST_200600_302600_NS6detail15normal_iteratorINS9_10device_ptrIsEEEENS9_18transform_iteratorINS9_6negateIsEESE_NS9_11use_defaultESI_EESE_sNS9_4plusIvEENS9_8equal_toIvEEsEE10hipError_tPvRmT2_T3_T4_T5_mT6_T7_P12ihipStream_tbENKUlT_T0_E_clISt17integral_constantIbLb1EES14_EEDaSZ_S10_EUlSZ_E_NS1_11comp_targetILNS1_3genE8ELNS1_11target_archE1030ELNS1_3gpuE2ELNS1_3repE0EEENS1_30default_config_static_selectorELNS0_4arch9wavefront6targetE0EEEvT1_.has_indirect_call, 0
	.section	.AMDGPU.csdata,"",@progbits
; Kernel info:
; codeLenInByte = 0
; TotalNumSgprs: 0
; NumVgprs: 0
; ScratchSize: 0
; MemoryBound: 0
; FloatMode: 240
; IeeeMode: 1
; LDSByteSize: 0 bytes/workgroup (compile time only)
; SGPRBlocks: 0
; VGPRBlocks: 0
; NumSGPRsForWavesPerEU: 1
; NumVGPRsForWavesPerEU: 1
; NamedBarCnt: 0
; Occupancy: 16
; WaveLimiterHint : 0
; COMPUTE_PGM_RSRC2:SCRATCH_EN: 0
; COMPUTE_PGM_RSRC2:USER_SGPR: 2
; COMPUTE_PGM_RSRC2:TRAP_HANDLER: 0
; COMPUTE_PGM_RSRC2:TGID_X_EN: 1
; COMPUTE_PGM_RSRC2:TGID_Y_EN: 0
; COMPUTE_PGM_RSRC2:TGID_Z_EN: 0
; COMPUTE_PGM_RSRC2:TIDIG_COMP_CNT: 0
	.section	.text._ZN7rocprim17ROCPRIM_400000_NS6detail17trampoline_kernelINS0_14default_configENS1_27scan_by_key_config_selectorIssEEZZNS1_16scan_by_key_implILNS1_25lookback_scan_determinismE0ELb0ES3_N6thrust23THRUST_200600_302600_NS6detail15normal_iteratorINS9_10device_ptrIsEEEENS9_18transform_iteratorINS9_6negateIsEESE_NS9_11use_defaultESI_EESE_sNS9_4plusIvEENS9_8equal_toIvEEsEE10hipError_tPvRmT2_T3_T4_T5_mT6_T7_P12ihipStream_tbENKUlT_T0_E_clISt17integral_constantIbLb1EES13_IbLb0EEEEDaSZ_S10_EUlSZ_E_NS1_11comp_targetILNS1_3genE0ELNS1_11target_archE4294967295ELNS1_3gpuE0ELNS1_3repE0EEENS1_30default_config_static_selectorELNS0_4arch9wavefront6targetE0EEEvT1_,"axG",@progbits,_ZN7rocprim17ROCPRIM_400000_NS6detail17trampoline_kernelINS0_14default_configENS1_27scan_by_key_config_selectorIssEEZZNS1_16scan_by_key_implILNS1_25lookback_scan_determinismE0ELb0ES3_N6thrust23THRUST_200600_302600_NS6detail15normal_iteratorINS9_10device_ptrIsEEEENS9_18transform_iteratorINS9_6negateIsEESE_NS9_11use_defaultESI_EESE_sNS9_4plusIvEENS9_8equal_toIvEEsEE10hipError_tPvRmT2_T3_T4_T5_mT6_T7_P12ihipStream_tbENKUlT_T0_E_clISt17integral_constantIbLb1EES13_IbLb0EEEEDaSZ_S10_EUlSZ_E_NS1_11comp_targetILNS1_3genE0ELNS1_11target_archE4294967295ELNS1_3gpuE0ELNS1_3repE0EEENS1_30default_config_static_selectorELNS0_4arch9wavefront6targetE0EEEvT1_,comdat
	.protected	_ZN7rocprim17ROCPRIM_400000_NS6detail17trampoline_kernelINS0_14default_configENS1_27scan_by_key_config_selectorIssEEZZNS1_16scan_by_key_implILNS1_25lookback_scan_determinismE0ELb0ES3_N6thrust23THRUST_200600_302600_NS6detail15normal_iteratorINS9_10device_ptrIsEEEENS9_18transform_iteratorINS9_6negateIsEESE_NS9_11use_defaultESI_EESE_sNS9_4plusIvEENS9_8equal_toIvEEsEE10hipError_tPvRmT2_T3_T4_T5_mT6_T7_P12ihipStream_tbENKUlT_T0_E_clISt17integral_constantIbLb1EES13_IbLb0EEEEDaSZ_S10_EUlSZ_E_NS1_11comp_targetILNS1_3genE0ELNS1_11target_archE4294967295ELNS1_3gpuE0ELNS1_3repE0EEENS1_30default_config_static_selectorELNS0_4arch9wavefront6targetE0EEEvT1_ ; -- Begin function _ZN7rocprim17ROCPRIM_400000_NS6detail17trampoline_kernelINS0_14default_configENS1_27scan_by_key_config_selectorIssEEZZNS1_16scan_by_key_implILNS1_25lookback_scan_determinismE0ELb0ES3_N6thrust23THRUST_200600_302600_NS6detail15normal_iteratorINS9_10device_ptrIsEEEENS9_18transform_iteratorINS9_6negateIsEESE_NS9_11use_defaultESI_EESE_sNS9_4plusIvEENS9_8equal_toIvEEsEE10hipError_tPvRmT2_T3_T4_T5_mT6_T7_P12ihipStream_tbENKUlT_T0_E_clISt17integral_constantIbLb1EES13_IbLb0EEEEDaSZ_S10_EUlSZ_E_NS1_11comp_targetILNS1_3genE0ELNS1_11target_archE4294967295ELNS1_3gpuE0ELNS1_3repE0EEENS1_30default_config_static_selectorELNS0_4arch9wavefront6targetE0EEEvT1_
	.globl	_ZN7rocprim17ROCPRIM_400000_NS6detail17trampoline_kernelINS0_14default_configENS1_27scan_by_key_config_selectorIssEEZZNS1_16scan_by_key_implILNS1_25lookback_scan_determinismE0ELb0ES3_N6thrust23THRUST_200600_302600_NS6detail15normal_iteratorINS9_10device_ptrIsEEEENS9_18transform_iteratorINS9_6negateIsEESE_NS9_11use_defaultESI_EESE_sNS9_4plusIvEENS9_8equal_toIvEEsEE10hipError_tPvRmT2_T3_T4_T5_mT6_T7_P12ihipStream_tbENKUlT_T0_E_clISt17integral_constantIbLb1EES13_IbLb0EEEEDaSZ_S10_EUlSZ_E_NS1_11comp_targetILNS1_3genE0ELNS1_11target_archE4294967295ELNS1_3gpuE0ELNS1_3repE0EEENS1_30default_config_static_selectorELNS0_4arch9wavefront6targetE0EEEvT1_
	.p2align	8
	.type	_ZN7rocprim17ROCPRIM_400000_NS6detail17trampoline_kernelINS0_14default_configENS1_27scan_by_key_config_selectorIssEEZZNS1_16scan_by_key_implILNS1_25lookback_scan_determinismE0ELb0ES3_N6thrust23THRUST_200600_302600_NS6detail15normal_iteratorINS9_10device_ptrIsEEEENS9_18transform_iteratorINS9_6negateIsEESE_NS9_11use_defaultESI_EESE_sNS9_4plusIvEENS9_8equal_toIvEEsEE10hipError_tPvRmT2_T3_T4_T5_mT6_T7_P12ihipStream_tbENKUlT_T0_E_clISt17integral_constantIbLb1EES13_IbLb0EEEEDaSZ_S10_EUlSZ_E_NS1_11comp_targetILNS1_3genE0ELNS1_11target_archE4294967295ELNS1_3gpuE0ELNS1_3repE0EEENS1_30default_config_static_selectorELNS0_4arch9wavefront6targetE0EEEvT1_,@function
_ZN7rocprim17ROCPRIM_400000_NS6detail17trampoline_kernelINS0_14default_configENS1_27scan_by_key_config_selectorIssEEZZNS1_16scan_by_key_implILNS1_25lookback_scan_determinismE0ELb0ES3_N6thrust23THRUST_200600_302600_NS6detail15normal_iteratorINS9_10device_ptrIsEEEENS9_18transform_iteratorINS9_6negateIsEESE_NS9_11use_defaultESI_EESE_sNS9_4plusIvEENS9_8equal_toIvEEsEE10hipError_tPvRmT2_T3_T4_T5_mT6_T7_P12ihipStream_tbENKUlT_T0_E_clISt17integral_constantIbLb1EES13_IbLb0EEEEDaSZ_S10_EUlSZ_E_NS1_11comp_targetILNS1_3genE0ELNS1_11target_archE4294967295ELNS1_3gpuE0ELNS1_3repE0EEENS1_30default_config_static_selectorELNS0_4arch9wavefront6targetE0EEEvT1_: ; @_ZN7rocprim17ROCPRIM_400000_NS6detail17trampoline_kernelINS0_14default_configENS1_27scan_by_key_config_selectorIssEEZZNS1_16scan_by_key_implILNS1_25lookback_scan_determinismE0ELb0ES3_N6thrust23THRUST_200600_302600_NS6detail15normal_iteratorINS9_10device_ptrIsEEEENS9_18transform_iteratorINS9_6negateIsEESE_NS9_11use_defaultESI_EESE_sNS9_4plusIvEENS9_8equal_toIvEEsEE10hipError_tPvRmT2_T3_T4_T5_mT6_T7_P12ihipStream_tbENKUlT_T0_E_clISt17integral_constantIbLb1EES13_IbLb0EEEEDaSZ_S10_EUlSZ_E_NS1_11comp_targetILNS1_3genE0ELNS1_11target_archE4294967295ELNS1_3gpuE0ELNS1_3repE0EEENS1_30default_config_static_selectorELNS0_4arch9wavefront6targetE0EEEvT1_
; %bb.0:
	s_endpgm
	.section	.rodata,"a",@progbits
	.p2align	6, 0x0
	.amdhsa_kernel _ZN7rocprim17ROCPRIM_400000_NS6detail17trampoline_kernelINS0_14default_configENS1_27scan_by_key_config_selectorIssEEZZNS1_16scan_by_key_implILNS1_25lookback_scan_determinismE0ELb0ES3_N6thrust23THRUST_200600_302600_NS6detail15normal_iteratorINS9_10device_ptrIsEEEENS9_18transform_iteratorINS9_6negateIsEESE_NS9_11use_defaultESI_EESE_sNS9_4plusIvEENS9_8equal_toIvEEsEE10hipError_tPvRmT2_T3_T4_T5_mT6_T7_P12ihipStream_tbENKUlT_T0_E_clISt17integral_constantIbLb1EES13_IbLb0EEEEDaSZ_S10_EUlSZ_E_NS1_11comp_targetILNS1_3genE0ELNS1_11target_archE4294967295ELNS1_3gpuE0ELNS1_3repE0EEENS1_30default_config_static_selectorELNS0_4arch9wavefront6targetE0EEEvT1_
		.amdhsa_group_segment_fixed_size 0
		.amdhsa_private_segment_fixed_size 0
		.amdhsa_kernarg_size 120
		.amdhsa_user_sgpr_count 2
		.amdhsa_user_sgpr_dispatch_ptr 0
		.amdhsa_user_sgpr_queue_ptr 0
		.amdhsa_user_sgpr_kernarg_segment_ptr 1
		.amdhsa_user_sgpr_dispatch_id 0
		.amdhsa_user_sgpr_kernarg_preload_length 0
		.amdhsa_user_sgpr_kernarg_preload_offset 0
		.amdhsa_user_sgpr_private_segment_size 0
		.amdhsa_wavefront_size32 1
		.amdhsa_uses_dynamic_stack 0
		.amdhsa_enable_private_segment 0
		.amdhsa_system_sgpr_workgroup_id_x 1
		.amdhsa_system_sgpr_workgroup_id_y 0
		.amdhsa_system_sgpr_workgroup_id_z 0
		.amdhsa_system_sgpr_workgroup_info 0
		.amdhsa_system_vgpr_workitem_id 0
		.amdhsa_next_free_vgpr 1
		.amdhsa_next_free_sgpr 1
		.amdhsa_named_barrier_count 0
		.amdhsa_reserve_vcc 0
		.amdhsa_float_round_mode_32 0
		.amdhsa_float_round_mode_16_64 0
		.amdhsa_float_denorm_mode_32 3
		.amdhsa_float_denorm_mode_16_64 3
		.amdhsa_fp16_overflow 0
		.amdhsa_memory_ordered 1
		.amdhsa_forward_progress 1
		.amdhsa_inst_pref_size 1
		.amdhsa_round_robin_scheduling 0
		.amdhsa_exception_fp_ieee_invalid_op 0
		.amdhsa_exception_fp_denorm_src 0
		.amdhsa_exception_fp_ieee_div_zero 0
		.amdhsa_exception_fp_ieee_overflow 0
		.amdhsa_exception_fp_ieee_underflow 0
		.amdhsa_exception_fp_ieee_inexact 0
		.amdhsa_exception_int_div_zero 0
	.end_amdhsa_kernel
	.section	.text._ZN7rocprim17ROCPRIM_400000_NS6detail17trampoline_kernelINS0_14default_configENS1_27scan_by_key_config_selectorIssEEZZNS1_16scan_by_key_implILNS1_25lookback_scan_determinismE0ELb0ES3_N6thrust23THRUST_200600_302600_NS6detail15normal_iteratorINS9_10device_ptrIsEEEENS9_18transform_iteratorINS9_6negateIsEESE_NS9_11use_defaultESI_EESE_sNS9_4plusIvEENS9_8equal_toIvEEsEE10hipError_tPvRmT2_T3_T4_T5_mT6_T7_P12ihipStream_tbENKUlT_T0_E_clISt17integral_constantIbLb1EES13_IbLb0EEEEDaSZ_S10_EUlSZ_E_NS1_11comp_targetILNS1_3genE0ELNS1_11target_archE4294967295ELNS1_3gpuE0ELNS1_3repE0EEENS1_30default_config_static_selectorELNS0_4arch9wavefront6targetE0EEEvT1_,"axG",@progbits,_ZN7rocprim17ROCPRIM_400000_NS6detail17trampoline_kernelINS0_14default_configENS1_27scan_by_key_config_selectorIssEEZZNS1_16scan_by_key_implILNS1_25lookback_scan_determinismE0ELb0ES3_N6thrust23THRUST_200600_302600_NS6detail15normal_iteratorINS9_10device_ptrIsEEEENS9_18transform_iteratorINS9_6negateIsEESE_NS9_11use_defaultESI_EESE_sNS9_4plusIvEENS9_8equal_toIvEEsEE10hipError_tPvRmT2_T3_T4_T5_mT6_T7_P12ihipStream_tbENKUlT_T0_E_clISt17integral_constantIbLb1EES13_IbLb0EEEEDaSZ_S10_EUlSZ_E_NS1_11comp_targetILNS1_3genE0ELNS1_11target_archE4294967295ELNS1_3gpuE0ELNS1_3repE0EEENS1_30default_config_static_selectorELNS0_4arch9wavefront6targetE0EEEvT1_,comdat
.Lfunc_end983:
	.size	_ZN7rocprim17ROCPRIM_400000_NS6detail17trampoline_kernelINS0_14default_configENS1_27scan_by_key_config_selectorIssEEZZNS1_16scan_by_key_implILNS1_25lookback_scan_determinismE0ELb0ES3_N6thrust23THRUST_200600_302600_NS6detail15normal_iteratorINS9_10device_ptrIsEEEENS9_18transform_iteratorINS9_6negateIsEESE_NS9_11use_defaultESI_EESE_sNS9_4plusIvEENS9_8equal_toIvEEsEE10hipError_tPvRmT2_T3_T4_T5_mT6_T7_P12ihipStream_tbENKUlT_T0_E_clISt17integral_constantIbLb1EES13_IbLb0EEEEDaSZ_S10_EUlSZ_E_NS1_11comp_targetILNS1_3genE0ELNS1_11target_archE4294967295ELNS1_3gpuE0ELNS1_3repE0EEENS1_30default_config_static_selectorELNS0_4arch9wavefront6targetE0EEEvT1_, .Lfunc_end983-_ZN7rocprim17ROCPRIM_400000_NS6detail17trampoline_kernelINS0_14default_configENS1_27scan_by_key_config_selectorIssEEZZNS1_16scan_by_key_implILNS1_25lookback_scan_determinismE0ELb0ES3_N6thrust23THRUST_200600_302600_NS6detail15normal_iteratorINS9_10device_ptrIsEEEENS9_18transform_iteratorINS9_6negateIsEESE_NS9_11use_defaultESI_EESE_sNS9_4plusIvEENS9_8equal_toIvEEsEE10hipError_tPvRmT2_T3_T4_T5_mT6_T7_P12ihipStream_tbENKUlT_T0_E_clISt17integral_constantIbLb1EES13_IbLb0EEEEDaSZ_S10_EUlSZ_E_NS1_11comp_targetILNS1_3genE0ELNS1_11target_archE4294967295ELNS1_3gpuE0ELNS1_3repE0EEENS1_30default_config_static_selectorELNS0_4arch9wavefront6targetE0EEEvT1_
                                        ; -- End function
	.set _ZN7rocprim17ROCPRIM_400000_NS6detail17trampoline_kernelINS0_14default_configENS1_27scan_by_key_config_selectorIssEEZZNS1_16scan_by_key_implILNS1_25lookback_scan_determinismE0ELb0ES3_N6thrust23THRUST_200600_302600_NS6detail15normal_iteratorINS9_10device_ptrIsEEEENS9_18transform_iteratorINS9_6negateIsEESE_NS9_11use_defaultESI_EESE_sNS9_4plusIvEENS9_8equal_toIvEEsEE10hipError_tPvRmT2_T3_T4_T5_mT6_T7_P12ihipStream_tbENKUlT_T0_E_clISt17integral_constantIbLb1EES13_IbLb0EEEEDaSZ_S10_EUlSZ_E_NS1_11comp_targetILNS1_3genE0ELNS1_11target_archE4294967295ELNS1_3gpuE0ELNS1_3repE0EEENS1_30default_config_static_selectorELNS0_4arch9wavefront6targetE0EEEvT1_.num_vgpr, 0
	.set _ZN7rocprim17ROCPRIM_400000_NS6detail17trampoline_kernelINS0_14default_configENS1_27scan_by_key_config_selectorIssEEZZNS1_16scan_by_key_implILNS1_25lookback_scan_determinismE0ELb0ES3_N6thrust23THRUST_200600_302600_NS6detail15normal_iteratorINS9_10device_ptrIsEEEENS9_18transform_iteratorINS9_6negateIsEESE_NS9_11use_defaultESI_EESE_sNS9_4plusIvEENS9_8equal_toIvEEsEE10hipError_tPvRmT2_T3_T4_T5_mT6_T7_P12ihipStream_tbENKUlT_T0_E_clISt17integral_constantIbLb1EES13_IbLb0EEEEDaSZ_S10_EUlSZ_E_NS1_11comp_targetILNS1_3genE0ELNS1_11target_archE4294967295ELNS1_3gpuE0ELNS1_3repE0EEENS1_30default_config_static_selectorELNS0_4arch9wavefront6targetE0EEEvT1_.num_agpr, 0
	.set _ZN7rocprim17ROCPRIM_400000_NS6detail17trampoline_kernelINS0_14default_configENS1_27scan_by_key_config_selectorIssEEZZNS1_16scan_by_key_implILNS1_25lookback_scan_determinismE0ELb0ES3_N6thrust23THRUST_200600_302600_NS6detail15normal_iteratorINS9_10device_ptrIsEEEENS9_18transform_iteratorINS9_6negateIsEESE_NS9_11use_defaultESI_EESE_sNS9_4plusIvEENS9_8equal_toIvEEsEE10hipError_tPvRmT2_T3_T4_T5_mT6_T7_P12ihipStream_tbENKUlT_T0_E_clISt17integral_constantIbLb1EES13_IbLb0EEEEDaSZ_S10_EUlSZ_E_NS1_11comp_targetILNS1_3genE0ELNS1_11target_archE4294967295ELNS1_3gpuE0ELNS1_3repE0EEENS1_30default_config_static_selectorELNS0_4arch9wavefront6targetE0EEEvT1_.numbered_sgpr, 0
	.set _ZN7rocprim17ROCPRIM_400000_NS6detail17trampoline_kernelINS0_14default_configENS1_27scan_by_key_config_selectorIssEEZZNS1_16scan_by_key_implILNS1_25lookback_scan_determinismE0ELb0ES3_N6thrust23THRUST_200600_302600_NS6detail15normal_iteratorINS9_10device_ptrIsEEEENS9_18transform_iteratorINS9_6negateIsEESE_NS9_11use_defaultESI_EESE_sNS9_4plusIvEENS9_8equal_toIvEEsEE10hipError_tPvRmT2_T3_T4_T5_mT6_T7_P12ihipStream_tbENKUlT_T0_E_clISt17integral_constantIbLb1EES13_IbLb0EEEEDaSZ_S10_EUlSZ_E_NS1_11comp_targetILNS1_3genE0ELNS1_11target_archE4294967295ELNS1_3gpuE0ELNS1_3repE0EEENS1_30default_config_static_selectorELNS0_4arch9wavefront6targetE0EEEvT1_.num_named_barrier, 0
	.set _ZN7rocprim17ROCPRIM_400000_NS6detail17trampoline_kernelINS0_14default_configENS1_27scan_by_key_config_selectorIssEEZZNS1_16scan_by_key_implILNS1_25lookback_scan_determinismE0ELb0ES3_N6thrust23THRUST_200600_302600_NS6detail15normal_iteratorINS9_10device_ptrIsEEEENS9_18transform_iteratorINS9_6negateIsEESE_NS9_11use_defaultESI_EESE_sNS9_4plusIvEENS9_8equal_toIvEEsEE10hipError_tPvRmT2_T3_T4_T5_mT6_T7_P12ihipStream_tbENKUlT_T0_E_clISt17integral_constantIbLb1EES13_IbLb0EEEEDaSZ_S10_EUlSZ_E_NS1_11comp_targetILNS1_3genE0ELNS1_11target_archE4294967295ELNS1_3gpuE0ELNS1_3repE0EEENS1_30default_config_static_selectorELNS0_4arch9wavefront6targetE0EEEvT1_.private_seg_size, 0
	.set _ZN7rocprim17ROCPRIM_400000_NS6detail17trampoline_kernelINS0_14default_configENS1_27scan_by_key_config_selectorIssEEZZNS1_16scan_by_key_implILNS1_25lookback_scan_determinismE0ELb0ES3_N6thrust23THRUST_200600_302600_NS6detail15normal_iteratorINS9_10device_ptrIsEEEENS9_18transform_iteratorINS9_6negateIsEESE_NS9_11use_defaultESI_EESE_sNS9_4plusIvEENS9_8equal_toIvEEsEE10hipError_tPvRmT2_T3_T4_T5_mT6_T7_P12ihipStream_tbENKUlT_T0_E_clISt17integral_constantIbLb1EES13_IbLb0EEEEDaSZ_S10_EUlSZ_E_NS1_11comp_targetILNS1_3genE0ELNS1_11target_archE4294967295ELNS1_3gpuE0ELNS1_3repE0EEENS1_30default_config_static_selectorELNS0_4arch9wavefront6targetE0EEEvT1_.uses_vcc, 0
	.set _ZN7rocprim17ROCPRIM_400000_NS6detail17trampoline_kernelINS0_14default_configENS1_27scan_by_key_config_selectorIssEEZZNS1_16scan_by_key_implILNS1_25lookback_scan_determinismE0ELb0ES3_N6thrust23THRUST_200600_302600_NS6detail15normal_iteratorINS9_10device_ptrIsEEEENS9_18transform_iteratorINS9_6negateIsEESE_NS9_11use_defaultESI_EESE_sNS9_4plusIvEENS9_8equal_toIvEEsEE10hipError_tPvRmT2_T3_T4_T5_mT6_T7_P12ihipStream_tbENKUlT_T0_E_clISt17integral_constantIbLb1EES13_IbLb0EEEEDaSZ_S10_EUlSZ_E_NS1_11comp_targetILNS1_3genE0ELNS1_11target_archE4294967295ELNS1_3gpuE0ELNS1_3repE0EEENS1_30default_config_static_selectorELNS0_4arch9wavefront6targetE0EEEvT1_.uses_flat_scratch, 0
	.set _ZN7rocprim17ROCPRIM_400000_NS6detail17trampoline_kernelINS0_14default_configENS1_27scan_by_key_config_selectorIssEEZZNS1_16scan_by_key_implILNS1_25lookback_scan_determinismE0ELb0ES3_N6thrust23THRUST_200600_302600_NS6detail15normal_iteratorINS9_10device_ptrIsEEEENS9_18transform_iteratorINS9_6negateIsEESE_NS9_11use_defaultESI_EESE_sNS9_4plusIvEENS9_8equal_toIvEEsEE10hipError_tPvRmT2_T3_T4_T5_mT6_T7_P12ihipStream_tbENKUlT_T0_E_clISt17integral_constantIbLb1EES13_IbLb0EEEEDaSZ_S10_EUlSZ_E_NS1_11comp_targetILNS1_3genE0ELNS1_11target_archE4294967295ELNS1_3gpuE0ELNS1_3repE0EEENS1_30default_config_static_selectorELNS0_4arch9wavefront6targetE0EEEvT1_.has_dyn_sized_stack, 0
	.set _ZN7rocprim17ROCPRIM_400000_NS6detail17trampoline_kernelINS0_14default_configENS1_27scan_by_key_config_selectorIssEEZZNS1_16scan_by_key_implILNS1_25lookback_scan_determinismE0ELb0ES3_N6thrust23THRUST_200600_302600_NS6detail15normal_iteratorINS9_10device_ptrIsEEEENS9_18transform_iteratorINS9_6negateIsEESE_NS9_11use_defaultESI_EESE_sNS9_4plusIvEENS9_8equal_toIvEEsEE10hipError_tPvRmT2_T3_T4_T5_mT6_T7_P12ihipStream_tbENKUlT_T0_E_clISt17integral_constantIbLb1EES13_IbLb0EEEEDaSZ_S10_EUlSZ_E_NS1_11comp_targetILNS1_3genE0ELNS1_11target_archE4294967295ELNS1_3gpuE0ELNS1_3repE0EEENS1_30default_config_static_selectorELNS0_4arch9wavefront6targetE0EEEvT1_.has_recursion, 0
	.set _ZN7rocprim17ROCPRIM_400000_NS6detail17trampoline_kernelINS0_14default_configENS1_27scan_by_key_config_selectorIssEEZZNS1_16scan_by_key_implILNS1_25lookback_scan_determinismE0ELb0ES3_N6thrust23THRUST_200600_302600_NS6detail15normal_iteratorINS9_10device_ptrIsEEEENS9_18transform_iteratorINS9_6negateIsEESE_NS9_11use_defaultESI_EESE_sNS9_4plusIvEENS9_8equal_toIvEEsEE10hipError_tPvRmT2_T3_T4_T5_mT6_T7_P12ihipStream_tbENKUlT_T0_E_clISt17integral_constantIbLb1EES13_IbLb0EEEEDaSZ_S10_EUlSZ_E_NS1_11comp_targetILNS1_3genE0ELNS1_11target_archE4294967295ELNS1_3gpuE0ELNS1_3repE0EEENS1_30default_config_static_selectorELNS0_4arch9wavefront6targetE0EEEvT1_.has_indirect_call, 0
	.section	.AMDGPU.csdata,"",@progbits
; Kernel info:
; codeLenInByte = 4
; TotalNumSgprs: 0
; NumVgprs: 0
; ScratchSize: 0
; MemoryBound: 0
; FloatMode: 240
; IeeeMode: 1
; LDSByteSize: 0 bytes/workgroup (compile time only)
; SGPRBlocks: 0
; VGPRBlocks: 0
; NumSGPRsForWavesPerEU: 1
; NumVGPRsForWavesPerEU: 1
; NamedBarCnt: 0
; Occupancy: 16
; WaveLimiterHint : 0
; COMPUTE_PGM_RSRC2:SCRATCH_EN: 0
; COMPUTE_PGM_RSRC2:USER_SGPR: 2
; COMPUTE_PGM_RSRC2:TRAP_HANDLER: 0
; COMPUTE_PGM_RSRC2:TGID_X_EN: 1
; COMPUTE_PGM_RSRC2:TGID_Y_EN: 0
; COMPUTE_PGM_RSRC2:TGID_Z_EN: 0
; COMPUTE_PGM_RSRC2:TIDIG_COMP_CNT: 0
	.section	.text._ZN7rocprim17ROCPRIM_400000_NS6detail17trampoline_kernelINS0_14default_configENS1_27scan_by_key_config_selectorIssEEZZNS1_16scan_by_key_implILNS1_25lookback_scan_determinismE0ELb0ES3_N6thrust23THRUST_200600_302600_NS6detail15normal_iteratorINS9_10device_ptrIsEEEENS9_18transform_iteratorINS9_6negateIsEESE_NS9_11use_defaultESI_EESE_sNS9_4plusIvEENS9_8equal_toIvEEsEE10hipError_tPvRmT2_T3_T4_T5_mT6_T7_P12ihipStream_tbENKUlT_T0_E_clISt17integral_constantIbLb1EES13_IbLb0EEEEDaSZ_S10_EUlSZ_E_NS1_11comp_targetILNS1_3genE10ELNS1_11target_archE1201ELNS1_3gpuE5ELNS1_3repE0EEENS1_30default_config_static_selectorELNS0_4arch9wavefront6targetE0EEEvT1_,"axG",@progbits,_ZN7rocprim17ROCPRIM_400000_NS6detail17trampoline_kernelINS0_14default_configENS1_27scan_by_key_config_selectorIssEEZZNS1_16scan_by_key_implILNS1_25lookback_scan_determinismE0ELb0ES3_N6thrust23THRUST_200600_302600_NS6detail15normal_iteratorINS9_10device_ptrIsEEEENS9_18transform_iteratorINS9_6negateIsEESE_NS9_11use_defaultESI_EESE_sNS9_4plusIvEENS9_8equal_toIvEEsEE10hipError_tPvRmT2_T3_T4_T5_mT6_T7_P12ihipStream_tbENKUlT_T0_E_clISt17integral_constantIbLb1EES13_IbLb0EEEEDaSZ_S10_EUlSZ_E_NS1_11comp_targetILNS1_3genE10ELNS1_11target_archE1201ELNS1_3gpuE5ELNS1_3repE0EEENS1_30default_config_static_selectorELNS0_4arch9wavefront6targetE0EEEvT1_,comdat
	.protected	_ZN7rocprim17ROCPRIM_400000_NS6detail17trampoline_kernelINS0_14default_configENS1_27scan_by_key_config_selectorIssEEZZNS1_16scan_by_key_implILNS1_25lookback_scan_determinismE0ELb0ES3_N6thrust23THRUST_200600_302600_NS6detail15normal_iteratorINS9_10device_ptrIsEEEENS9_18transform_iteratorINS9_6negateIsEESE_NS9_11use_defaultESI_EESE_sNS9_4plusIvEENS9_8equal_toIvEEsEE10hipError_tPvRmT2_T3_T4_T5_mT6_T7_P12ihipStream_tbENKUlT_T0_E_clISt17integral_constantIbLb1EES13_IbLb0EEEEDaSZ_S10_EUlSZ_E_NS1_11comp_targetILNS1_3genE10ELNS1_11target_archE1201ELNS1_3gpuE5ELNS1_3repE0EEENS1_30default_config_static_selectorELNS0_4arch9wavefront6targetE0EEEvT1_ ; -- Begin function _ZN7rocprim17ROCPRIM_400000_NS6detail17trampoline_kernelINS0_14default_configENS1_27scan_by_key_config_selectorIssEEZZNS1_16scan_by_key_implILNS1_25lookback_scan_determinismE0ELb0ES3_N6thrust23THRUST_200600_302600_NS6detail15normal_iteratorINS9_10device_ptrIsEEEENS9_18transform_iteratorINS9_6negateIsEESE_NS9_11use_defaultESI_EESE_sNS9_4plusIvEENS9_8equal_toIvEEsEE10hipError_tPvRmT2_T3_T4_T5_mT6_T7_P12ihipStream_tbENKUlT_T0_E_clISt17integral_constantIbLb1EES13_IbLb0EEEEDaSZ_S10_EUlSZ_E_NS1_11comp_targetILNS1_3genE10ELNS1_11target_archE1201ELNS1_3gpuE5ELNS1_3repE0EEENS1_30default_config_static_selectorELNS0_4arch9wavefront6targetE0EEEvT1_
	.globl	_ZN7rocprim17ROCPRIM_400000_NS6detail17trampoline_kernelINS0_14default_configENS1_27scan_by_key_config_selectorIssEEZZNS1_16scan_by_key_implILNS1_25lookback_scan_determinismE0ELb0ES3_N6thrust23THRUST_200600_302600_NS6detail15normal_iteratorINS9_10device_ptrIsEEEENS9_18transform_iteratorINS9_6negateIsEESE_NS9_11use_defaultESI_EESE_sNS9_4plusIvEENS9_8equal_toIvEEsEE10hipError_tPvRmT2_T3_T4_T5_mT6_T7_P12ihipStream_tbENKUlT_T0_E_clISt17integral_constantIbLb1EES13_IbLb0EEEEDaSZ_S10_EUlSZ_E_NS1_11comp_targetILNS1_3genE10ELNS1_11target_archE1201ELNS1_3gpuE5ELNS1_3repE0EEENS1_30default_config_static_selectorELNS0_4arch9wavefront6targetE0EEEvT1_
	.p2align	8
	.type	_ZN7rocprim17ROCPRIM_400000_NS6detail17trampoline_kernelINS0_14default_configENS1_27scan_by_key_config_selectorIssEEZZNS1_16scan_by_key_implILNS1_25lookback_scan_determinismE0ELb0ES3_N6thrust23THRUST_200600_302600_NS6detail15normal_iteratorINS9_10device_ptrIsEEEENS9_18transform_iteratorINS9_6negateIsEESE_NS9_11use_defaultESI_EESE_sNS9_4plusIvEENS9_8equal_toIvEEsEE10hipError_tPvRmT2_T3_T4_T5_mT6_T7_P12ihipStream_tbENKUlT_T0_E_clISt17integral_constantIbLb1EES13_IbLb0EEEEDaSZ_S10_EUlSZ_E_NS1_11comp_targetILNS1_3genE10ELNS1_11target_archE1201ELNS1_3gpuE5ELNS1_3repE0EEENS1_30default_config_static_selectorELNS0_4arch9wavefront6targetE0EEEvT1_,@function
_ZN7rocprim17ROCPRIM_400000_NS6detail17trampoline_kernelINS0_14default_configENS1_27scan_by_key_config_selectorIssEEZZNS1_16scan_by_key_implILNS1_25lookback_scan_determinismE0ELb0ES3_N6thrust23THRUST_200600_302600_NS6detail15normal_iteratorINS9_10device_ptrIsEEEENS9_18transform_iteratorINS9_6negateIsEESE_NS9_11use_defaultESI_EESE_sNS9_4plusIvEENS9_8equal_toIvEEsEE10hipError_tPvRmT2_T3_T4_T5_mT6_T7_P12ihipStream_tbENKUlT_T0_E_clISt17integral_constantIbLb1EES13_IbLb0EEEEDaSZ_S10_EUlSZ_E_NS1_11comp_targetILNS1_3genE10ELNS1_11target_archE1201ELNS1_3gpuE5ELNS1_3repE0EEENS1_30default_config_static_selectorELNS0_4arch9wavefront6targetE0EEEvT1_: ; @_ZN7rocprim17ROCPRIM_400000_NS6detail17trampoline_kernelINS0_14default_configENS1_27scan_by_key_config_selectorIssEEZZNS1_16scan_by_key_implILNS1_25lookback_scan_determinismE0ELb0ES3_N6thrust23THRUST_200600_302600_NS6detail15normal_iteratorINS9_10device_ptrIsEEEENS9_18transform_iteratorINS9_6negateIsEESE_NS9_11use_defaultESI_EESE_sNS9_4plusIvEENS9_8equal_toIvEEsEE10hipError_tPvRmT2_T3_T4_T5_mT6_T7_P12ihipStream_tbENKUlT_T0_E_clISt17integral_constantIbLb1EES13_IbLb0EEEEDaSZ_S10_EUlSZ_E_NS1_11comp_targetILNS1_3genE10ELNS1_11target_archE1201ELNS1_3gpuE5ELNS1_3repE0EEENS1_30default_config_static_selectorELNS0_4arch9wavefront6targetE0EEEvT1_
; %bb.0:
	.section	.rodata,"a",@progbits
	.p2align	6, 0x0
	.amdhsa_kernel _ZN7rocprim17ROCPRIM_400000_NS6detail17trampoline_kernelINS0_14default_configENS1_27scan_by_key_config_selectorIssEEZZNS1_16scan_by_key_implILNS1_25lookback_scan_determinismE0ELb0ES3_N6thrust23THRUST_200600_302600_NS6detail15normal_iteratorINS9_10device_ptrIsEEEENS9_18transform_iteratorINS9_6negateIsEESE_NS9_11use_defaultESI_EESE_sNS9_4plusIvEENS9_8equal_toIvEEsEE10hipError_tPvRmT2_T3_T4_T5_mT6_T7_P12ihipStream_tbENKUlT_T0_E_clISt17integral_constantIbLb1EES13_IbLb0EEEEDaSZ_S10_EUlSZ_E_NS1_11comp_targetILNS1_3genE10ELNS1_11target_archE1201ELNS1_3gpuE5ELNS1_3repE0EEENS1_30default_config_static_selectorELNS0_4arch9wavefront6targetE0EEEvT1_
		.amdhsa_group_segment_fixed_size 0
		.amdhsa_private_segment_fixed_size 0
		.amdhsa_kernarg_size 120
		.amdhsa_user_sgpr_count 2
		.amdhsa_user_sgpr_dispatch_ptr 0
		.amdhsa_user_sgpr_queue_ptr 0
		.amdhsa_user_sgpr_kernarg_segment_ptr 1
		.amdhsa_user_sgpr_dispatch_id 0
		.amdhsa_user_sgpr_kernarg_preload_length 0
		.amdhsa_user_sgpr_kernarg_preload_offset 0
		.amdhsa_user_sgpr_private_segment_size 0
		.amdhsa_wavefront_size32 1
		.amdhsa_uses_dynamic_stack 0
		.amdhsa_enable_private_segment 0
		.amdhsa_system_sgpr_workgroup_id_x 1
		.amdhsa_system_sgpr_workgroup_id_y 0
		.amdhsa_system_sgpr_workgroup_id_z 0
		.amdhsa_system_sgpr_workgroup_info 0
		.amdhsa_system_vgpr_workitem_id 0
		.amdhsa_next_free_vgpr 1
		.amdhsa_next_free_sgpr 1
		.amdhsa_named_barrier_count 0
		.amdhsa_reserve_vcc 0
		.amdhsa_float_round_mode_32 0
		.amdhsa_float_round_mode_16_64 0
		.amdhsa_float_denorm_mode_32 3
		.amdhsa_float_denorm_mode_16_64 3
		.amdhsa_fp16_overflow 0
		.amdhsa_memory_ordered 1
		.amdhsa_forward_progress 1
		.amdhsa_inst_pref_size 0
		.amdhsa_round_robin_scheduling 0
		.amdhsa_exception_fp_ieee_invalid_op 0
		.amdhsa_exception_fp_denorm_src 0
		.amdhsa_exception_fp_ieee_div_zero 0
		.amdhsa_exception_fp_ieee_overflow 0
		.amdhsa_exception_fp_ieee_underflow 0
		.amdhsa_exception_fp_ieee_inexact 0
		.amdhsa_exception_int_div_zero 0
	.end_amdhsa_kernel
	.section	.text._ZN7rocprim17ROCPRIM_400000_NS6detail17trampoline_kernelINS0_14default_configENS1_27scan_by_key_config_selectorIssEEZZNS1_16scan_by_key_implILNS1_25lookback_scan_determinismE0ELb0ES3_N6thrust23THRUST_200600_302600_NS6detail15normal_iteratorINS9_10device_ptrIsEEEENS9_18transform_iteratorINS9_6negateIsEESE_NS9_11use_defaultESI_EESE_sNS9_4plusIvEENS9_8equal_toIvEEsEE10hipError_tPvRmT2_T3_T4_T5_mT6_T7_P12ihipStream_tbENKUlT_T0_E_clISt17integral_constantIbLb1EES13_IbLb0EEEEDaSZ_S10_EUlSZ_E_NS1_11comp_targetILNS1_3genE10ELNS1_11target_archE1201ELNS1_3gpuE5ELNS1_3repE0EEENS1_30default_config_static_selectorELNS0_4arch9wavefront6targetE0EEEvT1_,"axG",@progbits,_ZN7rocprim17ROCPRIM_400000_NS6detail17trampoline_kernelINS0_14default_configENS1_27scan_by_key_config_selectorIssEEZZNS1_16scan_by_key_implILNS1_25lookback_scan_determinismE0ELb0ES3_N6thrust23THRUST_200600_302600_NS6detail15normal_iteratorINS9_10device_ptrIsEEEENS9_18transform_iteratorINS9_6negateIsEESE_NS9_11use_defaultESI_EESE_sNS9_4plusIvEENS9_8equal_toIvEEsEE10hipError_tPvRmT2_T3_T4_T5_mT6_T7_P12ihipStream_tbENKUlT_T0_E_clISt17integral_constantIbLb1EES13_IbLb0EEEEDaSZ_S10_EUlSZ_E_NS1_11comp_targetILNS1_3genE10ELNS1_11target_archE1201ELNS1_3gpuE5ELNS1_3repE0EEENS1_30default_config_static_selectorELNS0_4arch9wavefront6targetE0EEEvT1_,comdat
.Lfunc_end984:
	.size	_ZN7rocprim17ROCPRIM_400000_NS6detail17trampoline_kernelINS0_14default_configENS1_27scan_by_key_config_selectorIssEEZZNS1_16scan_by_key_implILNS1_25lookback_scan_determinismE0ELb0ES3_N6thrust23THRUST_200600_302600_NS6detail15normal_iteratorINS9_10device_ptrIsEEEENS9_18transform_iteratorINS9_6negateIsEESE_NS9_11use_defaultESI_EESE_sNS9_4plusIvEENS9_8equal_toIvEEsEE10hipError_tPvRmT2_T3_T4_T5_mT6_T7_P12ihipStream_tbENKUlT_T0_E_clISt17integral_constantIbLb1EES13_IbLb0EEEEDaSZ_S10_EUlSZ_E_NS1_11comp_targetILNS1_3genE10ELNS1_11target_archE1201ELNS1_3gpuE5ELNS1_3repE0EEENS1_30default_config_static_selectorELNS0_4arch9wavefront6targetE0EEEvT1_, .Lfunc_end984-_ZN7rocprim17ROCPRIM_400000_NS6detail17trampoline_kernelINS0_14default_configENS1_27scan_by_key_config_selectorIssEEZZNS1_16scan_by_key_implILNS1_25lookback_scan_determinismE0ELb0ES3_N6thrust23THRUST_200600_302600_NS6detail15normal_iteratorINS9_10device_ptrIsEEEENS9_18transform_iteratorINS9_6negateIsEESE_NS9_11use_defaultESI_EESE_sNS9_4plusIvEENS9_8equal_toIvEEsEE10hipError_tPvRmT2_T3_T4_T5_mT6_T7_P12ihipStream_tbENKUlT_T0_E_clISt17integral_constantIbLb1EES13_IbLb0EEEEDaSZ_S10_EUlSZ_E_NS1_11comp_targetILNS1_3genE10ELNS1_11target_archE1201ELNS1_3gpuE5ELNS1_3repE0EEENS1_30default_config_static_selectorELNS0_4arch9wavefront6targetE0EEEvT1_
                                        ; -- End function
	.set _ZN7rocprim17ROCPRIM_400000_NS6detail17trampoline_kernelINS0_14default_configENS1_27scan_by_key_config_selectorIssEEZZNS1_16scan_by_key_implILNS1_25lookback_scan_determinismE0ELb0ES3_N6thrust23THRUST_200600_302600_NS6detail15normal_iteratorINS9_10device_ptrIsEEEENS9_18transform_iteratorINS9_6negateIsEESE_NS9_11use_defaultESI_EESE_sNS9_4plusIvEENS9_8equal_toIvEEsEE10hipError_tPvRmT2_T3_T4_T5_mT6_T7_P12ihipStream_tbENKUlT_T0_E_clISt17integral_constantIbLb1EES13_IbLb0EEEEDaSZ_S10_EUlSZ_E_NS1_11comp_targetILNS1_3genE10ELNS1_11target_archE1201ELNS1_3gpuE5ELNS1_3repE0EEENS1_30default_config_static_selectorELNS0_4arch9wavefront6targetE0EEEvT1_.num_vgpr, 0
	.set _ZN7rocprim17ROCPRIM_400000_NS6detail17trampoline_kernelINS0_14default_configENS1_27scan_by_key_config_selectorIssEEZZNS1_16scan_by_key_implILNS1_25lookback_scan_determinismE0ELb0ES3_N6thrust23THRUST_200600_302600_NS6detail15normal_iteratorINS9_10device_ptrIsEEEENS9_18transform_iteratorINS9_6negateIsEESE_NS9_11use_defaultESI_EESE_sNS9_4plusIvEENS9_8equal_toIvEEsEE10hipError_tPvRmT2_T3_T4_T5_mT6_T7_P12ihipStream_tbENKUlT_T0_E_clISt17integral_constantIbLb1EES13_IbLb0EEEEDaSZ_S10_EUlSZ_E_NS1_11comp_targetILNS1_3genE10ELNS1_11target_archE1201ELNS1_3gpuE5ELNS1_3repE0EEENS1_30default_config_static_selectorELNS0_4arch9wavefront6targetE0EEEvT1_.num_agpr, 0
	.set _ZN7rocprim17ROCPRIM_400000_NS6detail17trampoline_kernelINS0_14default_configENS1_27scan_by_key_config_selectorIssEEZZNS1_16scan_by_key_implILNS1_25lookback_scan_determinismE0ELb0ES3_N6thrust23THRUST_200600_302600_NS6detail15normal_iteratorINS9_10device_ptrIsEEEENS9_18transform_iteratorINS9_6negateIsEESE_NS9_11use_defaultESI_EESE_sNS9_4plusIvEENS9_8equal_toIvEEsEE10hipError_tPvRmT2_T3_T4_T5_mT6_T7_P12ihipStream_tbENKUlT_T0_E_clISt17integral_constantIbLb1EES13_IbLb0EEEEDaSZ_S10_EUlSZ_E_NS1_11comp_targetILNS1_3genE10ELNS1_11target_archE1201ELNS1_3gpuE5ELNS1_3repE0EEENS1_30default_config_static_selectorELNS0_4arch9wavefront6targetE0EEEvT1_.numbered_sgpr, 0
	.set _ZN7rocprim17ROCPRIM_400000_NS6detail17trampoline_kernelINS0_14default_configENS1_27scan_by_key_config_selectorIssEEZZNS1_16scan_by_key_implILNS1_25lookback_scan_determinismE0ELb0ES3_N6thrust23THRUST_200600_302600_NS6detail15normal_iteratorINS9_10device_ptrIsEEEENS9_18transform_iteratorINS9_6negateIsEESE_NS9_11use_defaultESI_EESE_sNS9_4plusIvEENS9_8equal_toIvEEsEE10hipError_tPvRmT2_T3_T4_T5_mT6_T7_P12ihipStream_tbENKUlT_T0_E_clISt17integral_constantIbLb1EES13_IbLb0EEEEDaSZ_S10_EUlSZ_E_NS1_11comp_targetILNS1_3genE10ELNS1_11target_archE1201ELNS1_3gpuE5ELNS1_3repE0EEENS1_30default_config_static_selectorELNS0_4arch9wavefront6targetE0EEEvT1_.num_named_barrier, 0
	.set _ZN7rocprim17ROCPRIM_400000_NS6detail17trampoline_kernelINS0_14default_configENS1_27scan_by_key_config_selectorIssEEZZNS1_16scan_by_key_implILNS1_25lookback_scan_determinismE0ELb0ES3_N6thrust23THRUST_200600_302600_NS6detail15normal_iteratorINS9_10device_ptrIsEEEENS9_18transform_iteratorINS9_6negateIsEESE_NS9_11use_defaultESI_EESE_sNS9_4plusIvEENS9_8equal_toIvEEsEE10hipError_tPvRmT2_T3_T4_T5_mT6_T7_P12ihipStream_tbENKUlT_T0_E_clISt17integral_constantIbLb1EES13_IbLb0EEEEDaSZ_S10_EUlSZ_E_NS1_11comp_targetILNS1_3genE10ELNS1_11target_archE1201ELNS1_3gpuE5ELNS1_3repE0EEENS1_30default_config_static_selectorELNS0_4arch9wavefront6targetE0EEEvT1_.private_seg_size, 0
	.set _ZN7rocprim17ROCPRIM_400000_NS6detail17trampoline_kernelINS0_14default_configENS1_27scan_by_key_config_selectorIssEEZZNS1_16scan_by_key_implILNS1_25lookback_scan_determinismE0ELb0ES3_N6thrust23THRUST_200600_302600_NS6detail15normal_iteratorINS9_10device_ptrIsEEEENS9_18transform_iteratorINS9_6negateIsEESE_NS9_11use_defaultESI_EESE_sNS9_4plusIvEENS9_8equal_toIvEEsEE10hipError_tPvRmT2_T3_T4_T5_mT6_T7_P12ihipStream_tbENKUlT_T0_E_clISt17integral_constantIbLb1EES13_IbLb0EEEEDaSZ_S10_EUlSZ_E_NS1_11comp_targetILNS1_3genE10ELNS1_11target_archE1201ELNS1_3gpuE5ELNS1_3repE0EEENS1_30default_config_static_selectorELNS0_4arch9wavefront6targetE0EEEvT1_.uses_vcc, 0
	.set _ZN7rocprim17ROCPRIM_400000_NS6detail17trampoline_kernelINS0_14default_configENS1_27scan_by_key_config_selectorIssEEZZNS1_16scan_by_key_implILNS1_25lookback_scan_determinismE0ELb0ES3_N6thrust23THRUST_200600_302600_NS6detail15normal_iteratorINS9_10device_ptrIsEEEENS9_18transform_iteratorINS9_6negateIsEESE_NS9_11use_defaultESI_EESE_sNS9_4plusIvEENS9_8equal_toIvEEsEE10hipError_tPvRmT2_T3_T4_T5_mT6_T7_P12ihipStream_tbENKUlT_T0_E_clISt17integral_constantIbLb1EES13_IbLb0EEEEDaSZ_S10_EUlSZ_E_NS1_11comp_targetILNS1_3genE10ELNS1_11target_archE1201ELNS1_3gpuE5ELNS1_3repE0EEENS1_30default_config_static_selectorELNS0_4arch9wavefront6targetE0EEEvT1_.uses_flat_scratch, 0
	.set _ZN7rocprim17ROCPRIM_400000_NS6detail17trampoline_kernelINS0_14default_configENS1_27scan_by_key_config_selectorIssEEZZNS1_16scan_by_key_implILNS1_25lookback_scan_determinismE0ELb0ES3_N6thrust23THRUST_200600_302600_NS6detail15normal_iteratorINS9_10device_ptrIsEEEENS9_18transform_iteratorINS9_6negateIsEESE_NS9_11use_defaultESI_EESE_sNS9_4plusIvEENS9_8equal_toIvEEsEE10hipError_tPvRmT2_T3_T4_T5_mT6_T7_P12ihipStream_tbENKUlT_T0_E_clISt17integral_constantIbLb1EES13_IbLb0EEEEDaSZ_S10_EUlSZ_E_NS1_11comp_targetILNS1_3genE10ELNS1_11target_archE1201ELNS1_3gpuE5ELNS1_3repE0EEENS1_30default_config_static_selectorELNS0_4arch9wavefront6targetE0EEEvT1_.has_dyn_sized_stack, 0
	.set _ZN7rocprim17ROCPRIM_400000_NS6detail17trampoline_kernelINS0_14default_configENS1_27scan_by_key_config_selectorIssEEZZNS1_16scan_by_key_implILNS1_25lookback_scan_determinismE0ELb0ES3_N6thrust23THRUST_200600_302600_NS6detail15normal_iteratorINS9_10device_ptrIsEEEENS9_18transform_iteratorINS9_6negateIsEESE_NS9_11use_defaultESI_EESE_sNS9_4plusIvEENS9_8equal_toIvEEsEE10hipError_tPvRmT2_T3_T4_T5_mT6_T7_P12ihipStream_tbENKUlT_T0_E_clISt17integral_constantIbLb1EES13_IbLb0EEEEDaSZ_S10_EUlSZ_E_NS1_11comp_targetILNS1_3genE10ELNS1_11target_archE1201ELNS1_3gpuE5ELNS1_3repE0EEENS1_30default_config_static_selectorELNS0_4arch9wavefront6targetE0EEEvT1_.has_recursion, 0
	.set _ZN7rocprim17ROCPRIM_400000_NS6detail17trampoline_kernelINS0_14default_configENS1_27scan_by_key_config_selectorIssEEZZNS1_16scan_by_key_implILNS1_25lookback_scan_determinismE0ELb0ES3_N6thrust23THRUST_200600_302600_NS6detail15normal_iteratorINS9_10device_ptrIsEEEENS9_18transform_iteratorINS9_6negateIsEESE_NS9_11use_defaultESI_EESE_sNS9_4plusIvEENS9_8equal_toIvEEsEE10hipError_tPvRmT2_T3_T4_T5_mT6_T7_P12ihipStream_tbENKUlT_T0_E_clISt17integral_constantIbLb1EES13_IbLb0EEEEDaSZ_S10_EUlSZ_E_NS1_11comp_targetILNS1_3genE10ELNS1_11target_archE1201ELNS1_3gpuE5ELNS1_3repE0EEENS1_30default_config_static_selectorELNS0_4arch9wavefront6targetE0EEEvT1_.has_indirect_call, 0
	.section	.AMDGPU.csdata,"",@progbits
; Kernel info:
; codeLenInByte = 0
; TotalNumSgprs: 0
; NumVgprs: 0
; ScratchSize: 0
; MemoryBound: 0
; FloatMode: 240
; IeeeMode: 1
; LDSByteSize: 0 bytes/workgroup (compile time only)
; SGPRBlocks: 0
; VGPRBlocks: 0
; NumSGPRsForWavesPerEU: 1
; NumVGPRsForWavesPerEU: 1
; NamedBarCnt: 0
; Occupancy: 16
; WaveLimiterHint : 0
; COMPUTE_PGM_RSRC2:SCRATCH_EN: 0
; COMPUTE_PGM_RSRC2:USER_SGPR: 2
; COMPUTE_PGM_RSRC2:TRAP_HANDLER: 0
; COMPUTE_PGM_RSRC2:TGID_X_EN: 1
; COMPUTE_PGM_RSRC2:TGID_Y_EN: 0
; COMPUTE_PGM_RSRC2:TGID_Z_EN: 0
; COMPUTE_PGM_RSRC2:TIDIG_COMP_CNT: 0
	.section	.text._ZN7rocprim17ROCPRIM_400000_NS6detail17trampoline_kernelINS0_14default_configENS1_27scan_by_key_config_selectorIssEEZZNS1_16scan_by_key_implILNS1_25lookback_scan_determinismE0ELb0ES3_N6thrust23THRUST_200600_302600_NS6detail15normal_iteratorINS9_10device_ptrIsEEEENS9_18transform_iteratorINS9_6negateIsEESE_NS9_11use_defaultESI_EESE_sNS9_4plusIvEENS9_8equal_toIvEEsEE10hipError_tPvRmT2_T3_T4_T5_mT6_T7_P12ihipStream_tbENKUlT_T0_E_clISt17integral_constantIbLb1EES13_IbLb0EEEEDaSZ_S10_EUlSZ_E_NS1_11comp_targetILNS1_3genE5ELNS1_11target_archE942ELNS1_3gpuE9ELNS1_3repE0EEENS1_30default_config_static_selectorELNS0_4arch9wavefront6targetE0EEEvT1_,"axG",@progbits,_ZN7rocprim17ROCPRIM_400000_NS6detail17trampoline_kernelINS0_14default_configENS1_27scan_by_key_config_selectorIssEEZZNS1_16scan_by_key_implILNS1_25lookback_scan_determinismE0ELb0ES3_N6thrust23THRUST_200600_302600_NS6detail15normal_iteratorINS9_10device_ptrIsEEEENS9_18transform_iteratorINS9_6negateIsEESE_NS9_11use_defaultESI_EESE_sNS9_4plusIvEENS9_8equal_toIvEEsEE10hipError_tPvRmT2_T3_T4_T5_mT6_T7_P12ihipStream_tbENKUlT_T0_E_clISt17integral_constantIbLb1EES13_IbLb0EEEEDaSZ_S10_EUlSZ_E_NS1_11comp_targetILNS1_3genE5ELNS1_11target_archE942ELNS1_3gpuE9ELNS1_3repE0EEENS1_30default_config_static_selectorELNS0_4arch9wavefront6targetE0EEEvT1_,comdat
	.protected	_ZN7rocprim17ROCPRIM_400000_NS6detail17trampoline_kernelINS0_14default_configENS1_27scan_by_key_config_selectorIssEEZZNS1_16scan_by_key_implILNS1_25lookback_scan_determinismE0ELb0ES3_N6thrust23THRUST_200600_302600_NS6detail15normal_iteratorINS9_10device_ptrIsEEEENS9_18transform_iteratorINS9_6negateIsEESE_NS9_11use_defaultESI_EESE_sNS9_4plusIvEENS9_8equal_toIvEEsEE10hipError_tPvRmT2_T3_T4_T5_mT6_T7_P12ihipStream_tbENKUlT_T0_E_clISt17integral_constantIbLb1EES13_IbLb0EEEEDaSZ_S10_EUlSZ_E_NS1_11comp_targetILNS1_3genE5ELNS1_11target_archE942ELNS1_3gpuE9ELNS1_3repE0EEENS1_30default_config_static_selectorELNS0_4arch9wavefront6targetE0EEEvT1_ ; -- Begin function _ZN7rocprim17ROCPRIM_400000_NS6detail17trampoline_kernelINS0_14default_configENS1_27scan_by_key_config_selectorIssEEZZNS1_16scan_by_key_implILNS1_25lookback_scan_determinismE0ELb0ES3_N6thrust23THRUST_200600_302600_NS6detail15normal_iteratorINS9_10device_ptrIsEEEENS9_18transform_iteratorINS9_6negateIsEESE_NS9_11use_defaultESI_EESE_sNS9_4plusIvEENS9_8equal_toIvEEsEE10hipError_tPvRmT2_T3_T4_T5_mT6_T7_P12ihipStream_tbENKUlT_T0_E_clISt17integral_constantIbLb1EES13_IbLb0EEEEDaSZ_S10_EUlSZ_E_NS1_11comp_targetILNS1_3genE5ELNS1_11target_archE942ELNS1_3gpuE9ELNS1_3repE0EEENS1_30default_config_static_selectorELNS0_4arch9wavefront6targetE0EEEvT1_
	.globl	_ZN7rocprim17ROCPRIM_400000_NS6detail17trampoline_kernelINS0_14default_configENS1_27scan_by_key_config_selectorIssEEZZNS1_16scan_by_key_implILNS1_25lookback_scan_determinismE0ELb0ES3_N6thrust23THRUST_200600_302600_NS6detail15normal_iteratorINS9_10device_ptrIsEEEENS9_18transform_iteratorINS9_6negateIsEESE_NS9_11use_defaultESI_EESE_sNS9_4plusIvEENS9_8equal_toIvEEsEE10hipError_tPvRmT2_T3_T4_T5_mT6_T7_P12ihipStream_tbENKUlT_T0_E_clISt17integral_constantIbLb1EES13_IbLb0EEEEDaSZ_S10_EUlSZ_E_NS1_11comp_targetILNS1_3genE5ELNS1_11target_archE942ELNS1_3gpuE9ELNS1_3repE0EEENS1_30default_config_static_selectorELNS0_4arch9wavefront6targetE0EEEvT1_
	.p2align	8
	.type	_ZN7rocprim17ROCPRIM_400000_NS6detail17trampoline_kernelINS0_14default_configENS1_27scan_by_key_config_selectorIssEEZZNS1_16scan_by_key_implILNS1_25lookback_scan_determinismE0ELb0ES3_N6thrust23THRUST_200600_302600_NS6detail15normal_iteratorINS9_10device_ptrIsEEEENS9_18transform_iteratorINS9_6negateIsEESE_NS9_11use_defaultESI_EESE_sNS9_4plusIvEENS9_8equal_toIvEEsEE10hipError_tPvRmT2_T3_T4_T5_mT6_T7_P12ihipStream_tbENKUlT_T0_E_clISt17integral_constantIbLb1EES13_IbLb0EEEEDaSZ_S10_EUlSZ_E_NS1_11comp_targetILNS1_3genE5ELNS1_11target_archE942ELNS1_3gpuE9ELNS1_3repE0EEENS1_30default_config_static_selectorELNS0_4arch9wavefront6targetE0EEEvT1_,@function
_ZN7rocprim17ROCPRIM_400000_NS6detail17trampoline_kernelINS0_14default_configENS1_27scan_by_key_config_selectorIssEEZZNS1_16scan_by_key_implILNS1_25lookback_scan_determinismE0ELb0ES3_N6thrust23THRUST_200600_302600_NS6detail15normal_iteratorINS9_10device_ptrIsEEEENS9_18transform_iteratorINS9_6negateIsEESE_NS9_11use_defaultESI_EESE_sNS9_4plusIvEENS9_8equal_toIvEEsEE10hipError_tPvRmT2_T3_T4_T5_mT6_T7_P12ihipStream_tbENKUlT_T0_E_clISt17integral_constantIbLb1EES13_IbLb0EEEEDaSZ_S10_EUlSZ_E_NS1_11comp_targetILNS1_3genE5ELNS1_11target_archE942ELNS1_3gpuE9ELNS1_3repE0EEENS1_30default_config_static_selectorELNS0_4arch9wavefront6targetE0EEEvT1_: ; @_ZN7rocprim17ROCPRIM_400000_NS6detail17trampoline_kernelINS0_14default_configENS1_27scan_by_key_config_selectorIssEEZZNS1_16scan_by_key_implILNS1_25lookback_scan_determinismE0ELb0ES3_N6thrust23THRUST_200600_302600_NS6detail15normal_iteratorINS9_10device_ptrIsEEEENS9_18transform_iteratorINS9_6negateIsEESE_NS9_11use_defaultESI_EESE_sNS9_4plusIvEENS9_8equal_toIvEEsEE10hipError_tPvRmT2_T3_T4_T5_mT6_T7_P12ihipStream_tbENKUlT_T0_E_clISt17integral_constantIbLb1EES13_IbLb0EEEEDaSZ_S10_EUlSZ_E_NS1_11comp_targetILNS1_3genE5ELNS1_11target_archE942ELNS1_3gpuE9ELNS1_3repE0EEENS1_30default_config_static_selectorELNS0_4arch9wavefront6targetE0EEEvT1_
; %bb.0:
	.section	.rodata,"a",@progbits
	.p2align	6, 0x0
	.amdhsa_kernel _ZN7rocprim17ROCPRIM_400000_NS6detail17trampoline_kernelINS0_14default_configENS1_27scan_by_key_config_selectorIssEEZZNS1_16scan_by_key_implILNS1_25lookback_scan_determinismE0ELb0ES3_N6thrust23THRUST_200600_302600_NS6detail15normal_iteratorINS9_10device_ptrIsEEEENS9_18transform_iteratorINS9_6negateIsEESE_NS9_11use_defaultESI_EESE_sNS9_4plusIvEENS9_8equal_toIvEEsEE10hipError_tPvRmT2_T3_T4_T5_mT6_T7_P12ihipStream_tbENKUlT_T0_E_clISt17integral_constantIbLb1EES13_IbLb0EEEEDaSZ_S10_EUlSZ_E_NS1_11comp_targetILNS1_3genE5ELNS1_11target_archE942ELNS1_3gpuE9ELNS1_3repE0EEENS1_30default_config_static_selectorELNS0_4arch9wavefront6targetE0EEEvT1_
		.amdhsa_group_segment_fixed_size 0
		.amdhsa_private_segment_fixed_size 0
		.amdhsa_kernarg_size 120
		.amdhsa_user_sgpr_count 2
		.amdhsa_user_sgpr_dispatch_ptr 0
		.amdhsa_user_sgpr_queue_ptr 0
		.amdhsa_user_sgpr_kernarg_segment_ptr 1
		.amdhsa_user_sgpr_dispatch_id 0
		.amdhsa_user_sgpr_kernarg_preload_length 0
		.amdhsa_user_sgpr_kernarg_preload_offset 0
		.amdhsa_user_sgpr_private_segment_size 0
		.amdhsa_wavefront_size32 1
		.amdhsa_uses_dynamic_stack 0
		.amdhsa_enable_private_segment 0
		.amdhsa_system_sgpr_workgroup_id_x 1
		.amdhsa_system_sgpr_workgroup_id_y 0
		.amdhsa_system_sgpr_workgroup_id_z 0
		.amdhsa_system_sgpr_workgroup_info 0
		.amdhsa_system_vgpr_workitem_id 0
		.amdhsa_next_free_vgpr 1
		.amdhsa_next_free_sgpr 1
		.amdhsa_named_barrier_count 0
		.amdhsa_reserve_vcc 0
		.amdhsa_float_round_mode_32 0
		.amdhsa_float_round_mode_16_64 0
		.amdhsa_float_denorm_mode_32 3
		.amdhsa_float_denorm_mode_16_64 3
		.amdhsa_fp16_overflow 0
		.amdhsa_memory_ordered 1
		.amdhsa_forward_progress 1
		.amdhsa_inst_pref_size 0
		.amdhsa_round_robin_scheduling 0
		.amdhsa_exception_fp_ieee_invalid_op 0
		.amdhsa_exception_fp_denorm_src 0
		.amdhsa_exception_fp_ieee_div_zero 0
		.amdhsa_exception_fp_ieee_overflow 0
		.amdhsa_exception_fp_ieee_underflow 0
		.amdhsa_exception_fp_ieee_inexact 0
		.amdhsa_exception_int_div_zero 0
	.end_amdhsa_kernel
	.section	.text._ZN7rocprim17ROCPRIM_400000_NS6detail17trampoline_kernelINS0_14default_configENS1_27scan_by_key_config_selectorIssEEZZNS1_16scan_by_key_implILNS1_25lookback_scan_determinismE0ELb0ES3_N6thrust23THRUST_200600_302600_NS6detail15normal_iteratorINS9_10device_ptrIsEEEENS9_18transform_iteratorINS9_6negateIsEESE_NS9_11use_defaultESI_EESE_sNS9_4plusIvEENS9_8equal_toIvEEsEE10hipError_tPvRmT2_T3_T4_T5_mT6_T7_P12ihipStream_tbENKUlT_T0_E_clISt17integral_constantIbLb1EES13_IbLb0EEEEDaSZ_S10_EUlSZ_E_NS1_11comp_targetILNS1_3genE5ELNS1_11target_archE942ELNS1_3gpuE9ELNS1_3repE0EEENS1_30default_config_static_selectorELNS0_4arch9wavefront6targetE0EEEvT1_,"axG",@progbits,_ZN7rocprim17ROCPRIM_400000_NS6detail17trampoline_kernelINS0_14default_configENS1_27scan_by_key_config_selectorIssEEZZNS1_16scan_by_key_implILNS1_25lookback_scan_determinismE0ELb0ES3_N6thrust23THRUST_200600_302600_NS6detail15normal_iteratorINS9_10device_ptrIsEEEENS9_18transform_iteratorINS9_6negateIsEESE_NS9_11use_defaultESI_EESE_sNS9_4plusIvEENS9_8equal_toIvEEsEE10hipError_tPvRmT2_T3_T4_T5_mT6_T7_P12ihipStream_tbENKUlT_T0_E_clISt17integral_constantIbLb1EES13_IbLb0EEEEDaSZ_S10_EUlSZ_E_NS1_11comp_targetILNS1_3genE5ELNS1_11target_archE942ELNS1_3gpuE9ELNS1_3repE0EEENS1_30default_config_static_selectorELNS0_4arch9wavefront6targetE0EEEvT1_,comdat
.Lfunc_end985:
	.size	_ZN7rocprim17ROCPRIM_400000_NS6detail17trampoline_kernelINS0_14default_configENS1_27scan_by_key_config_selectorIssEEZZNS1_16scan_by_key_implILNS1_25lookback_scan_determinismE0ELb0ES3_N6thrust23THRUST_200600_302600_NS6detail15normal_iteratorINS9_10device_ptrIsEEEENS9_18transform_iteratorINS9_6negateIsEESE_NS9_11use_defaultESI_EESE_sNS9_4plusIvEENS9_8equal_toIvEEsEE10hipError_tPvRmT2_T3_T4_T5_mT6_T7_P12ihipStream_tbENKUlT_T0_E_clISt17integral_constantIbLb1EES13_IbLb0EEEEDaSZ_S10_EUlSZ_E_NS1_11comp_targetILNS1_3genE5ELNS1_11target_archE942ELNS1_3gpuE9ELNS1_3repE0EEENS1_30default_config_static_selectorELNS0_4arch9wavefront6targetE0EEEvT1_, .Lfunc_end985-_ZN7rocprim17ROCPRIM_400000_NS6detail17trampoline_kernelINS0_14default_configENS1_27scan_by_key_config_selectorIssEEZZNS1_16scan_by_key_implILNS1_25lookback_scan_determinismE0ELb0ES3_N6thrust23THRUST_200600_302600_NS6detail15normal_iteratorINS9_10device_ptrIsEEEENS9_18transform_iteratorINS9_6negateIsEESE_NS9_11use_defaultESI_EESE_sNS9_4plusIvEENS9_8equal_toIvEEsEE10hipError_tPvRmT2_T3_T4_T5_mT6_T7_P12ihipStream_tbENKUlT_T0_E_clISt17integral_constantIbLb1EES13_IbLb0EEEEDaSZ_S10_EUlSZ_E_NS1_11comp_targetILNS1_3genE5ELNS1_11target_archE942ELNS1_3gpuE9ELNS1_3repE0EEENS1_30default_config_static_selectorELNS0_4arch9wavefront6targetE0EEEvT1_
                                        ; -- End function
	.set _ZN7rocprim17ROCPRIM_400000_NS6detail17trampoline_kernelINS0_14default_configENS1_27scan_by_key_config_selectorIssEEZZNS1_16scan_by_key_implILNS1_25lookback_scan_determinismE0ELb0ES3_N6thrust23THRUST_200600_302600_NS6detail15normal_iteratorINS9_10device_ptrIsEEEENS9_18transform_iteratorINS9_6negateIsEESE_NS9_11use_defaultESI_EESE_sNS9_4plusIvEENS9_8equal_toIvEEsEE10hipError_tPvRmT2_T3_T4_T5_mT6_T7_P12ihipStream_tbENKUlT_T0_E_clISt17integral_constantIbLb1EES13_IbLb0EEEEDaSZ_S10_EUlSZ_E_NS1_11comp_targetILNS1_3genE5ELNS1_11target_archE942ELNS1_3gpuE9ELNS1_3repE0EEENS1_30default_config_static_selectorELNS0_4arch9wavefront6targetE0EEEvT1_.num_vgpr, 0
	.set _ZN7rocprim17ROCPRIM_400000_NS6detail17trampoline_kernelINS0_14default_configENS1_27scan_by_key_config_selectorIssEEZZNS1_16scan_by_key_implILNS1_25lookback_scan_determinismE0ELb0ES3_N6thrust23THRUST_200600_302600_NS6detail15normal_iteratorINS9_10device_ptrIsEEEENS9_18transform_iteratorINS9_6negateIsEESE_NS9_11use_defaultESI_EESE_sNS9_4plusIvEENS9_8equal_toIvEEsEE10hipError_tPvRmT2_T3_T4_T5_mT6_T7_P12ihipStream_tbENKUlT_T0_E_clISt17integral_constantIbLb1EES13_IbLb0EEEEDaSZ_S10_EUlSZ_E_NS1_11comp_targetILNS1_3genE5ELNS1_11target_archE942ELNS1_3gpuE9ELNS1_3repE0EEENS1_30default_config_static_selectorELNS0_4arch9wavefront6targetE0EEEvT1_.num_agpr, 0
	.set _ZN7rocprim17ROCPRIM_400000_NS6detail17trampoline_kernelINS0_14default_configENS1_27scan_by_key_config_selectorIssEEZZNS1_16scan_by_key_implILNS1_25lookback_scan_determinismE0ELb0ES3_N6thrust23THRUST_200600_302600_NS6detail15normal_iteratorINS9_10device_ptrIsEEEENS9_18transform_iteratorINS9_6negateIsEESE_NS9_11use_defaultESI_EESE_sNS9_4plusIvEENS9_8equal_toIvEEsEE10hipError_tPvRmT2_T3_T4_T5_mT6_T7_P12ihipStream_tbENKUlT_T0_E_clISt17integral_constantIbLb1EES13_IbLb0EEEEDaSZ_S10_EUlSZ_E_NS1_11comp_targetILNS1_3genE5ELNS1_11target_archE942ELNS1_3gpuE9ELNS1_3repE0EEENS1_30default_config_static_selectorELNS0_4arch9wavefront6targetE0EEEvT1_.numbered_sgpr, 0
	.set _ZN7rocprim17ROCPRIM_400000_NS6detail17trampoline_kernelINS0_14default_configENS1_27scan_by_key_config_selectorIssEEZZNS1_16scan_by_key_implILNS1_25lookback_scan_determinismE0ELb0ES3_N6thrust23THRUST_200600_302600_NS6detail15normal_iteratorINS9_10device_ptrIsEEEENS9_18transform_iteratorINS9_6negateIsEESE_NS9_11use_defaultESI_EESE_sNS9_4plusIvEENS9_8equal_toIvEEsEE10hipError_tPvRmT2_T3_T4_T5_mT6_T7_P12ihipStream_tbENKUlT_T0_E_clISt17integral_constantIbLb1EES13_IbLb0EEEEDaSZ_S10_EUlSZ_E_NS1_11comp_targetILNS1_3genE5ELNS1_11target_archE942ELNS1_3gpuE9ELNS1_3repE0EEENS1_30default_config_static_selectorELNS0_4arch9wavefront6targetE0EEEvT1_.num_named_barrier, 0
	.set _ZN7rocprim17ROCPRIM_400000_NS6detail17trampoline_kernelINS0_14default_configENS1_27scan_by_key_config_selectorIssEEZZNS1_16scan_by_key_implILNS1_25lookback_scan_determinismE0ELb0ES3_N6thrust23THRUST_200600_302600_NS6detail15normal_iteratorINS9_10device_ptrIsEEEENS9_18transform_iteratorINS9_6negateIsEESE_NS9_11use_defaultESI_EESE_sNS9_4plusIvEENS9_8equal_toIvEEsEE10hipError_tPvRmT2_T3_T4_T5_mT6_T7_P12ihipStream_tbENKUlT_T0_E_clISt17integral_constantIbLb1EES13_IbLb0EEEEDaSZ_S10_EUlSZ_E_NS1_11comp_targetILNS1_3genE5ELNS1_11target_archE942ELNS1_3gpuE9ELNS1_3repE0EEENS1_30default_config_static_selectorELNS0_4arch9wavefront6targetE0EEEvT1_.private_seg_size, 0
	.set _ZN7rocprim17ROCPRIM_400000_NS6detail17trampoline_kernelINS0_14default_configENS1_27scan_by_key_config_selectorIssEEZZNS1_16scan_by_key_implILNS1_25lookback_scan_determinismE0ELb0ES3_N6thrust23THRUST_200600_302600_NS6detail15normal_iteratorINS9_10device_ptrIsEEEENS9_18transform_iteratorINS9_6negateIsEESE_NS9_11use_defaultESI_EESE_sNS9_4plusIvEENS9_8equal_toIvEEsEE10hipError_tPvRmT2_T3_T4_T5_mT6_T7_P12ihipStream_tbENKUlT_T0_E_clISt17integral_constantIbLb1EES13_IbLb0EEEEDaSZ_S10_EUlSZ_E_NS1_11comp_targetILNS1_3genE5ELNS1_11target_archE942ELNS1_3gpuE9ELNS1_3repE0EEENS1_30default_config_static_selectorELNS0_4arch9wavefront6targetE0EEEvT1_.uses_vcc, 0
	.set _ZN7rocprim17ROCPRIM_400000_NS6detail17trampoline_kernelINS0_14default_configENS1_27scan_by_key_config_selectorIssEEZZNS1_16scan_by_key_implILNS1_25lookback_scan_determinismE0ELb0ES3_N6thrust23THRUST_200600_302600_NS6detail15normal_iteratorINS9_10device_ptrIsEEEENS9_18transform_iteratorINS9_6negateIsEESE_NS9_11use_defaultESI_EESE_sNS9_4plusIvEENS9_8equal_toIvEEsEE10hipError_tPvRmT2_T3_T4_T5_mT6_T7_P12ihipStream_tbENKUlT_T0_E_clISt17integral_constantIbLb1EES13_IbLb0EEEEDaSZ_S10_EUlSZ_E_NS1_11comp_targetILNS1_3genE5ELNS1_11target_archE942ELNS1_3gpuE9ELNS1_3repE0EEENS1_30default_config_static_selectorELNS0_4arch9wavefront6targetE0EEEvT1_.uses_flat_scratch, 0
	.set _ZN7rocprim17ROCPRIM_400000_NS6detail17trampoline_kernelINS0_14default_configENS1_27scan_by_key_config_selectorIssEEZZNS1_16scan_by_key_implILNS1_25lookback_scan_determinismE0ELb0ES3_N6thrust23THRUST_200600_302600_NS6detail15normal_iteratorINS9_10device_ptrIsEEEENS9_18transform_iteratorINS9_6negateIsEESE_NS9_11use_defaultESI_EESE_sNS9_4plusIvEENS9_8equal_toIvEEsEE10hipError_tPvRmT2_T3_T4_T5_mT6_T7_P12ihipStream_tbENKUlT_T0_E_clISt17integral_constantIbLb1EES13_IbLb0EEEEDaSZ_S10_EUlSZ_E_NS1_11comp_targetILNS1_3genE5ELNS1_11target_archE942ELNS1_3gpuE9ELNS1_3repE0EEENS1_30default_config_static_selectorELNS0_4arch9wavefront6targetE0EEEvT1_.has_dyn_sized_stack, 0
	.set _ZN7rocprim17ROCPRIM_400000_NS6detail17trampoline_kernelINS0_14default_configENS1_27scan_by_key_config_selectorIssEEZZNS1_16scan_by_key_implILNS1_25lookback_scan_determinismE0ELb0ES3_N6thrust23THRUST_200600_302600_NS6detail15normal_iteratorINS9_10device_ptrIsEEEENS9_18transform_iteratorINS9_6negateIsEESE_NS9_11use_defaultESI_EESE_sNS9_4plusIvEENS9_8equal_toIvEEsEE10hipError_tPvRmT2_T3_T4_T5_mT6_T7_P12ihipStream_tbENKUlT_T0_E_clISt17integral_constantIbLb1EES13_IbLb0EEEEDaSZ_S10_EUlSZ_E_NS1_11comp_targetILNS1_3genE5ELNS1_11target_archE942ELNS1_3gpuE9ELNS1_3repE0EEENS1_30default_config_static_selectorELNS0_4arch9wavefront6targetE0EEEvT1_.has_recursion, 0
	.set _ZN7rocprim17ROCPRIM_400000_NS6detail17trampoline_kernelINS0_14default_configENS1_27scan_by_key_config_selectorIssEEZZNS1_16scan_by_key_implILNS1_25lookback_scan_determinismE0ELb0ES3_N6thrust23THRUST_200600_302600_NS6detail15normal_iteratorINS9_10device_ptrIsEEEENS9_18transform_iteratorINS9_6negateIsEESE_NS9_11use_defaultESI_EESE_sNS9_4plusIvEENS9_8equal_toIvEEsEE10hipError_tPvRmT2_T3_T4_T5_mT6_T7_P12ihipStream_tbENKUlT_T0_E_clISt17integral_constantIbLb1EES13_IbLb0EEEEDaSZ_S10_EUlSZ_E_NS1_11comp_targetILNS1_3genE5ELNS1_11target_archE942ELNS1_3gpuE9ELNS1_3repE0EEENS1_30default_config_static_selectorELNS0_4arch9wavefront6targetE0EEEvT1_.has_indirect_call, 0
	.section	.AMDGPU.csdata,"",@progbits
; Kernel info:
; codeLenInByte = 0
; TotalNumSgprs: 0
; NumVgprs: 0
; ScratchSize: 0
; MemoryBound: 0
; FloatMode: 240
; IeeeMode: 1
; LDSByteSize: 0 bytes/workgroup (compile time only)
; SGPRBlocks: 0
; VGPRBlocks: 0
; NumSGPRsForWavesPerEU: 1
; NumVGPRsForWavesPerEU: 1
; NamedBarCnt: 0
; Occupancy: 16
; WaveLimiterHint : 0
; COMPUTE_PGM_RSRC2:SCRATCH_EN: 0
; COMPUTE_PGM_RSRC2:USER_SGPR: 2
; COMPUTE_PGM_RSRC2:TRAP_HANDLER: 0
; COMPUTE_PGM_RSRC2:TGID_X_EN: 1
; COMPUTE_PGM_RSRC2:TGID_Y_EN: 0
; COMPUTE_PGM_RSRC2:TGID_Z_EN: 0
; COMPUTE_PGM_RSRC2:TIDIG_COMP_CNT: 0
	.section	.text._ZN7rocprim17ROCPRIM_400000_NS6detail17trampoline_kernelINS0_14default_configENS1_27scan_by_key_config_selectorIssEEZZNS1_16scan_by_key_implILNS1_25lookback_scan_determinismE0ELb0ES3_N6thrust23THRUST_200600_302600_NS6detail15normal_iteratorINS9_10device_ptrIsEEEENS9_18transform_iteratorINS9_6negateIsEESE_NS9_11use_defaultESI_EESE_sNS9_4plusIvEENS9_8equal_toIvEEsEE10hipError_tPvRmT2_T3_T4_T5_mT6_T7_P12ihipStream_tbENKUlT_T0_E_clISt17integral_constantIbLb1EES13_IbLb0EEEEDaSZ_S10_EUlSZ_E_NS1_11comp_targetILNS1_3genE4ELNS1_11target_archE910ELNS1_3gpuE8ELNS1_3repE0EEENS1_30default_config_static_selectorELNS0_4arch9wavefront6targetE0EEEvT1_,"axG",@progbits,_ZN7rocprim17ROCPRIM_400000_NS6detail17trampoline_kernelINS0_14default_configENS1_27scan_by_key_config_selectorIssEEZZNS1_16scan_by_key_implILNS1_25lookback_scan_determinismE0ELb0ES3_N6thrust23THRUST_200600_302600_NS6detail15normal_iteratorINS9_10device_ptrIsEEEENS9_18transform_iteratorINS9_6negateIsEESE_NS9_11use_defaultESI_EESE_sNS9_4plusIvEENS9_8equal_toIvEEsEE10hipError_tPvRmT2_T3_T4_T5_mT6_T7_P12ihipStream_tbENKUlT_T0_E_clISt17integral_constantIbLb1EES13_IbLb0EEEEDaSZ_S10_EUlSZ_E_NS1_11comp_targetILNS1_3genE4ELNS1_11target_archE910ELNS1_3gpuE8ELNS1_3repE0EEENS1_30default_config_static_selectorELNS0_4arch9wavefront6targetE0EEEvT1_,comdat
	.protected	_ZN7rocprim17ROCPRIM_400000_NS6detail17trampoline_kernelINS0_14default_configENS1_27scan_by_key_config_selectorIssEEZZNS1_16scan_by_key_implILNS1_25lookback_scan_determinismE0ELb0ES3_N6thrust23THRUST_200600_302600_NS6detail15normal_iteratorINS9_10device_ptrIsEEEENS9_18transform_iteratorINS9_6negateIsEESE_NS9_11use_defaultESI_EESE_sNS9_4plusIvEENS9_8equal_toIvEEsEE10hipError_tPvRmT2_T3_T4_T5_mT6_T7_P12ihipStream_tbENKUlT_T0_E_clISt17integral_constantIbLb1EES13_IbLb0EEEEDaSZ_S10_EUlSZ_E_NS1_11comp_targetILNS1_3genE4ELNS1_11target_archE910ELNS1_3gpuE8ELNS1_3repE0EEENS1_30default_config_static_selectorELNS0_4arch9wavefront6targetE0EEEvT1_ ; -- Begin function _ZN7rocprim17ROCPRIM_400000_NS6detail17trampoline_kernelINS0_14default_configENS1_27scan_by_key_config_selectorIssEEZZNS1_16scan_by_key_implILNS1_25lookback_scan_determinismE0ELb0ES3_N6thrust23THRUST_200600_302600_NS6detail15normal_iteratorINS9_10device_ptrIsEEEENS9_18transform_iteratorINS9_6negateIsEESE_NS9_11use_defaultESI_EESE_sNS9_4plusIvEENS9_8equal_toIvEEsEE10hipError_tPvRmT2_T3_T4_T5_mT6_T7_P12ihipStream_tbENKUlT_T0_E_clISt17integral_constantIbLb1EES13_IbLb0EEEEDaSZ_S10_EUlSZ_E_NS1_11comp_targetILNS1_3genE4ELNS1_11target_archE910ELNS1_3gpuE8ELNS1_3repE0EEENS1_30default_config_static_selectorELNS0_4arch9wavefront6targetE0EEEvT1_
	.globl	_ZN7rocprim17ROCPRIM_400000_NS6detail17trampoline_kernelINS0_14default_configENS1_27scan_by_key_config_selectorIssEEZZNS1_16scan_by_key_implILNS1_25lookback_scan_determinismE0ELb0ES3_N6thrust23THRUST_200600_302600_NS6detail15normal_iteratorINS9_10device_ptrIsEEEENS9_18transform_iteratorINS9_6negateIsEESE_NS9_11use_defaultESI_EESE_sNS9_4plusIvEENS9_8equal_toIvEEsEE10hipError_tPvRmT2_T3_T4_T5_mT6_T7_P12ihipStream_tbENKUlT_T0_E_clISt17integral_constantIbLb1EES13_IbLb0EEEEDaSZ_S10_EUlSZ_E_NS1_11comp_targetILNS1_3genE4ELNS1_11target_archE910ELNS1_3gpuE8ELNS1_3repE0EEENS1_30default_config_static_selectorELNS0_4arch9wavefront6targetE0EEEvT1_
	.p2align	8
	.type	_ZN7rocprim17ROCPRIM_400000_NS6detail17trampoline_kernelINS0_14default_configENS1_27scan_by_key_config_selectorIssEEZZNS1_16scan_by_key_implILNS1_25lookback_scan_determinismE0ELb0ES3_N6thrust23THRUST_200600_302600_NS6detail15normal_iteratorINS9_10device_ptrIsEEEENS9_18transform_iteratorINS9_6negateIsEESE_NS9_11use_defaultESI_EESE_sNS9_4plusIvEENS9_8equal_toIvEEsEE10hipError_tPvRmT2_T3_T4_T5_mT6_T7_P12ihipStream_tbENKUlT_T0_E_clISt17integral_constantIbLb1EES13_IbLb0EEEEDaSZ_S10_EUlSZ_E_NS1_11comp_targetILNS1_3genE4ELNS1_11target_archE910ELNS1_3gpuE8ELNS1_3repE0EEENS1_30default_config_static_selectorELNS0_4arch9wavefront6targetE0EEEvT1_,@function
_ZN7rocprim17ROCPRIM_400000_NS6detail17trampoline_kernelINS0_14default_configENS1_27scan_by_key_config_selectorIssEEZZNS1_16scan_by_key_implILNS1_25lookback_scan_determinismE0ELb0ES3_N6thrust23THRUST_200600_302600_NS6detail15normal_iteratorINS9_10device_ptrIsEEEENS9_18transform_iteratorINS9_6negateIsEESE_NS9_11use_defaultESI_EESE_sNS9_4plusIvEENS9_8equal_toIvEEsEE10hipError_tPvRmT2_T3_T4_T5_mT6_T7_P12ihipStream_tbENKUlT_T0_E_clISt17integral_constantIbLb1EES13_IbLb0EEEEDaSZ_S10_EUlSZ_E_NS1_11comp_targetILNS1_3genE4ELNS1_11target_archE910ELNS1_3gpuE8ELNS1_3repE0EEENS1_30default_config_static_selectorELNS0_4arch9wavefront6targetE0EEEvT1_: ; @_ZN7rocprim17ROCPRIM_400000_NS6detail17trampoline_kernelINS0_14default_configENS1_27scan_by_key_config_selectorIssEEZZNS1_16scan_by_key_implILNS1_25lookback_scan_determinismE0ELb0ES3_N6thrust23THRUST_200600_302600_NS6detail15normal_iteratorINS9_10device_ptrIsEEEENS9_18transform_iteratorINS9_6negateIsEESE_NS9_11use_defaultESI_EESE_sNS9_4plusIvEENS9_8equal_toIvEEsEE10hipError_tPvRmT2_T3_T4_T5_mT6_T7_P12ihipStream_tbENKUlT_T0_E_clISt17integral_constantIbLb1EES13_IbLb0EEEEDaSZ_S10_EUlSZ_E_NS1_11comp_targetILNS1_3genE4ELNS1_11target_archE910ELNS1_3gpuE8ELNS1_3repE0EEENS1_30default_config_static_selectorELNS0_4arch9wavefront6targetE0EEEvT1_
; %bb.0:
	.section	.rodata,"a",@progbits
	.p2align	6, 0x0
	.amdhsa_kernel _ZN7rocprim17ROCPRIM_400000_NS6detail17trampoline_kernelINS0_14default_configENS1_27scan_by_key_config_selectorIssEEZZNS1_16scan_by_key_implILNS1_25lookback_scan_determinismE0ELb0ES3_N6thrust23THRUST_200600_302600_NS6detail15normal_iteratorINS9_10device_ptrIsEEEENS9_18transform_iteratorINS9_6negateIsEESE_NS9_11use_defaultESI_EESE_sNS9_4plusIvEENS9_8equal_toIvEEsEE10hipError_tPvRmT2_T3_T4_T5_mT6_T7_P12ihipStream_tbENKUlT_T0_E_clISt17integral_constantIbLb1EES13_IbLb0EEEEDaSZ_S10_EUlSZ_E_NS1_11comp_targetILNS1_3genE4ELNS1_11target_archE910ELNS1_3gpuE8ELNS1_3repE0EEENS1_30default_config_static_selectorELNS0_4arch9wavefront6targetE0EEEvT1_
		.amdhsa_group_segment_fixed_size 0
		.amdhsa_private_segment_fixed_size 0
		.amdhsa_kernarg_size 120
		.amdhsa_user_sgpr_count 2
		.amdhsa_user_sgpr_dispatch_ptr 0
		.amdhsa_user_sgpr_queue_ptr 0
		.amdhsa_user_sgpr_kernarg_segment_ptr 1
		.amdhsa_user_sgpr_dispatch_id 0
		.amdhsa_user_sgpr_kernarg_preload_length 0
		.amdhsa_user_sgpr_kernarg_preload_offset 0
		.amdhsa_user_sgpr_private_segment_size 0
		.amdhsa_wavefront_size32 1
		.amdhsa_uses_dynamic_stack 0
		.amdhsa_enable_private_segment 0
		.amdhsa_system_sgpr_workgroup_id_x 1
		.amdhsa_system_sgpr_workgroup_id_y 0
		.amdhsa_system_sgpr_workgroup_id_z 0
		.amdhsa_system_sgpr_workgroup_info 0
		.amdhsa_system_vgpr_workitem_id 0
		.amdhsa_next_free_vgpr 1
		.amdhsa_next_free_sgpr 1
		.amdhsa_named_barrier_count 0
		.amdhsa_reserve_vcc 0
		.amdhsa_float_round_mode_32 0
		.amdhsa_float_round_mode_16_64 0
		.amdhsa_float_denorm_mode_32 3
		.amdhsa_float_denorm_mode_16_64 3
		.amdhsa_fp16_overflow 0
		.amdhsa_memory_ordered 1
		.amdhsa_forward_progress 1
		.amdhsa_inst_pref_size 0
		.amdhsa_round_robin_scheduling 0
		.amdhsa_exception_fp_ieee_invalid_op 0
		.amdhsa_exception_fp_denorm_src 0
		.amdhsa_exception_fp_ieee_div_zero 0
		.amdhsa_exception_fp_ieee_overflow 0
		.amdhsa_exception_fp_ieee_underflow 0
		.amdhsa_exception_fp_ieee_inexact 0
		.amdhsa_exception_int_div_zero 0
	.end_amdhsa_kernel
	.section	.text._ZN7rocprim17ROCPRIM_400000_NS6detail17trampoline_kernelINS0_14default_configENS1_27scan_by_key_config_selectorIssEEZZNS1_16scan_by_key_implILNS1_25lookback_scan_determinismE0ELb0ES3_N6thrust23THRUST_200600_302600_NS6detail15normal_iteratorINS9_10device_ptrIsEEEENS9_18transform_iteratorINS9_6negateIsEESE_NS9_11use_defaultESI_EESE_sNS9_4plusIvEENS9_8equal_toIvEEsEE10hipError_tPvRmT2_T3_T4_T5_mT6_T7_P12ihipStream_tbENKUlT_T0_E_clISt17integral_constantIbLb1EES13_IbLb0EEEEDaSZ_S10_EUlSZ_E_NS1_11comp_targetILNS1_3genE4ELNS1_11target_archE910ELNS1_3gpuE8ELNS1_3repE0EEENS1_30default_config_static_selectorELNS0_4arch9wavefront6targetE0EEEvT1_,"axG",@progbits,_ZN7rocprim17ROCPRIM_400000_NS6detail17trampoline_kernelINS0_14default_configENS1_27scan_by_key_config_selectorIssEEZZNS1_16scan_by_key_implILNS1_25lookback_scan_determinismE0ELb0ES3_N6thrust23THRUST_200600_302600_NS6detail15normal_iteratorINS9_10device_ptrIsEEEENS9_18transform_iteratorINS9_6negateIsEESE_NS9_11use_defaultESI_EESE_sNS9_4plusIvEENS9_8equal_toIvEEsEE10hipError_tPvRmT2_T3_T4_T5_mT6_T7_P12ihipStream_tbENKUlT_T0_E_clISt17integral_constantIbLb1EES13_IbLb0EEEEDaSZ_S10_EUlSZ_E_NS1_11comp_targetILNS1_3genE4ELNS1_11target_archE910ELNS1_3gpuE8ELNS1_3repE0EEENS1_30default_config_static_selectorELNS0_4arch9wavefront6targetE0EEEvT1_,comdat
.Lfunc_end986:
	.size	_ZN7rocprim17ROCPRIM_400000_NS6detail17trampoline_kernelINS0_14default_configENS1_27scan_by_key_config_selectorIssEEZZNS1_16scan_by_key_implILNS1_25lookback_scan_determinismE0ELb0ES3_N6thrust23THRUST_200600_302600_NS6detail15normal_iteratorINS9_10device_ptrIsEEEENS9_18transform_iteratorINS9_6negateIsEESE_NS9_11use_defaultESI_EESE_sNS9_4plusIvEENS9_8equal_toIvEEsEE10hipError_tPvRmT2_T3_T4_T5_mT6_T7_P12ihipStream_tbENKUlT_T0_E_clISt17integral_constantIbLb1EES13_IbLb0EEEEDaSZ_S10_EUlSZ_E_NS1_11comp_targetILNS1_3genE4ELNS1_11target_archE910ELNS1_3gpuE8ELNS1_3repE0EEENS1_30default_config_static_selectorELNS0_4arch9wavefront6targetE0EEEvT1_, .Lfunc_end986-_ZN7rocprim17ROCPRIM_400000_NS6detail17trampoline_kernelINS0_14default_configENS1_27scan_by_key_config_selectorIssEEZZNS1_16scan_by_key_implILNS1_25lookback_scan_determinismE0ELb0ES3_N6thrust23THRUST_200600_302600_NS6detail15normal_iteratorINS9_10device_ptrIsEEEENS9_18transform_iteratorINS9_6negateIsEESE_NS9_11use_defaultESI_EESE_sNS9_4plusIvEENS9_8equal_toIvEEsEE10hipError_tPvRmT2_T3_T4_T5_mT6_T7_P12ihipStream_tbENKUlT_T0_E_clISt17integral_constantIbLb1EES13_IbLb0EEEEDaSZ_S10_EUlSZ_E_NS1_11comp_targetILNS1_3genE4ELNS1_11target_archE910ELNS1_3gpuE8ELNS1_3repE0EEENS1_30default_config_static_selectorELNS0_4arch9wavefront6targetE0EEEvT1_
                                        ; -- End function
	.set _ZN7rocprim17ROCPRIM_400000_NS6detail17trampoline_kernelINS0_14default_configENS1_27scan_by_key_config_selectorIssEEZZNS1_16scan_by_key_implILNS1_25lookback_scan_determinismE0ELb0ES3_N6thrust23THRUST_200600_302600_NS6detail15normal_iteratorINS9_10device_ptrIsEEEENS9_18transform_iteratorINS9_6negateIsEESE_NS9_11use_defaultESI_EESE_sNS9_4plusIvEENS9_8equal_toIvEEsEE10hipError_tPvRmT2_T3_T4_T5_mT6_T7_P12ihipStream_tbENKUlT_T0_E_clISt17integral_constantIbLb1EES13_IbLb0EEEEDaSZ_S10_EUlSZ_E_NS1_11comp_targetILNS1_3genE4ELNS1_11target_archE910ELNS1_3gpuE8ELNS1_3repE0EEENS1_30default_config_static_selectorELNS0_4arch9wavefront6targetE0EEEvT1_.num_vgpr, 0
	.set _ZN7rocprim17ROCPRIM_400000_NS6detail17trampoline_kernelINS0_14default_configENS1_27scan_by_key_config_selectorIssEEZZNS1_16scan_by_key_implILNS1_25lookback_scan_determinismE0ELb0ES3_N6thrust23THRUST_200600_302600_NS6detail15normal_iteratorINS9_10device_ptrIsEEEENS9_18transform_iteratorINS9_6negateIsEESE_NS9_11use_defaultESI_EESE_sNS9_4plusIvEENS9_8equal_toIvEEsEE10hipError_tPvRmT2_T3_T4_T5_mT6_T7_P12ihipStream_tbENKUlT_T0_E_clISt17integral_constantIbLb1EES13_IbLb0EEEEDaSZ_S10_EUlSZ_E_NS1_11comp_targetILNS1_3genE4ELNS1_11target_archE910ELNS1_3gpuE8ELNS1_3repE0EEENS1_30default_config_static_selectorELNS0_4arch9wavefront6targetE0EEEvT1_.num_agpr, 0
	.set _ZN7rocprim17ROCPRIM_400000_NS6detail17trampoline_kernelINS0_14default_configENS1_27scan_by_key_config_selectorIssEEZZNS1_16scan_by_key_implILNS1_25lookback_scan_determinismE0ELb0ES3_N6thrust23THRUST_200600_302600_NS6detail15normal_iteratorINS9_10device_ptrIsEEEENS9_18transform_iteratorINS9_6negateIsEESE_NS9_11use_defaultESI_EESE_sNS9_4plusIvEENS9_8equal_toIvEEsEE10hipError_tPvRmT2_T3_T4_T5_mT6_T7_P12ihipStream_tbENKUlT_T0_E_clISt17integral_constantIbLb1EES13_IbLb0EEEEDaSZ_S10_EUlSZ_E_NS1_11comp_targetILNS1_3genE4ELNS1_11target_archE910ELNS1_3gpuE8ELNS1_3repE0EEENS1_30default_config_static_selectorELNS0_4arch9wavefront6targetE0EEEvT1_.numbered_sgpr, 0
	.set _ZN7rocprim17ROCPRIM_400000_NS6detail17trampoline_kernelINS0_14default_configENS1_27scan_by_key_config_selectorIssEEZZNS1_16scan_by_key_implILNS1_25lookback_scan_determinismE0ELb0ES3_N6thrust23THRUST_200600_302600_NS6detail15normal_iteratorINS9_10device_ptrIsEEEENS9_18transform_iteratorINS9_6negateIsEESE_NS9_11use_defaultESI_EESE_sNS9_4plusIvEENS9_8equal_toIvEEsEE10hipError_tPvRmT2_T3_T4_T5_mT6_T7_P12ihipStream_tbENKUlT_T0_E_clISt17integral_constantIbLb1EES13_IbLb0EEEEDaSZ_S10_EUlSZ_E_NS1_11comp_targetILNS1_3genE4ELNS1_11target_archE910ELNS1_3gpuE8ELNS1_3repE0EEENS1_30default_config_static_selectorELNS0_4arch9wavefront6targetE0EEEvT1_.num_named_barrier, 0
	.set _ZN7rocprim17ROCPRIM_400000_NS6detail17trampoline_kernelINS0_14default_configENS1_27scan_by_key_config_selectorIssEEZZNS1_16scan_by_key_implILNS1_25lookback_scan_determinismE0ELb0ES3_N6thrust23THRUST_200600_302600_NS6detail15normal_iteratorINS9_10device_ptrIsEEEENS9_18transform_iteratorINS9_6negateIsEESE_NS9_11use_defaultESI_EESE_sNS9_4plusIvEENS9_8equal_toIvEEsEE10hipError_tPvRmT2_T3_T4_T5_mT6_T7_P12ihipStream_tbENKUlT_T0_E_clISt17integral_constantIbLb1EES13_IbLb0EEEEDaSZ_S10_EUlSZ_E_NS1_11comp_targetILNS1_3genE4ELNS1_11target_archE910ELNS1_3gpuE8ELNS1_3repE0EEENS1_30default_config_static_selectorELNS0_4arch9wavefront6targetE0EEEvT1_.private_seg_size, 0
	.set _ZN7rocprim17ROCPRIM_400000_NS6detail17trampoline_kernelINS0_14default_configENS1_27scan_by_key_config_selectorIssEEZZNS1_16scan_by_key_implILNS1_25lookback_scan_determinismE0ELb0ES3_N6thrust23THRUST_200600_302600_NS6detail15normal_iteratorINS9_10device_ptrIsEEEENS9_18transform_iteratorINS9_6negateIsEESE_NS9_11use_defaultESI_EESE_sNS9_4plusIvEENS9_8equal_toIvEEsEE10hipError_tPvRmT2_T3_T4_T5_mT6_T7_P12ihipStream_tbENKUlT_T0_E_clISt17integral_constantIbLb1EES13_IbLb0EEEEDaSZ_S10_EUlSZ_E_NS1_11comp_targetILNS1_3genE4ELNS1_11target_archE910ELNS1_3gpuE8ELNS1_3repE0EEENS1_30default_config_static_selectorELNS0_4arch9wavefront6targetE0EEEvT1_.uses_vcc, 0
	.set _ZN7rocprim17ROCPRIM_400000_NS6detail17trampoline_kernelINS0_14default_configENS1_27scan_by_key_config_selectorIssEEZZNS1_16scan_by_key_implILNS1_25lookback_scan_determinismE0ELb0ES3_N6thrust23THRUST_200600_302600_NS6detail15normal_iteratorINS9_10device_ptrIsEEEENS9_18transform_iteratorINS9_6negateIsEESE_NS9_11use_defaultESI_EESE_sNS9_4plusIvEENS9_8equal_toIvEEsEE10hipError_tPvRmT2_T3_T4_T5_mT6_T7_P12ihipStream_tbENKUlT_T0_E_clISt17integral_constantIbLb1EES13_IbLb0EEEEDaSZ_S10_EUlSZ_E_NS1_11comp_targetILNS1_3genE4ELNS1_11target_archE910ELNS1_3gpuE8ELNS1_3repE0EEENS1_30default_config_static_selectorELNS0_4arch9wavefront6targetE0EEEvT1_.uses_flat_scratch, 0
	.set _ZN7rocprim17ROCPRIM_400000_NS6detail17trampoline_kernelINS0_14default_configENS1_27scan_by_key_config_selectorIssEEZZNS1_16scan_by_key_implILNS1_25lookback_scan_determinismE0ELb0ES3_N6thrust23THRUST_200600_302600_NS6detail15normal_iteratorINS9_10device_ptrIsEEEENS9_18transform_iteratorINS9_6negateIsEESE_NS9_11use_defaultESI_EESE_sNS9_4plusIvEENS9_8equal_toIvEEsEE10hipError_tPvRmT2_T3_T4_T5_mT6_T7_P12ihipStream_tbENKUlT_T0_E_clISt17integral_constantIbLb1EES13_IbLb0EEEEDaSZ_S10_EUlSZ_E_NS1_11comp_targetILNS1_3genE4ELNS1_11target_archE910ELNS1_3gpuE8ELNS1_3repE0EEENS1_30default_config_static_selectorELNS0_4arch9wavefront6targetE0EEEvT1_.has_dyn_sized_stack, 0
	.set _ZN7rocprim17ROCPRIM_400000_NS6detail17trampoline_kernelINS0_14default_configENS1_27scan_by_key_config_selectorIssEEZZNS1_16scan_by_key_implILNS1_25lookback_scan_determinismE0ELb0ES3_N6thrust23THRUST_200600_302600_NS6detail15normal_iteratorINS9_10device_ptrIsEEEENS9_18transform_iteratorINS9_6negateIsEESE_NS9_11use_defaultESI_EESE_sNS9_4plusIvEENS9_8equal_toIvEEsEE10hipError_tPvRmT2_T3_T4_T5_mT6_T7_P12ihipStream_tbENKUlT_T0_E_clISt17integral_constantIbLb1EES13_IbLb0EEEEDaSZ_S10_EUlSZ_E_NS1_11comp_targetILNS1_3genE4ELNS1_11target_archE910ELNS1_3gpuE8ELNS1_3repE0EEENS1_30default_config_static_selectorELNS0_4arch9wavefront6targetE0EEEvT1_.has_recursion, 0
	.set _ZN7rocprim17ROCPRIM_400000_NS6detail17trampoline_kernelINS0_14default_configENS1_27scan_by_key_config_selectorIssEEZZNS1_16scan_by_key_implILNS1_25lookback_scan_determinismE0ELb0ES3_N6thrust23THRUST_200600_302600_NS6detail15normal_iteratorINS9_10device_ptrIsEEEENS9_18transform_iteratorINS9_6negateIsEESE_NS9_11use_defaultESI_EESE_sNS9_4plusIvEENS9_8equal_toIvEEsEE10hipError_tPvRmT2_T3_T4_T5_mT6_T7_P12ihipStream_tbENKUlT_T0_E_clISt17integral_constantIbLb1EES13_IbLb0EEEEDaSZ_S10_EUlSZ_E_NS1_11comp_targetILNS1_3genE4ELNS1_11target_archE910ELNS1_3gpuE8ELNS1_3repE0EEENS1_30default_config_static_selectorELNS0_4arch9wavefront6targetE0EEEvT1_.has_indirect_call, 0
	.section	.AMDGPU.csdata,"",@progbits
; Kernel info:
; codeLenInByte = 0
; TotalNumSgprs: 0
; NumVgprs: 0
; ScratchSize: 0
; MemoryBound: 0
; FloatMode: 240
; IeeeMode: 1
; LDSByteSize: 0 bytes/workgroup (compile time only)
; SGPRBlocks: 0
; VGPRBlocks: 0
; NumSGPRsForWavesPerEU: 1
; NumVGPRsForWavesPerEU: 1
; NamedBarCnt: 0
; Occupancy: 16
; WaveLimiterHint : 0
; COMPUTE_PGM_RSRC2:SCRATCH_EN: 0
; COMPUTE_PGM_RSRC2:USER_SGPR: 2
; COMPUTE_PGM_RSRC2:TRAP_HANDLER: 0
; COMPUTE_PGM_RSRC2:TGID_X_EN: 1
; COMPUTE_PGM_RSRC2:TGID_Y_EN: 0
; COMPUTE_PGM_RSRC2:TGID_Z_EN: 0
; COMPUTE_PGM_RSRC2:TIDIG_COMP_CNT: 0
	.section	.text._ZN7rocprim17ROCPRIM_400000_NS6detail17trampoline_kernelINS0_14default_configENS1_27scan_by_key_config_selectorIssEEZZNS1_16scan_by_key_implILNS1_25lookback_scan_determinismE0ELb0ES3_N6thrust23THRUST_200600_302600_NS6detail15normal_iteratorINS9_10device_ptrIsEEEENS9_18transform_iteratorINS9_6negateIsEESE_NS9_11use_defaultESI_EESE_sNS9_4plusIvEENS9_8equal_toIvEEsEE10hipError_tPvRmT2_T3_T4_T5_mT6_T7_P12ihipStream_tbENKUlT_T0_E_clISt17integral_constantIbLb1EES13_IbLb0EEEEDaSZ_S10_EUlSZ_E_NS1_11comp_targetILNS1_3genE3ELNS1_11target_archE908ELNS1_3gpuE7ELNS1_3repE0EEENS1_30default_config_static_selectorELNS0_4arch9wavefront6targetE0EEEvT1_,"axG",@progbits,_ZN7rocprim17ROCPRIM_400000_NS6detail17trampoline_kernelINS0_14default_configENS1_27scan_by_key_config_selectorIssEEZZNS1_16scan_by_key_implILNS1_25lookback_scan_determinismE0ELb0ES3_N6thrust23THRUST_200600_302600_NS6detail15normal_iteratorINS9_10device_ptrIsEEEENS9_18transform_iteratorINS9_6negateIsEESE_NS9_11use_defaultESI_EESE_sNS9_4plusIvEENS9_8equal_toIvEEsEE10hipError_tPvRmT2_T3_T4_T5_mT6_T7_P12ihipStream_tbENKUlT_T0_E_clISt17integral_constantIbLb1EES13_IbLb0EEEEDaSZ_S10_EUlSZ_E_NS1_11comp_targetILNS1_3genE3ELNS1_11target_archE908ELNS1_3gpuE7ELNS1_3repE0EEENS1_30default_config_static_selectorELNS0_4arch9wavefront6targetE0EEEvT1_,comdat
	.protected	_ZN7rocprim17ROCPRIM_400000_NS6detail17trampoline_kernelINS0_14default_configENS1_27scan_by_key_config_selectorIssEEZZNS1_16scan_by_key_implILNS1_25lookback_scan_determinismE0ELb0ES3_N6thrust23THRUST_200600_302600_NS6detail15normal_iteratorINS9_10device_ptrIsEEEENS9_18transform_iteratorINS9_6negateIsEESE_NS9_11use_defaultESI_EESE_sNS9_4plusIvEENS9_8equal_toIvEEsEE10hipError_tPvRmT2_T3_T4_T5_mT6_T7_P12ihipStream_tbENKUlT_T0_E_clISt17integral_constantIbLb1EES13_IbLb0EEEEDaSZ_S10_EUlSZ_E_NS1_11comp_targetILNS1_3genE3ELNS1_11target_archE908ELNS1_3gpuE7ELNS1_3repE0EEENS1_30default_config_static_selectorELNS0_4arch9wavefront6targetE0EEEvT1_ ; -- Begin function _ZN7rocprim17ROCPRIM_400000_NS6detail17trampoline_kernelINS0_14default_configENS1_27scan_by_key_config_selectorIssEEZZNS1_16scan_by_key_implILNS1_25lookback_scan_determinismE0ELb0ES3_N6thrust23THRUST_200600_302600_NS6detail15normal_iteratorINS9_10device_ptrIsEEEENS9_18transform_iteratorINS9_6negateIsEESE_NS9_11use_defaultESI_EESE_sNS9_4plusIvEENS9_8equal_toIvEEsEE10hipError_tPvRmT2_T3_T4_T5_mT6_T7_P12ihipStream_tbENKUlT_T0_E_clISt17integral_constantIbLb1EES13_IbLb0EEEEDaSZ_S10_EUlSZ_E_NS1_11comp_targetILNS1_3genE3ELNS1_11target_archE908ELNS1_3gpuE7ELNS1_3repE0EEENS1_30default_config_static_selectorELNS0_4arch9wavefront6targetE0EEEvT1_
	.globl	_ZN7rocprim17ROCPRIM_400000_NS6detail17trampoline_kernelINS0_14default_configENS1_27scan_by_key_config_selectorIssEEZZNS1_16scan_by_key_implILNS1_25lookback_scan_determinismE0ELb0ES3_N6thrust23THRUST_200600_302600_NS6detail15normal_iteratorINS9_10device_ptrIsEEEENS9_18transform_iteratorINS9_6negateIsEESE_NS9_11use_defaultESI_EESE_sNS9_4plusIvEENS9_8equal_toIvEEsEE10hipError_tPvRmT2_T3_T4_T5_mT6_T7_P12ihipStream_tbENKUlT_T0_E_clISt17integral_constantIbLb1EES13_IbLb0EEEEDaSZ_S10_EUlSZ_E_NS1_11comp_targetILNS1_3genE3ELNS1_11target_archE908ELNS1_3gpuE7ELNS1_3repE0EEENS1_30default_config_static_selectorELNS0_4arch9wavefront6targetE0EEEvT1_
	.p2align	8
	.type	_ZN7rocprim17ROCPRIM_400000_NS6detail17trampoline_kernelINS0_14default_configENS1_27scan_by_key_config_selectorIssEEZZNS1_16scan_by_key_implILNS1_25lookback_scan_determinismE0ELb0ES3_N6thrust23THRUST_200600_302600_NS6detail15normal_iteratorINS9_10device_ptrIsEEEENS9_18transform_iteratorINS9_6negateIsEESE_NS9_11use_defaultESI_EESE_sNS9_4plusIvEENS9_8equal_toIvEEsEE10hipError_tPvRmT2_T3_T4_T5_mT6_T7_P12ihipStream_tbENKUlT_T0_E_clISt17integral_constantIbLb1EES13_IbLb0EEEEDaSZ_S10_EUlSZ_E_NS1_11comp_targetILNS1_3genE3ELNS1_11target_archE908ELNS1_3gpuE7ELNS1_3repE0EEENS1_30default_config_static_selectorELNS0_4arch9wavefront6targetE0EEEvT1_,@function
_ZN7rocprim17ROCPRIM_400000_NS6detail17trampoline_kernelINS0_14default_configENS1_27scan_by_key_config_selectorIssEEZZNS1_16scan_by_key_implILNS1_25lookback_scan_determinismE0ELb0ES3_N6thrust23THRUST_200600_302600_NS6detail15normal_iteratorINS9_10device_ptrIsEEEENS9_18transform_iteratorINS9_6negateIsEESE_NS9_11use_defaultESI_EESE_sNS9_4plusIvEENS9_8equal_toIvEEsEE10hipError_tPvRmT2_T3_T4_T5_mT6_T7_P12ihipStream_tbENKUlT_T0_E_clISt17integral_constantIbLb1EES13_IbLb0EEEEDaSZ_S10_EUlSZ_E_NS1_11comp_targetILNS1_3genE3ELNS1_11target_archE908ELNS1_3gpuE7ELNS1_3repE0EEENS1_30default_config_static_selectorELNS0_4arch9wavefront6targetE0EEEvT1_: ; @_ZN7rocprim17ROCPRIM_400000_NS6detail17trampoline_kernelINS0_14default_configENS1_27scan_by_key_config_selectorIssEEZZNS1_16scan_by_key_implILNS1_25lookback_scan_determinismE0ELb0ES3_N6thrust23THRUST_200600_302600_NS6detail15normal_iteratorINS9_10device_ptrIsEEEENS9_18transform_iteratorINS9_6negateIsEESE_NS9_11use_defaultESI_EESE_sNS9_4plusIvEENS9_8equal_toIvEEsEE10hipError_tPvRmT2_T3_T4_T5_mT6_T7_P12ihipStream_tbENKUlT_T0_E_clISt17integral_constantIbLb1EES13_IbLb0EEEEDaSZ_S10_EUlSZ_E_NS1_11comp_targetILNS1_3genE3ELNS1_11target_archE908ELNS1_3gpuE7ELNS1_3repE0EEENS1_30default_config_static_selectorELNS0_4arch9wavefront6targetE0EEEvT1_
; %bb.0:
	.section	.rodata,"a",@progbits
	.p2align	6, 0x0
	.amdhsa_kernel _ZN7rocprim17ROCPRIM_400000_NS6detail17trampoline_kernelINS0_14default_configENS1_27scan_by_key_config_selectorIssEEZZNS1_16scan_by_key_implILNS1_25lookback_scan_determinismE0ELb0ES3_N6thrust23THRUST_200600_302600_NS6detail15normal_iteratorINS9_10device_ptrIsEEEENS9_18transform_iteratorINS9_6negateIsEESE_NS9_11use_defaultESI_EESE_sNS9_4plusIvEENS9_8equal_toIvEEsEE10hipError_tPvRmT2_T3_T4_T5_mT6_T7_P12ihipStream_tbENKUlT_T0_E_clISt17integral_constantIbLb1EES13_IbLb0EEEEDaSZ_S10_EUlSZ_E_NS1_11comp_targetILNS1_3genE3ELNS1_11target_archE908ELNS1_3gpuE7ELNS1_3repE0EEENS1_30default_config_static_selectorELNS0_4arch9wavefront6targetE0EEEvT1_
		.amdhsa_group_segment_fixed_size 0
		.amdhsa_private_segment_fixed_size 0
		.amdhsa_kernarg_size 120
		.amdhsa_user_sgpr_count 2
		.amdhsa_user_sgpr_dispatch_ptr 0
		.amdhsa_user_sgpr_queue_ptr 0
		.amdhsa_user_sgpr_kernarg_segment_ptr 1
		.amdhsa_user_sgpr_dispatch_id 0
		.amdhsa_user_sgpr_kernarg_preload_length 0
		.amdhsa_user_sgpr_kernarg_preload_offset 0
		.amdhsa_user_sgpr_private_segment_size 0
		.amdhsa_wavefront_size32 1
		.amdhsa_uses_dynamic_stack 0
		.amdhsa_enable_private_segment 0
		.amdhsa_system_sgpr_workgroup_id_x 1
		.amdhsa_system_sgpr_workgroup_id_y 0
		.amdhsa_system_sgpr_workgroup_id_z 0
		.amdhsa_system_sgpr_workgroup_info 0
		.amdhsa_system_vgpr_workitem_id 0
		.amdhsa_next_free_vgpr 1
		.amdhsa_next_free_sgpr 1
		.amdhsa_named_barrier_count 0
		.amdhsa_reserve_vcc 0
		.amdhsa_float_round_mode_32 0
		.amdhsa_float_round_mode_16_64 0
		.amdhsa_float_denorm_mode_32 3
		.amdhsa_float_denorm_mode_16_64 3
		.amdhsa_fp16_overflow 0
		.amdhsa_memory_ordered 1
		.amdhsa_forward_progress 1
		.amdhsa_inst_pref_size 0
		.amdhsa_round_robin_scheduling 0
		.amdhsa_exception_fp_ieee_invalid_op 0
		.amdhsa_exception_fp_denorm_src 0
		.amdhsa_exception_fp_ieee_div_zero 0
		.amdhsa_exception_fp_ieee_overflow 0
		.amdhsa_exception_fp_ieee_underflow 0
		.amdhsa_exception_fp_ieee_inexact 0
		.amdhsa_exception_int_div_zero 0
	.end_amdhsa_kernel
	.section	.text._ZN7rocprim17ROCPRIM_400000_NS6detail17trampoline_kernelINS0_14default_configENS1_27scan_by_key_config_selectorIssEEZZNS1_16scan_by_key_implILNS1_25lookback_scan_determinismE0ELb0ES3_N6thrust23THRUST_200600_302600_NS6detail15normal_iteratorINS9_10device_ptrIsEEEENS9_18transform_iteratorINS9_6negateIsEESE_NS9_11use_defaultESI_EESE_sNS9_4plusIvEENS9_8equal_toIvEEsEE10hipError_tPvRmT2_T3_T4_T5_mT6_T7_P12ihipStream_tbENKUlT_T0_E_clISt17integral_constantIbLb1EES13_IbLb0EEEEDaSZ_S10_EUlSZ_E_NS1_11comp_targetILNS1_3genE3ELNS1_11target_archE908ELNS1_3gpuE7ELNS1_3repE0EEENS1_30default_config_static_selectorELNS0_4arch9wavefront6targetE0EEEvT1_,"axG",@progbits,_ZN7rocprim17ROCPRIM_400000_NS6detail17trampoline_kernelINS0_14default_configENS1_27scan_by_key_config_selectorIssEEZZNS1_16scan_by_key_implILNS1_25lookback_scan_determinismE0ELb0ES3_N6thrust23THRUST_200600_302600_NS6detail15normal_iteratorINS9_10device_ptrIsEEEENS9_18transform_iteratorINS9_6negateIsEESE_NS9_11use_defaultESI_EESE_sNS9_4plusIvEENS9_8equal_toIvEEsEE10hipError_tPvRmT2_T3_T4_T5_mT6_T7_P12ihipStream_tbENKUlT_T0_E_clISt17integral_constantIbLb1EES13_IbLb0EEEEDaSZ_S10_EUlSZ_E_NS1_11comp_targetILNS1_3genE3ELNS1_11target_archE908ELNS1_3gpuE7ELNS1_3repE0EEENS1_30default_config_static_selectorELNS0_4arch9wavefront6targetE0EEEvT1_,comdat
.Lfunc_end987:
	.size	_ZN7rocprim17ROCPRIM_400000_NS6detail17trampoline_kernelINS0_14default_configENS1_27scan_by_key_config_selectorIssEEZZNS1_16scan_by_key_implILNS1_25lookback_scan_determinismE0ELb0ES3_N6thrust23THRUST_200600_302600_NS6detail15normal_iteratorINS9_10device_ptrIsEEEENS9_18transform_iteratorINS9_6negateIsEESE_NS9_11use_defaultESI_EESE_sNS9_4plusIvEENS9_8equal_toIvEEsEE10hipError_tPvRmT2_T3_T4_T5_mT6_T7_P12ihipStream_tbENKUlT_T0_E_clISt17integral_constantIbLb1EES13_IbLb0EEEEDaSZ_S10_EUlSZ_E_NS1_11comp_targetILNS1_3genE3ELNS1_11target_archE908ELNS1_3gpuE7ELNS1_3repE0EEENS1_30default_config_static_selectorELNS0_4arch9wavefront6targetE0EEEvT1_, .Lfunc_end987-_ZN7rocprim17ROCPRIM_400000_NS6detail17trampoline_kernelINS0_14default_configENS1_27scan_by_key_config_selectorIssEEZZNS1_16scan_by_key_implILNS1_25lookback_scan_determinismE0ELb0ES3_N6thrust23THRUST_200600_302600_NS6detail15normal_iteratorINS9_10device_ptrIsEEEENS9_18transform_iteratorINS9_6negateIsEESE_NS9_11use_defaultESI_EESE_sNS9_4plusIvEENS9_8equal_toIvEEsEE10hipError_tPvRmT2_T3_T4_T5_mT6_T7_P12ihipStream_tbENKUlT_T0_E_clISt17integral_constantIbLb1EES13_IbLb0EEEEDaSZ_S10_EUlSZ_E_NS1_11comp_targetILNS1_3genE3ELNS1_11target_archE908ELNS1_3gpuE7ELNS1_3repE0EEENS1_30default_config_static_selectorELNS0_4arch9wavefront6targetE0EEEvT1_
                                        ; -- End function
	.set _ZN7rocprim17ROCPRIM_400000_NS6detail17trampoline_kernelINS0_14default_configENS1_27scan_by_key_config_selectorIssEEZZNS1_16scan_by_key_implILNS1_25lookback_scan_determinismE0ELb0ES3_N6thrust23THRUST_200600_302600_NS6detail15normal_iteratorINS9_10device_ptrIsEEEENS9_18transform_iteratorINS9_6negateIsEESE_NS9_11use_defaultESI_EESE_sNS9_4plusIvEENS9_8equal_toIvEEsEE10hipError_tPvRmT2_T3_T4_T5_mT6_T7_P12ihipStream_tbENKUlT_T0_E_clISt17integral_constantIbLb1EES13_IbLb0EEEEDaSZ_S10_EUlSZ_E_NS1_11comp_targetILNS1_3genE3ELNS1_11target_archE908ELNS1_3gpuE7ELNS1_3repE0EEENS1_30default_config_static_selectorELNS0_4arch9wavefront6targetE0EEEvT1_.num_vgpr, 0
	.set _ZN7rocprim17ROCPRIM_400000_NS6detail17trampoline_kernelINS0_14default_configENS1_27scan_by_key_config_selectorIssEEZZNS1_16scan_by_key_implILNS1_25lookback_scan_determinismE0ELb0ES3_N6thrust23THRUST_200600_302600_NS6detail15normal_iteratorINS9_10device_ptrIsEEEENS9_18transform_iteratorINS9_6negateIsEESE_NS9_11use_defaultESI_EESE_sNS9_4plusIvEENS9_8equal_toIvEEsEE10hipError_tPvRmT2_T3_T4_T5_mT6_T7_P12ihipStream_tbENKUlT_T0_E_clISt17integral_constantIbLb1EES13_IbLb0EEEEDaSZ_S10_EUlSZ_E_NS1_11comp_targetILNS1_3genE3ELNS1_11target_archE908ELNS1_3gpuE7ELNS1_3repE0EEENS1_30default_config_static_selectorELNS0_4arch9wavefront6targetE0EEEvT1_.num_agpr, 0
	.set _ZN7rocprim17ROCPRIM_400000_NS6detail17trampoline_kernelINS0_14default_configENS1_27scan_by_key_config_selectorIssEEZZNS1_16scan_by_key_implILNS1_25lookback_scan_determinismE0ELb0ES3_N6thrust23THRUST_200600_302600_NS6detail15normal_iteratorINS9_10device_ptrIsEEEENS9_18transform_iteratorINS9_6negateIsEESE_NS9_11use_defaultESI_EESE_sNS9_4plusIvEENS9_8equal_toIvEEsEE10hipError_tPvRmT2_T3_T4_T5_mT6_T7_P12ihipStream_tbENKUlT_T0_E_clISt17integral_constantIbLb1EES13_IbLb0EEEEDaSZ_S10_EUlSZ_E_NS1_11comp_targetILNS1_3genE3ELNS1_11target_archE908ELNS1_3gpuE7ELNS1_3repE0EEENS1_30default_config_static_selectorELNS0_4arch9wavefront6targetE0EEEvT1_.numbered_sgpr, 0
	.set _ZN7rocprim17ROCPRIM_400000_NS6detail17trampoline_kernelINS0_14default_configENS1_27scan_by_key_config_selectorIssEEZZNS1_16scan_by_key_implILNS1_25lookback_scan_determinismE0ELb0ES3_N6thrust23THRUST_200600_302600_NS6detail15normal_iteratorINS9_10device_ptrIsEEEENS9_18transform_iteratorINS9_6negateIsEESE_NS9_11use_defaultESI_EESE_sNS9_4plusIvEENS9_8equal_toIvEEsEE10hipError_tPvRmT2_T3_T4_T5_mT6_T7_P12ihipStream_tbENKUlT_T0_E_clISt17integral_constantIbLb1EES13_IbLb0EEEEDaSZ_S10_EUlSZ_E_NS1_11comp_targetILNS1_3genE3ELNS1_11target_archE908ELNS1_3gpuE7ELNS1_3repE0EEENS1_30default_config_static_selectorELNS0_4arch9wavefront6targetE0EEEvT1_.num_named_barrier, 0
	.set _ZN7rocprim17ROCPRIM_400000_NS6detail17trampoline_kernelINS0_14default_configENS1_27scan_by_key_config_selectorIssEEZZNS1_16scan_by_key_implILNS1_25lookback_scan_determinismE0ELb0ES3_N6thrust23THRUST_200600_302600_NS6detail15normal_iteratorINS9_10device_ptrIsEEEENS9_18transform_iteratorINS9_6negateIsEESE_NS9_11use_defaultESI_EESE_sNS9_4plusIvEENS9_8equal_toIvEEsEE10hipError_tPvRmT2_T3_T4_T5_mT6_T7_P12ihipStream_tbENKUlT_T0_E_clISt17integral_constantIbLb1EES13_IbLb0EEEEDaSZ_S10_EUlSZ_E_NS1_11comp_targetILNS1_3genE3ELNS1_11target_archE908ELNS1_3gpuE7ELNS1_3repE0EEENS1_30default_config_static_selectorELNS0_4arch9wavefront6targetE0EEEvT1_.private_seg_size, 0
	.set _ZN7rocprim17ROCPRIM_400000_NS6detail17trampoline_kernelINS0_14default_configENS1_27scan_by_key_config_selectorIssEEZZNS1_16scan_by_key_implILNS1_25lookback_scan_determinismE0ELb0ES3_N6thrust23THRUST_200600_302600_NS6detail15normal_iteratorINS9_10device_ptrIsEEEENS9_18transform_iteratorINS9_6negateIsEESE_NS9_11use_defaultESI_EESE_sNS9_4plusIvEENS9_8equal_toIvEEsEE10hipError_tPvRmT2_T3_T4_T5_mT6_T7_P12ihipStream_tbENKUlT_T0_E_clISt17integral_constantIbLb1EES13_IbLb0EEEEDaSZ_S10_EUlSZ_E_NS1_11comp_targetILNS1_3genE3ELNS1_11target_archE908ELNS1_3gpuE7ELNS1_3repE0EEENS1_30default_config_static_selectorELNS0_4arch9wavefront6targetE0EEEvT1_.uses_vcc, 0
	.set _ZN7rocprim17ROCPRIM_400000_NS6detail17trampoline_kernelINS0_14default_configENS1_27scan_by_key_config_selectorIssEEZZNS1_16scan_by_key_implILNS1_25lookback_scan_determinismE0ELb0ES3_N6thrust23THRUST_200600_302600_NS6detail15normal_iteratorINS9_10device_ptrIsEEEENS9_18transform_iteratorINS9_6negateIsEESE_NS9_11use_defaultESI_EESE_sNS9_4plusIvEENS9_8equal_toIvEEsEE10hipError_tPvRmT2_T3_T4_T5_mT6_T7_P12ihipStream_tbENKUlT_T0_E_clISt17integral_constantIbLb1EES13_IbLb0EEEEDaSZ_S10_EUlSZ_E_NS1_11comp_targetILNS1_3genE3ELNS1_11target_archE908ELNS1_3gpuE7ELNS1_3repE0EEENS1_30default_config_static_selectorELNS0_4arch9wavefront6targetE0EEEvT1_.uses_flat_scratch, 0
	.set _ZN7rocprim17ROCPRIM_400000_NS6detail17trampoline_kernelINS0_14default_configENS1_27scan_by_key_config_selectorIssEEZZNS1_16scan_by_key_implILNS1_25lookback_scan_determinismE0ELb0ES3_N6thrust23THRUST_200600_302600_NS6detail15normal_iteratorINS9_10device_ptrIsEEEENS9_18transform_iteratorINS9_6negateIsEESE_NS9_11use_defaultESI_EESE_sNS9_4plusIvEENS9_8equal_toIvEEsEE10hipError_tPvRmT2_T3_T4_T5_mT6_T7_P12ihipStream_tbENKUlT_T0_E_clISt17integral_constantIbLb1EES13_IbLb0EEEEDaSZ_S10_EUlSZ_E_NS1_11comp_targetILNS1_3genE3ELNS1_11target_archE908ELNS1_3gpuE7ELNS1_3repE0EEENS1_30default_config_static_selectorELNS0_4arch9wavefront6targetE0EEEvT1_.has_dyn_sized_stack, 0
	.set _ZN7rocprim17ROCPRIM_400000_NS6detail17trampoline_kernelINS0_14default_configENS1_27scan_by_key_config_selectorIssEEZZNS1_16scan_by_key_implILNS1_25lookback_scan_determinismE0ELb0ES3_N6thrust23THRUST_200600_302600_NS6detail15normal_iteratorINS9_10device_ptrIsEEEENS9_18transform_iteratorINS9_6negateIsEESE_NS9_11use_defaultESI_EESE_sNS9_4plusIvEENS9_8equal_toIvEEsEE10hipError_tPvRmT2_T3_T4_T5_mT6_T7_P12ihipStream_tbENKUlT_T0_E_clISt17integral_constantIbLb1EES13_IbLb0EEEEDaSZ_S10_EUlSZ_E_NS1_11comp_targetILNS1_3genE3ELNS1_11target_archE908ELNS1_3gpuE7ELNS1_3repE0EEENS1_30default_config_static_selectorELNS0_4arch9wavefront6targetE0EEEvT1_.has_recursion, 0
	.set _ZN7rocprim17ROCPRIM_400000_NS6detail17trampoline_kernelINS0_14default_configENS1_27scan_by_key_config_selectorIssEEZZNS1_16scan_by_key_implILNS1_25lookback_scan_determinismE0ELb0ES3_N6thrust23THRUST_200600_302600_NS6detail15normal_iteratorINS9_10device_ptrIsEEEENS9_18transform_iteratorINS9_6negateIsEESE_NS9_11use_defaultESI_EESE_sNS9_4plusIvEENS9_8equal_toIvEEsEE10hipError_tPvRmT2_T3_T4_T5_mT6_T7_P12ihipStream_tbENKUlT_T0_E_clISt17integral_constantIbLb1EES13_IbLb0EEEEDaSZ_S10_EUlSZ_E_NS1_11comp_targetILNS1_3genE3ELNS1_11target_archE908ELNS1_3gpuE7ELNS1_3repE0EEENS1_30default_config_static_selectorELNS0_4arch9wavefront6targetE0EEEvT1_.has_indirect_call, 0
	.section	.AMDGPU.csdata,"",@progbits
; Kernel info:
; codeLenInByte = 0
; TotalNumSgprs: 0
; NumVgprs: 0
; ScratchSize: 0
; MemoryBound: 0
; FloatMode: 240
; IeeeMode: 1
; LDSByteSize: 0 bytes/workgroup (compile time only)
; SGPRBlocks: 0
; VGPRBlocks: 0
; NumSGPRsForWavesPerEU: 1
; NumVGPRsForWavesPerEU: 1
; NamedBarCnt: 0
; Occupancy: 16
; WaveLimiterHint : 0
; COMPUTE_PGM_RSRC2:SCRATCH_EN: 0
; COMPUTE_PGM_RSRC2:USER_SGPR: 2
; COMPUTE_PGM_RSRC2:TRAP_HANDLER: 0
; COMPUTE_PGM_RSRC2:TGID_X_EN: 1
; COMPUTE_PGM_RSRC2:TGID_Y_EN: 0
; COMPUTE_PGM_RSRC2:TGID_Z_EN: 0
; COMPUTE_PGM_RSRC2:TIDIG_COMP_CNT: 0
	.section	.text._ZN7rocprim17ROCPRIM_400000_NS6detail17trampoline_kernelINS0_14default_configENS1_27scan_by_key_config_selectorIssEEZZNS1_16scan_by_key_implILNS1_25lookback_scan_determinismE0ELb0ES3_N6thrust23THRUST_200600_302600_NS6detail15normal_iteratorINS9_10device_ptrIsEEEENS9_18transform_iteratorINS9_6negateIsEESE_NS9_11use_defaultESI_EESE_sNS9_4plusIvEENS9_8equal_toIvEEsEE10hipError_tPvRmT2_T3_T4_T5_mT6_T7_P12ihipStream_tbENKUlT_T0_E_clISt17integral_constantIbLb1EES13_IbLb0EEEEDaSZ_S10_EUlSZ_E_NS1_11comp_targetILNS1_3genE2ELNS1_11target_archE906ELNS1_3gpuE6ELNS1_3repE0EEENS1_30default_config_static_selectorELNS0_4arch9wavefront6targetE0EEEvT1_,"axG",@progbits,_ZN7rocprim17ROCPRIM_400000_NS6detail17trampoline_kernelINS0_14default_configENS1_27scan_by_key_config_selectorIssEEZZNS1_16scan_by_key_implILNS1_25lookback_scan_determinismE0ELb0ES3_N6thrust23THRUST_200600_302600_NS6detail15normal_iteratorINS9_10device_ptrIsEEEENS9_18transform_iteratorINS9_6negateIsEESE_NS9_11use_defaultESI_EESE_sNS9_4plusIvEENS9_8equal_toIvEEsEE10hipError_tPvRmT2_T3_T4_T5_mT6_T7_P12ihipStream_tbENKUlT_T0_E_clISt17integral_constantIbLb1EES13_IbLb0EEEEDaSZ_S10_EUlSZ_E_NS1_11comp_targetILNS1_3genE2ELNS1_11target_archE906ELNS1_3gpuE6ELNS1_3repE0EEENS1_30default_config_static_selectorELNS0_4arch9wavefront6targetE0EEEvT1_,comdat
	.protected	_ZN7rocprim17ROCPRIM_400000_NS6detail17trampoline_kernelINS0_14default_configENS1_27scan_by_key_config_selectorIssEEZZNS1_16scan_by_key_implILNS1_25lookback_scan_determinismE0ELb0ES3_N6thrust23THRUST_200600_302600_NS6detail15normal_iteratorINS9_10device_ptrIsEEEENS9_18transform_iteratorINS9_6negateIsEESE_NS9_11use_defaultESI_EESE_sNS9_4plusIvEENS9_8equal_toIvEEsEE10hipError_tPvRmT2_T3_T4_T5_mT6_T7_P12ihipStream_tbENKUlT_T0_E_clISt17integral_constantIbLb1EES13_IbLb0EEEEDaSZ_S10_EUlSZ_E_NS1_11comp_targetILNS1_3genE2ELNS1_11target_archE906ELNS1_3gpuE6ELNS1_3repE0EEENS1_30default_config_static_selectorELNS0_4arch9wavefront6targetE0EEEvT1_ ; -- Begin function _ZN7rocprim17ROCPRIM_400000_NS6detail17trampoline_kernelINS0_14default_configENS1_27scan_by_key_config_selectorIssEEZZNS1_16scan_by_key_implILNS1_25lookback_scan_determinismE0ELb0ES3_N6thrust23THRUST_200600_302600_NS6detail15normal_iteratorINS9_10device_ptrIsEEEENS9_18transform_iteratorINS9_6negateIsEESE_NS9_11use_defaultESI_EESE_sNS9_4plusIvEENS9_8equal_toIvEEsEE10hipError_tPvRmT2_T3_T4_T5_mT6_T7_P12ihipStream_tbENKUlT_T0_E_clISt17integral_constantIbLb1EES13_IbLb0EEEEDaSZ_S10_EUlSZ_E_NS1_11comp_targetILNS1_3genE2ELNS1_11target_archE906ELNS1_3gpuE6ELNS1_3repE0EEENS1_30default_config_static_selectorELNS0_4arch9wavefront6targetE0EEEvT1_
	.globl	_ZN7rocprim17ROCPRIM_400000_NS6detail17trampoline_kernelINS0_14default_configENS1_27scan_by_key_config_selectorIssEEZZNS1_16scan_by_key_implILNS1_25lookback_scan_determinismE0ELb0ES3_N6thrust23THRUST_200600_302600_NS6detail15normal_iteratorINS9_10device_ptrIsEEEENS9_18transform_iteratorINS9_6negateIsEESE_NS9_11use_defaultESI_EESE_sNS9_4plusIvEENS9_8equal_toIvEEsEE10hipError_tPvRmT2_T3_T4_T5_mT6_T7_P12ihipStream_tbENKUlT_T0_E_clISt17integral_constantIbLb1EES13_IbLb0EEEEDaSZ_S10_EUlSZ_E_NS1_11comp_targetILNS1_3genE2ELNS1_11target_archE906ELNS1_3gpuE6ELNS1_3repE0EEENS1_30default_config_static_selectorELNS0_4arch9wavefront6targetE0EEEvT1_
	.p2align	8
	.type	_ZN7rocprim17ROCPRIM_400000_NS6detail17trampoline_kernelINS0_14default_configENS1_27scan_by_key_config_selectorIssEEZZNS1_16scan_by_key_implILNS1_25lookback_scan_determinismE0ELb0ES3_N6thrust23THRUST_200600_302600_NS6detail15normal_iteratorINS9_10device_ptrIsEEEENS9_18transform_iteratorINS9_6negateIsEESE_NS9_11use_defaultESI_EESE_sNS9_4plusIvEENS9_8equal_toIvEEsEE10hipError_tPvRmT2_T3_T4_T5_mT6_T7_P12ihipStream_tbENKUlT_T0_E_clISt17integral_constantIbLb1EES13_IbLb0EEEEDaSZ_S10_EUlSZ_E_NS1_11comp_targetILNS1_3genE2ELNS1_11target_archE906ELNS1_3gpuE6ELNS1_3repE0EEENS1_30default_config_static_selectorELNS0_4arch9wavefront6targetE0EEEvT1_,@function
_ZN7rocprim17ROCPRIM_400000_NS6detail17trampoline_kernelINS0_14default_configENS1_27scan_by_key_config_selectorIssEEZZNS1_16scan_by_key_implILNS1_25lookback_scan_determinismE0ELb0ES3_N6thrust23THRUST_200600_302600_NS6detail15normal_iteratorINS9_10device_ptrIsEEEENS9_18transform_iteratorINS9_6negateIsEESE_NS9_11use_defaultESI_EESE_sNS9_4plusIvEENS9_8equal_toIvEEsEE10hipError_tPvRmT2_T3_T4_T5_mT6_T7_P12ihipStream_tbENKUlT_T0_E_clISt17integral_constantIbLb1EES13_IbLb0EEEEDaSZ_S10_EUlSZ_E_NS1_11comp_targetILNS1_3genE2ELNS1_11target_archE906ELNS1_3gpuE6ELNS1_3repE0EEENS1_30default_config_static_selectorELNS0_4arch9wavefront6targetE0EEEvT1_: ; @_ZN7rocprim17ROCPRIM_400000_NS6detail17trampoline_kernelINS0_14default_configENS1_27scan_by_key_config_selectorIssEEZZNS1_16scan_by_key_implILNS1_25lookback_scan_determinismE0ELb0ES3_N6thrust23THRUST_200600_302600_NS6detail15normal_iteratorINS9_10device_ptrIsEEEENS9_18transform_iteratorINS9_6negateIsEESE_NS9_11use_defaultESI_EESE_sNS9_4plusIvEENS9_8equal_toIvEEsEE10hipError_tPvRmT2_T3_T4_T5_mT6_T7_P12ihipStream_tbENKUlT_T0_E_clISt17integral_constantIbLb1EES13_IbLb0EEEEDaSZ_S10_EUlSZ_E_NS1_11comp_targetILNS1_3genE2ELNS1_11target_archE906ELNS1_3gpuE6ELNS1_3repE0EEENS1_30default_config_static_selectorELNS0_4arch9wavefront6targetE0EEEvT1_
; %bb.0:
	.section	.rodata,"a",@progbits
	.p2align	6, 0x0
	.amdhsa_kernel _ZN7rocprim17ROCPRIM_400000_NS6detail17trampoline_kernelINS0_14default_configENS1_27scan_by_key_config_selectorIssEEZZNS1_16scan_by_key_implILNS1_25lookback_scan_determinismE0ELb0ES3_N6thrust23THRUST_200600_302600_NS6detail15normal_iteratorINS9_10device_ptrIsEEEENS9_18transform_iteratorINS9_6negateIsEESE_NS9_11use_defaultESI_EESE_sNS9_4plusIvEENS9_8equal_toIvEEsEE10hipError_tPvRmT2_T3_T4_T5_mT6_T7_P12ihipStream_tbENKUlT_T0_E_clISt17integral_constantIbLb1EES13_IbLb0EEEEDaSZ_S10_EUlSZ_E_NS1_11comp_targetILNS1_3genE2ELNS1_11target_archE906ELNS1_3gpuE6ELNS1_3repE0EEENS1_30default_config_static_selectorELNS0_4arch9wavefront6targetE0EEEvT1_
		.amdhsa_group_segment_fixed_size 0
		.amdhsa_private_segment_fixed_size 0
		.amdhsa_kernarg_size 120
		.amdhsa_user_sgpr_count 2
		.amdhsa_user_sgpr_dispatch_ptr 0
		.amdhsa_user_sgpr_queue_ptr 0
		.amdhsa_user_sgpr_kernarg_segment_ptr 1
		.amdhsa_user_sgpr_dispatch_id 0
		.amdhsa_user_sgpr_kernarg_preload_length 0
		.amdhsa_user_sgpr_kernarg_preload_offset 0
		.amdhsa_user_sgpr_private_segment_size 0
		.amdhsa_wavefront_size32 1
		.amdhsa_uses_dynamic_stack 0
		.amdhsa_enable_private_segment 0
		.amdhsa_system_sgpr_workgroup_id_x 1
		.amdhsa_system_sgpr_workgroup_id_y 0
		.amdhsa_system_sgpr_workgroup_id_z 0
		.amdhsa_system_sgpr_workgroup_info 0
		.amdhsa_system_vgpr_workitem_id 0
		.amdhsa_next_free_vgpr 1
		.amdhsa_next_free_sgpr 1
		.amdhsa_named_barrier_count 0
		.amdhsa_reserve_vcc 0
		.amdhsa_float_round_mode_32 0
		.amdhsa_float_round_mode_16_64 0
		.amdhsa_float_denorm_mode_32 3
		.amdhsa_float_denorm_mode_16_64 3
		.amdhsa_fp16_overflow 0
		.amdhsa_memory_ordered 1
		.amdhsa_forward_progress 1
		.amdhsa_inst_pref_size 0
		.amdhsa_round_robin_scheduling 0
		.amdhsa_exception_fp_ieee_invalid_op 0
		.amdhsa_exception_fp_denorm_src 0
		.amdhsa_exception_fp_ieee_div_zero 0
		.amdhsa_exception_fp_ieee_overflow 0
		.amdhsa_exception_fp_ieee_underflow 0
		.amdhsa_exception_fp_ieee_inexact 0
		.amdhsa_exception_int_div_zero 0
	.end_amdhsa_kernel
	.section	.text._ZN7rocprim17ROCPRIM_400000_NS6detail17trampoline_kernelINS0_14default_configENS1_27scan_by_key_config_selectorIssEEZZNS1_16scan_by_key_implILNS1_25lookback_scan_determinismE0ELb0ES3_N6thrust23THRUST_200600_302600_NS6detail15normal_iteratorINS9_10device_ptrIsEEEENS9_18transform_iteratorINS9_6negateIsEESE_NS9_11use_defaultESI_EESE_sNS9_4plusIvEENS9_8equal_toIvEEsEE10hipError_tPvRmT2_T3_T4_T5_mT6_T7_P12ihipStream_tbENKUlT_T0_E_clISt17integral_constantIbLb1EES13_IbLb0EEEEDaSZ_S10_EUlSZ_E_NS1_11comp_targetILNS1_3genE2ELNS1_11target_archE906ELNS1_3gpuE6ELNS1_3repE0EEENS1_30default_config_static_selectorELNS0_4arch9wavefront6targetE0EEEvT1_,"axG",@progbits,_ZN7rocprim17ROCPRIM_400000_NS6detail17trampoline_kernelINS0_14default_configENS1_27scan_by_key_config_selectorIssEEZZNS1_16scan_by_key_implILNS1_25lookback_scan_determinismE0ELb0ES3_N6thrust23THRUST_200600_302600_NS6detail15normal_iteratorINS9_10device_ptrIsEEEENS9_18transform_iteratorINS9_6negateIsEESE_NS9_11use_defaultESI_EESE_sNS9_4plusIvEENS9_8equal_toIvEEsEE10hipError_tPvRmT2_T3_T4_T5_mT6_T7_P12ihipStream_tbENKUlT_T0_E_clISt17integral_constantIbLb1EES13_IbLb0EEEEDaSZ_S10_EUlSZ_E_NS1_11comp_targetILNS1_3genE2ELNS1_11target_archE906ELNS1_3gpuE6ELNS1_3repE0EEENS1_30default_config_static_selectorELNS0_4arch9wavefront6targetE0EEEvT1_,comdat
.Lfunc_end988:
	.size	_ZN7rocprim17ROCPRIM_400000_NS6detail17trampoline_kernelINS0_14default_configENS1_27scan_by_key_config_selectorIssEEZZNS1_16scan_by_key_implILNS1_25lookback_scan_determinismE0ELb0ES3_N6thrust23THRUST_200600_302600_NS6detail15normal_iteratorINS9_10device_ptrIsEEEENS9_18transform_iteratorINS9_6negateIsEESE_NS9_11use_defaultESI_EESE_sNS9_4plusIvEENS9_8equal_toIvEEsEE10hipError_tPvRmT2_T3_T4_T5_mT6_T7_P12ihipStream_tbENKUlT_T0_E_clISt17integral_constantIbLb1EES13_IbLb0EEEEDaSZ_S10_EUlSZ_E_NS1_11comp_targetILNS1_3genE2ELNS1_11target_archE906ELNS1_3gpuE6ELNS1_3repE0EEENS1_30default_config_static_selectorELNS0_4arch9wavefront6targetE0EEEvT1_, .Lfunc_end988-_ZN7rocprim17ROCPRIM_400000_NS6detail17trampoline_kernelINS0_14default_configENS1_27scan_by_key_config_selectorIssEEZZNS1_16scan_by_key_implILNS1_25lookback_scan_determinismE0ELb0ES3_N6thrust23THRUST_200600_302600_NS6detail15normal_iteratorINS9_10device_ptrIsEEEENS9_18transform_iteratorINS9_6negateIsEESE_NS9_11use_defaultESI_EESE_sNS9_4plusIvEENS9_8equal_toIvEEsEE10hipError_tPvRmT2_T3_T4_T5_mT6_T7_P12ihipStream_tbENKUlT_T0_E_clISt17integral_constantIbLb1EES13_IbLb0EEEEDaSZ_S10_EUlSZ_E_NS1_11comp_targetILNS1_3genE2ELNS1_11target_archE906ELNS1_3gpuE6ELNS1_3repE0EEENS1_30default_config_static_selectorELNS0_4arch9wavefront6targetE0EEEvT1_
                                        ; -- End function
	.set _ZN7rocprim17ROCPRIM_400000_NS6detail17trampoline_kernelINS0_14default_configENS1_27scan_by_key_config_selectorIssEEZZNS1_16scan_by_key_implILNS1_25lookback_scan_determinismE0ELb0ES3_N6thrust23THRUST_200600_302600_NS6detail15normal_iteratorINS9_10device_ptrIsEEEENS9_18transform_iteratorINS9_6negateIsEESE_NS9_11use_defaultESI_EESE_sNS9_4plusIvEENS9_8equal_toIvEEsEE10hipError_tPvRmT2_T3_T4_T5_mT6_T7_P12ihipStream_tbENKUlT_T0_E_clISt17integral_constantIbLb1EES13_IbLb0EEEEDaSZ_S10_EUlSZ_E_NS1_11comp_targetILNS1_3genE2ELNS1_11target_archE906ELNS1_3gpuE6ELNS1_3repE0EEENS1_30default_config_static_selectorELNS0_4arch9wavefront6targetE0EEEvT1_.num_vgpr, 0
	.set _ZN7rocprim17ROCPRIM_400000_NS6detail17trampoline_kernelINS0_14default_configENS1_27scan_by_key_config_selectorIssEEZZNS1_16scan_by_key_implILNS1_25lookback_scan_determinismE0ELb0ES3_N6thrust23THRUST_200600_302600_NS6detail15normal_iteratorINS9_10device_ptrIsEEEENS9_18transform_iteratorINS9_6negateIsEESE_NS9_11use_defaultESI_EESE_sNS9_4plusIvEENS9_8equal_toIvEEsEE10hipError_tPvRmT2_T3_T4_T5_mT6_T7_P12ihipStream_tbENKUlT_T0_E_clISt17integral_constantIbLb1EES13_IbLb0EEEEDaSZ_S10_EUlSZ_E_NS1_11comp_targetILNS1_3genE2ELNS1_11target_archE906ELNS1_3gpuE6ELNS1_3repE0EEENS1_30default_config_static_selectorELNS0_4arch9wavefront6targetE0EEEvT1_.num_agpr, 0
	.set _ZN7rocprim17ROCPRIM_400000_NS6detail17trampoline_kernelINS0_14default_configENS1_27scan_by_key_config_selectorIssEEZZNS1_16scan_by_key_implILNS1_25lookback_scan_determinismE0ELb0ES3_N6thrust23THRUST_200600_302600_NS6detail15normal_iteratorINS9_10device_ptrIsEEEENS9_18transform_iteratorINS9_6negateIsEESE_NS9_11use_defaultESI_EESE_sNS9_4plusIvEENS9_8equal_toIvEEsEE10hipError_tPvRmT2_T3_T4_T5_mT6_T7_P12ihipStream_tbENKUlT_T0_E_clISt17integral_constantIbLb1EES13_IbLb0EEEEDaSZ_S10_EUlSZ_E_NS1_11comp_targetILNS1_3genE2ELNS1_11target_archE906ELNS1_3gpuE6ELNS1_3repE0EEENS1_30default_config_static_selectorELNS0_4arch9wavefront6targetE0EEEvT1_.numbered_sgpr, 0
	.set _ZN7rocprim17ROCPRIM_400000_NS6detail17trampoline_kernelINS0_14default_configENS1_27scan_by_key_config_selectorIssEEZZNS1_16scan_by_key_implILNS1_25lookback_scan_determinismE0ELb0ES3_N6thrust23THRUST_200600_302600_NS6detail15normal_iteratorINS9_10device_ptrIsEEEENS9_18transform_iteratorINS9_6negateIsEESE_NS9_11use_defaultESI_EESE_sNS9_4plusIvEENS9_8equal_toIvEEsEE10hipError_tPvRmT2_T3_T4_T5_mT6_T7_P12ihipStream_tbENKUlT_T0_E_clISt17integral_constantIbLb1EES13_IbLb0EEEEDaSZ_S10_EUlSZ_E_NS1_11comp_targetILNS1_3genE2ELNS1_11target_archE906ELNS1_3gpuE6ELNS1_3repE0EEENS1_30default_config_static_selectorELNS0_4arch9wavefront6targetE0EEEvT1_.num_named_barrier, 0
	.set _ZN7rocprim17ROCPRIM_400000_NS6detail17trampoline_kernelINS0_14default_configENS1_27scan_by_key_config_selectorIssEEZZNS1_16scan_by_key_implILNS1_25lookback_scan_determinismE0ELb0ES3_N6thrust23THRUST_200600_302600_NS6detail15normal_iteratorINS9_10device_ptrIsEEEENS9_18transform_iteratorINS9_6negateIsEESE_NS9_11use_defaultESI_EESE_sNS9_4plusIvEENS9_8equal_toIvEEsEE10hipError_tPvRmT2_T3_T4_T5_mT6_T7_P12ihipStream_tbENKUlT_T0_E_clISt17integral_constantIbLb1EES13_IbLb0EEEEDaSZ_S10_EUlSZ_E_NS1_11comp_targetILNS1_3genE2ELNS1_11target_archE906ELNS1_3gpuE6ELNS1_3repE0EEENS1_30default_config_static_selectorELNS0_4arch9wavefront6targetE0EEEvT1_.private_seg_size, 0
	.set _ZN7rocprim17ROCPRIM_400000_NS6detail17trampoline_kernelINS0_14default_configENS1_27scan_by_key_config_selectorIssEEZZNS1_16scan_by_key_implILNS1_25lookback_scan_determinismE0ELb0ES3_N6thrust23THRUST_200600_302600_NS6detail15normal_iteratorINS9_10device_ptrIsEEEENS9_18transform_iteratorINS9_6negateIsEESE_NS9_11use_defaultESI_EESE_sNS9_4plusIvEENS9_8equal_toIvEEsEE10hipError_tPvRmT2_T3_T4_T5_mT6_T7_P12ihipStream_tbENKUlT_T0_E_clISt17integral_constantIbLb1EES13_IbLb0EEEEDaSZ_S10_EUlSZ_E_NS1_11comp_targetILNS1_3genE2ELNS1_11target_archE906ELNS1_3gpuE6ELNS1_3repE0EEENS1_30default_config_static_selectorELNS0_4arch9wavefront6targetE0EEEvT1_.uses_vcc, 0
	.set _ZN7rocprim17ROCPRIM_400000_NS6detail17trampoline_kernelINS0_14default_configENS1_27scan_by_key_config_selectorIssEEZZNS1_16scan_by_key_implILNS1_25lookback_scan_determinismE0ELb0ES3_N6thrust23THRUST_200600_302600_NS6detail15normal_iteratorINS9_10device_ptrIsEEEENS9_18transform_iteratorINS9_6negateIsEESE_NS9_11use_defaultESI_EESE_sNS9_4plusIvEENS9_8equal_toIvEEsEE10hipError_tPvRmT2_T3_T4_T5_mT6_T7_P12ihipStream_tbENKUlT_T0_E_clISt17integral_constantIbLb1EES13_IbLb0EEEEDaSZ_S10_EUlSZ_E_NS1_11comp_targetILNS1_3genE2ELNS1_11target_archE906ELNS1_3gpuE6ELNS1_3repE0EEENS1_30default_config_static_selectorELNS0_4arch9wavefront6targetE0EEEvT1_.uses_flat_scratch, 0
	.set _ZN7rocprim17ROCPRIM_400000_NS6detail17trampoline_kernelINS0_14default_configENS1_27scan_by_key_config_selectorIssEEZZNS1_16scan_by_key_implILNS1_25lookback_scan_determinismE0ELb0ES3_N6thrust23THRUST_200600_302600_NS6detail15normal_iteratorINS9_10device_ptrIsEEEENS9_18transform_iteratorINS9_6negateIsEESE_NS9_11use_defaultESI_EESE_sNS9_4plusIvEENS9_8equal_toIvEEsEE10hipError_tPvRmT2_T3_T4_T5_mT6_T7_P12ihipStream_tbENKUlT_T0_E_clISt17integral_constantIbLb1EES13_IbLb0EEEEDaSZ_S10_EUlSZ_E_NS1_11comp_targetILNS1_3genE2ELNS1_11target_archE906ELNS1_3gpuE6ELNS1_3repE0EEENS1_30default_config_static_selectorELNS0_4arch9wavefront6targetE0EEEvT1_.has_dyn_sized_stack, 0
	.set _ZN7rocprim17ROCPRIM_400000_NS6detail17trampoline_kernelINS0_14default_configENS1_27scan_by_key_config_selectorIssEEZZNS1_16scan_by_key_implILNS1_25lookback_scan_determinismE0ELb0ES3_N6thrust23THRUST_200600_302600_NS6detail15normal_iteratorINS9_10device_ptrIsEEEENS9_18transform_iteratorINS9_6negateIsEESE_NS9_11use_defaultESI_EESE_sNS9_4plusIvEENS9_8equal_toIvEEsEE10hipError_tPvRmT2_T3_T4_T5_mT6_T7_P12ihipStream_tbENKUlT_T0_E_clISt17integral_constantIbLb1EES13_IbLb0EEEEDaSZ_S10_EUlSZ_E_NS1_11comp_targetILNS1_3genE2ELNS1_11target_archE906ELNS1_3gpuE6ELNS1_3repE0EEENS1_30default_config_static_selectorELNS0_4arch9wavefront6targetE0EEEvT1_.has_recursion, 0
	.set _ZN7rocprim17ROCPRIM_400000_NS6detail17trampoline_kernelINS0_14default_configENS1_27scan_by_key_config_selectorIssEEZZNS1_16scan_by_key_implILNS1_25lookback_scan_determinismE0ELb0ES3_N6thrust23THRUST_200600_302600_NS6detail15normal_iteratorINS9_10device_ptrIsEEEENS9_18transform_iteratorINS9_6negateIsEESE_NS9_11use_defaultESI_EESE_sNS9_4plusIvEENS9_8equal_toIvEEsEE10hipError_tPvRmT2_T3_T4_T5_mT6_T7_P12ihipStream_tbENKUlT_T0_E_clISt17integral_constantIbLb1EES13_IbLb0EEEEDaSZ_S10_EUlSZ_E_NS1_11comp_targetILNS1_3genE2ELNS1_11target_archE906ELNS1_3gpuE6ELNS1_3repE0EEENS1_30default_config_static_selectorELNS0_4arch9wavefront6targetE0EEEvT1_.has_indirect_call, 0
	.section	.AMDGPU.csdata,"",@progbits
; Kernel info:
; codeLenInByte = 0
; TotalNumSgprs: 0
; NumVgprs: 0
; ScratchSize: 0
; MemoryBound: 0
; FloatMode: 240
; IeeeMode: 1
; LDSByteSize: 0 bytes/workgroup (compile time only)
; SGPRBlocks: 0
; VGPRBlocks: 0
; NumSGPRsForWavesPerEU: 1
; NumVGPRsForWavesPerEU: 1
; NamedBarCnt: 0
; Occupancy: 16
; WaveLimiterHint : 0
; COMPUTE_PGM_RSRC2:SCRATCH_EN: 0
; COMPUTE_PGM_RSRC2:USER_SGPR: 2
; COMPUTE_PGM_RSRC2:TRAP_HANDLER: 0
; COMPUTE_PGM_RSRC2:TGID_X_EN: 1
; COMPUTE_PGM_RSRC2:TGID_Y_EN: 0
; COMPUTE_PGM_RSRC2:TGID_Z_EN: 0
; COMPUTE_PGM_RSRC2:TIDIG_COMP_CNT: 0
	.section	.text._ZN7rocprim17ROCPRIM_400000_NS6detail17trampoline_kernelINS0_14default_configENS1_27scan_by_key_config_selectorIssEEZZNS1_16scan_by_key_implILNS1_25lookback_scan_determinismE0ELb0ES3_N6thrust23THRUST_200600_302600_NS6detail15normal_iteratorINS9_10device_ptrIsEEEENS9_18transform_iteratorINS9_6negateIsEESE_NS9_11use_defaultESI_EESE_sNS9_4plusIvEENS9_8equal_toIvEEsEE10hipError_tPvRmT2_T3_T4_T5_mT6_T7_P12ihipStream_tbENKUlT_T0_E_clISt17integral_constantIbLb1EES13_IbLb0EEEEDaSZ_S10_EUlSZ_E_NS1_11comp_targetILNS1_3genE10ELNS1_11target_archE1200ELNS1_3gpuE4ELNS1_3repE0EEENS1_30default_config_static_selectorELNS0_4arch9wavefront6targetE0EEEvT1_,"axG",@progbits,_ZN7rocprim17ROCPRIM_400000_NS6detail17trampoline_kernelINS0_14default_configENS1_27scan_by_key_config_selectorIssEEZZNS1_16scan_by_key_implILNS1_25lookback_scan_determinismE0ELb0ES3_N6thrust23THRUST_200600_302600_NS6detail15normal_iteratorINS9_10device_ptrIsEEEENS9_18transform_iteratorINS9_6negateIsEESE_NS9_11use_defaultESI_EESE_sNS9_4plusIvEENS9_8equal_toIvEEsEE10hipError_tPvRmT2_T3_T4_T5_mT6_T7_P12ihipStream_tbENKUlT_T0_E_clISt17integral_constantIbLb1EES13_IbLb0EEEEDaSZ_S10_EUlSZ_E_NS1_11comp_targetILNS1_3genE10ELNS1_11target_archE1200ELNS1_3gpuE4ELNS1_3repE0EEENS1_30default_config_static_selectorELNS0_4arch9wavefront6targetE0EEEvT1_,comdat
	.protected	_ZN7rocprim17ROCPRIM_400000_NS6detail17trampoline_kernelINS0_14default_configENS1_27scan_by_key_config_selectorIssEEZZNS1_16scan_by_key_implILNS1_25lookback_scan_determinismE0ELb0ES3_N6thrust23THRUST_200600_302600_NS6detail15normal_iteratorINS9_10device_ptrIsEEEENS9_18transform_iteratorINS9_6negateIsEESE_NS9_11use_defaultESI_EESE_sNS9_4plusIvEENS9_8equal_toIvEEsEE10hipError_tPvRmT2_T3_T4_T5_mT6_T7_P12ihipStream_tbENKUlT_T0_E_clISt17integral_constantIbLb1EES13_IbLb0EEEEDaSZ_S10_EUlSZ_E_NS1_11comp_targetILNS1_3genE10ELNS1_11target_archE1200ELNS1_3gpuE4ELNS1_3repE0EEENS1_30default_config_static_selectorELNS0_4arch9wavefront6targetE0EEEvT1_ ; -- Begin function _ZN7rocprim17ROCPRIM_400000_NS6detail17trampoline_kernelINS0_14default_configENS1_27scan_by_key_config_selectorIssEEZZNS1_16scan_by_key_implILNS1_25lookback_scan_determinismE0ELb0ES3_N6thrust23THRUST_200600_302600_NS6detail15normal_iteratorINS9_10device_ptrIsEEEENS9_18transform_iteratorINS9_6negateIsEESE_NS9_11use_defaultESI_EESE_sNS9_4plusIvEENS9_8equal_toIvEEsEE10hipError_tPvRmT2_T3_T4_T5_mT6_T7_P12ihipStream_tbENKUlT_T0_E_clISt17integral_constantIbLb1EES13_IbLb0EEEEDaSZ_S10_EUlSZ_E_NS1_11comp_targetILNS1_3genE10ELNS1_11target_archE1200ELNS1_3gpuE4ELNS1_3repE0EEENS1_30default_config_static_selectorELNS0_4arch9wavefront6targetE0EEEvT1_
	.globl	_ZN7rocprim17ROCPRIM_400000_NS6detail17trampoline_kernelINS0_14default_configENS1_27scan_by_key_config_selectorIssEEZZNS1_16scan_by_key_implILNS1_25lookback_scan_determinismE0ELb0ES3_N6thrust23THRUST_200600_302600_NS6detail15normal_iteratorINS9_10device_ptrIsEEEENS9_18transform_iteratorINS9_6negateIsEESE_NS9_11use_defaultESI_EESE_sNS9_4plusIvEENS9_8equal_toIvEEsEE10hipError_tPvRmT2_T3_T4_T5_mT6_T7_P12ihipStream_tbENKUlT_T0_E_clISt17integral_constantIbLb1EES13_IbLb0EEEEDaSZ_S10_EUlSZ_E_NS1_11comp_targetILNS1_3genE10ELNS1_11target_archE1200ELNS1_3gpuE4ELNS1_3repE0EEENS1_30default_config_static_selectorELNS0_4arch9wavefront6targetE0EEEvT1_
	.p2align	8
	.type	_ZN7rocprim17ROCPRIM_400000_NS6detail17trampoline_kernelINS0_14default_configENS1_27scan_by_key_config_selectorIssEEZZNS1_16scan_by_key_implILNS1_25lookback_scan_determinismE0ELb0ES3_N6thrust23THRUST_200600_302600_NS6detail15normal_iteratorINS9_10device_ptrIsEEEENS9_18transform_iteratorINS9_6negateIsEESE_NS9_11use_defaultESI_EESE_sNS9_4plusIvEENS9_8equal_toIvEEsEE10hipError_tPvRmT2_T3_T4_T5_mT6_T7_P12ihipStream_tbENKUlT_T0_E_clISt17integral_constantIbLb1EES13_IbLb0EEEEDaSZ_S10_EUlSZ_E_NS1_11comp_targetILNS1_3genE10ELNS1_11target_archE1200ELNS1_3gpuE4ELNS1_3repE0EEENS1_30default_config_static_selectorELNS0_4arch9wavefront6targetE0EEEvT1_,@function
_ZN7rocprim17ROCPRIM_400000_NS6detail17trampoline_kernelINS0_14default_configENS1_27scan_by_key_config_selectorIssEEZZNS1_16scan_by_key_implILNS1_25lookback_scan_determinismE0ELb0ES3_N6thrust23THRUST_200600_302600_NS6detail15normal_iteratorINS9_10device_ptrIsEEEENS9_18transform_iteratorINS9_6negateIsEESE_NS9_11use_defaultESI_EESE_sNS9_4plusIvEENS9_8equal_toIvEEsEE10hipError_tPvRmT2_T3_T4_T5_mT6_T7_P12ihipStream_tbENKUlT_T0_E_clISt17integral_constantIbLb1EES13_IbLb0EEEEDaSZ_S10_EUlSZ_E_NS1_11comp_targetILNS1_3genE10ELNS1_11target_archE1200ELNS1_3gpuE4ELNS1_3repE0EEENS1_30default_config_static_selectorELNS0_4arch9wavefront6targetE0EEEvT1_: ; @_ZN7rocprim17ROCPRIM_400000_NS6detail17trampoline_kernelINS0_14default_configENS1_27scan_by_key_config_selectorIssEEZZNS1_16scan_by_key_implILNS1_25lookback_scan_determinismE0ELb0ES3_N6thrust23THRUST_200600_302600_NS6detail15normal_iteratorINS9_10device_ptrIsEEEENS9_18transform_iteratorINS9_6negateIsEESE_NS9_11use_defaultESI_EESE_sNS9_4plusIvEENS9_8equal_toIvEEsEE10hipError_tPvRmT2_T3_T4_T5_mT6_T7_P12ihipStream_tbENKUlT_T0_E_clISt17integral_constantIbLb1EES13_IbLb0EEEEDaSZ_S10_EUlSZ_E_NS1_11comp_targetILNS1_3genE10ELNS1_11target_archE1200ELNS1_3gpuE4ELNS1_3repE0EEENS1_30default_config_static_selectorELNS0_4arch9wavefront6targetE0EEEvT1_
; %bb.0:
	.section	.rodata,"a",@progbits
	.p2align	6, 0x0
	.amdhsa_kernel _ZN7rocprim17ROCPRIM_400000_NS6detail17trampoline_kernelINS0_14default_configENS1_27scan_by_key_config_selectorIssEEZZNS1_16scan_by_key_implILNS1_25lookback_scan_determinismE0ELb0ES3_N6thrust23THRUST_200600_302600_NS6detail15normal_iteratorINS9_10device_ptrIsEEEENS9_18transform_iteratorINS9_6negateIsEESE_NS9_11use_defaultESI_EESE_sNS9_4plusIvEENS9_8equal_toIvEEsEE10hipError_tPvRmT2_T3_T4_T5_mT6_T7_P12ihipStream_tbENKUlT_T0_E_clISt17integral_constantIbLb1EES13_IbLb0EEEEDaSZ_S10_EUlSZ_E_NS1_11comp_targetILNS1_3genE10ELNS1_11target_archE1200ELNS1_3gpuE4ELNS1_3repE0EEENS1_30default_config_static_selectorELNS0_4arch9wavefront6targetE0EEEvT1_
		.amdhsa_group_segment_fixed_size 0
		.amdhsa_private_segment_fixed_size 0
		.amdhsa_kernarg_size 120
		.amdhsa_user_sgpr_count 2
		.amdhsa_user_sgpr_dispatch_ptr 0
		.amdhsa_user_sgpr_queue_ptr 0
		.amdhsa_user_sgpr_kernarg_segment_ptr 1
		.amdhsa_user_sgpr_dispatch_id 0
		.amdhsa_user_sgpr_kernarg_preload_length 0
		.amdhsa_user_sgpr_kernarg_preload_offset 0
		.amdhsa_user_sgpr_private_segment_size 0
		.amdhsa_wavefront_size32 1
		.amdhsa_uses_dynamic_stack 0
		.amdhsa_enable_private_segment 0
		.amdhsa_system_sgpr_workgroup_id_x 1
		.amdhsa_system_sgpr_workgroup_id_y 0
		.amdhsa_system_sgpr_workgroup_id_z 0
		.amdhsa_system_sgpr_workgroup_info 0
		.amdhsa_system_vgpr_workitem_id 0
		.amdhsa_next_free_vgpr 1
		.amdhsa_next_free_sgpr 1
		.amdhsa_named_barrier_count 0
		.amdhsa_reserve_vcc 0
		.amdhsa_float_round_mode_32 0
		.amdhsa_float_round_mode_16_64 0
		.amdhsa_float_denorm_mode_32 3
		.amdhsa_float_denorm_mode_16_64 3
		.amdhsa_fp16_overflow 0
		.amdhsa_memory_ordered 1
		.amdhsa_forward_progress 1
		.amdhsa_inst_pref_size 0
		.amdhsa_round_robin_scheduling 0
		.amdhsa_exception_fp_ieee_invalid_op 0
		.amdhsa_exception_fp_denorm_src 0
		.amdhsa_exception_fp_ieee_div_zero 0
		.amdhsa_exception_fp_ieee_overflow 0
		.amdhsa_exception_fp_ieee_underflow 0
		.amdhsa_exception_fp_ieee_inexact 0
		.amdhsa_exception_int_div_zero 0
	.end_amdhsa_kernel
	.section	.text._ZN7rocprim17ROCPRIM_400000_NS6detail17trampoline_kernelINS0_14default_configENS1_27scan_by_key_config_selectorIssEEZZNS1_16scan_by_key_implILNS1_25lookback_scan_determinismE0ELb0ES3_N6thrust23THRUST_200600_302600_NS6detail15normal_iteratorINS9_10device_ptrIsEEEENS9_18transform_iteratorINS9_6negateIsEESE_NS9_11use_defaultESI_EESE_sNS9_4plusIvEENS9_8equal_toIvEEsEE10hipError_tPvRmT2_T3_T4_T5_mT6_T7_P12ihipStream_tbENKUlT_T0_E_clISt17integral_constantIbLb1EES13_IbLb0EEEEDaSZ_S10_EUlSZ_E_NS1_11comp_targetILNS1_3genE10ELNS1_11target_archE1200ELNS1_3gpuE4ELNS1_3repE0EEENS1_30default_config_static_selectorELNS0_4arch9wavefront6targetE0EEEvT1_,"axG",@progbits,_ZN7rocprim17ROCPRIM_400000_NS6detail17trampoline_kernelINS0_14default_configENS1_27scan_by_key_config_selectorIssEEZZNS1_16scan_by_key_implILNS1_25lookback_scan_determinismE0ELb0ES3_N6thrust23THRUST_200600_302600_NS6detail15normal_iteratorINS9_10device_ptrIsEEEENS9_18transform_iteratorINS9_6negateIsEESE_NS9_11use_defaultESI_EESE_sNS9_4plusIvEENS9_8equal_toIvEEsEE10hipError_tPvRmT2_T3_T4_T5_mT6_T7_P12ihipStream_tbENKUlT_T0_E_clISt17integral_constantIbLb1EES13_IbLb0EEEEDaSZ_S10_EUlSZ_E_NS1_11comp_targetILNS1_3genE10ELNS1_11target_archE1200ELNS1_3gpuE4ELNS1_3repE0EEENS1_30default_config_static_selectorELNS0_4arch9wavefront6targetE0EEEvT1_,comdat
.Lfunc_end989:
	.size	_ZN7rocprim17ROCPRIM_400000_NS6detail17trampoline_kernelINS0_14default_configENS1_27scan_by_key_config_selectorIssEEZZNS1_16scan_by_key_implILNS1_25lookback_scan_determinismE0ELb0ES3_N6thrust23THRUST_200600_302600_NS6detail15normal_iteratorINS9_10device_ptrIsEEEENS9_18transform_iteratorINS9_6negateIsEESE_NS9_11use_defaultESI_EESE_sNS9_4plusIvEENS9_8equal_toIvEEsEE10hipError_tPvRmT2_T3_T4_T5_mT6_T7_P12ihipStream_tbENKUlT_T0_E_clISt17integral_constantIbLb1EES13_IbLb0EEEEDaSZ_S10_EUlSZ_E_NS1_11comp_targetILNS1_3genE10ELNS1_11target_archE1200ELNS1_3gpuE4ELNS1_3repE0EEENS1_30default_config_static_selectorELNS0_4arch9wavefront6targetE0EEEvT1_, .Lfunc_end989-_ZN7rocprim17ROCPRIM_400000_NS6detail17trampoline_kernelINS0_14default_configENS1_27scan_by_key_config_selectorIssEEZZNS1_16scan_by_key_implILNS1_25lookback_scan_determinismE0ELb0ES3_N6thrust23THRUST_200600_302600_NS6detail15normal_iteratorINS9_10device_ptrIsEEEENS9_18transform_iteratorINS9_6negateIsEESE_NS9_11use_defaultESI_EESE_sNS9_4plusIvEENS9_8equal_toIvEEsEE10hipError_tPvRmT2_T3_T4_T5_mT6_T7_P12ihipStream_tbENKUlT_T0_E_clISt17integral_constantIbLb1EES13_IbLb0EEEEDaSZ_S10_EUlSZ_E_NS1_11comp_targetILNS1_3genE10ELNS1_11target_archE1200ELNS1_3gpuE4ELNS1_3repE0EEENS1_30default_config_static_selectorELNS0_4arch9wavefront6targetE0EEEvT1_
                                        ; -- End function
	.set _ZN7rocprim17ROCPRIM_400000_NS6detail17trampoline_kernelINS0_14default_configENS1_27scan_by_key_config_selectorIssEEZZNS1_16scan_by_key_implILNS1_25lookback_scan_determinismE0ELb0ES3_N6thrust23THRUST_200600_302600_NS6detail15normal_iteratorINS9_10device_ptrIsEEEENS9_18transform_iteratorINS9_6negateIsEESE_NS9_11use_defaultESI_EESE_sNS9_4plusIvEENS9_8equal_toIvEEsEE10hipError_tPvRmT2_T3_T4_T5_mT6_T7_P12ihipStream_tbENKUlT_T0_E_clISt17integral_constantIbLb1EES13_IbLb0EEEEDaSZ_S10_EUlSZ_E_NS1_11comp_targetILNS1_3genE10ELNS1_11target_archE1200ELNS1_3gpuE4ELNS1_3repE0EEENS1_30default_config_static_selectorELNS0_4arch9wavefront6targetE0EEEvT1_.num_vgpr, 0
	.set _ZN7rocprim17ROCPRIM_400000_NS6detail17trampoline_kernelINS0_14default_configENS1_27scan_by_key_config_selectorIssEEZZNS1_16scan_by_key_implILNS1_25lookback_scan_determinismE0ELb0ES3_N6thrust23THRUST_200600_302600_NS6detail15normal_iteratorINS9_10device_ptrIsEEEENS9_18transform_iteratorINS9_6negateIsEESE_NS9_11use_defaultESI_EESE_sNS9_4plusIvEENS9_8equal_toIvEEsEE10hipError_tPvRmT2_T3_T4_T5_mT6_T7_P12ihipStream_tbENKUlT_T0_E_clISt17integral_constantIbLb1EES13_IbLb0EEEEDaSZ_S10_EUlSZ_E_NS1_11comp_targetILNS1_3genE10ELNS1_11target_archE1200ELNS1_3gpuE4ELNS1_3repE0EEENS1_30default_config_static_selectorELNS0_4arch9wavefront6targetE0EEEvT1_.num_agpr, 0
	.set _ZN7rocprim17ROCPRIM_400000_NS6detail17trampoline_kernelINS0_14default_configENS1_27scan_by_key_config_selectorIssEEZZNS1_16scan_by_key_implILNS1_25lookback_scan_determinismE0ELb0ES3_N6thrust23THRUST_200600_302600_NS6detail15normal_iteratorINS9_10device_ptrIsEEEENS9_18transform_iteratorINS9_6negateIsEESE_NS9_11use_defaultESI_EESE_sNS9_4plusIvEENS9_8equal_toIvEEsEE10hipError_tPvRmT2_T3_T4_T5_mT6_T7_P12ihipStream_tbENKUlT_T0_E_clISt17integral_constantIbLb1EES13_IbLb0EEEEDaSZ_S10_EUlSZ_E_NS1_11comp_targetILNS1_3genE10ELNS1_11target_archE1200ELNS1_3gpuE4ELNS1_3repE0EEENS1_30default_config_static_selectorELNS0_4arch9wavefront6targetE0EEEvT1_.numbered_sgpr, 0
	.set _ZN7rocprim17ROCPRIM_400000_NS6detail17trampoline_kernelINS0_14default_configENS1_27scan_by_key_config_selectorIssEEZZNS1_16scan_by_key_implILNS1_25lookback_scan_determinismE0ELb0ES3_N6thrust23THRUST_200600_302600_NS6detail15normal_iteratorINS9_10device_ptrIsEEEENS9_18transform_iteratorINS9_6negateIsEESE_NS9_11use_defaultESI_EESE_sNS9_4plusIvEENS9_8equal_toIvEEsEE10hipError_tPvRmT2_T3_T4_T5_mT6_T7_P12ihipStream_tbENKUlT_T0_E_clISt17integral_constantIbLb1EES13_IbLb0EEEEDaSZ_S10_EUlSZ_E_NS1_11comp_targetILNS1_3genE10ELNS1_11target_archE1200ELNS1_3gpuE4ELNS1_3repE0EEENS1_30default_config_static_selectorELNS0_4arch9wavefront6targetE0EEEvT1_.num_named_barrier, 0
	.set _ZN7rocprim17ROCPRIM_400000_NS6detail17trampoline_kernelINS0_14default_configENS1_27scan_by_key_config_selectorIssEEZZNS1_16scan_by_key_implILNS1_25lookback_scan_determinismE0ELb0ES3_N6thrust23THRUST_200600_302600_NS6detail15normal_iteratorINS9_10device_ptrIsEEEENS9_18transform_iteratorINS9_6negateIsEESE_NS9_11use_defaultESI_EESE_sNS9_4plusIvEENS9_8equal_toIvEEsEE10hipError_tPvRmT2_T3_T4_T5_mT6_T7_P12ihipStream_tbENKUlT_T0_E_clISt17integral_constantIbLb1EES13_IbLb0EEEEDaSZ_S10_EUlSZ_E_NS1_11comp_targetILNS1_3genE10ELNS1_11target_archE1200ELNS1_3gpuE4ELNS1_3repE0EEENS1_30default_config_static_selectorELNS0_4arch9wavefront6targetE0EEEvT1_.private_seg_size, 0
	.set _ZN7rocprim17ROCPRIM_400000_NS6detail17trampoline_kernelINS0_14default_configENS1_27scan_by_key_config_selectorIssEEZZNS1_16scan_by_key_implILNS1_25lookback_scan_determinismE0ELb0ES3_N6thrust23THRUST_200600_302600_NS6detail15normal_iteratorINS9_10device_ptrIsEEEENS9_18transform_iteratorINS9_6negateIsEESE_NS9_11use_defaultESI_EESE_sNS9_4plusIvEENS9_8equal_toIvEEsEE10hipError_tPvRmT2_T3_T4_T5_mT6_T7_P12ihipStream_tbENKUlT_T0_E_clISt17integral_constantIbLb1EES13_IbLb0EEEEDaSZ_S10_EUlSZ_E_NS1_11comp_targetILNS1_3genE10ELNS1_11target_archE1200ELNS1_3gpuE4ELNS1_3repE0EEENS1_30default_config_static_selectorELNS0_4arch9wavefront6targetE0EEEvT1_.uses_vcc, 0
	.set _ZN7rocprim17ROCPRIM_400000_NS6detail17trampoline_kernelINS0_14default_configENS1_27scan_by_key_config_selectorIssEEZZNS1_16scan_by_key_implILNS1_25lookback_scan_determinismE0ELb0ES3_N6thrust23THRUST_200600_302600_NS6detail15normal_iteratorINS9_10device_ptrIsEEEENS9_18transform_iteratorINS9_6negateIsEESE_NS9_11use_defaultESI_EESE_sNS9_4plusIvEENS9_8equal_toIvEEsEE10hipError_tPvRmT2_T3_T4_T5_mT6_T7_P12ihipStream_tbENKUlT_T0_E_clISt17integral_constantIbLb1EES13_IbLb0EEEEDaSZ_S10_EUlSZ_E_NS1_11comp_targetILNS1_3genE10ELNS1_11target_archE1200ELNS1_3gpuE4ELNS1_3repE0EEENS1_30default_config_static_selectorELNS0_4arch9wavefront6targetE0EEEvT1_.uses_flat_scratch, 0
	.set _ZN7rocprim17ROCPRIM_400000_NS6detail17trampoline_kernelINS0_14default_configENS1_27scan_by_key_config_selectorIssEEZZNS1_16scan_by_key_implILNS1_25lookback_scan_determinismE0ELb0ES3_N6thrust23THRUST_200600_302600_NS6detail15normal_iteratorINS9_10device_ptrIsEEEENS9_18transform_iteratorINS9_6negateIsEESE_NS9_11use_defaultESI_EESE_sNS9_4plusIvEENS9_8equal_toIvEEsEE10hipError_tPvRmT2_T3_T4_T5_mT6_T7_P12ihipStream_tbENKUlT_T0_E_clISt17integral_constantIbLb1EES13_IbLb0EEEEDaSZ_S10_EUlSZ_E_NS1_11comp_targetILNS1_3genE10ELNS1_11target_archE1200ELNS1_3gpuE4ELNS1_3repE0EEENS1_30default_config_static_selectorELNS0_4arch9wavefront6targetE0EEEvT1_.has_dyn_sized_stack, 0
	.set _ZN7rocprim17ROCPRIM_400000_NS6detail17trampoline_kernelINS0_14default_configENS1_27scan_by_key_config_selectorIssEEZZNS1_16scan_by_key_implILNS1_25lookback_scan_determinismE0ELb0ES3_N6thrust23THRUST_200600_302600_NS6detail15normal_iteratorINS9_10device_ptrIsEEEENS9_18transform_iteratorINS9_6negateIsEESE_NS9_11use_defaultESI_EESE_sNS9_4plusIvEENS9_8equal_toIvEEsEE10hipError_tPvRmT2_T3_T4_T5_mT6_T7_P12ihipStream_tbENKUlT_T0_E_clISt17integral_constantIbLb1EES13_IbLb0EEEEDaSZ_S10_EUlSZ_E_NS1_11comp_targetILNS1_3genE10ELNS1_11target_archE1200ELNS1_3gpuE4ELNS1_3repE0EEENS1_30default_config_static_selectorELNS0_4arch9wavefront6targetE0EEEvT1_.has_recursion, 0
	.set _ZN7rocprim17ROCPRIM_400000_NS6detail17trampoline_kernelINS0_14default_configENS1_27scan_by_key_config_selectorIssEEZZNS1_16scan_by_key_implILNS1_25lookback_scan_determinismE0ELb0ES3_N6thrust23THRUST_200600_302600_NS6detail15normal_iteratorINS9_10device_ptrIsEEEENS9_18transform_iteratorINS9_6negateIsEESE_NS9_11use_defaultESI_EESE_sNS9_4plusIvEENS9_8equal_toIvEEsEE10hipError_tPvRmT2_T3_T4_T5_mT6_T7_P12ihipStream_tbENKUlT_T0_E_clISt17integral_constantIbLb1EES13_IbLb0EEEEDaSZ_S10_EUlSZ_E_NS1_11comp_targetILNS1_3genE10ELNS1_11target_archE1200ELNS1_3gpuE4ELNS1_3repE0EEENS1_30default_config_static_selectorELNS0_4arch9wavefront6targetE0EEEvT1_.has_indirect_call, 0
	.section	.AMDGPU.csdata,"",@progbits
; Kernel info:
; codeLenInByte = 0
; TotalNumSgprs: 0
; NumVgprs: 0
; ScratchSize: 0
; MemoryBound: 0
; FloatMode: 240
; IeeeMode: 1
; LDSByteSize: 0 bytes/workgroup (compile time only)
; SGPRBlocks: 0
; VGPRBlocks: 0
; NumSGPRsForWavesPerEU: 1
; NumVGPRsForWavesPerEU: 1
; NamedBarCnt: 0
; Occupancy: 16
; WaveLimiterHint : 0
; COMPUTE_PGM_RSRC2:SCRATCH_EN: 0
; COMPUTE_PGM_RSRC2:USER_SGPR: 2
; COMPUTE_PGM_RSRC2:TRAP_HANDLER: 0
; COMPUTE_PGM_RSRC2:TGID_X_EN: 1
; COMPUTE_PGM_RSRC2:TGID_Y_EN: 0
; COMPUTE_PGM_RSRC2:TGID_Z_EN: 0
; COMPUTE_PGM_RSRC2:TIDIG_COMP_CNT: 0
	.section	.text._ZN7rocprim17ROCPRIM_400000_NS6detail17trampoline_kernelINS0_14default_configENS1_27scan_by_key_config_selectorIssEEZZNS1_16scan_by_key_implILNS1_25lookback_scan_determinismE0ELb0ES3_N6thrust23THRUST_200600_302600_NS6detail15normal_iteratorINS9_10device_ptrIsEEEENS9_18transform_iteratorINS9_6negateIsEESE_NS9_11use_defaultESI_EESE_sNS9_4plusIvEENS9_8equal_toIvEEsEE10hipError_tPvRmT2_T3_T4_T5_mT6_T7_P12ihipStream_tbENKUlT_T0_E_clISt17integral_constantIbLb1EES13_IbLb0EEEEDaSZ_S10_EUlSZ_E_NS1_11comp_targetILNS1_3genE9ELNS1_11target_archE1100ELNS1_3gpuE3ELNS1_3repE0EEENS1_30default_config_static_selectorELNS0_4arch9wavefront6targetE0EEEvT1_,"axG",@progbits,_ZN7rocprim17ROCPRIM_400000_NS6detail17trampoline_kernelINS0_14default_configENS1_27scan_by_key_config_selectorIssEEZZNS1_16scan_by_key_implILNS1_25lookback_scan_determinismE0ELb0ES3_N6thrust23THRUST_200600_302600_NS6detail15normal_iteratorINS9_10device_ptrIsEEEENS9_18transform_iteratorINS9_6negateIsEESE_NS9_11use_defaultESI_EESE_sNS9_4plusIvEENS9_8equal_toIvEEsEE10hipError_tPvRmT2_T3_T4_T5_mT6_T7_P12ihipStream_tbENKUlT_T0_E_clISt17integral_constantIbLb1EES13_IbLb0EEEEDaSZ_S10_EUlSZ_E_NS1_11comp_targetILNS1_3genE9ELNS1_11target_archE1100ELNS1_3gpuE3ELNS1_3repE0EEENS1_30default_config_static_selectorELNS0_4arch9wavefront6targetE0EEEvT1_,comdat
	.protected	_ZN7rocprim17ROCPRIM_400000_NS6detail17trampoline_kernelINS0_14default_configENS1_27scan_by_key_config_selectorIssEEZZNS1_16scan_by_key_implILNS1_25lookback_scan_determinismE0ELb0ES3_N6thrust23THRUST_200600_302600_NS6detail15normal_iteratorINS9_10device_ptrIsEEEENS9_18transform_iteratorINS9_6negateIsEESE_NS9_11use_defaultESI_EESE_sNS9_4plusIvEENS9_8equal_toIvEEsEE10hipError_tPvRmT2_T3_T4_T5_mT6_T7_P12ihipStream_tbENKUlT_T0_E_clISt17integral_constantIbLb1EES13_IbLb0EEEEDaSZ_S10_EUlSZ_E_NS1_11comp_targetILNS1_3genE9ELNS1_11target_archE1100ELNS1_3gpuE3ELNS1_3repE0EEENS1_30default_config_static_selectorELNS0_4arch9wavefront6targetE0EEEvT1_ ; -- Begin function _ZN7rocprim17ROCPRIM_400000_NS6detail17trampoline_kernelINS0_14default_configENS1_27scan_by_key_config_selectorIssEEZZNS1_16scan_by_key_implILNS1_25lookback_scan_determinismE0ELb0ES3_N6thrust23THRUST_200600_302600_NS6detail15normal_iteratorINS9_10device_ptrIsEEEENS9_18transform_iteratorINS9_6negateIsEESE_NS9_11use_defaultESI_EESE_sNS9_4plusIvEENS9_8equal_toIvEEsEE10hipError_tPvRmT2_T3_T4_T5_mT6_T7_P12ihipStream_tbENKUlT_T0_E_clISt17integral_constantIbLb1EES13_IbLb0EEEEDaSZ_S10_EUlSZ_E_NS1_11comp_targetILNS1_3genE9ELNS1_11target_archE1100ELNS1_3gpuE3ELNS1_3repE0EEENS1_30default_config_static_selectorELNS0_4arch9wavefront6targetE0EEEvT1_
	.globl	_ZN7rocprim17ROCPRIM_400000_NS6detail17trampoline_kernelINS0_14default_configENS1_27scan_by_key_config_selectorIssEEZZNS1_16scan_by_key_implILNS1_25lookback_scan_determinismE0ELb0ES3_N6thrust23THRUST_200600_302600_NS6detail15normal_iteratorINS9_10device_ptrIsEEEENS9_18transform_iteratorINS9_6negateIsEESE_NS9_11use_defaultESI_EESE_sNS9_4plusIvEENS9_8equal_toIvEEsEE10hipError_tPvRmT2_T3_T4_T5_mT6_T7_P12ihipStream_tbENKUlT_T0_E_clISt17integral_constantIbLb1EES13_IbLb0EEEEDaSZ_S10_EUlSZ_E_NS1_11comp_targetILNS1_3genE9ELNS1_11target_archE1100ELNS1_3gpuE3ELNS1_3repE0EEENS1_30default_config_static_selectorELNS0_4arch9wavefront6targetE0EEEvT1_
	.p2align	8
	.type	_ZN7rocprim17ROCPRIM_400000_NS6detail17trampoline_kernelINS0_14default_configENS1_27scan_by_key_config_selectorIssEEZZNS1_16scan_by_key_implILNS1_25lookback_scan_determinismE0ELb0ES3_N6thrust23THRUST_200600_302600_NS6detail15normal_iteratorINS9_10device_ptrIsEEEENS9_18transform_iteratorINS9_6negateIsEESE_NS9_11use_defaultESI_EESE_sNS9_4plusIvEENS9_8equal_toIvEEsEE10hipError_tPvRmT2_T3_T4_T5_mT6_T7_P12ihipStream_tbENKUlT_T0_E_clISt17integral_constantIbLb1EES13_IbLb0EEEEDaSZ_S10_EUlSZ_E_NS1_11comp_targetILNS1_3genE9ELNS1_11target_archE1100ELNS1_3gpuE3ELNS1_3repE0EEENS1_30default_config_static_selectorELNS0_4arch9wavefront6targetE0EEEvT1_,@function
_ZN7rocprim17ROCPRIM_400000_NS6detail17trampoline_kernelINS0_14default_configENS1_27scan_by_key_config_selectorIssEEZZNS1_16scan_by_key_implILNS1_25lookback_scan_determinismE0ELb0ES3_N6thrust23THRUST_200600_302600_NS6detail15normal_iteratorINS9_10device_ptrIsEEEENS9_18transform_iteratorINS9_6negateIsEESE_NS9_11use_defaultESI_EESE_sNS9_4plusIvEENS9_8equal_toIvEEsEE10hipError_tPvRmT2_T3_T4_T5_mT6_T7_P12ihipStream_tbENKUlT_T0_E_clISt17integral_constantIbLb1EES13_IbLb0EEEEDaSZ_S10_EUlSZ_E_NS1_11comp_targetILNS1_3genE9ELNS1_11target_archE1100ELNS1_3gpuE3ELNS1_3repE0EEENS1_30default_config_static_selectorELNS0_4arch9wavefront6targetE0EEEvT1_: ; @_ZN7rocprim17ROCPRIM_400000_NS6detail17trampoline_kernelINS0_14default_configENS1_27scan_by_key_config_selectorIssEEZZNS1_16scan_by_key_implILNS1_25lookback_scan_determinismE0ELb0ES3_N6thrust23THRUST_200600_302600_NS6detail15normal_iteratorINS9_10device_ptrIsEEEENS9_18transform_iteratorINS9_6negateIsEESE_NS9_11use_defaultESI_EESE_sNS9_4plusIvEENS9_8equal_toIvEEsEE10hipError_tPvRmT2_T3_T4_T5_mT6_T7_P12ihipStream_tbENKUlT_T0_E_clISt17integral_constantIbLb1EES13_IbLb0EEEEDaSZ_S10_EUlSZ_E_NS1_11comp_targetILNS1_3genE9ELNS1_11target_archE1100ELNS1_3gpuE3ELNS1_3repE0EEENS1_30default_config_static_selectorELNS0_4arch9wavefront6targetE0EEEvT1_
; %bb.0:
	.section	.rodata,"a",@progbits
	.p2align	6, 0x0
	.amdhsa_kernel _ZN7rocprim17ROCPRIM_400000_NS6detail17trampoline_kernelINS0_14default_configENS1_27scan_by_key_config_selectorIssEEZZNS1_16scan_by_key_implILNS1_25lookback_scan_determinismE0ELb0ES3_N6thrust23THRUST_200600_302600_NS6detail15normal_iteratorINS9_10device_ptrIsEEEENS9_18transform_iteratorINS9_6negateIsEESE_NS9_11use_defaultESI_EESE_sNS9_4plusIvEENS9_8equal_toIvEEsEE10hipError_tPvRmT2_T3_T4_T5_mT6_T7_P12ihipStream_tbENKUlT_T0_E_clISt17integral_constantIbLb1EES13_IbLb0EEEEDaSZ_S10_EUlSZ_E_NS1_11comp_targetILNS1_3genE9ELNS1_11target_archE1100ELNS1_3gpuE3ELNS1_3repE0EEENS1_30default_config_static_selectorELNS0_4arch9wavefront6targetE0EEEvT1_
		.amdhsa_group_segment_fixed_size 0
		.amdhsa_private_segment_fixed_size 0
		.amdhsa_kernarg_size 120
		.amdhsa_user_sgpr_count 2
		.amdhsa_user_sgpr_dispatch_ptr 0
		.amdhsa_user_sgpr_queue_ptr 0
		.amdhsa_user_sgpr_kernarg_segment_ptr 1
		.amdhsa_user_sgpr_dispatch_id 0
		.amdhsa_user_sgpr_kernarg_preload_length 0
		.amdhsa_user_sgpr_kernarg_preload_offset 0
		.amdhsa_user_sgpr_private_segment_size 0
		.amdhsa_wavefront_size32 1
		.amdhsa_uses_dynamic_stack 0
		.amdhsa_enable_private_segment 0
		.amdhsa_system_sgpr_workgroup_id_x 1
		.amdhsa_system_sgpr_workgroup_id_y 0
		.amdhsa_system_sgpr_workgroup_id_z 0
		.amdhsa_system_sgpr_workgroup_info 0
		.amdhsa_system_vgpr_workitem_id 0
		.amdhsa_next_free_vgpr 1
		.amdhsa_next_free_sgpr 1
		.amdhsa_named_barrier_count 0
		.amdhsa_reserve_vcc 0
		.amdhsa_float_round_mode_32 0
		.amdhsa_float_round_mode_16_64 0
		.amdhsa_float_denorm_mode_32 3
		.amdhsa_float_denorm_mode_16_64 3
		.amdhsa_fp16_overflow 0
		.amdhsa_memory_ordered 1
		.amdhsa_forward_progress 1
		.amdhsa_inst_pref_size 0
		.amdhsa_round_robin_scheduling 0
		.amdhsa_exception_fp_ieee_invalid_op 0
		.amdhsa_exception_fp_denorm_src 0
		.amdhsa_exception_fp_ieee_div_zero 0
		.amdhsa_exception_fp_ieee_overflow 0
		.amdhsa_exception_fp_ieee_underflow 0
		.amdhsa_exception_fp_ieee_inexact 0
		.amdhsa_exception_int_div_zero 0
	.end_amdhsa_kernel
	.section	.text._ZN7rocprim17ROCPRIM_400000_NS6detail17trampoline_kernelINS0_14default_configENS1_27scan_by_key_config_selectorIssEEZZNS1_16scan_by_key_implILNS1_25lookback_scan_determinismE0ELb0ES3_N6thrust23THRUST_200600_302600_NS6detail15normal_iteratorINS9_10device_ptrIsEEEENS9_18transform_iteratorINS9_6negateIsEESE_NS9_11use_defaultESI_EESE_sNS9_4plusIvEENS9_8equal_toIvEEsEE10hipError_tPvRmT2_T3_T4_T5_mT6_T7_P12ihipStream_tbENKUlT_T0_E_clISt17integral_constantIbLb1EES13_IbLb0EEEEDaSZ_S10_EUlSZ_E_NS1_11comp_targetILNS1_3genE9ELNS1_11target_archE1100ELNS1_3gpuE3ELNS1_3repE0EEENS1_30default_config_static_selectorELNS0_4arch9wavefront6targetE0EEEvT1_,"axG",@progbits,_ZN7rocprim17ROCPRIM_400000_NS6detail17trampoline_kernelINS0_14default_configENS1_27scan_by_key_config_selectorIssEEZZNS1_16scan_by_key_implILNS1_25lookback_scan_determinismE0ELb0ES3_N6thrust23THRUST_200600_302600_NS6detail15normal_iteratorINS9_10device_ptrIsEEEENS9_18transform_iteratorINS9_6negateIsEESE_NS9_11use_defaultESI_EESE_sNS9_4plusIvEENS9_8equal_toIvEEsEE10hipError_tPvRmT2_T3_T4_T5_mT6_T7_P12ihipStream_tbENKUlT_T0_E_clISt17integral_constantIbLb1EES13_IbLb0EEEEDaSZ_S10_EUlSZ_E_NS1_11comp_targetILNS1_3genE9ELNS1_11target_archE1100ELNS1_3gpuE3ELNS1_3repE0EEENS1_30default_config_static_selectorELNS0_4arch9wavefront6targetE0EEEvT1_,comdat
.Lfunc_end990:
	.size	_ZN7rocprim17ROCPRIM_400000_NS6detail17trampoline_kernelINS0_14default_configENS1_27scan_by_key_config_selectorIssEEZZNS1_16scan_by_key_implILNS1_25lookback_scan_determinismE0ELb0ES3_N6thrust23THRUST_200600_302600_NS6detail15normal_iteratorINS9_10device_ptrIsEEEENS9_18transform_iteratorINS9_6negateIsEESE_NS9_11use_defaultESI_EESE_sNS9_4plusIvEENS9_8equal_toIvEEsEE10hipError_tPvRmT2_T3_T4_T5_mT6_T7_P12ihipStream_tbENKUlT_T0_E_clISt17integral_constantIbLb1EES13_IbLb0EEEEDaSZ_S10_EUlSZ_E_NS1_11comp_targetILNS1_3genE9ELNS1_11target_archE1100ELNS1_3gpuE3ELNS1_3repE0EEENS1_30default_config_static_selectorELNS0_4arch9wavefront6targetE0EEEvT1_, .Lfunc_end990-_ZN7rocprim17ROCPRIM_400000_NS6detail17trampoline_kernelINS0_14default_configENS1_27scan_by_key_config_selectorIssEEZZNS1_16scan_by_key_implILNS1_25lookback_scan_determinismE0ELb0ES3_N6thrust23THRUST_200600_302600_NS6detail15normal_iteratorINS9_10device_ptrIsEEEENS9_18transform_iteratorINS9_6negateIsEESE_NS9_11use_defaultESI_EESE_sNS9_4plusIvEENS9_8equal_toIvEEsEE10hipError_tPvRmT2_T3_T4_T5_mT6_T7_P12ihipStream_tbENKUlT_T0_E_clISt17integral_constantIbLb1EES13_IbLb0EEEEDaSZ_S10_EUlSZ_E_NS1_11comp_targetILNS1_3genE9ELNS1_11target_archE1100ELNS1_3gpuE3ELNS1_3repE0EEENS1_30default_config_static_selectorELNS0_4arch9wavefront6targetE0EEEvT1_
                                        ; -- End function
	.set _ZN7rocprim17ROCPRIM_400000_NS6detail17trampoline_kernelINS0_14default_configENS1_27scan_by_key_config_selectorIssEEZZNS1_16scan_by_key_implILNS1_25lookback_scan_determinismE0ELb0ES3_N6thrust23THRUST_200600_302600_NS6detail15normal_iteratorINS9_10device_ptrIsEEEENS9_18transform_iteratorINS9_6negateIsEESE_NS9_11use_defaultESI_EESE_sNS9_4plusIvEENS9_8equal_toIvEEsEE10hipError_tPvRmT2_T3_T4_T5_mT6_T7_P12ihipStream_tbENKUlT_T0_E_clISt17integral_constantIbLb1EES13_IbLb0EEEEDaSZ_S10_EUlSZ_E_NS1_11comp_targetILNS1_3genE9ELNS1_11target_archE1100ELNS1_3gpuE3ELNS1_3repE0EEENS1_30default_config_static_selectorELNS0_4arch9wavefront6targetE0EEEvT1_.num_vgpr, 0
	.set _ZN7rocprim17ROCPRIM_400000_NS6detail17trampoline_kernelINS0_14default_configENS1_27scan_by_key_config_selectorIssEEZZNS1_16scan_by_key_implILNS1_25lookback_scan_determinismE0ELb0ES3_N6thrust23THRUST_200600_302600_NS6detail15normal_iteratorINS9_10device_ptrIsEEEENS9_18transform_iteratorINS9_6negateIsEESE_NS9_11use_defaultESI_EESE_sNS9_4plusIvEENS9_8equal_toIvEEsEE10hipError_tPvRmT2_T3_T4_T5_mT6_T7_P12ihipStream_tbENKUlT_T0_E_clISt17integral_constantIbLb1EES13_IbLb0EEEEDaSZ_S10_EUlSZ_E_NS1_11comp_targetILNS1_3genE9ELNS1_11target_archE1100ELNS1_3gpuE3ELNS1_3repE0EEENS1_30default_config_static_selectorELNS0_4arch9wavefront6targetE0EEEvT1_.num_agpr, 0
	.set _ZN7rocprim17ROCPRIM_400000_NS6detail17trampoline_kernelINS0_14default_configENS1_27scan_by_key_config_selectorIssEEZZNS1_16scan_by_key_implILNS1_25lookback_scan_determinismE0ELb0ES3_N6thrust23THRUST_200600_302600_NS6detail15normal_iteratorINS9_10device_ptrIsEEEENS9_18transform_iteratorINS9_6negateIsEESE_NS9_11use_defaultESI_EESE_sNS9_4plusIvEENS9_8equal_toIvEEsEE10hipError_tPvRmT2_T3_T4_T5_mT6_T7_P12ihipStream_tbENKUlT_T0_E_clISt17integral_constantIbLb1EES13_IbLb0EEEEDaSZ_S10_EUlSZ_E_NS1_11comp_targetILNS1_3genE9ELNS1_11target_archE1100ELNS1_3gpuE3ELNS1_3repE0EEENS1_30default_config_static_selectorELNS0_4arch9wavefront6targetE0EEEvT1_.numbered_sgpr, 0
	.set _ZN7rocprim17ROCPRIM_400000_NS6detail17trampoline_kernelINS0_14default_configENS1_27scan_by_key_config_selectorIssEEZZNS1_16scan_by_key_implILNS1_25lookback_scan_determinismE0ELb0ES3_N6thrust23THRUST_200600_302600_NS6detail15normal_iteratorINS9_10device_ptrIsEEEENS9_18transform_iteratorINS9_6negateIsEESE_NS9_11use_defaultESI_EESE_sNS9_4plusIvEENS9_8equal_toIvEEsEE10hipError_tPvRmT2_T3_T4_T5_mT6_T7_P12ihipStream_tbENKUlT_T0_E_clISt17integral_constantIbLb1EES13_IbLb0EEEEDaSZ_S10_EUlSZ_E_NS1_11comp_targetILNS1_3genE9ELNS1_11target_archE1100ELNS1_3gpuE3ELNS1_3repE0EEENS1_30default_config_static_selectorELNS0_4arch9wavefront6targetE0EEEvT1_.num_named_barrier, 0
	.set _ZN7rocprim17ROCPRIM_400000_NS6detail17trampoline_kernelINS0_14default_configENS1_27scan_by_key_config_selectorIssEEZZNS1_16scan_by_key_implILNS1_25lookback_scan_determinismE0ELb0ES3_N6thrust23THRUST_200600_302600_NS6detail15normal_iteratorINS9_10device_ptrIsEEEENS9_18transform_iteratorINS9_6negateIsEESE_NS9_11use_defaultESI_EESE_sNS9_4plusIvEENS9_8equal_toIvEEsEE10hipError_tPvRmT2_T3_T4_T5_mT6_T7_P12ihipStream_tbENKUlT_T0_E_clISt17integral_constantIbLb1EES13_IbLb0EEEEDaSZ_S10_EUlSZ_E_NS1_11comp_targetILNS1_3genE9ELNS1_11target_archE1100ELNS1_3gpuE3ELNS1_3repE0EEENS1_30default_config_static_selectorELNS0_4arch9wavefront6targetE0EEEvT1_.private_seg_size, 0
	.set _ZN7rocprim17ROCPRIM_400000_NS6detail17trampoline_kernelINS0_14default_configENS1_27scan_by_key_config_selectorIssEEZZNS1_16scan_by_key_implILNS1_25lookback_scan_determinismE0ELb0ES3_N6thrust23THRUST_200600_302600_NS6detail15normal_iteratorINS9_10device_ptrIsEEEENS9_18transform_iteratorINS9_6negateIsEESE_NS9_11use_defaultESI_EESE_sNS9_4plusIvEENS9_8equal_toIvEEsEE10hipError_tPvRmT2_T3_T4_T5_mT6_T7_P12ihipStream_tbENKUlT_T0_E_clISt17integral_constantIbLb1EES13_IbLb0EEEEDaSZ_S10_EUlSZ_E_NS1_11comp_targetILNS1_3genE9ELNS1_11target_archE1100ELNS1_3gpuE3ELNS1_3repE0EEENS1_30default_config_static_selectorELNS0_4arch9wavefront6targetE0EEEvT1_.uses_vcc, 0
	.set _ZN7rocprim17ROCPRIM_400000_NS6detail17trampoline_kernelINS0_14default_configENS1_27scan_by_key_config_selectorIssEEZZNS1_16scan_by_key_implILNS1_25lookback_scan_determinismE0ELb0ES3_N6thrust23THRUST_200600_302600_NS6detail15normal_iteratorINS9_10device_ptrIsEEEENS9_18transform_iteratorINS9_6negateIsEESE_NS9_11use_defaultESI_EESE_sNS9_4plusIvEENS9_8equal_toIvEEsEE10hipError_tPvRmT2_T3_T4_T5_mT6_T7_P12ihipStream_tbENKUlT_T0_E_clISt17integral_constantIbLb1EES13_IbLb0EEEEDaSZ_S10_EUlSZ_E_NS1_11comp_targetILNS1_3genE9ELNS1_11target_archE1100ELNS1_3gpuE3ELNS1_3repE0EEENS1_30default_config_static_selectorELNS0_4arch9wavefront6targetE0EEEvT1_.uses_flat_scratch, 0
	.set _ZN7rocprim17ROCPRIM_400000_NS6detail17trampoline_kernelINS0_14default_configENS1_27scan_by_key_config_selectorIssEEZZNS1_16scan_by_key_implILNS1_25lookback_scan_determinismE0ELb0ES3_N6thrust23THRUST_200600_302600_NS6detail15normal_iteratorINS9_10device_ptrIsEEEENS9_18transform_iteratorINS9_6negateIsEESE_NS9_11use_defaultESI_EESE_sNS9_4plusIvEENS9_8equal_toIvEEsEE10hipError_tPvRmT2_T3_T4_T5_mT6_T7_P12ihipStream_tbENKUlT_T0_E_clISt17integral_constantIbLb1EES13_IbLb0EEEEDaSZ_S10_EUlSZ_E_NS1_11comp_targetILNS1_3genE9ELNS1_11target_archE1100ELNS1_3gpuE3ELNS1_3repE0EEENS1_30default_config_static_selectorELNS0_4arch9wavefront6targetE0EEEvT1_.has_dyn_sized_stack, 0
	.set _ZN7rocprim17ROCPRIM_400000_NS6detail17trampoline_kernelINS0_14default_configENS1_27scan_by_key_config_selectorIssEEZZNS1_16scan_by_key_implILNS1_25lookback_scan_determinismE0ELb0ES3_N6thrust23THRUST_200600_302600_NS6detail15normal_iteratorINS9_10device_ptrIsEEEENS9_18transform_iteratorINS9_6negateIsEESE_NS9_11use_defaultESI_EESE_sNS9_4plusIvEENS9_8equal_toIvEEsEE10hipError_tPvRmT2_T3_T4_T5_mT6_T7_P12ihipStream_tbENKUlT_T0_E_clISt17integral_constantIbLb1EES13_IbLb0EEEEDaSZ_S10_EUlSZ_E_NS1_11comp_targetILNS1_3genE9ELNS1_11target_archE1100ELNS1_3gpuE3ELNS1_3repE0EEENS1_30default_config_static_selectorELNS0_4arch9wavefront6targetE0EEEvT1_.has_recursion, 0
	.set _ZN7rocprim17ROCPRIM_400000_NS6detail17trampoline_kernelINS0_14default_configENS1_27scan_by_key_config_selectorIssEEZZNS1_16scan_by_key_implILNS1_25lookback_scan_determinismE0ELb0ES3_N6thrust23THRUST_200600_302600_NS6detail15normal_iteratorINS9_10device_ptrIsEEEENS9_18transform_iteratorINS9_6negateIsEESE_NS9_11use_defaultESI_EESE_sNS9_4plusIvEENS9_8equal_toIvEEsEE10hipError_tPvRmT2_T3_T4_T5_mT6_T7_P12ihipStream_tbENKUlT_T0_E_clISt17integral_constantIbLb1EES13_IbLb0EEEEDaSZ_S10_EUlSZ_E_NS1_11comp_targetILNS1_3genE9ELNS1_11target_archE1100ELNS1_3gpuE3ELNS1_3repE0EEENS1_30default_config_static_selectorELNS0_4arch9wavefront6targetE0EEEvT1_.has_indirect_call, 0
	.section	.AMDGPU.csdata,"",@progbits
; Kernel info:
; codeLenInByte = 0
; TotalNumSgprs: 0
; NumVgprs: 0
; ScratchSize: 0
; MemoryBound: 0
; FloatMode: 240
; IeeeMode: 1
; LDSByteSize: 0 bytes/workgroup (compile time only)
; SGPRBlocks: 0
; VGPRBlocks: 0
; NumSGPRsForWavesPerEU: 1
; NumVGPRsForWavesPerEU: 1
; NamedBarCnt: 0
; Occupancy: 16
; WaveLimiterHint : 0
; COMPUTE_PGM_RSRC2:SCRATCH_EN: 0
; COMPUTE_PGM_RSRC2:USER_SGPR: 2
; COMPUTE_PGM_RSRC2:TRAP_HANDLER: 0
; COMPUTE_PGM_RSRC2:TGID_X_EN: 1
; COMPUTE_PGM_RSRC2:TGID_Y_EN: 0
; COMPUTE_PGM_RSRC2:TGID_Z_EN: 0
; COMPUTE_PGM_RSRC2:TIDIG_COMP_CNT: 0
	.section	.text._ZN7rocprim17ROCPRIM_400000_NS6detail17trampoline_kernelINS0_14default_configENS1_27scan_by_key_config_selectorIssEEZZNS1_16scan_by_key_implILNS1_25lookback_scan_determinismE0ELb0ES3_N6thrust23THRUST_200600_302600_NS6detail15normal_iteratorINS9_10device_ptrIsEEEENS9_18transform_iteratorINS9_6negateIsEESE_NS9_11use_defaultESI_EESE_sNS9_4plusIvEENS9_8equal_toIvEEsEE10hipError_tPvRmT2_T3_T4_T5_mT6_T7_P12ihipStream_tbENKUlT_T0_E_clISt17integral_constantIbLb1EES13_IbLb0EEEEDaSZ_S10_EUlSZ_E_NS1_11comp_targetILNS1_3genE8ELNS1_11target_archE1030ELNS1_3gpuE2ELNS1_3repE0EEENS1_30default_config_static_selectorELNS0_4arch9wavefront6targetE0EEEvT1_,"axG",@progbits,_ZN7rocprim17ROCPRIM_400000_NS6detail17trampoline_kernelINS0_14default_configENS1_27scan_by_key_config_selectorIssEEZZNS1_16scan_by_key_implILNS1_25lookback_scan_determinismE0ELb0ES3_N6thrust23THRUST_200600_302600_NS6detail15normal_iteratorINS9_10device_ptrIsEEEENS9_18transform_iteratorINS9_6negateIsEESE_NS9_11use_defaultESI_EESE_sNS9_4plusIvEENS9_8equal_toIvEEsEE10hipError_tPvRmT2_T3_T4_T5_mT6_T7_P12ihipStream_tbENKUlT_T0_E_clISt17integral_constantIbLb1EES13_IbLb0EEEEDaSZ_S10_EUlSZ_E_NS1_11comp_targetILNS1_3genE8ELNS1_11target_archE1030ELNS1_3gpuE2ELNS1_3repE0EEENS1_30default_config_static_selectorELNS0_4arch9wavefront6targetE0EEEvT1_,comdat
	.protected	_ZN7rocprim17ROCPRIM_400000_NS6detail17trampoline_kernelINS0_14default_configENS1_27scan_by_key_config_selectorIssEEZZNS1_16scan_by_key_implILNS1_25lookback_scan_determinismE0ELb0ES3_N6thrust23THRUST_200600_302600_NS6detail15normal_iteratorINS9_10device_ptrIsEEEENS9_18transform_iteratorINS9_6negateIsEESE_NS9_11use_defaultESI_EESE_sNS9_4plusIvEENS9_8equal_toIvEEsEE10hipError_tPvRmT2_T3_T4_T5_mT6_T7_P12ihipStream_tbENKUlT_T0_E_clISt17integral_constantIbLb1EES13_IbLb0EEEEDaSZ_S10_EUlSZ_E_NS1_11comp_targetILNS1_3genE8ELNS1_11target_archE1030ELNS1_3gpuE2ELNS1_3repE0EEENS1_30default_config_static_selectorELNS0_4arch9wavefront6targetE0EEEvT1_ ; -- Begin function _ZN7rocprim17ROCPRIM_400000_NS6detail17trampoline_kernelINS0_14default_configENS1_27scan_by_key_config_selectorIssEEZZNS1_16scan_by_key_implILNS1_25lookback_scan_determinismE0ELb0ES3_N6thrust23THRUST_200600_302600_NS6detail15normal_iteratorINS9_10device_ptrIsEEEENS9_18transform_iteratorINS9_6negateIsEESE_NS9_11use_defaultESI_EESE_sNS9_4plusIvEENS9_8equal_toIvEEsEE10hipError_tPvRmT2_T3_T4_T5_mT6_T7_P12ihipStream_tbENKUlT_T0_E_clISt17integral_constantIbLb1EES13_IbLb0EEEEDaSZ_S10_EUlSZ_E_NS1_11comp_targetILNS1_3genE8ELNS1_11target_archE1030ELNS1_3gpuE2ELNS1_3repE0EEENS1_30default_config_static_selectorELNS0_4arch9wavefront6targetE0EEEvT1_
	.globl	_ZN7rocprim17ROCPRIM_400000_NS6detail17trampoline_kernelINS0_14default_configENS1_27scan_by_key_config_selectorIssEEZZNS1_16scan_by_key_implILNS1_25lookback_scan_determinismE0ELb0ES3_N6thrust23THRUST_200600_302600_NS6detail15normal_iteratorINS9_10device_ptrIsEEEENS9_18transform_iteratorINS9_6negateIsEESE_NS9_11use_defaultESI_EESE_sNS9_4plusIvEENS9_8equal_toIvEEsEE10hipError_tPvRmT2_T3_T4_T5_mT6_T7_P12ihipStream_tbENKUlT_T0_E_clISt17integral_constantIbLb1EES13_IbLb0EEEEDaSZ_S10_EUlSZ_E_NS1_11comp_targetILNS1_3genE8ELNS1_11target_archE1030ELNS1_3gpuE2ELNS1_3repE0EEENS1_30default_config_static_selectorELNS0_4arch9wavefront6targetE0EEEvT1_
	.p2align	8
	.type	_ZN7rocprim17ROCPRIM_400000_NS6detail17trampoline_kernelINS0_14default_configENS1_27scan_by_key_config_selectorIssEEZZNS1_16scan_by_key_implILNS1_25lookback_scan_determinismE0ELb0ES3_N6thrust23THRUST_200600_302600_NS6detail15normal_iteratorINS9_10device_ptrIsEEEENS9_18transform_iteratorINS9_6negateIsEESE_NS9_11use_defaultESI_EESE_sNS9_4plusIvEENS9_8equal_toIvEEsEE10hipError_tPvRmT2_T3_T4_T5_mT6_T7_P12ihipStream_tbENKUlT_T0_E_clISt17integral_constantIbLb1EES13_IbLb0EEEEDaSZ_S10_EUlSZ_E_NS1_11comp_targetILNS1_3genE8ELNS1_11target_archE1030ELNS1_3gpuE2ELNS1_3repE0EEENS1_30default_config_static_selectorELNS0_4arch9wavefront6targetE0EEEvT1_,@function
_ZN7rocprim17ROCPRIM_400000_NS6detail17trampoline_kernelINS0_14default_configENS1_27scan_by_key_config_selectorIssEEZZNS1_16scan_by_key_implILNS1_25lookback_scan_determinismE0ELb0ES3_N6thrust23THRUST_200600_302600_NS6detail15normal_iteratorINS9_10device_ptrIsEEEENS9_18transform_iteratorINS9_6negateIsEESE_NS9_11use_defaultESI_EESE_sNS9_4plusIvEENS9_8equal_toIvEEsEE10hipError_tPvRmT2_T3_T4_T5_mT6_T7_P12ihipStream_tbENKUlT_T0_E_clISt17integral_constantIbLb1EES13_IbLb0EEEEDaSZ_S10_EUlSZ_E_NS1_11comp_targetILNS1_3genE8ELNS1_11target_archE1030ELNS1_3gpuE2ELNS1_3repE0EEENS1_30default_config_static_selectorELNS0_4arch9wavefront6targetE0EEEvT1_: ; @_ZN7rocprim17ROCPRIM_400000_NS6detail17trampoline_kernelINS0_14default_configENS1_27scan_by_key_config_selectorIssEEZZNS1_16scan_by_key_implILNS1_25lookback_scan_determinismE0ELb0ES3_N6thrust23THRUST_200600_302600_NS6detail15normal_iteratorINS9_10device_ptrIsEEEENS9_18transform_iteratorINS9_6negateIsEESE_NS9_11use_defaultESI_EESE_sNS9_4plusIvEENS9_8equal_toIvEEsEE10hipError_tPvRmT2_T3_T4_T5_mT6_T7_P12ihipStream_tbENKUlT_T0_E_clISt17integral_constantIbLb1EES13_IbLb0EEEEDaSZ_S10_EUlSZ_E_NS1_11comp_targetILNS1_3genE8ELNS1_11target_archE1030ELNS1_3gpuE2ELNS1_3repE0EEENS1_30default_config_static_selectorELNS0_4arch9wavefront6targetE0EEEvT1_
; %bb.0:
	.section	.rodata,"a",@progbits
	.p2align	6, 0x0
	.amdhsa_kernel _ZN7rocprim17ROCPRIM_400000_NS6detail17trampoline_kernelINS0_14default_configENS1_27scan_by_key_config_selectorIssEEZZNS1_16scan_by_key_implILNS1_25lookback_scan_determinismE0ELb0ES3_N6thrust23THRUST_200600_302600_NS6detail15normal_iteratorINS9_10device_ptrIsEEEENS9_18transform_iteratorINS9_6negateIsEESE_NS9_11use_defaultESI_EESE_sNS9_4plusIvEENS9_8equal_toIvEEsEE10hipError_tPvRmT2_T3_T4_T5_mT6_T7_P12ihipStream_tbENKUlT_T0_E_clISt17integral_constantIbLb1EES13_IbLb0EEEEDaSZ_S10_EUlSZ_E_NS1_11comp_targetILNS1_3genE8ELNS1_11target_archE1030ELNS1_3gpuE2ELNS1_3repE0EEENS1_30default_config_static_selectorELNS0_4arch9wavefront6targetE0EEEvT1_
		.amdhsa_group_segment_fixed_size 0
		.amdhsa_private_segment_fixed_size 0
		.amdhsa_kernarg_size 120
		.amdhsa_user_sgpr_count 2
		.amdhsa_user_sgpr_dispatch_ptr 0
		.amdhsa_user_sgpr_queue_ptr 0
		.amdhsa_user_sgpr_kernarg_segment_ptr 1
		.amdhsa_user_sgpr_dispatch_id 0
		.amdhsa_user_sgpr_kernarg_preload_length 0
		.amdhsa_user_sgpr_kernarg_preload_offset 0
		.amdhsa_user_sgpr_private_segment_size 0
		.amdhsa_wavefront_size32 1
		.amdhsa_uses_dynamic_stack 0
		.amdhsa_enable_private_segment 0
		.amdhsa_system_sgpr_workgroup_id_x 1
		.amdhsa_system_sgpr_workgroup_id_y 0
		.amdhsa_system_sgpr_workgroup_id_z 0
		.amdhsa_system_sgpr_workgroup_info 0
		.amdhsa_system_vgpr_workitem_id 0
		.amdhsa_next_free_vgpr 1
		.amdhsa_next_free_sgpr 1
		.amdhsa_named_barrier_count 0
		.amdhsa_reserve_vcc 0
		.amdhsa_float_round_mode_32 0
		.amdhsa_float_round_mode_16_64 0
		.amdhsa_float_denorm_mode_32 3
		.amdhsa_float_denorm_mode_16_64 3
		.amdhsa_fp16_overflow 0
		.amdhsa_memory_ordered 1
		.amdhsa_forward_progress 1
		.amdhsa_inst_pref_size 0
		.amdhsa_round_robin_scheduling 0
		.amdhsa_exception_fp_ieee_invalid_op 0
		.amdhsa_exception_fp_denorm_src 0
		.amdhsa_exception_fp_ieee_div_zero 0
		.amdhsa_exception_fp_ieee_overflow 0
		.amdhsa_exception_fp_ieee_underflow 0
		.amdhsa_exception_fp_ieee_inexact 0
		.amdhsa_exception_int_div_zero 0
	.end_amdhsa_kernel
	.section	.text._ZN7rocprim17ROCPRIM_400000_NS6detail17trampoline_kernelINS0_14default_configENS1_27scan_by_key_config_selectorIssEEZZNS1_16scan_by_key_implILNS1_25lookback_scan_determinismE0ELb0ES3_N6thrust23THRUST_200600_302600_NS6detail15normal_iteratorINS9_10device_ptrIsEEEENS9_18transform_iteratorINS9_6negateIsEESE_NS9_11use_defaultESI_EESE_sNS9_4plusIvEENS9_8equal_toIvEEsEE10hipError_tPvRmT2_T3_T4_T5_mT6_T7_P12ihipStream_tbENKUlT_T0_E_clISt17integral_constantIbLb1EES13_IbLb0EEEEDaSZ_S10_EUlSZ_E_NS1_11comp_targetILNS1_3genE8ELNS1_11target_archE1030ELNS1_3gpuE2ELNS1_3repE0EEENS1_30default_config_static_selectorELNS0_4arch9wavefront6targetE0EEEvT1_,"axG",@progbits,_ZN7rocprim17ROCPRIM_400000_NS6detail17trampoline_kernelINS0_14default_configENS1_27scan_by_key_config_selectorIssEEZZNS1_16scan_by_key_implILNS1_25lookback_scan_determinismE0ELb0ES3_N6thrust23THRUST_200600_302600_NS6detail15normal_iteratorINS9_10device_ptrIsEEEENS9_18transform_iteratorINS9_6negateIsEESE_NS9_11use_defaultESI_EESE_sNS9_4plusIvEENS9_8equal_toIvEEsEE10hipError_tPvRmT2_T3_T4_T5_mT6_T7_P12ihipStream_tbENKUlT_T0_E_clISt17integral_constantIbLb1EES13_IbLb0EEEEDaSZ_S10_EUlSZ_E_NS1_11comp_targetILNS1_3genE8ELNS1_11target_archE1030ELNS1_3gpuE2ELNS1_3repE0EEENS1_30default_config_static_selectorELNS0_4arch9wavefront6targetE0EEEvT1_,comdat
.Lfunc_end991:
	.size	_ZN7rocprim17ROCPRIM_400000_NS6detail17trampoline_kernelINS0_14default_configENS1_27scan_by_key_config_selectorIssEEZZNS1_16scan_by_key_implILNS1_25lookback_scan_determinismE0ELb0ES3_N6thrust23THRUST_200600_302600_NS6detail15normal_iteratorINS9_10device_ptrIsEEEENS9_18transform_iteratorINS9_6negateIsEESE_NS9_11use_defaultESI_EESE_sNS9_4plusIvEENS9_8equal_toIvEEsEE10hipError_tPvRmT2_T3_T4_T5_mT6_T7_P12ihipStream_tbENKUlT_T0_E_clISt17integral_constantIbLb1EES13_IbLb0EEEEDaSZ_S10_EUlSZ_E_NS1_11comp_targetILNS1_3genE8ELNS1_11target_archE1030ELNS1_3gpuE2ELNS1_3repE0EEENS1_30default_config_static_selectorELNS0_4arch9wavefront6targetE0EEEvT1_, .Lfunc_end991-_ZN7rocprim17ROCPRIM_400000_NS6detail17trampoline_kernelINS0_14default_configENS1_27scan_by_key_config_selectorIssEEZZNS1_16scan_by_key_implILNS1_25lookback_scan_determinismE0ELb0ES3_N6thrust23THRUST_200600_302600_NS6detail15normal_iteratorINS9_10device_ptrIsEEEENS9_18transform_iteratorINS9_6negateIsEESE_NS9_11use_defaultESI_EESE_sNS9_4plusIvEENS9_8equal_toIvEEsEE10hipError_tPvRmT2_T3_T4_T5_mT6_T7_P12ihipStream_tbENKUlT_T0_E_clISt17integral_constantIbLb1EES13_IbLb0EEEEDaSZ_S10_EUlSZ_E_NS1_11comp_targetILNS1_3genE8ELNS1_11target_archE1030ELNS1_3gpuE2ELNS1_3repE0EEENS1_30default_config_static_selectorELNS0_4arch9wavefront6targetE0EEEvT1_
                                        ; -- End function
	.set _ZN7rocprim17ROCPRIM_400000_NS6detail17trampoline_kernelINS0_14default_configENS1_27scan_by_key_config_selectorIssEEZZNS1_16scan_by_key_implILNS1_25lookback_scan_determinismE0ELb0ES3_N6thrust23THRUST_200600_302600_NS6detail15normal_iteratorINS9_10device_ptrIsEEEENS9_18transform_iteratorINS9_6negateIsEESE_NS9_11use_defaultESI_EESE_sNS9_4plusIvEENS9_8equal_toIvEEsEE10hipError_tPvRmT2_T3_T4_T5_mT6_T7_P12ihipStream_tbENKUlT_T0_E_clISt17integral_constantIbLb1EES13_IbLb0EEEEDaSZ_S10_EUlSZ_E_NS1_11comp_targetILNS1_3genE8ELNS1_11target_archE1030ELNS1_3gpuE2ELNS1_3repE0EEENS1_30default_config_static_selectorELNS0_4arch9wavefront6targetE0EEEvT1_.num_vgpr, 0
	.set _ZN7rocprim17ROCPRIM_400000_NS6detail17trampoline_kernelINS0_14default_configENS1_27scan_by_key_config_selectorIssEEZZNS1_16scan_by_key_implILNS1_25lookback_scan_determinismE0ELb0ES3_N6thrust23THRUST_200600_302600_NS6detail15normal_iteratorINS9_10device_ptrIsEEEENS9_18transform_iteratorINS9_6negateIsEESE_NS9_11use_defaultESI_EESE_sNS9_4plusIvEENS9_8equal_toIvEEsEE10hipError_tPvRmT2_T3_T4_T5_mT6_T7_P12ihipStream_tbENKUlT_T0_E_clISt17integral_constantIbLb1EES13_IbLb0EEEEDaSZ_S10_EUlSZ_E_NS1_11comp_targetILNS1_3genE8ELNS1_11target_archE1030ELNS1_3gpuE2ELNS1_3repE0EEENS1_30default_config_static_selectorELNS0_4arch9wavefront6targetE0EEEvT1_.num_agpr, 0
	.set _ZN7rocprim17ROCPRIM_400000_NS6detail17trampoline_kernelINS0_14default_configENS1_27scan_by_key_config_selectorIssEEZZNS1_16scan_by_key_implILNS1_25lookback_scan_determinismE0ELb0ES3_N6thrust23THRUST_200600_302600_NS6detail15normal_iteratorINS9_10device_ptrIsEEEENS9_18transform_iteratorINS9_6negateIsEESE_NS9_11use_defaultESI_EESE_sNS9_4plusIvEENS9_8equal_toIvEEsEE10hipError_tPvRmT2_T3_T4_T5_mT6_T7_P12ihipStream_tbENKUlT_T0_E_clISt17integral_constantIbLb1EES13_IbLb0EEEEDaSZ_S10_EUlSZ_E_NS1_11comp_targetILNS1_3genE8ELNS1_11target_archE1030ELNS1_3gpuE2ELNS1_3repE0EEENS1_30default_config_static_selectorELNS0_4arch9wavefront6targetE0EEEvT1_.numbered_sgpr, 0
	.set _ZN7rocprim17ROCPRIM_400000_NS6detail17trampoline_kernelINS0_14default_configENS1_27scan_by_key_config_selectorIssEEZZNS1_16scan_by_key_implILNS1_25lookback_scan_determinismE0ELb0ES3_N6thrust23THRUST_200600_302600_NS6detail15normal_iteratorINS9_10device_ptrIsEEEENS9_18transform_iteratorINS9_6negateIsEESE_NS9_11use_defaultESI_EESE_sNS9_4plusIvEENS9_8equal_toIvEEsEE10hipError_tPvRmT2_T3_T4_T5_mT6_T7_P12ihipStream_tbENKUlT_T0_E_clISt17integral_constantIbLb1EES13_IbLb0EEEEDaSZ_S10_EUlSZ_E_NS1_11comp_targetILNS1_3genE8ELNS1_11target_archE1030ELNS1_3gpuE2ELNS1_3repE0EEENS1_30default_config_static_selectorELNS0_4arch9wavefront6targetE0EEEvT1_.num_named_barrier, 0
	.set _ZN7rocprim17ROCPRIM_400000_NS6detail17trampoline_kernelINS0_14default_configENS1_27scan_by_key_config_selectorIssEEZZNS1_16scan_by_key_implILNS1_25lookback_scan_determinismE0ELb0ES3_N6thrust23THRUST_200600_302600_NS6detail15normal_iteratorINS9_10device_ptrIsEEEENS9_18transform_iteratorINS9_6negateIsEESE_NS9_11use_defaultESI_EESE_sNS9_4plusIvEENS9_8equal_toIvEEsEE10hipError_tPvRmT2_T3_T4_T5_mT6_T7_P12ihipStream_tbENKUlT_T0_E_clISt17integral_constantIbLb1EES13_IbLb0EEEEDaSZ_S10_EUlSZ_E_NS1_11comp_targetILNS1_3genE8ELNS1_11target_archE1030ELNS1_3gpuE2ELNS1_3repE0EEENS1_30default_config_static_selectorELNS0_4arch9wavefront6targetE0EEEvT1_.private_seg_size, 0
	.set _ZN7rocprim17ROCPRIM_400000_NS6detail17trampoline_kernelINS0_14default_configENS1_27scan_by_key_config_selectorIssEEZZNS1_16scan_by_key_implILNS1_25lookback_scan_determinismE0ELb0ES3_N6thrust23THRUST_200600_302600_NS6detail15normal_iteratorINS9_10device_ptrIsEEEENS9_18transform_iteratorINS9_6negateIsEESE_NS9_11use_defaultESI_EESE_sNS9_4plusIvEENS9_8equal_toIvEEsEE10hipError_tPvRmT2_T3_T4_T5_mT6_T7_P12ihipStream_tbENKUlT_T0_E_clISt17integral_constantIbLb1EES13_IbLb0EEEEDaSZ_S10_EUlSZ_E_NS1_11comp_targetILNS1_3genE8ELNS1_11target_archE1030ELNS1_3gpuE2ELNS1_3repE0EEENS1_30default_config_static_selectorELNS0_4arch9wavefront6targetE0EEEvT1_.uses_vcc, 0
	.set _ZN7rocprim17ROCPRIM_400000_NS6detail17trampoline_kernelINS0_14default_configENS1_27scan_by_key_config_selectorIssEEZZNS1_16scan_by_key_implILNS1_25lookback_scan_determinismE0ELb0ES3_N6thrust23THRUST_200600_302600_NS6detail15normal_iteratorINS9_10device_ptrIsEEEENS9_18transform_iteratorINS9_6negateIsEESE_NS9_11use_defaultESI_EESE_sNS9_4plusIvEENS9_8equal_toIvEEsEE10hipError_tPvRmT2_T3_T4_T5_mT6_T7_P12ihipStream_tbENKUlT_T0_E_clISt17integral_constantIbLb1EES13_IbLb0EEEEDaSZ_S10_EUlSZ_E_NS1_11comp_targetILNS1_3genE8ELNS1_11target_archE1030ELNS1_3gpuE2ELNS1_3repE0EEENS1_30default_config_static_selectorELNS0_4arch9wavefront6targetE0EEEvT1_.uses_flat_scratch, 0
	.set _ZN7rocprim17ROCPRIM_400000_NS6detail17trampoline_kernelINS0_14default_configENS1_27scan_by_key_config_selectorIssEEZZNS1_16scan_by_key_implILNS1_25lookback_scan_determinismE0ELb0ES3_N6thrust23THRUST_200600_302600_NS6detail15normal_iteratorINS9_10device_ptrIsEEEENS9_18transform_iteratorINS9_6negateIsEESE_NS9_11use_defaultESI_EESE_sNS9_4plusIvEENS9_8equal_toIvEEsEE10hipError_tPvRmT2_T3_T4_T5_mT6_T7_P12ihipStream_tbENKUlT_T0_E_clISt17integral_constantIbLb1EES13_IbLb0EEEEDaSZ_S10_EUlSZ_E_NS1_11comp_targetILNS1_3genE8ELNS1_11target_archE1030ELNS1_3gpuE2ELNS1_3repE0EEENS1_30default_config_static_selectorELNS0_4arch9wavefront6targetE0EEEvT1_.has_dyn_sized_stack, 0
	.set _ZN7rocprim17ROCPRIM_400000_NS6detail17trampoline_kernelINS0_14default_configENS1_27scan_by_key_config_selectorIssEEZZNS1_16scan_by_key_implILNS1_25lookback_scan_determinismE0ELb0ES3_N6thrust23THRUST_200600_302600_NS6detail15normal_iteratorINS9_10device_ptrIsEEEENS9_18transform_iteratorINS9_6negateIsEESE_NS9_11use_defaultESI_EESE_sNS9_4plusIvEENS9_8equal_toIvEEsEE10hipError_tPvRmT2_T3_T4_T5_mT6_T7_P12ihipStream_tbENKUlT_T0_E_clISt17integral_constantIbLb1EES13_IbLb0EEEEDaSZ_S10_EUlSZ_E_NS1_11comp_targetILNS1_3genE8ELNS1_11target_archE1030ELNS1_3gpuE2ELNS1_3repE0EEENS1_30default_config_static_selectorELNS0_4arch9wavefront6targetE0EEEvT1_.has_recursion, 0
	.set _ZN7rocprim17ROCPRIM_400000_NS6detail17trampoline_kernelINS0_14default_configENS1_27scan_by_key_config_selectorIssEEZZNS1_16scan_by_key_implILNS1_25lookback_scan_determinismE0ELb0ES3_N6thrust23THRUST_200600_302600_NS6detail15normal_iteratorINS9_10device_ptrIsEEEENS9_18transform_iteratorINS9_6negateIsEESE_NS9_11use_defaultESI_EESE_sNS9_4plusIvEENS9_8equal_toIvEEsEE10hipError_tPvRmT2_T3_T4_T5_mT6_T7_P12ihipStream_tbENKUlT_T0_E_clISt17integral_constantIbLb1EES13_IbLb0EEEEDaSZ_S10_EUlSZ_E_NS1_11comp_targetILNS1_3genE8ELNS1_11target_archE1030ELNS1_3gpuE2ELNS1_3repE0EEENS1_30default_config_static_selectorELNS0_4arch9wavefront6targetE0EEEvT1_.has_indirect_call, 0
	.section	.AMDGPU.csdata,"",@progbits
; Kernel info:
; codeLenInByte = 0
; TotalNumSgprs: 0
; NumVgprs: 0
; ScratchSize: 0
; MemoryBound: 0
; FloatMode: 240
; IeeeMode: 1
; LDSByteSize: 0 bytes/workgroup (compile time only)
; SGPRBlocks: 0
; VGPRBlocks: 0
; NumSGPRsForWavesPerEU: 1
; NumVGPRsForWavesPerEU: 1
; NamedBarCnt: 0
; Occupancy: 16
; WaveLimiterHint : 0
; COMPUTE_PGM_RSRC2:SCRATCH_EN: 0
; COMPUTE_PGM_RSRC2:USER_SGPR: 2
; COMPUTE_PGM_RSRC2:TRAP_HANDLER: 0
; COMPUTE_PGM_RSRC2:TGID_X_EN: 1
; COMPUTE_PGM_RSRC2:TGID_Y_EN: 0
; COMPUTE_PGM_RSRC2:TGID_Z_EN: 0
; COMPUTE_PGM_RSRC2:TIDIG_COMP_CNT: 0
	.section	.text._ZN7rocprim17ROCPRIM_400000_NS6detail17trampoline_kernelINS0_14default_configENS1_27scan_by_key_config_selectorIssEEZZNS1_16scan_by_key_implILNS1_25lookback_scan_determinismE0ELb0ES3_N6thrust23THRUST_200600_302600_NS6detail15normal_iteratorINS9_10device_ptrIsEEEENS9_18transform_iteratorINS9_6negateIsEESE_NS9_11use_defaultESI_EESE_sNS9_4plusIvEENS9_8equal_toIvEEsEE10hipError_tPvRmT2_T3_T4_T5_mT6_T7_P12ihipStream_tbENKUlT_T0_E_clISt17integral_constantIbLb0EES13_IbLb1EEEEDaSZ_S10_EUlSZ_E_NS1_11comp_targetILNS1_3genE0ELNS1_11target_archE4294967295ELNS1_3gpuE0ELNS1_3repE0EEENS1_30default_config_static_selectorELNS0_4arch9wavefront6targetE0EEEvT1_,"axG",@progbits,_ZN7rocprim17ROCPRIM_400000_NS6detail17trampoline_kernelINS0_14default_configENS1_27scan_by_key_config_selectorIssEEZZNS1_16scan_by_key_implILNS1_25lookback_scan_determinismE0ELb0ES3_N6thrust23THRUST_200600_302600_NS6detail15normal_iteratorINS9_10device_ptrIsEEEENS9_18transform_iteratorINS9_6negateIsEESE_NS9_11use_defaultESI_EESE_sNS9_4plusIvEENS9_8equal_toIvEEsEE10hipError_tPvRmT2_T3_T4_T5_mT6_T7_P12ihipStream_tbENKUlT_T0_E_clISt17integral_constantIbLb0EES13_IbLb1EEEEDaSZ_S10_EUlSZ_E_NS1_11comp_targetILNS1_3genE0ELNS1_11target_archE4294967295ELNS1_3gpuE0ELNS1_3repE0EEENS1_30default_config_static_selectorELNS0_4arch9wavefront6targetE0EEEvT1_,comdat
	.protected	_ZN7rocprim17ROCPRIM_400000_NS6detail17trampoline_kernelINS0_14default_configENS1_27scan_by_key_config_selectorIssEEZZNS1_16scan_by_key_implILNS1_25lookback_scan_determinismE0ELb0ES3_N6thrust23THRUST_200600_302600_NS6detail15normal_iteratorINS9_10device_ptrIsEEEENS9_18transform_iteratorINS9_6negateIsEESE_NS9_11use_defaultESI_EESE_sNS9_4plusIvEENS9_8equal_toIvEEsEE10hipError_tPvRmT2_T3_T4_T5_mT6_T7_P12ihipStream_tbENKUlT_T0_E_clISt17integral_constantIbLb0EES13_IbLb1EEEEDaSZ_S10_EUlSZ_E_NS1_11comp_targetILNS1_3genE0ELNS1_11target_archE4294967295ELNS1_3gpuE0ELNS1_3repE0EEENS1_30default_config_static_selectorELNS0_4arch9wavefront6targetE0EEEvT1_ ; -- Begin function _ZN7rocprim17ROCPRIM_400000_NS6detail17trampoline_kernelINS0_14default_configENS1_27scan_by_key_config_selectorIssEEZZNS1_16scan_by_key_implILNS1_25lookback_scan_determinismE0ELb0ES3_N6thrust23THRUST_200600_302600_NS6detail15normal_iteratorINS9_10device_ptrIsEEEENS9_18transform_iteratorINS9_6negateIsEESE_NS9_11use_defaultESI_EESE_sNS9_4plusIvEENS9_8equal_toIvEEsEE10hipError_tPvRmT2_T3_T4_T5_mT6_T7_P12ihipStream_tbENKUlT_T0_E_clISt17integral_constantIbLb0EES13_IbLb1EEEEDaSZ_S10_EUlSZ_E_NS1_11comp_targetILNS1_3genE0ELNS1_11target_archE4294967295ELNS1_3gpuE0ELNS1_3repE0EEENS1_30default_config_static_selectorELNS0_4arch9wavefront6targetE0EEEvT1_
	.globl	_ZN7rocprim17ROCPRIM_400000_NS6detail17trampoline_kernelINS0_14default_configENS1_27scan_by_key_config_selectorIssEEZZNS1_16scan_by_key_implILNS1_25lookback_scan_determinismE0ELb0ES3_N6thrust23THRUST_200600_302600_NS6detail15normal_iteratorINS9_10device_ptrIsEEEENS9_18transform_iteratorINS9_6negateIsEESE_NS9_11use_defaultESI_EESE_sNS9_4plusIvEENS9_8equal_toIvEEsEE10hipError_tPvRmT2_T3_T4_T5_mT6_T7_P12ihipStream_tbENKUlT_T0_E_clISt17integral_constantIbLb0EES13_IbLb1EEEEDaSZ_S10_EUlSZ_E_NS1_11comp_targetILNS1_3genE0ELNS1_11target_archE4294967295ELNS1_3gpuE0ELNS1_3repE0EEENS1_30default_config_static_selectorELNS0_4arch9wavefront6targetE0EEEvT1_
	.p2align	8
	.type	_ZN7rocprim17ROCPRIM_400000_NS6detail17trampoline_kernelINS0_14default_configENS1_27scan_by_key_config_selectorIssEEZZNS1_16scan_by_key_implILNS1_25lookback_scan_determinismE0ELb0ES3_N6thrust23THRUST_200600_302600_NS6detail15normal_iteratorINS9_10device_ptrIsEEEENS9_18transform_iteratorINS9_6negateIsEESE_NS9_11use_defaultESI_EESE_sNS9_4plusIvEENS9_8equal_toIvEEsEE10hipError_tPvRmT2_T3_T4_T5_mT6_T7_P12ihipStream_tbENKUlT_T0_E_clISt17integral_constantIbLb0EES13_IbLb1EEEEDaSZ_S10_EUlSZ_E_NS1_11comp_targetILNS1_3genE0ELNS1_11target_archE4294967295ELNS1_3gpuE0ELNS1_3repE0EEENS1_30default_config_static_selectorELNS0_4arch9wavefront6targetE0EEEvT1_,@function
_ZN7rocprim17ROCPRIM_400000_NS6detail17trampoline_kernelINS0_14default_configENS1_27scan_by_key_config_selectorIssEEZZNS1_16scan_by_key_implILNS1_25lookback_scan_determinismE0ELb0ES3_N6thrust23THRUST_200600_302600_NS6detail15normal_iteratorINS9_10device_ptrIsEEEENS9_18transform_iteratorINS9_6negateIsEESE_NS9_11use_defaultESI_EESE_sNS9_4plusIvEENS9_8equal_toIvEEsEE10hipError_tPvRmT2_T3_T4_T5_mT6_T7_P12ihipStream_tbENKUlT_T0_E_clISt17integral_constantIbLb0EES13_IbLb1EEEEDaSZ_S10_EUlSZ_E_NS1_11comp_targetILNS1_3genE0ELNS1_11target_archE4294967295ELNS1_3gpuE0ELNS1_3repE0EEENS1_30default_config_static_selectorELNS0_4arch9wavefront6targetE0EEEvT1_: ; @_ZN7rocprim17ROCPRIM_400000_NS6detail17trampoline_kernelINS0_14default_configENS1_27scan_by_key_config_selectorIssEEZZNS1_16scan_by_key_implILNS1_25lookback_scan_determinismE0ELb0ES3_N6thrust23THRUST_200600_302600_NS6detail15normal_iteratorINS9_10device_ptrIsEEEENS9_18transform_iteratorINS9_6negateIsEESE_NS9_11use_defaultESI_EESE_sNS9_4plusIvEENS9_8equal_toIvEEsEE10hipError_tPvRmT2_T3_T4_T5_mT6_T7_P12ihipStream_tbENKUlT_T0_E_clISt17integral_constantIbLb0EES13_IbLb1EEEEDaSZ_S10_EUlSZ_E_NS1_11comp_targetILNS1_3genE0ELNS1_11target_archE4294967295ELNS1_3gpuE0ELNS1_3repE0EEENS1_30default_config_static_selectorELNS0_4arch9wavefront6targetE0EEEvT1_
; %bb.0:
	s_clause 0x3
	s_load_b128 s[4:7], s[0:1], 0x0
	s_load_b64 s[10:11], s[0:1], 0x10
	s_load_b128 s[28:31], s[0:1], 0x30
	s_load_b64 s[38:39], s[0:1], 0x40
	v_cmp_ne_u32_e64 s3, 0, v0
	v_cmp_eq_u32_e64 s2, 0, v0
	s_and_saveexec_b32 s8, s2
	s_cbranch_execz .LBB992_4
; %bb.1:
	s_mov_b32 s12, exec_lo
	s_mov_b32 s9, exec_lo
	v_mbcnt_lo_u32_b32 v1, s12, 0
                                        ; implicit-def: $vgpr2
	s_delay_alu instid0(VALU_DEP_1)
	v_cmpx_eq_u32_e32 0, v1
	s_cbranch_execz .LBB992_3
; %bb.2:
	s_load_b64 s[14:15], s[0:1], 0x70
	s_bcnt1_i32_b32 s12, s12
	s_delay_alu instid0(SALU_CYCLE_1)
	v_dual_mov_b32 v2, 0 :: v_dual_mov_b32 v3, s12
	s_wait_xcnt 0x0
	s_wait_kmcnt 0x0
	global_atomic_add_u32 v2, v2, v3, s[14:15] th:TH_ATOMIC_RETURN scope:SCOPE_DEV
.LBB992_3:
	s_wait_xcnt 0x0
	s_or_b32 exec_lo, exec_lo, s9
	s_wait_loadcnt 0x0
	v_readfirstlane_b32 s9, v2
	s_delay_alu instid0(VALU_DEP_1)
	v_dual_mov_b32 v2, 0 :: v_dual_add_nc_u32 v1, s9, v1
	ds_store_b32 v2, v1
.LBB992_4:
	s_or_b32 exec_lo, exec_lo, s8
	v_mov_b32_e32 v2, 0
	s_clause 0x2
	s_load_b64 s[34:35], s[0:1], 0x20
	s_load_b32 s8, s[0:1], 0x48
	s_load_b256 s[20:27], s[0:1], 0x50
	s_wait_dscnt 0x0
	s_barrier_signal -1
	s_barrier_wait -1
	ds_load_b32 v1, v2
	s_mov_b32 s9, 0
	s_wait_kmcnt 0x0
	s_lshl_b64 s[36:37], s[6:7], 1
	s_wait_dscnt 0x0
	s_add_nc_u64 s[0:1], s[4:5], s[36:37]
	s_add_nc_u64 s[4:5], s[10:11], s[36:37]
	s_mov_b32 s11, s9
	s_barrier_signal -1
	s_barrier_wait -1
	s_barrier_signal -1
	s_barrier_wait -1
	s_mul_u64 s[6:7], s[38:39], s[8:9]
	s_cmp_lg_u64 s[24:25], 0
	s_cselect_b32 s48, -1, 0
	v_readfirstlane_b32 s8, v1
	s_add_nc_u64 s[44:45], s[6:7], s[8:9]
	s_add_nc_u64 s[6:7], s[20:21], -1
	s_mul_i32 s10, s8, 0x1400
	v_cmp_ge_u64_e64 s31, s[44:45], s[6:7]
	s_lshl_b64 s[24:25], s[10:11], 1
	s_mul_i32 s33, s6, 0xffffec00
	s_add_nc_u64 s[42:43], s[0:1], s[24:25]
	s_add_nc_u64 s[40:41], s[4:5], s[24:25]
	s_and_b32 vcc_lo, exec_lo, s31
	s_cbranch_vccz .LBB992_48
; %bb.5:
	flat_load_u16 v3, v2, s[42:43]
	s_add_co_i32 s49, s33, s30
	s_delay_alu instid0(SALU_CYCLE_1)
	v_cmp_gt_u32_e64 s0, s49, v0
	s_wait_loadcnt_dscnt 0x0
	v_mov_b32_e32 v4, v3
	s_and_saveexec_b32 s1, s0
	s_cbranch_execz .LBB992_7
; %bb.6:
	flat_load_u16 v4, v0, s[42:43] scale_offset
.LBB992_7:
	s_wait_xcnt 0x0
	s_or_b32 exec_lo, exec_lo, s1
	v_or_b32_e32 v2, 0x100, v0
	v_mov_b32_e32 v5, v3
	s_delay_alu instid0(VALU_DEP_2)
	v_cmp_gt_u32_e64 s1, s49, v2
	s_and_saveexec_b32 s4, s1
	s_cbranch_execz .LBB992_9
; %bb.8:
	flat_load_u16 v5, v0, s[42:43] offset:512 scale_offset
.LBB992_9:
	s_wait_xcnt 0x0
	s_or_b32 exec_lo, exec_lo, s4
	v_or_b32_e32 v2, 0x200, v0
	v_mov_b32_e32 v6, v3
	s_delay_alu instid0(VALU_DEP_2)
	v_cmp_gt_u32_e64 s4, s49, v2
	s_and_saveexec_b32 s5, s4
	s_cbranch_execz .LBB992_11
; %bb.10:
	flat_load_u16 v6, v0, s[42:43] offset:1024 scale_offset
.LBB992_11:
	;; [unrolled: 11-line block ×18, first 2 shown]
	s_wait_xcnt 0x0
	s_or_b32 exec_lo, exec_lo, s21
	v_or_b32_e32 v2, 0x1300, v0
	s_mov_b32 s46, exec_lo
	s_delay_alu instid0(VALU_DEP_1) | instskip(SKIP_2) | instid1(SALU_CYCLE_1)
	v_cmp_gt_u32_e64 s21, s49, v2
	v_cmpx_le_u32_e64 s49, v2
	s_xor_b32 s46, exec_lo, s46
	s_and_not1_saveexec_b32 s46, s46
	s_cbranch_execz .LBB992_45
; %bb.44:
	flat_load_u16 v3, v0, s[42:43] offset:9728 scale_offset
.LBB992_45:
	s_wait_xcnt 0x0
	s_or_b32 exec_lo, exec_lo, s46
	v_lshlrev_b32_e32 v2, 1, v0
	s_cmp_eq_u64 s[44:45], 0
	s_mov_b64 s[46:47], s[42:43]
	s_wait_loadcnt_dscnt 0x0
	ds_store_b16 v2, v4
	ds_store_b16 v2, v5 offset:512
	ds_store_b16 v2, v6 offset:1024
	;; [unrolled: 1-line block ×19, first 2 shown]
	v_mad_u32_u24 v48, v0, 38, v2
	s_wait_dscnt 0x0
	s_barrier_signal -1
	s_barrier_wait -1
	ds_load_2addr_b64 v[10:13], v48 offset1:1
	ds_load_2addr_b64 v[6:9], v48 offset0:2 offset1:3
	ds_load_b64 v[14:15], v48 offset:32
	s_cbranch_scc1 .LBB992_51
; %bb.46:
	s_and_not1_b32 vcc_lo, exec_lo, s48
	s_cbranch_vccnz .LBB992_49
; %bb.47:
	s_lshl_b64 s[46:47], s[44:45], 1
	s_mov_b32 s50, 0
	s_add_nc_u64 s[46:47], s[26:27], s[46:47]
	s_delay_alu instid0(SALU_CYCLE_1)
	s_add_nc_u64 s[46:47], s[46:47], -2
	s_branch .LBB992_50
.LBB992_48:
                                        ; implicit-def: $sgpr4
                                        ; implicit-def: $vgpr42
                                        ; implicit-def: $vgpr31
                                        ; implicit-def: $vgpr2
                                        ; implicit-def: $vgpr44
                                        ; implicit-def: $vgpr54
                                        ; implicit-def: $vgpr51
                                        ; implicit-def: $vgpr52
                                        ; implicit-def: $vgpr50
                                        ; implicit-def: $vgpr47
                                        ; implicit-def: $vgpr46
                                        ; implicit-def: $vgpr45
                                        ; implicit-def: $vgpr43
                                        ; implicit-def: $vgpr41
                                        ; implicit-def: $vgpr40
                                        ; implicit-def: $vgpr39
                                        ; implicit-def: $vgpr38
                                        ; implicit-def: $vgpr37
                                        ; implicit-def: $vgpr35
                                        ; implicit-def: $vgpr36
                                        ; implicit-def: $vgpr34
                                        ; implicit-def: $vgpr33
                                        ; implicit-def: $vgpr32
                                        ; implicit-def: $vgpr30
                                        ; implicit-def: $vgpr29
                                        ; implicit-def: $vgpr28
                                        ; implicit-def: $vgpr27
                                        ; implicit-def: $vgpr26
                                        ; implicit-def: $vgpr25
                                        ; implicit-def: $vgpr24
                                        ; implicit-def: $vgpr23
                                        ; implicit-def: $vgpr22
                                        ; implicit-def: $vgpr21
                                        ; implicit-def: $vgpr20
                                        ; implicit-def: $vgpr19
                                        ; implicit-def: $vgpr18
                                        ; implicit-def: $vgpr17
                                        ; implicit-def: $vgpr16
	v_lshlrev_b32_e32 v10, 1, v0
	s_cbranch_execnz .LBB992_113
	s_branch .LBB992_140
.LBB992_49:
	s_add_nc_u64 s[46:47], s[42:43], -2
	s_mov_b32 s50, -1
.LBB992_50:
	s_delay_alu instid0(SALU_CYCLE_1)
	s_and_not1_b32 vcc_lo, exec_lo, s50
.LBB992_51:
	s_wait_dscnt 0x0
	v_dual_mov_b32 v3, 0 :: v_dual_lshrrev_b32 v49, 16, v15
	v_mad_i32_i24 v4, 0xffffffda, v0, v48
	flat_load_u16 v3, v3, s[46:47]
	ds_store_b16 v4, v49 offset:10240
	s_wait_loadcnt_dscnt 0x0
	s_barrier_signal -1
	s_barrier_wait -1
	s_and_saveexec_b32 s46, s3
; %bb.52:
	v_mul_i32_i24_e32 v3, 0xffffffda, v0
	s_delay_alu instid0(VALU_DEP_1)
	v_add_nc_u32_e32 v3, v48, v3
	ds_load_u16 v3, v3 offset:10238
; %bb.53:
	s_or_b32 exec_lo, exec_lo, s46
	s_wait_dscnt 0x0
	s_barrier_signal -1
	s_barrier_wait -1
                                        ; implicit-def: $vgpr4
	s_and_saveexec_b32 s46, s0
	s_cbranch_execnz .LBB992_116
; %bb.54:
	s_or_b32 exec_lo, exec_lo, s46
                                        ; implicit-def: $vgpr5
	s_and_saveexec_b32 s0, s1
	s_cbranch_execnz .LBB992_117
.LBB992_55:
	s_or_b32 exec_lo, exec_lo, s0
                                        ; implicit-def: $vgpr16
	s_and_saveexec_b32 s0, s4
	s_cbranch_execnz .LBB992_118
.LBB992_56:
	s_or_b32 exec_lo, exec_lo, s0
                                        ; implicit-def: $vgpr17
	s_and_saveexec_b32 s0, s5
	s_cbranch_execnz .LBB992_119
.LBB992_57:
	s_or_b32 exec_lo, exec_lo, s0
                                        ; implicit-def: $vgpr18
	s_and_saveexec_b32 s0, s6
	s_cbranch_execnz .LBB992_120
.LBB992_58:
	s_or_b32 exec_lo, exec_lo, s0
                                        ; implicit-def: $vgpr19
	s_and_saveexec_b32 s0, s7
	s_cbranch_execnz .LBB992_121
.LBB992_59:
	s_or_b32 exec_lo, exec_lo, s0
                                        ; implicit-def: $vgpr20
	s_and_saveexec_b32 s0, s8
	s_cbranch_execnz .LBB992_122
.LBB992_60:
	s_or_b32 exec_lo, exec_lo, s0
                                        ; implicit-def: $vgpr21
	s_and_saveexec_b32 s0, s9
	s_cbranch_execnz .LBB992_123
.LBB992_61:
	s_or_b32 exec_lo, exec_lo, s0
                                        ; implicit-def: $vgpr22
	s_and_saveexec_b32 s0, s10
	s_cbranch_execnz .LBB992_124
.LBB992_62:
	s_or_b32 exec_lo, exec_lo, s0
                                        ; implicit-def: $vgpr23
	s_and_saveexec_b32 s0, s11
	s_cbranch_execnz .LBB992_125
.LBB992_63:
	s_or_b32 exec_lo, exec_lo, s0
                                        ; implicit-def: $vgpr24
	s_and_saveexec_b32 s0, s12
	s_cbranch_execnz .LBB992_126
.LBB992_64:
	s_or_b32 exec_lo, exec_lo, s0
                                        ; implicit-def: $vgpr25
	s_and_saveexec_b32 s0, s13
	s_cbranch_execnz .LBB992_127
.LBB992_65:
	s_or_b32 exec_lo, exec_lo, s0
                                        ; implicit-def: $vgpr26
	s_and_saveexec_b32 s0, s14
	s_cbranch_execnz .LBB992_128
.LBB992_66:
	s_or_b32 exec_lo, exec_lo, s0
                                        ; implicit-def: $vgpr27
	s_and_saveexec_b32 s0, s15
	s_cbranch_execnz .LBB992_129
.LBB992_67:
	s_or_b32 exec_lo, exec_lo, s0
                                        ; implicit-def: $vgpr28
	s_and_saveexec_b32 s0, s16
	s_cbranch_execnz .LBB992_130
.LBB992_68:
	s_or_b32 exec_lo, exec_lo, s0
                                        ; implicit-def: $vgpr29
	s_and_saveexec_b32 s0, s17
	s_cbranch_execnz .LBB992_131
.LBB992_69:
	s_or_b32 exec_lo, exec_lo, s0
                                        ; implicit-def: $vgpr30
	s_and_saveexec_b32 s0, s18
	s_cbranch_execnz .LBB992_132
.LBB992_70:
	s_or_b32 exec_lo, exec_lo, s0
                                        ; implicit-def: $vgpr31
	s_and_saveexec_b32 s0, s19
	s_cbranch_execnz .LBB992_133
.LBB992_71:
	s_or_b32 exec_lo, exec_lo, s0
                                        ; implicit-def: $vgpr32
	s_and_saveexec_b32 s0, s20
	s_cbranch_execnz .LBB992_134
.LBB992_72:
	s_or_b32 exec_lo, exec_lo, s0
                                        ; implicit-def: $vgpr33
	s_and_saveexec_b32 s0, s21
	s_cbranch_execz .LBB992_74
.LBB992_73:
	global_load_u16 v33, v0, s[40:41] offset:9728 scale_offset
	s_wait_loadcnt 0x0
	v_sub_nc_u16 v33, 0, v33
.LBB992_74:
	s_or_b32 exec_lo, exec_lo, s0
	v_mul_u32_u24_e32 v53, 20, v0
	ds_store_b16 v2, v4
	ds_store_b16 v2, v5 offset:512
	ds_store_b16 v2, v16 offset:1024
	;; [unrolled: 1-line block ×19, first 2 shown]
	v_dual_mov_b32 v31, 0 :: v_dual_mov_b32 v2, 0
	v_dual_mov_b32 v44, 0 :: v_dual_mov_b32 v54, 0
	v_cmp_gt_u32_e32 vcc_lo, s49, v53
	v_dual_mov_b32 v51, 0 :: v_dual_mov_b32 v52, 0
	v_dual_mov_b32 v50, 0 :: v_dual_mov_b32 v47, 0
	;; [unrolled: 1-line block ×16, first 2 shown]
	s_mov_b32 s0, 0
	s_mov_b32 s9, 0
	s_wait_dscnt 0x0
	s_barrier_signal -1
	s_barrier_wait -1
                                        ; implicit-def: $sgpr4
                                        ; implicit-def: $vgpr42
	s_and_saveexec_b32 s1, vcc_lo
	s_cbranch_execz .LBB992_112
; %bb.75:
	ds_load_u16 v31, v48
	v_dual_mov_b32 v2, 0 :: v_dual_bitop2_b32 v4, 1, v53 bitop3:0x54
	v_cmp_eq_u16_e32 vcc_lo, v3, v10
	v_dual_mov_b32 v44, 0 :: v_dual_mov_b32 v54, 0
	v_dual_mov_b32 v51, 0 :: v_dual_mov_b32 v52, 0
	v_cndmask_b32_e64 v34, 0x10000, 0, vcc_lo
	v_cmp_gt_u32_e32 vcc_lo, s49, v4
	v_dual_mov_b32 v50, 0 :: v_dual_mov_b32 v47, 0
	v_dual_mov_b32 v46, 0 :: v_dual_mov_b32 v45, 0
	;; [unrolled: 1-line block ×14, first 2 shown]
	v_mov_b32_e32 v16, 0
	s_mov_b32 s6, 0
                                        ; implicit-def: $sgpr4
                                        ; implicit-def: $vgpr42
	s_and_saveexec_b32 s5, vcc_lo
	s_cbranch_execz .LBB992_111
; %bb.76:
	ds_load_b128 v[2:5], v48 offset:2
	v_dual_lshrrev_b32 v55, 16, v10 :: v_dual_bitop2_b32 v16, 2, v53 bitop3:0x54
	v_dual_mov_b32 v44, 0 :: v_dual_mov_b32 v54, 0
	v_dual_mov_b32 v51, 0 :: v_dual_mov_b32 v52, 0
	s_delay_alu instid0(VALU_DEP_3)
	v_cmp_eq_u16_e32 vcc_lo, v10, v55
	v_dual_mov_b32 v50, 0 :: v_dual_mov_b32 v47, 0
	v_dual_mov_b32 v46, 0 :: v_dual_mov_b32 v45, 0
	v_cndmask_b32_e64 v33, 0x10000, 0, vcc_lo
	v_cmp_gt_u32_e32 vcc_lo, s49, v16
	v_dual_mov_b32 v43, 0 :: v_dual_mov_b32 v41, 0
	v_dual_mov_b32 v40, 0 :: v_dual_mov_b32 v39, 0
	;; [unrolled: 1-line block ×12, first 2 shown]
	s_mov_b32 s7, 0
                                        ; implicit-def: $sgpr4
                                        ; implicit-def: $vgpr42
	s_and_saveexec_b32 s6, vcc_lo
	s_cbranch_execz .LBB992_110
; %bb.77:
	s_wait_dscnt 0x0
	v_dual_lshrrev_b32 v32, 16, v2 :: v_dual_bitop2_b32 v10, 3, v53 bitop3:0x54
	v_cmp_eq_u16_e32 vcc_lo, v55, v11
	v_dual_mov_b32 v54, 0 :: v_dual_mov_b32 v51, 0
	v_dual_mov_b32 v52, 0 :: v_dual_mov_b32 v50, 0
	v_cndmask_b32_e64 v44, 0x10000, 0, vcc_lo
	v_cmp_gt_u32_e32 vcc_lo, s49, v10
	v_dual_mov_b32 v47, 0 :: v_dual_mov_b32 v46, 0
	v_dual_mov_b32 v45, 0 :: v_dual_mov_b32 v43, 0
	;; [unrolled: 1-line block ×13, first 2 shown]
	s_mov_b32 s8, 0
                                        ; implicit-def: $sgpr4
                                        ; implicit-def: $vgpr42
	s_and_saveexec_b32 s7, vcc_lo
	s_cbranch_execz .LBB992_109
; %bb.78:
	v_dual_lshrrev_b32 v10, 16, v11 :: v_dual_add_nc_u32 v16, 4, v53
	v_dual_mov_b32 v51, 0 :: v_dual_mov_b32 v52, 0
	v_dual_mov_b32 v50, 0 :: v_dual_mov_b32 v47, 0
	s_delay_alu instid0(VALU_DEP_3)
	v_cmp_eq_u16_e32 vcc_lo, v11, v10
	v_dual_mov_b32 v46, 0 :: v_dual_mov_b32 v45, 0
	v_dual_mov_b32 v43, 0 :: v_dual_mov_b32 v41, 0
	v_cndmask_b32_e64 v30, 0x10000, 0, vcc_lo
	v_cmp_gt_u32_e32 vcc_lo, s49, v16
	v_dual_mov_b32 v40, 0 :: v_dual_mov_b32 v39, 0
	v_dual_mov_b32 v38, 0 :: v_dual_mov_b32 v37, 0
	;; [unrolled: 1-line block ×10, first 2 shown]
                                        ; implicit-def: $sgpr4
                                        ; implicit-def: $vgpr42
	s_and_saveexec_b32 s8, vcc_lo
	s_cbranch_execz .LBB992_108
; %bb.79:
	v_dual_add_nc_u32 v11, 5, v53 :: v_dual_lshrrev_b32 v29, 16, v3
	v_cmp_eq_u16_e32 vcc_lo, v10, v12
	v_dual_mov_b32 v52, 0 :: v_dual_mov_b32 v50, 0
	v_dual_mov_b32 v47, 0 :: v_dual_mov_b32 v46, 0
	v_cndmask_b32_e64 v51, 0x10000, 0, vcc_lo
	v_cmp_gt_u32_e32 vcc_lo, s49, v11
	v_dual_mov_b32 v45, 0 :: v_dual_mov_b32 v43, 0
	v_dual_mov_b32 v41, 0 :: v_dual_mov_b32 v40, 0
	v_dual_mov_b32 v39, 0 :: v_dual_mov_b32 v38, 0
	v_dual_mov_b32 v37, 0 :: v_dual_mov_b32 v35, 0
	v_dual_mov_b32 v36, 0 :: v_dual_mov_b32 v28, 0
	v_dual_mov_b32 v27, 0 :: v_dual_mov_b32 v26, 0
	v_dual_mov_b32 v25, 0 :: v_dual_mov_b32 v24, 0
	v_dual_mov_b32 v23, 0 :: v_dual_mov_b32 v22, 0
	v_dual_mov_b32 v21, 0 :: v_dual_mov_b32 v20, 0
	v_dual_mov_b32 v19, 0 :: v_dual_mov_b32 v18, 0
	v_dual_mov_b32 v17, 0 :: v_dual_mov_b32 v16, 0
	s_mov_b32 s10, 0
                                        ; implicit-def: $sgpr4
                                        ; implicit-def: $vgpr42
	s_and_saveexec_b32 s9, vcc_lo
	s_cbranch_execz .LBB992_107
; %bb.80:
	v_dual_lshrrev_b32 v10, 16, v12 :: v_dual_add_nc_u32 v11, 6, v53
	v_dual_mov_b32 v50, 0 :: v_dual_mov_b32 v47, 0
	v_dual_mov_b32 v46, 0 :: v_dual_mov_b32 v45, 0
	s_delay_alu instid0(VALU_DEP_3)
	v_cmp_eq_u16_e32 vcc_lo, v12, v10
	v_dual_mov_b32 v43, 0 :: v_dual_mov_b32 v41, 0
	v_dual_mov_b32 v40, 0 :: v_dual_mov_b32 v39, 0
	v_cndmask_b32_e64 v28, 0x10000, 0, vcc_lo
	v_cmp_gt_u32_e32 vcc_lo, s49, v11
	v_dual_mov_b32 v38, 0 :: v_dual_mov_b32 v37, 0
	v_dual_mov_b32 v35, 0 :: v_dual_mov_b32 v36, 0
	;; [unrolled: 1-line block ×8, first 2 shown]
	s_mov_b32 s11, 0
                                        ; implicit-def: $sgpr4
                                        ; implicit-def: $vgpr42
	s_and_saveexec_b32 s10, vcc_lo
	s_cbranch_execz .LBB992_106
; %bb.81:
	v_dual_add_nc_u32 v11, 7, v53 :: v_dual_lshrrev_b32 v27, 16, v4
	v_cmp_eq_u16_e32 vcc_lo, v10, v13
	v_dual_mov_b32 v47, 0 :: v_dual_mov_b32 v46, 0
	v_dual_mov_b32 v45, 0 :: v_dual_mov_b32 v43, 0
	v_cndmask_b32_e64 v50, 0x10000, 0, vcc_lo
	v_cmp_gt_u32_e32 vcc_lo, s49, v11
	v_dual_mov_b32 v41, 0 :: v_dual_mov_b32 v40, 0
	v_dual_mov_b32 v39, 0 :: v_dual_mov_b32 v38, 0
	;; [unrolled: 1-line block ×9, first 2 shown]
	s_mov_b32 s12, 0
                                        ; implicit-def: $sgpr4
                                        ; implicit-def: $vgpr42
	s_and_saveexec_b32 s11, vcc_lo
	s_cbranch_execz .LBB992_105
; %bb.82:
	v_dual_lshrrev_b32 v10, 16, v13 :: v_dual_mov_b32 v46, 0
	v_dual_add_nc_u32 v11, 8, v53 :: v_dual_mov_b32 v45, 0
	v_dual_mov_b32 v43, 0 :: v_dual_mov_b32 v41, 0
	s_delay_alu instid0(VALU_DEP_3)
	v_cmp_eq_u16_e32 vcc_lo, v13, v10
	v_dual_mov_b32 v40, 0 :: v_dual_mov_b32 v39, 0
	v_dual_mov_b32 v38, 0 :: v_dual_mov_b32 v37, 0
	v_cndmask_b32_e64 v26, 0x10000, 0, vcc_lo
	v_cmp_gt_u32_e32 vcc_lo, s49, v11
	v_dual_mov_b32 v35, 0 :: v_dual_mov_b32 v36, 0
	v_dual_mov_b32 v25, 0 :: v_dual_mov_b32 v24, 0
	;; [unrolled: 1-line block ×6, first 2 shown]
	s_mov_b32 s13, 0
                                        ; implicit-def: $sgpr4
                                        ; implicit-def: $vgpr42
	s_and_saveexec_b32 s12, vcc_lo
	s_cbranch_execz .LBB992_104
; %bb.83:
	v_dual_add_nc_u32 v11, 9, v53 :: v_dual_mov_b32 v45, 0
	v_cmp_eq_u16_e32 vcc_lo, v10, v6
	v_dual_lshrrev_b32 v25, 16, v5 :: v_dual_mov_b32 v43, 0
	v_dual_mov_b32 v41, 0 :: v_dual_mov_b32 v40, 0
	v_cndmask_b32_e64 v46, 0x10000, 0, vcc_lo
	v_cmp_gt_u32_e32 vcc_lo, s49, v11
	v_dual_mov_b32 v39, 0 :: v_dual_mov_b32 v38, 0
	v_dual_mov_b32 v37, 0 :: v_dual_mov_b32 v35, 0
	;; [unrolled: 1-line block ×7, first 2 shown]
	s_mov_b32 s14, 0
                                        ; implicit-def: $sgpr4
                                        ; implicit-def: $vgpr42
	s_and_saveexec_b32 s13, vcc_lo
	s_cbranch_execz .LBB992_103
; %bb.84:
	ds_load_b128 v[10:13], v48 offset:18
	v_dual_lshrrev_b32 v24, 16, v6 :: v_dual_add_nc_u32 v16, 10, v53
	v_dual_mov_b32 v43, 0 :: v_dual_mov_b32 v41, 0
	v_dual_mov_b32 v40, 0 :: v_dual_mov_b32 v39, 0
	s_delay_alu instid0(VALU_DEP_3)
	v_cmp_eq_u16_e32 vcc_lo, v6, v24
	v_dual_mov_b32 v38, 0 :: v_dual_mov_b32 v37, 0
	v_dual_mov_b32 v35, 0 :: v_dual_mov_b32 v36, 0
	v_cndmask_b32_e64 v6, 0x10000, 0, vcc_lo
	v_cmp_gt_u32_e32 vcc_lo, s49, v16
	v_dual_mov_b32 v23, 0 :: v_dual_mov_b32 v22, 0
	v_dual_mov_b32 v21, 0 :: v_dual_mov_b32 v20, 0
	;; [unrolled: 1-line block ×4, first 2 shown]
	s_mov_b32 s15, 0
                                        ; implicit-def: $sgpr4
                                        ; implicit-def: $vgpr42
	s_and_saveexec_b32 s14, vcc_lo
	s_cbranch_execz .LBB992_102
; %bb.85:
	s_wait_dscnt 0x0
	v_dual_add_nc_u32 v16, 11, v53 :: v_dual_lshrrev_b32 v23, 16, v10
	v_cmp_eq_u16_e32 vcc_lo, v24, v7
	v_dual_mov_b32 v41, 0 :: v_dual_mov_b32 v40, 0
	v_dual_mov_b32 v39, 0 :: v_dual_mov_b32 v38, 0
	v_cndmask_b32_e64 v24, 0x10000, 0, vcc_lo
	v_cmp_gt_u32_e32 vcc_lo, s49, v16
	v_dual_mov_b32 v37, 0 :: v_dual_mov_b32 v35, 0
	v_dual_mov_b32 v36, 0 :: v_dual_mov_b32 v22, 0
	;; [unrolled: 1-line block ×5, first 2 shown]
	s_mov_b32 s16, 0
                                        ; implicit-def: $sgpr4
                                        ; implicit-def: $vgpr42
	s_and_saveexec_b32 s15, vcc_lo
	s_cbranch_execz .LBB992_101
; %bb.86:
	v_dual_lshrrev_b32 v22, 16, v7 :: v_dual_add_nc_u32 v16, 12, v53
	v_dual_mov_b32 v40, 0 :: v_dual_mov_b32 v39, 0
	v_dual_mov_b32 v38, 0 :: v_dual_mov_b32 v37, 0
	s_delay_alu instid0(VALU_DEP_3)
	v_cmp_eq_u16_e32 vcc_lo, v7, v22
	v_dual_mov_b32 v35, 0 :: v_dual_mov_b32 v36, 0
	v_dual_mov_b32 v21, 0 :: v_dual_mov_b32 v20, 0
	v_cndmask_b32_e64 v7, 0x10000, 0, vcc_lo
	v_cmp_gt_u32_e32 vcc_lo, s49, v16
	v_dual_mov_b32 v19, 0 :: v_dual_mov_b32 v18, 0
	v_dual_mov_b32 v17, 0 :: v_dual_mov_b32 v16, 0
	s_mov_b32 s17, 0
                                        ; implicit-def: $sgpr4
                                        ; implicit-def: $vgpr42
	s_and_saveexec_b32 s16, vcc_lo
	s_cbranch_execz .LBB992_100
; %bb.87:
	v_dual_add_nc_u32 v16, 13, v53 :: v_dual_lshrrev_b32 v21, 16, v11
	v_cmp_eq_u16_e32 vcc_lo, v22, v8
	v_dual_mov_b32 v39, 0 :: v_dual_mov_b32 v38, 0
	v_dual_mov_b32 v37, 0 :: v_dual_mov_b32 v35, 0
	v_cndmask_b32_e64 v22, 0x10000, 0, vcc_lo
	v_cmp_gt_u32_e32 vcc_lo, s49, v16
	v_dual_mov_b32 v36, 0 :: v_dual_mov_b32 v20, 0
	v_dual_mov_b32 v19, 0 :: v_dual_mov_b32 v18, 0
	;; [unrolled: 1-line block ×3, first 2 shown]
	s_mov_b32 s18, 0
                                        ; implicit-def: $sgpr4
                                        ; implicit-def: $vgpr42
	s_and_saveexec_b32 s17, vcc_lo
	s_cbranch_execz .LBB992_99
; %bb.88:
	v_dual_lshrrev_b32 v20, 16, v8 :: v_dual_add_nc_u32 v16, 14, v53
	v_dual_mov_b32 v38, 0 :: v_dual_mov_b32 v37, 0
	v_dual_mov_b32 v35, 0 :: v_dual_mov_b32 v36, 0
	s_delay_alu instid0(VALU_DEP_3)
	v_cmp_eq_u16_e32 vcc_lo, v8, v20
	v_dual_mov_b32 v19, 0 :: v_dual_mov_b32 v18, 0
	v_mov_b32_e32 v17, 0
	s_mov_b32 s19, 0
	v_cndmask_b32_e64 v8, 0x10000, 0, vcc_lo
	v_cmp_gt_u32_e32 vcc_lo, s49, v16
	v_mov_b32_e32 v16, 0
                                        ; implicit-def: $sgpr4
                                        ; implicit-def: $vgpr42
	s_and_saveexec_b32 s18, vcc_lo
	s_cbranch_execz .LBB992_98
; %bb.89:
	v_dual_add_nc_u32 v16, 15, v53 :: v_dual_lshrrev_b32 v19, 16, v12
	v_cmp_eq_u16_e32 vcc_lo, v20, v9
	v_dual_mov_b32 v37, 0 :: v_dual_mov_b32 v35, 0
	v_dual_mov_b32 v36, 0 :: v_dual_mov_b32 v18, 0
	v_cndmask_b32_e64 v20, 0x10000, 0, vcc_lo
	v_cmp_gt_u32_e32 vcc_lo, s49, v16
	v_dual_mov_b32 v17, 0 :: v_dual_mov_b32 v16, 0
	s_mov_b32 s20, 0
                                        ; implicit-def: $sgpr4
                                        ; implicit-def: $vgpr42
	s_and_saveexec_b32 s19, vcc_lo
	s_cbranch_execz .LBB992_97
; %bb.90:
	v_dual_mov_b32 v35, 0 :: v_dual_lshrrev_b32 v18, 16, v9
	v_dual_add_nc_u32 v16, 16, v53 :: v_dual_mov_b32 v36, 0
	v_mov_b32_e32 v17, 0
	s_delay_alu instid0(VALU_DEP_3)
	v_cmp_eq_u16_e32 vcc_lo, v9, v18
	s_mov_b32 s21, 0
                                        ; implicit-def: $sgpr4
                                        ; implicit-def: $vgpr42
	v_cndmask_b32_e64 v9, 0x10000, 0, vcc_lo
	v_cmp_gt_u32_e32 vcc_lo, s49, v16
	v_mov_b32_e32 v16, 0
	s_and_saveexec_b32 s20, vcc_lo
	s_cbranch_execz .LBB992_96
; %bb.91:
	v_dual_add_nc_u32 v16, 17, v53 :: v_dual_mov_b32 v36, 0
	v_cmp_eq_u16_e32 vcc_lo, v18, v14
	v_lshrrev_b32_e32 v17, 16, v13
	s_mov_b32 s46, 0
                                        ; implicit-def: $sgpr4
                                        ; implicit-def: $vgpr42
	v_cndmask_b32_e64 v18, 0x10000, 0, vcc_lo
	v_cmp_gt_u32_e32 vcc_lo, s49, v16
	v_mov_b32_e32 v16, 0
	s_and_saveexec_b32 s21, vcc_lo
	s_cbranch_execz .LBB992_95
; %bb.92:
	ds_load_u16 v35, v48 offset:34
	v_dual_lshrrev_b32 v36, 16, v14 :: v_dual_add_nc_u32 v37, 18, v53
	v_mov_b32_e32 v16, 0
	s_mov_b32 s47, 0
	s_mov_b32 s46, exec_lo
	s_delay_alu instid0(VALU_DEP_2)
	v_cmp_eq_u16_e32 vcc_lo, v14, v36
                                        ; implicit-def: $sgpr4
                                        ; implicit-def: $vgpr42
	v_cndmask_b32_e64 v14, 0x10000, 0, vcc_lo
	v_cmpx_gt_u32_e64 s49, v37
	s_xor_b32 s46, exec_lo, s46
	s_cbranch_execz .LBB992_94
; %bb.93:
	ds_load_b32 v16, v48 offset:36
	v_cmp_eq_u16_e32 vcc_lo, v36, v15
	v_add_nc_u32_e32 v37, 19, v53
	v_cmp_ne_u16_e64 s4, v15, v49
	v_cndmask_b32_e64 v36, 0x10000, 0, vcc_lo
	s_wait_dscnt 0x0
	v_lshrrev_b32_e32 v42, 16, v16
	v_cmp_gt_u32_e32 vcc_lo, s49, v37
	s_delay_alu instid0(VALU_DEP_3)
	v_and_or_b32 v16, 0xffff, v16, v36
	s_and_b32 s47, vcc_lo, exec_lo
.LBB992_94:
	s_or_b32 exec_lo, exec_lo, s46
	s_wait_dscnt 0x0
	v_or_b32_e32 v36, v14, v35
	s_and_b32 s46, s47, exec_lo
.LBB992_95:
	s_or_b32 exec_lo, exec_lo, s21
	s_delay_alu instid0(VALU_DEP_1)
	v_dual_mov_b32 v17, v36 :: v_dual_bitop2_b32 v35, v18, v17 bitop3:0x54
	s_and_b32 s21, s46, exec_lo
.LBB992_96:
	s_or_b32 exec_lo, exec_lo, s20
	v_and_or_b32 v37, 0xffff, v13, v9
	s_delay_alu instid0(VALU_DEP_2)
	v_mov_b32_e32 v18, v35
	s_and_b32 s20, s21, exec_lo
.LBB992_97:
	s_or_b32 exec_lo, exec_lo, s19
	s_delay_alu instid0(VALU_DEP_2)
	v_dual_mov_b32 v19, v37 :: v_dual_bitop2_b32 v38, v20, v19 bitop3:0x54
	s_and_b32 s19, s20, exec_lo
.LBB992_98:
	s_or_b32 exec_lo, exec_lo, s18
	v_and_or_b32 v39, 0xffff, v12, v8
	s_delay_alu instid0(VALU_DEP_2)
	v_mov_b32_e32 v20, v38
	s_and_b32 s18, s19, exec_lo
.LBB992_99:
	s_or_b32 exec_lo, exec_lo, s17
	s_delay_alu instid0(VALU_DEP_2)
	v_dual_mov_b32 v21, v39 :: v_dual_bitop2_b32 v40, v22, v21 bitop3:0x54
	s_and_b32 s17, s18, exec_lo
.LBB992_100:
	s_or_b32 exec_lo, exec_lo, s16
	v_and_or_b32 v41, 0xffff, v11, v7
	s_delay_alu instid0(VALU_DEP_2)
	v_mov_b32_e32 v22, v40
	s_and_b32 s16, s17, exec_lo
.LBB992_101:
	s_or_b32 exec_lo, exec_lo, s15
	s_delay_alu instid0(VALU_DEP_2)
	v_dual_mov_b32 v23, v41 :: v_dual_bitop2_b32 v43, v24, v23 bitop3:0x54
	s_and_b32 s15, s16, exec_lo
.LBB992_102:
	s_or_b32 exec_lo, exec_lo, s14
	s_wait_dscnt 0x0
	v_and_or_b32 v45, 0xffff, v10, v6
	v_mov_b32_e32 v24, v43
	s_and_b32 s14, s15, exec_lo
.LBB992_103:
	s_or_b32 exec_lo, exec_lo, s13
	s_delay_alu instid0(VALU_DEP_2)
	v_dual_mov_b32 v25, v45 :: v_dual_bitop2_b32 v46, v46, v25 bitop3:0x54
	s_and_b32 s13, s14, exec_lo
.LBB992_104:
	s_or_b32 exec_lo, exec_lo, s12
	v_and_or_b32 v47, 0xffff, v5, v26
	s_delay_alu instid0(VALU_DEP_2)
	v_mov_b32_e32 v26, v46
	s_and_b32 s12, s13, exec_lo
.LBB992_105:
	s_or_b32 exec_lo, exec_lo, s11
	s_delay_alu instid0(VALU_DEP_2)
	v_dual_mov_b32 v27, v47 :: v_dual_bitop2_b32 v50, v50, v27 bitop3:0x54
	s_and_b32 s11, s12, exec_lo
.LBB992_106:
	s_or_b32 exec_lo, exec_lo, s10
	v_and_or_b32 v52, 0xffff, v4, v28
	s_delay_alu instid0(VALU_DEP_2)
	v_mov_b32_e32 v28, v50
	s_and_b32 s10, s11, exec_lo
.LBB992_107:
	s_or_b32 exec_lo, exec_lo, s9
	s_delay_alu instid0(VALU_DEP_2)
	v_dual_mov_b32 v29, v52 :: v_dual_bitop2_b32 v51, v51, v29 bitop3:0x54
	s_and_b32 s9, s10, exec_lo
.LBB992_108:
	s_or_b32 exec_lo, exec_lo, s8
	v_and_or_b32 v54, 0xffff, v3, v30
	s_delay_alu instid0(VALU_DEP_2)
	v_mov_b32_e32 v30, v51
	s_and_b32 s8, s9, exec_lo
.LBB992_109:
	s_or_b32 exec_lo, exec_lo, s7
	s_delay_alu instid0(VALU_DEP_2)
	v_dual_mov_b32 v32, v54 :: v_dual_bitop2_b32 v44, v44, v32 bitop3:0x54
	s_and_b32 s7, s8, exec_lo
.LBB992_110:
	s_or_b32 exec_lo, exec_lo, s6
	s_wait_dscnt 0x0
	v_and_or_b32 v2, 0xffff, v2, v33
	v_mov_b32_e32 v33, v44
	s_and_b32 s6, s7, exec_lo
.LBB992_111:
	s_or_b32 exec_lo, exec_lo, s5
	s_wait_dscnt 0x0
	v_or_b32_e32 v31, v34, v31
	v_mov_b32_e32 v34, v2
	s_and_b32 s9, s6, exec_lo
.LBB992_112:
	s_or_b32 exec_lo, exec_lo, s1
	v_lshlrev_b32_e32 v10, 1, v0
	s_and_b32 vcc_lo, exec_lo, s0
	s_cbranch_vccz .LBB992_140
.LBB992_113:
	s_clause 0x13
	flat_load_u16 v2, v0, s[42:43] scale_offset
	flat_load_u16 v3, v0, s[42:43] offset:512 scale_offset
	flat_load_u16 v4, v0, s[42:43] offset:1024 scale_offset
	flat_load_u16 v5, v0, s[42:43] offset:1536 scale_offset
	flat_load_u16 v6, v0, s[42:43] offset:2048 scale_offset
	flat_load_u16 v7, v0, s[42:43] offset:2560 scale_offset
	flat_load_u16 v8, v0, s[42:43] offset:3072 scale_offset
	flat_load_u16 v9, v0, s[42:43] offset:3584 scale_offset
	flat_load_u16 v12, v0, s[42:43] offset:4096 scale_offset
	flat_load_u16 v13, v0, s[42:43] offset:4608 scale_offset
	flat_load_u16 v14, v0, s[42:43] offset:5120 scale_offset
	flat_load_u16 v15, v0, s[42:43] offset:5632 scale_offset
	flat_load_u16 v16, v0, s[42:43] offset:6144 scale_offset
	flat_load_u16 v17, v0, s[42:43] offset:6656 scale_offset
	flat_load_u16 v18, v0, s[42:43] offset:7168 scale_offset
	flat_load_u16 v19, v0, s[42:43] offset:7680 scale_offset
	flat_load_u16 v20, v0, s[42:43] offset:8192 scale_offset
	flat_load_u16 v21, v0, s[42:43] offset:8704 scale_offset
	flat_load_u16 v22, v0, s[42:43] offset:9216 scale_offset
	flat_load_u16 v23, v0, s[42:43] offset:9728 scale_offset
	v_mad_u32_u24 v11, v0, 38, v10
	s_cmp_eq_u64 s[44:45], 0
	s_wait_loadcnt_dscnt 0x1313
	ds_store_b16 v10, v2
	s_wait_loadcnt_dscnt 0x1213
	ds_store_b16 v10, v3 offset:512
	s_wait_loadcnt_dscnt 0x1113
	ds_store_b16 v10, v4 offset:1024
	;; [unrolled: 2-line block ×19, first 2 shown]
	s_wait_dscnt 0x0
	s_barrier_signal -1
	s_barrier_wait -1
	ds_load_2addr_b64 v[6:9], v11 offset1:1
	ds_load_2addr_b64 v[2:5], v11 offset0:2 offset1:3
	ds_load_b64 v[12:13], v11 offset:32
	v_mov_b32_e32 v14, 0
	s_cbranch_scc1 .LBB992_137
; %bb.114:
	s_and_not1_b32 vcc_lo, exec_lo, s48
	s_cbranch_vccnz .LBB992_135
; %bb.115:
	s_lshl_b64 s[0:1], s[44:45], 1
	s_delay_alu instid0(SALU_CYCLE_1) | instskip(NEXT) | instid1(SALU_CYCLE_1)
	s_add_nc_u64 s[0:1], s[26:27], s[0:1]
	s_add_nc_u64 s[42:43], s[0:1], -2
	s_mov_b32 s0, 0
	s_branch .LBB992_136
.LBB992_116:
	global_load_u16 v4, v0, s[40:41] scale_offset
	s_wait_loadcnt 0x0
	v_sub_nc_u16 v4, 0, v4
	s_or_b32 exec_lo, exec_lo, s46
                                        ; implicit-def: $vgpr5
	s_and_saveexec_b32 s0, s1
	s_cbranch_execz .LBB992_55
.LBB992_117:
	global_load_u16 v5, v0, s[40:41] offset:512 scale_offset
	s_wait_loadcnt 0x0
	v_sub_nc_u16 v5, 0, v5
	s_or_b32 exec_lo, exec_lo, s0
                                        ; implicit-def: $vgpr16
	s_and_saveexec_b32 s0, s4
	s_cbranch_execz .LBB992_56
.LBB992_118:
	global_load_u16 v16, v0, s[40:41] offset:1024 scale_offset
	s_wait_loadcnt 0x0
	v_sub_nc_u16 v16, 0, v16
	s_or_b32 exec_lo, exec_lo, s0
                                        ; implicit-def: $vgpr17
	s_and_saveexec_b32 s0, s5
	s_cbranch_execz .LBB992_57
.LBB992_119:
	global_load_u16 v17, v0, s[40:41] offset:1536 scale_offset
	s_wait_loadcnt 0x0
	v_sub_nc_u16 v17, 0, v17
	s_or_b32 exec_lo, exec_lo, s0
                                        ; implicit-def: $vgpr18
	s_and_saveexec_b32 s0, s6
	s_cbranch_execz .LBB992_58
.LBB992_120:
	global_load_u16 v18, v0, s[40:41] offset:2048 scale_offset
	s_wait_loadcnt 0x0
	v_sub_nc_u16 v18, 0, v18
	s_or_b32 exec_lo, exec_lo, s0
                                        ; implicit-def: $vgpr19
	s_and_saveexec_b32 s0, s7
	s_cbranch_execz .LBB992_59
.LBB992_121:
	global_load_u16 v19, v0, s[40:41] offset:2560 scale_offset
	s_wait_loadcnt 0x0
	v_sub_nc_u16 v19, 0, v19
	s_or_b32 exec_lo, exec_lo, s0
                                        ; implicit-def: $vgpr20
	s_and_saveexec_b32 s0, s8
	s_cbranch_execz .LBB992_60
.LBB992_122:
	global_load_u16 v20, v0, s[40:41] offset:3072 scale_offset
	s_wait_loadcnt 0x0
	v_sub_nc_u16 v20, 0, v20
	s_or_b32 exec_lo, exec_lo, s0
                                        ; implicit-def: $vgpr21
	s_and_saveexec_b32 s0, s9
	s_cbranch_execz .LBB992_61
.LBB992_123:
	global_load_u16 v21, v0, s[40:41] offset:3584 scale_offset
	s_wait_loadcnt 0x0
	v_sub_nc_u16 v21, 0, v21
	s_or_b32 exec_lo, exec_lo, s0
                                        ; implicit-def: $vgpr22
	s_and_saveexec_b32 s0, s10
	s_cbranch_execz .LBB992_62
.LBB992_124:
	global_load_u16 v22, v0, s[40:41] offset:4096 scale_offset
	s_wait_loadcnt 0x0
	v_sub_nc_u16 v22, 0, v22
	s_or_b32 exec_lo, exec_lo, s0
                                        ; implicit-def: $vgpr23
	s_and_saveexec_b32 s0, s11
	s_cbranch_execz .LBB992_63
.LBB992_125:
	global_load_u16 v23, v0, s[40:41] offset:4608 scale_offset
	s_wait_loadcnt 0x0
	v_sub_nc_u16 v23, 0, v23
	s_or_b32 exec_lo, exec_lo, s0
                                        ; implicit-def: $vgpr24
	s_and_saveexec_b32 s0, s12
	s_cbranch_execz .LBB992_64
.LBB992_126:
	global_load_u16 v24, v0, s[40:41] offset:5120 scale_offset
	s_wait_loadcnt 0x0
	v_sub_nc_u16 v24, 0, v24
	s_or_b32 exec_lo, exec_lo, s0
                                        ; implicit-def: $vgpr25
	s_and_saveexec_b32 s0, s13
	s_cbranch_execz .LBB992_65
.LBB992_127:
	global_load_u16 v25, v0, s[40:41] offset:5632 scale_offset
	s_wait_loadcnt 0x0
	v_sub_nc_u16 v25, 0, v25
	s_or_b32 exec_lo, exec_lo, s0
                                        ; implicit-def: $vgpr26
	s_and_saveexec_b32 s0, s14
	s_cbranch_execz .LBB992_66
.LBB992_128:
	global_load_u16 v26, v0, s[40:41] offset:6144 scale_offset
	s_wait_loadcnt 0x0
	v_sub_nc_u16 v26, 0, v26
	s_or_b32 exec_lo, exec_lo, s0
                                        ; implicit-def: $vgpr27
	s_and_saveexec_b32 s0, s15
	s_cbranch_execz .LBB992_67
.LBB992_129:
	global_load_u16 v27, v0, s[40:41] offset:6656 scale_offset
	s_wait_loadcnt 0x0
	v_sub_nc_u16 v27, 0, v27
	s_or_b32 exec_lo, exec_lo, s0
                                        ; implicit-def: $vgpr28
	s_and_saveexec_b32 s0, s16
	s_cbranch_execz .LBB992_68
.LBB992_130:
	global_load_u16 v28, v0, s[40:41] offset:7168 scale_offset
	s_wait_loadcnt 0x0
	v_sub_nc_u16 v28, 0, v28
	s_or_b32 exec_lo, exec_lo, s0
                                        ; implicit-def: $vgpr29
	s_and_saveexec_b32 s0, s17
	s_cbranch_execz .LBB992_69
.LBB992_131:
	global_load_u16 v29, v0, s[40:41] offset:7680 scale_offset
	s_wait_loadcnt 0x0
	v_sub_nc_u16 v29, 0, v29
	s_or_b32 exec_lo, exec_lo, s0
                                        ; implicit-def: $vgpr30
	s_and_saveexec_b32 s0, s18
	s_cbranch_execz .LBB992_70
.LBB992_132:
	global_load_u16 v30, v0, s[40:41] offset:8192 scale_offset
	s_wait_loadcnt 0x0
	v_sub_nc_u16 v30, 0, v30
	s_or_b32 exec_lo, exec_lo, s0
                                        ; implicit-def: $vgpr31
	s_and_saveexec_b32 s0, s19
	s_cbranch_execz .LBB992_71
.LBB992_133:
	global_load_u16 v31, v0, s[40:41] offset:8704 scale_offset
	s_wait_loadcnt 0x0
	v_sub_nc_u16 v31, 0, v31
	s_or_b32 exec_lo, exec_lo, s0
                                        ; implicit-def: $vgpr32
	s_and_saveexec_b32 s0, s20
	s_cbranch_execz .LBB992_72
.LBB992_134:
	global_load_u16 v32, v0, s[40:41] offset:9216 scale_offset
	s_wait_loadcnt 0x0
	v_sub_nc_u16 v32, 0, v32
	s_or_b32 exec_lo, exec_lo, s0
                                        ; implicit-def: $vgpr33
	s_and_saveexec_b32 s0, s21
	s_cbranch_execnz .LBB992_73
	s_branch .LBB992_74
.LBB992_135:
	s_add_nc_u64 s[42:43], s[42:43], -2
	s_mov_b32 s0, -1
.LBB992_136:
	s_delay_alu instid0(SALU_CYCLE_1)
	s_and_not1_b32 vcc_lo, exec_lo, s0
.LBB992_137:
	flat_load_u16 v15, v14, s[42:43]
	s_wait_dscnt 0x1
	s_wait_xcnt 0x0
	v_lshrrev_b32_e32 v14, 16, v13
	v_mad_i32_i24 v16, 0xffffffda, v0, v11
	ds_store_b16 v16, v14 offset:10240
	s_wait_loadcnt_dscnt 0x0
	s_barrier_signal -1
	s_barrier_wait -1
	s_and_saveexec_b32 s0, s3
; %bb.138:
	v_mul_i32_i24_e32 v15, 0xffffffda, v0
	s_delay_alu instid0(VALU_DEP_1)
	v_add_nc_u32_e32 v15, v11, v15
	ds_load_u16 v15, v15 offset:10238
; %bb.139:
	s_or_b32 exec_lo, exec_lo, s0
	s_wait_dscnt 0x0
	s_barrier_signal -1
	s_barrier_wait -1
	s_clause 0x13
	global_load_u16 v16, v0, s[40:41] scale_offset
	global_load_u16 v17, v0, s[40:41] offset:512 scale_offset
	global_load_u16 v18, v0, s[40:41] offset:1024 scale_offset
	;; [unrolled: 1-line block ×19, first 2 shown]
	v_dual_lshrrev_b32 v36, 16, v6 :: v_dual_lshrrev_b32 v37, 16, v7
	v_cmp_eq_u16_e32 vcc_lo, v15, v6
	v_dual_lshrrev_b32 v38, 16, v8 :: v_dual_lshrrev_b32 v39, 16, v9
	v_dual_lshrrev_b32 v40, 16, v2 :: v_dual_lshrrev_b32 v41, 16, v3
	v_cndmask_b32_e64 v45, 0x10000, 0, vcc_lo
	v_cmp_eq_u16_e32 vcc_lo, v6, v36
	v_cmp_ne_u16_e64 s4, v13, v14
	v_dual_lshrrev_b32 v42, 16, v4 :: v_dual_lshrrev_b32 v43, 16, v5
	s_mov_b32 s9, -1
	v_cndmask_b32_e64 v47, 0x10000, 0, vcc_lo
	v_cmp_eq_u16_e32 vcc_lo, v36, v7
	v_cndmask_b32_e64 v36, 0x10000, 0, vcc_lo
	v_cmp_eq_u16_e32 vcc_lo, v7, v37
	;; [unrolled: 2-line block ×9, first 2 shown]
	s_wait_loadcnt 0x13
	v_sub_nc_u16 v2, 0, v16
	s_wait_loadcnt 0x12
	v_sub_nc_u16 v6, 0, v17
	;; [unrolled: 2-line block ×20, first 2 shown]
	ds_store_b16 v10, v2
	ds_store_b16 v10, v6 offset:512
	ds_store_b16 v10, v7 offset:1024
	ds_store_b16 v10, v8 offset:1536
	ds_store_b16 v10, v9 offset:2048
	ds_store_b16 v10, v14 offset:2560
	ds_store_b16 v10, v15 offset:3072
	ds_store_b16 v10, v16 offset:3584
	ds_store_b16 v10, v17 offset:4096
	ds_store_b16 v10, v18 offset:4608
	ds_store_b16 v10, v19 offset:5120
	ds_store_b16 v10, v20 offset:5632
	ds_store_b16 v10, v21 offset:6144
	ds_store_b16 v10, v22 offset:6656
	ds_store_b16 v10, v23 offset:7168
	ds_store_b16 v10, v24 offset:7680
	ds_store_b16 v10, v25 offset:8192
	ds_store_b16 v10, v26 offset:8704
	ds_store_b16 v10, v27 offset:9216
	ds_store_b16 v10, v28 offset:9728
	v_cndmask_b32_e64 v18, 0x10000, 0, vcc_lo
	v_cmp_eq_u16_e32 vcc_lo, v3, v41
	s_wait_dscnt 0x0
	s_barrier_signal -1
	s_barrier_wait -1
	v_cndmask_b32_e64 v19, 0x10000, 0, vcc_lo
	v_cmp_eq_u16_e32 vcc_lo, v41, v4
	ds_load_2addr_b64 v[6:9], v11 offset1:1
	ds_load_2addr_b64 v[14:17], v11 offset0:2 offset1:3
	ds_load_b64 v[2:3], v11 offset:32
	v_lshrrev_b32_e32 v44, 16, v12
	v_cndmask_b32_e64 v20, 0x10000, 0, vcc_lo
	v_cmp_eq_u16_e32 vcc_lo, v4, v42
	v_cndmask_b32_e64 v4, 0x10000, 0, vcc_lo
	v_cmp_eq_u16_e32 vcc_lo, v42, v5
	;; [unrolled: 2-line block ×3, first 2 shown]
	s_wait_dscnt 0x2
	v_dual_lshrrev_b32 v22, 16, v6 :: v_dual_lshrrev_b32 v23, 16, v7
	v_lshrrev_b32_e32 v24, 16, v8
	v_cndmask_b32_e64 v5, 0x10000, 0, vcc_lo
	v_cmp_eq_u16_e32 vcc_lo, v43, v12
	s_wait_dscnt 0x1
	v_dual_lshrrev_b32 v25, 16, v9 :: v_dual_lshrrev_b32 v26, 16, v14
	v_dual_lshrrev_b32 v27, 16, v15 :: v_dual_lshrrev_b32 v28, 16, v16
	v_cndmask_b32_e64 v21, 0x10000, 0, vcc_lo
	v_cmp_eq_u16_e32 vcc_lo, v12, v44
	s_wait_dscnt 0x0
	v_dual_lshrrev_b32 v29, 16, v17 :: v_dual_lshrrev_b32 v30, 16, v2
	v_lshrrev_b32_e32 v42, 16, v3
	v_and_or_b32 v31, 0xffff, v6, v45
	v_cndmask_b32_e64 v12, 0x10000, 0, vcc_lo
	v_cmp_eq_u16_e32 vcc_lo, v44, v13
	v_and_or_b32 v44, 0xffff, v7, v36
	v_and_or_b32 v51, 0xffff, v8, v37
	;; [unrolled: 1-line block ×4, first 2 shown]
	v_cndmask_b32_e64 v13, 0x10000, 0, vcc_lo
	v_and_or_b32 v43, 0xffff, v15, v18
	v_and_or_b32 v40, 0xffff, v16, v20
	;; [unrolled: 1-line block ×4, first 2 shown]
	v_or_b32_e32 v2, v47, v22
	v_or_b32_e32 v54, v48, v23
	v_dual_mov_b32 v33, v44 :: v_dual_bitop2_b32 v52, v49, v24 bitop3:0x54
	v_or_b32_e32 v47, v53, v25
	v_dual_mov_b32 v26, v46 :: v_dual_bitop2_b32 v45, v55, v26 bitop3:0x54
	v_dual_mov_b32 v22, v40 :: v_dual_bitop2_b32 v41, v19, v27 bitop3:0x54
	v_dual_mov_b32 v24, v43 :: v_dual_bitop2_b32 v39, v4, v28 bitop3:0x54
	v_dual_mov_b32 v20, v38 :: v_dual_bitop2_b32 v37, v5, v29 bitop3:0x54
	v_dual_mov_b32 v18, v35 :: v_dual_bitop2_b32 v36, v12, v30 bitop3:0x54
	v_and_or_b32 v16, 0xffff, v3, v13
	v_dual_mov_b32 v30, v51 :: v_dual_mov_b32 v28, v50
	v_dual_mov_b32 v34, v2 :: v_dual_mov_b32 v32, v54
	;; [unrolled: 1-line block ×5, first 2 shown]
	v_mov_b32_e32 v17, v36
.LBB992_140:
	v_mov_b32_e32 v11, 0
	s_and_saveexec_b32 s0, s9
	s_cbranch_execz .LBB992_142
; %bb.141:
	v_and_b32_e32 v3, 0xffff, v42
	v_cndmask_b32_e64 v4, 0, 0x10000, s4
	v_dual_mov_b32 v17, v36 :: v_dual_mov_b32 v18, v35
	v_dual_mov_b32 v19, v37 :: v_dual_mov_b32 v20, v38
	s_delay_alu instid0(VALU_DEP_3)
	v_dual_mov_b32 v21, v39 :: v_dual_bitop2_b32 v11, v4, v3 bitop3:0x54
	v_dual_mov_b32 v22, v40 :: v_dual_mov_b32 v23, v41
	v_dual_mov_b32 v24, v43 :: v_dual_mov_b32 v25, v45
	;; [unrolled: 1-line block ×6, first 2 shown]
.LBB992_142:
	s_or_b32 exec_lo, exec_lo, s0
	v_dual_lshrrev_b32 v45, 3, v0 :: v_dual_bitop2_b32 v2, v27, v26 bitop3:0x54
	v_or_b32_e32 v3, v19, v18
	v_cmp_ne_u32_e32 vcc_lo, 0, v1
	v_or_b32_e32 v43, v17, v16
	v_cmp_gt_u32_e64 s20, 0x10000, v34
	v_cmp_gt_u32_e64 s19, 0x10000, v33
	;; [unrolled: 1-line block ×8, first 2 shown]
	v_or3_b32 v44, v2, v28, v29
	v_cmp_gt_u32_e64 s13, 0x10000, v25
	v_cmp_gt_u32_e64 s11, 0x10000, v24
	;; [unrolled: 1-line block ×8, first 2 shown]
	v_or3_b32 v46, v3, v20, v21
	v_cmp_gt_u32_e64 s5, 0x10000, v17
	v_cmp_gt_u32_e64 s1, 0x10000, v16
	;; [unrolled: 1-line block ×4, first 2 shown]
	s_barrier_signal -1
	s_barrier_wait -1
	s_cbranch_vccz .LBB992_192
; %bb.143:
	v_dual_cndmask_b32 v2, 0, v31, s20 :: v_dual_bitop2_b32 v5, 28, v45 bitop3:0x40
	v_or3_b32 v3, v46, v22, v23
	v_or3_b32 v4, v44, v30, v32
	v_lshrrev_b32_e32 v12, 16, v31
	s_delay_alu instid0(VALU_DEP_4) | instskip(NEXT) | instid1(VALU_DEP_4)
	v_add_nc_u16 v2, v2, v34
	v_or3_b32 v3, v3, v24, v25
	s_delay_alu instid0(VALU_DEP_4) | instskip(NEXT) | instid1(VALU_DEP_3)
	v_or3_b32 v4, v4, v33, v34
	v_cndmask_b32_e64 v2, 0, v2, s19
	s_delay_alu instid0(VALU_DEP_3) | instskip(NEXT) | instid1(VALU_DEP_2)
	v_or3_b32 v3, v11, v43, v3
	v_add_nc_u16 v2, v2, v33
	s_delay_alu instid0(VALU_DEP_2) | instskip(SKIP_1) | instid1(VALU_DEP_2)
	v_bitop3_b32 v3, v3, 0xff0000, v4 bitop3:0xc8
	v_lshl_add_u32 v4, v0, 2, v5
	v_cmp_eq_u32_e32 vcc_lo, 0, v3
	s_delay_alu instid0(VALU_DEP_4) | instskip(NEXT) | instid1(VALU_DEP_1)
	v_dual_cndmask_b32 v2, 0, v2, s18 :: v_dual_cndmask_b32 v14, 1, v12, vcc_lo
	v_add_nc_u16 v2, v2, v32
	s_delay_alu instid0(VALU_DEP_1) | instskip(NEXT) | instid1(VALU_DEP_1)
	v_cndmask_b32_e64 v2, 0, v2, s17
	v_add_nc_u16 v2, v2, v30
	s_delay_alu instid0(VALU_DEP_1) | instskip(NEXT) | instid1(VALU_DEP_1)
	v_cndmask_b32_e64 v2, 0, v2, s16
	;; [unrolled: 3-line block ×16, first 2 shown]
	v_add_nc_u16 v13, v2, v11
	ds_store_b16 v4, v13
	ds_store_b8 v4, v14 offset:2
	s_wait_dscnt 0x0
	s_barrier_signal -1
	s_barrier_wait -1
	s_and_saveexec_b32 s26, s21
	s_cbranch_execz .LBB992_155
; %bb.144:
	v_and_b32_e32 v2, 0xfc, v0
	v_lshlrev_b32_e32 v3, 5, v0
	s_mov_b32 s27, exec_lo
	s_delay_alu instid0(VALU_DEP_1)
	v_add_nc_u32_e32 v2, v2, v3
	ds_load_u8 v4, v2 offset:6
	ds_load_b32 v3, v2
	ds_load_u16 v5, v2 offset:4
	ds_load_u8 v6, v2 offset:10
	ds_load_u16 v7, v2 offset:8
	ds_load_u16 v8, v2 offset:12
	ds_load_u8 v9, v2 offset:14
	ds_load_u16 v15, v2 offset:16
	s_wait_dscnt 0x7
	v_cmp_eq_u16_e32 vcc_lo, 0, v4
	s_wait_dscnt 0x4
	v_dual_cndmask_b32 v35, 0, v3, vcc_lo :: v_dual_bitop2_b32 v4, v6, v4 bitop3:0x54
	v_cmp_eq_u16_e32 vcc_lo, 0, v6
	s_delay_alu instid0(VALU_DEP_2) | instskip(SKIP_4) | instid1(VALU_DEP_2)
	v_add_nc_u16 v5, v35, v5
	ds_load_u8 v35, v2 offset:18
	v_cndmask_b32_e32 v5, 0, v5, vcc_lo
	s_wait_dscnt 0x2
	v_cmp_eq_u16_e32 vcc_lo, 0, v9
	v_add_nc_u16 v5, v5, v7
	ds_load_u8 v7, v2 offset:22
	v_cndmask_b32_e32 v5, 0, v5, vcc_lo
	s_delay_alu instid0(VALU_DEP_1)
	v_add_nc_u16 v5, v5, v8
	ds_load_u16 v8, v2 offset:20
	ds_load_u16 v36, v2 offset:24
	ds_load_u8 v37, v2 offset:26
	ds_load_u16 v38, v2 offset:28
	ds_load_u8 v39, v2 offset:30
	s_wait_dscnt 0x6
	v_cmp_eq_u16_e32 vcc_lo, 0, v35
	v_bitop3_b16 v6, v4, v35, v9 bitop3:0xfe
	v_and_b32_e32 v4, 0x10000, v3
	v_cndmask_b32_e32 v5, 0, v5, vcc_lo
	s_wait_dscnt 0x5
	v_cmp_eq_u16_e32 vcc_lo, 0, v7
	s_wait_dscnt 0x2
	v_bitop3_b16 v6, v6, v37, v7 bitop3:0xfe
	s_wait_dscnt 0x0
	v_and_b32_e32 v7, 1, v39
	v_add_nc_u16 v5, v5, v15
	s_delay_alu instid0(VALU_DEP_1) | instskip(SKIP_1) | instid1(VALU_DEP_2)
	v_cndmask_b32_e32 v5, 0, v5, vcc_lo
	v_cmp_eq_u16_e32 vcc_lo, 0, v37
	v_add_nc_u16 v5, v5, v8
	s_delay_alu instid0(VALU_DEP_1) | instskip(SKIP_1) | instid1(VALU_DEP_2)
	v_cndmask_b32_e32 v5, 0, v5, vcc_lo
	v_cmp_eq_u16_e32 vcc_lo, 0, v39
	;; [unrolled: 4-line block ×3, first 2 shown]
	v_add_nc_u16 v6, v5, v38
	v_cndmask_b32_e32 v8, 0x10000, v4, vcc_lo
	v_cmp_eq_u32_e32 vcc_lo, 1, v7
	v_and_b32_e32 v5, 0xff000000, v3
	v_mbcnt_lo_u32_b32 v7, -1, 0
	v_and_b32_e32 v9, 0xffff, v6
	v_cndmask_b32_e64 v8, v8, 0x10000, vcc_lo
	s_delay_alu instid0(VALU_DEP_1) | instskip(NEXT) | instid1(VALU_DEP_3)
	v_or_b32_e32 v15, v8, v5
	v_or3_b32 v35, v5, v9, v8
	v_and_b32_e32 v8, 15, v7
	s_delay_alu instid0(VALU_DEP_3) | instskip(NEXT) | instid1(VALU_DEP_3)
	v_lshrrev_b32_e32 v9, 16, v15
	v_mov_b32_dpp v36, v35 row_shr:1 row_mask:0xf bank_mask:0xf
	s_delay_alu instid0(VALU_DEP_3)
	v_cmpx_ne_u32_e32 0, v8
	s_cbranch_execz .LBB992_146
; %bb.145:
	s_delay_alu instid0(VALU_DEP_2) | instskip(SKIP_1) | instid1(VALU_DEP_2)
	v_dual_lshrrev_b32 v9, 16, v15 :: v_dual_lshrrev_b32 v35, 16, v36
	v_and_b32_e32 v15, 0x10000, v15
	v_and_b32_e32 v9, 0xff, v9
	s_delay_alu instid0(VALU_DEP_1) | instskip(NEXT) | instid1(VALU_DEP_4)
	v_cmp_eq_u16_e32 vcc_lo, 0, v9
	v_dual_cndmask_b32 v36, 0, v36, vcc_lo :: v_dual_bitop2_b32 v35, 1, v35 bitop3:0x40
	s_delay_alu instid0(VALU_DEP_4) | instskip(NEXT) | instid1(VALU_DEP_2)
	v_cmp_ne_u32_e32 vcc_lo, 0, v15
	v_add_nc_u16 v6, v36, v6
	s_delay_alu instid0(VALU_DEP_3) | instskip(NEXT) | instid1(VALU_DEP_2)
	v_cndmask_b32_e64 v9, v35, 1, vcc_lo
	v_and_b32_e32 v35, 0xffff, v6
	s_delay_alu instid0(VALU_DEP_2) | instskip(NEXT) | instid1(VALU_DEP_1)
	v_lshlrev_b32_e32 v15, 16, v9
	v_or3_b32 v35, v15, v35, v5
.LBB992_146:
	s_or_b32 exec_lo, exec_lo, s27
	s_delay_alu instid0(VALU_DEP_1)
	v_lshrrev_b32_e32 v15, 16, v35
	v_mov_b32_dpp v36, v35 row_shr:2 row_mask:0xf bank_mask:0xf
	s_mov_b32 s27, exec_lo
	v_cmpx_lt_u32_e32 1, v8
	s_cbranch_execz .LBB992_148
; %bb.147:
	v_and_b32_e32 v15, 0xff, v15
	v_and_b32_e32 v35, 0x10000, v35
	s_delay_alu instid0(VALU_DEP_2) | instskip(SKIP_1) | instid1(VALU_DEP_1)
	v_cmp_eq_u16_e32 vcc_lo, 0, v15
	v_dual_lshrrev_b32 v9, 16, v36 :: v_dual_cndmask_b32 v15, 0, v36, vcc_lo
	v_and_b32_e32 v9, 1, v9
	s_delay_alu instid0(VALU_DEP_4) | instskip(NEXT) | instid1(VALU_DEP_3)
	v_cmp_ne_u32_e32 vcc_lo, 0, v35
	v_add_nc_u16 v6, v15, v6
	s_delay_alu instid0(VALU_DEP_3) | instskip(NEXT) | instid1(VALU_DEP_2)
	v_cndmask_b32_e64 v9, v9, 1, vcc_lo
	v_and_b32_e32 v35, 0xffff, v6
	s_delay_alu instid0(VALU_DEP_2) | instskip(NEXT) | instid1(VALU_DEP_1)
	v_lshlrev_b32_e32 v15, 16, v9
	v_or3_b32 v35, v15, v35, v5
	v_mov_b32_e32 v15, v9
.LBB992_148:
	s_or_b32 exec_lo, exec_lo, s27
	s_delay_alu instid0(VALU_DEP_2)
	v_mov_b32_dpp v36, v35 row_shr:4 row_mask:0xf bank_mask:0xf
	s_mov_b32 s27, exec_lo
	v_cmpx_lt_u32_e32 3, v8
	s_cbranch_execz .LBB992_150
; %bb.149:
	v_and_b32_e32 v35, 0xff, v15
	v_dual_lshrrev_b32 v9, 16, v36 :: v_dual_bitop2_b32 v15, 1, v15 bitop3:0x40
	s_delay_alu instid0(VALU_DEP_2) | instskip(NEXT) | instid1(VALU_DEP_2)
	v_cmp_eq_u16_e32 vcc_lo, 0, v35
	v_dual_cndmask_b32 v35, 0, v36, vcc_lo :: v_dual_bitop2_b32 v9, 1, v9 bitop3:0x40
	s_delay_alu instid0(VALU_DEP_3) | instskip(NEXT) | instid1(VALU_DEP_2)
	v_cmp_eq_u32_e32 vcc_lo, 1, v15
	v_add_nc_u16 v6, v35, v6
	s_delay_alu instid0(VALU_DEP_3) | instskip(NEXT) | instid1(VALU_DEP_2)
	v_cndmask_b32_e64 v9, v9, 1, vcc_lo
	v_and_b32_e32 v35, 0xffff, v6
	s_delay_alu instid0(VALU_DEP_2) | instskip(NEXT) | instid1(VALU_DEP_1)
	v_lshlrev_b32_e32 v15, 16, v9
	v_or3_b32 v35, v15, v35, v5
	v_mov_b32_e32 v15, v9
.LBB992_150:
	s_or_b32 exec_lo, exec_lo, s27
	s_delay_alu instid0(VALU_DEP_2)
	v_mov_b32_dpp v36, v35 row_shr:8 row_mask:0xf bank_mask:0xf
	s_mov_b32 s27, exec_lo
	v_cmpx_lt_u32_e32 7, v8
	s_cbranch_execz .LBB992_152
; %bb.151:
	v_and_b32_e32 v9, 0xff, v15
	v_dual_lshrrev_b32 v8, 16, v36 :: v_dual_bitop2_b32 v15, 1, v15 bitop3:0x40
	s_delay_alu instid0(VALU_DEP_2) | instskip(NEXT) | instid1(VALU_DEP_2)
	v_cmp_eq_u16_e32 vcc_lo, 0, v9
	v_and_b32_e32 v8, 1, v8
	v_cndmask_b32_e32 v35, 0, v36, vcc_lo
	s_delay_alu instid0(VALU_DEP_4) | instskip(NEXT) | instid1(VALU_DEP_3)
	v_cmp_eq_u32_e32 vcc_lo, 1, v15
	v_cndmask_b32_e64 v9, v8, 1, vcc_lo
	s_delay_alu instid0(VALU_DEP_1) | instskip(NEXT) | instid1(VALU_DEP_4)
	v_lshlrev_b32_e32 v8, 16, v9
	v_add_nc_u16 v6, v35, v6
	s_delay_alu instid0(VALU_DEP_1) | instskip(NEXT) | instid1(VALU_DEP_1)
	v_and_b32_e32 v15, 0xffff, v6
	v_or3_b32 v35, v8, v15, v5
	v_mov_b32_e32 v15, v9
.LBB992_152:
	s_or_b32 exec_lo, exec_lo, s27
	ds_swizzle_b32 v8, v35 offset:swizzle(BROADCAST,32,15)
	v_and_b32_e32 v35, 16, v7
	s_mov_b32 s27, exec_lo
	s_delay_alu instid0(VALU_DEP_1)
	v_cmpx_ne_u32_e32 0, v35
	s_cbranch_execz .LBB992_154
; %bb.153:
	v_and_b32_e32 v9, 0xff, v15
	s_delay_alu instid0(VALU_DEP_1) | instskip(SKIP_2) | instid1(VALU_DEP_1)
	v_cmp_eq_u16_e32 vcc_lo, 0, v9
	s_wait_dscnt 0x0
	v_dual_lshrrev_b32 v35, 16, v8 :: v_dual_bitop2_b32 v9, 1, v15 bitop3:0x40
	v_dual_cndmask_b32 v8, 0, v8, vcc_lo :: v_dual_bitop2_b32 v15, 1, v35 bitop3:0x40
	s_delay_alu instid0(VALU_DEP_2) | instskip(NEXT) | instid1(VALU_DEP_2)
	v_cmp_eq_u32_e32 vcc_lo, 1, v9
	v_add_nc_u16 v6, v8, v6
	s_delay_alu instid0(VALU_DEP_3)
	v_cndmask_b32_e64 v9, v15, 1, vcc_lo
.LBB992_154:
	s_or_b32 exec_lo, exec_lo, s27
	s_wait_dscnt 0x0
	s_delay_alu instid0(VALU_DEP_1) | instskip(SKIP_2) | instid1(VALU_DEP_3)
	v_and_b32_e32 v8, 0xff, v9
	v_add_nc_u32_e32 v9, -1, v7
	v_and_b32_e32 v6, 0xffff, v6
	; wave barrier
	v_lshlrev_b32_e32 v8, 16, v8
	s_delay_alu instid0(VALU_DEP_3) | instskip(NEXT) | instid1(VALU_DEP_2)
	v_cmp_gt_i32_e32 vcc_lo, 0, v9
	v_or3_b32 v5, v8, v6, v5
	v_cndmask_b32_e32 v7, v9, v7, vcc_lo
	s_delay_alu instid0(VALU_DEP_1) | instskip(SKIP_2) | instid1(VALU_DEP_1)
	v_lshlrev_b32_e32 v6, 2, v7
	ds_bpermute_b32 v5, v6, v5
	v_and_b32_e32 v6, 0xff0000, v3
	v_cmp_eq_u32_e32 vcc_lo, 0, v6
	s_wait_dscnt 0x0
	v_dual_lshrrev_b32 v7, 16, v5 :: v_dual_cndmask_b32 v5, 0, v5, vcc_lo
	v_cmp_eq_u32_e32 vcc_lo, 0, v4
	s_delay_alu instid0(VALU_DEP_2) | instskip(NEXT) | instid1(VALU_DEP_1)
	v_add_nc_u16 v3, v5, v3
	v_dual_cndmask_b32 v3, v3, v13, s2 :: v_dual_bitop2_b32 v6, 1, v7 bitop3:0x40
	s_delay_alu instid0(VALU_DEP_1) | instskip(NEXT) | instid1(VALU_DEP_1)
	v_cndmask_b32_e32 v4, 1, v6, vcc_lo
	v_cndmask_b32_e64 v4, v4, v14, s2
	ds_store_b16 v2, v3
	ds_store_b8 v2, v4 offset:2
	; wave barrier
	ds_load_u8 v5, v2 offset:6
	ds_load_u16 v6, v2 offset:4
	ds_load_u8 v7, v2 offset:10
	ds_load_u16 v8, v2 offset:8
	ds_load_u16 v9, v2 offset:12
	ds_load_u8 v15, v2 offset:14
	ds_load_u16 v35, v2 offset:16
	ds_load_u8 v36, v2 offset:18
	s_wait_dscnt 0x7
	v_cmp_eq_u16_e32 vcc_lo, 0, v5
	v_cndmask_b32_e32 v3, 0, v3, vcc_lo
	s_wait_dscnt 0x5
	v_cmp_eq_u16_e32 vcc_lo, 0, v7
	s_delay_alu instid0(VALU_DEP_2) | instskip(NEXT) | instid1(VALU_DEP_1)
	v_add_nc_u16 v3, v3, v6
	v_cndmask_b32_e32 v6, 0, v3, vcc_lo
	s_wait_dscnt 0x2
	v_cmp_eq_u16_e32 vcc_lo, 0, v15
	s_delay_alu instid0(VALU_DEP_2)
	v_add_nc_u16 v6, v6, v8
	v_and_b32_e32 v5, 1, v5
	ds_load_u8 v8, v2 offset:22
	ds_load_u16 v38, v2 offset:20
	ds_load_u8 v39, v2 offset:26
	ds_load_u8 v40, v2 offset:30
	v_cndmask_b32_e32 v37, 0, v6, vcc_lo
	v_cmp_eq_u32_e32 vcc_lo, 1, v5
	v_and_b32_e32 v5, 1, v15
	s_delay_alu instid0(VALU_DEP_3)
	v_add_nc_u16 v9, v37, v9
	v_cndmask_b32_e64 v4, v4, 1, vcc_lo
	s_wait_dscnt 0x4
	v_cmp_eq_u16_e32 vcc_lo, 0, v36
	v_and_b32_e32 v7, 1, v7
	ds_load_u16 v37, v2 offset:24
	ds_load_u16 v41, v2 offset:28
	v_cndmask_b32_e32 v15, 0, v9, vcc_lo
	v_cmp_eq_u32_e32 vcc_lo, 1, v7
	s_delay_alu instid0(VALU_DEP_2)
	v_add_nc_u16 v15, v15, v35
	v_cndmask_b32_e64 v7, v4, 1, vcc_lo
	v_cmp_eq_u32_e32 vcc_lo, 1, v5
	v_and_b32_e32 v35, 1, v36
	s_wait_dscnt 0x2
	v_and_b32_e32 v42, 1, v40
	v_cndmask_b32_e64 v5, v7, 1, vcc_lo
	v_cmp_eq_u16_e32 vcc_lo, 0, v8
	v_dual_cndmask_b32 v36, 0, v15, vcc_lo :: v_dual_bitop2_b32 v8, 1, v8 bitop3:0x40
	v_cmp_eq_u32_e32 vcc_lo, 1, v35
	s_delay_alu instid0(VALU_DEP_2) | instskip(SKIP_1) | instid1(VALU_DEP_4)
	v_add_nc_u16 v36, v36, v38
	v_cndmask_b32_e64 v35, v5, 1, vcc_lo
	v_cmp_eq_u32_e32 vcc_lo, 1, v8
	v_and_b32_e32 v38, 1, v39
	ds_store_b16 v2, v3 offset:4
	ds_store_b8 v2, v4 offset:6
	ds_store_b16 v2, v6 offset:8
	ds_store_b8 v2, v7 offset:10
	ds_store_b16 v2, v9 offset:12
	ds_store_b8 v2, v5 offset:14
	ds_store_b16 v2, v15 offset:16
	ds_store_b8 v2, v35 offset:18
	v_cndmask_b32_e64 v8, v35, 1, vcc_lo
	v_cmp_eq_u16_e32 vcc_lo, 0, v39
	v_cndmask_b32_e32 v39, 0, v36, vcc_lo
	v_cmp_eq_u32_e32 vcc_lo, 1, v38
	s_wait_dscnt 0x9
	s_delay_alu instid0(VALU_DEP_2) | instskip(SKIP_2) | instid1(VALU_DEP_2)
	v_add_nc_u16 v37, v39, v37
	v_cndmask_b32_e64 v38, v8, 1, vcc_lo
	v_cmp_eq_u32_e32 vcc_lo, 1, v42
	v_cndmask_b32_e64 v39, v38, 1, vcc_lo
	v_cmp_eq_u16_e32 vcc_lo, 0, v40
	v_cndmask_b32_e32 v40, 0, v37, vcc_lo
	s_wait_dscnt 0x8
	s_delay_alu instid0(VALU_DEP_1)
	v_add_nc_u16 v3, v40, v41
	ds_store_b16 v2, v36 offset:20
	ds_store_b8 v2, v8 offset:22
	ds_store_b16 v2, v37 offset:24
	ds_store_b8 v2, v38 offset:26
	;; [unrolled: 2-line block ×3, first 2 shown]
.LBB992_155:
	s_or_b32 exec_lo, exec_lo, s26
	s_wait_dscnt 0x0
	s_barrier_signal -1
	s_barrier_wait -1
	s_and_saveexec_b32 s26, s3
	s_cbranch_execz .LBB992_157
; %bb.156:
	v_add_nc_u32_e32 v2, -1, v0
	s_delay_alu instid0(VALU_DEP_1) | instskip(NEXT) | instid1(VALU_DEP_1)
	v_lshrrev_b32_e32 v3, 3, v2
	v_and_b32_e32 v3, 0x1ffffffc, v3
	s_delay_alu instid0(VALU_DEP_1)
	v_lshl_add_u32 v2, v2, 2, v3
	ds_load_u16 v13, v2
	ds_load_u8 v14, v2 offset:2
.LBB992_157:
	s_or_b32 exec_lo, exec_lo, s26
	s_and_saveexec_b32 s26, s21
	s_cbranch_execz .LBB992_269
; %bb.158:
	v_dual_mov_b32 v9, 0 :: v_dual_add_nc_u32 v15, 32, v1
	v_mbcnt_lo_u32_b32 v35, -1, 0
	ds_load_b32 v2, v9 offset:1048
	v_cmp_eq_u32_e64 s21, 0, v35
	s_and_saveexec_b32 s27, s21
	s_cbranch_execz .LBB992_160
; %bb.159:
	v_mov_b32_e32 v3, 1
	s_wait_dscnt 0x0
	global_store_b64 v15, v[2:3], s[28:29] scale_offset scope:SCOPE_DEV
.LBB992_160:
	s_wait_xcnt 0x0
	s_or_b32 exec_lo, exec_lo, s27
	v_xad_u32 v4, v35, -1, v1
	s_mov_b32 s27, exec_lo
	s_delay_alu instid0(VALU_DEP_1) | instskip(SKIP_4) | instid1(VALU_DEP_1)
	v_add_nc_u32_e32 v8, 32, v4
	global_load_b64 v[6:7], v8, s[28:29] scale_offset scope:SCOPE_DEV
	s_wait_loadcnt 0x0
	v_and_b32_e32 v1, 0xff, v7
	s_wait_xcnt 0x0
	v_cmpx_eq_u16_e32 0, v1
	s_cbranch_execz .LBB992_164
; %bb.161:
	v_lshl_add_u64 v[8:9], v[8:9], 3, s[28:29]
	s_mov_b32 s40, 0
.LBB992_162:                            ; =>This Inner Loop Header: Depth=1
	global_load_b64 v[6:7], v[8:9], off scope:SCOPE_DEV
	s_wait_loadcnt 0x0
	v_and_b32_e32 v1, 0xff, v7
	s_delay_alu instid0(VALU_DEP_1)
	v_cmp_ne_u16_e32 vcc_lo, 0, v1
	s_or_b32 s40, vcc_lo, s40
	s_wait_xcnt 0x0
	s_and_not1_b32 exec_lo, exec_lo, s40
	s_cbranch_execnz .LBB992_162
; %bb.163:
	s_or_b32 exec_lo, exec_lo, s40
.LBB992_164:
	s_delay_alu instid0(SALU_CYCLE_1)
	s_or_b32 exec_lo, exec_lo, s27
	v_cmp_ne_u32_e32 vcc_lo, 31, v35
	v_and_b32_e32 v47, 0xffffff, v6
	v_and_b32_e32 v3, 0xff, v7
	v_bfe_u32 v9, v6, 16, 8
	s_mov_b32 s27, exec_lo
	v_add_co_ci_u32_e64 v1, null, 0, v35, vcc_lo
	s_delay_alu instid0(VALU_DEP_3) | instskip(SKIP_1) | instid1(VALU_DEP_3)
	v_cmp_eq_u16_e32 vcc_lo, 2, v3
	v_lshlrev_b32_e64 v3, v35, -1
	v_dual_lshrrev_b32 v8, 16, v6 :: v_dual_lshlrev_b32 v1, 2, v1
	s_delay_alu instid0(VALU_DEP_2) | instskip(SKIP_2) | instid1(VALU_DEP_1)
	v_and_or_b32 v5, vcc_lo, v3, 0x80000000
	ds_bpermute_b32 v36, v1, v47
	v_ctz_i32_b32_e32 v5, v5
	v_cmpx_lt_u32_e64 v35, v5
	s_cbranch_execz .LBB992_166
; %bb.165:
	v_and_b32_e32 v8, 0xff0000, v6
	s_delay_alu instid0(VALU_DEP_1) | instskip(SKIP_3) | instid1(VALU_DEP_1)
	v_and_b32_e32 v37, 0x10000, v8
	v_cmp_eq_u32_e32 vcc_lo, 0, v8
	s_wait_dscnt 0x0
	v_dual_cndmask_b32 v36, 0, v36 :: v_dual_lshrrev_b32 v9, 16, v36
	v_and_b32_e32 v9, 1, v9
	v_cmp_ne_u32_e32 vcc_lo, 0, v37
	s_delay_alu instid0(VALU_DEP_3) | instskip(NEXT) | instid1(VALU_DEP_3)
	v_add_nc_u16 v6, v36, v6
	v_cndmask_b32_e64 v8, v9, 1, vcc_lo
	s_delay_alu instid0(VALU_DEP_2) | instskip(NEXT) | instid1(VALU_DEP_2)
	v_and_b32_e32 v36, 0xffff, v6
	v_lshlrev_b32_e32 v9, 16, v8
	s_delay_alu instid0(VALU_DEP_1)
	v_dual_mov_b32 v9, v8 :: v_dual_bitop2_b32 v47, v9, v36 bitop3:0x54
.LBB992_166:
	s_or_b32 exec_lo, exec_lo, s27
	v_cmp_gt_u32_e32 vcc_lo, 30, v35
	v_add_nc_u32_e32 v37, 2, v35
	s_mov_b32 s27, exec_lo
	s_wait_dscnt 0x0
	v_cndmask_b32_e64 v36, 0, 2, vcc_lo
	s_delay_alu instid0(VALU_DEP_1)
	v_add_lshl_u32 v36, v36, v35, 2
	ds_bpermute_b32 v38, v36, v47
	v_cmpx_le_u32_e64 v37, v5
	s_cbranch_execz .LBB992_168
; %bb.167:
	v_cmp_eq_u16_e32 vcc_lo, 0, v9
	s_wait_dscnt 0x0
	v_dual_lshrrev_b32 v8, 16, v38 :: v_dual_bitop2_b32 v9, 1, v9 bitop3:0x40
	s_delay_alu instid0(VALU_DEP_1) | instskip(NEXT) | instid1(VALU_DEP_2)
	v_dual_cndmask_b32 v38, 0, v38, vcc_lo :: v_dual_bitop2_b32 v8, 1, v8 bitop3:0x40
	v_cmp_eq_u32_e32 vcc_lo, 1, v9
	s_delay_alu instid0(VALU_DEP_2) | instskip(NEXT) | instid1(VALU_DEP_3)
	v_add_nc_u16 v6, v38, v6
	v_cndmask_b32_e64 v8, v8, 1, vcc_lo
	s_delay_alu instid0(VALU_DEP_2) | instskip(NEXT) | instid1(VALU_DEP_2)
	v_and_b32_e32 v9, 0xffff, v6
	v_lshlrev_b32_e32 v38, 16, v8
	s_delay_alu instid0(VALU_DEP_1)
	v_dual_mov_b32 v9, v8 :: v_dual_bitop2_b32 v47, v38, v9 bitop3:0x54
.LBB992_168:
	s_or_b32 exec_lo, exec_lo, s27
	v_cmp_gt_u32_e32 vcc_lo, 28, v35
	v_add_nc_u32_e32 v39, 4, v35
	s_mov_b32 s27, exec_lo
	s_wait_dscnt 0x0
	v_cndmask_b32_e64 v38, 0, 4, vcc_lo
	s_delay_alu instid0(VALU_DEP_1)
	v_add_lshl_u32 v38, v38, v35, 2
	ds_bpermute_b32 v40, v38, v47
	v_cmpx_le_u32_e64 v39, v5
	s_cbranch_execz .LBB992_170
; %bb.169:
	v_cmp_eq_u16_e32 vcc_lo, 0, v9
	s_wait_dscnt 0x0
	v_dual_lshrrev_b32 v8, 16, v40 :: v_dual_bitop2_b32 v9, 1, v9 bitop3:0x40
	v_cndmask_b32_e32 v40, 0, v40, vcc_lo
	s_delay_alu instid0(VALU_DEP_2) | instskip(NEXT) | instid1(VALU_DEP_3)
	v_and_b32_e32 v8, 1, v8
	v_cmp_eq_u32_e32 vcc_lo, 1, v9
	s_delay_alu instid0(VALU_DEP_3) | instskip(NEXT) | instid1(VALU_DEP_3)
	v_add_nc_u16 v6, v40, v6
	v_cndmask_b32_e64 v8, v8, 1, vcc_lo
	s_delay_alu instid0(VALU_DEP_2) | instskip(NEXT) | instid1(VALU_DEP_2)
	v_and_b32_e32 v9, 0xffff, v6
	v_lshlrev_b32_e32 v40, 16, v8
	s_delay_alu instid0(VALU_DEP_1)
	v_or_b32_e32 v47, v40, v9
	v_mov_b32_e32 v9, v8
.LBB992_170:
	s_or_b32 exec_lo, exec_lo, s27
	v_cmp_gt_u32_e32 vcc_lo, 24, v35
	v_add_nc_u32_e32 v41, 8, v35
	s_mov_b32 s27, exec_lo
	s_wait_dscnt 0x0
	v_cndmask_b32_e64 v40, 0, 8, vcc_lo
	s_delay_alu instid0(VALU_DEP_1)
	v_add_lshl_u32 v40, v40, v35, 2
	ds_bpermute_b32 v42, v40, v47
	v_cmpx_le_u32_e64 v41, v5
	s_cbranch_execz .LBB992_172
; %bb.171:
	v_cmp_eq_u16_e32 vcc_lo, 0, v9
	s_wait_dscnt 0x0
	v_dual_lshrrev_b32 v8, 16, v42 :: v_dual_bitop2_b32 v9, 1, v9 bitop3:0x40
	s_delay_alu instid0(VALU_DEP_1) | instskip(NEXT) | instid1(VALU_DEP_2)
	v_dual_cndmask_b32 v42, 0, v42, vcc_lo :: v_dual_bitop2_b32 v8, 1, v8 bitop3:0x40
	v_cmp_eq_u32_e32 vcc_lo, 1, v9
	s_delay_alu instid0(VALU_DEP_2) | instskip(NEXT) | instid1(VALU_DEP_3)
	v_add_nc_u16 v6, v42, v6
	v_cndmask_b32_e64 v8, v8, 1, vcc_lo
	s_delay_alu instid0(VALU_DEP_2) | instskip(NEXT) | instid1(VALU_DEP_2)
	v_and_b32_e32 v9, 0xffff, v6
	v_lshlrev_b32_e32 v42, 16, v8
	s_delay_alu instid0(VALU_DEP_1)
	v_dual_mov_b32 v9, v8 :: v_dual_bitop2_b32 v47, v42, v9 bitop3:0x54
.LBB992_172:
	s_or_b32 exec_lo, exec_lo, s27
	s_wait_dscnt 0x0
	v_lshl_or_b32 v42, v35, 2, 64
	s_mov_b32 s27, exec_lo
	ds_bpermute_b32 v48, v42, v47
	v_add_nc_u32_e32 v47, 16, v35
	s_delay_alu instid0(VALU_DEP_1)
	v_cmpx_le_u32_e64 v47, v5
	s_cbranch_execz .LBB992_174
; %bb.173:
	v_cmp_eq_u16_e32 vcc_lo, 0, v9
	s_wait_dscnt 0x0
	v_dual_lshrrev_b32 v5, 16, v48 :: v_dual_bitop2_b32 v9, 1, v9 bitop3:0x40
	s_delay_alu instid0(VALU_DEP_1) | instskip(NEXT) | instid1(VALU_DEP_2)
	v_dual_cndmask_b32 v8, 0, v48, vcc_lo :: v_dual_bitop2_b32 v5, 1, v5 bitop3:0x40
	v_cmp_eq_u32_e32 vcc_lo, 1, v9
	s_delay_alu instid0(VALU_DEP_2) | instskip(NEXT) | instid1(VALU_DEP_3)
	v_add_nc_u16 v6, v8, v6
	v_cndmask_b32_e64 v8, v5, 1, vcc_lo
.LBB992_174:
	s_or_b32 exec_lo, exec_lo, s27
	v_mov_b32_e32 v5, 0
	s_branch .LBB992_177
.LBB992_175:                            ;   in Loop: Header=BB992_177 Depth=1
	s_or_b32 exec_lo, exec_lo, s27
	v_and_b32_e32 v8, 0xff, v48
	s_delay_alu instid0(VALU_DEP_2) | instskip(SKIP_2) | instid1(VALU_DEP_3)
	v_and_b32_e32 v9, 1, v9
	v_subrev_nc_u32_e32 v4, 32, v4
	s_mov_b32 s27, 0
	v_cmp_eq_u16_e32 vcc_lo, 0, v8
	v_dual_cndmask_b32 v6, 0, v6, vcc_lo :: v_dual_bitop2_b32 v8, 1, v48 bitop3:0x40
	s_delay_alu instid0(VALU_DEP_1) | instskip(NEXT) | instid1(VALU_DEP_2)
	v_cmp_eq_u32_e32 vcc_lo, 1, v8
	v_add_nc_u16 v6, v6, v49
	v_cndmask_b32_e64 v8, v9, 1, vcc_lo
.LBB992_176:                            ;   in Loop: Header=BB992_177 Depth=1
	s_and_b32 vcc_lo, exec_lo, s27
	s_cbranch_vccnz .LBB992_265
.LBB992_177:                            ; =>This Loop Header: Depth=1
                                        ;     Child Loop BB992_180 Depth 2
	v_and_b32_e32 v7, 0xff, v7
	s_wait_dscnt 0x0
	v_dual_mov_b32 v48, v8 :: v_dual_mov_b32 v49, v6
	s_mov_b32 s27, -1
                                        ; implicit-def: $vgpr8
	s_delay_alu instid0(VALU_DEP_2)
	v_cmp_ne_u16_e32 vcc_lo, 2, v7
                                        ; implicit-def: $vgpr6
	s_cmp_lg_u32 vcc_lo, exec_lo
	s_cbranch_scc1 .LBB992_176
; %bb.178:                              ;   in Loop: Header=BB992_177 Depth=1
	global_load_b64 v[6:7], v4, s[28:29] scale_offset scope:SCOPE_DEV
	s_mov_b32 s27, exec_lo
	s_wait_loadcnt 0x0
	v_and_b32_e32 v8, 0xff, v7
	s_wait_xcnt 0x0
	s_delay_alu instid0(VALU_DEP_1)
	v_cmpx_eq_u16_e32 0, v8
	s_cbranch_execz .LBB992_182
; %bb.179:                              ;   in Loop: Header=BB992_177 Depth=1
	v_lshl_add_u64 v[8:9], v[4:5], 3, s[28:29]
	s_mov_b32 s40, 0
.LBB992_180:                            ;   Parent Loop BB992_177 Depth=1
                                        ; =>  This Inner Loop Header: Depth=2
	global_load_b64 v[6:7], v[8:9], off scope:SCOPE_DEV
	s_wait_loadcnt 0x0
	v_and_b32_e32 v50, 0xff, v7
	s_delay_alu instid0(VALU_DEP_1)
	v_cmp_ne_u16_e32 vcc_lo, 0, v50
	s_or_b32 s40, vcc_lo, s40
	s_wait_xcnt 0x0
	s_and_not1_b32 exec_lo, exec_lo, s40
	s_cbranch_execnz .LBB992_180
; %bb.181:                              ;   in Loop: Header=BB992_177 Depth=1
	s_or_b32 exec_lo, exec_lo, s40
.LBB992_182:                            ;   in Loop: Header=BB992_177 Depth=1
	s_delay_alu instid0(SALU_CYCLE_1)
	s_or_b32 exec_lo, exec_lo, s27
	v_and_b32_e32 v51, 0xffffff, v6
	v_and_b32_e32 v8, 0xff, v7
	v_lshrrev_b32_e32 v9, 16, v6
	v_bfe_u32 v50, v6, 16, 8
	s_mov_b32 s27, exec_lo
	ds_bpermute_b32 v52, v1, v51
	v_cmp_eq_u16_e32 vcc_lo, 2, v8
	v_and_or_b32 v8, vcc_lo, v3, 0x80000000
	s_delay_alu instid0(VALU_DEP_1) | instskip(NEXT) | instid1(VALU_DEP_1)
	v_ctz_i32_b32_e32 v8, v8
	v_cmpx_lt_u32_e64 v35, v8
	s_cbranch_execz .LBB992_184
; %bb.183:                              ;   in Loop: Header=BB992_177 Depth=1
	v_and_b32_e32 v9, 0xff0000, v6
	s_delay_alu instid0(VALU_DEP_1) | instskip(SKIP_3) | instid1(VALU_DEP_1)
	v_and_b32_e32 v51, 0x10000, v9
	v_cmp_eq_u32_e32 vcc_lo, 0, v9
	s_wait_dscnt 0x0
	v_dual_lshrrev_b32 v50, 16, v52 :: v_dual_cndmask_b32 v52, 0, v52, vcc_lo
	v_and_b32_e32 v50, 1, v50
	v_cmp_ne_u32_e32 vcc_lo, 0, v51
	s_delay_alu instid0(VALU_DEP_3) | instskip(NEXT) | instid1(VALU_DEP_3)
	v_add_nc_u16 v6, v52, v6
	v_cndmask_b32_e64 v9, v50, 1, vcc_lo
	s_delay_alu instid0(VALU_DEP_2) | instskip(NEXT) | instid1(VALU_DEP_2)
	v_and_b32_e32 v51, 0xffff, v6
	v_lshlrev_b32_e32 v50, 16, v9
	s_delay_alu instid0(VALU_DEP_1)
	v_dual_mov_b32 v50, v9 :: v_dual_bitop2_b32 v51, v50, v51 bitop3:0x54
.LBB992_184:                            ;   in Loop: Header=BB992_177 Depth=1
	s_or_b32 exec_lo, exec_lo, s27
	s_wait_dscnt 0x0
	ds_bpermute_b32 v52, v36, v51
	s_mov_b32 s27, exec_lo
	v_cmpx_le_u32_e64 v37, v8
	s_cbranch_execz .LBB992_186
; %bb.185:                              ;   in Loop: Header=BB992_177 Depth=1
	v_cmp_eq_u16_e32 vcc_lo, 0, v50
	s_wait_dscnt 0x0
	v_dual_lshrrev_b32 v9, 16, v52 :: v_dual_bitop2_b32 v50, 1, v50 bitop3:0x40
	s_delay_alu instid0(VALU_DEP_1) | instskip(NEXT) | instid1(VALU_DEP_2)
	v_dual_cndmask_b32 v51, 0, v52, vcc_lo :: v_dual_bitop2_b32 v9, 1, v9 bitop3:0x40
	v_cmp_eq_u32_e32 vcc_lo, 1, v50
	s_delay_alu instid0(VALU_DEP_2) | instskip(NEXT) | instid1(VALU_DEP_3)
	v_add_nc_u16 v6, v51, v6
	v_cndmask_b32_e64 v9, v9, 1, vcc_lo
	s_delay_alu instid0(VALU_DEP_2) | instskip(NEXT) | instid1(VALU_DEP_2)
	v_and_b32_e32 v50, 0xffff, v6
	v_lshlrev_b32_e32 v51, 16, v9
	s_delay_alu instid0(VALU_DEP_1)
	v_dual_mov_b32 v50, v9 :: v_dual_bitop2_b32 v51, v51, v50 bitop3:0x54
.LBB992_186:                            ;   in Loop: Header=BB992_177 Depth=1
	s_or_b32 exec_lo, exec_lo, s27
	s_wait_dscnt 0x0
	ds_bpermute_b32 v52, v38, v51
	s_mov_b32 s27, exec_lo
	v_cmpx_le_u32_e64 v39, v8
	s_cbranch_execz .LBB992_188
; %bb.187:                              ;   in Loop: Header=BB992_177 Depth=1
	v_cmp_eq_u16_e32 vcc_lo, 0, v50
	s_wait_dscnt 0x0
	v_dual_lshrrev_b32 v9, 16, v52 :: v_dual_bitop2_b32 v50, 1, v50 bitop3:0x40
	s_delay_alu instid0(VALU_DEP_1) | instskip(NEXT) | instid1(VALU_DEP_2)
	v_dual_cndmask_b32 v51, 0, v52, vcc_lo :: v_dual_bitop2_b32 v9, 1, v9 bitop3:0x40
	v_cmp_eq_u32_e32 vcc_lo, 1, v50
	s_delay_alu instid0(VALU_DEP_2) | instskip(NEXT) | instid1(VALU_DEP_3)
	v_add_nc_u16 v6, v51, v6
	v_cndmask_b32_e64 v9, v9, 1, vcc_lo
	s_delay_alu instid0(VALU_DEP_2) | instskip(NEXT) | instid1(VALU_DEP_2)
	v_and_b32_e32 v50, 0xffff, v6
	v_lshlrev_b32_e32 v51, 16, v9
	s_delay_alu instid0(VALU_DEP_1)
	v_dual_mov_b32 v50, v9 :: v_dual_bitop2_b32 v51, v51, v50 bitop3:0x54
.LBB992_188:                            ;   in Loop: Header=BB992_177 Depth=1
	;; [unrolled: 22-line block ×3, first 2 shown]
	s_or_b32 exec_lo, exec_lo, s27
	ds_bpermute_b32 v51, v42, v51
	s_mov_b32 s27, exec_lo
	v_cmpx_le_u32_e64 v47, v8
	s_cbranch_execz .LBB992_175
; %bb.191:                              ;   in Loop: Header=BB992_177 Depth=1
	v_cmp_eq_u16_e32 vcc_lo, 0, v50
	s_wait_dscnt 0x0
	v_dual_lshrrev_b32 v50, 16, v51 :: v_dual_bitop2_b32 v9, 1, v50 bitop3:0x40
	v_cndmask_b32_e32 v8, 0, v51, vcc_lo
	s_delay_alu instid0(VALU_DEP_2) | instskip(NEXT) | instid1(VALU_DEP_2)
	v_cmp_eq_u32_e32 vcc_lo, 1, v9
	v_add_nc_u16 v6, v8, v6
	s_delay_alu instid0(VALU_DEP_4)
	v_cndmask_b32_e64 v9, v50, 1, vcc_lo
	s_branch .LBB992_175
.LBB992_192:
                                        ; implicit-def: $vgpr47
                                        ; implicit-def: $vgpr1
                                        ; implicit-def: $vgpr4
                                        ; implicit-def: $vgpr5
                                        ; implicit-def: $vgpr6
                                        ; implicit-def: $vgpr7
                                        ; implicit-def: $vgpr8
                                        ; implicit-def: $vgpr12
                                        ; implicit-def: $vgpr9
                                        ; implicit-def: $vgpr13
                                        ; implicit-def: $vgpr14
                                        ; implicit-def: $vgpr15
                                        ; implicit-def: $vgpr35
                                        ; implicit-def: $vgpr36
                                        ; implicit-def: $vgpr37
                                        ; implicit-def: $vgpr39
                                        ; implicit-def: $vgpr38
                                        ; implicit-def: $vgpr40
                                        ; implicit-def: $vgpr41
                                        ; implicit-def: $vgpr42
	s_cbranch_execnz .LBB992_270
.LBB992_193:
	s_add_nc_u64 s[0:1], s[34:35], s[36:37]
	s_and_b32 vcc_lo, exec_lo, s31
	s_add_nc_u64 s[0:1], s[0:1], s[24:25]
	s_cbranch_vccz .LBB992_289
.LBB992_194:
	v_mul_u32_u24_e32 v2, 20, v0
	s_add_co_i32 s33, s33, s30
	s_mov_b32 s2, exec_lo
	s_delay_alu instid0(VALU_DEP_1)
	v_cmpx_gt_u32_e64 s33, v2
	s_cbranch_execz .LBB992_226
; %bb.195:
	v_or_b32_e32 v3, 1, v2
	s_mov_b32 s3, exec_lo
	s_delay_alu instid0(VALU_DEP_1)
	v_cmpx_gt_u32_e64 s33, v3
	s_cbranch_execz .LBB992_225
; %bb.196:
	v_or_b32_e32 v3, 2, v2
	;; [unrolled: 6-line block ×3, first 2 shown]
	s_mov_b32 s5, exec_lo
	s_delay_alu instid0(VALU_DEP_1)
	v_cmpx_gt_u32_e64 s33, v3
	s_cbranch_execz .LBB992_223
; %bb.198:
	v_add_nc_u32_e32 v3, 4, v2
	s_mov_b32 s6, exec_lo
	s_delay_alu instid0(VALU_DEP_1)
	v_cmpx_gt_u32_e64 s33, v3
	s_cbranch_execz .LBB992_222
; %bb.199:
	v_add_nc_u32_e32 v3, 5, v2
	;; [unrolled: 6-line block ×12, first 2 shown]
	s_mov_b32 s17, exec_lo
	s_delay_alu instid0(VALU_DEP_1)
	v_cmpx_gt_u32_e64 s33, v3
; %bb.210:
	v_add_nc_u32_e32 v3, 16, v2
	s_mov_b32 s18, exec_lo
	s_delay_alu instid0(VALU_DEP_1)
	v_cmpx_gt_u32_e64 s33, v3
	s_or_b32 exec_lo, exec_lo, s18
; %bb.211:
	s_delay_alu instid0(SALU_CYCLE_1)
	s_or_b32 exec_lo, exec_lo, s17
.LBB992_212:
	s_delay_alu instid0(SALU_CYCLE_1)
	s_or_b32 exec_lo, exec_lo, s16
.LBB992_213:
	s_delay_alu instid0(SALU_CYCLE_1)
	s_or_b32 exec_lo, exec_lo, s15
.LBB992_214:
	s_delay_alu instid0(SALU_CYCLE_1)
	s_or_b32 exec_lo, exec_lo, s14
.LBB992_215:
	s_delay_alu instid0(SALU_CYCLE_1)
	s_or_b32 exec_lo, exec_lo, s13
.LBB992_216:
	s_delay_alu instid0(SALU_CYCLE_1)
	s_or_b32 exec_lo, exec_lo, s12
.LBB992_217:
	s_delay_alu instid0(SALU_CYCLE_1)
	s_or_b32 exec_lo, exec_lo, s11
.LBB992_218:
	s_delay_alu instid0(SALU_CYCLE_1)
	s_or_b32 exec_lo, exec_lo, s10
.LBB992_219:
	s_delay_alu instid0(SALU_CYCLE_1)
	s_or_b32 exec_lo, exec_lo, s9
.LBB992_220:
	s_delay_alu instid0(SALU_CYCLE_1)
	s_or_b32 exec_lo, exec_lo, s8
.LBB992_221:
	s_delay_alu instid0(SALU_CYCLE_1)
	s_or_b32 exec_lo, exec_lo, s7
.LBB992_222:
	s_delay_alu instid0(SALU_CYCLE_1)
	s_or_b32 exec_lo, exec_lo, s6
.LBB992_223:
	s_delay_alu instid0(SALU_CYCLE_1)
	s_or_b32 exec_lo, exec_lo, s5
.LBB992_224:
	s_delay_alu instid0(SALU_CYCLE_1)
	s_or_b32 exec_lo, exec_lo, s4
.LBB992_225:
	s_delay_alu instid0(SALU_CYCLE_1)
	s_or_b32 exec_lo, exec_lo, s3
.LBB992_226:
	s_delay_alu instid0(SALU_CYCLE_1)
	s_or_b32 exec_lo, exec_lo, s2
	v_dual_mov_b32 v11, 0 :: v_dual_lshlrev_b32 v32, 1, v2
	v_perm_b32 v3, v12, v8, 0x5040100
	v_perm_b32 v2, v7, v6, 0x5040100
	;; [unrolled: 1-line block ×10, first 2 shown]
	s_wait_storecnt 0x0
	s_barrier_signal -1
	s_barrier_wait -1
	ds_store_2addr_b64 v32, v[16:17], v[2:3] offset1:1
	ds_store_2addr_b64 v32, v[20:21], v[18:19] offset0:2 offset1:3
	ds_store_b64 v32, v[22:23] offset:32
	v_mad_i32_i24 v2, 0xffffffda, v0, v32
	s_wait_dscnt 0x0
	s_barrier_signal -1
	s_barrier_wait -1
	ds_load_u16 v43, v2 offset:512
	ds_load_u16 v34, v2 offset:1024
	;; [unrolled: 1-line block ×19, first 2 shown]
	v_add_nc_u64_e32 v[2:3], s[0:1], v[10:11]
	s_mov_b32 s2, exec_lo
	v_cmpx_gt_u32_e64 s33, v0
	s_cbranch_execz .LBB992_228
; %bb.227:
	v_mul_i32_i24_e32 v10, 0xffffffda, v0
	s_delay_alu instid0(VALU_DEP_1)
	v_add_nc_u32_e32 v10, v32, v10
	ds_load_u16 v10, v10
	s_wait_dscnt 0x0
	flat_store_b16 v[2:3], v10
.LBB992_228:
	s_wait_xcnt 0x0
	s_or_b32 exec_lo, exec_lo, s2
	v_or_b32_e32 v10, 0x100, v0
	s_mov_b32 s2, exec_lo
	s_delay_alu instid0(VALU_DEP_1)
	v_cmpx_gt_u32_e64 s33, v10
	s_cbranch_execz .LBB992_230
; %bb.229:
	s_wait_dscnt 0x12
	flat_store_b16 v[2:3], v43 offset:512
.LBB992_230:
	s_wait_xcnt 0x0
	s_or_b32 exec_lo, exec_lo, s2
	v_or_b32_e32 v10, 0x200, v0
	s_mov_b32 s2, exec_lo
	s_delay_alu instid0(VALU_DEP_1)
	v_cmpx_gt_u32_e64 s33, v10
	s_cbranch_execz .LBB992_232
; %bb.231:
	s_wait_dscnt 0x11
	flat_store_b16 v[2:3], v34 offset:1024
.LBB992_232:
	;; [unrolled: 11-line block ×18, first 2 shown]
	s_wait_xcnt 0x0
	s_or_b32 exec_lo, exec_lo, s2
	v_or_b32_e32 v2, 0x1300, v0
	s_delay_alu instid0(VALU_DEP_1)
	v_cmp_gt_u32_e64 s2, s33, v2
	s_branch .LBB992_291
.LBB992_265:
	s_and_saveexec_b32 s27, s21
	s_cbranch_execz .LBB992_267
; %bb.266:
	v_and_b32_e32 v1, 0xff0000, v2
	v_and_b32_e32 v4, 0x10000, v2
	s_delay_alu instid0(VALU_DEP_2) | instskip(SKIP_1) | instid1(VALU_DEP_3)
	v_cmp_eq_u32_e32 vcc_lo, 0, v1
	v_dual_cndmask_b32 v1, 0, v49, vcc_lo :: v_dual_bitop2_b32 v3, 1, v48 bitop3:0x40
	v_cmp_eq_u32_e32 vcc_lo, 0, v4
	s_delay_alu instid0(VALU_DEP_2) | instskip(NEXT) | instid1(VALU_DEP_1)
	v_add_nc_u16 v1, v1, v2
	v_and_b32_e32 v1, 0xffff, v1
	s_delay_alu instid0(VALU_DEP_4) | instskip(NEXT) | instid1(VALU_DEP_1)
	v_lshlrev_b32_e32 v3, 16, v3
	v_dual_cndmask_b32 v2, 0x10000, v3 :: v_dual_mov_b32 v3, 2
	s_delay_alu instid0(VALU_DEP_1)
	v_or_b32_e32 v2, v2, v1
	global_store_b64 v15, v[2:3], s[28:29] scale_offset scope:SCOPE_DEV
.LBB992_267:
	s_wait_xcnt 0x0
	s_or_b32 exec_lo, exec_lo, s27
	s_delay_alu instid0(SALU_CYCLE_1)
	s_and_b32 exec_lo, exec_lo, s2
	s_cbranch_execz .LBB992_269
; %bb.268:
	v_mov_b32_e32 v1, 0
	ds_store_b16 v1, v49
	ds_store_b8 v1, v48 offset:2
.LBB992_269:
	s_or_b32 exec_lo, exec_lo, s26
	v_and_b32_e32 v2, 0x10000, v31
	s_wait_storecnt_dscnt 0x0
	s_barrier_signal -1
	s_barrier_wait -1
	s_delay_alu instid0(VALU_DEP_1)
	v_cmp_ne_u32_e32 vcc_lo, 0, v2
	v_cndmask_b32_e64 v2, v14, 1, vcc_lo
	v_cmp_gt_u32_e32 vcc_lo, 0x10000, v31
	v_dual_mov_b32 v1, 0 :: v_dual_cndmask_b32 v3, 0, v13, vcc_lo
	ds_load_b32 v1, v1
	v_cndmask_b32_e64 v2, v2, v12, s2
	v_cndmask_b32_e64 v3, v3, 0, s2
	s_delay_alu instid0(VALU_DEP_2) | instskip(NEXT) | instid1(VALU_DEP_2)
	v_and_b32_e32 v2, 0xff, v2
	v_add_nc_u16 v3, v3, v31
	s_delay_alu instid0(VALU_DEP_2) | instskip(SKIP_2) | instid1(VALU_DEP_1)
	v_cmp_eq_u16_e32 vcc_lo, 0, v2
	s_wait_dscnt 0x0
	v_cndmask_b32_e32 v1, 0, v1, vcc_lo
	v_add_nc_u16 v2, v3, v1
	s_delay_alu instid0(VALU_DEP_1) | instskip(SKIP_1) | instid1(VALU_DEP_2)
	v_cndmask_b32_e64 v1, 0, v2, s20
	v_and_b32_e32 v47, 0xffff, v2
	v_add_nc_u16 v1, v1, v34
	s_delay_alu instid0(VALU_DEP_1) | instskip(NEXT) | instid1(VALU_DEP_1)
	v_cndmask_b32_e64 v3, 0, v1, s19
	v_add_nc_u16 v4, v3, v33
	s_delay_alu instid0(VALU_DEP_1) | instskip(NEXT) | instid1(VALU_DEP_1)
	v_cndmask_b32_e64 v3, 0, v4, s18
	;; [unrolled: 3-line block ×18, first 2 shown]
	v_add_nc_u16 v42, v3, v11
	s_branch .LBB992_193
.LBB992_270:
	s_cmp_lg_u64 s[38:39], 0
	s_cselect_b32 s0, -1, 0
	s_cmp_lg_u64 s[22:23], 0
	s_cselect_b32 s1, -1, 0
	s_delay_alu instid0(SALU_CYCLE_1) | instskip(NEXT) | instid1(SALU_CYCLE_1)
	s_and_b32 s0, s0, s1
	s_and_b32 s1, s2, s0
	s_delay_alu instid0(SALU_CYCLE_1)
	s_and_saveexec_b32 s0, s1
	s_cbranch_execz .LBB992_272
; %bb.271:
	v_mov_b32_e32 v1, 0
	v_cmp_gt_u32_e32 vcc_lo, 0x10000, v31
	s_clause 0x1
	global_load_u16 v2, v1, s[22:23]
	global_load_u8 v3, v1, s[22:23] offset:2
	s_wait_loadcnt 0x0
	v_dual_cndmask_b32 v1, 0, v2, vcc_lo :: v_dual_bitop2_b32 v2, 1, v3 bitop3:0x40
	v_and_b32_e32 v3, 0x10000, v31
	s_delay_alu instid0(VALU_DEP_2) | instskip(NEXT) | instid1(VALU_DEP_3)
	v_lshlrev_b32_e32 v2, 16, v2
	v_add_nc_u16 v1, v1, v31
	s_delay_alu instid0(VALU_DEP_3) | instskip(NEXT) | instid1(VALU_DEP_2)
	v_cmp_eq_u32_e32 vcc_lo, 0, v3
	v_and_b32_e32 v1, 0xffff, v1
	s_delay_alu instid0(VALU_DEP_4) | instskip(NEXT) | instid1(VALU_DEP_1)
	v_cndmask_b32_e32 v2, 0x10000, v2, vcc_lo
	v_or_b32_e32 v31, v2, v1
.LBB992_272:
	s_or_b32 exec_lo, exec_lo, s0
	v_cmp_gt_u32_e32 vcc_lo, 0x10000, v34
	v_cmp_gt_u32_e64 s1, 0x10000, v32
	v_cmp_gt_u32_e64 s0, 0x10000, v33
	;; [unrolled: 1-line block ×4, first 2 shown]
	v_cndmask_b32_e32 v1, 0, v31, vcc_lo
	v_cmp_gt_u32_e64 s5, 0x10000, v29
	v_cmp_gt_u32_e64 s6, 0x10000, v28
	;; [unrolled: 1-line block ×4, first 2 shown]
	v_add_nc_u16 v1, v1, v34
	v_cmp_gt_u32_e64 s8, 0x10000, v26
	v_cmp_gt_u32_e64 s9, 0x10000, v25
	;; [unrolled: 1-line block ×4, first 2 shown]
	v_cndmask_b32_e64 v2, 0, v1, s0
	v_cmp_gt_u32_e64 s12, 0x10000, v22
	v_cmp_gt_u32_e64 s13, 0x10000, v21
	;; [unrolled: 1-line block ×4, first 2 shown]
	v_add_nc_u16 v4, v2, v33
	v_cmp_gt_u32_e64 s16, 0x10000, v18
	v_cmp_gt_u32_e64 s17, 0x10000, v17
	v_or3_b32 v3, v44, v30, v32
	s_mov_b32 s21, exec_lo
	v_dual_cndmask_b32 v2, 0, v4, s1 :: v_dual_bitop2_b32 v42, 28, v45 bitop3:0x40
	s_delay_alu instid0(VALU_DEP_2) | instskip(NEXT) | instid1(VALU_DEP_2)
	v_or3_b32 v3, v3, v33, v34
	v_add_nc_u16 v5, v2, v32
	s_delay_alu instid0(VALU_DEP_3) | instskip(NEXT) | instid1(VALU_DEP_2)
	v_lshl_add_u32 v44, v0, 2, v42
	v_cndmask_b32_e64 v2, 0, v5, s4
	s_delay_alu instid0(VALU_DEP_1) | instskip(NEXT) | instid1(VALU_DEP_1)
	v_add_nc_u16 v6, v2, v30
	v_cndmask_b32_e64 v2, 0, v6, s5
	s_delay_alu instid0(VALU_DEP_1) | instskip(NEXT) | instid1(VALU_DEP_1)
	v_add_nc_u16 v7, v2, v29
	;; [unrolled: 3-line block ×13, first 2 shown]
	v_cndmask_b32_e64 v2, 0, v38, s17
	s_delay_alu instid0(VALU_DEP_1) | instskip(SKIP_1) | instid1(VALU_DEP_2)
	v_add_nc_u16 v40, v2, v17
	v_or3_b32 v2, v46, v22, v23
	v_cndmask_b32_e64 v41, 0, v40, s18
	s_delay_alu instid0(VALU_DEP_2) | instskip(NEXT) | instid1(VALU_DEP_2)
	v_or3_b32 v2, v2, v24, v25
	v_add_nc_u16 v41, v41, v16
	s_delay_alu instid0(VALU_DEP_2) | instskip(NEXT) | instid1(VALU_DEP_2)
	v_or3_b32 v2, v11, v43, v2
	v_cndmask_b32_e64 v43, 0, v41, s19
	s_delay_alu instid0(VALU_DEP_2) | instskip(SKIP_1) | instid1(VALU_DEP_3)
	v_bitop3_b32 v2, v2, 0xff0000, v3 bitop3:0xc8
	v_lshrrev_b32_e32 v3, 16, v31
	v_add_nc_u16 v42, v43, v11
	s_delay_alu instid0(VALU_DEP_3) | instskip(NEXT) | instid1(VALU_DEP_1)
	v_cmp_eq_u32_e64 s20, 0, v2
	v_cndmask_b32_e64 v3, 1, v3, s20
	ds_store_b16 v44, v42
	ds_store_b8 v44, v3 offset:2
	s_wait_dscnt 0x0
	s_barrier_signal -1
	s_barrier_wait -1
	v_cmpx_gt_u32_e32 32, v0
	s_cbranch_execz .LBB992_284
; %bb.273:
	v_and_b32_e32 v2, 0xfc, v0
	v_lshlrev_b32_e32 v43, 5, v0
	s_mov_b32 s22, exec_lo
	s_delay_alu instid0(VALU_DEP_1)
	v_add_nc_u32_e32 v2, v2, v43
	ds_load_u8 v44, v2 offset:6
	ds_load_b32 v43, v2
	ds_load_u16 v45, v2 offset:4
	ds_load_u8 v46, v2 offset:10
	ds_load_u16 v47, v2 offset:8
	ds_load_u16 v48, v2 offset:12
	ds_load_u8 v49, v2 offset:14
	ds_load_u16 v50, v2 offset:16
	s_wait_dscnt 0x7
	v_cmp_eq_u16_e64 s20, 0, v44
	s_wait_dscnt 0x4
	s_delay_alu instid0(VALU_DEP_1) | instskip(SKIP_1) | instid1(VALU_DEP_2)
	v_dual_cndmask_b32 v51, 0, v43, s20 :: v_dual_bitop2_b32 v44, v46, v44 bitop3:0x54
	v_cmp_eq_u16_e64 s20, 0, v46
	v_add_nc_u16 v45, v51, v45
	ds_load_u8 v51, v2 offset:18
	v_cndmask_b32_e64 v45, 0, v45, s20
	s_wait_dscnt 0x2
	v_cmp_eq_u16_e64 s20, 0, v49
	s_delay_alu instid0(VALU_DEP_2) | instskip(SKIP_2) | instid1(VALU_DEP_1)
	v_add_nc_u16 v45, v45, v47
	ds_load_u8 v47, v2 offset:22
	v_cndmask_b32_e64 v45, 0, v45, s20
	v_add_nc_u16 v45, v45, v48
	ds_load_u16 v48, v2 offset:20
	ds_load_u16 v52, v2 offset:24
	ds_load_u8 v53, v2 offset:26
	ds_load_u16 v54, v2 offset:28
	ds_load_u8 v55, v2 offset:30
	s_wait_dscnt 0x6
	v_cmp_eq_u16_e64 s20, 0, v51
	v_bitop3_b16 v46, v44, v51, v49 bitop3:0xfe
	v_and_b32_e32 v44, 0x10000, v43
	s_delay_alu instid0(VALU_DEP_3)
	v_cndmask_b32_e64 v45, 0, v45, s20
	s_wait_dscnt 0x5
	v_cmp_eq_u16_e64 s20, 0, v47
	s_wait_dscnt 0x2
	v_bitop3_b16 v46, v46, v53, v47 bitop3:0xfe
	s_wait_dscnt 0x0
	v_and_b32_e32 v47, 1, v55
	v_add_nc_u16 v45, v45, v50
	s_delay_alu instid0(VALU_DEP_1) | instskip(SKIP_1) | instid1(VALU_DEP_2)
	v_cndmask_b32_e64 v45, 0, v45, s20
	v_cmp_eq_u16_e64 s20, 0, v53
	v_add_nc_u16 v45, v45, v48
	s_delay_alu instid0(VALU_DEP_1) | instskip(SKIP_1) | instid1(VALU_DEP_2)
	v_cndmask_b32_e64 v45, 0, v45, s20
	v_cmp_eq_u16_e64 s20, 0, v55
	;; [unrolled: 4-line block ×3, first 2 shown]
	v_add_nc_u16 v46, v45, v54
	s_delay_alu instid0(VALU_DEP_2) | instskip(SKIP_4) | instid1(VALU_DEP_4)
	v_cndmask_b32_e64 v48, 0x10000, v44, s20
	v_cmp_eq_u32_e64 s20, 1, v47
	v_and_b32_e32 v45, 0xff000000, v43
	v_mbcnt_lo_u32_b32 v47, -1, 0
	v_and_b32_e32 v49, 0xffff, v46
	v_cndmask_b32_e64 v48, v48, 0x10000, s20
	s_delay_alu instid0(VALU_DEP_1) | instskip(NEXT) | instid1(VALU_DEP_3)
	v_or_b32_e32 v50, v48, v45
	v_or3_b32 v51, v45, v49, v48
	s_delay_alu instid0(VALU_DEP_2) | instskip(NEXT) | instid1(VALU_DEP_2)
	v_dual_lshrrev_b32 v49, 16, v50 :: v_dual_bitop2_b32 v48, 15, v47 bitop3:0x40
	v_mov_b32_dpp v52, v51 row_shr:1 row_mask:0xf bank_mask:0xf
	s_delay_alu instid0(VALU_DEP_2)
	v_cmpx_ne_u32_e32 0, v48
	s_cbranch_execz .LBB992_275
; %bb.274:
	s_delay_alu instid0(VALU_DEP_2) | instskip(SKIP_1) | instid1(VALU_DEP_2)
	v_dual_lshrrev_b32 v49, 16, v50 :: v_dual_lshrrev_b32 v51, 16, v52
	v_and_b32_e32 v50, 0x10000, v50
	v_and_b32_e32 v49, 0xff, v49
	s_delay_alu instid0(VALU_DEP_1) | instskip(NEXT) | instid1(VALU_DEP_1)
	v_cmp_eq_u16_e64 s20, 0, v49
	v_dual_cndmask_b32 v52, 0, v52, s20 :: v_dual_bitop2_b32 v51, 1, v51 bitop3:0x40
	s_delay_alu instid0(VALU_DEP_4) | instskip(NEXT) | instid1(VALU_DEP_2)
	v_cmp_ne_u32_e64 s20, 0, v50
	v_add_nc_u16 v46, v52, v46
	s_delay_alu instid0(VALU_DEP_2) | instskip(NEXT) | instid1(VALU_DEP_2)
	v_cndmask_b32_e64 v49, v51, 1, s20
	v_and_b32_e32 v51, 0xffff, v46
	s_delay_alu instid0(VALU_DEP_2) | instskip(NEXT) | instid1(VALU_DEP_1)
	v_lshlrev_b32_e32 v50, 16, v49
	v_or3_b32 v51, v50, v51, v45
.LBB992_275:
	s_or_b32 exec_lo, exec_lo, s22
	s_delay_alu instid0(VALU_DEP_1)
	v_lshrrev_b32_e32 v50, 16, v51
	v_mov_b32_dpp v52, v51 row_shr:2 row_mask:0xf bank_mask:0xf
	s_mov_b32 s22, exec_lo
	v_cmpx_lt_u32_e32 1, v48
	s_cbranch_execz .LBB992_277
; %bb.276:
	v_and_b32_e32 v50, 0xff, v50
	v_and_b32_e32 v51, 0x10000, v51
	s_delay_alu instid0(VALU_DEP_2) | instskip(NEXT) | instid1(VALU_DEP_1)
	v_cmp_eq_u16_e64 s20, 0, v50
	v_dual_lshrrev_b32 v49, 16, v52 :: v_dual_cndmask_b32 v50, 0, v52, s20
	s_delay_alu instid0(VALU_DEP_1) | instskip(NEXT) | instid1(VALU_DEP_4)
	v_and_b32_e32 v49, 1, v49
	v_cmp_ne_u32_e64 s20, 0, v51
	s_delay_alu instid0(VALU_DEP_3) | instskip(NEXT) | instid1(VALU_DEP_2)
	v_add_nc_u16 v46, v50, v46
	v_cndmask_b32_e64 v49, v49, 1, s20
	s_delay_alu instid0(VALU_DEP_2) | instskip(NEXT) | instid1(VALU_DEP_2)
	v_and_b32_e32 v51, 0xffff, v46
	v_lshlrev_b32_e32 v50, 16, v49
	s_delay_alu instid0(VALU_DEP_1)
	v_or3_b32 v51, v50, v51, v45
	v_mov_b32_e32 v50, v49
.LBB992_277:
	s_or_b32 exec_lo, exec_lo, s22
	s_delay_alu instid0(VALU_DEP_2)
	v_mov_b32_dpp v52, v51 row_shr:4 row_mask:0xf bank_mask:0xf
	s_mov_b32 s22, exec_lo
	v_cmpx_lt_u32_e32 3, v48
	s_cbranch_execz .LBB992_279
; %bb.278:
	v_and_b32_e32 v51, 0xff, v50
	v_dual_lshrrev_b32 v49, 16, v52 :: v_dual_bitop2_b32 v50, 1, v50 bitop3:0x40
	s_delay_alu instid0(VALU_DEP_2) | instskip(NEXT) | instid1(VALU_DEP_1)
	v_cmp_eq_u16_e64 s20, 0, v51
	v_dual_cndmask_b32 v51, 0, v52, s20 :: v_dual_bitop2_b32 v49, 1, v49 bitop3:0x40
	s_delay_alu instid0(VALU_DEP_3) | instskip(NEXT) | instid1(VALU_DEP_2)
	v_cmp_eq_u32_e64 s20, 1, v50
	v_add_nc_u16 v46, v51, v46
	s_delay_alu instid0(VALU_DEP_2) | instskip(NEXT) | instid1(VALU_DEP_2)
	v_cndmask_b32_e64 v49, v49, 1, s20
	v_and_b32_e32 v51, 0xffff, v46
	s_delay_alu instid0(VALU_DEP_2) | instskip(NEXT) | instid1(VALU_DEP_1)
	v_lshlrev_b32_e32 v50, 16, v49
	v_or3_b32 v51, v50, v51, v45
	v_mov_b32_e32 v50, v49
.LBB992_279:
	s_or_b32 exec_lo, exec_lo, s22
	s_delay_alu instid0(VALU_DEP_2)
	v_mov_b32_dpp v52, v51 row_shr:8 row_mask:0xf bank_mask:0xf
	s_mov_b32 s22, exec_lo
	v_cmpx_lt_u32_e32 7, v48
	s_cbranch_execz .LBB992_281
; %bb.280:
	v_and_b32_e32 v49, 0xff, v50
	v_dual_lshrrev_b32 v48, 16, v52 :: v_dual_bitop2_b32 v50, 1, v50 bitop3:0x40
	s_delay_alu instid0(VALU_DEP_2) | instskip(NEXT) | instid1(VALU_DEP_2)
	v_cmp_eq_u16_e64 s20, 0, v49
	v_and_b32_e32 v48, 1, v48
	s_delay_alu instid0(VALU_DEP_2) | instskip(NEXT) | instid1(VALU_DEP_4)
	v_cndmask_b32_e64 v51, 0, v52, s20
	v_cmp_eq_u32_e64 s20, 1, v50
	s_delay_alu instid0(VALU_DEP_1) | instskip(NEXT) | instid1(VALU_DEP_1)
	v_cndmask_b32_e64 v49, v48, 1, s20
	v_lshlrev_b32_e32 v48, 16, v49
	s_delay_alu instid0(VALU_DEP_4) | instskip(NEXT) | instid1(VALU_DEP_1)
	v_add_nc_u16 v46, v51, v46
	v_and_b32_e32 v50, 0xffff, v46
	s_delay_alu instid0(VALU_DEP_1)
	v_or3_b32 v51, v48, v50, v45
	v_mov_b32_e32 v50, v49
.LBB992_281:
	s_or_b32 exec_lo, exec_lo, s22
	ds_swizzle_b32 v48, v51 offset:swizzle(BROADCAST,32,15)
	v_and_b32_e32 v51, 16, v47
	s_mov_b32 s22, exec_lo
	s_delay_alu instid0(VALU_DEP_1)
	v_cmpx_ne_u32_e32 0, v51
	s_cbranch_execz .LBB992_283
; %bb.282:
	v_and_b32_e32 v49, 0xff, v50
	s_delay_alu instid0(VALU_DEP_1) | instskip(SKIP_2) | instid1(VALU_DEP_1)
	v_cmp_eq_u16_e64 s20, 0, v49
	s_wait_dscnt 0x0
	v_dual_lshrrev_b32 v51, 16, v48 :: v_dual_bitop2_b32 v49, 1, v50 bitop3:0x40
	v_dual_cndmask_b32 v48, 0, v48, s20 :: v_dual_bitop2_b32 v50, 1, v51 bitop3:0x40
	s_delay_alu instid0(VALU_DEP_2) | instskip(NEXT) | instid1(VALU_DEP_2)
	v_cmp_eq_u32_e64 s20, 1, v49
	v_add_nc_u16 v46, v48, v46
	s_delay_alu instid0(VALU_DEP_2)
	v_cndmask_b32_e64 v49, v50, 1, s20
.LBB992_283:
	s_or_b32 exec_lo, exec_lo, s22
	s_wait_dscnt 0x0
	s_delay_alu instid0(VALU_DEP_1) | instskip(SKIP_2) | instid1(VALU_DEP_3)
	v_and_b32_e32 v48, 0xff, v49
	v_add_nc_u32_e32 v49, -1, v47
	v_and_b32_e32 v46, 0xffff, v46
	; wave barrier
	v_lshlrev_b32_e32 v48, 16, v48
	s_delay_alu instid0(VALU_DEP_3) | instskip(NEXT) | instid1(VALU_DEP_2)
	v_cmp_gt_i32_e64 s20, 0, v49
	v_or3_b32 v45, v48, v46, v45
	s_delay_alu instid0(VALU_DEP_2) | instskip(NEXT) | instid1(VALU_DEP_1)
	v_cndmask_b32_e64 v47, v49, v47, s20
	v_lshlrev_b32_e32 v46, 2, v47
	ds_bpermute_b32 v45, v46, v45
	v_and_b32_e32 v46, 0xff0000, v43
	s_delay_alu instid0(VALU_DEP_1) | instskip(SKIP_1) | instid1(VALU_DEP_1)
	v_cmp_eq_u32_e64 s20, 0, v46
	s_wait_dscnt 0x0
	v_dual_lshrrev_b32 v47, 16, v45 :: v_dual_cndmask_b32 v45, 0, v45, s20
	v_cmp_eq_u32_e64 s20, 0, v44
	s_delay_alu instid0(VALU_DEP_2) | instskip(NEXT) | instid1(VALU_DEP_1)
	v_add_nc_u16 v43, v45, v43
	v_dual_cndmask_b32 v43, v43, v42, s2 :: v_dual_bitop2_b32 v46, 1, v47 bitop3:0x40
	s_delay_alu instid0(VALU_DEP_1) | instskip(NEXT) | instid1(VALU_DEP_1)
	v_cndmask_b32_e64 v44, 1, v46, s20
	v_cndmask_b32_e64 v3, v44, v3, s2
	ds_store_b16 v2, v43
	ds_store_b8 v2, v3 offset:2
	; wave barrier
	ds_load_u8 v44, v2 offset:6
	ds_load_u16 v45, v2 offset:4
	ds_load_u8 v46, v2 offset:10
	ds_load_u16 v47, v2 offset:8
	ds_load_u16 v48, v2 offset:12
	ds_load_u8 v49, v2 offset:14
	ds_load_u16 v50, v2 offset:16
	ds_load_u8 v51, v2 offset:18
	s_wait_dscnt 0x7
	v_cmp_eq_u16_e64 s20, 0, v44
	s_delay_alu instid0(VALU_DEP_1) | instskip(SKIP_3) | instid1(VALU_DEP_3)
	v_dual_cndmask_b32 v43, 0, v43, s20 :: v_dual_bitop2_b32 v44, 1, v44 bitop3:0x40
	s_wait_dscnt 0x5
	v_cmp_eq_u16_e64 s20, 0, v46
	v_and_b32_e32 v46, 1, v46
	v_add_nc_u16 v43, v43, v45
	s_delay_alu instid0(VALU_DEP_1) | instskip(SKIP_2) | instid1(VALU_DEP_2)
	v_cndmask_b32_e64 v45, 0, v43, s20
	s_wait_dscnt 0x2
	v_cmp_eq_u16_e64 s20, 0, v49
	v_add_nc_u16 v45, v45, v47
	ds_load_u8 v47, v2 offset:22
	ds_load_u16 v53, v2 offset:20
	ds_load_u8 v54, v2 offset:26
	ds_load_u8 v55, v2 offset:30
	v_cndmask_b32_e64 v52, 0, v45, s20
	v_cmp_eq_u32_e64 s20, 1, v44
	v_and_b32_e32 v44, 1, v49
	s_delay_alu instid0(VALU_DEP_3) | instskip(NEXT) | instid1(VALU_DEP_3)
	v_add_nc_u16 v48, v52, v48
	v_cndmask_b32_e64 v3, v3, 1, s20
	s_wait_dscnt 0x4
	v_cmp_eq_u16_e64 s20, 0, v51
	ds_load_u16 v52, v2 offset:24
	ds_load_u16 v56, v2 offset:28
	v_cndmask_b32_e64 v49, 0, v48, s20
	v_cmp_eq_u32_e64 s20, 1, v46
	s_delay_alu instid0(VALU_DEP_2) | instskip(NEXT) | instid1(VALU_DEP_2)
	v_add_nc_u16 v49, v49, v50
	v_cndmask_b32_e64 v46, v3, 1, s20
	v_cmp_eq_u32_e64 s20, 1, v44
	v_and_b32_e32 v50, 1, v51
	s_wait_dscnt 0x2
	v_and_b32_e32 v57, 1, v55
	s_delay_alu instid0(VALU_DEP_3) | instskip(SKIP_1) | instid1(VALU_DEP_1)
	v_cndmask_b32_e64 v44, v46, 1, s20
	v_cmp_eq_u16_e64 s20, 0, v47
	v_dual_cndmask_b32 v51, 0, v49, s20 :: v_dual_bitop2_b32 v47, 1, v47 bitop3:0x40
	v_cmp_eq_u32_e64 s20, 1, v50
	s_delay_alu instid0(VALU_DEP_2) | instskip(NEXT) | instid1(VALU_DEP_2)
	v_add_nc_u16 v51, v51, v53
	v_cndmask_b32_e64 v50, v44, 1, s20
	s_delay_alu instid0(VALU_DEP_4)
	v_cmp_eq_u32_e64 s20, 1, v47
	v_and_b32_e32 v53, 1, v54
	ds_store_b16 v2, v43 offset:4
	ds_store_b8 v2, v3 offset:6
	ds_store_b16 v2, v45 offset:8
	ds_store_b8 v2, v46 offset:10
	;; [unrolled: 2-line block ×4, first 2 shown]
	v_cndmask_b32_e64 v47, v50, 1, s20
	v_cmp_eq_u16_e64 s20, 0, v54
	s_delay_alu instid0(VALU_DEP_1) | instskip(SKIP_2) | instid1(VALU_DEP_2)
	v_cndmask_b32_e64 v54, 0, v51, s20
	v_cmp_eq_u32_e64 s20, 1, v53
	s_wait_dscnt 0x9
	v_add_nc_u16 v52, v54, v52
	s_delay_alu instid0(VALU_DEP_2) | instskip(SKIP_1) | instid1(VALU_DEP_1)
	v_cndmask_b32_e64 v53, v47, 1, s20
	v_cmp_eq_u32_e64 s20, 1, v57
	v_cndmask_b32_e64 v54, v53, 1, s20
	v_cmp_eq_u16_e64 s20, 0, v55
	s_delay_alu instid0(VALU_DEP_1) | instskip(SKIP_1) | instid1(VALU_DEP_1)
	v_cndmask_b32_e64 v55, 0, v52, s20
	s_wait_dscnt 0x8
	v_add_nc_u16 v3, v55, v56
	ds_store_b16 v2, v51 offset:20
	ds_store_b8 v2, v47 offset:22
	ds_store_b16 v2, v52 offset:24
	ds_store_b8 v2, v53 offset:26
	;; [unrolled: 2-line block ×3, first 2 shown]
.LBB992_284:
	s_or_b32 exec_lo, exec_lo, s21
	s_wait_dscnt 0x0
	s_barrier_signal -1
	s_barrier_wait -1
	s_and_saveexec_b32 s20, s3
	s_cbranch_execz .LBB992_286
; %bb.285:
	v_add_nc_u32_e32 v1, -1, v0
	v_cmp_gt_u32_e64 s3, 0x10000, v31
	s_delay_alu instid0(VALU_DEP_2) | instskip(NEXT) | instid1(VALU_DEP_1)
	v_lshrrev_b32_e32 v2, 3, v1
	v_and_b32_e32 v2, 0x1ffffffc, v2
	s_delay_alu instid0(VALU_DEP_1) | instskip(SKIP_4) | instid1(VALU_DEP_1)
	v_lshl_add_u32 v1, v1, 2, v2
	ds_load_u16 v1, v1
	;;#ASMSTART
	;;#ASMEND
	s_wait_dscnt 0x0
	v_cndmask_b32_e64 v1, 0, v1, s3
	v_add_nc_u32_e32 v31, v1, v31
	s_delay_alu instid0(VALU_DEP_1) | instskip(NEXT) | instid1(VALU_DEP_1)
	v_cndmask_b32_e32 v1, 0, v31, vcc_lo
	v_add_nc_u16 v1, v1, v34
	s_delay_alu instid0(VALU_DEP_1) | instskip(NEXT) | instid1(VALU_DEP_1)
	v_cndmask_b32_e64 v2, 0, v1, s0
	v_add_nc_u16 v4, v2, v33
	s_delay_alu instid0(VALU_DEP_1) | instskip(NEXT) | instid1(VALU_DEP_1)
	v_cndmask_b32_e64 v2, 0, v4, s1
	;; [unrolled: 3-line block ×18, first 2 shown]
	v_add_nc_u16 v42, v2, v11
.LBB992_286:
	s_or_b32 exec_lo, exec_lo, s20
	s_and_saveexec_b32 s0, s2
	s_cbranch_execz .LBB992_288
; %bb.287:
	v_mov_b32_e32 v11, 0
	ds_load_u8 v2, v11 offset:1050
	ds_load_u16 v3, v11 offset:1048
	s_wait_dscnt 0x1
	v_lshlrev_b32_e32 v2, 16, v2
	s_wait_dscnt 0x0
	v_and_b32_e32 v3, 0xffff, v3
	s_delay_alu instid0(VALU_DEP_1)
	v_dual_mov_b32 v3, 2 :: v_dual_bitop2_b32 v2, v2, v3 bitop3:0x54
	global_store_b64 v11, v[2:3], s[28:29] offset:256 scope:SCOPE_DEV
.LBB992_288:
	s_wait_xcnt 0x0
	s_or_b32 exec_lo, exec_lo, s0
	v_mov_b32_e32 v47, v31
	s_add_nc_u64 s[0:1], s[34:35], s[36:37]
	s_and_b32 vcc_lo, exec_lo, s31
	s_add_nc_u64 s[0:1], s[0:1], s[24:25]
	s_cbranch_vccnz .LBB992_194
.LBB992_289:
	s_mov_b32 s2, 0
                                        ; implicit-def: $vgpr16
	s_cbranch_execz .LBB992_291
; %bb.290:
	v_perm_b32 v5, v5, v4, 0x5040100
	v_perm_b32 v4, v1, v47, 0x5040100
	v_mul_i32_i24_e32 v1, 0xffffffda, v0
	s_wait_dscnt 0x0
	v_mul_u32_u24_e32 v16, 40, v0
	v_perm_b32 v3, v12, v8, 0x5040100
	v_perm_b32 v2, v7, v6, 0x5040100
	;; [unrolled: 1-line block ×3, first 2 shown]
	v_mad_u32_u24 v1, v0, 40, v1
	v_perm_b32 v6, v36, v35, 0x5040100
	v_perm_b32 v11, v15, v14, 0x5040100
	;; [unrolled: 1-line block ×5, first 2 shown]
	s_wait_storecnt 0x0
	s_barrier_signal -1
	s_barrier_wait -1
	ds_store_2addr_b64 v16, v[4:5], v[2:3] offset1:1
	ds_store_2addr_b64 v16, v[10:11], v[6:7] offset0:2 offset1:3
	ds_store_b64 v16, v[8:9] offset:32
	s_wait_dscnt 0x0
	s_barrier_signal -1
	s_barrier_wait -1
	ds_load_u16 v2, v1
	ds_load_u16 v3, v1 offset:512
	ds_load_u16 v4, v1 offset:1024
	;; [unrolled: 1-line block ×19, first 2 shown]
	s_or_b32 s2, s2, exec_lo
	s_wait_dscnt 0x13
	flat_store_b16 v0, v2, s[0:1] scale_offset
	s_wait_dscnt 0x13
	flat_store_b16 v0, v3, s[0:1] offset:512 scale_offset
	s_wait_dscnt 0x13
	flat_store_b16 v0, v4, s[0:1] offset:1024 scale_offset
	s_wait_dscnt 0x13
	flat_store_b16 v0, v5, s[0:1] offset:1536 scale_offset
	s_wait_dscnt 0x13
	flat_store_b16 v0, v6, s[0:1] offset:2048 scale_offset
	s_wait_dscnt 0x13
	flat_store_b16 v0, v7, s[0:1] offset:2560 scale_offset
	s_wait_dscnt 0x13
	flat_store_b16 v0, v8, s[0:1] offset:3072 scale_offset
	s_wait_dscnt 0x13
	flat_store_b16 v0, v9, s[0:1] offset:3584 scale_offset
	s_wait_dscnt 0x13
	flat_store_b16 v0, v10, s[0:1] offset:4096 scale_offset
	s_wait_dscnt 0x13
	flat_store_b16 v0, v11, s[0:1] offset:4608 scale_offset
	s_wait_dscnt 0x13
	flat_store_b16 v0, v12, s[0:1] offset:5120 scale_offset
	s_wait_dscnt 0x13
	flat_store_b16 v0, v13, s[0:1] offset:5632 scale_offset
	s_wait_dscnt 0x13
	flat_store_b16 v0, v14, s[0:1] offset:6144 scale_offset
	s_wait_dscnt 0x13
	flat_store_b16 v0, v15, s[0:1] offset:6656 scale_offset
	s_wait_dscnt 0x13
	flat_store_b16 v0, v17, s[0:1] offset:7168 scale_offset
	s_wait_dscnt 0x13
	flat_store_b16 v0, v18, s[0:1] offset:7680 scale_offset
	s_wait_dscnt 0x13
	flat_store_b16 v0, v19, s[0:1] offset:8192 scale_offset
	s_wait_dscnt 0x13
	flat_store_b16 v0, v20, s[0:1] offset:8704 scale_offset
	s_wait_dscnt 0x13
	flat_store_b16 v0, v21, s[0:1] offset:9216 scale_offset
.LBB992_291:
	s_wait_xcnt 0x0
	s_delay_alu instid0(VALU_DEP_1)
	s_and_saveexec_b32 s3, s2
	s_cbranch_execnz .LBB992_293
; %bb.292:
	s_endpgm
.LBB992_293:
	s_wait_dscnt 0x0
	flat_store_b16 v0, v16, s[0:1] offset:9728 scale_offset
	s_endpgm
	.section	.rodata,"a",@progbits
	.p2align	6, 0x0
	.amdhsa_kernel _ZN7rocprim17ROCPRIM_400000_NS6detail17trampoline_kernelINS0_14default_configENS1_27scan_by_key_config_selectorIssEEZZNS1_16scan_by_key_implILNS1_25lookback_scan_determinismE0ELb0ES3_N6thrust23THRUST_200600_302600_NS6detail15normal_iteratorINS9_10device_ptrIsEEEENS9_18transform_iteratorINS9_6negateIsEESE_NS9_11use_defaultESI_EESE_sNS9_4plusIvEENS9_8equal_toIvEEsEE10hipError_tPvRmT2_T3_T4_T5_mT6_T7_P12ihipStream_tbENKUlT_T0_E_clISt17integral_constantIbLb0EES13_IbLb1EEEEDaSZ_S10_EUlSZ_E_NS1_11comp_targetILNS1_3genE0ELNS1_11target_archE4294967295ELNS1_3gpuE0ELNS1_3repE0EEENS1_30default_config_static_selectorELNS0_4arch9wavefront6targetE0EEEvT1_
		.amdhsa_group_segment_fixed_size 11264
		.amdhsa_private_segment_fixed_size 0
		.amdhsa_kernarg_size 120
		.amdhsa_user_sgpr_count 2
		.amdhsa_user_sgpr_dispatch_ptr 0
		.amdhsa_user_sgpr_queue_ptr 0
		.amdhsa_user_sgpr_kernarg_segment_ptr 1
		.amdhsa_user_sgpr_dispatch_id 0
		.amdhsa_user_sgpr_kernarg_preload_length 0
		.amdhsa_user_sgpr_kernarg_preload_offset 0
		.amdhsa_user_sgpr_private_segment_size 0
		.amdhsa_wavefront_size32 1
		.amdhsa_uses_dynamic_stack 0
		.amdhsa_enable_private_segment 0
		.amdhsa_system_sgpr_workgroup_id_x 1
		.amdhsa_system_sgpr_workgroup_id_y 0
		.amdhsa_system_sgpr_workgroup_id_z 0
		.amdhsa_system_sgpr_workgroup_info 0
		.amdhsa_system_vgpr_workitem_id 0
		.amdhsa_next_free_vgpr 58
		.amdhsa_next_free_sgpr 51
		.amdhsa_named_barrier_count 0
		.amdhsa_reserve_vcc 1
		.amdhsa_float_round_mode_32 0
		.amdhsa_float_round_mode_16_64 0
		.amdhsa_float_denorm_mode_32 3
		.amdhsa_float_denorm_mode_16_64 3
		.amdhsa_fp16_overflow 0
		.amdhsa_memory_ordered 1
		.amdhsa_forward_progress 1
		.amdhsa_inst_pref_size 150
		.amdhsa_round_robin_scheduling 0
		.amdhsa_exception_fp_ieee_invalid_op 0
		.amdhsa_exception_fp_denorm_src 0
		.amdhsa_exception_fp_ieee_div_zero 0
		.amdhsa_exception_fp_ieee_overflow 0
		.amdhsa_exception_fp_ieee_underflow 0
		.amdhsa_exception_fp_ieee_inexact 0
		.amdhsa_exception_int_div_zero 0
	.end_amdhsa_kernel
	.section	.text._ZN7rocprim17ROCPRIM_400000_NS6detail17trampoline_kernelINS0_14default_configENS1_27scan_by_key_config_selectorIssEEZZNS1_16scan_by_key_implILNS1_25lookback_scan_determinismE0ELb0ES3_N6thrust23THRUST_200600_302600_NS6detail15normal_iteratorINS9_10device_ptrIsEEEENS9_18transform_iteratorINS9_6negateIsEESE_NS9_11use_defaultESI_EESE_sNS9_4plusIvEENS9_8equal_toIvEEsEE10hipError_tPvRmT2_T3_T4_T5_mT6_T7_P12ihipStream_tbENKUlT_T0_E_clISt17integral_constantIbLb0EES13_IbLb1EEEEDaSZ_S10_EUlSZ_E_NS1_11comp_targetILNS1_3genE0ELNS1_11target_archE4294967295ELNS1_3gpuE0ELNS1_3repE0EEENS1_30default_config_static_selectorELNS0_4arch9wavefront6targetE0EEEvT1_,"axG",@progbits,_ZN7rocprim17ROCPRIM_400000_NS6detail17trampoline_kernelINS0_14default_configENS1_27scan_by_key_config_selectorIssEEZZNS1_16scan_by_key_implILNS1_25lookback_scan_determinismE0ELb0ES3_N6thrust23THRUST_200600_302600_NS6detail15normal_iteratorINS9_10device_ptrIsEEEENS9_18transform_iteratorINS9_6negateIsEESE_NS9_11use_defaultESI_EESE_sNS9_4plusIvEENS9_8equal_toIvEEsEE10hipError_tPvRmT2_T3_T4_T5_mT6_T7_P12ihipStream_tbENKUlT_T0_E_clISt17integral_constantIbLb0EES13_IbLb1EEEEDaSZ_S10_EUlSZ_E_NS1_11comp_targetILNS1_3genE0ELNS1_11target_archE4294967295ELNS1_3gpuE0ELNS1_3repE0EEENS1_30default_config_static_selectorELNS0_4arch9wavefront6targetE0EEEvT1_,comdat
.Lfunc_end992:
	.size	_ZN7rocprim17ROCPRIM_400000_NS6detail17trampoline_kernelINS0_14default_configENS1_27scan_by_key_config_selectorIssEEZZNS1_16scan_by_key_implILNS1_25lookback_scan_determinismE0ELb0ES3_N6thrust23THRUST_200600_302600_NS6detail15normal_iteratorINS9_10device_ptrIsEEEENS9_18transform_iteratorINS9_6negateIsEESE_NS9_11use_defaultESI_EESE_sNS9_4plusIvEENS9_8equal_toIvEEsEE10hipError_tPvRmT2_T3_T4_T5_mT6_T7_P12ihipStream_tbENKUlT_T0_E_clISt17integral_constantIbLb0EES13_IbLb1EEEEDaSZ_S10_EUlSZ_E_NS1_11comp_targetILNS1_3genE0ELNS1_11target_archE4294967295ELNS1_3gpuE0ELNS1_3repE0EEENS1_30default_config_static_selectorELNS0_4arch9wavefront6targetE0EEEvT1_, .Lfunc_end992-_ZN7rocprim17ROCPRIM_400000_NS6detail17trampoline_kernelINS0_14default_configENS1_27scan_by_key_config_selectorIssEEZZNS1_16scan_by_key_implILNS1_25lookback_scan_determinismE0ELb0ES3_N6thrust23THRUST_200600_302600_NS6detail15normal_iteratorINS9_10device_ptrIsEEEENS9_18transform_iteratorINS9_6negateIsEESE_NS9_11use_defaultESI_EESE_sNS9_4plusIvEENS9_8equal_toIvEEsEE10hipError_tPvRmT2_T3_T4_T5_mT6_T7_P12ihipStream_tbENKUlT_T0_E_clISt17integral_constantIbLb0EES13_IbLb1EEEEDaSZ_S10_EUlSZ_E_NS1_11comp_targetILNS1_3genE0ELNS1_11target_archE4294967295ELNS1_3gpuE0ELNS1_3repE0EEENS1_30default_config_static_selectorELNS0_4arch9wavefront6targetE0EEEvT1_
                                        ; -- End function
	.set _ZN7rocprim17ROCPRIM_400000_NS6detail17trampoline_kernelINS0_14default_configENS1_27scan_by_key_config_selectorIssEEZZNS1_16scan_by_key_implILNS1_25lookback_scan_determinismE0ELb0ES3_N6thrust23THRUST_200600_302600_NS6detail15normal_iteratorINS9_10device_ptrIsEEEENS9_18transform_iteratorINS9_6negateIsEESE_NS9_11use_defaultESI_EESE_sNS9_4plusIvEENS9_8equal_toIvEEsEE10hipError_tPvRmT2_T3_T4_T5_mT6_T7_P12ihipStream_tbENKUlT_T0_E_clISt17integral_constantIbLb0EES13_IbLb1EEEEDaSZ_S10_EUlSZ_E_NS1_11comp_targetILNS1_3genE0ELNS1_11target_archE4294967295ELNS1_3gpuE0ELNS1_3repE0EEENS1_30default_config_static_selectorELNS0_4arch9wavefront6targetE0EEEvT1_.num_vgpr, 58
	.set _ZN7rocprim17ROCPRIM_400000_NS6detail17trampoline_kernelINS0_14default_configENS1_27scan_by_key_config_selectorIssEEZZNS1_16scan_by_key_implILNS1_25lookback_scan_determinismE0ELb0ES3_N6thrust23THRUST_200600_302600_NS6detail15normal_iteratorINS9_10device_ptrIsEEEENS9_18transform_iteratorINS9_6negateIsEESE_NS9_11use_defaultESI_EESE_sNS9_4plusIvEENS9_8equal_toIvEEsEE10hipError_tPvRmT2_T3_T4_T5_mT6_T7_P12ihipStream_tbENKUlT_T0_E_clISt17integral_constantIbLb0EES13_IbLb1EEEEDaSZ_S10_EUlSZ_E_NS1_11comp_targetILNS1_3genE0ELNS1_11target_archE4294967295ELNS1_3gpuE0ELNS1_3repE0EEENS1_30default_config_static_selectorELNS0_4arch9wavefront6targetE0EEEvT1_.num_agpr, 0
	.set _ZN7rocprim17ROCPRIM_400000_NS6detail17trampoline_kernelINS0_14default_configENS1_27scan_by_key_config_selectorIssEEZZNS1_16scan_by_key_implILNS1_25lookback_scan_determinismE0ELb0ES3_N6thrust23THRUST_200600_302600_NS6detail15normal_iteratorINS9_10device_ptrIsEEEENS9_18transform_iteratorINS9_6negateIsEESE_NS9_11use_defaultESI_EESE_sNS9_4plusIvEENS9_8equal_toIvEEsEE10hipError_tPvRmT2_T3_T4_T5_mT6_T7_P12ihipStream_tbENKUlT_T0_E_clISt17integral_constantIbLb0EES13_IbLb1EEEEDaSZ_S10_EUlSZ_E_NS1_11comp_targetILNS1_3genE0ELNS1_11target_archE4294967295ELNS1_3gpuE0ELNS1_3repE0EEENS1_30default_config_static_selectorELNS0_4arch9wavefront6targetE0EEEvT1_.numbered_sgpr, 51
	.set _ZN7rocprim17ROCPRIM_400000_NS6detail17trampoline_kernelINS0_14default_configENS1_27scan_by_key_config_selectorIssEEZZNS1_16scan_by_key_implILNS1_25lookback_scan_determinismE0ELb0ES3_N6thrust23THRUST_200600_302600_NS6detail15normal_iteratorINS9_10device_ptrIsEEEENS9_18transform_iteratorINS9_6negateIsEESE_NS9_11use_defaultESI_EESE_sNS9_4plusIvEENS9_8equal_toIvEEsEE10hipError_tPvRmT2_T3_T4_T5_mT6_T7_P12ihipStream_tbENKUlT_T0_E_clISt17integral_constantIbLb0EES13_IbLb1EEEEDaSZ_S10_EUlSZ_E_NS1_11comp_targetILNS1_3genE0ELNS1_11target_archE4294967295ELNS1_3gpuE0ELNS1_3repE0EEENS1_30default_config_static_selectorELNS0_4arch9wavefront6targetE0EEEvT1_.num_named_barrier, 0
	.set _ZN7rocprim17ROCPRIM_400000_NS6detail17trampoline_kernelINS0_14default_configENS1_27scan_by_key_config_selectorIssEEZZNS1_16scan_by_key_implILNS1_25lookback_scan_determinismE0ELb0ES3_N6thrust23THRUST_200600_302600_NS6detail15normal_iteratorINS9_10device_ptrIsEEEENS9_18transform_iteratorINS9_6negateIsEESE_NS9_11use_defaultESI_EESE_sNS9_4plusIvEENS9_8equal_toIvEEsEE10hipError_tPvRmT2_T3_T4_T5_mT6_T7_P12ihipStream_tbENKUlT_T0_E_clISt17integral_constantIbLb0EES13_IbLb1EEEEDaSZ_S10_EUlSZ_E_NS1_11comp_targetILNS1_3genE0ELNS1_11target_archE4294967295ELNS1_3gpuE0ELNS1_3repE0EEENS1_30default_config_static_selectorELNS0_4arch9wavefront6targetE0EEEvT1_.private_seg_size, 0
	.set _ZN7rocprim17ROCPRIM_400000_NS6detail17trampoline_kernelINS0_14default_configENS1_27scan_by_key_config_selectorIssEEZZNS1_16scan_by_key_implILNS1_25lookback_scan_determinismE0ELb0ES3_N6thrust23THRUST_200600_302600_NS6detail15normal_iteratorINS9_10device_ptrIsEEEENS9_18transform_iteratorINS9_6negateIsEESE_NS9_11use_defaultESI_EESE_sNS9_4plusIvEENS9_8equal_toIvEEsEE10hipError_tPvRmT2_T3_T4_T5_mT6_T7_P12ihipStream_tbENKUlT_T0_E_clISt17integral_constantIbLb0EES13_IbLb1EEEEDaSZ_S10_EUlSZ_E_NS1_11comp_targetILNS1_3genE0ELNS1_11target_archE4294967295ELNS1_3gpuE0ELNS1_3repE0EEENS1_30default_config_static_selectorELNS0_4arch9wavefront6targetE0EEEvT1_.uses_vcc, 1
	.set _ZN7rocprim17ROCPRIM_400000_NS6detail17trampoline_kernelINS0_14default_configENS1_27scan_by_key_config_selectorIssEEZZNS1_16scan_by_key_implILNS1_25lookback_scan_determinismE0ELb0ES3_N6thrust23THRUST_200600_302600_NS6detail15normal_iteratorINS9_10device_ptrIsEEEENS9_18transform_iteratorINS9_6negateIsEESE_NS9_11use_defaultESI_EESE_sNS9_4plusIvEENS9_8equal_toIvEEsEE10hipError_tPvRmT2_T3_T4_T5_mT6_T7_P12ihipStream_tbENKUlT_T0_E_clISt17integral_constantIbLb0EES13_IbLb1EEEEDaSZ_S10_EUlSZ_E_NS1_11comp_targetILNS1_3genE0ELNS1_11target_archE4294967295ELNS1_3gpuE0ELNS1_3repE0EEENS1_30default_config_static_selectorELNS0_4arch9wavefront6targetE0EEEvT1_.uses_flat_scratch, 1
	.set _ZN7rocprim17ROCPRIM_400000_NS6detail17trampoline_kernelINS0_14default_configENS1_27scan_by_key_config_selectorIssEEZZNS1_16scan_by_key_implILNS1_25lookback_scan_determinismE0ELb0ES3_N6thrust23THRUST_200600_302600_NS6detail15normal_iteratorINS9_10device_ptrIsEEEENS9_18transform_iteratorINS9_6negateIsEESE_NS9_11use_defaultESI_EESE_sNS9_4plusIvEENS9_8equal_toIvEEsEE10hipError_tPvRmT2_T3_T4_T5_mT6_T7_P12ihipStream_tbENKUlT_T0_E_clISt17integral_constantIbLb0EES13_IbLb1EEEEDaSZ_S10_EUlSZ_E_NS1_11comp_targetILNS1_3genE0ELNS1_11target_archE4294967295ELNS1_3gpuE0ELNS1_3repE0EEENS1_30default_config_static_selectorELNS0_4arch9wavefront6targetE0EEEvT1_.has_dyn_sized_stack, 0
	.set _ZN7rocprim17ROCPRIM_400000_NS6detail17trampoline_kernelINS0_14default_configENS1_27scan_by_key_config_selectorIssEEZZNS1_16scan_by_key_implILNS1_25lookback_scan_determinismE0ELb0ES3_N6thrust23THRUST_200600_302600_NS6detail15normal_iteratorINS9_10device_ptrIsEEEENS9_18transform_iteratorINS9_6negateIsEESE_NS9_11use_defaultESI_EESE_sNS9_4plusIvEENS9_8equal_toIvEEsEE10hipError_tPvRmT2_T3_T4_T5_mT6_T7_P12ihipStream_tbENKUlT_T0_E_clISt17integral_constantIbLb0EES13_IbLb1EEEEDaSZ_S10_EUlSZ_E_NS1_11comp_targetILNS1_3genE0ELNS1_11target_archE4294967295ELNS1_3gpuE0ELNS1_3repE0EEENS1_30default_config_static_selectorELNS0_4arch9wavefront6targetE0EEEvT1_.has_recursion, 0
	.set _ZN7rocprim17ROCPRIM_400000_NS6detail17trampoline_kernelINS0_14default_configENS1_27scan_by_key_config_selectorIssEEZZNS1_16scan_by_key_implILNS1_25lookback_scan_determinismE0ELb0ES3_N6thrust23THRUST_200600_302600_NS6detail15normal_iteratorINS9_10device_ptrIsEEEENS9_18transform_iteratorINS9_6negateIsEESE_NS9_11use_defaultESI_EESE_sNS9_4plusIvEENS9_8equal_toIvEEsEE10hipError_tPvRmT2_T3_T4_T5_mT6_T7_P12ihipStream_tbENKUlT_T0_E_clISt17integral_constantIbLb0EES13_IbLb1EEEEDaSZ_S10_EUlSZ_E_NS1_11comp_targetILNS1_3genE0ELNS1_11target_archE4294967295ELNS1_3gpuE0ELNS1_3repE0EEENS1_30default_config_static_selectorELNS0_4arch9wavefront6targetE0EEEvT1_.has_indirect_call, 0
	.section	.AMDGPU.csdata,"",@progbits
; Kernel info:
; codeLenInByte = 19124
; TotalNumSgprs: 53
; NumVgprs: 58
; ScratchSize: 0
; MemoryBound: 0
; FloatMode: 240
; IeeeMode: 1
; LDSByteSize: 11264 bytes/workgroup (compile time only)
; SGPRBlocks: 0
; VGPRBlocks: 3
; NumSGPRsForWavesPerEU: 53
; NumVGPRsForWavesPerEU: 58
; NamedBarCnt: 0
; Occupancy: 16
; WaveLimiterHint : 1
; COMPUTE_PGM_RSRC2:SCRATCH_EN: 0
; COMPUTE_PGM_RSRC2:USER_SGPR: 2
; COMPUTE_PGM_RSRC2:TRAP_HANDLER: 0
; COMPUTE_PGM_RSRC2:TGID_X_EN: 1
; COMPUTE_PGM_RSRC2:TGID_Y_EN: 0
; COMPUTE_PGM_RSRC2:TGID_Z_EN: 0
; COMPUTE_PGM_RSRC2:TIDIG_COMP_CNT: 0
	.section	.text._ZN7rocprim17ROCPRIM_400000_NS6detail17trampoline_kernelINS0_14default_configENS1_27scan_by_key_config_selectorIssEEZZNS1_16scan_by_key_implILNS1_25lookback_scan_determinismE0ELb0ES3_N6thrust23THRUST_200600_302600_NS6detail15normal_iteratorINS9_10device_ptrIsEEEENS9_18transform_iteratorINS9_6negateIsEESE_NS9_11use_defaultESI_EESE_sNS9_4plusIvEENS9_8equal_toIvEEsEE10hipError_tPvRmT2_T3_T4_T5_mT6_T7_P12ihipStream_tbENKUlT_T0_E_clISt17integral_constantIbLb0EES13_IbLb1EEEEDaSZ_S10_EUlSZ_E_NS1_11comp_targetILNS1_3genE10ELNS1_11target_archE1201ELNS1_3gpuE5ELNS1_3repE0EEENS1_30default_config_static_selectorELNS0_4arch9wavefront6targetE0EEEvT1_,"axG",@progbits,_ZN7rocprim17ROCPRIM_400000_NS6detail17trampoline_kernelINS0_14default_configENS1_27scan_by_key_config_selectorIssEEZZNS1_16scan_by_key_implILNS1_25lookback_scan_determinismE0ELb0ES3_N6thrust23THRUST_200600_302600_NS6detail15normal_iteratorINS9_10device_ptrIsEEEENS9_18transform_iteratorINS9_6negateIsEESE_NS9_11use_defaultESI_EESE_sNS9_4plusIvEENS9_8equal_toIvEEsEE10hipError_tPvRmT2_T3_T4_T5_mT6_T7_P12ihipStream_tbENKUlT_T0_E_clISt17integral_constantIbLb0EES13_IbLb1EEEEDaSZ_S10_EUlSZ_E_NS1_11comp_targetILNS1_3genE10ELNS1_11target_archE1201ELNS1_3gpuE5ELNS1_3repE0EEENS1_30default_config_static_selectorELNS0_4arch9wavefront6targetE0EEEvT1_,comdat
	.protected	_ZN7rocprim17ROCPRIM_400000_NS6detail17trampoline_kernelINS0_14default_configENS1_27scan_by_key_config_selectorIssEEZZNS1_16scan_by_key_implILNS1_25lookback_scan_determinismE0ELb0ES3_N6thrust23THRUST_200600_302600_NS6detail15normal_iteratorINS9_10device_ptrIsEEEENS9_18transform_iteratorINS9_6negateIsEESE_NS9_11use_defaultESI_EESE_sNS9_4plusIvEENS9_8equal_toIvEEsEE10hipError_tPvRmT2_T3_T4_T5_mT6_T7_P12ihipStream_tbENKUlT_T0_E_clISt17integral_constantIbLb0EES13_IbLb1EEEEDaSZ_S10_EUlSZ_E_NS1_11comp_targetILNS1_3genE10ELNS1_11target_archE1201ELNS1_3gpuE5ELNS1_3repE0EEENS1_30default_config_static_selectorELNS0_4arch9wavefront6targetE0EEEvT1_ ; -- Begin function _ZN7rocprim17ROCPRIM_400000_NS6detail17trampoline_kernelINS0_14default_configENS1_27scan_by_key_config_selectorIssEEZZNS1_16scan_by_key_implILNS1_25lookback_scan_determinismE0ELb0ES3_N6thrust23THRUST_200600_302600_NS6detail15normal_iteratorINS9_10device_ptrIsEEEENS9_18transform_iteratorINS9_6negateIsEESE_NS9_11use_defaultESI_EESE_sNS9_4plusIvEENS9_8equal_toIvEEsEE10hipError_tPvRmT2_T3_T4_T5_mT6_T7_P12ihipStream_tbENKUlT_T0_E_clISt17integral_constantIbLb0EES13_IbLb1EEEEDaSZ_S10_EUlSZ_E_NS1_11comp_targetILNS1_3genE10ELNS1_11target_archE1201ELNS1_3gpuE5ELNS1_3repE0EEENS1_30default_config_static_selectorELNS0_4arch9wavefront6targetE0EEEvT1_
	.globl	_ZN7rocprim17ROCPRIM_400000_NS6detail17trampoline_kernelINS0_14default_configENS1_27scan_by_key_config_selectorIssEEZZNS1_16scan_by_key_implILNS1_25lookback_scan_determinismE0ELb0ES3_N6thrust23THRUST_200600_302600_NS6detail15normal_iteratorINS9_10device_ptrIsEEEENS9_18transform_iteratorINS9_6negateIsEESE_NS9_11use_defaultESI_EESE_sNS9_4plusIvEENS9_8equal_toIvEEsEE10hipError_tPvRmT2_T3_T4_T5_mT6_T7_P12ihipStream_tbENKUlT_T0_E_clISt17integral_constantIbLb0EES13_IbLb1EEEEDaSZ_S10_EUlSZ_E_NS1_11comp_targetILNS1_3genE10ELNS1_11target_archE1201ELNS1_3gpuE5ELNS1_3repE0EEENS1_30default_config_static_selectorELNS0_4arch9wavefront6targetE0EEEvT1_
	.p2align	8
	.type	_ZN7rocprim17ROCPRIM_400000_NS6detail17trampoline_kernelINS0_14default_configENS1_27scan_by_key_config_selectorIssEEZZNS1_16scan_by_key_implILNS1_25lookback_scan_determinismE0ELb0ES3_N6thrust23THRUST_200600_302600_NS6detail15normal_iteratorINS9_10device_ptrIsEEEENS9_18transform_iteratorINS9_6negateIsEESE_NS9_11use_defaultESI_EESE_sNS9_4plusIvEENS9_8equal_toIvEEsEE10hipError_tPvRmT2_T3_T4_T5_mT6_T7_P12ihipStream_tbENKUlT_T0_E_clISt17integral_constantIbLb0EES13_IbLb1EEEEDaSZ_S10_EUlSZ_E_NS1_11comp_targetILNS1_3genE10ELNS1_11target_archE1201ELNS1_3gpuE5ELNS1_3repE0EEENS1_30default_config_static_selectorELNS0_4arch9wavefront6targetE0EEEvT1_,@function
_ZN7rocprim17ROCPRIM_400000_NS6detail17trampoline_kernelINS0_14default_configENS1_27scan_by_key_config_selectorIssEEZZNS1_16scan_by_key_implILNS1_25lookback_scan_determinismE0ELb0ES3_N6thrust23THRUST_200600_302600_NS6detail15normal_iteratorINS9_10device_ptrIsEEEENS9_18transform_iteratorINS9_6negateIsEESE_NS9_11use_defaultESI_EESE_sNS9_4plusIvEENS9_8equal_toIvEEsEE10hipError_tPvRmT2_T3_T4_T5_mT6_T7_P12ihipStream_tbENKUlT_T0_E_clISt17integral_constantIbLb0EES13_IbLb1EEEEDaSZ_S10_EUlSZ_E_NS1_11comp_targetILNS1_3genE10ELNS1_11target_archE1201ELNS1_3gpuE5ELNS1_3repE0EEENS1_30default_config_static_selectorELNS0_4arch9wavefront6targetE0EEEvT1_: ; @_ZN7rocprim17ROCPRIM_400000_NS6detail17trampoline_kernelINS0_14default_configENS1_27scan_by_key_config_selectorIssEEZZNS1_16scan_by_key_implILNS1_25lookback_scan_determinismE0ELb0ES3_N6thrust23THRUST_200600_302600_NS6detail15normal_iteratorINS9_10device_ptrIsEEEENS9_18transform_iteratorINS9_6negateIsEESE_NS9_11use_defaultESI_EESE_sNS9_4plusIvEENS9_8equal_toIvEEsEE10hipError_tPvRmT2_T3_T4_T5_mT6_T7_P12ihipStream_tbENKUlT_T0_E_clISt17integral_constantIbLb0EES13_IbLb1EEEEDaSZ_S10_EUlSZ_E_NS1_11comp_targetILNS1_3genE10ELNS1_11target_archE1201ELNS1_3gpuE5ELNS1_3repE0EEENS1_30default_config_static_selectorELNS0_4arch9wavefront6targetE0EEEvT1_
; %bb.0:
	.section	.rodata,"a",@progbits
	.p2align	6, 0x0
	.amdhsa_kernel _ZN7rocprim17ROCPRIM_400000_NS6detail17trampoline_kernelINS0_14default_configENS1_27scan_by_key_config_selectorIssEEZZNS1_16scan_by_key_implILNS1_25lookback_scan_determinismE0ELb0ES3_N6thrust23THRUST_200600_302600_NS6detail15normal_iteratorINS9_10device_ptrIsEEEENS9_18transform_iteratorINS9_6negateIsEESE_NS9_11use_defaultESI_EESE_sNS9_4plusIvEENS9_8equal_toIvEEsEE10hipError_tPvRmT2_T3_T4_T5_mT6_T7_P12ihipStream_tbENKUlT_T0_E_clISt17integral_constantIbLb0EES13_IbLb1EEEEDaSZ_S10_EUlSZ_E_NS1_11comp_targetILNS1_3genE10ELNS1_11target_archE1201ELNS1_3gpuE5ELNS1_3repE0EEENS1_30default_config_static_selectorELNS0_4arch9wavefront6targetE0EEEvT1_
		.amdhsa_group_segment_fixed_size 0
		.amdhsa_private_segment_fixed_size 0
		.amdhsa_kernarg_size 120
		.amdhsa_user_sgpr_count 2
		.amdhsa_user_sgpr_dispatch_ptr 0
		.amdhsa_user_sgpr_queue_ptr 0
		.amdhsa_user_sgpr_kernarg_segment_ptr 1
		.amdhsa_user_sgpr_dispatch_id 0
		.amdhsa_user_sgpr_kernarg_preload_length 0
		.amdhsa_user_sgpr_kernarg_preload_offset 0
		.amdhsa_user_sgpr_private_segment_size 0
		.amdhsa_wavefront_size32 1
		.amdhsa_uses_dynamic_stack 0
		.amdhsa_enable_private_segment 0
		.amdhsa_system_sgpr_workgroup_id_x 1
		.amdhsa_system_sgpr_workgroup_id_y 0
		.amdhsa_system_sgpr_workgroup_id_z 0
		.amdhsa_system_sgpr_workgroup_info 0
		.amdhsa_system_vgpr_workitem_id 0
		.amdhsa_next_free_vgpr 1
		.amdhsa_next_free_sgpr 1
		.amdhsa_named_barrier_count 0
		.amdhsa_reserve_vcc 0
		.amdhsa_float_round_mode_32 0
		.amdhsa_float_round_mode_16_64 0
		.amdhsa_float_denorm_mode_32 3
		.amdhsa_float_denorm_mode_16_64 3
		.amdhsa_fp16_overflow 0
		.amdhsa_memory_ordered 1
		.amdhsa_forward_progress 1
		.amdhsa_inst_pref_size 0
		.amdhsa_round_robin_scheduling 0
		.amdhsa_exception_fp_ieee_invalid_op 0
		.amdhsa_exception_fp_denorm_src 0
		.amdhsa_exception_fp_ieee_div_zero 0
		.amdhsa_exception_fp_ieee_overflow 0
		.amdhsa_exception_fp_ieee_underflow 0
		.amdhsa_exception_fp_ieee_inexact 0
		.amdhsa_exception_int_div_zero 0
	.end_amdhsa_kernel
	.section	.text._ZN7rocprim17ROCPRIM_400000_NS6detail17trampoline_kernelINS0_14default_configENS1_27scan_by_key_config_selectorIssEEZZNS1_16scan_by_key_implILNS1_25lookback_scan_determinismE0ELb0ES3_N6thrust23THRUST_200600_302600_NS6detail15normal_iteratorINS9_10device_ptrIsEEEENS9_18transform_iteratorINS9_6negateIsEESE_NS9_11use_defaultESI_EESE_sNS9_4plusIvEENS9_8equal_toIvEEsEE10hipError_tPvRmT2_T3_T4_T5_mT6_T7_P12ihipStream_tbENKUlT_T0_E_clISt17integral_constantIbLb0EES13_IbLb1EEEEDaSZ_S10_EUlSZ_E_NS1_11comp_targetILNS1_3genE10ELNS1_11target_archE1201ELNS1_3gpuE5ELNS1_3repE0EEENS1_30default_config_static_selectorELNS0_4arch9wavefront6targetE0EEEvT1_,"axG",@progbits,_ZN7rocprim17ROCPRIM_400000_NS6detail17trampoline_kernelINS0_14default_configENS1_27scan_by_key_config_selectorIssEEZZNS1_16scan_by_key_implILNS1_25lookback_scan_determinismE0ELb0ES3_N6thrust23THRUST_200600_302600_NS6detail15normal_iteratorINS9_10device_ptrIsEEEENS9_18transform_iteratorINS9_6negateIsEESE_NS9_11use_defaultESI_EESE_sNS9_4plusIvEENS9_8equal_toIvEEsEE10hipError_tPvRmT2_T3_T4_T5_mT6_T7_P12ihipStream_tbENKUlT_T0_E_clISt17integral_constantIbLb0EES13_IbLb1EEEEDaSZ_S10_EUlSZ_E_NS1_11comp_targetILNS1_3genE10ELNS1_11target_archE1201ELNS1_3gpuE5ELNS1_3repE0EEENS1_30default_config_static_selectorELNS0_4arch9wavefront6targetE0EEEvT1_,comdat
.Lfunc_end993:
	.size	_ZN7rocprim17ROCPRIM_400000_NS6detail17trampoline_kernelINS0_14default_configENS1_27scan_by_key_config_selectorIssEEZZNS1_16scan_by_key_implILNS1_25lookback_scan_determinismE0ELb0ES3_N6thrust23THRUST_200600_302600_NS6detail15normal_iteratorINS9_10device_ptrIsEEEENS9_18transform_iteratorINS9_6negateIsEESE_NS9_11use_defaultESI_EESE_sNS9_4plusIvEENS9_8equal_toIvEEsEE10hipError_tPvRmT2_T3_T4_T5_mT6_T7_P12ihipStream_tbENKUlT_T0_E_clISt17integral_constantIbLb0EES13_IbLb1EEEEDaSZ_S10_EUlSZ_E_NS1_11comp_targetILNS1_3genE10ELNS1_11target_archE1201ELNS1_3gpuE5ELNS1_3repE0EEENS1_30default_config_static_selectorELNS0_4arch9wavefront6targetE0EEEvT1_, .Lfunc_end993-_ZN7rocprim17ROCPRIM_400000_NS6detail17trampoline_kernelINS0_14default_configENS1_27scan_by_key_config_selectorIssEEZZNS1_16scan_by_key_implILNS1_25lookback_scan_determinismE0ELb0ES3_N6thrust23THRUST_200600_302600_NS6detail15normal_iteratorINS9_10device_ptrIsEEEENS9_18transform_iteratorINS9_6negateIsEESE_NS9_11use_defaultESI_EESE_sNS9_4plusIvEENS9_8equal_toIvEEsEE10hipError_tPvRmT2_T3_T4_T5_mT6_T7_P12ihipStream_tbENKUlT_T0_E_clISt17integral_constantIbLb0EES13_IbLb1EEEEDaSZ_S10_EUlSZ_E_NS1_11comp_targetILNS1_3genE10ELNS1_11target_archE1201ELNS1_3gpuE5ELNS1_3repE0EEENS1_30default_config_static_selectorELNS0_4arch9wavefront6targetE0EEEvT1_
                                        ; -- End function
	.set _ZN7rocprim17ROCPRIM_400000_NS6detail17trampoline_kernelINS0_14default_configENS1_27scan_by_key_config_selectorIssEEZZNS1_16scan_by_key_implILNS1_25lookback_scan_determinismE0ELb0ES3_N6thrust23THRUST_200600_302600_NS6detail15normal_iteratorINS9_10device_ptrIsEEEENS9_18transform_iteratorINS9_6negateIsEESE_NS9_11use_defaultESI_EESE_sNS9_4plusIvEENS9_8equal_toIvEEsEE10hipError_tPvRmT2_T3_T4_T5_mT6_T7_P12ihipStream_tbENKUlT_T0_E_clISt17integral_constantIbLb0EES13_IbLb1EEEEDaSZ_S10_EUlSZ_E_NS1_11comp_targetILNS1_3genE10ELNS1_11target_archE1201ELNS1_3gpuE5ELNS1_3repE0EEENS1_30default_config_static_selectorELNS0_4arch9wavefront6targetE0EEEvT1_.num_vgpr, 0
	.set _ZN7rocprim17ROCPRIM_400000_NS6detail17trampoline_kernelINS0_14default_configENS1_27scan_by_key_config_selectorIssEEZZNS1_16scan_by_key_implILNS1_25lookback_scan_determinismE0ELb0ES3_N6thrust23THRUST_200600_302600_NS6detail15normal_iteratorINS9_10device_ptrIsEEEENS9_18transform_iteratorINS9_6negateIsEESE_NS9_11use_defaultESI_EESE_sNS9_4plusIvEENS9_8equal_toIvEEsEE10hipError_tPvRmT2_T3_T4_T5_mT6_T7_P12ihipStream_tbENKUlT_T0_E_clISt17integral_constantIbLb0EES13_IbLb1EEEEDaSZ_S10_EUlSZ_E_NS1_11comp_targetILNS1_3genE10ELNS1_11target_archE1201ELNS1_3gpuE5ELNS1_3repE0EEENS1_30default_config_static_selectorELNS0_4arch9wavefront6targetE0EEEvT1_.num_agpr, 0
	.set _ZN7rocprim17ROCPRIM_400000_NS6detail17trampoline_kernelINS0_14default_configENS1_27scan_by_key_config_selectorIssEEZZNS1_16scan_by_key_implILNS1_25lookback_scan_determinismE0ELb0ES3_N6thrust23THRUST_200600_302600_NS6detail15normal_iteratorINS9_10device_ptrIsEEEENS9_18transform_iteratorINS9_6negateIsEESE_NS9_11use_defaultESI_EESE_sNS9_4plusIvEENS9_8equal_toIvEEsEE10hipError_tPvRmT2_T3_T4_T5_mT6_T7_P12ihipStream_tbENKUlT_T0_E_clISt17integral_constantIbLb0EES13_IbLb1EEEEDaSZ_S10_EUlSZ_E_NS1_11comp_targetILNS1_3genE10ELNS1_11target_archE1201ELNS1_3gpuE5ELNS1_3repE0EEENS1_30default_config_static_selectorELNS0_4arch9wavefront6targetE0EEEvT1_.numbered_sgpr, 0
	.set _ZN7rocprim17ROCPRIM_400000_NS6detail17trampoline_kernelINS0_14default_configENS1_27scan_by_key_config_selectorIssEEZZNS1_16scan_by_key_implILNS1_25lookback_scan_determinismE0ELb0ES3_N6thrust23THRUST_200600_302600_NS6detail15normal_iteratorINS9_10device_ptrIsEEEENS9_18transform_iteratorINS9_6negateIsEESE_NS9_11use_defaultESI_EESE_sNS9_4plusIvEENS9_8equal_toIvEEsEE10hipError_tPvRmT2_T3_T4_T5_mT6_T7_P12ihipStream_tbENKUlT_T0_E_clISt17integral_constantIbLb0EES13_IbLb1EEEEDaSZ_S10_EUlSZ_E_NS1_11comp_targetILNS1_3genE10ELNS1_11target_archE1201ELNS1_3gpuE5ELNS1_3repE0EEENS1_30default_config_static_selectorELNS0_4arch9wavefront6targetE0EEEvT1_.num_named_barrier, 0
	.set _ZN7rocprim17ROCPRIM_400000_NS6detail17trampoline_kernelINS0_14default_configENS1_27scan_by_key_config_selectorIssEEZZNS1_16scan_by_key_implILNS1_25lookback_scan_determinismE0ELb0ES3_N6thrust23THRUST_200600_302600_NS6detail15normal_iteratorINS9_10device_ptrIsEEEENS9_18transform_iteratorINS9_6negateIsEESE_NS9_11use_defaultESI_EESE_sNS9_4plusIvEENS9_8equal_toIvEEsEE10hipError_tPvRmT2_T3_T4_T5_mT6_T7_P12ihipStream_tbENKUlT_T0_E_clISt17integral_constantIbLb0EES13_IbLb1EEEEDaSZ_S10_EUlSZ_E_NS1_11comp_targetILNS1_3genE10ELNS1_11target_archE1201ELNS1_3gpuE5ELNS1_3repE0EEENS1_30default_config_static_selectorELNS0_4arch9wavefront6targetE0EEEvT1_.private_seg_size, 0
	.set _ZN7rocprim17ROCPRIM_400000_NS6detail17trampoline_kernelINS0_14default_configENS1_27scan_by_key_config_selectorIssEEZZNS1_16scan_by_key_implILNS1_25lookback_scan_determinismE0ELb0ES3_N6thrust23THRUST_200600_302600_NS6detail15normal_iteratorINS9_10device_ptrIsEEEENS9_18transform_iteratorINS9_6negateIsEESE_NS9_11use_defaultESI_EESE_sNS9_4plusIvEENS9_8equal_toIvEEsEE10hipError_tPvRmT2_T3_T4_T5_mT6_T7_P12ihipStream_tbENKUlT_T0_E_clISt17integral_constantIbLb0EES13_IbLb1EEEEDaSZ_S10_EUlSZ_E_NS1_11comp_targetILNS1_3genE10ELNS1_11target_archE1201ELNS1_3gpuE5ELNS1_3repE0EEENS1_30default_config_static_selectorELNS0_4arch9wavefront6targetE0EEEvT1_.uses_vcc, 0
	.set _ZN7rocprim17ROCPRIM_400000_NS6detail17trampoline_kernelINS0_14default_configENS1_27scan_by_key_config_selectorIssEEZZNS1_16scan_by_key_implILNS1_25lookback_scan_determinismE0ELb0ES3_N6thrust23THRUST_200600_302600_NS6detail15normal_iteratorINS9_10device_ptrIsEEEENS9_18transform_iteratorINS9_6negateIsEESE_NS9_11use_defaultESI_EESE_sNS9_4plusIvEENS9_8equal_toIvEEsEE10hipError_tPvRmT2_T3_T4_T5_mT6_T7_P12ihipStream_tbENKUlT_T0_E_clISt17integral_constantIbLb0EES13_IbLb1EEEEDaSZ_S10_EUlSZ_E_NS1_11comp_targetILNS1_3genE10ELNS1_11target_archE1201ELNS1_3gpuE5ELNS1_3repE0EEENS1_30default_config_static_selectorELNS0_4arch9wavefront6targetE0EEEvT1_.uses_flat_scratch, 0
	.set _ZN7rocprim17ROCPRIM_400000_NS6detail17trampoline_kernelINS0_14default_configENS1_27scan_by_key_config_selectorIssEEZZNS1_16scan_by_key_implILNS1_25lookback_scan_determinismE0ELb0ES3_N6thrust23THRUST_200600_302600_NS6detail15normal_iteratorINS9_10device_ptrIsEEEENS9_18transform_iteratorINS9_6negateIsEESE_NS9_11use_defaultESI_EESE_sNS9_4plusIvEENS9_8equal_toIvEEsEE10hipError_tPvRmT2_T3_T4_T5_mT6_T7_P12ihipStream_tbENKUlT_T0_E_clISt17integral_constantIbLb0EES13_IbLb1EEEEDaSZ_S10_EUlSZ_E_NS1_11comp_targetILNS1_3genE10ELNS1_11target_archE1201ELNS1_3gpuE5ELNS1_3repE0EEENS1_30default_config_static_selectorELNS0_4arch9wavefront6targetE0EEEvT1_.has_dyn_sized_stack, 0
	.set _ZN7rocprim17ROCPRIM_400000_NS6detail17trampoline_kernelINS0_14default_configENS1_27scan_by_key_config_selectorIssEEZZNS1_16scan_by_key_implILNS1_25lookback_scan_determinismE0ELb0ES3_N6thrust23THRUST_200600_302600_NS6detail15normal_iteratorINS9_10device_ptrIsEEEENS9_18transform_iteratorINS9_6negateIsEESE_NS9_11use_defaultESI_EESE_sNS9_4plusIvEENS9_8equal_toIvEEsEE10hipError_tPvRmT2_T3_T4_T5_mT6_T7_P12ihipStream_tbENKUlT_T0_E_clISt17integral_constantIbLb0EES13_IbLb1EEEEDaSZ_S10_EUlSZ_E_NS1_11comp_targetILNS1_3genE10ELNS1_11target_archE1201ELNS1_3gpuE5ELNS1_3repE0EEENS1_30default_config_static_selectorELNS0_4arch9wavefront6targetE0EEEvT1_.has_recursion, 0
	.set _ZN7rocprim17ROCPRIM_400000_NS6detail17trampoline_kernelINS0_14default_configENS1_27scan_by_key_config_selectorIssEEZZNS1_16scan_by_key_implILNS1_25lookback_scan_determinismE0ELb0ES3_N6thrust23THRUST_200600_302600_NS6detail15normal_iteratorINS9_10device_ptrIsEEEENS9_18transform_iteratorINS9_6negateIsEESE_NS9_11use_defaultESI_EESE_sNS9_4plusIvEENS9_8equal_toIvEEsEE10hipError_tPvRmT2_T3_T4_T5_mT6_T7_P12ihipStream_tbENKUlT_T0_E_clISt17integral_constantIbLb0EES13_IbLb1EEEEDaSZ_S10_EUlSZ_E_NS1_11comp_targetILNS1_3genE10ELNS1_11target_archE1201ELNS1_3gpuE5ELNS1_3repE0EEENS1_30default_config_static_selectorELNS0_4arch9wavefront6targetE0EEEvT1_.has_indirect_call, 0
	.section	.AMDGPU.csdata,"",@progbits
; Kernel info:
; codeLenInByte = 0
; TotalNumSgprs: 0
; NumVgprs: 0
; ScratchSize: 0
; MemoryBound: 0
; FloatMode: 240
; IeeeMode: 1
; LDSByteSize: 0 bytes/workgroup (compile time only)
; SGPRBlocks: 0
; VGPRBlocks: 0
; NumSGPRsForWavesPerEU: 1
; NumVGPRsForWavesPerEU: 1
; NamedBarCnt: 0
; Occupancy: 16
; WaveLimiterHint : 0
; COMPUTE_PGM_RSRC2:SCRATCH_EN: 0
; COMPUTE_PGM_RSRC2:USER_SGPR: 2
; COMPUTE_PGM_RSRC2:TRAP_HANDLER: 0
; COMPUTE_PGM_RSRC2:TGID_X_EN: 1
; COMPUTE_PGM_RSRC2:TGID_Y_EN: 0
; COMPUTE_PGM_RSRC2:TGID_Z_EN: 0
; COMPUTE_PGM_RSRC2:TIDIG_COMP_CNT: 0
	.section	.text._ZN7rocprim17ROCPRIM_400000_NS6detail17trampoline_kernelINS0_14default_configENS1_27scan_by_key_config_selectorIssEEZZNS1_16scan_by_key_implILNS1_25lookback_scan_determinismE0ELb0ES3_N6thrust23THRUST_200600_302600_NS6detail15normal_iteratorINS9_10device_ptrIsEEEENS9_18transform_iteratorINS9_6negateIsEESE_NS9_11use_defaultESI_EESE_sNS9_4plusIvEENS9_8equal_toIvEEsEE10hipError_tPvRmT2_T3_T4_T5_mT6_T7_P12ihipStream_tbENKUlT_T0_E_clISt17integral_constantIbLb0EES13_IbLb1EEEEDaSZ_S10_EUlSZ_E_NS1_11comp_targetILNS1_3genE5ELNS1_11target_archE942ELNS1_3gpuE9ELNS1_3repE0EEENS1_30default_config_static_selectorELNS0_4arch9wavefront6targetE0EEEvT1_,"axG",@progbits,_ZN7rocprim17ROCPRIM_400000_NS6detail17trampoline_kernelINS0_14default_configENS1_27scan_by_key_config_selectorIssEEZZNS1_16scan_by_key_implILNS1_25lookback_scan_determinismE0ELb0ES3_N6thrust23THRUST_200600_302600_NS6detail15normal_iteratorINS9_10device_ptrIsEEEENS9_18transform_iteratorINS9_6negateIsEESE_NS9_11use_defaultESI_EESE_sNS9_4plusIvEENS9_8equal_toIvEEsEE10hipError_tPvRmT2_T3_T4_T5_mT6_T7_P12ihipStream_tbENKUlT_T0_E_clISt17integral_constantIbLb0EES13_IbLb1EEEEDaSZ_S10_EUlSZ_E_NS1_11comp_targetILNS1_3genE5ELNS1_11target_archE942ELNS1_3gpuE9ELNS1_3repE0EEENS1_30default_config_static_selectorELNS0_4arch9wavefront6targetE0EEEvT1_,comdat
	.protected	_ZN7rocprim17ROCPRIM_400000_NS6detail17trampoline_kernelINS0_14default_configENS1_27scan_by_key_config_selectorIssEEZZNS1_16scan_by_key_implILNS1_25lookback_scan_determinismE0ELb0ES3_N6thrust23THRUST_200600_302600_NS6detail15normal_iteratorINS9_10device_ptrIsEEEENS9_18transform_iteratorINS9_6negateIsEESE_NS9_11use_defaultESI_EESE_sNS9_4plusIvEENS9_8equal_toIvEEsEE10hipError_tPvRmT2_T3_T4_T5_mT6_T7_P12ihipStream_tbENKUlT_T0_E_clISt17integral_constantIbLb0EES13_IbLb1EEEEDaSZ_S10_EUlSZ_E_NS1_11comp_targetILNS1_3genE5ELNS1_11target_archE942ELNS1_3gpuE9ELNS1_3repE0EEENS1_30default_config_static_selectorELNS0_4arch9wavefront6targetE0EEEvT1_ ; -- Begin function _ZN7rocprim17ROCPRIM_400000_NS6detail17trampoline_kernelINS0_14default_configENS1_27scan_by_key_config_selectorIssEEZZNS1_16scan_by_key_implILNS1_25lookback_scan_determinismE0ELb0ES3_N6thrust23THRUST_200600_302600_NS6detail15normal_iteratorINS9_10device_ptrIsEEEENS9_18transform_iteratorINS9_6negateIsEESE_NS9_11use_defaultESI_EESE_sNS9_4plusIvEENS9_8equal_toIvEEsEE10hipError_tPvRmT2_T3_T4_T5_mT6_T7_P12ihipStream_tbENKUlT_T0_E_clISt17integral_constantIbLb0EES13_IbLb1EEEEDaSZ_S10_EUlSZ_E_NS1_11comp_targetILNS1_3genE5ELNS1_11target_archE942ELNS1_3gpuE9ELNS1_3repE0EEENS1_30default_config_static_selectorELNS0_4arch9wavefront6targetE0EEEvT1_
	.globl	_ZN7rocprim17ROCPRIM_400000_NS6detail17trampoline_kernelINS0_14default_configENS1_27scan_by_key_config_selectorIssEEZZNS1_16scan_by_key_implILNS1_25lookback_scan_determinismE0ELb0ES3_N6thrust23THRUST_200600_302600_NS6detail15normal_iteratorINS9_10device_ptrIsEEEENS9_18transform_iteratorINS9_6negateIsEESE_NS9_11use_defaultESI_EESE_sNS9_4plusIvEENS9_8equal_toIvEEsEE10hipError_tPvRmT2_T3_T4_T5_mT6_T7_P12ihipStream_tbENKUlT_T0_E_clISt17integral_constantIbLb0EES13_IbLb1EEEEDaSZ_S10_EUlSZ_E_NS1_11comp_targetILNS1_3genE5ELNS1_11target_archE942ELNS1_3gpuE9ELNS1_3repE0EEENS1_30default_config_static_selectorELNS0_4arch9wavefront6targetE0EEEvT1_
	.p2align	8
	.type	_ZN7rocprim17ROCPRIM_400000_NS6detail17trampoline_kernelINS0_14default_configENS1_27scan_by_key_config_selectorIssEEZZNS1_16scan_by_key_implILNS1_25lookback_scan_determinismE0ELb0ES3_N6thrust23THRUST_200600_302600_NS6detail15normal_iteratorINS9_10device_ptrIsEEEENS9_18transform_iteratorINS9_6negateIsEESE_NS9_11use_defaultESI_EESE_sNS9_4plusIvEENS9_8equal_toIvEEsEE10hipError_tPvRmT2_T3_T4_T5_mT6_T7_P12ihipStream_tbENKUlT_T0_E_clISt17integral_constantIbLb0EES13_IbLb1EEEEDaSZ_S10_EUlSZ_E_NS1_11comp_targetILNS1_3genE5ELNS1_11target_archE942ELNS1_3gpuE9ELNS1_3repE0EEENS1_30default_config_static_selectorELNS0_4arch9wavefront6targetE0EEEvT1_,@function
_ZN7rocprim17ROCPRIM_400000_NS6detail17trampoline_kernelINS0_14default_configENS1_27scan_by_key_config_selectorIssEEZZNS1_16scan_by_key_implILNS1_25lookback_scan_determinismE0ELb0ES3_N6thrust23THRUST_200600_302600_NS6detail15normal_iteratorINS9_10device_ptrIsEEEENS9_18transform_iteratorINS9_6negateIsEESE_NS9_11use_defaultESI_EESE_sNS9_4plusIvEENS9_8equal_toIvEEsEE10hipError_tPvRmT2_T3_T4_T5_mT6_T7_P12ihipStream_tbENKUlT_T0_E_clISt17integral_constantIbLb0EES13_IbLb1EEEEDaSZ_S10_EUlSZ_E_NS1_11comp_targetILNS1_3genE5ELNS1_11target_archE942ELNS1_3gpuE9ELNS1_3repE0EEENS1_30default_config_static_selectorELNS0_4arch9wavefront6targetE0EEEvT1_: ; @_ZN7rocprim17ROCPRIM_400000_NS6detail17trampoline_kernelINS0_14default_configENS1_27scan_by_key_config_selectorIssEEZZNS1_16scan_by_key_implILNS1_25lookback_scan_determinismE0ELb0ES3_N6thrust23THRUST_200600_302600_NS6detail15normal_iteratorINS9_10device_ptrIsEEEENS9_18transform_iteratorINS9_6negateIsEESE_NS9_11use_defaultESI_EESE_sNS9_4plusIvEENS9_8equal_toIvEEsEE10hipError_tPvRmT2_T3_T4_T5_mT6_T7_P12ihipStream_tbENKUlT_T0_E_clISt17integral_constantIbLb0EES13_IbLb1EEEEDaSZ_S10_EUlSZ_E_NS1_11comp_targetILNS1_3genE5ELNS1_11target_archE942ELNS1_3gpuE9ELNS1_3repE0EEENS1_30default_config_static_selectorELNS0_4arch9wavefront6targetE0EEEvT1_
; %bb.0:
	.section	.rodata,"a",@progbits
	.p2align	6, 0x0
	.amdhsa_kernel _ZN7rocprim17ROCPRIM_400000_NS6detail17trampoline_kernelINS0_14default_configENS1_27scan_by_key_config_selectorIssEEZZNS1_16scan_by_key_implILNS1_25lookback_scan_determinismE0ELb0ES3_N6thrust23THRUST_200600_302600_NS6detail15normal_iteratorINS9_10device_ptrIsEEEENS9_18transform_iteratorINS9_6negateIsEESE_NS9_11use_defaultESI_EESE_sNS9_4plusIvEENS9_8equal_toIvEEsEE10hipError_tPvRmT2_T3_T4_T5_mT6_T7_P12ihipStream_tbENKUlT_T0_E_clISt17integral_constantIbLb0EES13_IbLb1EEEEDaSZ_S10_EUlSZ_E_NS1_11comp_targetILNS1_3genE5ELNS1_11target_archE942ELNS1_3gpuE9ELNS1_3repE0EEENS1_30default_config_static_selectorELNS0_4arch9wavefront6targetE0EEEvT1_
		.amdhsa_group_segment_fixed_size 0
		.amdhsa_private_segment_fixed_size 0
		.amdhsa_kernarg_size 120
		.amdhsa_user_sgpr_count 2
		.amdhsa_user_sgpr_dispatch_ptr 0
		.amdhsa_user_sgpr_queue_ptr 0
		.amdhsa_user_sgpr_kernarg_segment_ptr 1
		.amdhsa_user_sgpr_dispatch_id 0
		.amdhsa_user_sgpr_kernarg_preload_length 0
		.amdhsa_user_sgpr_kernarg_preload_offset 0
		.amdhsa_user_sgpr_private_segment_size 0
		.amdhsa_wavefront_size32 1
		.amdhsa_uses_dynamic_stack 0
		.amdhsa_enable_private_segment 0
		.amdhsa_system_sgpr_workgroup_id_x 1
		.amdhsa_system_sgpr_workgroup_id_y 0
		.amdhsa_system_sgpr_workgroup_id_z 0
		.amdhsa_system_sgpr_workgroup_info 0
		.amdhsa_system_vgpr_workitem_id 0
		.amdhsa_next_free_vgpr 1
		.amdhsa_next_free_sgpr 1
		.amdhsa_named_barrier_count 0
		.amdhsa_reserve_vcc 0
		.amdhsa_float_round_mode_32 0
		.amdhsa_float_round_mode_16_64 0
		.amdhsa_float_denorm_mode_32 3
		.amdhsa_float_denorm_mode_16_64 3
		.amdhsa_fp16_overflow 0
		.amdhsa_memory_ordered 1
		.amdhsa_forward_progress 1
		.amdhsa_inst_pref_size 0
		.amdhsa_round_robin_scheduling 0
		.amdhsa_exception_fp_ieee_invalid_op 0
		.amdhsa_exception_fp_denorm_src 0
		.amdhsa_exception_fp_ieee_div_zero 0
		.amdhsa_exception_fp_ieee_overflow 0
		.amdhsa_exception_fp_ieee_underflow 0
		.amdhsa_exception_fp_ieee_inexact 0
		.amdhsa_exception_int_div_zero 0
	.end_amdhsa_kernel
	.section	.text._ZN7rocprim17ROCPRIM_400000_NS6detail17trampoline_kernelINS0_14default_configENS1_27scan_by_key_config_selectorIssEEZZNS1_16scan_by_key_implILNS1_25lookback_scan_determinismE0ELb0ES3_N6thrust23THRUST_200600_302600_NS6detail15normal_iteratorINS9_10device_ptrIsEEEENS9_18transform_iteratorINS9_6negateIsEESE_NS9_11use_defaultESI_EESE_sNS9_4plusIvEENS9_8equal_toIvEEsEE10hipError_tPvRmT2_T3_T4_T5_mT6_T7_P12ihipStream_tbENKUlT_T0_E_clISt17integral_constantIbLb0EES13_IbLb1EEEEDaSZ_S10_EUlSZ_E_NS1_11comp_targetILNS1_3genE5ELNS1_11target_archE942ELNS1_3gpuE9ELNS1_3repE0EEENS1_30default_config_static_selectorELNS0_4arch9wavefront6targetE0EEEvT1_,"axG",@progbits,_ZN7rocprim17ROCPRIM_400000_NS6detail17trampoline_kernelINS0_14default_configENS1_27scan_by_key_config_selectorIssEEZZNS1_16scan_by_key_implILNS1_25lookback_scan_determinismE0ELb0ES3_N6thrust23THRUST_200600_302600_NS6detail15normal_iteratorINS9_10device_ptrIsEEEENS9_18transform_iteratorINS9_6negateIsEESE_NS9_11use_defaultESI_EESE_sNS9_4plusIvEENS9_8equal_toIvEEsEE10hipError_tPvRmT2_T3_T4_T5_mT6_T7_P12ihipStream_tbENKUlT_T0_E_clISt17integral_constantIbLb0EES13_IbLb1EEEEDaSZ_S10_EUlSZ_E_NS1_11comp_targetILNS1_3genE5ELNS1_11target_archE942ELNS1_3gpuE9ELNS1_3repE0EEENS1_30default_config_static_selectorELNS0_4arch9wavefront6targetE0EEEvT1_,comdat
.Lfunc_end994:
	.size	_ZN7rocprim17ROCPRIM_400000_NS6detail17trampoline_kernelINS0_14default_configENS1_27scan_by_key_config_selectorIssEEZZNS1_16scan_by_key_implILNS1_25lookback_scan_determinismE0ELb0ES3_N6thrust23THRUST_200600_302600_NS6detail15normal_iteratorINS9_10device_ptrIsEEEENS9_18transform_iteratorINS9_6negateIsEESE_NS9_11use_defaultESI_EESE_sNS9_4plusIvEENS9_8equal_toIvEEsEE10hipError_tPvRmT2_T3_T4_T5_mT6_T7_P12ihipStream_tbENKUlT_T0_E_clISt17integral_constantIbLb0EES13_IbLb1EEEEDaSZ_S10_EUlSZ_E_NS1_11comp_targetILNS1_3genE5ELNS1_11target_archE942ELNS1_3gpuE9ELNS1_3repE0EEENS1_30default_config_static_selectorELNS0_4arch9wavefront6targetE0EEEvT1_, .Lfunc_end994-_ZN7rocprim17ROCPRIM_400000_NS6detail17trampoline_kernelINS0_14default_configENS1_27scan_by_key_config_selectorIssEEZZNS1_16scan_by_key_implILNS1_25lookback_scan_determinismE0ELb0ES3_N6thrust23THRUST_200600_302600_NS6detail15normal_iteratorINS9_10device_ptrIsEEEENS9_18transform_iteratorINS9_6negateIsEESE_NS9_11use_defaultESI_EESE_sNS9_4plusIvEENS9_8equal_toIvEEsEE10hipError_tPvRmT2_T3_T4_T5_mT6_T7_P12ihipStream_tbENKUlT_T0_E_clISt17integral_constantIbLb0EES13_IbLb1EEEEDaSZ_S10_EUlSZ_E_NS1_11comp_targetILNS1_3genE5ELNS1_11target_archE942ELNS1_3gpuE9ELNS1_3repE0EEENS1_30default_config_static_selectorELNS0_4arch9wavefront6targetE0EEEvT1_
                                        ; -- End function
	.set _ZN7rocprim17ROCPRIM_400000_NS6detail17trampoline_kernelINS0_14default_configENS1_27scan_by_key_config_selectorIssEEZZNS1_16scan_by_key_implILNS1_25lookback_scan_determinismE0ELb0ES3_N6thrust23THRUST_200600_302600_NS6detail15normal_iteratorINS9_10device_ptrIsEEEENS9_18transform_iteratorINS9_6negateIsEESE_NS9_11use_defaultESI_EESE_sNS9_4plusIvEENS9_8equal_toIvEEsEE10hipError_tPvRmT2_T3_T4_T5_mT6_T7_P12ihipStream_tbENKUlT_T0_E_clISt17integral_constantIbLb0EES13_IbLb1EEEEDaSZ_S10_EUlSZ_E_NS1_11comp_targetILNS1_3genE5ELNS1_11target_archE942ELNS1_3gpuE9ELNS1_3repE0EEENS1_30default_config_static_selectorELNS0_4arch9wavefront6targetE0EEEvT1_.num_vgpr, 0
	.set _ZN7rocprim17ROCPRIM_400000_NS6detail17trampoline_kernelINS0_14default_configENS1_27scan_by_key_config_selectorIssEEZZNS1_16scan_by_key_implILNS1_25lookback_scan_determinismE0ELb0ES3_N6thrust23THRUST_200600_302600_NS6detail15normal_iteratorINS9_10device_ptrIsEEEENS9_18transform_iteratorINS9_6negateIsEESE_NS9_11use_defaultESI_EESE_sNS9_4plusIvEENS9_8equal_toIvEEsEE10hipError_tPvRmT2_T3_T4_T5_mT6_T7_P12ihipStream_tbENKUlT_T0_E_clISt17integral_constantIbLb0EES13_IbLb1EEEEDaSZ_S10_EUlSZ_E_NS1_11comp_targetILNS1_3genE5ELNS1_11target_archE942ELNS1_3gpuE9ELNS1_3repE0EEENS1_30default_config_static_selectorELNS0_4arch9wavefront6targetE0EEEvT1_.num_agpr, 0
	.set _ZN7rocprim17ROCPRIM_400000_NS6detail17trampoline_kernelINS0_14default_configENS1_27scan_by_key_config_selectorIssEEZZNS1_16scan_by_key_implILNS1_25lookback_scan_determinismE0ELb0ES3_N6thrust23THRUST_200600_302600_NS6detail15normal_iteratorINS9_10device_ptrIsEEEENS9_18transform_iteratorINS9_6negateIsEESE_NS9_11use_defaultESI_EESE_sNS9_4plusIvEENS9_8equal_toIvEEsEE10hipError_tPvRmT2_T3_T4_T5_mT6_T7_P12ihipStream_tbENKUlT_T0_E_clISt17integral_constantIbLb0EES13_IbLb1EEEEDaSZ_S10_EUlSZ_E_NS1_11comp_targetILNS1_3genE5ELNS1_11target_archE942ELNS1_3gpuE9ELNS1_3repE0EEENS1_30default_config_static_selectorELNS0_4arch9wavefront6targetE0EEEvT1_.numbered_sgpr, 0
	.set _ZN7rocprim17ROCPRIM_400000_NS6detail17trampoline_kernelINS0_14default_configENS1_27scan_by_key_config_selectorIssEEZZNS1_16scan_by_key_implILNS1_25lookback_scan_determinismE0ELb0ES3_N6thrust23THRUST_200600_302600_NS6detail15normal_iteratorINS9_10device_ptrIsEEEENS9_18transform_iteratorINS9_6negateIsEESE_NS9_11use_defaultESI_EESE_sNS9_4plusIvEENS9_8equal_toIvEEsEE10hipError_tPvRmT2_T3_T4_T5_mT6_T7_P12ihipStream_tbENKUlT_T0_E_clISt17integral_constantIbLb0EES13_IbLb1EEEEDaSZ_S10_EUlSZ_E_NS1_11comp_targetILNS1_3genE5ELNS1_11target_archE942ELNS1_3gpuE9ELNS1_3repE0EEENS1_30default_config_static_selectorELNS0_4arch9wavefront6targetE0EEEvT1_.num_named_barrier, 0
	.set _ZN7rocprim17ROCPRIM_400000_NS6detail17trampoline_kernelINS0_14default_configENS1_27scan_by_key_config_selectorIssEEZZNS1_16scan_by_key_implILNS1_25lookback_scan_determinismE0ELb0ES3_N6thrust23THRUST_200600_302600_NS6detail15normal_iteratorINS9_10device_ptrIsEEEENS9_18transform_iteratorINS9_6negateIsEESE_NS9_11use_defaultESI_EESE_sNS9_4plusIvEENS9_8equal_toIvEEsEE10hipError_tPvRmT2_T3_T4_T5_mT6_T7_P12ihipStream_tbENKUlT_T0_E_clISt17integral_constantIbLb0EES13_IbLb1EEEEDaSZ_S10_EUlSZ_E_NS1_11comp_targetILNS1_3genE5ELNS1_11target_archE942ELNS1_3gpuE9ELNS1_3repE0EEENS1_30default_config_static_selectorELNS0_4arch9wavefront6targetE0EEEvT1_.private_seg_size, 0
	.set _ZN7rocprim17ROCPRIM_400000_NS6detail17trampoline_kernelINS0_14default_configENS1_27scan_by_key_config_selectorIssEEZZNS1_16scan_by_key_implILNS1_25lookback_scan_determinismE0ELb0ES3_N6thrust23THRUST_200600_302600_NS6detail15normal_iteratorINS9_10device_ptrIsEEEENS9_18transform_iteratorINS9_6negateIsEESE_NS9_11use_defaultESI_EESE_sNS9_4plusIvEENS9_8equal_toIvEEsEE10hipError_tPvRmT2_T3_T4_T5_mT6_T7_P12ihipStream_tbENKUlT_T0_E_clISt17integral_constantIbLb0EES13_IbLb1EEEEDaSZ_S10_EUlSZ_E_NS1_11comp_targetILNS1_3genE5ELNS1_11target_archE942ELNS1_3gpuE9ELNS1_3repE0EEENS1_30default_config_static_selectorELNS0_4arch9wavefront6targetE0EEEvT1_.uses_vcc, 0
	.set _ZN7rocprim17ROCPRIM_400000_NS6detail17trampoline_kernelINS0_14default_configENS1_27scan_by_key_config_selectorIssEEZZNS1_16scan_by_key_implILNS1_25lookback_scan_determinismE0ELb0ES3_N6thrust23THRUST_200600_302600_NS6detail15normal_iteratorINS9_10device_ptrIsEEEENS9_18transform_iteratorINS9_6negateIsEESE_NS9_11use_defaultESI_EESE_sNS9_4plusIvEENS9_8equal_toIvEEsEE10hipError_tPvRmT2_T3_T4_T5_mT6_T7_P12ihipStream_tbENKUlT_T0_E_clISt17integral_constantIbLb0EES13_IbLb1EEEEDaSZ_S10_EUlSZ_E_NS1_11comp_targetILNS1_3genE5ELNS1_11target_archE942ELNS1_3gpuE9ELNS1_3repE0EEENS1_30default_config_static_selectorELNS0_4arch9wavefront6targetE0EEEvT1_.uses_flat_scratch, 0
	.set _ZN7rocprim17ROCPRIM_400000_NS6detail17trampoline_kernelINS0_14default_configENS1_27scan_by_key_config_selectorIssEEZZNS1_16scan_by_key_implILNS1_25lookback_scan_determinismE0ELb0ES3_N6thrust23THRUST_200600_302600_NS6detail15normal_iteratorINS9_10device_ptrIsEEEENS9_18transform_iteratorINS9_6negateIsEESE_NS9_11use_defaultESI_EESE_sNS9_4plusIvEENS9_8equal_toIvEEsEE10hipError_tPvRmT2_T3_T4_T5_mT6_T7_P12ihipStream_tbENKUlT_T0_E_clISt17integral_constantIbLb0EES13_IbLb1EEEEDaSZ_S10_EUlSZ_E_NS1_11comp_targetILNS1_3genE5ELNS1_11target_archE942ELNS1_3gpuE9ELNS1_3repE0EEENS1_30default_config_static_selectorELNS0_4arch9wavefront6targetE0EEEvT1_.has_dyn_sized_stack, 0
	.set _ZN7rocprim17ROCPRIM_400000_NS6detail17trampoline_kernelINS0_14default_configENS1_27scan_by_key_config_selectorIssEEZZNS1_16scan_by_key_implILNS1_25lookback_scan_determinismE0ELb0ES3_N6thrust23THRUST_200600_302600_NS6detail15normal_iteratorINS9_10device_ptrIsEEEENS9_18transform_iteratorINS9_6negateIsEESE_NS9_11use_defaultESI_EESE_sNS9_4plusIvEENS9_8equal_toIvEEsEE10hipError_tPvRmT2_T3_T4_T5_mT6_T7_P12ihipStream_tbENKUlT_T0_E_clISt17integral_constantIbLb0EES13_IbLb1EEEEDaSZ_S10_EUlSZ_E_NS1_11comp_targetILNS1_3genE5ELNS1_11target_archE942ELNS1_3gpuE9ELNS1_3repE0EEENS1_30default_config_static_selectorELNS0_4arch9wavefront6targetE0EEEvT1_.has_recursion, 0
	.set _ZN7rocprim17ROCPRIM_400000_NS6detail17trampoline_kernelINS0_14default_configENS1_27scan_by_key_config_selectorIssEEZZNS1_16scan_by_key_implILNS1_25lookback_scan_determinismE0ELb0ES3_N6thrust23THRUST_200600_302600_NS6detail15normal_iteratorINS9_10device_ptrIsEEEENS9_18transform_iteratorINS9_6negateIsEESE_NS9_11use_defaultESI_EESE_sNS9_4plusIvEENS9_8equal_toIvEEsEE10hipError_tPvRmT2_T3_T4_T5_mT6_T7_P12ihipStream_tbENKUlT_T0_E_clISt17integral_constantIbLb0EES13_IbLb1EEEEDaSZ_S10_EUlSZ_E_NS1_11comp_targetILNS1_3genE5ELNS1_11target_archE942ELNS1_3gpuE9ELNS1_3repE0EEENS1_30default_config_static_selectorELNS0_4arch9wavefront6targetE0EEEvT1_.has_indirect_call, 0
	.section	.AMDGPU.csdata,"",@progbits
; Kernel info:
; codeLenInByte = 0
; TotalNumSgprs: 0
; NumVgprs: 0
; ScratchSize: 0
; MemoryBound: 0
; FloatMode: 240
; IeeeMode: 1
; LDSByteSize: 0 bytes/workgroup (compile time only)
; SGPRBlocks: 0
; VGPRBlocks: 0
; NumSGPRsForWavesPerEU: 1
; NumVGPRsForWavesPerEU: 1
; NamedBarCnt: 0
; Occupancy: 16
; WaveLimiterHint : 0
; COMPUTE_PGM_RSRC2:SCRATCH_EN: 0
; COMPUTE_PGM_RSRC2:USER_SGPR: 2
; COMPUTE_PGM_RSRC2:TRAP_HANDLER: 0
; COMPUTE_PGM_RSRC2:TGID_X_EN: 1
; COMPUTE_PGM_RSRC2:TGID_Y_EN: 0
; COMPUTE_PGM_RSRC2:TGID_Z_EN: 0
; COMPUTE_PGM_RSRC2:TIDIG_COMP_CNT: 0
	.section	.text._ZN7rocprim17ROCPRIM_400000_NS6detail17trampoline_kernelINS0_14default_configENS1_27scan_by_key_config_selectorIssEEZZNS1_16scan_by_key_implILNS1_25lookback_scan_determinismE0ELb0ES3_N6thrust23THRUST_200600_302600_NS6detail15normal_iteratorINS9_10device_ptrIsEEEENS9_18transform_iteratorINS9_6negateIsEESE_NS9_11use_defaultESI_EESE_sNS9_4plusIvEENS9_8equal_toIvEEsEE10hipError_tPvRmT2_T3_T4_T5_mT6_T7_P12ihipStream_tbENKUlT_T0_E_clISt17integral_constantIbLb0EES13_IbLb1EEEEDaSZ_S10_EUlSZ_E_NS1_11comp_targetILNS1_3genE4ELNS1_11target_archE910ELNS1_3gpuE8ELNS1_3repE0EEENS1_30default_config_static_selectorELNS0_4arch9wavefront6targetE0EEEvT1_,"axG",@progbits,_ZN7rocprim17ROCPRIM_400000_NS6detail17trampoline_kernelINS0_14default_configENS1_27scan_by_key_config_selectorIssEEZZNS1_16scan_by_key_implILNS1_25lookback_scan_determinismE0ELb0ES3_N6thrust23THRUST_200600_302600_NS6detail15normal_iteratorINS9_10device_ptrIsEEEENS9_18transform_iteratorINS9_6negateIsEESE_NS9_11use_defaultESI_EESE_sNS9_4plusIvEENS9_8equal_toIvEEsEE10hipError_tPvRmT2_T3_T4_T5_mT6_T7_P12ihipStream_tbENKUlT_T0_E_clISt17integral_constantIbLb0EES13_IbLb1EEEEDaSZ_S10_EUlSZ_E_NS1_11comp_targetILNS1_3genE4ELNS1_11target_archE910ELNS1_3gpuE8ELNS1_3repE0EEENS1_30default_config_static_selectorELNS0_4arch9wavefront6targetE0EEEvT1_,comdat
	.protected	_ZN7rocprim17ROCPRIM_400000_NS6detail17trampoline_kernelINS0_14default_configENS1_27scan_by_key_config_selectorIssEEZZNS1_16scan_by_key_implILNS1_25lookback_scan_determinismE0ELb0ES3_N6thrust23THRUST_200600_302600_NS6detail15normal_iteratorINS9_10device_ptrIsEEEENS9_18transform_iteratorINS9_6negateIsEESE_NS9_11use_defaultESI_EESE_sNS9_4plusIvEENS9_8equal_toIvEEsEE10hipError_tPvRmT2_T3_T4_T5_mT6_T7_P12ihipStream_tbENKUlT_T0_E_clISt17integral_constantIbLb0EES13_IbLb1EEEEDaSZ_S10_EUlSZ_E_NS1_11comp_targetILNS1_3genE4ELNS1_11target_archE910ELNS1_3gpuE8ELNS1_3repE0EEENS1_30default_config_static_selectorELNS0_4arch9wavefront6targetE0EEEvT1_ ; -- Begin function _ZN7rocprim17ROCPRIM_400000_NS6detail17trampoline_kernelINS0_14default_configENS1_27scan_by_key_config_selectorIssEEZZNS1_16scan_by_key_implILNS1_25lookback_scan_determinismE0ELb0ES3_N6thrust23THRUST_200600_302600_NS6detail15normal_iteratorINS9_10device_ptrIsEEEENS9_18transform_iteratorINS9_6negateIsEESE_NS9_11use_defaultESI_EESE_sNS9_4plusIvEENS9_8equal_toIvEEsEE10hipError_tPvRmT2_T3_T4_T5_mT6_T7_P12ihipStream_tbENKUlT_T0_E_clISt17integral_constantIbLb0EES13_IbLb1EEEEDaSZ_S10_EUlSZ_E_NS1_11comp_targetILNS1_3genE4ELNS1_11target_archE910ELNS1_3gpuE8ELNS1_3repE0EEENS1_30default_config_static_selectorELNS0_4arch9wavefront6targetE0EEEvT1_
	.globl	_ZN7rocprim17ROCPRIM_400000_NS6detail17trampoline_kernelINS0_14default_configENS1_27scan_by_key_config_selectorIssEEZZNS1_16scan_by_key_implILNS1_25lookback_scan_determinismE0ELb0ES3_N6thrust23THRUST_200600_302600_NS6detail15normal_iteratorINS9_10device_ptrIsEEEENS9_18transform_iteratorINS9_6negateIsEESE_NS9_11use_defaultESI_EESE_sNS9_4plusIvEENS9_8equal_toIvEEsEE10hipError_tPvRmT2_T3_T4_T5_mT6_T7_P12ihipStream_tbENKUlT_T0_E_clISt17integral_constantIbLb0EES13_IbLb1EEEEDaSZ_S10_EUlSZ_E_NS1_11comp_targetILNS1_3genE4ELNS1_11target_archE910ELNS1_3gpuE8ELNS1_3repE0EEENS1_30default_config_static_selectorELNS0_4arch9wavefront6targetE0EEEvT1_
	.p2align	8
	.type	_ZN7rocprim17ROCPRIM_400000_NS6detail17trampoline_kernelINS0_14default_configENS1_27scan_by_key_config_selectorIssEEZZNS1_16scan_by_key_implILNS1_25lookback_scan_determinismE0ELb0ES3_N6thrust23THRUST_200600_302600_NS6detail15normal_iteratorINS9_10device_ptrIsEEEENS9_18transform_iteratorINS9_6negateIsEESE_NS9_11use_defaultESI_EESE_sNS9_4plusIvEENS9_8equal_toIvEEsEE10hipError_tPvRmT2_T3_T4_T5_mT6_T7_P12ihipStream_tbENKUlT_T0_E_clISt17integral_constantIbLb0EES13_IbLb1EEEEDaSZ_S10_EUlSZ_E_NS1_11comp_targetILNS1_3genE4ELNS1_11target_archE910ELNS1_3gpuE8ELNS1_3repE0EEENS1_30default_config_static_selectorELNS0_4arch9wavefront6targetE0EEEvT1_,@function
_ZN7rocprim17ROCPRIM_400000_NS6detail17trampoline_kernelINS0_14default_configENS1_27scan_by_key_config_selectorIssEEZZNS1_16scan_by_key_implILNS1_25lookback_scan_determinismE0ELb0ES3_N6thrust23THRUST_200600_302600_NS6detail15normal_iteratorINS9_10device_ptrIsEEEENS9_18transform_iteratorINS9_6negateIsEESE_NS9_11use_defaultESI_EESE_sNS9_4plusIvEENS9_8equal_toIvEEsEE10hipError_tPvRmT2_T3_T4_T5_mT6_T7_P12ihipStream_tbENKUlT_T0_E_clISt17integral_constantIbLb0EES13_IbLb1EEEEDaSZ_S10_EUlSZ_E_NS1_11comp_targetILNS1_3genE4ELNS1_11target_archE910ELNS1_3gpuE8ELNS1_3repE0EEENS1_30default_config_static_selectorELNS0_4arch9wavefront6targetE0EEEvT1_: ; @_ZN7rocprim17ROCPRIM_400000_NS6detail17trampoline_kernelINS0_14default_configENS1_27scan_by_key_config_selectorIssEEZZNS1_16scan_by_key_implILNS1_25lookback_scan_determinismE0ELb0ES3_N6thrust23THRUST_200600_302600_NS6detail15normal_iteratorINS9_10device_ptrIsEEEENS9_18transform_iteratorINS9_6negateIsEESE_NS9_11use_defaultESI_EESE_sNS9_4plusIvEENS9_8equal_toIvEEsEE10hipError_tPvRmT2_T3_T4_T5_mT6_T7_P12ihipStream_tbENKUlT_T0_E_clISt17integral_constantIbLb0EES13_IbLb1EEEEDaSZ_S10_EUlSZ_E_NS1_11comp_targetILNS1_3genE4ELNS1_11target_archE910ELNS1_3gpuE8ELNS1_3repE0EEENS1_30default_config_static_selectorELNS0_4arch9wavefront6targetE0EEEvT1_
; %bb.0:
	.section	.rodata,"a",@progbits
	.p2align	6, 0x0
	.amdhsa_kernel _ZN7rocprim17ROCPRIM_400000_NS6detail17trampoline_kernelINS0_14default_configENS1_27scan_by_key_config_selectorIssEEZZNS1_16scan_by_key_implILNS1_25lookback_scan_determinismE0ELb0ES3_N6thrust23THRUST_200600_302600_NS6detail15normal_iteratorINS9_10device_ptrIsEEEENS9_18transform_iteratorINS9_6negateIsEESE_NS9_11use_defaultESI_EESE_sNS9_4plusIvEENS9_8equal_toIvEEsEE10hipError_tPvRmT2_T3_T4_T5_mT6_T7_P12ihipStream_tbENKUlT_T0_E_clISt17integral_constantIbLb0EES13_IbLb1EEEEDaSZ_S10_EUlSZ_E_NS1_11comp_targetILNS1_3genE4ELNS1_11target_archE910ELNS1_3gpuE8ELNS1_3repE0EEENS1_30default_config_static_selectorELNS0_4arch9wavefront6targetE0EEEvT1_
		.amdhsa_group_segment_fixed_size 0
		.amdhsa_private_segment_fixed_size 0
		.amdhsa_kernarg_size 120
		.amdhsa_user_sgpr_count 2
		.amdhsa_user_sgpr_dispatch_ptr 0
		.amdhsa_user_sgpr_queue_ptr 0
		.amdhsa_user_sgpr_kernarg_segment_ptr 1
		.amdhsa_user_sgpr_dispatch_id 0
		.amdhsa_user_sgpr_kernarg_preload_length 0
		.amdhsa_user_sgpr_kernarg_preload_offset 0
		.amdhsa_user_sgpr_private_segment_size 0
		.amdhsa_wavefront_size32 1
		.amdhsa_uses_dynamic_stack 0
		.amdhsa_enable_private_segment 0
		.amdhsa_system_sgpr_workgroup_id_x 1
		.amdhsa_system_sgpr_workgroup_id_y 0
		.amdhsa_system_sgpr_workgroup_id_z 0
		.amdhsa_system_sgpr_workgroup_info 0
		.amdhsa_system_vgpr_workitem_id 0
		.amdhsa_next_free_vgpr 1
		.amdhsa_next_free_sgpr 1
		.amdhsa_named_barrier_count 0
		.amdhsa_reserve_vcc 0
		.amdhsa_float_round_mode_32 0
		.amdhsa_float_round_mode_16_64 0
		.amdhsa_float_denorm_mode_32 3
		.amdhsa_float_denorm_mode_16_64 3
		.amdhsa_fp16_overflow 0
		.amdhsa_memory_ordered 1
		.amdhsa_forward_progress 1
		.amdhsa_inst_pref_size 0
		.amdhsa_round_robin_scheduling 0
		.amdhsa_exception_fp_ieee_invalid_op 0
		.amdhsa_exception_fp_denorm_src 0
		.amdhsa_exception_fp_ieee_div_zero 0
		.amdhsa_exception_fp_ieee_overflow 0
		.amdhsa_exception_fp_ieee_underflow 0
		.amdhsa_exception_fp_ieee_inexact 0
		.amdhsa_exception_int_div_zero 0
	.end_amdhsa_kernel
	.section	.text._ZN7rocprim17ROCPRIM_400000_NS6detail17trampoline_kernelINS0_14default_configENS1_27scan_by_key_config_selectorIssEEZZNS1_16scan_by_key_implILNS1_25lookback_scan_determinismE0ELb0ES3_N6thrust23THRUST_200600_302600_NS6detail15normal_iteratorINS9_10device_ptrIsEEEENS9_18transform_iteratorINS9_6negateIsEESE_NS9_11use_defaultESI_EESE_sNS9_4plusIvEENS9_8equal_toIvEEsEE10hipError_tPvRmT2_T3_T4_T5_mT6_T7_P12ihipStream_tbENKUlT_T0_E_clISt17integral_constantIbLb0EES13_IbLb1EEEEDaSZ_S10_EUlSZ_E_NS1_11comp_targetILNS1_3genE4ELNS1_11target_archE910ELNS1_3gpuE8ELNS1_3repE0EEENS1_30default_config_static_selectorELNS0_4arch9wavefront6targetE0EEEvT1_,"axG",@progbits,_ZN7rocprim17ROCPRIM_400000_NS6detail17trampoline_kernelINS0_14default_configENS1_27scan_by_key_config_selectorIssEEZZNS1_16scan_by_key_implILNS1_25lookback_scan_determinismE0ELb0ES3_N6thrust23THRUST_200600_302600_NS6detail15normal_iteratorINS9_10device_ptrIsEEEENS9_18transform_iteratorINS9_6negateIsEESE_NS9_11use_defaultESI_EESE_sNS9_4plusIvEENS9_8equal_toIvEEsEE10hipError_tPvRmT2_T3_T4_T5_mT6_T7_P12ihipStream_tbENKUlT_T0_E_clISt17integral_constantIbLb0EES13_IbLb1EEEEDaSZ_S10_EUlSZ_E_NS1_11comp_targetILNS1_3genE4ELNS1_11target_archE910ELNS1_3gpuE8ELNS1_3repE0EEENS1_30default_config_static_selectorELNS0_4arch9wavefront6targetE0EEEvT1_,comdat
.Lfunc_end995:
	.size	_ZN7rocprim17ROCPRIM_400000_NS6detail17trampoline_kernelINS0_14default_configENS1_27scan_by_key_config_selectorIssEEZZNS1_16scan_by_key_implILNS1_25lookback_scan_determinismE0ELb0ES3_N6thrust23THRUST_200600_302600_NS6detail15normal_iteratorINS9_10device_ptrIsEEEENS9_18transform_iteratorINS9_6negateIsEESE_NS9_11use_defaultESI_EESE_sNS9_4plusIvEENS9_8equal_toIvEEsEE10hipError_tPvRmT2_T3_T4_T5_mT6_T7_P12ihipStream_tbENKUlT_T0_E_clISt17integral_constantIbLb0EES13_IbLb1EEEEDaSZ_S10_EUlSZ_E_NS1_11comp_targetILNS1_3genE4ELNS1_11target_archE910ELNS1_3gpuE8ELNS1_3repE0EEENS1_30default_config_static_selectorELNS0_4arch9wavefront6targetE0EEEvT1_, .Lfunc_end995-_ZN7rocprim17ROCPRIM_400000_NS6detail17trampoline_kernelINS0_14default_configENS1_27scan_by_key_config_selectorIssEEZZNS1_16scan_by_key_implILNS1_25lookback_scan_determinismE0ELb0ES3_N6thrust23THRUST_200600_302600_NS6detail15normal_iteratorINS9_10device_ptrIsEEEENS9_18transform_iteratorINS9_6negateIsEESE_NS9_11use_defaultESI_EESE_sNS9_4plusIvEENS9_8equal_toIvEEsEE10hipError_tPvRmT2_T3_T4_T5_mT6_T7_P12ihipStream_tbENKUlT_T0_E_clISt17integral_constantIbLb0EES13_IbLb1EEEEDaSZ_S10_EUlSZ_E_NS1_11comp_targetILNS1_3genE4ELNS1_11target_archE910ELNS1_3gpuE8ELNS1_3repE0EEENS1_30default_config_static_selectorELNS0_4arch9wavefront6targetE0EEEvT1_
                                        ; -- End function
	.set _ZN7rocprim17ROCPRIM_400000_NS6detail17trampoline_kernelINS0_14default_configENS1_27scan_by_key_config_selectorIssEEZZNS1_16scan_by_key_implILNS1_25lookback_scan_determinismE0ELb0ES3_N6thrust23THRUST_200600_302600_NS6detail15normal_iteratorINS9_10device_ptrIsEEEENS9_18transform_iteratorINS9_6negateIsEESE_NS9_11use_defaultESI_EESE_sNS9_4plusIvEENS9_8equal_toIvEEsEE10hipError_tPvRmT2_T3_T4_T5_mT6_T7_P12ihipStream_tbENKUlT_T0_E_clISt17integral_constantIbLb0EES13_IbLb1EEEEDaSZ_S10_EUlSZ_E_NS1_11comp_targetILNS1_3genE4ELNS1_11target_archE910ELNS1_3gpuE8ELNS1_3repE0EEENS1_30default_config_static_selectorELNS0_4arch9wavefront6targetE0EEEvT1_.num_vgpr, 0
	.set _ZN7rocprim17ROCPRIM_400000_NS6detail17trampoline_kernelINS0_14default_configENS1_27scan_by_key_config_selectorIssEEZZNS1_16scan_by_key_implILNS1_25lookback_scan_determinismE0ELb0ES3_N6thrust23THRUST_200600_302600_NS6detail15normal_iteratorINS9_10device_ptrIsEEEENS9_18transform_iteratorINS9_6negateIsEESE_NS9_11use_defaultESI_EESE_sNS9_4plusIvEENS9_8equal_toIvEEsEE10hipError_tPvRmT2_T3_T4_T5_mT6_T7_P12ihipStream_tbENKUlT_T0_E_clISt17integral_constantIbLb0EES13_IbLb1EEEEDaSZ_S10_EUlSZ_E_NS1_11comp_targetILNS1_3genE4ELNS1_11target_archE910ELNS1_3gpuE8ELNS1_3repE0EEENS1_30default_config_static_selectorELNS0_4arch9wavefront6targetE0EEEvT1_.num_agpr, 0
	.set _ZN7rocprim17ROCPRIM_400000_NS6detail17trampoline_kernelINS0_14default_configENS1_27scan_by_key_config_selectorIssEEZZNS1_16scan_by_key_implILNS1_25lookback_scan_determinismE0ELb0ES3_N6thrust23THRUST_200600_302600_NS6detail15normal_iteratorINS9_10device_ptrIsEEEENS9_18transform_iteratorINS9_6negateIsEESE_NS9_11use_defaultESI_EESE_sNS9_4plusIvEENS9_8equal_toIvEEsEE10hipError_tPvRmT2_T3_T4_T5_mT6_T7_P12ihipStream_tbENKUlT_T0_E_clISt17integral_constantIbLb0EES13_IbLb1EEEEDaSZ_S10_EUlSZ_E_NS1_11comp_targetILNS1_3genE4ELNS1_11target_archE910ELNS1_3gpuE8ELNS1_3repE0EEENS1_30default_config_static_selectorELNS0_4arch9wavefront6targetE0EEEvT1_.numbered_sgpr, 0
	.set _ZN7rocprim17ROCPRIM_400000_NS6detail17trampoline_kernelINS0_14default_configENS1_27scan_by_key_config_selectorIssEEZZNS1_16scan_by_key_implILNS1_25lookback_scan_determinismE0ELb0ES3_N6thrust23THRUST_200600_302600_NS6detail15normal_iteratorINS9_10device_ptrIsEEEENS9_18transform_iteratorINS9_6negateIsEESE_NS9_11use_defaultESI_EESE_sNS9_4plusIvEENS9_8equal_toIvEEsEE10hipError_tPvRmT2_T3_T4_T5_mT6_T7_P12ihipStream_tbENKUlT_T0_E_clISt17integral_constantIbLb0EES13_IbLb1EEEEDaSZ_S10_EUlSZ_E_NS1_11comp_targetILNS1_3genE4ELNS1_11target_archE910ELNS1_3gpuE8ELNS1_3repE0EEENS1_30default_config_static_selectorELNS0_4arch9wavefront6targetE0EEEvT1_.num_named_barrier, 0
	.set _ZN7rocprim17ROCPRIM_400000_NS6detail17trampoline_kernelINS0_14default_configENS1_27scan_by_key_config_selectorIssEEZZNS1_16scan_by_key_implILNS1_25lookback_scan_determinismE0ELb0ES3_N6thrust23THRUST_200600_302600_NS6detail15normal_iteratorINS9_10device_ptrIsEEEENS9_18transform_iteratorINS9_6negateIsEESE_NS9_11use_defaultESI_EESE_sNS9_4plusIvEENS9_8equal_toIvEEsEE10hipError_tPvRmT2_T3_T4_T5_mT6_T7_P12ihipStream_tbENKUlT_T0_E_clISt17integral_constantIbLb0EES13_IbLb1EEEEDaSZ_S10_EUlSZ_E_NS1_11comp_targetILNS1_3genE4ELNS1_11target_archE910ELNS1_3gpuE8ELNS1_3repE0EEENS1_30default_config_static_selectorELNS0_4arch9wavefront6targetE0EEEvT1_.private_seg_size, 0
	.set _ZN7rocprim17ROCPRIM_400000_NS6detail17trampoline_kernelINS0_14default_configENS1_27scan_by_key_config_selectorIssEEZZNS1_16scan_by_key_implILNS1_25lookback_scan_determinismE0ELb0ES3_N6thrust23THRUST_200600_302600_NS6detail15normal_iteratorINS9_10device_ptrIsEEEENS9_18transform_iteratorINS9_6negateIsEESE_NS9_11use_defaultESI_EESE_sNS9_4plusIvEENS9_8equal_toIvEEsEE10hipError_tPvRmT2_T3_T4_T5_mT6_T7_P12ihipStream_tbENKUlT_T0_E_clISt17integral_constantIbLb0EES13_IbLb1EEEEDaSZ_S10_EUlSZ_E_NS1_11comp_targetILNS1_3genE4ELNS1_11target_archE910ELNS1_3gpuE8ELNS1_3repE0EEENS1_30default_config_static_selectorELNS0_4arch9wavefront6targetE0EEEvT1_.uses_vcc, 0
	.set _ZN7rocprim17ROCPRIM_400000_NS6detail17trampoline_kernelINS0_14default_configENS1_27scan_by_key_config_selectorIssEEZZNS1_16scan_by_key_implILNS1_25lookback_scan_determinismE0ELb0ES3_N6thrust23THRUST_200600_302600_NS6detail15normal_iteratorINS9_10device_ptrIsEEEENS9_18transform_iteratorINS9_6negateIsEESE_NS9_11use_defaultESI_EESE_sNS9_4plusIvEENS9_8equal_toIvEEsEE10hipError_tPvRmT2_T3_T4_T5_mT6_T7_P12ihipStream_tbENKUlT_T0_E_clISt17integral_constantIbLb0EES13_IbLb1EEEEDaSZ_S10_EUlSZ_E_NS1_11comp_targetILNS1_3genE4ELNS1_11target_archE910ELNS1_3gpuE8ELNS1_3repE0EEENS1_30default_config_static_selectorELNS0_4arch9wavefront6targetE0EEEvT1_.uses_flat_scratch, 0
	.set _ZN7rocprim17ROCPRIM_400000_NS6detail17trampoline_kernelINS0_14default_configENS1_27scan_by_key_config_selectorIssEEZZNS1_16scan_by_key_implILNS1_25lookback_scan_determinismE0ELb0ES3_N6thrust23THRUST_200600_302600_NS6detail15normal_iteratorINS9_10device_ptrIsEEEENS9_18transform_iteratorINS9_6negateIsEESE_NS9_11use_defaultESI_EESE_sNS9_4plusIvEENS9_8equal_toIvEEsEE10hipError_tPvRmT2_T3_T4_T5_mT6_T7_P12ihipStream_tbENKUlT_T0_E_clISt17integral_constantIbLb0EES13_IbLb1EEEEDaSZ_S10_EUlSZ_E_NS1_11comp_targetILNS1_3genE4ELNS1_11target_archE910ELNS1_3gpuE8ELNS1_3repE0EEENS1_30default_config_static_selectorELNS0_4arch9wavefront6targetE0EEEvT1_.has_dyn_sized_stack, 0
	.set _ZN7rocprim17ROCPRIM_400000_NS6detail17trampoline_kernelINS0_14default_configENS1_27scan_by_key_config_selectorIssEEZZNS1_16scan_by_key_implILNS1_25lookback_scan_determinismE0ELb0ES3_N6thrust23THRUST_200600_302600_NS6detail15normal_iteratorINS9_10device_ptrIsEEEENS9_18transform_iteratorINS9_6negateIsEESE_NS9_11use_defaultESI_EESE_sNS9_4plusIvEENS9_8equal_toIvEEsEE10hipError_tPvRmT2_T3_T4_T5_mT6_T7_P12ihipStream_tbENKUlT_T0_E_clISt17integral_constantIbLb0EES13_IbLb1EEEEDaSZ_S10_EUlSZ_E_NS1_11comp_targetILNS1_3genE4ELNS1_11target_archE910ELNS1_3gpuE8ELNS1_3repE0EEENS1_30default_config_static_selectorELNS0_4arch9wavefront6targetE0EEEvT1_.has_recursion, 0
	.set _ZN7rocprim17ROCPRIM_400000_NS6detail17trampoline_kernelINS0_14default_configENS1_27scan_by_key_config_selectorIssEEZZNS1_16scan_by_key_implILNS1_25lookback_scan_determinismE0ELb0ES3_N6thrust23THRUST_200600_302600_NS6detail15normal_iteratorINS9_10device_ptrIsEEEENS9_18transform_iteratorINS9_6negateIsEESE_NS9_11use_defaultESI_EESE_sNS9_4plusIvEENS9_8equal_toIvEEsEE10hipError_tPvRmT2_T3_T4_T5_mT6_T7_P12ihipStream_tbENKUlT_T0_E_clISt17integral_constantIbLb0EES13_IbLb1EEEEDaSZ_S10_EUlSZ_E_NS1_11comp_targetILNS1_3genE4ELNS1_11target_archE910ELNS1_3gpuE8ELNS1_3repE0EEENS1_30default_config_static_selectorELNS0_4arch9wavefront6targetE0EEEvT1_.has_indirect_call, 0
	.section	.AMDGPU.csdata,"",@progbits
; Kernel info:
; codeLenInByte = 0
; TotalNumSgprs: 0
; NumVgprs: 0
; ScratchSize: 0
; MemoryBound: 0
; FloatMode: 240
; IeeeMode: 1
; LDSByteSize: 0 bytes/workgroup (compile time only)
; SGPRBlocks: 0
; VGPRBlocks: 0
; NumSGPRsForWavesPerEU: 1
; NumVGPRsForWavesPerEU: 1
; NamedBarCnt: 0
; Occupancy: 16
; WaveLimiterHint : 0
; COMPUTE_PGM_RSRC2:SCRATCH_EN: 0
; COMPUTE_PGM_RSRC2:USER_SGPR: 2
; COMPUTE_PGM_RSRC2:TRAP_HANDLER: 0
; COMPUTE_PGM_RSRC2:TGID_X_EN: 1
; COMPUTE_PGM_RSRC2:TGID_Y_EN: 0
; COMPUTE_PGM_RSRC2:TGID_Z_EN: 0
; COMPUTE_PGM_RSRC2:TIDIG_COMP_CNT: 0
	.section	.text._ZN7rocprim17ROCPRIM_400000_NS6detail17trampoline_kernelINS0_14default_configENS1_27scan_by_key_config_selectorIssEEZZNS1_16scan_by_key_implILNS1_25lookback_scan_determinismE0ELb0ES3_N6thrust23THRUST_200600_302600_NS6detail15normal_iteratorINS9_10device_ptrIsEEEENS9_18transform_iteratorINS9_6negateIsEESE_NS9_11use_defaultESI_EESE_sNS9_4plusIvEENS9_8equal_toIvEEsEE10hipError_tPvRmT2_T3_T4_T5_mT6_T7_P12ihipStream_tbENKUlT_T0_E_clISt17integral_constantIbLb0EES13_IbLb1EEEEDaSZ_S10_EUlSZ_E_NS1_11comp_targetILNS1_3genE3ELNS1_11target_archE908ELNS1_3gpuE7ELNS1_3repE0EEENS1_30default_config_static_selectorELNS0_4arch9wavefront6targetE0EEEvT1_,"axG",@progbits,_ZN7rocprim17ROCPRIM_400000_NS6detail17trampoline_kernelINS0_14default_configENS1_27scan_by_key_config_selectorIssEEZZNS1_16scan_by_key_implILNS1_25lookback_scan_determinismE0ELb0ES3_N6thrust23THRUST_200600_302600_NS6detail15normal_iteratorINS9_10device_ptrIsEEEENS9_18transform_iteratorINS9_6negateIsEESE_NS9_11use_defaultESI_EESE_sNS9_4plusIvEENS9_8equal_toIvEEsEE10hipError_tPvRmT2_T3_T4_T5_mT6_T7_P12ihipStream_tbENKUlT_T0_E_clISt17integral_constantIbLb0EES13_IbLb1EEEEDaSZ_S10_EUlSZ_E_NS1_11comp_targetILNS1_3genE3ELNS1_11target_archE908ELNS1_3gpuE7ELNS1_3repE0EEENS1_30default_config_static_selectorELNS0_4arch9wavefront6targetE0EEEvT1_,comdat
	.protected	_ZN7rocprim17ROCPRIM_400000_NS6detail17trampoline_kernelINS0_14default_configENS1_27scan_by_key_config_selectorIssEEZZNS1_16scan_by_key_implILNS1_25lookback_scan_determinismE0ELb0ES3_N6thrust23THRUST_200600_302600_NS6detail15normal_iteratorINS9_10device_ptrIsEEEENS9_18transform_iteratorINS9_6negateIsEESE_NS9_11use_defaultESI_EESE_sNS9_4plusIvEENS9_8equal_toIvEEsEE10hipError_tPvRmT2_T3_T4_T5_mT6_T7_P12ihipStream_tbENKUlT_T0_E_clISt17integral_constantIbLb0EES13_IbLb1EEEEDaSZ_S10_EUlSZ_E_NS1_11comp_targetILNS1_3genE3ELNS1_11target_archE908ELNS1_3gpuE7ELNS1_3repE0EEENS1_30default_config_static_selectorELNS0_4arch9wavefront6targetE0EEEvT1_ ; -- Begin function _ZN7rocprim17ROCPRIM_400000_NS6detail17trampoline_kernelINS0_14default_configENS1_27scan_by_key_config_selectorIssEEZZNS1_16scan_by_key_implILNS1_25lookback_scan_determinismE0ELb0ES3_N6thrust23THRUST_200600_302600_NS6detail15normal_iteratorINS9_10device_ptrIsEEEENS9_18transform_iteratorINS9_6negateIsEESE_NS9_11use_defaultESI_EESE_sNS9_4plusIvEENS9_8equal_toIvEEsEE10hipError_tPvRmT2_T3_T4_T5_mT6_T7_P12ihipStream_tbENKUlT_T0_E_clISt17integral_constantIbLb0EES13_IbLb1EEEEDaSZ_S10_EUlSZ_E_NS1_11comp_targetILNS1_3genE3ELNS1_11target_archE908ELNS1_3gpuE7ELNS1_3repE0EEENS1_30default_config_static_selectorELNS0_4arch9wavefront6targetE0EEEvT1_
	.globl	_ZN7rocprim17ROCPRIM_400000_NS6detail17trampoline_kernelINS0_14default_configENS1_27scan_by_key_config_selectorIssEEZZNS1_16scan_by_key_implILNS1_25lookback_scan_determinismE0ELb0ES3_N6thrust23THRUST_200600_302600_NS6detail15normal_iteratorINS9_10device_ptrIsEEEENS9_18transform_iteratorINS9_6negateIsEESE_NS9_11use_defaultESI_EESE_sNS9_4plusIvEENS9_8equal_toIvEEsEE10hipError_tPvRmT2_T3_T4_T5_mT6_T7_P12ihipStream_tbENKUlT_T0_E_clISt17integral_constantIbLb0EES13_IbLb1EEEEDaSZ_S10_EUlSZ_E_NS1_11comp_targetILNS1_3genE3ELNS1_11target_archE908ELNS1_3gpuE7ELNS1_3repE0EEENS1_30default_config_static_selectorELNS0_4arch9wavefront6targetE0EEEvT1_
	.p2align	8
	.type	_ZN7rocprim17ROCPRIM_400000_NS6detail17trampoline_kernelINS0_14default_configENS1_27scan_by_key_config_selectorIssEEZZNS1_16scan_by_key_implILNS1_25lookback_scan_determinismE0ELb0ES3_N6thrust23THRUST_200600_302600_NS6detail15normal_iteratorINS9_10device_ptrIsEEEENS9_18transform_iteratorINS9_6negateIsEESE_NS9_11use_defaultESI_EESE_sNS9_4plusIvEENS9_8equal_toIvEEsEE10hipError_tPvRmT2_T3_T4_T5_mT6_T7_P12ihipStream_tbENKUlT_T0_E_clISt17integral_constantIbLb0EES13_IbLb1EEEEDaSZ_S10_EUlSZ_E_NS1_11comp_targetILNS1_3genE3ELNS1_11target_archE908ELNS1_3gpuE7ELNS1_3repE0EEENS1_30default_config_static_selectorELNS0_4arch9wavefront6targetE0EEEvT1_,@function
_ZN7rocprim17ROCPRIM_400000_NS6detail17trampoline_kernelINS0_14default_configENS1_27scan_by_key_config_selectorIssEEZZNS1_16scan_by_key_implILNS1_25lookback_scan_determinismE0ELb0ES3_N6thrust23THRUST_200600_302600_NS6detail15normal_iteratorINS9_10device_ptrIsEEEENS9_18transform_iteratorINS9_6negateIsEESE_NS9_11use_defaultESI_EESE_sNS9_4plusIvEENS9_8equal_toIvEEsEE10hipError_tPvRmT2_T3_T4_T5_mT6_T7_P12ihipStream_tbENKUlT_T0_E_clISt17integral_constantIbLb0EES13_IbLb1EEEEDaSZ_S10_EUlSZ_E_NS1_11comp_targetILNS1_3genE3ELNS1_11target_archE908ELNS1_3gpuE7ELNS1_3repE0EEENS1_30default_config_static_selectorELNS0_4arch9wavefront6targetE0EEEvT1_: ; @_ZN7rocprim17ROCPRIM_400000_NS6detail17trampoline_kernelINS0_14default_configENS1_27scan_by_key_config_selectorIssEEZZNS1_16scan_by_key_implILNS1_25lookback_scan_determinismE0ELb0ES3_N6thrust23THRUST_200600_302600_NS6detail15normal_iteratorINS9_10device_ptrIsEEEENS9_18transform_iteratorINS9_6negateIsEESE_NS9_11use_defaultESI_EESE_sNS9_4plusIvEENS9_8equal_toIvEEsEE10hipError_tPvRmT2_T3_T4_T5_mT6_T7_P12ihipStream_tbENKUlT_T0_E_clISt17integral_constantIbLb0EES13_IbLb1EEEEDaSZ_S10_EUlSZ_E_NS1_11comp_targetILNS1_3genE3ELNS1_11target_archE908ELNS1_3gpuE7ELNS1_3repE0EEENS1_30default_config_static_selectorELNS0_4arch9wavefront6targetE0EEEvT1_
; %bb.0:
	.section	.rodata,"a",@progbits
	.p2align	6, 0x0
	.amdhsa_kernel _ZN7rocprim17ROCPRIM_400000_NS6detail17trampoline_kernelINS0_14default_configENS1_27scan_by_key_config_selectorIssEEZZNS1_16scan_by_key_implILNS1_25lookback_scan_determinismE0ELb0ES3_N6thrust23THRUST_200600_302600_NS6detail15normal_iteratorINS9_10device_ptrIsEEEENS9_18transform_iteratorINS9_6negateIsEESE_NS9_11use_defaultESI_EESE_sNS9_4plusIvEENS9_8equal_toIvEEsEE10hipError_tPvRmT2_T3_T4_T5_mT6_T7_P12ihipStream_tbENKUlT_T0_E_clISt17integral_constantIbLb0EES13_IbLb1EEEEDaSZ_S10_EUlSZ_E_NS1_11comp_targetILNS1_3genE3ELNS1_11target_archE908ELNS1_3gpuE7ELNS1_3repE0EEENS1_30default_config_static_selectorELNS0_4arch9wavefront6targetE0EEEvT1_
		.amdhsa_group_segment_fixed_size 0
		.amdhsa_private_segment_fixed_size 0
		.amdhsa_kernarg_size 120
		.amdhsa_user_sgpr_count 2
		.amdhsa_user_sgpr_dispatch_ptr 0
		.amdhsa_user_sgpr_queue_ptr 0
		.amdhsa_user_sgpr_kernarg_segment_ptr 1
		.amdhsa_user_sgpr_dispatch_id 0
		.amdhsa_user_sgpr_kernarg_preload_length 0
		.amdhsa_user_sgpr_kernarg_preload_offset 0
		.amdhsa_user_sgpr_private_segment_size 0
		.amdhsa_wavefront_size32 1
		.amdhsa_uses_dynamic_stack 0
		.amdhsa_enable_private_segment 0
		.amdhsa_system_sgpr_workgroup_id_x 1
		.amdhsa_system_sgpr_workgroup_id_y 0
		.amdhsa_system_sgpr_workgroup_id_z 0
		.amdhsa_system_sgpr_workgroup_info 0
		.amdhsa_system_vgpr_workitem_id 0
		.amdhsa_next_free_vgpr 1
		.amdhsa_next_free_sgpr 1
		.amdhsa_named_barrier_count 0
		.amdhsa_reserve_vcc 0
		.amdhsa_float_round_mode_32 0
		.amdhsa_float_round_mode_16_64 0
		.amdhsa_float_denorm_mode_32 3
		.amdhsa_float_denorm_mode_16_64 3
		.amdhsa_fp16_overflow 0
		.amdhsa_memory_ordered 1
		.amdhsa_forward_progress 1
		.amdhsa_inst_pref_size 0
		.amdhsa_round_robin_scheduling 0
		.amdhsa_exception_fp_ieee_invalid_op 0
		.amdhsa_exception_fp_denorm_src 0
		.amdhsa_exception_fp_ieee_div_zero 0
		.amdhsa_exception_fp_ieee_overflow 0
		.amdhsa_exception_fp_ieee_underflow 0
		.amdhsa_exception_fp_ieee_inexact 0
		.amdhsa_exception_int_div_zero 0
	.end_amdhsa_kernel
	.section	.text._ZN7rocprim17ROCPRIM_400000_NS6detail17trampoline_kernelINS0_14default_configENS1_27scan_by_key_config_selectorIssEEZZNS1_16scan_by_key_implILNS1_25lookback_scan_determinismE0ELb0ES3_N6thrust23THRUST_200600_302600_NS6detail15normal_iteratorINS9_10device_ptrIsEEEENS9_18transform_iteratorINS9_6negateIsEESE_NS9_11use_defaultESI_EESE_sNS9_4plusIvEENS9_8equal_toIvEEsEE10hipError_tPvRmT2_T3_T4_T5_mT6_T7_P12ihipStream_tbENKUlT_T0_E_clISt17integral_constantIbLb0EES13_IbLb1EEEEDaSZ_S10_EUlSZ_E_NS1_11comp_targetILNS1_3genE3ELNS1_11target_archE908ELNS1_3gpuE7ELNS1_3repE0EEENS1_30default_config_static_selectorELNS0_4arch9wavefront6targetE0EEEvT1_,"axG",@progbits,_ZN7rocprim17ROCPRIM_400000_NS6detail17trampoline_kernelINS0_14default_configENS1_27scan_by_key_config_selectorIssEEZZNS1_16scan_by_key_implILNS1_25lookback_scan_determinismE0ELb0ES3_N6thrust23THRUST_200600_302600_NS6detail15normal_iteratorINS9_10device_ptrIsEEEENS9_18transform_iteratorINS9_6negateIsEESE_NS9_11use_defaultESI_EESE_sNS9_4plusIvEENS9_8equal_toIvEEsEE10hipError_tPvRmT2_T3_T4_T5_mT6_T7_P12ihipStream_tbENKUlT_T0_E_clISt17integral_constantIbLb0EES13_IbLb1EEEEDaSZ_S10_EUlSZ_E_NS1_11comp_targetILNS1_3genE3ELNS1_11target_archE908ELNS1_3gpuE7ELNS1_3repE0EEENS1_30default_config_static_selectorELNS0_4arch9wavefront6targetE0EEEvT1_,comdat
.Lfunc_end996:
	.size	_ZN7rocprim17ROCPRIM_400000_NS6detail17trampoline_kernelINS0_14default_configENS1_27scan_by_key_config_selectorIssEEZZNS1_16scan_by_key_implILNS1_25lookback_scan_determinismE0ELb0ES3_N6thrust23THRUST_200600_302600_NS6detail15normal_iteratorINS9_10device_ptrIsEEEENS9_18transform_iteratorINS9_6negateIsEESE_NS9_11use_defaultESI_EESE_sNS9_4plusIvEENS9_8equal_toIvEEsEE10hipError_tPvRmT2_T3_T4_T5_mT6_T7_P12ihipStream_tbENKUlT_T0_E_clISt17integral_constantIbLb0EES13_IbLb1EEEEDaSZ_S10_EUlSZ_E_NS1_11comp_targetILNS1_3genE3ELNS1_11target_archE908ELNS1_3gpuE7ELNS1_3repE0EEENS1_30default_config_static_selectorELNS0_4arch9wavefront6targetE0EEEvT1_, .Lfunc_end996-_ZN7rocprim17ROCPRIM_400000_NS6detail17trampoline_kernelINS0_14default_configENS1_27scan_by_key_config_selectorIssEEZZNS1_16scan_by_key_implILNS1_25lookback_scan_determinismE0ELb0ES3_N6thrust23THRUST_200600_302600_NS6detail15normal_iteratorINS9_10device_ptrIsEEEENS9_18transform_iteratorINS9_6negateIsEESE_NS9_11use_defaultESI_EESE_sNS9_4plusIvEENS9_8equal_toIvEEsEE10hipError_tPvRmT2_T3_T4_T5_mT6_T7_P12ihipStream_tbENKUlT_T0_E_clISt17integral_constantIbLb0EES13_IbLb1EEEEDaSZ_S10_EUlSZ_E_NS1_11comp_targetILNS1_3genE3ELNS1_11target_archE908ELNS1_3gpuE7ELNS1_3repE0EEENS1_30default_config_static_selectorELNS0_4arch9wavefront6targetE0EEEvT1_
                                        ; -- End function
	.set _ZN7rocprim17ROCPRIM_400000_NS6detail17trampoline_kernelINS0_14default_configENS1_27scan_by_key_config_selectorIssEEZZNS1_16scan_by_key_implILNS1_25lookback_scan_determinismE0ELb0ES3_N6thrust23THRUST_200600_302600_NS6detail15normal_iteratorINS9_10device_ptrIsEEEENS9_18transform_iteratorINS9_6negateIsEESE_NS9_11use_defaultESI_EESE_sNS9_4plusIvEENS9_8equal_toIvEEsEE10hipError_tPvRmT2_T3_T4_T5_mT6_T7_P12ihipStream_tbENKUlT_T0_E_clISt17integral_constantIbLb0EES13_IbLb1EEEEDaSZ_S10_EUlSZ_E_NS1_11comp_targetILNS1_3genE3ELNS1_11target_archE908ELNS1_3gpuE7ELNS1_3repE0EEENS1_30default_config_static_selectorELNS0_4arch9wavefront6targetE0EEEvT1_.num_vgpr, 0
	.set _ZN7rocprim17ROCPRIM_400000_NS6detail17trampoline_kernelINS0_14default_configENS1_27scan_by_key_config_selectorIssEEZZNS1_16scan_by_key_implILNS1_25lookback_scan_determinismE0ELb0ES3_N6thrust23THRUST_200600_302600_NS6detail15normal_iteratorINS9_10device_ptrIsEEEENS9_18transform_iteratorINS9_6negateIsEESE_NS9_11use_defaultESI_EESE_sNS9_4plusIvEENS9_8equal_toIvEEsEE10hipError_tPvRmT2_T3_T4_T5_mT6_T7_P12ihipStream_tbENKUlT_T0_E_clISt17integral_constantIbLb0EES13_IbLb1EEEEDaSZ_S10_EUlSZ_E_NS1_11comp_targetILNS1_3genE3ELNS1_11target_archE908ELNS1_3gpuE7ELNS1_3repE0EEENS1_30default_config_static_selectorELNS0_4arch9wavefront6targetE0EEEvT1_.num_agpr, 0
	.set _ZN7rocprim17ROCPRIM_400000_NS6detail17trampoline_kernelINS0_14default_configENS1_27scan_by_key_config_selectorIssEEZZNS1_16scan_by_key_implILNS1_25lookback_scan_determinismE0ELb0ES3_N6thrust23THRUST_200600_302600_NS6detail15normal_iteratorINS9_10device_ptrIsEEEENS9_18transform_iteratorINS9_6negateIsEESE_NS9_11use_defaultESI_EESE_sNS9_4plusIvEENS9_8equal_toIvEEsEE10hipError_tPvRmT2_T3_T4_T5_mT6_T7_P12ihipStream_tbENKUlT_T0_E_clISt17integral_constantIbLb0EES13_IbLb1EEEEDaSZ_S10_EUlSZ_E_NS1_11comp_targetILNS1_3genE3ELNS1_11target_archE908ELNS1_3gpuE7ELNS1_3repE0EEENS1_30default_config_static_selectorELNS0_4arch9wavefront6targetE0EEEvT1_.numbered_sgpr, 0
	.set _ZN7rocprim17ROCPRIM_400000_NS6detail17trampoline_kernelINS0_14default_configENS1_27scan_by_key_config_selectorIssEEZZNS1_16scan_by_key_implILNS1_25lookback_scan_determinismE0ELb0ES3_N6thrust23THRUST_200600_302600_NS6detail15normal_iteratorINS9_10device_ptrIsEEEENS9_18transform_iteratorINS9_6negateIsEESE_NS9_11use_defaultESI_EESE_sNS9_4plusIvEENS9_8equal_toIvEEsEE10hipError_tPvRmT2_T3_T4_T5_mT6_T7_P12ihipStream_tbENKUlT_T0_E_clISt17integral_constantIbLb0EES13_IbLb1EEEEDaSZ_S10_EUlSZ_E_NS1_11comp_targetILNS1_3genE3ELNS1_11target_archE908ELNS1_3gpuE7ELNS1_3repE0EEENS1_30default_config_static_selectorELNS0_4arch9wavefront6targetE0EEEvT1_.num_named_barrier, 0
	.set _ZN7rocprim17ROCPRIM_400000_NS6detail17trampoline_kernelINS0_14default_configENS1_27scan_by_key_config_selectorIssEEZZNS1_16scan_by_key_implILNS1_25lookback_scan_determinismE0ELb0ES3_N6thrust23THRUST_200600_302600_NS6detail15normal_iteratorINS9_10device_ptrIsEEEENS9_18transform_iteratorINS9_6negateIsEESE_NS9_11use_defaultESI_EESE_sNS9_4plusIvEENS9_8equal_toIvEEsEE10hipError_tPvRmT2_T3_T4_T5_mT6_T7_P12ihipStream_tbENKUlT_T0_E_clISt17integral_constantIbLb0EES13_IbLb1EEEEDaSZ_S10_EUlSZ_E_NS1_11comp_targetILNS1_3genE3ELNS1_11target_archE908ELNS1_3gpuE7ELNS1_3repE0EEENS1_30default_config_static_selectorELNS0_4arch9wavefront6targetE0EEEvT1_.private_seg_size, 0
	.set _ZN7rocprim17ROCPRIM_400000_NS6detail17trampoline_kernelINS0_14default_configENS1_27scan_by_key_config_selectorIssEEZZNS1_16scan_by_key_implILNS1_25lookback_scan_determinismE0ELb0ES3_N6thrust23THRUST_200600_302600_NS6detail15normal_iteratorINS9_10device_ptrIsEEEENS9_18transform_iteratorINS9_6negateIsEESE_NS9_11use_defaultESI_EESE_sNS9_4plusIvEENS9_8equal_toIvEEsEE10hipError_tPvRmT2_T3_T4_T5_mT6_T7_P12ihipStream_tbENKUlT_T0_E_clISt17integral_constantIbLb0EES13_IbLb1EEEEDaSZ_S10_EUlSZ_E_NS1_11comp_targetILNS1_3genE3ELNS1_11target_archE908ELNS1_3gpuE7ELNS1_3repE0EEENS1_30default_config_static_selectorELNS0_4arch9wavefront6targetE0EEEvT1_.uses_vcc, 0
	.set _ZN7rocprim17ROCPRIM_400000_NS6detail17trampoline_kernelINS0_14default_configENS1_27scan_by_key_config_selectorIssEEZZNS1_16scan_by_key_implILNS1_25lookback_scan_determinismE0ELb0ES3_N6thrust23THRUST_200600_302600_NS6detail15normal_iteratorINS9_10device_ptrIsEEEENS9_18transform_iteratorINS9_6negateIsEESE_NS9_11use_defaultESI_EESE_sNS9_4plusIvEENS9_8equal_toIvEEsEE10hipError_tPvRmT2_T3_T4_T5_mT6_T7_P12ihipStream_tbENKUlT_T0_E_clISt17integral_constantIbLb0EES13_IbLb1EEEEDaSZ_S10_EUlSZ_E_NS1_11comp_targetILNS1_3genE3ELNS1_11target_archE908ELNS1_3gpuE7ELNS1_3repE0EEENS1_30default_config_static_selectorELNS0_4arch9wavefront6targetE0EEEvT1_.uses_flat_scratch, 0
	.set _ZN7rocprim17ROCPRIM_400000_NS6detail17trampoline_kernelINS0_14default_configENS1_27scan_by_key_config_selectorIssEEZZNS1_16scan_by_key_implILNS1_25lookback_scan_determinismE0ELb0ES3_N6thrust23THRUST_200600_302600_NS6detail15normal_iteratorINS9_10device_ptrIsEEEENS9_18transform_iteratorINS9_6negateIsEESE_NS9_11use_defaultESI_EESE_sNS9_4plusIvEENS9_8equal_toIvEEsEE10hipError_tPvRmT2_T3_T4_T5_mT6_T7_P12ihipStream_tbENKUlT_T0_E_clISt17integral_constantIbLb0EES13_IbLb1EEEEDaSZ_S10_EUlSZ_E_NS1_11comp_targetILNS1_3genE3ELNS1_11target_archE908ELNS1_3gpuE7ELNS1_3repE0EEENS1_30default_config_static_selectorELNS0_4arch9wavefront6targetE0EEEvT1_.has_dyn_sized_stack, 0
	.set _ZN7rocprim17ROCPRIM_400000_NS6detail17trampoline_kernelINS0_14default_configENS1_27scan_by_key_config_selectorIssEEZZNS1_16scan_by_key_implILNS1_25lookback_scan_determinismE0ELb0ES3_N6thrust23THRUST_200600_302600_NS6detail15normal_iteratorINS9_10device_ptrIsEEEENS9_18transform_iteratorINS9_6negateIsEESE_NS9_11use_defaultESI_EESE_sNS9_4plusIvEENS9_8equal_toIvEEsEE10hipError_tPvRmT2_T3_T4_T5_mT6_T7_P12ihipStream_tbENKUlT_T0_E_clISt17integral_constantIbLb0EES13_IbLb1EEEEDaSZ_S10_EUlSZ_E_NS1_11comp_targetILNS1_3genE3ELNS1_11target_archE908ELNS1_3gpuE7ELNS1_3repE0EEENS1_30default_config_static_selectorELNS0_4arch9wavefront6targetE0EEEvT1_.has_recursion, 0
	.set _ZN7rocprim17ROCPRIM_400000_NS6detail17trampoline_kernelINS0_14default_configENS1_27scan_by_key_config_selectorIssEEZZNS1_16scan_by_key_implILNS1_25lookback_scan_determinismE0ELb0ES3_N6thrust23THRUST_200600_302600_NS6detail15normal_iteratorINS9_10device_ptrIsEEEENS9_18transform_iteratorINS9_6negateIsEESE_NS9_11use_defaultESI_EESE_sNS9_4plusIvEENS9_8equal_toIvEEsEE10hipError_tPvRmT2_T3_T4_T5_mT6_T7_P12ihipStream_tbENKUlT_T0_E_clISt17integral_constantIbLb0EES13_IbLb1EEEEDaSZ_S10_EUlSZ_E_NS1_11comp_targetILNS1_3genE3ELNS1_11target_archE908ELNS1_3gpuE7ELNS1_3repE0EEENS1_30default_config_static_selectorELNS0_4arch9wavefront6targetE0EEEvT1_.has_indirect_call, 0
	.section	.AMDGPU.csdata,"",@progbits
; Kernel info:
; codeLenInByte = 0
; TotalNumSgprs: 0
; NumVgprs: 0
; ScratchSize: 0
; MemoryBound: 0
; FloatMode: 240
; IeeeMode: 1
; LDSByteSize: 0 bytes/workgroup (compile time only)
; SGPRBlocks: 0
; VGPRBlocks: 0
; NumSGPRsForWavesPerEU: 1
; NumVGPRsForWavesPerEU: 1
; NamedBarCnt: 0
; Occupancy: 16
; WaveLimiterHint : 0
; COMPUTE_PGM_RSRC2:SCRATCH_EN: 0
; COMPUTE_PGM_RSRC2:USER_SGPR: 2
; COMPUTE_PGM_RSRC2:TRAP_HANDLER: 0
; COMPUTE_PGM_RSRC2:TGID_X_EN: 1
; COMPUTE_PGM_RSRC2:TGID_Y_EN: 0
; COMPUTE_PGM_RSRC2:TGID_Z_EN: 0
; COMPUTE_PGM_RSRC2:TIDIG_COMP_CNT: 0
	.section	.text._ZN7rocprim17ROCPRIM_400000_NS6detail17trampoline_kernelINS0_14default_configENS1_27scan_by_key_config_selectorIssEEZZNS1_16scan_by_key_implILNS1_25lookback_scan_determinismE0ELb0ES3_N6thrust23THRUST_200600_302600_NS6detail15normal_iteratorINS9_10device_ptrIsEEEENS9_18transform_iteratorINS9_6negateIsEESE_NS9_11use_defaultESI_EESE_sNS9_4plusIvEENS9_8equal_toIvEEsEE10hipError_tPvRmT2_T3_T4_T5_mT6_T7_P12ihipStream_tbENKUlT_T0_E_clISt17integral_constantIbLb0EES13_IbLb1EEEEDaSZ_S10_EUlSZ_E_NS1_11comp_targetILNS1_3genE2ELNS1_11target_archE906ELNS1_3gpuE6ELNS1_3repE0EEENS1_30default_config_static_selectorELNS0_4arch9wavefront6targetE0EEEvT1_,"axG",@progbits,_ZN7rocprim17ROCPRIM_400000_NS6detail17trampoline_kernelINS0_14default_configENS1_27scan_by_key_config_selectorIssEEZZNS1_16scan_by_key_implILNS1_25lookback_scan_determinismE0ELb0ES3_N6thrust23THRUST_200600_302600_NS6detail15normal_iteratorINS9_10device_ptrIsEEEENS9_18transform_iteratorINS9_6negateIsEESE_NS9_11use_defaultESI_EESE_sNS9_4plusIvEENS9_8equal_toIvEEsEE10hipError_tPvRmT2_T3_T4_T5_mT6_T7_P12ihipStream_tbENKUlT_T0_E_clISt17integral_constantIbLb0EES13_IbLb1EEEEDaSZ_S10_EUlSZ_E_NS1_11comp_targetILNS1_3genE2ELNS1_11target_archE906ELNS1_3gpuE6ELNS1_3repE0EEENS1_30default_config_static_selectorELNS0_4arch9wavefront6targetE0EEEvT1_,comdat
	.protected	_ZN7rocprim17ROCPRIM_400000_NS6detail17trampoline_kernelINS0_14default_configENS1_27scan_by_key_config_selectorIssEEZZNS1_16scan_by_key_implILNS1_25lookback_scan_determinismE0ELb0ES3_N6thrust23THRUST_200600_302600_NS6detail15normal_iteratorINS9_10device_ptrIsEEEENS9_18transform_iteratorINS9_6negateIsEESE_NS9_11use_defaultESI_EESE_sNS9_4plusIvEENS9_8equal_toIvEEsEE10hipError_tPvRmT2_T3_T4_T5_mT6_T7_P12ihipStream_tbENKUlT_T0_E_clISt17integral_constantIbLb0EES13_IbLb1EEEEDaSZ_S10_EUlSZ_E_NS1_11comp_targetILNS1_3genE2ELNS1_11target_archE906ELNS1_3gpuE6ELNS1_3repE0EEENS1_30default_config_static_selectorELNS0_4arch9wavefront6targetE0EEEvT1_ ; -- Begin function _ZN7rocprim17ROCPRIM_400000_NS6detail17trampoline_kernelINS0_14default_configENS1_27scan_by_key_config_selectorIssEEZZNS1_16scan_by_key_implILNS1_25lookback_scan_determinismE0ELb0ES3_N6thrust23THRUST_200600_302600_NS6detail15normal_iteratorINS9_10device_ptrIsEEEENS9_18transform_iteratorINS9_6negateIsEESE_NS9_11use_defaultESI_EESE_sNS9_4plusIvEENS9_8equal_toIvEEsEE10hipError_tPvRmT2_T3_T4_T5_mT6_T7_P12ihipStream_tbENKUlT_T0_E_clISt17integral_constantIbLb0EES13_IbLb1EEEEDaSZ_S10_EUlSZ_E_NS1_11comp_targetILNS1_3genE2ELNS1_11target_archE906ELNS1_3gpuE6ELNS1_3repE0EEENS1_30default_config_static_selectorELNS0_4arch9wavefront6targetE0EEEvT1_
	.globl	_ZN7rocprim17ROCPRIM_400000_NS6detail17trampoline_kernelINS0_14default_configENS1_27scan_by_key_config_selectorIssEEZZNS1_16scan_by_key_implILNS1_25lookback_scan_determinismE0ELb0ES3_N6thrust23THRUST_200600_302600_NS6detail15normal_iteratorINS9_10device_ptrIsEEEENS9_18transform_iteratorINS9_6negateIsEESE_NS9_11use_defaultESI_EESE_sNS9_4plusIvEENS9_8equal_toIvEEsEE10hipError_tPvRmT2_T3_T4_T5_mT6_T7_P12ihipStream_tbENKUlT_T0_E_clISt17integral_constantIbLb0EES13_IbLb1EEEEDaSZ_S10_EUlSZ_E_NS1_11comp_targetILNS1_3genE2ELNS1_11target_archE906ELNS1_3gpuE6ELNS1_3repE0EEENS1_30default_config_static_selectorELNS0_4arch9wavefront6targetE0EEEvT1_
	.p2align	8
	.type	_ZN7rocprim17ROCPRIM_400000_NS6detail17trampoline_kernelINS0_14default_configENS1_27scan_by_key_config_selectorIssEEZZNS1_16scan_by_key_implILNS1_25lookback_scan_determinismE0ELb0ES3_N6thrust23THRUST_200600_302600_NS6detail15normal_iteratorINS9_10device_ptrIsEEEENS9_18transform_iteratorINS9_6negateIsEESE_NS9_11use_defaultESI_EESE_sNS9_4plusIvEENS9_8equal_toIvEEsEE10hipError_tPvRmT2_T3_T4_T5_mT6_T7_P12ihipStream_tbENKUlT_T0_E_clISt17integral_constantIbLb0EES13_IbLb1EEEEDaSZ_S10_EUlSZ_E_NS1_11comp_targetILNS1_3genE2ELNS1_11target_archE906ELNS1_3gpuE6ELNS1_3repE0EEENS1_30default_config_static_selectorELNS0_4arch9wavefront6targetE0EEEvT1_,@function
_ZN7rocprim17ROCPRIM_400000_NS6detail17trampoline_kernelINS0_14default_configENS1_27scan_by_key_config_selectorIssEEZZNS1_16scan_by_key_implILNS1_25lookback_scan_determinismE0ELb0ES3_N6thrust23THRUST_200600_302600_NS6detail15normal_iteratorINS9_10device_ptrIsEEEENS9_18transform_iteratorINS9_6negateIsEESE_NS9_11use_defaultESI_EESE_sNS9_4plusIvEENS9_8equal_toIvEEsEE10hipError_tPvRmT2_T3_T4_T5_mT6_T7_P12ihipStream_tbENKUlT_T0_E_clISt17integral_constantIbLb0EES13_IbLb1EEEEDaSZ_S10_EUlSZ_E_NS1_11comp_targetILNS1_3genE2ELNS1_11target_archE906ELNS1_3gpuE6ELNS1_3repE0EEENS1_30default_config_static_selectorELNS0_4arch9wavefront6targetE0EEEvT1_: ; @_ZN7rocprim17ROCPRIM_400000_NS6detail17trampoline_kernelINS0_14default_configENS1_27scan_by_key_config_selectorIssEEZZNS1_16scan_by_key_implILNS1_25lookback_scan_determinismE0ELb0ES3_N6thrust23THRUST_200600_302600_NS6detail15normal_iteratorINS9_10device_ptrIsEEEENS9_18transform_iteratorINS9_6negateIsEESE_NS9_11use_defaultESI_EESE_sNS9_4plusIvEENS9_8equal_toIvEEsEE10hipError_tPvRmT2_T3_T4_T5_mT6_T7_P12ihipStream_tbENKUlT_T0_E_clISt17integral_constantIbLb0EES13_IbLb1EEEEDaSZ_S10_EUlSZ_E_NS1_11comp_targetILNS1_3genE2ELNS1_11target_archE906ELNS1_3gpuE6ELNS1_3repE0EEENS1_30default_config_static_selectorELNS0_4arch9wavefront6targetE0EEEvT1_
; %bb.0:
	.section	.rodata,"a",@progbits
	.p2align	6, 0x0
	.amdhsa_kernel _ZN7rocprim17ROCPRIM_400000_NS6detail17trampoline_kernelINS0_14default_configENS1_27scan_by_key_config_selectorIssEEZZNS1_16scan_by_key_implILNS1_25lookback_scan_determinismE0ELb0ES3_N6thrust23THRUST_200600_302600_NS6detail15normal_iteratorINS9_10device_ptrIsEEEENS9_18transform_iteratorINS9_6negateIsEESE_NS9_11use_defaultESI_EESE_sNS9_4plusIvEENS9_8equal_toIvEEsEE10hipError_tPvRmT2_T3_T4_T5_mT6_T7_P12ihipStream_tbENKUlT_T0_E_clISt17integral_constantIbLb0EES13_IbLb1EEEEDaSZ_S10_EUlSZ_E_NS1_11comp_targetILNS1_3genE2ELNS1_11target_archE906ELNS1_3gpuE6ELNS1_3repE0EEENS1_30default_config_static_selectorELNS0_4arch9wavefront6targetE0EEEvT1_
		.amdhsa_group_segment_fixed_size 0
		.amdhsa_private_segment_fixed_size 0
		.amdhsa_kernarg_size 120
		.amdhsa_user_sgpr_count 2
		.amdhsa_user_sgpr_dispatch_ptr 0
		.amdhsa_user_sgpr_queue_ptr 0
		.amdhsa_user_sgpr_kernarg_segment_ptr 1
		.amdhsa_user_sgpr_dispatch_id 0
		.amdhsa_user_sgpr_kernarg_preload_length 0
		.amdhsa_user_sgpr_kernarg_preload_offset 0
		.amdhsa_user_sgpr_private_segment_size 0
		.amdhsa_wavefront_size32 1
		.amdhsa_uses_dynamic_stack 0
		.amdhsa_enable_private_segment 0
		.amdhsa_system_sgpr_workgroup_id_x 1
		.amdhsa_system_sgpr_workgroup_id_y 0
		.amdhsa_system_sgpr_workgroup_id_z 0
		.amdhsa_system_sgpr_workgroup_info 0
		.amdhsa_system_vgpr_workitem_id 0
		.amdhsa_next_free_vgpr 1
		.amdhsa_next_free_sgpr 1
		.amdhsa_named_barrier_count 0
		.amdhsa_reserve_vcc 0
		.amdhsa_float_round_mode_32 0
		.amdhsa_float_round_mode_16_64 0
		.amdhsa_float_denorm_mode_32 3
		.amdhsa_float_denorm_mode_16_64 3
		.amdhsa_fp16_overflow 0
		.amdhsa_memory_ordered 1
		.amdhsa_forward_progress 1
		.amdhsa_inst_pref_size 0
		.amdhsa_round_robin_scheduling 0
		.amdhsa_exception_fp_ieee_invalid_op 0
		.amdhsa_exception_fp_denorm_src 0
		.amdhsa_exception_fp_ieee_div_zero 0
		.amdhsa_exception_fp_ieee_overflow 0
		.amdhsa_exception_fp_ieee_underflow 0
		.amdhsa_exception_fp_ieee_inexact 0
		.amdhsa_exception_int_div_zero 0
	.end_amdhsa_kernel
	.section	.text._ZN7rocprim17ROCPRIM_400000_NS6detail17trampoline_kernelINS0_14default_configENS1_27scan_by_key_config_selectorIssEEZZNS1_16scan_by_key_implILNS1_25lookback_scan_determinismE0ELb0ES3_N6thrust23THRUST_200600_302600_NS6detail15normal_iteratorINS9_10device_ptrIsEEEENS9_18transform_iteratorINS9_6negateIsEESE_NS9_11use_defaultESI_EESE_sNS9_4plusIvEENS9_8equal_toIvEEsEE10hipError_tPvRmT2_T3_T4_T5_mT6_T7_P12ihipStream_tbENKUlT_T0_E_clISt17integral_constantIbLb0EES13_IbLb1EEEEDaSZ_S10_EUlSZ_E_NS1_11comp_targetILNS1_3genE2ELNS1_11target_archE906ELNS1_3gpuE6ELNS1_3repE0EEENS1_30default_config_static_selectorELNS0_4arch9wavefront6targetE0EEEvT1_,"axG",@progbits,_ZN7rocprim17ROCPRIM_400000_NS6detail17trampoline_kernelINS0_14default_configENS1_27scan_by_key_config_selectorIssEEZZNS1_16scan_by_key_implILNS1_25lookback_scan_determinismE0ELb0ES3_N6thrust23THRUST_200600_302600_NS6detail15normal_iteratorINS9_10device_ptrIsEEEENS9_18transform_iteratorINS9_6negateIsEESE_NS9_11use_defaultESI_EESE_sNS9_4plusIvEENS9_8equal_toIvEEsEE10hipError_tPvRmT2_T3_T4_T5_mT6_T7_P12ihipStream_tbENKUlT_T0_E_clISt17integral_constantIbLb0EES13_IbLb1EEEEDaSZ_S10_EUlSZ_E_NS1_11comp_targetILNS1_3genE2ELNS1_11target_archE906ELNS1_3gpuE6ELNS1_3repE0EEENS1_30default_config_static_selectorELNS0_4arch9wavefront6targetE0EEEvT1_,comdat
.Lfunc_end997:
	.size	_ZN7rocprim17ROCPRIM_400000_NS6detail17trampoline_kernelINS0_14default_configENS1_27scan_by_key_config_selectorIssEEZZNS1_16scan_by_key_implILNS1_25lookback_scan_determinismE0ELb0ES3_N6thrust23THRUST_200600_302600_NS6detail15normal_iteratorINS9_10device_ptrIsEEEENS9_18transform_iteratorINS9_6negateIsEESE_NS9_11use_defaultESI_EESE_sNS9_4plusIvEENS9_8equal_toIvEEsEE10hipError_tPvRmT2_T3_T4_T5_mT6_T7_P12ihipStream_tbENKUlT_T0_E_clISt17integral_constantIbLb0EES13_IbLb1EEEEDaSZ_S10_EUlSZ_E_NS1_11comp_targetILNS1_3genE2ELNS1_11target_archE906ELNS1_3gpuE6ELNS1_3repE0EEENS1_30default_config_static_selectorELNS0_4arch9wavefront6targetE0EEEvT1_, .Lfunc_end997-_ZN7rocprim17ROCPRIM_400000_NS6detail17trampoline_kernelINS0_14default_configENS1_27scan_by_key_config_selectorIssEEZZNS1_16scan_by_key_implILNS1_25lookback_scan_determinismE0ELb0ES3_N6thrust23THRUST_200600_302600_NS6detail15normal_iteratorINS9_10device_ptrIsEEEENS9_18transform_iteratorINS9_6negateIsEESE_NS9_11use_defaultESI_EESE_sNS9_4plusIvEENS9_8equal_toIvEEsEE10hipError_tPvRmT2_T3_T4_T5_mT6_T7_P12ihipStream_tbENKUlT_T0_E_clISt17integral_constantIbLb0EES13_IbLb1EEEEDaSZ_S10_EUlSZ_E_NS1_11comp_targetILNS1_3genE2ELNS1_11target_archE906ELNS1_3gpuE6ELNS1_3repE0EEENS1_30default_config_static_selectorELNS0_4arch9wavefront6targetE0EEEvT1_
                                        ; -- End function
	.set _ZN7rocprim17ROCPRIM_400000_NS6detail17trampoline_kernelINS0_14default_configENS1_27scan_by_key_config_selectorIssEEZZNS1_16scan_by_key_implILNS1_25lookback_scan_determinismE0ELb0ES3_N6thrust23THRUST_200600_302600_NS6detail15normal_iteratorINS9_10device_ptrIsEEEENS9_18transform_iteratorINS9_6negateIsEESE_NS9_11use_defaultESI_EESE_sNS9_4plusIvEENS9_8equal_toIvEEsEE10hipError_tPvRmT2_T3_T4_T5_mT6_T7_P12ihipStream_tbENKUlT_T0_E_clISt17integral_constantIbLb0EES13_IbLb1EEEEDaSZ_S10_EUlSZ_E_NS1_11comp_targetILNS1_3genE2ELNS1_11target_archE906ELNS1_3gpuE6ELNS1_3repE0EEENS1_30default_config_static_selectorELNS0_4arch9wavefront6targetE0EEEvT1_.num_vgpr, 0
	.set _ZN7rocprim17ROCPRIM_400000_NS6detail17trampoline_kernelINS0_14default_configENS1_27scan_by_key_config_selectorIssEEZZNS1_16scan_by_key_implILNS1_25lookback_scan_determinismE0ELb0ES3_N6thrust23THRUST_200600_302600_NS6detail15normal_iteratorINS9_10device_ptrIsEEEENS9_18transform_iteratorINS9_6negateIsEESE_NS9_11use_defaultESI_EESE_sNS9_4plusIvEENS9_8equal_toIvEEsEE10hipError_tPvRmT2_T3_T4_T5_mT6_T7_P12ihipStream_tbENKUlT_T0_E_clISt17integral_constantIbLb0EES13_IbLb1EEEEDaSZ_S10_EUlSZ_E_NS1_11comp_targetILNS1_3genE2ELNS1_11target_archE906ELNS1_3gpuE6ELNS1_3repE0EEENS1_30default_config_static_selectorELNS0_4arch9wavefront6targetE0EEEvT1_.num_agpr, 0
	.set _ZN7rocprim17ROCPRIM_400000_NS6detail17trampoline_kernelINS0_14default_configENS1_27scan_by_key_config_selectorIssEEZZNS1_16scan_by_key_implILNS1_25lookback_scan_determinismE0ELb0ES3_N6thrust23THRUST_200600_302600_NS6detail15normal_iteratorINS9_10device_ptrIsEEEENS9_18transform_iteratorINS9_6negateIsEESE_NS9_11use_defaultESI_EESE_sNS9_4plusIvEENS9_8equal_toIvEEsEE10hipError_tPvRmT2_T3_T4_T5_mT6_T7_P12ihipStream_tbENKUlT_T0_E_clISt17integral_constantIbLb0EES13_IbLb1EEEEDaSZ_S10_EUlSZ_E_NS1_11comp_targetILNS1_3genE2ELNS1_11target_archE906ELNS1_3gpuE6ELNS1_3repE0EEENS1_30default_config_static_selectorELNS0_4arch9wavefront6targetE0EEEvT1_.numbered_sgpr, 0
	.set _ZN7rocprim17ROCPRIM_400000_NS6detail17trampoline_kernelINS0_14default_configENS1_27scan_by_key_config_selectorIssEEZZNS1_16scan_by_key_implILNS1_25lookback_scan_determinismE0ELb0ES3_N6thrust23THRUST_200600_302600_NS6detail15normal_iteratorINS9_10device_ptrIsEEEENS9_18transform_iteratorINS9_6negateIsEESE_NS9_11use_defaultESI_EESE_sNS9_4plusIvEENS9_8equal_toIvEEsEE10hipError_tPvRmT2_T3_T4_T5_mT6_T7_P12ihipStream_tbENKUlT_T0_E_clISt17integral_constantIbLb0EES13_IbLb1EEEEDaSZ_S10_EUlSZ_E_NS1_11comp_targetILNS1_3genE2ELNS1_11target_archE906ELNS1_3gpuE6ELNS1_3repE0EEENS1_30default_config_static_selectorELNS0_4arch9wavefront6targetE0EEEvT1_.num_named_barrier, 0
	.set _ZN7rocprim17ROCPRIM_400000_NS6detail17trampoline_kernelINS0_14default_configENS1_27scan_by_key_config_selectorIssEEZZNS1_16scan_by_key_implILNS1_25lookback_scan_determinismE0ELb0ES3_N6thrust23THRUST_200600_302600_NS6detail15normal_iteratorINS9_10device_ptrIsEEEENS9_18transform_iteratorINS9_6negateIsEESE_NS9_11use_defaultESI_EESE_sNS9_4plusIvEENS9_8equal_toIvEEsEE10hipError_tPvRmT2_T3_T4_T5_mT6_T7_P12ihipStream_tbENKUlT_T0_E_clISt17integral_constantIbLb0EES13_IbLb1EEEEDaSZ_S10_EUlSZ_E_NS1_11comp_targetILNS1_3genE2ELNS1_11target_archE906ELNS1_3gpuE6ELNS1_3repE0EEENS1_30default_config_static_selectorELNS0_4arch9wavefront6targetE0EEEvT1_.private_seg_size, 0
	.set _ZN7rocprim17ROCPRIM_400000_NS6detail17trampoline_kernelINS0_14default_configENS1_27scan_by_key_config_selectorIssEEZZNS1_16scan_by_key_implILNS1_25lookback_scan_determinismE0ELb0ES3_N6thrust23THRUST_200600_302600_NS6detail15normal_iteratorINS9_10device_ptrIsEEEENS9_18transform_iteratorINS9_6negateIsEESE_NS9_11use_defaultESI_EESE_sNS9_4plusIvEENS9_8equal_toIvEEsEE10hipError_tPvRmT2_T3_T4_T5_mT6_T7_P12ihipStream_tbENKUlT_T0_E_clISt17integral_constantIbLb0EES13_IbLb1EEEEDaSZ_S10_EUlSZ_E_NS1_11comp_targetILNS1_3genE2ELNS1_11target_archE906ELNS1_3gpuE6ELNS1_3repE0EEENS1_30default_config_static_selectorELNS0_4arch9wavefront6targetE0EEEvT1_.uses_vcc, 0
	.set _ZN7rocprim17ROCPRIM_400000_NS6detail17trampoline_kernelINS0_14default_configENS1_27scan_by_key_config_selectorIssEEZZNS1_16scan_by_key_implILNS1_25lookback_scan_determinismE0ELb0ES3_N6thrust23THRUST_200600_302600_NS6detail15normal_iteratorINS9_10device_ptrIsEEEENS9_18transform_iteratorINS9_6negateIsEESE_NS9_11use_defaultESI_EESE_sNS9_4plusIvEENS9_8equal_toIvEEsEE10hipError_tPvRmT2_T3_T4_T5_mT6_T7_P12ihipStream_tbENKUlT_T0_E_clISt17integral_constantIbLb0EES13_IbLb1EEEEDaSZ_S10_EUlSZ_E_NS1_11comp_targetILNS1_3genE2ELNS1_11target_archE906ELNS1_3gpuE6ELNS1_3repE0EEENS1_30default_config_static_selectorELNS0_4arch9wavefront6targetE0EEEvT1_.uses_flat_scratch, 0
	.set _ZN7rocprim17ROCPRIM_400000_NS6detail17trampoline_kernelINS0_14default_configENS1_27scan_by_key_config_selectorIssEEZZNS1_16scan_by_key_implILNS1_25lookback_scan_determinismE0ELb0ES3_N6thrust23THRUST_200600_302600_NS6detail15normal_iteratorINS9_10device_ptrIsEEEENS9_18transform_iteratorINS9_6negateIsEESE_NS9_11use_defaultESI_EESE_sNS9_4plusIvEENS9_8equal_toIvEEsEE10hipError_tPvRmT2_T3_T4_T5_mT6_T7_P12ihipStream_tbENKUlT_T0_E_clISt17integral_constantIbLb0EES13_IbLb1EEEEDaSZ_S10_EUlSZ_E_NS1_11comp_targetILNS1_3genE2ELNS1_11target_archE906ELNS1_3gpuE6ELNS1_3repE0EEENS1_30default_config_static_selectorELNS0_4arch9wavefront6targetE0EEEvT1_.has_dyn_sized_stack, 0
	.set _ZN7rocprim17ROCPRIM_400000_NS6detail17trampoline_kernelINS0_14default_configENS1_27scan_by_key_config_selectorIssEEZZNS1_16scan_by_key_implILNS1_25lookback_scan_determinismE0ELb0ES3_N6thrust23THRUST_200600_302600_NS6detail15normal_iteratorINS9_10device_ptrIsEEEENS9_18transform_iteratorINS9_6negateIsEESE_NS9_11use_defaultESI_EESE_sNS9_4plusIvEENS9_8equal_toIvEEsEE10hipError_tPvRmT2_T3_T4_T5_mT6_T7_P12ihipStream_tbENKUlT_T0_E_clISt17integral_constantIbLb0EES13_IbLb1EEEEDaSZ_S10_EUlSZ_E_NS1_11comp_targetILNS1_3genE2ELNS1_11target_archE906ELNS1_3gpuE6ELNS1_3repE0EEENS1_30default_config_static_selectorELNS0_4arch9wavefront6targetE0EEEvT1_.has_recursion, 0
	.set _ZN7rocprim17ROCPRIM_400000_NS6detail17trampoline_kernelINS0_14default_configENS1_27scan_by_key_config_selectorIssEEZZNS1_16scan_by_key_implILNS1_25lookback_scan_determinismE0ELb0ES3_N6thrust23THRUST_200600_302600_NS6detail15normal_iteratorINS9_10device_ptrIsEEEENS9_18transform_iteratorINS9_6negateIsEESE_NS9_11use_defaultESI_EESE_sNS9_4plusIvEENS9_8equal_toIvEEsEE10hipError_tPvRmT2_T3_T4_T5_mT6_T7_P12ihipStream_tbENKUlT_T0_E_clISt17integral_constantIbLb0EES13_IbLb1EEEEDaSZ_S10_EUlSZ_E_NS1_11comp_targetILNS1_3genE2ELNS1_11target_archE906ELNS1_3gpuE6ELNS1_3repE0EEENS1_30default_config_static_selectorELNS0_4arch9wavefront6targetE0EEEvT1_.has_indirect_call, 0
	.section	.AMDGPU.csdata,"",@progbits
; Kernel info:
; codeLenInByte = 0
; TotalNumSgprs: 0
; NumVgprs: 0
; ScratchSize: 0
; MemoryBound: 0
; FloatMode: 240
; IeeeMode: 1
; LDSByteSize: 0 bytes/workgroup (compile time only)
; SGPRBlocks: 0
; VGPRBlocks: 0
; NumSGPRsForWavesPerEU: 1
; NumVGPRsForWavesPerEU: 1
; NamedBarCnt: 0
; Occupancy: 16
; WaveLimiterHint : 0
; COMPUTE_PGM_RSRC2:SCRATCH_EN: 0
; COMPUTE_PGM_RSRC2:USER_SGPR: 2
; COMPUTE_PGM_RSRC2:TRAP_HANDLER: 0
; COMPUTE_PGM_RSRC2:TGID_X_EN: 1
; COMPUTE_PGM_RSRC2:TGID_Y_EN: 0
; COMPUTE_PGM_RSRC2:TGID_Z_EN: 0
; COMPUTE_PGM_RSRC2:TIDIG_COMP_CNT: 0
	.section	.text._ZN7rocprim17ROCPRIM_400000_NS6detail17trampoline_kernelINS0_14default_configENS1_27scan_by_key_config_selectorIssEEZZNS1_16scan_by_key_implILNS1_25lookback_scan_determinismE0ELb0ES3_N6thrust23THRUST_200600_302600_NS6detail15normal_iteratorINS9_10device_ptrIsEEEENS9_18transform_iteratorINS9_6negateIsEESE_NS9_11use_defaultESI_EESE_sNS9_4plusIvEENS9_8equal_toIvEEsEE10hipError_tPvRmT2_T3_T4_T5_mT6_T7_P12ihipStream_tbENKUlT_T0_E_clISt17integral_constantIbLb0EES13_IbLb1EEEEDaSZ_S10_EUlSZ_E_NS1_11comp_targetILNS1_3genE10ELNS1_11target_archE1200ELNS1_3gpuE4ELNS1_3repE0EEENS1_30default_config_static_selectorELNS0_4arch9wavefront6targetE0EEEvT1_,"axG",@progbits,_ZN7rocprim17ROCPRIM_400000_NS6detail17trampoline_kernelINS0_14default_configENS1_27scan_by_key_config_selectorIssEEZZNS1_16scan_by_key_implILNS1_25lookback_scan_determinismE0ELb0ES3_N6thrust23THRUST_200600_302600_NS6detail15normal_iteratorINS9_10device_ptrIsEEEENS9_18transform_iteratorINS9_6negateIsEESE_NS9_11use_defaultESI_EESE_sNS9_4plusIvEENS9_8equal_toIvEEsEE10hipError_tPvRmT2_T3_T4_T5_mT6_T7_P12ihipStream_tbENKUlT_T0_E_clISt17integral_constantIbLb0EES13_IbLb1EEEEDaSZ_S10_EUlSZ_E_NS1_11comp_targetILNS1_3genE10ELNS1_11target_archE1200ELNS1_3gpuE4ELNS1_3repE0EEENS1_30default_config_static_selectorELNS0_4arch9wavefront6targetE0EEEvT1_,comdat
	.protected	_ZN7rocprim17ROCPRIM_400000_NS6detail17trampoline_kernelINS0_14default_configENS1_27scan_by_key_config_selectorIssEEZZNS1_16scan_by_key_implILNS1_25lookback_scan_determinismE0ELb0ES3_N6thrust23THRUST_200600_302600_NS6detail15normal_iteratorINS9_10device_ptrIsEEEENS9_18transform_iteratorINS9_6negateIsEESE_NS9_11use_defaultESI_EESE_sNS9_4plusIvEENS9_8equal_toIvEEsEE10hipError_tPvRmT2_T3_T4_T5_mT6_T7_P12ihipStream_tbENKUlT_T0_E_clISt17integral_constantIbLb0EES13_IbLb1EEEEDaSZ_S10_EUlSZ_E_NS1_11comp_targetILNS1_3genE10ELNS1_11target_archE1200ELNS1_3gpuE4ELNS1_3repE0EEENS1_30default_config_static_selectorELNS0_4arch9wavefront6targetE0EEEvT1_ ; -- Begin function _ZN7rocprim17ROCPRIM_400000_NS6detail17trampoline_kernelINS0_14default_configENS1_27scan_by_key_config_selectorIssEEZZNS1_16scan_by_key_implILNS1_25lookback_scan_determinismE0ELb0ES3_N6thrust23THRUST_200600_302600_NS6detail15normal_iteratorINS9_10device_ptrIsEEEENS9_18transform_iteratorINS9_6negateIsEESE_NS9_11use_defaultESI_EESE_sNS9_4plusIvEENS9_8equal_toIvEEsEE10hipError_tPvRmT2_T3_T4_T5_mT6_T7_P12ihipStream_tbENKUlT_T0_E_clISt17integral_constantIbLb0EES13_IbLb1EEEEDaSZ_S10_EUlSZ_E_NS1_11comp_targetILNS1_3genE10ELNS1_11target_archE1200ELNS1_3gpuE4ELNS1_3repE0EEENS1_30default_config_static_selectorELNS0_4arch9wavefront6targetE0EEEvT1_
	.globl	_ZN7rocprim17ROCPRIM_400000_NS6detail17trampoline_kernelINS0_14default_configENS1_27scan_by_key_config_selectorIssEEZZNS1_16scan_by_key_implILNS1_25lookback_scan_determinismE0ELb0ES3_N6thrust23THRUST_200600_302600_NS6detail15normal_iteratorINS9_10device_ptrIsEEEENS9_18transform_iteratorINS9_6negateIsEESE_NS9_11use_defaultESI_EESE_sNS9_4plusIvEENS9_8equal_toIvEEsEE10hipError_tPvRmT2_T3_T4_T5_mT6_T7_P12ihipStream_tbENKUlT_T0_E_clISt17integral_constantIbLb0EES13_IbLb1EEEEDaSZ_S10_EUlSZ_E_NS1_11comp_targetILNS1_3genE10ELNS1_11target_archE1200ELNS1_3gpuE4ELNS1_3repE0EEENS1_30default_config_static_selectorELNS0_4arch9wavefront6targetE0EEEvT1_
	.p2align	8
	.type	_ZN7rocprim17ROCPRIM_400000_NS6detail17trampoline_kernelINS0_14default_configENS1_27scan_by_key_config_selectorIssEEZZNS1_16scan_by_key_implILNS1_25lookback_scan_determinismE0ELb0ES3_N6thrust23THRUST_200600_302600_NS6detail15normal_iteratorINS9_10device_ptrIsEEEENS9_18transform_iteratorINS9_6negateIsEESE_NS9_11use_defaultESI_EESE_sNS9_4plusIvEENS9_8equal_toIvEEsEE10hipError_tPvRmT2_T3_T4_T5_mT6_T7_P12ihipStream_tbENKUlT_T0_E_clISt17integral_constantIbLb0EES13_IbLb1EEEEDaSZ_S10_EUlSZ_E_NS1_11comp_targetILNS1_3genE10ELNS1_11target_archE1200ELNS1_3gpuE4ELNS1_3repE0EEENS1_30default_config_static_selectorELNS0_4arch9wavefront6targetE0EEEvT1_,@function
_ZN7rocprim17ROCPRIM_400000_NS6detail17trampoline_kernelINS0_14default_configENS1_27scan_by_key_config_selectorIssEEZZNS1_16scan_by_key_implILNS1_25lookback_scan_determinismE0ELb0ES3_N6thrust23THRUST_200600_302600_NS6detail15normal_iteratorINS9_10device_ptrIsEEEENS9_18transform_iteratorINS9_6negateIsEESE_NS9_11use_defaultESI_EESE_sNS9_4plusIvEENS9_8equal_toIvEEsEE10hipError_tPvRmT2_T3_T4_T5_mT6_T7_P12ihipStream_tbENKUlT_T0_E_clISt17integral_constantIbLb0EES13_IbLb1EEEEDaSZ_S10_EUlSZ_E_NS1_11comp_targetILNS1_3genE10ELNS1_11target_archE1200ELNS1_3gpuE4ELNS1_3repE0EEENS1_30default_config_static_selectorELNS0_4arch9wavefront6targetE0EEEvT1_: ; @_ZN7rocprim17ROCPRIM_400000_NS6detail17trampoline_kernelINS0_14default_configENS1_27scan_by_key_config_selectorIssEEZZNS1_16scan_by_key_implILNS1_25lookback_scan_determinismE0ELb0ES3_N6thrust23THRUST_200600_302600_NS6detail15normal_iteratorINS9_10device_ptrIsEEEENS9_18transform_iteratorINS9_6negateIsEESE_NS9_11use_defaultESI_EESE_sNS9_4plusIvEENS9_8equal_toIvEEsEE10hipError_tPvRmT2_T3_T4_T5_mT6_T7_P12ihipStream_tbENKUlT_T0_E_clISt17integral_constantIbLb0EES13_IbLb1EEEEDaSZ_S10_EUlSZ_E_NS1_11comp_targetILNS1_3genE10ELNS1_11target_archE1200ELNS1_3gpuE4ELNS1_3repE0EEENS1_30default_config_static_selectorELNS0_4arch9wavefront6targetE0EEEvT1_
; %bb.0:
	.section	.rodata,"a",@progbits
	.p2align	6, 0x0
	.amdhsa_kernel _ZN7rocprim17ROCPRIM_400000_NS6detail17trampoline_kernelINS0_14default_configENS1_27scan_by_key_config_selectorIssEEZZNS1_16scan_by_key_implILNS1_25lookback_scan_determinismE0ELb0ES3_N6thrust23THRUST_200600_302600_NS6detail15normal_iteratorINS9_10device_ptrIsEEEENS9_18transform_iteratorINS9_6negateIsEESE_NS9_11use_defaultESI_EESE_sNS9_4plusIvEENS9_8equal_toIvEEsEE10hipError_tPvRmT2_T3_T4_T5_mT6_T7_P12ihipStream_tbENKUlT_T0_E_clISt17integral_constantIbLb0EES13_IbLb1EEEEDaSZ_S10_EUlSZ_E_NS1_11comp_targetILNS1_3genE10ELNS1_11target_archE1200ELNS1_3gpuE4ELNS1_3repE0EEENS1_30default_config_static_selectorELNS0_4arch9wavefront6targetE0EEEvT1_
		.amdhsa_group_segment_fixed_size 0
		.amdhsa_private_segment_fixed_size 0
		.amdhsa_kernarg_size 120
		.amdhsa_user_sgpr_count 2
		.amdhsa_user_sgpr_dispatch_ptr 0
		.amdhsa_user_sgpr_queue_ptr 0
		.amdhsa_user_sgpr_kernarg_segment_ptr 1
		.amdhsa_user_sgpr_dispatch_id 0
		.amdhsa_user_sgpr_kernarg_preload_length 0
		.amdhsa_user_sgpr_kernarg_preload_offset 0
		.amdhsa_user_sgpr_private_segment_size 0
		.amdhsa_wavefront_size32 1
		.amdhsa_uses_dynamic_stack 0
		.amdhsa_enable_private_segment 0
		.amdhsa_system_sgpr_workgroup_id_x 1
		.amdhsa_system_sgpr_workgroup_id_y 0
		.amdhsa_system_sgpr_workgroup_id_z 0
		.amdhsa_system_sgpr_workgroup_info 0
		.amdhsa_system_vgpr_workitem_id 0
		.amdhsa_next_free_vgpr 1
		.amdhsa_next_free_sgpr 1
		.amdhsa_named_barrier_count 0
		.amdhsa_reserve_vcc 0
		.amdhsa_float_round_mode_32 0
		.amdhsa_float_round_mode_16_64 0
		.amdhsa_float_denorm_mode_32 3
		.amdhsa_float_denorm_mode_16_64 3
		.amdhsa_fp16_overflow 0
		.amdhsa_memory_ordered 1
		.amdhsa_forward_progress 1
		.amdhsa_inst_pref_size 0
		.amdhsa_round_robin_scheduling 0
		.amdhsa_exception_fp_ieee_invalid_op 0
		.amdhsa_exception_fp_denorm_src 0
		.amdhsa_exception_fp_ieee_div_zero 0
		.amdhsa_exception_fp_ieee_overflow 0
		.amdhsa_exception_fp_ieee_underflow 0
		.amdhsa_exception_fp_ieee_inexact 0
		.amdhsa_exception_int_div_zero 0
	.end_amdhsa_kernel
	.section	.text._ZN7rocprim17ROCPRIM_400000_NS6detail17trampoline_kernelINS0_14default_configENS1_27scan_by_key_config_selectorIssEEZZNS1_16scan_by_key_implILNS1_25lookback_scan_determinismE0ELb0ES3_N6thrust23THRUST_200600_302600_NS6detail15normal_iteratorINS9_10device_ptrIsEEEENS9_18transform_iteratorINS9_6negateIsEESE_NS9_11use_defaultESI_EESE_sNS9_4plusIvEENS9_8equal_toIvEEsEE10hipError_tPvRmT2_T3_T4_T5_mT6_T7_P12ihipStream_tbENKUlT_T0_E_clISt17integral_constantIbLb0EES13_IbLb1EEEEDaSZ_S10_EUlSZ_E_NS1_11comp_targetILNS1_3genE10ELNS1_11target_archE1200ELNS1_3gpuE4ELNS1_3repE0EEENS1_30default_config_static_selectorELNS0_4arch9wavefront6targetE0EEEvT1_,"axG",@progbits,_ZN7rocprim17ROCPRIM_400000_NS6detail17trampoline_kernelINS0_14default_configENS1_27scan_by_key_config_selectorIssEEZZNS1_16scan_by_key_implILNS1_25lookback_scan_determinismE0ELb0ES3_N6thrust23THRUST_200600_302600_NS6detail15normal_iteratorINS9_10device_ptrIsEEEENS9_18transform_iteratorINS9_6negateIsEESE_NS9_11use_defaultESI_EESE_sNS9_4plusIvEENS9_8equal_toIvEEsEE10hipError_tPvRmT2_T3_T4_T5_mT6_T7_P12ihipStream_tbENKUlT_T0_E_clISt17integral_constantIbLb0EES13_IbLb1EEEEDaSZ_S10_EUlSZ_E_NS1_11comp_targetILNS1_3genE10ELNS1_11target_archE1200ELNS1_3gpuE4ELNS1_3repE0EEENS1_30default_config_static_selectorELNS0_4arch9wavefront6targetE0EEEvT1_,comdat
.Lfunc_end998:
	.size	_ZN7rocprim17ROCPRIM_400000_NS6detail17trampoline_kernelINS0_14default_configENS1_27scan_by_key_config_selectorIssEEZZNS1_16scan_by_key_implILNS1_25lookback_scan_determinismE0ELb0ES3_N6thrust23THRUST_200600_302600_NS6detail15normal_iteratorINS9_10device_ptrIsEEEENS9_18transform_iteratorINS9_6negateIsEESE_NS9_11use_defaultESI_EESE_sNS9_4plusIvEENS9_8equal_toIvEEsEE10hipError_tPvRmT2_T3_T4_T5_mT6_T7_P12ihipStream_tbENKUlT_T0_E_clISt17integral_constantIbLb0EES13_IbLb1EEEEDaSZ_S10_EUlSZ_E_NS1_11comp_targetILNS1_3genE10ELNS1_11target_archE1200ELNS1_3gpuE4ELNS1_3repE0EEENS1_30default_config_static_selectorELNS0_4arch9wavefront6targetE0EEEvT1_, .Lfunc_end998-_ZN7rocprim17ROCPRIM_400000_NS6detail17trampoline_kernelINS0_14default_configENS1_27scan_by_key_config_selectorIssEEZZNS1_16scan_by_key_implILNS1_25lookback_scan_determinismE0ELb0ES3_N6thrust23THRUST_200600_302600_NS6detail15normal_iteratorINS9_10device_ptrIsEEEENS9_18transform_iteratorINS9_6negateIsEESE_NS9_11use_defaultESI_EESE_sNS9_4plusIvEENS9_8equal_toIvEEsEE10hipError_tPvRmT2_T3_T4_T5_mT6_T7_P12ihipStream_tbENKUlT_T0_E_clISt17integral_constantIbLb0EES13_IbLb1EEEEDaSZ_S10_EUlSZ_E_NS1_11comp_targetILNS1_3genE10ELNS1_11target_archE1200ELNS1_3gpuE4ELNS1_3repE0EEENS1_30default_config_static_selectorELNS0_4arch9wavefront6targetE0EEEvT1_
                                        ; -- End function
	.set _ZN7rocprim17ROCPRIM_400000_NS6detail17trampoline_kernelINS0_14default_configENS1_27scan_by_key_config_selectorIssEEZZNS1_16scan_by_key_implILNS1_25lookback_scan_determinismE0ELb0ES3_N6thrust23THRUST_200600_302600_NS6detail15normal_iteratorINS9_10device_ptrIsEEEENS9_18transform_iteratorINS9_6negateIsEESE_NS9_11use_defaultESI_EESE_sNS9_4plusIvEENS9_8equal_toIvEEsEE10hipError_tPvRmT2_T3_T4_T5_mT6_T7_P12ihipStream_tbENKUlT_T0_E_clISt17integral_constantIbLb0EES13_IbLb1EEEEDaSZ_S10_EUlSZ_E_NS1_11comp_targetILNS1_3genE10ELNS1_11target_archE1200ELNS1_3gpuE4ELNS1_3repE0EEENS1_30default_config_static_selectorELNS0_4arch9wavefront6targetE0EEEvT1_.num_vgpr, 0
	.set _ZN7rocprim17ROCPRIM_400000_NS6detail17trampoline_kernelINS0_14default_configENS1_27scan_by_key_config_selectorIssEEZZNS1_16scan_by_key_implILNS1_25lookback_scan_determinismE0ELb0ES3_N6thrust23THRUST_200600_302600_NS6detail15normal_iteratorINS9_10device_ptrIsEEEENS9_18transform_iteratorINS9_6negateIsEESE_NS9_11use_defaultESI_EESE_sNS9_4plusIvEENS9_8equal_toIvEEsEE10hipError_tPvRmT2_T3_T4_T5_mT6_T7_P12ihipStream_tbENKUlT_T0_E_clISt17integral_constantIbLb0EES13_IbLb1EEEEDaSZ_S10_EUlSZ_E_NS1_11comp_targetILNS1_3genE10ELNS1_11target_archE1200ELNS1_3gpuE4ELNS1_3repE0EEENS1_30default_config_static_selectorELNS0_4arch9wavefront6targetE0EEEvT1_.num_agpr, 0
	.set _ZN7rocprim17ROCPRIM_400000_NS6detail17trampoline_kernelINS0_14default_configENS1_27scan_by_key_config_selectorIssEEZZNS1_16scan_by_key_implILNS1_25lookback_scan_determinismE0ELb0ES3_N6thrust23THRUST_200600_302600_NS6detail15normal_iteratorINS9_10device_ptrIsEEEENS9_18transform_iteratorINS9_6negateIsEESE_NS9_11use_defaultESI_EESE_sNS9_4plusIvEENS9_8equal_toIvEEsEE10hipError_tPvRmT2_T3_T4_T5_mT6_T7_P12ihipStream_tbENKUlT_T0_E_clISt17integral_constantIbLb0EES13_IbLb1EEEEDaSZ_S10_EUlSZ_E_NS1_11comp_targetILNS1_3genE10ELNS1_11target_archE1200ELNS1_3gpuE4ELNS1_3repE0EEENS1_30default_config_static_selectorELNS0_4arch9wavefront6targetE0EEEvT1_.numbered_sgpr, 0
	.set _ZN7rocprim17ROCPRIM_400000_NS6detail17trampoline_kernelINS0_14default_configENS1_27scan_by_key_config_selectorIssEEZZNS1_16scan_by_key_implILNS1_25lookback_scan_determinismE0ELb0ES3_N6thrust23THRUST_200600_302600_NS6detail15normal_iteratorINS9_10device_ptrIsEEEENS9_18transform_iteratorINS9_6negateIsEESE_NS9_11use_defaultESI_EESE_sNS9_4plusIvEENS9_8equal_toIvEEsEE10hipError_tPvRmT2_T3_T4_T5_mT6_T7_P12ihipStream_tbENKUlT_T0_E_clISt17integral_constantIbLb0EES13_IbLb1EEEEDaSZ_S10_EUlSZ_E_NS1_11comp_targetILNS1_3genE10ELNS1_11target_archE1200ELNS1_3gpuE4ELNS1_3repE0EEENS1_30default_config_static_selectorELNS0_4arch9wavefront6targetE0EEEvT1_.num_named_barrier, 0
	.set _ZN7rocprim17ROCPRIM_400000_NS6detail17trampoline_kernelINS0_14default_configENS1_27scan_by_key_config_selectorIssEEZZNS1_16scan_by_key_implILNS1_25lookback_scan_determinismE0ELb0ES3_N6thrust23THRUST_200600_302600_NS6detail15normal_iteratorINS9_10device_ptrIsEEEENS9_18transform_iteratorINS9_6negateIsEESE_NS9_11use_defaultESI_EESE_sNS9_4plusIvEENS9_8equal_toIvEEsEE10hipError_tPvRmT2_T3_T4_T5_mT6_T7_P12ihipStream_tbENKUlT_T0_E_clISt17integral_constantIbLb0EES13_IbLb1EEEEDaSZ_S10_EUlSZ_E_NS1_11comp_targetILNS1_3genE10ELNS1_11target_archE1200ELNS1_3gpuE4ELNS1_3repE0EEENS1_30default_config_static_selectorELNS0_4arch9wavefront6targetE0EEEvT1_.private_seg_size, 0
	.set _ZN7rocprim17ROCPRIM_400000_NS6detail17trampoline_kernelINS0_14default_configENS1_27scan_by_key_config_selectorIssEEZZNS1_16scan_by_key_implILNS1_25lookback_scan_determinismE0ELb0ES3_N6thrust23THRUST_200600_302600_NS6detail15normal_iteratorINS9_10device_ptrIsEEEENS9_18transform_iteratorINS9_6negateIsEESE_NS9_11use_defaultESI_EESE_sNS9_4plusIvEENS9_8equal_toIvEEsEE10hipError_tPvRmT2_T3_T4_T5_mT6_T7_P12ihipStream_tbENKUlT_T0_E_clISt17integral_constantIbLb0EES13_IbLb1EEEEDaSZ_S10_EUlSZ_E_NS1_11comp_targetILNS1_3genE10ELNS1_11target_archE1200ELNS1_3gpuE4ELNS1_3repE0EEENS1_30default_config_static_selectorELNS0_4arch9wavefront6targetE0EEEvT1_.uses_vcc, 0
	.set _ZN7rocprim17ROCPRIM_400000_NS6detail17trampoline_kernelINS0_14default_configENS1_27scan_by_key_config_selectorIssEEZZNS1_16scan_by_key_implILNS1_25lookback_scan_determinismE0ELb0ES3_N6thrust23THRUST_200600_302600_NS6detail15normal_iteratorINS9_10device_ptrIsEEEENS9_18transform_iteratorINS9_6negateIsEESE_NS9_11use_defaultESI_EESE_sNS9_4plusIvEENS9_8equal_toIvEEsEE10hipError_tPvRmT2_T3_T4_T5_mT6_T7_P12ihipStream_tbENKUlT_T0_E_clISt17integral_constantIbLb0EES13_IbLb1EEEEDaSZ_S10_EUlSZ_E_NS1_11comp_targetILNS1_3genE10ELNS1_11target_archE1200ELNS1_3gpuE4ELNS1_3repE0EEENS1_30default_config_static_selectorELNS0_4arch9wavefront6targetE0EEEvT1_.uses_flat_scratch, 0
	.set _ZN7rocprim17ROCPRIM_400000_NS6detail17trampoline_kernelINS0_14default_configENS1_27scan_by_key_config_selectorIssEEZZNS1_16scan_by_key_implILNS1_25lookback_scan_determinismE0ELb0ES3_N6thrust23THRUST_200600_302600_NS6detail15normal_iteratorINS9_10device_ptrIsEEEENS9_18transform_iteratorINS9_6negateIsEESE_NS9_11use_defaultESI_EESE_sNS9_4plusIvEENS9_8equal_toIvEEsEE10hipError_tPvRmT2_T3_T4_T5_mT6_T7_P12ihipStream_tbENKUlT_T0_E_clISt17integral_constantIbLb0EES13_IbLb1EEEEDaSZ_S10_EUlSZ_E_NS1_11comp_targetILNS1_3genE10ELNS1_11target_archE1200ELNS1_3gpuE4ELNS1_3repE0EEENS1_30default_config_static_selectorELNS0_4arch9wavefront6targetE0EEEvT1_.has_dyn_sized_stack, 0
	.set _ZN7rocprim17ROCPRIM_400000_NS6detail17trampoline_kernelINS0_14default_configENS1_27scan_by_key_config_selectorIssEEZZNS1_16scan_by_key_implILNS1_25lookback_scan_determinismE0ELb0ES3_N6thrust23THRUST_200600_302600_NS6detail15normal_iteratorINS9_10device_ptrIsEEEENS9_18transform_iteratorINS9_6negateIsEESE_NS9_11use_defaultESI_EESE_sNS9_4plusIvEENS9_8equal_toIvEEsEE10hipError_tPvRmT2_T3_T4_T5_mT6_T7_P12ihipStream_tbENKUlT_T0_E_clISt17integral_constantIbLb0EES13_IbLb1EEEEDaSZ_S10_EUlSZ_E_NS1_11comp_targetILNS1_3genE10ELNS1_11target_archE1200ELNS1_3gpuE4ELNS1_3repE0EEENS1_30default_config_static_selectorELNS0_4arch9wavefront6targetE0EEEvT1_.has_recursion, 0
	.set _ZN7rocprim17ROCPRIM_400000_NS6detail17trampoline_kernelINS0_14default_configENS1_27scan_by_key_config_selectorIssEEZZNS1_16scan_by_key_implILNS1_25lookback_scan_determinismE0ELb0ES3_N6thrust23THRUST_200600_302600_NS6detail15normal_iteratorINS9_10device_ptrIsEEEENS9_18transform_iteratorINS9_6negateIsEESE_NS9_11use_defaultESI_EESE_sNS9_4plusIvEENS9_8equal_toIvEEsEE10hipError_tPvRmT2_T3_T4_T5_mT6_T7_P12ihipStream_tbENKUlT_T0_E_clISt17integral_constantIbLb0EES13_IbLb1EEEEDaSZ_S10_EUlSZ_E_NS1_11comp_targetILNS1_3genE10ELNS1_11target_archE1200ELNS1_3gpuE4ELNS1_3repE0EEENS1_30default_config_static_selectorELNS0_4arch9wavefront6targetE0EEEvT1_.has_indirect_call, 0
	.section	.AMDGPU.csdata,"",@progbits
; Kernel info:
; codeLenInByte = 0
; TotalNumSgprs: 0
; NumVgprs: 0
; ScratchSize: 0
; MemoryBound: 0
; FloatMode: 240
; IeeeMode: 1
; LDSByteSize: 0 bytes/workgroup (compile time only)
; SGPRBlocks: 0
; VGPRBlocks: 0
; NumSGPRsForWavesPerEU: 1
; NumVGPRsForWavesPerEU: 1
; NamedBarCnt: 0
; Occupancy: 16
; WaveLimiterHint : 0
; COMPUTE_PGM_RSRC2:SCRATCH_EN: 0
; COMPUTE_PGM_RSRC2:USER_SGPR: 2
; COMPUTE_PGM_RSRC2:TRAP_HANDLER: 0
; COMPUTE_PGM_RSRC2:TGID_X_EN: 1
; COMPUTE_PGM_RSRC2:TGID_Y_EN: 0
; COMPUTE_PGM_RSRC2:TGID_Z_EN: 0
; COMPUTE_PGM_RSRC2:TIDIG_COMP_CNT: 0
	.section	.text._ZN7rocprim17ROCPRIM_400000_NS6detail17trampoline_kernelINS0_14default_configENS1_27scan_by_key_config_selectorIssEEZZNS1_16scan_by_key_implILNS1_25lookback_scan_determinismE0ELb0ES3_N6thrust23THRUST_200600_302600_NS6detail15normal_iteratorINS9_10device_ptrIsEEEENS9_18transform_iteratorINS9_6negateIsEESE_NS9_11use_defaultESI_EESE_sNS9_4plusIvEENS9_8equal_toIvEEsEE10hipError_tPvRmT2_T3_T4_T5_mT6_T7_P12ihipStream_tbENKUlT_T0_E_clISt17integral_constantIbLb0EES13_IbLb1EEEEDaSZ_S10_EUlSZ_E_NS1_11comp_targetILNS1_3genE9ELNS1_11target_archE1100ELNS1_3gpuE3ELNS1_3repE0EEENS1_30default_config_static_selectorELNS0_4arch9wavefront6targetE0EEEvT1_,"axG",@progbits,_ZN7rocprim17ROCPRIM_400000_NS6detail17trampoline_kernelINS0_14default_configENS1_27scan_by_key_config_selectorIssEEZZNS1_16scan_by_key_implILNS1_25lookback_scan_determinismE0ELb0ES3_N6thrust23THRUST_200600_302600_NS6detail15normal_iteratorINS9_10device_ptrIsEEEENS9_18transform_iteratorINS9_6negateIsEESE_NS9_11use_defaultESI_EESE_sNS9_4plusIvEENS9_8equal_toIvEEsEE10hipError_tPvRmT2_T3_T4_T5_mT6_T7_P12ihipStream_tbENKUlT_T0_E_clISt17integral_constantIbLb0EES13_IbLb1EEEEDaSZ_S10_EUlSZ_E_NS1_11comp_targetILNS1_3genE9ELNS1_11target_archE1100ELNS1_3gpuE3ELNS1_3repE0EEENS1_30default_config_static_selectorELNS0_4arch9wavefront6targetE0EEEvT1_,comdat
	.protected	_ZN7rocprim17ROCPRIM_400000_NS6detail17trampoline_kernelINS0_14default_configENS1_27scan_by_key_config_selectorIssEEZZNS1_16scan_by_key_implILNS1_25lookback_scan_determinismE0ELb0ES3_N6thrust23THRUST_200600_302600_NS6detail15normal_iteratorINS9_10device_ptrIsEEEENS9_18transform_iteratorINS9_6negateIsEESE_NS9_11use_defaultESI_EESE_sNS9_4plusIvEENS9_8equal_toIvEEsEE10hipError_tPvRmT2_T3_T4_T5_mT6_T7_P12ihipStream_tbENKUlT_T0_E_clISt17integral_constantIbLb0EES13_IbLb1EEEEDaSZ_S10_EUlSZ_E_NS1_11comp_targetILNS1_3genE9ELNS1_11target_archE1100ELNS1_3gpuE3ELNS1_3repE0EEENS1_30default_config_static_selectorELNS0_4arch9wavefront6targetE0EEEvT1_ ; -- Begin function _ZN7rocprim17ROCPRIM_400000_NS6detail17trampoline_kernelINS0_14default_configENS1_27scan_by_key_config_selectorIssEEZZNS1_16scan_by_key_implILNS1_25lookback_scan_determinismE0ELb0ES3_N6thrust23THRUST_200600_302600_NS6detail15normal_iteratorINS9_10device_ptrIsEEEENS9_18transform_iteratorINS9_6negateIsEESE_NS9_11use_defaultESI_EESE_sNS9_4plusIvEENS9_8equal_toIvEEsEE10hipError_tPvRmT2_T3_T4_T5_mT6_T7_P12ihipStream_tbENKUlT_T0_E_clISt17integral_constantIbLb0EES13_IbLb1EEEEDaSZ_S10_EUlSZ_E_NS1_11comp_targetILNS1_3genE9ELNS1_11target_archE1100ELNS1_3gpuE3ELNS1_3repE0EEENS1_30default_config_static_selectorELNS0_4arch9wavefront6targetE0EEEvT1_
	.globl	_ZN7rocprim17ROCPRIM_400000_NS6detail17trampoline_kernelINS0_14default_configENS1_27scan_by_key_config_selectorIssEEZZNS1_16scan_by_key_implILNS1_25lookback_scan_determinismE0ELb0ES3_N6thrust23THRUST_200600_302600_NS6detail15normal_iteratorINS9_10device_ptrIsEEEENS9_18transform_iteratorINS9_6negateIsEESE_NS9_11use_defaultESI_EESE_sNS9_4plusIvEENS9_8equal_toIvEEsEE10hipError_tPvRmT2_T3_T4_T5_mT6_T7_P12ihipStream_tbENKUlT_T0_E_clISt17integral_constantIbLb0EES13_IbLb1EEEEDaSZ_S10_EUlSZ_E_NS1_11comp_targetILNS1_3genE9ELNS1_11target_archE1100ELNS1_3gpuE3ELNS1_3repE0EEENS1_30default_config_static_selectorELNS0_4arch9wavefront6targetE0EEEvT1_
	.p2align	8
	.type	_ZN7rocprim17ROCPRIM_400000_NS6detail17trampoline_kernelINS0_14default_configENS1_27scan_by_key_config_selectorIssEEZZNS1_16scan_by_key_implILNS1_25lookback_scan_determinismE0ELb0ES3_N6thrust23THRUST_200600_302600_NS6detail15normal_iteratorINS9_10device_ptrIsEEEENS9_18transform_iteratorINS9_6negateIsEESE_NS9_11use_defaultESI_EESE_sNS9_4plusIvEENS9_8equal_toIvEEsEE10hipError_tPvRmT2_T3_T4_T5_mT6_T7_P12ihipStream_tbENKUlT_T0_E_clISt17integral_constantIbLb0EES13_IbLb1EEEEDaSZ_S10_EUlSZ_E_NS1_11comp_targetILNS1_3genE9ELNS1_11target_archE1100ELNS1_3gpuE3ELNS1_3repE0EEENS1_30default_config_static_selectorELNS0_4arch9wavefront6targetE0EEEvT1_,@function
_ZN7rocprim17ROCPRIM_400000_NS6detail17trampoline_kernelINS0_14default_configENS1_27scan_by_key_config_selectorIssEEZZNS1_16scan_by_key_implILNS1_25lookback_scan_determinismE0ELb0ES3_N6thrust23THRUST_200600_302600_NS6detail15normal_iteratorINS9_10device_ptrIsEEEENS9_18transform_iteratorINS9_6negateIsEESE_NS9_11use_defaultESI_EESE_sNS9_4plusIvEENS9_8equal_toIvEEsEE10hipError_tPvRmT2_T3_T4_T5_mT6_T7_P12ihipStream_tbENKUlT_T0_E_clISt17integral_constantIbLb0EES13_IbLb1EEEEDaSZ_S10_EUlSZ_E_NS1_11comp_targetILNS1_3genE9ELNS1_11target_archE1100ELNS1_3gpuE3ELNS1_3repE0EEENS1_30default_config_static_selectorELNS0_4arch9wavefront6targetE0EEEvT1_: ; @_ZN7rocprim17ROCPRIM_400000_NS6detail17trampoline_kernelINS0_14default_configENS1_27scan_by_key_config_selectorIssEEZZNS1_16scan_by_key_implILNS1_25lookback_scan_determinismE0ELb0ES3_N6thrust23THRUST_200600_302600_NS6detail15normal_iteratorINS9_10device_ptrIsEEEENS9_18transform_iteratorINS9_6negateIsEESE_NS9_11use_defaultESI_EESE_sNS9_4plusIvEENS9_8equal_toIvEEsEE10hipError_tPvRmT2_T3_T4_T5_mT6_T7_P12ihipStream_tbENKUlT_T0_E_clISt17integral_constantIbLb0EES13_IbLb1EEEEDaSZ_S10_EUlSZ_E_NS1_11comp_targetILNS1_3genE9ELNS1_11target_archE1100ELNS1_3gpuE3ELNS1_3repE0EEENS1_30default_config_static_selectorELNS0_4arch9wavefront6targetE0EEEvT1_
; %bb.0:
	.section	.rodata,"a",@progbits
	.p2align	6, 0x0
	.amdhsa_kernel _ZN7rocprim17ROCPRIM_400000_NS6detail17trampoline_kernelINS0_14default_configENS1_27scan_by_key_config_selectorIssEEZZNS1_16scan_by_key_implILNS1_25lookback_scan_determinismE0ELb0ES3_N6thrust23THRUST_200600_302600_NS6detail15normal_iteratorINS9_10device_ptrIsEEEENS9_18transform_iteratorINS9_6negateIsEESE_NS9_11use_defaultESI_EESE_sNS9_4plusIvEENS9_8equal_toIvEEsEE10hipError_tPvRmT2_T3_T4_T5_mT6_T7_P12ihipStream_tbENKUlT_T0_E_clISt17integral_constantIbLb0EES13_IbLb1EEEEDaSZ_S10_EUlSZ_E_NS1_11comp_targetILNS1_3genE9ELNS1_11target_archE1100ELNS1_3gpuE3ELNS1_3repE0EEENS1_30default_config_static_selectorELNS0_4arch9wavefront6targetE0EEEvT1_
		.amdhsa_group_segment_fixed_size 0
		.amdhsa_private_segment_fixed_size 0
		.amdhsa_kernarg_size 120
		.amdhsa_user_sgpr_count 2
		.amdhsa_user_sgpr_dispatch_ptr 0
		.amdhsa_user_sgpr_queue_ptr 0
		.amdhsa_user_sgpr_kernarg_segment_ptr 1
		.amdhsa_user_sgpr_dispatch_id 0
		.amdhsa_user_sgpr_kernarg_preload_length 0
		.amdhsa_user_sgpr_kernarg_preload_offset 0
		.amdhsa_user_sgpr_private_segment_size 0
		.amdhsa_wavefront_size32 1
		.amdhsa_uses_dynamic_stack 0
		.amdhsa_enable_private_segment 0
		.amdhsa_system_sgpr_workgroup_id_x 1
		.amdhsa_system_sgpr_workgroup_id_y 0
		.amdhsa_system_sgpr_workgroup_id_z 0
		.amdhsa_system_sgpr_workgroup_info 0
		.amdhsa_system_vgpr_workitem_id 0
		.amdhsa_next_free_vgpr 1
		.amdhsa_next_free_sgpr 1
		.amdhsa_named_barrier_count 0
		.amdhsa_reserve_vcc 0
		.amdhsa_float_round_mode_32 0
		.amdhsa_float_round_mode_16_64 0
		.amdhsa_float_denorm_mode_32 3
		.amdhsa_float_denorm_mode_16_64 3
		.amdhsa_fp16_overflow 0
		.amdhsa_memory_ordered 1
		.amdhsa_forward_progress 1
		.amdhsa_inst_pref_size 0
		.amdhsa_round_robin_scheduling 0
		.amdhsa_exception_fp_ieee_invalid_op 0
		.amdhsa_exception_fp_denorm_src 0
		.amdhsa_exception_fp_ieee_div_zero 0
		.amdhsa_exception_fp_ieee_overflow 0
		.amdhsa_exception_fp_ieee_underflow 0
		.amdhsa_exception_fp_ieee_inexact 0
		.amdhsa_exception_int_div_zero 0
	.end_amdhsa_kernel
	.section	.text._ZN7rocprim17ROCPRIM_400000_NS6detail17trampoline_kernelINS0_14default_configENS1_27scan_by_key_config_selectorIssEEZZNS1_16scan_by_key_implILNS1_25lookback_scan_determinismE0ELb0ES3_N6thrust23THRUST_200600_302600_NS6detail15normal_iteratorINS9_10device_ptrIsEEEENS9_18transform_iteratorINS9_6negateIsEESE_NS9_11use_defaultESI_EESE_sNS9_4plusIvEENS9_8equal_toIvEEsEE10hipError_tPvRmT2_T3_T4_T5_mT6_T7_P12ihipStream_tbENKUlT_T0_E_clISt17integral_constantIbLb0EES13_IbLb1EEEEDaSZ_S10_EUlSZ_E_NS1_11comp_targetILNS1_3genE9ELNS1_11target_archE1100ELNS1_3gpuE3ELNS1_3repE0EEENS1_30default_config_static_selectorELNS0_4arch9wavefront6targetE0EEEvT1_,"axG",@progbits,_ZN7rocprim17ROCPRIM_400000_NS6detail17trampoline_kernelINS0_14default_configENS1_27scan_by_key_config_selectorIssEEZZNS1_16scan_by_key_implILNS1_25lookback_scan_determinismE0ELb0ES3_N6thrust23THRUST_200600_302600_NS6detail15normal_iteratorINS9_10device_ptrIsEEEENS9_18transform_iteratorINS9_6negateIsEESE_NS9_11use_defaultESI_EESE_sNS9_4plusIvEENS9_8equal_toIvEEsEE10hipError_tPvRmT2_T3_T4_T5_mT6_T7_P12ihipStream_tbENKUlT_T0_E_clISt17integral_constantIbLb0EES13_IbLb1EEEEDaSZ_S10_EUlSZ_E_NS1_11comp_targetILNS1_3genE9ELNS1_11target_archE1100ELNS1_3gpuE3ELNS1_3repE0EEENS1_30default_config_static_selectorELNS0_4arch9wavefront6targetE0EEEvT1_,comdat
.Lfunc_end999:
	.size	_ZN7rocprim17ROCPRIM_400000_NS6detail17trampoline_kernelINS0_14default_configENS1_27scan_by_key_config_selectorIssEEZZNS1_16scan_by_key_implILNS1_25lookback_scan_determinismE0ELb0ES3_N6thrust23THRUST_200600_302600_NS6detail15normal_iteratorINS9_10device_ptrIsEEEENS9_18transform_iteratorINS9_6negateIsEESE_NS9_11use_defaultESI_EESE_sNS9_4plusIvEENS9_8equal_toIvEEsEE10hipError_tPvRmT2_T3_T4_T5_mT6_T7_P12ihipStream_tbENKUlT_T0_E_clISt17integral_constantIbLb0EES13_IbLb1EEEEDaSZ_S10_EUlSZ_E_NS1_11comp_targetILNS1_3genE9ELNS1_11target_archE1100ELNS1_3gpuE3ELNS1_3repE0EEENS1_30default_config_static_selectorELNS0_4arch9wavefront6targetE0EEEvT1_, .Lfunc_end999-_ZN7rocprim17ROCPRIM_400000_NS6detail17trampoline_kernelINS0_14default_configENS1_27scan_by_key_config_selectorIssEEZZNS1_16scan_by_key_implILNS1_25lookback_scan_determinismE0ELb0ES3_N6thrust23THRUST_200600_302600_NS6detail15normal_iteratorINS9_10device_ptrIsEEEENS9_18transform_iteratorINS9_6negateIsEESE_NS9_11use_defaultESI_EESE_sNS9_4plusIvEENS9_8equal_toIvEEsEE10hipError_tPvRmT2_T3_T4_T5_mT6_T7_P12ihipStream_tbENKUlT_T0_E_clISt17integral_constantIbLb0EES13_IbLb1EEEEDaSZ_S10_EUlSZ_E_NS1_11comp_targetILNS1_3genE9ELNS1_11target_archE1100ELNS1_3gpuE3ELNS1_3repE0EEENS1_30default_config_static_selectorELNS0_4arch9wavefront6targetE0EEEvT1_
                                        ; -- End function
	.set _ZN7rocprim17ROCPRIM_400000_NS6detail17trampoline_kernelINS0_14default_configENS1_27scan_by_key_config_selectorIssEEZZNS1_16scan_by_key_implILNS1_25lookback_scan_determinismE0ELb0ES3_N6thrust23THRUST_200600_302600_NS6detail15normal_iteratorINS9_10device_ptrIsEEEENS9_18transform_iteratorINS9_6negateIsEESE_NS9_11use_defaultESI_EESE_sNS9_4plusIvEENS9_8equal_toIvEEsEE10hipError_tPvRmT2_T3_T4_T5_mT6_T7_P12ihipStream_tbENKUlT_T0_E_clISt17integral_constantIbLb0EES13_IbLb1EEEEDaSZ_S10_EUlSZ_E_NS1_11comp_targetILNS1_3genE9ELNS1_11target_archE1100ELNS1_3gpuE3ELNS1_3repE0EEENS1_30default_config_static_selectorELNS0_4arch9wavefront6targetE0EEEvT1_.num_vgpr, 0
	.set _ZN7rocprim17ROCPRIM_400000_NS6detail17trampoline_kernelINS0_14default_configENS1_27scan_by_key_config_selectorIssEEZZNS1_16scan_by_key_implILNS1_25lookback_scan_determinismE0ELb0ES3_N6thrust23THRUST_200600_302600_NS6detail15normal_iteratorINS9_10device_ptrIsEEEENS9_18transform_iteratorINS9_6negateIsEESE_NS9_11use_defaultESI_EESE_sNS9_4plusIvEENS9_8equal_toIvEEsEE10hipError_tPvRmT2_T3_T4_T5_mT6_T7_P12ihipStream_tbENKUlT_T0_E_clISt17integral_constantIbLb0EES13_IbLb1EEEEDaSZ_S10_EUlSZ_E_NS1_11comp_targetILNS1_3genE9ELNS1_11target_archE1100ELNS1_3gpuE3ELNS1_3repE0EEENS1_30default_config_static_selectorELNS0_4arch9wavefront6targetE0EEEvT1_.num_agpr, 0
	.set _ZN7rocprim17ROCPRIM_400000_NS6detail17trampoline_kernelINS0_14default_configENS1_27scan_by_key_config_selectorIssEEZZNS1_16scan_by_key_implILNS1_25lookback_scan_determinismE0ELb0ES3_N6thrust23THRUST_200600_302600_NS6detail15normal_iteratorINS9_10device_ptrIsEEEENS9_18transform_iteratorINS9_6negateIsEESE_NS9_11use_defaultESI_EESE_sNS9_4plusIvEENS9_8equal_toIvEEsEE10hipError_tPvRmT2_T3_T4_T5_mT6_T7_P12ihipStream_tbENKUlT_T0_E_clISt17integral_constantIbLb0EES13_IbLb1EEEEDaSZ_S10_EUlSZ_E_NS1_11comp_targetILNS1_3genE9ELNS1_11target_archE1100ELNS1_3gpuE3ELNS1_3repE0EEENS1_30default_config_static_selectorELNS0_4arch9wavefront6targetE0EEEvT1_.numbered_sgpr, 0
	.set _ZN7rocprim17ROCPRIM_400000_NS6detail17trampoline_kernelINS0_14default_configENS1_27scan_by_key_config_selectorIssEEZZNS1_16scan_by_key_implILNS1_25lookback_scan_determinismE0ELb0ES3_N6thrust23THRUST_200600_302600_NS6detail15normal_iteratorINS9_10device_ptrIsEEEENS9_18transform_iteratorINS9_6negateIsEESE_NS9_11use_defaultESI_EESE_sNS9_4plusIvEENS9_8equal_toIvEEsEE10hipError_tPvRmT2_T3_T4_T5_mT6_T7_P12ihipStream_tbENKUlT_T0_E_clISt17integral_constantIbLb0EES13_IbLb1EEEEDaSZ_S10_EUlSZ_E_NS1_11comp_targetILNS1_3genE9ELNS1_11target_archE1100ELNS1_3gpuE3ELNS1_3repE0EEENS1_30default_config_static_selectorELNS0_4arch9wavefront6targetE0EEEvT1_.num_named_barrier, 0
	.set _ZN7rocprim17ROCPRIM_400000_NS6detail17trampoline_kernelINS0_14default_configENS1_27scan_by_key_config_selectorIssEEZZNS1_16scan_by_key_implILNS1_25lookback_scan_determinismE0ELb0ES3_N6thrust23THRUST_200600_302600_NS6detail15normal_iteratorINS9_10device_ptrIsEEEENS9_18transform_iteratorINS9_6negateIsEESE_NS9_11use_defaultESI_EESE_sNS9_4plusIvEENS9_8equal_toIvEEsEE10hipError_tPvRmT2_T3_T4_T5_mT6_T7_P12ihipStream_tbENKUlT_T0_E_clISt17integral_constantIbLb0EES13_IbLb1EEEEDaSZ_S10_EUlSZ_E_NS1_11comp_targetILNS1_3genE9ELNS1_11target_archE1100ELNS1_3gpuE3ELNS1_3repE0EEENS1_30default_config_static_selectorELNS0_4arch9wavefront6targetE0EEEvT1_.private_seg_size, 0
	.set _ZN7rocprim17ROCPRIM_400000_NS6detail17trampoline_kernelINS0_14default_configENS1_27scan_by_key_config_selectorIssEEZZNS1_16scan_by_key_implILNS1_25lookback_scan_determinismE0ELb0ES3_N6thrust23THRUST_200600_302600_NS6detail15normal_iteratorINS9_10device_ptrIsEEEENS9_18transform_iteratorINS9_6negateIsEESE_NS9_11use_defaultESI_EESE_sNS9_4plusIvEENS9_8equal_toIvEEsEE10hipError_tPvRmT2_T3_T4_T5_mT6_T7_P12ihipStream_tbENKUlT_T0_E_clISt17integral_constantIbLb0EES13_IbLb1EEEEDaSZ_S10_EUlSZ_E_NS1_11comp_targetILNS1_3genE9ELNS1_11target_archE1100ELNS1_3gpuE3ELNS1_3repE0EEENS1_30default_config_static_selectorELNS0_4arch9wavefront6targetE0EEEvT1_.uses_vcc, 0
	.set _ZN7rocprim17ROCPRIM_400000_NS6detail17trampoline_kernelINS0_14default_configENS1_27scan_by_key_config_selectorIssEEZZNS1_16scan_by_key_implILNS1_25lookback_scan_determinismE0ELb0ES3_N6thrust23THRUST_200600_302600_NS6detail15normal_iteratorINS9_10device_ptrIsEEEENS9_18transform_iteratorINS9_6negateIsEESE_NS9_11use_defaultESI_EESE_sNS9_4plusIvEENS9_8equal_toIvEEsEE10hipError_tPvRmT2_T3_T4_T5_mT6_T7_P12ihipStream_tbENKUlT_T0_E_clISt17integral_constantIbLb0EES13_IbLb1EEEEDaSZ_S10_EUlSZ_E_NS1_11comp_targetILNS1_3genE9ELNS1_11target_archE1100ELNS1_3gpuE3ELNS1_3repE0EEENS1_30default_config_static_selectorELNS0_4arch9wavefront6targetE0EEEvT1_.uses_flat_scratch, 0
	.set _ZN7rocprim17ROCPRIM_400000_NS6detail17trampoline_kernelINS0_14default_configENS1_27scan_by_key_config_selectorIssEEZZNS1_16scan_by_key_implILNS1_25lookback_scan_determinismE0ELb0ES3_N6thrust23THRUST_200600_302600_NS6detail15normal_iteratorINS9_10device_ptrIsEEEENS9_18transform_iteratorINS9_6negateIsEESE_NS9_11use_defaultESI_EESE_sNS9_4plusIvEENS9_8equal_toIvEEsEE10hipError_tPvRmT2_T3_T4_T5_mT6_T7_P12ihipStream_tbENKUlT_T0_E_clISt17integral_constantIbLb0EES13_IbLb1EEEEDaSZ_S10_EUlSZ_E_NS1_11comp_targetILNS1_3genE9ELNS1_11target_archE1100ELNS1_3gpuE3ELNS1_3repE0EEENS1_30default_config_static_selectorELNS0_4arch9wavefront6targetE0EEEvT1_.has_dyn_sized_stack, 0
	.set _ZN7rocprim17ROCPRIM_400000_NS6detail17trampoline_kernelINS0_14default_configENS1_27scan_by_key_config_selectorIssEEZZNS1_16scan_by_key_implILNS1_25lookback_scan_determinismE0ELb0ES3_N6thrust23THRUST_200600_302600_NS6detail15normal_iteratorINS9_10device_ptrIsEEEENS9_18transform_iteratorINS9_6negateIsEESE_NS9_11use_defaultESI_EESE_sNS9_4plusIvEENS9_8equal_toIvEEsEE10hipError_tPvRmT2_T3_T4_T5_mT6_T7_P12ihipStream_tbENKUlT_T0_E_clISt17integral_constantIbLb0EES13_IbLb1EEEEDaSZ_S10_EUlSZ_E_NS1_11comp_targetILNS1_3genE9ELNS1_11target_archE1100ELNS1_3gpuE3ELNS1_3repE0EEENS1_30default_config_static_selectorELNS0_4arch9wavefront6targetE0EEEvT1_.has_recursion, 0
	.set _ZN7rocprim17ROCPRIM_400000_NS6detail17trampoline_kernelINS0_14default_configENS1_27scan_by_key_config_selectorIssEEZZNS1_16scan_by_key_implILNS1_25lookback_scan_determinismE0ELb0ES3_N6thrust23THRUST_200600_302600_NS6detail15normal_iteratorINS9_10device_ptrIsEEEENS9_18transform_iteratorINS9_6negateIsEESE_NS9_11use_defaultESI_EESE_sNS9_4plusIvEENS9_8equal_toIvEEsEE10hipError_tPvRmT2_T3_T4_T5_mT6_T7_P12ihipStream_tbENKUlT_T0_E_clISt17integral_constantIbLb0EES13_IbLb1EEEEDaSZ_S10_EUlSZ_E_NS1_11comp_targetILNS1_3genE9ELNS1_11target_archE1100ELNS1_3gpuE3ELNS1_3repE0EEENS1_30default_config_static_selectorELNS0_4arch9wavefront6targetE0EEEvT1_.has_indirect_call, 0
	.section	.AMDGPU.csdata,"",@progbits
; Kernel info:
; codeLenInByte = 0
; TotalNumSgprs: 0
; NumVgprs: 0
; ScratchSize: 0
; MemoryBound: 0
; FloatMode: 240
; IeeeMode: 1
; LDSByteSize: 0 bytes/workgroup (compile time only)
; SGPRBlocks: 0
; VGPRBlocks: 0
; NumSGPRsForWavesPerEU: 1
; NumVGPRsForWavesPerEU: 1
; NamedBarCnt: 0
; Occupancy: 16
; WaveLimiterHint : 0
; COMPUTE_PGM_RSRC2:SCRATCH_EN: 0
; COMPUTE_PGM_RSRC2:USER_SGPR: 2
; COMPUTE_PGM_RSRC2:TRAP_HANDLER: 0
; COMPUTE_PGM_RSRC2:TGID_X_EN: 1
; COMPUTE_PGM_RSRC2:TGID_Y_EN: 0
; COMPUTE_PGM_RSRC2:TGID_Z_EN: 0
; COMPUTE_PGM_RSRC2:TIDIG_COMP_CNT: 0
	.section	.text._ZN7rocprim17ROCPRIM_400000_NS6detail17trampoline_kernelINS0_14default_configENS1_27scan_by_key_config_selectorIssEEZZNS1_16scan_by_key_implILNS1_25lookback_scan_determinismE0ELb0ES3_N6thrust23THRUST_200600_302600_NS6detail15normal_iteratorINS9_10device_ptrIsEEEENS9_18transform_iteratorINS9_6negateIsEESE_NS9_11use_defaultESI_EESE_sNS9_4plusIvEENS9_8equal_toIvEEsEE10hipError_tPvRmT2_T3_T4_T5_mT6_T7_P12ihipStream_tbENKUlT_T0_E_clISt17integral_constantIbLb0EES13_IbLb1EEEEDaSZ_S10_EUlSZ_E_NS1_11comp_targetILNS1_3genE8ELNS1_11target_archE1030ELNS1_3gpuE2ELNS1_3repE0EEENS1_30default_config_static_selectorELNS0_4arch9wavefront6targetE0EEEvT1_,"axG",@progbits,_ZN7rocprim17ROCPRIM_400000_NS6detail17trampoline_kernelINS0_14default_configENS1_27scan_by_key_config_selectorIssEEZZNS1_16scan_by_key_implILNS1_25lookback_scan_determinismE0ELb0ES3_N6thrust23THRUST_200600_302600_NS6detail15normal_iteratorINS9_10device_ptrIsEEEENS9_18transform_iteratorINS9_6negateIsEESE_NS9_11use_defaultESI_EESE_sNS9_4plusIvEENS9_8equal_toIvEEsEE10hipError_tPvRmT2_T3_T4_T5_mT6_T7_P12ihipStream_tbENKUlT_T0_E_clISt17integral_constantIbLb0EES13_IbLb1EEEEDaSZ_S10_EUlSZ_E_NS1_11comp_targetILNS1_3genE8ELNS1_11target_archE1030ELNS1_3gpuE2ELNS1_3repE0EEENS1_30default_config_static_selectorELNS0_4arch9wavefront6targetE0EEEvT1_,comdat
	.protected	_ZN7rocprim17ROCPRIM_400000_NS6detail17trampoline_kernelINS0_14default_configENS1_27scan_by_key_config_selectorIssEEZZNS1_16scan_by_key_implILNS1_25lookback_scan_determinismE0ELb0ES3_N6thrust23THRUST_200600_302600_NS6detail15normal_iteratorINS9_10device_ptrIsEEEENS9_18transform_iteratorINS9_6negateIsEESE_NS9_11use_defaultESI_EESE_sNS9_4plusIvEENS9_8equal_toIvEEsEE10hipError_tPvRmT2_T3_T4_T5_mT6_T7_P12ihipStream_tbENKUlT_T0_E_clISt17integral_constantIbLb0EES13_IbLb1EEEEDaSZ_S10_EUlSZ_E_NS1_11comp_targetILNS1_3genE8ELNS1_11target_archE1030ELNS1_3gpuE2ELNS1_3repE0EEENS1_30default_config_static_selectorELNS0_4arch9wavefront6targetE0EEEvT1_ ; -- Begin function _ZN7rocprim17ROCPRIM_400000_NS6detail17trampoline_kernelINS0_14default_configENS1_27scan_by_key_config_selectorIssEEZZNS1_16scan_by_key_implILNS1_25lookback_scan_determinismE0ELb0ES3_N6thrust23THRUST_200600_302600_NS6detail15normal_iteratorINS9_10device_ptrIsEEEENS9_18transform_iteratorINS9_6negateIsEESE_NS9_11use_defaultESI_EESE_sNS9_4plusIvEENS9_8equal_toIvEEsEE10hipError_tPvRmT2_T3_T4_T5_mT6_T7_P12ihipStream_tbENKUlT_T0_E_clISt17integral_constantIbLb0EES13_IbLb1EEEEDaSZ_S10_EUlSZ_E_NS1_11comp_targetILNS1_3genE8ELNS1_11target_archE1030ELNS1_3gpuE2ELNS1_3repE0EEENS1_30default_config_static_selectorELNS0_4arch9wavefront6targetE0EEEvT1_
	.globl	_ZN7rocprim17ROCPRIM_400000_NS6detail17trampoline_kernelINS0_14default_configENS1_27scan_by_key_config_selectorIssEEZZNS1_16scan_by_key_implILNS1_25lookback_scan_determinismE0ELb0ES3_N6thrust23THRUST_200600_302600_NS6detail15normal_iteratorINS9_10device_ptrIsEEEENS9_18transform_iteratorINS9_6negateIsEESE_NS9_11use_defaultESI_EESE_sNS9_4plusIvEENS9_8equal_toIvEEsEE10hipError_tPvRmT2_T3_T4_T5_mT6_T7_P12ihipStream_tbENKUlT_T0_E_clISt17integral_constantIbLb0EES13_IbLb1EEEEDaSZ_S10_EUlSZ_E_NS1_11comp_targetILNS1_3genE8ELNS1_11target_archE1030ELNS1_3gpuE2ELNS1_3repE0EEENS1_30default_config_static_selectorELNS0_4arch9wavefront6targetE0EEEvT1_
	.p2align	8
	.type	_ZN7rocprim17ROCPRIM_400000_NS6detail17trampoline_kernelINS0_14default_configENS1_27scan_by_key_config_selectorIssEEZZNS1_16scan_by_key_implILNS1_25lookback_scan_determinismE0ELb0ES3_N6thrust23THRUST_200600_302600_NS6detail15normal_iteratorINS9_10device_ptrIsEEEENS9_18transform_iteratorINS9_6negateIsEESE_NS9_11use_defaultESI_EESE_sNS9_4plusIvEENS9_8equal_toIvEEsEE10hipError_tPvRmT2_T3_T4_T5_mT6_T7_P12ihipStream_tbENKUlT_T0_E_clISt17integral_constantIbLb0EES13_IbLb1EEEEDaSZ_S10_EUlSZ_E_NS1_11comp_targetILNS1_3genE8ELNS1_11target_archE1030ELNS1_3gpuE2ELNS1_3repE0EEENS1_30default_config_static_selectorELNS0_4arch9wavefront6targetE0EEEvT1_,@function
_ZN7rocprim17ROCPRIM_400000_NS6detail17trampoline_kernelINS0_14default_configENS1_27scan_by_key_config_selectorIssEEZZNS1_16scan_by_key_implILNS1_25lookback_scan_determinismE0ELb0ES3_N6thrust23THRUST_200600_302600_NS6detail15normal_iteratorINS9_10device_ptrIsEEEENS9_18transform_iteratorINS9_6negateIsEESE_NS9_11use_defaultESI_EESE_sNS9_4plusIvEENS9_8equal_toIvEEsEE10hipError_tPvRmT2_T3_T4_T5_mT6_T7_P12ihipStream_tbENKUlT_T0_E_clISt17integral_constantIbLb0EES13_IbLb1EEEEDaSZ_S10_EUlSZ_E_NS1_11comp_targetILNS1_3genE8ELNS1_11target_archE1030ELNS1_3gpuE2ELNS1_3repE0EEENS1_30default_config_static_selectorELNS0_4arch9wavefront6targetE0EEEvT1_: ; @_ZN7rocprim17ROCPRIM_400000_NS6detail17trampoline_kernelINS0_14default_configENS1_27scan_by_key_config_selectorIssEEZZNS1_16scan_by_key_implILNS1_25lookback_scan_determinismE0ELb0ES3_N6thrust23THRUST_200600_302600_NS6detail15normal_iteratorINS9_10device_ptrIsEEEENS9_18transform_iteratorINS9_6negateIsEESE_NS9_11use_defaultESI_EESE_sNS9_4plusIvEENS9_8equal_toIvEEsEE10hipError_tPvRmT2_T3_T4_T5_mT6_T7_P12ihipStream_tbENKUlT_T0_E_clISt17integral_constantIbLb0EES13_IbLb1EEEEDaSZ_S10_EUlSZ_E_NS1_11comp_targetILNS1_3genE8ELNS1_11target_archE1030ELNS1_3gpuE2ELNS1_3repE0EEENS1_30default_config_static_selectorELNS0_4arch9wavefront6targetE0EEEvT1_
; %bb.0:
	.section	.rodata,"a",@progbits
	.p2align	6, 0x0
	.amdhsa_kernel _ZN7rocprim17ROCPRIM_400000_NS6detail17trampoline_kernelINS0_14default_configENS1_27scan_by_key_config_selectorIssEEZZNS1_16scan_by_key_implILNS1_25lookback_scan_determinismE0ELb0ES3_N6thrust23THRUST_200600_302600_NS6detail15normal_iteratorINS9_10device_ptrIsEEEENS9_18transform_iteratorINS9_6negateIsEESE_NS9_11use_defaultESI_EESE_sNS9_4plusIvEENS9_8equal_toIvEEsEE10hipError_tPvRmT2_T3_T4_T5_mT6_T7_P12ihipStream_tbENKUlT_T0_E_clISt17integral_constantIbLb0EES13_IbLb1EEEEDaSZ_S10_EUlSZ_E_NS1_11comp_targetILNS1_3genE8ELNS1_11target_archE1030ELNS1_3gpuE2ELNS1_3repE0EEENS1_30default_config_static_selectorELNS0_4arch9wavefront6targetE0EEEvT1_
		.amdhsa_group_segment_fixed_size 0
		.amdhsa_private_segment_fixed_size 0
		.amdhsa_kernarg_size 120
		.amdhsa_user_sgpr_count 2
		.amdhsa_user_sgpr_dispatch_ptr 0
		.amdhsa_user_sgpr_queue_ptr 0
		.amdhsa_user_sgpr_kernarg_segment_ptr 1
		.amdhsa_user_sgpr_dispatch_id 0
		.amdhsa_user_sgpr_kernarg_preload_length 0
		.amdhsa_user_sgpr_kernarg_preload_offset 0
		.amdhsa_user_sgpr_private_segment_size 0
		.amdhsa_wavefront_size32 1
		.amdhsa_uses_dynamic_stack 0
		.amdhsa_enable_private_segment 0
		.amdhsa_system_sgpr_workgroup_id_x 1
		.amdhsa_system_sgpr_workgroup_id_y 0
		.amdhsa_system_sgpr_workgroup_id_z 0
		.amdhsa_system_sgpr_workgroup_info 0
		.amdhsa_system_vgpr_workitem_id 0
		.amdhsa_next_free_vgpr 1
		.amdhsa_next_free_sgpr 1
		.amdhsa_named_barrier_count 0
		.amdhsa_reserve_vcc 0
		.amdhsa_float_round_mode_32 0
		.amdhsa_float_round_mode_16_64 0
		.amdhsa_float_denorm_mode_32 3
		.amdhsa_float_denorm_mode_16_64 3
		.amdhsa_fp16_overflow 0
		.amdhsa_memory_ordered 1
		.amdhsa_forward_progress 1
		.amdhsa_inst_pref_size 0
		.amdhsa_round_robin_scheduling 0
		.amdhsa_exception_fp_ieee_invalid_op 0
		.amdhsa_exception_fp_denorm_src 0
		.amdhsa_exception_fp_ieee_div_zero 0
		.amdhsa_exception_fp_ieee_overflow 0
		.amdhsa_exception_fp_ieee_underflow 0
		.amdhsa_exception_fp_ieee_inexact 0
		.amdhsa_exception_int_div_zero 0
	.end_amdhsa_kernel
	.section	.text._ZN7rocprim17ROCPRIM_400000_NS6detail17trampoline_kernelINS0_14default_configENS1_27scan_by_key_config_selectorIssEEZZNS1_16scan_by_key_implILNS1_25lookback_scan_determinismE0ELb0ES3_N6thrust23THRUST_200600_302600_NS6detail15normal_iteratorINS9_10device_ptrIsEEEENS9_18transform_iteratorINS9_6negateIsEESE_NS9_11use_defaultESI_EESE_sNS9_4plusIvEENS9_8equal_toIvEEsEE10hipError_tPvRmT2_T3_T4_T5_mT6_T7_P12ihipStream_tbENKUlT_T0_E_clISt17integral_constantIbLb0EES13_IbLb1EEEEDaSZ_S10_EUlSZ_E_NS1_11comp_targetILNS1_3genE8ELNS1_11target_archE1030ELNS1_3gpuE2ELNS1_3repE0EEENS1_30default_config_static_selectorELNS0_4arch9wavefront6targetE0EEEvT1_,"axG",@progbits,_ZN7rocprim17ROCPRIM_400000_NS6detail17trampoline_kernelINS0_14default_configENS1_27scan_by_key_config_selectorIssEEZZNS1_16scan_by_key_implILNS1_25lookback_scan_determinismE0ELb0ES3_N6thrust23THRUST_200600_302600_NS6detail15normal_iteratorINS9_10device_ptrIsEEEENS9_18transform_iteratorINS9_6negateIsEESE_NS9_11use_defaultESI_EESE_sNS9_4plusIvEENS9_8equal_toIvEEsEE10hipError_tPvRmT2_T3_T4_T5_mT6_T7_P12ihipStream_tbENKUlT_T0_E_clISt17integral_constantIbLb0EES13_IbLb1EEEEDaSZ_S10_EUlSZ_E_NS1_11comp_targetILNS1_3genE8ELNS1_11target_archE1030ELNS1_3gpuE2ELNS1_3repE0EEENS1_30default_config_static_selectorELNS0_4arch9wavefront6targetE0EEEvT1_,comdat
.Lfunc_end1000:
	.size	_ZN7rocprim17ROCPRIM_400000_NS6detail17trampoline_kernelINS0_14default_configENS1_27scan_by_key_config_selectorIssEEZZNS1_16scan_by_key_implILNS1_25lookback_scan_determinismE0ELb0ES3_N6thrust23THRUST_200600_302600_NS6detail15normal_iteratorINS9_10device_ptrIsEEEENS9_18transform_iteratorINS9_6negateIsEESE_NS9_11use_defaultESI_EESE_sNS9_4plusIvEENS9_8equal_toIvEEsEE10hipError_tPvRmT2_T3_T4_T5_mT6_T7_P12ihipStream_tbENKUlT_T0_E_clISt17integral_constantIbLb0EES13_IbLb1EEEEDaSZ_S10_EUlSZ_E_NS1_11comp_targetILNS1_3genE8ELNS1_11target_archE1030ELNS1_3gpuE2ELNS1_3repE0EEENS1_30default_config_static_selectorELNS0_4arch9wavefront6targetE0EEEvT1_, .Lfunc_end1000-_ZN7rocprim17ROCPRIM_400000_NS6detail17trampoline_kernelINS0_14default_configENS1_27scan_by_key_config_selectorIssEEZZNS1_16scan_by_key_implILNS1_25lookback_scan_determinismE0ELb0ES3_N6thrust23THRUST_200600_302600_NS6detail15normal_iteratorINS9_10device_ptrIsEEEENS9_18transform_iteratorINS9_6negateIsEESE_NS9_11use_defaultESI_EESE_sNS9_4plusIvEENS9_8equal_toIvEEsEE10hipError_tPvRmT2_T3_T4_T5_mT6_T7_P12ihipStream_tbENKUlT_T0_E_clISt17integral_constantIbLb0EES13_IbLb1EEEEDaSZ_S10_EUlSZ_E_NS1_11comp_targetILNS1_3genE8ELNS1_11target_archE1030ELNS1_3gpuE2ELNS1_3repE0EEENS1_30default_config_static_selectorELNS0_4arch9wavefront6targetE0EEEvT1_
                                        ; -- End function
	.set _ZN7rocprim17ROCPRIM_400000_NS6detail17trampoline_kernelINS0_14default_configENS1_27scan_by_key_config_selectorIssEEZZNS1_16scan_by_key_implILNS1_25lookback_scan_determinismE0ELb0ES3_N6thrust23THRUST_200600_302600_NS6detail15normal_iteratorINS9_10device_ptrIsEEEENS9_18transform_iteratorINS9_6negateIsEESE_NS9_11use_defaultESI_EESE_sNS9_4plusIvEENS9_8equal_toIvEEsEE10hipError_tPvRmT2_T3_T4_T5_mT6_T7_P12ihipStream_tbENKUlT_T0_E_clISt17integral_constantIbLb0EES13_IbLb1EEEEDaSZ_S10_EUlSZ_E_NS1_11comp_targetILNS1_3genE8ELNS1_11target_archE1030ELNS1_3gpuE2ELNS1_3repE0EEENS1_30default_config_static_selectorELNS0_4arch9wavefront6targetE0EEEvT1_.num_vgpr, 0
	.set _ZN7rocprim17ROCPRIM_400000_NS6detail17trampoline_kernelINS0_14default_configENS1_27scan_by_key_config_selectorIssEEZZNS1_16scan_by_key_implILNS1_25lookback_scan_determinismE0ELb0ES3_N6thrust23THRUST_200600_302600_NS6detail15normal_iteratorINS9_10device_ptrIsEEEENS9_18transform_iteratorINS9_6negateIsEESE_NS9_11use_defaultESI_EESE_sNS9_4plusIvEENS9_8equal_toIvEEsEE10hipError_tPvRmT2_T3_T4_T5_mT6_T7_P12ihipStream_tbENKUlT_T0_E_clISt17integral_constantIbLb0EES13_IbLb1EEEEDaSZ_S10_EUlSZ_E_NS1_11comp_targetILNS1_3genE8ELNS1_11target_archE1030ELNS1_3gpuE2ELNS1_3repE0EEENS1_30default_config_static_selectorELNS0_4arch9wavefront6targetE0EEEvT1_.num_agpr, 0
	.set _ZN7rocprim17ROCPRIM_400000_NS6detail17trampoline_kernelINS0_14default_configENS1_27scan_by_key_config_selectorIssEEZZNS1_16scan_by_key_implILNS1_25lookback_scan_determinismE0ELb0ES3_N6thrust23THRUST_200600_302600_NS6detail15normal_iteratorINS9_10device_ptrIsEEEENS9_18transform_iteratorINS9_6negateIsEESE_NS9_11use_defaultESI_EESE_sNS9_4plusIvEENS9_8equal_toIvEEsEE10hipError_tPvRmT2_T3_T4_T5_mT6_T7_P12ihipStream_tbENKUlT_T0_E_clISt17integral_constantIbLb0EES13_IbLb1EEEEDaSZ_S10_EUlSZ_E_NS1_11comp_targetILNS1_3genE8ELNS1_11target_archE1030ELNS1_3gpuE2ELNS1_3repE0EEENS1_30default_config_static_selectorELNS0_4arch9wavefront6targetE0EEEvT1_.numbered_sgpr, 0
	.set _ZN7rocprim17ROCPRIM_400000_NS6detail17trampoline_kernelINS0_14default_configENS1_27scan_by_key_config_selectorIssEEZZNS1_16scan_by_key_implILNS1_25lookback_scan_determinismE0ELb0ES3_N6thrust23THRUST_200600_302600_NS6detail15normal_iteratorINS9_10device_ptrIsEEEENS9_18transform_iteratorINS9_6negateIsEESE_NS9_11use_defaultESI_EESE_sNS9_4plusIvEENS9_8equal_toIvEEsEE10hipError_tPvRmT2_T3_T4_T5_mT6_T7_P12ihipStream_tbENKUlT_T0_E_clISt17integral_constantIbLb0EES13_IbLb1EEEEDaSZ_S10_EUlSZ_E_NS1_11comp_targetILNS1_3genE8ELNS1_11target_archE1030ELNS1_3gpuE2ELNS1_3repE0EEENS1_30default_config_static_selectorELNS0_4arch9wavefront6targetE0EEEvT1_.num_named_barrier, 0
	.set _ZN7rocprim17ROCPRIM_400000_NS6detail17trampoline_kernelINS0_14default_configENS1_27scan_by_key_config_selectorIssEEZZNS1_16scan_by_key_implILNS1_25lookback_scan_determinismE0ELb0ES3_N6thrust23THRUST_200600_302600_NS6detail15normal_iteratorINS9_10device_ptrIsEEEENS9_18transform_iteratorINS9_6negateIsEESE_NS9_11use_defaultESI_EESE_sNS9_4plusIvEENS9_8equal_toIvEEsEE10hipError_tPvRmT2_T3_T4_T5_mT6_T7_P12ihipStream_tbENKUlT_T0_E_clISt17integral_constantIbLb0EES13_IbLb1EEEEDaSZ_S10_EUlSZ_E_NS1_11comp_targetILNS1_3genE8ELNS1_11target_archE1030ELNS1_3gpuE2ELNS1_3repE0EEENS1_30default_config_static_selectorELNS0_4arch9wavefront6targetE0EEEvT1_.private_seg_size, 0
	.set _ZN7rocprim17ROCPRIM_400000_NS6detail17trampoline_kernelINS0_14default_configENS1_27scan_by_key_config_selectorIssEEZZNS1_16scan_by_key_implILNS1_25lookback_scan_determinismE0ELb0ES3_N6thrust23THRUST_200600_302600_NS6detail15normal_iteratorINS9_10device_ptrIsEEEENS9_18transform_iteratorINS9_6negateIsEESE_NS9_11use_defaultESI_EESE_sNS9_4plusIvEENS9_8equal_toIvEEsEE10hipError_tPvRmT2_T3_T4_T5_mT6_T7_P12ihipStream_tbENKUlT_T0_E_clISt17integral_constantIbLb0EES13_IbLb1EEEEDaSZ_S10_EUlSZ_E_NS1_11comp_targetILNS1_3genE8ELNS1_11target_archE1030ELNS1_3gpuE2ELNS1_3repE0EEENS1_30default_config_static_selectorELNS0_4arch9wavefront6targetE0EEEvT1_.uses_vcc, 0
	.set _ZN7rocprim17ROCPRIM_400000_NS6detail17trampoline_kernelINS0_14default_configENS1_27scan_by_key_config_selectorIssEEZZNS1_16scan_by_key_implILNS1_25lookback_scan_determinismE0ELb0ES3_N6thrust23THRUST_200600_302600_NS6detail15normal_iteratorINS9_10device_ptrIsEEEENS9_18transform_iteratorINS9_6negateIsEESE_NS9_11use_defaultESI_EESE_sNS9_4plusIvEENS9_8equal_toIvEEsEE10hipError_tPvRmT2_T3_T4_T5_mT6_T7_P12ihipStream_tbENKUlT_T0_E_clISt17integral_constantIbLb0EES13_IbLb1EEEEDaSZ_S10_EUlSZ_E_NS1_11comp_targetILNS1_3genE8ELNS1_11target_archE1030ELNS1_3gpuE2ELNS1_3repE0EEENS1_30default_config_static_selectorELNS0_4arch9wavefront6targetE0EEEvT1_.uses_flat_scratch, 0
	.set _ZN7rocprim17ROCPRIM_400000_NS6detail17trampoline_kernelINS0_14default_configENS1_27scan_by_key_config_selectorIssEEZZNS1_16scan_by_key_implILNS1_25lookback_scan_determinismE0ELb0ES3_N6thrust23THRUST_200600_302600_NS6detail15normal_iteratorINS9_10device_ptrIsEEEENS9_18transform_iteratorINS9_6negateIsEESE_NS9_11use_defaultESI_EESE_sNS9_4plusIvEENS9_8equal_toIvEEsEE10hipError_tPvRmT2_T3_T4_T5_mT6_T7_P12ihipStream_tbENKUlT_T0_E_clISt17integral_constantIbLb0EES13_IbLb1EEEEDaSZ_S10_EUlSZ_E_NS1_11comp_targetILNS1_3genE8ELNS1_11target_archE1030ELNS1_3gpuE2ELNS1_3repE0EEENS1_30default_config_static_selectorELNS0_4arch9wavefront6targetE0EEEvT1_.has_dyn_sized_stack, 0
	.set _ZN7rocprim17ROCPRIM_400000_NS6detail17trampoline_kernelINS0_14default_configENS1_27scan_by_key_config_selectorIssEEZZNS1_16scan_by_key_implILNS1_25lookback_scan_determinismE0ELb0ES3_N6thrust23THRUST_200600_302600_NS6detail15normal_iteratorINS9_10device_ptrIsEEEENS9_18transform_iteratorINS9_6negateIsEESE_NS9_11use_defaultESI_EESE_sNS9_4plusIvEENS9_8equal_toIvEEsEE10hipError_tPvRmT2_T3_T4_T5_mT6_T7_P12ihipStream_tbENKUlT_T0_E_clISt17integral_constantIbLb0EES13_IbLb1EEEEDaSZ_S10_EUlSZ_E_NS1_11comp_targetILNS1_3genE8ELNS1_11target_archE1030ELNS1_3gpuE2ELNS1_3repE0EEENS1_30default_config_static_selectorELNS0_4arch9wavefront6targetE0EEEvT1_.has_recursion, 0
	.set _ZN7rocprim17ROCPRIM_400000_NS6detail17trampoline_kernelINS0_14default_configENS1_27scan_by_key_config_selectorIssEEZZNS1_16scan_by_key_implILNS1_25lookback_scan_determinismE0ELb0ES3_N6thrust23THRUST_200600_302600_NS6detail15normal_iteratorINS9_10device_ptrIsEEEENS9_18transform_iteratorINS9_6negateIsEESE_NS9_11use_defaultESI_EESE_sNS9_4plusIvEENS9_8equal_toIvEEsEE10hipError_tPvRmT2_T3_T4_T5_mT6_T7_P12ihipStream_tbENKUlT_T0_E_clISt17integral_constantIbLb0EES13_IbLb1EEEEDaSZ_S10_EUlSZ_E_NS1_11comp_targetILNS1_3genE8ELNS1_11target_archE1030ELNS1_3gpuE2ELNS1_3repE0EEENS1_30default_config_static_selectorELNS0_4arch9wavefront6targetE0EEEvT1_.has_indirect_call, 0
	.section	.AMDGPU.csdata,"",@progbits
; Kernel info:
; codeLenInByte = 0
; TotalNumSgprs: 0
; NumVgprs: 0
; ScratchSize: 0
; MemoryBound: 0
; FloatMode: 240
; IeeeMode: 1
; LDSByteSize: 0 bytes/workgroup (compile time only)
; SGPRBlocks: 0
; VGPRBlocks: 0
; NumSGPRsForWavesPerEU: 1
; NumVGPRsForWavesPerEU: 1
; NamedBarCnt: 0
; Occupancy: 16
; WaveLimiterHint : 0
; COMPUTE_PGM_RSRC2:SCRATCH_EN: 0
; COMPUTE_PGM_RSRC2:USER_SGPR: 2
; COMPUTE_PGM_RSRC2:TRAP_HANDLER: 0
; COMPUTE_PGM_RSRC2:TGID_X_EN: 1
; COMPUTE_PGM_RSRC2:TGID_Y_EN: 0
; COMPUTE_PGM_RSRC2:TGID_Z_EN: 0
; COMPUTE_PGM_RSRC2:TIDIG_COMP_CNT: 0
	.section	.text._ZN7rocprim17ROCPRIM_400000_NS6detail30init_device_scan_by_key_kernelINS1_19lookback_scan_stateINS0_5tupleIJibEEELb0ELb1EEEN6thrust23THRUST_200600_302600_NS6detail15normal_iteratorINS8_10device_ptrIxEEEEjNS1_16block_id_wrapperIjLb0EEEEEvT_jjPNSG_10value_typeET0_PNSt15iterator_traitsISJ_E10value_typeEmT1_T2_,"axG",@progbits,_ZN7rocprim17ROCPRIM_400000_NS6detail30init_device_scan_by_key_kernelINS1_19lookback_scan_stateINS0_5tupleIJibEEELb0ELb1EEEN6thrust23THRUST_200600_302600_NS6detail15normal_iteratorINS8_10device_ptrIxEEEEjNS1_16block_id_wrapperIjLb0EEEEEvT_jjPNSG_10value_typeET0_PNSt15iterator_traitsISJ_E10value_typeEmT1_T2_,comdat
	.protected	_ZN7rocprim17ROCPRIM_400000_NS6detail30init_device_scan_by_key_kernelINS1_19lookback_scan_stateINS0_5tupleIJibEEELb0ELb1EEEN6thrust23THRUST_200600_302600_NS6detail15normal_iteratorINS8_10device_ptrIxEEEEjNS1_16block_id_wrapperIjLb0EEEEEvT_jjPNSG_10value_typeET0_PNSt15iterator_traitsISJ_E10value_typeEmT1_T2_ ; -- Begin function _ZN7rocprim17ROCPRIM_400000_NS6detail30init_device_scan_by_key_kernelINS1_19lookback_scan_stateINS0_5tupleIJibEEELb0ELb1EEEN6thrust23THRUST_200600_302600_NS6detail15normal_iteratorINS8_10device_ptrIxEEEEjNS1_16block_id_wrapperIjLb0EEEEEvT_jjPNSG_10value_typeET0_PNSt15iterator_traitsISJ_E10value_typeEmT1_T2_
	.globl	_ZN7rocprim17ROCPRIM_400000_NS6detail30init_device_scan_by_key_kernelINS1_19lookback_scan_stateINS0_5tupleIJibEEELb0ELb1EEEN6thrust23THRUST_200600_302600_NS6detail15normal_iteratorINS8_10device_ptrIxEEEEjNS1_16block_id_wrapperIjLb0EEEEEvT_jjPNSG_10value_typeET0_PNSt15iterator_traitsISJ_E10value_typeEmT1_T2_
	.p2align	8
	.type	_ZN7rocprim17ROCPRIM_400000_NS6detail30init_device_scan_by_key_kernelINS1_19lookback_scan_stateINS0_5tupleIJibEEELb0ELb1EEEN6thrust23THRUST_200600_302600_NS6detail15normal_iteratorINS8_10device_ptrIxEEEEjNS1_16block_id_wrapperIjLb0EEEEEvT_jjPNSG_10value_typeET0_PNSt15iterator_traitsISJ_E10value_typeEmT1_T2_,@function
_ZN7rocprim17ROCPRIM_400000_NS6detail30init_device_scan_by_key_kernelINS1_19lookback_scan_stateINS0_5tupleIJibEEELb0ELb1EEEN6thrust23THRUST_200600_302600_NS6detail15normal_iteratorINS8_10device_ptrIxEEEEjNS1_16block_id_wrapperIjLb0EEEEEvT_jjPNSG_10value_typeET0_PNSt15iterator_traitsISJ_E10value_typeEmT1_T2_: ; @_ZN7rocprim17ROCPRIM_400000_NS6detail30init_device_scan_by_key_kernelINS1_19lookback_scan_stateINS0_5tupleIJibEEELb0ELb1EEEN6thrust23THRUST_200600_302600_NS6detail15normal_iteratorINS8_10device_ptrIxEEEEjNS1_16block_id_wrapperIjLb0EEEEEvT_jjPNSG_10value_typeET0_PNSt15iterator_traitsISJ_E10value_typeEmT1_T2_
; %bb.0:
	s_clause 0x2
	s_load_b32 s2, s[0:1], 0x44
	s_load_b32 s14, s[0:1], 0x38
	s_load_b256 s[4:11], s[0:1], 0x0
	s_bfe_u32 s3, ttmp6, 0x4000c
	s_and_b32 s12, ttmp6, 15
	s_add_co_i32 s3, s3, 1
	s_getreg_b32 s13, hwreg(HW_REG_IB_STS2, 6, 4)
	s_mul_i32 s3, ttmp9, s3
	s_delay_alu instid0(SALU_CYCLE_1)
	s_add_co_i32 s12, s12, s3
	s_wait_kmcnt 0x0
	s_and_b32 s15, s2, 0xffff
	s_cmp_eq_u32 s13, 0
	s_cselect_b32 s2, ttmp9, s12
	s_cmp_eq_u64 s[8:9], 0
	v_mad_u32 v4, s2, s15, v0
	s_cbranch_scc1 .LBB1001_8
; %bb.1:
	s_cmp_lt_u32 s7, s6
	s_mov_b32 s16, exec_lo
	s_cselect_b32 s2, s7, 0
	s_delay_alu instid0(VALU_DEP_1) | instid1(SALU_CYCLE_1)
	v_cmpx_eq_u32_e64 s2, v4
	s_cbranch_execz .LBB1001_7
; %bb.2:
	s_add_co_i32 s2, s7, 32
	s_mov_b32 s3, 0
	v_mov_b32_e32 v7, 0
	s_lshl_b64 s[12:13], s[2:3], 4
	s_mov_b32 s2, exec_lo
	s_add_nc_u64 s[12:13], s[4:5], s[12:13]
	s_delay_alu instid0(SALU_CYCLE_1) | instskip(SKIP_2) | instid1(VALU_DEP_1)
	v_mov_b64_e32 v[0:1], s[12:13]
	;;#ASMSTART
	global_load_b128 v[0:3], v[0:1] off scope:SCOPE_DEV	
s_wait_loadcnt 0x0
	;;#ASMEND
	v_and_b32_e32 v6, 0xff, v2
	v_cmpx_eq_u64_e32 0, v[6:7]
	s_cbranch_execz .LBB1001_6
; %bb.3:
	v_mov_b64_e32 v[8:9], s[12:13]
.LBB1001_4:                             ; =>This Inner Loop Header: Depth=1
	;;#ASMSTART
	global_load_b128 v[0:3], v[8:9] off scope:SCOPE_DEV	
s_wait_loadcnt 0x0
	;;#ASMEND
	v_and_b32_e32 v6, 0xff, v2
	s_delay_alu instid0(VALU_DEP_1) | instskip(SKIP_1) | instid1(SALU_CYCLE_1)
	v_cmp_ne_u64_e32 vcc_lo, 0, v[6:7]
	s_or_b32 s3, vcc_lo, s3
	s_and_not1_b32 exec_lo, exec_lo, s3
	s_cbranch_execnz .LBB1001_4
; %bb.5:
	s_or_b32 exec_lo, exec_lo, s3
.LBB1001_6:
	s_delay_alu instid0(SALU_CYCLE_1)
	s_or_b32 exec_lo, exec_lo, s2
	v_mov_b32_e32 v2, 0
	s_clause 0x1
	global_store_b32 v2, v0, s[8:9]
	global_store_b8 v2, v1, s[8:9] offset:4
.LBB1001_7:
	s_wait_xcnt 0x0
	s_or_b32 exec_lo, exec_lo, s16
.LBB1001_8:
	s_delay_alu instid0(SALU_CYCLE_1) | instskip(NEXT) | instid1(VALU_DEP_1)
	s_mov_b32 s2, exec_lo
	v_cmpx_gt_u32_e64 s6, v4
	s_cbranch_execz .LBB1001_10
; %bb.9:
	v_dual_mov_b32 v0, 0 :: v_dual_add_nc_u32 v5, 32, v4
	s_delay_alu instid0(VALU_DEP_1)
	v_dual_mov_b32 v1, v0 :: v_dual_mov_b32 v2, v0
	v_mov_b32_e32 v3, v0
	global_store_b128 v5, v[0:3], s[4:5] scale_offset
.LBB1001_10:
	s_wait_xcnt 0x0
	s_or_b32 exec_lo, exec_lo, s2
	v_mov_b32_e32 v5, 0
	s_mov_b32 s2, exec_lo
	v_cmpx_gt_u32_e32 32, v4
	s_cbranch_execz .LBB1001_12
; %bb.11:
	s_delay_alu instid0(VALU_DEP_2)
	v_lshl_add_u64 v[6:7], v[4:5], 4, s[4:5]
	v_dual_mov_b32 v2, 0xff :: v_dual_mov_b32 v1, v5
	v_dual_mov_b32 v0, v5 :: v_dual_mov_b32 v3, v5
	global_store_b128 v[6:7], v[0:3], off
.LBB1001_12:
	s_wait_xcnt 0x0
	s_or_b32 exec_lo, exec_lo, s2
	s_load_b64 s[2:3], s[0:1], 0x28
	s_mov_b32 s4, exec_lo
	s_wait_kmcnt 0x0
	v_cmpx_gt_u64_e64 s[2:3], v[4:5]
	s_cbranch_execz .LBB1001_15
; %bb.13:
	s_clause 0x1
	s_load_b32 s4, s[0:1], 0x30
	s_load_b64 s[6:7], s[0:1], 0x20
	s_mov_b32 s5, 0
	s_wait_xcnt 0x0
	s_mul_i32 s0, s14, s15
	s_mov_b32 s9, s5
	s_mov_b32 s1, s5
	s_wait_kmcnt 0x0
	v_mul_u64_e32 v[0:1], s[4:5], v[4:5]
	s_add_co_i32 s8, s4, -1
	v_lshl_add_u64 v[2:3], v[4:5], 3, s[6:7]
	s_lshl_b64 s[8:9], s[8:9], 3
	s_delay_alu instid0(SALU_CYCLE_1) | instskip(SKIP_1) | instid1(SALU_CYCLE_1)
	s_add_nc_u64 s[8:9], s[10:11], s[8:9]
	s_mul_u64 s[10:11], s[4:5], s[0:1]
	s_lshl_b64 s[6:7], s[10:11], 3
	s_delay_alu instid0(VALU_DEP_2)
	v_lshl_add_u64 v[0:1], v[0:1], 3, s[8:9]
	s_lshl_b64 s[8:9], s[0:1], 3
.LBB1001_14:                            ; =>This Inner Loop Header: Depth=1
	global_load_b64 v[6:7], v[0:1], off
	v_add_nc_u64_e32 v[4:5], s[0:1], v[4:5]
	s_wait_xcnt 0x0
	v_add_nc_u64_e32 v[0:1], s[6:7], v[0:1]
	s_delay_alu instid0(VALU_DEP_2)
	v_cmp_le_u64_e32 vcc_lo, s[2:3], v[4:5]
	s_or_b32 s5, vcc_lo, s5
	s_wait_loadcnt 0x0
	global_store_b64 v[2:3], v[6:7], off
	s_wait_xcnt 0x0
	v_add_nc_u64_e32 v[2:3], s[8:9], v[2:3]
	s_and_not1_b32 exec_lo, exec_lo, s5
	s_cbranch_execnz .LBB1001_14
.LBB1001_15:
	s_endpgm
	.section	.rodata,"a",@progbits
	.p2align	6, 0x0
	.amdhsa_kernel _ZN7rocprim17ROCPRIM_400000_NS6detail30init_device_scan_by_key_kernelINS1_19lookback_scan_stateINS0_5tupleIJibEEELb0ELb1EEEN6thrust23THRUST_200600_302600_NS6detail15normal_iteratorINS8_10device_ptrIxEEEEjNS1_16block_id_wrapperIjLb0EEEEEvT_jjPNSG_10value_typeET0_PNSt15iterator_traitsISJ_E10value_typeEmT1_T2_
		.amdhsa_group_segment_fixed_size 0
		.amdhsa_private_segment_fixed_size 0
		.amdhsa_kernarg_size 312
		.amdhsa_user_sgpr_count 2
		.amdhsa_user_sgpr_dispatch_ptr 0
		.amdhsa_user_sgpr_queue_ptr 0
		.amdhsa_user_sgpr_kernarg_segment_ptr 1
		.amdhsa_user_sgpr_dispatch_id 0
		.amdhsa_user_sgpr_kernarg_preload_length 0
		.amdhsa_user_sgpr_kernarg_preload_offset 0
		.amdhsa_user_sgpr_private_segment_size 0
		.amdhsa_wavefront_size32 1
		.amdhsa_uses_dynamic_stack 0
		.amdhsa_enable_private_segment 0
		.amdhsa_system_sgpr_workgroup_id_x 1
		.amdhsa_system_sgpr_workgroup_id_y 0
		.amdhsa_system_sgpr_workgroup_id_z 0
		.amdhsa_system_sgpr_workgroup_info 0
		.amdhsa_system_vgpr_workitem_id 0
		.amdhsa_next_free_vgpr 10
		.amdhsa_next_free_sgpr 17
		.amdhsa_named_barrier_count 0
		.amdhsa_reserve_vcc 1
		.amdhsa_float_round_mode_32 0
		.amdhsa_float_round_mode_16_64 0
		.amdhsa_float_denorm_mode_32 3
		.amdhsa_float_denorm_mode_16_64 3
		.amdhsa_fp16_overflow 0
		.amdhsa_memory_ordered 1
		.amdhsa_forward_progress 1
		.amdhsa_inst_pref_size 5
		.amdhsa_round_robin_scheduling 0
		.amdhsa_exception_fp_ieee_invalid_op 0
		.amdhsa_exception_fp_denorm_src 0
		.amdhsa_exception_fp_ieee_div_zero 0
		.amdhsa_exception_fp_ieee_overflow 0
		.amdhsa_exception_fp_ieee_underflow 0
		.amdhsa_exception_fp_ieee_inexact 0
		.amdhsa_exception_int_div_zero 0
	.end_amdhsa_kernel
	.section	.text._ZN7rocprim17ROCPRIM_400000_NS6detail30init_device_scan_by_key_kernelINS1_19lookback_scan_stateINS0_5tupleIJibEEELb0ELb1EEEN6thrust23THRUST_200600_302600_NS6detail15normal_iteratorINS8_10device_ptrIxEEEEjNS1_16block_id_wrapperIjLb0EEEEEvT_jjPNSG_10value_typeET0_PNSt15iterator_traitsISJ_E10value_typeEmT1_T2_,"axG",@progbits,_ZN7rocprim17ROCPRIM_400000_NS6detail30init_device_scan_by_key_kernelINS1_19lookback_scan_stateINS0_5tupleIJibEEELb0ELb1EEEN6thrust23THRUST_200600_302600_NS6detail15normal_iteratorINS8_10device_ptrIxEEEEjNS1_16block_id_wrapperIjLb0EEEEEvT_jjPNSG_10value_typeET0_PNSt15iterator_traitsISJ_E10value_typeEmT1_T2_,comdat
.Lfunc_end1001:
	.size	_ZN7rocprim17ROCPRIM_400000_NS6detail30init_device_scan_by_key_kernelINS1_19lookback_scan_stateINS0_5tupleIJibEEELb0ELb1EEEN6thrust23THRUST_200600_302600_NS6detail15normal_iteratorINS8_10device_ptrIxEEEEjNS1_16block_id_wrapperIjLb0EEEEEvT_jjPNSG_10value_typeET0_PNSt15iterator_traitsISJ_E10value_typeEmT1_T2_, .Lfunc_end1001-_ZN7rocprim17ROCPRIM_400000_NS6detail30init_device_scan_by_key_kernelINS1_19lookback_scan_stateINS0_5tupleIJibEEELb0ELb1EEEN6thrust23THRUST_200600_302600_NS6detail15normal_iteratorINS8_10device_ptrIxEEEEjNS1_16block_id_wrapperIjLb0EEEEEvT_jjPNSG_10value_typeET0_PNSt15iterator_traitsISJ_E10value_typeEmT1_T2_
                                        ; -- End function
	.set _ZN7rocprim17ROCPRIM_400000_NS6detail30init_device_scan_by_key_kernelINS1_19lookback_scan_stateINS0_5tupleIJibEEELb0ELb1EEEN6thrust23THRUST_200600_302600_NS6detail15normal_iteratorINS8_10device_ptrIxEEEEjNS1_16block_id_wrapperIjLb0EEEEEvT_jjPNSG_10value_typeET0_PNSt15iterator_traitsISJ_E10value_typeEmT1_T2_.num_vgpr, 10
	.set _ZN7rocprim17ROCPRIM_400000_NS6detail30init_device_scan_by_key_kernelINS1_19lookback_scan_stateINS0_5tupleIJibEEELb0ELb1EEEN6thrust23THRUST_200600_302600_NS6detail15normal_iteratorINS8_10device_ptrIxEEEEjNS1_16block_id_wrapperIjLb0EEEEEvT_jjPNSG_10value_typeET0_PNSt15iterator_traitsISJ_E10value_typeEmT1_T2_.num_agpr, 0
	.set _ZN7rocprim17ROCPRIM_400000_NS6detail30init_device_scan_by_key_kernelINS1_19lookback_scan_stateINS0_5tupleIJibEEELb0ELb1EEEN6thrust23THRUST_200600_302600_NS6detail15normal_iteratorINS8_10device_ptrIxEEEEjNS1_16block_id_wrapperIjLb0EEEEEvT_jjPNSG_10value_typeET0_PNSt15iterator_traitsISJ_E10value_typeEmT1_T2_.numbered_sgpr, 17
	.set _ZN7rocprim17ROCPRIM_400000_NS6detail30init_device_scan_by_key_kernelINS1_19lookback_scan_stateINS0_5tupleIJibEEELb0ELb1EEEN6thrust23THRUST_200600_302600_NS6detail15normal_iteratorINS8_10device_ptrIxEEEEjNS1_16block_id_wrapperIjLb0EEEEEvT_jjPNSG_10value_typeET0_PNSt15iterator_traitsISJ_E10value_typeEmT1_T2_.num_named_barrier, 0
	.set _ZN7rocprim17ROCPRIM_400000_NS6detail30init_device_scan_by_key_kernelINS1_19lookback_scan_stateINS0_5tupleIJibEEELb0ELb1EEEN6thrust23THRUST_200600_302600_NS6detail15normal_iteratorINS8_10device_ptrIxEEEEjNS1_16block_id_wrapperIjLb0EEEEEvT_jjPNSG_10value_typeET0_PNSt15iterator_traitsISJ_E10value_typeEmT1_T2_.private_seg_size, 0
	.set _ZN7rocprim17ROCPRIM_400000_NS6detail30init_device_scan_by_key_kernelINS1_19lookback_scan_stateINS0_5tupleIJibEEELb0ELb1EEEN6thrust23THRUST_200600_302600_NS6detail15normal_iteratorINS8_10device_ptrIxEEEEjNS1_16block_id_wrapperIjLb0EEEEEvT_jjPNSG_10value_typeET0_PNSt15iterator_traitsISJ_E10value_typeEmT1_T2_.uses_vcc, 1
	.set _ZN7rocprim17ROCPRIM_400000_NS6detail30init_device_scan_by_key_kernelINS1_19lookback_scan_stateINS0_5tupleIJibEEELb0ELb1EEEN6thrust23THRUST_200600_302600_NS6detail15normal_iteratorINS8_10device_ptrIxEEEEjNS1_16block_id_wrapperIjLb0EEEEEvT_jjPNSG_10value_typeET0_PNSt15iterator_traitsISJ_E10value_typeEmT1_T2_.uses_flat_scratch, 0
	.set _ZN7rocprim17ROCPRIM_400000_NS6detail30init_device_scan_by_key_kernelINS1_19lookback_scan_stateINS0_5tupleIJibEEELb0ELb1EEEN6thrust23THRUST_200600_302600_NS6detail15normal_iteratorINS8_10device_ptrIxEEEEjNS1_16block_id_wrapperIjLb0EEEEEvT_jjPNSG_10value_typeET0_PNSt15iterator_traitsISJ_E10value_typeEmT1_T2_.has_dyn_sized_stack, 0
	.set _ZN7rocprim17ROCPRIM_400000_NS6detail30init_device_scan_by_key_kernelINS1_19lookback_scan_stateINS0_5tupleIJibEEELb0ELb1EEEN6thrust23THRUST_200600_302600_NS6detail15normal_iteratorINS8_10device_ptrIxEEEEjNS1_16block_id_wrapperIjLb0EEEEEvT_jjPNSG_10value_typeET0_PNSt15iterator_traitsISJ_E10value_typeEmT1_T2_.has_recursion, 0
	.set _ZN7rocprim17ROCPRIM_400000_NS6detail30init_device_scan_by_key_kernelINS1_19lookback_scan_stateINS0_5tupleIJibEEELb0ELb1EEEN6thrust23THRUST_200600_302600_NS6detail15normal_iteratorINS8_10device_ptrIxEEEEjNS1_16block_id_wrapperIjLb0EEEEEvT_jjPNSG_10value_typeET0_PNSt15iterator_traitsISJ_E10value_typeEmT1_T2_.has_indirect_call, 0
	.section	.AMDGPU.csdata,"",@progbits
; Kernel info:
; codeLenInByte = 584
; TotalNumSgprs: 19
; NumVgprs: 10
; ScratchSize: 0
; MemoryBound: 0
; FloatMode: 240
; IeeeMode: 1
; LDSByteSize: 0 bytes/workgroup (compile time only)
; SGPRBlocks: 0
; VGPRBlocks: 0
; NumSGPRsForWavesPerEU: 19
; NumVGPRsForWavesPerEU: 10
; NamedBarCnt: 0
; Occupancy: 16
; WaveLimiterHint : 0
; COMPUTE_PGM_RSRC2:SCRATCH_EN: 0
; COMPUTE_PGM_RSRC2:USER_SGPR: 2
; COMPUTE_PGM_RSRC2:TRAP_HANDLER: 0
; COMPUTE_PGM_RSRC2:TGID_X_EN: 1
; COMPUTE_PGM_RSRC2:TGID_Y_EN: 0
; COMPUTE_PGM_RSRC2:TGID_Z_EN: 0
; COMPUTE_PGM_RSRC2:TIDIG_COMP_CNT: 0
	.section	.text._ZN7rocprim17ROCPRIM_400000_NS6detail17trampoline_kernelINS0_14default_configENS1_27scan_by_key_config_selectorIxiEEZZNS1_16scan_by_key_implILNS1_25lookback_scan_determinismE0ELb1ES3_N6thrust23THRUST_200600_302600_NS6detail15normal_iteratorINS9_10device_ptrIxEEEESE_SE_iNS9_4plusIvEENS9_8equal_toIvEEiEE10hipError_tPvRmT2_T3_T4_T5_mT6_T7_P12ihipStream_tbENKUlT_T0_E_clISt17integral_constantIbLb0EESZ_EEDaSU_SV_EUlSU_E_NS1_11comp_targetILNS1_3genE0ELNS1_11target_archE4294967295ELNS1_3gpuE0ELNS1_3repE0EEENS1_30default_config_static_selectorELNS0_4arch9wavefront6targetE0EEEvT1_,"axG",@progbits,_ZN7rocprim17ROCPRIM_400000_NS6detail17trampoline_kernelINS0_14default_configENS1_27scan_by_key_config_selectorIxiEEZZNS1_16scan_by_key_implILNS1_25lookback_scan_determinismE0ELb1ES3_N6thrust23THRUST_200600_302600_NS6detail15normal_iteratorINS9_10device_ptrIxEEEESE_SE_iNS9_4plusIvEENS9_8equal_toIvEEiEE10hipError_tPvRmT2_T3_T4_T5_mT6_T7_P12ihipStream_tbENKUlT_T0_E_clISt17integral_constantIbLb0EESZ_EEDaSU_SV_EUlSU_E_NS1_11comp_targetILNS1_3genE0ELNS1_11target_archE4294967295ELNS1_3gpuE0ELNS1_3repE0EEENS1_30default_config_static_selectorELNS0_4arch9wavefront6targetE0EEEvT1_,comdat
	.protected	_ZN7rocprim17ROCPRIM_400000_NS6detail17trampoline_kernelINS0_14default_configENS1_27scan_by_key_config_selectorIxiEEZZNS1_16scan_by_key_implILNS1_25lookback_scan_determinismE0ELb1ES3_N6thrust23THRUST_200600_302600_NS6detail15normal_iteratorINS9_10device_ptrIxEEEESE_SE_iNS9_4plusIvEENS9_8equal_toIvEEiEE10hipError_tPvRmT2_T3_T4_T5_mT6_T7_P12ihipStream_tbENKUlT_T0_E_clISt17integral_constantIbLb0EESZ_EEDaSU_SV_EUlSU_E_NS1_11comp_targetILNS1_3genE0ELNS1_11target_archE4294967295ELNS1_3gpuE0ELNS1_3repE0EEENS1_30default_config_static_selectorELNS0_4arch9wavefront6targetE0EEEvT1_ ; -- Begin function _ZN7rocprim17ROCPRIM_400000_NS6detail17trampoline_kernelINS0_14default_configENS1_27scan_by_key_config_selectorIxiEEZZNS1_16scan_by_key_implILNS1_25lookback_scan_determinismE0ELb1ES3_N6thrust23THRUST_200600_302600_NS6detail15normal_iteratorINS9_10device_ptrIxEEEESE_SE_iNS9_4plusIvEENS9_8equal_toIvEEiEE10hipError_tPvRmT2_T3_T4_T5_mT6_T7_P12ihipStream_tbENKUlT_T0_E_clISt17integral_constantIbLb0EESZ_EEDaSU_SV_EUlSU_E_NS1_11comp_targetILNS1_3genE0ELNS1_11target_archE4294967295ELNS1_3gpuE0ELNS1_3repE0EEENS1_30default_config_static_selectorELNS0_4arch9wavefront6targetE0EEEvT1_
	.globl	_ZN7rocprim17ROCPRIM_400000_NS6detail17trampoline_kernelINS0_14default_configENS1_27scan_by_key_config_selectorIxiEEZZNS1_16scan_by_key_implILNS1_25lookback_scan_determinismE0ELb1ES3_N6thrust23THRUST_200600_302600_NS6detail15normal_iteratorINS9_10device_ptrIxEEEESE_SE_iNS9_4plusIvEENS9_8equal_toIvEEiEE10hipError_tPvRmT2_T3_T4_T5_mT6_T7_P12ihipStream_tbENKUlT_T0_E_clISt17integral_constantIbLb0EESZ_EEDaSU_SV_EUlSU_E_NS1_11comp_targetILNS1_3genE0ELNS1_11target_archE4294967295ELNS1_3gpuE0ELNS1_3repE0EEENS1_30default_config_static_selectorELNS0_4arch9wavefront6targetE0EEEvT1_
	.p2align	8
	.type	_ZN7rocprim17ROCPRIM_400000_NS6detail17trampoline_kernelINS0_14default_configENS1_27scan_by_key_config_selectorIxiEEZZNS1_16scan_by_key_implILNS1_25lookback_scan_determinismE0ELb1ES3_N6thrust23THRUST_200600_302600_NS6detail15normal_iteratorINS9_10device_ptrIxEEEESE_SE_iNS9_4plusIvEENS9_8equal_toIvEEiEE10hipError_tPvRmT2_T3_T4_T5_mT6_T7_P12ihipStream_tbENKUlT_T0_E_clISt17integral_constantIbLb0EESZ_EEDaSU_SV_EUlSU_E_NS1_11comp_targetILNS1_3genE0ELNS1_11target_archE4294967295ELNS1_3gpuE0ELNS1_3repE0EEENS1_30default_config_static_selectorELNS0_4arch9wavefront6targetE0EEEvT1_,@function
_ZN7rocprim17ROCPRIM_400000_NS6detail17trampoline_kernelINS0_14default_configENS1_27scan_by_key_config_selectorIxiEEZZNS1_16scan_by_key_implILNS1_25lookback_scan_determinismE0ELb1ES3_N6thrust23THRUST_200600_302600_NS6detail15normal_iteratorINS9_10device_ptrIxEEEESE_SE_iNS9_4plusIvEENS9_8equal_toIvEEiEE10hipError_tPvRmT2_T3_T4_T5_mT6_T7_P12ihipStream_tbENKUlT_T0_E_clISt17integral_constantIbLb0EESZ_EEDaSU_SV_EUlSU_E_NS1_11comp_targetILNS1_3genE0ELNS1_11target_archE4294967295ELNS1_3gpuE0ELNS1_3repE0EEENS1_30default_config_static_selectorELNS0_4arch9wavefront6targetE0EEEvT1_: ; @_ZN7rocprim17ROCPRIM_400000_NS6detail17trampoline_kernelINS0_14default_configENS1_27scan_by_key_config_selectorIxiEEZZNS1_16scan_by_key_implILNS1_25lookback_scan_determinismE0ELb1ES3_N6thrust23THRUST_200600_302600_NS6detail15normal_iteratorINS9_10device_ptrIxEEEESE_SE_iNS9_4plusIvEENS9_8equal_toIvEEiEE10hipError_tPvRmT2_T3_T4_T5_mT6_T7_P12ihipStream_tbENKUlT_T0_E_clISt17integral_constantIbLb0EESZ_EEDaSU_SV_EUlSU_E_NS1_11comp_targetILNS1_3genE0ELNS1_11target_archE4294967295ELNS1_3gpuE0ELNS1_3repE0EEENS1_30default_config_static_selectorELNS0_4arch9wavefront6targetE0EEEvT1_
; %bb.0:
	s_clause 0x2
	s_load_b96 s[28:30], s[0:1], 0x38
	s_load_b256 s[12:19], s[0:1], 0x0
	s_load_b128 s[24:27], s[0:1], 0x48
	s_bfe_u32 s4, ttmp6, 0x4000c
	s_delay_alu instid0(SALU_CYCLE_1)
	s_add_co_i32 s4, s4, 1
	s_clause 0x1
	s_load_b32 s36, s[0:1], 0x20
	s_load_b128 s[20:23], s[0:1], 0x28
	s_and_b32 s2, ttmp6, 15
	s_wait_xcnt 0x0
	s_mul_i32 s0, ttmp9, s4
	s_getreg_b32 s5, hwreg(HW_REG_IB_STS2, 6, 4)
	s_add_co_i32 s6, s2, s0
	s_mov_b32 s3, 0
	s_barrier_signal -1
	s_mov_b32 s35, s3
	s_barrier_wait -1
	s_wait_kmcnt 0x0
	s_mov_b32 s2, s30
	s_lshl_b64 s[30:31], s[14:15], 3
	s_cmp_eq_u32 s5, 0
	s_mul_u64 s[4:5], s[28:29], s[2:3]
	s_cselect_b32 s34, ttmp9, s6
	s_add_nc_u64 s[8:9], s[24:25], -1
	s_add_nc_u64 s[4:5], s[4:5], s[34:35]
	s_mul_i32 s2, s34, 0xe00
	v_cmp_ge_u64_e64 s23, s[4:5], s[8:9]
	s_add_nc_u64 s[0:1], s[12:13], s[30:31]
	s_add_nc_u64 s[6:7], s[16:17], s[30:31]
	s_lshl_b64 s[16:17], s[2:3], 3
	s_mul_i32 s33, s8, 0xfffff200
	s_add_nc_u64 s[24:25], s[0:1], s[16:17]
	s_add_nc_u64 s[14:15], s[6:7], s[16:17]
	s_and_b32 vcc_lo, exec_lo, s23
	s_cbranch_vccz .LBB1002_76
; %bb.1:
	v_mov_b32_e32 v1, 0
	s_add_co_i32 s35, s33, s22
	s_delay_alu instid0(SALU_CYCLE_1)
	v_cmp_gt_u32_e32 vcc_lo, s35, v0
	flat_load_b64 v[2:3], v1, s[24:25]
	s_wait_loadcnt_dscnt 0x0
	v_mov_b64_e32 v[4:5], v[2:3]
	s_and_saveexec_b32 s0, vcc_lo
	s_cbranch_execz .LBB1002_3
; %bb.2:
	flat_load_b64 v[4:5], v0, s[24:25] scale_offset
.LBB1002_3:
	s_wait_xcnt 0x0
	s_or_b32 exec_lo, exec_lo, s0
	v_or_b32_e32 v1, 0x100, v0
	v_mov_b64_e32 v[6:7], v[2:3]
	s_delay_alu instid0(VALU_DEP_2)
	v_cmp_gt_u32_e64 s0, s35, v1
	s_and_saveexec_b32 s1, s0
	s_cbranch_execz .LBB1002_5
; %bb.4:
	flat_load_b64 v[6:7], v0, s[24:25] offset:2048 scale_offset
.LBB1002_5:
	s_wait_xcnt 0x0
	s_or_b32 exec_lo, exec_lo, s1
	v_or_b32_e32 v1, 0x200, v0
	v_mov_b64_e32 v[8:9], v[2:3]
	s_delay_alu instid0(VALU_DEP_2)
	v_cmp_gt_u32_e64 s1, s35, v1
	s_and_saveexec_b32 s2, s1
	s_cbranch_execz .LBB1002_7
; %bb.6:
	flat_load_b64 v[8:9], v0, s[24:25] offset:4096 scale_offset
.LBB1002_7:
	;; [unrolled: 11-line block ×12, first 2 shown]
	s_wait_xcnt 0x0
	s_or_b32 exec_lo, exec_lo, s12
	v_or_b32_e32 v1, 0xd00, v0
	s_delay_alu instid0(VALU_DEP_1) | instskip(SKIP_2) | instid1(SALU_CYCLE_1)
	v_cmp_gt_u32_e64 s12, s35, v1
	v_cmp_le_u32_e64 s13, s35, v1
	s_and_saveexec_b32 s37, s13
	s_xor_b32 s13, exec_lo, s37
	s_delay_alu instid0(SALU_CYCLE_1)
	s_and_not1_saveexec_b32 s13, s13
	s_cbranch_execz .LBB1002_29
; %bb.28:
	flat_load_b64 v[2:3], v0, s[24:25] offset:26624 scale_offset
.LBB1002_29:
	s_wait_xcnt 0x0
	s_or_b32 exec_lo, exec_lo, s13
	v_lshlrev_b32_e32 v1, 3, v0
	s_mov_b32 s37, exec_lo
	s_wait_loadcnt_dscnt 0x0
	ds_store_2addr_stride64_b64 v1, v[4:5], v[6:7] offset1:4
	ds_store_2addr_stride64_b64 v1, v[8:9], v[10:11] offset0:8 offset1:12
	ds_store_2addr_stride64_b64 v1, v[12:13], v[14:15] offset0:16 offset1:20
	;; [unrolled: 1-line block ×6, first 2 shown]
	v_mov_b32_e32 v2, 0
	s_wait_dscnt 0x0
	s_barrier_signal -1
	s_barrier_wait -1
	flat_load_b64 v[32:33], v2, s[24:25]
	v_mad_u32_u24 v1, 0x68, v0, v1
	ds_load_b128 v[26:29], v1
	ds_load_b128 v[22:25], v1 offset:16
	ds_load_b128 v[18:21], v1 offset:32
	;; [unrolled: 1-line block ×5, first 2 shown]
	s_wait_xcnt 0x0
	ds_load_b128 v[2:5], v1 offset:96
	v_mad_i32_i24 v30, 0xffffff98, v0, v1
	s_wait_dscnt 0x6
	ds_store_b64 v30, v[26:27] offset:30720
	s_wait_loadcnt_dscnt 0x0
	s_barrier_signal -1
	s_barrier_wait -1
	v_cmpx_ne_u32_e32 0xff, v0
; %bb.30:
	ds_load_b64 v[32:33], v30 offset:30728
; %bb.31:
	s_or_b32 exec_lo, exec_lo, s37
	v_lshlrev_b32_e32 v31, 3, v0
	s_wait_dscnt 0x0
	s_barrier_signal -1
	s_barrier_wait -1
                                        ; implicit-def: $vgpr34
	s_and_saveexec_b32 s13, vcc_lo
	s_cbranch_execz .LBB1002_112
; %bb.32:
	flat_load_b32 v34, v31, s[14:15]
	s_wait_xcnt 0x0
	s_or_b32 exec_lo, exec_lo, s13
                                        ; implicit-def: $vgpr35
	s_and_saveexec_b32 s13, s0
	s_cbranch_execnz .LBB1002_113
.LBB1002_33:
	s_or_b32 exec_lo, exec_lo, s13
                                        ; implicit-def: $vgpr36
	s_and_saveexec_b32 s0, s1
	s_cbranch_execz .LBB1002_114
.LBB1002_34:
	flat_load_b32 v36, v31, s[14:15] offset:4096
	s_wait_xcnt 0x0
	s_or_b32 exec_lo, exec_lo, s0
                                        ; implicit-def: $vgpr37
	s_and_saveexec_b32 s0, s2
	s_cbranch_execnz .LBB1002_115
.LBB1002_35:
	s_or_b32 exec_lo, exec_lo, s0
                                        ; implicit-def: $vgpr38
	s_and_saveexec_b32 s0, s3
	s_cbranch_execz .LBB1002_116
.LBB1002_36:
	flat_load_b32 v38, v31, s[14:15] offset:8192
	s_wait_xcnt 0x0
	s_or_b32 exec_lo, exec_lo, s0
                                        ; implicit-def: $vgpr39
	s_and_saveexec_b32 s0, s4
	s_cbranch_execnz .LBB1002_117
.LBB1002_37:
	s_or_b32 exec_lo, exec_lo, s0
                                        ; implicit-def: $vgpr40
	s_and_saveexec_b32 s0, s5
	s_cbranch_execz .LBB1002_118
.LBB1002_38:
	flat_load_b32 v40, v31, s[14:15] offset:12288
	s_wait_xcnt 0x0
	s_or_b32 exec_lo, exec_lo, s0
                                        ; implicit-def: $vgpr41
	s_and_saveexec_b32 s0, s6
	s_cbranch_execnz .LBB1002_119
.LBB1002_39:
	s_or_b32 exec_lo, exec_lo, s0
                                        ; implicit-def: $vgpr42
	s_and_saveexec_b32 s0, s7
	s_cbranch_execz .LBB1002_120
.LBB1002_40:
	flat_load_b32 v42, v31, s[14:15] offset:16384
	s_wait_xcnt 0x0
	s_or_b32 exec_lo, exec_lo, s0
                                        ; implicit-def: $vgpr43
	s_and_saveexec_b32 s0, s8
	s_cbranch_execnz .LBB1002_121
.LBB1002_41:
	s_or_b32 exec_lo, exec_lo, s0
                                        ; implicit-def: $vgpr44
	s_and_saveexec_b32 s0, s9
	s_cbranch_execz .LBB1002_122
.LBB1002_42:
	flat_load_b32 v44, v31, s[14:15] offset:20480
	s_wait_xcnt 0x0
	s_or_b32 exec_lo, exec_lo, s0
                                        ; implicit-def: $vgpr45
	s_and_saveexec_b32 s0, s10
	s_cbranch_execnz .LBB1002_123
.LBB1002_43:
	s_or_b32 exec_lo, exec_lo, s0
                                        ; implicit-def: $vgpr46
	s_and_saveexec_b32 s0, s11
	s_cbranch_execz .LBB1002_45
.LBB1002_44:
	flat_load_b32 v46, v31, s[14:15] offset:24576
.LBB1002_45:
	s_wait_xcnt 0x0
	s_or_b32 exec_lo, exec_lo, s0
	v_mul_u32_u24_e32 v1, 14, v0
                                        ; implicit-def: $vgpr47
	s_and_saveexec_b32 s0, s12
	s_cbranch_execz .LBB1002_47
; %bb.46:
	flat_load_b32 v47, v31, s[14:15] offset:26624
.LBB1002_47:
	s_wait_xcnt 0x0
	s_or_b32 exec_lo, exec_lo, s0
	v_lshlrev_b32_e32 v31, 2, v0
	v_mov_b64_e32 v[58:59], 0
	v_mov_b64_e32 v[60:61], 0
	;; [unrolled: 1-line block ×4, first 2 shown]
	v_sub_nc_u32_e32 v83, v30, v31
	v_mov_b64_e32 v[30:31], 0
	v_mov_b64_e32 v[66:67], 0
	;; [unrolled: 1-line block ×4, first 2 shown]
	s_wait_loadcnt_dscnt 0x0
	ds_store_2addr_stride64_b32 v83, v34, v35 offset1:4
	ds_store_2addr_stride64_b32 v83, v36, v37 offset0:8 offset1:12
	ds_store_2addr_stride64_b32 v83, v38, v39 offset0:16 offset1:20
	;; [unrolled: 1-line block ×6, first 2 shown]
	v_mov_b64_e32 v[72:73], 0
	v_mov_b64_e32 v[74:75], 0
	;; [unrolled: 1-line block ×17, first 2 shown]
	s_mov_b32 s0, 0
	s_mov_b32 s3, 0
	s_mov_b32 s1, exec_lo
	s_wait_dscnt 0x0
	s_barrier_signal -1
	s_barrier_wait -1
                                        ; implicit-def: $sgpr4
                                        ; implicit-def: $vgpr82
	v_cmpx_gt_u32_e64 s35, v1
	s_cbranch_execz .LBB1002_75
; %bb.48:
	v_mad_u32_u24 v30, v0, 52, v83
	v_cmp_eq_u64_e32 vcc_lo, v[26:27], v[28:29]
	v_mov_b64_e32 v[58:59], 0
	v_mov_b64_e32 v[60:61], 0
	;; [unrolled: 1-line block ×3, first 2 shown]
	ds_load_b32 v30, v30
	v_or_b32_e32 v56, 1, v1
	v_mov_b64_e32 v[64:65], 0
	v_mov_b64_e32 v[66:67], 0
	;; [unrolled: 1-line block ×18, first 2 shown]
	s_wait_dscnt 0x0
	v_cndmask_b32_e32 v30, s36, v30, vcc_lo
	v_cmp_ne_u64_e32 vcc_lo, v[26:27], v[28:29]
	v_mov_b64_e32 v[36:37], 0
	v_mov_b64_e32 v[34:35], 0
	s_mov_b32 s2, exec_lo
                                        ; implicit-def: $sgpr4
                                        ; implicit-def: $vgpr82
	v_cndmask_b32_e64 v31, 0, 1, vcc_lo
	v_cmpx_gt_u32_e64 s35, v56
	s_cbranch_execz .LBB1002_74
; %bb.49:
	v_mul_u32_u24_e32 v26, 52, v0
	v_cmp_ne_u64_e32 vcc_lo, v[28:29], v[22:23]
	v_mov_b64_e32 v[60:61], 0
	v_mov_b64_e32 v[62:63], 0
	;; [unrolled: 1-line block ×3, first 2 shown]
	v_dual_add_nc_u32 v54, v83, v26 :: v_dual_add_nc_u32 v55, 2, v1
	v_mov_b64_e32 v[66:67], 0
	v_cndmask_b32_e64 v59, 0, 1, vcc_lo
	v_cmp_eq_u64_e32 vcc_lo, v[28:29], v[22:23]
	ds_load_2addr_b32 v[26:27], v54 offset0:1 offset1:2
	v_mov_b64_e32 v[68:69], 0
	v_mov_b64_e32 v[70:71], 0
	;; [unrolled: 1-line block ×17, first 2 shown]
	s_mov_b32 s5, 0
	s_mov_b32 s3, exec_lo
	s_wait_dscnt 0x0
	v_cndmask_b32_e32 v58, s36, v26, vcc_lo
                                        ; implicit-def: $sgpr4
                                        ; implicit-def: $vgpr82
	v_cmpx_gt_u32_e64 s35, v55
	s_cbranch_execz .LBB1002_73
; %bb.50:
	v_cmp_eq_u64_e32 vcc_lo, v[22:23], v[24:25]
	v_mov_b64_e32 v[62:63], 0
	v_mov_b64_e32 v[64:65], 0
	;; [unrolled: 1-line block ×6, first 2 shown]
	v_dual_cndmask_b32 v60, s36, v27, vcc_lo :: v_dual_add_nc_u32 v26, 3, v1
	v_cmp_ne_u64_e32 vcc_lo, v[22:23], v[24:25]
	v_mov_b64_e32 v[74:75], 0
	v_mov_b64_e32 v[76:77], 0
	;; [unrolled: 1-line block ×13, first 2 shown]
	v_cndmask_b32_e64 v61, 0, 1, vcc_lo
	s_mov_b32 s6, 0
	s_mov_b32 s5, exec_lo
                                        ; implicit-def: $sgpr4
                                        ; implicit-def: $vgpr82
	v_cmpx_gt_u32_e64 s35, v26
	s_cbranch_execz .LBB1002_72
; %bb.51:
	ds_load_2addr_b32 v[22:23], v54 offset0:3 offset1:4
	v_cmp_eq_u64_e32 vcc_lo, v[24:25], v[18:19]
	v_add_nc_u32_e32 v26, 4, v1
	v_mov_b64_e32 v[64:65], 0
	v_mov_b64_e32 v[66:67], 0
	;; [unrolled: 1-line block ×17, first 2 shown]
	s_wait_dscnt 0x0
	v_cndmask_b32_e32 v62, s36, v22, vcc_lo
	v_cmp_ne_u64_e32 vcc_lo, v[24:25], v[18:19]
	s_mov_b32 s7, 0
	s_mov_b32 s6, exec_lo
                                        ; implicit-def: $sgpr4
                                        ; implicit-def: $vgpr82
	v_cndmask_b32_e64 v63, 0, 1, vcc_lo
	v_cmpx_gt_u32_e64 s35, v26
	s_cbranch_execz .LBB1002_71
; %bb.52:
	v_cmp_eq_u64_e32 vcc_lo, v[18:19], v[20:21]
	v_mov_b64_e32 v[66:67], 0
	v_mov_b64_e32 v[68:69], 0
	;; [unrolled: 1-line block ×6, first 2 shown]
	v_dual_cndmask_b32 v64, s36, v23, vcc_lo :: v_dual_add_nc_u32 v22, 5, v1
	v_cmp_ne_u64_e32 vcc_lo, v[18:19], v[20:21]
	v_mov_b64_e32 v[78:79], 0
	v_mov_b64_e32 v[80:81], 0
	;; [unrolled: 1-line block ×9, first 2 shown]
	v_cndmask_b32_e64 v65, 0, 1, vcc_lo
	s_mov_b32 s8, 0
	s_mov_b32 s7, exec_lo
                                        ; implicit-def: $sgpr4
                                        ; implicit-def: $vgpr82
	v_cmpx_gt_u32_e64 s35, v22
	s_cbranch_execz .LBB1002_70
; %bb.53:
	ds_load_2addr_b32 v[18:19], v54 offset0:5 offset1:6
	v_cmp_ne_u64_e32 vcc_lo, v[20:21], v[14:15]
	v_mov_b64_e32 v[68:69], 0
	v_mov_b64_e32 v[70:71], 0
	;; [unrolled: 1-line block ×6, first 2 shown]
	v_cndmask_b32_e64 v67, 0, 1, vcc_lo
	v_cmp_eq_u64_e32 vcc_lo, v[20:21], v[14:15]
	v_mov_b64_e32 v[80:81], 0
	v_mov_b64_e32 v[44:45], 0
	;; [unrolled: 1-line block ×7, first 2 shown]
	v_add_nc_u32_e32 v22, 6, v1
	s_mov_b32 s9, 0
	s_mov_b32 s8, exec_lo
	s_wait_dscnt 0x0
	v_cndmask_b32_e32 v66, s36, v18, vcc_lo
                                        ; implicit-def: $sgpr4
                                        ; implicit-def: $vgpr82
	v_cmpx_gt_u32_e64 s35, v22
	s_cbranch_execz .LBB1002_69
; %bb.54:
	v_cmp_eq_u64_e32 vcc_lo, v[14:15], v[16:17]
	v_mov_b64_e32 v[70:71], 0
	v_mov_b64_e32 v[72:73], 0
	v_mov_b64_e32 v[74:75], 0
	v_mov_b64_e32 v[76:77], 0
	v_mov_b64_e32 v[78:79], 0
	v_mov_b64_e32 v[80:81], 0
	v_dual_cndmask_b32 v68, s36, v19, vcc_lo :: v_dual_add_nc_u32 v18, 7, v1
	v_cmp_ne_u64_e32 vcc_lo, v[14:15], v[16:17]
	v_mov_b64_e32 v[42:43], 0
	v_mov_b64_e32 v[40:41], 0
	;; [unrolled: 1-line block ×5, first 2 shown]
	s_mov_b32 s10, 0
	v_cndmask_b32_e64 v69, 0, 1, vcc_lo
	s_mov_b32 s9, exec_lo
                                        ; implicit-def: $sgpr4
                                        ; implicit-def: $vgpr82
	v_cmpx_gt_u32_e64 s35, v18
	s_cbranch_execz .LBB1002_68
; %bb.55:
	ds_load_2addr_b32 v[14:15], v54 offset0:7 offset1:8
	v_cmp_ne_u64_e32 vcc_lo, v[16:17], v[10:11]
	v_mov_b64_e32 v[72:73], 0
	v_mov_b64_e32 v[74:75], 0
	;; [unrolled: 1-line block ×6, first 2 shown]
	v_cndmask_b32_e64 v71, 0, 1, vcc_lo
	v_cmp_eq_u64_e32 vcc_lo, v[16:17], v[10:11]
	v_mov_b64_e32 v[38:39], 0
	v_mov_b64_e32 v[36:37], 0
	;; [unrolled: 1-line block ×3, first 2 shown]
	v_add_nc_u32_e32 v18, 8, v1
	s_mov_b32 s11, 0
	s_mov_b32 s10, exec_lo
                                        ; implicit-def: $sgpr4
                                        ; implicit-def: $vgpr82
	s_wait_dscnt 0x0
	v_cndmask_b32_e32 v70, s36, v14, vcc_lo
	v_cmpx_gt_u32_e64 s35, v18
	s_cbranch_execz .LBB1002_67
; %bb.56:
	v_cmp_eq_u64_e32 vcc_lo, v[10:11], v[12:13]
	v_mov_b64_e32 v[74:75], 0
	v_mov_b64_e32 v[76:77], 0
	;; [unrolled: 1-line block ×6, first 2 shown]
	v_dual_cndmask_b32 v72, s36, v15, vcc_lo :: v_dual_add_nc_u32 v14, 9, v1
	v_cmp_ne_u64_e32 vcc_lo, v[10:11], v[12:13]
	v_mov_b64_e32 v[34:35], 0
	s_mov_b32 s12, 0
	s_mov_b32 s11, exec_lo
                                        ; implicit-def: $sgpr4
                                        ; implicit-def: $vgpr82
	v_cndmask_b32_e64 v73, 0, 1, vcc_lo
	v_cmpx_gt_u32_e64 s35, v14
	s_cbranch_execz .LBB1002_66
; %bb.57:
	ds_load_2addr_b32 v[10:11], v54 offset0:9 offset1:10
	v_cmp_ne_u64_e32 vcc_lo, v[12:13], v[6:7]
	v_mov_b64_e32 v[76:77], 0
	v_mov_b64_e32 v[78:79], 0
	;; [unrolled: 1-line block ×5, first 2 shown]
	s_mov_b32 s13, 0
	v_cndmask_b32_e64 v75, 0, 1, vcc_lo
	v_cmp_eq_u64_e32 vcc_lo, v[12:13], v[6:7]
	v_add_nc_u32_e32 v14, 10, v1
	s_mov_b32 s12, exec_lo
                                        ; implicit-def: $sgpr4
                                        ; implicit-def: $vgpr82
	s_wait_dscnt 0x0
	v_cndmask_b32_e32 v74, s36, v10, vcc_lo
	s_delay_alu instid0(VALU_DEP_2)
	v_cmpx_gt_u32_e64 s35, v14
	s_cbranch_execz .LBB1002_65
; %bb.58:
	v_cmp_eq_u64_e32 vcc_lo, v[6:7], v[8:9]
	v_mov_b64_e32 v[78:79], 0
	v_mov_b64_e32 v[80:81], 0
	;; [unrolled: 1-line block ×3, first 2 shown]
	s_mov_b32 s37, 0
	s_mov_b32 s13, exec_lo
                                        ; implicit-def: $sgpr4
                                        ; implicit-def: $vgpr82
	v_dual_add_nc_u32 v10, 11, v1 :: v_dual_cndmask_b32 v76, s36, v11, vcc_lo
	v_cmp_ne_u64_e32 vcc_lo, v[6:7], v[8:9]
	v_cndmask_b32_e64 v77, 0, 1, vcc_lo
	s_delay_alu instid0(VALU_DEP_3)
	v_cmpx_gt_u32_e64 s35, v10
	s_cbranch_execz .LBB1002_64
; %bb.59:
	ds_load_2addr_b32 v[6:7], v54 offset0:11 offset1:12
	v_cmp_ne_u64_e32 vcc_lo, v[8:9], v[2:3]
	v_mov_b64_e32 v[80:81], 0
	s_mov_b32 s38, 0
	s_mov_b32 s37, exec_lo
                                        ; implicit-def: $sgpr4
                                        ; implicit-def: $vgpr82
	v_cndmask_b32_e64 v79, 0, 1, vcc_lo
	v_cmp_eq_u64_e32 vcc_lo, v[8:9], v[2:3]
	s_wait_dscnt 0x0
	v_dual_add_nc_u32 v10, 12, v1 :: v_dual_cndmask_b32 v78, s36, v6, vcc_lo
	s_delay_alu instid0(VALU_DEP_1)
	v_cmpx_gt_u32_e64 s35, v10
	s_cbranch_execz .LBB1002_63
; %bb.60:
	v_cmp_eq_u64_e32 vcc_lo, v[2:3], v[4:5]
	v_add_nc_u32_e32 v1, 13, v1
                                        ; implicit-def: $sgpr4
                                        ; implicit-def: $vgpr82
	v_cndmask_b32_e32 v80, s36, v7, vcc_lo
	v_cmp_ne_u64_e32 vcc_lo, v[2:3], v[4:5]
	v_cndmask_b32_e64 v81, 0, 1, vcc_lo
	s_delay_alu instid0(VALU_DEP_4) | instskip(SKIP_2) | instid1(SALU_CYCLE_1)
	v_cmp_gt_u32_e32 vcc_lo, s35, v1
	s_mov_b32 s35, 0
	s_and_saveexec_b32 s38, vcc_lo
	s_xor_b32 s38, exec_lo, s38
	s_cbranch_execz .LBB1002_62
; %bb.61:
	ds_load_b32 v1, v54 offset:52
	v_cmp_ne_u64_e64 s4, v[4:5], v[32:33]
	s_mov_b32 s35, exec_lo
	s_wait_dscnt 0x0
	v_cndmask_b32_e64 v82, v1, s36, s4
.LBB1002_62:
	s_or_b32 exec_lo, exec_lo, s38
	s_delay_alu instid0(SALU_CYCLE_1)
	s_and_b32 s38, s35, exec_lo
.LBB1002_63:
	s_or_b32 exec_lo, exec_lo, s37
	v_mov_b64_e32 v[34:35], v[80:81]
	s_and_b32 s37, s38, exec_lo
.LBB1002_64:
	s_or_b32 exec_lo, exec_lo, s13
	v_mov_b64_e32 v[36:37], v[78:79]
	s_and_b32 s13, s37, exec_lo
.LBB1002_65:
	s_or_b32 exec_lo, exec_lo, s12
	v_mov_b64_e32 v[38:39], v[76:77]
	s_and_b32 s12, s13, exec_lo
.LBB1002_66:
	s_or_b32 exec_lo, exec_lo, s11
	v_mov_b64_e32 v[40:41], v[74:75]
	s_and_b32 s11, s12, exec_lo
.LBB1002_67:
	s_or_b32 exec_lo, exec_lo, s10
	v_mov_b64_e32 v[42:43], v[72:73]
	s_and_b32 s10, s11, exec_lo
.LBB1002_68:
	s_or_b32 exec_lo, exec_lo, s9
	v_mov_b64_e32 v[44:45], v[70:71]
	s_and_b32 s9, s10, exec_lo
.LBB1002_69:
	s_or_b32 exec_lo, exec_lo, s8
	v_mov_b64_e32 v[46:47], v[68:69]
	s_and_b32 s8, s9, exec_lo
.LBB1002_70:
	s_or_b32 exec_lo, exec_lo, s7
	v_mov_b64_e32 v[48:49], v[66:67]
	s_and_b32 s7, s8, exec_lo
.LBB1002_71:
	s_or_b32 exec_lo, exec_lo, s6
	v_mov_b64_e32 v[50:51], v[64:65]
	s_and_b32 s6, s7, exec_lo
.LBB1002_72:
	s_or_b32 exec_lo, exec_lo, s5
	v_mov_b64_e32 v[52:53], v[62:63]
	s_and_b32 s5, s6, exec_lo
.LBB1002_73:
	s_or_b32 exec_lo, exec_lo, s3
	v_mov_b64_e32 v[54:55], v[60:61]
	s_and_b32 s3, s5, exec_lo
.LBB1002_74:
	s_or_b32 exec_lo, exec_lo, s2
	v_mov_b64_e32 v[56:57], v[58:59]
	s_and_b32 s3, s3, exec_lo
.LBB1002_75:
	s_or_b32 exec_lo, exec_lo, s1
	v_lshlrev_b32_e32 v32, 3, v0
	s_and_b32 vcc_lo, exec_lo, s0
	s_cbranch_vccnz .LBB1002_77
	s_branch .LBB1002_82
.LBB1002_76:
                                        ; implicit-def: $sgpr4
                                        ; implicit-def: $vgpr82
                                        ; implicit-def: $vgpr30_vgpr31
                                        ; implicit-def: $vgpr58_vgpr59
                                        ; implicit-def: $vgpr60_vgpr61
                                        ; implicit-def: $vgpr62_vgpr63
                                        ; implicit-def: $vgpr64_vgpr65
                                        ; implicit-def: $vgpr66_vgpr67
                                        ; implicit-def: $vgpr68_vgpr69
                                        ; implicit-def: $vgpr70_vgpr71
                                        ; implicit-def: $vgpr72_vgpr73
                                        ; implicit-def: $vgpr74_vgpr75
                                        ; implicit-def: $vgpr76_vgpr77
                                        ; implicit-def: $vgpr78_vgpr79
                                        ; implicit-def: $vgpr80_vgpr81
                                        ; implicit-def: $vgpr56_vgpr57
                                        ; implicit-def: $vgpr54_vgpr55
                                        ; implicit-def: $vgpr52_vgpr53
                                        ; implicit-def: $vgpr50_vgpr51
                                        ; implicit-def: $vgpr48_vgpr49
                                        ; implicit-def: $vgpr46_vgpr47
                                        ; implicit-def: $vgpr44_vgpr45
                                        ; implicit-def: $vgpr42_vgpr43
                                        ; implicit-def: $vgpr40_vgpr41
                                        ; implicit-def: $vgpr38_vgpr39
                                        ; implicit-def: $vgpr36_vgpr37
                                        ; implicit-def: $vgpr34_vgpr35
	v_lshlrev_b32_e32 v32, 3, v0
	s_cbranch_execz .LBB1002_82
.LBB1002_77:
	s_clause 0xd
	flat_load_b64 v[2:3], v0, s[24:25] scale_offset
	flat_load_b64 v[4:5], v0, s[24:25] offset:2048 scale_offset
	flat_load_b64 v[6:7], v0, s[24:25] offset:4096 scale_offset
	;; [unrolled: 1-line block ×13, first 2 shown]
	v_mov_b32_e32 v1, 0
	s_mov_b32 s0, exec_lo
	s_wait_loadcnt_dscnt 0xc0c
	ds_store_2addr_stride64_b64 v32, v[2:3], v[4:5] offset1:4
	s_wait_loadcnt_dscnt 0xa0b
	ds_store_2addr_stride64_b64 v32, v[6:7], v[8:9] offset0:8 offset1:12
	s_wait_loadcnt_dscnt 0x80a
	ds_store_2addr_stride64_b64 v32, v[10:11], v[12:13] offset0:16 offset1:20
	;; [unrolled: 2-line block ×6, first 2 shown]
	s_wait_dscnt 0x0
	s_barrier_signal -1
	s_barrier_wait -1
	flat_load_b64 v[34:35], v1, s[24:25] offset:28672
	s_wait_xcnt 0x0
	v_mad_u32_u24 v1, 0x68, v0, v32
	ds_load_b128 v[26:29], v1
	ds_load_b128 v[22:25], v1 offset:16
	ds_load_b128 v[18:21], v1 offset:32
	;; [unrolled: 1-line block ×6, first 2 shown]
	v_mad_i32_i24 v1, 0xffffff98, v0, v1
	s_wait_dscnt 0x6
	ds_store_b64 v1, v[26:27] offset:30720
	s_wait_loadcnt_dscnt 0x0
	s_barrier_signal -1
	s_barrier_wait -1
	v_cmpx_ne_u32_e32 0xff, v0
; %bb.78:
	ds_load_b64 v[34:35], v1 offset:30728
; %bb.79:
	s_or_b32 exec_lo, exec_lo, s0
	s_wait_dscnt 0x0
	s_barrier_signal -1
	s_barrier_wait -1
	s_clause 0xd
	flat_load_b32 v30, v32, s[14:15]
	flat_load_b32 v31, v32, s[14:15] offset:2048
	flat_load_b32 v36, v32, s[14:15] offset:4096
	;; [unrolled: 1-line block ×13, first 2 shown]
	v_lshlrev_b32_e32 v33, 2, v0
	v_cmp_eq_u64_e32 vcc_lo, v[26:27], v[28:29]
	s_delay_alu instid0(VALU_DEP_2)
	v_dual_mov_b32 v26, s36 :: v_dual_sub_nc_u32 v33, v1, v33
	s_wait_loadcnt_dscnt 0xc0c
	ds_store_2addr_stride64_b32 v33, v30, v31 offset1:4
	s_wait_loadcnt_dscnt 0xa0b
	ds_store_2addr_stride64_b32 v33, v36, v37 offset0:8 offset1:12
	s_wait_loadcnt_dscnt 0x80a
	ds_store_2addr_stride64_b32 v33, v38, v39 offset0:16 offset1:20
	;; [unrolled: 2-line block ×6, first 2 shown]
	v_mad_u32_u24 v1, v0, 52, v33
	s_wait_dscnt 0x0
	s_barrier_signal -1
	s_barrier_wait -1
	ds_load_2addr_b32 v[46:47], v1 offset0:1 offset1:2
	ds_load_2addr_b32 v[44:45], v1 offset0:3 offset1:4
	ds_load_2addr_b32 v[42:43], v1 offset0:5 offset1:6
	ds_load_2addr_b32 v[40:41], v1 offset0:7 offset1:8
	ds_load_2addr_b32 v[38:39], v1 offset0:9 offset1:10
	ds_load_2addr_b32 v[36:37], v1 offset0:11 offset1:12
	ds_load_b32 v1, v1 offset:52
	v_mov_b64_e32 v[30:31], 0x100000000
	s_and_saveexec_b32 s0, vcc_lo
	s_cbranch_execz .LBB1002_81
; %bb.80:
	v_mul_u32_u24_e32 v26, 52, v0
	v_mov_b64_e32 v[30:31], 0
	s_delay_alu instid0(VALU_DEP_2)
	v_add_nc_u32_e32 v26, v33, v26
	ds_load_b32 v26, v26
.LBB1002_81:
	s_or_b32 exec_lo, exec_lo, s0
	v_cmp_eq_u64_e32 vcc_lo, v[28:29], v[22:23]
	v_cmp_ne_u64_e64 s4, v[4:5], v[34:35]
	s_mov_b32 s3, -1
	s_wait_dscnt 0x6
	v_cndmask_b32_e32 v58, s36, v46, vcc_lo
	v_cmp_ne_u64_e32 vcc_lo, v[28:29], v[22:23]
	s_wait_dscnt 0x0
	v_cndmask_b32_e64 v82, v1, s36, s4
	v_cndmask_b32_e64 v59, 0, 1, vcc_lo
	v_cmp_eq_u64_e32 vcc_lo, v[22:23], v[24:25]
	v_or_b32_e32 v30, v30, v26
	s_delay_alu instid0(VALU_DEP_3) | instskip(SKIP_4) | instid1(VALU_DEP_2)
	v_mov_b64_e32 v[56:57], v[58:59]
	v_cndmask_b32_e32 v60, s36, v47, vcc_lo
	v_cmp_ne_u64_e32 vcc_lo, v[22:23], v[24:25]
	v_cndmask_b32_e64 v61, 0, 1, vcc_lo
	v_cmp_eq_u64_e32 vcc_lo, v[24:25], v[18:19]
	v_mov_b64_e32 v[54:55], v[60:61]
	v_cndmask_b32_e32 v62, s36, v44, vcc_lo
	v_cmp_ne_u64_e32 vcc_lo, v[24:25], v[18:19]
	v_cndmask_b32_e64 v63, 0, 1, vcc_lo
	v_cmp_eq_u64_e32 vcc_lo, v[18:19], v[20:21]
	s_delay_alu instid0(VALU_DEP_2) | instskip(SKIP_4) | instid1(VALU_DEP_2)
	v_mov_b64_e32 v[52:53], v[62:63]
	v_cndmask_b32_e32 v64, s36, v45, vcc_lo
	v_cmp_ne_u64_e32 vcc_lo, v[18:19], v[20:21]
	v_cndmask_b32_e64 v65, 0, 1, vcc_lo
	v_cmp_eq_u64_e32 vcc_lo, v[20:21], v[14:15]
	v_mov_b64_e32 v[50:51], v[64:65]
	v_cndmask_b32_e32 v66, s36, v42, vcc_lo
	v_cmp_ne_u64_e32 vcc_lo, v[20:21], v[14:15]
	v_cndmask_b32_e64 v67, 0, 1, vcc_lo
	v_cmp_eq_u64_e32 vcc_lo, v[14:15], v[16:17]
	s_delay_alu instid0(VALU_DEP_2) | instskip(SKIP_4) | instid1(VALU_DEP_2)
	;; [unrolled: 11-line block ×4, first 2 shown]
	v_mov_b64_e32 v[40:41], v[74:75]
	v_cndmask_b32_e32 v76, s36, v39, vcc_lo
	v_cmp_ne_u64_e32 vcc_lo, v[6:7], v[8:9]
	v_cndmask_b32_e64 v77, 0, 1, vcc_lo
	v_cmp_eq_u64_e32 vcc_lo, v[8:9], v[2:3]
	v_mov_b64_e32 v[38:39], v[76:77]
	v_cndmask_b32_e32 v78, s36, v36, vcc_lo
	v_cmp_ne_u64_e32 vcc_lo, v[8:9], v[2:3]
	v_cndmask_b32_e64 v79, 0, 1, vcc_lo
	v_cmp_eq_u64_e32 vcc_lo, v[2:3], v[4:5]
	v_cndmask_b32_e32 v80, s36, v37, vcc_lo
	v_cmp_ne_u64_e32 vcc_lo, v[2:3], v[4:5]
	s_delay_alu instid0(VALU_DEP_4) | instskip(SKIP_1) | instid1(VALU_DEP_1)
	v_mov_b64_e32 v[36:37], v[78:79]
	v_cndmask_b32_e64 v81, 0, 1, vcc_lo
	v_mov_b64_e32 v[34:35], v[80:81]
.LBB1002_82:
	v_mov_b64_e32 v[8:9], 0
	s_and_saveexec_b32 s0, s3
	s_cbranch_execz .LBB1002_84
; %bb.83:
	v_cndmask_b32_e64 v83, 0, 1, s4
	v_mov_b64_e32 v[34:35], v[80:81]
	v_mov_b64_e32 v[36:37], v[78:79]
	v_mov_b64_e32 v[38:39], v[76:77]
	v_mov_b64_e32 v[40:41], v[74:75]
	v_mov_b64_e32 v[8:9], v[82:83]
	v_mov_b64_e32 v[42:43], v[72:73]
	v_mov_b64_e32 v[44:45], v[70:71]
	v_mov_b64_e32 v[46:47], v[68:69]
	v_mov_b64_e32 v[48:49], v[66:67]
	v_mov_b64_e32 v[50:51], v[64:65]
	v_mov_b64_e32 v[52:53], v[62:63]
	v_mov_b64_e32 v[54:55], v[60:61]
	v_mov_b64_e32 v[56:57], v[58:59]
.LBB1002_84:
	s_or_b32 exec_lo, exec_lo, s0
	v_dual_lshrrev_b32 v1, 2, v0 :: v_dual_bitop2_b32 v19, v45, v43 bitop3:0x54
	s_delay_alu instid0(VALU_DEP_3)
	v_or_b32_e32 v18, v37, v35
	s_cmp_lg_u32 s34, 0
	v_cmp_gt_u32_e32 vcc_lo, 32, v0
	s_barrier_signal -1
	s_barrier_wait -1
	s_cbranch_scc0 .LBB1002_124
; %bb.85:
	v_or3_b32 v3, v19, v47, v49
	s_mov_b64 s[12:13], 0x100000000
	v_or3_b32 v4, v18, v39, v41
	v_cmp_gt_u64_e64 s0, s[12:13], v[56:57]
	v_cmp_gt_u64_e64 s1, s[12:13], v[54:55]
	v_or3_b32 v3, v3, v51, v53
	v_cmp_gt_u64_e64 s2, s[12:13], v[52:53]
	v_cmp_gt_u64_e64 s3, s[12:13], v[50:51]
	;; [unrolled: 1-line block ×4, first 2 shown]
	v_cndmask_b32_e64 v2, 0, v30, s0
	v_or3_b32 v3, v3, v55, v57
	v_cmp_gt_u64_e64 s6, s[12:13], v[44:45]
	v_cmp_gt_u64_e64 s7, s[12:13], v[42:43]
	;; [unrolled: 1-line block ×6, first 2 shown]
	v_or3_b32 v3, v9, v4, v3
	v_and_b32_e32 v4, 56, v1
	v_cmp_gt_u64_e64 s12, s[12:13], v[8:9]
	v_add_nc_u32_e32 v2, v2, v56
	s_delay_alu instid0(VALU_DEP_4) | instskip(NEXT) | instid1(VALU_DEP_4)
	v_and_b32_e32 v3, 0xff, v3
	v_lshl_add_u32 v4, v0, 3, v4
	s_delay_alu instid0(VALU_DEP_3) | instskip(NEXT) | instid1(VALU_DEP_1)
	v_cndmask_b32_e64 v2, 0, v2, s1
	v_add_nc_u32_e32 v2, v2, v54
	s_delay_alu instid0(VALU_DEP_1) | instskip(NEXT) | instid1(VALU_DEP_1)
	v_cndmask_b32_e64 v2, 0, v2, s2
	v_add_nc_u32_e32 v2, v2, v52
	s_delay_alu instid0(VALU_DEP_1) | instskip(NEXT) | instid1(VALU_DEP_1)
	;; [unrolled: 3-line block ×10, first 2 shown]
	v_cndmask_b32_e64 v2, 0, v2, s11
	v_dual_mov_b32 v2, 0 :: v_dual_add_nc_u32 v5, v2, v34
	s_delay_alu instid0(VALU_DEP_1) | instskip(NEXT) | instid1(VALU_DEP_2)
	v_cndmask_b32_e64 v5, 0, v5, s12
	v_cmp_eq_u64_e64 s12, 0, v[2:3]
	s_delay_alu instid0(VALU_DEP_1)
	v_dual_add_nc_u32 v14, v5, v8 :: v_dual_cndmask_b32 v15, 1, v31, s12
	ds_store_b32 v4, v14
	ds_store_b8 v4, v15 offset:4
	s_wait_dscnt 0x0
	s_barrier_signal -1
	s_barrier_wait -1
	s_and_saveexec_b32 s13, vcc_lo
	s_cbranch_execz .LBB1002_95
; %bb.86:
	v_dual_lshlrev_b32 v2, 1, v0 :: v_dual_lshlrev_b32 v3, 6, v0
	s_mov_b32 s14, exec_lo
	s_delay_alu instid0(VALU_DEP_1) | instskip(NEXT) | instid1(VALU_DEP_1)
	v_and_b32_e32 v2, 0x1f8, v2
	v_add_nc_u32_e32 v4, v2, v3
	ds_load_u8 v5, v4 offset:12
	ds_load_b64 v[2:3], v4
	ds_load_2addr_b32 v[6:7], v4 offset0:2 offset1:4
	ds_load_u8 v12, v4 offset:20
	ds_load_u8 v13, v4 offset:28
	;; [unrolled: 1-line block ×5, first 2 shown]
	ds_load_b32 v21, v4 offset:56
	s_wait_dscnt 0x8
	v_cmp_eq_u16_e64 s12, 0, v5
	s_wait_dscnt 0x5
	s_delay_alu instid0(VALU_DEP_1)
	v_dual_cndmask_b32 v22, 0, v2, s12 :: v_dual_bitop2_b32 v5, v12, v5 bitop3:0x54
	ds_load_2addr_b32 v[10:11], v4 offset0:6 offset1:8
	v_cmp_eq_u16_e64 s12, 0, v12
	s_wait_dscnt 0x4
	v_bitop3_b16 v5, v5, v16, v13 bitop3:0xfe
	v_add_nc_u32_e32 v6, v22, v6
	s_delay_alu instid0(VALU_DEP_1) | instskip(SKIP_1) | instid1(VALU_DEP_2)
	v_cndmask_b32_e64 v6, 0, v6, s12
	v_cmp_eq_u16_e64 s12, 0, v13
	v_add_nc_u32_e32 v6, v6, v7
	s_delay_alu instid0(VALU_DEP_1)
	v_cndmask_b32_e64 v22, 0, v6, s12
	ds_load_2addr_b32 v[6:7], v4 offset0:10 offset1:12
	v_cmp_eq_u16_e64 s12, 0, v16
	s_wait_dscnt 0x1
	v_add_nc_u32_e32 v10, v22, v10
	ds_load_u8 v22, v4 offset:60
	v_cndmask_b32_e64 v10, 0, v10, s12
	v_cmp_eq_u16_e64 s12, 0, v17
	s_delay_alu instid0(VALU_DEP_2) | instskip(SKIP_1) | instid1(VALU_DEP_2)
	v_add_nc_u32_e32 v10, v10, v11
	v_bitop3_b16 v11, v5, v20, v17 bitop3:0xfe
	v_dual_cndmask_b32 v10, 0, v10, s12 :: v_dual_bitop2_b32 v5, 1, v3 bitop3:0x40
	s_delay_alu instid0(VALU_DEP_2) | instskip(SKIP_1) | instid1(VALU_DEP_2)
	v_cmp_eq_u16_e64 s12, 0, v11
	s_wait_dscnt 0x1
	v_add_nc_u32_e32 v6, v10, v6
	s_wait_dscnt 0x0
	s_delay_alu instid0(VALU_DEP_2) | instskip(SKIP_1) | instid1(VALU_DEP_1)
	v_dual_cndmask_b32 v11, 1, v5, s12 :: v_dual_bitop2_b32 v10, 1, v22 bitop3:0x40
	v_cmp_eq_u16_e64 s12, 0, v20
	v_cndmask_b32_e64 v6, 0, v6, s12
	s_delay_alu instid0(VALU_DEP_3) | instskip(SKIP_1) | instid1(VALU_DEP_3)
	v_cmp_eq_u32_e64 s12, 1, v10
	v_mbcnt_lo_u32_b32 v10, -1, 0
	v_add_nc_u32_e32 v7, v6, v7
	s_delay_alu instid0(VALU_DEP_3) | instskip(SKIP_2) | instid1(VALU_DEP_3)
	v_cndmask_b32_e64 v11, v11, 1, s12
	v_cmp_eq_u16_e64 s12, 0, v22
	v_and_b32_e32 v6, 0xffffff00, v3
	v_and_b32_e32 v12, 0xffff, v11
	s_delay_alu instid0(VALU_DEP_1) | instskip(NEXT) | instid1(VALU_DEP_1)
	v_dual_cndmask_b32 v7, 0, v7, s12 :: v_dual_bitop2_b32 v13, v6, v12 bitop3:0x54
	v_dual_add_nc_u32 v7, v7, v21 :: v_dual_bitop2_b32 v12, 15, v10 bitop3:0x40
	s_delay_alu instid0(VALU_DEP_2) | instskip(NEXT) | instid1(VALU_DEP_2)
	v_mov_b32_dpp v17, v13 row_shr:1 row_mask:0xf bank_mask:0xf
	v_mov_b32_dpp v16, v7 row_shr:1 row_mask:0xf bank_mask:0xf
	s_delay_alu instid0(VALU_DEP_3)
	v_cmpx_ne_u32_e32 0, v12
	s_cbranch_execz .LBB1002_88
; %bb.87:
	v_and_b32_e32 v13, 1, v11
	v_and_b32_e32 v17, 1, v17
	s_delay_alu instid0(VALU_DEP_2) | instskip(NEXT) | instid1(VALU_DEP_1)
	v_cmp_eq_u32_e64 s12, 1, v13
	v_cndmask_b32_e64 v17, v17, 1, s12
	v_cmp_eq_u16_e64 s12, 0, v11
	s_delay_alu instid0(VALU_DEP_2) | instskip(NEXT) | instid1(VALU_DEP_1)
	v_and_b32_e32 v13, 0xffff, v17
	v_dual_cndmask_b32 v11, 0, v16, s12 :: v_dual_bitop2_b32 v13, v6, v13 bitop3:0x54
	s_delay_alu instid0(VALU_DEP_1)
	v_dual_add_nc_u32 v7, v11, v7 :: v_dual_mov_b32 v11, v17
.LBB1002_88:
	s_or_b32 exec_lo, exec_lo, s14
	s_delay_alu instid0(VALU_DEP_1) | instskip(NEXT) | instid1(VALU_DEP_3)
	v_mov_b32_dpp v16, v7 row_shr:2 row_mask:0xf bank_mask:0xf
	v_mov_b32_dpp v17, v13 row_shr:2 row_mask:0xf bank_mask:0xf
	s_mov_b32 s14, exec_lo
	v_cmpx_lt_u32_e32 1, v12
	s_cbranch_execz .LBB1002_90
; %bb.89:
	v_and_b32_e32 v13, 1, v11
	v_and_b32_e32 v17, 1, v17
	s_delay_alu instid0(VALU_DEP_2) | instskip(NEXT) | instid1(VALU_DEP_1)
	v_cmp_eq_u32_e64 s12, 1, v13
	v_cndmask_b32_e64 v17, v17, 1, s12
	v_cmp_eq_u16_e64 s12, 0, v11
	s_delay_alu instid0(VALU_DEP_2) | instskip(NEXT) | instid1(VALU_DEP_1)
	v_and_b32_e32 v13, 0xffff, v17
	v_dual_cndmask_b32 v11, 0, v16, s12 :: v_dual_bitop2_b32 v13, v6, v13 bitop3:0x54
	s_delay_alu instid0(VALU_DEP_1)
	v_dual_add_nc_u32 v7, v11, v7 :: v_dual_mov_b32 v11, v17
.LBB1002_90:
	s_or_b32 exec_lo, exec_lo, s14
	s_delay_alu instid0(VALU_DEP_1) | instskip(NEXT) | instid1(VALU_DEP_3)
	v_mov_b32_dpp v16, v7 row_shr:4 row_mask:0xf bank_mask:0xf
	v_mov_b32_dpp v17, v13 row_shr:4 row_mask:0xf bank_mask:0xf
	s_mov_b32 s14, exec_lo
	v_cmpx_lt_u32_e32 3, v12
	;; [unrolled: 20-line block ×3, first 2 shown]
	s_cbranch_execz .LBB1002_94
; %bb.93:
	v_and_b32_e32 v12, 1, v11
	v_and_b32_e32 v13, 1, v17
	s_delay_alu instid0(VALU_DEP_2) | instskip(NEXT) | instid1(VALU_DEP_1)
	v_cmp_eq_u32_e64 s12, 1, v12
	v_cndmask_b32_e64 v12, v13, 1, s12
	v_cmp_eq_u16_e64 s12, 0, v11
	s_delay_alu instid0(VALU_DEP_2) | instskip(NEXT) | instid1(VALU_DEP_1)
	v_and_b32_e32 v13, 0xffff, v12
	v_dual_cndmask_b32 v11, 0, v16, s12 :: v_dual_bitop2_b32 v13, v6, v13 bitop3:0x54
	s_delay_alu instid0(VALU_DEP_1)
	v_dual_add_nc_u32 v7, v11, v7 :: v_dual_mov_b32 v11, v12
.LBB1002_94:
	s_or_b32 exec_lo, exec_lo, s14
	ds_swizzle_b32 v12, v13 offset:swizzle(BROADCAST,32,15)
	ds_swizzle_b32 v13, v7 offset:swizzle(BROADCAST,32,15)
	v_and_b32_e32 v16, 1, v11
	v_bfe_i32 v20, v10, 4, 1
	v_and_b32_e32 v3, 0xff, v3
	; wave barrier
	s_delay_alu instid0(VALU_DEP_3) | instskip(SKIP_2) | instid1(VALU_DEP_1)
	v_cmp_eq_u32_e64 s12, 1, v16
	s_wait_dscnt 0x1
	v_dual_add_nc_u32 v16, -1, v10 :: v_dual_bitop2_b32 v12, 1, v12 bitop3:0x40
	v_cndmask_b32_e64 v12, v12, 1, s12
	v_and_b32_e32 v17, 16, v10
	v_cmp_eq_u16_e64 s12, 0, v11
	s_wait_dscnt 0x0
	s_delay_alu instid0(VALU_DEP_1) | instskip(NEXT) | instid1(VALU_DEP_3)
	v_cndmask_b32_e64 v13, 0, v13, s12
	v_cmp_eq_u32_e64 s12, 0, v17
	s_delay_alu instid0(VALU_DEP_1) | instskip(SKIP_1) | instid1(VALU_DEP_2)
	v_cndmask_b32_e64 v11, v12, v11, s12
	v_cmp_gt_i32_e64 s12, 0, v16
	v_and_b32_e32 v11, 0xffff, v11
	s_delay_alu instid0(VALU_DEP_2) | instskip(SKIP_1) | instid1(VALU_DEP_3)
	v_cndmask_b32_e64 v10, v16, v10, s12
	v_cmp_eq_u16_e64 s12, 0, v3
	v_or_b32_e32 v6, v6, v11
	s_delay_alu instid0(VALU_DEP_3)
	v_dual_lshlrev_b32 v10, 2, v10 :: v_dual_bitop2_b32 v12, v20, v13 bitop3:0x40
	ds_bpermute_b32 v6, v10, v6
	s_wait_dscnt 0x0
	v_dual_add_nc_u32 v7, v12, v7 :: v_dual_bitop2_b32 v6, 1, v6 bitop3:0x40
	ds_bpermute_b32 v7, v10, v7
	s_wait_dscnt 0x0
	v_cndmask_b32_e64 v3, 0, v7, s12
	v_cmp_eq_u32_e64 s12, 1, v5
	s_delay_alu instid0(VALU_DEP_2) | instskip(NEXT) | instid1(VALU_DEP_2)
	v_add_nc_u32_e32 v2, v3, v2
	v_cndmask_b32_e64 v3, v6, 1, s12
	v_cmp_eq_u32_e64 s12, 0, v0
	s_delay_alu instid0(VALU_DEP_1)
	v_dual_cndmask_b32 v10, v3, v15, s12 :: v_dual_cndmask_b32 v5, v2, v14, s12
	ds_store_b32 v4, v5
	ds_store_b8 v4, v10 offset:4
	; wave barrier
	ds_load_u8 v11, v4 offset:12
	ds_load_2addr_b32 v[2:3], v4 offset0:2 offset1:4
	ds_load_u8 v12, v4 offset:20
	ds_load_u8 v13, v4 offset:28
	;; [unrolled: 1-line block ×5, first 2 shown]
	ds_load_b32 v21, v4 offset:56
	ds_load_u8 v22, v4 offset:60
	ds_load_2addr_b32 v[6:7], v4 offset0:6 offset1:8
	s_wait_dscnt 0x9
	v_cmp_eq_u16_e64 s12, 0, v11
	s_delay_alu instid0(VALU_DEP_1) | instskip(SKIP_2) | instid1(VALU_DEP_2)
	v_cndmask_b32_e64 v5, 0, v5, s12
	s_wait_dscnt 0x7
	v_cmp_eq_u16_e64 s12, 0, v12
	v_add_nc_u32_e32 v5, v5, v2
	s_delay_alu instid0(VALU_DEP_1) | instskip(SKIP_2) | instid1(VALU_DEP_2)
	v_cndmask_b32_e64 v2, 0, v5, s12
	s_wait_dscnt 0x6
	v_cmp_eq_u16_e64 s12, 0, v13
	v_add_nc_u32_e32 v23, v2, v3
	ds_load_2addr_b32 v[2:3], v4 offset0:10 offset1:12
	v_cndmask_b32_e64 v24, 0, v23, s12
	s_wait_dscnt 0x6
	v_cmp_eq_u16_e64 s12, 0, v16
	ds_store_2addr_b32 v4, v5, v23 offset0:2 offset1:4
	s_wait_dscnt 0x2
	v_dual_add_nc_u32 v6, v24, v6 :: v_dual_bitop2_b32 v11, 1, v11 bitop3:0x40
	s_delay_alu instid0(VALU_DEP_1) | instskip(NEXT) | instid1(VALU_DEP_2)
	v_dual_cndmask_b32 v24, 0, v6, s12 :: v_dual_bitop2_b32 v12, 1, v12 bitop3:0x40
	v_cmp_eq_u32_e64 s12, 1, v11
	s_delay_alu instid0(VALU_DEP_2) | instskip(NEXT) | instid1(VALU_DEP_2)
	v_add_nc_u32_e32 v7, v24, v7
	v_cndmask_b32_e64 v10, v10, 1, s12
	s_delay_alu instid0(VALU_DEP_4) | instskip(NEXT) | instid1(VALU_DEP_1)
	v_cmp_eq_u32_e64 s12, 1, v12
	v_cndmask_b32_e64 v12, v10, 1, s12
	v_cmp_eq_u16_e64 s12, 0, v17
	v_and_b32_e32 v11, 1, v13
	s_delay_alu instid0(VALU_DEP_2) | instskip(NEXT) | instid1(VALU_DEP_2)
	v_dual_cndmask_b32 v16, 0, v7, s12 :: v_dual_bitop2_b32 v13, 1, v16 bitop3:0x40
	v_cmp_eq_u32_e64 s12, 1, v11
	s_wait_dscnt 0x1
	s_delay_alu instid0(VALU_DEP_2) | instskip(NEXT) | instid1(VALU_DEP_2)
	v_add_nc_u32_e32 v2, v16, v2
	v_cndmask_b32_e64 v11, v12, 1, s12
	v_cmp_eq_u32_e64 s12, 1, v13
	v_and_b32_e32 v16, 1, v20
	s_delay_alu instid0(VALU_DEP_2) | instskip(SKIP_1) | instid1(VALU_DEP_1)
	v_cndmask_b32_e64 v13, v11, 1, s12
	v_cmp_eq_u16_e64 s12, 0, v20
	v_dual_cndmask_b32 v20, 0, v2, s12 :: v_dual_bitop2_b32 v17, 1, v17 bitop3:0x40
	s_delay_alu instid0(VALU_DEP_1) | instskip(NEXT) | instid1(VALU_DEP_2)
	v_cmp_eq_u32_e64 s12, 1, v17
	v_add_nc_u32_e32 v3, v20, v3
	s_delay_alu instid0(VALU_DEP_2)
	v_cndmask_b32_e64 v17, v13, 1, s12
	v_cmp_eq_u32_e64 s12, 1, v16
	ds_store_2addr_b32 v4, v6, v7 offset0:6 offset1:8
	ds_store_2addr_b32 v4, v2, v3 offset0:10 offset1:12
	v_cndmask_b32_e64 v16, v17, 1, s12
	v_cmp_eq_u16_e64 s12, 0, v22
	s_delay_alu instid0(VALU_DEP_1) | instskip(NEXT) | instid1(VALU_DEP_1)
	v_dual_cndmask_b32 v5, 0, v3, s12 :: v_dual_bitop2_b32 v24, 1, v22 bitop3:0x40
	v_cmp_eq_u32_e64 s12, 1, v24
	s_delay_alu instid0(VALU_DEP_2) | instskip(NEXT) | instid1(VALU_DEP_2)
	v_add_nc_u32_e32 v2, v5, v21
	v_cndmask_b32_e64 v20, v16, 1, s12
	ds_store_b8 v4, v10 offset:12
	ds_store_b8 v4, v12 offset:20
	;; [unrolled: 1-line block ×6, first 2 shown]
	ds_store_b32 v4, v2 offset:56
	ds_store_b8 v4, v20 offset:60
.LBB1002_95:
	s_or_b32 exec_lo, exec_lo, s13
	v_cmp_eq_u32_e64 s12, 0, v0
	s_mov_b32 s14, exec_lo
	s_wait_dscnt 0x0
	s_barrier_signal -1
	s_barrier_wait -1
	v_cmpx_ne_u32_e32 0, v0
	s_cbranch_execz .LBB1002_97
; %bb.96:
	v_add_nc_u32_e32 v2, -1, v0
	s_delay_alu instid0(VALU_DEP_1) | instskip(NEXT) | instid1(VALU_DEP_1)
	v_lshrrev_b32_e32 v3, 2, v2
	v_and_b32_e32 v3, 0x3ffffff8, v3
	s_delay_alu instid0(VALU_DEP_1)
	v_lshl_add_u32 v2, v2, 3, v3
	ds_load_b32 v14, v2
	ds_load_u8 v15, v2 offset:4
.LBB1002_97:
	s_or_b32 exec_lo, exec_lo, s14
	s_and_saveexec_b32 s35, vcc_lo
	s_cbranch_execz .LBB1002_177
; %bb.98:
	v_mov_b32_e32 v5, 0
	v_mbcnt_lo_u32_b32 v16, -1, 0
	s_mov_b32 s15, 0
	ds_load_b64 v[2:3], v5 offset:2096
	v_cmp_eq_u32_e64 s13, 0, v16
	s_and_saveexec_b32 s24, s13
	s_cbranch_execz .LBB1002_100
; %bb.99:
	s_add_co_i32 s14, s34, 32
	v_mov_b32_e32 v4, 1
	s_lshl_b64 s[14:15], s[14:15], 4
	s_delay_alu instid0(SALU_CYCLE_1) | instskip(NEXT) | instid1(SALU_CYCLE_1)
	s_add_nc_u64 s[14:15], s[20:21], s[14:15]
	v_mov_b64_e32 v[6:7], s[14:15]
	s_wait_dscnt 0x0
	;;#ASMSTART
	global_store_b128 v[6:7], v[2:5] off scope:SCOPE_DEV	
s_wait_storecnt 0x0
	;;#ASMEND
.LBB1002_100:
	s_or_b32 exec_lo, exec_lo, s24
	v_xad_u32 v10, v16, -1, s34
	s_mov_b32 s14, exec_lo
	s_delay_alu instid0(VALU_DEP_1) | instskip(NEXT) | instid1(VALU_DEP_1)
	v_add_nc_u32_e32 v4, 32, v10
	v_lshl_add_u64 v[12:13], v[4:5], 4, s[20:21]
	;;#ASMSTART
	global_load_b128 v[4:7], v[12:13] off scope:SCOPE_DEV	
s_wait_loadcnt 0x0
	;;#ASMEND
	v_and_b32_e32 v7, 0xff, v6
	v_and_b32_e32 v5, 0xff, v5
	s_delay_alu instid0(VALU_DEP_2)
	v_cmpx_eq_u16_e32 0, v7
	s_cbranch_execz .LBB1002_104
; %bb.101:
	s_mov_b32 s15, 0
.LBB1002_102:                           ; =>This Inner Loop Header: Depth=1
	;;#ASMSTART
	global_load_b128 v[4:7], v[12:13] off scope:SCOPE_DEV	
s_wait_loadcnt 0x0
	;;#ASMEND
	v_and_b32_e32 v7, 0xff, v6
	s_delay_alu instid0(VALU_DEP_1) | instskip(SKIP_1) | instid1(SALU_CYCLE_1)
	v_cmp_ne_u16_e32 vcc_lo, 0, v7
	s_or_b32 s15, vcc_lo, s15
	s_and_not1_b32 exec_lo, exec_lo, s15
	s_cbranch_execnz .LBB1002_102
; %bb.103:
	s_or_b32 exec_lo, exec_lo, s15
	v_and_b32_e32 v5, 0xff, v5
.LBB1002_104:
	s_or_b32 exec_lo, exec_lo, s14
	v_cmp_ne_u32_e32 vcc_lo, 31, v16
	v_and_b32_e32 v11, 0xff, v6
	v_lshlrev_b32_e64 v20, v16, -1
	s_mov_b64 s[24:25], 0x100000000
	v_lshl_or_b32 v29, v16, 2, 64
	v_add_co_ci_u32_e64 v7, null, 0, v16, vcc_lo
	v_cmp_eq_u16_e32 vcc_lo, 2, v11
	v_cmp_gt_u64_e64 s14, s[24:25], v[4:5]
	s_delay_alu instid0(VALU_DEP_3) | instskip(SKIP_2) | instid1(VALU_DEP_3)
	v_dual_lshlrev_b32 v17, 2, v7 :: v_dual_bitop2_b32 v12, 1, v5 bitop3:0x40
	v_add_nc_u32_e32 v33, 16, v16
	v_and_or_b32 v11, vcc_lo, v20, 0x80000000
	v_cmp_eq_u32_e32 vcc_lo, 1, v12
	ds_bpermute_b32 v7, v17, v5
	ds_bpermute_b32 v12, v17, v4
	v_ctz_i32_b32_e32 v11, v11
	s_wait_dscnt 0x1
	v_and_b32_e32 v7, 1, v7
	s_delay_alu instid0(VALU_DEP_1) | instskip(SKIP_1) | instid1(VALU_DEP_2)
	v_cndmask_b32_e64 v7, v7, 1, vcc_lo
	v_cmp_gt_u32_e32 vcc_lo, 30, v16
	v_and_b32_e32 v22, 0xffff, v7
	v_cndmask_b32_e64 v13, 0, 2, vcc_lo
	v_cmp_lt_u32_e32 vcc_lo, v16, v11
	s_delay_alu instid0(VALU_DEP_2) | instskip(NEXT) | instid1(VALU_DEP_4)
	v_add_lshl_u32 v21, v13, v16, 2
	v_dual_cndmask_b32 v13, v5, v22, vcc_lo :: v_dual_cndmask_b32 v7, v5, v7, vcc_lo
	s_and_b32 vcc_lo, vcc_lo, s14
	v_add_nc_u32_e32 v22, 2, v16
	s_wait_dscnt 0x0
	v_cndmask_b32_e32 v12, 0, v12, vcc_lo
	ds_bpermute_b32 v5, v21, v13
	v_and_b32_e32 v23, 1, v7
	v_and_b32_e32 v25, 0xff, v7
	v_add_nc_u32_e32 v4, v12, v4
	s_delay_alu instid0(VALU_DEP_3) | instskip(NEXT) | instid1(VALU_DEP_3)
	v_cmp_eq_u32_e32 vcc_lo, 1, v23
	v_cmp_eq_u16_e64 s14, 0, v25
	ds_bpermute_b32 v12, v21, v4
	s_wait_dscnt 0x1
	v_and_b32_e32 v5, 1, v5
	s_delay_alu instid0(VALU_DEP_1) | instskip(SKIP_1) | instid1(VALU_DEP_2)
	v_cndmask_b32_e64 v5, v5, 1, vcc_lo
	v_cmp_gt_u32_e32 vcc_lo, 28, v16
	v_and_b32_e32 v24, 0xffff, v5
	v_cndmask_b32_e64 v23, 0, 4, vcc_lo
	v_cmp_gt_u32_e32 vcc_lo, v22, v11
	s_delay_alu instid0(VALU_DEP_2) | instskip(NEXT) | instid1(VALU_DEP_4)
	v_add_lshl_u32 v23, v23, v16, 2
	v_dual_cndmask_b32 v5, v5, v7, vcc_lo :: v_dual_cndmask_b32 v7, v24, v13, vcc_lo
	s_wait_dscnt 0x0
	s_delay_alu instid0(VALU_DEP_1) | instskip(SKIP_4) | instid1(VALU_DEP_3)
	v_dual_cndmask_b32 v12, 0, v12, s14 :: v_dual_bitop2_b32 v25, 1, v5 bitop3:0x40
	ds_bpermute_b32 v13, v23, v7
	v_cndmask_b32_e64 v12, v12, 0, vcc_lo
	v_cmp_eq_u32_e32 vcc_lo, 1, v25
	v_and_b32_e32 v25, 0xff, v5
	v_add_nc_u32_e32 v4, v12, v4
	s_delay_alu instid0(VALU_DEP_2)
	v_cmp_eq_u16_e64 s14, 0, v25
	s_wait_dscnt 0x0
	v_and_b32_e32 v13, 1, v13
	ds_bpermute_b32 v12, v23, v4
	v_cndmask_b32_e64 v13, v13, 1, vcc_lo
	v_add_nc_u32_e32 v24, 4, v16
	v_cmp_gt_u32_e32 vcc_lo, 24, v16
	s_delay_alu instid0(VALU_DEP_3) | instskip(SKIP_1) | instid1(VALU_DEP_4)
	v_and_b32_e32 v27, 0xffff, v13
	v_cndmask_b32_e64 v26, 0, 8, vcc_lo
	v_cmp_gt_u32_e32 vcc_lo, v24, v11
	s_delay_alu instid0(VALU_DEP_2) | instskip(NEXT) | instid1(VALU_DEP_4)
	v_add_lshl_u32 v25, v26, v16, 2
	v_dual_cndmask_b32 v7, v27, v7, vcc_lo :: v_dual_cndmask_b32 v5, v13, v5, vcc_lo
	v_add_nc_u32_e32 v26, 8, v16
	s_wait_dscnt 0x0
	v_cndmask_b32_e64 v12, 0, v12, s14
	ds_bpermute_b32 v13, v25, v7
	v_and_b32_e32 v27, 1, v5
	v_and_b32_e32 v28, 0xff, v5
	v_cndmask_b32_e64 v12, v12, 0, vcc_lo
	s_delay_alu instid0(VALU_DEP_3) | instskip(NEXT) | instid1(VALU_DEP_2)
	v_cmp_eq_u32_e32 vcc_lo, 1, v27
	v_add_nc_u32_e32 v4, v12, v4
	ds_bpermute_b32 v12, v25, v4
	s_wait_dscnt 0x1
	v_and_b32_e32 v13, 1, v13
	s_delay_alu instid0(VALU_DEP_1) | instskip(SKIP_1) | instid1(VALU_DEP_2)
	v_cndmask_b32_e64 v13, v13, 1, vcc_lo
	v_cmp_eq_u16_e32 vcc_lo, 0, v28
	v_and_b32_e32 v27, 0xffff, v13
	s_wait_dscnt 0x0
	v_cndmask_b32_e32 v12, 0, v12, vcc_lo
	v_cmp_gt_u32_e32 vcc_lo, v26, v11
	v_cndmask_b32_e32 v5, v13, v5, vcc_lo
	s_delay_alu instid0(VALU_DEP_3) | instskip(SKIP_1) | instid1(VALU_DEP_3)
	v_cndmask_b32_e64 v12, v12, 0, vcc_lo
	v_cndmask_b32_e32 v7, v27, v7, vcc_lo
	v_and_b32_e32 v13, 0xff, v5
	s_delay_alu instid0(VALU_DEP_3)
	v_add_nc_u32_e32 v4, v12, v4
	ds_bpermute_b32 v7, v29, v7
	v_and_b32_e32 v27, 1, v5
	v_cmp_eq_u16_e32 vcc_lo, 0, v13
	ds_bpermute_b32 v12, v29, v4
	s_wait_dscnt 0x0
	v_dual_cndmask_b32 v12, 0, v12, vcc_lo :: v_dual_bitop2_b32 v7, 1, v7 bitop3:0x40
	v_cmp_eq_u32_e32 vcc_lo, 1, v27
	s_delay_alu instid0(VALU_DEP_2) | instskip(SKIP_1) | instid1(VALU_DEP_2)
	v_cndmask_b32_e64 v7, v7, 1, vcc_lo
	v_cmp_gt_u32_e32 vcc_lo, v33, v11
	v_dual_mov_b32 v11, 0 :: v_dual_cndmask_b32 v5, v7, v5, vcc_lo
	v_cndmask_b32_e64 v7, v12, 0, vcc_lo
	s_delay_alu instid0(VALU_DEP_1)
	v_add_nc_u32_e32 v4, v7, v4
	s_branch .LBB1002_108
.LBB1002_105:                           ;   in Loop: Header=BB1002_108 Depth=1
	s_or_b32 exec_lo, exec_lo, s15
	v_and_b32_e32 v5, 0xff, v5
.LBB1002_106:                           ;   in Loop: Header=BB1002_108 Depth=1
	s_or_b32 exec_lo, exec_lo, s14
	ds_bpermute_b32 v7, v17, v5
	v_and_b32_e32 v12, 0xff, v6
	v_cmp_gt_u64_e64 s14, s[24:25], v[4:5]
	v_subrev_nc_u32_e32 v10, 32, v10
	s_delay_alu instid0(VALU_DEP_3) | instskip(SKIP_2) | instid1(VALU_DEP_2)
	v_cmp_eq_u16_e32 vcc_lo, 2, v12
	v_and_b32_e32 v12, 1, v5
	v_and_or_b32 v13, vcc_lo, v20, 0x80000000
	v_cmp_eq_u32_e32 vcc_lo, 1, v12
	s_delay_alu instid0(VALU_DEP_2) | instskip(SKIP_3) | instid1(VALU_DEP_1)
	v_ctz_i32_b32_e32 v12, v13
	ds_bpermute_b32 v13, v17, v4
	s_wait_dscnt 0x1
	v_and_b32_e32 v7, 1, v7
	v_cndmask_b32_e64 v7, v7, 1, vcc_lo
	v_cmp_lt_u32_e32 vcc_lo, v16, v12
	s_delay_alu instid0(VALU_DEP_2) | instskip(NEXT) | instid1(VALU_DEP_1)
	v_and_b32_e32 v58, 0xffff, v7
	v_dual_cndmask_b32 v7, v5, v7 :: v_dual_cndmask_b32 v58, v5, v58
	s_and_b32 vcc_lo, vcc_lo, s14
	s_wait_dscnt 0x0
	s_delay_alu instid0(VALU_DEP_1)
	v_dual_cndmask_b32 v13, 0, v13, vcc_lo :: v_dual_bitop2_b32 v59, 1, v7 bitop3:0x40
	v_and_b32_e32 v60, 0xff, v7
	ds_bpermute_b32 v5, v21, v58
	v_cmp_eq_u32_e32 vcc_lo, 1, v59
	v_add_nc_u32_e32 v4, v13, v4
	v_cmp_eq_u16_e64 s14, 0, v60
	s_wait_dscnt 0x0
	v_and_b32_e32 v5, 1, v5
	ds_bpermute_b32 v13, v21, v4
	v_cndmask_b32_e64 v5, v5, 1, vcc_lo
	v_cmp_gt_u32_e32 vcc_lo, v22, v12
	s_delay_alu instid0(VALU_DEP_2) | instskip(NEXT) | instid1(VALU_DEP_1)
	v_and_b32_e32 v59, 0xffff, v5
	v_dual_cndmask_b32 v5, v5, v7, vcc_lo :: v_dual_cndmask_b32 v7, v59, v58, vcc_lo
	s_delay_alu instid0(VALU_DEP_1) | instskip(SKIP_3) | instid1(VALU_DEP_1)
	v_and_b32_e32 v59, 1, v5
	ds_bpermute_b32 v58, v23, v7
	s_wait_dscnt 0x0
	v_dual_cndmask_b32 v13, 0, v13, s14 :: v_dual_bitop2_b32 v58, 1, v58 bitop3:0x40
	v_cndmask_b32_e64 v13, v13, 0, vcc_lo
	v_cmp_eq_u32_e32 vcc_lo, 1, v59
	v_and_b32_e32 v59, 0xff, v5
	s_delay_alu instid0(VALU_DEP_3) | instskip(SKIP_2) | instid1(VALU_DEP_4)
	v_add_nc_u32_e32 v4, v13, v4
	v_cndmask_b32_e64 v58, v58, 1, vcc_lo
	v_cmp_gt_u32_e32 vcc_lo, v24, v12
	v_cmp_eq_u16_e64 s14, 0, v59
	ds_bpermute_b32 v13, v23, v4
	v_and_b32_e32 v60, 0xffff, v58
	s_wait_dscnt 0x0
	s_delay_alu instid0(VALU_DEP_1) | instskip(SKIP_1) | instid1(VALU_DEP_1)
	v_dual_cndmask_b32 v7, v60, v7, vcc_lo :: v_dual_cndmask_b32 v13, 0, v13, s14
	s_mov_b32 s14, 0
	v_cndmask_b32_e64 v13, v13, 0, vcc_lo
	v_cndmask_b32_e32 v5, v58, v5, vcc_lo
	ds_bpermute_b32 v58, v25, v7
	v_dual_add_nc_u32 v4, v13, v4 :: v_dual_bitop2_b32 v59, 1, v5 bitop3:0x40
	v_and_b32_e32 v60, 0xff, v5
	ds_bpermute_b32 v13, v25, v4
	v_cmp_eq_u32_e32 vcc_lo, 1, v59
	s_wait_dscnt 0x1
	v_and_b32_e32 v58, 1, v58
	s_delay_alu instid0(VALU_DEP_1) | instskip(SKIP_1) | instid1(VALU_DEP_2)
	v_cndmask_b32_e64 v58, v58, 1, vcc_lo
	v_cmp_eq_u16_e32 vcc_lo, 0, v60
	v_and_b32_e32 v59, 0xffff, v58
	s_wait_dscnt 0x0
	v_cndmask_b32_e32 v13, 0, v13, vcc_lo
	v_cmp_gt_u32_e32 vcc_lo, v26, v12
	s_delay_alu instid0(VALU_DEP_2) | instskip(SKIP_1) | instid1(VALU_DEP_2)
	v_cndmask_b32_e64 v13, v13, 0, vcc_lo
	v_dual_cndmask_b32 v7, v59, v7, vcc_lo :: v_dual_cndmask_b32 v5, v58, v5, vcc_lo
	v_add_nc_u32_e32 v4, v13, v4
	ds_bpermute_b32 v7, v29, v7
	v_and_b32_e32 v58, 1, v5
	v_and_b32_e32 v59, 0xff, v5
	ds_bpermute_b32 v13, v29, v4
	v_cmp_eq_u32_e32 vcc_lo, 1, v58
	s_wait_dscnt 0x1
	v_cndmask_b32_e64 v7, v7, 1, vcc_lo
	v_cmp_eq_u16_e32 vcc_lo, 0, v59
	s_wait_dscnt 0x0
	v_cndmask_b32_e32 v13, 0, v13, vcc_lo
	v_cmp_gt_u32_e32 vcc_lo, v33, v12
	v_and_b32_e32 v12, 0xff, v27
	v_cndmask_b32_e32 v5, v7, v5, vcc_lo
	s_delay_alu instid0(VALU_DEP_4) | instskip(NEXT) | instid1(VALU_DEP_3)
	v_cndmask_b32_e64 v7, v13, 0, vcc_lo
	v_cmp_eq_u16_e32 vcc_lo, 0, v12
	s_delay_alu instid0(VALU_DEP_2) | instskip(NEXT) | instid1(VALU_DEP_1)
	v_dual_add_nc_u32 v4, v7, v4 :: v_dual_bitop2_b32 v7, 1, v27 bitop3:0x40
	v_dual_cndmask_b32 v4, 0, v4, vcc_lo :: v_dual_bitop2_b32 v5, 1, v5 bitop3:0x40
	s_delay_alu instid0(VALU_DEP_2) | instskip(NEXT) | instid1(VALU_DEP_2)
	v_cmp_eq_u32_e32 vcc_lo, 1, v7
	v_add_nc_u32_e32 v4, v4, v28
	s_delay_alu instid0(VALU_DEP_3)
	v_cndmask_b32_e64 v5, v5, 1, vcc_lo
.LBB1002_107:                           ;   in Loop: Header=BB1002_108 Depth=1
	s_and_b32 vcc_lo, exec_lo, s14
	s_cbranch_vccnz .LBB1002_173
.LBB1002_108:                           ; =>This Loop Header: Depth=1
                                        ;     Child Loop BB1002_111 Depth 2
	v_and_b32_e32 v6, 0xff, v6
	s_delay_alu instid0(VALU_DEP_2) | instskip(SKIP_1) | instid1(VALU_DEP_2)
	v_dual_mov_b32 v27, v5 :: v_dual_mov_b32 v28, v4
	s_mov_b32 s14, -1
                                        ; implicit-def: $vgpr5
                                        ; implicit-def: $vgpr4
	v_cmp_ne_u16_e32 vcc_lo, 2, v6
                                        ; implicit-def: $vgpr6
	s_cmp_lg_u32 vcc_lo, exec_lo
	s_cbranch_scc1 .LBB1002_107
; %bb.109:                              ;   in Loop: Header=BB1002_108 Depth=1
	v_lshl_add_u64 v[12:13], v[10:11], 4, s[20:21]
	;;#ASMSTART
	global_load_b128 v[4:7], v[12:13] off scope:SCOPE_DEV	
s_wait_loadcnt 0x0
	;;#ASMEND
	v_and_b32_e32 v7, 0xff, v6
	v_and_b32_e32 v5, 0xff, v5
	s_mov_b32 s14, exec_lo
	s_delay_alu instid0(VALU_DEP_2)
	v_cmpx_eq_u16_e32 0, v7
	s_cbranch_execz .LBB1002_106
; %bb.110:                              ;   in Loop: Header=BB1002_108 Depth=1
	s_mov_b32 s15, 0
.LBB1002_111:                           ;   Parent Loop BB1002_108 Depth=1
                                        ; =>  This Inner Loop Header: Depth=2
	;;#ASMSTART
	global_load_b128 v[4:7], v[12:13] off scope:SCOPE_DEV	
s_wait_loadcnt 0x0
	;;#ASMEND
	v_and_b32_e32 v7, 0xff, v6
	s_delay_alu instid0(VALU_DEP_1) | instskip(SKIP_1) | instid1(SALU_CYCLE_1)
	v_cmp_ne_u16_e32 vcc_lo, 0, v7
	s_or_b32 s15, vcc_lo, s15
	s_and_not1_b32 exec_lo, exec_lo, s15
	s_cbranch_execnz .LBB1002_111
	s_branch .LBB1002_105
.LBB1002_112:
	s_or_b32 exec_lo, exec_lo, s13
                                        ; implicit-def: $vgpr35
	s_and_saveexec_b32 s13, s0
	s_cbranch_execz .LBB1002_33
.LBB1002_113:
	flat_load_b32 v35, v31, s[14:15] offset:2048
	s_wait_xcnt 0x0
	s_or_b32 exec_lo, exec_lo, s13
                                        ; implicit-def: $vgpr36
	s_and_saveexec_b32 s0, s1
	s_cbranch_execnz .LBB1002_34
.LBB1002_114:
	s_or_b32 exec_lo, exec_lo, s0
                                        ; implicit-def: $vgpr37
	s_and_saveexec_b32 s0, s2
	s_cbranch_execz .LBB1002_35
.LBB1002_115:
	flat_load_b32 v37, v31, s[14:15] offset:6144
	s_wait_xcnt 0x0
	s_or_b32 exec_lo, exec_lo, s0
                                        ; implicit-def: $vgpr38
	s_and_saveexec_b32 s0, s3
	s_cbranch_execnz .LBB1002_36
.LBB1002_116:
	s_or_b32 exec_lo, exec_lo, s0
                                        ; implicit-def: $vgpr39
	s_and_saveexec_b32 s0, s4
	s_cbranch_execz .LBB1002_37
.LBB1002_117:
	flat_load_b32 v39, v31, s[14:15] offset:10240
	s_wait_xcnt 0x0
	s_or_b32 exec_lo, exec_lo, s0
                                        ; implicit-def: $vgpr40
	s_and_saveexec_b32 s0, s5
	s_cbranch_execnz .LBB1002_38
.LBB1002_118:
	s_or_b32 exec_lo, exec_lo, s0
                                        ; implicit-def: $vgpr41
	s_and_saveexec_b32 s0, s6
	s_cbranch_execz .LBB1002_39
.LBB1002_119:
	flat_load_b32 v41, v31, s[14:15] offset:14336
	s_wait_xcnt 0x0
	s_or_b32 exec_lo, exec_lo, s0
                                        ; implicit-def: $vgpr42
	s_and_saveexec_b32 s0, s7
	s_cbranch_execnz .LBB1002_40
.LBB1002_120:
	s_or_b32 exec_lo, exec_lo, s0
                                        ; implicit-def: $vgpr43
	s_and_saveexec_b32 s0, s8
	s_cbranch_execz .LBB1002_41
.LBB1002_121:
	flat_load_b32 v43, v31, s[14:15] offset:18432
	s_wait_xcnt 0x0
	s_or_b32 exec_lo, exec_lo, s0
                                        ; implicit-def: $vgpr44
	s_and_saveexec_b32 s0, s9
	s_cbranch_execnz .LBB1002_42
.LBB1002_122:
	s_or_b32 exec_lo, exec_lo, s0
                                        ; implicit-def: $vgpr45
	s_and_saveexec_b32 s0, s10
	s_cbranch_execz .LBB1002_43
.LBB1002_123:
	flat_load_b32 v45, v31, s[14:15] offset:22528
	s_wait_xcnt 0x0
	s_or_b32 exec_lo, exec_lo, s0
                                        ; implicit-def: $vgpr46
	s_and_saveexec_b32 s0, s11
	s_cbranch_execz .LBB1002_45
	s_branch .LBB1002_44
.LBB1002_124:
                                        ; implicit-def: $vgpr17
                                        ; implicit-def: $vgpr13
                                        ; implicit-def: $vgpr11
                                        ; implicit-def: $vgpr5
                                        ; implicit-def: $vgpr14_vgpr15
                                        ; implicit-def: $vgpr6_vgpr7
                                        ; implicit-def: $vgpr2_vgpr3
	s_cbranch_execnz .LBB1002_178
.LBB1002_125:
	s_add_nc_u64 s[0:1], s[18:19], s[30:31]
	s_and_b32 vcc_lo, exec_lo, s23
	s_add_nc_u64 s[0:1], s[0:1], s[16:17]
	s_cbranch_vccz .LBB1002_195
.LBB1002_126:
	v_mul_u32_u24_e32 v1, 14, v0
	s_add_co_i32 s33, s33, s22
	s_mov_b32 s2, exec_lo
	s_delay_alu instid0(VALU_DEP_1)
	v_cmpx_gt_u32_e64 s33, v1
	s_cbranch_execz .LBB1002_146
; %bb.127:
	v_or_b32_e32 v8, 1, v1
	s_mov_b32 s3, exec_lo
	s_delay_alu instid0(VALU_DEP_1)
	v_cmpx_gt_u32_e64 s33, v8
	s_cbranch_execz .LBB1002_145
; %bb.128:
	v_add_nc_u32_e32 v8, 2, v1
	s_mov_b32 s4, exec_lo
	s_delay_alu instid0(VALU_DEP_1)
	v_cmpx_gt_u32_e64 s33, v8
	s_cbranch_execz .LBB1002_144
; %bb.129:
	v_add_nc_u32_e32 v8, 3, v1
	;; [unrolled: 6-line block ×8, first 2 shown]
	s_mov_b32 s11, exec_lo
	s_delay_alu instid0(VALU_DEP_1)
	v_cmpx_gt_u32_e64 s33, v8
; %bb.136:
	v_add_nc_u32_e32 v8, 10, v1
	s_mov_b32 s12, exec_lo
	s_delay_alu instid0(VALU_DEP_1)
	v_cmpx_gt_u32_e64 s33, v8
	s_or_b32 exec_lo, exec_lo, s12
; %bb.137:
	s_delay_alu instid0(SALU_CYCLE_1)
	s_or_b32 exec_lo, exec_lo, s11
.LBB1002_138:
	s_delay_alu instid0(SALU_CYCLE_1)
	s_or_b32 exec_lo, exec_lo, s10
.LBB1002_139:
	s_delay_alu instid0(SALU_CYCLE_1)
	s_or_b32 exec_lo, exec_lo, s9
.LBB1002_140:
	s_delay_alu instid0(SALU_CYCLE_1)
	s_or_b32 exec_lo, exec_lo, s8
.LBB1002_141:
	s_delay_alu instid0(SALU_CYCLE_1)
	s_or_b32 exec_lo, exec_lo, s7
.LBB1002_142:
	s_delay_alu instid0(SALU_CYCLE_1)
	s_or_b32 exec_lo, exec_lo, s6
.LBB1002_143:
	s_delay_alu instid0(SALU_CYCLE_1)
	s_or_b32 exec_lo, exec_lo, s5
.LBB1002_144:
	s_delay_alu instid0(SALU_CYCLE_1)
	s_or_b32 exec_lo, exec_lo, s4
.LBB1002_145:
	s_delay_alu instid0(SALU_CYCLE_1)
	s_or_b32 exec_lo, exec_lo, s3
.LBB1002_146:
	s_delay_alu instid0(SALU_CYCLE_1) | instskip(SKIP_3) | instid1(VALU_DEP_1)
	s_or_b32 exec_lo, exec_lo, s2
	v_dual_lshlrev_b32 v1, 2, v1 :: v_dual_mov_b32 v33, 0
	s_barrier_signal -1
	s_barrier_wait -1
	v_mad_i32_i24 v8, 0xffffffcc, v0, v1
	ds_store_2addr_b64 v1, v[2:3], v[4:5] offset1:1
	ds_store_2addr_b64 v1, v[6:7], v[10:11] offset0:2 offset1:3
	ds_store_2addr_b64 v1, v[14:15], v[12:13] offset0:4 offset1:5
	ds_store_b64 v1, v[16:17] offset:48
	s_wait_dscnt 0x0
	s_barrier_signal -1
	s_barrier_wait -1
	ds_load_2addr_stride64_b32 v[30:31], v8 offset0:4 offset1:8
	ds_load_2addr_stride64_b32 v[28:29], v8 offset0:12 offset1:16
	ds_load_2addr_stride64_b32 v[26:27], v8 offset0:20 offset1:24
	ds_load_2addr_stride64_b32 v[24:25], v8 offset0:28 offset1:32
	ds_load_2addr_stride64_b32 v[22:23], v8 offset0:36 offset1:40
	ds_load_2addr_stride64_b32 v[18:19], v8 offset0:44 offset1:48
	ds_load_b32 v9, v8 offset:13312
	v_add_nc_u64_e32 v[20:21], s[0:1], v[32:33]
	s_mov_b32 s2, exec_lo
	v_cmpx_gt_u32_e64 s33, v0
	s_cbranch_execz .LBB1002_148
; %bb.147:
	v_mul_i32_i24_e32 v8, 0xffffffcc, v0
	s_delay_alu instid0(VALU_DEP_1)
	v_add_nc_u32_e32 v1, v1, v8
	ds_load_b32 v32, v1
	s_wait_dscnt 0x0
	v_ashrrev_i32_e32 v33, 31, v32
	flat_store_b64 v[20:21], v[32:33]
.LBB1002_148:
	s_wait_xcnt 0x0
	s_or_b32 exec_lo, exec_lo, s2
	v_or_b32_e32 v1, 0x100, v0
	s_mov_b32 s2, exec_lo
	s_delay_alu instid0(VALU_DEP_1)
	v_cmpx_gt_u32_e64 s33, v1
	s_cbranch_execz .LBB1002_150
; %bb.149:
	s_wait_dscnt 0x6
	v_dual_mov_b32 v32, v30 :: v_dual_ashrrev_i32 v33, 31, v30
	flat_store_b64 v[20:21], v[32:33] offset:2048
.LBB1002_150:
	s_wait_xcnt 0x0
	s_or_b32 exec_lo, exec_lo, s2
	v_or_b32_e32 v1, 0x200, v0
	s_mov_b32 s2, exec_lo
	s_delay_alu instid0(VALU_DEP_1)
	v_cmpx_gt_u32_e64 s33, v1
	s_cbranch_execz .LBB1002_152
; %bb.151:
	s_wait_dscnt 0x6
	v_dual_mov_b32 v32, v31 :: v_dual_ashrrev_i32 v33, 31, v31
	flat_store_b64 v[20:21], v[32:33] offset:4096
.LBB1002_152:
	;; [unrolled: 12-line block ×12, first 2 shown]
	s_wait_xcnt 0x0
	s_or_b32 exec_lo, exec_lo, s2
	v_or_b32_e32 v1, 0xd00, v0
	s_delay_alu instid0(VALU_DEP_1)
	v_cmp_gt_u32_e64 s2, s33, v1
	s_branch .LBB1002_197
.LBB1002_173:
	s_and_saveexec_b32 s14, s13
	s_cbranch_execz .LBB1002_175
; %bb.174:
	v_and_b32_e32 v4, 0xff, v3
	s_mov_b32 s25, 0
	s_add_co_i32 s24, s34, 32
	s_delay_alu instid0(SALU_CYCLE_1) | instskip(NEXT) | instid1(VALU_DEP_1)
	s_lshl_b64 s[24:25], s[24:25], 4
	v_cmp_eq_u32_e32 vcc_lo, 0, v4
	v_and_b32_e32 v3, 1, v3
	s_add_nc_u64 s[24:25], s[20:21], s[24:25]
	s_delay_alu instid0(SALU_CYCLE_1) | instskip(SKIP_1) | instid1(VALU_DEP_3)
	v_mov_b64_e32 v[6:7], s[24:25]
	v_dual_cndmask_b32 v4, 0, v28, vcc_lo :: v_dual_bitop2_b32 v5, 1, v27 bitop3:0x40
	v_cmp_eq_u32_e32 vcc_lo, 1, v3
	s_delay_alu instid0(VALU_DEP_2) | instskip(NEXT) | instid1(VALU_DEP_3)
	v_dual_add_nc_u32 v2, v4, v2 :: v_dual_mov_b32 v4, 2
	v_cndmask_b32_e64 v3, v5, 1, vcc_lo
	v_mov_b32_e32 v5, 0
	;;#ASMSTART
	global_store_b128 v[6:7], v[2:5] off scope:SCOPE_DEV	
s_wait_storecnt 0x0
	;;#ASMEND
.LBB1002_175:
	s_or_b32 exec_lo, exec_lo, s14
	s_delay_alu instid0(SALU_CYCLE_1)
	s_and_b32 exec_lo, exec_lo, s12
	s_cbranch_execz .LBB1002_177
; %bb.176:
	v_mov_b32_e32 v2, 0
	ds_store_b32 v2, v28
	ds_store_b8 v2, v27 offset:4
.LBB1002_177:
	s_or_b32 exec_lo, exec_lo, s35
	s_wait_dscnt 0x0
	v_and_b32_e32 v3, 0xff, v15
	s_barrier_signal -1
	s_barrier_wait -1
	s_delay_alu instid0(VALU_DEP_1)
	v_cmp_eq_u16_e32 vcc_lo, 0, v3
	v_mov_b32_e32 v4, 0
	v_and_b32_e32 v5, 0xff, v31
	ds_load_b32 v2, v4
	s_wait_dscnt 0x0
	v_cndmask_b32_e32 v3, 0, v2, vcc_lo
	v_cmp_eq_u64_e32 vcc_lo, 0, v[4:5]
	s_delay_alu instid0(VALU_DEP_2) | instskip(NEXT) | instid1(VALU_DEP_1)
	v_add_nc_u32_e32 v3, v3, v14
	v_cndmask_b32_e64 v2, v3, v2, s12
	s_delay_alu instid0(VALU_DEP_1) | instskip(NEXT) | instid1(VALU_DEP_1)
	v_cndmask_b32_e32 v3, 0, v2, vcc_lo
	v_add_nc_u32_e32 v3, v3, v30
	s_delay_alu instid0(VALU_DEP_1) | instskip(NEXT) | instid1(VALU_DEP_1)
	v_cndmask_b32_e64 v4, 0, v3, s0
	v_add_nc_u32_e32 v4, v4, v56
	s_delay_alu instid0(VALU_DEP_1) | instskip(NEXT) | instid1(VALU_DEP_1)
	v_cndmask_b32_e64 v5, 0, v4, s1
	;; [unrolled: 3-line block ×12, first 2 shown]
	v_add_nc_u32_e32 v17, v17, v34
	s_branch .LBB1002_125
.LBB1002_178:
	s_cmp_eq_u64 s[28:29], 0
	v_mov_b32_e32 v20, s36
	s_cselect_b32 s0, -1, 0
	s_cmp_eq_u64 s[26:27], 0
	s_cselect_b32 s1, -1, 0
	s_delay_alu instid0(SALU_CYCLE_1) | instskip(NEXT) | instid1(SALU_CYCLE_1)
	s_or_b32 s0, s0, s1
	s_and_b32 vcc_lo, exec_lo, s0
	s_cbranch_vccnz .LBB1002_180
; %bb.179:
	v_mov_b32_e32 v2, 0
	global_load_b32 v20, v2, s[26:27]
.LBB1002_180:
	s_mov_b64 s[12:13], 0x100000000
	v_or3_b32 v3, v19, v47, v49
	v_cmp_gt_u64_e32 vcc_lo, s[12:13], v[56:57]
	v_cmp_gt_u64_e64 s0, s[12:13], v[54:55]
	v_cmp_gt_u64_e64 s11, s[12:13], v[8:9]
	;; [unrolled: 1-line block ×6, first 2 shown]
	s_wait_xcnt 0x0
	v_dual_cndmask_b32 v2, 0, v30, vcc_lo :: v_dual_bitop2_b32 v1, 56, v1 bitop3:0x40
	v_cmp_gt_u64_e64 s5, s[12:13], v[44:45]
	v_cmp_gt_u64_e64 s6, s[12:13], v[42:43]
	;; [unrolled: 1-line block ×3, first 2 shown]
	s_delay_alu instid0(VALU_DEP_4)
	v_add_nc_u32_e32 v2, v2, v56
	v_cmp_gt_u64_e64 s8, s[12:13], v[38:39]
	v_cmp_gt_u64_e64 s9, s[12:13], v[36:37]
	v_or3_b32 v3, v3, v51, v53
	v_cmp_gt_u64_e64 s10, s[12:13], v[34:35]
	v_cndmask_b32_e64 v2, 0, v2, s0
	v_or3_b32 v4, v18, v39, v41
	v_lshl_add_u32 v1, v0, 3, v1
	v_or3_b32 v3, v3, v55, v57
	s_mov_b32 s12, exec_lo
	v_add_nc_u32_e32 v2, v2, v54
	s_delay_alu instid0(VALU_DEP_2) | instskip(NEXT) | instid1(VALU_DEP_2)
	v_or3_b32 v3, v9, v4, v3
	v_cndmask_b32_e64 v2, 0, v2, s1
	s_delay_alu instid0(VALU_DEP_2) | instskip(NEXT) | instid1(VALU_DEP_2)
	v_and_b32_e32 v3, 0xff, v3
	v_add_nc_u32_e32 v2, v2, v52
	s_delay_alu instid0(VALU_DEP_1) | instskip(NEXT) | instid1(VALU_DEP_1)
	v_cndmask_b32_e64 v2, 0, v2, s2
	v_add_nc_u32_e32 v2, v2, v50
	s_delay_alu instid0(VALU_DEP_1) | instskip(NEXT) | instid1(VALU_DEP_1)
	v_cndmask_b32_e64 v2, 0, v2, s3
	;; [unrolled: 3-line block ×9, first 2 shown]
	v_dual_mov_b32 v2, 0 :: v_dual_add_nc_u32 v5, v2, v34
	s_delay_alu instid0(VALU_DEP_1) | instskip(NEXT) | instid1(VALU_DEP_2)
	v_cndmask_b32_e64 v4, 0, v5, s11
	v_cmp_eq_u64_e64 s11, 0, v[2:3]
	s_delay_alu instid0(VALU_DEP_1)
	v_dual_add_nc_u32 v4, v4, v8 :: v_dual_cndmask_b32 v5, 1, v31, s11
	ds_store_b32 v1, v4
	ds_store_b8 v1, v5 offset:4
	s_wait_loadcnt_dscnt 0x0
	s_barrier_signal -1
	s_barrier_wait -1
	v_cmpx_gt_u32_e32 32, v0
	s_cbranch_execz .LBB1002_190
; %bb.181:
	v_dual_lshlrev_b32 v1, 1, v0 :: v_dual_lshlrev_b32 v2, 6, v0
	s_mov_b32 s13, exec_lo
	s_delay_alu instid0(VALU_DEP_1) | instskip(NEXT) | instid1(VALU_DEP_1)
	v_and_b32_e32 v1, 0x1f8, v1
	v_add_nc_u32_e32 v1, v1, v2
	ds_load_u8 v12, v1 offset:12
	ds_load_b64 v[2:3], v1
	ds_load_2addr_b32 v[6:7], v1 offset0:2 offset1:4
	ds_load_u8 v13, v1 offset:20
	ds_load_u8 v14, v1 offset:28
	;; [unrolled: 1-line block ×5, first 2 shown]
	ds_load_b32 v18, v1 offset:56
	s_wait_dscnt 0x8
	v_cmp_eq_u16_e64 s11, 0, v12
	s_wait_dscnt 0x7
	s_delay_alu instid0(VALU_DEP_1)
	v_cndmask_b32_e64 v10, 0, v2, s11
	ds_load_2addr_b32 v[8:9], v1 offset0:6 offset1:8
	s_wait_dscnt 0x6
	v_cmp_eq_u16_e64 s11, 0, v13
	v_add_nc_u32_e32 v6, v10, v6
	ds_load_2addr_b32 v[10:11], v1 offset0:10 offset1:12
	v_cndmask_b32_e64 v6, 0, v6, s11
	s_wait_dscnt 0x6
	v_cmp_eq_u16_e64 s11, 0, v14
	s_delay_alu instid0(VALU_DEP_2) | instskip(NEXT) | instid1(VALU_DEP_1)
	v_dual_add_nc_u32 v6, v6, v7 :: v_dual_bitop2_b32 v7, v13, v12 bitop3:0x54
	v_cndmask_b32_e64 v6, 0, v6, s11
	s_wait_dscnt 0x5
	v_cmp_eq_u16_e64 s11, 0, v15
	s_delay_alu instid0(VALU_DEP_3)
	v_bitop3_b16 v7, v7, v15, v14 bitop3:0xfe
	s_wait_dscnt 0x1
	v_add_nc_u32_e32 v6, v6, v8
	ds_load_u8 v8, v1 offset:60
	v_bitop3_b16 v7, v7, v17, v16 bitop3:0xfe
	v_cndmask_b32_e64 v6, 0, v6, s11
	v_cmp_eq_u16_e64 s11, 0, v16
	s_delay_alu instid0(VALU_DEP_2) | instskip(NEXT) | instid1(VALU_DEP_1)
	v_add_nc_u32_e32 v6, v6, v9
	v_dual_cndmask_b32 v9, 0, v6, s11 :: v_dual_bitop2_b32 v6, 1, v3 bitop3:0x40
	v_cmp_eq_u16_e64 s11, 0, v7
	s_wait_dscnt 0x0
	s_delay_alu instid0(VALU_DEP_2) | instskip(NEXT) | instid1(VALU_DEP_2)
	v_dual_add_nc_u32 v9, v9, v10 :: v_dual_bitop2_b32 v10, 1, v8 bitop3:0x40
	v_cndmask_b32_e64 v7, 1, v6, s11
	v_cmp_eq_u16_e64 s11, 0, v17
	s_delay_alu instid0(VALU_DEP_1) | instskip(NEXT) | instid1(VALU_DEP_4)
	v_cndmask_b32_e64 v9, 0, v9, s11
	v_cmp_eq_u32_e64 s11, 1, v10
	s_delay_alu instid0(VALU_DEP_2) | instskip(NEXT) | instid1(VALU_DEP_2)
	v_add_nc_u32_e32 v9, v9, v11
	v_cndmask_b32_e64 v10, v7, 1, s11
	v_cmp_eq_u16_e64 s11, 0, v8
	v_and_b32_e32 v7, 0xffffff00, v3
	s_delay_alu instid0(VALU_DEP_3) | instskip(NEXT) | instid1(VALU_DEP_3)
	v_and_b32_e32 v11, 0xffff, v10
	v_cndmask_b32_e64 v8, 0, v9, s11
	v_mbcnt_lo_u32_b32 v9, -1, 0
	s_delay_alu instid0(VALU_DEP_2) | instskip(NEXT) | instid1(VALU_DEP_2)
	v_dual_add_nc_u32 v8, v8, v18 :: v_dual_bitop2_b32 v12, v7, v11 bitop3:0x54
	v_and_b32_e32 v11, 15, v9
	s_delay_alu instid0(VALU_DEP_2) | instskip(NEXT) | instid1(VALU_DEP_3)
	v_mov_b32_dpp v14, v12 row_shr:1 row_mask:0xf bank_mask:0xf
	v_mov_b32_dpp v13, v8 row_shr:1 row_mask:0xf bank_mask:0xf
	s_delay_alu instid0(VALU_DEP_3)
	v_cmpx_ne_u32_e32 0, v11
	s_cbranch_execz .LBB1002_183
; %bb.182:
	v_and_b32_e32 v12, 1, v10
	v_and_b32_e32 v14, 1, v14
	s_delay_alu instid0(VALU_DEP_2) | instskip(NEXT) | instid1(VALU_DEP_1)
	v_cmp_eq_u32_e64 s11, 1, v12
	v_cndmask_b32_e64 v14, v14, 1, s11
	v_cmp_eq_u16_e64 s11, 0, v10
	s_delay_alu instid0(VALU_DEP_2) | instskip(NEXT) | instid1(VALU_DEP_1)
	v_and_b32_e32 v12, 0xffff, v14
	v_dual_cndmask_b32 v10, 0, v13, s11 :: v_dual_bitop2_b32 v12, v7, v12 bitop3:0x54
	s_delay_alu instid0(VALU_DEP_1)
	v_add_nc_u32_e32 v8, v10, v8
	v_mov_b32_e32 v10, v14
.LBB1002_183:
	s_or_b32 exec_lo, exec_lo, s13
	s_delay_alu instid0(VALU_DEP_2)
	v_mov_b32_dpp v13, v8 row_shr:2 row_mask:0xf bank_mask:0xf
	v_mov_b32_dpp v14, v12 row_shr:2 row_mask:0xf bank_mask:0xf
	s_mov_b32 s13, exec_lo
	v_cmpx_lt_u32_e32 1, v11
	s_cbranch_execz .LBB1002_185
; %bb.184:
	v_and_b32_e32 v12, 1, v10
	v_and_b32_e32 v14, 1, v14
	s_delay_alu instid0(VALU_DEP_2) | instskip(NEXT) | instid1(VALU_DEP_1)
	v_cmp_eq_u32_e64 s11, 1, v12
	v_cndmask_b32_e64 v14, v14, 1, s11
	v_cmp_eq_u16_e64 s11, 0, v10
	s_delay_alu instid0(VALU_DEP_2) | instskip(NEXT) | instid1(VALU_DEP_1)
	v_and_b32_e32 v12, 0xffff, v14
	v_dual_cndmask_b32 v10, 0, v13, s11 :: v_dual_bitop2_b32 v12, v7, v12 bitop3:0x54
	s_delay_alu instid0(VALU_DEP_1)
	v_add_nc_u32_e32 v8, v10, v8
	v_mov_b32_e32 v10, v14
.LBB1002_185:
	s_or_b32 exec_lo, exec_lo, s13
	s_delay_alu instid0(VALU_DEP_2)
	v_mov_b32_dpp v13, v8 row_shr:4 row_mask:0xf bank_mask:0xf
	v_mov_b32_dpp v14, v12 row_shr:4 row_mask:0xf bank_mask:0xf
	s_mov_b32 s13, exec_lo
	v_cmpx_lt_u32_e32 3, v11
	;; [unrolled: 21-line block ×3, first 2 shown]
	s_cbranch_execz .LBB1002_189
; %bb.188:
	v_and_b32_e32 v11, 1, v10
	v_and_b32_e32 v12, 1, v14
	s_delay_alu instid0(VALU_DEP_2) | instskip(NEXT) | instid1(VALU_DEP_1)
	v_cmp_eq_u32_e64 s11, 1, v11
	v_cndmask_b32_e64 v11, v12, 1, s11
	v_cmp_eq_u16_e64 s11, 0, v10
	s_delay_alu instid0(VALU_DEP_2) | instskip(NEXT) | instid1(VALU_DEP_1)
	v_and_b32_e32 v12, 0xffff, v11
	v_dual_cndmask_b32 v10, 0, v13, s11 :: v_dual_bitop2_b32 v12, v7, v12 bitop3:0x54
	s_delay_alu instid0(VALU_DEP_1)
	v_dual_add_nc_u32 v8, v10, v8 :: v_dual_mov_b32 v10, v11
.LBB1002_189:
	s_or_b32 exec_lo, exec_lo, s13
	ds_swizzle_b32 v11, v12 offset:swizzle(BROADCAST,32,15)
	ds_swizzle_b32 v12, v8 offset:swizzle(BROADCAST,32,15)
	v_and_b32_e32 v13, 1, v10
	v_bfe_i32 v15, v9, 4, 1
	v_and_b32_e32 v3, 0xff, v3
	; wave barrier
	s_delay_alu instid0(VALU_DEP_3) | instskip(SKIP_2) | instid1(VALU_DEP_1)
	v_cmp_eq_u32_e64 s11, 1, v13
	s_wait_dscnt 0x1
	v_dual_add_nc_u32 v13, -1, v9 :: v_dual_bitop2_b32 v11, 1, v11 bitop3:0x40
	v_cndmask_b32_e64 v11, v11, 1, s11
	v_and_b32_e32 v14, 16, v9
	v_cmp_eq_u16_e64 s11, 0, v10
	s_wait_dscnt 0x0
	s_delay_alu instid0(VALU_DEP_1) | instskip(NEXT) | instid1(VALU_DEP_3)
	v_cndmask_b32_e64 v12, 0, v12, s11
	v_cmp_eq_u32_e64 s11, 0, v14
	s_delay_alu instid0(VALU_DEP_1) | instskip(SKIP_1) | instid1(VALU_DEP_4)
	v_cndmask_b32_e64 v10, v11, v10, s11
	v_cmp_gt_i32_e64 s11, 0, v13
	v_and_b32_e32 v11, v15, v12
	s_delay_alu instid0(VALU_DEP_3) | instskip(NEXT) | instid1(VALU_DEP_2)
	v_and_b32_e32 v10, 0xffff, v10
	v_dual_cndmask_b32 v9, v13, v9, s11 :: v_dual_add_nc_u32 v8, v11, v8
	v_cmp_eq_u16_e64 s11, 0, v3
	s_delay_alu instid0(VALU_DEP_2)
	v_lshlrev_b32_e32 v9, 2, v9
	ds_bpermute_b32 v8, v9, v8
	s_wait_dscnt 0x0
	v_dual_cndmask_b32 v3, 0, v8, s11 :: v_dual_bitop2_b32 v7, v7, v10 bitop3:0x54
	ds_bpermute_b32 v7, v9, v7
	v_cmp_eq_u32_e64 s11, 1, v6
	s_wait_dscnt 0x0
	v_dual_add_nc_u32 v2, v3, v2 :: v_dual_bitop2_b32 v7, 1, v7 bitop3:0x40
	s_delay_alu instid0(VALU_DEP_1) | instskip(SKIP_1) | instid1(VALU_DEP_1)
	v_cndmask_b32_e64 v3, v7, 1, s11
	v_cmp_eq_u32_e64 s11, 0, v0
	v_dual_cndmask_b32 v4, v2, v4, s11 :: v_dual_cndmask_b32 v6, v3, v5, s11
	ds_store_b32 v1, v4
	ds_store_b8 v1, v6 offset:4
	; wave barrier
	ds_load_u8 v7, v1 offset:12
	ds_load_2addr_b32 v[2:3], v1 offset0:2 offset1:4
	ds_load_u8 v8, v1 offset:20
	ds_load_u8 v9, v1 offset:28
	;; [unrolled: 1-line block ×5, first 2 shown]
	ds_load_b32 v13, v1 offset:56
	ds_load_u8 v14, v1 offset:60
	s_wait_dscnt 0x8
	v_cmp_eq_u16_e64 s11, 0, v7
	s_delay_alu instid0(VALU_DEP_1) | instskip(SKIP_4) | instid1(VALU_DEP_1)
	v_cndmask_b32_e64 v15, 0, v4, s11
	ds_load_2addr_b32 v[4:5], v1 offset0:6 offset1:8
	s_wait_dscnt 0x7
	v_cmp_eq_u16_e64 s11, 0, v8
	v_add_nc_u32_e32 v15, v15, v2
	v_cndmask_b32_e64 v2, 0, v15, s11
	s_wait_dscnt 0x6
	v_cmp_eq_u16_e64 s11, 0, v9
	s_delay_alu instid0(VALU_DEP_2)
	v_add_nc_u32_e32 v16, v2, v3
	ds_load_2addr_b32 v[2:3], v1 offset0:10 offset1:12
	v_cndmask_b32_e64 v17, 0, v16, s11
	s_wait_dscnt 0x6
	v_cmp_eq_u16_e64 s11, 0, v10
	ds_store_2addr_b32 v1, v15, v16 offset0:2 offset1:4
	s_wait_dscnt 0x2
	v_dual_add_nc_u32 v4, v17, v4 :: v_dual_bitop2_b32 v7, 1, v7 bitop3:0x40
	s_delay_alu instid0(VALU_DEP_1) | instskip(SKIP_1) | instid1(VALU_DEP_3)
	v_cndmask_b32_e64 v17, 0, v4, s11
	v_and_b32_e32 v8, 1, v8
	v_cmp_eq_u32_e64 s11, 1, v7
	v_and_b32_e32 v7, 1, v9
	s_delay_alu instid0(VALU_DEP_4) | instskip(NEXT) | instid1(VALU_DEP_3)
	v_add_nc_u32_e32 v5, v17, v5
	v_cndmask_b32_e64 v6, v6, 1, s11
	v_cmp_eq_u32_e64 s11, 1, v8
	s_delay_alu instid0(VALU_DEP_1) | instskip(SKIP_1) | instid1(VALU_DEP_1)
	v_cndmask_b32_e64 v8, v6, 1, s11
	v_cmp_eq_u16_e64 s11, 0, v11
	v_dual_cndmask_b32 v10, 0, v5, s11 :: v_dual_bitop2_b32 v9, 1, v10 bitop3:0x40
	s_wait_dscnt 0x1
	s_delay_alu instid0(VALU_DEP_1) | instskip(SKIP_2) | instid1(VALU_DEP_2)
	v_add_nc_u32_e32 v2, v10, v2
	v_cmp_eq_u32_e64 s11, 1, v7
	v_and_b32_e32 v10, 1, v12
	v_cndmask_b32_e64 v7, v8, 1, s11
	v_cmp_eq_u32_e64 s11, 1, v9
	s_delay_alu instid0(VALU_DEP_1) | instskip(SKIP_1) | instid1(VALU_DEP_1)
	v_cndmask_b32_e64 v9, v7, 1, s11
	v_cmp_eq_u16_e64 s11, 0, v12
	v_dual_cndmask_b32 v12, 0, v2, s11 :: v_dual_bitop2_b32 v11, 1, v11 bitop3:0x40
	s_delay_alu instid0(VALU_DEP_1) | instskip(NEXT) | instid1(VALU_DEP_2)
	v_cmp_eq_u32_e64 s11, 1, v11
	v_add_nc_u32_e32 v3, v12, v3
	s_delay_alu instid0(VALU_DEP_2)
	v_cndmask_b32_e64 v11, v9, 1, s11
	v_cmp_eq_u32_e64 s11, 1, v10
	ds_store_2addr_b32 v1, v4, v5 offset0:6 offset1:8
	ds_store_2addr_b32 v1, v2, v3 offset0:10 offset1:12
	v_cndmask_b32_e64 v10, v11, 1, s11
	v_cmp_eq_u16_e64 s11, 0, v14
	s_delay_alu instid0(VALU_DEP_1) | instskip(NEXT) | instid1(VALU_DEP_1)
	v_dual_cndmask_b32 v12, 0, v3, s11 :: v_dual_bitop2_b32 v17, 1, v14 bitop3:0x40
	v_cmp_eq_u32_e64 s11, 1, v17
	s_delay_alu instid0(VALU_DEP_2) | instskip(NEXT) | instid1(VALU_DEP_2)
	v_add_nc_u32_e32 v2, v12, v13
	v_cndmask_b32_e64 v14, v10, 1, s11
	ds_store_b8 v1, v6 offset:12
	ds_store_b8 v1, v8 offset:20
	;; [unrolled: 1-line block ×6, first 2 shown]
	ds_store_b32 v1, v2 offset:56
	ds_store_b8 v1, v14 offset:60
.LBB1002_190:
	s_or_b32 exec_lo, exec_lo, s12
	v_cmp_eq_u32_e64 s11, 0, v0
	v_mov_b32_e32 v2, v20
	s_mov_b32 s13, exec_lo
	s_wait_dscnt 0x0
	s_barrier_signal -1
	s_barrier_wait -1
	v_cmpx_ne_u32_e32 0, v0
	s_cbranch_execz .LBB1002_192
; %bb.191:
	v_add_nc_u32_e32 v1, -1, v0
	s_delay_alu instid0(VALU_DEP_1) | instskip(NEXT) | instid1(VALU_DEP_1)
	v_lshrrev_b32_e32 v2, 2, v1
	v_and_b32_e32 v2, 0x3ffffff8, v2
	s_delay_alu instid0(VALU_DEP_1) | instskip(SKIP_4) | instid1(VALU_DEP_1)
	v_lshl_add_u32 v1, v1, 3, v2
	ds_load_u8 v2, v1 offset:4
	ds_load_b32 v1, v1
	s_wait_dscnt 0x1
	v_cmp_eq_u16_e64 s12, 0, v2
	v_cndmask_b32_e64 v2, 0, v20, s12
	s_wait_dscnt 0x0
	s_delay_alu instid0(VALU_DEP_1)
	v_add_nc_u32_e32 v2, v2, v1
.LBB1002_192:
	s_or_b32 exec_lo, exec_lo, s13
	v_and_b32_e32 v9, 0xff, v31
	v_mov_b32_e32 v8, 0
	s_delay_alu instid0(VALU_DEP_1) | instskip(NEXT) | instid1(VALU_DEP_1)
	v_cmp_eq_u64_e64 s12, 0, v[8:9]
	v_cndmask_b32_e64 v1, 0, v2, s12
	s_delay_alu instid0(VALU_DEP_1) | instskip(NEXT) | instid1(VALU_DEP_1)
	v_add_nc_u32_e32 v3, v1, v30
	v_cndmask_b32_e32 v1, 0, v3, vcc_lo
	s_delay_alu instid0(VALU_DEP_1) | instskip(NEXT) | instid1(VALU_DEP_1)
	v_add_nc_u32_e32 v4, v1, v56
	v_cndmask_b32_e64 v1, 0, v4, s0
	s_delay_alu instid0(VALU_DEP_1) | instskip(NEXT) | instid1(VALU_DEP_1)
	v_add_nc_u32_e32 v5, v1, v54
	v_cndmask_b32_e64 v1, 0, v5, s1
	s_delay_alu instid0(VALU_DEP_1) | instskip(NEXT) | instid1(VALU_DEP_1)
	v_add_nc_u32_e32 v6, v1, v52
	v_cndmask_b32_e64 v1, 0, v6, s2
	s_delay_alu instid0(VALU_DEP_1) | instskip(NEXT) | instid1(VALU_DEP_1)
	v_add_nc_u32_e32 v7, v1, v50
	v_cndmask_b32_e64 v1, 0, v7, s3
	s_delay_alu instid0(VALU_DEP_1) | instskip(NEXT) | instid1(VALU_DEP_1)
	v_add_nc_u32_e32 v10, v1, v48
	v_cndmask_b32_e64 v1, 0, v10, s4
	s_delay_alu instid0(VALU_DEP_1) | instskip(NEXT) | instid1(VALU_DEP_1)
	v_add_nc_u32_e32 v11, v1, v46
	v_cndmask_b32_e64 v1, 0, v11, s5
	s_delay_alu instid0(VALU_DEP_1) | instskip(NEXT) | instid1(VALU_DEP_1)
	v_add_nc_u32_e32 v14, v1, v44
	v_cndmask_b32_e64 v1, 0, v14, s6
	s_delay_alu instid0(VALU_DEP_1) | instskip(NEXT) | instid1(VALU_DEP_1)
	v_add_nc_u32_e32 v15, v1, v42
	v_cndmask_b32_e64 v1, 0, v15, s7
	s_delay_alu instid0(VALU_DEP_1) | instskip(NEXT) | instid1(VALU_DEP_1)
	v_add_nc_u32_e32 v12, v1, v40
	v_cndmask_b32_e64 v1, 0, v12, s8
	s_delay_alu instid0(VALU_DEP_1) | instskip(NEXT) | instid1(VALU_DEP_1)
	v_add_nc_u32_e32 v13, v1, v38
	v_cndmask_b32_e64 v1, 0, v13, s9
	s_delay_alu instid0(VALU_DEP_1) | instskip(NEXT) | instid1(VALU_DEP_1)
	v_add_nc_u32_e32 v16, v1, v36
	v_cndmask_b32_e64 v1, 0, v16, s10
	s_delay_alu instid0(VALU_DEP_1)
	v_add_nc_u32_e32 v17, v1, v34
	s_and_saveexec_b32 s0, s11
	s_cbranch_execz .LBB1002_194
; %bb.193:
	ds_load_u8 v1, v8 offset:2100
	ds_load_b32 v9, v8 offset:2096
	v_mov_b32_e32 v19, v8
	s_add_nc_u64 s[2:3], s[20:21], 0x200
	v_mov_b32_e32 v21, v8
	s_wait_dscnt 0x1
	v_and_b32_e32 v18, 0xffff, v1
	s_delay_alu instid0(VALU_DEP_1) | instskip(SKIP_2) | instid1(VALU_DEP_1)
	v_cmp_eq_u64_e32 vcc_lo, 0, v[18:19]
	v_dual_cndmask_b32 v1, 0, v20 :: v_dual_mov_b32 v20, 2
	s_wait_dscnt 0x0
	v_dual_mov_b32 v19, v18 :: v_dual_add_nc_u32 v18, v1, v9
	v_mov_b64_e32 v[8:9], s[2:3]
	;;#ASMSTART
	global_store_b128 v[8:9], v[18:21] off scope:SCOPE_DEV	
s_wait_storecnt 0x0
	;;#ASMEND
.LBB1002_194:
	s_or_b32 exec_lo, exec_lo, s0
	s_add_nc_u64 s[0:1], s[18:19], s[30:31]
	s_and_b32 vcc_lo, exec_lo, s23
	s_add_nc_u64 s[0:1], s[0:1], s[16:17]
	s_cbranch_vccnz .LBB1002_126
.LBB1002_195:
	s_mov_b32 s2, 0
                                        ; implicit-def: $vgpr9
	s_cbranch_execz .LBB1002_197
; %bb.196:
	v_mul_u32_u24_e32 v1, 56, v0
	v_mul_i32_i24_e32 v8, 0xffffffcc, v0
	s_wait_storecnt_dscnt 0x0
	s_barrier_signal -1
	s_barrier_wait -1
	ds_store_2addr_b64 v1, v[2:3], v[4:5] offset1:1
	ds_store_2addr_b64 v1, v[6:7], v[10:11] offset0:2 offset1:3
	ds_store_2addr_b64 v1, v[14:15], v[12:13] offset0:4 offset1:5
	ds_store_b64 v1, v[16:17] offset:48
	v_mad_u32_u24 v1, v0, 56, v8
	s_wait_dscnt 0x0
	s_barrier_signal -1
	s_barrier_wait -1
	ds_load_2addr_stride64_b32 v[2:3], v1 offset1:4
	ds_load_2addr_stride64_b32 v[4:5], v1 offset0:8 offset1:12
	ds_load_2addr_stride64_b32 v[6:7], v1 offset0:16 offset1:20
	;; [unrolled: 1-line block ×6, first 2 shown]
	s_or_b32 s2, s2, exec_lo
	s_wait_dscnt 0x6
	v_dual_mov_b32 v16, v2 :: v_dual_ashrrev_i32 v17, 31, v2
	v_dual_mov_b32 v18, v3 :: v_dual_ashrrev_i32 v19, 31, v3
	s_wait_dscnt 0x5
	v_dual_mov_b32 v2, v4 :: v_dual_ashrrev_i32 v3, 31, v4
	v_dual_mov_b32 v20, v5 :: v_dual_ashrrev_i32 v21, 31, v5
	;; [unrolled: 3-line block ×6, first 2 shown]
	s_wait_dscnt 0x0
	v_dual_mov_b32 v14, v8 :: v_dual_ashrrev_i32 v15, 31, v8
	s_clause 0xc
	flat_store_b64 v0, v[16:17], s[0:1] scale_offset
	flat_store_b64 v0, v[18:19], s[0:1] offset:2048 scale_offset
	flat_store_b64 v0, v[2:3], s[0:1] offset:4096 scale_offset
	;; [unrolled: 1-line block ×12, first 2 shown]
.LBB1002_197:
	s_wait_xcnt 0x0
	s_delay_alu instid0(VALU_DEP_1)
	s_and_saveexec_b32 s3, s2
	s_cbranch_execz .LBB1002_199
; %bb.198:
	s_wait_dscnt 0x0
	v_dual_mov_b32 v2, v9 :: v_dual_ashrrev_i32 v3, 31, v9
	flat_store_b64 v0, v[2:3], s[0:1] offset:26624 scale_offset
	s_sendmsg sendmsg(MSG_DEALLOC_VGPRS)
	s_endpgm
.LBB1002_199:
	s_sendmsg sendmsg(MSG_DEALLOC_VGPRS)
	s_endpgm
	.section	.rodata,"a",@progbits
	.p2align	6, 0x0
	.amdhsa_kernel _ZN7rocprim17ROCPRIM_400000_NS6detail17trampoline_kernelINS0_14default_configENS1_27scan_by_key_config_selectorIxiEEZZNS1_16scan_by_key_implILNS1_25lookback_scan_determinismE0ELb1ES3_N6thrust23THRUST_200600_302600_NS6detail15normal_iteratorINS9_10device_ptrIxEEEESE_SE_iNS9_4plusIvEENS9_8equal_toIvEEiEE10hipError_tPvRmT2_T3_T4_T5_mT6_T7_P12ihipStream_tbENKUlT_T0_E_clISt17integral_constantIbLb0EESZ_EEDaSU_SV_EUlSU_E_NS1_11comp_targetILNS1_3genE0ELNS1_11target_archE4294967295ELNS1_3gpuE0ELNS1_3repE0EEENS1_30default_config_static_selectorELNS0_4arch9wavefront6targetE0EEEvT1_
		.amdhsa_group_segment_fixed_size 32768
		.amdhsa_private_segment_fixed_size 0
		.amdhsa_kernarg_size 112
		.amdhsa_user_sgpr_count 2
		.amdhsa_user_sgpr_dispatch_ptr 0
		.amdhsa_user_sgpr_queue_ptr 0
		.amdhsa_user_sgpr_kernarg_segment_ptr 1
		.amdhsa_user_sgpr_dispatch_id 0
		.amdhsa_user_sgpr_kernarg_preload_length 0
		.amdhsa_user_sgpr_kernarg_preload_offset 0
		.amdhsa_user_sgpr_private_segment_size 0
		.amdhsa_wavefront_size32 1
		.amdhsa_uses_dynamic_stack 0
		.amdhsa_enable_private_segment 0
		.amdhsa_system_sgpr_workgroup_id_x 1
		.amdhsa_system_sgpr_workgroup_id_y 0
		.amdhsa_system_sgpr_workgroup_id_z 0
		.amdhsa_system_sgpr_workgroup_info 0
		.amdhsa_system_vgpr_workitem_id 0
		.amdhsa_next_free_vgpr 84
		.amdhsa_next_free_sgpr 39
		.amdhsa_named_barrier_count 0
		.amdhsa_reserve_vcc 1
		.amdhsa_float_round_mode_32 0
		.amdhsa_float_round_mode_16_64 0
		.amdhsa_float_denorm_mode_32 3
		.amdhsa_float_denorm_mode_16_64 3
		.amdhsa_fp16_overflow 0
		.amdhsa_memory_ordered 1
		.amdhsa_forward_progress 1
		.amdhsa_inst_pref_size 105
		.amdhsa_round_robin_scheduling 0
		.amdhsa_exception_fp_ieee_invalid_op 0
		.amdhsa_exception_fp_denorm_src 0
		.amdhsa_exception_fp_ieee_div_zero 0
		.amdhsa_exception_fp_ieee_overflow 0
		.amdhsa_exception_fp_ieee_underflow 0
		.amdhsa_exception_fp_ieee_inexact 0
		.amdhsa_exception_int_div_zero 0
	.end_amdhsa_kernel
	.section	.text._ZN7rocprim17ROCPRIM_400000_NS6detail17trampoline_kernelINS0_14default_configENS1_27scan_by_key_config_selectorIxiEEZZNS1_16scan_by_key_implILNS1_25lookback_scan_determinismE0ELb1ES3_N6thrust23THRUST_200600_302600_NS6detail15normal_iteratorINS9_10device_ptrIxEEEESE_SE_iNS9_4plusIvEENS9_8equal_toIvEEiEE10hipError_tPvRmT2_T3_T4_T5_mT6_T7_P12ihipStream_tbENKUlT_T0_E_clISt17integral_constantIbLb0EESZ_EEDaSU_SV_EUlSU_E_NS1_11comp_targetILNS1_3genE0ELNS1_11target_archE4294967295ELNS1_3gpuE0ELNS1_3repE0EEENS1_30default_config_static_selectorELNS0_4arch9wavefront6targetE0EEEvT1_,"axG",@progbits,_ZN7rocprim17ROCPRIM_400000_NS6detail17trampoline_kernelINS0_14default_configENS1_27scan_by_key_config_selectorIxiEEZZNS1_16scan_by_key_implILNS1_25lookback_scan_determinismE0ELb1ES3_N6thrust23THRUST_200600_302600_NS6detail15normal_iteratorINS9_10device_ptrIxEEEESE_SE_iNS9_4plusIvEENS9_8equal_toIvEEiEE10hipError_tPvRmT2_T3_T4_T5_mT6_T7_P12ihipStream_tbENKUlT_T0_E_clISt17integral_constantIbLb0EESZ_EEDaSU_SV_EUlSU_E_NS1_11comp_targetILNS1_3genE0ELNS1_11target_archE4294967295ELNS1_3gpuE0ELNS1_3repE0EEENS1_30default_config_static_selectorELNS0_4arch9wavefront6targetE0EEEvT1_,comdat
.Lfunc_end1002:
	.size	_ZN7rocprim17ROCPRIM_400000_NS6detail17trampoline_kernelINS0_14default_configENS1_27scan_by_key_config_selectorIxiEEZZNS1_16scan_by_key_implILNS1_25lookback_scan_determinismE0ELb1ES3_N6thrust23THRUST_200600_302600_NS6detail15normal_iteratorINS9_10device_ptrIxEEEESE_SE_iNS9_4plusIvEENS9_8equal_toIvEEiEE10hipError_tPvRmT2_T3_T4_T5_mT6_T7_P12ihipStream_tbENKUlT_T0_E_clISt17integral_constantIbLb0EESZ_EEDaSU_SV_EUlSU_E_NS1_11comp_targetILNS1_3genE0ELNS1_11target_archE4294967295ELNS1_3gpuE0ELNS1_3repE0EEENS1_30default_config_static_selectorELNS0_4arch9wavefront6targetE0EEEvT1_, .Lfunc_end1002-_ZN7rocprim17ROCPRIM_400000_NS6detail17trampoline_kernelINS0_14default_configENS1_27scan_by_key_config_selectorIxiEEZZNS1_16scan_by_key_implILNS1_25lookback_scan_determinismE0ELb1ES3_N6thrust23THRUST_200600_302600_NS6detail15normal_iteratorINS9_10device_ptrIxEEEESE_SE_iNS9_4plusIvEENS9_8equal_toIvEEiEE10hipError_tPvRmT2_T3_T4_T5_mT6_T7_P12ihipStream_tbENKUlT_T0_E_clISt17integral_constantIbLb0EESZ_EEDaSU_SV_EUlSU_E_NS1_11comp_targetILNS1_3genE0ELNS1_11target_archE4294967295ELNS1_3gpuE0ELNS1_3repE0EEENS1_30default_config_static_selectorELNS0_4arch9wavefront6targetE0EEEvT1_
                                        ; -- End function
	.set _ZN7rocprim17ROCPRIM_400000_NS6detail17trampoline_kernelINS0_14default_configENS1_27scan_by_key_config_selectorIxiEEZZNS1_16scan_by_key_implILNS1_25lookback_scan_determinismE0ELb1ES3_N6thrust23THRUST_200600_302600_NS6detail15normal_iteratorINS9_10device_ptrIxEEEESE_SE_iNS9_4plusIvEENS9_8equal_toIvEEiEE10hipError_tPvRmT2_T3_T4_T5_mT6_T7_P12ihipStream_tbENKUlT_T0_E_clISt17integral_constantIbLb0EESZ_EEDaSU_SV_EUlSU_E_NS1_11comp_targetILNS1_3genE0ELNS1_11target_archE4294967295ELNS1_3gpuE0ELNS1_3repE0EEENS1_30default_config_static_selectorELNS0_4arch9wavefront6targetE0EEEvT1_.num_vgpr, 84
	.set _ZN7rocprim17ROCPRIM_400000_NS6detail17trampoline_kernelINS0_14default_configENS1_27scan_by_key_config_selectorIxiEEZZNS1_16scan_by_key_implILNS1_25lookback_scan_determinismE0ELb1ES3_N6thrust23THRUST_200600_302600_NS6detail15normal_iteratorINS9_10device_ptrIxEEEESE_SE_iNS9_4plusIvEENS9_8equal_toIvEEiEE10hipError_tPvRmT2_T3_T4_T5_mT6_T7_P12ihipStream_tbENKUlT_T0_E_clISt17integral_constantIbLb0EESZ_EEDaSU_SV_EUlSU_E_NS1_11comp_targetILNS1_3genE0ELNS1_11target_archE4294967295ELNS1_3gpuE0ELNS1_3repE0EEENS1_30default_config_static_selectorELNS0_4arch9wavefront6targetE0EEEvT1_.num_agpr, 0
	.set _ZN7rocprim17ROCPRIM_400000_NS6detail17trampoline_kernelINS0_14default_configENS1_27scan_by_key_config_selectorIxiEEZZNS1_16scan_by_key_implILNS1_25lookback_scan_determinismE0ELb1ES3_N6thrust23THRUST_200600_302600_NS6detail15normal_iteratorINS9_10device_ptrIxEEEESE_SE_iNS9_4plusIvEENS9_8equal_toIvEEiEE10hipError_tPvRmT2_T3_T4_T5_mT6_T7_P12ihipStream_tbENKUlT_T0_E_clISt17integral_constantIbLb0EESZ_EEDaSU_SV_EUlSU_E_NS1_11comp_targetILNS1_3genE0ELNS1_11target_archE4294967295ELNS1_3gpuE0ELNS1_3repE0EEENS1_30default_config_static_selectorELNS0_4arch9wavefront6targetE0EEEvT1_.numbered_sgpr, 39
	.set _ZN7rocprim17ROCPRIM_400000_NS6detail17trampoline_kernelINS0_14default_configENS1_27scan_by_key_config_selectorIxiEEZZNS1_16scan_by_key_implILNS1_25lookback_scan_determinismE0ELb1ES3_N6thrust23THRUST_200600_302600_NS6detail15normal_iteratorINS9_10device_ptrIxEEEESE_SE_iNS9_4plusIvEENS9_8equal_toIvEEiEE10hipError_tPvRmT2_T3_T4_T5_mT6_T7_P12ihipStream_tbENKUlT_T0_E_clISt17integral_constantIbLb0EESZ_EEDaSU_SV_EUlSU_E_NS1_11comp_targetILNS1_3genE0ELNS1_11target_archE4294967295ELNS1_3gpuE0ELNS1_3repE0EEENS1_30default_config_static_selectorELNS0_4arch9wavefront6targetE0EEEvT1_.num_named_barrier, 0
	.set _ZN7rocprim17ROCPRIM_400000_NS6detail17trampoline_kernelINS0_14default_configENS1_27scan_by_key_config_selectorIxiEEZZNS1_16scan_by_key_implILNS1_25lookback_scan_determinismE0ELb1ES3_N6thrust23THRUST_200600_302600_NS6detail15normal_iteratorINS9_10device_ptrIxEEEESE_SE_iNS9_4plusIvEENS9_8equal_toIvEEiEE10hipError_tPvRmT2_T3_T4_T5_mT6_T7_P12ihipStream_tbENKUlT_T0_E_clISt17integral_constantIbLb0EESZ_EEDaSU_SV_EUlSU_E_NS1_11comp_targetILNS1_3genE0ELNS1_11target_archE4294967295ELNS1_3gpuE0ELNS1_3repE0EEENS1_30default_config_static_selectorELNS0_4arch9wavefront6targetE0EEEvT1_.private_seg_size, 0
	.set _ZN7rocprim17ROCPRIM_400000_NS6detail17trampoline_kernelINS0_14default_configENS1_27scan_by_key_config_selectorIxiEEZZNS1_16scan_by_key_implILNS1_25lookback_scan_determinismE0ELb1ES3_N6thrust23THRUST_200600_302600_NS6detail15normal_iteratorINS9_10device_ptrIxEEEESE_SE_iNS9_4plusIvEENS9_8equal_toIvEEiEE10hipError_tPvRmT2_T3_T4_T5_mT6_T7_P12ihipStream_tbENKUlT_T0_E_clISt17integral_constantIbLb0EESZ_EEDaSU_SV_EUlSU_E_NS1_11comp_targetILNS1_3genE0ELNS1_11target_archE4294967295ELNS1_3gpuE0ELNS1_3repE0EEENS1_30default_config_static_selectorELNS0_4arch9wavefront6targetE0EEEvT1_.uses_vcc, 1
	.set _ZN7rocprim17ROCPRIM_400000_NS6detail17trampoline_kernelINS0_14default_configENS1_27scan_by_key_config_selectorIxiEEZZNS1_16scan_by_key_implILNS1_25lookback_scan_determinismE0ELb1ES3_N6thrust23THRUST_200600_302600_NS6detail15normal_iteratorINS9_10device_ptrIxEEEESE_SE_iNS9_4plusIvEENS9_8equal_toIvEEiEE10hipError_tPvRmT2_T3_T4_T5_mT6_T7_P12ihipStream_tbENKUlT_T0_E_clISt17integral_constantIbLb0EESZ_EEDaSU_SV_EUlSU_E_NS1_11comp_targetILNS1_3genE0ELNS1_11target_archE4294967295ELNS1_3gpuE0ELNS1_3repE0EEENS1_30default_config_static_selectorELNS0_4arch9wavefront6targetE0EEEvT1_.uses_flat_scratch, 1
	.set _ZN7rocprim17ROCPRIM_400000_NS6detail17trampoline_kernelINS0_14default_configENS1_27scan_by_key_config_selectorIxiEEZZNS1_16scan_by_key_implILNS1_25lookback_scan_determinismE0ELb1ES3_N6thrust23THRUST_200600_302600_NS6detail15normal_iteratorINS9_10device_ptrIxEEEESE_SE_iNS9_4plusIvEENS9_8equal_toIvEEiEE10hipError_tPvRmT2_T3_T4_T5_mT6_T7_P12ihipStream_tbENKUlT_T0_E_clISt17integral_constantIbLb0EESZ_EEDaSU_SV_EUlSU_E_NS1_11comp_targetILNS1_3genE0ELNS1_11target_archE4294967295ELNS1_3gpuE0ELNS1_3repE0EEENS1_30default_config_static_selectorELNS0_4arch9wavefront6targetE0EEEvT1_.has_dyn_sized_stack, 0
	.set _ZN7rocprim17ROCPRIM_400000_NS6detail17trampoline_kernelINS0_14default_configENS1_27scan_by_key_config_selectorIxiEEZZNS1_16scan_by_key_implILNS1_25lookback_scan_determinismE0ELb1ES3_N6thrust23THRUST_200600_302600_NS6detail15normal_iteratorINS9_10device_ptrIxEEEESE_SE_iNS9_4plusIvEENS9_8equal_toIvEEiEE10hipError_tPvRmT2_T3_T4_T5_mT6_T7_P12ihipStream_tbENKUlT_T0_E_clISt17integral_constantIbLb0EESZ_EEDaSU_SV_EUlSU_E_NS1_11comp_targetILNS1_3genE0ELNS1_11target_archE4294967295ELNS1_3gpuE0ELNS1_3repE0EEENS1_30default_config_static_selectorELNS0_4arch9wavefront6targetE0EEEvT1_.has_recursion, 0
	.set _ZN7rocprim17ROCPRIM_400000_NS6detail17trampoline_kernelINS0_14default_configENS1_27scan_by_key_config_selectorIxiEEZZNS1_16scan_by_key_implILNS1_25lookback_scan_determinismE0ELb1ES3_N6thrust23THRUST_200600_302600_NS6detail15normal_iteratorINS9_10device_ptrIxEEEESE_SE_iNS9_4plusIvEENS9_8equal_toIvEEiEE10hipError_tPvRmT2_T3_T4_T5_mT6_T7_P12ihipStream_tbENKUlT_T0_E_clISt17integral_constantIbLb0EESZ_EEDaSU_SV_EUlSU_E_NS1_11comp_targetILNS1_3genE0ELNS1_11target_archE4294967295ELNS1_3gpuE0ELNS1_3repE0EEENS1_30default_config_static_selectorELNS0_4arch9wavefront6targetE0EEEvT1_.has_indirect_call, 0
	.section	.AMDGPU.csdata,"",@progbits
; Kernel info:
; codeLenInByte = 13416
; TotalNumSgprs: 41
; NumVgprs: 84
; ScratchSize: 0
; MemoryBound: 0
; FloatMode: 240
; IeeeMode: 1
; LDSByteSize: 32768 bytes/workgroup (compile time only)
; SGPRBlocks: 0
; VGPRBlocks: 5
; NumSGPRsForWavesPerEU: 41
; NumVGPRsForWavesPerEU: 84
; NamedBarCnt: 0
; Occupancy: 10
; WaveLimiterHint : 1
; COMPUTE_PGM_RSRC2:SCRATCH_EN: 0
; COMPUTE_PGM_RSRC2:USER_SGPR: 2
; COMPUTE_PGM_RSRC2:TRAP_HANDLER: 0
; COMPUTE_PGM_RSRC2:TGID_X_EN: 1
; COMPUTE_PGM_RSRC2:TGID_Y_EN: 0
; COMPUTE_PGM_RSRC2:TGID_Z_EN: 0
; COMPUTE_PGM_RSRC2:TIDIG_COMP_CNT: 0
	.section	.text._ZN7rocprim17ROCPRIM_400000_NS6detail17trampoline_kernelINS0_14default_configENS1_27scan_by_key_config_selectorIxiEEZZNS1_16scan_by_key_implILNS1_25lookback_scan_determinismE0ELb1ES3_N6thrust23THRUST_200600_302600_NS6detail15normal_iteratorINS9_10device_ptrIxEEEESE_SE_iNS9_4plusIvEENS9_8equal_toIvEEiEE10hipError_tPvRmT2_T3_T4_T5_mT6_T7_P12ihipStream_tbENKUlT_T0_E_clISt17integral_constantIbLb0EESZ_EEDaSU_SV_EUlSU_E_NS1_11comp_targetILNS1_3genE10ELNS1_11target_archE1201ELNS1_3gpuE5ELNS1_3repE0EEENS1_30default_config_static_selectorELNS0_4arch9wavefront6targetE0EEEvT1_,"axG",@progbits,_ZN7rocprim17ROCPRIM_400000_NS6detail17trampoline_kernelINS0_14default_configENS1_27scan_by_key_config_selectorIxiEEZZNS1_16scan_by_key_implILNS1_25lookback_scan_determinismE0ELb1ES3_N6thrust23THRUST_200600_302600_NS6detail15normal_iteratorINS9_10device_ptrIxEEEESE_SE_iNS9_4plusIvEENS9_8equal_toIvEEiEE10hipError_tPvRmT2_T3_T4_T5_mT6_T7_P12ihipStream_tbENKUlT_T0_E_clISt17integral_constantIbLb0EESZ_EEDaSU_SV_EUlSU_E_NS1_11comp_targetILNS1_3genE10ELNS1_11target_archE1201ELNS1_3gpuE5ELNS1_3repE0EEENS1_30default_config_static_selectorELNS0_4arch9wavefront6targetE0EEEvT1_,comdat
	.protected	_ZN7rocprim17ROCPRIM_400000_NS6detail17trampoline_kernelINS0_14default_configENS1_27scan_by_key_config_selectorIxiEEZZNS1_16scan_by_key_implILNS1_25lookback_scan_determinismE0ELb1ES3_N6thrust23THRUST_200600_302600_NS6detail15normal_iteratorINS9_10device_ptrIxEEEESE_SE_iNS9_4plusIvEENS9_8equal_toIvEEiEE10hipError_tPvRmT2_T3_T4_T5_mT6_T7_P12ihipStream_tbENKUlT_T0_E_clISt17integral_constantIbLb0EESZ_EEDaSU_SV_EUlSU_E_NS1_11comp_targetILNS1_3genE10ELNS1_11target_archE1201ELNS1_3gpuE5ELNS1_3repE0EEENS1_30default_config_static_selectorELNS0_4arch9wavefront6targetE0EEEvT1_ ; -- Begin function _ZN7rocprim17ROCPRIM_400000_NS6detail17trampoline_kernelINS0_14default_configENS1_27scan_by_key_config_selectorIxiEEZZNS1_16scan_by_key_implILNS1_25lookback_scan_determinismE0ELb1ES3_N6thrust23THRUST_200600_302600_NS6detail15normal_iteratorINS9_10device_ptrIxEEEESE_SE_iNS9_4plusIvEENS9_8equal_toIvEEiEE10hipError_tPvRmT2_T3_T4_T5_mT6_T7_P12ihipStream_tbENKUlT_T0_E_clISt17integral_constantIbLb0EESZ_EEDaSU_SV_EUlSU_E_NS1_11comp_targetILNS1_3genE10ELNS1_11target_archE1201ELNS1_3gpuE5ELNS1_3repE0EEENS1_30default_config_static_selectorELNS0_4arch9wavefront6targetE0EEEvT1_
	.globl	_ZN7rocprim17ROCPRIM_400000_NS6detail17trampoline_kernelINS0_14default_configENS1_27scan_by_key_config_selectorIxiEEZZNS1_16scan_by_key_implILNS1_25lookback_scan_determinismE0ELb1ES3_N6thrust23THRUST_200600_302600_NS6detail15normal_iteratorINS9_10device_ptrIxEEEESE_SE_iNS9_4plusIvEENS9_8equal_toIvEEiEE10hipError_tPvRmT2_T3_T4_T5_mT6_T7_P12ihipStream_tbENKUlT_T0_E_clISt17integral_constantIbLb0EESZ_EEDaSU_SV_EUlSU_E_NS1_11comp_targetILNS1_3genE10ELNS1_11target_archE1201ELNS1_3gpuE5ELNS1_3repE0EEENS1_30default_config_static_selectorELNS0_4arch9wavefront6targetE0EEEvT1_
	.p2align	8
	.type	_ZN7rocprim17ROCPRIM_400000_NS6detail17trampoline_kernelINS0_14default_configENS1_27scan_by_key_config_selectorIxiEEZZNS1_16scan_by_key_implILNS1_25lookback_scan_determinismE0ELb1ES3_N6thrust23THRUST_200600_302600_NS6detail15normal_iteratorINS9_10device_ptrIxEEEESE_SE_iNS9_4plusIvEENS9_8equal_toIvEEiEE10hipError_tPvRmT2_T3_T4_T5_mT6_T7_P12ihipStream_tbENKUlT_T0_E_clISt17integral_constantIbLb0EESZ_EEDaSU_SV_EUlSU_E_NS1_11comp_targetILNS1_3genE10ELNS1_11target_archE1201ELNS1_3gpuE5ELNS1_3repE0EEENS1_30default_config_static_selectorELNS0_4arch9wavefront6targetE0EEEvT1_,@function
_ZN7rocprim17ROCPRIM_400000_NS6detail17trampoline_kernelINS0_14default_configENS1_27scan_by_key_config_selectorIxiEEZZNS1_16scan_by_key_implILNS1_25lookback_scan_determinismE0ELb1ES3_N6thrust23THRUST_200600_302600_NS6detail15normal_iteratorINS9_10device_ptrIxEEEESE_SE_iNS9_4plusIvEENS9_8equal_toIvEEiEE10hipError_tPvRmT2_T3_T4_T5_mT6_T7_P12ihipStream_tbENKUlT_T0_E_clISt17integral_constantIbLb0EESZ_EEDaSU_SV_EUlSU_E_NS1_11comp_targetILNS1_3genE10ELNS1_11target_archE1201ELNS1_3gpuE5ELNS1_3repE0EEENS1_30default_config_static_selectorELNS0_4arch9wavefront6targetE0EEEvT1_: ; @_ZN7rocprim17ROCPRIM_400000_NS6detail17trampoline_kernelINS0_14default_configENS1_27scan_by_key_config_selectorIxiEEZZNS1_16scan_by_key_implILNS1_25lookback_scan_determinismE0ELb1ES3_N6thrust23THRUST_200600_302600_NS6detail15normal_iteratorINS9_10device_ptrIxEEEESE_SE_iNS9_4plusIvEENS9_8equal_toIvEEiEE10hipError_tPvRmT2_T3_T4_T5_mT6_T7_P12ihipStream_tbENKUlT_T0_E_clISt17integral_constantIbLb0EESZ_EEDaSU_SV_EUlSU_E_NS1_11comp_targetILNS1_3genE10ELNS1_11target_archE1201ELNS1_3gpuE5ELNS1_3repE0EEENS1_30default_config_static_selectorELNS0_4arch9wavefront6targetE0EEEvT1_
; %bb.0:
	.section	.rodata,"a",@progbits
	.p2align	6, 0x0
	.amdhsa_kernel _ZN7rocprim17ROCPRIM_400000_NS6detail17trampoline_kernelINS0_14default_configENS1_27scan_by_key_config_selectorIxiEEZZNS1_16scan_by_key_implILNS1_25lookback_scan_determinismE0ELb1ES3_N6thrust23THRUST_200600_302600_NS6detail15normal_iteratorINS9_10device_ptrIxEEEESE_SE_iNS9_4plusIvEENS9_8equal_toIvEEiEE10hipError_tPvRmT2_T3_T4_T5_mT6_T7_P12ihipStream_tbENKUlT_T0_E_clISt17integral_constantIbLb0EESZ_EEDaSU_SV_EUlSU_E_NS1_11comp_targetILNS1_3genE10ELNS1_11target_archE1201ELNS1_3gpuE5ELNS1_3repE0EEENS1_30default_config_static_selectorELNS0_4arch9wavefront6targetE0EEEvT1_
		.amdhsa_group_segment_fixed_size 0
		.amdhsa_private_segment_fixed_size 0
		.amdhsa_kernarg_size 112
		.amdhsa_user_sgpr_count 2
		.amdhsa_user_sgpr_dispatch_ptr 0
		.amdhsa_user_sgpr_queue_ptr 0
		.amdhsa_user_sgpr_kernarg_segment_ptr 1
		.amdhsa_user_sgpr_dispatch_id 0
		.amdhsa_user_sgpr_kernarg_preload_length 0
		.amdhsa_user_sgpr_kernarg_preload_offset 0
		.amdhsa_user_sgpr_private_segment_size 0
		.amdhsa_wavefront_size32 1
		.amdhsa_uses_dynamic_stack 0
		.amdhsa_enable_private_segment 0
		.amdhsa_system_sgpr_workgroup_id_x 1
		.amdhsa_system_sgpr_workgroup_id_y 0
		.amdhsa_system_sgpr_workgroup_id_z 0
		.amdhsa_system_sgpr_workgroup_info 0
		.amdhsa_system_vgpr_workitem_id 0
		.amdhsa_next_free_vgpr 1
		.amdhsa_next_free_sgpr 1
		.amdhsa_named_barrier_count 0
		.amdhsa_reserve_vcc 0
		.amdhsa_float_round_mode_32 0
		.amdhsa_float_round_mode_16_64 0
		.amdhsa_float_denorm_mode_32 3
		.amdhsa_float_denorm_mode_16_64 3
		.amdhsa_fp16_overflow 0
		.amdhsa_memory_ordered 1
		.amdhsa_forward_progress 1
		.amdhsa_inst_pref_size 0
		.amdhsa_round_robin_scheduling 0
		.amdhsa_exception_fp_ieee_invalid_op 0
		.amdhsa_exception_fp_denorm_src 0
		.amdhsa_exception_fp_ieee_div_zero 0
		.amdhsa_exception_fp_ieee_overflow 0
		.amdhsa_exception_fp_ieee_underflow 0
		.amdhsa_exception_fp_ieee_inexact 0
		.amdhsa_exception_int_div_zero 0
	.end_amdhsa_kernel
	.section	.text._ZN7rocprim17ROCPRIM_400000_NS6detail17trampoline_kernelINS0_14default_configENS1_27scan_by_key_config_selectorIxiEEZZNS1_16scan_by_key_implILNS1_25lookback_scan_determinismE0ELb1ES3_N6thrust23THRUST_200600_302600_NS6detail15normal_iteratorINS9_10device_ptrIxEEEESE_SE_iNS9_4plusIvEENS9_8equal_toIvEEiEE10hipError_tPvRmT2_T3_T4_T5_mT6_T7_P12ihipStream_tbENKUlT_T0_E_clISt17integral_constantIbLb0EESZ_EEDaSU_SV_EUlSU_E_NS1_11comp_targetILNS1_3genE10ELNS1_11target_archE1201ELNS1_3gpuE5ELNS1_3repE0EEENS1_30default_config_static_selectorELNS0_4arch9wavefront6targetE0EEEvT1_,"axG",@progbits,_ZN7rocprim17ROCPRIM_400000_NS6detail17trampoline_kernelINS0_14default_configENS1_27scan_by_key_config_selectorIxiEEZZNS1_16scan_by_key_implILNS1_25lookback_scan_determinismE0ELb1ES3_N6thrust23THRUST_200600_302600_NS6detail15normal_iteratorINS9_10device_ptrIxEEEESE_SE_iNS9_4plusIvEENS9_8equal_toIvEEiEE10hipError_tPvRmT2_T3_T4_T5_mT6_T7_P12ihipStream_tbENKUlT_T0_E_clISt17integral_constantIbLb0EESZ_EEDaSU_SV_EUlSU_E_NS1_11comp_targetILNS1_3genE10ELNS1_11target_archE1201ELNS1_3gpuE5ELNS1_3repE0EEENS1_30default_config_static_selectorELNS0_4arch9wavefront6targetE0EEEvT1_,comdat
.Lfunc_end1003:
	.size	_ZN7rocprim17ROCPRIM_400000_NS6detail17trampoline_kernelINS0_14default_configENS1_27scan_by_key_config_selectorIxiEEZZNS1_16scan_by_key_implILNS1_25lookback_scan_determinismE0ELb1ES3_N6thrust23THRUST_200600_302600_NS6detail15normal_iteratorINS9_10device_ptrIxEEEESE_SE_iNS9_4plusIvEENS9_8equal_toIvEEiEE10hipError_tPvRmT2_T3_T4_T5_mT6_T7_P12ihipStream_tbENKUlT_T0_E_clISt17integral_constantIbLb0EESZ_EEDaSU_SV_EUlSU_E_NS1_11comp_targetILNS1_3genE10ELNS1_11target_archE1201ELNS1_3gpuE5ELNS1_3repE0EEENS1_30default_config_static_selectorELNS0_4arch9wavefront6targetE0EEEvT1_, .Lfunc_end1003-_ZN7rocprim17ROCPRIM_400000_NS6detail17trampoline_kernelINS0_14default_configENS1_27scan_by_key_config_selectorIxiEEZZNS1_16scan_by_key_implILNS1_25lookback_scan_determinismE0ELb1ES3_N6thrust23THRUST_200600_302600_NS6detail15normal_iteratorINS9_10device_ptrIxEEEESE_SE_iNS9_4plusIvEENS9_8equal_toIvEEiEE10hipError_tPvRmT2_T3_T4_T5_mT6_T7_P12ihipStream_tbENKUlT_T0_E_clISt17integral_constantIbLb0EESZ_EEDaSU_SV_EUlSU_E_NS1_11comp_targetILNS1_3genE10ELNS1_11target_archE1201ELNS1_3gpuE5ELNS1_3repE0EEENS1_30default_config_static_selectorELNS0_4arch9wavefront6targetE0EEEvT1_
                                        ; -- End function
	.set _ZN7rocprim17ROCPRIM_400000_NS6detail17trampoline_kernelINS0_14default_configENS1_27scan_by_key_config_selectorIxiEEZZNS1_16scan_by_key_implILNS1_25lookback_scan_determinismE0ELb1ES3_N6thrust23THRUST_200600_302600_NS6detail15normal_iteratorINS9_10device_ptrIxEEEESE_SE_iNS9_4plusIvEENS9_8equal_toIvEEiEE10hipError_tPvRmT2_T3_T4_T5_mT6_T7_P12ihipStream_tbENKUlT_T0_E_clISt17integral_constantIbLb0EESZ_EEDaSU_SV_EUlSU_E_NS1_11comp_targetILNS1_3genE10ELNS1_11target_archE1201ELNS1_3gpuE5ELNS1_3repE0EEENS1_30default_config_static_selectorELNS0_4arch9wavefront6targetE0EEEvT1_.num_vgpr, 0
	.set _ZN7rocprim17ROCPRIM_400000_NS6detail17trampoline_kernelINS0_14default_configENS1_27scan_by_key_config_selectorIxiEEZZNS1_16scan_by_key_implILNS1_25lookback_scan_determinismE0ELb1ES3_N6thrust23THRUST_200600_302600_NS6detail15normal_iteratorINS9_10device_ptrIxEEEESE_SE_iNS9_4plusIvEENS9_8equal_toIvEEiEE10hipError_tPvRmT2_T3_T4_T5_mT6_T7_P12ihipStream_tbENKUlT_T0_E_clISt17integral_constantIbLb0EESZ_EEDaSU_SV_EUlSU_E_NS1_11comp_targetILNS1_3genE10ELNS1_11target_archE1201ELNS1_3gpuE5ELNS1_3repE0EEENS1_30default_config_static_selectorELNS0_4arch9wavefront6targetE0EEEvT1_.num_agpr, 0
	.set _ZN7rocprim17ROCPRIM_400000_NS6detail17trampoline_kernelINS0_14default_configENS1_27scan_by_key_config_selectorIxiEEZZNS1_16scan_by_key_implILNS1_25lookback_scan_determinismE0ELb1ES3_N6thrust23THRUST_200600_302600_NS6detail15normal_iteratorINS9_10device_ptrIxEEEESE_SE_iNS9_4plusIvEENS9_8equal_toIvEEiEE10hipError_tPvRmT2_T3_T4_T5_mT6_T7_P12ihipStream_tbENKUlT_T0_E_clISt17integral_constantIbLb0EESZ_EEDaSU_SV_EUlSU_E_NS1_11comp_targetILNS1_3genE10ELNS1_11target_archE1201ELNS1_3gpuE5ELNS1_3repE0EEENS1_30default_config_static_selectorELNS0_4arch9wavefront6targetE0EEEvT1_.numbered_sgpr, 0
	.set _ZN7rocprim17ROCPRIM_400000_NS6detail17trampoline_kernelINS0_14default_configENS1_27scan_by_key_config_selectorIxiEEZZNS1_16scan_by_key_implILNS1_25lookback_scan_determinismE0ELb1ES3_N6thrust23THRUST_200600_302600_NS6detail15normal_iteratorINS9_10device_ptrIxEEEESE_SE_iNS9_4plusIvEENS9_8equal_toIvEEiEE10hipError_tPvRmT2_T3_T4_T5_mT6_T7_P12ihipStream_tbENKUlT_T0_E_clISt17integral_constantIbLb0EESZ_EEDaSU_SV_EUlSU_E_NS1_11comp_targetILNS1_3genE10ELNS1_11target_archE1201ELNS1_3gpuE5ELNS1_3repE0EEENS1_30default_config_static_selectorELNS0_4arch9wavefront6targetE0EEEvT1_.num_named_barrier, 0
	.set _ZN7rocprim17ROCPRIM_400000_NS6detail17trampoline_kernelINS0_14default_configENS1_27scan_by_key_config_selectorIxiEEZZNS1_16scan_by_key_implILNS1_25lookback_scan_determinismE0ELb1ES3_N6thrust23THRUST_200600_302600_NS6detail15normal_iteratorINS9_10device_ptrIxEEEESE_SE_iNS9_4plusIvEENS9_8equal_toIvEEiEE10hipError_tPvRmT2_T3_T4_T5_mT6_T7_P12ihipStream_tbENKUlT_T0_E_clISt17integral_constantIbLb0EESZ_EEDaSU_SV_EUlSU_E_NS1_11comp_targetILNS1_3genE10ELNS1_11target_archE1201ELNS1_3gpuE5ELNS1_3repE0EEENS1_30default_config_static_selectorELNS0_4arch9wavefront6targetE0EEEvT1_.private_seg_size, 0
	.set _ZN7rocprim17ROCPRIM_400000_NS6detail17trampoline_kernelINS0_14default_configENS1_27scan_by_key_config_selectorIxiEEZZNS1_16scan_by_key_implILNS1_25lookback_scan_determinismE0ELb1ES3_N6thrust23THRUST_200600_302600_NS6detail15normal_iteratorINS9_10device_ptrIxEEEESE_SE_iNS9_4plusIvEENS9_8equal_toIvEEiEE10hipError_tPvRmT2_T3_T4_T5_mT6_T7_P12ihipStream_tbENKUlT_T0_E_clISt17integral_constantIbLb0EESZ_EEDaSU_SV_EUlSU_E_NS1_11comp_targetILNS1_3genE10ELNS1_11target_archE1201ELNS1_3gpuE5ELNS1_3repE0EEENS1_30default_config_static_selectorELNS0_4arch9wavefront6targetE0EEEvT1_.uses_vcc, 0
	.set _ZN7rocprim17ROCPRIM_400000_NS6detail17trampoline_kernelINS0_14default_configENS1_27scan_by_key_config_selectorIxiEEZZNS1_16scan_by_key_implILNS1_25lookback_scan_determinismE0ELb1ES3_N6thrust23THRUST_200600_302600_NS6detail15normal_iteratorINS9_10device_ptrIxEEEESE_SE_iNS9_4plusIvEENS9_8equal_toIvEEiEE10hipError_tPvRmT2_T3_T4_T5_mT6_T7_P12ihipStream_tbENKUlT_T0_E_clISt17integral_constantIbLb0EESZ_EEDaSU_SV_EUlSU_E_NS1_11comp_targetILNS1_3genE10ELNS1_11target_archE1201ELNS1_3gpuE5ELNS1_3repE0EEENS1_30default_config_static_selectorELNS0_4arch9wavefront6targetE0EEEvT1_.uses_flat_scratch, 0
	.set _ZN7rocprim17ROCPRIM_400000_NS6detail17trampoline_kernelINS0_14default_configENS1_27scan_by_key_config_selectorIxiEEZZNS1_16scan_by_key_implILNS1_25lookback_scan_determinismE0ELb1ES3_N6thrust23THRUST_200600_302600_NS6detail15normal_iteratorINS9_10device_ptrIxEEEESE_SE_iNS9_4plusIvEENS9_8equal_toIvEEiEE10hipError_tPvRmT2_T3_T4_T5_mT6_T7_P12ihipStream_tbENKUlT_T0_E_clISt17integral_constantIbLb0EESZ_EEDaSU_SV_EUlSU_E_NS1_11comp_targetILNS1_3genE10ELNS1_11target_archE1201ELNS1_3gpuE5ELNS1_3repE0EEENS1_30default_config_static_selectorELNS0_4arch9wavefront6targetE0EEEvT1_.has_dyn_sized_stack, 0
	.set _ZN7rocprim17ROCPRIM_400000_NS6detail17trampoline_kernelINS0_14default_configENS1_27scan_by_key_config_selectorIxiEEZZNS1_16scan_by_key_implILNS1_25lookback_scan_determinismE0ELb1ES3_N6thrust23THRUST_200600_302600_NS6detail15normal_iteratorINS9_10device_ptrIxEEEESE_SE_iNS9_4plusIvEENS9_8equal_toIvEEiEE10hipError_tPvRmT2_T3_T4_T5_mT6_T7_P12ihipStream_tbENKUlT_T0_E_clISt17integral_constantIbLb0EESZ_EEDaSU_SV_EUlSU_E_NS1_11comp_targetILNS1_3genE10ELNS1_11target_archE1201ELNS1_3gpuE5ELNS1_3repE0EEENS1_30default_config_static_selectorELNS0_4arch9wavefront6targetE0EEEvT1_.has_recursion, 0
	.set _ZN7rocprim17ROCPRIM_400000_NS6detail17trampoline_kernelINS0_14default_configENS1_27scan_by_key_config_selectorIxiEEZZNS1_16scan_by_key_implILNS1_25lookback_scan_determinismE0ELb1ES3_N6thrust23THRUST_200600_302600_NS6detail15normal_iteratorINS9_10device_ptrIxEEEESE_SE_iNS9_4plusIvEENS9_8equal_toIvEEiEE10hipError_tPvRmT2_T3_T4_T5_mT6_T7_P12ihipStream_tbENKUlT_T0_E_clISt17integral_constantIbLb0EESZ_EEDaSU_SV_EUlSU_E_NS1_11comp_targetILNS1_3genE10ELNS1_11target_archE1201ELNS1_3gpuE5ELNS1_3repE0EEENS1_30default_config_static_selectorELNS0_4arch9wavefront6targetE0EEEvT1_.has_indirect_call, 0
	.section	.AMDGPU.csdata,"",@progbits
; Kernel info:
; codeLenInByte = 0
; TotalNumSgprs: 0
; NumVgprs: 0
; ScratchSize: 0
; MemoryBound: 0
; FloatMode: 240
; IeeeMode: 1
; LDSByteSize: 0 bytes/workgroup (compile time only)
; SGPRBlocks: 0
; VGPRBlocks: 0
; NumSGPRsForWavesPerEU: 1
; NumVGPRsForWavesPerEU: 1
; NamedBarCnt: 0
; Occupancy: 16
; WaveLimiterHint : 0
; COMPUTE_PGM_RSRC2:SCRATCH_EN: 0
; COMPUTE_PGM_RSRC2:USER_SGPR: 2
; COMPUTE_PGM_RSRC2:TRAP_HANDLER: 0
; COMPUTE_PGM_RSRC2:TGID_X_EN: 1
; COMPUTE_PGM_RSRC2:TGID_Y_EN: 0
; COMPUTE_PGM_RSRC2:TGID_Z_EN: 0
; COMPUTE_PGM_RSRC2:TIDIG_COMP_CNT: 0
	.section	.text._ZN7rocprim17ROCPRIM_400000_NS6detail17trampoline_kernelINS0_14default_configENS1_27scan_by_key_config_selectorIxiEEZZNS1_16scan_by_key_implILNS1_25lookback_scan_determinismE0ELb1ES3_N6thrust23THRUST_200600_302600_NS6detail15normal_iteratorINS9_10device_ptrIxEEEESE_SE_iNS9_4plusIvEENS9_8equal_toIvEEiEE10hipError_tPvRmT2_T3_T4_T5_mT6_T7_P12ihipStream_tbENKUlT_T0_E_clISt17integral_constantIbLb0EESZ_EEDaSU_SV_EUlSU_E_NS1_11comp_targetILNS1_3genE5ELNS1_11target_archE942ELNS1_3gpuE9ELNS1_3repE0EEENS1_30default_config_static_selectorELNS0_4arch9wavefront6targetE0EEEvT1_,"axG",@progbits,_ZN7rocprim17ROCPRIM_400000_NS6detail17trampoline_kernelINS0_14default_configENS1_27scan_by_key_config_selectorIxiEEZZNS1_16scan_by_key_implILNS1_25lookback_scan_determinismE0ELb1ES3_N6thrust23THRUST_200600_302600_NS6detail15normal_iteratorINS9_10device_ptrIxEEEESE_SE_iNS9_4plusIvEENS9_8equal_toIvEEiEE10hipError_tPvRmT2_T3_T4_T5_mT6_T7_P12ihipStream_tbENKUlT_T0_E_clISt17integral_constantIbLb0EESZ_EEDaSU_SV_EUlSU_E_NS1_11comp_targetILNS1_3genE5ELNS1_11target_archE942ELNS1_3gpuE9ELNS1_3repE0EEENS1_30default_config_static_selectorELNS0_4arch9wavefront6targetE0EEEvT1_,comdat
	.protected	_ZN7rocprim17ROCPRIM_400000_NS6detail17trampoline_kernelINS0_14default_configENS1_27scan_by_key_config_selectorIxiEEZZNS1_16scan_by_key_implILNS1_25lookback_scan_determinismE0ELb1ES3_N6thrust23THRUST_200600_302600_NS6detail15normal_iteratorINS9_10device_ptrIxEEEESE_SE_iNS9_4plusIvEENS9_8equal_toIvEEiEE10hipError_tPvRmT2_T3_T4_T5_mT6_T7_P12ihipStream_tbENKUlT_T0_E_clISt17integral_constantIbLb0EESZ_EEDaSU_SV_EUlSU_E_NS1_11comp_targetILNS1_3genE5ELNS1_11target_archE942ELNS1_3gpuE9ELNS1_3repE0EEENS1_30default_config_static_selectorELNS0_4arch9wavefront6targetE0EEEvT1_ ; -- Begin function _ZN7rocprim17ROCPRIM_400000_NS6detail17trampoline_kernelINS0_14default_configENS1_27scan_by_key_config_selectorIxiEEZZNS1_16scan_by_key_implILNS1_25lookback_scan_determinismE0ELb1ES3_N6thrust23THRUST_200600_302600_NS6detail15normal_iteratorINS9_10device_ptrIxEEEESE_SE_iNS9_4plusIvEENS9_8equal_toIvEEiEE10hipError_tPvRmT2_T3_T4_T5_mT6_T7_P12ihipStream_tbENKUlT_T0_E_clISt17integral_constantIbLb0EESZ_EEDaSU_SV_EUlSU_E_NS1_11comp_targetILNS1_3genE5ELNS1_11target_archE942ELNS1_3gpuE9ELNS1_3repE0EEENS1_30default_config_static_selectorELNS0_4arch9wavefront6targetE0EEEvT1_
	.globl	_ZN7rocprim17ROCPRIM_400000_NS6detail17trampoline_kernelINS0_14default_configENS1_27scan_by_key_config_selectorIxiEEZZNS1_16scan_by_key_implILNS1_25lookback_scan_determinismE0ELb1ES3_N6thrust23THRUST_200600_302600_NS6detail15normal_iteratorINS9_10device_ptrIxEEEESE_SE_iNS9_4plusIvEENS9_8equal_toIvEEiEE10hipError_tPvRmT2_T3_T4_T5_mT6_T7_P12ihipStream_tbENKUlT_T0_E_clISt17integral_constantIbLb0EESZ_EEDaSU_SV_EUlSU_E_NS1_11comp_targetILNS1_3genE5ELNS1_11target_archE942ELNS1_3gpuE9ELNS1_3repE0EEENS1_30default_config_static_selectorELNS0_4arch9wavefront6targetE0EEEvT1_
	.p2align	8
	.type	_ZN7rocprim17ROCPRIM_400000_NS6detail17trampoline_kernelINS0_14default_configENS1_27scan_by_key_config_selectorIxiEEZZNS1_16scan_by_key_implILNS1_25lookback_scan_determinismE0ELb1ES3_N6thrust23THRUST_200600_302600_NS6detail15normal_iteratorINS9_10device_ptrIxEEEESE_SE_iNS9_4plusIvEENS9_8equal_toIvEEiEE10hipError_tPvRmT2_T3_T4_T5_mT6_T7_P12ihipStream_tbENKUlT_T0_E_clISt17integral_constantIbLb0EESZ_EEDaSU_SV_EUlSU_E_NS1_11comp_targetILNS1_3genE5ELNS1_11target_archE942ELNS1_3gpuE9ELNS1_3repE0EEENS1_30default_config_static_selectorELNS0_4arch9wavefront6targetE0EEEvT1_,@function
_ZN7rocprim17ROCPRIM_400000_NS6detail17trampoline_kernelINS0_14default_configENS1_27scan_by_key_config_selectorIxiEEZZNS1_16scan_by_key_implILNS1_25lookback_scan_determinismE0ELb1ES3_N6thrust23THRUST_200600_302600_NS6detail15normal_iteratorINS9_10device_ptrIxEEEESE_SE_iNS9_4plusIvEENS9_8equal_toIvEEiEE10hipError_tPvRmT2_T3_T4_T5_mT6_T7_P12ihipStream_tbENKUlT_T0_E_clISt17integral_constantIbLb0EESZ_EEDaSU_SV_EUlSU_E_NS1_11comp_targetILNS1_3genE5ELNS1_11target_archE942ELNS1_3gpuE9ELNS1_3repE0EEENS1_30default_config_static_selectorELNS0_4arch9wavefront6targetE0EEEvT1_: ; @_ZN7rocprim17ROCPRIM_400000_NS6detail17trampoline_kernelINS0_14default_configENS1_27scan_by_key_config_selectorIxiEEZZNS1_16scan_by_key_implILNS1_25lookback_scan_determinismE0ELb1ES3_N6thrust23THRUST_200600_302600_NS6detail15normal_iteratorINS9_10device_ptrIxEEEESE_SE_iNS9_4plusIvEENS9_8equal_toIvEEiEE10hipError_tPvRmT2_T3_T4_T5_mT6_T7_P12ihipStream_tbENKUlT_T0_E_clISt17integral_constantIbLb0EESZ_EEDaSU_SV_EUlSU_E_NS1_11comp_targetILNS1_3genE5ELNS1_11target_archE942ELNS1_3gpuE9ELNS1_3repE0EEENS1_30default_config_static_selectorELNS0_4arch9wavefront6targetE0EEEvT1_
; %bb.0:
	.section	.rodata,"a",@progbits
	.p2align	6, 0x0
	.amdhsa_kernel _ZN7rocprim17ROCPRIM_400000_NS6detail17trampoline_kernelINS0_14default_configENS1_27scan_by_key_config_selectorIxiEEZZNS1_16scan_by_key_implILNS1_25lookback_scan_determinismE0ELb1ES3_N6thrust23THRUST_200600_302600_NS6detail15normal_iteratorINS9_10device_ptrIxEEEESE_SE_iNS9_4plusIvEENS9_8equal_toIvEEiEE10hipError_tPvRmT2_T3_T4_T5_mT6_T7_P12ihipStream_tbENKUlT_T0_E_clISt17integral_constantIbLb0EESZ_EEDaSU_SV_EUlSU_E_NS1_11comp_targetILNS1_3genE5ELNS1_11target_archE942ELNS1_3gpuE9ELNS1_3repE0EEENS1_30default_config_static_selectorELNS0_4arch9wavefront6targetE0EEEvT1_
		.amdhsa_group_segment_fixed_size 0
		.amdhsa_private_segment_fixed_size 0
		.amdhsa_kernarg_size 112
		.amdhsa_user_sgpr_count 2
		.amdhsa_user_sgpr_dispatch_ptr 0
		.amdhsa_user_sgpr_queue_ptr 0
		.amdhsa_user_sgpr_kernarg_segment_ptr 1
		.amdhsa_user_sgpr_dispatch_id 0
		.amdhsa_user_sgpr_kernarg_preload_length 0
		.amdhsa_user_sgpr_kernarg_preload_offset 0
		.amdhsa_user_sgpr_private_segment_size 0
		.amdhsa_wavefront_size32 1
		.amdhsa_uses_dynamic_stack 0
		.amdhsa_enable_private_segment 0
		.amdhsa_system_sgpr_workgroup_id_x 1
		.amdhsa_system_sgpr_workgroup_id_y 0
		.amdhsa_system_sgpr_workgroup_id_z 0
		.amdhsa_system_sgpr_workgroup_info 0
		.amdhsa_system_vgpr_workitem_id 0
		.amdhsa_next_free_vgpr 1
		.amdhsa_next_free_sgpr 1
		.amdhsa_named_barrier_count 0
		.amdhsa_reserve_vcc 0
		.amdhsa_float_round_mode_32 0
		.amdhsa_float_round_mode_16_64 0
		.amdhsa_float_denorm_mode_32 3
		.amdhsa_float_denorm_mode_16_64 3
		.amdhsa_fp16_overflow 0
		.amdhsa_memory_ordered 1
		.amdhsa_forward_progress 1
		.amdhsa_inst_pref_size 0
		.amdhsa_round_robin_scheduling 0
		.amdhsa_exception_fp_ieee_invalid_op 0
		.amdhsa_exception_fp_denorm_src 0
		.amdhsa_exception_fp_ieee_div_zero 0
		.amdhsa_exception_fp_ieee_overflow 0
		.amdhsa_exception_fp_ieee_underflow 0
		.amdhsa_exception_fp_ieee_inexact 0
		.amdhsa_exception_int_div_zero 0
	.end_amdhsa_kernel
	.section	.text._ZN7rocprim17ROCPRIM_400000_NS6detail17trampoline_kernelINS0_14default_configENS1_27scan_by_key_config_selectorIxiEEZZNS1_16scan_by_key_implILNS1_25lookback_scan_determinismE0ELb1ES3_N6thrust23THRUST_200600_302600_NS6detail15normal_iteratorINS9_10device_ptrIxEEEESE_SE_iNS9_4plusIvEENS9_8equal_toIvEEiEE10hipError_tPvRmT2_T3_T4_T5_mT6_T7_P12ihipStream_tbENKUlT_T0_E_clISt17integral_constantIbLb0EESZ_EEDaSU_SV_EUlSU_E_NS1_11comp_targetILNS1_3genE5ELNS1_11target_archE942ELNS1_3gpuE9ELNS1_3repE0EEENS1_30default_config_static_selectorELNS0_4arch9wavefront6targetE0EEEvT1_,"axG",@progbits,_ZN7rocprim17ROCPRIM_400000_NS6detail17trampoline_kernelINS0_14default_configENS1_27scan_by_key_config_selectorIxiEEZZNS1_16scan_by_key_implILNS1_25lookback_scan_determinismE0ELb1ES3_N6thrust23THRUST_200600_302600_NS6detail15normal_iteratorINS9_10device_ptrIxEEEESE_SE_iNS9_4plusIvEENS9_8equal_toIvEEiEE10hipError_tPvRmT2_T3_T4_T5_mT6_T7_P12ihipStream_tbENKUlT_T0_E_clISt17integral_constantIbLb0EESZ_EEDaSU_SV_EUlSU_E_NS1_11comp_targetILNS1_3genE5ELNS1_11target_archE942ELNS1_3gpuE9ELNS1_3repE0EEENS1_30default_config_static_selectorELNS0_4arch9wavefront6targetE0EEEvT1_,comdat
.Lfunc_end1004:
	.size	_ZN7rocprim17ROCPRIM_400000_NS6detail17trampoline_kernelINS0_14default_configENS1_27scan_by_key_config_selectorIxiEEZZNS1_16scan_by_key_implILNS1_25lookback_scan_determinismE0ELb1ES3_N6thrust23THRUST_200600_302600_NS6detail15normal_iteratorINS9_10device_ptrIxEEEESE_SE_iNS9_4plusIvEENS9_8equal_toIvEEiEE10hipError_tPvRmT2_T3_T4_T5_mT6_T7_P12ihipStream_tbENKUlT_T0_E_clISt17integral_constantIbLb0EESZ_EEDaSU_SV_EUlSU_E_NS1_11comp_targetILNS1_3genE5ELNS1_11target_archE942ELNS1_3gpuE9ELNS1_3repE0EEENS1_30default_config_static_selectorELNS0_4arch9wavefront6targetE0EEEvT1_, .Lfunc_end1004-_ZN7rocprim17ROCPRIM_400000_NS6detail17trampoline_kernelINS0_14default_configENS1_27scan_by_key_config_selectorIxiEEZZNS1_16scan_by_key_implILNS1_25lookback_scan_determinismE0ELb1ES3_N6thrust23THRUST_200600_302600_NS6detail15normal_iteratorINS9_10device_ptrIxEEEESE_SE_iNS9_4plusIvEENS9_8equal_toIvEEiEE10hipError_tPvRmT2_T3_T4_T5_mT6_T7_P12ihipStream_tbENKUlT_T0_E_clISt17integral_constantIbLb0EESZ_EEDaSU_SV_EUlSU_E_NS1_11comp_targetILNS1_3genE5ELNS1_11target_archE942ELNS1_3gpuE9ELNS1_3repE0EEENS1_30default_config_static_selectorELNS0_4arch9wavefront6targetE0EEEvT1_
                                        ; -- End function
	.set _ZN7rocprim17ROCPRIM_400000_NS6detail17trampoline_kernelINS0_14default_configENS1_27scan_by_key_config_selectorIxiEEZZNS1_16scan_by_key_implILNS1_25lookback_scan_determinismE0ELb1ES3_N6thrust23THRUST_200600_302600_NS6detail15normal_iteratorINS9_10device_ptrIxEEEESE_SE_iNS9_4plusIvEENS9_8equal_toIvEEiEE10hipError_tPvRmT2_T3_T4_T5_mT6_T7_P12ihipStream_tbENKUlT_T0_E_clISt17integral_constantIbLb0EESZ_EEDaSU_SV_EUlSU_E_NS1_11comp_targetILNS1_3genE5ELNS1_11target_archE942ELNS1_3gpuE9ELNS1_3repE0EEENS1_30default_config_static_selectorELNS0_4arch9wavefront6targetE0EEEvT1_.num_vgpr, 0
	.set _ZN7rocprim17ROCPRIM_400000_NS6detail17trampoline_kernelINS0_14default_configENS1_27scan_by_key_config_selectorIxiEEZZNS1_16scan_by_key_implILNS1_25lookback_scan_determinismE0ELb1ES3_N6thrust23THRUST_200600_302600_NS6detail15normal_iteratorINS9_10device_ptrIxEEEESE_SE_iNS9_4plusIvEENS9_8equal_toIvEEiEE10hipError_tPvRmT2_T3_T4_T5_mT6_T7_P12ihipStream_tbENKUlT_T0_E_clISt17integral_constantIbLb0EESZ_EEDaSU_SV_EUlSU_E_NS1_11comp_targetILNS1_3genE5ELNS1_11target_archE942ELNS1_3gpuE9ELNS1_3repE0EEENS1_30default_config_static_selectorELNS0_4arch9wavefront6targetE0EEEvT1_.num_agpr, 0
	.set _ZN7rocprim17ROCPRIM_400000_NS6detail17trampoline_kernelINS0_14default_configENS1_27scan_by_key_config_selectorIxiEEZZNS1_16scan_by_key_implILNS1_25lookback_scan_determinismE0ELb1ES3_N6thrust23THRUST_200600_302600_NS6detail15normal_iteratorINS9_10device_ptrIxEEEESE_SE_iNS9_4plusIvEENS9_8equal_toIvEEiEE10hipError_tPvRmT2_T3_T4_T5_mT6_T7_P12ihipStream_tbENKUlT_T0_E_clISt17integral_constantIbLb0EESZ_EEDaSU_SV_EUlSU_E_NS1_11comp_targetILNS1_3genE5ELNS1_11target_archE942ELNS1_3gpuE9ELNS1_3repE0EEENS1_30default_config_static_selectorELNS0_4arch9wavefront6targetE0EEEvT1_.numbered_sgpr, 0
	.set _ZN7rocprim17ROCPRIM_400000_NS6detail17trampoline_kernelINS0_14default_configENS1_27scan_by_key_config_selectorIxiEEZZNS1_16scan_by_key_implILNS1_25lookback_scan_determinismE0ELb1ES3_N6thrust23THRUST_200600_302600_NS6detail15normal_iteratorINS9_10device_ptrIxEEEESE_SE_iNS9_4plusIvEENS9_8equal_toIvEEiEE10hipError_tPvRmT2_T3_T4_T5_mT6_T7_P12ihipStream_tbENKUlT_T0_E_clISt17integral_constantIbLb0EESZ_EEDaSU_SV_EUlSU_E_NS1_11comp_targetILNS1_3genE5ELNS1_11target_archE942ELNS1_3gpuE9ELNS1_3repE0EEENS1_30default_config_static_selectorELNS0_4arch9wavefront6targetE0EEEvT1_.num_named_barrier, 0
	.set _ZN7rocprim17ROCPRIM_400000_NS6detail17trampoline_kernelINS0_14default_configENS1_27scan_by_key_config_selectorIxiEEZZNS1_16scan_by_key_implILNS1_25lookback_scan_determinismE0ELb1ES3_N6thrust23THRUST_200600_302600_NS6detail15normal_iteratorINS9_10device_ptrIxEEEESE_SE_iNS9_4plusIvEENS9_8equal_toIvEEiEE10hipError_tPvRmT2_T3_T4_T5_mT6_T7_P12ihipStream_tbENKUlT_T0_E_clISt17integral_constantIbLb0EESZ_EEDaSU_SV_EUlSU_E_NS1_11comp_targetILNS1_3genE5ELNS1_11target_archE942ELNS1_3gpuE9ELNS1_3repE0EEENS1_30default_config_static_selectorELNS0_4arch9wavefront6targetE0EEEvT1_.private_seg_size, 0
	.set _ZN7rocprim17ROCPRIM_400000_NS6detail17trampoline_kernelINS0_14default_configENS1_27scan_by_key_config_selectorIxiEEZZNS1_16scan_by_key_implILNS1_25lookback_scan_determinismE0ELb1ES3_N6thrust23THRUST_200600_302600_NS6detail15normal_iteratorINS9_10device_ptrIxEEEESE_SE_iNS9_4plusIvEENS9_8equal_toIvEEiEE10hipError_tPvRmT2_T3_T4_T5_mT6_T7_P12ihipStream_tbENKUlT_T0_E_clISt17integral_constantIbLb0EESZ_EEDaSU_SV_EUlSU_E_NS1_11comp_targetILNS1_3genE5ELNS1_11target_archE942ELNS1_3gpuE9ELNS1_3repE0EEENS1_30default_config_static_selectorELNS0_4arch9wavefront6targetE0EEEvT1_.uses_vcc, 0
	.set _ZN7rocprim17ROCPRIM_400000_NS6detail17trampoline_kernelINS0_14default_configENS1_27scan_by_key_config_selectorIxiEEZZNS1_16scan_by_key_implILNS1_25lookback_scan_determinismE0ELb1ES3_N6thrust23THRUST_200600_302600_NS6detail15normal_iteratorINS9_10device_ptrIxEEEESE_SE_iNS9_4plusIvEENS9_8equal_toIvEEiEE10hipError_tPvRmT2_T3_T4_T5_mT6_T7_P12ihipStream_tbENKUlT_T0_E_clISt17integral_constantIbLb0EESZ_EEDaSU_SV_EUlSU_E_NS1_11comp_targetILNS1_3genE5ELNS1_11target_archE942ELNS1_3gpuE9ELNS1_3repE0EEENS1_30default_config_static_selectorELNS0_4arch9wavefront6targetE0EEEvT1_.uses_flat_scratch, 0
	.set _ZN7rocprim17ROCPRIM_400000_NS6detail17trampoline_kernelINS0_14default_configENS1_27scan_by_key_config_selectorIxiEEZZNS1_16scan_by_key_implILNS1_25lookback_scan_determinismE0ELb1ES3_N6thrust23THRUST_200600_302600_NS6detail15normal_iteratorINS9_10device_ptrIxEEEESE_SE_iNS9_4plusIvEENS9_8equal_toIvEEiEE10hipError_tPvRmT2_T3_T4_T5_mT6_T7_P12ihipStream_tbENKUlT_T0_E_clISt17integral_constantIbLb0EESZ_EEDaSU_SV_EUlSU_E_NS1_11comp_targetILNS1_3genE5ELNS1_11target_archE942ELNS1_3gpuE9ELNS1_3repE0EEENS1_30default_config_static_selectorELNS0_4arch9wavefront6targetE0EEEvT1_.has_dyn_sized_stack, 0
	.set _ZN7rocprim17ROCPRIM_400000_NS6detail17trampoline_kernelINS0_14default_configENS1_27scan_by_key_config_selectorIxiEEZZNS1_16scan_by_key_implILNS1_25lookback_scan_determinismE0ELb1ES3_N6thrust23THRUST_200600_302600_NS6detail15normal_iteratorINS9_10device_ptrIxEEEESE_SE_iNS9_4plusIvEENS9_8equal_toIvEEiEE10hipError_tPvRmT2_T3_T4_T5_mT6_T7_P12ihipStream_tbENKUlT_T0_E_clISt17integral_constantIbLb0EESZ_EEDaSU_SV_EUlSU_E_NS1_11comp_targetILNS1_3genE5ELNS1_11target_archE942ELNS1_3gpuE9ELNS1_3repE0EEENS1_30default_config_static_selectorELNS0_4arch9wavefront6targetE0EEEvT1_.has_recursion, 0
	.set _ZN7rocprim17ROCPRIM_400000_NS6detail17trampoline_kernelINS0_14default_configENS1_27scan_by_key_config_selectorIxiEEZZNS1_16scan_by_key_implILNS1_25lookback_scan_determinismE0ELb1ES3_N6thrust23THRUST_200600_302600_NS6detail15normal_iteratorINS9_10device_ptrIxEEEESE_SE_iNS9_4plusIvEENS9_8equal_toIvEEiEE10hipError_tPvRmT2_T3_T4_T5_mT6_T7_P12ihipStream_tbENKUlT_T0_E_clISt17integral_constantIbLb0EESZ_EEDaSU_SV_EUlSU_E_NS1_11comp_targetILNS1_3genE5ELNS1_11target_archE942ELNS1_3gpuE9ELNS1_3repE0EEENS1_30default_config_static_selectorELNS0_4arch9wavefront6targetE0EEEvT1_.has_indirect_call, 0
	.section	.AMDGPU.csdata,"",@progbits
; Kernel info:
; codeLenInByte = 0
; TotalNumSgprs: 0
; NumVgprs: 0
; ScratchSize: 0
; MemoryBound: 0
; FloatMode: 240
; IeeeMode: 1
; LDSByteSize: 0 bytes/workgroup (compile time only)
; SGPRBlocks: 0
; VGPRBlocks: 0
; NumSGPRsForWavesPerEU: 1
; NumVGPRsForWavesPerEU: 1
; NamedBarCnt: 0
; Occupancy: 16
; WaveLimiterHint : 0
; COMPUTE_PGM_RSRC2:SCRATCH_EN: 0
; COMPUTE_PGM_RSRC2:USER_SGPR: 2
; COMPUTE_PGM_RSRC2:TRAP_HANDLER: 0
; COMPUTE_PGM_RSRC2:TGID_X_EN: 1
; COMPUTE_PGM_RSRC2:TGID_Y_EN: 0
; COMPUTE_PGM_RSRC2:TGID_Z_EN: 0
; COMPUTE_PGM_RSRC2:TIDIG_COMP_CNT: 0
	.section	.text._ZN7rocprim17ROCPRIM_400000_NS6detail17trampoline_kernelINS0_14default_configENS1_27scan_by_key_config_selectorIxiEEZZNS1_16scan_by_key_implILNS1_25lookback_scan_determinismE0ELb1ES3_N6thrust23THRUST_200600_302600_NS6detail15normal_iteratorINS9_10device_ptrIxEEEESE_SE_iNS9_4plusIvEENS9_8equal_toIvEEiEE10hipError_tPvRmT2_T3_T4_T5_mT6_T7_P12ihipStream_tbENKUlT_T0_E_clISt17integral_constantIbLb0EESZ_EEDaSU_SV_EUlSU_E_NS1_11comp_targetILNS1_3genE4ELNS1_11target_archE910ELNS1_3gpuE8ELNS1_3repE0EEENS1_30default_config_static_selectorELNS0_4arch9wavefront6targetE0EEEvT1_,"axG",@progbits,_ZN7rocprim17ROCPRIM_400000_NS6detail17trampoline_kernelINS0_14default_configENS1_27scan_by_key_config_selectorIxiEEZZNS1_16scan_by_key_implILNS1_25lookback_scan_determinismE0ELb1ES3_N6thrust23THRUST_200600_302600_NS6detail15normal_iteratorINS9_10device_ptrIxEEEESE_SE_iNS9_4plusIvEENS9_8equal_toIvEEiEE10hipError_tPvRmT2_T3_T4_T5_mT6_T7_P12ihipStream_tbENKUlT_T0_E_clISt17integral_constantIbLb0EESZ_EEDaSU_SV_EUlSU_E_NS1_11comp_targetILNS1_3genE4ELNS1_11target_archE910ELNS1_3gpuE8ELNS1_3repE0EEENS1_30default_config_static_selectorELNS0_4arch9wavefront6targetE0EEEvT1_,comdat
	.protected	_ZN7rocprim17ROCPRIM_400000_NS6detail17trampoline_kernelINS0_14default_configENS1_27scan_by_key_config_selectorIxiEEZZNS1_16scan_by_key_implILNS1_25lookback_scan_determinismE0ELb1ES3_N6thrust23THRUST_200600_302600_NS6detail15normal_iteratorINS9_10device_ptrIxEEEESE_SE_iNS9_4plusIvEENS9_8equal_toIvEEiEE10hipError_tPvRmT2_T3_T4_T5_mT6_T7_P12ihipStream_tbENKUlT_T0_E_clISt17integral_constantIbLb0EESZ_EEDaSU_SV_EUlSU_E_NS1_11comp_targetILNS1_3genE4ELNS1_11target_archE910ELNS1_3gpuE8ELNS1_3repE0EEENS1_30default_config_static_selectorELNS0_4arch9wavefront6targetE0EEEvT1_ ; -- Begin function _ZN7rocprim17ROCPRIM_400000_NS6detail17trampoline_kernelINS0_14default_configENS1_27scan_by_key_config_selectorIxiEEZZNS1_16scan_by_key_implILNS1_25lookback_scan_determinismE0ELb1ES3_N6thrust23THRUST_200600_302600_NS6detail15normal_iteratorINS9_10device_ptrIxEEEESE_SE_iNS9_4plusIvEENS9_8equal_toIvEEiEE10hipError_tPvRmT2_T3_T4_T5_mT6_T7_P12ihipStream_tbENKUlT_T0_E_clISt17integral_constantIbLb0EESZ_EEDaSU_SV_EUlSU_E_NS1_11comp_targetILNS1_3genE4ELNS1_11target_archE910ELNS1_3gpuE8ELNS1_3repE0EEENS1_30default_config_static_selectorELNS0_4arch9wavefront6targetE0EEEvT1_
	.globl	_ZN7rocprim17ROCPRIM_400000_NS6detail17trampoline_kernelINS0_14default_configENS1_27scan_by_key_config_selectorIxiEEZZNS1_16scan_by_key_implILNS1_25lookback_scan_determinismE0ELb1ES3_N6thrust23THRUST_200600_302600_NS6detail15normal_iteratorINS9_10device_ptrIxEEEESE_SE_iNS9_4plusIvEENS9_8equal_toIvEEiEE10hipError_tPvRmT2_T3_T4_T5_mT6_T7_P12ihipStream_tbENKUlT_T0_E_clISt17integral_constantIbLb0EESZ_EEDaSU_SV_EUlSU_E_NS1_11comp_targetILNS1_3genE4ELNS1_11target_archE910ELNS1_3gpuE8ELNS1_3repE0EEENS1_30default_config_static_selectorELNS0_4arch9wavefront6targetE0EEEvT1_
	.p2align	8
	.type	_ZN7rocprim17ROCPRIM_400000_NS6detail17trampoline_kernelINS0_14default_configENS1_27scan_by_key_config_selectorIxiEEZZNS1_16scan_by_key_implILNS1_25lookback_scan_determinismE0ELb1ES3_N6thrust23THRUST_200600_302600_NS6detail15normal_iteratorINS9_10device_ptrIxEEEESE_SE_iNS9_4plusIvEENS9_8equal_toIvEEiEE10hipError_tPvRmT2_T3_T4_T5_mT6_T7_P12ihipStream_tbENKUlT_T0_E_clISt17integral_constantIbLb0EESZ_EEDaSU_SV_EUlSU_E_NS1_11comp_targetILNS1_3genE4ELNS1_11target_archE910ELNS1_3gpuE8ELNS1_3repE0EEENS1_30default_config_static_selectorELNS0_4arch9wavefront6targetE0EEEvT1_,@function
_ZN7rocprim17ROCPRIM_400000_NS6detail17trampoline_kernelINS0_14default_configENS1_27scan_by_key_config_selectorIxiEEZZNS1_16scan_by_key_implILNS1_25lookback_scan_determinismE0ELb1ES3_N6thrust23THRUST_200600_302600_NS6detail15normal_iteratorINS9_10device_ptrIxEEEESE_SE_iNS9_4plusIvEENS9_8equal_toIvEEiEE10hipError_tPvRmT2_T3_T4_T5_mT6_T7_P12ihipStream_tbENKUlT_T0_E_clISt17integral_constantIbLb0EESZ_EEDaSU_SV_EUlSU_E_NS1_11comp_targetILNS1_3genE4ELNS1_11target_archE910ELNS1_3gpuE8ELNS1_3repE0EEENS1_30default_config_static_selectorELNS0_4arch9wavefront6targetE0EEEvT1_: ; @_ZN7rocprim17ROCPRIM_400000_NS6detail17trampoline_kernelINS0_14default_configENS1_27scan_by_key_config_selectorIxiEEZZNS1_16scan_by_key_implILNS1_25lookback_scan_determinismE0ELb1ES3_N6thrust23THRUST_200600_302600_NS6detail15normal_iteratorINS9_10device_ptrIxEEEESE_SE_iNS9_4plusIvEENS9_8equal_toIvEEiEE10hipError_tPvRmT2_T3_T4_T5_mT6_T7_P12ihipStream_tbENKUlT_T0_E_clISt17integral_constantIbLb0EESZ_EEDaSU_SV_EUlSU_E_NS1_11comp_targetILNS1_3genE4ELNS1_11target_archE910ELNS1_3gpuE8ELNS1_3repE0EEENS1_30default_config_static_selectorELNS0_4arch9wavefront6targetE0EEEvT1_
; %bb.0:
	.section	.rodata,"a",@progbits
	.p2align	6, 0x0
	.amdhsa_kernel _ZN7rocprim17ROCPRIM_400000_NS6detail17trampoline_kernelINS0_14default_configENS1_27scan_by_key_config_selectorIxiEEZZNS1_16scan_by_key_implILNS1_25lookback_scan_determinismE0ELb1ES3_N6thrust23THRUST_200600_302600_NS6detail15normal_iteratorINS9_10device_ptrIxEEEESE_SE_iNS9_4plusIvEENS9_8equal_toIvEEiEE10hipError_tPvRmT2_T3_T4_T5_mT6_T7_P12ihipStream_tbENKUlT_T0_E_clISt17integral_constantIbLb0EESZ_EEDaSU_SV_EUlSU_E_NS1_11comp_targetILNS1_3genE4ELNS1_11target_archE910ELNS1_3gpuE8ELNS1_3repE0EEENS1_30default_config_static_selectorELNS0_4arch9wavefront6targetE0EEEvT1_
		.amdhsa_group_segment_fixed_size 0
		.amdhsa_private_segment_fixed_size 0
		.amdhsa_kernarg_size 112
		.amdhsa_user_sgpr_count 2
		.amdhsa_user_sgpr_dispatch_ptr 0
		.amdhsa_user_sgpr_queue_ptr 0
		.amdhsa_user_sgpr_kernarg_segment_ptr 1
		.amdhsa_user_sgpr_dispatch_id 0
		.amdhsa_user_sgpr_kernarg_preload_length 0
		.amdhsa_user_sgpr_kernarg_preload_offset 0
		.amdhsa_user_sgpr_private_segment_size 0
		.amdhsa_wavefront_size32 1
		.amdhsa_uses_dynamic_stack 0
		.amdhsa_enable_private_segment 0
		.amdhsa_system_sgpr_workgroup_id_x 1
		.amdhsa_system_sgpr_workgroup_id_y 0
		.amdhsa_system_sgpr_workgroup_id_z 0
		.amdhsa_system_sgpr_workgroup_info 0
		.amdhsa_system_vgpr_workitem_id 0
		.amdhsa_next_free_vgpr 1
		.amdhsa_next_free_sgpr 1
		.amdhsa_named_barrier_count 0
		.amdhsa_reserve_vcc 0
		.amdhsa_float_round_mode_32 0
		.amdhsa_float_round_mode_16_64 0
		.amdhsa_float_denorm_mode_32 3
		.amdhsa_float_denorm_mode_16_64 3
		.amdhsa_fp16_overflow 0
		.amdhsa_memory_ordered 1
		.amdhsa_forward_progress 1
		.amdhsa_inst_pref_size 0
		.amdhsa_round_robin_scheduling 0
		.amdhsa_exception_fp_ieee_invalid_op 0
		.amdhsa_exception_fp_denorm_src 0
		.amdhsa_exception_fp_ieee_div_zero 0
		.amdhsa_exception_fp_ieee_overflow 0
		.amdhsa_exception_fp_ieee_underflow 0
		.amdhsa_exception_fp_ieee_inexact 0
		.amdhsa_exception_int_div_zero 0
	.end_amdhsa_kernel
	.section	.text._ZN7rocprim17ROCPRIM_400000_NS6detail17trampoline_kernelINS0_14default_configENS1_27scan_by_key_config_selectorIxiEEZZNS1_16scan_by_key_implILNS1_25lookback_scan_determinismE0ELb1ES3_N6thrust23THRUST_200600_302600_NS6detail15normal_iteratorINS9_10device_ptrIxEEEESE_SE_iNS9_4plusIvEENS9_8equal_toIvEEiEE10hipError_tPvRmT2_T3_T4_T5_mT6_T7_P12ihipStream_tbENKUlT_T0_E_clISt17integral_constantIbLb0EESZ_EEDaSU_SV_EUlSU_E_NS1_11comp_targetILNS1_3genE4ELNS1_11target_archE910ELNS1_3gpuE8ELNS1_3repE0EEENS1_30default_config_static_selectorELNS0_4arch9wavefront6targetE0EEEvT1_,"axG",@progbits,_ZN7rocprim17ROCPRIM_400000_NS6detail17trampoline_kernelINS0_14default_configENS1_27scan_by_key_config_selectorIxiEEZZNS1_16scan_by_key_implILNS1_25lookback_scan_determinismE0ELb1ES3_N6thrust23THRUST_200600_302600_NS6detail15normal_iteratorINS9_10device_ptrIxEEEESE_SE_iNS9_4plusIvEENS9_8equal_toIvEEiEE10hipError_tPvRmT2_T3_T4_T5_mT6_T7_P12ihipStream_tbENKUlT_T0_E_clISt17integral_constantIbLb0EESZ_EEDaSU_SV_EUlSU_E_NS1_11comp_targetILNS1_3genE4ELNS1_11target_archE910ELNS1_3gpuE8ELNS1_3repE0EEENS1_30default_config_static_selectorELNS0_4arch9wavefront6targetE0EEEvT1_,comdat
.Lfunc_end1005:
	.size	_ZN7rocprim17ROCPRIM_400000_NS6detail17trampoline_kernelINS0_14default_configENS1_27scan_by_key_config_selectorIxiEEZZNS1_16scan_by_key_implILNS1_25lookback_scan_determinismE0ELb1ES3_N6thrust23THRUST_200600_302600_NS6detail15normal_iteratorINS9_10device_ptrIxEEEESE_SE_iNS9_4plusIvEENS9_8equal_toIvEEiEE10hipError_tPvRmT2_T3_T4_T5_mT6_T7_P12ihipStream_tbENKUlT_T0_E_clISt17integral_constantIbLb0EESZ_EEDaSU_SV_EUlSU_E_NS1_11comp_targetILNS1_3genE4ELNS1_11target_archE910ELNS1_3gpuE8ELNS1_3repE0EEENS1_30default_config_static_selectorELNS0_4arch9wavefront6targetE0EEEvT1_, .Lfunc_end1005-_ZN7rocprim17ROCPRIM_400000_NS6detail17trampoline_kernelINS0_14default_configENS1_27scan_by_key_config_selectorIxiEEZZNS1_16scan_by_key_implILNS1_25lookback_scan_determinismE0ELb1ES3_N6thrust23THRUST_200600_302600_NS6detail15normal_iteratorINS9_10device_ptrIxEEEESE_SE_iNS9_4plusIvEENS9_8equal_toIvEEiEE10hipError_tPvRmT2_T3_T4_T5_mT6_T7_P12ihipStream_tbENKUlT_T0_E_clISt17integral_constantIbLb0EESZ_EEDaSU_SV_EUlSU_E_NS1_11comp_targetILNS1_3genE4ELNS1_11target_archE910ELNS1_3gpuE8ELNS1_3repE0EEENS1_30default_config_static_selectorELNS0_4arch9wavefront6targetE0EEEvT1_
                                        ; -- End function
	.set _ZN7rocprim17ROCPRIM_400000_NS6detail17trampoline_kernelINS0_14default_configENS1_27scan_by_key_config_selectorIxiEEZZNS1_16scan_by_key_implILNS1_25lookback_scan_determinismE0ELb1ES3_N6thrust23THRUST_200600_302600_NS6detail15normal_iteratorINS9_10device_ptrIxEEEESE_SE_iNS9_4plusIvEENS9_8equal_toIvEEiEE10hipError_tPvRmT2_T3_T4_T5_mT6_T7_P12ihipStream_tbENKUlT_T0_E_clISt17integral_constantIbLb0EESZ_EEDaSU_SV_EUlSU_E_NS1_11comp_targetILNS1_3genE4ELNS1_11target_archE910ELNS1_3gpuE8ELNS1_3repE0EEENS1_30default_config_static_selectorELNS0_4arch9wavefront6targetE0EEEvT1_.num_vgpr, 0
	.set _ZN7rocprim17ROCPRIM_400000_NS6detail17trampoline_kernelINS0_14default_configENS1_27scan_by_key_config_selectorIxiEEZZNS1_16scan_by_key_implILNS1_25lookback_scan_determinismE0ELb1ES3_N6thrust23THRUST_200600_302600_NS6detail15normal_iteratorINS9_10device_ptrIxEEEESE_SE_iNS9_4plusIvEENS9_8equal_toIvEEiEE10hipError_tPvRmT2_T3_T4_T5_mT6_T7_P12ihipStream_tbENKUlT_T0_E_clISt17integral_constantIbLb0EESZ_EEDaSU_SV_EUlSU_E_NS1_11comp_targetILNS1_3genE4ELNS1_11target_archE910ELNS1_3gpuE8ELNS1_3repE0EEENS1_30default_config_static_selectorELNS0_4arch9wavefront6targetE0EEEvT1_.num_agpr, 0
	.set _ZN7rocprim17ROCPRIM_400000_NS6detail17trampoline_kernelINS0_14default_configENS1_27scan_by_key_config_selectorIxiEEZZNS1_16scan_by_key_implILNS1_25lookback_scan_determinismE0ELb1ES3_N6thrust23THRUST_200600_302600_NS6detail15normal_iteratorINS9_10device_ptrIxEEEESE_SE_iNS9_4plusIvEENS9_8equal_toIvEEiEE10hipError_tPvRmT2_T3_T4_T5_mT6_T7_P12ihipStream_tbENKUlT_T0_E_clISt17integral_constantIbLb0EESZ_EEDaSU_SV_EUlSU_E_NS1_11comp_targetILNS1_3genE4ELNS1_11target_archE910ELNS1_3gpuE8ELNS1_3repE0EEENS1_30default_config_static_selectorELNS0_4arch9wavefront6targetE0EEEvT1_.numbered_sgpr, 0
	.set _ZN7rocprim17ROCPRIM_400000_NS6detail17trampoline_kernelINS0_14default_configENS1_27scan_by_key_config_selectorIxiEEZZNS1_16scan_by_key_implILNS1_25lookback_scan_determinismE0ELb1ES3_N6thrust23THRUST_200600_302600_NS6detail15normal_iteratorINS9_10device_ptrIxEEEESE_SE_iNS9_4plusIvEENS9_8equal_toIvEEiEE10hipError_tPvRmT2_T3_T4_T5_mT6_T7_P12ihipStream_tbENKUlT_T0_E_clISt17integral_constantIbLb0EESZ_EEDaSU_SV_EUlSU_E_NS1_11comp_targetILNS1_3genE4ELNS1_11target_archE910ELNS1_3gpuE8ELNS1_3repE0EEENS1_30default_config_static_selectorELNS0_4arch9wavefront6targetE0EEEvT1_.num_named_barrier, 0
	.set _ZN7rocprim17ROCPRIM_400000_NS6detail17trampoline_kernelINS0_14default_configENS1_27scan_by_key_config_selectorIxiEEZZNS1_16scan_by_key_implILNS1_25lookback_scan_determinismE0ELb1ES3_N6thrust23THRUST_200600_302600_NS6detail15normal_iteratorINS9_10device_ptrIxEEEESE_SE_iNS9_4plusIvEENS9_8equal_toIvEEiEE10hipError_tPvRmT2_T3_T4_T5_mT6_T7_P12ihipStream_tbENKUlT_T0_E_clISt17integral_constantIbLb0EESZ_EEDaSU_SV_EUlSU_E_NS1_11comp_targetILNS1_3genE4ELNS1_11target_archE910ELNS1_3gpuE8ELNS1_3repE0EEENS1_30default_config_static_selectorELNS0_4arch9wavefront6targetE0EEEvT1_.private_seg_size, 0
	.set _ZN7rocprim17ROCPRIM_400000_NS6detail17trampoline_kernelINS0_14default_configENS1_27scan_by_key_config_selectorIxiEEZZNS1_16scan_by_key_implILNS1_25lookback_scan_determinismE0ELb1ES3_N6thrust23THRUST_200600_302600_NS6detail15normal_iteratorINS9_10device_ptrIxEEEESE_SE_iNS9_4plusIvEENS9_8equal_toIvEEiEE10hipError_tPvRmT2_T3_T4_T5_mT6_T7_P12ihipStream_tbENKUlT_T0_E_clISt17integral_constantIbLb0EESZ_EEDaSU_SV_EUlSU_E_NS1_11comp_targetILNS1_3genE4ELNS1_11target_archE910ELNS1_3gpuE8ELNS1_3repE0EEENS1_30default_config_static_selectorELNS0_4arch9wavefront6targetE0EEEvT1_.uses_vcc, 0
	.set _ZN7rocprim17ROCPRIM_400000_NS6detail17trampoline_kernelINS0_14default_configENS1_27scan_by_key_config_selectorIxiEEZZNS1_16scan_by_key_implILNS1_25lookback_scan_determinismE0ELb1ES3_N6thrust23THRUST_200600_302600_NS6detail15normal_iteratorINS9_10device_ptrIxEEEESE_SE_iNS9_4plusIvEENS9_8equal_toIvEEiEE10hipError_tPvRmT2_T3_T4_T5_mT6_T7_P12ihipStream_tbENKUlT_T0_E_clISt17integral_constantIbLb0EESZ_EEDaSU_SV_EUlSU_E_NS1_11comp_targetILNS1_3genE4ELNS1_11target_archE910ELNS1_3gpuE8ELNS1_3repE0EEENS1_30default_config_static_selectorELNS0_4arch9wavefront6targetE0EEEvT1_.uses_flat_scratch, 0
	.set _ZN7rocprim17ROCPRIM_400000_NS6detail17trampoline_kernelINS0_14default_configENS1_27scan_by_key_config_selectorIxiEEZZNS1_16scan_by_key_implILNS1_25lookback_scan_determinismE0ELb1ES3_N6thrust23THRUST_200600_302600_NS6detail15normal_iteratorINS9_10device_ptrIxEEEESE_SE_iNS9_4plusIvEENS9_8equal_toIvEEiEE10hipError_tPvRmT2_T3_T4_T5_mT6_T7_P12ihipStream_tbENKUlT_T0_E_clISt17integral_constantIbLb0EESZ_EEDaSU_SV_EUlSU_E_NS1_11comp_targetILNS1_3genE4ELNS1_11target_archE910ELNS1_3gpuE8ELNS1_3repE0EEENS1_30default_config_static_selectorELNS0_4arch9wavefront6targetE0EEEvT1_.has_dyn_sized_stack, 0
	.set _ZN7rocprim17ROCPRIM_400000_NS6detail17trampoline_kernelINS0_14default_configENS1_27scan_by_key_config_selectorIxiEEZZNS1_16scan_by_key_implILNS1_25lookback_scan_determinismE0ELb1ES3_N6thrust23THRUST_200600_302600_NS6detail15normal_iteratorINS9_10device_ptrIxEEEESE_SE_iNS9_4plusIvEENS9_8equal_toIvEEiEE10hipError_tPvRmT2_T3_T4_T5_mT6_T7_P12ihipStream_tbENKUlT_T0_E_clISt17integral_constantIbLb0EESZ_EEDaSU_SV_EUlSU_E_NS1_11comp_targetILNS1_3genE4ELNS1_11target_archE910ELNS1_3gpuE8ELNS1_3repE0EEENS1_30default_config_static_selectorELNS0_4arch9wavefront6targetE0EEEvT1_.has_recursion, 0
	.set _ZN7rocprim17ROCPRIM_400000_NS6detail17trampoline_kernelINS0_14default_configENS1_27scan_by_key_config_selectorIxiEEZZNS1_16scan_by_key_implILNS1_25lookback_scan_determinismE0ELb1ES3_N6thrust23THRUST_200600_302600_NS6detail15normal_iteratorINS9_10device_ptrIxEEEESE_SE_iNS9_4plusIvEENS9_8equal_toIvEEiEE10hipError_tPvRmT2_T3_T4_T5_mT6_T7_P12ihipStream_tbENKUlT_T0_E_clISt17integral_constantIbLb0EESZ_EEDaSU_SV_EUlSU_E_NS1_11comp_targetILNS1_3genE4ELNS1_11target_archE910ELNS1_3gpuE8ELNS1_3repE0EEENS1_30default_config_static_selectorELNS0_4arch9wavefront6targetE0EEEvT1_.has_indirect_call, 0
	.section	.AMDGPU.csdata,"",@progbits
; Kernel info:
; codeLenInByte = 0
; TotalNumSgprs: 0
; NumVgprs: 0
; ScratchSize: 0
; MemoryBound: 0
; FloatMode: 240
; IeeeMode: 1
; LDSByteSize: 0 bytes/workgroup (compile time only)
; SGPRBlocks: 0
; VGPRBlocks: 0
; NumSGPRsForWavesPerEU: 1
; NumVGPRsForWavesPerEU: 1
; NamedBarCnt: 0
; Occupancy: 16
; WaveLimiterHint : 0
; COMPUTE_PGM_RSRC2:SCRATCH_EN: 0
; COMPUTE_PGM_RSRC2:USER_SGPR: 2
; COMPUTE_PGM_RSRC2:TRAP_HANDLER: 0
; COMPUTE_PGM_RSRC2:TGID_X_EN: 1
; COMPUTE_PGM_RSRC2:TGID_Y_EN: 0
; COMPUTE_PGM_RSRC2:TGID_Z_EN: 0
; COMPUTE_PGM_RSRC2:TIDIG_COMP_CNT: 0
	.section	.text._ZN7rocprim17ROCPRIM_400000_NS6detail17trampoline_kernelINS0_14default_configENS1_27scan_by_key_config_selectorIxiEEZZNS1_16scan_by_key_implILNS1_25lookback_scan_determinismE0ELb1ES3_N6thrust23THRUST_200600_302600_NS6detail15normal_iteratorINS9_10device_ptrIxEEEESE_SE_iNS9_4plusIvEENS9_8equal_toIvEEiEE10hipError_tPvRmT2_T3_T4_T5_mT6_T7_P12ihipStream_tbENKUlT_T0_E_clISt17integral_constantIbLb0EESZ_EEDaSU_SV_EUlSU_E_NS1_11comp_targetILNS1_3genE3ELNS1_11target_archE908ELNS1_3gpuE7ELNS1_3repE0EEENS1_30default_config_static_selectorELNS0_4arch9wavefront6targetE0EEEvT1_,"axG",@progbits,_ZN7rocprim17ROCPRIM_400000_NS6detail17trampoline_kernelINS0_14default_configENS1_27scan_by_key_config_selectorIxiEEZZNS1_16scan_by_key_implILNS1_25lookback_scan_determinismE0ELb1ES3_N6thrust23THRUST_200600_302600_NS6detail15normal_iteratorINS9_10device_ptrIxEEEESE_SE_iNS9_4plusIvEENS9_8equal_toIvEEiEE10hipError_tPvRmT2_T3_T4_T5_mT6_T7_P12ihipStream_tbENKUlT_T0_E_clISt17integral_constantIbLb0EESZ_EEDaSU_SV_EUlSU_E_NS1_11comp_targetILNS1_3genE3ELNS1_11target_archE908ELNS1_3gpuE7ELNS1_3repE0EEENS1_30default_config_static_selectorELNS0_4arch9wavefront6targetE0EEEvT1_,comdat
	.protected	_ZN7rocprim17ROCPRIM_400000_NS6detail17trampoline_kernelINS0_14default_configENS1_27scan_by_key_config_selectorIxiEEZZNS1_16scan_by_key_implILNS1_25lookback_scan_determinismE0ELb1ES3_N6thrust23THRUST_200600_302600_NS6detail15normal_iteratorINS9_10device_ptrIxEEEESE_SE_iNS9_4plusIvEENS9_8equal_toIvEEiEE10hipError_tPvRmT2_T3_T4_T5_mT6_T7_P12ihipStream_tbENKUlT_T0_E_clISt17integral_constantIbLb0EESZ_EEDaSU_SV_EUlSU_E_NS1_11comp_targetILNS1_3genE3ELNS1_11target_archE908ELNS1_3gpuE7ELNS1_3repE0EEENS1_30default_config_static_selectorELNS0_4arch9wavefront6targetE0EEEvT1_ ; -- Begin function _ZN7rocprim17ROCPRIM_400000_NS6detail17trampoline_kernelINS0_14default_configENS1_27scan_by_key_config_selectorIxiEEZZNS1_16scan_by_key_implILNS1_25lookback_scan_determinismE0ELb1ES3_N6thrust23THRUST_200600_302600_NS6detail15normal_iteratorINS9_10device_ptrIxEEEESE_SE_iNS9_4plusIvEENS9_8equal_toIvEEiEE10hipError_tPvRmT2_T3_T4_T5_mT6_T7_P12ihipStream_tbENKUlT_T0_E_clISt17integral_constantIbLb0EESZ_EEDaSU_SV_EUlSU_E_NS1_11comp_targetILNS1_3genE3ELNS1_11target_archE908ELNS1_3gpuE7ELNS1_3repE0EEENS1_30default_config_static_selectorELNS0_4arch9wavefront6targetE0EEEvT1_
	.globl	_ZN7rocprim17ROCPRIM_400000_NS6detail17trampoline_kernelINS0_14default_configENS1_27scan_by_key_config_selectorIxiEEZZNS1_16scan_by_key_implILNS1_25lookback_scan_determinismE0ELb1ES3_N6thrust23THRUST_200600_302600_NS6detail15normal_iteratorINS9_10device_ptrIxEEEESE_SE_iNS9_4plusIvEENS9_8equal_toIvEEiEE10hipError_tPvRmT2_T3_T4_T5_mT6_T7_P12ihipStream_tbENKUlT_T0_E_clISt17integral_constantIbLb0EESZ_EEDaSU_SV_EUlSU_E_NS1_11comp_targetILNS1_3genE3ELNS1_11target_archE908ELNS1_3gpuE7ELNS1_3repE0EEENS1_30default_config_static_selectorELNS0_4arch9wavefront6targetE0EEEvT1_
	.p2align	8
	.type	_ZN7rocprim17ROCPRIM_400000_NS6detail17trampoline_kernelINS0_14default_configENS1_27scan_by_key_config_selectorIxiEEZZNS1_16scan_by_key_implILNS1_25lookback_scan_determinismE0ELb1ES3_N6thrust23THRUST_200600_302600_NS6detail15normal_iteratorINS9_10device_ptrIxEEEESE_SE_iNS9_4plusIvEENS9_8equal_toIvEEiEE10hipError_tPvRmT2_T3_T4_T5_mT6_T7_P12ihipStream_tbENKUlT_T0_E_clISt17integral_constantIbLb0EESZ_EEDaSU_SV_EUlSU_E_NS1_11comp_targetILNS1_3genE3ELNS1_11target_archE908ELNS1_3gpuE7ELNS1_3repE0EEENS1_30default_config_static_selectorELNS0_4arch9wavefront6targetE0EEEvT1_,@function
_ZN7rocprim17ROCPRIM_400000_NS6detail17trampoline_kernelINS0_14default_configENS1_27scan_by_key_config_selectorIxiEEZZNS1_16scan_by_key_implILNS1_25lookback_scan_determinismE0ELb1ES3_N6thrust23THRUST_200600_302600_NS6detail15normal_iteratorINS9_10device_ptrIxEEEESE_SE_iNS9_4plusIvEENS9_8equal_toIvEEiEE10hipError_tPvRmT2_T3_T4_T5_mT6_T7_P12ihipStream_tbENKUlT_T0_E_clISt17integral_constantIbLb0EESZ_EEDaSU_SV_EUlSU_E_NS1_11comp_targetILNS1_3genE3ELNS1_11target_archE908ELNS1_3gpuE7ELNS1_3repE0EEENS1_30default_config_static_selectorELNS0_4arch9wavefront6targetE0EEEvT1_: ; @_ZN7rocprim17ROCPRIM_400000_NS6detail17trampoline_kernelINS0_14default_configENS1_27scan_by_key_config_selectorIxiEEZZNS1_16scan_by_key_implILNS1_25lookback_scan_determinismE0ELb1ES3_N6thrust23THRUST_200600_302600_NS6detail15normal_iteratorINS9_10device_ptrIxEEEESE_SE_iNS9_4plusIvEENS9_8equal_toIvEEiEE10hipError_tPvRmT2_T3_T4_T5_mT6_T7_P12ihipStream_tbENKUlT_T0_E_clISt17integral_constantIbLb0EESZ_EEDaSU_SV_EUlSU_E_NS1_11comp_targetILNS1_3genE3ELNS1_11target_archE908ELNS1_3gpuE7ELNS1_3repE0EEENS1_30default_config_static_selectorELNS0_4arch9wavefront6targetE0EEEvT1_
; %bb.0:
	.section	.rodata,"a",@progbits
	.p2align	6, 0x0
	.amdhsa_kernel _ZN7rocprim17ROCPRIM_400000_NS6detail17trampoline_kernelINS0_14default_configENS1_27scan_by_key_config_selectorIxiEEZZNS1_16scan_by_key_implILNS1_25lookback_scan_determinismE0ELb1ES3_N6thrust23THRUST_200600_302600_NS6detail15normal_iteratorINS9_10device_ptrIxEEEESE_SE_iNS9_4plusIvEENS9_8equal_toIvEEiEE10hipError_tPvRmT2_T3_T4_T5_mT6_T7_P12ihipStream_tbENKUlT_T0_E_clISt17integral_constantIbLb0EESZ_EEDaSU_SV_EUlSU_E_NS1_11comp_targetILNS1_3genE3ELNS1_11target_archE908ELNS1_3gpuE7ELNS1_3repE0EEENS1_30default_config_static_selectorELNS0_4arch9wavefront6targetE0EEEvT1_
		.amdhsa_group_segment_fixed_size 0
		.amdhsa_private_segment_fixed_size 0
		.amdhsa_kernarg_size 112
		.amdhsa_user_sgpr_count 2
		.amdhsa_user_sgpr_dispatch_ptr 0
		.amdhsa_user_sgpr_queue_ptr 0
		.amdhsa_user_sgpr_kernarg_segment_ptr 1
		.amdhsa_user_sgpr_dispatch_id 0
		.amdhsa_user_sgpr_kernarg_preload_length 0
		.amdhsa_user_sgpr_kernarg_preload_offset 0
		.amdhsa_user_sgpr_private_segment_size 0
		.amdhsa_wavefront_size32 1
		.amdhsa_uses_dynamic_stack 0
		.amdhsa_enable_private_segment 0
		.amdhsa_system_sgpr_workgroup_id_x 1
		.amdhsa_system_sgpr_workgroup_id_y 0
		.amdhsa_system_sgpr_workgroup_id_z 0
		.amdhsa_system_sgpr_workgroup_info 0
		.amdhsa_system_vgpr_workitem_id 0
		.amdhsa_next_free_vgpr 1
		.amdhsa_next_free_sgpr 1
		.amdhsa_named_barrier_count 0
		.amdhsa_reserve_vcc 0
		.amdhsa_float_round_mode_32 0
		.amdhsa_float_round_mode_16_64 0
		.amdhsa_float_denorm_mode_32 3
		.amdhsa_float_denorm_mode_16_64 3
		.amdhsa_fp16_overflow 0
		.amdhsa_memory_ordered 1
		.amdhsa_forward_progress 1
		.amdhsa_inst_pref_size 0
		.amdhsa_round_robin_scheduling 0
		.amdhsa_exception_fp_ieee_invalid_op 0
		.amdhsa_exception_fp_denorm_src 0
		.amdhsa_exception_fp_ieee_div_zero 0
		.amdhsa_exception_fp_ieee_overflow 0
		.amdhsa_exception_fp_ieee_underflow 0
		.amdhsa_exception_fp_ieee_inexact 0
		.amdhsa_exception_int_div_zero 0
	.end_amdhsa_kernel
	.section	.text._ZN7rocprim17ROCPRIM_400000_NS6detail17trampoline_kernelINS0_14default_configENS1_27scan_by_key_config_selectorIxiEEZZNS1_16scan_by_key_implILNS1_25lookback_scan_determinismE0ELb1ES3_N6thrust23THRUST_200600_302600_NS6detail15normal_iteratorINS9_10device_ptrIxEEEESE_SE_iNS9_4plusIvEENS9_8equal_toIvEEiEE10hipError_tPvRmT2_T3_T4_T5_mT6_T7_P12ihipStream_tbENKUlT_T0_E_clISt17integral_constantIbLb0EESZ_EEDaSU_SV_EUlSU_E_NS1_11comp_targetILNS1_3genE3ELNS1_11target_archE908ELNS1_3gpuE7ELNS1_3repE0EEENS1_30default_config_static_selectorELNS0_4arch9wavefront6targetE0EEEvT1_,"axG",@progbits,_ZN7rocprim17ROCPRIM_400000_NS6detail17trampoline_kernelINS0_14default_configENS1_27scan_by_key_config_selectorIxiEEZZNS1_16scan_by_key_implILNS1_25lookback_scan_determinismE0ELb1ES3_N6thrust23THRUST_200600_302600_NS6detail15normal_iteratorINS9_10device_ptrIxEEEESE_SE_iNS9_4plusIvEENS9_8equal_toIvEEiEE10hipError_tPvRmT2_T3_T4_T5_mT6_T7_P12ihipStream_tbENKUlT_T0_E_clISt17integral_constantIbLb0EESZ_EEDaSU_SV_EUlSU_E_NS1_11comp_targetILNS1_3genE3ELNS1_11target_archE908ELNS1_3gpuE7ELNS1_3repE0EEENS1_30default_config_static_selectorELNS0_4arch9wavefront6targetE0EEEvT1_,comdat
.Lfunc_end1006:
	.size	_ZN7rocprim17ROCPRIM_400000_NS6detail17trampoline_kernelINS0_14default_configENS1_27scan_by_key_config_selectorIxiEEZZNS1_16scan_by_key_implILNS1_25lookback_scan_determinismE0ELb1ES3_N6thrust23THRUST_200600_302600_NS6detail15normal_iteratorINS9_10device_ptrIxEEEESE_SE_iNS9_4plusIvEENS9_8equal_toIvEEiEE10hipError_tPvRmT2_T3_T4_T5_mT6_T7_P12ihipStream_tbENKUlT_T0_E_clISt17integral_constantIbLb0EESZ_EEDaSU_SV_EUlSU_E_NS1_11comp_targetILNS1_3genE3ELNS1_11target_archE908ELNS1_3gpuE7ELNS1_3repE0EEENS1_30default_config_static_selectorELNS0_4arch9wavefront6targetE0EEEvT1_, .Lfunc_end1006-_ZN7rocprim17ROCPRIM_400000_NS6detail17trampoline_kernelINS0_14default_configENS1_27scan_by_key_config_selectorIxiEEZZNS1_16scan_by_key_implILNS1_25lookback_scan_determinismE0ELb1ES3_N6thrust23THRUST_200600_302600_NS6detail15normal_iteratorINS9_10device_ptrIxEEEESE_SE_iNS9_4plusIvEENS9_8equal_toIvEEiEE10hipError_tPvRmT2_T3_T4_T5_mT6_T7_P12ihipStream_tbENKUlT_T0_E_clISt17integral_constantIbLb0EESZ_EEDaSU_SV_EUlSU_E_NS1_11comp_targetILNS1_3genE3ELNS1_11target_archE908ELNS1_3gpuE7ELNS1_3repE0EEENS1_30default_config_static_selectorELNS0_4arch9wavefront6targetE0EEEvT1_
                                        ; -- End function
	.set _ZN7rocprim17ROCPRIM_400000_NS6detail17trampoline_kernelINS0_14default_configENS1_27scan_by_key_config_selectorIxiEEZZNS1_16scan_by_key_implILNS1_25lookback_scan_determinismE0ELb1ES3_N6thrust23THRUST_200600_302600_NS6detail15normal_iteratorINS9_10device_ptrIxEEEESE_SE_iNS9_4plusIvEENS9_8equal_toIvEEiEE10hipError_tPvRmT2_T3_T4_T5_mT6_T7_P12ihipStream_tbENKUlT_T0_E_clISt17integral_constantIbLb0EESZ_EEDaSU_SV_EUlSU_E_NS1_11comp_targetILNS1_3genE3ELNS1_11target_archE908ELNS1_3gpuE7ELNS1_3repE0EEENS1_30default_config_static_selectorELNS0_4arch9wavefront6targetE0EEEvT1_.num_vgpr, 0
	.set _ZN7rocprim17ROCPRIM_400000_NS6detail17trampoline_kernelINS0_14default_configENS1_27scan_by_key_config_selectorIxiEEZZNS1_16scan_by_key_implILNS1_25lookback_scan_determinismE0ELb1ES3_N6thrust23THRUST_200600_302600_NS6detail15normal_iteratorINS9_10device_ptrIxEEEESE_SE_iNS9_4plusIvEENS9_8equal_toIvEEiEE10hipError_tPvRmT2_T3_T4_T5_mT6_T7_P12ihipStream_tbENKUlT_T0_E_clISt17integral_constantIbLb0EESZ_EEDaSU_SV_EUlSU_E_NS1_11comp_targetILNS1_3genE3ELNS1_11target_archE908ELNS1_3gpuE7ELNS1_3repE0EEENS1_30default_config_static_selectorELNS0_4arch9wavefront6targetE0EEEvT1_.num_agpr, 0
	.set _ZN7rocprim17ROCPRIM_400000_NS6detail17trampoline_kernelINS0_14default_configENS1_27scan_by_key_config_selectorIxiEEZZNS1_16scan_by_key_implILNS1_25lookback_scan_determinismE0ELb1ES3_N6thrust23THRUST_200600_302600_NS6detail15normal_iteratorINS9_10device_ptrIxEEEESE_SE_iNS9_4plusIvEENS9_8equal_toIvEEiEE10hipError_tPvRmT2_T3_T4_T5_mT6_T7_P12ihipStream_tbENKUlT_T0_E_clISt17integral_constantIbLb0EESZ_EEDaSU_SV_EUlSU_E_NS1_11comp_targetILNS1_3genE3ELNS1_11target_archE908ELNS1_3gpuE7ELNS1_3repE0EEENS1_30default_config_static_selectorELNS0_4arch9wavefront6targetE0EEEvT1_.numbered_sgpr, 0
	.set _ZN7rocprim17ROCPRIM_400000_NS6detail17trampoline_kernelINS0_14default_configENS1_27scan_by_key_config_selectorIxiEEZZNS1_16scan_by_key_implILNS1_25lookback_scan_determinismE0ELb1ES3_N6thrust23THRUST_200600_302600_NS6detail15normal_iteratorINS9_10device_ptrIxEEEESE_SE_iNS9_4plusIvEENS9_8equal_toIvEEiEE10hipError_tPvRmT2_T3_T4_T5_mT6_T7_P12ihipStream_tbENKUlT_T0_E_clISt17integral_constantIbLb0EESZ_EEDaSU_SV_EUlSU_E_NS1_11comp_targetILNS1_3genE3ELNS1_11target_archE908ELNS1_3gpuE7ELNS1_3repE0EEENS1_30default_config_static_selectorELNS0_4arch9wavefront6targetE0EEEvT1_.num_named_barrier, 0
	.set _ZN7rocprim17ROCPRIM_400000_NS6detail17trampoline_kernelINS0_14default_configENS1_27scan_by_key_config_selectorIxiEEZZNS1_16scan_by_key_implILNS1_25lookback_scan_determinismE0ELb1ES3_N6thrust23THRUST_200600_302600_NS6detail15normal_iteratorINS9_10device_ptrIxEEEESE_SE_iNS9_4plusIvEENS9_8equal_toIvEEiEE10hipError_tPvRmT2_T3_T4_T5_mT6_T7_P12ihipStream_tbENKUlT_T0_E_clISt17integral_constantIbLb0EESZ_EEDaSU_SV_EUlSU_E_NS1_11comp_targetILNS1_3genE3ELNS1_11target_archE908ELNS1_3gpuE7ELNS1_3repE0EEENS1_30default_config_static_selectorELNS0_4arch9wavefront6targetE0EEEvT1_.private_seg_size, 0
	.set _ZN7rocprim17ROCPRIM_400000_NS6detail17trampoline_kernelINS0_14default_configENS1_27scan_by_key_config_selectorIxiEEZZNS1_16scan_by_key_implILNS1_25lookback_scan_determinismE0ELb1ES3_N6thrust23THRUST_200600_302600_NS6detail15normal_iteratorINS9_10device_ptrIxEEEESE_SE_iNS9_4plusIvEENS9_8equal_toIvEEiEE10hipError_tPvRmT2_T3_T4_T5_mT6_T7_P12ihipStream_tbENKUlT_T0_E_clISt17integral_constantIbLb0EESZ_EEDaSU_SV_EUlSU_E_NS1_11comp_targetILNS1_3genE3ELNS1_11target_archE908ELNS1_3gpuE7ELNS1_3repE0EEENS1_30default_config_static_selectorELNS0_4arch9wavefront6targetE0EEEvT1_.uses_vcc, 0
	.set _ZN7rocprim17ROCPRIM_400000_NS6detail17trampoline_kernelINS0_14default_configENS1_27scan_by_key_config_selectorIxiEEZZNS1_16scan_by_key_implILNS1_25lookback_scan_determinismE0ELb1ES3_N6thrust23THRUST_200600_302600_NS6detail15normal_iteratorINS9_10device_ptrIxEEEESE_SE_iNS9_4plusIvEENS9_8equal_toIvEEiEE10hipError_tPvRmT2_T3_T4_T5_mT6_T7_P12ihipStream_tbENKUlT_T0_E_clISt17integral_constantIbLb0EESZ_EEDaSU_SV_EUlSU_E_NS1_11comp_targetILNS1_3genE3ELNS1_11target_archE908ELNS1_3gpuE7ELNS1_3repE0EEENS1_30default_config_static_selectorELNS0_4arch9wavefront6targetE0EEEvT1_.uses_flat_scratch, 0
	.set _ZN7rocprim17ROCPRIM_400000_NS6detail17trampoline_kernelINS0_14default_configENS1_27scan_by_key_config_selectorIxiEEZZNS1_16scan_by_key_implILNS1_25lookback_scan_determinismE0ELb1ES3_N6thrust23THRUST_200600_302600_NS6detail15normal_iteratorINS9_10device_ptrIxEEEESE_SE_iNS9_4plusIvEENS9_8equal_toIvEEiEE10hipError_tPvRmT2_T3_T4_T5_mT6_T7_P12ihipStream_tbENKUlT_T0_E_clISt17integral_constantIbLb0EESZ_EEDaSU_SV_EUlSU_E_NS1_11comp_targetILNS1_3genE3ELNS1_11target_archE908ELNS1_3gpuE7ELNS1_3repE0EEENS1_30default_config_static_selectorELNS0_4arch9wavefront6targetE0EEEvT1_.has_dyn_sized_stack, 0
	.set _ZN7rocprim17ROCPRIM_400000_NS6detail17trampoline_kernelINS0_14default_configENS1_27scan_by_key_config_selectorIxiEEZZNS1_16scan_by_key_implILNS1_25lookback_scan_determinismE0ELb1ES3_N6thrust23THRUST_200600_302600_NS6detail15normal_iteratorINS9_10device_ptrIxEEEESE_SE_iNS9_4plusIvEENS9_8equal_toIvEEiEE10hipError_tPvRmT2_T3_T4_T5_mT6_T7_P12ihipStream_tbENKUlT_T0_E_clISt17integral_constantIbLb0EESZ_EEDaSU_SV_EUlSU_E_NS1_11comp_targetILNS1_3genE3ELNS1_11target_archE908ELNS1_3gpuE7ELNS1_3repE0EEENS1_30default_config_static_selectorELNS0_4arch9wavefront6targetE0EEEvT1_.has_recursion, 0
	.set _ZN7rocprim17ROCPRIM_400000_NS6detail17trampoline_kernelINS0_14default_configENS1_27scan_by_key_config_selectorIxiEEZZNS1_16scan_by_key_implILNS1_25lookback_scan_determinismE0ELb1ES3_N6thrust23THRUST_200600_302600_NS6detail15normal_iteratorINS9_10device_ptrIxEEEESE_SE_iNS9_4plusIvEENS9_8equal_toIvEEiEE10hipError_tPvRmT2_T3_T4_T5_mT6_T7_P12ihipStream_tbENKUlT_T0_E_clISt17integral_constantIbLb0EESZ_EEDaSU_SV_EUlSU_E_NS1_11comp_targetILNS1_3genE3ELNS1_11target_archE908ELNS1_3gpuE7ELNS1_3repE0EEENS1_30default_config_static_selectorELNS0_4arch9wavefront6targetE0EEEvT1_.has_indirect_call, 0
	.section	.AMDGPU.csdata,"",@progbits
; Kernel info:
; codeLenInByte = 0
; TotalNumSgprs: 0
; NumVgprs: 0
; ScratchSize: 0
; MemoryBound: 0
; FloatMode: 240
; IeeeMode: 1
; LDSByteSize: 0 bytes/workgroup (compile time only)
; SGPRBlocks: 0
; VGPRBlocks: 0
; NumSGPRsForWavesPerEU: 1
; NumVGPRsForWavesPerEU: 1
; NamedBarCnt: 0
; Occupancy: 16
; WaveLimiterHint : 0
; COMPUTE_PGM_RSRC2:SCRATCH_EN: 0
; COMPUTE_PGM_RSRC2:USER_SGPR: 2
; COMPUTE_PGM_RSRC2:TRAP_HANDLER: 0
; COMPUTE_PGM_RSRC2:TGID_X_EN: 1
; COMPUTE_PGM_RSRC2:TGID_Y_EN: 0
; COMPUTE_PGM_RSRC2:TGID_Z_EN: 0
; COMPUTE_PGM_RSRC2:TIDIG_COMP_CNT: 0
	.section	.text._ZN7rocprim17ROCPRIM_400000_NS6detail17trampoline_kernelINS0_14default_configENS1_27scan_by_key_config_selectorIxiEEZZNS1_16scan_by_key_implILNS1_25lookback_scan_determinismE0ELb1ES3_N6thrust23THRUST_200600_302600_NS6detail15normal_iteratorINS9_10device_ptrIxEEEESE_SE_iNS9_4plusIvEENS9_8equal_toIvEEiEE10hipError_tPvRmT2_T3_T4_T5_mT6_T7_P12ihipStream_tbENKUlT_T0_E_clISt17integral_constantIbLb0EESZ_EEDaSU_SV_EUlSU_E_NS1_11comp_targetILNS1_3genE2ELNS1_11target_archE906ELNS1_3gpuE6ELNS1_3repE0EEENS1_30default_config_static_selectorELNS0_4arch9wavefront6targetE0EEEvT1_,"axG",@progbits,_ZN7rocprim17ROCPRIM_400000_NS6detail17trampoline_kernelINS0_14default_configENS1_27scan_by_key_config_selectorIxiEEZZNS1_16scan_by_key_implILNS1_25lookback_scan_determinismE0ELb1ES3_N6thrust23THRUST_200600_302600_NS6detail15normal_iteratorINS9_10device_ptrIxEEEESE_SE_iNS9_4plusIvEENS9_8equal_toIvEEiEE10hipError_tPvRmT2_T3_T4_T5_mT6_T7_P12ihipStream_tbENKUlT_T0_E_clISt17integral_constantIbLb0EESZ_EEDaSU_SV_EUlSU_E_NS1_11comp_targetILNS1_3genE2ELNS1_11target_archE906ELNS1_3gpuE6ELNS1_3repE0EEENS1_30default_config_static_selectorELNS0_4arch9wavefront6targetE0EEEvT1_,comdat
	.protected	_ZN7rocprim17ROCPRIM_400000_NS6detail17trampoline_kernelINS0_14default_configENS1_27scan_by_key_config_selectorIxiEEZZNS1_16scan_by_key_implILNS1_25lookback_scan_determinismE0ELb1ES3_N6thrust23THRUST_200600_302600_NS6detail15normal_iteratorINS9_10device_ptrIxEEEESE_SE_iNS9_4plusIvEENS9_8equal_toIvEEiEE10hipError_tPvRmT2_T3_T4_T5_mT6_T7_P12ihipStream_tbENKUlT_T0_E_clISt17integral_constantIbLb0EESZ_EEDaSU_SV_EUlSU_E_NS1_11comp_targetILNS1_3genE2ELNS1_11target_archE906ELNS1_3gpuE6ELNS1_3repE0EEENS1_30default_config_static_selectorELNS0_4arch9wavefront6targetE0EEEvT1_ ; -- Begin function _ZN7rocprim17ROCPRIM_400000_NS6detail17trampoline_kernelINS0_14default_configENS1_27scan_by_key_config_selectorIxiEEZZNS1_16scan_by_key_implILNS1_25lookback_scan_determinismE0ELb1ES3_N6thrust23THRUST_200600_302600_NS6detail15normal_iteratorINS9_10device_ptrIxEEEESE_SE_iNS9_4plusIvEENS9_8equal_toIvEEiEE10hipError_tPvRmT2_T3_T4_T5_mT6_T7_P12ihipStream_tbENKUlT_T0_E_clISt17integral_constantIbLb0EESZ_EEDaSU_SV_EUlSU_E_NS1_11comp_targetILNS1_3genE2ELNS1_11target_archE906ELNS1_3gpuE6ELNS1_3repE0EEENS1_30default_config_static_selectorELNS0_4arch9wavefront6targetE0EEEvT1_
	.globl	_ZN7rocprim17ROCPRIM_400000_NS6detail17trampoline_kernelINS0_14default_configENS1_27scan_by_key_config_selectorIxiEEZZNS1_16scan_by_key_implILNS1_25lookback_scan_determinismE0ELb1ES3_N6thrust23THRUST_200600_302600_NS6detail15normal_iteratorINS9_10device_ptrIxEEEESE_SE_iNS9_4plusIvEENS9_8equal_toIvEEiEE10hipError_tPvRmT2_T3_T4_T5_mT6_T7_P12ihipStream_tbENKUlT_T0_E_clISt17integral_constantIbLb0EESZ_EEDaSU_SV_EUlSU_E_NS1_11comp_targetILNS1_3genE2ELNS1_11target_archE906ELNS1_3gpuE6ELNS1_3repE0EEENS1_30default_config_static_selectorELNS0_4arch9wavefront6targetE0EEEvT1_
	.p2align	8
	.type	_ZN7rocprim17ROCPRIM_400000_NS6detail17trampoline_kernelINS0_14default_configENS1_27scan_by_key_config_selectorIxiEEZZNS1_16scan_by_key_implILNS1_25lookback_scan_determinismE0ELb1ES3_N6thrust23THRUST_200600_302600_NS6detail15normal_iteratorINS9_10device_ptrIxEEEESE_SE_iNS9_4plusIvEENS9_8equal_toIvEEiEE10hipError_tPvRmT2_T3_T4_T5_mT6_T7_P12ihipStream_tbENKUlT_T0_E_clISt17integral_constantIbLb0EESZ_EEDaSU_SV_EUlSU_E_NS1_11comp_targetILNS1_3genE2ELNS1_11target_archE906ELNS1_3gpuE6ELNS1_3repE0EEENS1_30default_config_static_selectorELNS0_4arch9wavefront6targetE0EEEvT1_,@function
_ZN7rocprim17ROCPRIM_400000_NS6detail17trampoline_kernelINS0_14default_configENS1_27scan_by_key_config_selectorIxiEEZZNS1_16scan_by_key_implILNS1_25lookback_scan_determinismE0ELb1ES3_N6thrust23THRUST_200600_302600_NS6detail15normal_iteratorINS9_10device_ptrIxEEEESE_SE_iNS9_4plusIvEENS9_8equal_toIvEEiEE10hipError_tPvRmT2_T3_T4_T5_mT6_T7_P12ihipStream_tbENKUlT_T0_E_clISt17integral_constantIbLb0EESZ_EEDaSU_SV_EUlSU_E_NS1_11comp_targetILNS1_3genE2ELNS1_11target_archE906ELNS1_3gpuE6ELNS1_3repE0EEENS1_30default_config_static_selectorELNS0_4arch9wavefront6targetE0EEEvT1_: ; @_ZN7rocprim17ROCPRIM_400000_NS6detail17trampoline_kernelINS0_14default_configENS1_27scan_by_key_config_selectorIxiEEZZNS1_16scan_by_key_implILNS1_25lookback_scan_determinismE0ELb1ES3_N6thrust23THRUST_200600_302600_NS6detail15normal_iteratorINS9_10device_ptrIxEEEESE_SE_iNS9_4plusIvEENS9_8equal_toIvEEiEE10hipError_tPvRmT2_T3_T4_T5_mT6_T7_P12ihipStream_tbENKUlT_T0_E_clISt17integral_constantIbLb0EESZ_EEDaSU_SV_EUlSU_E_NS1_11comp_targetILNS1_3genE2ELNS1_11target_archE906ELNS1_3gpuE6ELNS1_3repE0EEENS1_30default_config_static_selectorELNS0_4arch9wavefront6targetE0EEEvT1_
; %bb.0:
	.section	.rodata,"a",@progbits
	.p2align	6, 0x0
	.amdhsa_kernel _ZN7rocprim17ROCPRIM_400000_NS6detail17trampoline_kernelINS0_14default_configENS1_27scan_by_key_config_selectorIxiEEZZNS1_16scan_by_key_implILNS1_25lookback_scan_determinismE0ELb1ES3_N6thrust23THRUST_200600_302600_NS6detail15normal_iteratorINS9_10device_ptrIxEEEESE_SE_iNS9_4plusIvEENS9_8equal_toIvEEiEE10hipError_tPvRmT2_T3_T4_T5_mT6_T7_P12ihipStream_tbENKUlT_T0_E_clISt17integral_constantIbLb0EESZ_EEDaSU_SV_EUlSU_E_NS1_11comp_targetILNS1_3genE2ELNS1_11target_archE906ELNS1_3gpuE6ELNS1_3repE0EEENS1_30default_config_static_selectorELNS0_4arch9wavefront6targetE0EEEvT1_
		.amdhsa_group_segment_fixed_size 0
		.amdhsa_private_segment_fixed_size 0
		.amdhsa_kernarg_size 112
		.amdhsa_user_sgpr_count 2
		.amdhsa_user_sgpr_dispatch_ptr 0
		.amdhsa_user_sgpr_queue_ptr 0
		.amdhsa_user_sgpr_kernarg_segment_ptr 1
		.amdhsa_user_sgpr_dispatch_id 0
		.amdhsa_user_sgpr_kernarg_preload_length 0
		.amdhsa_user_sgpr_kernarg_preload_offset 0
		.amdhsa_user_sgpr_private_segment_size 0
		.amdhsa_wavefront_size32 1
		.amdhsa_uses_dynamic_stack 0
		.amdhsa_enable_private_segment 0
		.amdhsa_system_sgpr_workgroup_id_x 1
		.amdhsa_system_sgpr_workgroup_id_y 0
		.amdhsa_system_sgpr_workgroup_id_z 0
		.amdhsa_system_sgpr_workgroup_info 0
		.amdhsa_system_vgpr_workitem_id 0
		.amdhsa_next_free_vgpr 1
		.amdhsa_next_free_sgpr 1
		.amdhsa_named_barrier_count 0
		.amdhsa_reserve_vcc 0
		.amdhsa_float_round_mode_32 0
		.amdhsa_float_round_mode_16_64 0
		.amdhsa_float_denorm_mode_32 3
		.amdhsa_float_denorm_mode_16_64 3
		.amdhsa_fp16_overflow 0
		.amdhsa_memory_ordered 1
		.amdhsa_forward_progress 1
		.amdhsa_inst_pref_size 0
		.amdhsa_round_robin_scheduling 0
		.amdhsa_exception_fp_ieee_invalid_op 0
		.amdhsa_exception_fp_denorm_src 0
		.amdhsa_exception_fp_ieee_div_zero 0
		.amdhsa_exception_fp_ieee_overflow 0
		.amdhsa_exception_fp_ieee_underflow 0
		.amdhsa_exception_fp_ieee_inexact 0
		.amdhsa_exception_int_div_zero 0
	.end_amdhsa_kernel
	.section	.text._ZN7rocprim17ROCPRIM_400000_NS6detail17trampoline_kernelINS0_14default_configENS1_27scan_by_key_config_selectorIxiEEZZNS1_16scan_by_key_implILNS1_25lookback_scan_determinismE0ELb1ES3_N6thrust23THRUST_200600_302600_NS6detail15normal_iteratorINS9_10device_ptrIxEEEESE_SE_iNS9_4plusIvEENS9_8equal_toIvEEiEE10hipError_tPvRmT2_T3_T4_T5_mT6_T7_P12ihipStream_tbENKUlT_T0_E_clISt17integral_constantIbLb0EESZ_EEDaSU_SV_EUlSU_E_NS1_11comp_targetILNS1_3genE2ELNS1_11target_archE906ELNS1_3gpuE6ELNS1_3repE0EEENS1_30default_config_static_selectorELNS0_4arch9wavefront6targetE0EEEvT1_,"axG",@progbits,_ZN7rocprim17ROCPRIM_400000_NS6detail17trampoline_kernelINS0_14default_configENS1_27scan_by_key_config_selectorIxiEEZZNS1_16scan_by_key_implILNS1_25lookback_scan_determinismE0ELb1ES3_N6thrust23THRUST_200600_302600_NS6detail15normal_iteratorINS9_10device_ptrIxEEEESE_SE_iNS9_4plusIvEENS9_8equal_toIvEEiEE10hipError_tPvRmT2_T3_T4_T5_mT6_T7_P12ihipStream_tbENKUlT_T0_E_clISt17integral_constantIbLb0EESZ_EEDaSU_SV_EUlSU_E_NS1_11comp_targetILNS1_3genE2ELNS1_11target_archE906ELNS1_3gpuE6ELNS1_3repE0EEENS1_30default_config_static_selectorELNS0_4arch9wavefront6targetE0EEEvT1_,comdat
.Lfunc_end1007:
	.size	_ZN7rocprim17ROCPRIM_400000_NS6detail17trampoline_kernelINS0_14default_configENS1_27scan_by_key_config_selectorIxiEEZZNS1_16scan_by_key_implILNS1_25lookback_scan_determinismE0ELb1ES3_N6thrust23THRUST_200600_302600_NS6detail15normal_iteratorINS9_10device_ptrIxEEEESE_SE_iNS9_4plusIvEENS9_8equal_toIvEEiEE10hipError_tPvRmT2_T3_T4_T5_mT6_T7_P12ihipStream_tbENKUlT_T0_E_clISt17integral_constantIbLb0EESZ_EEDaSU_SV_EUlSU_E_NS1_11comp_targetILNS1_3genE2ELNS1_11target_archE906ELNS1_3gpuE6ELNS1_3repE0EEENS1_30default_config_static_selectorELNS0_4arch9wavefront6targetE0EEEvT1_, .Lfunc_end1007-_ZN7rocprim17ROCPRIM_400000_NS6detail17trampoline_kernelINS0_14default_configENS1_27scan_by_key_config_selectorIxiEEZZNS1_16scan_by_key_implILNS1_25lookback_scan_determinismE0ELb1ES3_N6thrust23THRUST_200600_302600_NS6detail15normal_iteratorINS9_10device_ptrIxEEEESE_SE_iNS9_4plusIvEENS9_8equal_toIvEEiEE10hipError_tPvRmT2_T3_T4_T5_mT6_T7_P12ihipStream_tbENKUlT_T0_E_clISt17integral_constantIbLb0EESZ_EEDaSU_SV_EUlSU_E_NS1_11comp_targetILNS1_3genE2ELNS1_11target_archE906ELNS1_3gpuE6ELNS1_3repE0EEENS1_30default_config_static_selectorELNS0_4arch9wavefront6targetE0EEEvT1_
                                        ; -- End function
	.set _ZN7rocprim17ROCPRIM_400000_NS6detail17trampoline_kernelINS0_14default_configENS1_27scan_by_key_config_selectorIxiEEZZNS1_16scan_by_key_implILNS1_25lookback_scan_determinismE0ELb1ES3_N6thrust23THRUST_200600_302600_NS6detail15normal_iteratorINS9_10device_ptrIxEEEESE_SE_iNS9_4plusIvEENS9_8equal_toIvEEiEE10hipError_tPvRmT2_T3_T4_T5_mT6_T7_P12ihipStream_tbENKUlT_T0_E_clISt17integral_constantIbLb0EESZ_EEDaSU_SV_EUlSU_E_NS1_11comp_targetILNS1_3genE2ELNS1_11target_archE906ELNS1_3gpuE6ELNS1_3repE0EEENS1_30default_config_static_selectorELNS0_4arch9wavefront6targetE0EEEvT1_.num_vgpr, 0
	.set _ZN7rocprim17ROCPRIM_400000_NS6detail17trampoline_kernelINS0_14default_configENS1_27scan_by_key_config_selectorIxiEEZZNS1_16scan_by_key_implILNS1_25lookback_scan_determinismE0ELb1ES3_N6thrust23THRUST_200600_302600_NS6detail15normal_iteratorINS9_10device_ptrIxEEEESE_SE_iNS9_4plusIvEENS9_8equal_toIvEEiEE10hipError_tPvRmT2_T3_T4_T5_mT6_T7_P12ihipStream_tbENKUlT_T0_E_clISt17integral_constantIbLb0EESZ_EEDaSU_SV_EUlSU_E_NS1_11comp_targetILNS1_3genE2ELNS1_11target_archE906ELNS1_3gpuE6ELNS1_3repE0EEENS1_30default_config_static_selectorELNS0_4arch9wavefront6targetE0EEEvT1_.num_agpr, 0
	.set _ZN7rocprim17ROCPRIM_400000_NS6detail17trampoline_kernelINS0_14default_configENS1_27scan_by_key_config_selectorIxiEEZZNS1_16scan_by_key_implILNS1_25lookback_scan_determinismE0ELb1ES3_N6thrust23THRUST_200600_302600_NS6detail15normal_iteratorINS9_10device_ptrIxEEEESE_SE_iNS9_4plusIvEENS9_8equal_toIvEEiEE10hipError_tPvRmT2_T3_T4_T5_mT6_T7_P12ihipStream_tbENKUlT_T0_E_clISt17integral_constantIbLb0EESZ_EEDaSU_SV_EUlSU_E_NS1_11comp_targetILNS1_3genE2ELNS1_11target_archE906ELNS1_3gpuE6ELNS1_3repE0EEENS1_30default_config_static_selectorELNS0_4arch9wavefront6targetE0EEEvT1_.numbered_sgpr, 0
	.set _ZN7rocprim17ROCPRIM_400000_NS6detail17trampoline_kernelINS0_14default_configENS1_27scan_by_key_config_selectorIxiEEZZNS1_16scan_by_key_implILNS1_25lookback_scan_determinismE0ELb1ES3_N6thrust23THRUST_200600_302600_NS6detail15normal_iteratorINS9_10device_ptrIxEEEESE_SE_iNS9_4plusIvEENS9_8equal_toIvEEiEE10hipError_tPvRmT2_T3_T4_T5_mT6_T7_P12ihipStream_tbENKUlT_T0_E_clISt17integral_constantIbLb0EESZ_EEDaSU_SV_EUlSU_E_NS1_11comp_targetILNS1_3genE2ELNS1_11target_archE906ELNS1_3gpuE6ELNS1_3repE0EEENS1_30default_config_static_selectorELNS0_4arch9wavefront6targetE0EEEvT1_.num_named_barrier, 0
	.set _ZN7rocprim17ROCPRIM_400000_NS6detail17trampoline_kernelINS0_14default_configENS1_27scan_by_key_config_selectorIxiEEZZNS1_16scan_by_key_implILNS1_25lookback_scan_determinismE0ELb1ES3_N6thrust23THRUST_200600_302600_NS6detail15normal_iteratorINS9_10device_ptrIxEEEESE_SE_iNS9_4plusIvEENS9_8equal_toIvEEiEE10hipError_tPvRmT2_T3_T4_T5_mT6_T7_P12ihipStream_tbENKUlT_T0_E_clISt17integral_constantIbLb0EESZ_EEDaSU_SV_EUlSU_E_NS1_11comp_targetILNS1_3genE2ELNS1_11target_archE906ELNS1_3gpuE6ELNS1_3repE0EEENS1_30default_config_static_selectorELNS0_4arch9wavefront6targetE0EEEvT1_.private_seg_size, 0
	.set _ZN7rocprim17ROCPRIM_400000_NS6detail17trampoline_kernelINS0_14default_configENS1_27scan_by_key_config_selectorIxiEEZZNS1_16scan_by_key_implILNS1_25lookback_scan_determinismE0ELb1ES3_N6thrust23THRUST_200600_302600_NS6detail15normal_iteratorINS9_10device_ptrIxEEEESE_SE_iNS9_4plusIvEENS9_8equal_toIvEEiEE10hipError_tPvRmT2_T3_T4_T5_mT6_T7_P12ihipStream_tbENKUlT_T0_E_clISt17integral_constantIbLb0EESZ_EEDaSU_SV_EUlSU_E_NS1_11comp_targetILNS1_3genE2ELNS1_11target_archE906ELNS1_3gpuE6ELNS1_3repE0EEENS1_30default_config_static_selectorELNS0_4arch9wavefront6targetE0EEEvT1_.uses_vcc, 0
	.set _ZN7rocprim17ROCPRIM_400000_NS6detail17trampoline_kernelINS0_14default_configENS1_27scan_by_key_config_selectorIxiEEZZNS1_16scan_by_key_implILNS1_25lookback_scan_determinismE0ELb1ES3_N6thrust23THRUST_200600_302600_NS6detail15normal_iteratorINS9_10device_ptrIxEEEESE_SE_iNS9_4plusIvEENS9_8equal_toIvEEiEE10hipError_tPvRmT2_T3_T4_T5_mT6_T7_P12ihipStream_tbENKUlT_T0_E_clISt17integral_constantIbLb0EESZ_EEDaSU_SV_EUlSU_E_NS1_11comp_targetILNS1_3genE2ELNS1_11target_archE906ELNS1_3gpuE6ELNS1_3repE0EEENS1_30default_config_static_selectorELNS0_4arch9wavefront6targetE0EEEvT1_.uses_flat_scratch, 0
	.set _ZN7rocprim17ROCPRIM_400000_NS6detail17trampoline_kernelINS0_14default_configENS1_27scan_by_key_config_selectorIxiEEZZNS1_16scan_by_key_implILNS1_25lookback_scan_determinismE0ELb1ES3_N6thrust23THRUST_200600_302600_NS6detail15normal_iteratorINS9_10device_ptrIxEEEESE_SE_iNS9_4plusIvEENS9_8equal_toIvEEiEE10hipError_tPvRmT2_T3_T4_T5_mT6_T7_P12ihipStream_tbENKUlT_T0_E_clISt17integral_constantIbLb0EESZ_EEDaSU_SV_EUlSU_E_NS1_11comp_targetILNS1_3genE2ELNS1_11target_archE906ELNS1_3gpuE6ELNS1_3repE0EEENS1_30default_config_static_selectorELNS0_4arch9wavefront6targetE0EEEvT1_.has_dyn_sized_stack, 0
	.set _ZN7rocprim17ROCPRIM_400000_NS6detail17trampoline_kernelINS0_14default_configENS1_27scan_by_key_config_selectorIxiEEZZNS1_16scan_by_key_implILNS1_25lookback_scan_determinismE0ELb1ES3_N6thrust23THRUST_200600_302600_NS6detail15normal_iteratorINS9_10device_ptrIxEEEESE_SE_iNS9_4plusIvEENS9_8equal_toIvEEiEE10hipError_tPvRmT2_T3_T4_T5_mT6_T7_P12ihipStream_tbENKUlT_T0_E_clISt17integral_constantIbLb0EESZ_EEDaSU_SV_EUlSU_E_NS1_11comp_targetILNS1_3genE2ELNS1_11target_archE906ELNS1_3gpuE6ELNS1_3repE0EEENS1_30default_config_static_selectorELNS0_4arch9wavefront6targetE0EEEvT1_.has_recursion, 0
	.set _ZN7rocprim17ROCPRIM_400000_NS6detail17trampoline_kernelINS0_14default_configENS1_27scan_by_key_config_selectorIxiEEZZNS1_16scan_by_key_implILNS1_25lookback_scan_determinismE0ELb1ES3_N6thrust23THRUST_200600_302600_NS6detail15normal_iteratorINS9_10device_ptrIxEEEESE_SE_iNS9_4plusIvEENS9_8equal_toIvEEiEE10hipError_tPvRmT2_T3_T4_T5_mT6_T7_P12ihipStream_tbENKUlT_T0_E_clISt17integral_constantIbLb0EESZ_EEDaSU_SV_EUlSU_E_NS1_11comp_targetILNS1_3genE2ELNS1_11target_archE906ELNS1_3gpuE6ELNS1_3repE0EEENS1_30default_config_static_selectorELNS0_4arch9wavefront6targetE0EEEvT1_.has_indirect_call, 0
	.section	.AMDGPU.csdata,"",@progbits
; Kernel info:
; codeLenInByte = 0
; TotalNumSgprs: 0
; NumVgprs: 0
; ScratchSize: 0
; MemoryBound: 0
; FloatMode: 240
; IeeeMode: 1
; LDSByteSize: 0 bytes/workgroup (compile time only)
; SGPRBlocks: 0
; VGPRBlocks: 0
; NumSGPRsForWavesPerEU: 1
; NumVGPRsForWavesPerEU: 1
; NamedBarCnt: 0
; Occupancy: 16
; WaveLimiterHint : 0
; COMPUTE_PGM_RSRC2:SCRATCH_EN: 0
; COMPUTE_PGM_RSRC2:USER_SGPR: 2
; COMPUTE_PGM_RSRC2:TRAP_HANDLER: 0
; COMPUTE_PGM_RSRC2:TGID_X_EN: 1
; COMPUTE_PGM_RSRC2:TGID_Y_EN: 0
; COMPUTE_PGM_RSRC2:TGID_Z_EN: 0
; COMPUTE_PGM_RSRC2:TIDIG_COMP_CNT: 0
	.section	.text._ZN7rocprim17ROCPRIM_400000_NS6detail17trampoline_kernelINS0_14default_configENS1_27scan_by_key_config_selectorIxiEEZZNS1_16scan_by_key_implILNS1_25lookback_scan_determinismE0ELb1ES3_N6thrust23THRUST_200600_302600_NS6detail15normal_iteratorINS9_10device_ptrIxEEEESE_SE_iNS9_4plusIvEENS9_8equal_toIvEEiEE10hipError_tPvRmT2_T3_T4_T5_mT6_T7_P12ihipStream_tbENKUlT_T0_E_clISt17integral_constantIbLb0EESZ_EEDaSU_SV_EUlSU_E_NS1_11comp_targetILNS1_3genE10ELNS1_11target_archE1200ELNS1_3gpuE4ELNS1_3repE0EEENS1_30default_config_static_selectorELNS0_4arch9wavefront6targetE0EEEvT1_,"axG",@progbits,_ZN7rocprim17ROCPRIM_400000_NS6detail17trampoline_kernelINS0_14default_configENS1_27scan_by_key_config_selectorIxiEEZZNS1_16scan_by_key_implILNS1_25lookback_scan_determinismE0ELb1ES3_N6thrust23THRUST_200600_302600_NS6detail15normal_iteratorINS9_10device_ptrIxEEEESE_SE_iNS9_4plusIvEENS9_8equal_toIvEEiEE10hipError_tPvRmT2_T3_T4_T5_mT6_T7_P12ihipStream_tbENKUlT_T0_E_clISt17integral_constantIbLb0EESZ_EEDaSU_SV_EUlSU_E_NS1_11comp_targetILNS1_3genE10ELNS1_11target_archE1200ELNS1_3gpuE4ELNS1_3repE0EEENS1_30default_config_static_selectorELNS0_4arch9wavefront6targetE0EEEvT1_,comdat
	.protected	_ZN7rocprim17ROCPRIM_400000_NS6detail17trampoline_kernelINS0_14default_configENS1_27scan_by_key_config_selectorIxiEEZZNS1_16scan_by_key_implILNS1_25lookback_scan_determinismE0ELb1ES3_N6thrust23THRUST_200600_302600_NS6detail15normal_iteratorINS9_10device_ptrIxEEEESE_SE_iNS9_4plusIvEENS9_8equal_toIvEEiEE10hipError_tPvRmT2_T3_T4_T5_mT6_T7_P12ihipStream_tbENKUlT_T0_E_clISt17integral_constantIbLb0EESZ_EEDaSU_SV_EUlSU_E_NS1_11comp_targetILNS1_3genE10ELNS1_11target_archE1200ELNS1_3gpuE4ELNS1_3repE0EEENS1_30default_config_static_selectorELNS0_4arch9wavefront6targetE0EEEvT1_ ; -- Begin function _ZN7rocprim17ROCPRIM_400000_NS6detail17trampoline_kernelINS0_14default_configENS1_27scan_by_key_config_selectorIxiEEZZNS1_16scan_by_key_implILNS1_25lookback_scan_determinismE0ELb1ES3_N6thrust23THRUST_200600_302600_NS6detail15normal_iteratorINS9_10device_ptrIxEEEESE_SE_iNS9_4plusIvEENS9_8equal_toIvEEiEE10hipError_tPvRmT2_T3_T4_T5_mT6_T7_P12ihipStream_tbENKUlT_T0_E_clISt17integral_constantIbLb0EESZ_EEDaSU_SV_EUlSU_E_NS1_11comp_targetILNS1_3genE10ELNS1_11target_archE1200ELNS1_3gpuE4ELNS1_3repE0EEENS1_30default_config_static_selectorELNS0_4arch9wavefront6targetE0EEEvT1_
	.globl	_ZN7rocprim17ROCPRIM_400000_NS6detail17trampoline_kernelINS0_14default_configENS1_27scan_by_key_config_selectorIxiEEZZNS1_16scan_by_key_implILNS1_25lookback_scan_determinismE0ELb1ES3_N6thrust23THRUST_200600_302600_NS6detail15normal_iteratorINS9_10device_ptrIxEEEESE_SE_iNS9_4plusIvEENS9_8equal_toIvEEiEE10hipError_tPvRmT2_T3_T4_T5_mT6_T7_P12ihipStream_tbENKUlT_T0_E_clISt17integral_constantIbLb0EESZ_EEDaSU_SV_EUlSU_E_NS1_11comp_targetILNS1_3genE10ELNS1_11target_archE1200ELNS1_3gpuE4ELNS1_3repE0EEENS1_30default_config_static_selectorELNS0_4arch9wavefront6targetE0EEEvT1_
	.p2align	8
	.type	_ZN7rocprim17ROCPRIM_400000_NS6detail17trampoline_kernelINS0_14default_configENS1_27scan_by_key_config_selectorIxiEEZZNS1_16scan_by_key_implILNS1_25lookback_scan_determinismE0ELb1ES3_N6thrust23THRUST_200600_302600_NS6detail15normal_iteratorINS9_10device_ptrIxEEEESE_SE_iNS9_4plusIvEENS9_8equal_toIvEEiEE10hipError_tPvRmT2_T3_T4_T5_mT6_T7_P12ihipStream_tbENKUlT_T0_E_clISt17integral_constantIbLb0EESZ_EEDaSU_SV_EUlSU_E_NS1_11comp_targetILNS1_3genE10ELNS1_11target_archE1200ELNS1_3gpuE4ELNS1_3repE0EEENS1_30default_config_static_selectorELNS0_4arch9wavefront6targetE0EEEvT1_,@function
_ZN7rocprim17ROCPRIM_400000_NS6detail17trampoline_kernelINS0_14default_configENS1_27scan_by_key_config_selectorIxiEEZZNS1_16scan_by_key_implILNS1_25lookback_scan_determinismE0ELb1ES3_N6thrust23THRUST_200600_302600_NS6detail15normal_iteratorINS9_10device_ptrIxEEEESE_SE_iNS9_4plusIvEENS9_8equal_toIvEEiEE10hipError_tPvRmT2_T3_T4_T5_mT6_T7_P12ihipStream_tbENKUlT_T0_E_clISt17integral_constantIbLb0EESZ_EEDaSU_SV_EUlSU_E_NS1_11comp_targetILNS1_3genE10ELNS1_11target_archE1200ELNS1_3gpuE4ELNS1_3repE0EEENS1_30default_config_static_selectorELNS0_4arch9wavefront6targetE0EEEvT1_: ; @_ZN7rocprim17ROCPRIM_400000_NS6detail17trampoline_kernelINS0_14default_configENS1_27scan_by_key_config_selectorIxiEEZZNS1_16scan_by_key_implILNS1_25lookback_scan_determinismE0ELb1ES3_N6thrust23THRUST_200600_302600_NS6detail15normal_iteratorINS9_10device_ptrIxEEEESE_SE_iNS9_4plusIvEENS9_8equal_toIvEEiEE10hipError_tPvRmT2_T3_T4_T5_mT6_T7_P12ihipStream_tbENKUlT_T0_E_clISt17integral_constantIbLb0EESZ_EEDaSU_SV_EUlSU_E_NS1_11comp_targetILNS1_3genE10ELNS1_11target_archE1200ELNS1_3gpuE4ELNS1_3repE0EEENS1_30default_config_static_selectorELNS0_4arch9wavefront6targetE0EEEvT1_
; %bb.0:
	.section	.rodata,"a",@progbits
	.p2align	6, 0x0
	.amdhsa_kernel _ZN7rocprim17ROCPRIM_400000_NS6detail17trampoline_kernelINS0_14default_configENS1_27scan_by_key_config_selectorIxiEEZZNS1_16scan_by_key_implILNS1_25lookback_scan_determinismE0ELb1ES3_N6thrust23THRUST_200600_302600_NS6detail15normal_iteratorINS9_10device_ptrIxEEEESE_SE_iNS9_4plusIvEENS9_8equal_toIvEEiEE10hipError_tPvRmT2_T3_T4_T5_mT6_T7_P12ihipStream_tbENKUlT_T0_E_clISt17integral_constantIbLb0EESZ_EEDaSU_SV_EUlSU_E_NS1_11comp_targetILNS1_3genE10ELNS1_11target_archE1200ELNS1_3gpuE4ELNS1_3repE0EEENS1_30default_config_static_selectorELNS0_4arch9wavefront6targetE0EEEvT1_
		.amdhsa_group_segment_fixed_size 0
		.amdhsa_private_segment_fixed_size 0
		.amdhsa_kernarg_size 112
		.amdhsa_user_sgpr_count 2
		.amdhsa_user_sgpr_dispatch_ptr 0
		.amdhsa_user_sgpr_queue_ptr 0
		.amdhsa_user_sgpr_kernarg_segment_ptr 1
		.amdhsa_user_sgpr_dispatch_id 0
		.amdhsa_user_sgpr_kernarg_preload_length 0
		.amdhsa_user_sgpr_kernarg_preload_offset 0
		.amdhsa_user_sgpr_private_segment_size 0
		.amdhsa_wavefront_size32 1
		.amdhsa_uses_dynamic_stack 0
		.amdhsa_enable_private_segment 0
		.amdhsa_system_sgpr_workgroup_id_x 1
		.amdhsa_system_sgpr_workgroup_id_y 0
		.amdhsa_system_sgpr_workgroup_id_z 0
		.amdhsa_system_sgpr_workgroup_info 0
		.amdhsa_system_vgpr_workitem_id 0
		.amdhsa_next_free_vgpr 1
		.amdhsa_next_free_sgpr 1
		.amdhsa_named_barrier_count 0
		.amdhsa_reserve_vcc 0
		.amdhsa_float_round_mode_32 0
		.amdhsa_float_round_mode_16_64 0
		.amdhsa_float_denorm_mode_32 3
		.amdhsa_float_denorm_mode_16_64 3
		.amdhsa_fp16_overflow 0
		.amdhsa_memory_ordered 1
		.amdhsa_forward_progress 1
		.amdhsa_inst_pref_size 0
		.amdhsa_round_robin_scheduling 0
		.amdhsa_exception_fp_ieee_invalid_op 0
		.amdhsa_exception_fp_denorm_src 0
		.amdhsa_exception_fp_ieee_div_zero 0
		.amdhsa_exception_fp_ieee_overflow 0
		.amdhsa_exception_fp_ieee_underflow 0
		.amdhsa_exception_fp_ieee_inexact 0
		.amdhsa_exception_int_div_zero 0
	.end_amdhsa_kernel
	.section	.text._ZN7rocprim17ROCPRIM_400000_NS6detail17trampoline_kernelINS0_14default_configENS1_27scan_by_key_config_selectorIxiEEZZNS1_16scan_by_key_implILNS1_25lookback_scan_determinismE0ELb1ES3_N6thrust23THRUST_200600_302600_NS6detail15normal_iteratorINS9_10device_ptrIxEEEESE_SE_iNS9_4plusIvEENS9_8equal_toIvEEiEE10hipError_tPvRmT2_T3_T4_T5_mT6_T7_P12ihipStream_tbENKUlT_T0_E_clISt17integral_constantIbLb0EESZ_EEDaSU_SV_EUlSU_E_NS1_11comp_targetILNS1_3genE10ELNS1_11target_archE1200ELNS1_3gpuE4ELNS1_3repE0EEENS1_30default_config_static_selectorELNS0_4arch9wavefront6targetE0EEEvT1_,"axG",@progbits,_ZN7rocprim17ROCPRIM_400000_NS6detail17trampoline_kernelINS0_14default_configENS1_27scan_by_key_config_selectorIxiEEZZNS1_16scan_by_key_implILNS1_25lookback_scan_determinismE0ELb1ES3_N6thrust23THRUST_200600_302600_NS6detail15normal_iteratorINS9_10device_ptrIxEEEESE_SE_iNS9_4plusIvEENS9_8equal_toIvEEiEE10hipError_tPvRmT2_T3_T4_T5_mT6_T7_P12ihipStream_tbENKUlT_T0_E_clISt17integral_constantIbLb0EESZ_EEDaSU_SV_EUlSU_E_NS1_11comp_targetILNS1_3genE10ELNS1_11target_archE1200ELNS1_3gpuE4ELNS1_3repE0EEENS1_30default_config_static_selectorELNS0_4arch9wavefront6targetE0EEEvT1_,comdat
.Lfunc_end1008:
	.size	_ZN7rocprim17ROCPRIM_400000_NS6detail17trampoline_kernelINS0_14default_configENS1_27scan_by_key_config_selectorIxiEEZZNS1_16scan_by_key_implILNS1_25lookback_scan_determinismE0ELb1ES3_N6thrust23THRUST_200600_302600_NS6detail15normal_iteratorINS9_10device_ptrIxEEEESE_SE_iNS9_4plusIvEENS9_8equal_toIvEEiEE10hipError_tPvRmT2_T3_T4_T5_mT6_T7_P12ihipStream_tbENKUlT_T0_E_clISt17integral_constantIbLb0EESZ_EEDaSU_SV_EUlSU_E_NS1_11comp_targetILNS1_3genE10ELNS1_11target_archE1200ELNS1_3gpuE4ELNS1_3repE0EEENS1_30default_config_static_selectorELNS0_4arch9wavefront6targetE0EEEvT1_, .Lfunc_end1008-_ZN7rocprim17ROCPRIM_400000_NS6detail17trampoline_kernelINS0_14default_configENS1_27scan_by_key_config_selectorIxiEEZZNS1_16scan_by_key_implILNS1_25lookback_scan_determinismE0ELb1ES3_N6thrust23THRUST_200600_302600_NS6detail15normal_iteratorINS9_10device_ptrIxEEEESE_SE_iNS9_4plusIvEENS9_8equal_toIvEEiEE10hipError_tPvRmT2_T3_T4_T5_mT6_T7_P12ihipStream_tbENKUlT_T0_E_clISt17integral_constantIbLb0EESZ_EEDaSU_SV_EUlSU_E_NS1_11comp_targetILNS1_3genE10ELNS1_11target_archE1200ELNS1_3gpuE4ELNS1_3repE0EEENS1_30default_config_static_selectorELNS0_4arch9wavefront6targetE0EEEvT1_
                                        ; -- End function
	.set _ZN7rocprim17ROCPRIM_400000_NS6detail17trampoline_kernelINS0_14default_configENS1_27scan_by_key_config_selectorIxiEEZZNS1_16scan_by_key_implILNS1_25lookback_scan_determinismE0ELb1ES3_N6thrust23THRUST_200600_302600_NS6detail15normal_iteratorINS9_10device_ptrIxEEEESE_SE_iNS9_4plusIvEENS9_8equal_toIvEEiEE10hipError_tPvRmT2_T3_T4_T5_mT6_T7_P12ihipStream_tbENKUlT_T0_E_clISt17integral_constantIbLb0EESZ_EEDaSU_SV_EUlSU_E_NS1_11comp_targetILNS1_3genE10ELNS1_11target_archE1200ELNS1_3gpuE4ELNS1_3repE0EEENS1_30default_config_static_selectorELNS0_4arch9wavefront6targetE0EEEvT1_.num_vgpr, 0
	.set _ZN7rocprim17ROCPRIM_400000_NS6detail17trampoline_kernelINS0_14default_configENS1_27scan_by_key_config_selectorIxiEEZZNS1_16scan_by_key_implILNS1_25lookback_scan_determinismE0ELb1ES3_N6thrust23THRUST_200600_302600_NS6detail15normal_iteratorINS9_10device_ptrIxEEEESE_SE_iNS9_4plusIvEENS9_8equal_toIvEEiEE10hipError_tPvRmT2_T3_T4_T5_mT6_T7_P12ihipStream_tbENKUlT_T0_E_clISt17integral_constantIbLb0EESZ_EEDaSU_SV_EUlSU_E_NS1_11comp_targetILNS1_3genE10ELNS1_11target_archE1200ELNS1_3gpuE4ELNS1_3repE0EEENS1_30default_config_static_selectorELNS0_4arch9wavefront6targetE0EEEvT1_.num_agpr, 0
	.set _ZN7rocprim17ROCPRIM_400000_NS6detail17trampoline_kernelINS0_14default_configENS1_27scan_by_key_config_selectorIxiEEZZNS1_16scan_by_key_implILNS1_25lookback_scan_determinismE0ELb1ES3_N6thrust23THRUST_200600_302600_NS6detail15normal_iteratorINS9_10device_ptrIxEEEESE_SE_iNS9_4plusIvEENS9_8equal_toIvEEiEE10hipError_tPvRmT2_T3_T4_T5_mT6_T7_P12ihipStream_tbENKUlT_T0_E_clISt17integral_constantIbLb0EESZ_EEDaSU_SV_EUlSU_E_NS1_11comp_targetILNS1_3genE10ELNS1_11target_archE1200ELNS1_3gpuE4ELNS1_3repE0EEENS1_30default_config_static_selectorELNS0_4arch9wavefront6targetE0EEEvT1_.numbered_sgpr, 0
	.set _ZN7rocprim17ROCPRIM_400000_NS6detail17trampoline_kernelINS0_14default_configENS1_27scan_by_key_config_selectorIxiEEZZNS1_16scan_by_key_implILNS1_25lookback_scan_determinismE0ELb1ES3_N6thrust23THRUST_200600_302600_NS6detail15normal_iteratorINS9_10device_ptrIxEEEESE_SE_iNS9_4plusIvEENS9_8equal_toIvEEiEE10hipError_tPvRmT2_T3_T4_T5_mT6_T7_P12ihipStream_tbENKUlT_T0_E_clISt17integral_constantIbLb0EESZ_EEDaSU_SV_EUlSU_E_NS1_11comp_targetILNS1_3genE10ELNS1_11target_archE1200ELNS1_3gpuE4ELNS1_3repE0EEENS1_30default_config_static_selectorELNS0_4arch9wavefront6targetE0EEEvT1_.num_named_barrier, 0
	.set _ZN7rocprim17ROCPRIM_400000_NS6detail17trampoline_kernelINS0_14default_configENS1_27scan_by_key_config_selectorIxiEEZZNS1_16scan_by_key_implILNS1_25lookback_scan_determinismE0ELb1ES3_N6thrust23THRUST_200600_302600_NS6detail15normal_iteratorINS9_10device_ptrIxEEEESE_SE_iNS9_4plusIvEENS9_8equal_toIvEEiEE10hipError_tPvRmT2_T3_T4_T5_mT6_T7_P12ihipStream_tbENKUlT_T0_E_clISt17integral_constantIbLb0EESZ_EEDaSU_SV_EUlSU_E_NS1_11comp_targetILNS1_3genE10ELNS1_11target_archE1200ELNS1_3gpuE4ELNS1_3repE0EEENS1_30default_config_static_selectorELNS0_4arch9wavefront6targetE0EEEvT1_.private_seg_size, 0
	.set _ZN7rocprim17ROCPRIM_400000_NS6detail17trampoline_kernelINS0_14default_configENS1_27scan_by_key_config_selectorIxiEEZZNS1_16scan_by_key_implILNS1_25lookback_scan_determinismE0ELb1ES3_N6thrust23THRUST_200600_302600_NS6detail15normal_iteratorINS9_10device_ptrIxEEEESE_SE_iNS9_4plusIvEENS9_8equal_toIvEEiEE10hipError_tPvRmT2_T3_T4_T5_mT6_T7_P12ihipStream_tbENKUlT_T0_E_clISt17integral_constantIbLb0EESZ_EEDaSU_SV_EUlSU_E_NS1_11comp_targetILNS1_3genE10ELNS1_11target_archE1200ELNS1_3gpuE4ELNS1_3repE0EEENS1_30default_config_static_selectorELNS0_4arch9wavefront6targetE0EEEvT1_.uses_vcc, 0
	.set _ZN7rocprim17ROCPRIM_400000_NS6detail17trampoline_kernelINS0_14default_configENS1_27scan_by_key_config_selectorIxiEEZZNS1_16scan_by_key_implILNS1_25lookback_scan_determinismE0ELb1ES3_N6thrust23THRUST_200600_302600_NS6detail15normal_iteratorINS9_10device_ptrIxEEEESE_SE_iNS9_4plusIvEENS9_8equal_toIvEEiEE10hipError_tPvRmT2_T3_T4_T5_mT6_T7_P12ihipStream_tbENKUlT_T0_E_clISt17integral_constantIbLb0EESZ_EEDaSU_SV_EUlSU_E_NS1_11comp_targetILNS1_3genE10ELNS1_11target_archE1200ELNS1_3gpuE4ELNS1_3repE0EEENS1_30default_config_static_selectorELNS0_4arch9wavefront6targetE0EEEvT1_.uses_flat_scratch, 0
	.set _ZN7rocprim17ROCPRIM_400000_NS6detail17trampoline_kernelINS0_14default_configENS1_27scan_by_key_config_selectorIxiEEZZNS1_16scan_by_key_implILNS1_25lookback_scan_determinismE0ELb1ES3_N6thrust23THRUST_200600_302600_NS6detail15normal_iteratorINS9_10device_ptrIxEEEESE_SE_iNS9_4plusIvEENS9_8equal_toIvEEiEE10hipError_tPvRmT2_T3_T4_T5_mT6_T7_P12ihipStream_tbENKUlT_T0_E_clISt17integral_constantIbLb0EESZ_EEDaSU_SV_EUlSU_E_NS1_11comp_targetILNS1_3genE10ELNS1_11target_archE1200ELNS1_3gpuE4ELNS1_3repE0EEENS1_30default_config_static_selectorELNS0_4arch9wavefront6targetE0EEEvT1_.has_dyn_sized_stack, 0
	.set _ZN7rocprim17ROCPRIM_400000_NS6detail17trampoline_kernelINS0_14default_configENS1_27scan_by_key_config_selectorIxiEEZZNS1_16scan_by_key_implILNS1_25lookback_scan_determinismE0ELb1ES3_N6thrust23THRUST_200600_302600_NS6detail15normal_iteratorINS9_10device_ptrIxEEEESE_SE_iNS9_4plusIvEENS9_8equal_toIvEEiEE10hipError_tPvRmT2_T3_T4_T5_mT6_T7_P12ihipStream_tbENKUlT_T0_E_clISt17integral_constantIbLb0EESZ_EEDaSU_SV_EUlSU_E_NS1_11comp_targetILNS1_3genE10ELNS1_11target_archE1200ELNS1_3gpuE4ELNS1_3repE0EEENS1_30default_config_static_selectorELNS0_4arch9wavefront6targetE0EEEvT1_.has_recursion, 0
	.set _ZN7rocprim17ROCPRIM_400000_NS6detail17trampoline_kernelINS0_14default_configENS1_27scan_by_key_config_selectorIxiEEZZNS1_16scan_by_key_implILNS1_25lookback_scan_determinismE0ELb1ES3_N6thrust23THRUST_200600_302600_NS6detail15normal_iteratorINS9_10device_ptrIxEEEESE_SE_iNS9_4plusIvEENS9_8equal_toIvEEiEE10hipError_tPvRmT2_T3_T4_T5_mT6_T7_P12ihipStream_tbENKUlT_T0_E_clISt17integral_constantIbLb0EESZ_EEDaSU_SV_EUlSU_E_NS1_11comp_targetILNS1_3genE10ELNS1_11target_archE1200ELNS1_3gpuE4ELNS1_3repE0EEENS1_30default_config_static_selectorELNS0_4arch9wavefront6targetE0EEEvT1_.has_indirect_call, 0
	.section	.AMDGPU.csdata,"",@progbits
; Kernel info:
; codeLenInByte = 0
; TotalNumSgprs: 0
; NumVgprs: 0
; ScratchSize: 0
; MemoryBound: 0
; FloatMode: 240
; IeeeMode: 1
; LDSByteSize: 0 bytes/workgroup (compile time only)
; SGPRBlocks: 0
; VGPRBlocks: 0
; NumSGPRsForWavesPerEU: 1
; NumVGPRsForWavesPerEU: 1
; NamedBarCnt: 0
; Occupancy: 16
; WaveLimiterHint : 0
; COMPUTE_PGM_RSRC2:SCRATCH_EN: 0
; COMPUTE_PGM_RSRC2:USER_SGPR: 2
; COMPUTE_PGM_RSRC2:TRAP_HANDLER: 0
; COMPUTE_PGM_RSRC2:TGID_X_EN: 1
; COMPUTE_PGM_RSRC2:TGID_Y_EN: 0
; COMPUTE_PGM_RSRC2:TGID_Z_EN: 0
; COMPUTE_PGM_RSRC2:TIDIG_COMP_CNT: 0
	.section	.text._ZN7rocprim17ROCPRIM_400000_NS6detail17trampoline_kernelINS0_14default_configENS1_27scan_by_key_config_selectorIxiEEZZNS1_16scan_by_key_implILNS1_25lookback_scan_determinismE0ELb1ES3_N6thrust23THRUST_200600_302600_NS6detail15normal_iteratorINS9_10device_ptrIxEEEESE_SE_iNS9_4plusIvEENS9_8equal_toIvEEiEE10hipError_tPvRmT2_T3_T4_T5_mT6_T7_P12ihipStream_tbENKUlT_T0_E_clISt17integral_constantIbLb0EESZ_EEDaSU_SV_EUlSU_E_NS1_11comp_targetILNS1_3genE9ELNS1_11target_archE1100ELNS1_3gpuE3ELNS1_3repE0EEENS1_30default_config_static_selectorELNS0_4arch9wavefront6targetE0EEEvT1_,"axG",@progbits,_ZN7rocprim17ROCPRIM_400000_NS6detail17trampoline_kernelINS0_14default_configENS1_27scan_by_key_config_selectorIxiEEZZNS1_16scan_by_key_implILNS1_25lookback_scan_determinismE0ELb1ES3_N6thrust23THRUST_200600_302600_NS6detail15normal_iteratorINS9_10device_ptrIxEEEESE_SE_iNS9_4plusIvEENS9_8equal_toIvEEiEE10hipError_tPvRmT2_T3_T4_T5_mT6_T7_P12ihipStream_tbENKUlT_T0_E_clISt17integral_constantIbLb0EESZ_EEDaSU_SV_EUlSU_E_NS1_11comp_targetILNS1_3genE9ELNS1_11target_archE1100ELNS1_3gpuE3ELNS1_3repE0EEENS1_30default_config_static_selectorELNS0_4arch9wavefront6targetE0EEEvT1_,comdat
	.protected	_ZN7rocprim17ROCPRIM_400000_NS6detail17trampoline_kernelINS0_14default_configENS1_27scan_by_key_config_selectorIxiEEZZNS1_16scan_by_key_implILNS1_25lookback_scan_determinismE0ELb1ES3_N6thrust23THRUST_200600_302600_NS6detail15normal_iteratorINS9_10device_ptrIxEEEESE_SE_iNS9_4plusIvEENS9_8equal_toIvEEiEE10hipError_tPvRmT2_T3_T4_T5_mT6_T7_P12ihipStream_tbENKUlT_T0_E_clISt17integral_constantIbLb0EESZ_EEDaSU_SV_EUlSU_E_NS1_11comp_targetILNS1_3genE9ELNS1_11target_archE1100ELNS1_3gpuE3ELNS1_3repE0EEENS1_30default_config_static_selectorELNS0_4arch9wavefront6targetE0EEEvT1_ ; -- Begin function _ZN7rocprim17ROCPRIM_400000_NS6detail17trampoline_kernelINS0_14default_configENS1_27scan_by_key_config_selectorIxiEEZZNS1_16scan_by_key_implILNS1_25lookback_scan_determinismE0ELb1ES3_N6thrust23THRUST_200600_302600_NS6detail15normal_iteratorINS9_10device_ptrIxEEEESE_SE_iNS9_4plusIvEENS9_8equal_toIvEEiEE10hipError_tPvRmT2_T3_T4_T5_mT6_T7_P12ihipStream_tbENKUlT_T0_E_clISt17integral_constantIbLb0EESZ_EEDaSU_SV_EUlSU_E_NS1_11comp_targetILNS1_3genE9ELNS1_11target_archE1100ELNS1_3gpuE3ELNS1_3repE0EEENS1_30default_config_static_selectorELNS0_4arch9wavefront6targetE0EEEvT1_
	.globl	_ZN7rocprim17ROCPRIM_400000_NS6detail17trampoline_kernelINS0_14default_configENS1_27scan_by_key_config_selectorIxiEEZZNS1_16scan_by_key_implILNS1_25lookback_scan_determinismE0ELb1ES3_N6thrust23THRUST_200600_302600_NS6detail15normal_iteratorINS9_10device_ptrIxEEEESE_SE_iNS9_4plusIvEENS9_8equal_toIvEEiEE10hipError_tPvRmT2_T3_T4_T5_mT6_T7_P12ihipStream_tbENKUlT_T0_E_clISt17integral_constantIbLb0EESZ_EEDaSU_SV_EUlSU_E_NS1_11comp_targetILNS1_3genE9ELNS1_11target_archE1100ELNS1_3gpuE3ELNS1_3repE0EEENS1_30default_config_static_selectorELNS0_4arch9wavefront6targetE0EEEvT1_
	.p2align	8
	.type	_ZN7rocprim17ROCPRIM_400000_NS6detail17trampoline_kernelINS0_14default_configENS1_27scan_by_key_config_selectorIxiEEZZNS1_16scan_by_key_implILNS1_25lookback_scan_determinismE0ELb1ES3_N6thrust23THRUST_200600_302600_NS6detail15normal_iteratorINS9_10device_ptrIxEEEESE_SE_iNS9_4plusIvEENS9_8equal_toIvEEiEE10hipError_tPvRmT2_T3_T4_T5_mT6_T7_P12ihipStream_tbENKUlT_T0_E_clISt17integral_constantIbLb0EESZ_EEDaSU_SV_EUlSU_E_NS1_11comp_targetILNS1_3genE9ELNS1_11target_archE1100ELNS1_3gpuE3ELNS1_3repE0EEENS1_30default_config_static_selectorELNS0_4arch9wavefront6targetE0EEEvT1_,@function
_ZN7rocprim17ROCPRIM_400000_NS6detail17trampoline_kernelINS0_14default_configENS1_27scan_by_key_config_selectorIxiEEZZNS1_16scan_by_key_implILNS1_25lookback_scan_determinismE0ELb1ES3_N6thrust23THRUST_200600_302600_NS6detail15normal_iteratorINS9_10device_ptrIxEEEESE_SE_iNS9_4plusIvEENS9_8equal_toIvEEiEE10hipError_tPvRmT2_T3_T4_T5_mT6_T7_P12ihipStream_tbENKUlT_T0_E_clISt17integral_constantIbLb0EESZ_EEDaSU_SV_EUlSU_E_NS1_11comp_targetILNS1_3genE9ELNS1_11target_archE1100ELNS1_3gpuE3ELNS1_3repE0EEENS1_30default_config_static_selectorELNS0_4arch9wavefront6targetE0EEEvT1_: ; @_ZN7rocprim17ROCPRIM_400000_NS6detail17trampoline_kernelINS0_14default_configENS1_27scan_by_key_config_selectorIxiEEZZNS1_16scan_by_key_implILNS1_25lookback_scan_determinismE0ELb1ES3_N6thrust23THRUST_200600_302600_NS6detail15normal_iteratorINS9_10device_ptrIxEEEESE_SE_iNS9_4plusIvEENS9_8equal_toIvEEiEE10hipError_tPvRmT2_T3_T4_T5_mT6_T7_P12ihipStream_tbENKUlT_T0_E_clISt17integral_constantIbLb0EESZ_EEDaSU_SV_EUlSU_E_NS1_11comp_targetILNS1_3genE9ELNS1_11target_archE1100ELNS1_3gpuE3ELNS1_3repE0EEENS1_30default_config_static_selectorELNS0_4arch9wavefront6targetE0EEEvT1_
; %bb.0:
	.section	.rodata,"a",@progbits
	.p2align	6, 0x0
	.amdhsa_kernel _ZN7rocprim17ROCPRIM_400000_NS6detail17trampoline_kernelINS0_14default_configENS1_27scan_by_key_config_selectorIxiEEZZNS1_16scan_by_key_implILNS1_25lookback_scan_determinismE0ELb1ES3_N6thrust23THRUST_200600_302600_NS6detail15normal_iteratorINS9_10device_ptrIxEEEESE_SE_iNS9_4plusIvEENS9_8equal_toIvEEiEE10hipError_tPvRmT2_T3_T4_T5_mT6_T7_P12ihipStream_tbENKUlT_T0_E_clISt17integral_constantIbLb0EESZ_EEDaSU_SV_EUlSU_E_NS1_11comp_targetILNS1_3genE9ELNS1_11target_archE1100ELNS1_3gpuE3ELNS1_3repE0EEENS1_30default_config_static_selectorELNS0_4arch9wavefront6targetE0EEEvT1_
		.amdhsa_group_segment_fixed_size 0
		.amdhsa_private_segment_fixed_size 0
		.amdhsa_kernarg_size 112
		.amdhsa_user_sgpr_count 2
		.amdhsa_user_sgpr_dispatch_ptr 0
		.amdhsa_user_sgpr_queue_ptr 0
		.amdhsa_user_sgpr_kernarg_segment_ptr 1
		.amdhsa_user_sgpr_dispatch_id 0
		.amdhsa_user_sgpr_kernarg_preload_length 0
		.amdhsa_user_sgpr_kernarg_preload_offset 0
		.amdhsa_user_sgpr_private_segment_size 0
		.amdhsa_wavefront_size32 1
		.amdhsa_uses_dynamic_stack 0
		.amdhsa_enable_private_segment 0
		.amdhsa_system_sgpr_workgroup_id_x 1
		.amdhsa_system_sgpr_workgroup_id_y 0
		.amdhsa_system_sgpr_workgroup_id_z 0
		.amdhsa_system_sgpr_workgroup_info 0
		.amdhsa_system_vgpr_workitem_id 0
		.amdhsa_next_free_vgpr 1
		.amdhsa_next_free_sgpr 1
		.amdhsa_named_barrier_count 0
		.amdhsa_reserve_vcc 0
		.amdhsa_float_round_mode_32 0
		.amdhsa_float_round_mode_16_64 0
		.amdhsa_float_denorm_mode_32 3
		.amdhsa_float_denorm_mode_16_64 3
		.amdhsa_fp16_overflow 0
		.amdhsa_memory_ordered 1
		.amdhsa_forward_progress 1
		.amdhsa_inst_pref_size 0
		.amdhsa_round_robin_scheduling 0
		.amdhsa_exception_fp_ieee_invalid_op 0
		.amdhsa_exception_fp_denorm_src 0
		.amdhsa_exception_fp_ieee_div_zero 0
		.amdhsa_exception_fp_ieee_overflow 0
		.amdhsa_exception_fp_ieee_underflow 0
		.amdhsa_exception_fp_ieee_inexact 0
		.amdhsa_exception_int_div_zero 0
	.end_amdhsa_kernel
	.section	.text._ZN7rocprim17ROCPRIM_400000_NS6detail17trampoline_kernelINS0_14default_configENS1_27scan_by_key_config_selectorIxiEEZZNS1_16scan_by_key_implILNS1_25lookback_scan_determinismE0ELb1ES3_N6thrust23THRUST_200600_302600_NS6detail15normal_iteratorINS9_10device_ptrIxEEEESE_SE_iNS9_4plusIvEENS9_8equal_toIvEEiEE10hipError_tPvRmT2_T3_T4_T5_mT6_T7_P12ihipStream_tbENKUlT_T0_E_clISt17integral_constantIbLb0EESZ_EEDaSU_SV_EUlSU_E_NS1_11comp_targetILNS1_3genE9ELNS1_11target_archE1100ELNS1_3gpuE3ELNS1_3repE0EEENS1_30default_config_static_selectorELNS0_4arch9wavefront6targetE0EEEvT1_,"axG",@progbits,_ZN7rocprim17ROCPRIM_400000_NS6detail17trampoline_kernelINS0_14default_configENS1_27scan_by_key_config_selectorIxiEEZZNS1_16scan_by_key_implILNS1_25lookback_scan_determinismE0ELb1ES3_N6thrust23THRUST_200600_302600_NS6detail15normal_iteratorINS9_10device_ptrIxEEEESE_SE_iNS9_4plusIvEENS9_8equal_toIvEEiEE10hipError_tPvRmT2_T3_T4_T5_mT6_T7_P12ihipStream_tbENKUlT_T0_E_clISt17integral_constantIbLb0EESZ_EEDaSU_SV_EUlSU_E_NS1_11comp_targetILNS1_3genE9ELNS1_11target_archE1100ELNS1_3gpuE3ELNS1_3repE0EEENS1_30default_config_static_selectorELNS0_4arch9wavefront6targetE0EEEvT1_,comdat
.Lfunc_end1009:
	.size	_ZN7rocprim17ROCPRIM_400000_NS6detail17trampoline_kernelINS0_14default_configENS1_27scan_by_key_config_selectorIxiEEZZNS1_16scan_by_key_implILNS1_25lookback_scan_determinismE0ELb1ES3_N6thrust23THRUST_200600_302600_NS6detail15normal_iteratorINS9_10device_ptrIxEEEESE_SE_iNS9_4plusIvEENS9_8equal_toIvEEiEE10hipError_tPvRmT2_T3_T4_T5_mT6_T7_P12ihipStream_tbENKUlT_T0_E_clISt17integral_constantIbLb0EESZ_EEDaSU_SV_EUlSU_E_NS1_11comp_targetILNS1_3genE9ELNS1_11target_archE1100ELNS1_3gpuE3ELNS1_3repE0EEENS1_30default_config_static_selectorELNS0_4arch9wavefront6targetE0EEEvT1_, .Lfunc_end1009-_ZN7rocprim17ROCPRIM_400000_NS6detail17trampoline_kernelINS0_14default_configENS1_27scan_by_key_config_selectorIxiEEZZNS1_16scan_by_key_implILNS1_25lookback_scan_determinismE0ELb1ES3_N6thrust23THRUST_200600_302600_NS6detail15normal_iteratorINS9_10device_ptrIxEEEESE_SE_iNS9_4plusIvEENS9_8equal_toIvEEiEE10hipError_tPvRmT2_T3_T4_T5_mT6_T7_P12ihipStream_tbENKUlT_T0_E_clISt17integral_constantIbLb0EESZ_EEDaSU_SV_EUlSU_E_NS1_11comp_targetILNS1_3genE9ELNS1_11target_archE1100ELNS1_3gpuE3ELNS1_3repE0EEENS1_30default_config_static_selectorELNS0_4arch9wavefront6targetE0EEEvT1_
                                        ; -- End function
	.set _ZN7rocprim17ROCPRIM_400000_NS6detail17trampoline_kernelINS0_14default_configENS1_27scan_by_key_config_selectorIxiEEZZNS1_16scan_by_key_implILNS1_25lookback_scan_determinismE0ELb1ES3_N6thrust23THRUST_200600_302600_NS6detail15normal_iteratorINS9_10device_ptrIxEEEESE_SE_iNS9_4plusIvEENS9_8equal_toIvEEiEE10hipError_tPvRmT2_T3_T4_T5_mT6_T7_P12ihipStream_tbENKUlT_T0_E_clISt17integral_constantIbLb0EESZ_EEDaSU_SV_EUlSU_E_NS1_11comp_targetILNS1_3genE9ELNS1_11target_archE1100ELNS1_3gpuE3ELNS1_3repE0EEENS1_30default_config_static_selectorELNS0_4arch9wavefront6targetE0EEEvT1_.num_vgpr, 0
	.set _ZN7rocprim17ROCPRIM_400000_NS6detail17trampoline_kernelINS0_14default_configENS1_27scan_by_key_config_selectorIxiEEZZNS1_16scan_by_key_implILNS1_25lookback_scan_determinismE0ELb1ES3_N6thrust23THRUST_200600_302600_NS6detail15normal_iteratorINS9_10device_ptrIxEEEESE_SE_iNS9_4plusIvEENS9_8equal_toIvEEiEE10hipError_tPvRmT2_T3_T4_T5_mT6_T7_P12ihipStream_tbENKUlT_T0_E_clISt17integral_constantIbLb0EESZ_EEDaSU_SV_EUlSU_E_NS1_11comp_targetILNS1_3genE9ELNS1_11target_archE1100ELNS1_3gpuE3ELNS1_3repE0EEENS1_30default_config_static_selectorELNS0_4arch9wavefront6targetE0EEEvT1_.num_agpr, 0
	.set _ZN7rocprim17ROCPRIM_400000_NS6detail17trampoline_kernelINS0_14default_configENS1_27scan_by_key_config_selectorIxiEEZZNS1_16scan_by_key_implILNS1_25lookback_scan_determinismE0ELb1ES3_N6thrust23THRUST_200600_302600_NS6detail15normal_iteratorINS9_10device_ptrIxEEEESE_SE_iNS9_4plusIvEENS9_8equal_toIvEEiEE10hipError_tPvRmT2_T3_T4_T5_mT6_T7_P12ihipStream_tbENKUlT_T0_E_clISt17integral_constantIbLb0EESZ_EEDaSU_SV_EUlSU_E_NS1_11comp_targetILNS1_3genE9ELNS1_11target_archE1100ELNS1_3gpuE3ELNS1_3repE0EEENS1_30default_config_static_selectorELNS0_4arch9wavefront6targetE0EEEvT1_.numbered_sgpr, 0
	.set _ZN7rocprim17ROCPRIM_400000_NS6detail17trampoline_kernelINS0_14default_configENS1_27scan_by_key_config_selectorIxiEEZZNS1_16scan_by_key_implILNS1_25lookback_scan_determinismE0ELb1ES3_N6thrust23THRUST_200600_302600_NS6detail15normal_iteratorINS9_10device_ptrIxEEEESE_SE_iNS9_4plusIvEENS9_8equal_toIvEEiEE10hipError_tPvRmT2_T3_T4_T5_mT6_T7_P12ihipStream_tbENKUlT_T0_E_clISt17integral_constantIbLb0EESZ_EEDaSU_SV_EUlSU_E_NS1_11comp_targetILNS1_3genE9ELNS1_11target_archE1100ELNS1_3gpuE3ELNS1_3repE0EEENS1_30default_config_static_selectorELNS0_4arch9wavefront6targetE0EEEvT1_.num_named_barrier, 0
	.set _ZN7rocprim17ROCPRIM_400000_NS6detail17trampoline_kernelINS0_14default_configENS1_27scan_by_key_config_selectorIxiEEZZNS1_16scan_by_key_implILNS1_25lookback_scan_determinismE0ELb1ES3_N6thrust23THRUST_200600_302600_NS6detail15normal_iteratorINS9_10device_ptrIxEEEESE_SE_iNS9_4plusIvEENS9_8equal_toIvEEiEE10hipError_tPvRmT2_T3_T4_T5_mT6_T7_P12ihipStream_tbENKUlT_T0_E_clISt17integral_constantIbLb0EESZ_EEDaSU_SV_EUlSU_E_NS1_11comp_targetILNS1_3genE9ELNS1_11target_archE1100ELNS1_3gpuE3ELNS1_3repE0EEENS1_30default_config_static_selectorELNS0_4arch9wavefront6targetE0EEEvT1_.private_seg_size, 0
	.set _ZN7rocprim17ROCPRIM_400000_NS6detail17trampoline_kernelINS0_14default_configENS1_27scan_by_key_config_selectorIxiEEZZNS1_16scan_by_key_implILNS1_25lookback_scan_determinismE0ELb1ES3_N6thrust23THRUST_200600_302600_NS6detail15normal_iteratorINS9_10device_ptrIxEEEESE_SE_iNS9_4plusIvEENS9_8equal_toIvEEiEE10hipError_tPvRmT2_T3_T4_T5_mT6_T7_P12ihipStream_tbENKUlT_T0_E_clISt17integral_constantIbLb0EESZ_EEDaSU_SV_EUlSU_E_NS1_11comp_targetILNS1_3genE9ELNS1_11target_archE1100ELNS1_3gpuE3ELNS1_3repE0EEENS1_30default_config_static_selectorELNS0_4arch9wavefront6targetE0EEEvT1_.uses_vcc, 0
	.set _ZN7rocprim17ROCPRIM_400000_NS6detail17trampoline_kernelINS0_14default_configENS1_27scan_by_key_config_selectorIxiEEZZNS1_16scan_by_key_implILNS1_25lookback_scan_determinismE0ELb1ES3_N6thrust23THRUST_200600_302600_NS6detail15normal_iteratorINS9_10device_ptrIxEEEESE_SE_iNS9_4plusIvEENS9_8equal_toIvEEiEE10hipError_tPvRmT2_T3_T4_T5_mT6_T7_P12ihipStream_tbENKUlT_T0_E_clISt17integral_constantIbLb0EESZ_EEDaSU_SV_EUlSU_E_NS1_11comp_targetILNS1_3genE9ELNS1_11target_archE1100ELNS1_3gpuE3ELNS1_3repE0EEENS1_30default_config_static_selectorELNS0_4arch9wavefront6targetE0EEEvT1_.uses_flat_scratch, 0
	.set _ZN7rocprim17ROCPRIM_400000_NS6detail17trampoline_kernelINS0_14default_configENS1_27scan_by_key_config_selectorIxiEEZZNS1_16scan_by_key_implILNS1_25lookback_scan_determinismE0ELb1ES3_N6thrust23THRUST_200600_302600_NS6detail15normal_iteratorINS9_10device_ptrIxEEEESE_SE_iNS9_4plusIvEENS9_8equal_toIvEEiEE10hipError_tPvRmT2_T3_T4_T5_mT6_T7_P12ihipStream_tbENKUlT_T0_E_clISt17integral_constantIbLb0EESZ_EEDaSU_SV_EUlSU_E_NS1_11comp_targetILNS1_3genE9ELNS1_11target_archE1100ELNS1_3gpuE3ELNS1_3repE0EEENS1_30default_config_static_selectorELNS0_4arch9wavefront6targetE0EEEvT1_.has_dyn_sized_stack, 0
	.set _ZN7rocprim17ROCPRIM_400000_NS6detail17trampoline_kernelINS0_14default_configENS1_27scan_by_key_config_selectorIxiEEZZNS1_16scan_by_key_implILNS1_25lookback_scan_determinismE0ELb1ES3_N6thrust23THRUST_200600_302600_NS6detail15normal_iteratorINS9_10device_ptrIxEEEESE_SE_iNS9_4plusIvEENS9_8equal_toIvEEiEE10hipError_tPvRmT2_T3_T4_T5_mT6_T7_P12ihipStream_tbENKUlT_T0_E_clISt17integral_constantIbLb0EESZ_EEDaSU_SV_EUlSU_E_NS1_11comp_targetILNS1_3genE9ELNS1_11target_archE1100ELNS1_3gpuE3ELNS1_3repE0EEENS1_30default_config_static_selectorELNS0_4arch9wavefront6targetE0EEEvT1_.has_recursion, 0
	.set _ZN7rocprim17ROCPRIM_400000_NS6detail17trampoline_kernelINS0_14default_configENS1_27scan_by_key_config_selectorIxiEEZZNS1_16scan_by_key_implILNS1_25lookback_scan_determinismE0ELb1ES3_N6thrust23THRUST_200600_302600_NS6detail15normal_iteratorINS9_10device_ptrIxEEEESE_SE_iNS9_4plusIvEENS9_8equal_toIvEEiEE10hipError_tPvRmT2_T3_T4_T5_mT6_T7_P12ihipStream_tbENKUlT_T0_E_clISt17integral_constantIbLb0EESZ_EEDaSU_SV_EUlSU_E_NS1_11comp_targetILNS1_3genE9ELNS1_11target_archE1100ELNS1_3gpuE3ELNS1_3repE0EEENS1_30default_config_static_selectorELNS0_4arch9wavefront6targetE0EEEvT1_.has_indirect_call, 0
	.section	.AMDGPU.csdata,"",@progbits
; Kernel info:
; codeLenInByte = 0
; TotalNumSgprs: 0
; NumVgprs: 0
; ScratchSize: 0
; MemoryBound: 0
; FloatMode: 240
; IeeeMode: 1
; LDSByteSize: 0 bytes/workgroup (compile time only)
; SGPRBlocks: 0
; VGPRBlocks: 0
; NumSGPRsForWavesPerEU: 1
; NumVGPRsForWavesPerEU: 1
; NamedBarCnt: 0
; Occupancy: 16
; WaveLimiterHint : 0
; COMPUTE_PGM_RSRC2:SCRATCH_EN: 0
; COMPUTE_PGM_RSRC2:USER_SGPR: 2
; COMPUTE_PGM_RSRC2:TRAP_HANDLER: 0
; COMPUTE_PGM_RSRC2:TGID_X_EN: 1
; COMPUTE_PGM_RSRC2:TGID_Y_EN: 0
; COMPUTE_PGM_RSRC2:TGID_Z_EN: 0
; COMPUTE_PGM_RSRC2:TIDIG_COMP_CNT: 0
	.section	.text._ZN7rocprim17ROCPRIM_400000_NS6detail17trampoline_kernelINS0_14default_configENS1_27scan_by_key_config_selectorIxiEEZZNS1_16scan_by_key_implILNS1_25lookback_scan_determinismE0ELb1ES3_N6thrust23THRUST_200600_302600_NS6detail15normal_iteratorINS9_10device_ptrIxEEEESE_SE_iNS9_4plusIvEENS9_8equal_toIvEEiEE10hipError_tPvRmT2_T3_T4_T5_mT6_T7_P12ihipStream_tbENKUlT_T0_E_clISt17integral_constantIbLb0EESZ_EEDaSU_SV_EUlSU_E_NS1_11comp_targetILNS1_3genE8ELNS1_11target_archE1030ELNS1_3gpuE2ELNS1_3repE0EEENS1_30default_config_static_selectorELNS0_4arch9wavefront6targetE0EEEvT1_,"axG",@progbits,_ZN7rocprim17ROCPRIM_400000_NS6detail17trampoline_kernelINS0_14default_configENS1_27scan_by_key_config_selectorIxiEEZZNS1_16scan_by_key_implILNS1_25lookback_scan_determinismE0ELb1ES3_N6thrust23THRUST_200600_302600_NS6detail15normal_iteratorINS9_10device_ptrIxEEEESE_SE_iNS9_4plusIvEENS9_8equal_toIvEEiEE10hipError_tPvRmT2_T3_T4_T5_mT6_T7_P12ihipStream_tbENKUlT_T0_E_clISt17integral_constantIbLb0EESZ_EEDaSU_SV_EUlSU_E_NS1_11comp_targetILNS1_3genE8ELNS1_11target_archE1030ELNS1_3gpuE2ELNS1_3repE0EEENS1_30default_config_static_selectorELNS0_4arch9wavefront6targetE0EEEvT1_,comdat
	.protected	_ZN7rocprim17ROCPRIM_400000_NS6detail17trampoline_kernelINS0_14default_configENS1_27scan_by_key_config_selectorIxiEEZZNS1_16scan_by_key_implILNS1_25lookback_scan_determinismE0ELb1ES3_N6thrust23THRUST_200600_302600_NS6detail15normal_iteratorINS9_10device_ptrIxEEEESE_SE_iNS9_4plusIvEENS9_8equal_toIvEEiEE10hipError_tPvRmT2_T3_T4_T5_mT6_T7_P12ihipStream_tbENKUlT_T0_E_clISt17integral_constantIbLb0EESZ_EEDaSU_SV_EUlSU_E_NS1_11comp_targetILNS1_3genE8ELNS1_11target_archE1030ELNS1_3gpuE2ELNS1_3repE0EEENS1_30default_config_static_selectorELNS0_4arch9wavefront6targetE0EEEvT1_ ; -- Begin function _ZN7rocprim17ROCPRIM_400000_NS6detail17trampoline_kernelINS0_14default_configENS1_27scan_by_key_config_selectorIxiEEZZNS1_16scan_by_key_implILNS1_25lookback_scan_determinismE0ELb1ES3_N6thrust23THRUST_200600_302600_NS6detail15normal_iteratorINS9_10device_ptrIxEEEESE_SE_iNS9_4plusIvEENS9_8equal_toIvEEiEE10hipError_tPvRmT2_T3_T4_T5_mT6_T7_P12ihipStream_tbENKUlT_T0_E_clISt17integral_constantIbLb0EESZ_EEDaSU_SV_EUlSU_E_NS1_11comp_targetILNS1_3genE8ELNS1_11target_archE1030ELNS1_3gpuE2ELNS1_3repE0EEENS1_30default_config_static_selectorELNS0_4arch9wavefront6targetE0EEEvT1_
	.globl	_ZN7rocprim17ROCPRIM_400000_NS6detail17trampoline_kernelINS0_14default_configENS1_27scan_by_key_config_selectorIxiEEZZNS1_16scan_by_key_implILNS1_25lookback_scan_determinismE0ELb1ES3_N6thrust23THRUST_200600_302600_NS6detail15normal_iteratorINS9_10device_ptrIxEEEESE_SE_iNS9_4plusIvEENS9_8equal_toIvEEiEE10hipError_tPvRmT2_T3_T4_T5_mT6_T7_P12ihipStream_tbENKUlT_T0_E_clISt17integral_constantIbLb0EESZ_EEDaSU_SV_EUlSU_E_NS1_11comp_targetILNS1_3genE8ELNS1_11target_archE1030ELNS1_3gpuE2ELNS1_3repE0EEENS1_30default_config_static_selectorELNS0_4arch9wavefront6targetE0EEEvT1_
	.p2align	8
	.type	_ZN7rocprim17ROCPRIM_400000_NS6detail17trampoline_kernelINS0_14default_configENS1_27scan_by_key_config_selectorIxiEEZZNS1_16scan_by_key_implILNS1_25lookback_scan_determinismE0ELb1ES3_N6thrust23THRUST_200600_302600_NS6detail15normal_iteratorINS9_10device_ptrIxEEEESE_SE_iNS9_4plusIvEENS9_8equal_toIvEEiEE10hipError_tPvRmT2_T3_T4_T5_mT6_T7_P12ihipStream_tbENKUlT_T0_E_clISt17integral_constantIbLb0EESZ_EEDaSU_SV_EUlSU_E_NS1_11comp_targetILNS1_3genE8ELNS1_11target_archE1030ELNS1_3gpuE2ELNS1_3repE0EEENS1_30default_config_static_selectorELNS0_4arch9wavefront6targetE0EEEvT1_,@function
_ZN7rocprim17ROCPRIM_400000_NS6detail17trampoline_kernelINS0_14default_configENS1_27scan_by_key_config_selectorIxiEEZZNS1_16scan_by_key_implILNS1_25lookback_scan_determinismE0ELb1ES3_N6thrust23THRUST_200600_302600_NS6detail15normal_iteratorINS9_10device_ptrIxEEEESE_SE_iNS9_4plusIvEENS9_8equal_toIvEEiEE10hipError_tPvRmT2_T3_T4_T5_mT6_T7_P12ihipStream_tbENKUlT_T0_E_clISt17integral_constantIbLb0EESZ_EEDaSU_SV_EUlSU_E_NS1_11comp_targetILNS1_3genE8ELNS1_11target_archE1030ELNS1_3gpuE2ELNS1_3repE0EEENS1_30default_config_static_selectorELNS0_4arch9wavefront6targetE0EEEvT1_: ; @_ZN7rocprim17ROCPRIM_400000_NS6detail17trampoline_kernelINS0_14default_configENS1_27scan_by_key_config_selectorIxiEEZZNS1_16scan_by_key_implILNS1_25lookback_scan_determinismE0ELb1ES3_N6thrust23THRUST_200600_302600_NS6detail15normal_iteratorINS9_10device_ptrIxEEEESE_SE_iNS9_4plusIvEENS9_8equal_toIvEEiEE10hipError_tPvRmT2_T3_T4_T5_mT6_T7_P12ihipStream_tbENKUlT_T0_E_clISt17integral_constantIbLb0EESZ_EEDaSU_SV_EUlSU_E_NS1_11comp_targetILNS1_3genE8ELNS1_11target_archE1030ELNS1_3gpuE2ELNS1_3repE0EEENS1_30default_config_static_selectorELNS0_4arch9wavefront6targetE0EEEvT1_
; %bb.0:
	.section	.rodata,"a",@progbits
	.p2align	6, 0x0
	.amdhsa_kernel _ZN7rocprim17ROCPRIM_400000_NS6detail17trampoline_kernelINS0_14default_configENS1_27scan_by_key_config_selectorIxiEEZZNS1_16scan_by_key_implILNS1_25lookback_scan_determinismE0ELb1ES3_N6thrust23THRUST_200600_302600_NS6detail15normal_iteratorINS9_10device_ptrIxEEEESE_SE_iNS9_4plusIvEENS9_8equal_toIvEEiEE10hipError_tPvRmT2_T3_T4_T5_mT6_T7_P12ihipStream_tbENKUlT_T0_E_clISt17integral_constantIbLb0EESZ_EEDaSU_SV_EUlSU_E_NS1_11comp_targetILNS1_3genE8ELNS1_11target_archE1030ELNS1_3gpuE2ELNS1_3repE0EEENS1_30default_config_static_selectorELNS0_4arch9wavefront6targetE0EEEvT1_
		.amdhsa_group_segment_fixed_size 0
		.amdhsa_private_segment_fixed_size 0
		.amdhsa_kernarg_size 112
		.amdhsa_user_sgpr_count 2
		.amdhsa_user_sgpr_dispatch_ptr 0
		.amdhsa_user_sgpr_queue_ptr 0
		.amdhsa_user_sgpr_kernarg_segment_ptr 1
		.amdhsa_user_sgpr_dispatch_id 0
		.amdhsa_user_sgpr_kernarg_preload_length 0
		.amdhsa_user_sgpr_kernarg_preload_offset 0
		.amdhsa_user_sgpr_private_segment_size 0
		.amdhsa_wavefront_size32 1
		.amdhsa_uses_dynamic_stack 0
		.amdhsa_enable_private_segment 0
		.amdhsa_system_sgpr_workgroup_id_x 1
		.amdhsa_system_sgpr_workgroup_id_y 0
		.amdhsa_system_sgpr_workgroup_id_z 0
		.amdhsa_system_sgpr_workgroup_info 0
		.amdhsa_system_vgpr_workitem_id 0
		.amdhsa_next_free_vgpr 1
		.amdhsa_next_free_sgpr 1
		.amdhsa_named_barrier_count 0
		.amdhsa_reserve_vcc 0
		.amdhsa_float_round_mode_32 0
		.amdhsa_float_round_mode_16_64 0
		.amdhsa_float_denorm_mode_32 3
		.amdhsa_float_denorm_mode_16_64 3
		.amdhsa_fp16_overflow 0
		.amdhsa_memory_ordered 1
		.amdhsa_forward_progress 1
		.amdhsa_inst_pref_size 0
		.amdhsa_round_robin_scheduling 0
		.amdhsa_exception_fp_ieee_invalid_op 0
		.amdhsa_exception_fp_denorm_src 0
		.amdhsa_exception_fp_ieee_div_zero 0
		.amdhsa_exception_fp_ieee_overflow 0
		.amdhsa_exception_fp_ieee_underflow 0
		.amdhsa_exception_fp_ieee_inexact 0
		.amdhsa_exception_int_div_zero 0
	.end_amdhsa_kernel
	.section	.text._ZN7rocprim17ROCPRIM_400000_NS6detail17trampoline_kernelINS0_14default_configENS1_27scan_by_key_config_selectorIxiEEZZNS1_16scan_by_key_implILNS1_25lookback_scan_determinismE0ELb1ES3_N6thrust23THRUST_200600_302600_NS6detail15normal_iteratorINS9_10device_ptrIxEEEESE_SE_iNS9_4plusIvEENS9_8equal_toIvEEiEE10hipError_tPvRmT2_T3_T4_T5_mT6_T7_P12ihipStream_tbENKUlT_T0_E_clISt17integral_constantIbLb0EESZ_EEDaSU_SV_EUlSU_E_NS1_11comp_targetILNS1_3genE8ELNS1_11target_archE1030ELNS1_3gpuE2ELNS1_3repE0EEENS1_30default_config_static_selectorELNS0_4arch9wavefront6targetE0EEEvT1_,"axG",@progbits,_ZN7rocprim17ROCPRIM_400000_NS6detail17trampoline_kernelINS0_14default_configENS1_27scan_by_key_config_selectorIxiEEZZNS1_16scan_by_key_implILNS1_25lookback_scan_determinismE0ELb1ES3_N6thrust23THRUST_200600_302600_NS6detail15normal_iteratorINS9_10device_ptrIxEEEESE_SE_iNS9_4plusIvEENS9_8equal_toIvEEiEE10hipError_tPvRmT2_T3_T4_T5_mT6_T7_P12ihipStream_tbENKUlT_T0_E_clISt17integral_constantIbLb0EESZ_EEDaSU_SV_EUlSU_E_NS1_11comp_targetILNS1_3genE8ELNS1_11target_archE1030ELNS1_3gpuE2ELNS1_3repE0EEENS1_30default_config_static_selectorELNS0_4arch9wavefront6targetE0EEEvT1_,comdat
.Lfunc_end1010:
	.size	_ZN7rocprim17ROCPRIM_400000_NS6detail17trampoline_kernelINS0_14default_configENS1_27scan_by_key_config_selectorIxiEEZZNS1_16scan_by_key_implILNS1_25lookback_scan_determinismE0ELb1ES3_N6thrust23THRUST_200600_302600_NS6detail15normal_iteratorINS9_10device_ptrIxEEEESE_SE_iNS9_4plusIvEENS9_8equal_toIvEEiEE10hipError_tPvRmT2_T3_T4_T5_mT6_T7_P12ihipStream_tbENKUlT_T0_E_clISt17integral_constantIbLb0EESZ_EEDaSU_SV_EUlSU_E_NS1_11comp_targetILNS1_3genE8ELNS1_11target_archE1030ELNS1_3gpuE2ELNS1_3repE0EEENS1_30default_config_static_selectorELNS0_4arch9wavefront6targetE0EEEvT1_, .Lfunc_end1010-_ZN7rocprim17ROCPRIM_400000_NS6detail17trampoline_kernelINS0_14default_configENS1_27scan_by_key_config_selectorIxiEEZZNS1_16scan_by_key_implILNS1_25lookback_scan_determinismE0ELb1ES3_N6thrust23THRUST_200600_302600_NS6detail15normal_iteratorINS9_10device_ptrIxEEEESE_SE_iNS9_4plusIvEENS9_8equal_toIvEEiEE10hipError_tPvRmT2_T3_T4_T5_mT6_T7_P12ihipStream_tbENKUlT_T0_E_clISt17integral_constantIbLb0EESZ_EEDaSU_SV_EUlSU_E_NS1_11comp_targetILNS1_3genE8ELNS1_11target_archE1030ELNS1_3gpuE2ELNS1_3repE0EEENS1_30default_config_static_selectorELNS0_4arch9wavefront6targetE0EEEvT1_
                                        ; -- End function
	.set _ZN7rocprim17ROCPRIM_400000_NS6detail17trampoline_kernelINS0_14default_configENS1_27scan_by_key_config_selectorIxiEEZZNS1_16scan_by_key_implILNS1_25lookback_scan_determinismE0ELb1ES3_N6thrust23THRUST_200600_302600_NS6detail15normal_iteratorINS9_10device_ptrIxEEEESE_SE_iNS9_4plusIvEENS9_8equal_toIvEEiEE10hipError_tPvRmT2_T3_T4_T5_mT6_T7_P12ihipStream_tbENKUlT_T0_E_clISt17integral_constantIbLb0EESZ_EEDaSU_SV_EUlSU_E_NS1_11comp_targetILNS1_3genE8ELNS1_11target_archE1030ELNS1_3gpuE2ELNS1_3repE0EEENS1_30default_config_static_selectorELNS0_4arch9wavefront6targetE0EEEvT1_.num_vgpr, 0
	.set _ZN7rocprim17ROCPRIM_400000_NS6detail17trampoline_kernelINS0_14default_configENS1_27scan_by_key_config_selectorIxiEEZZNS1_16scan_by_key_implILNS1_25lookback_scan_determinismE0ELb1ES3_N6thrust23THRUST_200600_302600_NS6detail15normal_iteratorINS9_10device_ptrIxEEEESE_SE_iNS9_4plusIvEENS9_8equal_toIvEEiEE10hipError_tPvRmT2_T3_T4_T5_mT6_T7_P12ihipStream_tbENKUlT_T0_E_clISt17integral_constantIbLb0EESZ_EEDaSU_SV_EUlSU_E_NS1_11comp_targetILNS1_3genE8ELNS1_11target_archE1030ELNS1_3gpuE2ELNS1_3repE0EEENS1_30default_config_static_selectorELNS0_4arch9wavefront6targetE0EEEvT1_.num_agpr, 0
	.set _ZN7rocprim17ROCPRIM_400000_NS6detail17trampoline_kernelINS0_14default_configENS1_27scan_by_key_config_selectorIxiEEZZNS1_16scan_by_key_implILNS1_25lookback_scan_determinismE0ELb1ES3_N6thrust23THRUST_200600_302600_NS6detail15normal_iteratorINS9_10device_ptrIxEEEESE_SE_iNS9_4plusIvEENS9_8equal_toIvEEiEE10hipError_tPvRmT2_T3_T4_T5_mT6_T7_P12ihipStream_tbENKUlT_T0_E_clISt17integral_constantIbLb0EESZ_EEDaSU_SV_EUlSU_E_NS1_11comp_targetILNS1_3genE8ELNS1_11target_archE1030ELNS1_3gpuE2ELNS1_3repE0EEENS1_30default_config_static_selectorELNS0_4arch9wavefront6targetE0EEEvT1_.numbered_sgpr, 0
	.set _ZN7rocprim17ROCPRIM_400000_NS6detail17trampoline_kernelINS0_14default_configENS1_27scan_by_key_config_selectorIxiEEZZNS1_16scan_by_key_implILNS1_25lookback_scan_determinismE0ELb1ES3_N6thrust23THRUST_200600_302600_NS6detail15normal_iteratorINS9_10device_ptrIxEEEESE_SE_iNS9_4plusIvEENS9_8equal_toIvEEiEE10hipError_tPvRmT2_T3_T4_T5_mT6_T7_P12ihipStream_tbENKUlT_T0_E_clISt17integral_constantIbLb0EESZ_EEDaSU_SV_EUlSU_E_NS1_11comp_targetILNS1_3genE8ELNS1_11target_archE1030ELNS1_3gpuE2ELNS1_3repE0EEENS1_30default_config_static_selectorELNS0_4arch9wavefront6targetE0EEEvT1_.num_named_barrier, 0
	.set _ZN7rocprim17ROCPRIM_400000_NS6detail17trampoline_kernelINS0_14default_configENS1_27scan_by_key_config_selectorIxiEEZZNS1_16scan_by_key_implILNS1_25lookback_scan_determinismE0ELb1ES3_N6thrust23THRUST_200600_302600_NS6detail15normal_iteratorINS9_10device_ptrIxEEEESE_SE_iNS9_4plusIvEENS9_8equal_toIvEEiEE10hipError_tPvRmT2_T3_T4_T5_mT6_T7_P12ihipStream_tbENKUlT_T0_E_clISt17integral_constantIbLb0EESZ_EEDaSU_SV_EUlSU_E_NS1_11comp_targetILNS1_3genE8ELNS1_11target_archE1030ELNS1_3gpuE2ELNS1_3repE0EEENS1_30default_config_static_selectorELNS0_4arch9wavefront6targetE0EEEvT1_.private_seg_size, 0
	.set _ZN7rocprim17ROCPRIM_400000_NS6detail17trampoline_kernelINS0_14default_configENS1_27scan_by_key_config_selectorIxiEEZZNS1_16scan_by_key_implILNS1_25lookback_scan_determinismE0ELb1ES3_N6thrust23THRUST_200600_302600_NS6detail15normal_iteratorINS9_10device_ptrIxEEEESE_SE_iNS9_4plusIvEENS9_8equal_toIvEEiEE10hipError_tPvRmT2_T3_T4_T5_mT6_T7_P12ihipStream_tbENKUlT_T0_E_clISt17integral_constantIbLb0EESZ_EEDaSU_SV_EUlSU_E_NS1_11comp_targetILNS1_3genE8ELNS1_11target_archE1030ELNS1_3gpuE2ELNS1_3repE0EEENS1_30default_config_static_selectorELNS0_4arch9wavefront6targetE0EEEvT1_.uses_vcc, 0
	.set _ZN7rocprim17ROCPRIM_400000_NS6detail17trampoline_kernelINS0_14default_configENS1_27scan_by_key_config_selectorIxiEEZZNS1_16scan_by_key_implILNS1_25lookback_scan_determinismE0ELb1ES3_N6thrust23THRUST_200600_302600_NS6detail15normal_iteratorINS9_10device_ptrIxEEEESE_SE_iNS9_4plusIvEENS9_8equal_toIvEEiEE10hipError_tPvRmT2_T3_T4_T5_mT6_T7_P12ihipStream_tbENKUlT_T0_E_clISt17integral_constantIbLb0EESZ_EEDaSU_SV_EUlSU_E_NS1_11comp_targetILNS1_3genE8ELNS1_11target_archE1030ELNS1_3gpuE2ELNS1_3repE0EEENS1_30default_config_static_selectorELNS0_4arch9wavefront6targetE0EEEvT1_.uses_flat_scratch, 0
	.set _ZN7rocprim17ROCPRIM_400000_NS6detail17trampoline_kernelINS0_14default_configENS1_27scan_by_key_config_selectorIxiEEZZNS1_16scan_by_key_implILNS1_25lookback_scan_determinismE0ELb1ES3_N6thrust23THRUST_200600_302600_NS6detail15normal_iteratorINS9_10device_ptrIxEEEESE_SE_iNS9_4plusIvEENS9_8equal_toIvEEiEE10hipError_tPvRmT2_T3_T4_T5_mT6_T7_P12ihipStream_tbENKUlT_T0_E_clISt17integral_constantIbLb0EESZ_EEDaSU_SV_EUlSU_E_NS1_11comp_targetILNS1_3genE8ELNS1_11target_archE1030ELNS1_3gpuE2ELNS1_3repE0EEENS1_30default_config_static_selectorELNS0_4arch9wavefront6targetE0EEEvT1_.has_dyn_sized_stack, 0
	.set _ZN7rocprim17ROCPRIM_400000_NS6detail17trampoline_kernelINS0_14default_configENS1_27scan_by_key_config_selectorIxiEEZZNS1_16scan_by_key_implILNS1_25lookback_scan_determinismE0ELb1ES3_N6thrust23THRUST_200600_302600_NS6detail15normal_iteratorINS9_10device_ptrIxEEEESE_SE_iNS9_4plusIvEENS9_8equal_toIvEEiEE10hipError_tPvRmT2_T3_T4_T5_mT6_T7_P12ihipStream_tbENKUlT_T0_E_clISt17integral_constantIbLb0EESZ_EEDaSU_SV_EUlSU_E_NS1_11comp_targetILNS1_3genE8ELNS1_11target_archE1030ELNS1_3gpuE2ELNS1_3repE0EEENS1_30default_config_static_selectorELNS0_4arch9wavefront6targetE0EEEvT1_.has_recursion, 0
	.set _ZN7rocprim17ROCPRIM_400000_NS6detail17trampoline_kernelINS0_14default_configENS1_27scan_by_key_config_selectorIxiEEZZNS1_16scan_by_key_implILNS1_25lookback_scan_determinismE0ELb1ES3_N6thrust23THRUST_200600_302600_NS6detail15normal_iteratorINS9_10device_ptrIxEEEESE_SE_iNS9_4plusIvEENS9_8equal_toIvEEiEE10hipError_tPvRmT2_T3_T4_T5_mT6_T7_P12ihipStream_tbENKUlT_T0_E_clISt17integral_constantIbLb0EESZ_EEDaSU_SV_EUlSU_E_NS1_11comp_targetILNS1_3genE8ELNS1_11target_archE1030ELNS1_3gpuE2ELNS1_3repE0EEENS1_30default_config_static_selectorELNS0_4arch9wavefront6targetE0EEEvT1_.has_indirect_call, 0
	.section	.AMDGPU.csdata,"",@progbits
; Kernel info:
; codeLenInByte = 0
; TotalNumSgprs: 0
; NumVgprs: 0
; ScratchSize: 0
; MemoryBound: 0
; FloatMode: 240
; IeeeMode: 1
; LDSByteSize: 0 bytes/workgroup (compile time only)
; SGPRBlocks: 0
; VGPRBlocks: 0
; NumSGPRsForWavesPerEU: 1
; NumVGPRsForWavesPerEU: 1
; NamedBarCnt: 0
; Occupancy: 16
; WaveLimiterHint : 0
; COMPUTE_PGM_RSRC2:SCRATCH_EN: 0
; COMPUTE_PGM_RSRC2:USER_SGPR: 2
; COMPUTE_PGM_RSRC2:TRAP_HANDLER: 0
; COMPUTE_PGM_RSRC2:TGID_X_EN: 1
; COMPUTE_PGM_RSRC2:TGID_Y_EN: 0
; COMPUTE_PGM_RSRC2:TGID_Z_EN: 0
; COMPUTE_PGM_RSRC2:TIDIG_COMP_CNT: 0
	.section	.text._ZN7rocprim17ROCPRIM_400000_NS6detail30init_device_scan_by_key_kernelINS1_19lookback_scan_stateINS0_5tupleIJibEEELb1ELb1EEEN6thrust23THRUST_200600_302600_NS6detail15normal_iteratorINS8_10device_ptrIxEEEEjNS1_16block_id_wrapperIjLb1EEEEEvT_jjPNSG_10value_typeET0_PNSt15iterator_traitsISJ_E10value_typeEmT1_T2_,"axG",@progbits,_ZN7rocprim17ROCPRIM_400000_NS6detail30init_device_scan_by_key_kernelINS1_19lookback_scan_stateINS0_5tupleIJibEEELb1ELb1EEEN6thrust23THRUST_200600_302600_NS6detail15normal_iteratorINS8_10device_ptrIxEEEEjNS1_16block_id_wrapperIjLb1EEEEEvT_jjPNSG_10value_typeET0_PNSt15iterator_traitsISJ_E10value_typeEmT1_T2_,comdat
	.protected	_ZN7rocprim17ROCPRIM_400000_NS6detail30init_device_scan_by_key_kernelINS1_19lookback_scan_stateINS0_5tupleIJibEEELb1ELb1EEEN6thrust23THRUST_200600_302600_NS6detail15normal_iteratorINS8_10device_ptrIxEEEEjNS1_16block_id_wrapperIjLb1EEEEEvT_jjPNSG_10value_typeET0_PNSt15iterator_traitsISJ_E10value_typeEmT1_T2_ ; -- Begin function _ZN7rocprim17ROCPRIM_400000_NS6detail30init_device_scan_by_key_kernelINS1_19lookback_scan_stateINS0_5tupleIJibEEELb1ELb1EEEN6thrust23THRUST_200600_302600_NS6detail15normal_iteratorINS8_10device_ptrIxEEEEjNS1_16block_id_wrapperIjLb1EEEEEvT_jjPNSG_10value_typeET0_PNSt15iterator_traitsISJ_E10value_typeEmT1_T2_
	.globl	_ZN7rocprim17ROCPRIM_400000_NS6detail30init_device_scan_by_key_kernelINS1_19lookback_scan_stateINS0_5tupleIJibEEELb1ELb1EEEN6thrust23THRUST_200600_302600_NS6detail15normal_iteratorINS8_10device_ptrIxEEEEjNS1_16block_id_wrapperIjLb1EEEEEvT_jjPNSG_10value_typeET0_PNSt15iterator_traitsISJ_E10value_typeEmT1_T2_
	.p2align	8
	.type	_ZN7rocprim17ROCPRIM_400000_NS6detail30init_device_scan_by_key_kernelINS1_19lookback_scan_stateINS0_5tupleIJibEEELb1ELb1EEEN6thrust23THRUST_200600_302600_NS6detail15normal_iteratorINS8_10device_ptrIxEEEEjNS1_16block_id_wrapperIjLb1EEEEEvT_jjPNSG_10value_typeET0_PNSt15iterator_traitsISJ_E10value_typeEmT1_T2_,@function
_ZN7rocprim17ROCPRIM_400000_NS6detail30init_device_scan_by_key_kernelINS1_19lookback_scan_stateINS0_5tupleIJibEEELb1ELb1EEEN6thrust23THRUST_200600_302600_NS6detail15normal_iteratorINS8_10device_ptrIxEEEEjNS1_16block_id_wrapperIjLb1EEEEEvT_jjPNSG_10value_typeET0_PNSt15iterator_traitsISJ_E10value_typeEmT1_T2_: ; @_ZN7rocprim17ROCPRIM_400000_NS6detail30init_device_scan_by_key_kernelINS1_19lookback_scan_stateINS0_5tupleIJibEEELb1ELb1EEEN6thrust23THRUST_200600_302600_NS6detail15normal_iteratorINS8_10device_ptrIxEEEEjNS1_16block_id_wrapperIjLb1EEEEEvT_jjPNSG_10value_typeET0_PNSt15iterator_traitsISJ_E10value_typeEmT1_T2_
; %bb.0:
	s_clause 0x2
	s_load_b32 s2, s[0:1], 0x4c
	s_load_b32 s14, s[0:1], 0x40
	s_load_b256 s[4:11], s[0:1], 0x0
	s_bfe_u32 s3, ttmp6, 0x4000c
	s_and_b32 s12, ttmp6, 15
	s_add_co_i32 s3, s3, 1
	s_getreg_b32 s13, hwreg(HW_REG_IB_STS2, 6, 4)
	s_mul_i32 s3, ttmp9, s3
	s_delay_alu instid0(SALU_CYCLE_1)
	s_add_co_i32 s12, s12, s3
	s_wait_kmcnt 0x0
	s_and_b32 s15, s2, 0xffff
	s_cmp_eq_u32 s13, 0
	s_cselect_b32 s2, ttmp9, s12
	s_cmp_eq_u64 s[8:9], 0
	v_mad_u32 v4, s2, s15, v0
	s_cbranch_scc1 .LBB1011_10
; %bb.1:
	s_cmp_lt_u32 s7, s6
	s_mov_b32 s16, exec_lo
	s_cselect_b32 s2, s7, 0
	s_delay_alu instid0(VALU_DEP_1) | instid1(SALU_CYCLE_1)
	v_cmpx_eq_u32_e64 s2, v4
	s_cbranch_execz .LBB1011_9
; %bb.2:
	s_add_co_i32 s2, s7, 32
	s_mov_b32 s3, 0
	v_mov_b32_e32 v7, 0
	s_lshl_b64 s[12:13], s[2:3], 4
	s_mov_b32 s2, exec_lo
	s_add_nc_u64 s[12:13], s[4:5], s[12:13]
	s_delay_alu instid0(SALU_CYCLE_1) | instskip(SKIP_2) | instid1(VALU_DEP_1)
	v_mov_b64_e32 v[0:1], s[12:13]
	;;#ASMSTART
	global_load_b128 v[0:3], v[0:1] off scope:SCOPE_DEV	
s_wait_loadcnt 0x0
	;;#ASMEND
	v_and_b32_e32 v6, 0xff, v2
	v_cmpx_eq_u64_e32 0, v[6:7]
	s_cbranch_execz .LBB1011_8
; %bb.3:
	v_mov_b64_e32 v[8:9], s[12:13]
	s_mov_b32 s7, 1
.LBB1011_4:                             ; =>This Loop Header: Depth=1
                                        ;     Child Loop BB1011_5 Depth 2
	s_delay_alu instid0(SALU_CYCLE_1)
	s_mov_b32 s12, s7
.LBB1011_5:                             ;   Parent Loop BB1011_4 Depth=1
                                        ; =>  This Inner Loop Header: Depth=2
	s_delay_alu instid0(SALU_CYCLE_1)
	s_add_co_i32 s12, s12, -1
	s_sleep 1
	s_cmp_eq_u32 s12, 0
	s_cbranch_scc0 .LBB1011_5
; %bb.6:                                ;   in Loop: Header=BB1011_4 Depth=1
	;;#ASMSTART
	global_load_b128 v[0:3], v[8:9] off scope:SCOPE_DEV	
s_wait_loadcnt 0x0
	;;#ASMEND
	v_and_b32_e32 v6, 0xff, v2
	s_cmp_lt_u32 s7, 32
	s_cselect_b32 s12, -1, 0
	s_delay_alu instid0(VALU_DEP_1) | instskip(SKIP_3) | instid1(SALU_CYCLE_1)
	v_cmp_ne_u64_e32 vcc_lo, 0, v[6:7]
	s_cmp_lg_u32 s12, 0
	s_add_co_ci_u32 s7, s7, 0
	s_or_b32 s3, vcc_lo, s3
	s_and_not1_b32 exec_lo, exec_lo, s3
	s_cbranch_execnz .LBB1011_4
; %bb.7:
	s_or_b32 exec_lo, exec_lo, s3
.LBB1011_8:
	s_delay_alu instid0(SALU_CYCLE_1)
	s_or_b32 exec_lo, exec_lo, s2
	v_mov_b32_e32 v2, 0
	s_clause 0x1
	global_store_b32 v2, v0, s[8:9]
	global_store_b8 v2, v1, s[8:9] offset:4
.LBB1011_9:
	s_wait_xcnt 0x0
	s_or_b32 exec_lo, exec_lo, s16
.LBB1011_10:
	s_delay_alu instid0(SALU_CYCLE_1) | instskip(NEXT) | instid1(VALU_DEP_1)
	s_mov_b32 s2, exec_lo
	v_cmpx_eq_u32_e32 0, v4
	s_cbranch_execz .LBB1011_12
; %bb.11:
	s_load_b64 s[8:9], s[0:1], 0x38
	v_mov_b32_e32 v0, 0
	s_wait_kmcnt 0x0
	global_store_b32 v0, v0, s[8:9]
.LBB1011_12:
	s_wait_xcnt 0x0
	s_or_b32 exec_lo, exec_lo, s2
	s_delay_alu instid0(SALU_CYCLE_1)
	s_mov_b32 s2, exec_lo
	v_cmpx_gt_u32_e64 s6, v4
	s_cbranch_execz .LBB1011_14
; %bb.13:
	v_dual_mov_b32 v0, 0 :: v_dual_add_nc_u32 v5, 32, v4
	s_delay_alu instid0(VALU_DEP_1)
	v_dual_mov_b32 v1, v0 :: v_dual_mov_b32 v2, v0
	v_mov_b32_e32 v3, v0
	global_store_b128 v5, v[0:3], s[4:5] scale_offset
.LBB1011_14:
	s_wait_xcnt 0x0
	s_or_b32 exec_lo, exec_lo, s2
	v_mov_b32_e32 v5, 0
	s_mov_b32 s2, exec_lo
	v_cmpx_gt_u32_e32 32, v4
	s_cbranch_execz .LBB1011_16
; %bb.15:
	s_delay_alu instid0(VALU_DEP_2)
	v_lshl_add_u64 v[6:7], v[4:5], 4, s[4:5]
	v_dual_mov_b32 v2, 0xff :: v_dual_mov_b32 v1, v5
	v_dual_mov_b32 v0, v5 :: v_dual_mov_b32 v3, v5
	global_store_b128 v[6:7], v[0:3], off
.LBB1011_16:
	s_wait_xcnt 0x0
	s_or_b32 exec_lo, exec_lo, s2
	s_load_b64 s[2:3], s[0:1], 0x28
	s_mov_b32 s4, exec_lo
	s_wait_kmcnt 0x0
	v_cmpx_gt_u64_e64 s[2:3], v[4:5]
	s_cbranch_execz .LBB1011_19
; %bb.17:
	s_clause 0x1
	s_load_b32 s4, s[0:1], 0x30
	s_load_b64 s[6:7], s[0:1], 0x20
	s_mov_b32 s5, 0
	s_wait_xcnt 0x0
	s_mul_i32 s0, s14, s15
	s_mov_b32 s9, s5
	s_mov_b32 s1, s5
	s_wait_kmcnt 0x0
	v_mul_u64_e32 v[0:1], s[4:5], v[4:5]
	s_add_co_i32 s8, s4, -1
	v_lshl_add_u64 v[2:3], v[4:5], 3, s[6:7]
	s_lshl_b64 s[8:9], s[8:9], 3
	s_delay_alu instid0(SALU_CYCLE_1) | instskip(SKIP_1) | instid1(SALU_CYCLE_1)
	s_add_nc_u64 s[8:9], s[10:11], s[8:9]
	s_mul_u64 s[10:11], s[4:5], s[0:1]
	s_lshl_b64 s[6:7], s[10:11], 3
	s_delay_alu instid0(VALU_DEP_2)
	v_lshl_add_u64 v[0:1], v[0:1], 3, s[8:9]
	s_lshl_b64 s[8:9], s[0:1], 3
.LBB1011_18:                            ; =>This Inner Loop Header: Depth=1
	global_load_b64 v[6:7], v[0:1], off
	v_add_nc_u64_e32 v[4:5], s[0:1], v[4:5]
	s_wait_xcnt 0x0
	v_add_nc_u64_e32 v[0:1], s[6:7], v[0:1]
	s_delay_alu instid0(VALU_DEP_2)
	v_cmp_le_u64_e32 vcc_lo, s[2:3], v[4:5]
	s_or_b32 s5, vcc_lo, s5
	s_wait_loadcnt 0x0
	global_store_b64 v[2:3], v[6:7], off
	s_wait_xcnt 0x0
	v_add_nc_u64_e32 v[2:3], s[8:9], v[2:3]
	s_and_not1_b32 exec_lo, exec_lo, s5
	s_cbranch_execnz .LBB1011_18
.LBB1011_19:
	s_endpgm
	.section	.rodata,"a",@progbits
	.p2align	6, 0x0
	.amdhsa_kernel _ZN7rocprim17ROCPRIM_400000_NS6detail30init_device_scan_by_key_kernelINS1_19lookback_scan_stateINS0_5tupleIJibEEELb1ELb1EEEN6thrust23THRUST_200600_302600_NS6detail15normal_iteratorINS8_10device_ptrIxEEEEjNS1_16block_id_wrapperIjLb1EEEEEvT_jjPNSG_10value_typeET0_PNSt15iterator_traitsISJ_E10value_typeEmT1_T2_
		.amdhsa_group_segment_fixed_size 0
		.amdhsa_private_segment_fixed_size 0
		.amdhsa_kernarg_size 320
		.amdhsa_user_sgpr_count 2
		.amdhsa_user_sgpr_dispatch_ptr 0
		.amdhsa_user_sgpr_queue_ptr 0
		.amdhsa_user_sgpr_kernarg_segment_ptr 1
		.amdhsa_user_sgpr_dispatch_id 0
		.amdhsa_user_sgpr_kernarg_preload_length 0
		.amdhsa_user_sgpr_kernarg_preload_offset 0
		.amdhsa_user_sgpr_private_segment_size 0
		.amdhsa_wavefront_size32 1
		.amdhsa_uses_dynamic_stack 0
		.amdhsa_enable_private_segment 0
		.amdhsa_system_sgpr_workgroup_id_x 1
		.amdhsa_system_sgpr_workgroup_id_y 0
		.amdhsa_system_sgpr_workgroup_id_z 0
		.amdhsa_system_sgpr_workgroup_info 0
		.amdhsa_system_vgpr_workitem_id 0
		.amdhsa_next_free_vgpr 10
		.amdhsa_next_free_sgpr 17
		.amdhsa_named_barrier_count 0
		.amdhsa_reserve_vcc 1
		.amdhsa_float_round_mode_32 0
		.amdhsa_float_round_mode_16_64 0
		.amdhsa_float_denorm_mode_32 3
		.amdhsa_float_denorm_mode_16_64 3
		.amdhsa_fp16_overflow 0
		.amdhsa_memory_ordered 1
		.amdhsa_forward_progress 1
		.amdhsa_inst_pref_size 6
		.amdhsa_round_robin_scheduling 0
		.amdhsa_exception_fp_ieee_invalid_op 0
		.amdhsa_exception_fp_denorm_src 0
		.amdhsa_exception_fp_ieee_div_zero 0
		.amdhsa_exception_fp_ieee_overflow 0
		.amdhsa_exception_fp_ieee_underflow 0
		.amdhsa_exception_fp_ieee_inexact 0
		.amdhsa_exception_int_div_zero 0
	.end_amdhsa_kernel
	.section	.text._ZN7rocprim17ROCPRIM_400000_NS6detail30init_device_scan_by_key_kernelINS1_19lookback_scan_stateINS0_5tupleIJibEEELb1ELb1EEEN6thrust23THRUST_200600_302600_NS6detail15normal_iteratorINS8_10device_ptrIxEEEEjNS1_16block_id_wrapperIjLb1EEEEEvT_jjPNSG_10value_typeET0_PNSt15iterator_traitsISJ_E10value_typeEmT1_T2_,"axG",@progbits,_ZN7rocprim17ROCPRIM_400000_NS6detail30init_device_scan_by_key_kernelINS1_19lookback_scan_stateINS0_5tupleIJibEEELb1ELb1EEEN6thrust23THRUST_200600_302600_NS6detail15normal_iteratorINS8_10device_ptrIxEEEEjNS1_16block_id_wrapperIjLb1EEEEEvT_jjPNSG_10value_typeET0_PNSt15iterator_traitsISJ_E10value_typeEmT1_T2_,comdat
.Lfunc_end1011:
	.size	_ZN7rocprim17ROCPRIM_400000_NS6detail30init_device_scan_by_key_kernelINS1_19lookback_scan_stateINS0_5tupleIJibEEELb1ELb1EEEN6thrust23THRUST_200600_302600_NS6detail15normal_iteratorINS8_10device_ptrIxEEEEjNS1_16block_id_wrapperIjLb1EEEEEvT_jjPNSG_10value_typeET0_PNSt15iterator_traitsISJ_E10value_typeEmT1_T2_, .Lfunc_end1011-_ZN7rocprim17ROCPRIM_400000_NS6detail30init_device_scan_by_key_kernelINS1_19lookback_scan_stateINS0_5tupleIJibEEELb1ELb1EEEN6thrust23THRUST_200600_302600_NS6detail15normal_iteratorINS8_10device_ptrIxEEEEjNS1_16block_id_wrapperIjLb1EEEEEvT_jjPNSG_10value_typeET0_PNSt15iterator_traitsISJ_E10value_typeEmT1_T2_
                                        ; -- End function
	.set _ZN7rocprim17ROCPRIM_400000_NS6detail30init_device_scan_by_key_kernelINS1_19lookback_scan_stateINS0_5tupleIJibEEELb1ELb1EEEN6thrust23THRUST_200600_302600_NS6detail15normal_iteratorINS8_10device_ptrIxEEEEjNS1_16block_id_wrapperIjLb1EEEEEvT_jjPNSG_10value_typeET0_PNSt15iterator_traitsISJ_E10value_typeEmT1_T2_.num_vgpr, 10
	.set _ZN7rocprim17ROCPRIM_400000_NS6detail30init_device_scan_by_key_kernelINS1_19lookback_scan_stateINS0_5tupleIJibEEELb1ELb1EEEN6thrust23THRUST_200600_302600_NS6detail15normal_iteratorINS8_10device_ptrIxEEEEjNS1_16block_id_wrapperIjLb1EEEEEvT_jjPNSG_10value_typeET0_PNSt15iterator_traitsISJ_E10value_typeEmT1_T2_.num_agpr, 0
	.set _ZN7rocprim17ROCPRIM_400000_NS6detail30init_device_scan_by_key_kernelINS1_19lookback_scan_stateINS0_5tupleIJibEEELb1ELb1EEEN6thrust23THRUST_200600_302600_NS6detail15normal_iteratorINS8_10device_ptrIxEEEEjNS1_16block_id_wrapperIjLb1EEEEEvT_jjPNSG_10value_typeET0_PNSt15iterator_traitsISJ_E10value_typeEmT1_T2_.numbered_sgpr, 17
	.set _ZN7rocprim17ROCPRIM_400000_NS6detail30init_device_scan_by_key_kernelINS1_19lookback_scan_stateINS0_5tupleIJibEEELb1ELb1EEEN6thrust23THRUST_200600_302600_NS6detail15normal_iteratorINS8_10device_ptrIxEEEEjNS1_16block_id_wrapperIjLb1EEEEEvT_jjPNSG_10value_typeET0_PNSt15iterator_traitsISJ_E10value_typeEmT1_T2_.num_named_barrier, 0
	.set _ZN7rocprim17ROCPRIM_400000_NS6detail30init_device_scan_by_key_kernelINS1_19lookback_scan_stateINS0_5tupleIJibEEELb1ELb1EEEN6thrust23THRUST_200600_302600_NS6detail15normal_iteratorINS8_10device_ptrIxEEEEjNS1_16block_id_wrapperIjLb1EEEEEvT_jjPNSG_10value_typeET0_PNSt15iterator_traitsISJ_E10value_typeEmT1_T2_.private_seg_size, 0
	.set _ZN7rocprim17ROCPRIM_400000_NS6detail30init_device_scan_by_key_kernelINS1_19lookback_scan_stateINS0_5tupleIJibEEELb1ELb1EEEN6thrust23THRUST_200600_302600_NS6detail15normal_iteratorINS8_10device_ptrIxEEEEjNS1_16block_id_wrapperIjLb1EEEEEvT_jjPNSG_10value_typeET0_PNSt15iterator_traitsISJ_E10value_typeEmT1_T2_.uses_vcc, 1
	.set _ZN7rocprim17ROCPRIM_400000_NS6detail30init_device_scan_by_key_kernelINS1_19lookback_scan_stateINS0_5tupleIJibEEELb1ELb1EEEN6thrust23THRUST_200600_302600_NS6detail15normal_iteratorINS8_10device_ptrIxEEEEjNS1_16block_id_wrapperIjLb1EEEEEvT_jjPNSG_10value_typeET0_PNSt15iterator_traitsISJ_E10value_typeEmT1_T2_.uses_flat_scratch, 0
	.set _ZN7rocprim17ROCPRIM_400000_NS6detail30init_device_scan_by_key_kernelINS1_19lookback_scan_stateINS0_5tupleIJibEEELb1ELb1EEEN6thrust23THRUST_200600_302600_NS6detail15normal_iteratorINS8_10device_ptrIxEEEEjNS1_16block_id_wrapperIjLb1EEEEEvT_jjPNSG_10value_typeET0_PNSt15iterator_traitsISJ_E10value_typeEmT1_T2_.has_dyn_sized_stack, 0
	.set _ZN7rocprim17ROCPRIM_400000_NS6detail30init_device_scan_by_key_kernelINS1_19lookback_scan_stateINS0_5tupleIJibEEELb1ELb1EEEN6thrust23THRUST_200600_302600_NS6detail15normal_iteratorINS8_10device_ptrIxEEEEjNS1_16block_id_wrapperIjLb1EEEEEvT_jjPNSG_10value_typeET0_PNSt15iterator_traitsISJ_E10value_typeEmT1_T2_.has_recursion, 0
	.set _ZN7rocprim17ROCPRIM_400000_NS6detail30init_device_scan_by_key_kernelINS1_19lookback_scan_stateINS0_5tupleIJibEEELb1ELb1EEEN6thrust23THRUST_200600_302600_NS6detail15normal_iteratorINS8_10device_ptrIxEEEEjNS1_16block_id_wrapperIjLb1EEEEEvT_jjPNSG_10value_typeET0_PNSt15iterator_traitsISJ_E10value_typeEmT1_T2_.has_indirect_call, 0
	.section	.AMDGPU.csdata,"",@progbits
; Kernel info:
; codeLenInByte = 684
; TotalNumSgprs: 19
; NumVgprs: 10
; ScratchSize: 0
; MemoryBound: 0
; FloatMode: 240
; IeeeMode: 1
; LDSByteSize: 0 bytes/workgroup (compile time only)
; SGPRBlocks: 0
; VGPRBlocks: 0
; NumSGPRsForWavesPerEU: 19
; NumVGPRsForWavesPerEU: 10
; NamedBarCnt: 0
; Occupancy: 16
; WaveLimiterHint : 0
; COMPUTE_PGM_RSRC2:SCRATCH_EN: 0
; COMPUTE_PGM_RSRC2:USER_SGPR: 2
; COMPUTE_PGM_RSRC2:TRAP_HANDLER: 0
; COMPUTE_PGM_RSRC2:TGID_X_EN: 1
; COMPUTE_PGM_RSRC2:TGID_Y_EN: 0
; COMPUTE_PGM_RSRC2:TGID_Z_EN: 0
; COMPUTE_PGM_RSRC2:TIDIG_COMP_CNT: 0
	.section	.text._ZN7rocprim17ROCPRIM_400000_NS6detail17trampoline_kernelINS0_14default_configENS1_27scan_by_key_config_selectorIxiEEZZNS1_16scan_by_key_implILNS1_25lookback_scan_determinismE0ELb1ES3_N6thrust23THRUST_200600_302600_NS6detail15normal_iteratorINS9_10device_ptrIxEEEESE_SE_iNS9_4plusIvEENS9_8equal_toIvEEiEE10hipError_tPvRmT2_T3_T4_T5_mT6_T7_P12ihipStream_tbENKUlT_T0_E_clISt17integral_constantIbLb1EESZ_EEDaSU_SV_EUlSU_E_NS1_11comp_targetILNS1_3genE0ELNS1_11target_archE4294967295ELNS1_3gpuE0ELNS1_3repE0EEENS1_30default_config_static_selectorELNS0_4arch9wavefront6targetE0EEEvT1_,"axG",@progbits,_ZN7rocprim17ROCPRIM_400000_NS6detail17trampoline_kernelINS0_14default_configENS1_27scan_by_key_config_selectorIxiEEZZNS1_16scan_by_key_implILNS1_25lookback_scan_determinismE0ELb1ES3_N6thrust23THRUST_200600_302600_NS6detail15normal_iteratorINS9_10device_ptrIxEEEESE_SE_iNS9_4plusIvEENS9_8equal_toIvEEiEE10hipError_tPvRmT2_T3_T4_T5_mT6_T7_P12ihipStream_tbENKUlT_T0_E_clISt17integral_constantIbLb1EESZ_EEDaSU_SV_EUlSU_E_NS1_11comp_targetILNS1_3genE0ELNS1_11target_archE4294967295ELNS1_3gpuE0ELNS1_3repE0EEENS1_30default_config_static_selectorELNS0_4arch9wavefront6targetE0EEEvT1_,comdat
	.protected	_ZN7rocprim17ROCPRIM_400000_NS6detail17trampoline_kernelINS0_14default_configENS1_27scan_by_key_config_selectorIxiEEZZNS1_16scan_by_key_implILNS1_25lookback_scan_determinismE0ELb1ES3_N6thrust23THRUST_200600_302600_NS6detail15normal_iteratorINS9_10device_ptrIxEEEESE_SE_iNS9_4plusIvEENS9_8equal_toIvEEiEE10hipError_tPvRmT2_T3_T4_T5_mT6_T7_P12ihipStream_tbENKUlT_T0_E_clISt17integral_constantIbLb1EESZ_EEDaSU_SV_EUlSU_E_NS1_11comp_targetILNS1_3genE0ELNS1_11target_archE4294967295ELNS1_3gpuE0ELNS1_3repE0EEENS1_30default_config_static_selectorELNS0_4arch9wavefront6targetE0EEEvT1_ ; -- Begin function _ZN7rocprim17ROCPRIM_400000_NS6detail17trampoline_kernelINS0_14default_configENS1_27scan_by_key_config_selectorIxiEEZZNS1_16scan_by_key_implILNS1_25lookback_scan_determinismE0ELb1ES3_N6thrust23THRUST_200600_302600_NS6detail15normal_iteratorINS9_10device_ptrIxEEEESE_SE_iNS9_4plusIvEENS9_8equal_toIvEEiEE10hipError_tPvRmT2_T3_T4_T5_mT6_T7_P12ihipStream_tbENKUlT_T0_E_clISt17integral_constantIbLb1EESZ_EEDaSU_SV_EUlSU_E_NS1_11comp_targetILNS1_3genE0ELNS1_11target_archE4294967295ELNS1_3gpuE0ELNS1_3repE0EEENS1_30default_config_static_selectorELNS0_4arch9wavefront6targetE0EEEvT1_
	.globl	_ZN7rocprim17ROCPRIM_400000_NS6detail17trampoline_kernelINS0_14default_configENS1_27scan_by_key_config_selectorIxiEEZZNS1_16scan_by_key_implILNS1_25lookback_scan_determinismE0ELb1ES3_N6thrust23THRUST_200600_302600_NS6detail15normal_iteratorINS9_10device_ptrIxEEEESE_SE_iNS9_4plusIvEENS9_8equal_toIvEEiEE10hipError_tPvRmT2_T3_T4_T5_mT6_T7_P12ihipStream_tbENKUlT_T0_E_clISt17integral_constantIbLb1EESZ_EEDaSU_SV_EUlSU_E_NS1_11comp_targetILNS1_3genE0ELNS1_11target_archE4294967295ELNS1_3gpuE0ELNS1_3repE0EEENS1_30default_config_static_selectorELNS0_4arch9wavefront6targetE0EEEvT1_
	.p2align	8
	.type	_ZN7rocprim17ROCPRIM_400000_NS6detail17trampoline_kernelINS0_14default_configENS1_27scan_by_key_config_selectorIxiEEZZNS1_16scan_by_key_implILNS1_25lookback_scan_determinismE0ELb1ES3_N6thrust23THRUST_200600_302600_NS6detail15normal_iteratorINS9_10device_ptrIxEEEESE_SE_iNS9_4plusIvEENS9_8equal_toIvEEiEE10hipError_tPvRmT2_T3_T4_T5_mT6_T7_P12ihipStream_tbENKUlT_T0_E_clISt17integral_constantIbLb1EESZ_EEDaSU_SV_EUlSU_E_NS1_11comp_targetILNS1_3genE0ELNS1_11target_archE4294967295ELNS1_3gpuE0ELNS1_3repE0EEENS1_30default_config_static_selectorELNS0_4arch9wavefront6targetE0EEEvT1_,@function
_ZN7rocprim17ROCPRIM_400000_NS6detail17trampoline_kernelINS0_14default_configENS1_27scan_by_key_config_selectorIxiEEZZNS1_16scan_by_key_implILNS1_25lookback_scan_determinismE0ELb1ES3_N6thrust23THRUST_200600_302600_NS6detail15normal_iteratorINS9_10device_ptrIxEEEESE_SE_iNS9_4plusIvEENS9_8equal_toIvEEiEE10hipError_tPvRmT2_T3_T4_T5_mT6_T7_P12ihipStream_tbENKUlT_T0_E_clISt17integral_constantIbLb1EESZ_EEDaSU_SV_EUlSU_E_NS1_11comp_targetILNS1_3genE0ELNS1_11target_archE4294967295ELNS1_3gpuE0ELNS1_3repE0EEENS1_30default_config_static_selectorELNS0_4arch9wavefront6targetE0EEEvT1_: ; @_ZN7rocprim17ROCPRIM_400000_NS6detail17trampoline_kernelINS0_14default_configENS1_27scan_by_key_config_selectorIxiEEZZNS1_16scan_by_key_implILNS1_25lookback_scan_determinismE0ELb1ES3_N6thrust23THRUST_200600_302600_NS6detail15normal_iteratorINS9_10device_ptrIxEEEESE_SE_iNS9_4plusIvEENS9_8equal_toIvEEiEE10hipError_tPvRmT2_T3_T4_T5_mT6_T7_P12ihipStream_tbENKUlT_T0_E_clISt17integral_constantIbLb1EESZ_EEDaSU_SV_EUlSU_E_NS1_11comp_targetILNS1_3genE0ELNS1_11target_archE4294967295ELNS1_3gpuE0ELNS1_3repE0EEENS1_30default_config_static_selectorELNS0_4arch9wavefront6targetE0EEEvT1_
; %bb.0:
	s_endpgm
	.section	.rodata,"a",@progbits
	.p2align	6, 0x0
	.amdhsa_kernel _ZN7rocprim17ROCPRIM_400000_NS6detail17trampoline_kernelINS0_14default_configENS1_27scan_by_key_config_selectorIxiEEZZNS1_16scan_by_key_implILNS1_25lookback_scan_determinismE0ELb1ES3_N6thrust23THRUST_200600_302600_NS6detail15normal_iteratorINS9_10device_ptrIxEEEESE_SE_iNS9_4plusIvEENS9_8equal_toIvEEiEE10hipError_tPvRmT2_T3_T4_T5_mT6_T7_P12ihipStream_tbENKUlT_T0_E_clISt17integral_constantIbLb1EESZ_EEDaSU_SV_EUlSU_E_NS1_11comp_targetILNS1_3genE0ELNS1_11target_archE4294967295ELNS1_3gpuE0ELNS1_3repE0EEENS1_30default_config_static_selectorELNS0_4arch9wavefront6targetE0EEEvT1_
		.amdhsa_group_segment_fixed_size 0
		.amdhsa_private_segment_fixed_size 0
		.amdhsa_kernarg_size 112
		.amdhsa_user_sgpr_count 2
		.amdhsa_user_sgpr_dispatch_ptr 0
		.amdhsa_user_sgpr_queue_ptr 0
		.amdhsa_user_sgpr_kernarg_segment_ptr 1
		.amdhsa_user_sgpr_dispatch_id 0
		.amdhsa_user_sgpr_kernarg_preload_length 0
		.amdhsa_user_sgpr_kernarg_preload_offset 0
		.amdhsa_user_sgpr_private_segment_size 0
		.amdhsa_wavefront_size32 1
		.amdhsa_uses_dynamic_stack 0
		.amdhsa_enable_private_segment 0
		.amdhsa_system_sgpr_workgroup_id_x 1
		.amdhsa_system_sgpr_workgroup_id_y 0
		.amdhsa_system_sgpr_workgroup_id_z 0
		.amdhsa_system_sgpr_workgroup_info 0
		.amdhsa_system_vgpr_workitem_id 0
		.amdhsa_next_free_vgpr 1
		.amdhsa_next_free_sgpr 1
		.amdhsa_named_barrier_count 0
		.amdhsa_reserve_vcc 0
		.amdhsa_float_round_mode_32 0
		.amdhsa_float_round_mode_16_64 0
		.amdhsa_float_denorm_mode_32 3
		.amdhsa_float_denorm_mode_16_64 3
		.amdhsa_fp16_overflow 0
		.amdhsa_memory_ordered 1
		.amdhsa_forward_progress 1
		.amdhsa_inst_pref_size 1
		.amdhsa_round_robin_scheduling 0
		.amdhsa_exception_fp_ieee_invalid_op 0
		.amdhsa_exception_fp_denorm_src 0
		.amdhsa_exception_fp_ieee_div_zero 0
		.amdhsa_exception_fp_ieee_overflow 0
		.amdhsa_exception_fp_ieee_underflow 0
		.amdhsa_exception_fp_ieee_inexact 0
		.amdhsa_exception_int_div_zero 0
	.end_amdhsa_kernel
	.section	.text._ZN7rocprim17ROCPRIM_400000_NS6detail17trampoline_kernelINS0_14default_configENS1_27scan_by_key_config_selectorIxiEEZZNS1_16scan_by_key_implILNS1_25lookback_scan_determinismE0ELb1ES3_N6thrust23THRUST_200600_302600_NS6detail15normal_iteratorINS9_10device_ptrIxEEEESE_SE_iNS9_4plusIvEENS9_8equal_toIvEEiEE10hipError_tPvRmT2_T3_T4_T5_mT6_T7_P12ihipStream_tbENKUlT_T0_E_clISt17integral_constantIbLb1EESZ_EEDaSU_SV_EUlSU_E_NS1_11comp_targetILNS1_3genE0ELNS1_11target_archE4294967295ELNS1_3gpuE0ELNS1_3repE0EEENS1_30default_config_static_selectorELNS0_4arch9wavefront6targetE0EEEvT1_,"axG",@progbits,_ZN7rocprim17ROCPRIM_400000_NS6detail17trampoline_kernelINS0_14default_configENS1_27scan_by_key_config_selectorIxiEEZZNS1_16scan_by_key_implILNS1_25lookback_scan_determinismE0ELb1ES3_N6thrust23THRUST_200600_302600_NS6detail15normal_iteratorINS9_10device_ptrIxEEEESE_SE_iNS9_4plusIvEENS9_8equal_toIvEEiEE10hipError_tPvRmT2_T3_T4_T5_mT6_T7_P12ihipStream_tbENKUlT_T0_E_clISt17integral_constantIbLb1EESZ_EEDaSU_SV_EUlSU_E_NS1_11comp_targetILNS1_3genE0ELNS1_11target_archE4294967295ELNS1_3gpuE0ELNS1_3repE0EEENS1_30default_config_static_selectorELNS0_4arch9wavefront6targetE0EEEvT1_,comdat
.Lfunc_end1012:
	.size	_ZN7rocprim17ROCPRIM_400000_NS6detail17trampoline_kernelINS0_14default_configENS1_27scan_by_key_config_selectorIxiEEZZNS1_16scan_by_key_implILNS1_25lookback_scan_determinismE0ELb1ES3_N6thrust23THRUST_200600_302600_NS6detail15normal_iteratorINS9_10device_ptrIxEEEESE_SE_iNS9_4plusIvEENS9_8equal_toIvEEiEE10hipError_tPvRmT2_T3_T4_T5_mT6_T7_P12ihipStream_tbENKUlT_T0_E_clISt17integral_constantIbLb1EESZ_EEDaSU_SV_EUlSU_E_NS1_11comp_targetILNS1_3genE0ELNS1_11target_archE4294967295ELNS1_3gpuE0ELNS1_3repE0EEENS1_30default_config_static_selectorELNS0_4arch9wavefront6targetE0EEEvT1_, .Lfunc_end1012-_ZN7rocprim17ROCPRIM_400000_NS6detail17trampoline_kernelINS0_14default_configENS1_27scan_by_key_config_selectorIxiEEZZNS1_16scan_by_key_implILNS1_25lookback_scan_determinismE0ELb1ES3_N6thrust23THRUST_200600_302600_NS6detail15normal_iteratorINS9_10device_ptrIxEEEESE_SE_iNS9_4plusIvEENS9_8equal_toIvEEiEE10hipError_tPvRmT2_T3_T4_T5_mT6_T7_P12ihipStream_tbENKUlT_T0_E_clISt17integral_constantIbLb1EESZ_EEDaSU_SV_EUlSU_E_NS1_11comp_targetILNS1_3genE0ELNS1_11target_archE4294967295ELNS1_3gpuE0ELNS1_3repE0EEENS1_30default_config_static_selectorELNS0_4arch9wavefront6targetE0EEEvT1_
                                        ; -- End function
	.set _ZN7rocprim17ROCPRIM_400000_NS6detail17trampoline_kernelINS0_14default_configENS1_27scan_by_key_config_selectorIxiEEZZNS1_16scan_by_key_implILNS1_25lookback_scan_determinismE0ELb1ES3_N6thrust23THRUST_200600_302600_NS6detail15normal_iteratorINS9_10device_ptrIxEEEESE_SE_iNS9_4plusIvEENS9_8equal_toIvEEiEE10hipError_tPvRmT2_T3_T4_T5_mT6_T7_P12ihipStream_tbENKUlT_T0_E_clISt17integral_constantIbLb1EESZ_EEDaSU_SV_EUlSU_E_NS1_11comp_targetILNS1_3genE0ELNS1_11target_archE4294967295ELNS1_3gpuE0ELNS1_3repE0EEENS1_30default_config_static_selectorELNS0_4arch9wavefront6targetE0EEEvT1_.num_vgpr, 0
	.set _ZN7rocprim17ROCPRIM_400000_NS6detail17trampoline_kernelINS0_14default_configENS1_27scan_by_key_config_selectorIxiEEZZNS1_16scan_by_key_implILNS1_25lookback_scan_determinismE0ELb1ES3_N6thrust23THRUST_200600_302600_NS6detail15normal_iteratorINS9_10device_ptrIxEEEESE_SE_iNS9_4plusIvEENS9_8equal_toIvEEiEE10hipError_tPvRmT2_T3_T4_T5_mT6_T7_P12ihipStream_tbENKUlT_T0_E_clISt17integral_constantIbLb1EESZ_EEDaSU_SV_EUlSU_E_NS1_11comp_targetILNS1_3genE0ELNS1_11target_archE4294967295ELNS1_3gpuE0ELNS1_3repE0EEENS1_30default_config_static_selectorELNS0_4arch9wavefront6targetE0EEEvT1_.num_agpr, 0
	.set _ZN7rocprim17ROCPRIM_400000_NS6detail17trampoline_kernelINS0_14default_configENS1_27scan_by_key_config_selectorIxiEEZZNS1_16scan_by_key_implILNS1_25lookback_scan_determinismE0ELb1ES3_N6thrust23THRUST_200600_302600_NS6detail15normal_iteratorINS9_10device_ptrIxEEEESE_SE_iNS9_4plusIvEENS9_8equal_toIvEEiEE10hipError_tPvRmT2_T3_T4_T5_mT6_T7_P12ihipStream_tbENKUlT_T0_E_clISt17integral_constantIbLb1EESZ_EEDaSU_SV_EUlSU_E_NS1_11comp_targetILNS1_3genE0ELNS1_11target_archE4294967295ELNS1_3gpuE0ELNS1_3repE0EEENS1_30default_config_static_selectorELNS0_4arch9wavefront6targetE0EEEvT1_.numbered_sgpr, 0
	.set _ZN7rocprim17ROCPRIM_400000_NS6detail17trampoline_kernelINS0_14default_configENS1_27scan_by_key_config_selectorIxiEEZZNS1_16scan_by_key_implILNS1_25lookback_scan_determinismE0ELb1ES3_N6thrust23THRUST_200600_302600_NS6detail15normal_iteratorINS9_10device_ptrIxEEEESE_SE_iNS9_4plusIvEENS9_8equal_toIvEEiEE10hipError_tPvRmT2_T3_T4_T5_mT6_T7_P12ihipStream_tbENKUlT_T0_E_clISt17integral_constantIbLb1EESZ_EEDaSU_SV_EUlSU_E_NS1_11comp_targetILNS1_3genE0ELNS1_11target_archE4294967295ELNS1_3gpuE0ELNS1_3repE0EEENS1_30default_config_static_selectorELNS0_4arch9wavefront6targetE0EEEvT1_.num_named_barrier, 0
	.set _ZN7rocprim17ROCPRIM_400000_NS6detail17trampoline_kernelINS0_14default_configENS1_27scan_by_key_config_selectorIxiEEZZNS1_16scan_by_key_implILNS1_25lookback_scan_determinismE0ELb1ES3_N6thrust23THRUST_200600_302600_NS6detail15normal_iteratorINS9_10device_ptrIxEEEESE_SE_iNS9_4plusIvEENS9_8equal_toIvEEiEE10hipError_tPvRmT2_T3_T4_T5_mT6_T7_P12ihipStream_tbENKUlT_T0_E_clISt17integral_constantIbLb1EESZ_EEDaSU_SV_EUlSU_E_NS1_11comp_targetILNS1_3genE0ELNS1_11target_archE4294967295ELNS1_3gpuE0ELNS1_3repE0EEENS1_30default_config_static_selectorELNS0_4arch9wavefront6targetE0EEEvT1_.private_seg_size, 0
	.set _ZN7rocprim17ROCPRIM_400000_NS6detail17trampoline_kernelINS0_14default_configENS1_27scan_by_key_config_selectorIxiEEZZNS1_16scan_by_key_implILNS1_25lookback_scan_determinismE0ELb1ES3_N6thrust23THRUST_200600_302600_NS6detail15normal_iteratorINS9_10device_ptrIxEEEESE_SE_iNS9_4plusIvEENS9_8equal_toIvEEiEE10hipError_tPvRmT2_T3_T4_T5_mT6_T7_P12ihipStream_tbENKUlT_T0_E_clISt17integral_constantIbLb1EESZ_EEDaSU_SV_EUlSU_E_NS1_11comp_targetILNS1_3genE0ELNS1_11target_archE4294967295ELNS1_3gpuE0ELNS1_3repE0EEENS1_30default_config_static_selectorELNS0_4arch9wavefront6targetE0EEEvT1_.uses_vcc, 0
	.set _ZN7rocprim17ROCPRIM_400000_NS6detail17trampoline_kernelINS0_14default_configENS1_27scan_by_key_config_selectorIxiEEZZNS1_16scan_by_key_implILNS1_25lookback_scan_determinismE0ELb1ES3_N6thrust23THRUST_200600_302600_NS6detail15normal_iteratorINS9_10device_ptrIxEEEESE_SE_iNS9_4plusIvEENS9_8equal_toIvEEiEE10hipError_tPvRmT2_T3_T4_T5_mT6_T7_P12ihipStream_tbENKUlT_T0_E_clISt17integral_constantIbLb1EESZ_EEDaSU_SV_EUlSU_E_NS1_11comp_targetILNS1_3genE0ELNS1_11target_archE4294967295ELNS1_3gpuE0ELNS1_3repE0EEENS1_30default_config_static_selectorELNS0_4arch9wavefront6targetE0EEEvT1_.uses_flat_scratch, 0
	.set _ZN7rocprim17ROCPRIM_400000_NS6detail17trampoline_kernelINS0_14default_configENS1_27scan_by_key_config_selectorIxiEEZZNS1_16scan_by_key_implILNS1_25lookback_scan_determinismE0ELb1ES3_N6thrust23THRUST_200600_302600_NS6detail15normal_iteratorINS9_10device_ptrIxEEEESE_SE_iNS9_4plusIvEENS9_8equal_toIvEEiEE10hipError_tPvRmT2_T3_T4_T5_mT6_T7_P12ihipStream_tbENKUlT_T0_E_clISt17integral_constantIbLb1EESZ_EEDaSU_SV_EUlSU_E_NS1_11comp_targetILNS1_3genE0ELNS1_11target_archE4294967295ELNS1_3gpuE0ELNS1_3repE0EEENS1_30default_config_static_selectorELNS0_4arch9wavefront6targetE0EEEvT1_.has_dyn_sized_stack, 0
	.set _ZN7rocprim17ROCPRIM_400000_NS6detail17trampoline_kernelINS0_14default_configENS1_27scan_by_key_config_selectorIxiEEZZNS1_16scan_by_key_implILNS1_25lookback_scan_determinismE0ELb1ES3_N6thrust23THRUST_200600_302600_NS6detail15normal_iteratorINS9_10device_ptrIxEEEESE_SE_iNS9_4plusIvEENS9_8equal_toIvEEiEE10hipError_tPvRmT2_T3_T4_T5_mT6_T7_P12ihipStream_tbENKUlT_T0_E_clISt17integral_constantIbLb1EESZ_EEDaSU_SV_EUlSU_E_NS1_11comp_targetILNS1_3genE0ELNS1_11target_archE4294967295ELNS1_3gpuE0ELNS1_3repE0EEENS1_30default_config_static_selectorELNS0_4arch9wavefront6targetE0EEEvT1_.has_recursion, 0
	.set _ZN7rocprim17ROCPRIM_400000_NS6detail17trampoline_kernelINS0_14default_configENS1_27scan_by_key_config_selectorIxiEEZZNS1_16scan_by_key_implILNS1_25lookback_scan_determinismE0ELb1ES3_N6thrust23THRUST_200600_302600_NS6detail15normal_iteratorINS9_10device_ptrIxEEEESE_SE_iNS9_4plusIvEENS9_8equal_toIvEEiEE10hipError_tPvRmT2_T3_T4_T5_mT6_T7_P12ihipStream_tbENKUlT_T0_E_clISt17integral_constantIbLb1EESZ_EEDaSU_SV_EUlSU_E_NS1_11comp_targetILNS1_3genE0ELNS1_11target_archE4294967295ELNS1_3gpuE0ELNS1_3repE0EEENS1_30default_config_static_selectorELNS0_4arch9wavefront6targetE0EEEvT1_.has_indirect_call, 0
	.section	.AMDGPU.csdata,"",@progbits
; Kernel info:
; codeLenInByte = 4
; TotalNumSgprs: 0
; NumVgprs: 0
; ScratchSize: 0
; MemoryBound: 0
; FloatMode: 240
; IeeeMode: 1
; LDSByteSize: 0 bytes/workgroup (compile time only)
; SGPRBlocks: 0
; VGPRBlocks: 0
; NumSGPRsForWavesPerEU: 1
; NumVGPRsForWavesPerEU: 1
; NamedBarCnt: 0
; Occupancy: 16
; WaveLimiterHint : 0
; COMPUTE_PGM_RSRC2:SCRATCH_EN: 0
; COMPUTE_PGM_RSRC2:USER_SGPR: 2
; COMPUTE_PGM_RSRC2:TRAP_HANDLER: 0
; COMPUTE_PGM_RSRC2:TGID_X_EN: 1
; COMPUTE_PGM_RSRC2:TGID_Y_EN: 0
; COMPUTE_PGM_RSRC2:TGID_Z_EN: 0
; COMPUTE_PGM_RSRC2:TIDIG_COMP_CNT: 0
	.section	.text._ZN7rocprim17ROCPRIM_400000_NS6detail17trampoline_kernelINS0_14default_configENS1_27scan_by_key_config_selectorIxiEEZZNS1_16scan_by_key_implILNS1_25lookback_scan_determinismE0ELb1ES3_N6thrust23THRUST_200600_302600_NS6detail15normal_iteratorINS9_10device_ptrIxEEEESE_SE_iNS9_4plusIvEENS9_8equal_toIvEEiEE10hipError_tPvRmT2_T3_T4_T5_mT6_T7_P12ihipStream_tbENKUlT_T0_E_clISt17integral_constantIbLb1EESZ_EEDaSU_SV_EUlSU_E_NS1_11comp_targetILNS1_3genE10ELNS1_11target_archE1201ELNS1_3gpuE5ELNS1_3repE0EEENS1_30default_config_static_selectorELNS0_4arch9wavefront6targetE0EEEvT1_,"axG",@progbits,_ZN7rocprim17ROCPRIM_400000_NS6detail17trampoline_kernelINS0_14default_configENS1_27scan_by_key_config_selectorIxiEEZZNS1_16scan_by_key_implILNS1_25lookback_scan_determinismE0ELb1ES3_N6thrust23THRUST_200600_302600_NS6detail15normal_iteratorINS9_10device_ptrIxEEEESE_SE_iNS9_4plusIvEENS9_8equal_toIvEEiEE10hipError_tPvRmT2_T3_T4_T5_mT6_T7_P12ihipStream_tbENKUlT_T0_E_clISt17integral_constantIbLb1EESZ_EEDaSU_SV_EUlSU_E_NS1_11comp_targetILNS1_3genE10ELNS1_11target_archE1201ELNS1_3gpuE5ELNS1_3repE0EEENS1_30default_config_static_selectorELNS0_4arch9wavefront6targetE0EEEvT1_,comdat
	.protected	_ZN7rocprim17ROCPRIM_400000_NS6detail17trampoline_kernelINS0_14default_configENS1_27scan_by_key_config_selectorIxiEEZZNS1_16scan_by_key_implILNS1_25lookback_scan_determinismE0ELb1ES3_N6thrust23THRUST_200600_302600_NS6detail15normal_iteratorINS9_10device_ptrIxEEEESE_SE_iNS9_4plusIvEENS9_8equal_toIvEEiEE10hipError_tPvRmT2_T3_T4_T5_mT6_T7_P12ihipStream_tbENKUlT_T0_E_clISt17integral_constantIbLb1EESZ_EEDaSU_SV_EUlSU_E_NS1_11comp_targetILNS1_3genE10ELNS1_11target_archE1201ELNS1_3gpuE5ELNS1_3repE0EEENS1_30default_config_static_selectorELNS0_4arch9wavefront6targetE0EEEvT1_ ; -- Begin function _ZN7rocprim17ROCPRIM_400000_NS6detail17trampoline_kernelINS0_14default_configENS1_27scan_by_key_config_selectorIxiEEZZNS1_16scan_by_key_implILNS1_25lookback_scan_determinismE0ELb1ES3_N6thrust23THRUST_200600_302600_NS6detail15normal_iteratorINS9_10device_ptrIxEEEESE_SE_iNS9_4plusIvEENS9_8equal_toIvEEiEE10hipError_tPvRmT2_T3_T4_T5_mT6_T7_P12ihipStream_tbENKUlT_T0_E_clISt17integral_constantIbLb1EESZ_EEDaSU_SV_EUlSU_E_NS1_11comp_targetILNS1_3genE10ELNS1_11target_archE1201ELNS1_3gpuE5ELNS1_3repE0EEENS1_30default_config_static_selectorELNS0_4arch9wavefront6targetE0EEEvT1_
	.globl	_ZN7rocprim17ROCPRIM_400000_NS6detail17trampoline_kernelINS0_14default_configENS1_27scan_by_key_config_selectorIxiEEZZNS1_16scan_by_key_implILNS1_25lookback_scan_determinismE0ELb1ES3_N6thrust23THRUST_200600_302600_NS6detail15normal_iteratorINS9_10device_ptrIxEEEESE_SE_iNS9_4plusIvEENS9_8equal_toIvEEiEE10hipError_tPvRmT2_T3_T4_T5_mT6_T7_P12ihipStream_tbENKUlT_T0_E_clISt17integral_constantIbLb1EESZ_EEDaSU_SV_EUlSU_E_NS1_11comp_targetILNS1_3genE10ELNS1_11target_archE1201ELNS1_3gpuE5ELNS1_3repE0EEENS1_30default_config_static_selectorELNS0_4arch9wavefront6targetE0EEEvT1_
	.p2align	8
	.type	_ZN7rocprim17ROCPRIM_400000_NS6detail17trampoline_kernelINS0_14default_configENS1_27scan_by_key_config_selectorIxiEEZZNS1_16scan_by_key_implILNS1_25lookback_scan_determinismE0ELb1ES3_N6thrust23THRUST_200600_302600_NS6detail15normal_iteratorINS9_10device_ptrIxEEEESE_SE_iNS9_4plusIvEENS9_8equal_toIvEEiEE10hipError_tPvRmT2_T3_T4_T5_mT6_T7_P12ihipStream_tbENKUlT_T0_E_clISt17integral_constantIbLb1EESZ_EEDaSU_SV_EUlSU_E_NS1_11comp_targetILNS1_3genE10ELNS1_11target_archE1201ELNS1_3gpuE5ELNS1_3repE0EEENS1_30default_config_static_selectorELNS0_4arch9wavefront6targetE0EEEvT1_,@function
_ZN7rocprim17ROCPRIM_400000_NS6detail17trampoline_kernelINS0_14default_configENS1_27scan_by_key_config_selectorIxiEEZZNS1_16scan_by_key_implILNS1_25lookback_scan_determinismE0ELb1ES3_N6thrust23THRUST_200600_302600_NS6detail15normal_iteratorINS9_10device_ptrIxEEEESE_SE_iNS9_4plusIvEENS9_8equal_toIvEEiEE10hipError_tPvRmT2_T3_T4_T5_mT6_T7_P12ihipStream_tbENKUlT_T0_E_clISt17integral_constantIbLb1EESZ_EEDaSU_SV_EUlSU_E_NS1_11comp_targetILNS1_3genE10ELNS1_11target_archE1201ELNS1_3gpuE5ELNS1_3repE0EEENS1_30default_config_static_selectorELNS0_4arch9wavefront6targetE0EEEvT1_: ; @_ZN7rocprim17ROCPRIM_400000_NS6detail17trampoline_kernelINS0_14default_configENS1_27scan_by_key_config_selectorIxiEEZZNS1_16scan_by_key_implILNS1_25lookback_scan_determinismE0ELb1ES3_N6thrust23THRUST_200600_302600_NS6detail15normal_iteratorINS9_10device_ptrIxEEEESE_SE_iNS9_4plusIvEENS9_8equal_toIvEEiEE10hipError_tPvRmT2_T3_T4_T5_mT6_T7_P12ihipStream_tbENKUlT_T0_E_clISt17integral_constantIbLb1EESZ_EEDaSU_SV_EUlSU_E_NS1_11comp_targetILNS1_3genE10ELNS1_11target_archE1201ELNS1_3gpuE5ELNS1_3repE0EEENS1_30default_config_static_selectorELNS0_4arch9wavefront6targetE0EEEvT1_
; %bb.0:
	.section	.rodata,"a",@progbits
	.p2align	6, 0x0
	.amdhsa_kernel _ZN7rocprim17ROCPRIM_400000_NS6detail17trampoline_kernelINS0_14default_configENS1_27scan_by_key_config_selectorIxiEEZZNS1_16scan_by_key_implILNS1_25lookback_scan_determinismE0ELb1ES3_N6thrust23THRUST_200600_302600_NS6detail15normal_iteratorINS9_10device_ptrIxEEEESE_SE_iNS9_4plusIvEENS9_8equal_toIvEEiEE10hipError_tPvRmT2_T3_T4_T5_mT6_T7_P12ihipStream_tbENKUlT_T0_E_clISt17integral_constantIbLb1EESZ_EEDaSU_SV_EUlSU_E_NS1_11comp_targetILNS1_3genE10ELNS1_11target_archE1201ELNS1_3gpuE5ELNS1_3repE0EEENS1_30default_config_static_selectorELNS0_4arch9wavefront6targetE0EEEvT1_
		.amdhsa_group_segment_fixed_size 0
		.amdhsa_private_segment_fixed_size 0
		.amdhsa_kernarg_size 112
		.amdhsa_user_sgpr_count 2
		.amdhsa_user_sgpr_dispatch_ptr 0
		.amdhsa_user_sgpr_queue_ptr 0
		.amdhsa_user_sgpr_kernarg_segment_ptr 1
		.amdhsa_user_sgpr_dispatch_id 0
		.amdhsa_user_sgpr_kernarg_preload_length 0
		.amdhsa_user_sgpr_kernarg_preload_offset 0
		.amdhsa_user_sgpr_private_segment_size 0
		.amdhsa_wavefront_size32 1
		.amdhsa_uses_dynamic_stack 0
		.amdhsa_enable_private_segment 0
		.amdhsa_system_sgpr_workgroup_id_x 1
		.amdhsa_system_sgpr_workgroup_id_y 0
		.amdhsa_system_sgpr_workgroup_id_z 0
		.amdhsa_system_sgpr_workgroup_info 0
		.amdhsa_system_vgpr_workitem_id 0
		.amdhsa_next_free_vgpr 1
		.amdhsa_next_free_sgpr 1
		.amdhsa_named_barrier_count 0
		.amdhsa_reserve_vcc 0
		.amdhsa_float_round_mode_32 0
		.amdhsa_float_round_mode_16_64 0
		.amdhsa_float_denorm_mode_32 3
		.amdhsa_float_denorm_mode_16_64 3
		.amdhsa_fp16_overflow 0
		.amdhsa_memory_ordered 1
		.amdhsa_forward_progress 1
		.amdhsa_inst_pref_size 0
		.amdhsa_round_robin_scheduling 0
		.amdhsa_exception_fp_ieee_invalid_op 0
		.amdhsa_exception_fp_denorm_src 0
		.amdhsa_exception_fp_ieee_div_zero 0
		.amdhsa_exception_fp_ieee_overflow 0
		.amdhsa_exception_fp_ieee_underflow 0
		.amdhsa_exception_fp_ieee_inexact 0
		.amdhsa_exception_int_div_zero 0
	.end_amdhsa_kernel
	.section	.text._ZN7rocprim17ROCPRIM_400000_NS6detail17trampoline_kernelINS0_14default_configENS1_27scan_by_key_config_selectorIxiEEZZNS1_16scan_by_key_implILNS1_25lookback_scan_determinismE0ELb1ES3_N6thrust23THRUST_200600_302600_NS6detail15normal_iteratorINS9_10device_ptrIxEEEESE_SE_iNS9_4plusIvEENS9_8equal_toIvEEiEE10hipError_tPvRmT2_T3_T4_T5_mT6_T7_P12ihipStream_tbENKUlT_T0_E_clISt17integral_constantIbLb1EESZ_EEDaSU_SV_EUlSU_E_NS1_11comp_targetILNS1_3genE10ELNS1_11target_archE1201ELNS1_3gpuE5ELNS1_3repE0EEENS1_30default_config_static_selectorELNS0_4arch9wavefront6targetE0EEEvT1_,"axG",@progbits,_ZN7rocprim17ROCPRIM_400000_NS6detail17trampoline_kernelINS0_14default_configENS1_27scan_by_key_config_selectorIxiEEZZNS1_16scan_by_key_implILNS1_25lookback_scan_determinismE0ELb1ES3_N6thrust23THRUST_200600_302600_NS6detail15normal_iteratorINS9_10device_ptrIxEEEESE_SE_iNS9_4plusIvEENS9_8equal_toIvEEiEE10hipError_tPvRmT2_T3_T4_T5_mT6_T7_P12ihipStream_tbENKUlT_T0_E_clISt17integral_constantIbLb1EESZ_EEDaSU_SV_EUlSU_E_NS1_11comp_targetILNS1_3genE10ELNS1_11target_archE1201ELNS1_3gpuE5ELNS1_3repE0EEENS1_30default_config_static_selectorELNS0_4arch9wavefront6targetE0EEEvT1_,comdat
.Lfunc_end1013:
	.size	_ZN7rocprim17ROCPRIM_400000_NS6detail17trampoline_kernelINS0_14default_configENS1_27scan_by_key_config_selectorIxiEEZZNS1_16scan_by_key_implILNS1_25lookback_scan_determinismE0ELb1ES3_N6thrust23THRUST_200600_302600_NS6detail15normal_iteratorINS9_10device_ptrIxEEEESE_SE_iNS9_4plusIvEENS9_8equal_toIvEEiEE10hipError_tPvRmT2_T3_T4_T5_mT6_T7_P12ihipStream_tbENKUlT_T0_E_clISt17integral_constantIbLb1EESZ_EEDaSU_SV_EUlSU_E_NS1_11comp_targetILNS1_3genE10ELNS1_11target_archE1201ELNS1_3gpuE5ELNS1_3repE0EEENS1_30default_config_static_selectorELNS0_4arch9wavefront6targetE0EEEvT1_, .Lfunc_end1013-_ZN7rocprim17ROCPRIM_400000_NS6detail17trampoline_kernelINS0_14default_configENS1_27scan_by_key_config_selectorIxiEEZZNS1_16scan_by_key_implILNS1_25lookback_scan_determinismE0ELb1ES3_N6thrust23THRUST_200600_302600_NS6detail15normal_iteratorINS9_10device_ptrIxEEEESE_SE_iNS9_4plusIvEENS9_8equal_toIvEEiEE10hipError_tPvRmT2_T3_T4_T5_mT6_T7_P12ihipStream_tbENKUlT_T0_E_clISt17integral_constantIbLb1EESZ_EEDaSU_SV_EUlSU_E_NS1_11comp_targetILNS1_3genE10ELNS1_11target_archE1201ELNS1_3gpuE5ELNS1_3repE0EEENS1_30default_config_static_selectorELNS0_4arch9wavefront6targetE0EEEvT1_
                                        ; -- End function
	.set _ZN7rocprim17ROCPRIM_400000_NS6detail17trampoline_kernelINS0_14default_configENS1_27scan_by_key_config_selectorIxiEEZZNS1_16scan_by_key_implILNS1_25lookback_scan_determinismE0ELb1ES3_N6thrust23THRUST_200600_302600_NS6detail15normal_iteratorINS9_10device_ptrIxEEEESE_SE_iNS9_4plusIvEENS9_8equal_toIvEEiEE10hipError_tPvRmT2_T3_T4_T5_mT6_T7_P12ihipStream_tbENKUlT_T0_E_clISt17integral_constantIbLb1EESZ_EEDaSU_SV_EUlSU_E_NS1_11comp_targetILNS1_3genE10ELNS1_11target_archE1201ELNS1_3gpuE5ELNS1_3repE0EEENS1_30default_config_static_selectorELNS0_4arch9wavefront6targetE0EEEvT1_.num_vgpr, 0
	.set _ZN7rocprim17ROCPRIM_400000_NS6detail17trampoline_kernelINS0_14default_configENS1_27scan_by_key_config_selectorIxiEEZZNS1_16scan_by_key_implILNS1_25lookback_scan_determinismE0ELb1ES3_N6thrust23THRUST_200600_302600_NS6detail15normal_iteratorINS9_10device_ptrIxEEEESE_SE_iNS9_4plusIvEENS9_8equal_toIvEEiEE10hipError_tPvRmT2_T3_T4_T5_mT6_T7_P12ihipStream_tbENKUlT_T0_E_clISt17integral_constantIbLb1EESZ_EEDaSU_SV_EUlSU_E_NS1_11comp_targetILNS1_3genE10ELNS1_11target_archE1201ELNS1_3gpuE5ELNS1_3repE0EEENS1_30default_config_static_selectorELNS0_4arch9wavefront6targetE0EEEvT1_.num_agpr, 0
	.set _ZN7rocprim17ROCPRIM_400000_NS6detail17trampoline_kernelINS0_14default_configENS1_27scan_by_key_config_selectorIxiEEZZNS1_16scan_by_key_implILNS1_25lookback_scan_determinismE0ELb1ES3_N6thrust23THRUST_200600_302600_NS6detail15normal_iteratorINS9_10device_ptrIxEEEESE_SE_iNS9_4plusIvEENS9_8equal_toIvEEiEE10hipError_tPvRmT2_T3_T4_T5_mT6_T7_P12ihipStream_tbENKUlT_T0_E_clISt17integral_constantIbLb1EESZ_EEDaSU_SV_EUlSU_E_NS1_11comp_targetILNS1_3genE10ELNS1_11target_archE1201ELNS1_3gpuE5ELNS1_3repE0EEENS1_30default_config_static_selectorELNS0_4arch9wavefront6targetE0EEEvT1_.numbered_sgpr, 0
	.set _ZN7rocprim17ROCPRIM_400000_NS6detail17trampoline_kernelINS0_14default_configENS1_27scan_by_key_config_selectorIxiEEZZNS1_16scan_by_key_implILNS1_25lookback_scan_determinismE0ELb1ES3_N6thrust23THRUST_200600_302600_NS6detail15normal_iteratorINS9_10device_ptrIxEEEESE_SE_iNS9_4plusIvEENS9_8equal_toIvEEiEE10hipError_tPvRmT2_T3_T4_T5_mT6_T7_P12ihipStream_tbENKUlT_T0_E_clISt17integral_constantIbLb1EESZ_EEDaSU_SV_EUlSU_E_NS1_11comp_targetILNS1_3genE10ELNS1_11target_archE1201ELNS1_3gpuE5ELNS1_3repE0EEENS1_30default_config_static_selectorELNS0_4arch9wavefront6targetE0EEEvT1_.num_named_barrier, 0
	.set _ZN7rocprim17ROCPRIM_400000_NS6detail17trampoline_kernelINS0_14default_configENS1_27scan_by_key_config_selectorIxiEEZZNS1_16scan_by_key_implILNS1_25lookback_scan_determinismE0ELb1ES3_N6thrust23THRUST_200600_302600_NS6detail15normal_iteratorINS9_10device_ptrIxEEEESE_SE_iNS9_4plusIvEENS9_8equal_toIvEEiEE10hipError_tPvRmT2_T3_T4_T5_mT6_T7_P12ihipStream_tbENKUlT_T0_E_clISt17integral_constantIbLb1EESZ_EEDaSU_SV_EUlSU_E_NS1_11comp_targetILNS1_3genE10ELNS1_11target_archE1201ELNS1_3gpuE5ELNS1_3repE0EEENS1_30default_config_static_selectorELNS0_4arch9wavefront6targetE0EEEvT1_.private_seg_size, 0
	.set _ZN7rocprim17ROCPRIM_400000_NS6detail17trampoline_kernelINS0_14default_configENS1_27scan_by_key_config_selectorIxiEEZZNS1_16scan_by_key_implILNS1_25lookback_scan_determinismE0ELb1ES3_N6thrust23THRUST_200600_302600_NS6detail15normal_iteratorINS9_10device_ptrIxEEEESE_SE_iNS9_4plusIvEENS9_8equal_toIvEEiEE10hipError_tPvRmT2_T3_T4_T5_mT6_T7_P12ihipStream_tbENKUlT_T0_E_clISt17integral_constantIbLb1EESZ_EEDaSU_SV_EUlSU_E_NS1_11comp_targetILNS1_3genE10ELNS1_11target_archE1201ELNS1_3gpuE5ELNS1_3repE0EEENS1_30default_config_static_selectorELNS0_4arch9wavefront6targetE0EEEvT1_.uses_vcc, 0
	.set _ZN7rocprim17ROCPRIM_400000_NS6detail17trampoline_kernelINS0_14default_configENS1_27scan_by_key_config_selectorIxiEEZZNS1_16scan_by_key_implILNS1_25lookback_scan_determinismE0ELb1ES3_N6thrust23THRUST_200600_302600_NS6detail15normal_iteratorINS9_10device_ptrIxEEEESE_SE_iNS9_4plusIvEENS9_8equal_toIvEEiEE10hipError_tPvRmT2_T3_T4_T5_mT6_T7_P12ihipStream_tbENKUlT_T0_E_clISt17integral_constantIbLb1EESZ_EEDaSU_SV_EUlSU_E_NS1_11comp_targetILNS1_3genE10ELNS1_11target_archE1201ELNS1_3gpuE5ELNS1_3repE0EEENS1_30default_config_static_selectorELNS0_4arch9wavefront6targetE0EEEvT1_.uses_flat_scratch, 0
	.set _ZN7rocprim17ROCPRIM_400000_NS6detail17trampoline_kernelINS0_14default_configENS1_27scan_by_key_config_selectorIxiEEZZNS1_16scan_by_key_implILNS1_25lookback_scan_determinismE0ELb1ES3_N6thrust23THRUST_200600_302600_NS6detail15normal_iteratorINS9_10device_ptrIxEEEESE_SE_iNS9_4plusIvEENS9_8equal_toIvEEiEE10hipError_tPvRmT2_T3_T4_T5_mT6_T7_P12ihipStream_tbENKUlT_T0_E_clISt17integral_constantIbLb1EESZ_EEDaSU_SV_EUlSU_E_NS1_11comp_targetILNS1_3genE10ELNS1_11target_archE1201ELNS1_3gpuE5ELNS1_3repE0EEENS1_30default_config_static_selectorELNS0_4arch9wavefront6targetE0EEEvT1_.has_dyn_sized_stack, 0
	.set _ZN7rocprim17ROCPRIM_400000_NS6detail17trampoline_kernelINS0_14default_configENS1_27scan_by_key_config_selectorIxiEEZZNS1_16scan_by_key_implILNS1_25lookback_scan_determinismE0ELb1ES3_N6thrust23THRUST_200600_302600_NS6detail15normal_iteratorINS9_10device_ptrIxEEEESE_SE_iNS9_4plusIvEENS9_8equal_toIvEEiEE10hipError_tPvRmT2_T3_T4_T5_mT6_T7_P12ihipStream_tbENKUlT_T0_E_clISt17integral_constantIbLb1EESZ_EEDaSU_SV_EUlSU_E_NS1_11comp_targetILNS1_3genE10ELNS1_11target_archE1201ELNS1_3gpuE5ELNS1_3repE0EEENS1_30default_config_static_selectorELNS0_4arch9wavefront6targetE0EEEvT1_.has_recursion, 0
	.set _ZN7rocprim17ROCPRIM_400000_NS6detail17trampoline_kernelINS0_14default_configENS1_27scan_by_key_config_selectorIxiEEZZNS1_16scan_by_key_implILNS1_25lookback_scan_determinismE0ELb1ES3_N6thrust23THRUST_200600_302600_NS6detail15normal_iteratorINS9_10device_ptrIxEEEESE_SE_iNS9_4plusIvEENS9_8equal_toIvEEiEE10hipError_tPvRmT2_T3_T4_T5_mT6_T7_P12ihipStream_tbENKUlT_T0_E_clISt17integral_constantIbLb1EESZ_EEDaSU_SV_EUlSU_E_NS1_11comp_targetILNS1_3genE10ELNS1_11target_archE1201ELNS1_3gpuE5ELNS1_3repE0EEENS1_30default_config_static_selectorELNS0_4arch9wavefront6targetE0EEEvT1_.has_indirect_call, 0
	.section	.AMDGPU.csdata,"",@progbits
; Kernel info:
; codeLenInByte = 0
; TotalNumSgprs: 0
; NumVgprs: 0
; ScratchSize: 0
; MemoryBound: 0
; FloatMode: 240
; IeeeMode: 1
; LDSByteSize: 0 bytes/workgroup (compile time only)
; SGPRBlocks: 0
; VGPRBlocks: 0
; NumSGPRsForWavesPerEU: 1
; NumVGPRsForWavesPerEU: 1
; NamedBarCnt: 0
; Occupancy: 16
; WaveLimiterHint : 0
; COMPUTE_PGM_RSRC2:SCRATCH_EN: 0
; COMPUTE_PGM_RSRC2:USER_SGPR: 2
; COMPUTE_PGM_RSRC2:TRAP_HANDLER: 0
; COMPUTE_PGM_RSRC2:TGID_X_EN: 1
; COMPUTE_PGM_RSRC2:TGID_Y_EN: 0
; COMPUTE_PGM_RSRC2:TGID_Z_EN: 0
; COMPUTE_PGM_RSRC2:TIDIG_COMP_CNT: 0
	.section	.text._ZN7rocprim17ROCPRIM_400000_NS6detail17trampoline_kernelINS0_14default_configENS1_27scan_by_key_config_selectorIxiEEZZNS1_16scan_by_key_implILNS1_25lookback_scan_determinismE0ELb1ES3_N6thrust23THRUST_200600_302600_NS6detail15normal_iteratorINS9_10device_ptrIxEEEESE_SE_iNS9_4plusIvEENS9_8equal_toIvEEiEE10hipError_tPvRmT2_T3_T4_T5_mT6_T7_P12ihipStream_tbENKUlT_T0_E_clISt17integral_constantIbLb1EESZ_EEDaSU_SV_EUlSU_E_NS1_11comp_targetILNS1_3genE5ELNS1_11target_archE942ELNS1_3gpuE9ELNS1_3repE0EEENS1_30default_config_static_selectorELNS0_4arch9wavefront6targetE0EEEvT1_,"axG",@progbits,_ZN7rocprim17ROCPRIM_400000_NS6detail17trampoline_kernelINS0_14default_configENS1_27scan_by_key_config_selectorIxiEEZZNS1_16scan_by_key_implILNS1_25lookback_scan_determinismE0ELb1ES3_N6thrust23THRUST_200600_302600_NS6detail15normal_iteratorINS9_10device_ptrIxEEEESE_SE_iNS9_4plusIvEENS9_8equal_toIvEEiEE10hipError_tPvRmT2_T3_T4_T5_mT6_T7_P12ihipStream_tbENKUlT_T0_E_clISt17integral_constantIbLb1EESZ_EEDaSU_SV_EUlSU_E_NS1_11comp_targetILNS1_3genE5ELNS1_11target_archE942ELNS1_3gpuE9ELNS1_3repE0EEENS1_30default_config_static_selectorELNS0_4arch9wavefront6targetE0EEEvT1_,comdat
	.protected	_ZN7rocprim17ROCPRIM_400000_NS6detail17trampoline_kernelINS0_14default_configENS1_27scan_by_key_config_selectorIxiEEZZNS1_16scan_by_key_implILNS1_25lookback_scan_determinismE0ELb1ES3_N6thrust23THRUST_200600_302600_NS6detail15normal_iteratorINS9_10device_ptrIxEEEESE_SE_iNS9_4plusIvEENS9_8equal_toIvEEiEE10hipError_tPvRmT2_T3_T4_T5_mT6_T7_P12ihipStream_tbENKUlT_T0_E_clISt17integral_constantIbLb1EESZ_EEDaSU_SV_EUlSU_E_NS1_11comp_targetILNS1_3genE5ELNS1_11target_archE942ELNS1_3gpuE9ELNS1_3repE0EEENS1_30default_config_static_selectorELNS0_4arch9wavefront6targetE0EEEvT1_ ; -- Begin function _ZN7rocprim17ROCPRIM_400000_NS6detail17trampoline_kernelINS0_14default_configENS1_27scan_by_key_config_selectorIxiEEZZNS1_16scan_by_key_implILNS1_25lookback_scan_determinismE0ELb1ES3_N6thrust23THRUST_200600_302600_NS6detail15normal_iteratorINS9_10device_ptrIxEEEESE_SE_iNS9_4plusIvEENS9_8equal_toIvEEiEE10hipError_tPvRmT2_T3_T4_T5_mT6_T7_P12ihipStream_tbENKUlT_T0_E_clISt17integral_constantIbLb1EESZ_EEDaSU_SV_EUlSU_E_NS1_11comp_targetILNS1_3genE5ELNS1_11target_archE942ELNS1_3gpuE9ELNS1_3repE0EEENS1_30default_config_static_selectorELNS0_4arch9wavefront6targetE0EEEvT1_
	.globl	_ZN7rocprim17ROCPRIM_400000_NS6detail17trampoline_kernelINS0_14default_configENS1_27scan_by_key_config_selectorIxiEEZZNS1_16scan_by_key_implILNS1_25lookback_scan_determinismE0ELb1ES3_N6thrust23THRUST_200600_302600_NS6detail15normal_iteratorINS9_10device_ptrIxEEEESE_SE_iNS9_4plusIvEENS9_8equal_toIvEEiEE10hipError_tPvRmT2_T3_T4_T5_mT6_T7_P12ihipStream_tbENKUlT_T0_E_clISt17integral_constantIbLb1EESZ_EEDaSU_SV_EUlSU_E_NS1_11comp_targetILNS1_3genE5ELNS1_11target_archE942ELNS1_3gpuE9ELNS1_3repE0EEENS1_30default_config_static_selectorELNS0_4arch9wavefront6targetE0EEEvT1_
	.p2align	8
	.type	_ZN7rocprim17ROCPRIM_400000_NS6detail17trampoline_kernelINS0_14default_configENS1_27scan_by_key_config_selectorIxiEEZZNS1_16scan_by_key_implILNS1_25lookback_scan_determinismE0ELb1ES3_N6thrust23THRUST_200600_302600_NS6detail15normal_iteratorINS9_10device_ptrIxEEEESE_SE_iNS9_4plusIvEENS9_8equal_toIvEEiEE10hipError_tPvRmT2_T3_T4_T5_mT6_T7_P12ihipStream_tbENKUlT_T0_E_clISt17integral_constantIbLb1EESZ_EEDaSU_SV_EUlSU_E_NS1_11comp_targetILNS1_3genE5ELNS1_11target_archE942ELNS1_3gpuE9ELNS1_3repE0EEENS1_30default_config_static_selectorELNS0_4arch9wavefront6targetE0EEEvT1_,@function
_ZN7rocprim17ROCPRIM_400000_NS6detail17trampoline_kernelINS0_14default_configENS1_27scan_by_key_config_selectorIxiEEZZNS1_16scan_by_key_implILNS1_25lookback_scan_determinismE0ELb1ES3_N6thrust23THRUST_200600_302600_NS6detail15normal_iteratorINS9_10device_ptrIxEEEESE_SE_iNS9_4plusIvEENS9_8equal_toIvEEiEE10hipError_tPvRmT2_T3_T4_T5_mT6_T7_P12ihipStream_tbENKUlT_T0_E_clISt17integral_constantIbLb1EESZ_EEDaSU_SV_EUlSU_E_NS1_11comp_targetILNS1_3genE5ELNS1_11target_archE942ELNS1_3gpuE9ELNS1_3repE0EEENS1_30default_config_static_selectorELNS0_4arch9wavefront6targetE0EEEvT1_: ; @_ZN7rocprim17ROCPRIM_400000_NS6detail17trampoline_kernelINS0_14default_configENS1_27scan_by_key_config_selectorIxiEEZZNS1_16scan_by_key_implILNS1_25lookback_scan_determinismE0ELb1ES3_N6thrust23THRUST_200600_302600_NS6detail15normal_iteratorINS9_10device_ptrIxEEEESE_SE_iNS9_4plusIvEENS9_8equal_toIvEEiEE10hipError_tPvRmT2_T3_T4_T5_mT6_T7_P12ihipStream_tbENKUlT_T0_E_clISt17integral_constantIbLb1EESZ_EEDaSU_SV_EUlSU_E_NS1_11comp_targetILNS1_3genE5ELNS1_11target_archE942ELNS1_3gpuE9ELNS1_3repE0EEENS1_30default_config_static_selectorELNS0_4arch9wavefront6targetE0EEEvT1_
; %bb.0:
	.section	.rodata,"a",@progbits
	.p2align	6, 0x0
	.amdhsa_kernel _ZN7rocprim17ROCPRIM_400000_NS6detail17trampoline_kernelINS0_14default_configENS1_27scan_by_key_config_selectorIxiEEZZNS1_16scan_by_key_implILNS1_25lookback_scan_determinismE0ELb1ES3_N6thrust23THRUST_200600_302600_NS6detail15normal_iteratorINS9_10device_ptrIxEEEESE_SE_iNS9_4plusIvEENS9_8equal_toIvEEiEE10hipError_tPvRmT2_T3_T4_T5_mT6_T7_P12ihipStream_tbENKUlT_T0_E_clISt17integral_constantIbLb1EESZ_EEDaSU_SV_EUlSU_E_NS1_11comp_targetILNS1_3genE5ELNS1_11target_archE942ELNS1_3gpuE9ELNS1_3repE0EEENS1_30default_config_static_selectorELNS0_4arch9wavefront6targetE0EEEvT1_
		.amdhsa_group_segment_fixed_size 0
		.amdhsa_private_segment_fixed_size 0
		.amdhsa_kernarg_size 112
		.amdhsa_user_sgpr_count 2
		.amdhsa_user_sgpr_dispatch_ptr 0
		.amdhsa_user_sgpr_queue_ptr 0
		.amdhsa_user_sgpr_kernarg_segment_ptr 1
		.amdhsa_user_sgpr_dispatch_id 0
		.amdhsa_user_sgpr_kernarg_preload_length 0
		.amdhsa_user_sgpr_kernarg_preload_offset 0
		.amdhsa_user_sgpr_private_segment_size 0
		.amdhsa_wavefront_size32 1
		.amdhsa_uses_dynamic_stack 0
		.amdhsa_enable_private_segment 0
		.amdhsa_system_sgpr_workgroup_id_x 1
		.amdhsa_system_sgpr_workgroup_id_y 0
		.amdhsa_system_sgpr_workgroup_id_z 0
		.amdhsa_system_sgpr_workgroup_info 0
		.amdhsa_system_vgpr_workitem_id 0
		.amdhsa_next_free_vgpr 1
		.amdhsa_next_free_sgpr 1
		.amdhsa_named_barrier_count 0
		.amdhsa_reserve_vcc 0
		.amdhsa_float_round_mode_32 0
		.amdhsa_float_round_mode_16_64 0
		.amdhsa_float_denorm_mode_32 3
		.amdhsa_float_denorm_mode_16_64 3
		.amdhsa_fp16_overflow 0
		.amdhsa_memory_ordered 1
		.amdhsa_forward_progress 1
		.amdhsa_inst_pref_size 0
		.amdhsa_round_robin_scheduling 0
		.amdhsa_exception_fp_ieee_invalid_op 0
		.amdhsa_exception_fp_denorm_src 0
		.amdhsa_exception_fp_ieee_div_zero 0
		.amdhsa_exception_fp_ieee_overflow 0
		.amdhsa_exception_fp_ieee_underflow 0
		.amdhsa_exception_fp_ieee_inexact 0
		.amdhsa_exception_int_div_zero 0
	.end_amdhsa_kernel
	.section	.text._ZN7rocprim17ROCPRIM_400000_NS6detail17trampoline_kernelINS0_14default_configENS1_27scan_by_key_config_selectorIxiEEZZNS1_16scan_by_key_implILNS1_25lookback_scan_determinismE0ELb1ES3_N6thrust23THRUST_200600_302600_NS6detail15normal_iteratorINS9_10device_ptrIxEEEESE_SE_iNS9_4plusIvEENS9_8equal_toIvEEiEE10hipError_tPvRmT2_T3_T4_T5_mT6_T7_P12ihipStream_tbENKUlT_T0_E_clISt17integral_constantIbLb1EESZ_EEDaSU_SV_EUlSU_E_NS1_11comp_targetILNS1_3genE5ELNS1_11target_archE942ELNS1_3gpuE9ELNS1_3repE0EEENS1_30default_config_static_selectorELNS0_4arch9wavefront6targetE0EEEvT1_,"axG",@progbits,_ZN7rocprim17ROCPRIM_400000_NS6detail17trampoline_kernelINS0_14default_configENS1_27scan_by_key_config_selectorIxiEEZZNS1_16scan_by_key_implILNS1_25lookback_scan_determinismE0ELb1ES3_N6thrust23THRUST_200600_302600_NS6detail15normal_iteratorINS9_10device_ptrIxEEEESE_SE_iNS9_4plusIvEENS9_8equal_toIvEEiEE10hipError_tPvRmT2_T3_T4_T5_mT6_T7_P12ihipStream_tbENKUlT_T0_E_clISt17integral_constantIbLb1EESZ_EEDaSU_SV_EUlSU_E_NS1_11comp_targetILNS1_3genE5ELNS1_11target_archE942ELNS1_3gpuE9ELNS1_3repE0EEENS1_30default_config_static_selectorELNS0_4arch9wavefront6targetE0EEEvT1_,comdat
.Lfunc_end1014:
	.size	_ZN7rocprim17ROCPRIM_400000_NS6detail17trampoline_kernelINS0_14default_configENS1_27scan_by_key_config_selectorIxiEEZZNS1_16scan_by_key_implILNS1_25lookback_scan_determinismE0ELb1ES3_N6thrust23THRUST_200600_302600_NS6detail15normal_iteratorINS9_10device_ptrIxEEEESE_SE_iNS9_4plusIvEENS9_8equal_toIvEEiEE10hipError_tPvRmT2_T3_T4_T5_mT6_T7_P12ihipStream_tbENKUlT_T0_E_clISt17integral_constantIbLb1EESZ_EEDaSU_SV_EUlSU_E_NS1_11comp_targetILNS1_3genE5ELNS1_11target_archE942ELNS1_3gpuE9ELNS1_3repE0EEENS1_30default_config_static_selectorELNS0_4arch9wavefront6targetE0EEEvT1_, .Lfunc_end1014-_ZN7rocprim17ROCPRIM_400000_NS6detail17trampoline_kernelINS0_14default_configENS1_27scan_by_key_config_selectorIxiEEZZNS1_16scan_by_key_implILNS1_25lookback_scan_determinismE0ELb1ES3_N6thrust23THRUST_200600_302600_NS6detail15normal_iteratorINS9_10device_ptrIxEEEESE_SE_iNS9_4plusIvEENS9_8equal_toIvEEiEE10hipError_tPvRmT2_T3_T4_T5_mT6_T7_P12ihipStream_tbENKUlT_T0_E_clISt17integral_constantIbLb1EESZ_EEDaSU_SV_EUlSU_E_NS1_11comp_targetILNS1_3genE5ELNS1_11target_archE942ELNS1_3gpuE9ELNS1_3repE0EEENS1_30default_config_static_selectorELNS0_4arch9wavefront6targetE0EEEvT1_
                                        ; -- End function
	.set _ZN7rocprim17ROCPRIM_400000_NS6detail17trampoline_kernelINS0_14default_configENS1_27scan_by_key_config_selectorIxiEEZZNS1_16scan_by_key_implILNS1_25lookback_scan_determinismE0ELb1ES3_N6thrust23THRUST_200600_302600_NS6detail15normal_iteratorINS9_10device_ptrIxEEEESE_SE_iNS9_4plusIvEENS9_8equal_toIvEEiEE10hipError_tPvRmT2_T3_T4_T5_mT6_T7_P12ihipStream_tbENKUlT_T0_E_clISt17integral_constantIbLb1EESZ_EEDaSU_SV_EUlSU_E_NS1_11comp_targetILNS1_3genE5ELNS1_11target_archE942ELNS1_3gpuE9ELNS1_3repE0EEENS1_30default_config_static_selectorELNS0_4arch9wavefront6targetE0EEEvT1_.num_vgpr, 0
	.set _ZN7rocprim17ROCPRIM_400000_NS6detail17trampoline_kernelINS0_14default_configENS1_27scan_by_key_config_selectorIxiEEZZNS1_16scan_by_key_implILNS1_25lookback_scan_determinismE0ELb1ES3_N6thrust23THRUST_200600_302600_NS6detail15normal_iteratorINS9_10device_ptrIxEEEESE_SE_iNS9_4plusIvEENS9_8equal_toIvEEiEE10hipError_tPvRmT2_T3_T4_T5_mT6_T7_P12ihipStream_tbENKUlT_T0_E_clISt17integral_constantIbLb1EESZ_EEDaSU_SV_EUlSU_E_NS1_11comp_targetILNS1_3genE5ELNS1_11target_archE942ELNS1_3gpuE9ELNS1_3repE0EEENS1_30default_config_static_selectorELNS0_4arch9wavefront6targetE0EEEvT1_.num_agpr, 0
	.set _ZN7rocprim17ROCPRIM_400000_NS6detail17trampoline_kernelINS0_14default_configENS1_27scan_by_key_config_selectorIxiEEZZNS1_16scan_by_key_implILNS1_25lookback_scan_determinismE0ELb1ES3_N6thrust23THRUST_200600_302600_NS6detail15normal_iteratorINS9_10device_ptrIxEEEESE_SE_iNS9_4plusIvEENS9_8equal_toIvEEiEE10hipError_tPvRmT2_T3_T4_T5_mT6_T7_P12ihipStream_tbENKUlT_T0_E_clISt17integral_constantIbLb1EESZ_EEDaSU_SV_EUlSU_E_NS1_11comp_targetILNS1_3genE5ELNS1_11target_archE942ELNS1_3gpuE9ELNS1_3repE0EEENS1_30default_config_static_selectorELNS0_4arch9wavefront6targetE0EEEvT1_.numbered_sgpr, 0
	.set _ZN7rocprim17ROCPRIM_400000_NS6detail17trampoline_kernelINS0_14default_configENS1_27scan_by_key_config_selectorIxiEEZZNS1_16scan_by_key_implILNS1_25lookback_scan_determinismE0ELb1ES3_N6thrust23THRUST_200600_302600_NS6detail15normal_iteratorINS9_10device_ptrIxEEEESE_SE_iNS9_4plusIvEENS9_8equal_toIvEEiEE10hipError_tPvRmT2_T3_T4_T5_mT6_T7_P12ihipStream_tbENKUlT_T0_E_clISt17integral_constantIbLb1EESZ_EEDaSU_SV_EUlSU_E_NS1_11comp_targetILNS1_3genE5ELNS1_11target_archE942ELNS1_3gpuE9ELNS1_3repE0EEENS1_30default_config_static_selectorELNS0_4arch9wavefront6targetE0EEEvT1_.num_named_barrier, 0
	.set _ZN7rocprim17ROCPRIM_400000_NS6detail17trampoline_kernelINS0_14default_configENS1_27scan_by_key_config_selectorIxiEEZZNS1_16scan_by_key_implILNS1_25lookback_scan_determinismE0ELb1ES3_N6thrust23THRUST_200600_302600_NS6detail15normal_iteratorINS9_10device_ptrIxEEEESE_SE_iNS9_4plusIvEENS9_8equal_toIvEEiEE10hipError_tPvRmT2_T3_T4_T5_mT6_T7_P12ihipStream_tbENKUlT_T0_E_clISt17integral_constantIbLb1EESZ_EEDaSU_SV_EUlSU_E_NS1_11comp_targetILNS1_3genE5ELNS1_11target_archE942ELNS1_3gpuE9ELNS1_3repE0EEENS1_30default_config_static_selectorELNS0_4arch9wavefront6targetE0EEEvT1_.private_seg_size, 0
	.set _ZN7rocprim17ROCPRIM_400000_NS6detail17trampoline_kernelINS0_14default_configENS1_27scan_by_key_config_selectorIxiEEZZNS1_16scan_by_key_implILNS1_25lookback_scan_determinismE0ELb1ES3_N6thrust23THRUST_200600_302600_NS6detail15normal_iteratorINS9_10device_ptrIxEEEESE_SE_iNS9_4plusIvEENS9_8equal_toIvEEiEE10hipError_tPvRmT2_T3_T4_T5_mT6_T7_P12ihipStream_tbENKUlT_T0_E_clISt17integral_constantIbLb1EESZ_EEDaSU_SV_EUlSU_E_NS1_11comp_targetILNS1_3genE5ELNS1_11target_archE942ELNS1_3gpuE9ELNS1_3repE0EEENS1_30default_config_static_selectorELNS0_4arch9wavefront6targetE0EEEvT1_.uses_vcc, 0
	.set _ZN7rocprim17ROCPRIM_400000_NS6detail17trampoline_kernelINS0_14default_configENS1_27scan_by_key_config_selectorIxiEEZZNS1_16scan_by_key_implILNS1_25lookback_scan_determinismE0ELb1ES3_N6thrust23THRUST_200600_302600_NS6detail15normal_iteratorINS9_10device_ptrIxEEEESE_SE_iNS9_4plusIvEENS9_8equal_toIvEEiEE10hipError_tPvRmT2_T3_T4_T5_mT6_T7_P12ihipStream_tbENKUlT_T0_E_clISt17integral_constantIbLb1EESZ_EEDaSU_SV_EUlSU_E_NS1_11comp_targetILNS1_3genE5ELNS1_11target_archE942ELNS1_3gpuE9ELNS1_3repE0EEENS1_30default_config_static_selectorELNS0_4arch9wavefront6targetE0EEEvT1_.uses_flat_scratch, 0
	.set _ZN7rocprim17ROCPRIM_400000_NS6detail17trampoline_kernelINS0_14default_configENS1_27scan_by_key_config_selectorIxiEEZZNS1_16scan_by_key_implILNS1_25lookback_scan_determinismE0ELb1ES3_N6thrust23THRUST_200600_302600_NS6detail15normal_iteratorINS9_10device_ptrIxEEEESE_SE_iNS9_4plusIvEENS9_8equal_toIvEEiEE10hipError_tPvRmT2_T3_T4_T5_mT6_T7_P12ihipStream_tbENKUlT_T0_E_clISt17integral_constantIbLb1EESZ_EEDaSU_SV_EUlSU_E_NS1_11comp_targetILNS1_3genE5ELNS1_11target_archE942ELNS1_3gpuE9ELNS1_3repE0EEENS1_30default_config_static_selectorELNS0_4arch9wavefront6targetE0EEEvT1_.has_dyn_sized_stack, 0
	.set _ZN7rocprim17ROCPRIM_400000_NS6detail17trampoline_kernelINS0_14default_configENS1_27scan_by_key_config_selectorIxiEEZZNS1_16scan_by_key_implILNS1_25lookback_scan_determinismE0ELb1ES3_N6thrust23THRUST_200600_302600_NS6detail15normal_iteratorINS9_10device_ptrIxEEEESE_SE_iNS9_4plusIvEENS9_8equal_toIvEEiEE10hipError_tPvRmT2_T3_T4_T5_mT6_T7_P12ihipStream_tbENKUlT_T0_E_clISt17integral_constantIbLb1EESZ_EEDaSU_SV_EUlSU_E_NS1_11comp_targetILNS1_3genE5ELNS1_11target_archE942ELNS1_3gpuE9ELNS1_3repE0EEENS1_30default_config_static_selectorELNS0_4arch9wavefront6targetE0EEEvT1_.has_recursion, 0
	.set _ZN7rocprim17ROCPRIM_400000_NS6detail17trampoline_kernelINS0_14default_configENS1_27scan_by_key_config_selectorIxiEEZZNS1_16scan_by_key_implILNS1_25lookback_scan_determinismE0ELb1ES3_N6thrust23THRUST_200600_302600_NS6detail15normal_iteratorINS9_10device_ptrIxEEEESE_SE_iNS9_4plusIvEENS9_8equal_toIvEEiEE10hipError_tPvRmT2_T3_T4_T5_mT6_T7_P12ihipStream_tbENKUlT_T0_E_clISt17integral_constantIbLb1EESZ_EEDaSU_SV_EUlSU_E_NS1_11comp_targetILNS1_3genE5ELNS1_11target_archE942ELNS1_3gpuE9ELNS1_3repE0EEENS1_30default_config_static_selectorELNS0_4arch9wavefront6targetE0EEEvT1_.has_indirect_call, 0
	.section	.AMDGPU.csdata,"",@progbits
; Kernel info:
; codeLenInByte = 0
; TotalNumSgprs: 0
; NumVgprs: 0
; ScratchSize: 0
; MemoryBound: 0
; FloatMode: 240
; IeeeMode: 1
; LDSByteSize: 0 bytes/workgroup (compile time only)
; SGPRBlocks: 0
; VGPRBlocks: 0
; NumSGPRsForWavesPerEU: 1
; NumVGPRsForWavesPerEU: 1
; NamedBarCnt: 0
; Occupancy: 16
; WaveLimiterHint : 0
; COMPUTE_PGM_RSRC2:SCRATCH_EN: 0
; COMPUTE_PGM_RSRC2:USER_SGPR: 2
; COMPUTE_PGM_RSRC2:TRAP_HANDLER: 0
; COMPUTE_PGM_RSRC2:TGID_X_EN: 1
; COMPUTE_PGM_RSRC2:TGID_Y_EN: 0
; COMPUTE_PGM_RSRC2:TGID_Z_EN: 0
; COMPUTE_PGM_RSRC2:TIDIG_COMP_CNT: 0
	.section	.text._ZN7rocprim17ROCPRIM_400000_NS6detail17trampoline_kernelINS0_14default_configENS1_27scan_by_key_config_selectorIxiEEZZNS1_16scan_by_key_implILNS1_25lookback_scan_determinismE0ELb1ES3_N6thrust23THRUST_200600_302600_NS6detail15normal_iteratorINS9_10device_ptrIxEEEESE_SE_iNS9_4plusIvEENS9_8equal_toIvEEiEE10hipError_tPvRmT2_T3_T4_T5_mT6_T7_P12ihipStream_tbENKUlT_T0_E_clISt17integral_constantIbLb1EESZ_EEDaSU_SV_EUlSU_E_NS1_11comp_targetILNS1_3genE4ELNS1_11target_archE910ELNS1_3gpuE8ELNS1_3repE0EEENS1_30default_config_static_selectorELNS0_4arch9wavefront6targetE0EEEvT1_,"axG",@progbits,_ZN7rocprim17ROCPRIM_400000_NS6detail17trampoline_kernelINS0_14default_configENS1_27scan_by_key_config_selectorIxiEEZZNS1_16scan_by_key_implILNS1_25lookback_scan_determinismE0ELb1ES3_N6thrust23THRUST_200600_302600_NS6detail15normal_iteratorINS9_10device_ptrIxEEEESE_SE_iNS9_4plusIvEENS9_8equal_toIvEEiEE10hipError_tPvRmT2_T3_T4_T5_mT6_T7_P12ihipStream_tbENKUlT_T0_E_clISt17integral_constantIbLb1EESZ_EEDaSU_SV_EUlSU_E_NS1_11comp_targetILNS1_3genE4ELNS1_11target_archE910ELNS1_3gpuE8ELNS1_3repE0EEENS1_30default_config_static_selectorELNS0_4arch9wavefront6targetE0EEEvT1_,comdat
	.protected	_ZN7rocprim17ROCPRIM_400000_NS6detail17trampoline_kernelINS0_14default_configENS1_27scan_by_key_config_selectorIxiEEZZNS1_16scan_by_key_implILNS1_25lookback_scan_determinismE0ELb1ES3_N6thrust23THRUST_200600_302600_NS6detail15normal_iteratorINS9_10device_ptrIxEEEESE_SE_iNS9_4plusIvEENS9_8equal_toIvEEiEE10hipError_tPvRmT2_T3_T4_T5_mT6_T7_P12ihipStream_tbENKUlT_T0_E_clISt17integral_constantIbLb1EESZ_EEDaSU_SV_EUlSU_E_NS1_11comp_targetILNS1_3genE4ELNS1_11target_archE910ELNS1_3gpuE8ELNS1_3repE0EEENS1_30default_config_static_selectorELNS0_4arch9wavefront6targetE0EEEvT1_ ; -- Begin function _ZN7rocprim17ROCPRIM_400000_NS6detail17trampoline_kernelINS0_14default_configENS1_27scan_by_key_config_selectorIxiEEZZNS1_16scan_by_key_implILNS1_25lookback_scan_determinismE0ELb1ES3_N6thrust23THRUST_200600_302600_NS6detail15normal_iteratorINS9_10device_ptrIxEEEESE_SE_iNS9_4plusIvEENS9_8equal_toIvEEiEE10hipError_tPvRmT2_T3_T4_T5_mT6_T7_P12ihipStream_tbENKUlT_T0_E_clISt17integral_constantIbLb1EESZ_EEDaSU_SV_EUlSU_E_NS1_11comp_targetILNS1_3genE4ELNS1_11target_archE910ELNS1_3gpuE8ELNS1_3repE0EEENS1_30default_config_static_selectorELNS0_4arch9wavefront6targetE0EEEvT1_
	.globl	_ZN7rocprim17ROCPRIM_400000_NS6detail17trampoline_kernelINS0_14default_configENS1_27scan_by_key_config_selectorIxiEEZZNS1_16scan_by_key_implILNS1_25lookback_scan_determinismE0ELb1ES3_N6thrust23THRUST_200600_302600_NS6detail15normal_iteratorINS9_10device_ptrIxEEEESE_SE_iNS9_4plusIvEENS9_8equal_toIvEEiEE10hipError_tPvRmT2_T3_T4_T5_mT6_T7_P12ihipStream_tbENKUlT_T0_E_clISt17integral_constantIbLb1EESZ_EEDaSU_SV_EUlSU_E_NS1_11comp_targetILNS1_3genE4ELNS1_11target_archE910ELNS1_3gpuE8ELNS1_3repE0EEENS1_30default_config_static_selectorELNS0_4arch9wavefront6targetE0EEEvT1_
	.p2align	8
	.type	_ZN7rocprim17ROCPRIM_400000_NS6detail17trampoline_kernelINS0_14default_configENS1_27scan_by_key_config_selectorIxiEEZZNS1_16scan_by_key_implILNS1_25lookback_scan_determinismE0ELb1ES3_N6thrust23THRUST_200600_302600_NS6detail15normal_iteratorINS9_10device_ptrIxEEEESE_SE_iNS9_4plusIvEENS9_8equal_toIvEEiEE10hipError_tPvRmT2_T3_T4_T5_mT6_T7_P12ihipStream_tbENKUlT_T0_E_clISt17integral_constantIbLb1EESZ_EEDaSU_SV_EUlSU_E_NS1_11comp_targetILNS1_3genE4ELNS1_11target_archE910ELNS1_3gpuE8ELNS1_3repE0EEENS1_30default_config_static_selectorELNS0_4arch9wavefront6targetE0EEEvT1_,@function
_ZN7rocprim17ROCPRIM_400000_NS6detail17trampoline_kernelINS0_14default_configENS1_27scan_by_key_config_selectorIxiEEZZNS1_16scan_by_key_implILNS1_25lookback_scan_determinismE0ELb1ES3_N6thrust23THRUST_200600_302600_NS6detail15normal_iteratorINS9_10device_ptrIxEEEESE_SE_iNS9_4plusIvEENS9_8equal_toIvEEiEE10hipError_tPvRmT2_T3_T4_T5_mT6_T7_P12ihipStream_tbENKUlT_T0_E_clISt17integral_constantIbLb1EESZ_EEDaSU_SV_EUlSU_E_NS1_11comp_targetILNS1_3genE4ELNS1_11target_archE910ELNS1_3gpuE8ELNS1_3repE0EEENS1_30default_config_static_selectorELNS0_4arch9wavefront6targetE0EEEvT1_: ; @_ZN7rocprim17ROCPRIM_400000_NS6detail17trampoline_kernelINS0_14default_configENS1_27scan_by_key_config_selectorIxiEEZZNS1_16scan_by_key_implILNS1_25lookback_scan_determinismE0ELb1ES3_N6thrust23THRUST_200600_302600_NS6detail15normal_iteratorINS9_10device_ptrIxEEEESE_SE_iNS9_4plusIvEENS9_8equal_toIvEEiEE10hipError_tPvRmT2_T3_T4_T5_mT6_T7_P12ihipStream_tbENKUlT_T0_E_clISt17integral_constantIbLb1EESZ_EEDaSU_SV_EUlSU_E_NS1_11comp_targetILNS1_3genE4ELNS1_11target_archE910ELNS1_3gpuE8ELNS1_3repE0EEENS1_30default_config_static_selectorELNS0_4arch9wavefront6targetE0EEEvT1_
; %bb.0:
	.section	.rodata,"a",@progbits
	.p2align	6, 0x0
	.amdhsa_kernel _ZN7rocprim17ROCPRIM_400000_NS6detail17trampoline_kernelINS0_14default_configENS1_27scan_by_key_config_selectorIxiEEZZNS1_16scan_by_key_implILNS1_25lookback_scan_determinismE0ELb1ES3_N6thrust23THRUST_200600_302600_NS6detail15normal_iteratorINS9_10device_ptrIxEEEESE_SE_iNS9_4plusIvEENS9_8equal_toIvEEiEE10hipError_tPvRmT2_T3_T4_T5_mT6_T7_P12ihipStream_tbENKUlT_T0_E_clISt17integral_constantIbLb1EESZ_EEDaSU_SV_EUlSU_E_NS1_11comp_targetILNS1_3genE4ELNS1_11target_archE910ELNS1_3gpuE8ELNS1_3repE0EEENS1_30default_config_static_selectorELNS0_4arch9wavefront6targetE0EEEvT1_
		.amdhsa_group_segment_fixed_size 0
		.amdhsa_private_segment_fixed_size 0
		.amdhsa_kernarg_size 112
		.amdhsa_user_sgpr_count 2
		.amdhsa_user_sgpr_dispatch_ptr 0
		.amdhsa_user_sgpr_queue_ptr 0
		.amdhsa_user_sgpr_kernarg_segment_ptr 1
		.amdhsa_user_sgpr_dispatch_id 0
		.amdhsa_user_sgpr_kernarg_preload_length 0
		.amdhsa_user_sgpr_kernarg_preload_offset 0
		.amdhsa_user_sgpr_private_segment_size 0
		.amdhsa_wavefront_size32 1
		.amdhsa_uses_dynamic_stack 0
		.amdhsa_enable_private_segment 0
		.amdhsa_system_sgpr_workgroup_id_x 1
		.amdhsa_system_sgpr_workgroup_id_y 0
		.amdhsa_system_sgpr_workgroup_id_z 0
		.amdhsa_system_sgpr_workgroup_info 0
		.amdhsa_system_vgpr_workitem_id 0
		.amdhsa_next_free_vgpr 1
		.amdhsa_next_free_sgpr 1
		.amdhsa_named_barrier_count 0
		.amdhsa_reserve_vcc 0
		.amdhsa_float_round_mode_32 0
		.amdhsa_float_round_mode_16_64 0
		.amdhsa_float_denorm_mode_32 3
		.amdhsa_float_denorm_mode_16_64 3
		.amdhsa_fp16_overflow 0
		.amdhsa_memory_ordered 1
		.amdhsa_forward_progress 1
		.amdhsa_inst_pref_size 0
		.amdhsa_round_robin_scheduling 0
		.amdhsa_exception_fp_ieee_invalid_op 0
		.amdhsa_exception_fp_denorm_src 0
		.amdhsa_exception_fp_ieee_div_zero 0
		.amdhsa_exception_fp_ieee_overflow 0
		.amdhsa_exception_fp_ieee_underflow 0
		.amdhsa_exception_fp_ieee_inexact 0
		.amdhsa_exception_int_div_zero 0
	.end_amdhsa_kernel
	.section	.text._ZN7rocprim17ROCPRIM_400000_NS6detail17trampoline_kernelINS0_14default_configENS1_27scan_by_key_config_selectorIxiEEZZNS1_16scan_by_key_implILNS1_25lookback_scan_determinismE0ELb1ES3_N6thrust23THRUST_200600_302600_NS6detail15normal_iteratorINS9_10device_ptrIxEEEESE_SE_iNS9_4plusIvEENS9_8equal_toIvEEiEE10hipError_tPvRmT2_T3_T4_T5_mT6_T7_P12ihipStream_tbENKUlT_T0_E_clISt17integral_constantIbLb1EESZ_EEDaSU_SV_EUlSU_E_NS1_11comp_targetILNS1_3genE4ELNS1_11target_archE910ELNS1_3gpuE8ELNS1_3repE0EEENS1_30default_config_static_selectorELNS0_4arch9wavefront6targetE0EEEvT1_,"axG",@progbits,_ZN7rocprim17ROCPRIM_400000_NS6detail17trampoline_kernelINS0_14default_configENS1_27scan_by_key_config_selectorIxiEEZZNS1_16scan_by_key_implILNS1_25lookback_scan_determinismE0ELb1ES3_N6thrust23THRUST_200600_302600_NS6detail15normal_iteratorINS9_10device_ptrIxEEEESE_SE_iNS9_4plusIvEENS9_8equal_toIvEEiEE10hipError_tPvRmT2_T3_T4_T5_mT6_T7_P12ihipStream_tbENKUlT_T0_E_clISt17integral_constantIbLb1EESZ_EEDaSU_SV_EUlSU_E_NS1_11comp_targetILNS1_3genE4ELNS1_11target_archE910ELNS1_3gpuE8ELNS1_3repE0EEENS1_30default_config_static_selectorELNS0_4arch9wavefront6targetE0EEEvT1_,comdat
.Lfunc_end1015:
	.size	_ZN7rocprim17ROCPRIM_400000_NS6detail17trampoline_kernelINS0_14default_configENS1_27scan_by_key_config_selectorIxiEEZZNS1_16scan_by_key_implILNS1_25lookback_scan_determinismE0ELb1ES3_N6thrust23THRUST_200600_302600_NS6detail15normal_iteratorINS9_10device_ptrIxEEEESE_SE_iNS9_4plusIvEENS9_8equal_toIvEEiEE10hipError_tPvRmT2_T3_T4_T5_mT6_T7_P12ihipStream_tbENKUlT_T0_E_clISt17integral_constantIbLb1EESZ_EEDaSU_SV_EUlSU_E_NS1_11comp_targetILNS1_3genE4ELNS1_11target_archE910ELNS1_3gpuE8ELNS1_3repE0EEENS1_30default_config_static_selectorELNS0_4arch9wavefront6targetE0EEEvT1_, .Lfunc_end1015-_ZN7rocprim17ROCPRIM_400000_NS6detail17trampoline_kernelINS0_14default_configENS1_27scan_by_key_config_selectorIxiEEZZNS1_16scan_by_key_implILNS1_25lookback_scan_determinismE0ELb1ES3_N6thrust23THRUST_200600_302600_NS6detail15normal_iteratorINS9_10device_ptrIxEEEESE_SE_iNS9_4plusIvEENS9_8equal_toIvEEiEE10hipError_tPvRmT2_T3_T4_T5_mT6_T7_P12ihipStream_tbENKUlT_T0_E_clISt17integral_constantIbLb1EESZ_EEDaSU_SV_EUlSU_E_NS1_11comp_targetILNS1_3genE4ELNS1_11target_archE910ELNS1_3gpuE8ELNS1_3repE0EEENS1_30default_config_static_selectorELNS0_4arch9wavefront6targetE0EEEvT1_
                                        ; -- End function
	.set _ZN7rocprim17ROCPRIM_400000_NS6detail17trampoline_kernelINS0_14default_configENS1_27scan_by_key_config_selectorIxiEEZZNS1_16scan_by_key_implILNS1_25lookback_scan_determinismE0ELb1ES3_N6thrust23THRUST_200600_302600_NS6detail15normal_iteratorINS9_10device_ptrIxEEEESE_SE_iNS9_4plusIvEENS9_8equal_toIvEEiEE10hipError_tPvRmT2_T3_T4_T5_mT6_T7_P12ihipStream_tbENKUlT_T0_E_clISt17integral_constantIbLb1EESZ_EEDaSU_SV_EUlSU_E_NS1_11comp_targetILNS1_3genE4ELNS1_11target_archE910ELNS1_3gpuE8ELNS1_3repE0EEENS1_30default_config_static_selectorELNS0_4arch9wavefront6targetE0EEEvT1_.num_vgpr, 0
	.set _ZN7rocprim17ROCPRIM_400000_NS6detail17trampoline_kernelINS0_14default_configENS1_27scan_by_key_config_selectorIxiEEZZNS1_16scan_by_key_implILNS1_25lookback_scan_determinismE0ELb1ES3_N6thrust23THRUST_200600_302600_NS6detail15normal_iteratorINS9_10device_ptrIxEEEESE_SE_iNS9_4plusIvEENS9_8equal_toIvEEiEE10hipError_tPvRmT2_T3_T4_T5_mT6_T7_P12ihipStream_tbENKUlT_T0_E_clISt17integral_constantIbLb1EESZ_EEDaSU_SV_EUlSU_E_NS1_11comp_targetILNS1_3genE4ELNS1_11target_archE910ELNS1_3gpuE8ELNS1_3repE0EEENS1_30default_config_static_selectorELNS0_4arch9wavefront6targetE0EEEvT1_.num_agpr, 0
	.set _ZN7rocprim17ROCPRIM_400000_NS6detail17trampoline_kernelINS0_14default_configENS1_27scan_by_key_config_selectorIxiEEZZNS1_16scan_by_key_implILNS1_25lookback_scan_determinismE0ELb1ES3_N6thrust23THRUST_200600_302600_NS6detail15normal_iteratorINS9_10device_ptrIxEEEESE_SE_iNS9_4plusIvEENS9_8equal_toIvEEiEE10hipError_tPvRmT2_T3_T4_T5_mT6_T7_P12ihipStream_tbENKUlT_T0_E_clISt17integral_constantIbLb1EESZ_EEDaSU_SV_EUlSU_E_NS1_11comp_targetILNS1_3genE4ELNS1_11target_archE910ELNS1_3gpuE8ELNS1_3repE0EEENS1_30default_config_static_selectorELNS0_4arch9wavefront6targetE0EEEvT1_.numbered_sgpr, 0
	.set _ZN7rocprim17ROCPRIM_400000_NS6detail17trampoline_kernelINS0_14default_configENS1_27scan_by_key_config_selectorIxiEEZZNS1_16scan_by_key_implILNS1_25lookback_scan_determinismE0ELb1ES3_N6thrust23THRUST_200600_302600_NS6detail15normal_iteratorINS9_10device_ptrIxEEEESE_SE_iNS9_4plusIvEENS9_8equal_toIvEEiEE10hipError_tPvRmT2_T3_T4_T5_mT6_T7_P12ihipStream_tbENKUlT_T0_E_clISt17integral_constantIbLb1EESZ_EEDaSU_SV_EUlSU_E_NS1_11comp_targetILNS1_3genE4ELNS1_11target_archE910ELNS1_3gpuE8ELNS1_3repE0EEENS1_30default_config_static_selectorELNS0_4arch9wavefront6targetE0EEEvT1_.num_named_barrier, 0
	.set _ZN7rocprim17ROCPRIM_400000_NS6detail17trampoline_kernelINS0_14default_configENS1_27scan_by_key_config_selectorIxiEEZZNS1_16scan_by_key_implILNS1_25lookback_scan_determinismE0ELb1ES3_N6thrust23THRUST_200600_302600_NS6detail15normal_iteratorINS9_10device_ptrIxEEEESE_SE_iNS9_4plusIvEENS9_8equal_toIvEEiEE10hipError_tPvRmT2_T3_T4_T5_mT6_T7_P12ihipStream_tbENKUlT_T0_E_clISt17integral_constantIbLb1EESZ_EEDaSU_SV_EUlSU_E_NS1_11comp_targetILNS1_3genE4ELNS1_11target_archE910ELNS1_3gpuE8ELNS1_3repE0EEENS1_30default_config_static_selectorELNS0_4arch9wavefront6targetE0EEEvT1_.private_seg_size, 0
	.set _ZN7rocprim17ROCPRIM_400000_NS6detail17trampoline_kernelINS0_14default_configENS1_27scan_by_key_config_selectorIxiEEZZNS1_16scan_by_key_implILNS1_25lookback_scan_determinismE0ELb1ES3_N6thrust23THRUST_200600_302600_NS6detail15normal_iteratorINS9_10device_ptrIxEEEESE_SE_iNS9_4plusIvEENS9_8equal_toIvEEiEE10hipError_tPvRmT2_T3_T4_T5_mT6_T7_P12ihipStream_tbENKUlT_T0_E_clISt17integral_constantIbLb1EESZ_EEDaSU_SV_EUlSU_E_NS1_11comp_targetILNS1_3genE4ELNS1_11target_archE910ELNS1_3gpuE8ELNS1_3repE0EEENS1_30default_config_static_selectorELNS0_4arch9wavefront6targetE0EEEvT1_.uses_vcc, 0
	.set _ZN7rocprim17ROCPRIM_400000_NS6detail17trampoline_kernelINS0_14default_configENS1_27scan_by_key_config_selectorIxiEEZZNS1_16scan_by_key_implILNS1_25lookback_scan_determinismE0ELb1ES3_N6thrust23THRUST_200600_302600_NS6detail15normal_iteratorINS9_10device_ptrIxEEEESE_SE_iNS9_4plusIvEENS9_8equal_toIvEEiEE10hipError_tPvRmT2_T3_T4_T5_mT6_T7_P12ihipStream_tbENKUlT_T0_E_clISt17integral_constantIbLb1EESZ_EEDaSU_SV_EUlSU_E_NS1_11comp_targetILNS1_3genE4ELNS1_11target_archE910ELNS1_3gpuE8ELNS1_3repE0EEENS1_30default_config_static_selectorELNS0_4arch9wavefront6targetE0EEEvT1_.uses_flat_scratch, 0
	.set _ZN7rocprim17ROCPRIM_400000_NS6detail17trampoline_kernelINS0_14default_configENS1_27scan_by_key_config_selectorIxiEEZZNS1_16scan_by_key_implILNS1_25lookback_scan_determinismE0ELb1ES3_N6thrust23THRUST_200600_302600_NS6detail15normal_iteratorINS9_10device_ptrIxEEEESE_SE_iNS9_4plusIvEENS9_8equal_toIvEEiEE10hipError_tPvRmT2_T3_T4_T5_mT6_T7_P12ihipStream_tbENKUlT_T0_E_clISt17integral_constantIbLb1EESZ_EEDaSU_SV_EUlSU_E_NS1_11comp_targetILNS1_3genE4ELNS1_11target_archE910ELNS1_3gpuE8ELNS1_3repE0EEENS1_30default_config_static_selectorELNS0_4arch9wavefront6targetE0EEEvT1_.has_dyn_sized_stack, 0
	.set _ZN7rocprim17ROCPRIM_400000_NS6detail17trampoline_kernelINS0_14default_configENS1_27scan_by_key_config_selectorIxiEEZZNS1_16scan_by_key_implILNS1_25lookback_scan_determinismE0ELb1ES3_N6thrust23THRUST_200600_302600_NS6detail15normal_iteratorINS9_10device_ptrIxEEEESE_SE_iNS9_4plusIvEENS9_8equal_toIvEEiEE10hipError_tPvRmT2_T3_T4_T5_mT6_T7_P12ihipStream_tbENKUlT_T0_E_clISt17integral_constantIbLb1EESZ_EEDaSU_SV_EUlSU_E_NS1_11comp_targetILNS1_3genE4ELNS1_11target_archE910ELNS1_3gpuE8ELNS1_3repE0EEENS1_30default_config_static_selectorELNS0_4arch9wavefront6targetE0EEEvT1_.has_recursion, 0
	.set _ZN7rocprim17ROCPRIM_400000_NS6detail17trampoline_kernelINS0_14default_configENS1_27scan_by_key_config_selectorIxiEEZZNS1_16scan_by_key_implILNS1_25lookback_scan_determinismE0ELb1ES3_N6thrust23THRUST_200600_302600_NS6detail15normal_iteratorINS9_10device_ptrIxEEEESE_SE_iNS9_4plusIvEENS9_8equal_toIvEEiEE10hipError_tPvRmT2_T3_T4_T5_mT6_T7_P12ihipStream_tbENKUlT_T0_E_clISt17integral_constantIbLb1EESZ_EEDaSU_SV_EUlSU_E_NS1_11comp_targetILNS1_3genE4ELNS1_11target_archE910ELNS1_3gpuE8ELNS1_3repE0EEENS1_30default_config_static_selectorELNS0_4arch9wavefront6targetE0EEEvT1_.has_indirect_call, 0
	.section	.AMDGPU.csdata,"",@progbits
; Kernel info:
; codeLenInByte = 0
; TotalNumSgprs: 0
; NumVgprs: 0
; ScratchSize: 0
; MemoryBound: 0
; FloatMode: 240
; IeeeMode: 1
; LDSByteSize: 0 bytes/workgroup (compile time only)
; SGPRBlocks: 0
; VGPRBlocks: 0
; NumSGPRsForWavesPerEU: 1
; NumVGPRsForWavesPerEU: 1
; NamedBarCnt: 0
; Occupancy: 16
; WaveLimiterHint : 0
; COMPUTE_PGM_RSRC2:SCRATCH_EN: 0
; COMPUTE_PGM_RSRC2:USER_SGPR: 2
; COMPUTE_PGM_RSRC2:TRAP_HANDLER: 0
; COMPUTE_PGM_RSRC2:TGID_X_EN: 1
; COMPUTE_PGM_RSRC2:TGID_Y_EN: 0
; COMPUTE_PGM_RSRC2:TGID_Z_EN: 0
; COMPUTE_PGM_RSRC2:TIDIG_COMP_CNT: 0
	.section	.text._ZN7rocprim17ROCPRIM_400000_NS6detail17trampoline_kernelINS0_14default_configENS1_27scan_by_key_config_selectorIxiEEZZNS1_16scan_by_key_implILNS1_25lookback_scan_determinismE0ELb1ES3_N6thrust23THRUST_200600_302600_NS6detail15normal_iteratorINS9_10device_ptrIxEEEESE_SE_iNS9_4plusIvEENS9_8equal_toIvEEiEE10hipError_tPvRmT2_T3_T4_T5_mT6_T7_P12ihipStream_tbENKUlT_T0_E_clISt17integral_constantIbLb1EESZ_EEDaSU_SV_EUlSU_E_NS1_11comp_targetILNS1_3genE3ELNS1_11target_archE908ELNS1_3gpuE7ELNS1_3repE0EEENS1_30default_config_static_selectorELNS0_4arch9wavefront6targetE0EEEvT1_,"axG",@progbits,_ZN7rocprim17ROCPRIM_400000_NS6detail17trampoline_kernelINS0_14default_configENS1_27scan_by_key_config_selectorIxiEEZZNS1_16scan_by_key_implILNS1_25lookback_scan_determinismE0ELb1ES3_N6thrust23THRUST_200600_302600_NS6detail15normal_iteratorINS9_10device_ptrIxEEEESE_SE_iNS9_4plusIvEENS9_8equal_toIvEEiEE10hipError_tPvRmT2_T3_T4_T5_mT6_T7_P12ihipStream_tbENKUlT_T0_E_clISt17integral_constantIbLb1EESZ_EEDaSU_SV_EUlSU_E_NS1_11comp_targetILNS1_3genE3ELNS1_11target_archE908ELNS1_3gpuE7ELNS1_3repE0EEENS1_30default_config_static_selectorELNS0_4arch9wavefront6targetE0EEEvT1_,comdat
	.protected	_ZN7rocprim17ROCPRIM_400000_NS6detail17trampoline_kernelINS0_14default_configENS1_27scan_by_key_config_selectorIxiEEZZNS1_16scan_by_key_implILNS1_25lookback_scan_determinismE0ELb1ES3_N6thrust23THRUST_200600_302600_NS6detail15normal_iteratorINS9_10device_ptrIxEEEESE_SE_iNS9_4plusIvEENS9_8equal_toIvEEiEE10hipError_tPvRmT2_T3_T4_T5_mT6_T7_P12ihipStream_tbENKUlT_T0_E_clISt17integral_constantIbLb1EESZ_EEDaSU_SV_EUlSU_E_NS1_11comp_targetILNS1_3genE3ELNS1_11target_archE908ELNS1_3gpuE7ELNS1_3repE0EEENS1_30default_config_static_selectorELNS0_4arch9wavefront6targetE0EEEvT1_ ; -- Begin function _ZN7rocprim17ROCPRIM_400000_NS6detail17trampoline_kernelINS0_14default_configENS1_27scan_by_key_config_selectorIxiEEZZNS1_16scan_by_key_implILNS1_25lookback_scan_determinismE0ELb1ES3_N6thrust23THRUST_200600_302600_NS6detail15normal_iteratorINS9_10device_ptrIxEEEESE_SE_iNS9_4plusIvEENS9_8equal_toIvEEiEE10hipError_tPvRmT2_T3_T4_T5_mT6_T7_P12ihipStream_tbENKUlT_T0_E_clISt17integral_constantIbLb1EESZ_EEDaSU_SV_EUlSU_E_NS1_11comp_targetILNS1_3genE3ELNS1_11target_archE908ELNS1_3gpuE7ELNS1_3repE0EEENS1_30default_config_static_selectorELNS0_4arch9wavefront6targetE0EEEvT1_
	.globl	_ZN7rocprim17ROCPRIM_400000_NS6detail17trampoline_kernelINS0_14default_configENS1_27scan_by_key_config_selectorIxiEEZZNS1_16scan_by_key_implILNS1_25lookback_scan_determinismE0ELb1ES3_N6thrust23THRUST_200600_302600_NS6detail15normal_iteratorINS9_10device_ptrIxEEEESE_SE_iNS9_4plusIvEENS9_8equal_toIvEEiEE10hipError_tPvRmT2_T3_T4_T5_mT6_T7_P12ihipStream_tbENKUlT_T0_E_clISt17integral_constantIbLb1EESZ_EEDaSU_SV_EUlSU_E_NS1_11comp_targetILNS1_3genE3ELNS1_11target_archE908ELNS1_3gpuE7ELNS1_3repE0EEENS1_30default_config_static_selectorELNS0_4arch9wavefront6targetE0EEEvT1_
	.p2align	8
	.type	_ZN7rocprim17ROCPRIM_400000_NS6detail17trampoline_kernelINS0_14default_configENS1_27scan_by_key_config_selectorIxiEEZZNS1_16scan_by_key_implILNS1_25lookback_scan_determinismE0ELb1ES3_N6thrust23THRUST_200600_302600_NS6detail15normal_iteratorINS9_10device_ptrIxEEEESE_SE_iNS9_4plusIvEENS9_8equal_toIvEEiEE10hipError_tPvRmT2_T3_T4_T5_mT6_T7_P12ihipStream_tbENKUlT_T0_E_clISt17integral_constantIbLb1EESZ_EEDaSU_SV_EUlSU_E_NS1_11comp_targetILNS1_3genE3ELNS1_11target_archE908ELNS1_3gpuE7ELNS1_3repE0EEENS1_30default_config_static_selectorELNS0_4arch9wavefront6targetE0EEEvT1_,@function
_ZN7rocprim17ROCPRIM_400000_NS6detail17trampoline_kernelINS0_14default_configENS1_27scan_by_key_config_selectorIxiEEZZNS1_16scan_by_key_implILNS1_25lookback_scan_determinismE0ELb1ES3_N6thrust23THRUST_200600_302600_NS6detail15normal_iteratorINS9_10device_ptrIxEEEESE_SE_iNS9_4plusIvEENS9_8equal_toIvEEiEE10hipError_tPvRmT2_T3_T4_T5_mT6_T7_P12ihipStream_tbENKUlT_T0_E_clISt17integral_constantIbLb1EESZ_EEDaSU_SV_EUlSU_E_NS1_11comp_targetILNS1_3genE3ELNS1_11target_archE908ELNS1_3gpuE7ELNS1_3repE0EEENS1_30default_config_static_selectorELNS0_4arch9wavefront6targetE0EEEvT1_: ; @_ZN7rocprim17ROCPRIM_400000_NS6detail17trampoline_kernelINS0_14default_configENS1_27scan_by_key_config_selectorIxiEEZZNS1_16scan_by_key_implILNS1_25lookback_scan_determinismE0ELb1ES3_N6thrust23THRUST_200600_302600_NS6detail15normal_iteratorINS9_10device_ptrIxEEEESE_SE_iNS9_4plusIvEENS9_8equal_toIvEEiEE10hipError_tPvRmT2_T3_T4_T5_mT6_T7_P12ihipStream_tbENKUlT_T0_E_clISt17integral_constantIbLb1EESZ_EEDaSU_SV_EUlSU_E_NS1_11comp_targetILNS1_3genE3ELNS1_11target_archE908ELNS1_3gpuE7ELNS1_3repE0EEENS1_30default_config_static_selectorELNS0_4arch9wavefront6targetE0EEEvT1_
; %bb.0:
	.section	.rodata,"a",@progbits
	.p2align	6, 0x0
	.amdhsa_kernel _ZN7rocprim17ROCPRIM_400000_NS6detail17trampoline_kernelINS0_14default_configENS1_27scan_by_key_config_selectorIxiEEZZNS1_16scan_by_key_implILNS1_25lookback_scan_determinismE0ELb1ES3_N6thrust23THRUST_200600_302600_NS6detail15normal_iteratorINS9_10device_ptrIxEEEESE_SE_iNS9_4plusIvEENS9_8equal_toIvEEiEE10hipError_tPvRmT2_T3_T4_T5_mT6_T7_P12ihipStream_tbENKUlT_T0_E_clISt17integral_constantIbLb1EESZ_EEDaSU_SV_EUlSU_E_NS1_11comp_targetILNS1_3genE3ELNS1_11target_archE908ELNS1_3gpuE7ELNS1_3repE0EEENS1_30default_config_static_selectorELNS0_4arch9wavefront6targetE0EEEvT1_
		.amdhsa_group_segment_fixed_size 0
		.amdhsa_private_segment_fixed_size 0
		.amdhsa_kernarg_size 112
		.amdhsa_user_sgpr_count 2
		.amdhsa_user_sgpr_dispatch_ptr 0
		.amdhsa_user_sgpr_queue_ptr 0
		.amdhsa_user_sgpr_kernarg_segment_ptr 1
		.amdhsa_user_sgpr_dispatch_id 0
		.amdhsa_user_sgpr_kernarg_preload_length 0
		.amdhsa_user_sgpr_kernarg_preload_offset 0
		.amdhsa_user_sgpr_private_segment_size 0
		.amdhsa_wavefront_size32 1
		.amdhsa_uses_dynamic_stack 0
		.amdhsa_enable_private_segment 0
		.amdhsa_system_sgpr_workgroup_id_x 1
		.amdhsa_system_sgpr_workgroup_id_y 0
		.amdhsa_system_sgpr_workgroup_id_z 0
		.amdhsa_system_sgpr_workgroup_info 0
		.amdhsa_system_vgpr_workitem_id 0
		.amdhsa_next_free_vgpr 1
		.amdhsa_next_free_sgpr 1
		.amdhsa_named_barrier_count 0
		.amdhsa_reserve_vcc 0
		.amdhsa_float_round_mode_32 0
		.amdhsa_float_round_mode_16_64 0
		.amdhsa_float_denorm_mode_32 3
		.amdhsa_float_denorm_mode_16_64 3
		.amdhsa_fp16_overflow 0
		.amdhsa_memory_ordered 1
		.amdhsa_forward_progress 1
		.amdhsa_inst_pref_size 0
		.amdhsa_round_robin_scheduling 0
		.amdhsa_exception_fp_ieee_invalid_op 0
		.amdhsa_exception_fp_denorm_src 0
		.amdhsa_exception_fp_ieee_div_zero 0
		.amdhsa_exception_fp_ieee_overflow 0
		.amdhsa_exception_fp_ieee_underflow 0
		.amdhsa_exception_fp_ieee_inexact 0
		.amdhsa_exception_int_div_zero 0
	.end_amdhsa_kernel
	.section	.text._ZN7rocprim17ROCPRIM_400000_NS6detail17trampoline_kernelINS0_14default_configENS1_27scan_by_key_config_selectorIxiEEZZNS1_16scan_by_key_implILNS1_25lookback_scan_determinismE0ELb1ES3_N6thrust23THRUST_200600_302600_NS6detail15normal_iteratorINS9_10device_ptrIxEEEESE_SE_iNS9_4plusIvEENS9_8equal_toIvEEiEE10hipError_tPvRmT2_T3_T4_T5_mT6_T7_P12ihipStream_tbENKUlT_T0_E_clISt17integral_constantIbLb1EESZ_EEDaSU_SV_EUlSU_E_NS1_11comp_targetILNS1_3genE3ELNS1_11target_archE908ELNS1_3gpuE7ELNS1_3repE0EEENS1_30default_config_static_selectorELNS0_4arch9wavefront6targetE0EEEvT1_,"axG",@progbits,_ZN7rocprim17ROCPRIM_400000_NS6detail17trampoline_kernelINS0_14default_configENS1_27scan_by_key_config_selectorIxiEEZZNS1_16scan_by_key_implILNS1_25lookback_scan_determinismE0ELb1ES3_N6thrust23THRUST_200600_302600_NS6detail15normal_iteratorINS9_10device_ptrIxEEEESE_SE_iNS9_4plusIvEENS9_8equal_toIvEEiEE10hipError_tPvRmT2_T3_T4_T5_mT6_T7_P12ihipStream_tbENKUlT_T0_E_clISt17integral_constantIbLb1EESZ_EEDaSU_SV_EUlSU_E_NS1_11comp_targetILNS1_3genE3ELNS1_11target_archE908ELNS1_3gpuE7ELNS1_3repE0EEENS1_30default_config_static_selectorELNS0_4arch9wavefront6targetE0EEEvT1_,comdat
.Lfunc_end1016:
	.size	_ZN7rocprim17ROCPRIM_400000_NS6detail17trampoline_kernelINS0_14default_configENS1_27scan_by_key_config_selectorIxiEEZZNS1_16scan_by_key_implILNS1_25lookback_scan_determinismE0ELb1ES3_N6thrust23THRUST_200600_302600_NS6detail15normal_iteratorINS9_10device_ptrIxEEEESE_SE_iNS9_4plusIvEENS9_8equal_toIvEEiEE10hipError_tPvRmT2_T3_T4_T5_mT6_T7_P12ihipStream_tbENKUlT_T0_E_clISt17integral_constantIbLb1EESZ_EEDaSU_SV_EUlSU_E_NS1_11comp_targetILNS1_3genE3ELNS1_11target_archE908ELNS1_3gpuE7ELNS1_3repE0EEENS1_30default_config_static_selectorELNS0_4arch9wavefront6targetE0EEEvT1_, .Lfunc_end1016-_ZN7rocprim17ROCPRIM_400000_NS6detail17trampoline_kernelINS0_14default_configENS1_27scan_by_key_config_selectorIxiEEZZNS1_16scan_by_key_implILNS1_25lookback_scan_determinismE0ELb1ES3_N6thrust23THRUST_200600_302600_NS6detail15normal_iteratorINS9_10device_ptrIxEEEESE_SE_iNS9_4plusIvEENS9_8equal_toIvEEiEE10hipError_tPvRmT2_T3_T4_T5_mT6_T7_P12ihipStream_tbENKUlT_T0_E_clISt17integral_constantIbLb1EESZ_EEDaSU_SV_EUlSU_E_NS1_11comp_targetILNS1_3genE3ELNS1_11target_archE908ELNS1_3gpuE7ELNS1_3repE0EEENS1_30default_config_static_selectorELNS0_4arch9wavefront6targetE0EEEvT1_
                                        ; -- End function
	.set _ZN7rocprim17ROCPRIM_400000_NS6detail17trampoline_kernelINS0_14default_configENS1_27scan_by_key_config_selectorIxiEEZZNS1_16scan_by_key_implILNS1_25lookback_scan_determinismE0ELb1ES3_N6thrust23THRUST_200600_302600_NS6detail15normal_iteratorINS9_10device_ptrIxEEEESE_SE_iNS9_4plusIvEENS9_8equal_toIvEEiEE10hipError_tPvRmT2_T3_T4_T5_mT6_T7_P12ihipStream_tbENKUlT_T0_E_clISt17integral_constantIbLb1EESZ_EEDaSU_SV_EUlSU_E_NS1_11comp_targetILNS1_3genE3ELNS1_11target_archE908ELNS1_3gpuE7ELNS1_3repE0EEENS1_30default_config_static_selectorELNS0_4arch9wavefront6targetE0EEEvT1_.num_vgpr, 0
	.set _ZN7rocprim17ROCPRIM_400000_NS6detail17trampoline_kernelINS0_14default_configENS1_27scan_by_key_config_selectorIxiEEZZNS1_16scan_by_key_implILNS1_25lookback_scan_determinismE0ELb1ES3_N6thrust23THRUST_200600_302600_NS6detail15normal_iteratorINS9_10device_ptrIxEEEESE_SE_iNS9_4plusIvEENS9_8equal_toIvEEiEE10hipError_tPvRmT2_T3_T4_T5_mT6_T7_P12ihipStream_tbENKUlT_T0_E_clISt17integral_constantIbLb1EESZ_EEDaSU_SV_EUlSU_E_NS1_11comp_targetILNS1_3genE3ELNS1_11target_archE908ELNS1_3gpuE7ELNS1_3repE0EEENS1_30default_config_static_selectorELNS0_4arch9wavefront6targetE0EEEvT1_.num_agpr, 0
	.set _ZN7rocprim17ROCPRIM_400000_NS6detail17trampoline_kernelINS0_14default_configENS1_27scan_by_key_config_selectorIxiEEZZNS1_16scan_by_key_implILNS1_25lookback_scan_determinismE0ELb1ES3_N6thrust23THRUST_200600_302600_NS6detail15normal_iteratorINS9_10device_ptrIxEEEESE_SE_iNS9_4plusIvEENS9_8equal_toIvEEiEE10hipError_tPvRmT2_T3_T4_T5_mT6_T7_P12ihipStream_tbENKUlT_T0_E_clISt17integral_constantIbLb1EESZ_EEDaSU_SV_EUlSU_E_NS1_11comp_targetILNS1_3genE3ELNS1_11target_archE908ELNS1_3gpuE7ELNS1_3repE0EEENS1_30default_config_static_selectorELNS0_4arch9wavefront6targetE0EEEvT1_.numbered_sgpr, 0
	.set _ZN7rocprim17ROCPRIM_400000_NS6detail17trampoline_kernelINS0_14default_configENS1_27scan_by_key_config_selectorIxiEEZZNS1_16scan_by_key_implILNS1_25lookback_scan_determinismE0ELb1ES3_N6thrust23THRUST_200600_302600_NS6detail15normal_iteratorINS9_10device_ptrIxEEEESE_SE_iNS9_4plusIvEENS9_8equal_toIvEEiEE10hipError_tPvRmT2_T3_T4_T5_mT6_T7_P12ihipStream_tbENKUlT_T0_E_clISt17integral_constantIbLb1EESZ_EEDaSU_SV_EUlSU_E_NS1_11comp_targetILNS1_3genE3ELNS1_11target_archE908ELNS1_3gpuE7ELNS1_3repE0EEENS1_30default_config_static_selectorELNS0_4arch9wavefront6targetE0EEEvT1_.num_named_barrier, 0
	.set _ZN7rocprim17ROCPRIM_400000_NS6detail17trampoline_kernelINS0_14default_configENS1_27scan_by_key_config_selectorIxiEEZZNS1_16scan_by_key_implILNS1_25lookback_scan_determinismE0ELb1ES3_N6thrust23THRUST_200600_302600_NS6detail15normal_iteratorINS9_10device_ptrIxEEEESE_SE_iNS9_4plusIvEENS9_8equal_toIvEEiEE10hipError_tPvRmT2_T3_T4_T5_mT6_T7_P12ihipStream_tbENKUlT_T0_E_clISt17integral_constantIbLb1EESZ_EEDaSU_SV_EUlSU_E_NS1_11comp_targetILNS1_3genE3ELNS1_11target_archE908ELNS1_3gpuE7ELNS1_3repE0EEENS1_30default_config_static_selectorELNS0_4arch9wavefront6targetE0EEEvT1_.private_seg_size, 0
	.set _ZN7rocprim17ROCPRIM_400000_NS6detail17trampoline_kernelINS0_14default_configENS1_27scan_by_key_config_selectorIxiEEZZNS1_16scan_by_key_implILNS1_25lookback_scan_determinismE0ELb1ES3_N6thrust23THRUST_200600_302600_NS6detail15normal_iteratorINS9_10device_ptrIxEEEESE_SE_iNS9_4plusIvEENS9_8equal_toIvEEiEE10hipError_tPvRmT2_T3_T4_T5_mT6_T7_P12ihipStream_tbENKUlT_T0_E_clISt17integral_constantIbLb1EESZ_EEDaSU_SV_EUlSU_E_NS1_11comp_targetILNS1_3genE3ELNS1_11target_archE908ELNS1_3gpuE7ELNS1_3repE0EEENS1_30default_config_static_selectorELNS0_4arch9wavefront6targetE0EEEvT1_.uses_vcc, 0
	.set _ZN7rocprim17ROCPRIM_400000_NS6detail17trampoline_kernelINS0_14default_configENS1_27scan_by_key_config_selectorIxiEEZZNS1_16scan_by_key_implILNS1_25lookback_scan_determinismE0ELb1ES3_N6thrust23THRUST_200600_302600_NS6detail15normal_iteratorINS9_10device_ptrIxEEEESE_SE_iNS9_4plusIvEENS9_8equal_toIvEEiEE10hipError_tPvRmT2_T3_T4_T5_mT6_T7_P12ihipStream_tbENKUlT_T0_E_clISt17integral_constantIbLb1EESZ_EEDaSU_SV_EUlSU_E_NS1_11comp_targetILNS1_3genE3ELNS1_11target_archE908ELNS1_3gpuE7ELNS1_3repE0EEENS1_30default_config_static_selectorELNS0_4arch9wavefront6targetE0EEEvT1_.uses_flat_scratch, 0
	.set _ZN7rocprim17ROCPRIM_400000_NS6detail17trampoline_kernelINS0_14default_configENS1_27scan_by_key_config_selectorIxiEEZZNS1_16scan_by_key_implILNS1_25lookback_scan_determinismE0ELb1ES3_N6thrust23THRUST_200600_302600_NS6detail15normal_iteratorINS9_10device_ptrIxEEEESE_SE_iNS9_4plusIvEENS9_8equal_toIvEEiEE10hipError_tPvRmT2_T3_T4_T5_mT6_T7_P12ihipStream_tbENKUlT_T0_E_clISt17integral_constantIbLb1EESZ_EEDaSU_SV_EUlSU_E_NS1_11comp_targetILNS1_3genE3ELNS1_11target_archE908ELNS1_3gpuE7ELNS1_3repE0EEENS1_30default_config_static_selectorELNS0_4arch9wavefront6targetE0EEEvT1_.has_dyn_sized_stack, 0
	.set _ZN7rocprim17ROCPRIM_400000_NS6detail17trampoline_kernelINS0_14default_configENS1_27scan_by_key_config_selectorIxiEEZZNS1_16scan_by_key_implILNS1_25lookback_scan_determinismE0ELb1ES3_N6thrust23THRUST_200600_302600_NS6detail15normal_iteratorINS9_10device_ptrIxEEEESE_SE_iNS9_4plusIvEENS9_8equal_toIvEEiEE10hipError_tPvRmT2_T3_T4_T5_mT6_T7_P12ihipStream_tbENKUlT_T0_E_clISt17integral_constantIbLb1EESZ_EEDaSU_SV_EUlSU_E_NS1_11comp_targetILNS1_3genE3ELNS1_11target_archE908ELNS1_3gpuE7ELNS1_3repE0EEENS1_30default_config_static_selectorELNS0_4arch9wavefront6targetE0EEEvT1_.has_recursion, 0
	.set _ZN7rocprim17ROCPRIM_400000_NS6detail17trampoline_kernelINS0_14default_configENS1_27scan_by_key_config_selectorIxiEEZZNS1_16scan_by_key_implILNS1_25lookback_scan_determinismE0ELb1ES3_N6thrust23THRUST_200600_302600_NS6detail15normal_iteratorINS9_10device_ptrIxEEEESE_SE_iNS9_4plusIvEENS9_8equal_toIvEEiEE10hipError_tPvRmT2_T3_T4_T5_mT6_T7_P12ihipStream_tbENKUlT_T0_E_clISt17integral_constantIbLb1EESZ_EEDaSU_SV_EUlSU_E_NS1_11comp_targetILNS1_3genE3ELNS1_11target_archE908ELNS1_3gpuE7ELNS1_3repE0EEENS1_30default_config_static_selectorELNS0_4arch9wavefront6targetE0EEEvT1_.has_indirect_call, 0
	.section	.AMDGPU.csdata,"",@progbits
; Kernel info:
; codeLenInByte = 0
; TotalNumSgprs: 0
; NumVgprs: 0
; ScratchSize: 0
; MemoryBound: 0
; FloatMode: 240
; IeeeMode: 1
; LDSByteSize: 0 bytes/workgroup (compile time only)
; SGPRBlocks: 0
; VGPRBlocks: 0
; NumSGPRsForWavesPerEU: 1
; NumVGPRsForWavesPerEU: 1
; NamedBarCnt: 0
; Occupancy: 16
; WaveLimiterHint : 0
; COMPUTE_PGM_RSRC2:SCRATCH_EN: 0
; COMPUTE_PGM_RSRC2:USER_SGPR: 2
; COMPUTE_PGM_RSRC2:TRAP_HANDLER: 0
; COMPUTE_PGM_RSRC2:TGID_X_EN: 1
; COMPUTE_PGM_RSRC2:TGID_Y_EN: 0
; COMPUTE_PGM_RSRC2:TGID_Z_EN: 0
; COMPUTE_PGM_RSRC2:TIDIG_COMP_CNT: 0
	.section	.text._ZN7rocprim17ROCPRIM_400000_NS6detail17trampoline_kernelINS0_14default_configENS1_27scan_by_key_config_selectorIxiEEZZNS1_16scan_by_key_implILNS1_25lookback_scan_determinismE0ELb1ES3_N6thrust23THRUST_200600_302600_NS6detail15normal_iteratorINS9_10device_ptrIxEEEESE_SE_iNS9_4plusIvEENS9_8equal_toIvEEiEE10hipError_tPvRmT2_T3_T4_T5_mT6_T7_P12ihipStream_tbENKUlT_T0_E_clISt17integral_constantIbLb1EESZ_EEDaSU_SV_EUlSU_E_NS1_11comp_targetILNS1_3genE2ELNS1_11target_archE906ELNS1_3gpuE6ELNS1_3repE0EEENS1_30default_config_static_selectorELNS0_4arch9wavefront6targetE0EEEvT1_,"axG",@progbits,_ZN7rocprim17ROCPRIM_400000_NS6detail17trampoline_kernelINS0_14default_configENS1_27scan_by_key_config_selectorIxiEEZZNS1_16scan_by_key_implILNS1_25lookback_scan_determinismE0ELb1ES3_N6thrust23THRUST_200600_302600_NS6detail15normal_iteratorINS9_10device_ptrIxEEEESE_SE_iNS9_4plusIvEENS9_8equal_toIvEEiEE10hipError_tPvRmT2_T3_T4_T5_mT6_T7_P12ihipStream_tbENKUlT_T0_E_clISt17integral_constantIbLb1EESZ_EEDaSU_SV_EUlSU_E_NS1_11comp_targetILNS1_3genE2ELNS1_11target_archE906ELNS1_3gpuE6ELNS1_3repE0EEENS1_30default_config_static_selectorELNS0_4arch9wavefront6targetE0EEEvT1_,comdat
	.protected	_ZN7rocprim17ROCPRIM_400000_NS6detail17trampoline_kernelINS0_14default_configENS1_27scan_by_key_config_selectorIxiEEZZNS1_16scan_by_key_implILNS1_25lookback_scan_determinismE0ELb1ES3_N6thrust23THRUST_200600_302600_NS6detail15normal_iteratorINS9_10device_ptrIxEEEESE_SE_iNS9_4plusIvEENS9_8equal_toIvEEiEE10hipError_tPvRmT2_T3_T4_T5_mT6_T7_P12ihipStream_tbENKUlT_T0_E_clISt17integral_constantIbLb1EESZ_EEDaSU_SV_EUlSU_E_NS1_11comp_targetILNS1_3genE2ELNS1_11target_archE906ELNS1_3gpuE6ELNS1_3repE0EEENS1_30default_config_static_selectorELNS0_4arch9wavefront6targetE0EEEvT1_ ; -- Begin function _ZN7rocprim17ROCPRIM_400000_NS6detail17trampoline_kernelINS0_14default_configENS1_27scan_by_key_config_selectorIxiEEZZNS1_16scan_by_key_implILNS1_25lookback_scan_determinismE0ELb1ES3_N6thrust23THRUST_200600_302600_NS6detail15normal_iteratorINS9_10device_ptrIxEEEESE_SE_iNS9_4plusIvEENS9_8equal_toIvEEiEE10hipError_tPvRmT2_T3_T4_T5_mT6_T7_P12ihipStream_tbENKUlT_T0_E_clISt17integral_constantIbLb1EESZ_EEDaSU_SV_EUlSU_E_NS1_11comp_targetILNS1_3genE2ELNS1_11target_archE906ELNS1_3gpuE6ELNS1_3repE0EEENS1_30default_config_static_selectorELNS0_4arch9wavefront6targetE0EEEvT1_
	.globl	_ZN7rocprim17ROCPRIM_400000_NS6detail17trampoline_kernelINS0_14default_configENS1_27scan_by_key_config_selectorIxiEEZZNS1_16scan_by_key_implILNS1_25lookback_scan_determinismE0ELb1ES3_N6thrust23THRUST_200600_302600_NS6detail15normal_iteratorINS9_10device_ptrIxEEEESE_SE_iNS9_4plusIvEENS9_8equal_toIvEEiEE10hipError_tPvRmT2_T3_T4_T5_mT6_T7_P12ihipStream_tbENKUlT_T0_E_clISt17integral_constantIbLb1EESZ_EEDaSU_SV_EUlSU_E_NS1_11comp_targetILNS1_3genE2ELNS1_11target_archE906ELNS1_3gpuE6ELNS1_3repE0EEENS1_30default_config_static_selectorELNS0_4arch9wavefront6targetE0EEEvT1_
	.p2align	8
	.type	_ZN7rocprim17ROCPRIM_400000_NS6detail17trampoline_kernelINS0_14default_configENS1_27scan_by_key_config_selectorIxiEEZZNS1_16scan_by_key_implILNS1_25lookback_scan_determinismE0ELb1ES3_N6thrust23THRUST_200600_302600_NS6detail15normal_iteratorINS9_10device_ptrIxEEEESE_SE_iNS9_4plusIvEENS9_8equal_toIvEEiEE10hipError_tPvRmT2_T3_T4_T5_mT6_T7_P12ihipStream_tbENKUlT_T0_E_clISt17integral_constantIbLb1EESZ_EEDaSU_SV_EUlSU_E_NS1_11comp_targetILNS1_3genE2ELNS1_11target_archE906ELNS1_3gpuE6ELNS1_3repE0EEENS1_30default_config_static_selectorELNS0_4arch9wavefront6targetE0EEEvT1_,@function
_ZN7rocprim17ROCPRIM_400000_NS6detail17trampoline_kernelINS0_14default_configENS1_27scan_by_key_config_selectorIxiEEZZNS1_16scan_by_key_implILNS1_25lookback_scan_determinismE0ELb1ES3_N6thrust23THRUST_200600_302600_NS6detail15normal_iteratorINS9_10device_ptrIxEEEESE_SE_iNS9_4plusIvEENS9_8equal_toIvEEiEE10hipError_tPvRmT2_T3_T4_T5_mT6_T7_P12ihipStream_tbENKUlT_T0_E_clISt17integral_constantIbLb1EESZ_EEDaSU_SV_EUlSU_E_NS1_11comp_targetILNS1_3genE2ELNS1_11target_archE906ELNS1_3gpuE6ELNS1_3repE0EEENS1_30default_config_static_selectorELNS0_4arch9wavefront6targetE0EEEvT1_: ; @_ZN7rocprim17ROCPRIM_400000_NS6detail17trampoline_kernelINS0_14default_configENS1_27scan_by_key_config_selectorIxiEEZZNS1_16scan_by_key_implILNS1_25lookback_scan_determinismE0ELb1ES3_N6thrust23THRUST_200600_302600_NS6detail15normal_iteratorINS9_10device_ptrIxEEEESE_SE_iNS9_4plusIvEENS9_8equal_toIvEEiEE10hipError_tPvRmT2_T3_T4_T5_mT6_T7_P12ihipStream_tbENKUlT_T0_E_clISt17integral_constantIbLb1EESZ_EEDaSU_SV_EUlSU_E_NS1_11comp_targetILNS1_3genE2ELNS1_11target_archE906ELNS1_3gpuE6ELNS1_3repE0EEENS1_30default_config_static_selectorELNS0_4arch9wavefront6targetE0EEEvT1_
; %bb.0:
	.section	.rodata,"a",@progbits
	.p2align	6, 0x0
	.amdhsa_kernel _ZN7rocprim17ROCPRIM_400000_NS6detail17trampoline_kernelINS0_14default_configENS1_27scan_by_key_config_selectorIxiEEZZNS1_16scan_by_key_implILNS1_25lookback_scan_determinismE0ELb1ES3_N6thrust23THRUST_200600_302600_NS6detail15normal_iteratorINS9_10device_ptrIxEEEESE_SE_iNS9_4plusIvEENS9_8equal_toIvEEiEE10hipError_tPvRmT2_T3_T4_T5_mT6_T7_P12ihipStream_tbENKUlT_T0_E_clISt17integral_constantIbLb1EESZ_EEDaSU_SV_EUlSU_E_NS1_11comp_targetILNS1_3genE2ELNS1_11target_archE906ELNS1_3gpuE6ELNS1_3repE0EEENS1_30default_config_static_selectorELNS0_4arch9wavefront6targetE0EEEvT1_
		.amdhsa_group_segment_fixed_size 0
		.amdhsa_private_segment_fixed_size 0
		.amdhsa_kernarg_size 112
		.amdhsa_user_sgpr_count 2
		.amdhsa_user_sgpr_dispatch_ptr 0
		.amdhsa_user_sgpr_queue_ptr 0
		.amdhsa_user_sgpr_kernarg_segment_ptr 1
		.amdhsa_user_sgpr_dispatch_id 0
		.amdhsa_user_sgpr_kernarg_preload_length 0
		.amdhsa_user_sgpr_kernarg_preload_offset 0
		.amdhsa_user_sgpr_private_segment_size 0
		.amdhsa_wavefront_size32 1
		.amdhsa_uses_dynamic_stack 0
		.amdhsa_enable_private_segment 0
		.amdhsa_system_sgpr_workgroup_id_x 1
		.amdhsa_system_sgpr_workgroup_id_y 0
		.amdhsa_system_sgpr_workgroup_id_z 0
		.amdhsa_system_sgpr_workgroup_info 0
		.amdhsa_system_vgpr_workitem_id 0
		.amdhsa_next_free_vgpr 1
		.amdhsa_next_free_sgpr 1
		.amdhsa_named_barrier_count 0
		.amdhsa_reserve_vcc 0
		.amdhsa_float_round_mode_32 0
		.amdhsa_float_round_mode_16_64 0
		.amdhsa_float_denorm_mode_32 3
		.amdhsa_float_denorm_mode_16_64 3
		.amdhsa_fp16_overflow 0
		.amdhsa_memory_ordered 1
		.amdhsa_forward_progress 1
		.amdhsa_inst_pref_size 0
		.amdhsa_round_robin_scheduling 0
		.amdhsa_exception_fp_ieee_invalid_op 0
		.amdhsa_exception_fp_denorm_src 0
		.amdhsa_exception_fp_ieee_div_zero 0
		.amdhsa_exception_fp_ieee_overflow 0
		.amdhsa_exception_fp_ieee_underflow 0
		.amdhsa_exception_fp_ieee_inexact 0
		.amdhsa_exception_int_div_zero 0
	.end_amdhsa_kernel
	.section	.text._ZN7rocprim17ROCPRIM_400000_NS6detail17trampoline_kernelINS0_14default_configENS1_27scan_by_key_config_selectorIxiEEZZNS1_16scan_by_key_implILNS1_25lookback_scan_determinismE0ELb1ES3_N6thrust23THRUST_200600_302600_NS6detail15normal_iteratorINS9_10device_ptrIxEEEESE_SE_iNS9_4plusIvEENS9_8equal_toIvEEiEE10hipError_tPvRmT2_T3_T4_T5_mT6_T7_P12ihipStream_tbENKUlT_T0_E_clISt17integral_constantIbLb1EESZ_EEDaSU_SV_EUlSU_E_NS1_11comp_targetILNS1_3genE2ELNS1_11target_archE906ELNS1_3gpuE6ELNS1_3repE0EEENS1_30default_config_static_selectorELNS0_4arch9wavefront6targetE0EEEvT1_,"axG",@progbits,_ZN7rocprim17ROCPRIM_400000_NS6detail17trampoline_kernelINS0_14default_configENS1_27scan_by_key_config_selectorIxiEEZZNS1_16scan_by_key_implILNS1_25lookback_scan_determinismE0ELb1ES3_N6thrust23THRUST_200600_302600_NS6detail15normal_iteratorINS9_10device_ptrIxEEEESE_SE_iNS9_4plusIvEENS9_8equal_toIvEEiEE10hipError_tPvRmT2_T3_T4_T5_mT6_T7_P12ihipStream_tbENKUlT_T0_E_clISt17integral_constantIbLb1EESZ_EEDaSU_SV_EUlSU_E_NS1_11comp_targetILNS1_3genE2ELNS1_11target_archE906ELNS1_3gpuE6ELNS1_3repE0EEENS1_30default_config_static_selectorELNS0_4arch9wavefront6targetE0EEEvT1_,comdat
.Lfunc_end1017:
	.size	_ZN7rocprim17ROCPRIM_400000_NS6detail17trampoline_kernelINS0_14default_configENS1_27scan_by_key_config_selectorIxiEEZZNS1_16scan_by_key_implILNS1_25lookback_scan_determinismE0ELb1ES3_N6thrust23THRUST_200600_302600_NS6detail15normal_iteratorINS9_10device_ptrIxEEEESE_SE_iNS9_4plusIvEENS9_8equal_toIvEEiEE10hipError_tPvRmT2_T3_T4_T5_mT6_T7_P12ihipStream_tbENKUlT_T0_E_clISt17integral_constantIbLb1EESZ_EEDaSU_SV_EUlSU_E_NS1_11comp_targetILNS1_3genE2ELNS1_11target_archE906ELNS1_3gpuE6ELNS1_3repE0EEENS1_30default_config_static_selectorELNS0_4arch9wavefront6targetE0EEEvT1_, .Lfunc_end1017-_ZN7rocprim17ROCPRIM_400000_NS6detail17trampoline_kernelINS0_14default_configENS1_27scan_by_key_config_selectorIxiEEZZNS1_16scan_by_key_implILNS1_25lookback_scan_determinismE0ELb1ES3_N6thrust23THRUST_200600_302600_NS6detail15normal_iteratorINS9_10device_ptrIxEEEESE_SE_iNS9_4plusIvEENS9_8equal_toIvEEiEE10hipError_tPvRmT2_T3_T4_T5_mT6_T7_P12ihipStream_tbENKUlT_T0_E_clISt17integral_constantIbLb1EESZ_EEDaSU_SV_EUlSU_E_NS1_11comp_targetILNS1_3genE2ELNS1_11target_archE906ELNS1_3gpuE6ELNS1_3repE0EEENS1_30default_config_static_selectorELNS0_4arch9wavefront6targetE0EEEvT1_
                                        ; -- End function
	.set _ZN7rocprim17ROCPRIM_400000_NS6detail17trampoline_kernelINS0_14default_configENS1_27scan_by_key_config_selectorIxiEEZZNS1_16scan_by_key_implILNS1_25lookback_scan_determinismE0ELb1ES3_N6thrust23THRUST_200600_302600_NS6detail15normal_iteratorINS9_10device_ptrIxEEEESE_SE_iNS9_4plusIvEENS9_8equal_toIvEEiEE10hipError_tPvRmT2_T3_T4_T5_mT6_T7_P12ihipStream_tbENKUlT_T0_E_clISt17integral_constantIbLb1EESZ_EEDaSU_SV_EUlSU_E_NS1_11comp_targetILNS1_3genE2ELNS1_11target_archE906ELNS1_3gpuE6ELNS1_3repE0EEENS1_30default_config_static_selectorELNS0_4arch9wavefront6targetE0EEEvT1_.num_vgpr, 0
	.set _ZN7rocprim17ROCPRIM_400000_NS6detail17trampoline_kernelINS0_14default_configENS1_27scan_by_key_config_selectorIxiEEZZNS1_16scan_by_key_implILNS1_25lookback_scan_determinismE0ELb1ES3_N6thrust23THRUST_200600_302600_NS6detail15normal_iteratorINS9_10device_ptrIxEEEESE_SE_iNS9_4plusIvEENS9_8equal_toIvEEiEE10hipError_tPvRmT2_T3_T4_T5_mT6_T7_P12ihipStream_tbENKUlT_T0_E_clISt17integral_constantIbLb1EESZ_EEDaSU_SV_EUlSU_E_NS1_11comp_targetILNS1_3genE2ELNS1_11target_archE906ELNS1_3gpuE6ELNS1_3repE0EEENS1_30default_config_static_selectorELNS0_4arch9wavefront6targetE0EEEvT1_.num_agpr, 0
	.set _ZN7rocprim17ROCPRIM_400000_NS6detail17trampoline_kernelINS0_14default_configENS1_27scan_by_key_config_selectorIxiEEZZNS1_16scan_by_key_implILNS1_25lookback_scan_determinismE0ELb1ES3_N6thrust23THRUST_200600_302600_NS6detail15normal_iteratorINS9_10device_ptrIxEEEESE_SE_iNS9_4plusIvEENS9_8equal_toIvEEiEE10hipError_tPvRmT2_T3_T4_T5_mT6_T7_P12ihipStream_tbENKUlT_T0_E_clISt17integral_constantIbLb1EESZ_EEDaSU_SV_EUlSU_E_NS1_11comp_targetILNS1_3genE2ELNS1_11target_archE906ELNS1_3gpuE6ELNS1_3repE0EEENS1_30default_config_static_selectorELNS0_4arch9wavefront6targetE0EEEvT1_.numbered_sgpr, 0
	.set _ZN7rocprim17ROCPRIM_400000_NS6detail17trampoline_kernelINS0_14default_configENS1_27scan_by_key_config_selectorIxiEEZZNS1_16scan_by_key_implILNS1_25lookback_scan_determinismE0ELb1ES3_N6thrust23THRUST_200600_302600_NS6detail15normal_iteratorINS9_10device_ptrIxEEEESE_SE_iNS9_4plusIvEENS9_8equal_toIvEEiEE10hipError_tPvRmT2_T3_T4_T5_mT6_T7_P12ihipStream_tbENKUlT_T0_E_clISt17integral_constantIbLb1EESZ_EEDaSU_SV_EUlSU_E_NS1_11comp_targetILNS1_3genE2ELNS1_11target_archE906ELNS1_3gpuE6ELNS1_3repE0EEENS1_30default_config_static_selectorELNS0_4arch9wavefront6targetE0EEEvT1_.num_named_barrier, 0
	.set _ZN7rocprim17ROCPRIM_400000_NS6detail17trampoline_kernelINS0_14default_configENS1_27scan_by_key_config_selectorIxiEEZZNS1_16scan_by_key_implILNS1_25lookback_scan_determinismE0ELb1ES3_N6thrust23THRUST_200600_302600_NS6detail15normal_iteratorINS9_10device_ptrIxEEEESE_SE_iNS9_4plusIvEENS9_8equal_toIvEEiEE10hipError_tPvRmT2_T3_T4_T5_mT6_T7_P12ihipStream_tbENKUlT_T0_E_clISt17integral_constantIbLb1EESZ_EEDaSU_SV_EUlSU_E_NS1_11comp_targetILNS1_3genE2ELNS1_11target_archE906ELNS1_3gpuE6ELNS1_3repE0EEENS1_30default_config_static_selectorELNS0_4arch9wavefront6targetE0EEEvT1_.private_seg_size, 0
	.set _ZN7rocprim17ROCPRIM_400000_NS6detail17trampoline_kernelINS0_14default_configENS1_27scan_by_key_config_selectorIxiEEZZNS1_16scan_by_key_implILNS1_25lookback_scan_determinismE0ELb1ES3_N6thrust23THRUST_200600_302600_NS6detail15normal_iteratorINS9_10device_ptrIxEEEESE_SE_iNS9_4plusIvEENS9_8equal_toIvEEiEE10hipError_tPvRmT2_T3_T4_T5_mT6_T7_P12ihipStream_tbENKUlT_T0_E_clISt17integral_constantIbLb1EESZ_EEDaSU_SV_EUlSU_E_NS1_11comp_targetILNS1_3genE2ELNS1_11target_archE906ELNS1_3gpuE6ELNS1_3repE0EEENS1_30default_config_static_selectorELNS0_4arch9wavefront6targetE0EEEvT1_.uses_vcc, 0
	.set _ZN7rocprim17ROCPRIM_400000_NS6detail17trampoline_kernelINS0_14default_configENS1_27scan_by_key_config_selectorIxiEEZZNS1_16scan_by_key_implILNS1_25lookback_scan_determinismE0ELb1ES3_N6thrust23THRUST_200600_302600_NS6detail15normal_iteratorINS9_10device_ptrIxEEEESE_SE_iNS9_4plusIvEENS9_8equal_toIvEEiEE10hipError_tPvRmT2_T3_T4_T5_mT6_T7_P12ihipStream_tbENKUlT_T0_E_clISt17integral_constantIbLb1EESZ_EEDaSU_SV_EUlSU_E_NS1_11comp_targetILNS1_3genE2ELNS1_11target_archE906ELNS1_3gpuE6ELNS1_3repE0EEENS1_30default_config_static_selectorELNS0_4arch9wavefront6targetE0EEEvT1_.uses_flat_scratch, 0
	.set _ZN7rocprim17ROCPRIM_400000_NS6detail17trampoline_kernelINS0_14default_configENS1_27scan_by_key_config_selectorIxiEEZZNS1_16scan_by_key_implILNS1_25lookback_scan_determinismE0ELb1ES3_N6thrust23THRUST_200600_302600_NS6detail15normal_iteratorINS9_10device_ptrIxEEEESE_SE_iNS9_4plusIvEENS9_8equal_toIvEEiEE10hipError_tPvRmT2_T3_T4_T5_mT6_T7_P12ihipStream_tbENKUlT_T0_E_clISt17integral_constantIbLb1EESZ_EEDaSU_SV_EUlSU_E_NS1_11comp_targetILNS1_3genE2ELNS1_11target_archE906ELNS1_3gpuE6ELNS1_3repE0EEENS1_30default_config_static_selectorELNS0_4arch9wavefront6targetE0EEEvT1_.has_dyn_sized_stack, 0
	.set _ZN7rocprim17ROCPRIM_400000_NS6detail17trampoline_kernelINS0_14default_configENS1_27scan_by_key_config_selectorIxiEEZZNS1_16scan_by_key_implILNS1_25lookback_scan_determinismE0ELb1ES3_N6thrust23THRUST_200600_302600_NS6detail15normal_iteratorINS9_10device_ptrIxEEEESE_SE_iNS9_4plusIvEENS9_8equal_toIvEEiEE10hipError_tPvRmT2_T3_T4_T5_mT6_T7_P12ihipStream_tbENKUlT_T0_E_clISt17integral_constantIbLb1EESZ_EEDaSU_SV_EUlSU_E_NS1_11comp_targetILNS1_3genE2ELNS1_11target_archE906ELNS1_3gpuE6ELNS1_3repE0EEENS1_30default_config_static_selectorELNS0_4arch9wavefront6targetE0EEEvT1_.has_recursion, 0
	.set _ZN7rocprim17ROCPRIM_400000_NS6detail17trampoline_kernelINS0_14default_configENS1_27scan_by_key_config_selectorIxiEEZZNS1_16scan_by_key_implILNS1_25lookback_scan_determinismE0ELb1ES3_N6thrust23THRUST_200600_302600_NS6detail15normal_iteratorINS9_10device_ptrIxEEEESE_SE_iNS9_4plusIvEENS9_8equal_toIvEEiEE10hipError_tPvRmT2_T3_T4_T5_mT6_T7_P12ihipStream_tbENKUlT_T0_E_clISt17integral_constantIbLb1EESZ_EEDaSU_SV_EUlSU_E_NS1_11comp_targetILNS1_3genE2ELNS1_11target_archE906ELNS1_3gpuE6ELNS1_3repE0EEENS1_30default_config_static_selectorELNS0_4arch9wavefront6targetE0EEEvT1_.has_indirect_call, 0
	.section	.AMDGPU.csdata,"",@progbits
; Kernel info:
; codeLenInByte = 0
; TotalNumSgprs: 0
; NumVgprs: 0
; ScratchSize: 0
; MemoryBound: 0
; FloatMode: 240
; IeeeMode: 1
; LDSByteSize: 0 bytes/workgroup (compile time only)
; SGPRBlocks: 0
; VGPRBlocks: 0
; NumSGPRsForWavesPerEU: 1
; NumVGPRsForWavesPerEU: 1
; NamedBarCnt: 0
; Occupancy: 16
; WaveLimiterHint : 0
; COMPUTE_PGM_RSRC2:SCRATCH_EN: 0
; COMPUTE_PGM_RSRC2:USER_SGPR: 2
; COMPUTE_PGM_RSRC2:TRAP_HANDLER: 0
; COMPUTE_PGM_RSRC2:TGID_X_EN: 1
; COMPUTE_PGM_RSRC2:TGID_Y_EN: 0
; COMPUTE_PGM_RSRC2:TGID_Z_EN: 0
; COMPUTE_PGM_RSRC2:TIDIG_COMP_CNT: 0
	.section	.text._ZN7rocprim17ROCPRIM_400000_NS6detail17trampoline_kernelINS0_14default_configENS1_27scan_by_key_config_selectorIxiEEZZNS1_16scan_by_key_implILNS1_25lookback_scan_determinismE0ELb1ES3_N6thrust23THRUST_200600_302600_NS6detail15normal_iteratorINS9_10device_ptrIxEEEESE_SE_iNS9_4plusIvEENS9_8equal_toIvEEiEE10hipError_tPvRmT2_T3_T4_T5_mT6_T7_P12ihipStream_tbENKUlT_T0_E_clISt17integral_constantIbLb1EESZ_EEDaSU_SV_EUlSU_E_NS1_11comp_targetILNS1_3genE10ELNS1_11target_archE1200ELNS1_3gpuE4ELNS1_3repE0EEENS1_30default_config_static_selectorELNS0_4arch9wavefront6targetE0EEEvT1_,"axG",@progbits,_ZN7rocprim17ROCPRIM_400000_NS6detail17trampoline_kernelINS0_14default_configENS1_27scan_by_key_config_selectorIxiEEZZNS1_16scan_by_key_implILNS1_25lookback_scan_determinismE0ELb1ES3_N6thrust23THRUST_200600_302600_NS6detail15normal_iteratorINS9_10device_ptrIxEEEESE_SE_iNS9_4plusIvEENS9_8equal_toIvEEiEE10hipError_tPvRmT2_T3_T4_T5_mT6_T7_P12ihipStream_tbENKUlT_T0_E_clISt17integral_constantIbLb1EESZ_EEDaSU_SV_EUlSU_E_NS1_11comp_targetILNS1_3genE10ELNS1_11target_archE1200ELNS1_3gpuE4ELNS1_3repE0EEENS1_30default_config_static_selectorELNS0_4arch9wavefront6targetE0EEEvT1_,comdat
	.protected	_ZN7rocprim17ROCPRIM_400000_NS6detail17trampoline_kernelINS0_14default_configENS1_27scan_by_key_config_selectorIxiEEZZNS1_16scan_by_key_implILNS1_25lookback_scan_determinismE0ELb1ES3_N6thrust23THRUST_200600_302600_NS6detail15normal_iteratorINS9_10device_ptrIxEEEESE_SE_iNS9_4plusIvEENS9_8equal_toIvEEiEE10hipError_tPvRmT2_T3_T4_T5_mT6_T7_P12ihipStream_tbENKUlT_T0_E_clISt17integral_constantIbLb1EESZ_EEDaSU_SV_EUlSU_E_NS1_11comp_targetILNS1_3genE10ELNS1_11target_archE1200ELNS1_3gpuE4ELNS1_3repE0EEENS1_30default_config_static_selectorELNS0_4arch9wavefront6targetE0EEEvT1_ ; -- Begin function _ZN7rocprim17ROCPRIM_400000_NS6detail17trampoline_kernelINS0_14default_configENS1_27scan_by_key_config_selectorIxiEEZZNS1_16scan_by_key_implILNS1_25lookback_scan_determinismE0ELb1ES3_N6thrust23THRUST_200600_302600_NS6detail15normal_iteratorINS9_10device_ptrIxEEEESE_SE_iNS9_4plusIvEENS9_8equal_toIvEEiEE10hipError_tPvRmT2_T3_T4_T5_mT6_T7_P12ihipStream_tbENKUlT_T0_E_clISt17integral_constantIbLb1EESZ_EEDaSU_SV_EUlSU_E_NS1_11comp_targetILNS1_3genE10ELNS1_11target_archE1200ELNS1_3gpuE4ELNS1_3repE0EEENS1_30default_config_static_selectorELNS0_4arch9wavefront6targetE0EEEvT1_
	.globl	_ZN7rocprim17ROCPRIM_400000_NS6detail17trampoline_kernelINS0_14default_configENS1_27scan_by_key_config_selectorIxiEEZZNS1_16scan_by_key_implILNS1_25lookback_scan_determinismE0ELb1ES3_N6thrust23THRUST_200600_302600_NS6detail15normal_iteratorINS9_10device_ptrIxEEEESE_SE_iNS9_4plusIvEENS9_8equal_toIvEEiEE10hipError_tPvRmT2_T3_T4_T5_mT6_T7_P12ihipStream_tbENKUlT_T0_E_clISt17integral_constantIbLb1EESZ_EEDaSU_SV_EUlSU_E_NS1_11comp_targetILNS1_3genE10ELNS1_11target_archE1200ELNS1_3gpuE4ELNS1_3repE0EEENS1_30default_config_static_selectorELNS0_4arch9wavefront6targetE0EEEvT1_
	.p2align	8
	.type	_ZN7rocprim17ROCPRIM_400000_NS6detail17trampoline_kernelINS0_14default_configENS1_27scan_by_key_config_selectorIxiEEZZNS1_16scan_by_key_implILNS1_25lookback_scan_determinismE0ELb1ES3_N6thrust23THRUST_200600_302600_NS6detail15normal_iteratorINS9_10device_ptrIxEEEESE_SE_iNS9_4plusIvEENS9_8equal_toIvEEiEE10hipError_tPvRmT2_T3_T4_T5_mT6_T7_P12ihipStream_tbENKUlT_T0_E_clISt17integral_constantIbLb1EESZ_EEDaSU_SV_EUlSU_E_NS1_11comp_targetILNS1_3genE10ELNS1_11target_archE1200ELNS1_3gpuE4ELNS1_3repE0EEENS1_30default_config_static_selectorELNS0_4arch9wavefront6targetE0EEEvT1_,@function
_ZN7rocprim17ROCPRIM_400000_NS6detail17trampoline_kernelINS0_14default_configENS1_27scan_by_key_config_selectorIxiEEZZNS1_16scan_by_key_implILNS1_25lookback_scan_determinismE0ELb1ES3_N6thrust23THRUST_200600_302600_NS6detail15normal_iteratorINS9_10device_ptrIxEEEESE_SE_iNS9_4plusIvEENS9_8equal_toIvEEiEE10hipError_tPvRmT2_T3_T4_T5_mT6_T7_P12ihipStream_tbENKUlT_T0_E_clISt17integral_constantIbLb1EESZ_EEDaSU_SV_EUlSU_E_NS1_11comp_targetILNS1_3genE10ELNS1_11target_archE1200ELNS1_3gpuE4ELNS1_3repE0EEENS1_30default_config_static_selectorELNS0_4arch9wavefront6targetE0EEEvT1_: ; @_ZN7rocprim17ROCPRIM_400000_NS6detail17trampoline_kernelINS0_14default_configENS1_27scan_by_key_config_selectorIxiEEZZNS1_16scan_by_key_implILNS1_25lookback_scan_determinismE0ELb1ES3_N6thrust23THRUST_200600_302600_NS6detail15normal_iteratorINS9_10device_ptrIxEEEESE_SE_iNS9_4plusIvEENS9_8equal_toIvEEiEE10hipError_tPvRmT2_T3_T4_T5_mT6_T7_P12ihipStream_tbENKUlT_T0_E_clISt17integral_constantIbLb1EESZ_EEDaSU_SV_EUlSU_E_NS1_11comp_targetILNS1_3genE10ELNS1_11target_archE1200ELNS1_3gpuE4ELNS1_3repE0EEENS1_30default_config_static_selectorELNS0_4arch9wavefront6targetE0EEEvT1_
; %bb.0:
	.section	.rodata,"a",@progbits
	.p2align	6, 0x0
	.amdhsa_kernel _ZN7rocprim17ROCPRIM_400000_NS6detail17trampoline_kernelINS0_14default_configENS1_27scan_by_key_config_selectorIxiEEZZNS1_16scan_by_key_implILNS1_25lookback_scan_determinismE0ELb1ES3_N6thrust23THRUST_200600_302600_NS6detail15normal_iteratorINS9_10device_ptrIxEEEESE_SE_iNS9_4plusIvEENS9_8equal_toIvEEiEE10hipError_tPvRmT2_T3_T4_T5_mT6_T7_P12ihipStream_tbENKUlT_T0_E_clISt17integral_constantIbLb1EESZ_EEDaSU_SV_EUlSU_E_NS1_11comp_targetILNS1_3genE10ELNS1_11target_archE1200ELNS1_3gpuE4ELNS1_3repE0EEENS1_30default_config_static_selectorELNS0_4arch9wavefront6targetE0EEEvT1_
		.amdhsa_group_segment_fixed_size 0
		.amdhsa_private_segment_fixed_size 0
		.amdhsa_kernarg_size 112
		.amdhsa_user_sgpr_count 2
		.amdhsa_user_sgpr_dispatch_ptr 0
		.amdhsa_user_sgpr_queue_ptr 0
		.amdhsa_user_sgpr_kernarg_segment_ptr 1
		.amdhsa_user_sgpr_dispatch_id 0
		.amdhsa_user_sgpr_kernarg_preload_length 0
		.amdhsa_user_sgpr_kernarg_preload_offset 0
		.amdhsa_user_sgpr_private_segment_size 0
		.amdhsa_wavefront_size32 1
		.amdhsa_uses_dynamic_stack 0
		.amdhsa_enable_private_segment 0
		.amdhsa_system_sgpr_workgroup_id_x 1
		.amdhsa_system_sgpr_workgroup_id_y 0
		.amdhsa_system_sgpr_workgroup_id_z 0
		.amdhsa_system_sgpr_workgroup_info 0
		.amdhsa_system_vgpr_workitem_id 0
		.amdhsa_next_free_vgpr 1
		.amdhsa_next_free_sgpr 1
		.amdhsa_named_barrier_count 0
		.amdhsa_reserve_vcc 0
		.amdhsa_float_round_mode_32 0
		.amdhsa_float_round_mode_16_64 0
		.amdhsa_float_denorm_mode_32 3
		.amdhsa_float_denorm_mode_16_64 3
		.amdhsa_fp16_overflow 0
		.amdhsa_memory_ordered 1
		.amdhsa_forward_progress 1
		.amdhsa_inst_pref_size 0
		.amdhsa_round_robin_scheduling 0
		.amdhsa_exception_fp_ieee_invalid_op 0
		.amdhsa_exception_fp_denorm_src 0
		.amdhsa_exception_fp_ieee_div_zero 0
		.amdhsa_exception_fp_ieee_overflow 0
		.amdhsa_exception_fp_ieee_underflow 0
		.amdhsa_exception_fp_ieee_inexact 0
		.amdhsa_exception_int_div_zero 0
	.end_amdhsa_kernel
	.section	.text._ZN7rocprim17ROCPRIM_400000_NS6detail17trampoline_kernelINS0_14default_configENS1_27scan_by_key_config_selectorIxiEEZZNS1_16scan_by_key_implILNS1_25lookback_scan_determinismE0ELb1ES3_N6thrust23THRUST_200600_302600_NS6detail15normal_iteratorINS9_10device_ptrIxEEEESE_SE_iNS9_4plusIvEENS9_8equal_toIvEEiEE10hipError_tPvRmT2_T3_T4_T5_mT6_T7_P12ihipStream_tbENKUlT_T0_E_clISt17integral_constantIbLb1EESZ_EEDaSU_SV_EUlSU_E_NS1_11comp_targetILNS1_3genE10ELNS1_11target_archE1200ELNS1_3gpuE4ELNS1_3repE0EEENS1_30default_config_static_selectorELNS0_4arch9wavefront6targetE0EEEvT1_,"axG",@progbits,_ZN7rocprim17ROCPRIM_400000_NS6detail17trampoline_kernelINS0_14default_configENS1_27scan_by_key_config_selectorIxiEEZZNS1_16scan_by_key_implILNS1_25lookback_scan_determinismE0ELb1ES3_N6thrust23THRUST_200600_302600_NS6detail15normal_iteratorINS9_10device_ptrIxEEEESE_SE_iNS9_4plusIvEENS9_8equal_toIvEEiEE10hipError_tPvRmT2_T3_T4_T5_mT6_T7_P12ihipStream_tbENKUlT_T0_E_clISt17integral_constantIbLb1EESZ_EEDaSU_SV_EUlSU_E_NS1_11comp_targetILNS1_3genE10ELNS1_11target_archE1200ELNS1_3gpuE4ELNS1_3repE0EEENS1_30default_config_static_selectorELNS0_4arch9wavefront6targetE0EEEvT1_,comdat
.Lfunc_end1018:
	.size	_ZN7rocprim17ROCPRIM_400000_NS6detail17trampoline_kernelINS0_14default_configENS1_27scan_by_key_config_selectorIxiEEZZNS1_16scan_by_key_implILNS1_25lookback_scan_determinismE0ELb1ES3_N6thrust23THRUST_200600_302600_NS6detail15normal_iteratorINS9_10device_ptrIxEEEESE_SE_iNS9_4plusIvEENS9_8equal_toIvEEiEE10hipError_tPvRmT2_T3_T4_T5_mT6_T7_P12ihipStream_tbENKUlT_T0_E_clISt17integral_constantIbLb1EESZ_EEDaSU_SV_EUlSU_E_NS1_11comp_targetILNS1_3genE10ELNS1_11target_archE1200ELNS1_3gpuE4ELNS1_3repE0EEENS1_30default_config_static_selectorELNS0_4arch9wavefront6targetE0EEEvT1_, .Lfunc_end1018-_ZN7rocprim17ROCPRIM_400000_NS6detail17trampoline_kernelINS0_14default_configENS1_27scan_by_key_config_selectorIxiEEZZNS1_16scan_by_key_implILNS1_25lookback_scan_determinismE0ELb1ES3_N6thrust23THRUST_200600_302600_NS6detail15normal_iteratorINS9_10device_ptrIxEEEESE_SE_iNS9_4plusIvEENS9_8equal_toIvEEiEE10hipError_tPvRmT2_T3_T4_T5_mT6_T7_P12ihipStream_tbENKUlT_T0_E_clISt17integral_constantIbLb1EESZ_EEDaSU_SV_EUlSU_E_NS1_11comp_targetILNS1_3genE10ELNS1_11target_archE1200ELNS1_3gpuE4ELNS1_3repE0EEENS1_30default_config_static_selectorELNS0_4arch9wavefront6targetE0EEEvT1_
                                        ; -- End function
	.set _ZN7rocprim17ROCPRIM_400000_NS6detail17trampoline_kernelINS0_14default_configENS1_27scan_by_key_config_selectorIxiEEZZNS1_16scan_by_key_implILNS1_25lookback_scan_determinismE0ELb1ES3_N6thrust23THRUST_200600_302600_NS6detail15normal_iteratorINS9_10device_ptrIxEEEESE_SE_iNS9_4plusIvEENS9_8equal_toIvEEiEE10hipError_tPvRmT2_T3_T4_T5_mT6_T7_P12ihipStream_tbENKUlT_T0_E_clISt17integral_constantIbLb1EESZ_EEDaSU_SV_EUlSU_E_NS1_11comp_targetILNS1_3genE10ELNS1_11target_archE1200ELNS1_3gpuE4ELNS1_3repE0EEENS1_30default_config_static_selectorELNS0_4arch9wavefront6targetE0EEEvT1_.num_vgpr, 0
	.set _ZN7rocprim17ROCPRIM_400000_NS6detail17trampoline_kernelINS0_14default_configENS1_27scan_by_key_config_selectorIxiEEZZNS1_16scan_by_key_implILNS1_25lookback_scan_determinismE0ELb1ES3_N6thrust23THRUST_200600_302600_NS6detail15normal_iteratorINS9_10device_ptrIxEEEESE_SE_iNS9_4plusIvEENS9_8equal_toIvEEiEE10hipError_tPvRmT2_T3_T4_T5_mT6_T7_P12ihipStream_tbENKUlT_T0_E_clISt17integral_constantIbLb1EESZ_EEDaSU_SV_EUlSU_E_NS1_11comp_targetILNS1_3genE10ELNS1_11target_archE1200ELNS1_3gpuE4ELNS1_3repE0EEENS1_30default_config_static_selectorELNS0_4arch9wavefront6targetE0EEEvT1_.num_agpr, 0
	.set _ZN7rocprim17ROCPRIM_400000_NS6detail17trampoline_kernelINS0_14default_configENS1_27scan_by_key_config_selectorIxiEEZZNS1_16scan_by_key_implILNS1_25lookback_scan_determinismE0ELb1ES3_N6thrust23THRUST_200600_302600_NS6detail15normal_iteratorINS9_10device_ptrIxEEEESE_SE_iNS9_4plusIvEENS9_8equal_toIvEEiEE10hipError_tPvRmT2_T3_T4_T5_mT6_T7_P12ihipStream_tbENKUlT_T0_E_clISt17integral_constantIbLb1EESZ_EEDaSU_SV_EUlSU_E_NS1_11comp_targetILNS1_3genE10ELNS1_11target_archE1200ELNS1_3gpuE4ELNS1_3repE0EEENS1_30default_config_static_selectorELNS0_4arch9wavefront6targetE0EEEvT1_.numbered_sgpr, 0
	.set _ZN7rocprim17ROCPRIM_400000_NS6detail17trampoline_kernelINS0_14default_configENS1_27scan_by_key_config_selectorIxiEEZZNS1_16scan_by_key_implILNS1_25lookback_scan_determinismE0ELb1ES3_N6thrust23THRUST_200600_302600_NS6detail15normal_iteratorINS9_10device_ptrIxEEEESE_SE_iNS9_4plusIvEENS9_8equal_toIvEEiEE10hipError_tPvRmT2_T3_T4_T5_mT6_T7_P12ihipStream_tbENKUlT_T0_E_clISt17integral_constantIbLb1EESZ_EEDaSU_SV_EUlSU_E_NS1_11comp_targetILNS1_3genE10ELNS1_11target_archE1200ELNS1_3gpuE4ELNS1_3repE0EEENS1_30default_config_static_selectorELNS0_4arch9wavefront6targetE0EEEvT1_.num_named_barrier, 0
	.set _ZN7rocprim17ROCPRIM_400000_NS6detail17trampoline_kernelINS0_14default_configENS1_27scan_by_key_config_selectorIxiEEZZNS1_16scan_by_key_implILNS1_25lookback_scan_determinismE0ELb1ES3_N6thrust23THRUST_200600_302600_NS6detail15normal_iteratorINS9_10device_ptrIxEEEESE_SE_iNS9_4plusIvEENS9_8equal_toIvEEiEE10hipError_tPvRmT2_T3_T4_T5_mT6_T7_P12ihipStream_tbENKUlT_T0_E_clISt17integral_constantIbLb1EESZ_EEDaSU_SV_EUlSU_E_NS1_11comp_targetILNS1_3genE10ELNS1_11target_archE1200ELNS1_3gpuE4ELNS1_3repE0EEENS1_30default_config_static_selectorELNS0_4arch9wavefront6targetE0EEEvT1_.private_seg_size, 0
	.set _ZN7rocprim17ROCPRIM_400000_NS6detail17trampoline_kernelINS0_14default_configENS1_27scan_by_key_config_selectorIxiEEZZNS1_16scan_by_key_implILNS1_25lookback_scan_determinismE0ELb1ES3_N6thrust23THRUST_200600_302600_NS6detail15normal_iteratorINS9_10device_ptrIxEEEESE_SE_iNS9_4plusIvEENS9_8equal_toIvEEiEE10hipError_tPvRmT2_T3_T4_T5_mT6_T7_P12ihipStream_tbENKUlT_T0_E_clISt17integral_constantIbLb1EESZ_EEDaSU_SV_EUlSU_E_NS1_11comp_targetILNS1_3genE10ELNS1_11target_archE1200ELNS1_3gpuE4ELNS1_3repE0EEENS1_30default_config_static_selectorELNS0_4arch9wavefront6targetE0EEEvT1_.uses_vcc, 0
	.set _ZN7rocprim17ROCPRIM_400000_NS6detail17trampoline_kernelINS0_14default_configENS1_27scan_by_key_config_selectorIxiEEZZNS1_16scan_by_key_implILNS1_25lookback_scan_determinismE0ELb1ES3_N6thrust23THRUST_200600_302600_NS6detail15normal_iteratorINS9_10device_ptrIxEEEESE_SE_iNS9_4plusIvEENS9_8equal_toIvEEiEE10hipError_tPvRmT2_T3_T4_T5_mT6_T7_P12ihipStream_tbENKUlT_T0_E_clISt17integral_constantIbLb1EESZ_EEDaSU_SV_EUlSU_E_NS1_11comp_targetILNS1_3genE10ELNS1_11target_archE1200ELNS1_3gpuE4ELNS1_3repE0EEENS1_30default_config_static_selectorELNS0_4arch9wavefront6targetE0EEEvT1_.uses_flat_scratch, 0
	.set _ZN7rocprim17ROCPRIM_400000_NS6detail17trampoline_kernelINS0_14default_configENS1_27scan_by_key_config_selectorIxiEEZZNS1_16scan_by_key_implILNS1_25lookback_scan_determinismE0ELb1ES3_N6thrust23THRUST_200600_302600_NS6detail15normal_iteratorINS9_10device_ptrIxEEEESE_SE_iNS9_4plusIvEENS9_8equal_toIvEEiEE10hipError_tPvRmT2_T3_T4_T5_mT6_T7_P12ihipStream_tbENKUlT_T0_E_clISt17integral_constantIbLb1EESZ_EEDaSU_SV_EUlSU_E_NS1_11comp_targetILNS1_3genE10ELNS1_11target_archE1200ELNS1_3gpuE4ELNS1_3repE0EEENS1_30default_config_static_selectorELNS0_4arch9wavefront6targetE0EEEvT1_.has_dyn_sized_stack, 0
	.set _ZN7rocprim17ROCPRIM_400000_NS6detail17trampoline_kernelINS0_14default_configENS1_27scan_by_key_config_selectorIxiEEZZNS1_16scan_by_key_implILNS1_25lookback_scan_determinismE0ELb1ES3_N6thrust23THRUST_200600_302600_NS6detail15normal_iteratorINS9_10device_ptrIxEEEESE_SE_iNS9_4plusIvEENS9_8equal_toIvEEiEE10hipError_tPvRmT2_T3_T4_T5_mT6_T7_P12ihipStream_tbENKUlT_T0_E_clISt17integral_constantIbLb1EESZ_EEDaSU_SV_EUlSU_E_NS1_11comp_targetILNS1_3genE10ELNS1_11target_archE1200ELNS1_3gpuE4ELNS1_3repE0EEENS1_30default_config_static_selectorELNS0_4arch9wavefront6targetE0EEEvT1_.has_recursion, 0
	.set _ZN7rocprim17ROCPRIM_400000_NS6detail17trampoline_kernelINS0_14default_configENS1_27scan_by_key_config_selectorIxiEEZZNS1_16scan_by_key_implILNS1_25lookback_scan_determinismE0ELb1ES3_N6thrust23THRUST_200600_302600_NS6detail15normal_iteratorINS9_10device_ptrIxEEEESE_SE_iNS9_4plusIvEENS9_8equal_toIvEEiEE10hipError_tPvRmT2_T3_T4_T5_mT6_T7_P12ihipStream_tbENKUlT_T0_E_clISt17integral_constantIbLb1EESZ_EEDaSU_SV_EUlSU_E_NS1_11comp_targetILNS1_3genE10ELNS1_11target_archE1200ELNS1_3gpuE4ELNS1_3repE0EEENS1_30default_config_static_selectorELNS0_4arch9wavefront6targetE0EEEvT1_.has_indirect_call, 0
	.section	.AMDGPU.csdata,"",@progbits
; Kernel info:
; codeLenInByte = 0
; TotalNumSgprs: 0
; NumVgprs: 0
; ScratchSize: 0
; MemoryBound: 0
; FloatMode: 240
; IeeeMode: 1
; LDSByteSize: 0 bytes/workgroup (compile time only)
; SGPRBlocks: 0
; VGPRBlocks: 0
; NumSGPRsForWavesPerEU: 1
; NumVGPRsForWavesPerEU: 1
; NamedBarCnt: 0
; Occupancy: 16
; WaveLimiterHint : 0
; COMPUTE_PGM_RSRC2:SCRATCH_EN: 0
; COMPUTE_PGM_RSRC2:USER_SGPR: 2
; COMPUTE_PGM_RSRC2:TRAP_HANDLER: 0
; COMPUTE_PGM_RSRC2:TGID_X_EN: 1
; COMPUTE_PGM_RSRC2:TGID_Y_EN: 0
; COMPUTE_PGM_RSRC2:TGID_Z_EN: 0
; COMPUTE_PGM_RSRC2:TIDIG_COMP_CNT: 0
	.section	.text._ZN7rocprim17ROCPRIM_400000_NS6detail17trampoline_kernelINS0_14default_configENS1_27scan_by_key_config_selectorIxiEEZZNS1_16scan_by_key_implILNS1_25lookback_scan_determinismE0ELb1ES3_N6thrust23THRUST_200600_302600_NS6detail15normal_iteratorINS9_10device_ptrIxEEEESE_SE_iNS9_4plusIvEENS9_8equal_toIvEEiEE10hipError_tPvRmT2_T3_T4_T5_mT6_T7_P12ihipStream_tbENKUlT_T0_E_clISt17integral_constantIbLb1EESZ_EEDaSU_SV_EUlSU_E_NS1_11comp_targetILNS1_3genE9ELNS1_11target_archE1100ELNS1_3gpuE3ELNS1_3repE0EEENS1_30default_config_static_selectorELNS0_4arch9wavefront6targetE0EEEvT1_,"axG",@progbits,_ZN7rocprim17ROCPRIM_400000_NS6detail17trampoline_kernelINS0_14default_configENS1_27scan_by_key_config_selectorIxiEEZZNS1_16scan_by_key_implILNS1_25lookback_scan_determinismE0ELb1ES3_N6thrust23THRUST_200600_302600_NS6detail15normal_iteratorINS9_10device_ptrIxEEEESE_SE_iNS9_4plusIvEENS9_8equal_toIvEEiEE10hipError_tPvRmT2_T3_T4_T5_mT6_T7_P12ihipStream_tbENKUlT_T0_E_clISt17integral_constantIbLb1EESZ_EEDaSU_SV_EUlSU_E_NS1_11comp_targetILNS1_3genE9ELNS1_11target_archE1100ELNS1_3gpuE3ELNS1_3repE0EEENS1_30default_config_static_selectorELNS0_4arch9wavefront6targetE0EEEvT1_,comdat
	.protected	_ZN7rocprim17ROCPRIM_400000_NS6detail17trampoline_kernelINS0_14default_configENS1_27scan_by_key_config_selectorIxiEEZZNS1_16scan_by_key_implILNS1_25lookback_scan_determinismE0ELb1ES3_N6thrust23THRUST_200600_302600_NS6detail15normal_iteratorINS9_10device_ptrIxEEEESE_SE_iNS9_4plusIvEENS9_8equal_toIvEEiEE10hipError_tPvRmT2_T3_T4_T5_mT6_T7_P12ihipStream_tbENKUlT_T0_E_clISt17integral_constantIbLb1EESZ_EEDaSU_SV_EUlSU_E_NS1_11comp_targetILNS1_3genE9ELNS1_11target_archE1100ELNS1_3gpuE3ELNS1_3repE0EEENS1_30default_config_static_selectorELNS0_4arch9wavefront6targetE0EEEvT1_ ; -- Begin function _ZN7rocprim17ROCPRIM_400000_NS6detail17trampoline_kernelINS0_14default_configENS1_27scan_by_key_config_selectorIxiEEZZNS1_16scan_by_key_implILNS1_25lookback_scan_determinismE0ELb1ES3_N6thrust23THRUST_200600_302600_NS6detail15normal_iteratorINS9_10device_ptrIxEEEESE_SE_iNS9_4plusIvEENS9_8equal_toIvEEiEE10hipError_tPvRmT2_T3_T4_T5_mT6_T7_P12ihipStream_tbENKUlT_T0_E_clISt17integral_constantIbLb1EESZ_EEDaSU_SV_EUlSU_E_NS1_11comp_targetILNS1_3genE9ELNS1_11target_archE1100ELNS1_3gpuE3ELNS1_3repE0EEENS1_30default_config_static_selectorELNS0_4arch9wavefront6targetE0EEEvT1_
	.globl	_ZN7rocprim17ROCPRIM_400000_NS6detail17trampoline_kernelINS0_14default_configENS1_27scan_by_key_config_selectorIxiEEZZNS1_16scan_by_key_implILNS1_25lookback_scan_determinismE0ELb1ES3_N6thrust23THRUST_200600_302600_NS6detail15normal_iteratorINS9_10device_ptrIxEEEESE_SE_iNS9_4plusIvEENS9_8equal_toIvEEiEE10hipError_tPvRmT2_T3_T4_T5_mT6_T7_P12ihipStream_tbENKUlT_T0_E_clISt17integral_constantIbLb1EESZ_EEDaSU_SV_EUlSU_E_NS1_11comp_targetILNS1_3genE9ELNS1_11target_archE1100ELNS1_3gpuE3ELNS1_3repE0EEENS1_30default_config_static_selectorELNS0_4arch9wavefront6targetE0EEEvT1_
	.p2align	8
	.type	_ZN7rocprim17ROCPRIM_400000_NS6detail17trampoline_kernelINS0_14default_configENS1_27scan_by_key_config_selectorIxiEEZZNS1_16scan_by_key_implILNS1_25lookback_scan_determinismE0ELb1ES3_N6thrust23THRUST_200600_302600_NS6detail15normal_iteratorINS9_10device_ptrIxEEEESE_SE_iNS9_4plusIvEENS9_8equal_toIvEEiEE10hipError_tPvRmT2_T3_T4_T5_mT6_T7_P12ihipStream_tbENKUlT_T0_E_clISt17integral_constantIbLb1EESZ_EEDaSU_SV_EUlSU_E_NS1_11comp_targetILNS1_3genE9ELNS1_11target_archE1100ELNS1_3gpuE3ELNS1_3repE0EEENS1_30default_config_static_selectorELNS0_4arch9wavefront6targetE0EEEvT1_,@function
_ZN7rocprim17ROCPRIM_400000_NS6detail17trampoline_kernelINS0_14default_configENS1_27scan_by_key_config_selectorIxiEEZZNS1_16scan_by_key_implILNS1_25lookback_scan_determinismE0ELb1ES3_N6thrust23THRUST_200600_302600_NS6detail15normal_iteratorINS9_10device_ptrIxEEEESE_SE_iNS9_4plusIvEENS9_8equal_toIvEEiEE10hipError_tPvRmT2_T3_T4_T5_mT6_T7_P12ihipStream_tbENKUlT_T0_E_clISt17integral_constantIbLb1EESZ_EEDaSU_SV_EUlSU_E_NS1_11comp_targetILNS1_3genE9ELNS1_11target_archE1100ELNS1_3gpuE3ELNS1_3repE0EEENS1_30default_config_static_selectorELNS0_4arch9wavefront6targetE0EEEvT1_: ; @_ZN7rocprim17ROCPRIM_400000_NS6detail17trampoline_kernelINS0_14default_configENS1_27scan_by_key_config_selectorIxiEEZZNS1_16scan_by_key_implILNS1_25lookback_scan_determinismE0ELb1ES3_N6thrust23THRUST_200600_302600_NS6detail15normal_iteratorINS9_10device_ptrIxEEEESE_SE_iNS9_4plusIvEENS9_8equal_toIvEEiEE10hipError_tPvRmT2_T3_T4_T5_mT6_T7_P12ihipStream_tbENKUlT_T0_E_clISt17integral_constantIbLb1EESZ_EEDaSU_SV_EUlSU_E_NS1_11comp_targetILNS1_3genE9ELNS1_11target_archE1100ELNS1_3gpuE3ELNS1_3repE0EEENS1_30default_config_static_selectorELNS0_4arch9wavefront6targetE0EEEvT1_
; %bb.0:
	.section	.rodata,"a",@progbits
	.p2align	6, 0x0
	.amdhsa_kernel _ZN7rocprim17ROCPRIM_400000_NS6detail17trampoline_kernelINS0_14default_configENS1_27scan_by_key_config_selectorIxiEEZZNS1_16scan_by_key_implILNS1_25lookback_scan_determinismE0ELb1ES3_N6thrust23THRUST_200600_302600_NS6detail15normal_iteratorINS9_10device_ptrIxEEEESE_SE_iNS9_4plusIvEENS9_8equal_toIvEEiEE10hipError_tPvRmT2_T3_T4_T5_mT6_T7_P12ihipStream_tbENKUlT_T0_E_clISt17integral_constantIbLb1EESZ_EEDaSU_SV_EUlSU_E_NS1_11comp_targetILNS1_3genE9ELNS1_11target_archE1100ELNS1_3gpuE3ELNS1_3repE0EEENS1_30default_config_static_selectorELNS0_4arch9wavefront6targetE0EEEvT1_
		.amdhsa_group_segment_fixed_size 0
		.amdhsa_private_segment_fixed_size 0
		.amdhsa_kernarg_size 112
		.amdhsa_user_sgpr_count 2
		.amdhsa_user_sgpr_dispatch_ptr 0
		.amdhsa_user_sgpr_queue_ptr 0
		.amdhsa_user_sgpr_kernarg_segment_ptr 1
		.amdhsa_user_sgpr_dispatch_id 0
		.amdhsa_user_sgpr_kernarg_preload_length 0
		.amdhsa_user_sgpr_kernarg_preload_offset 0
		.amdhsa_user_sgpr_private_segment_size 0
		.amdhsa_wavefront_size32 1
		.amdhsa_uses_dynamic_stack 0
		.amdhsa_enable_private_segment 0
		.amdhsa_system_sgpr_workgroup_id_x 1
		.amdhsa_system_sgpr_workgroup_id_y 0
		.amdhsa_system_sgpr_workgroup_id_z 0
		.amdhsa_system_sgpr_workgroup_info 0
		.amdhsa_system_vgpr_workitem_id 0
		.amdhsa_next_free_vgpr 1
		.amdhsa_next_free_sgpr 1
		.amdhsa_named_barrier_count 0
		.amdhsa_reserve_vcc 0
		.amdhsa_float_round_mode_32 0
		.amdhsa_float_round_mode_16_64 0
		.amdhsa_float_denorm_mode_32 3
		.amdhsa_float_denorm_mode_16_64 3
		.amdhsa_fp16_overflow 0
		.amdhsa_memory_ordered 1
		.amdhsa_forward_progress 1
		.amdhsa_inst_pref_size 0
		.amdhsa_round_robin_scheduling 0
		.amdhsa_exception_fp_ieee_invalid_op 0
		.amdhsa_exception_fp_denorm_src 0
		.amdhsa_exception_fp_ieee_div_zero 0
		.amdhsa_exception_fp_ieee_overflow 0
		.amdhsa_exception_fp_ieee_underflow 0
		.amdhsa_exception_fp_ieee_inexact 0
		.amdhsa_exception_int_div_zero 0
	.end_amdhsa_kernel
	.section	.text._ZN7rocprim17ROCPRIM_400000_NS6detail17trampoline_kernelINS0_14default_configENS1_27scan_by_key_config_selectorIxiEEZZNS1_16scan_by_key_implILNS1_25lookback_scan_determinismE0ELb1ES3_N6thrust23THRUST_200600_302600_NS6detail15normal_iteratorINS9_10device_ptrIxEEEESE_SE_iNS9_4plusIvEENS9_8equal_toIvEEiEE10hipError_tPvRmT2_T3_T4_T5_mT6_T7_P12ihipStream_tbENKUlT_T0_E_clISt17integral_constantIbLb1EESZ_EEDaSU_SV_EUlSU_E_NS1_11comp_targetILNS1_3genE9ELNS1_11target_archE1100ELNS1_3gpuE3ELNS1_3repE0EEENS1_30default_config_static_selectorELNS0_4arch9wavefront6targetE0EEEvT1_,"axG",@progbits,_ZN7rocprim17ROCPRIM_400000_NS6detail17trampoline_kernelINS0_14default_configENS1_27scan_by_key_config_selectorIxiEEZZNS1_16scan_by_key_implILNS1_25lookback_scan_determinismE0ELb1ES3_N6thrust23THRUST_200600_302600_NS6detail15normal_iteratorINS9_10device_ptrIxEEEESE_SE_iNS9_4plusIvEENS9_8equal_toIvEEiEE10hipError_tPvRmT2_T3_T4_T5_mT6_T7_P12ihipStream_tbENKUlT_T0_E_clISt17integral_constantIbLb1EESZ_EEDaSU_SV_EUlSU_E_NS1_11comp_targetILNS1_3genE9ELNS1_11target_archE1100ELNS1_3gpuE3ELNS1_3repE0EEENS1_30default_config_static_selectorELNS0_4arch9wavefront6targetE0EEEvT1_,comdat
.Lfunc_end1019:
	.size	_ZN7rocprim17ROCPRIM_400000_NS6detail17trampoline_kernelINS0_14default_configENS1_27scan_by_key_config_selectorIxiEEZZNS1_16scan_by_key_implILNS1_25lookback_scan_determinismE0ELb1ES3_N6thrust23THRUST_200600_302600_NS6detail15normal_iteratorINS9_10device_ptrIxEEEESE_SE_iNS9_4plusIvEENS9_8equal_toIvEEiEE10hipError_tPvRmT2_T3_T4_T5_mT6_T7_P12ihipStream_tbENKUlT_T0_E_clISt17integral_constantIbLb1EESZ_EEDaSU_SV_EUlSU_E_NS1_11comp_targetILNS1_3genE9ELNS1_11target_archE1100ELNS1_3gpuE3ELNS1_3repE0EEENS1_30default_config_static_selectorELNS0_4arch9wavefront6targetE0EEEvT1_, .Lfunc_end1019-_ZN7rocprim17ROCPRIM_400000_NS6detail17trampoline_kernelINS0_14default_configENS1_27scan_by_key_config_selectorIxiEEZZNS1_16scan_by_key_implILNS1_25lookback_scan_determinismE0ELb1ES3_N6thrust23THRUST_200600_302600_NS6detail15normal_iteratorINS9_10device_ptrIxEEEESE_SE_iNS9_4plusIvEENS9_8equal_toIvEEiEE10hipError_tPvRmT2_T3_T4_T5_mT6_T7_P12ihipStream_tbENKUlT_T0_E_clISt17integral_constantIbLb1EESZ_EEDaSU_SV_EUlSU_E_NS1_11comp_targetILNS1_3genE9ELNS1_11target_archE1100ELNS1_3gpuE3ELNS1_3repE0EEENS1_30default_config_static_selectorELNS0_4arch9wavefront6targetE0EEEvT1_
                                        ; -- End function
	.set _ZN7rocprim17ROCPRIM_400000_NS6detail17trampoline_kernelINS0_14default_configENS1_27scan_by_key_config_selectorIxiEEZZNS1_16scan_by_key_implILNS1_25lookback_scan_determinismE0ELb1ES3_N6thrust23THRUST_200600_302600_NS6detail15normal_iteratorINS9_10device_ptrIxEEEESE_SE_iNS9_4plusIvEENS9_8equal_toIvEEiEE10hipError_tPvRmT2_T3_T4_T5_mT6_T7_P12ihipStream_tbENKUlT_T0_E_clISt17integral_constantIbLb1EESZ_EEDaSU_SV_EUlSU_E_NS1_11comp_targetILNS1_3genE9ELNS1_11target_archE1100ELNS1_3gpuE3ELNS1_3repE0EEENS1_30default_config_static_selectorELNS0_4arch9wavefront6targetE0EEEvT1_.num_vgpr, 0
	.set _ZN7rocprim17ROCPRIM_400000_NS6detail17trampoline_kernelINS0_14default_configENS1_27scan_by_key_config_selectorIxiEEZZNS1_16scan_by_key_implILNS1_25lookback_scan_determinismE0ELb1ES3_N6thrust23THRUST_200600_302600_NS6detail15normal_iteratorINS9_10device_ptrIxEEEESE_SE_iNS9_4plusIvEENS9_8equal_toIvEEiEE10hipError_tPvRmT2_T3_T4_T5_mT6_T7_P12ihipStream_tbENKUlT_T0_E_clISt17integral_constantIbLb1EESZ_EEDaSU_SV_EUlSU_E_NS1_11comp_targetILNS1_3genE9ELNS1_11target_archE1100ELNS1_3gpuE3ELNS1_3repE0EEENS1_30default_config_static_selectorELNS0_4arch9wavefront6targetE0EEEvT1_.num_agpr, 0
	.set _ZN7rocprim17ROCPRIM_400000_NS6detail17trampoline_kernelINS0_14default_configENS1_27scan_by_key_config_selectorIxiEEZZNS1_16scan_by_key_implILNS1_25lookback_scan_determinismE0ELb1ES3_N6thrust23THRUST_200600_302600_NS6detail15normal_iteratorINS9_10device_ptrIxEEEESE_SE_iNS9_4plusIvEENS9_8equal_toIvEEiEE10hipError_tPvRmT2_T3_T4_T5_mT6_T7_P12ihipStream_tbENKUlT_T0_E_clISt17integral_constantIbLb1EESZ_EEDaSU_SV_EUlSU_E_NS1_11comp_targetILNS1_3genE9ELNS1_11target_archE1100ELNS1_3gpuE3ELNS1_3repE0EEENS1_30default_config_static_selectorELNS0_4arch9wavefront6targetE0EEEvT1_.numbered_sgpr, 0
	.set _ZN7rocprim17ROCPRIM_400000_NS6detail17trampoline_kernelINS0_14default_configENS1_27scan_by_key_config_selectorIxiEEZZNS1_16scan_by_key_implILNS1_25lookback_scan_determinismE0ELb1ES3_N6thrust23THRUST_200600_302600_NS6detail15normal_iteratorINS9_10device_ptrIxEEEESE_SE_iNS9_4plusIvEENS9_8equal_toIvEEiEE10hipError_tPvRmT2_T3_T4_T5_mT6_T7_P12ihipStream_tbENKUlT_T0_E_clISt17integral_constantIbLb1EESZ_EEDaSU_SV_EUlSU_E_NS1_11comp_targetILNS1_3genE9ELNS1_11target_archE1100ELNS1_3gpuE3ELNS1_3repE0EEENS1_30default_config_static_selectorELNS0_4arch9wavefront6targetE0EEEvT1_.num_named_barrier, 0
	.set _ZN7rocprim17ROCPRIM_400000_NS6detail17trampoline_kernelINS0_14default_configENS1_27scan_by_key_config_selectorIxiEEZZNS1_16scan_by_key_implILNS1_25lookback_scan_determinismE0ELb1ES3_N6thrust23THRUST_200600_302600_NS6detail15normal_iteratorINS9_10device_ptrIxEEEESE_SE_iNS9_4plusIvEENS9_8equal_toIvEEiEE10hipError_tPvRmT2_T3_T4_T5_mT6_T7_P12ihipStream_tbENKUlT_T0_E_clISt17integral_constantIbLb1EESZ_EEDaSU_SV_EUlSU_E_NS1_11comp_targetILNS1_3genE9ELNS1_11target_archE1100ELNS1_3gpuE3ELNS1_3repE0EEENS1_30default_config_static_selectorELNS0_4arch9wavefront6targetE0EEEvT1_.private_seg_size, 0
	.set _ZN7rocprim17ROCPRIM_400000_NS6detail17trampoline_kernelINS0_14default_configENS1_27scan_by_key_config_selectorIxiEEZZNS1_16scan_by_key_implILNS1_25lookback_scan_determinismE0ELb1ES3_N6thrust23THRUST_200600_302600_NS6detail15normal_iteratorINS9_10device_ptrIxEEEESE_SE_iNS9_4plusIvEENS9_8equal_toIvEEiEE10hipError_tPvRmT2_T3_T4_T5_mT6_T7_P12ihipStream_tbENKUlT_T0_E_clISt17integral_constantIbLb1EESZ_EEDaSU_SV_EUlSU_E_NS1_11comp_targetILNS1_3genE9ELNS1_11target_archE1100ELNS1_3gpuE3ELNS1_3repE0EEENS1_30default_config_static_selectorELNS0_4arch9wavefront6targetE0EEEvT1_.uses_vcc, 0
	.set _ZN7rocprim17ROCPRIM_400000_NS6detail17trampoline_kernelINS0_14default_configENS1_27scan_by_key_config_selectorIxiEEZZNS1_16scan_by_key_implILNS1_25lookback_scan_determinismE0ELb1ES3_N6thrust23THRUST_200600_302600_NS6detail15normal_iteratorINS9_10device_ptrIxEEEESE_SE_iNS9_4plusIvEENS9_8equal_toIvEEiEE10hipError_tPvRmT2_T3_T4_T5_mT6_T7_P12ihipStream_tbENKUlT_T0_E_clISt17integral_constantIbLb1EESZ_EEDaSU_SV_EUlSU_E_NS1_11comp_targetILNS1_3genE9ELNS1_11target_archE1100ELNS1_3gpuE3ELNS1_3repE0EEENS1_30default_config_static_selectorELNS0_4arch9wavefront6targetE0EEEvT1_.uses_flat_scratch, 0
	.set _ZN7rocprim17ROCPRIM_400000_NS6detail17trampoline_kernelINS0_14default_configENS1_27scan_by_key_config_selectorIxiEEZZNS1_16scan_by_key_implILNS1_25lookback_scan_determinismE0ELb1ES3_N6thrust23THRUST_200600_302600_NS6detail15normal_iteratorINS9_10device_ptrIxEEEESE_SE_iNS9_4plusIvEENS9_8equal_toIvEEiEE10hipError_tPvRmT2_T3_T4_T5_mT6_T7_P12ihipStream_tbENKUlT_T0_E_clISt17integral_constantIbLb1EESZ_EEDaSU_SV_EUlSU_E_NS1_11comp_targetILNS1_3genE9ELNS1_11target_archE1100ELNS1_3gpuE3ELNS1_3repE0EEENS1_30default_config_static_selectorELNS0_4arch9wavefront6targetE0EEEvT1_.has_dyn_sized_stack, 0
	.set _ZN7rocprim17ROCPRIM_400000_NS6detail17trampoline_kernelINS0_14default_configENS1_27scan_by_key_config_selectorIxiEEZZNS1_16scan_by_key_implILNS1_25lookback_scan_determinismE0ELb1ES3_N6thrust23THRUST_200600_302600_NS6detail15normal_iteratorINS9_10device_ptrIxEEEESE_SE_iNS9_4plusIvEENS9_8equal_toIvEEiEE10hipError_tPvRmT2_T3_T4_T5_mT6_T7_P12ihipStream_tbENKUlT_T0_E_clISt17integral_constantIbLb1EESZ_EEDaSU_SV_EUlSU_E_NS1_11comp_targetILNS1_3genE9ELNS1_11target_archE1100ELNS1_3gpuE3ELNS1_3repE0EEENS1_30default_config_static_selectorELNS0_4arch9wavefront6targetE0EEEvT1_.has_recursion, 0
	.set _ZN7rocprim17ROCPRIM_400000_NS6detail17trampoline_kernelINS0_14default_configENS1_27scan_by_key_config_selectorIxiEEZZNS1_16scan_by_key_implILNS1_25lookback_scan_determinismE0ELb1ES3_N6thrust23THRUST_200600_302600_NS6detail15normal_iteratorINS9_10device_ptrIxEEEESE_SE_iNS9_4plusIvEENS9_8equal_toIvEEiEE10hipError_tPvRmT2_T3_T4_T5_mT6_T7_P12ihipStream_tbENKUlT_T0_E_clISt17integral_constantIbLb1EESZ_EEDaSU_SV_EUlSU_E_NS1_11comp_targetILNS1_3genE9ELNS1_11target_archE1100ELNS1_3gpuE3ELNS1_3repE0EEENS1_30default_config_static_selectorELNS0_4arch9wavefront6targetE0EEEvT1_.has_indirect_call, 0
	.section	.AMDGPU.csdata,"",@progbits
; Kernel info:
; codeLenInByte = 0
; TotalNumSgprs: 0
; NumVgprs: 0
; ScratchSize: 0
; MemoryBound: 0
; FloatMode: 240
; IeeeMode: 1
; LDSByteSize: 0 bytes/workgroup (compile time only)
; SGPRBlocks: 0
; VGPRBlocks: 0
; NumSGPRsForWavesPerEU: 1
; NumVGPRsForWavesPerEU: 1
; NamedBarCnt: 0
; Occupancy: 16
; WaveLimiterHint : 0
; COMPUTE_PGM_RSRC2:SCRATCH_EN: 0
; COMPUTE_PGM_RSRC2:USER_SGPR: 2
; COMPUTE_PGM_RSRC2:TRAP_HANDLER: 0
; COMPUTE_PGM_RSRC2:TGID_X_EN: 1
; COMPUTE_PGM_RSRC2:TGID_Y_EN: 0
; COMPUTE_PGM_RSRC2:TGID_Z_EN: 0
; COMPUTE_PGM_RSRC2:TIDIG_COMP_CNT: 0
	.section	.text._ZN7rocprim17ROCPRIM_400000_NS6detail17trampoline_kernelINS0_14default_configENS1_27scan_by_key_config_selectorIxiEEZZNS1_16scan_by_key_implILNS1_25lookback_scan_determinismE0ELb1ES3_N6thrust23THRUST_200600_302600_NS6detail15normal_iteratorINS9_10device_ptrIxEEEESE_SE_iNS9_4plusIvEENS9_8equal_toIvEEiEE10hipError_tPvRmT2_T3_T4_T5_mT6_T7_P12ihipStream_tbENKUlT_T0_E_clISt17integral_constantIbLb1EESZ_EEDaSU_SV_EUlSU_E_NS1_11comp_targetILNS1_3genE8ELNS1_11target_archE1030ELNS1_3gpuE2ELNS1_3repE0EEENS1_30default_config_static_selectorELNS0_4arch9wavefront6targetE0EEEvT1_,"axG",@progbits,_ZN7rocprim17ROCPRIM_400000_NS6detail17trampoline_kernelINS0_14default_configENS1_27scan_by_key_config_selectorIxiEEZZNS1_16scan_by_key_implILNS1_25lookback_scan_determinismE0ELb1ES3_N6thrust23THRUST_200600_302600_NS6detail15normal_iteratorINS9_10device_ptrIxEEEESE_SE_iNS9_4plusIvEENS9_8equal_toIvEEiEE10hipError_tPvRmT2_T3_T4_T5_mT6_T7_P12ihipStream_tbENKUlT_T0_E_clISt17integral_constantIbLb1EESZ_EEDaSU_SV_EUlSU_E_NS1_11comp_targetILNS1_3genE8ELNS1_11target_archE1030ELNS1_3gpuE2ELNS1_3repE0EEENS1_30default_config_static_selectorELNS0_4arch9wavefront6targetE0EEEvT1_,comdat
	.protected	_ZN7rocprim17ROCPRIM_400000_NS6detail17trampoline_kernelINS0_14default_configENS1_27scan_by_key_config_selectorIxiEEZZNS1_16scan_by_key_implILNS1_25lookback_scan_determinismE0ELb1ES3_N6thrust23THRUST_200600_302600_NS6detail15normal_iteratorINS9_10device_ptrIxEEEESE_SE_iNS9_4plusIvEENS9_8equal_toIvEEiEE10hipError_tPvRmT2_T3_T4_T5_mT6_T7_P12ihipStream_tbENKUlT_T0_E_clISt17integral_constantIbLb1EESZ_EEDaSU_SV_EUlSU_E_NS1_11comp_targetILNS1_3genE8ELNS1_11target_archE1030ELNS1_3gpuE2ELNS1_3repE0EEENS1_30default_config_static_selectorELNS0_4arch9wavefront6targetE0EEEvT1_ ; -- Begin function _ZN7rocprim17ROCPRIM_400000_NS6detail17trampoline_kernelINS0_14default_configENS1_27scan_by_key_config_selectorIxiEEZZNS1_16scan_by_key_implILNS1_25lookback_scan_determinismE0ELb1ES3_N6thrust23THRUST_200600_302600_NS6detail15normal_iteratorINS9_10device_ptrIxEEEESE_SE_iNS9_4plusIvEENS9_8equal_toIvEEiEE10hipError_tPvRmT2_T3_T4_T5_mT6_T7_P12ihipStream_tbENKUlT_T0_E_clISt17integral_constantIbLb1EESZ_EEDaSU_SV_EUlSU_E_NS1_11comp_targetILNS1_3genE8ELNS1_11target_archE1030ELNS1_3gpuE2ELNS1_3repE0EEENS1_30default_config_static_selectorELNS0_4arch9wavefront6targetE0EEEvT1_
	.globl	_ZN7rocprim17ROCPRIM_400000_NS6detail17trampoline_kernelINS0_14default_configENS1_27scan_by_key_config_selectorIxiEEZZNS1_16scan_by_key_implILNS1_25lookback_scan_determinismE0ELb1ES3_N6thrust23THRUST_200600_302600_NS6detail15normal_iteratorINS9_10device_ptrIxEEEESE_SE_iNS9_4plusIvEENS9_8equal_toIvEEiEE10hipError_tPvRmT2_T3_T4_T5_mT6_T7_P12ihipStream_tbENKUlT_T0_E_clISt17integral_constantIbLb1EESZ_EEDaSU_SV_EUlSU_E_NS1_11comp_targetILNS1_3genE8ELNS1_11target_archE1030ELNS1_3gpuE2ELNS1_3repE0EEENS1_30default_config_static_selectorELNS0_4arch9wavefront6targetE0EEEvT1_
	.p2align	8
	.type	_ZN7rocprim17ROCPRIM_400000_NS6detail17trampoline_kernelINS0_14default_configENS1_27scan_by_key_config_selectorIxiEEZZNS1_16scan_by_key_implILNS1_25lookback_scan_determinismE0ELb1ES3_N6thrust23THRUST_200600_302600_NS6detail15normal_iteratorINS9_10device_ptrIxEEEESE_SE_iNS9_4plusIvEENS9_8equal_toIvEEiEE10hipError_tPvRmT2_T3_T4_T5_mT6_T7_P12ihipStream_tbENKUlT_T0_E_clISt17integral_constantIbLb1EESZ_EEDaSU_SV_EUlSU_E_NS1_11comp_targetILNS1_3genE8ELNS1_11target_archE1030ELNS1_3gpuE2ELNS1_3repE0EEENS1_30default_config_static_selectorELNS0_4arch9wavefront6targetE0EEEvT1_,@function
_ZN7rocprim17ROCPRIM_400000_NS6detail17trampoline_kernelINS0_14default_configENS1_27scan_by_key_config_selectorIxiEEZZNS1_16scan_by_key_implILNS1_25lookback_scan_determinismE0ELb1ES3_N6thrust23THRUST_200600_302600_NS6detail15normal_iteratorINS9_10device_ptrIxEEEESE_SE_iNS9_4plusIvEENS9_8equal_toIvEEiEE10hipError_tPvRmT2_T3_T4_T5_mT6_T7_P12ihipStream_tbENKUlT_T0_E_clISt17integral_constantIbLb1EESZ_EEDaSU_SV_EUlSU_E_NS1_11comp_targetILNS1_3genE8ELNS1_11target_archE1030ELNS1_3gpuE2ELNS1_3repE0EEENS1_30default_config_static_selectorELNS0_4arch9wavefront6targetE0EEEvT1_: ; @_ZN7rocprim17ROCPRIM_400000_NS6detail17trampoline_kernelINS0_14default_configENS1_27scan_by_key_config_selectorIxiEEZZNS1_16scan_by_key_implILNS1_25lookback_scan_determinismE0ELb1ES3_N6thrust23THRUST_200600_302600_NS6detail15normal_iteratorINS9_10device_ptrIxEEEESE_SE_iNS9_4plusIvEENS9_8equal_toIvEEiEE10hipError_tPvRmT2_T3_T4_T5_mT6_T7_P12ihipStream_tbENKUlT_T0_E_clISt17integral_constantIbLb1EESZ_EEDaSU_SV_EUlSU_E_NS1_11comp_targetILNS1_3genE8ELNS1_11target_archE1030ELNS1_3gpuE2ELNS1_3repE0EEENS1_30default_config_static_selectorELNS0_4arch9wavefront6targetE0EEEvT1_
; %bb.0:
	.section	.rodata,"a",@progbits
	.p2align	6, 0x0
	.amdhsa_kernel _ZN7rocprim17ROCPRIM_400000_NS6detail17trampoline_kernelINS0_14default_configENS1_27scan_by_key_config_selectorIxiEEZZNS1_16scan_by_key_implILNS1_25lookback_scan_determinismE0ELb1ES3_N6thrust23THRUST_200600_302600_NS6detail15normal_iteratorINS9_10device_ptrIxEEEESE_SE_iNS9_4plusIvEENS9_8equal_toIvEEiEE10hipError_tPvRmT2_T3_T4_T5_mT6_T7_P12ihipStream_tbENKUlT_T0_E_clISt17integral_constantIbLb1EESZ_EEDaSU_SV_EUlSU_E_NS1_11comp_targetILNS1_3genE8ELNS1_11target_archE1030ELNS1_3gpuE2ELNS1_3repE0EEENS1_30default_config_static_selectorELNS0_4arch9wavefront6targetE0EEEvT1_
		.amdhsa_group_segment_fixed_size 0
		.amdhsa_private_segment_fixed_size 0
		.amdhsa_kernarg_size 112
		.amdhsa_user_sgpr_count 2
		.amdhsa_user_sgpr_dispatch_ptr 0
		.amdhsa_user_sgpr_queue_ptr 0
		.amdhsa_user_sgpr_kernarg_segment_ptr 1
		.amdhsa_user_sgpr_dispatch_id 0
		.amdhsa_user_sgpr_kernarg_preload_length 0
		.amdhsa_user_sgpr_kernarg_preload_offset 0
		.amdhsa_user_sgpr_private_segment_size 0
		.amdhsa_wavefront_size32 1
		.amdhsa_uses_dynamic_stack 0
		.amdhsa_enable_private_segment 0
		.amdhsa_system_sgpr_workgroup_id_x 1
		.amdhsa_system_sgpr_workgroup_id_y 0
		.amdhsa_system_sgpr_workgroup_id_z 0
		.amdhsa_system_sgpr_workgroup_info 0
		.amdhsa_system_vgpr_workitem_id 0
		.amdhsa_next_free_vgpr 1
		.amdhsa_next_free_sgpr 1
		.amdhsa_named_barrier_count 0
		.amdhsa_reserve_vcc 0
		.amdhsa_float_round_mode_32 0
		.amdhsa_float_round_mode_16_64 0
		.amdhsa_float_denorm_mode_32 3
		.amdhsa_float_denorm_mode_16_64 3
		.amdhsa_fp16_overflow 0
		.amdhsa_memory_ordered 1
		.amdhsa_forward_progress 1
		.amdhsa_inst_pref_size 0
		.amdhsa_round_robin_scheduling 0
		.amdhsa_exception_fp_ieee_invalid_op 0
		.amdhsa_exception_fp_denorm_src 0
		.amdhsa_exception_fp_ieee_div_zero 0
		.amdhsa_exception_fp_ieee_overflow 0
		.amdhsa_exception_fp_ieee_underflow 0
		.amdhsa_exception_fp_ieee_inexact 0
		.amdhsa_exception_int_div_zero 0
	.end_amdhsa_kernel
	.section	.text._ZN7rocprim17ROCPRIM_400000_NS6detail17trampoline_kernelINS0_14default_configENS1_27scan_by_key_config_selectorIxiEEZZNS1_16scan_by_key_implILNS1_25lookback_scan_determinismE0ELb1ES3_N6thrust23THRUST_200600_302600_NS6detail15normal_iteratorINS9_10device_ptrIxEEEESE_SE_iNS9_4plusIvEENS9_8equal_toIvEEiEE10hipError_tPvRmT2_T3_T4_T5_mT6_T7_P12ihipStream_tbENKUlT_T0_E_clISt17integral_constantIbLb1EESZ_EEDaSU_SV_EUlSU_E_NS1_11comp_targetILNS1_3genE8ELNS1_11target_archE1030ELNS1_3gpuE2ELNS1_3repE0EEENS1_30default_config_static_selectorELNS0_4arch9wavefront6targetE0EEEvT1_,"axG",@progbits,_ZN7rocprim17ROCPRIM_400000_NS6detail17trampoline_kernelINS0_14default_configENS1_27scan_by_key_config_selectorIxiEEZZNS1_16scan_by_key_implILNS1_25lookback_scan_determinismE0ELb1ES3_N6thrust23THRUST_200600_302600_NS6detail15normal_iteratorINS9_10device_ptrIxEEEESE_SE_iNS9_4plusIvEENS9_8equal_toIvEEiEE10hipError_tPvRmT2_T3_T4_T5_mT6_T7_P12ihipStream_tbENKUlT_T0_E_clISt17integral_constantIbLb1EESZ_EEDaSU_SV_EUlSU_E_NS1_11comp_targetILNS1_3genE8ELNS1_11target_archE1030ELNS1_3gpuE2ELNS1_3repE0EEENS1_30default_config_static_selectorELNS0_4arch9wavefront6targetE0EEEvT1_,comdat
.Lfunc_end1020:
	.size	_ZN7rocprim17ROCPRIM_400000_NS6detail17trampoline_kernelINS0_14default_configENS1_27scan_by_key_config_selectorIxiEEZZNS1_16scan_by_key_implILNS1_25lookback_scan_determinismE0ELb1ES3_N6thrust23THRUST_200600_302600_NS6detail15normal_iteratorINS9_10device_ptrIxEEEESE_SE_iNS9_4plusIvEENS9_8equal_toIvEEiEE10hipError_tPvRmT2_T3_T4_T5_mT6_T7_P12ihipStream_tbENKUlT_T0_E_clISt17integral_constantIbLb1EESZ_EEDaSU_SV_EUlSU_E_NS1_11comp_targetILNS1_3genE8ELNS1_11target_archE1030ELNS1_3gpuE2ELNS1_3repE0EEENS1_30default_config_static_selectorELNS0_4arch9wavefront6targetE0EEEvT1_, .Lfunc_end1020-_ZN7rocprim17ROCPRIM_400000_NS6detail17trampoline_kernelINS0_14default_configENS1_27scan_by_key_config_selectorIxiEEZZNS1_16scan_by_key_implILNS1_25lookback_scan_determinismE0ELb1ES3_N6thrust23THRUST_200600_302600_NS6detail15normal_iteratorINS9_10device_ptrIxEEEESE_SE_iNS9_4plusIvEENS9_8equal_toIvEEiEE10hipError_tPvRmT2_T3_T4_T5_mT6_T7_P12ihipStream_tbENKUlT_T0_E_clISt17integral_constantIbLb1EESZ_EEDaSU_SV_EUlSU_E_NS1_11comp_targetILNS1_3genE8ELNS1_11target_archE1030ELNS1_3gpuE2ELNS1_3repE0EEENS1_30default_config_static_selectorELNS0_4arch9wavefront6targetE0EEEvT1_
                                        ; -- End function
	.set _ZN7rocprim17ROCPRIM_400000_NS6detail17trampoline_kernelINS0_14default_configENS1_27scan_by_key_config_selectorIxiEEZZNS1_16scan_by_key_implILNS1_25lookback_scan_determinismE0ELb1ES3_N6thrust23THRUST_200600_302600_NS6detail15normal_iteratorINS9_10device_ptrIxEEEESE_SE_iNS9_4plusIvEENS9_8equal_toIvEEiEE10hipError_tPvRmT2_T3_T4_T5_mT6_T7_P12ihipStream_tbENKUlT_T0_E_clISt17integral_constantIbLb1EESZ_EEDaSU_SV_EUlSU_E_NS1_11comp_targetILNS1_3genE8ELNS1_11target_archE1030ELNS1_3gpuE2ELNS1_3repE0EEENS1_30default_config_static_selectorELNS0_4arch9wavefront6targetE0EEEvT1_.num_vgpr, 0
	.set _ZN7rocprim17ROCPRIM_400000_NS6detail17trampoline_kernelINS0_14default_configENS1_27scan_by_key_config_selectorIxiEEZZNS1_16scan_by_key_implILNS1_25lookback_scan_determinismE0ELb1ES3_N6thrust23THRUST_200600_302600_NS6detail15normal_iteratorINS9_10device_ptrIxEEEESE_SE_iNS9_4plusIvEENS9_8equal_toIvEEiEE10hipError_tPvRmT2_T3_T4_T5_mT6_T7_P12ihipStream_tbENKUlT_T0_E_clISt17integral_constantIbLb1EESZ_EEDaSU_SV_EUlSU_E_NS1_11comp_targetILNS1_3genE8ELNS1_11target_archE1030ELNS1_3gpuE2ELNS1_3repE0EEENS1_30default_config_static_selectorELNS0_4arch9wavefront6targetE0EEEvT1_.num_agpr, 0
	.set _ZN7rocprim17ROCPRIM_400000_NS6detail17trampoline_kernelINS0_14default_configENS1_27scan_by_key_config_selectorIxiEEZZNS1_16scan_by_key_implILNS1_25lookback_scan_determinismE0ELb1ES3_N6thrust23THRUST_200600_302600_NS6detail15normal_iteratorINS9_10device_ptrIxEEEESE_SE_iNS9_4plusIvEENS9_8equal_toIvEEiEE10hipError_tPvRmT2_T3_T4_T5_mT6_T7_P12ihipStream_tbENKUlT_T0_E_clISt17integral_constantIbLb1EESZ_EEDaSU_SV_EUlSU_E_NS1_11comp_targetILNS1_3genE8ELNS1_11target_archE1030ELNS1_3gpuE2ELNS1_3repE0EEENS1_30default_config_static_selectorELNS0_4arch9wavefront6targetE0EEEvT1_.numbered_sgpr, 0
	.set _ZN7rocprim17ROCPRIM_400000_NS6detail17trampoline_kernelINS0_14default_configENS1_27scan_by_key_config_selectorIxiEEZZNS1_16scan_by_key_implILNS1_25lookback_scan_determinismE0ELb1ES3_N6thrust23THRUST_200600_302600_NS6detail15normal_iteratorINS9_10device_ptrIxEEEESE_SE_iNS9_4plusIvEENS9_8equal_toIvEEiEE10hipError_tPvRmT2_T3_T4_T5_mT6_T7_P12ihipStream_tbENKUlT_T0_E_clISt17integral_constantIbLb1EESZ_EEDaSU_SV_EUlSU_E_NS1_11comp_targetILNS1_3genE8ELNS1_11target_archE1030ELNS1_3gpuE2ELNS1_3repE0EEENS1_30default_config_static_selectorELNS0_4arch9wavefront6targetE0EEEvT1_.num_named_barrier, 0
	.set _ZN7rocprim17ROCPRIM_400000_NS6detail17trampoline_kernelINS0_14default_configENS1_27scan_by_key_config_selectorIxiEEZZNS1_16scan_by_key_implILNS1_25lookback_scan_determinismE0ELb1ES3_N6thrust23THRUST_200600_302600_NS6detail15normal_iteratorINS9_10device_ptrIxEEEESE_SE_iNS9_4plusIvEENS9_8equal_toIvEEiEE10hipError_tPvRmT2_T3_T4_T5_mT6_T7_P12ihipStream_tbENKUlT_T0_E_clISt17integral_constantIbLb1EESZ_EEDaSU_SV_EUlSU_E_NS1_11comp_targetILNS1_3genE8ELNS1_11target_archE1030ELNS1_3gpuE2ELNS1_3repE0EEENS1_30default_config_static_selectorELNS0_4arch9wavefront6targetE0EEEvT1_.private_seg_size, 0
	.set _ZN7rocprim17ROCPRIM_400000_NS6detail17trampoline_kernelINS0_14default_configENS1_27scan_by_key_config_selectorIxiEEZZNS1_16scan_by_key_implILNS1_25lookback_scan_determinismE0ELb1ES3_N6thrust23THRUST_200600_302600_NS6detail15normal_iteratorINS9_10device_ptrIxEEEESE_SE_iNS9_4plusIvEENS9_8equal_toIvEEiEE10hipError_tPvRmT2_T3_T4_T5_mT6_T7_P12ihipStream_tbENKUlT_T0_E_clISt17integral_constantIbLb1EESZ_EEDaSU_SV_EUlSU_E_NS1_11comp_targetILNS1_3genE8ELNS1_11target_archE1030ELNS1_3gpuE2ELNS1_3repE0EEENS1_30default_config_static_selectorELNS0_4arch9wavefront6targetE0EEEvT1_.uses_vcc, 0
	.set _ZN7rocprim17ROCPRIM_400000_NS6detail17trampoline_kernelINS0_14default_configENS1_27scan_by_key_config_selectorIxiEEZZNS1_16scan_by_key_implILNS1_25lookback_scan_determinismE0ELb1ES3_N6thrust23THRUST_200600_302600_NS6detail15normal_iteratorINS9_10device_ptrIxEEEESE_SE_iNS9_4plusIvEENS9_8equal_toIvEEiEE10hipError_tPvRmT2_T3_T4_T5_mT6_T7_P12ihipStream_tbENKUlT_T0_E_clISt17integral_constantIbLb1EESZ_EEDaSU_SV_EUlSU_E_NS1_11comp_targetILNS1_3genE8ELNS1_11target_archE1030ELNS1_3gpuE2ELNS1_3repE0EEENS1_30default_config_static_selectorELNS0_4arch9wavefront6targetE0EEEvT1_.uses_flat_scratch, 0
	.set _ZN7rocprim17ROCPRIM_400000_NS6detail17trampoline_kernelINS0_14default_configENS1_27scan_by_key_config_selectorIxiEEZZNS1_16scan_by_key_implILNS1_25lookback_scan_determinismE0ELb1ES3_N6thrust23THRUST_200600_302600_NS6detail15normal_iteratorINS9_10device_ptrIxEEEESE_SE_iNS9_4plusIvEENS9_8equal_toIvEEiEE10hipError_tPvRmT2_T3_T4_T5_mT6_T7_P12ihipStream_tbENKUlT_T0_E_clISt17integral_constantIbLb1EESZ_EEDaSU_SV_EUlSU_E_NS1_11comp_targetILNS1_3genE8ELNS1_11target_archE1030ELNS1_3gpuE2ELNS1_3repE0EEENS1_30default_config_static_selectorELNS0_4arch9wavefront6targetE0EEEvT1_.has_dyn_sized_stack, 0
	.set _ZN7rocprim17ROCPRIM_400000_NS6detail17trampoline_kernelINS0_14default_configENS1_27scan_by_key_config_selectorIxiEEZZNS1_16scan_by_key_implILNS1_25lookback_scan_determinismE0ELb1ES3_N6thrust23THRUST_200600_302600_NS6detail15normal_iteratorINS9_10device_ptrIxEEEESE_SE_iNS9_4plusIvEENS9_8equal_toIvEEiEE10hipError_tPvRmT2_T3_T4_T5_mT6_T7_P12ihipStream_tbENKUlT_T0_E_clISt17integral_constantIbLb1EESZ_EEDaSU_SV_EUlSU_E_NS1_11comp_targetILNS1_3genE8ELNS1_11target_archE1030ELNS1_3gpuE2ELNS1_3repE0EEENS1_30default_config_static_selectorELNS0_4arch9wavefront6targetE0EEEvT1_.has_recursion, 0
	.set _ZN7rocprim17ROCPRIM_400000_NS6detail17trampoline_kernelINS0_14default_configENS1_27scan_by_key_config_selectorIxiEEZZNS1_16scan_by_key_implILNS1_25lookback_scan_determinismE0ELb1ES3_N6thrust23THRUST_200600_302600_NS6detail15normal_iteratorINS9_10device_ptrIxEEEESE_SE_iNS9_4plusIvEENS9_8equal_toIvEEiEE10hipError_tPvRmT2_T3_T4_T5_mT6_T7_P12ihipStream_tbENKUlT_T0_E_clISt17integral_constantIbLb1EESZ_EEDaSU_SV_EUlSU_E_NS1_11comp_targetILNS1_3genE8ELNS1_11target_archE1030ELNS1_3gpuE2ELNS1_3repE0EEENS1_30default_config_static_selectorELNS0_4arch9wavefront6targetE0EEEvT1_.has_indirect_call, 0
	.section	.AMDGPU.csdata,"",@progbits
; Kernel info:
; codeLenInByte = 0
; TotalNumSgprs: 0
; NumVgprs: 0
; ScratchSize: 0
; MemoryBound: 0
; FloatMode: 240
; IeeeMode: 1
; LDSByteSize: 0 bytes/workgroup (compile time only)
; SGPRBlocks: 0
; VGPRBlocks: 0
; NumSGPRsForWavesPerEU: 1
; NumVGPRsForWavesPerEU: 1
; NamedBarCnt: 0
; Occupancy: 16
; WaveLimiterHint : 0
; COMPUTE_PGM_RSRC2:SCRATCH_EN: 0
; COMPUTE_PGM_RSRC2:USER_SGPR: 2
; COMPUTE_PGM_RSRC2:TRAP_HANDLER: 0
; COMPUTE_PGM_RSRC2:TGID_X_EN: 1
; COMPUTE_PGM_RSRC2:TGID_Y_EN: 0
; COMPUTE_PGM_RSRC2:TGID_Z_EN: 0
; COMPUTE_PGM_RSRC2:TIDIG_COMP_CNT: 0
	.section	.text._ZN7rocprim17ROCPRIM_400000_NS6detail30init_device_scan_by_key_kernelINS1_19lookback_scan_stateINS0_5tupleIJibEEELb1ELb1EEEN6thrust23THRUST_200600_302600_NS6detail15normal_iteratorINS8_10device_ptrIxEEEEjNS1_16block_id_wrapperIjLb0EEEEEvT_jjPNSG_10value_typeET0_PNSt15iterator_traitsISJ_E10value_typeEmT1_T2_,"axG",@progbits,_ZN7rocprim17ROCPRIM_400000_NS6detail30init_device_scan_by_key_kernelINS1_19lookback_scan_stateINS0_5tupleIJibEEELb1ELb1EEEN6thrust23THRUST_200600_302600_NS6detail15normal_iteratorINS8_10device_ptrIxEEEEjNS1_16block_id_wrapperIjLb0EEEEEvT_jjPNSG_10value_typeET0_PNSt15iterator_traitsISJ_E10value_typeEmT1_T2_,comdat
	.protected	_ZN7rocprim17ROCPRIM_400000_NS6detail30init_device_scan_by_key_kernelINS1_19lookback_scan_stateINS0_5tupleIJibEEELb1ELb1EEEN6thrust23THRUST_200600_302600_NS6detail15normal_iteratorINS8_10device_ptrIxEEEEjNS1_16block_id_wrapperIjLb0EEEEEvT_jjPNSG_10value_typeET0_PNSt15iterator_traitsISJ_E10value_typeEmT1_T2_ ; -- Begin function _ZN7rocprim17ROCPRIM_400000_NS6detail30init_device_scan_by_key_kernelINS1_19lookback_scan_stateINS0_5tupleIJibEEELb1ELb1EEEN6thrust23THRUST_200600_302600_NS6detail15normal_iteratorINS8_10device_ptrIxEEEEjNS1_16block_id_wrapperIjLb0EEEEEvT_jjPNSG_10value_typeET0_PNSt15iterator_traitsISJ_E10value_typeEmT1_T2_
	.globl	_ZN7rocprim17ROCPRIM_400000_NS6detail30init_device_scan_by_key_kernelINS1_19lookback_scan_stateINS0_5tupleIJibEEELb1ELb1EEEN6thrust23THRUST_200600_302600_NS6detail15normal_iteratorINS8_10device_ptrIxEEEEjNS1_16block_id_wrapperIjLb0EEEEEvT_jjPNSG_10value_typeET0_PNSt15iterator_traitsISJ_E10value_typeEmT1_T2_
	.p2align	8
	.type	_ZN7rocprim17ROCPRIM_400000_NS6detail30init_device_scan_by_key_kernelINS1_19lookback_scan_stateINS0_5tupleIJibEEELb1ELb1EEEN6thrust23THRUST_200600_302600_NS6detail15normal_iteratorINS8_10device_ptrIxEEEEjNS1_16block_id_wrapperIjLb0EEEEEvT_jjPNSG_10value_typeET0_PNSt15iterator_traitsISJ_E10value_typeEmT1_T2_,@function
_ZN7rocprim17ROCPRIM_400000_NS6detail30init_device_scan_by_key_kernelINS1_19lookback_scan_stateINS0_5tupleIJibEEELb1ELb1EEEN6thrust23THRUST_200600_302600_NS6detail15normal_iteratorINS8_10device_ptrIxEEEEjNS1_16block_id_wrapperIjLb0EEEEEvT_jjPNSG_10value_typeET0_PNSt15iterator_traitsISJ_E10value_typeEmT1_T2_: ; @_ZN7rocprim17ROCPRIM_400000_NS6detail30init_device_scan_by_key_kernelINS1_19lookback_scan_stateINS0_5tupleIJibEEELb1ELb1EEEN6thrust23THRUST_200600_302600_NS6detail15normal_iteratorINS8_10device_ptrIxEEEEjNS1_16block_id_wrapperIjLb0EEEEEvT_jjPNSG_10value_typeET0_PNSt15iterator_traitsISJ_E10value_typeEmT1_T2_
; %bb.0:
	s_clause 0x2
	s_load_b32 s2, s[0:1], 0x44
	s_load_b32 s14, s[0:1], 0x38
	s_load_b256 s[4:11], s[0:1], 0x0
	s_bfe_u32 s3, ttmp6, 0x4000c
	s_and_b32 s12, ttmp6, 15
	s_add_co_i32 s3, s3, 1
	s_getreg_b32 s13, hwreg(HW_REG_IB_STS2, 6, 4)
	s_mul_i32 s3, ttmp9, s3
	s_delay_alu instid0(SALU_CYCLE_1)
	s_add_co_i32 s12, s12, s3
	s_wait_kmcnt 0x0
	s_and_b32 s15, s2, 0xffff
	s_cmp_eq_u32 s13, 0
	s_cselect_b32 s2, ttmp9, s12
	s_cmp_eq_u64 s[8:9], 0
	v_mad_u32 v4, s2, s15, v0
	s_cbranch_scc1 .LBB1021_10
; %bb.1:
	s_cmp_lt_u32 s7, s6
	s_mov_b32 s16, exec_lo
	s_cselect_b32 s2, s7, 0
	s_delay_alu instid0(VALU_DEP_1) | instid1(SALU_CYCLE_1)
	v_cmpx_eq_u32_e64 s2, v4
	s_cbranch_execz .LBB1021_9
; %bb.2:
	s_add_co_i32 s2, s7, 32
	s_mov_b32 s3, 0
	v_mov_b32_e32 v7, 0
	s_lshl_b64 s[12:13], s[2:3], 4
	s_mov_b32 s2, exec_lo
	s_add_nc_u64 s[12:13], s[4:5], s[12:13]
	s_delay_alu instid0(SALU_CYCLE_1) | instskip(SKIP_2) | instid1(VALU_DEP_1)
	v_mov_b64_e32 v[0:1], s[12:13]
	;;#ASMSTART
	global_load_b128 v[0:3], v[0:1] off scope:SCOPE_DEV	
s_wait_loadcnt 0x0
	;;#ASMEND
	v_and_b32_e32 v6, 0xff, v2
	v_cmpx_eq_u64_e32 0, v[6:7]
	s_cbranch_execz .LBB1021_8
; %bb.3:
	v_mov_b64_e32 v[8:9], s[12:13]
	s_mov_b32 s7, 1
.LBB1021_4:                             ; =>This Loop Header: Depth=1
                                        ;     Child Loop BB1021_5 Depth 2
	s_delay_alu instid0(SALU_CYCLE_1)
	s_mov_b32 s12, s7
.LBB1021_5:                             ;   Parent Loop BB1021_4 Depth=1
                                        ; =>  This Inner Loop Header: Depth=2
	s_delay_alu instid0(SALU_CYCLE_1)
	s_add_co_i32 s12, s12, -1
	s_sleep 1
	s_cmp_eq_u32 s12, 0
	s_cbranch_scc0 .LBB1021_5
; %bb.6:                                ;   in Loop: Header=BB1021_4 Depth=1
	;;#ASMSTART
	global_load_b128 v[0:3], v[8:9] off scope:SCOPE_DEV	
s_wait_loadcnt 0x0
	;;#ASMEND
	v_and_b32_e32 v6, 0xff, v2
	s_cmp_lt_u32 s7, 32
	s_cselect_b32 s12, -1, 0
	s_delay_alu instid0(VALU_DEP_1) | instskip(SKIP_3) | instid1(SALU_CYCLE_1)
	v_cmp_ne_u64_e32 vcc_lo, 0, v[6:7]
	s_cmp_lg_u32 s12, 0
	s_add_co_ci_u32 s7, s7, 0
	s_or_b32 s3, vcc_lo, s3
	s_and_not1_b32 exec_lo, exec_lo, s3
	s_cbranch_execnz .LBB1021_4
; %bb.7:
	s_or_b32 exec_lo, exec_lo, s3
.LBB1021_8:
	s_delay_alu instid0(SALU_CYCLE_1)
	s_or_b32 exec_lo, exec_lo, s2
	v_mov_b32_e32 v2, 0
	s_clause 0x1
	global_store_b32 v2, v0, s[8:9]
	global_store_b8 v2, v1, s[8:9] offset:4
.LBB1021_9:
	s_wait_xcnt 0x0
	s_or_b32 exec_lo, exec_lo, s16
.LBB1021_10:
	s_delay_alu instid0(SALU_CYCLE_1) | instskip(NEXT) | instid1(VALU_DEP_1)
	s_mov_b32 s2, exec_lo
	v_cmpx_gt_u32_e64 s6, v4
	s_cbranch_execz .LBB1021_12
; %bb.11:
	v_dual_mov_b32 v0, 0 :: v_dual_add_nc_u32 v5, 32, v4
	s_delay_alu instid0(VALU_DEP_1)
	v_dual_mov_b32 v1, v0 :: v_dual_mov_b32 v2, v0
	v_mov_b32_e32 v3, v0
	global_store_b128 v5, v[0:3], s[4:5] scale_offset
.LBB1021_12:
	s_wait_xcnt 0x0
	s_or_b32 exec_lo, exec_lo, s2
	v_mov_b32_e32 v5, 0
	s_mov_b32 s2, exec_lo
	v_cmpx_gt_u32_e32 32, v4
	s_cbranch_execz .LBB1021_14
; %bb.13:
	s_delay_alu instid0(VALU_DEP_2)
	v_lshl_add_u64 v[6:7], v[4:5], 4, s[4:5]
	v_dual_mov_b32 v2, 0xff :: v_dual_mov_b32 v1, v5
	v_dual_mov_b32 v0, v5 :: v_dual_mov_b32 v3, v5
	global_store_b128 v[6:7], v[0:3], off
.LBB1021_14:
	s_wait_xcnt 0x0
	s_or_b32 exec_lo, exec_lo, s2
	s_load_b64 s[2:3], s[0:1], 0x28
	s_mov_b32 s4, exec_lo
	s_wait_kmcnt 0x0
	v_cmpx_gt_u64_e64 s[2:3], v[4:5]
	s_cbranch_execz .LBB1021_17
; %bb.15:
	s_clause 0x1
	s_load_b32 s4, s[0:1], 0x30
	s_load_b64 s[6:7], s[0:1], 0x20
	s_mov_b32 s5, 0
	s_wait_xcnt 0x0
	s_mul_i32 s0, s14, s15
	s_mov_b32 s9, s5
	s_mov_b32 s1, s5
	s_wait_kmcnt 0x0
	v_mul_u64_e32 v[0:1], s[4:5], v[4:5]
	s_add_co_i32 s8, s4, -1
	v_lshl_add_u64 v[2:3], v[4:5], 3, s[6:7]
	s_lshl_b64 s[8:9], s[8:9], 3
	s_delay_alu instid0(SALU_CYCLE_1) | instskip(SKIP_1) | instid1(SALU_CYCLE_1)
	s_add_nc_u64 s[8:9], s[10:11], s[8:9]
	s_mul_u64 s[10:11], s[4:5], s[0:1]
	s_lshl_b64 s[6:7], s[10:11], 3
	s_delay_alu instid0(VALU_DEP_2)
	v_lshl_add_u64 v[0:1], v[0:1], 3, s[8:9]
	s_lshl_b64 s[8:9], s[0:1], 3
.LBB1021_16:                            ; =>This Inner Loop Header: Depth=1
	global_load_b64 v[6:7], v[0:1], off
	v_add_nc_u64_e32 v[4:5], s[0:1], v[4:5]
	s_wait_xcnt 0x0
	v_add_nc_u64_e32 v[0:1], s[6:7], v[0:1]
	s_delay_alu instid0(VALU_DEP_2)
	v_cmp_le_u64_e32 vcc_lo, s[2:3], v[4:5]
	s_or_b32 s5, vcc_lo, s5
	s_wait_loadcnt 0x0
	global_store_b64 v[2:3], v[6:7], off
	s_wait_xcnt 0x0
	v_add_nc_u64_e32 v[2:3], s[8:9], v[2:3]
	s_and_not1_b32 exec_lo, exec_lo, s5
	s_cbranch_execnz .LBB1021_16
.LBB1021_17:
	s_endpgm
	.section	.rodata,"a",@progbits
	.p2align	6, 0x0
	.amdhsa_kernel _ZN7rocprim17ROCPRIM_400000_NS6detail30init_device_scan_by_key_kernelINS1_19lookback_scan_stateINS0_5tupleIJibEEELb1ELb1EEEN6thrust23THRUST_200600_302600_NS6detail15normal_iteratorINS8_10device_ptrIxEEEEjNS1_16block_id_wrapperIjLb0EEEEEvT_jjPNSG_10value_typeET0_PNSt15iterator_traitsISJ_E10value_typeEmT1_T2_
		.amdhsa_group_segment_fixed_size 0
		.amdhsa_private_segment_fixed_size 0
		.amdhsa_kernarg_size 312
		.amdhsa_user_sgpr_count 2
		.amdhsa_user_sgpr_dispatch_ptr 0
		.amdhsa_user_sgpr_queue_ptr 0
		.amdhsa_user_sgpr_kernarg_segment_ptr 1
		.amdhsa_user_sgpr_dispatch_id 0
		.amdhsa_user_sgpr_kernarg_preload_length 0
		.amdhsa_user_sgpr_kernarg_preload_offset 0
		.amdhsa_user_sgpr_private_segment_size 0
		.amdhsa_wavefront_size32 1
		.amdhsa_uses_dynamic_stack 0
		.amdhsa_enable_private_segment 0
		.amdhsa_system_sgpr_workgroup_id_x 1
		.amdhsa_system_sgpr_workgroup_id_y 0
		.amdhsa_system_sgpr_workgroup_id_z 0
		.amdhsa_system_sgpr_workgroup_info 0
		.amdhsa_system_vgpr_workitem_id 0
		.amdhsa_next_free_vgpr 10
		.amdhsa_next_free_sgpr 17
		.amdhsa_named_barrier_count 0
		.amdhsa_reserve_vcc 1
		.amdhsa_float_round_mode_32 0
		.amdhsa_float_round_mode_16_64 0
		.amdhsa_float_denorm_mode_32 3
		.amdhsa_float_denorm_mode_16_64 3
		.amdhsa_fp16_overflow 0
		.amdhsa_memory_ordered 1
		.amdhsa_forward_progress 1
		.amdhsa_inst_pref_size 5
		.amdhsa_round_robin_scheduling 0
		.amdhsa_exception_fp_ieee_invalid_op 0
		.amdhsa_exception_fp_denorm_src 0
		.amdhsa_exception_fp_ieee_div_zero 0
		.amdhsa_exception_fp_ieee_overflow 0
		.amdhsa_exception_fp_ieee_underflow 0
		.amdhsa_exception_fp_ieee_inexact 0
		.amdhsa_exception_int_div_zero 0
	.end_amdhsa_kernel
	.section	.text._ZN7rocprim17ROCPRIM_400000_NS6detail30init_device_scan_by_key_kernelINS1_19lookback_scan_stateINS0_5tupleIJibEEELb1ELb1EEEN6thrust23THRUST_200600_302600_NS6detail15normal_iteratorINS8_10device_ptrIxEEEEjNS1_16block_id_wrapperIjLb0EEEEEvT_jjPNSG_10value_typeET0_PNSt15iterator_traitsISJ_E10value_typeEmT1_T2_,"axG",@progbits,_ZN7rocprim17ROCPRIM_400000_NS6detail30init_device_scan_by_key_kernelINS1_19lookback_scan_stateINS0_5tupleIJibEEELb1ELb1EEEN6thrust23THRUST_200600_302600_NS6detail15normal_iteratorINS8_10device_ptrIxEEEEjNS1_16block_id_wrapperIjLb0EEEEEvT_jjPNSG_10value_typeET0_PNSt15iterator_traitsISJ_E10value_typeEmT1_T2_,comdat
.Lfunc_end1021:
	.size	_ZN7rocprim17ROCPRIM_400000_NS6detail30init_device_scan_by_key_kernelINS1_19lookback_scan_stateINS0_5tupleIJibEEELb1ELb1EEEN6thrust23THRUST_200600_302600_NS6detail15normal_iteratorINS8_10device_ptrIxEEEEjNS1_16block_id_wrapperIjLb0EEEEEvT_jjPNSG_10value_typeET0_PNSt15iterator_traitsISJ_E10value_typeEmT1_T2_, .Lfunc_end1021-_ZN7rocprim17ROCPRIM_400000_NS6detail30init_device_scan_by_key_kernelINS1_19lookback_scan_stateINS0_5tupleIJibEEELb1ELb1EEEN6thrust23THRUST_200600_302600_NS6detail15normal_iteratorINS8_10device_ptrIxEEEEjNS1_16block_id_wrapperIjLb0EEEEEvT_jjPNSG_10value_typeET0_PNSt15iterator_traitsISJ_E10value_typeEmT1_T2_
                                        ; -- End function
	.set _ZN7rocprim17ROCPRIM_400000_NS6detail30init_device_scan_by_key_kernelINS1_19lookback_scan_stateINS0_5tupleIJibEEELb1ELb1EEEN6thrust23THRUST_200600_302600_NS6detail15normal_iteratorINS8_10device_ptrIxEEEEjNS1_16block_id_wrapperIjLb0EEEEEvT_jjPNSG_10value_typeET0_PNSt15iterator_traitsISJ_E10value_typeEmT1_T2_.num_vgpr, 10
	.set _ZN7rocprim17ROCPRIM_400000_NS6detail30init_device_scan_by_key_kernelINS1_19lookback_scan_stateINS0_5tupleIJibEEELb1ELb1EEEN6thrust23THRUST_200600_302600_NS6detail15normal_iteratorINS8_10device_ptrIxEEEEjNS1_16block_id_wrapperIjLb0EEEEEvT_jjPNSG_10value_typeET0_PNSt15iterator_traitsISJ_E10value_typeEmT1_T2_.num_agpr, 0
	.set _ZN7rocprim17ROCPRIM_400000_NS6detail30init_device_scan_by_key_kernelINS1_19lookback_scan_stateINS0_5tupleIJibEEELb1ELb1EEEN6thrust23THRUST_200600_302600_NS6detail15normal_iteratorINS8_10device_ptrIxEEEEjNS1_16block_id_wrapperIjLb0EEEEEvT_jjPNSG_10value_typeET0_PNSt15iterator_traitsISJ_E10value_typeEmT1_T2_.numbered_sgpr, 17
	.set _ZN7rocprim17ROCPRIM_400000_NS6detail30init_device_scan_by_key_kernelINS1_19lookback_scan_stateINS0_5tupleIJibEEELb1ELb1EEEN6thrust23THRUST_200600_302600_NS6detail15normal_iteratorINS8_10device_ptrIxEEEEjNS1_16block_id_wrapperIjLb0EEEEEvT_jjPNSG_10value_typeET0_PNSt15iterator_traitsISJ_E10value_typeEmT1_T2_.num_named_barrier, 0
	.set _ZN7rocprim17ROCPRIM_400000_NS6detail30init_device_scan_by_key_kernelINS1_19lookback_scan_stateINS0_5tupleIJibEEELb1ELb1EEEN6thrust23THRUST_200600_302600_NS6detail15normal_iteratorINS8_10device_ptrIxEEEEjNS1_16block_id_wrapperIjLb0EEEEEvT_jjPNSG_10value_typeET0_PNSt15iterator_traitsISJ_E10value_typeEmT1_T2_.private_seg_size, 0
	.set _ZN7rocprim17ROCPRIM_400000_NS6detail30init_device_scan_by_key_kernelINS1_19lookback_scan_stateINS0_5tupleIJibEEELb1ELb1EEEN6thrust23THRUST_200600_302600_NS6detail15normal_iteratorINS8_10device_ptrIxEEEEjNS1_16block_id_wrapperIjLb0EEEEEvT_jjPNSG_10value_typeET0_PNSt15iterator_traitsISJ_E10value_typeEmT1_T2_.uses_vcc, 1
	.set _ZN7rocprim17ROCPRIM_400000_NS6detail30init_device_scan_by_key_kernelINS1_19lookback_scan_stateINS0_5tupleIJibEEELb1ELb1EEEN6thrust23THRUST_200600_302600_NS6detail15normal_iteratorINS8_10device_ptrIxEEEEjNS1_16block_id_wrapperIjLb0EEEEEvT_jjPNSG_10value_typeET0_PNSt15iterator_traitsISJ_E10value_typeEmT1_T2_.uses_flat_scratch, 0
	.set _ZN7rocprim17ROCPRIM_400000_NS6detail30init_device_scan_by_key_kernelINS1_19lookback_scan_stateINS0_5tupleIJibEEELb1ELb1EEEN6thrust23THRUST_200600_302600_NS6detail15normal_iteratorINS8_10device_ptrIxEEEEjNS1_16block_id_wrapperIjLb0EEEEEvT_jjPNSG_10value_typeET0_PNSt15iterator_traitsISJ_E10value_typeEmT1_T2_.has_dyn_sized_stack, 0
	.set _ZN7rocprim17ROCPRIM_400000_NS6detail30init_device_scan_by_key_kernelINS1_19lookback_scan_stateINS0_5tupleIJibEEELb1ELb1EEEN6thrust23THRUST_200600_302600_NS6detail15normal_iteratorINS8_10device_ptrIxEEEEjNS1_16block_id_wrapperIjLb0EEEEEvT_jjPNSG_10value_typeET0_PNSt15iterator_traitsISJ_E10value_typeEmT1_T2_.has_recursion, 0
	.set _ZN7rocprim17ROCPRIM_400000_NS6detail30init_device_scan_by_key_kernelINS1_19lookback_scan_stateINS0_5tupleIJibEEELb1ELb1EEEN6thrust23THRUST_200600_302600_NS6detail15normal_iteratorINS8_10device_ptrIxEEEEjNS1_16block_id_wrapperIjLb0EEEEEvT_jjPNSG_10value_typeET0_PNSt15iterator_traitsISJ_E10value_typeEmT1_T2_.has_indirect_call, 0
	.section	.AMDGPU.csdata,"",@progbits
; Kernel info:
; codeLenInByte = 632
; TotalNumSgprs: 19
; NumVgprs: 10
; ScratchSize: 0
; MemoryBound: 0
; FloatMode: 240
; IeeeMode: 1
; LDSByteSize: 0 bytes/workgroup (compile time only)
; SGPRBlocks: 0
; VGPRBlocks: 0
; NumSGPRsForWavesPerEU: 19
; NumVGPRsForWavesPerEU: 10
; NamedBarCnt: 0
; Occupancy: 16
; WaveLimiterHint : 0
; COMPUTE_PGM_RSRC2:SCRATCH_EN: 0
; COMPUTE_PGM_RSRC2:USER_SGPR: 2
; COMPUTE_PGM_RSRC2:TRAP_HANDLER: 0
; COMPUTE_PGM_RSRC2:TGID_X_EN: 1
; COMPUTE_PGM_RSRC2:TGID_Y_EN: 0
; COMPUTE_PGM_RSRC2:TGID_Z_EN: 0
; COMPUTE_PGM_RSRC2:TIDIG_COMP_CNT: 0
	.section	.text._ZN7rocprim17ROCPRIM_400000_NS6detail17trampoline_kernelINS0_14default_configENS1_27scan_by_key_config_selectorIxiEEZZNS1_16scan_by_key_implILNS1_25lookback_scan_determinismE0ELb1ES3_N6thrust23THRUST_200600_302600_NS6detail15normal_iteratorINS9_10device_ptrIxEEEESE_SE_iNS9_4plusIvEENS9_8equal_toIvEEiEE10hipError_tPvRmT2_T3_T4_T5_mT6_T7_P12ihipStream_tbENKUlT_T0_E_clISt17integral_constantIbLb1EESY_IbLb0EEEEDaSU_SV_EUlSU_E_NS1_11comp_targetILNS1_3genE0ELNS1_11target_archE4294967295ELNS1_3gpuE0ELNS1_3repE0EEENS1_30default_config_static_selectorELNS0_4arch9wavefront6targetE0EEEvT1_,"axG",@progbits,_ZN7rocprim17ROCPRIM_400000_NS6detail17trampoline_kernelINS0_14default_configENS1_27scan_by_key_config_selectorIxiEEZZNS1_16scan_by_key_implILNS1_25lookback_scan_determinismE0ELb1ES3_N6thrust23THRUST_200600_302600_NS6detail15normal_iteratorINS9_10device_ptrIxEEEESE_SE_iNS9_4plusIvEENS9_8equal_toIvEEiEE10hipError_tPvRmT2_T3_T4_T5_mT6_T7_P12ihipStream_tbENKUlT_T0_E_clISt17integral_constantIbLb1EESY_IbLb0EEEEDaSU_SV_EUlSU_E_NS1_11comp_targetILNS1_3genE0ELNS1_11target_archE4294967295ELNS1_3gpuE0ELNS1_3repE0EEENS1_30default_config_static_selectorELNS0_4arch9wavefront6targetE0EEEvT1_,comdat
	.protected	_ZN7rocprim17ROCPRIM_400000_NS6detail17trampoline_kernelINS0_14default_configENS1_27scan_by_key_config_selectorIxiEEZZNS1_16scan_by_key_implILNS1_25lookback_scan_determinismE0ELb1ES3_N6thrust23THRUST_200600_302600_NS6detail15normal_iteratorINS9_10device_ptrIxEEEESE_SE_iNS9_4plusIvEENS9_8equal_toIvEEiEE10hipError_tPvRmT2_T3_T4_T5_mT6_T7_P12ihipStream_tbENKUlT_T0_E_clISt17integral_constantIbLb1EESY_IbLb0EEEEDaSU_SV_EUlSU_E_NS1_11comp_targetILNS1_3genE0ELNS1_11target_archE4294967295ELNS1_3gpuE0ELNS1_3repE0EEENS1_30default_config_static_selectorELNS0_4arch9wavefront6targetE0EEEvT1_ ; -- Begin function _ZN7rocprim17ROCPRIM_400000_NS6detail17trampoline_kernelINS0_14default_configENS1_27scan_by_key_config_selectorIxiEEZZNS1_16scan_by_key_implILNS1_25lookback_scan_determinismE0ELb1ES3_N6thrust23THRUST_200600_302600_NS6detail15normal_iteratorINS9_10device_ptrIxEEEESE_SE_iNS9_4plusIvEENS9_8equal_toIvEEiEE10hipError_tPvRmT2_T3_T4_T5_mT6_T7_P12ihipStream_tbENKUlT_T0_E_clISt17integral_constantIbLb1EESY_IbLb0EEEEDaSU_SV_EUlSU_E_NS1_11comp_targetILNS1_3genE0ELNS1_11target_archE4294967295ELNS1_3gpuE0ELNS1_3repE0EEENS1_30default_config_static_selectorELNS0_4arch9wavefront6targetE0EEEvT1_
	.globl	_ZN7rocprim17ROCPRIM_400000_NS6detail17trampoline_kernelINS0_14default_configENS1_27scan_by_key_config_selectorIxiEEZZNS1_16scan_by_key_implILNS1_25lookback_scan_determinismE0ELb1ES3_N6thrust23THRUST_200600_302600_NS6detail15normal_iteratorINS9_10device_ptrIxEEEESE_SE_iNS9_4plusIvEENS9_8equal_toIvEEiEE10hipError_tPvRmT2_T3_T4_T5_mT6_T7_P12ihipStream_tbENKUlT_T0_E_clISt17integral_constantIbLb1EESY_IbLb0EEEEDaSU_SV_EUlSU_E_NS1_11comp_targetILNS1_3genE0ELNS1_11target_archE4294967295ELNS1_3gpuE0ELNS1_3repE0EEENS1_30default_config_static_selectorELNS0_4arch9wavefront6targetE0EEEvT1_
	.p2align	8
	.type	_ZN7rocprim17ROCPRIM_400000_NS6detail17trampoline_kernelINS0_14default_configENS1_27scan_by_key_config_selectorIxiEEZZNS1_16scan_by_key_implILNS1_25lookback_scan_determinismE0ELb1ES3_N6thrust23THRUST_200600_302600_NS6detail15normal_iteratorINS9_10device_ptrIxEEEESE_SE_iNS9_4plusIvEENS9_8equal_toIvEEiEE10hipError_tPvRmT2_T3_T4_T5_mT6_T7_P12ihipStream_tbENKUlT_T0_E_clISt17integral_constantIbLb1EESY_IbLb0EEEEDaSU_SV_EUlSU_E_NS1_11comp_targetILNS1_3genE0ELNS1_11target_archE4294967295ELNS1_3gpuE0ELNS1_3repE0EEENS1_30default_config_static_selectorELNS0_4arch9wavefront6targetE0EEEvT1_,@function
_ZN7rocprim17ROCPRIM_400000_NS6detail17trampoline_kernelINS0_14default_configENS1_27scan_by_key_config_selectorIxiEEZZNS1_16scan_by_key_implILNS1_25lookback_scan_determinismE0ELb1ES3_N6thrust23THRUST_200600_302600_NS6detail15normal_iteratorINS9_10device_ptrIxEEEESE_SE_iNS9_4plusIvEENS9_8equal_toIvEEiEE10hipError_tPvRmT2_T3_T4_T5_mT6_T7_P12ihipStream_tbENKUlT_T0_E_clISt17integral_constantIbLb1EESY_IbLb0EEEEDaSU_SV_EUlSU_E_NS1_11comp_targetILNS1_3genE0ELNS1_11target_archE4294967295ELNS1_3gpuE0ELNS1_3repE0EEENS1_30default_config_static_selectorELNS0_4arch9wavefront6targetE0EEEvT1_: ; @_ZN7rocprim17ROCPRIM_400000_NS6detail17trampoline_kernelINS0_14default_configENS1_27scan_by_key_config_selectorIxiEEZZNS1_16scan_by_key_implILNS1_25lookback_scan_determinismE0ELb1ES3_N6thrust23THRUST_200600_302600_NS6detail15normal_iteratorINS9_10device_ptrIxEEEESE_SE_iNS9_4plusIvEENS9_8equal_toIvEEiEE10hipError_tPvRmT2_T3_T4_T5_mT6_T7_P12ihipStream_tbENKUlT_T0_E_clISt17integral_constantIbLb1EESY_IbLb0EEEEDaSU_SV_EUlSU_E_NS1_11comp_targetILNS1_3genE0ELNS1_11target_archE4294967295ELNS1_3gpuE0ELNS1_3repE0EEENS1_30default_config_static_selectorELNS0_4arch9wavefront6targetE0EEEvT1_
; %bb.0:
	s_endpgm
	.section	.rodata,"a",@progbits
	.p2align	6, 0x0
	.amdhsa_kernel _ZN7rocprim17ROCPRIM_400000_NS6detail17trampoline_kernelINS0_14default_configENS1_27scan_by_key_config_selectorIxiEEZZNS1_16scan_by_key_implILNS1_25lookback_scan_determinismE0ELb1ES3_N6thrust23THRUST_200600_302600_NS6detail15normal_iteratorINS9_10device_ptrIxEEEESE_SE_iNS9_4plusIvEENS9_8equal_toIvEEiEE10hipError_tPvRmT2_T3_T4_T5_mT6_T7_P12ihipStream_tbENKUlT_T0_E_clISt17integral_constantIbLb1EESY_IbLb0EEEEDaSU_SV_EUlSU_E_NS1_11comp_targetILNS1_3genE0ELNS1_11target_archE4294967295ELNS1_3gpuE0ELNS1_3repE0EEENS1_30default_config_static_selectorELNS0_4arch9wavefront6targetE0EEEvT1_
		.amdhsa_group_segment_fixed_size 0
		.amdhsa_private_segment_fixed_size 0
		.amdhsa_kernarg_size 112
		.amdhsa_user_sgpr_count 2
		.amdhsa_user_sgpr_dispatch_ptr 0
		.amdhsa_user_sgpr_queue_ptr 0
		.amdhsa_user_sgpr_kernarg_segment_ptr 1
		.amdhsa_user_sgpr_dispatch_id 0
		.amdhsa_user_sgpr_kernarg_preload_length 0
		.amdhsa_user_sgpr_kernarg_preload_offset 0
		.amdhsa_user_sgpr_private_segment_size 0
		.amdhsa_wavefront_size32 1
		.amdhsa_uses_dynamic_stack 0
		.amdhsa_enable_private_segment 0
		.amdhsa_system_sgpr_workgroup_id_x 1
		.amdhsa_system_sgpr_workgroup_id_y 0
		.amdhsa_system_sgpr_workgroup_id_z 0
		.amdhsa_system_sgpr_workgroup_info 0
		.amdhsa_system_vgpr_workitem_id 0
		.amdhsa_next_free_vgpr 1
		.amdhsa_next_free_sgpr 1
		.amdhsa_named_barrier_count 0
		.amdhsa_reserve_vcc 0
		.amdhsa_float_round_mode_32 0
		.amdhsa_float_round_mode_16_64 0
		.amdhsa_float_denorm_mode_32 3
		.amdhsa_float_denorm_mode_16_64 3
		.amdhsa_fp16_overflow 0
		.amdhsa_memory_ordered 1
		.amdhsa_forward_progress 1
		.amdhsa_inst_pref_size 1
		.amdhsa_round_robin_scheduling 0
		.amdhsa_exception_fp_ieee_invalid_op 0
		.amdhsa_exception_fp_denorm_src 0
		.amdhsa_exception_fp_ieee_div_zero 0
		.amdhsa_exception_fp_ieee_overflow 0
		.amdhsa_exception_fp_ieee_underflow 0
		.amdhsa_exception_fp_ieee_inexact 0
		.amdhsa_exception_int_div_zero 0
	.end_amdhsa_kernel
	.section	.text._ZN7rocprim17ROCPRIM_400000_NS6detail17trampoline_kernelINS0_14default_configENS1_27scan_by_key_config_selectorIxiEEZZNS1_16scan_by_key_implILNS1_25lookback_scan_determinismE0ELb1ES3_N6thrust23THRUST_200600_302600_NS6detail15normal_iteratorINS9_10device_ptrIxEEEESE_SE_iNS9_4plusIvEENS9_8equal_toIvEEiEE10hipError_tPvRmT2_T3_T4_T5_mT6_T7_P12ihipStream_tbENKUlT_T0_E_clISt17integral_constantIbLb1EESY_IbLb0EEEEDaSU_SV_EUlSU_E_NS1_11comp_targetILNS1_3genE0ELNS1_11target_archE4294967295ELNS1_3gpuE0ELNS1_3repE0EEENS1_30default_config_static_selectorELNS0_4arch9wavefront6targetE0EEEvT1_,"axG",@progbits,_ZN7rocprim17ROCPRIM_400000_NS6detail17trampoline_kernelINS0_14default_configENS1_27scan_by_key_config_selectorIxiEEZZNS1_16scan_by_key_implILNS1_25lookback_scan_determinismE0ELb1ES3_N6thrust23THRUST_200600_302600_NS6detail15normal_iteratorINS9_10device_ptrIxEEEESE_SE_iNS9_4plusIvEENS9_8equal_toIvEEiEE10hipError_tPvRmT2_T3_T4_T5_mT6_T7_P12ihipStream_tbENKUlT_T0_E_clISt17integral_constantIbLb1EESY_IbLb0EEEEDaSU_SV_EUlSU_E_NS1_11comp_targetILNS1_3genE0ELNS1_11target_archE4294967295ELNS1_3gpuE0ELNS1_3repE0EEENS1_30default_config_static_selectorELNS0_4arch9wavefront6targetE0EEEvT1_,comdat
.Lfunc_end1022:
	.size	_ZN7rocprim17ROCPRIM_400000_NS6detail17trampoline_kernelINS0_14default_configENS1_27scan_by_key_config_selectorIxiEEZZNS1_16scan_by_key_implILNS1_25lookback_scan_determinismE0ELb1ES3_N6thrust23THRUST_200600_302600_NS6detail15normal_iteratorINS9_10device_ptrIxEEEESE_SE_iNS9_4plusIvEENS9_8equal_toIvEEiEE10hipError_tPvRmT2_T3_T4_T5_mT6_T7_P12ihipStream_tbENKUlT_T0_E_clISt17integral_constantIbLb1EESY_IbLb0EEEEDaSU_SV_EUlSU_E_NS1_11comp_targetILNS1_3genE0ELNS1_11target_archE4294967295ELNS1_3gpuE0ELNS1_3repE0EEENS1_30default_config_static_selectorELNS0_4arch9wavefront6targetE0EEEvT1_, .Lfunc_end1022-_ZN7rocprim17ROCPRIM_400000_NS6detail17trampoline_kernelINS0_14default_configENS1_27scan_by_key_config_selectorIxiEEZZNS1_16scan_by_key_implILNS1_25lookback_scan_determinismE0ELb1ES3_N6thrust23THRUST_200600_302600_NS6detail15normal_iteratorINS9_10device_ptrIxEEEESE_SE_iNS9_4plusIvEENS9_8equal_toIvEEiEE10hipError_tPvRmT2_T3_T4_T5_mT6_T7_P12ihipStream_tbENKUlT_T0_E_clISt17integral_constantIbLb1EESY_IbLb0EEEEDaSU_SV_EUlSU_E_NS1_11comp_targetILNS1_3genE0ELNS1_11target_archE4294967295ELNS1_3gpuE0ELNS1_3repE0EEENS1_30default_config_static_selectorELNS0_4arch9wavefront6targetE0EEEvT1_
                                        ; -- End function
	.set _ZN7rocprim17ROCPRIM_400000_NS6detail17trampoline_kernelINS0_14default_configENS1_27scan_by_key_config_selectorIxiEEZZNS1_16scan_by_key_implILNS1_25lookback_scan_determinismE0ELb1ES3_N6thrust23THRUST_200600_302600_NS6detail15normal_iteratorINS9_10device_ptrIxEEEESE_SE_iNS9_4plusIvEENS9_8equal_toIvEEiEE10hipError_tPvRmT2_T3_T4_T5_mT6_T7_P12ihipStream_tbENKUlT_T0_E_clISt17integral_constantIbLb1EESY_IbLb0EEEEDaSU_SV_EUlSU_E_NS1_11comp_targetILNS1_3genE0ELNS1_11target_archE4294967295ELNS1_3gpuE0ELNS1_3repE0EEENS1_30default_config_static_selectorELNS0_4arch9wavefront6targetE0EEEvT1_.num_vgpr, 0
	.set _ZN7rocprim17ROCPRIM_400000_NS6detail17trampoline_kernelINS0_14default_configENS1_27scan_by_key_config_selectorIxiEEZZNS1_16scan_by_key_implILNS1_25lookback_scan_determinismE0ELb1ES3_N6thrust23THRUST_200600_302600_NS6detail15normal_iteratorINS9_10device_ptrIxEEEESE_SE_iNS9_4plusIvEENS9_8equal_toIvEEiEE10hipError_tPvRmT2_T3_T4_T5_mT6_T7_P12ihipStream_tbENKUlT_T0_E_clISt17integral_constantIbLb1EESY_IbLb0EEEEDaSU_SV_EUlSU_E_NS1_11comp_targetILNS1_3genE0ELNS1_11target_archE4294967295ELNS1_3gpuE0ELNS1_3repE0EEENS1_30default_config_static_selectorELNS0_4arch9wavefront6targetE0EEEvT1_.num_agpr, 0
	.set _ZN7rocprim17ROCPRIM_400000_NS6detail17trampoline_kernelINS0_14default_configENS1_27scan_by_key_config_selectorIxiEEZZNS1_16scan_by_key_implILNS1_25lookback_scan_determinismE0ELb1ES3_N6thrust23THRUST_200600_302600_NS6detail15normal_iteratorINS9_10device_ptrIxEEEESE_SE_iNS9_4plusIvEENS9_8equal_toIvEEiEE10hipError_tPvRmT2_T3_T4_T5_mT6_T7_P12ihipStream_tbENKUlT_T0_E_clISt17integral_constantIbLb1EESY_IbLb0EEEEDaSU_SV_EUlSU_E_NS1_11comp_targetILNS1_3genE0ELNS1_11target_archE4294967295ELNS1_3gpuE0ELNS1_3repE0EEENS1_30default_config_static_selectorELNS0_4arch9wavefront6targetE0EEEvT1_.numbered_sgpr, 0
	.set _ZN7rocprim17ROCPRIM_400000_NS6detail17trampoline_kernelINS0_14default_configENS1_27scan_by_key_config_selectorIxiEEZZNS1_16scan_by_key_implILNS1_25lookback_scan_determinismE0ELb1ES3_N6thrust23THRUST_200600_302600_NS6detail15normal_iteratorINS9_10device_ptrIxEEEESE_SE_iNS9_4plusIvEENS9_8equal_toIvEEiEE10hipError_tPvRmT2_T3_T4_T5_mT6_T7_P12ihipStream_tbENKUlT_T0_E_clISt17integral_constantIbLb1EESY_IbLb0EEEEDaSU_SV_EUlSU_E_NS1_11comp_targetILNS1_3genE0ELNS1_11target_archE4294967295ELNS1_3gpuE0ELNS1_3repE0EEENS1_30default_config_static_selectorELNS0_4arch9wavefront6targetE0EEEvT1_.num_named_barrier, 0
	.set _ZN7rocprim17ROCPRIM_400000_NS6detail17trampoline_kernelINS0_14default_configENS1_27scan_by_key_config_selectorIxiEEZZNS1_16scan_by_key_implILNS1_25lookback_scan_determinismE0ELb1ES3_N6thrust23THRUST_200600_302600_NS6detail15normal_iteratorINS9_10device_ptrIxEEEESE_SE_iNS9_4plusIvEENS9_8equal_toIvEEiEE10hipError_tPvRmT2_T3_T4_T5_mT6_T7_P12ihipStream_tbENKUlT_T0_E_clISt17integral_constantIbLb1EESY_IbLb0EEEEDaSU_SV_EUlSU_E_NS1_11comp_targetILNS1_3genE0ELNS1_11target_archE4294967295ELNS1_3gpuE0ELNS1_3repE0EEENS1_30default_config_static_selectorELNS0_4arch9wavefront6targetE0EEEvT1_.private_seg_size, 0
	.set _ZN7rocprim17ROCPRIM_400000_NS6detail17trampoline_kernelINS0_14default_configENS1_27scan_by_key_config_selectorIxiEEZZNS1_16scan_by_key_implILNS1_25lookback_scan_determinismE0ELb1ES3_N6thrust23THRUST_200600_302600_NS6detail15normal_iteratorINS9_10device_ptrIxEEEESE_SE_iNS9_4plusIvEENS9_8equal_toIvEEiEE10hipError_tPvRmT2_T3_T4_T5_mT6_T7_P12ihipStream_tbENKUlT_T0_E_clISt17integral_constantIbLb1EESY_IbLb0EEEEDaSU_SV_EUlSU_E_NS1_11comp_targetILNS1_3genE0ELNS1_11target_archE4294967295ELNS1_3gpuE0ELNS1_3repE0EEENS1_30default_config_static_selectorELNS0_4arch9wavefront6targetE0EEEvT1_.uses_vcc, 0
	.set _ZN7rocprim17ROCPRIM_400000_NS6detail17trampoline_kernelINS0_14default_configENS1_27scan_by_key_config_selectorIxiEEZZNS1_16scan_by_key_implILNS1_25lookback_scan_determinismE0ELb1ES3_N6thrust23THRUST_200600_302600_NS6detail15normal_iteratorINS9_10device_ptrIxEEEESE_SE_iNS9_4plusIvEENS9_8equal_toIvEEiEE10hipError_tPvRmT2_T3_T4_T5_mT6_T7_P12ihipStream_tbENKUlT_T0_E_clISt17integral_constantIbLb1EESY_IbLb0EEEEDaSU_SV_EUlSU_E_NS1_11comp_targetILNS1_3genE0ELNS1_11target_archE4294967295ELNS1_3gpuE0ELNS1_3repE0EEENS1_30default_config_static_selectorELNS0_4arch9wavefront6targetE0EEEvT1_.uses_flat_scratch, 0
	.set _ZN7rocprim17ROCPRIM_400000_NS6detail17trampoline_kernelINS0_14default_configENS1_27scan_by_key_config_selectorIxiEEZZNS1_16scan_by_key_implILNS1_25lookback_scan_determinismE0ELb1ES3_N6thrust23THRUST_200600_302600_NS6detail15normal_iteratorINS9_10device_ptrIxEEEESE_SE_iNS9_4plusIvEENS9_8equal_toIvEEiEE10hipError_tPvRmT2_T3_T4_T5_mT6_T7_P12ihipStream_tbENKUlT_T0_E_clISt17integral_constantIbLb1EESY_IbLb0EEEEDaSU_SV_EUlSU_E_NS1_11comp_targetILNS1_3genE0ELNS1_11target_archE4294967295ELNS1_3gpuE0ELNS1_3repE0EEENS1_30default_config_static_selectorELNS0_4arch9wavefront6targetE0EEEvT1_.has_dyn_sized_stack, 0
	.set _ZN7rocprim17ROCPRIM_400000_NS6detail17trampoline_kernelINS0_14default_configENS1_27scan_by_key_config_selectorIxiEEZZNS1_16scan_by_key_implILNS1_25lookback_scan_determinismE0ELb1ES3_N6thrust23THRUST_200600_302600_NS6detail15normal_iteratorINS9_10device_ptrIxEEEESE_SE_iNS9_4plusIvEENS9_8equal_toIvEEiEE10hipError_tPvRmT2_T3_T4_T5_mT6_T7_P12ihipStream_tbENKUlT_T0_E_clISt17integral_constantIbLb1EESY_IbLb0EEEEDaSU_SV_EUlSU_E_NS1_11comp_targetILNS1_3genE0ELNS1_11target_archE4294967295ELNS1_3gpuE0ELNS1_3repE0EEENS1_30default_config_static_selectorELNS0_4arch9wavefront6targetE0EEEvT1_.has_recursion, 0
	.set _ZN7rocprim17ROCPRIM_400000_NS6detail17trampoline_kernelINS0_14default_configENS1_27scan_by_key_config_selectorIxiEEZZNS1_16scan_by_key_implILNS1_25lookback_scan_determinismE0ELb1ES3_N6thrust23THRUST_200600_302600_NS6detail15normal_iteratorINS9_10device_ptrIxEEEESE_SE_iNS9_4plusIvEENS9_8equal_toIvEEiEE10hipError_tPvRmT2_T3_T4_T5_mT6_T7_P12ihipStream_tbENKUlT_T0_E_clISt17integral_constantIbLb1EESY_IbLb0EEEEDaSU_SV_EUlSU_E_NS1_11comp_targetILNS1_3genE0ELNS1_11target_archE4294967295ELNS1_3gpuE0ELNS1_3repE0EEENS1_30default_config_static_selectorELNS0_4arch9wavefront6targetE0EEEvT1_.has_indirect_call, 0
	.section	.AMDGPU.csdata,"",@progbits
; Kernel info:
; codeLenInByte = 4
; TotalNumSgprs: 0
; NumVgprs: 0
; ScratchSize: 0
; MemoryBound: 0
; FloatMode: 240
; IeeeMode: 1
; LDSByteSize: 0 bytes/workgroup (compile time only)
; SGPRBlocks: 0
; VGPRBlocks: 0
; NumSGPRsForWavesPerEU: 1
; NumVGPRsForWavesPerEU: 1
; NamedBarCnt: 0
; Occupancy: 16
; WaveLimiterHint : 0
; COMPUTE_PGM_RSRC2:SCRATCH_EN: 0
; COMPUTE_PGM_RSRC2:USER_SGPR: 2
; COMPUTE_PGM_RSRC2:TRAP_HANDLER: 0
; COMPUTE_PGM_RSRC2:TGID_X_EN: 1
; COMPUTE_PGM_RSRC2:TGID_Y_EN: 0
; COMPUTE_PGM_RSRC2:TGID_Z_EN: 0
; COMPUTE_PGM_RSRC2:TIDIG_COMP_CNT: 0
	.section	.text._ZN7rocprim17ROCPRIM_400000_NS6detail17trampoline_kernelINS0_14default_configENS1_27scan_by_key_config_selectorIxiEEZZNS1_16scan_by_key_implILNS1_25lookback_scan_determinismE0ELb1ES3_N6thrust23THRUST_200600_302600_NS6detail15normal_iteratorINS9_10device_ptrIxEEEESE_SE_iNS9_4plusIvEENS9_8equal_toIvEEiEE10hipError_tPvRmT2_T3_T4_T5_mT6_T7_P12ihipStream_tbENKUlT_T0_E_clISt17integral_constantIbLb1EESY_IbLb0EEEEDaSU_SV_EUlSU_E_NS1_11comp_targetILNS1_3genE10ELNS1_11target_archE1201ELNS1_3gpuE5ELNS1_3repE0EEENS1_30default_config_static_selectorELNS0_4arch9wavefront6targetE0EEEvT1_,"axG",@progbits,_ZN7rocprim17ROCPRIM_400000_NS6detail17trampoline_kernelINS0_14default_configENS1_27scan_by_key_config_selectorIxiEEZZNS1_16scan_by_key_implILNS1_25lookback_scan_determinismE0ELb1ES3_N6thrust23THRUST_200600_302600_NS6detail15normal_iteratorINS9_10device_ptrIxEEEESE_SE_iNS9_4plusIvEENS9_8equal_toIvEEiEE10hipError_tPvRmT2_T3_T4_T5_mT6_T7_P12ihipStream_tbENKUlT_T0_E_clISt17integral_constantIbLb1EESY_IbLb0EEEEDaSU_SV_EUlSU_E_NS1_11comp_targetILNS1_3genE10ELNS1_11target_archE1201ELNS1_3gpuE5ELNS1_3repE0EEENS1_30default_config_static_selectorELNS0_4arch9wavefront6targetE0EEEvT1_,comdat
	.protected	_ZN7rocprim17ROCPRIM_400000_NS6detail17trampoline_kernelINS0_14default_configENS1_27scan_by_key_config_selectorIxiEEZZNS1_16scan_by_key_implILNS1_25lookback_scan_determinismE0ELb1ES3_N6thrust23THRUST_200600_302600_NS6detail15normal_iteratorINS9_10device_ptrIxEEEESE_SE_iNS9_4plusIvEENS9_8equal_toIvEEiEE10hipError_tPvRmT2_T3_T4_T5_mT6_T7_P12ihipStream_tbENKUlT_T0_E_clISt17integral_constantIbLb1EESY_IbLb0EEEEDaSU_SV_EUlSU_E_NS1_11comp_targetILNS1_3genE10ELNS1_11target_archE1201ELNS1_3gpuE5ELNS1_3repE0EEENS1_30default_config_static_selectorELNS0_4arch9wavefront6targetE0EEEvT1_ ; -- Begin function _ZN7rocprim17ROCPRIM_400000_NS6detail17trampoline_kernelINS0_14default_configENS1_27scan_by_key_config_selectorIxiEEZZNS1_16scan_by_key_implILNS1_25lookback_scan_determinismE0ELb1ES3_N6thrust23THRUST_200600_302600_NS6detail15normal_iteratorINS9_10device_ptrIxEEEESE_SE_iNS9_4plusIvEENS9_8equal_toIvEEiEE10hipError_tPvRmT2_T3_T4_T5_mT6_T7_P12ihipStream_tbENKUlT_T0_E_clISt17integral_constantIbLb1EESY_IbLb0EEEEDaSU_SV_EUlSU_E_NS1_11comp_targetILNS1_3genE10ELNS1_11target_archE1201ELNS1_3gpuE5ELNS1_3repE0EEENS1_30default_config_static_selectorELNS0_4arch9wavefront6targetE0EEEvT1_
	.globl	_ZN7rocprim17ROCPRIM_400000_NS6detail17trampoline_kernelINS0_14default_configENS1_27scan_by_key_config_selectorIxiEEZZNS1_16scan_by_key_implILNS1_25lookback_scan_determinismE0ELb1ES3_N6thrust23THRUST_200600_302600_NS6detail15normal_iteratorINS9_10device_ptrIxEEEESE_SE_iNS9_4plusIvEENS9_8equal_toIvEEiEE10hipError_tPvRmT2_T3_T4_T5_mT6_T7_P12ihipStream_tbENKUlT_T0_E_clISt17integral_constantIbLb1EESY_IbLb0EEEEDaSU_SV_EUlSU_E_NS1_11comp_targetILNS1_3genE10ELNS1_11target_archE1201ELNS1_3gpuE5ELNS1_3repE0EEENS1_30default_config_static_selectorELNS0_4arch9wavefront6targetE0EEEvT1_
	.p2align	8
	.type	_ZN7rocprim17ROCPRIM_400000_NS6detail17trampoline_kernelINS0_14default_configENS1_27scan_by_key_config_selectorIxiEEZZNS1_16scan_by_key_implILNS1_25lookback_scan_determinismE0ELb1ES3_N6thrust23THRUST_200600_302600_NS6detail15normal_iteratorINS9_10device_ptrIxEEEESE_SE_iNS9_4plusIvEENS9_8equal_toIvEEiEE10hipError_tPvRmT2_T3_T4_T5_mT6_T7_P12ihipStream_tbENKUlT_T0_E_clISt17integral_constantIbLb1EESY_IbLb0EEEEDaSU_SV_EUlSU_E_NS1_11comp_targetILNS1_3genE10ELNS1_11target_archE1201ELNS1_3gpuE5ELNS1_3repE0EEENS1_30default_config_static_selectorELNS0_4arch9wavefront6targetE0EEEvT1_,@function
_ZN7rocprim17ROCPRIM_400000_NS6detail17trampoline_kernelINS0_14default_configENS1_27scan_by_key_config_selectorIxiEEZZNS1_16scan_by_key_implILNS1_25lookback_scan_determinismE0ELb1ES3_N6thrust23THRUST_200600_302600_NS6detail15normal_iteratorINS9_10device_ptrIxEEEESE_SE_iNS9_4plusIvEENS9_8equal_toIvEEiEE10hipError_tPvRmT2_T3_T4_T5_mT6_T7_P12ihipStream_tbENKUlT_T0_E_clISt17integral_constantIbLb1EESY_IbLb0EEEEDaSU_SV_EUlSU_E_NS1_11comp_targetILNS1_3genE10ELNS1_11target_archE1201ELNS1_3gpuE5ELNS1_3repE0EEENS1_30default_config_static_selectorELNS0_4arch9wavefront6targetE0EEEvT1_: ; @_ZN7rocprim17ROCPRIM_400000_NS6detail17trampoline_kernelINS0_14default_configENS1_27scan_by_key_config_selectorIxiEEZZNS1_16scan_by_key_implILNS1_25lookback_scan_determinismE0ELb1ES3_N6thrust23THRUST_200600_302600_NS6detail15normal_iteratorINS9_10device_ptrIxEEEESE_SE_iNS9_4plusIvEENS9_8equal_toIvEEiEE10hipError_tPvRmT2_T3_T4_T5_mT6_T7_P12ihipStream_tbENKUlT_T0_E_clISt17integral_constantIbLb1EESY_IbLb0EEEEDaSU_SV_EUlSU_E_NS1_11comp_targetILNS1_3genE10ELNS1_11target_archE1201ELNS1_3gpuE5ELNS1_3repE0EEENS1_30default_config_static_selectorELNS0_4arch9wavefront6targetE0EEEvT1_
; %bb.0:
	.section	.rodata,"a",@progbits
	.p2align	6, 0x0
	.amdhsa_kernel _ZN7rocprim17ROCPRIM_400000_NS6detail17trampoline_kernelINS0_14default_configENS1_27scan_by_key_config_selectorIxiEEZZNS1_16scan_by_key_implILNS1_25lookback_scan_determinismE0ELb1ES3_N6thrust23THRUST_200600_302600_NS6detail15normal_iteratorINS9_10device_ptrIxEEEESE_SE_iNS9_4plusIvEENS9_8equal_toIvEEiEE10hipError_tPvRmT2_T3_T4_T5_mT6_T7_P12ihipStream_tbENKUlT_T0_E_clISt17integral_constantIbLb1EESY_IbLb0EEEEDaSU_SV_EUlSU_E_NS1_11comp_targetILNS1_3genE10ELNS1_11target_archE1201ELNS1_3gpuE5ELNS1_3repE0EEENS1_30default_config_static_selectorELNS0_4arch9wavefront6targetE0EEEvT1_
		.amdhsa_group_segment_fixed_size 0
		.amdhsa_private_segment_fixed_size 0
		.amdhsa_kernarg_size 112
		.amdhsa_user_sgpr_count 2
		.amdhsa_user_sgpr_dispatch_ptr 0
		.amdhsa_user_sgpr_queue_ptr 0
		.amdhsa_user_sgpr_kernarg_segment_ptr 1
		.amdhsa_user_sgpr_dispatch_id 0
		.amdhsa_user_sgpr_kernarg_preload_length 0
		.amdhsa_user_sgpr_kernarg_preload_offset 0
		.amdhsa_user_sgpr_private_segment_size 0
		.amdhsa_wavefront_size32 1
		.amdhsa_uses_dynamic_stack 0
		.amdhsa_enable_private_segment 0
		.amdhsa_system_sgpr_workgroup_id_x 1
		.amdhsa_system_sgpr_workgroup_id_y 0
		.amdhsa_system_sgpr_workgroup_id_z 0
		.amdhsa_system_sgpr_workgroup_info 0
		.amdhsa_system_vgpr_workitem_id 0
		.amdhsa_next_free_vgpr 1
		.amdhsa_next_free_sgpr 1
		.amdhsa_named_barrier_count 0
		.amdhsa_reserve_vcc 0
		.amdhsa_float_round_mode_32 0
		.amdhsa_float_round_mode_16_64 0
		.amdhsa_float_denorm_mode_32 3
		.amdhsa_float_denorm_mode_16_64 3
		.amdhsa_fp16_overflow 0
		.amdhsa_memory_ordered 1
		.amdhsa_forward_progress 1
		.amdhsa_inst_pref_size 0
		.amdhsa_round_robin_scheduling 0
		.amdhsa_exception_fp_ieee_invalid_op 0
		.amdhsa_exception_fp_denorm_src 0
		.amdhsa_exception_fp_ieee_div_zero 0
		.amdhsa_exception_fp_ieee_overflow 0
		.amdhsa_exception_fp_ieee_underflow 0
		.amdhsa_exception_fp_ieee_inexact 0
		.amdhsa_exception_int_div_zero 0
	.end_amdhsa_kernel
	.section	.text._ZN7rocprim17ROCPRIM_400000_NS6detail17trampoline_kernelINS0_14default_configENS1_27scan_by_key_config_selectorIxiEEZZNS1_16scan_by_key_implILNS1_25lookback_scan_determinismE0ELb1ES3_N6thrust23THRUST_200600_302600_NS6detail15normal_iteratorINS9_10device_ptrIxEEEESE_SE_iNS9_4plusIvEENS9_8equal_toIvEEiEE10hipError_tPvRmT2_T3_T4_T5_mT6_T7_P12ihipStream_tbENKUlT_T0_E_clISt17integral_constantIbLb1EESY_IbLb0EEEEDaSU_SV_EUlSU_E_NS1_11comp_targetILNS1_3genE10ELNS1_11target_archE1201ELNS1_3gpuE5ELNS1_3repE0EEENS1_30default_config_static_selectorELNS0_4arch9wavefront6targetE0EEEvT1_,"axG",@progbits,_ZN7rocprim17ROCPRIM_400000_NS6detail17trampoline_kernelINS0_14default_configENS1_27scan_by_key_config_selectorIxiEEZZNS1_16scan_by_key_implILNS1_25lookback_scan_determinismE0ELb1ES3_N6thrust23THRUST_200600_302600_NS6detail15normal_iteratorINS9_10device_ptrIxEEEESE_SE_iNS9_4plusIvEENS9_8equal_toIvEEiEE10hipError_tPvRmT2_T3_T4_T5_mT6_T7_P12ihipStream_tbENKUlT_T0_E_clISt17integral_constantIbLb1EESY_IbLb0EEEEDaSU_SV_EUlSU_E_NS1_11comp_targetILNS1_3genE10ELNS1_11target_archE1201ELNS1_3gpuE5ELNS1_3repE0EEENS1_30default_config_static_selectorELNS0_4arch9wavefront6targetE0EEEvT1_,comdat
.Lfunc_end1023:
	.size	_ZN7rocprim17ROCPRIM_400000_NS6detail17trampoline_kernelINS0_14default_configENS1_27scan_by_key_config_selectorIxiEEZZNS1_16scan_by_key_implILNS1_25lookback_scan_determinismE0ELb1ES3_N6thrust23THRUST_200600_302600_NS6detail15normal_iteratorINS9_10device_ptrIxEEEESE_SE_iNS9_4plusIvEENS9_8equal_toIvEEiEE10hipError_tPvRmT2_T3_T4_T5_mT6_T7_P12ihipStream_tbENKUlT_T0_E_clISt17integral_constantIbLb1EESY_IbLb0EEEEDaSU_SV_EUlSU_E_NS1_11comp_targetILNS1_3genE10ELNS1_11target_archE1201ELNS1_3gpuE5ELNS1_3repE0EEENS1_30default_config_static_selectorELNS0_4arch9wavefront6targetE0EEEvT1_, .Lfunc_end1023-_ZN7rocprim17ROCPRIM_400000_NS6detail17trampoline_kernelINS0_14default_configENS1_27scan_by_key_config_selectorIxiEEZZNS1_16scan_by_key_implILNS1_25lookback_scan_determinismE0ELb1ES3_N6thrust23THRUST_200600_302600_NS6detail15normal_iteratorINS9_10device_ptrIxEEEESE_SE_iNS9_4plusIvEENS9_8equal_toIvEEiEE10hipError_tPvRmT2_T3_T4_T5_mT6_T7_P12ihipStream_tbENKUlT_T0_E_clISt17integral_constantIbLb1EESY_IbLb0EEEEDaSU_SV_EUlSU_E_NS1_11comp_targetILNS1_3genE10ELNS1_11target_archE1201ELNS1_3gpuE5ELNS1_3repE0EEENS1_30default_config_static_selectorELNS0_4arch9wavefront6targetE0EEEvT1_
                                        ; -- End function
	.set _ZN7rocprim17ROCPRIM_400000_NS6detail17trampoline_kernelINS0_14default_configENS1_27scan_by_key_config_selectorIxiEEZZNS1_16scan_by_key_implILNS1_25lookback_scan_determinismE0ELb1ES3_N6thrust23THRUST_200600_302600_NS6detail15normal_iteratorINS9_10device_ptrIxEEEESE_SE_iNS9_4plusIvEENS9_8equal_toIvEEiEE10hipError_tPvRmT2_T3_T4_T5_mT6_T7_P12ihipStream_tbENKUlT_T0_E_clISt17integral_constantIbLb1EESY_IbLb0EEEEDaSU_SV_EUlSU_E_NS1_11comp_targetILNS1_3genE10ELNS1_11target_archE1201ELNS1_3gpuE5ELNS1_3repE0EEENS1_30default_config_static_selectorELNS0_4arch9wavefront6targetE0EEEvT1_.num_vgpr, 0
	.set _ZN7rocprim17ROCPRIM_400000_NS6detail17trampoline_kernelINS0_14default_configENS1_27scan_by_key_config_selectorIxiEEZZNS1_16scan_by_key_implILNS1_25lookback_scan_determinismE0ELb1ES3_N6thrust23THRUST_200600_302600_NS6detail15normal_iteratorINS9_10device_ptrIxEEEESE_SE_iNS9_4plusIvEENS9_8equal_toIvEEiEE10hipError_tPvRmT2_T3_T4_T5_mT6_T7_P12ihipStream_tbENKUlT_T0_E_clISt17integral_constantIbLb1EESY_IbLb0EEEEDaSU_SV_EUlSU_E_NS1_11comp_targetILNS1_3genE10ELNS1_11target_archE1201ELNS1_3gpuE5ELNS1_3repE0EEENS1_30default_config_static_selectorELNS0_4arch9wavefront6targetE0EEEvT1_.num_agpr, 0
	.set _ZN7rocprim17ROCPRIM_400000_NS6detail17trampoline_kernelINS0_14default_configENS1_27scan_by_key_config_selectorIxiEEZZNS1_16scan_by_key_implILNS1_25lookback_scan_determinismE0ELb1ES3_N6thrust23THRUST_200600_302600_NS6detail15normal_iteratorINS9_10device_ptrIxEEEESE_SE_iNS9_4plusIvEENS9_8equal_toIvEEiEE10hipError_tPvRmT2_T3_T4_T5_mT6_T7_P12ihipStream_tbENKUlT_T0_E_clISt17integral_constantIbLb1EESY_IbLb0EEEEDaSU_SV_EUlSU_E_NS1_11comp_targetILNS1_3genE10ELNS1_11target_archE1201ELNS1_3gpuE5ELNS1_3repE0EEENS1_30default_config_static_selectorELNS0_4arch9wavefront6targetE0EEEvT1_.numbered_sgpr, 0
	.set _ZN7rocprim17ROCPRIM_400000_NS6detail17trampoline_kernelINS0_14default_configENS1_27scan_by_key_config_selectorIxiEEZZNS1_16scan_by_key_implILNS1_25lookback_scan_determinismE0ELb1ES3_N6thrust23THRUST_200600_302600_NS6detail15normal_iteratorINS9_10device_ptrIxEEEESE_SE_iNS9_4plusIvEENS9_8equal_toIvEEiEE10hipError_tPvRmT2_T3_T4_T5_mT6_T7_P12ihipStream_tbENKUlT_T0_E_clISt17integral_constantIbLb1EESY_IbLb0EEEEDaSU_SV_EUlSU_E_NS1_11comp_targetILNS1_3genE10ELNS1_11target_archE1201ELNS1_3gpuE5ELNS1_3repE0EEENS1_30default_config_static_selectorELNS0_4arch9wavefront6targetE0EEEvT1_.num_named_barrier, 0
	.set _ZN7rocprim17ROCPRIM_400000_NS6detail17trampoline_kernelINS0_14default_configENS1_27scan_by_key_config_selectorIxiEEZZNS1_16scan_by_key_implILNS1_25lookback_scan_determinismE0ELb1ES3_N6thrust23THRUST_200600_302600_NS6detail15normal_iteratorINS9_10device_ptrIxEEEESE_SE_iNS9_4plusIvEENS9_8equal_toIvEEiEE10hipError_tPvRmT2_T3_T4_T5_mT6_T7_P12ihipStream_tbENKUlT_T0_E_clISt17integral_constantIbLb1EESY_IbLb0EEEEDaSU_SV_EUlSU_E_NS1_11comp_targetILNS1_3genE10ELNS1_11target_archE1201ELNS1_3gpuE5ELNS1_3repE0EEENS1_30default_config_static_selectorELNS0_4arch9wavefront6targetE0EEEvT1_.private_seg_size, 0
	.set _ZN7rocprim17ROCPRIM_400000_NS6detail17trampoline_kernelINS0_14default_configENS1_27scan_by_key_config_selectorIxiEEZZNS1_16scan_by_key_implILNS1_25lookback_scan_determinismE0ELb1ES3_N6thrust23THRUST_200600_302600_NS6detail15normal_iteratorINS9_10device_ptrIxEEEESE_SE_iNS9_4plusIvEENS9_8equal_toIvEEiEE10hipError_tPvRmT2_T3_T4_T5_mT6_T7_P12ihipStream_tbENKUlT_T0_E_clISt17integral_constantIbLb1EESY_IbLb0EEEEDaSU_SV_EUlSU_E_NS1_11comp_targetILNS1_3genE10ELNS1_11target_archE1201ELNS1_3gpuE5ELNS1_3repE0EEENS1_30default_config_static_selectorELNS0_4arch9wavefront6targetE0EEEvT1_.uses_vcc, 0
	.set _ZN7rocprim17ROCPRIM_400000_NS6detail17trampoline_kernelINS0_14default_configENS1_27scan_by_key_config_selectorIxiEEZZNS1_16scan_by_key_implILNS1_25lookback_scan_determinismE0ELb1ES3_N6thrust23THRUST_200600_302600_NS6detail15normal_iteratorINS9_10device_ptrIxEEEESE_SE_iNS9_4plusIvEENS9_8equal_toIvEEiEE10hipError_tPvRmT2_T3_T4_T5_mT6_T7_P12ihipStream_tbENKUlT_T0_E_clISt17integral_constantIbLb1EESY_IbLb0EEEEDaSU_SV_EUlSU_E_NS1_11comp_targetILNS1_3genE10ELNS1_11target_archE1201ELNS1_3gpuE5ELNS1_3repE0EEENS1_30default_config_static_selectorELNS0_4arch9wavefront6targetE0EEEvT1_.uses_flat_scratch, 0
	.set _ZN7rocprim17ROCPRIM_400000_NS6detail17trampoline_kernelINS0_14default_configENS1_27scan_by_key_config_selectorIxiEEZZNS1_16scan_by_key_implILNS1_25lookback_scan_determinismE0ELb1ES3_N6thrust23THRUST_200600_302600_NS6detail15normal_iteratorINS9_10device_ptrIxEEEESE_SE_iNS9_4plusIvEENS9_8equal_toIvEEiEE10hipError_tPvRmT2_T3_T4_T5_mT6_T7_P12ihipStream_tbENKUlT_T0_E_clISt17integral_constantIbLb1EESY_IbLb0EEEEDaSU_SV_EUlSU_E_NS1_11comp_targetILNS1_3genE10ELNS1_11target_archE1201ELNS1_3gpuE5ELNS1_3repE0EEENS1_30default_config_static_selectorELNS0_4arch9wavefront6targetE0EEEvT1_.has_dyn_sized_stack, 0
	.set _ZN7rocprim17ROCPRIM_400000_NS6detail17trampoline_kernelINS0_14default_configENS1_27scan_by_key_config_selectorIxiEEZZNS1_16scan_by_key_implILNS1_25lookback_scan_determinismE0ELb1ES3_N6thrust23THRUST_200600_302600_NS6detail15normal_iteratorINS9_10device_ptrIxEEEESE_SE_iNS9_4plusIvEENS9_8equal_toIvEEiEE10hipError_tPvRmT2_T3_T4_T5_mT6_T7_P12ihipStream_tbENKUlT_T0_E_clISt17integral_constantIbLb1EESY_IbLb0EEEEDaSU_SV_EUlSU_E_NS1_11comp_targetILNS1_3genE10ELNS1_11target_archE1201ELNS1_3gpuE5ELNS1_3repE0EEENS1_30default_config_static_selectorELNS0_4arch9wavefront6targetE0EEEvT1_.has_recursion, 0
	.set _ZN7rocprim17ROCPRIM_400000_NS6detail17trampoline_kernelINS0_14default_configENS1_27scan_by_key_config_selectorIxiEEZZNS1_16scan_by_key_implILNS1_25lookback_scan_determinismE0ELb1ES3_N6thrust23THRUST_200600_302600_NS6detail15normal_iteratorINS9_10device_ptrIxEEEESE_SE_iNS9_4plusIvEENS9_8equal_toIvEEiEE10hipError_tPvRmT2_T3_T4_T5_mT6_T7_P12ihipStream_tbENKUlT_T0_E_clISt17integral_constantIbLb1EESY_IbLb0EEEEDaSU_SV_EUlSU_E_NS1_11comp_targetILNS1_3genE10ELNS1_11target_archE1201ELNS1_3gpuE5ELNS1_3repE0EEENS1_30default_config_static_selectorELNS0_4arch9wavefront6targetE0EEEvT1_.has_indirect_call, 0
	.section	.AMDGPU.csdata,"",@progbits
; Kernel info:
; codeLenInByte = 0
; TotalNumSgprs: 0
; NumVgprs: 0
; ScratchSize: 0
; MemoryBound: 0
; FloatMode: 240
; IeeeMode: 1
; LDSByteSize: 0 bytes/workgroup (compile time only)
; SGPRBlocks: 0
; VGPRBlocks: 0
; NumSGPRsForWavesPerEU: 1
; NumVGPRsForWavesPerEU: 1
; NamedBarCnt: 0
; Occupancy: 16
; WaveLimiterHint : 0
; COMPUTE_PGM_RSRC2:SCRATCH_EN: 0
; COMPUTE_PGM_RSRC2:USER_SGPR: 2
; COMPUTE_PGM_RSRC2:TRAP_HANDLER: 0
; COMPUTE_PGM_RSRC2:TGID_X_EN: 1
; COMPUTE_PGM_RSRC2:TGID_Y_EN: 0
; COMPUTE_PGM_RSRC2:TGID_Z_EN: 0
; COMPUTE_PGM_RSRC2:TIDIG_COMP_CNT: 0
	.section	.text._ZN7rocprim17ROCPRIM_400000_NS6detail17trampoline_kernelINS0_14default_configENS1_27scan_by_key_config_selectorIxiEEZZNS1_16scan_by_key_implILNS1_25lookback_scan_determinismE0ELb1ES3_N6thrust23THRUST_200600_302600_NS6detail15normal_iteratorINS9_10device_ptrIxEEEESE_SE_iNS9_4plusIvEENS9_8equal_toIvEEiEE10hipError_tPvRmT2_T3_T4_T5_mT6_T7_P12ihipStream_tbENKUlT_T0_E_clISt17integral_constantIbLb1EESY_IbLb0EEEEDaSU_SV_EUlSU_E_NS1_11comp_targetILNS1_3genE5ELNS1_11target_archE942ELNS1_3gpuE9ELNS1_3repE0EEENS1_30default_config_static_selectorELNS0_4arch9wavefront6targetE0EEEvT1_,"axG",@progbits,_ZN7rocprim17ROCPRIM_400000_NS6detail17trampoline_kernelINS0_14default_configENS1_27scan_by_key_config_selectorIxiEEZZNS1_16scan_by_key_implILNS1_25lookback_scan_determinismE0ELb1ES3_N6thrust23THRUST_200600_302600_NS6detail15normal_iteratorINS9_10device_ptrIxEEEESE_SE_iNS9_4plusIvEENS9_8equal_toIvEEiEE10hipError_tPvRmT2_T3_T4_T5_mT6_T7_P12ihipStream_tbENKUlT_T0_E_clISt17integral_constantIbLb1EESY_IbLb0EEEEDaSU_SV_EUlSU_E_NS1_11comp_targetILNS1_3genE5ELNS1_11target_archE942ELNS1_3gpuE9ELNS1_3repE0EEENS1_30default_config_static_selectorELNS0_4arch9wavefront6targetE0EEEvT1_,comdat
	.protected	_ZN7rocprim17ROCPRIM_400000_NS6detail17trampoline_kernelINS0_14default_configENS1_27scan_by_key_config_selectorIxiEEZZNS1_16scan_by_key_implILNS1_25lookback_scan_determinismE0ELb1ES3_N6thrust23THRUST_200600_302600_NS6detail15normal_iteratorINS9_10device_ptrIxEEEESE_SE_iNS9_4plusIvEENS9_8equal_toIvEEiEE10hipError_tPvRmT2_T3_T4_T5_mT6_T7_P12ihipStream_tbENKUlT_T0_E_clISt17integral_constantIbLb1EESY_IbLb0EEEEDaSU_SV_EUlSU_E_NS1_11comp_targetILNS1_3genE5ELNS1_11target_archE942ELNS1_3gpuE9ELNS1_3repE0EEENS1_30default_config_static_selectorELNS0_4arch9wavefront6targetE0EEEvT1_ ; -- Begin function _ZN7rocprim17ROCPRIM_400000_NS6detail17trampoline_kernelINS0_14default_configENS1_27scan_by_key_config_selectorIxiEEZZNS1_16scan_by_key_implILNS1_25lookback_scan_determinismE0ELb1ES3_N6thrust23THRUST_200600_302600_NS6detail15normal_iteratorINS9_10device_ptrIxEEEESE_SE_iNS9_4plusIvEENS9_8equal_toIvEEiEE10hipError_tPvRmT2_T3_T4_T5_mT6_T7_P12ihipStream_tbENKUlT_T0_E_clISt17integral_constantIbLb1EESY_IbLb0EEEEDaSU_SV_EUlSU_E_NS1_11comp_targetILNS1_3genE5ELNS1_11target_archE942ELNS1_3gpuE9ELNS1_3repE0EEENS1_30default_config_static_selectorELNS0_4arch9wavefront6targetE0EEEvT1_
	.globl	_ZN7rocprim17ROCPRIM_400000_NS6detail17trampoline_kernelINS0_14default_configENS1_27scan_by_key_config_selectorIxiEEZZNS1_16scan_by_key_implILNS1_25lookback_scan_determinismE0ELb1ES3_N6thrust23THRUST_200600_302600_NS6detail15normal_iteratorINS9_10device_ptrIxEEEESE_SE_iNS9_4plusIvEENS9_8equal_toIvEEiEE10hipError_tPvRmT2_T3_T4_T5_mT6_T7_P12ihipStream_tbENKUlT_T0_E_clISt17integral_constantIbLb1EESY_IbLb0EEEEDaSU_SV_EUlSU_E_NS1_11comp_targetILNS1_3genE5ELNS1_11target_archE942ELNS1_3gpuE9ELNS1_3repE0EEENS1_30default_config_static_selectorELNS0_4arch9wavefront6targetE0EEEvT1_
	.p2align	8
	.type	_ZN7rocprim17ROCPRIM_400000_NS6detail17trampoline_kernelINS0_14default_configENS1_27scan_by_key_config_selectorIxiEEZZNS1_16scan_by_key_implILNS1_25lookback_scan_determinismE0ELb1ES3_N6thrust23THRUST_200600_302600_NS6detail15normal_iteratorINS9_10device_ptrIxEEEESE_SE_iNS9_4plusIvEENS9_8equal_toIvEEiEE10hipError_tPvRmT2_T3_T4_T5_mT6_T7_P12ihipStream_tbENKUlT_T0_E_clISt17integral_constantIbLb1EESY_IbLb0EEEEDaSU_SV_EUlSU_E_NS1_11comp_targetILNS1_3genE5ELNS1_11target_archE942ELNS1_3gpuE9ELNS1_3repE0EEENS1_30default_config_static_selectorELNS0_4arch9wavefront6targetE0EEEvT1_,@function
_ZN7rocprim17ROCPRIM_400000_NS6detail17trampoline_kernelINS0_14default_configENS1_27scan_by_key_config_selectorIxiEEZZNS1_16scan_by_key_implILNS1_25lookback_scan_determinismE0ELb1ES3_N6thrust23THRUST_200600_302600_NS6detail15normal_iteratorINS9_10device_ptrIxEEEESE_SE_iNS9_4plusIvEENS9_8equal_toIvEEiEE10hipError_tPvRmT2_T3_T4_T5_mT6_T7_P12ihipStream_tbENKUlT_T0_E_clISt17integral_constantIbLb1EESY_IbLb0EEEEDaSU_SV_EUlSU_E_NS1_11comp_targetILNS1_3genE5ELNS1_11target_archE942ELNS1_3gpuE9ELNS1_3repE0EEENS1_30default_config_static_selectorELNS0_4arch9wavefront6targetE0EEEvT1_: ; @_ZN7rocprim17ROCPRIM_400000_NS6detail17trampoline_kernelINS0_14default_configENS1_27scan_by_key_config_selectorIxiEEZZNS1_16scan_by_key_implILNS1_25lookback_scan_determinismE0ELb1ES3_N6thrust23THRUST_200600_302600_NS6detail15normal_iteratorINS9_10device_ptrIxEEEESE_SE_iNS9_4plusIvEENS9_8equal_toIvEEiEE10hipError_tPvRmT2_T3_T4_T5_mT6_T7_P12ihipStream_tbENKUlT_T0_E_clISt17integral_constantIbLb1EESY_IbLb0EEEEDaSU_SV_EUlSU_E_NS1_11comp_targetILNS1_3genE5ELNS1_11target_archE942ELNS1_3gpuE9ELNS1_3repE0EEENS1_30default_config_static_selectorELNS0_4arch9wavefront6targetE0EEEvT1_
; %bb.0:
	.section	.rodata,"a",@progbits
	.p2align	6, 0x0
	.amdhsa_kernel _ZN7rocprim17ROCPRIM_400000_NS6detail17trampoline_kernelINS0_14default_configENS1_27scan_by_key_config_selectorIxiEEZZNS1_16scan_by_key_implILNS1_25lookback_scan_determinismE0ELb1ES3_N6thrust23THRUST_200600_302600_NS6detail15normal_iteratorINS9_10device_ptrIxEEEESE_SE_iNS9_4plusIvEENS9_8equal_toIvEEiEE10hipError_tPvRmT2_T3_T4_T5_mT6_T7_P12ihipStream_tbENKUlT_T0_E_clISt17integral_constantIbLb1EESY_IbLb0EEEEDaSU_SV_EUlSU_E_NS1_11comp_targetILNS1_3genE5ELNS1_11target_archE942ELNS1_3gpuE9ELNS1_3repE0EEENS1_30default_config_static_selectorELNS0_4arch9wavefront6targetE0EEEvT1_
		.amdhsa_group_segment_fixed_size 0
		.amdhsa_private_segment_fixed_size 0
		.amdhsa_kernarg_size 112
		.amdhsa_user_sgpr_count 2
		.amdhsa_user_sgpr_dispatch_ptr 0
		.amdhsa_user_sgpr_queue_ptr 0
		.amdhsa_user_sgpr_kernarg_segment_ptr 1
		.amdhsa_user_sgpr_dispatch_id 0
		.amdhsa_user_sgpr_kernarg_preload_length 0
		.amdhsa_user_sgpr_kernarg_preload_offset 0
		.amdhsa_user_sgpr_private_segment_size 0
		.amdhsa_wavefront_size32 1
		.amdhsa_uses_dynamic_stack 0
		.amdhsa_enable_private_segment 0
		.amdhsa_system_sgpr_workgroup_id_x 1
		.amdhsa_system_sgpr_workgroup_id_y 0
		.amdhsa_system_sgpr_workgroup_id_z 0
		.amdhsa_system_sgpr_workgroup_info 0
		.amdhsa_system_vgpr_workitem_id 0
		.amdhsa_next_free_vgpr 1
		.amdhsa_next_free_sgpr 1
		.amdhsa_named_barrier_count 0
		.amdhsa_reserve_vcc 0
		.amdhsa_float_round_mode_32 0
		.amdhsa_float_round_mode_16_64 0
		.amdhsa_float_denorm_mode_32 3
		.amdhsa_float_denorm_mode_16_64 3
		.amdhsa_fp16_overflow 0
		.amdhsa_memory_ordered 1
		.amdhsa_forward_progress 1
		.amdhsa_inst_pref_size 0
		.amdhsa_round_robin_scheduling 0
		.amdhsa_exception_fp_ieee_invalid_op 0
		.amdhsa_exception_fp_denorm_src 0
		.amdhsa_exception_fp_ieee_div_zero 0
		.amdhsa_exception_fp_ieee_overflow 0
		.amdhsa_exception_fp_ieee_underflow 0
		.amdhsa_exception_fp_ieee_inexact 0
		.amdhsa_exception_int_div_zero 0
	.end_amdhsa_kernel
	.section	.text._ZN7rocprim17ROCPRIM_400000_NS6detail17trampoline_kernelINS0_14default_configENS1_27scan_by_key_config_selectorIxiEEZZNS1_16scan_by_key_implILNS1_25lookback_scan_determinismE0ELb1ES3_N6thrust23THRUST_200600_302600_NS6detail15normal_iteratorINS9_10device_ptrIxEEEESE_SE_iNS9_4plusIvEENS9_8equal_toIvEEiEE10hipError_tPvRmT2_T3_T4_T5_mT6_T7_P12ihipStream_tbENKUlT_T0_E_clISt17integral_constantIbLb1EESY_IbLb0EEEEDaSU_SV_EUlSU_E_NS1_11comp_targetILNS1_3genE5ELNS1_11target_archE942ELNS1_3gpuE9ELNS1_3repE0EEENS1_30default_config_static_selectorELNS0_4arch9wavefront6targetE0EEEvT1_,"axG",@progbits,_ZN7rocprim17ROCPRIM_400000_NS6detail17trampoline_kernelINS0_14default_configENS1_27scan_by_key_config_selectorIxiEEZZNS1_16scan_by_key_implILNS1_25lookback_scan_determinismE0ELb1ES3_N6thrust23THRUST_200600_302600_NS6detail15normal_iteratorINS9_10device_ptrIxEEEESE_SE_iNS9_4plusIvEENS9_8equal_toIvEEiEE10hipError_tPvRmT2_T3_T4_T5_mT6_T7_P12ihipStream_tbENKUlT_T0_E_clISt17integral_constantIbLb1EESY_IbLb0EEEEDaSU_SV_EUlSU_E_NS1_11comp_targetILNS1_3genE5ELNS1_11target_archE942ELNS1_3gpuE9ELNS1_3repE0EEENS1_30default_config_static_selectorELNS0_4arch9wavefront6targetE0EEEvT1_,comdat
.Lfunc_end1024:
	.size	_ZN7rocprim17ROCPRIM_400000_NS6detail17trampoline_kernelINS0_14default_configENS1_27scan_by_key_config_selectorIxiEEZZNS1_16scan_by_key_implILNS1_25lookback_scan_determinismE0ELb1ES3_N6thrust23THRUST_200600_302600_NS6detail15normal_iteratorINS9_10device_ptrIxEEEESE_SE_iNS9_4plusIvEENS9_8equal_toIvEEiEE10hipError_tPvRmT2_T3_T4_T5_mT6_T7_P12ihipStream_tbENKUlT_T0_E_clISt17integral_constantIbLb1EESY_IbLb0EEEEDaSU_SV_EUlSU_E_NS1_11comp_targetILNS1_3genE5ELNS1_11target_archE942ELNS1_3gpuE9ELNS1_3repE0EEENS1_30default_config_static_selectorELNS0_4arch9wavefront6targetE0EEEvT1_, .Lfunc_end1024-_ZN7rocprim17ROCPRIM_400000_NS6detail17trampoline_kernelINS0_14default_configENS1_27scan_by_key_config_selectorIxiEEZZNS1_16scan_by_key_implILNS1_25lookback_scan_determinismE0ELb1ES3_N6thrust23THRUST_200600_302600_NS6detail15normal_iteratorINS9_10device_ptrIxEEEESE_SE_iNS9_4plusIvEENS9_8equal_toIvEEiEE10hipError_tPvRmT2_T3_T4_T5_mT6_T7_P12ihipStream_tbENKUlT_T0_E_clISt17integral_constantIbLb1EESY_IbLb0EEEEDaSU_SV_EUlSU_E_NS1_11comp_targetILNS1_3genE5ELNS1_11target_archE942ELNS1_3gpuE9ELNS1_3repE0EEENS1_30default_config_static_selectorELNS0_4arch9wavefront6targetE0EEEvT1_
                                        ; -- End function
	.set _ZN7rocprim17ROCPRIM_400000_NS6detail17trampoline_kernelINS0_14default_configENS1_27scan_by_key_config_selectorIxiEEZZNS1_16scan_by_key_implILNS1_25lookback_scan_determinismE0ELb1ES3_N6thrust23THRUST_200600_302600_NS6detail15normal_iteratorINS9_10device_ptrIxEEEESE_SE_iNS9_4plusIvEENS9_8equal_toIvEEiEE10hipError_tPvRmT2_T3_T4_T5_mT6_T7_P12ihipStream_tbENKUlT_T0_E_clISt17integral_constantIbLb1EESY_IbLb0EEEEDaSU_SV_EUlSU_E_NS1_11comp_targetILNS1_3genE5ELNS1_11target_archE942ELNS1_3gpuE9ELNS1_3repE0EEENS1_30default_config_static_selectorELNS0_4arch9wavefront6targetE0EEEvT1_.num_vgpr, 0
	.set _ZN7rocprim17ROCPRIM_400000_NS6detail17trampoline_kernelINS0_14default_configENS1_27scan_by_key_config_selectorIxiEEZZNS1_16scan_by_key_implILNS1_25lookback_scan_determinismE0ELb1ES3_N6thrust23THRUST_200600_302600_NS6detail15normal_iteratorINS9_10device_ptrIxEEEESE_SE_iNS9_4plusIvEENS9_8equal_toIvEEiEE10hipError_tPvRmT2_T3_T4_T5_mT6_T7_P12ihipStream_tbENKUlT_T0_E_clISt17integral_constantIbLb1EESY_IbLb0EEEEDaSU_SV_EUlSU_E_NS1_11comp_targetILNS1_3genE5ELNS1_11target_archE942ELNS1_3gpuE9ELNS1_3repE0EEENS1_30default_config_static_selectorELNS0_4arch9wavefront6targetE0EEEvT1_.num_agpr, 0
	.set _ZN7rocprim17ROCPRIM_400000_NS6detail17trampoline_kernelINS0_14default_configENS1_27scan_by_key_config_selectorIxiEEZZNS1_16scan_by_key_implILNS1_25lookback_scan_determinismE0ELb1ES3_N6thrust23THRUST_200600_302600_NS6detail15normal_iteratorINS9_10device_ptrIxEEEESE_SE_iNS9_4plusIvEENS9_8equal_toIvEEiEE10hipError_tPvRmT2_T3_T4_T5_mT6_T7_P12ihipStream_tbENKUlT_T0_E_clISt17integral_constantIbLb1EESY_IbLb0EEEEDaSU_SV_EUlSU_E_NS1_11comp_targetILNS1_3genE5ELNS1_11target_archE942ELNS1_3gpuE9ELNS1_3repE0EEENS1_30default_config_static_selectorELNS0_4arch9wavefront6targetE0EEEvT1_.numbered_sgpr, 0
	.set _ZN7rocprim17ROCPRIM_400000_NS6detail17trampoline_kernelINS0_14default_configENS1_27scan_by_key_config_selectorIxiEEZZNS1_16scan_by_key_implILNS1_25lookback_scan_determinismE0ELb1ES3_N6thrust23THRUST_200600_302600_NS6detail15normal_iteratorINS9_10device_ptrIxEEEESE_SE_iNS9_4plusIvEENS9_8equal_toIvEEiEE10hipError_tPvRmT2_T3_T4_T5_mT6_T7_P12ihipStream_tbENKUlT_T0_E_clISt17integral_constantIbLb1EESY_IbLb0EEEEDaSU_SV_EUlSU_E_NS1_11comp_targetILNS1_3genE5ELNS1_11target_archE942ELNS1_3gpuE9ELNS1_3repE0EEENS1_30default_config_static_selectorELNS0_4arch9wavefront6targetE0EEEvT1_.num_named_barrier, 0
	.set _ZN7rocprim17ROCPRIM_400000_NS6detail17trampoline_kernelINS0_14default_configENS1_27scan_by_key_config_selectorIxiEEZZNS1_16scan_by_key_implILNS1_25lookback_scan_determinismE0ELb1ES3_N6thrust23THRUST_200600_302600_NS6detail15normal_iteratorINS9_10device_ptrIxEEEESE_SE_iNS9_4plusIvEENS9_8equal_toIvEEiEE10hipError_tPvRmT2_T3_T4_T5_mT6_T7_P12ihipStream_tbENKUlT_T0_E_clISt17integral_constantIbLb1EESY_IbLb0EEEEDaSU_SV_EUlSU_E_NS1_11comp_targetILNS1_3genE5ELNS1_11target_archE942ELNS1_3gpuE9ELNS1_3repE0EEENS1_30default_config_static_selectorELNS0_4arch9wavefront6targetE0EEEvT1_.private_seg_size, 0
	.set _ZN7rocprim17ROCPRIM_400000_NS6detail17trampoline_kernelINS0_14default_configENS1_27scan_by_key_config_selectorIxiEEZZNS1_16scan_by_key_implILNS1_25lookback_scan_determinismE0ELb1ES3_N6thrust23THRUST_200600_302600_NS6detail15normal_iteratorINS9_10device_ptrIxEEEESE_SE_iNS9_4plusIvEENS9_8equal_toIvEEiEE10hipError_tPvRmT2_T3_T4_T5_mT6_T7_P12ihipStream_tbENKUlT_T0_E_clISt17integral_constantIbLb1EESY_IbLb0EEEEDaSU_SV_EUlSU_E_NS1_11comp_targetILNS1_3genE5ELNS1_11target_archE942ELNS1_3gpuE9ELNS1_3repE0EEENS1_30default_config_static_selectorELNS0_4arch9wavefront6targetE0EEEvT1_.uses_vcc, 0
	.set _ZN7rocprim17ROCPRIM_400000_NS6detail17trampoline_kernelINS0_14default_configENS1_27scan_by_key_config_selectorIxiEEZZNS1_16scan_by_key_implILNS1_25lookback_scan_determinismE0ELb1ES3_N6thrust23THRUST_200600_302600_NS6detail15normal_iteratorINS9_10device_ptrIxEEEESE_SE_iNS9_4plusIvEENS9_8equal_toIvEEiEE10hipError_tPvRmT2_T3_T4_T5_mT6_T7_P12ihipStream_tbENKUlT_T0_E_clISt17integral_constantIbLb1EESY_IbLb0EEEEDaSU_SV_EUlSU_E_NS1_11comp_targetILNS1_3genE5ELNS1_11target_archE942ELNS1_3gpuE9ELNS1_3repE0EEENS1_30default_config_static_selectorELNS0_4arch9wavefront6targetE0EEEvT1_.uses_flat_scratch, 0
	.set _ZN7rocprim17ROCPRIM_400000_NS6detail17trampoline_kernelINS0_14default_configENS1_27scan_by_key_config_selectorIxiEEZZNS1_16scan_by_key_implILNS1_25lookback_scan_determinismE0ELb1ES3_N6thrust23THRUST_200600_302600_NS6detail15normal_iteratorINS9_10device_ptrIxEEEESE_SE_iNS9_4plusIvEENS9_8equal_toIvEEiEE10hipError_tPvRmT2_T3_T4_T5_mT6_T7_P12ihipStream_tbENKUlT_T0_E_clISt17integral_constantIbLb1EESY_IbLb0EEEEDaSU_SV_EUlSU_E_NS1_11comp_targetILNS1_3genE5ELNS1_11target_archE942ELNS1_3gpuE9ELNS1_3repE0EEENS1_30default_config_static_selectorELNS0_4arch9wavefront6targetE0EEEvT1_.has_dyn_sized_stack, 0
	.set _ZN7rocprim17ROCPRIM_400000_NS6detail17trampoline_kernelINS0_14default_configENS1_27scan_by_key_config_selectorIxiEEZZNS1_16scan_by_key_implILNS1_25lookback_scan_determinismE0ELb1ES3_N6thrust23THRUST_200600_302600_NS6detail15normal_iteratorINS9_10device_ptrIxEEEESE_SE_iNS9_4plusIvEENS9_8equal_toIvEEiEE10hipError_tPvRmT2_T3_T4_T5_mT6_T7_P12ihipStream_tbENKUlT_T0_E_clISt17integral_constantIbLb1EESY_IbLb0EEEEDaSU_SV_EUlSU_E_NS1_11comp_targetILNS1_3genE5ELNS1_11target_archE942ELNS1_3gpuE9ELNS1_3repE0EEENS1_30default_config_static_selectorELNS0_4arch9wavefront6targetE0EEEvT1_.has_recursion, 0
	.set _ZN7rocprim17ROCPRIM_400000_NS6detail17trampoline_kernelINS0_14default_configENS1_27scan_by_key_config_selectorIxiEEZZNS1_16scan_by_key_implILNS1_25lookback_scan_determinismE0ELb1ES3_N6thrust23THRUST_200600_302600_NS6detail15normal_iteratorINS9_10device_ptrIxEEEESE_SE_iNS9_4plusIvEENS9_8equal_toIvEEiEE10hipError_tPvRmT2_T3_T4_T5_mT6_T7_P12ihipStream_tbENKUlT_T0_E_clISt17integral_constantIbLb1EESY_IbLb0EEEEDaSU_SV_EUlSU_E_NS1_11comp_targetILNS1_3genE5ELNS1_11target_archE942ELNS1_3gpuE9ELNS1_3repE0EEENS1_30default_config_static_selectorELNS0_4arch9wavefront6targetE0EEEvT1_.has_indirect_call, 0
	.section	.AMDGPU.csdata,"",@progbits
; Kernel info:
; codeLenInByte = 0
; TotalNumSgprs: 0
; NumVgprs: 0
; ScratchSize: 0
; MemoryBound: 0
; FloatMode: 240
; IeeeMode: 1
; LDSByteSize: 0 bytes/workgroup (compile time only)
; SGPRBlocks: 0
; VGPRBlocks: 0
; NumSGPRsForWavesPerEU: 1
; NumVGPRsForWavesPerEU: 1
; NamedBarCnt: 0
; Occupancy: 16
; WaveLimiterHint : 0
; COMPUTE_PGM_RSRC2:SCRATCH_EN: 0
; COMPUTE_PGM_RSRC2:USER_SGPR: 2
; COMPUTE_PGM_RSRC2:TRAP_HANDLER: 0
; COMPUTE_PGM_RSRC2:TGID_X_EN: 1
; COMPUTE_PGM_RSRC2:TGID_Y_EN: 0
; COMPUTE_PGM_RSRC2:TGID_Z_EN: 0
; COMPUTE_PGM_RSRC2:TIDIG_COMP_CNT: 0
	.section	.text._ZN7rocprim17ROCPRIM_400000_NS6detail17trampoline_kernelINS0_14default_configENS1_27scan_by_key_config_selectorIxiEEZZNS1_16scan_by_key_implILNS1_25lookback_scan_determinismE0ELb1ES3_N6thrust23THRUST_200600_302600_NS6detail15normal_iteratorINS9_10device_ptrIxEEEESE_SE_iNS9_4plusIvEENS9_8equal_toIvEEiEE10hipError_tPvRmT2_T3_T4_T5_mT6_T7_P12ihipStream_tbENKUlT_T0_E_clISt17integral_constantIbLb1EESY_IbLb0EEEEDaSU_SV_EUlSU_E_NS1_11comp_targetILNS1_3genE4ELNS1_11target_archE910ELNS1_3gpuE8ELNS1_3repE0EEENS1_30default_config_static_selectorELNS0_4arch9wavefront6targetE0EEEvT1_,"axG",@progbits,_ZN7rocprim17ROCPRIM_400000_NS6detail17trampoline_kernelINS0_14default_configENS1_27scan_by_key_config_selectorIxiEEZZNS1_16scan_by_key_implILNS1_25lookback_scan_determinismE0ELb1ES3_N6thrust23THRUST_200600_302600_NS6detail15normal_iteratorINS9_10device_ptrIxEEEESE_SE_iNS9_4plusIvEENS9_8equal_toIvEEiEE10hipError_tPvRmT2_T3_T4_T5_mT6_T7_P12ihipStream_tbENKUlT_T0_E_clISt17integral_constantIbLb1EESY_IbLb0EEEEDaSU_SV_EUlSU_E_NS1_11comp_targetILNS1_3genE4ELNS1_11target_archE910ELNS1_3gpuE8ELNS1_3repE0EEENS1_30default_config_static_selectorELNS0_4arch9wavefront6targetE0EEEvT1_,comdat
	.protected	_ZN7rocprim17ROCPRIM_400000_NS6detail17trampoline_kernelINS0_14default_configENS1_27scan_by_key_config_selectorIxiEEZZNS1_16scan_by_key_implILNS1_25lookback_scan_determinismE0ELb1ES3_N6thrust23THRUST_200600_302600_NS6detail15normal_iteratorINS9_10device_ptrIxEEEESE_SE_iNS9_4plusIvEENS9_8equal_toIvEEiEE10hipError_tPvRmT2_T3_T4_T5_mT6_T7_P12ihipStream_tbENKUlT_T0_E_clISt17integral_constantIbLb1EESY_IbLb0EEEEDaSU_SV_EUlSU_E_NS1_11comp_targetILNS1_3genE4ELNS1_11target_archE910ELNS1_3gpuE8ELNS1_3repE0EEENS1_30default_config_static_selectorELNS0_4arch9wavefront6targetE0EEEvT1_ ; -- Begin function _ZN7rocprim17ROCPRIM_400000_NS6detail17trampoline_kernelINS0_14default_configENS1_27scan_by_key_config_selectorIxiEEZZNS1_16scan_by_key_implILNS1_25lookback_scan_determinismE0ELb1ES3_N6thrust23THRUST_200600_302600_NS6detail15normal_iteratorINS9_10device_ptrIxEEEESE_SE_iNS9_4plusIvEENS9_8equal_toIvEEiEE10hipError_tPvRmT2_T3_T4_T5_mT6_T7_P12ihipStream_tbENKUlT_T0_E_clISt17integral_constantIbLb1EESY_IbLb0EEEEDaSU_SV_EUlSU_E_NS1_11comp_targetILNS1_3genE4ELNS1_11target_archE910ELNS1_3gpuE8ELNS1_3repE0EEENS1_30default_config_static_selectorELNS0_4arch9wavefront6targetE0EEEvT1_
	.globl	_ZN7rocprim17ROCPRIM_400000_NS6detail17trampoline_kernelINS0_14default_configENS1_27scan_by_key_config_selectorIxiEEZZNS1_16scan_by_key_implILNS1_25lookback_scan_determinismE0ELb1ES3_N6thrust23THRUST_200600_302600_NS6detail15normal_iteratorINS9_10device_ptrIxEEEESE_SE_iNS9_4plusIvEENS9_8equal_toIvEEiEE10hipError_tPvRmT2_T3_T4_T5_mT6_T7_P12ihipStream_tbENKUlT_T0_E_clISt17integral_constantIbLb1EESY_IbLb0EEEEDaSU_SV_EUlSU_E_NS1_11comp_targetILNS1_3genE4ELNS1_11target_archE910ELNS1_3gpuE8ELNS1_3repE0EEENS1_30default_config_static_selectorELNS0_4arch9wavefront6targetE0EEEvT1_
	.p2align	8
	.type	_ZN7rocprim17ROCPRIM_400000_NS6detail17trampoline_kernelINS0_14default_configENS1_27scan_by_key_config_selectorIxiEEZZNS1_16scan_by_key_implILNS1_25lookback_scan_determinismE0ELb1ES3_N6thrust23THRUST_200600_302600_NS6detail15normal_iteratorINS9_10device_ptrIxEEEESE_SE_iNS9_4plusIvEENS9_8equal_toIvEEiEE10hipError_tPvRmT2_T3_T4_T5_mT6_T7_P12ihipStream_tbENKUlT_T0_E_clISt17integral_constantIbLb1EESY_IbLb0EEEEDaSU_SV_EUlSU_E_NS1_11comp_targetILNS1_3genE4ELNS1_11target_archE910ELNS1_3gpuE8ELNS1_3repE0EEENS1_30default_config_static_selectorELNS0_4arch9wavefront6targetE0EEEvT1_,@function
_ZN7rocprim17ROCPRIM_400000_NS6detail17trampoline_kernelINS0_14default_configENS1_27scan_by_key_config_selectorIxiEEZZNS1_16scan_by_key_implILNS1_25lookback_scan_determinismE0ELb1ES3_N6thrust23THRUST_200600_302600_NS6detail15normal_iteratorINS9_10device_ptrIxEEEESE_SE_iNS9_4plusIvEENS9_8equal_toIvEEiEE10hipError_tPvRmT2_T3_T4_T5_mT6_T7_P12ihipStream_tbENKUlT_T0_E_clISt17integral_constantIbLb1EESY_IbLb0EEEEDaSU_SV_EUlSU_E_NS1_11comp_targetILNS1_3genE4ELNS1_11target_archE910ELNS1_3gpuE8ELNS1_3repE0EEENS1_30default_config_static_selectorELNS0_4arch9wavefront6targetE0EEEvT1_: ; @_ZN7rocprim17ROCPRIM_400000_NS6detail17trampoline_kernelINS0_14default_configENS1_27scan_by_key_config_selectorIxiEEZZNS1_16scan_by_key_implILNS1_25lookback_scan_determinismE0ELb1ES3_N6thrust23THRUST_200600_302600_NS6detail15normal_iteratorINS9_10device_ptrIxEEEESE_SE_iNS9_4plusIvEENS9_8equal_toIvEEiEE10hipError_tPvRmT2_T3_T4_T5_mT6_T7_P12ihipStream_tbENKUlT_T0_E_clISt17integral_constantIbLb1EESY_IbLb0EEEEDaSU_SV_EUlSU_E_NS1_11comp_targetILNS1_3genE4ELNS1_11target_archE910ELNS1_3gpuE8ELNS1_3repE0EEENS1_30default_config_static_selectorELNS0_4arch9wavefront6targetE0EEEvT1_
; %bb.0:
	.section	.rodata,"a",@progbits
	.p2align	6, 0x0
	.amdhsa_kernel _ZN7rocprim17ROCPRIM_400000_NS6detail17trampoline_kernelINS0_14default_configENS1_27scan_by_key_config_selectorIxiEEZZNS1_16scan_by_key_implILNS1_25lookback_scan_determinismE0ELb1ES3_N6thrust23THRUST_200600_302600_NS6detail15normal_iteratorINS9_10device_ptrIxEEEESE_SE_iNS9_4plusIvEENS9_8equal_toIvEEiEE10hipError_tPvRmT2_T3_T4_T5_mT6_T7_P12ihipStream_tbENKUlT_T0_E_clISt17integral_constantIbLb1EESY_IbLb0EEEEDaSU_SV_EUlSU_E_NS1_11comp_targetILNS1_3genE4ELNS1_11target_archE910ELNS1_3gpuE8ELNS1_3repE0EEENS1_30default_config_static_selectorELNS0_4arch9wavefront6targetE0EEEvT1_
		.amdhsa_group_segment_fixed_size 0
		.amdhsa_private_segment_fixed_size 0
		.amdhsa_kernarg_size 112
		.amdhsa_user_sgpr_count 2
		.amdhsa_user_sgpr_dispatch_ptr 0
		.amdhsa_user_sgpr_queue_ptr 0
		.amdhsa_user_sgpr_kernarg_segment_ptr 1
		.amdhsa_user_sgpr_dispatch_id 0
		.amdhsa_user_sgpr_kernarg_preload_length 0
		.amdhsa_user_sgpr_kernarg_preload_offset 0
		.amdhsa_user_sgpr_private_segment_size 0
		.amdhsa_wavefront_size32 1
		.amdhsa_uses_dynamic_stack 0
		.amdhsa_enable_private_segment 0
		.amdhsa_system_sgpr_workgroup_id_x 1
		.amdhsa_system_sgpr_workgroup_id_y 0
		.amdhsa_system_sgpr_workgroup_id_z 0
		.amdhsa_system_sgpr_workgroup_info 0
		.amdhsa_system_vgpr_workitem_id 0
		.amdhsa_next_free_vgpr 1
		.amdhsa_next_free_sgpr 1
		.amdhsa_named_barrier_count 0
		.amdhsa_reserve_vcc 0
		.amdhsa_float_round_mode_32 0
		.amdhsa_float_round_mode_16_64 0
		.amdhsa_float_denorm_mode_32 3
		.amdhsa_float_denorm_mode_16_64 3
		.amdhsa_fp16_overflow 0
		.amdhsa_memory_ordered 1
		.amdhsa_forward_progress 1
		.amdhsa_inst_pref_size 0
		.amdhsa_round_robin_scheduling 0
		.amdhsa_exception_fp_ieee_invalid_op 0
		.amdhsa_exception_fp_denorm_src 0
		.amdhsa_exception_fp_ieee_div_zero 0
		.amdhsa_exception_fp_ieee_overflow 0
		.amdhsa_exception_fp_ieee_underflow 0
		.amdhsa_exception_fp_ieee_inexact 0
		.amdhsa_exception_int_div_zero 0
	.end_amdhsa_kernel
	.section	.text._ZN7rocprim17ROCPRIM_400000_NS6detail17trampoline_kernelINS0_14default_configENS1_27scan_by_key_config_selectorIxiEEZZNS1_16scan_by_key_implILNS1_25lookback_scan_determinismE0ELb1ES3_N6thrust23THRUST_200600_302600_NS6detail15normal_iteratorINS9_10device_ptrIxEEEESE_SE_iNS9_4plusIvEENS9_8equal_toIvEEiEE10hipError_tPvRmT2_T3_T4_T5_mT6_T7_P12ihipStream_tbENKUlT_T0_E_clISt17integral_constantIbLb1EESY_IbLb0EEEEDaSU_SV_EUlSU_E_NS1_11comp_targetILNS1_3genE4ELNS1_11target_archE910ELNS1_3gpuE8ELNS1_3repE0EEENS1_30default_config_static_selectorELNS0_4arch9wavefront6targetE0EEEvT1_,"axG",@progbits,_ZN7rocprim17ROCPRIM_400000_NS6detail17trampoline_kernelINS0_14default_configENS1_27scan_by_key_config_selectorIxiEEZZNS1_16scan_by_key_implILNS1_25lookback_scan_determinismE0ELb1ES3_N6thrust23THRUST_200600_302600_NS6detail15normal_iteratorINS9_10device_ptrIxEEEESE_SE_iNS9_4plusIvEENS9_8equal_toIvEEiEE10hipError_tPvRmT2_T3_T4_T5_mT6_T7_P12ihipStream_tbENKUlT_T0_E_clISt17integral_constantIbLb1EESY_IbLb0EEEEDaSU_SV_EUlSU_E_NS1_11comp_targetILNS1_3genE4ELNS1_11target_archE910ELNS1_3gpuE8ELNS1_3repE0EEENS1_30default_config_static_selectorELNS0_4arch9wavefront6targetE0EEEvT1_,comdat
.Lfunc_end1025:
	.size	_ZN7rocprim17ROCPRIM_400000_NS6detail17trampoline_kernelINS0_14default_configENS1_27scan_by_key_config_selectorIxiEEZZNS1_16scan_by_key_implILNS1_25lookback_scan_determinismE0ELb1ES3_N6thrust23THRUST_200600_302600_NS6detail15normal_iteratorINS9_10device_ptrIxEEEESE_SE_iNS9_4plusIvEENS9_8equal_toIvEEiEE10hipError_tPvRmT2_T3_T4_T5_mT6_T7_P12ihipStream_tbENKUlT_T0_E_clISt17integral_constantIbLb1EESY_IbLb0EEEEDaSU_SV_EUlSU_E_NS1_11comp_targetILNS1_3genE4ELNS1_11target_archE910ELNS1_3gpuE8ELNS1_3repE0EEENS1_30default_config_static_selectorELNS0_4arch9wavefront6targetE0EEEvT1_, .Lfunc_end1025-_ZN7rocprim17ROCPRIM_400000_NS6detail17trampoline_kernelINS0_14default_configENS1_27scan_by_key_config_selectorIxiEEZZNS1_16scan_by_key_implILNS1_25lookback_scan_determinismE0ELb1ES3_N6thrust23THRUST_200600_302600_NS6detail15normal_iteratorINS9_10device_ptrIxEEEESE_SE_iNS9_4plusIvEENS9_8equal_toIvEEiEE10hipError_tPvRmT2_T3_T4_T5_mT6_T7_P12ihipStream_tbENKUlT_T0_E_clISt17integral_constantIbLb1EESY_IbLb0EEEEDaSU_SV_EUlSU_E_NS1_11comp_targetILNS1_3genE4ELNS1_11target_archE910ELNS1_3gpuE8ELNS1_3repE0EEENS1_30default_config_static_selectorELNS0_4arch9wavefront6targetE0EEEvT1_
                                        ; -- End function
	.set _ZN7rocprim17ROCPRIM_400000_NS6detail17trampoline_kernelINS0_14default_configENS1_27scan_by_key_config_selectorIxiEEZZNS1_16scan_by_key_implILNS1_25lookback_scan_determinismE0ELb1ES3_N6thrust23THRUST_200600_302600_NS6detail15normal_iteratorINS9_10device_ptrIxEEEESE_SE_iNS9_4plusIvEENS9_8equal_toIvEEiEE10hipError_tPvRmT2_T3_T4_T5_mT6_T7_P12ihipStream_tbENKUlT_T0_E_clISt17integral_constantIbLb1EESY_IbLb0EEEEDaSU_SV_EUlSU_E_NS1_11comp_targetILNS1_3genE4ELNS1_11target_archE910ELNS1_3gpuE8ELNS1_3repE0EEENS1_30default_config_static_selectorELNS0_4arch9wavefront6targetE0EEEvT1_.num_vgpr, 0
	.set _ZN7rocprim17ROCPRIM_400000_NS6detail17trampoline_kernelINS0_14default_configENS1_27scan_by_key_config_selectorIxiEEZZNS1_16scan_by_key_implILNS1_25lookback_scan_determinismE0ELb1ES3_N6thrust23THRUST_200600_302600_NS6detail15normal_iteratorINS9_10device_ptrIxEEEESE_SE_iNS9_4plusIvEENS9_8equal_toIvEEiEE10hipError_tPvRmT2_T3_T4_T5_mT6_T7_P12ihipStream_tbENKUlT_T0_E_clISt17integral_constantIbLb1EESY_IbLb0EEEEDaSU_SV_EUlSU_E_NS1_11comp_targetILNS1_3genE4ELNS1_11target_archE910ELNS1_3gpuE8ELNS1_3repE0EEENS1_30default_config_static_selectorELNS0_4arch9wavefront6targetE0EEEvT1_.num_agpr, 0
	.set _ZN7rocprim17ROCPRIM_400000_NS6detail17trampoline_kernelINS0_14default_configENS1_27scan_by_key_config_selectorIxiEEZZNS1_16scan_by_key_implILNS1_25lookback_scan_determinismE0ELb1ES3_N6thrust23THRUST_200600_302600_NS6detail15normal_iteratorINS9_10device_ptrIxEEEESE_SE_iNS9_4plusIvEENS9_8equal_toIvEEiEE10hipError_tPvRmT2_T3_T4_T5_mT6_T7_P12ihipStream_tbENKUlT_T0_E_clISt17integral_constantIbLb1EESY_IbLb0EEEEDaSU_SV_EUlSU_E_NS1_11comp_targetILNS1_3genE4ELNS1_11target_archE910ELNS1_3gpuE8ELNS1_3repE0EEENS1_30default_config_static_selectorELNS0_4arch9wavefront6targetE0EEEvT1_.numbered_sgpr, 0
	.set _ZN7rocprim17ROCPRIM_400000_NS6detail17trampoline_kernelINS0_14default_configENS1_27scan_by_key_config_selectorIxiEEZZNS1_16scan_by_key_implILNS1_25lookback_scan_determinismE0ELb1ES3_N6thrust23THRUST_200600_302600_NS6detail15normal_iteratorINS9_10device_ptrIxEEEESE_SE_iNS9_4plusIvEENS9_8equal_toIvEEiEE10hipError_tPvRmT2_T3_T4_T5_mT6_T7_P12ihipStream_tbENKUlT_T0_E_clISt17integral_constantIbLb1EESY_IbLb0EEEEDaSU_SV_EUlSU_E_NS1_11comp_targetILNS1_3genE4ELNS1_11target_archE910ELNS1_3gpuE8ELNS1_3repE0EEENS1_30default_config_static_selectorELNS0_4arch9wavefront6targetE0EEEvT1_.num_named_barrier, 0
	.set _ZN7rocprim17ROCPRIM_400000_NS6detail17trampoline_kernelINS0_14default_configENS1_27scan_by_key_config_selectorIxiEEZZNS1_16scan_by_key_implILNS1_25lookback_scan_determinismE0ELb1ES3_N6thrust23THRUST_200600_302600_NS6detail15normal_iteratorINS9_10device_ptrIxEEEESE_SE_iNS9_4plusIvEENS9_8equal_toIvEEiEE10hipError_tPvRmT2_T3_T4_T5_mT6_T7_P12ihipStream_tbENKUlT_T0_E_clISt17integral_constantIbLb1EESY_IbLb0EEEEDaSU_SV_EUlSU_E_NS1_11comp_targetILNS1_3genE4ELNS1_11target_archE910ELNS1_3gpuE8ELNS1_3repE0EEENS1_30default_config_static_selectorELNS0_4arch9wavefront6targetE0EEEvT1_.private_seg_size, 0
	.set _ZN7rocprim17ROCPRIM_400000_NS6detail17trampoline_kernelINS0_14default_configENS1_27scan_by_key_config_selectorIxiEEZZNS1_16scan_by_key_implILNS1_25lookback_scan_determinismE0ELb1ES3_N6thrust23THRUST_200600_302600_NS6detail15normal_iteratorINS9_10device_ptrIxEEEESE_SE_iNS9_4plusIvEENS9_8equal_toIvEEiEE10hipError_tPvRmT2_T3_T4_T5_mT6_T7_P12ihipStream_tbENKUlT_T0_E_clISt17integral_constantIbLb1EESY_IbLb0EEEEDaSU_SV_EUlSU_E_NS1_11comp_targetILNS1_3genE4ELNS1_11target_archE910ELNS1_3gpuE8ELNS1_3repE0EEENS1_30default_config_static_selectorELNS0_4arch9wavefront6targetE0EEEvT1_.uses_vcc, 0
	.set _ZN7rocprim17ROCPRIM_400000_NS6detail17trampoline_kernelINS0_14default_configENS1_27scan_by_key_config_selectorIxiEEZZNS1_16scan_by_key_implILNS1_25lookback_scan_determinismE0ELb1ES3_N6thrust23THRUST_200600_302600_NS6detail15normal_iteratorINS9_10device_ptrIxEEEESE_SE_iNS9_4plusIvEENS9_8equal_toIvEEiEE10hipError_tPvRmT2_T3_T4_T5_mT6_T7_P12ihipStream_tbENKUlT_T0_E_clISt17integral_constantIbLb1EESY_IbLb0EEEEDaSU_SV_EUlSU_E_NS1_11comp_targetILNS1_3genE4ELNS1_11target_archE910ELNS1_3gpuE8ELNS1_3repE0EEENS1_30default_config_static_selectorELNS0_4arch9wavefront6targetE0EEEvT1_.uses_flat_scratch, 0
	.set _ZN7rocprim17ROCPRIM_400000_NS6detail17trampoline_kernelINS0_14default_configENS1_27scan_by_key_config_selectorIxiEEZZNS1_16scan_by_key_implILNS1_25lookback_scan_determinismE0ELb1ES3_N6thrust23THRUST_200600_302600_NS6detail15normal_iteratorINS9_10device_ptrIxEEEESE_SE_iNS9_4plusIvEENS9_8equal_toIvEEiEE10hipError_tPvRmT2_T3_T4_T5_mT6_T7_P12ihipStream_tbENKUlT_T0_E_clISt17integral_constantIbLb1EESY_IbLb0EEEEDaSU_SV_EUlSU_E_NS1_11comp_targetILNS1_3genE4ELNS1_11target_archE910ELNS1_3gpuE8ELNS1_3repE0EEENS1_30default_config_static_selectorELNS0_4arch9wavefront6targetE0EEEvT1_.has_dyn_sized_stack, 0
	.set _ZN7rocprim17ROCPRIM_400000_NS6detail17trampoline_kernelINS0_14default_configENS1_27scan_by_key_config_selectorIxiEEZZNS1_16scan_by_key_implILNS1_25lookback_scan_determinismE0ELb1ES3_N6thrust23THRUST_200600_302600_NS6detail15normal_iteratorINS9_10device_ptrIxEEEESE_SE_iNS9_4plusIvEENS9_8equal_toIvEEiEE10hipError_tPvRmT2_T3_T4_T5_mT6_T7_P12ihipStream_tbENKUlT_T0_E_clISt17integral_constantIbLb1EESY_IbLb0EEEEDaSU_SV_EUlSU_E_NS1_11comp_targetILNS1_3genE4ELNS1_11target_archE910ELNS1_3gpuE8ELNS1_3repE0EEENS1_30default_config_static_selectorELNS0_4arch9wavefront6targetE0EEEvT1_.has_recursion, 0
	.set _ZN7rocprim17ROCPRIM_400000_NS6detail17trampoline_kernelINS0_14default_configENS1_27scan_by_key_config_selectorIxiEEZZNS1_16scan_by_key_implILNS1_25lookback_scan_determinismE0ELb1ES3_N6thrust23THRUST_200600_302600_NS6detail15normal_iteratorINS9_10device_ptrIxEEEESE_SE_iNS9_4plusIvEENS9_8equal_toIvEEiEE10hipError_tPvRmT2_T3_T4_T5_mT6_T7_P12ihipStream_tbENKUlT_T0_E_clISt17integral_constantIbLb1EESY_IbLb0EEEEDaSU_SV_EUlSU_E_NS1_11comp_targetILNS1_3genE4ELNS1_11target_archE910ELNS1_3gpuE8ELNS1_3repE0EEENS1_30default_config_static_selectorELNS0_4arch9wavefront6targetE0EEEvT1_.has_indirect_call, 0
	.section	.AMDGPU.csdata,"",@progbits
; Kernel info:
; codeLenInByte = 0
; TotalNumSgprs: 0
; NumVgprs: 0
; ScratchSize: 0
; MemoryBound: 0
; FloatMode: 240
; IeeeMode: 1
; LDSByteSize: 0 bytes/workgroup (compile time only)
; SGPRBlocks: 0
; VGPRBlocks: 0
; NumSGPRsForWavesPerEU: 1
; NumVGPRsForWavesPerEU: 1
; NamedBarCnt: 0
; Occupancy: 16
; WaveLimiterHint : 0
; COMPUTE_PGM_RSRC2:SCRATCH_EN: 0
; COMPUTE_PGM_RSRC2:USER_SGPR: 2
; COMPUTE_PGM_RSRC2:TRAP_HANDLER: 0
; COMPUTE_PGM_RSRC2:TGID_X_EN: 1
; COMPUTE_PGM_RSRC2:TGID_Y_EN: 0
; COMPUTE_PGM_RSRC2:TGID_Z_EN: 0
; COMPUTE_PGM_RSRC2:TIDIG_COMP_CNT: 0
	.section	.text._ZN7rocprim17ROCPRIM_400000_NS6detail17trampoline_kernelINS0_14default_configENS1_27scan_by_key_config_selectorIxiEEZZNS1_16scan_by_key_implILNS1_25lookback_scan_determinismE0ELb1ES3_N6thrust23THRUST_200600_302600_NS6detail15normal_iteratorINS9_10device_ptrIxEEEESE_SE_iNS9_4plusIvEENS9_8equal_toIvEEiEE10hipError_tPvRmT2_T3_T4_T5_mT6_T7_P12ihipStream_tbENKUlT_T0_E_clISt17integral_constantIbLb1EESY_IbLb0EEEEDaSU_SV_EUlSU_E_NS1_11comp_targetILNS1_3genE3ELNS1_11target_archE908ELNS1_3gpuE7ELNS1_3repE0EEENS1_30default_config_static_selectorELNS0_4arch9wavefront6targetE0EEEvT1_,"axG",@progbits,_ZN7rocprim17ROCPRIM_400000_NS6detail17trampoline_kernelINS0_14default_configENS1_27scan_by_key_config_selectorIxiEEZZNS1_16scan_by_key_implILNS1_25lookback_scan_determinismE0ELb1ES3_N6thrust23THRUST_200600_302600_NS6detail15normal_iteratorINS9_10device_ptrIxEEEESE_SE_iNS9_4plusIvEENS9_8equal_toIvEEiEE10hipError_tPvRmT2_T3_T4_T5_mT6_T7_P12ihipStream_tbENKUlT_T0_E_clISt17integral_constantIbLb1EESY_IbLb0EEEEDaSU_SV_EUlSU_E_NS1_11comp_targetILNS1_3genE3ELNS1_11target_archE908ELNS1_3gpuE7ELNS1_3repE0EEENS1_30default_config_static_selectorELNS0_4arch9wavefront6targetE0EEEvT1_,comdat
	.protected	_ZN7rocprim17ROCPRIM_400000_NS6detail17trampoline_kernelINS0_14default_configENS1_27scan_by_key_config_selectorIxiEEZZNS1_16scan_by_key_implILNS1_25lookback_scan_determinismE0ELb1ES3_N6thrust23THRUST_200600_302600_NS6detail15normal_iteratorINS9_10device_ptrIxEEEESE_SE_iNS9_4plusIvEENS9_8equal_toIvEEiEE10hipError_tPvRmT2_T3_T4_T5_mT6_T7_P12ihipStream_tbENKUlT_T0_E_clISt17integral_constantIbLb1EESY_IbLb0EEEEDaSU_SV_EUlSU_E_NS1_11comp_targetILNS1_3genE3ELNS1_11target_archE908ELNS1_3gpuE7ELNS1_3repE0EEENS1_30default_config_static_selectorELNS0_4arch9wavefront6targetE0EEEvT1_ ; -- Begin function _ZN7rocprim17ROCPRIM_400000_NS6detail17trampoline_kernelINS0_14default_configENS1_27scan_by_key_config_selectorIxiEEZZNS1_16scan_by_key_implILNS1_25lookback_scan_determinismE0ELb1ES3_N6thrust23THRUST_200600_302600_NS6detail15normal_iteratorINS9_10device_ptrIxEEEESE_SE_iNS9_4plusIvEENS9_8equal_toIvEEiEE10hipError_tPvRmT2_T3_T4_T5_mT6_T7_P12ihipStream_tbENKUlT_T0_E_clISt17integral_constantIbLb1EESY_IbLb0EEEEDaSU_SV_EUlSU_E_NS1_11comp_targetILNS1_3genE3ELNS1_11target_archE908ELNS1_3gpuE7ELNS1_3repE0EEENS1_30default_config_static_selectorELNS0_4arch9wavefront6targetE0EEEvT1_
	.globl	_ZN7rocprim17ROCPRIM_400000_NS6detail17trampoline_kernelINS0_14default_configENS1_27scan_by_key_config_selectorIxiEEZZNS1_16scan_by_key_implILNS1_25lookback_scan_determinismE0ELb1ES3_N6thrust23THRUST_200600_302600_NS6detail15normal_iteratorINS9_10device_ptrIxEEEESE_SE_iNS9_4plusIvEENS9_8equal_toIvEEiEE10hipError_tPvRmT2_T3_T4_T5_mT6_T7_P12ihipStream_tbENKUlT_T0_E_clISt17integral_constantIbLb1EESY_IbLb0EEEEDaSU_SV_EUlSU_E_NS1_11comp_targetILNS1_3genE3ELNS1_11target_archE908ELNS1_3gpuE7ELNS1_3repE0EEENS1_30default_config_static_selectorELNS0_4arch9wavefront6targetE0EEEvT1_
	.p2align	8
	.type	_ZN7rocprim17ROCPRIM_400000_NS6detail17trampoline_kernelINS0_14default_configENS1_27scan_by_key_config_selectorIxiEEZZNS1_16scan_by_key_implILNS1_25lookback_scan_determinismE0ELb1ES3_N6thrust23THRUST_200600_302600_NS6detail15normal_iteratorINS9_10device_ptrIxEEEESE_SE_iNS9_4plusIvEENS9_8equal_toIvEEiEE10hipError_tPvRmT2_T3_T4_T5_mT6_T7_P12ihipStream_tbENKUlT_T0_E_clISt17integral_constantIbLb1EESY_IbLb0EEEEDaSU_SV_EUlSU_E_NS1_11comp_targetILNS1_3genE3ELNS1_11target_archE908ELNS1_3gpuE7ELNS1_3repE0EEENS1_30default_config_static_selectorELNS0_4arch9wavefront6targetE0EEEvT1_,@function
_ZN7rocprim17ROCPRIM_400000_NS6detail17trampoline_kernelINS0_14default_configENS1_27scan_by_key_config_selectorIxiEEZZNS1_16scan_by_key_implILNS1_25lookback_scan_determinismE0ELb1ES3_N6thrust23THRUST_200600_302600_NS6detail15normal_iteratorINS9_10device_ptrIxEEEESE_SE_iNS9_4plusIvEENS9_8equal_toIvEEiEE10hipError_tPvRmT2_T3_T4_T5_mT6_T7_P12ihipStream_tbENKUlT_T0_E_clISt17integral_constantIbLb1EESY_IbLb0EEEEDaSU_SV_EUlSU_E_NS1_11comp_targetILNS1_3genE3ELNS1_11target_archE908ELNS1_3gpuE7ELNS1_3repE0EEENS1_30default_config_static_selectorELNS0_4arch9wavefront6targetE0EEEvT1_: ; @_ZN7rocprim17ROCPRIM_400000_NS6detail17trampoline_kernelINS0_14default_configENS1_27scan_by_key_config_selectorIxiEEZZNS1_16scan_by_key_implILNS1_25lookback_scan_determinismE0ELb1ES3_N6thrust23THRUST_200600_302600_NS6detail15normal_iteratorINS9_10device_ptrIxEEEESE_SE_iNS9_4plusIvEENS9_8equal_toIvEEiEE10hipError_tPvRmT2_T3_T4_T5_mT6_T7_P12ihipStream_tbENKUlT_T0_E_clISt17integral_constantIbLb1EESY_IbLb0EEEEDaSU_SV_EUlSU_E_NS1_11comp_targetILNS1_3genE3ELNS1_11target_archE908ELNS1_3gpuE7ELNS1_3repE0EEENS1_30default_config_static_selectorELNS0_4arch9wavefront6targetE0EEEvT1_
; %bb.0:
	.section	.rodata,"a",@progbits
	.p2align	6, 0x0
	.amdhsa_kernel _ZN7rocprim17ROCPRIM_400000_NS6detail17trampoline_kernelINS0_14default_configENS1_27scan_by_key_config_selectorIxiEEZZNS1_16scan_by_key_implILNS1_25lookback_scan_determinismE0ELb1ES3_N6thrust23THRUST_200600_302600_NS6detail15normal_iteratorINS9_10device_ptrIxEEEESE_SE_iNS9_4plusIvEENS9_8equal_toIvEEiEE10hipError_tPvRmT2_T3_T4_T5_mT6_T7_P12ihipStream_tbENKUlT_T0_E_clISt17integral_constantIbLb1EESY_IbLb0EEEEDaSU_SV_EUlSU_E_NS1_11comp_targetILNS1_3genE3ELNS1_11target_archE908ELNS1_3gpuE7ELNS1_3repE0EEENS1_30default_config_static_selectorELNS0_4arch9wavefront6targetE0EEEvT1_
		.amdhsa_group_segment_fixed_size 0
		.amdhsa_private_segment_fixed_size 0
		.amdhsa_kernarg_size 112
		.amdhsa_user_sgpr_count 2
		.amdhsa_user_sgpr_dispatch_ptr 0
		.amdhsa_user_sgpr_queue_ptr 0
		.amdhsa_user_sgpr_kernarg_segment_ptr 1
		.amdhsa_user_sgpr_dispatch_id 0
		.amdhsa_user_sgpr_kernarg_preload_length 0
		.amdhsa_user_sgpr_kernarg_preload_offset 0
		.amdhsa_user_sgpr_private_segment_size 0
		.amdhsa_wavefront_size32 1
		.amdhsa_uses_dynamic_stack 0
		.amdhsa_enable_private_segment 0
		.amdhsa_system_sgpr_workgroup_id_x 1
		.amdhsa_system_sgpr_workgroup_id_y 0
		.amdhsa_system_sgpr_workgroup_id_z 0
		.amdhsa_system_sgpr_workgroup_info 0
		.amdhsa_system_vgpr_workitem_id 0
		.amdhsa_next_free_vgpr 1
		.amdhsa_next_free_sgpr 1
		.amdhsa_named_barrier_count 0
		.amdhsa_reserve_vcc 0
		.amdhsa_float_round_mode_32 0
		.amdhsa_float_round_mode_16_64 0
		.amdhsa_float_denorm_mode_32 3
		.amdhsa_float_denorm_mode_16_64 3
		.amdhsa_fp16_overflow 0
		.amdhsa_memory_ordered 1
		.amdhsa_forward_progress 1
		.amdhsa_inst_pref_size 0
		.amdhsa_round_robin_scheduling 0
		.amdhsa_exception_fp_ieee_invalid_op 0
		.amdhsa_exception_fp_denorm_src 0
		.amdhsa_exception_fp_ieee_div_zero 0
		.amdhsa_exception_fp_ieee_overflow 0
		.amdhsa_exception_fp_ieee_underflow 0
		.amdhsa_exception_fp_ieee_inexact 0
		.amdhsa_exception_int_div_zero 0
	.end_amdhsa_kernel
	.section	.text._ZN7rocprim17ROCPRIM_400000_NS6detail17trampoline_kernelINS0_14default_configENS1_27scan_by_key_config_selectorIxiEEZZNS1_16scan_by_key_implILNS1_25lookback_scan_determinismE0ELb1ES3_N6thrust23THRUST_200600_302600_NS6detail15normal_iteratorINS9_10device_ptrIxEEEESE_SE_iNS9_4plusIvEENS9_8equal_toIvEEiEE10hipError_tPvRmT2_T3_T4_T5_mT6_T7_P12ihipStream_tbENKUlT_T0_E_clISt17integral_constantIbLb1EESY_IbLb0EEEEDaSU_SV_EUlSU_E_NS1_11comp_targetILNS1_3genE3ELNS1_11target_archE908ELNS1_3gpuE7ELNS1_3repE0EEENS1_30default_config_static_selectorELNS0_4arch9wavefront6targetE0EEEvT1_,"axG",@progbits,_ZN7rocprim17ROCPRIM_400000_NS6detail17trampoline_kernelINS0_14default_configENS1_27scan_by_key_config_selectorIxiEEZZNS1_16scan_by_key_implILNS1_25lookback_scan_determinismE0ELb1ES3_N6thrust23THRUST_200600_302600_NS6detail15normal_iteratorINS9_10device_ptrIxEEEESE_SE_iNS9_4plusIvEENS9_8equal_toIvEEiEE10hipError_tPvRmT2_T3_T4_T5_mT6_T7_P12ihipStream_tbENKUlT_T0_E_clISt17integral_constantIbLb1EESY_IbLb0EEEEDaSU_SV_EUlSU_E_NS1_11comp_targetILNS1_3genE3ELNS1_11target_archE908ELNS1_3gpuE7ELNS1_3repE0EEENS1_30default_config_static_selectorELNS0_4arch9wavefront6targetE0EEEvT1_,comdat
.Lfunc_end1026:
	.size	_ZN7rocprim17ROCPRIM_400000_NS6detail17trampoline_kernelINS0_14default_configENS1_27scan_by_key_config_selectorIxiEEZZNS1_16scan_by_key_implILNS1_25lookback_scan_determinismE0ELb1ES3_N6thrust23THRUST_200600_302600_NS6detail15normal_iteratorINS9_10device_ptrIxEEEESE_SE_iNS9_4plusIvEENS9_8equal_toIvEEiEE10hipError_tPvRmT2_T3_T4_T5_mT6_T7_P12ihipStream_tbENKUlT_T0_E_clISt17integral_constantIbLb1EESY_IbLb0EEEEDaSU_SV_EUlSU_E_NS1_11comp_targetILNS1_3genE3ELNS1_11target_archE908ELNS1_3gpuE7ELNS1_3repE0EEENS1_30default_config_static_selectorELNS0_4arch9wavefront6targetE0EEEvT1_, .Lfunc_end1026-_ZN7rocprim17ROCPRIM_400000_NS6detail17trampoline_kernelINS0_14default_configENS1_27scan_by_key_config_selectorIxiEEZZNS1_16scan_by_key_implILNS1_25lookback_scan_determinismE0ELb1ES3_N6thrust23THRUST_200600_302600_NS6detail15normal_iteratorINS9_10device_ptrIxEEEESE_SE_iNS9_4plusIvEENS9_8equal_toIvEEiEE10hipError_tPvRmT2_T3_T4_T5_mT6_T7_P12ihipStream_tbENKUlT_T0_E_clISt17integral_constantIbLb1EESY_IbLb0EEEEDaSU_SV_EUlSU_E_NS1_11comp_targetILNS1_3genE3ELNS1_11target_archE908ELNS1_3gpuE7ELNS1_3repE0EEENS1_30default_config_static_selectorELNS0_4arch9wavefront6targetE0EEEvT1_
                                        ; -- End function
	.set _ZN7rocprim17ROCPRIM_400000_NS6detail17trampoline_kernelINS0_14default_configENS1_27scan_by_key_config_selectorIxiEEZZNS1_16scan_by_key_implILNS1_25lookback_scan_determinismE0ELb1ES3_N6thrust23THRUST_200600_302600_NS6detail15normal_iteratorINS9_10device_ptrIxEEEESE_SE_iNS9_4plusIvEENS9_8equal_toIvEEiEE10hipError_tPvRmT2_T3_T4_T5_mT6_T7_P12ihipStream_tbENKUlT_T0_E_clISt17integral_constantIbLb1EESY_IbLb0EEEEDaSU_SV_EUlSU_E_NS1_11comp_targetILNS1_3genE3ELNS1_11target_archE908ELNS1_3gpuE7ELNS1_3repE0EEENS1_30default_config_static_selectorELNS0_4arch9wavefront6targetE0EEEvT1_.num_vgpr, 0
	.set _ZN7rocprim17ROCPRIM_400000_NS6detail17trampoline_kernelINS0_14default_configENS1_27scan_by_key_config_selectorIxiEEZZNS1_16scan_by_key_implILNS1_25lookback_scan_determinismE0ELb1ES3_N6thrust23THRUST_200600_302600_NS6detail15normal_iteratorINS9_10device_ptrIxEEEESE_SE_iNS9_4plusIvEENS9_8equal_toIvEEiEE10hipError_tPvRmT2_T3_T4_T5_mT6_T7_P12ihipStream_tbENKUlT_T0_E_clISt17integral_constantIbLb1EESY_IbLb0EEEEDaSU_SV_EUlSU_E_NS1_11comp_targetILNS1_3genE3ELNS1_11target_archE908ELNS1_3gpuE7ELNS1_3repE0EEENS1_30default_config_static_selectorELNS0_4arch9wavefront6targetE0EEEvT1_.num_agpr, 0
	.set _ZN7rocprim17ROCPRIM_400000_NS6detail17trampoline_kernelINS0_14default_configENS1_27scan_by_key_config_selectorIxiEEZZNS1_16scan_by_key_implILNS1_25lookback_scan_determinismE0ELb1ES3_N6thrust23THRUST_200600_302600_NS6detail15normal_iteratorINS9_10device_ptrIxEEEESE_SE_iNS9_4plusIvEENS9_8equal_toIvEEiEE10hipError_tPvRmT2_T3_T4_T5_mT6_T7_P12ihipStream_tbENKUlT_T0_E_clISt17integral_constantIbLb1EESY_IbLb0EEEEDaSU_SV_EUlSU_E_NS1_11comp_targetILNS1_3genE3ELNS1_11target_archE908ELNS1_3gpuE7ELNS1_3repE0EEENS1_30default_config_static_selectorELNS0_4arch9wavefront6targetE0EEEvT1_.numbered_sgpr, 0
	.set _ZN7rocprim17ROCPRIM_400000_NS6detail17trampoline_kernelINS0_14default_configENS1_27scan_by_key_config_selectorIxiEEZZNS1_16scan_by_key_implILNS1_25lookback_scan_determinismE0ELb1ES3_N6thrust23THRUST_200600_302600_NS6detail15normal_iteratorINS9_10device_ptrIxEEEESE_SE_iNS9_4plusIvEENS9_8equal_toIvEEiEE10hipError_tPvRmT2_T3_T4_T5_mT6_T7_P12ihipStream_tbENKUlT_T0_E_clISt17integral_constantIbLb1EESY_IbLb0EEEEDaSU_SV_EUlSU_E_NS1_11comp_targetILNS1_3genE3ELNS1_11target_archE908ELNS1_3gpuE7ELNS1_3repE0EEENS1_30default_config_static_selectorELNS0_4arch9wavefront6targetE0EEEvT1_.num_named_barrier, 0
	.set _ZN7rocprim17ROCPRIM_400000_NS6detail17trampoline_kernelINS0_14default_configENS1_27scan_by_key_config_selectorIxiEEZZNS1_16scan_by_key_implILNS1_25lookback_scan_determinismE0ELb1ES3_N6thrust23THRUST_200600_302600_NS6detail15normal_iteratorINS9_10device_ptrIxEEEESE_SE_iNS9_4plusIvEENS9_8equal_toIvEEiEE10hipError_tPvRmT2_T3_T4_T5_mT6_T7_P12ihipStream_tbENKUlT_T0_E_clISt17integral_constantIbLb1EESY_IbLb0EEEEDaSU_SV_EUlSU_E_NS1_11comp_targetILNS1_3genE3ELNS1_11target_archE908ELNS1_3gpuE7ELNS1_3repE0EEENS1_30default_config_static_selectorELNS0_4arch9wavefront6targetE0EEEvT1_.private_seg_size, 0
	.set _ZN7rocprim17ROCPRIM_400000_NS6detail17trampoline_kernelINS0_14default_configENS1_27scan_by_key_config_selectorIxiEEZZNS1_16scan_by_key_implILNS1_25lookback_scan_determinismE0ELb1ES3_N6thrust23THRUST_200600_302600_NS6detail15normal_iteratorINS9_10device_ptrIxEEEESE_SE_iNS9_4plusIvEENS9_8equal_toIvEEiEE10hipError_tPvRmT2_T3_T4_T5_mT6_T7_P12ihipStream_tbENKUlT_T0_E_clISt17integral_constantIbLb1EESY_IbLb0EEEEDaSU_SV_EUlSU_E_NS1_11comp_targetILNS1_3genE3ELNS1_11target_archE908ELNS1_3gpuE7ELNS1_3repE0EEENS1_30default_config_static_selectorELNS0_4arch9wavefront6targetE0EEEvT1_.uses_vcc, 0
	.set _ZN7rocprim17ROCPRIM_400000_NS6detail17trampoline_kernelINS0_14default_configENS1_27scan_by_key_config_selectorIxiEEZZNS1_16scan_by_key_implILNS1_25lookback_scan_determinismE0ELb1ES3_N6thrust23THRUST_200600_302600_NS6detail15normal_iteratorINS9_10device_ptrIxEEEESE_SE_iNS9_4plusIvEENS9_8equal_toIvEEiEE10hipError_tPvRmT2_T3_T4_T5_mT6_T7_P12ihipStream_tbENKUlT_T0_E_clISt17integral_constantIbLb1EESY_IbLb0EEEEDaSU_SV_EUlSU_E_NS1_11comp_targetILNS1_3genE3ELNS1_11target_archE908ELNS1_3gpuE7ELNS1_3repE0EEENS1_30default_config_static_selectorELNS0_4arch9wavefront6targetE0EEEvT1_.uses_flat_scratch, 0
	.set _ZN7rocprim17ROCPRIM_400000_NS6detail17trampoline_kernelINS0_14default_configENS1_27scan_by_key_config_selectorIxiEEZZNS1_16scan_by_key_implILNS1_25lookback_scan_determinismE0ELb1ES3_N6thrust23THRUST_200600_302600_NS6detail15normal_iteratorINS9_10device_ptrIxEEEESE_SE_iNS9_4plusIvEENS9_8equal_toIvEEiEE10hipError_tPvRmT2_T3_T4_T5_mT6_T7_P12ihipStream_tbENKUlT_T0_E_clISt17integral_constantIbLb1EESY_IbLb0EEEEDaSU_SV_EUlSU_E_NS1_11comp_targetILNS1_3genE3ELNS1_11target_archE908ELNS1_3gpuE7ELNS1_3repE0EEENS1_30default_config_static_selectorELNS0_4arch9wavefront6targetE0EEEvT1_.has_dyn_sized_stack, 0
	.set _ZN7rocprim17ROCPRIM_400000_NS6detail17trampoline_kernelINS0_14default_configENS1_27scan_by_key_config_selectorIxiEEZZNS1_16scan_by_key_implILNS1_25lookback_scan_determinismE0ELb1ES3_N6thrust23THRUST_200600_302600_NS6detail15normal_iteratorINS9_10device_ptrIxEEEESE_SE_iNS9_4plusIvEENS9_8equal_toIvEEiEE10hipError_tPvRmT2_T3_T4_T5_mT6_T7_P12ihipStream_tbENKUlT_T0_E_clISt17integral_constantIbLb1EESY_IbLb0EEEEDaSU_SV_EUlSU_E_NS1_11comp_targetILNS1_3genE3ELNS1_11target_archE908ELNS1_3gpuE7ELNS1_3repE0EEENS1_30default_config_static_selectorELNS0_4arch9wavefront6targetE0EEEvT1_.has_recursion, 0
	.set _ZN7rocprim17ROCPRIM_400000_NS6detail17trampoline_kernelINS0_14default_configENS1_27scan_by_key_config_selectorIxiEEZZNS1_16scan_by_key_implILNS1_25lookback_scan_determinismE0ELb1ES3_N6thrust23THRUST_200600_302600_NS6detail15normal_iteratorINS9_10device_ptrIxEEEESE_SE_iNS9_4plusIvEENS9_8equal_toIvEEiEE10hipError_tPvRmT2_T3_T4_T5_mT6_T7_P12ihipStream_tbENKUlT_T0_E_clISt17integral_constantIbLb1EESY_IbLb0EEEEDaSU_SV_EUlSU_E_NS1_11comp_targetILNS1_3genE3ELNS1_11target_archE908ELNS1_3gpuE7ELNS1_3repE0EEENS1_30default_config_static_selectorELNS0_4arch9wavefront6targetE0EEEvT1_.has_indirect_call, 0
	.section	.AMDGPU.csdata,"",@progbits
; Kernel info:
; codeLenInByte = 0
; TotalNumSgprs: 0
; NumVgprs: 0
; ScratchSize: 0
; MemoryBound: 0
; FloatMode: 240
; IeeeMode: 1
; LDSByteSize: 0 bytes/workgroup (compile time only)
; SGPRBlocks: 0
; VGPRBlocks: 0
; NumSGPRsForWavesPerEU: 1
; NumVGPRsForWavesPerEU: 1
; NamedBarCnt: 0
; Occupancy: 16
; WaveLimiterHint : 0
; COMPUTE_PGM_RSRC2:SCRATCH_EN: 0
; COMPUTE_PGM_RSRC2:USER_SGPR: 2
; COMPUTE_PGM_RSRC2:TRAP_HANDLER: 0
; COMPUTE_PGM_RSRC2:TGID_X_EN: 1
; COMPUTE_PGM_RSRC2:TGID_Y_EN: 0
; COMPUTE_PGM_RSRC2:TGID_Z_EN: 0
; COMPUTE_PGM_RSRC2:TIDIG_COMP_CNT: 0
	.section	.text._ZN7rocprim17ROCPRIM_400000_NS6detail17trampoline_kernelINS0_14default_configENS1_27scan_by_key_config_selectorIxiEEZZNS1_16scan_by_key_implILNS1_25lookback_scan_determinismE0ELb1ES3_N6thrust23THRUST_200600_302600_NS6detail15normal_iteratorINS9_10device_ptrIxEEEESE_SE_iNS9_4plusIvEENS9_8equal_toIvEEiEE10hipError_tPvRmT2_T3_T4_T5_mT6_T7_P12ihipStream_tbENKUlT_T0_E_clISt17integral_constantIbLb1EESY_IbLb0EEEEDaSU_SV_EUlSU_E_NS1_11comp_targetILNS1_3genE2ELNS1_11target_archE906ELNS1_3gpuE6ELNS1_3repE0EEENS1_30default_config_static_selectorELNS0_4arch9wavefront6targetE0EEEvT1_,"axG",@progbits,_ZN7rocprim17ROCPRIM_400000_NS6detail17trampoline_kernelINS0_14default_configENS1_27scan_by_key_config_selectorIxiEEZZNS1_16scan_by_key_implILNS1_25lookback_scan_determinismE0ELb1ES3_N6thrust23THRUST_200600_302600_NS6detail15normal_iteratorINS9_10device_ptrIxEEEESE_SE_iNS9_4plusIvEENS9_8equal_toIvEEiEE10hipError_tPvRmT2_T3_T4_T5_mT6_T7_P12ihipStream_tbENKUlT_T0_E_clISt17integral_constantIbLb1EESY_IbLb0EEEEDaSU_SV_EUlSU_E_NS1_11comp_targetILNS1_3genE2ELNS1_11target_archE906ELNS1_3gpuE6ELNS1_3repE0EEENS1_30default_config_static_selectorELNS0_4arch9wavefront6targetE0EEEvT1_,comdat
	.protected	_ZN7rocprim17ROCPRIM_400000_NS6detail17trampoline_kernelINS0_14default_configENS1_27scan_by_key_config_selectorIxiEEZZNS1_16scan_by_key_implILNS1_25lookback_scan_determinismE0ELb1ES3_N6thrust23THRUST_200600_302600_NS6detail15normal_iteratorINS9_10device_ptrIxEEEESE_SE_iNS9_4plusIvEENS9_8equal_toIvEEiEE10hipError_tPvRmT2_T3_T4_T5_mT6_T7_P12ihipStream_tbENKUlT_T0_E_clISt17integral_constantIbLb1EESY_IbLb0EEEEDaSU_SV_EUlSU_E_NS1_11comp_targetILNS1_3genE2ELNS1_11target_archE906ELNS1_3gpuE6ELNS1_3repE0EEENS1_30default_config_static_selectorELNS0_4arch9wavefront6targetE0EEEvT1_ ; -- Begin function _ZN7rocprim17ROCPRIM_400000_NS6detail17trampoline_kernelINS0_14default_configENS1_27scan_by_key_config_selectorIxiEEZZNS1_16scan_by_key_implILNS1_25lookback_scan_determinismE0ELb1ES3_N6thrust23THRUST_200600_302600_NS6detail15normal_iteratorINS9_10device_ptrIxEEEESE_SE_iNS9_4plusIvEENS9_8equal_toIvEEiEE10hipError_tPvRmT2_T3_T4_T5_mT6_T7_P12ihipStream_tbENKUlT_T0_E_clISt17integral_constantIbLb1EESY_IbLb0EEEEDaSU_SV_EUlSU_E_NS1_11comp_targetILNS1_3genE2ELNS1_11target_archE906ELNS1_3gpuE6ELNS1_3repE0EEENS1_30default_config_static_selectorELNS0_4arch9wavefront6targetE0EEEvT1_
	.globl	_ZN7rocprim17ROCPRIM_400000_NS6detail17trampoline_kernelINS0_14default_configENS1_27scan_by_key_config_selectorIxiEEZZNS1_16scan_by_key_implILNS1_25lookback_scan_determinismE0ELb1ES3_N6thrust23THRUST_200600_302600_NS6detail15normal_iteratorINS9_10device_ptrIxEEEESE_SE_iNS9_4plusIvEENS9_8equal_toIvEEiEE10hipError_tPvRmT2_T3_T4_T5_mT6_T7_P12ihipStream_tbENKUlT_T0_E_clISt17integral_constantIbLb1EESY_IbLb0EEEEDaSU_SV_EUlSU_E_NS1_11comp_targetILNS1_3genE2ELNS1_11target_archE906ELNS1_3gpuE6ELNS1_3repE0EEENS1_30default_config_static_selectorELNS0_4arch9wavefront6targetE0EEEvT1_
	.p2align	8
	.type	_ZN7rocprim17ROCPRIM_400000_NS6detail17trampoline_kernelINS0_14default_configENS1_27scan_by_key_config_selectorIxiEEZZNS1_16scan_by_key_implILNS1_25lookback_scan_determinismE0ELb1ES3_N6thrust23THRUST_200600_302600_NS6detail15normal_iteratorINS9_10device_ptrIxEEEESE_SE_iNS9_4plusIvEENS9_8equal_toIvEEiEE10hipError_tPvRmT2_T3_T4_T5_mT6_T7_P12ihipStream_tbENKUlT_T0_E_clISt17integral_constantIbLb1EESY_IbLb0EEEEDaSU_SV_EUlSU_E_NS1_11comp_targetILNS1_3genE2ELNS1_11target_archE906ELNS1_3gpuE6ELNS1_3repE0EEENS1_30default_config_static_selectorELNS0_4arch9wavefront6targetE0EEEvT1_,@function
_ZN7rocprim17ROCPRIM_400000_NS6detail17trampoline_kernelINS0_14default_configENS1_27scan_by_key_config_selectorIxiEEZZNS1_16scan_by_key_implILNS1_25lookback_scan_determinismE0ELb1ES3_N6thrust23THRUST_200600_302600_NS6detail15normal_iteratorINS9_10device_ptrIxEEEESE_SE_iNS9_4plusIvEENS9_8equal_toIvEEiEE10hipError_tPvRmT2_T3_T4_T5_mT6_T7_P12ihipStream_tbENKUlT_T0_E_clISt17integral_constantIbLb1EESY_IbLb0EEEEDaSU_SV_EUlSU_E_NS1_11comp_targetILNS1_3genE2ELNS1_11target_archE906ELNS1_3gpuE6ELNS1_3repE0EEENS1_30default_config_static_selectorELNS0_4arch9wavefront6targetE0EEEvT1_: ; @_ZN7rocprim17ROCPRIM_400000_NS6detail17trampoline_kernelINS0_14default_configENS1_27scan_by_key_config_selectorIxiEEZZNS1_16scan_by_key_implILNS1_25lookback_scan_determinismE0ELb1ES3_N6thrust23THRUST_200600_302600_NS6detail15normal_iteratorINS9_10device_ptrIxEEEESE_SE_iNS9_4plusIvEENS9_8equal_toIvEEiEE10hipError_tPvRmT2_T3_T4_T5_mT6_T7_P12ihipStream_tbENKUlT_T0_E_clISt17integral_constantIbLb1EESY_IbLb0EEEEDaSU_SV_EUlSU_E_NS1_11comp_targetILNS1_3genE2ELNS1_11target_archE906ELNS1_3gpuE6ELNS1_3repE0EEENS1_30default_config_static_selectorELNS0_4arch9wavefront6targetE0EEEvT1_
; %bb.0:
	.section	.rodata,"a",@progbits
	.p2align	6, 0x0
	.amdhsa_kernel _ZN7rocprim17ROCPRIM_400000_NS6detail17trampoline_kernelINS0_14default_configENS1_27scan_by_key_config_selectorIxiEEZZNS1_16scan_by_key_implILNS1_25lookback_scan_determinismE0ELb1ES3_N6thrust23THRUST_200600_302600_NS6detail15normal_iteratorINS9_10device_ptrIxEEEESE_SE_iNS9_4plusIvEENS9_8equal_toIvEEiEE10hipError_tPvRmT2_T3_T4_T5_mT6_T7_P12ihipStream_tbENKUlT_T0_E_clISt17integral_constantIbLb1EESY_IbLb0EEEEDaSU_SV_EUlSU_E_NS1_11comp_targetILNS1_3genE2ELNS1_11target_archE906ELNS1_3gpuE6ELNS1_3repE0EEENS1_30default_config_static_selectorELNS0_4arch9wavefront6targetE0EEEvT1_
		.amdhsa_group_segment_fixed_size 0
		.amdhsa_private_segment_fixed_size 0
		.amdhsa_kernarg_size 112
		.amdhsa_user_sgpr_count 2
		.amdhsa_user_sgpr_dispatch_ptr 0
		.amdhsa_user_sgpr_queue_ptr 0
		.amdhsa_user_sgpr_kernarg_segment_ptr 1
		.amdhsa_user_sgpr_dispatch_id 0
		.amdhsa_user_sgpr_kernarg_preload_length 0
		.amdhsa_user_sgpr_kernarg_preload_offset 0
		.amdhsa_user_sgpr_private_segment_size 0
		.amdhsa_wavefront_size32 1
		.amdhsa_uses_dynamic_stack 0
		.amdhsa_enable_private_segment 0
		.amdhsa_system_sgpr_workgroup_id_x 1
		.amdhsa_system_sgpr_workgroup_id_y 0
		.amdhsa_system_sgpr_workgroup_id_z 0
		.amdhsa_system_sgpr_workgroup_info 0
		.amdhsa_system_vgpr_workitem_id 0
		.amdhsa_next_free_vgpr 1
		.amdhsa_next_free_sgpr 1
		.amdhsa_named_barrier_count 0
		.amdhsa_reserve_vcc 0
		.amdhsa_float_round_mode_32 0
		.amdhsa_float_round_mode_16_64 0
		.amdhsa_float_denorm_mode_32 3
		.amdhsa_float_denorm_mode_16_64 3
		.amdhsa_fp16_overflow 0
		.amdhsa_memory_ordered 1
		.amdhsa_forward_progress 1
		.amdhsa_inst_pref_size 0
		.amdhsa_round_robin_scheduling 0
		.amdhsa_exception_fp_ieee_invalid_op 0
		.amdhsa_exception_fp_denorm_src 0
		.amdhsa_exception_fp_ieee_div_zero 0
		.amdhsa_exception_fp_ieee_overflow 0
		.amdhsa_exception_fp_ieee_underflow 0
		.amdhsa_exception_fp_ieee_inexact 0
		.amdhsa_exception_int_div_zero 0
	.end_amdhsa_kernel
	.section	.text._ZN7rocprim17ROCPRIM_400000_NS6detail17trampoline_kernelINS0_14default_configENS1_27scan_by_key_config_selectorIxiEEZZNS1_16scan_by_key_implILNS1_25lookback_scan_determinismE0ELb1ES3_N6thrust23THRUST_200600_302600_NS6detail15normal_iteratorINS9_10device_ptrIxEEEESE_SE_iNS9_4plusIvEENS9_8equal_toIvEEiEE10hipError_tPvRmT2_T3_T4_T5_mT6_T7_P12ihipStream_tbENKUlT_T0_E_clISt17integral_constantIbLb1EESY_IbLb0EEEEDaSU_SV_EUlSU_E_NS1_11comp_targetILNS1_3genE2ELNS1_11target_archE906ELNS1_3gpuE6ELNS1_3repE0EEENS1_30default_config_static_selectorELNS0_4arch9wavefront6targetE0EEEvT1_,"axG",@progbits,_ZN7rocprim17ROCPRIM_400000_NS6detail17trampoline_kernelINS0_14default_configENS1_27scan_by_key_config_selectorIxiEEZZNS1_16scan_by_key_implILNS1_25lookback_scan_determinismE0ELb1ES3_N6thrust23THRUST_200600_302600_NS6detail15normal_iteratorINS9_10device_ptrIxEEEESE_SE_iNS9_4plusIvEENS9_8equal_toIvEEiEE10hipError_tPvRmT2_T3_T4_T5_mT6_T7_P12ihipStream_tbENKUlT_T0_E_clISt17integral_constantIbLb1EESY_IbLb0EEEEDaSU_SV_EUlSU_E_NS1_11comp_targetILNS1_3genE2ELNS1_11target_archE906ELNS1_3gpuE6ELNS1_3repE0EEENS1_30default_config_static_selectorELNS0_4arch9wavefront6targetE0EEEvT1_,comdat
.Lfunc_end1027:
	.size	_ZN7rocprim17ROCPRIM_400000_NS6detail17trampoline_kernelINS0_14default_configENS1_27scan_by_key_config_selectorIxiEEZZNS1_16scan_by_key_implILNS1_25lookback_scan_determinismE0ELb1ES3_N6thrust23THRUST_200600_302600_NS6detail15normal_iteratorINS9_10device_ptrIxEEEESE_SE_iNS9_4plusIvEENS9_8equal_toIvEEiEE10hipError_tPvRmT2_T3_T4_T5_mT6_T7_P12ihipStream_tbENKUlT_T0_E_clISt17integral_constantIbLb1EESY_IbLb0EEEEDaSU_SV_EUlSU_E_NS1_11comp_targetILNS1_3genE2ELNS1_11target_archE906ELNS1_3gpuE6ELNS1_3repE0EEENS1_30default_config_static_selectorELNS0_4arch9wavefront6targetE0EEEvT1_, .Lfunc_end1027-_ZN7rocprim17ROCPRIM_400000_NS6detail17trampoline_kernelINS0_14default_configENS1_27scan_by_key_config_selectorIxiEEZZNS1_16scan_by_key_implILNS1_25lookback_scan_determinismE0ELb1ES3_N6thrust23THRUST_200600_302600_NS6detail15normal_iteratorINS9_10device_ptrIxEEEESE_SE_iNS9_4plusIvEENS9_8equal_toIvEEiEE10hipError_tPvRmT2_T3_T4_T5_mT6_T7_P12ihipStream_tbENKUlT_T0_E_clISt17integral_constantIbLb1EESY_IbLb0EEEEDaSU_SV_EUlSU_E_NS1_11comp_targetILNS1_3genE2ELNS1_11target_archE906ELNS1_3gpuE6ELNS1_3repE0EEENS1_30default_config_static_selectorELNS0_4arch9wavefront6targetE0EEEvT1_
                                        ; -- End function
	.set _ZN7rocprim17ROCPRIM_400000_NS6detail17trampoline_kernelINS0_14default_configENS1_27scan_by_key_config_selectorIxiEEZZNS1_16scan_by_key_implILNS1_25lookback_scan_determinismE0ELb1ES3_N6thrust23THRUST_200600_302600_NS6detail15normal_iteratorINS9_10device_ptrIxEEEESE_SE_iNS9_4plusIvEENS9_8equal_toIvEEiEE10hipError_tPvRmT2_T3_T4_T5_mT6_T7_P12ihipStream_tbENKUlT_T0_E_clISt17integral_constantIbLb1EESY_IbLb0EEEEDaSU_SV_EUlSU_E_NS1_11comp_targetILNS1_3genE2ELNS1_11target_archE906ELNS1_3gpuE6ELNS1_3repE0EEENS1_30default_config_static_selectorELNS0_4arch9wavefront6targetE0EEEvT1_.num_vgpr, 0
	.set _ZN7rocprim17ROCPRIM_400000_NS6detail17trampoline_kernelINS0_14default_configENS1_27scan_by_key_config_selectorIxiEEZZNS1_16scan_by_key_implILNS1_25lookback_scan_determinismE0ELb1ES3_N6thrust23THRUST_200600_302600_NS6detail15normal_iteratorINS9_10device_ptrIxEEEESE_SE_iNS9_4plusIvEENS9_8equal_toIvEEiEE10hipError_tPvRmT2_T3_T4_T5_mT6_T7_P12ihipStream_tbENKUlT_T0_E_clISt17integral_constantIbLb1EESY_IbLb0EEEEDaSU_SV_EUlSU_E_NS1_11comp_targetILNS1_3genE2ELNS1_11target_archE906ELNS1_3gpuE6ELNS1_3repE0EEENS1_30default_config_static_selectorELNS0_4arch9wavefront6targetE0EEEvT1_.num_agpr, 0
	.set _ZN7rocprim17ROCPRIM_400000_NS6detail17trampoline_kernelINS0_14default_configENS1_27scan_by_key_config_selectorIxiEEZZNS1_16scan_by_key_implILNS1_25lookback_scan_determinismE0ELb1ES3_N6thrust23THRUST_200600_302600_NS6detail15normal_iteratorINS9_10device_ptrIxEEEESE_SE_iNS9_4plusIvEENS9_8equal_toIvEEiEE10hipError_tPvRmT2_T3_T4_T5_mT6_T7_P12ihipStream_tbENKUlT_T0_E_clISt17integral_constantIbLb1EESY_IbLb0EEEEDaSU_SV_EUlSU_E_NS1_11comp_targetILNS1_3genE2ELNS1_11target_archE906ELNS1_3gpuE6ELNS1_3repE0EEENS1_30default_config_static_selectorELNS0_4arch9wavefront6targetE0EEEvT1_.numbered_sgpr, 0
	.set _ZN7rocprim17ROCPRIM_400000_NS6detail17trampoline_kernelINS0_14default_configENS1_27scan_by_key_config_selectorIxiEEZZNS1_16scan_by_key_implILNS1_25lookback_scan_determinismE0ELb1ES3_N6thrust23THRUST_200600_302600_NS6detail15normal_iteratorINS9_10device_ptrIxEEEESE_SE_iNS9_4plusIvEENS9_8equal_toIvEEiEE10hipError_tPvRmT2_T3_T4_T5_mT6_T7_P12ihipStream_tbENKUlT_T0_E_clISt17integral_constantIbLb1EESY_IbLb0EEEEDaSU_SV_EUlSU_E_NS1_11comp_targetILNS1_3genE2ELNS1_11target_archE906ELNS1_3gpuE6ELNS1_3repE0EEENS1_30default_config_static_selectorELNS0_4arch9wavefront6targetE0EEEvT1_.num_named_barrier, 0
	.set _ZN7rocprim17ROCPRIM_400000_NS6detail17trampoline_kernelINS0_14default_configENS1_27scan_by_key_config_selectorIxiEEZZNS1_16scan_by_key_implILNS1_25lookback_scan_determinismE0ELb1ES3_N6thrust23THRUST_200600_302600_NS6detail15normal_iteratorINS9_10device_ptrIxEEEESE_SE_iNS9_4plusIvEENS9_8equal_toIvEEiEE10hipError_tPvRmT2_T3_T4_T5_mT6_T7_P12ihipStream_tbENKUlT_T0_E_clISt17integral_constantIbLb1EESY_IbLb0EEEEDaSU_SV_EUlSU_E_NS1_11comp_targetILNS1_3genE2ELNS1_11target_archE906ELNS1_3gpuE6ELNS1_3repE0EEENS1_30default_config_static_selectorELNS0_4arch9wavefront6targetE0EEEvT1_.private_seg_size, 0
	.set _ZN7rocprim17ROCPRIM_400000_NS6detail17trampoline_kernelINS0_14default_configENS1_27scan_by_key_config_selectorIxiEEZZNS1_16scan_by_key_implILNS1_25lookback_scan_determinismE0ELb1ES3_N6thrust23THRUST_200600_302600_NS6detail15normal_iteratorINS9_10device_ptrIxEEEESE_SE_iNS9_4plusIvEENS9_8equal_toIvEEiEE10hipError_tPvRmT2_T3_T4_T5_mT6_T7_P12ihipStream_tbENKUlT_T0_E_clISt17integral_constantIbLb1EESY_IbLb0EEEEDaSU_SV_EUlSU_E_NS1_11comp_targetILNS1_3genE2ELNS1_11target_archE906ELNS1_3gpuE6ELNS1_3repE0EEENS1_30default_config_static_selectorELNS0_4arch9wavefront6targetE0EEEvT1_.uses_vcc, 0
	.set _ZN7rocprim17ROCPRIM_400000_NS6detail17trampoline_kernelINS0_14default_configENS1_27scan_by_key_config_selectorIxiEEZZNS1_16scan_by_key_implILNS1_25lookback_scan_determinismE0ELb1ES3_N6thrust23THRUST_200600_302600_NS6detail15normal_iteratorINS9_10device_ptrIxEEEESE_SE_iNS9_4plusIvEENS9_8equal_toIvEEiEE10hipError_tPvRmT2_T3_T4_T5_mT6_T7_P12ihipStream_tbENKUlT_T0_E_clISt17integral_constantIbLb1EESY_IbLb0EEEEDaSU_SV_EUlSU_E_NS1_11comp_targetILNS1_3genE2ELNS1_11target_archE906ELNS1_3gpuE6ELNS1_3repE0EEENS1_30default_config_static_selectorELNS0_4arch9wavefront6targetE0EEEvT1_.uses_flat_scratch, 0
	.set _ZN7rocprim17ROCPRIM_400000_NS6detail17trampoline_kernelINS0_14default_configENS1_27scan_by_key_config_selectorIxiEEZZNS1_16scan_by_key_implILNS1_25lookback_scan_determinismE0ELb1ES3_N6thrust23THRUST_200600_302600_NS6detail15normal_iteratorINS9_10device_ptrIxEEEESE_SE_iNS9_4plusIvEENS9_8equal_toIvEEiEE10hipError_tPvRmT2_T3_T4_T5_mT6_T7_P12ihipStream_tbENKUlT_T0_E_clISt17integral_constantIbLb1EESY_IbLb0EEEEDaSU_SV_EUlSU_E_NS1_11comp_targetILNS1_3genE2ELNS1_11target_archE906ELNS1_3gpuE6ELNS1_3repE0EEENS1_30default_config_static_selectorELNS0_4arch9wavefront6targetE0EEEvT1_.has_dyn_sized_stack, 0
	.set _ZN7rocprim17ROCPRIM_400000_NS6detail17trampoline_kernelINS0_14default_configENS1_27scan_by_key_config_selectorIxiEEZZNS1_16scan_by_key_implILNS1_25lookback_scan_determinismE0ELb1ES3_N6thrust23THRUST_200600_302600_NS6detail15normal_iteratorINS9_10device_ptrIxEEEESE_SE_iNS9_4plusIvEENS9_8equal_toIvEEiEE10hipError_tPvRmT2_T3_T4_T5_mT6_T7_P12ihipStream_tbENKUlT_T0_E_clISt17integral_constantIbLb1EESY_IbLb0EEEEDaSU_SV_EUlSU_E_NS1_11comp_targetILNS1_3genE2ELNS1_11target_archE906ELNS1_3gpuE6ELNS1_3repE0EEENS1_30default_config_static_selectorELNS0_4arch9wavefront6targetE0EEEvT1_.has_recursion, 0
	.set _ZN7rocprim17ROCPRIM_400000_NS6detail17trampoline_kernelINS0_14default_configENS1_27scan_by_key_config_selectorIxiEEZZNS1_16scan_by_key_implILNS1_25lookback_scan_determinismE0ELb1ES3_N6thrust23THRUST_200600_302600_NS6detail15normal_iteratorINS9_10device_ptrIxEEEESE_SE_iNS9_4plusIvEENS9_8equal_toIvEEiEE10hipError_tPvRmT2_T3_T4_T5_mT6_T7_P12ihipStream_tbENKUlT_T0_E_clISt17integral_constantIbLb1EESY_IbLb0EEEEDaSU_SV_EUlSU_E_NS1_11comp_targetILNS1_3genE2ELNS1_11target_archE906ELNS1_3gpuE6ELNS1_3repE0EEENS1_30default_config_static_selectorELNS0_4arch9wavefront6targetE0EEEvT1_.has_indirect_call, 0
	.section	.AMDGPU.csdata,"",@progbits
; Kernel info:
; codeLenInByte = 0
; TotalNumSgprs: 0
; NumVgprs: 0
; ScratchSize: 0
; MemoryBound: 0
; FloatMode: 240
; IeeeMode: 1
; LDSByteSize: 0 bytes/workgroup (compile time only)
; SGPRBlocks: 0
; VGPRBlocks: 0
; NumSGPRsForWavesPerEU: 1
; NumVGPRsForWavesPerEU: 1
; NamedBarCnt: 0
; Occupancy: 16
; WaveLimiterHint : 0
; COMPUTE_PGM_RSRC2:SCRATCH_EN: 0
; COMPUTE_PGM_RSRC2:USER_SGPR: 2
; COMPUTE_PGM_RSRC2:TRAP_HANDLER: 0
; COMPUTE_PGM_RSRC2:TGID_X_EN: 1
; COMPUTE_PGM_RSRC2:TGID_Y_EN: 0
; COMPUTE_PGM_RSRC2:TGID_Z_EN: 0
; COMPUTE_PGM_RSRC2:TIDIG_COMP_CNT: 0
	.section	.text._ZN7rocprim17ROCPRIM_400000_NS6detail17trampoline_kernelINS0_14default_configENS1_27scan_by_key_config_selectorIxiEEZZNS1_16scan_by_key_implILNS1_25lookback_scan_determinismE0ELb1ES3_N6thrust23THRUST_200600_302600_NS6detail15normal_iteratorINS9_10device_ptrIxEEEESE_SE_iNS9_4plusIvEENS9_8equal_toIvEEiEE10hipError_tPvRmT2_T3_T4_T5_mT6_T7_P12ihipStream_tbENKUlT_T0_E_clISt17integral_constantIbLb1EESY_IbLb0EEEEDaSU_SV_EUlSU_E_NS1_11comp_targetILNS1_3genE10ELNS1_11target_archE1200ELNS1_3gpuE4ELNS1_3repE0EEENS1_30default_config_static_selectorELNS0_4arch9wavefront6targetE0EEEvT1_,"axG",@progbits,_ZN7rocprim17ROCPRIM_400000_NS6detail17trampoline_kernelINS0_14default_configENS1_27scan_by_key_config_selectorIxiEEZZNS1_16scan_by_key_implILNS1_25lookback_scan_determinismE0ELb1ES3_N6thrust23THRUST_200600_302600_NS6detail15normal_iteratorINS9_10device_ptrIxEEEESE_SE_iNS9_4plusIvEENS9_8equal_toIvEEiEE10hipError_tPvRmT2_T3_T4_T5_mT6_T7_P12ihipStream_tbENKUlT_T0_E_clISt17integral_constantIbLb1EESY_IbLb0EEEEDaSU_SV_EUlSU_E_NS1_11comp_targetILNS1_3genE10ELNS1_11target_archE1200ELNS1_3gpuE4ELNS1_3repE0EEENS1_30default_config_static_selectorELNS0_4arch9wavefront6targetE0EEEvT1_,comdat
	.protected	_ZN7rocprim17ROCPRIM_400000_NS6detail17trampoline_kernelINS0_14default_configENS1_27scan_by_key_config_selectorIxiEEZZNS1_16scan_by_key_implILNS1_25lookback_scan_determinismE0ELb1ES3_N6thrust23THRUST_200600_302600_NS6detail15normal_iteratorINS9_10device_ptrIxEEEESE_SE_iNS9_4plusIvEENS9_8equal_toIvEEiEE10hipError_tPvRmT2_T3_T4_T5_mT6_T7_P12ihipStream_tbENKUlT_T0_E_clISt17integral_constantIbLb1EESY_IbLb0EEEEDaSU_SV_EUlSU_E_NS1_11comp_targetILNS1_3genE10ELNS1_11target_archE1200ELNS1_3gpuE4ELNS1_3repE0EEENS1_30default_config_static_selectorELNS0_4arch9wavefront6targetE0EEEvT1_ ; -- Begin function _ZN7rocprim17ROCPRIM_400000_NS6detail17trampoline_kernelINS0_14default_configENS1_27scan_by_key_config_selectorIxiEEZZNS1_16scan_by_key_implILNS1_25lookback_scan_determinismE0ELb1ES3_N6thrust23THRUST_200600_302600_NS6detail15normal_iteratorINS9_10device_ptrIxEEEESE_SE_iNS9_4plusIvEENS9_8equal_toIvEEiEE10hipError_tPvRmT2_T3_T4_T5_mT6_T7_P12ihipStream_tbENKUlT_T0_E_clISt17integral_constantIbLb1EESY_IbLb0EEEEDaSU_SV_EUlSU_E_NS1_11comp_targetILNS1_3genE10ELNS1_11target_archE1200ELNS1_3gpuE4ELNS1_3repE0EEENS1_30default_config_static_selectorELNS0_4arch9wavefront6targetE0EEEvT1_
	.globl	_ZN7rocprim17ROCPRIM_400000_NS6detail17trampoline_kernelINS0_14default_configENS1_27scan_by_key_config_selectorIxiEEZZNS1_16scan_by_key_implILNS1_25lookback_scan_determinismE0ELb1ES3_N6thrust23THRUST_200600_302600_NS6detail15normal_iteratorINS9_10device_ptrIxEEEESE_SE_iNS9_4plusIvEENS9_8equal_toIvEEiEE10hipError_tPvRmT2_T3_T4_T5_mT6_T7_P12ihipStream_tbENKUlT_T0_E_clISt17integral_constantIbLb1EESY_IbLb0EEEEDaSU_SV_EUlSU_E_NS1_11comp_targetILNS1_3genE10ELNS1_11target_archE1200ELNS1_3gpuE4ELNS1_3repE0EEENS1_30default_config_static_selectorELNS0_4arch9wavefront6targetE0EEEvT1_
	.p2align	8
	.type	_ZN7rocprim17ROCPRIM_400000_NS6detail17trampoline_kernelINS0_14default_configENS1_27scan_by_key_config_selectorIxiEEZZNS1_16scan_by_key_implILNS1_25lookback_scan_determinismE0ELb1ES3_N6thrust23THRUST_200600_302600_NS6detail15normal_iteratorINS9_10device_ptrIxEEEESE_SE_iNS9_4plusIvEENS9_8equal_toIvEEiEE10hipError_tPvRmT2_T3_T4_T5_mT6_T7_P12ihipStream_tbENKUlT_T0_E_clISt17integral_constantIbLb1EESY_IbLb0EEEEDaSU_SV_EUlSU_E_NS1_11comp_targetILNS1_3genE10ELNS1_11target_archE1200ELNS1_3gpuE4ELNS1_3repE0EEENS1_30default_config_static_selectorELNS0_4arch9wavefront6targetE0EEEvT1_,@function
_ZN7rocprim17ROCPRIM_400000_NS6detail17trampoline_kernelINS0_14default_configENS1_27scan_by_key_config_selectorIxiEEZZNS1_16scan_by_key_implILNS1_25lookback_scan_determinismE0ELb1ES3_N6thrust23THRUST_200600_302600_NS6detail15normal_iteratorINS9_10device_ptrIxEEEESE_SE_iNS9_4plusIvEENS9_8equal_toIvEEiEE10hipError_tPvRmT2_T3_T4_T5_mT6_T7_P12ihipStream_tbENKUlT_T0_E_clISt17integral_constantIbLb1EESY_IbLb0EEEEDaSU_SV_EUlSU_E_NS1_11comp_targetILNS1_3genE10ELNS1_11target_archE1200ELNS1_3gpuE4ELNS1_3repE0EEENS1_30default_config_static_selectorELNS0_4arch9wavefront6targetE0EEEvT1_: ; @_ZN7rocprim17ROCPRIM_400000_NS6detail17trampoline_kernelINS0_14default_configENS1_27scan_by_key_config_selectorIxiEEZZNS1_16scan_by_key_implILNS1_25lookback_scan_determinismE0ELb1ES3_N6thrust23THRUST_200600_302600_NS6detail15normal_iteratorINS9_10device_ptrIxEEEESE_SE_iNS9_4plusIvEENS9_8equal_toIvEEiEE10hipError_tPvRmT2_T3_T4_T5_mT6_T7_P12ihipStream_tbENKUlT_T0_E_clISt17integral_constantIbLb1EESY_IbLb0EEEEDaSU_SV_EUlSU_E_NS1_11comp_targetILNS1_3genE10ELNS1_11target_archE1200ELNS1_3gpuE4ELNS1_3repE0EEENS1_30default_config_static_selectorELNS0_4arch9wavefront6targetE0EEEvT1_
; %bb.0:
	.section	.rodata,"a",@progbits
	.p2align	6, 0x0
	.amdhsa_kernel _ZN7rocprim17ROCPRIM_400000_NS6detail17trampoline_kernelINS0_14default_configENS1_27scan_by_key_config_selectorIxiEEZZNS1_16scan_by_key_implILNS1_25lookback_scan_determinismE0ELb1ES3_N6thrust23THRUST_200600_302600_NS6detail15normal_iteratorINS9_10device_ptrIxEEEESE_SE_iNS9_4plusIvEENS9_8equal_toIvEEiEE10hipError_tPvRmT2_T3_T4_T5_mT6_T7_P12ihipStream_tbENKUlT_T0_E_clISt17integral_constantIbLb1EESY_IbLb0EEEEDaSU_SV_EUlSU_E_NS1_11comp_targetILNS1_3genE10ELNS1_11target_archE1200ELNS1_3gpuE4ELNS1_3repE0EEENS1_30default_config_static_selectorELNS0_4arch9wavefront6targetE0EEEvT1_
		.amdhsa_group_segment_fixed_size 0
		.amdhsa_private_segment_fixed_size 0
		.amdhsa_kernarg_size 112
		.amdhsa_user_sgpr_count 2
		.amdhsa_user_sgpr_dispatch_ptr 0
		.amdhsa_user_sgpr_queue_ptr 0
		.amdhsa_user_sgpr_kernarg_segment_ptr 1
		.amdhsa_user_sgpr_dispatch_id 0
		.amdhsa_user_sgpr_kernarg_preload_length 0
		.amdhsa_user_sgpr_kernarg_preload_offset 0
		.amdhsa_user_sgpr_private_segment_size 0
		.amdhsa_wavefront_size32 1
		.amdhsa_uses_dynamic_stack 0
		.amdhsa_enable_private_segment 0
		.amdhsa_system_sgpr_workgroup_id_x 1
		.amdhsa_system_sgpr_workgroup_id_y 0
		.amdhsa_system_sgpr_workgroup_id_z 0
		.amdhsa_system_sgpr_workgroup_info 0
		.amdhsa_system_vgpr_workitem_id 0
		.amdhsa_next_free_vgpr 1
		.amdhsa_next_free_sgpr 1
		.amdhsa_named_barrier_count 0
		.amdhsa_reserve_vcc 0
		.amdhsa_float_round_mode_32 0
		.amdhsa_float_round_mode_16_64 0
		.amdhsa_float_denorm_mode_32 3
		.amdhsa_float_denorm_mode_16_64 3
		.amdhsa_fp16_overflow 0
		.amdhsa_memory_ordered 1
		.amdhsa_forward_progress 1
		.amdhsa_inst_pref_size 0
		.amdhsa_round_robin_scheduling 0
		.amdhsa_exception_fp_ieee_invalid_op 0
		.amdhsa_exception_fp_denorm_src 0
		.amdhsa_exception_fp_ieee_div_zero 0
		.amdhsa_exception_fp_ieee_overflow 0
		.amdhsa_exception_fp_ieee_underflow 0
		.amdhsa_exception_fp_ieee_inexact 0
		.amdhsa_exception_int_div_zero 0
	.end_amdhsa_kernel
	.section	.text._ZN7rocprim17ROCPRIM_400000_NS6detail17trampoline_kernelINS0_14default_configENS1_27scan_by_key_config_selectorIxiEEZZNS1_16scan_by_key_implILNS1_25lookback_scan_determinismE0ELb1ES3_N6thrust23THRUST_200600_302600_NS6detail15normal_iteratorINS9_10device_ptrIxEEEESE_SE_iNS9_4plusIvEENS9_8equal_toIvEEiEE10hipError_tPvRmT2_T3_T4_T5_mT6_T7_P12ihipStream_tbENKUlT_T0_E_clISt17integral_constantIbLb1EESY_IbLb0EEEEDaSU_SV_EUlSU_E_NS1_11comp_targetILNS1_3genE10ELNS1_11target_archE1200ELNS1_3gpuE4ELNS1_3repE0EEENS1_30default_config_static_selectorELNS0_4arch9wavefront6targetE0EEEvT1_,"axG",@progbits,_ZN7rocprim17ROCPRIM_400000_NS6detail17trampoline_kernelINS0_14default_configENS1_27scan_by_key_config_selectorIxiEEZZNS1_16scan_by_key_implILNS1_25lookback_scan_determinismE0ELb1ES3_N6thrust23THRUST_200600_302600_NS6detail15normal_iteratorINS9_10device_ptrIxEEEESE_SE_iNS9_4plusIvEENS9_8equal_toIvEEiEE10hipError_tPvRmT2_T3_T4_T5_mT6_T7_P12ihipStream_tbENKUlT_T0_E_clISt17integral_constantIbLb1EESY_IbLb0EEEEDaSU_SV_EUlSU_E_NS1_11comp_targetILNS1_3genE10ELNS1_11target_archE1200ELNS1_3gpuE4ELNS1_3repE0EEENS1_30default_config_static_selectorELNS0_4arch9wavefront6targetE0EEEvT1_,comdat
.Lfunc_end1028:
	.size	_ZN7rocprim17ROCPRIM_400000_NS6detail17trampoline_kernelINS0_14default_configENS1_27scan_by_key_config_selectorIxiEEZZNS1_16scan_by_key_implILNS1_25lookback_scan_determinismE0ELb1ES3_N6thrust23THRUST_200600_302600_NS6detail15normal_iteratorINS9_10device_ptrIxEEEESE_SE_iNS9_4plusIvEENS9_8equal_toIvEEiEE10hipError_tPvRmT2_T3_T4_T5_mT6_T7_P12ihipStream_tbENKUlT_T0_E_clISt17integral_constantIbLb1EESY_IbLb0EEEEDaSU_SV_EUlSU_E_NS1_11comp_targetILNS1_3genE10ELNS1_11target_archE1200ELNS1_3gpuE4ELNS1_3repE0EEENS1_30default_config_static_selectorELNS0_4arch9wavefront6targetE0EEEvT1_, .Lfunc_end1028-_ZN7rocprim17ROCPRIM_400000_NS6detail17trampoline_kernelINS0_14default_configENS1_27scan_by_key_config_selectorIxiEEZZNS1_16scan_by_key_implILNS1_25lookback_scan_determinismE0ELb1ES3_N6thrust23THRUST_200600_302600_NS6detail15normal_iteratorINS9_10device_ptrIxEEEESE_SE_iNS9_4plusIvEENS9_8equal_toIvEEiEE10hipError_tPvRmT2_T3_T4_T5_mT6_T7_P12ihipStream_tbENKUlT_T0_E_clISt17integral_constantIbLb1EESY_IbLb0EEEEDaSU_SV_EUlSU_E_NS1_11comp_targetILNS1_3genE10ELNS1_11target_archE1200ELNS1_3gpuE4ELNS1_3repE0EEENS1_30default_config_static_selectorELNS0_4arch9wavefront6targetE0EEEvT1_
                                        ; -- End function
	.set _ZN7rocprim17ROCPRIM_400000_NS6detail17trampoline_kernelINS0_14default_configENS1_27scan_by_key_config_selectorIxiEEZZNS1_16scan_by_key_implILNS1_25lookback_scan_determinismE0ELb1ES3_N6thrust23THRUST_200600_302600_NS6detail15normal_iteratorINS9_10device_ptrIxEEEESE_SE_iNS9_4plusIvEENS9_8equal_toIvEEiEE10hipError_tPvRmT2_T3_T4_T5_mT6_T7_P12ihipStream_tbENKUlT_T0_E_clISt17integral_constantIbLb1EESY_IbLb0EEEEDaSU_SV_EUlSU_E_NS1_11comp_targetILNS1_3genE10ELNS1_11target_archE1200ELNS1_3gpuE4ELNS1_3repE0EEENS1_30default_config_static_selectorELNS0_4arch9wavefront6targetE0EEEvT1_.num_vgpr, 0
	.set _ZN7rocprim17ROCPRIM_400000_NS6detail17trampoline_kernelINS0_14default_configENS1_27scan_by_key_config_selectorIxiEEZZNS1_16scan_by_key_implILNS1_25lookback_scan_determinismE0ELb1ES3_N6thrust23THRUST_200600_302600_NS6detail15normal_iteratorINS9_10device_ptrIxEEEESE_SE_iNS9_4plusIvEENS9_8equal_toIvEEiEE10hipError_tPvRmT2_T3_T4_T5_mT6_T7_P12ihipStream_tbENKUlT_T0_E_clISt17integral_constantIbLb1EESY_IbLb0EEEEDaSU_SV_EUlSU_E_NS1_11comp_targetILNS1_3genE10ELNS1_11target_archE1200ELNS1_3gpuE4ELNS1_3repE0EEENS1_30default_config_static_selectorELNS0_4arch9wavefront6targetE0EEEvT1_.num_agpr, 0
	.set _ZN7rocprim17ROCPRIM_400000_NS6detail17trampoline_kernelINS0_14default_configENS1_27scan_by_key_config_selectorIxiEEZZNS1_16scan_by_key_implILNS1_25lookback_scan_determinismE0ELb1ES3_N6thrust23THRUST_200600_302600_NS6detail15normal_iteratorINS9_10device_ptrIxEEEESE_SE_iNS9_4plusIvEENS9_8equal_toIvEEiEE10hipError_tPvRmT2_T3_T4_T5_mT6_T7_P12ihipStream_tbENKUlT_T0_E_clISt17integral_constantIbLb1EESY_IbLb0EEEEDaSU_SV_EUlSU_E_NS1_11comp_targetILNS1_3genE10ELNS1_11target_archE1200ELNS1_3gpuE4ELNS1_3repE0EEENS1_30default_config_static_selectorELNS0_4arch9wavefront6targetE0EEEvT1_.numbered_sgpr, 0
	.set _ZN7rocprim17ROCPRIM_400000_NS6detail17trampoline_kernelINS0_14default_configENS1_27scan_by_key_config_selectorIxiEEZZNS1_16scan_by_key_implILNS1_25lookback_scan_determinismE0ELb1ES3_N6thrust23THRUST_200600_302600_NS6detail15normal_iteratorINS9_10device_ptrIxEEEESE_SE_iNS9_4plusIvEENS9_8equal_toIvEEiEE10hipError_tPvRmT2_T3_T4_T5_mT6_T7_P12ihipStream_tbENKUlT_T0_E_clISt17integral_constantIbLb1EESY_IbLb0EEEEDaSU_SV_EUlSU_E_NS1_11comp_targetILNS1_3genE10ELNS1_11target_archE1200ELNS1_3gpuE4ELNS1_3repE0EEENS1_30default_config_static_selectorELNS0_4arch9wavefront6targetE0EEEvT1_.num_named_barrier, 0
	.set _ZN7rocprim17ROCPRIM_400000_NS6detail17trampoline_kernelINS0_14default_configENS1_27scan_by_key_config_selectorIxiEEZZNS1_16scan_by_key_implILNS1_25lookback_scan_determinismE0ELb1ES3_N6thrust23THRUST_200600_302600_NS6detail15normal_iteratorINS9_10device_ptrIxEEEESE_SE_iNS9_4plusIvEENS9_8equal_toIvEEiEE10hipError_tPvRmT2_T3_T4_T5_mT6_T7_P12ihipStream_tbENKUlT_T0_E_clISt17integral_constantIbLb1EESY_IbLb0EEEEDaSU_SV_EUlSU_E_NS1_11comp_targetILNS1_3genE10ELNS1_11target_archE1200ELNS1_3gpuE4ELNS1_3repE0EEENS1_30default_config_static_selectorELNS0_4arch9wavefront6targetE0EEEvT1_.private_seg_size, 0
	.set _ZN7rocprim17ROCPRIM_400000_NS6detail17trampoline_kernelINS0_14default_configENS1_27scan_by_key_config_selectorIxiEEZZNS1_16scan_by_key_implILNS1_25lookback_scan_determinismE0ELb1ES3_N6thrust23THRUST_200600_302600_NS6detail15normal_iteratorINS9_10device_ptrIxEEEESE_SE_iNS9_4plusIvEENS9_8equal_toIvEEiEE10hipError_tPvRmT2_T3_T4_T5_mT6_T7_P12ihipStream_tbENKUlT_T0_E_clISt17integral_constantIbLb1EESY_IbLb0EEEEDaSU_SV_EUlSU_E_NS1_11comp_targetILNS1_3genE10ELNS1_11target_archE1200ELNS1_3gpuE4ELNS1_3repE0EEENS1_30default_config_static_selectorELNS0_4arch9wavefront6targetE0EEEvT1_.uses_vcc, 0
	.set _ZN7rocprim17ROCPRIM_400000_NS6detail17trampoline_kernelINS0_14default_configENS1_27scan_by_key_config_selectorIxiEEZZNS1_16scan_by_key_implILNS1_25lookback_scan_determinismE0ELb1ES3_N6thrust23THRUST_200600_302600_NS6detail15normal_iteratorINS9_10device_ptrIxEEEESE_SE_iNS9_4plusIvEENS9_8equal_toIvEEiEE10hipError_tPvRmT2_T3_T4_T5_mT6_T7_P12ihipStream_tbENKUlT_T0_E_clISt17integral_constantIbLb1EESY_IbLb0EEEEDaSU_SV_EUlSU_E_NS1_11comp_targetILNS1_3genE10ELNS1_11target_archE1200ELNS1_3gpuE4ELNS1_3repE0EEENS1_30default_config_static_selectorELNS0_4arch9wavefront6targetE0EEEvT1_.uses_flat_scratch, 0
	.set _ZN7rocprim17ROCPRIM_400000_NS6detail17trampoline_kernelINS0_14default_configENS1_27scan_by_key_config_selectorIxiEEZZNS1_16scan_by_key_implILNS1_25lookback_scan_determinismE0ELb1ES3_N6thrust23THRUST_200600_302600_NS6detail15normal_iteratorINS9_10device_ptrIxEEEESE_SE_iNS9_4plusIvEENS9_8equal_toIvEEiEE10hipError_tPvRmT2_T3_T4_T5_mT6_T7_P12ihipStream_tbENKUlT_T0_E_clISt17integral_constantIbLb1EESY_IbLb0EEEEDaSU_SV_EUlSU_E_NS1_11comp_targetILNS1_3genE10ELNS1_11target_archE1200ELNS1_3gpuE4ELNS1_3repE0EEENS1_30default_config_static_selectorELNS0_4arch9wavefront6targetE0EEEvT1_.has_dyn_sized_stack, 0
	.set _ZN7rocprim17ROCPRIM_400000_NS6detail17trampoline_kernelINS0_14default_configENS1_27scan_by_key_config_selectorIxiEEZZNS1_16scan_by_key_implILNS1_25lookback_scan_determinismE0ELb1ES3_N6thrust23THRUST_200600_302600_NS6detail15normal_iteratorINS9_10device_ptrIxEEEESE_SE_iNS9_4plusIvEENS9_8equal_toIvEEiEE10hipError_tPvRmT2_T3_T4_T5_mT6_T7_P12ihipStream_tbENKUlT_T0_E_clISt17integral_constantIbLb1EESY_IbLb0EEEEDaSU_SV_EUlSU_E_NS1_11comp_targetILNS1_3genE10ELNS1_11target_archE1200ELNS1_3gpuE4ELNS1_3repE0EEENS1_30default_config_static_selectorELNS0_4arch9wavefront6targetE0EEEvT1_.has_recursion, 0
	.set _ZN7rocprim17ROCPRIM_400000_NS6detail17trampoline_kernelINS0_14default_configENS1_27scan_by_key_config_selectorIxiEEZZNS1_16scan_by_key_implILNS1_25lookback_scan_determinismE0ELb1ES3_N6thrust23THRUST_200600_302600_NS6detail15normal_iteratorINS9_10device_ptrIxEEEESE_SE_iNS9_4plusIvEENS9_8equal_toIvEEiEE10hipError_tPvRmT2_T3_T4_T5_mT6_T7_P12ihipStream_tbENKUlT_T0_E_clISt17integral_constantIbLb1EESY_IbLb0EEEEDaSU_SV_EUlSU_E_NS1_11comp_targetILNS1_3genE10ELNS1_11target_archE1200ELNS1_3gpuE4ELNS1_3repE0EEENS1_30default_config_static_selectorELNS0_4arch9wavefront6targetE0EEEvT1_.has_indirect_call, 0
	.section	.AMDGPU.csdata,"",@progbits
; Kernel info:
; codeLenInByte = 0
; TotalNumSgprs: 0
; NumVgprs: 0
; ScratchSize: 0
; MemoryBound: 0
; FloatMode: 240
; IeeeMode: 1
; LDSByteSize: 0 bytes/workgroup (compile time only)
; SGPRBlocks: 0
; VGPRBlocks: 0
; NumSGPRsForWavesPerEU: 1
; NumVGPRsForWavesPerEU: 1
; NamedBarCnt: 0
; Occupancy: 16
; WaveLimiterHint : 0
; COMPUTE_PGM_RSRC2:SCRATCH_EN: 0
; COMPUTE_PGM_RSRC2:USER_SGPR: 2
; COMPUTE_PGM_RSRC2:TRAP_HANDLER: 0
; COMPUTE_PGM_RSRC2:TGID_X_EN: 1
; COMPUTE_PGM_RSRC2:TGID_Y_EN: 0
; COMPUTE_PGM_RSRC2:TGID_Z_EN: 0
; COMPUTE_PGM_RSRC2:TIDIG_COMP_CNT: 0
	.section	.text._ZN7rocprim17ROCPRIM_400000_NS6detail17trampoline_kernelINS0_14default_configENS1_27scan_by_key_config_selectorIxiEEZZNS1_16scan_by_key_implILNS1_25lookback_scan_determinismE0ELb1ES3_N6thrust23THRUST_200600_302600_NS6detail15normal_iteratorINS9_10device_ptrIxEEEESE_SE_iNS9_4plusIvEENS9_8equal_toIvEEiEE10hipError_tPvRmT2_T3_T4_T5_mT6_T7_P12ihipStream_tbENKUlT_T0_E_clISt17integral_constantIbLb1EESY_IbLb0EEEEDaSU_SV_EUlSU_E_NS1_11comp_targetILNS1_3genE9ELNS1_11target_archE1100ELNS1_3gpuE3ELNS1_3repE0EEENS1_30default_config_static_selectorELNS0_4arch9wavefront6targetE0EEEvT1_,"axG",@progbits,_ZN7rocprim17ROCPRIM_400000_NS6detail17trampoline_kernelINS0_14default_configENS1_27scan_by_key_config_selectorIxiEEZZNS1_16scan_by_key_implILNS1_25lookback_scan_determinismE0ELb1ES3_N6thrust23THRUST_200600_302600_NS6detail15normal_iteratorINS9_10device_ptrIxEEEESE_SE_iNS9_4plusIvEENS9_8equal_toIvEEiEE10hipError_tPvRmT2_T3_T4_T5_mT6_T7_P12ihipStream_tbENKUlT_T0_E_clISt17integral_constantIbLb1EESY_IbLb0EEEEDaSU_SV_EUlSU_E_NS1_11comp_targetILNS1_3genE9ELNS1_11target_archE1100ELNS1_3gpuE3ELNS1_3repE0EEENS1_30default_config_static_selectorELNS0_4arch9wavefront6targetE0EEEvT1_,comdat
	.protected	_ZN7rocprim17ROCPRIM_400000_NS6detail17trampoline_kernelINS0_14default_configENS1_27scan_by_key_config_selectorIxiEEZZNS1_16scan_by_key_implILNS1_25lookback_scan_determinismE0ELb1ES3_N6thrust23THRUST_200600_302600_NS6detail15normal_iteratorINS9_10device_ptrIxEEEESE_SE_iNS9_4plusIvEENS9_8equal_toIvEEiEE10hipError_tPvRmT2_T3_T4_T5_mT6_T7_P12ihipStream_tbENKUlT_T0_E_clISt17integral_constantIbLb1EESY_IbLb0EEEEDaSU_SV_EUlSU_E_NS1_11comp_targetILNS1_3genE9ELNS1_11target_archE1100ELNS1_3gpuE3ELNS1_3repE0EEENS1_30default_config_static_selectorELNS0_4arch9wavefront6targetE0EEEvT1_ ; -- Begin function _ZN7rocprim17ROCPRIM_400000_NS6detail17trampoline_kernelINS0_14default_configENS1_27scan_by_key_config_selectorIxiEEZZNS1_16scan_by_key_implILNS1_25lookback_scan_determinismE0ELb1ES3_N6thrust23THRUST_200600_302600_NS6detail15normal_iteratorINS9_10device_ptrIxEEEESE_SE_iNS9_4plusIvEENS9_8equal_toIvEEiEE10hipError_tPvRmT2_T3_T4_T5_mT6_T7_P12ihipStream_tbENKUlT_T0_E_clISt17integral_constantIbLb1EESY_IbLb0EEEEDaSU_SV_EUlSU_E_NS1_11comp_targetILNS1_3genE9ELNS1_11target_archE1100ELNS1_3gpuE3ELNS1_3repE0EEENS1_30default_config_static_selectorELNS0_4arch9wavefront6targetE0EEEvT1_
	.globl	_ZN7rocprim17ROCPRIM_400000_NS6detail17trampoline_kernelINS0_14default_configENS1_27scan_by_key_config_selectorIxiEEZZNS1_16scan_by_key_implILNS1_25lookback_scan_determinismE0ELb1ES3_N6thrust23THRUST_200600_302600_NS6detail15normal_iteratorINS9_10device_ptrIxEEEESE_SE_iNS9_4plusIvEENS9_8equal_toIvEEiEE10hipError_tPvRmT2_T3_T4_T5_mT6_T7_P12ihipStream_tbENKUlT_T0_E_clISt17integral_constantIbLb1EESY_IbLb0EEEEDaSU_SV_EUlSU_E_NS1_11comp_targetILNS1_3genE9ELNS1_11target_archE1100ELNS1_3gpuE3ELNS1_3repE0EEENS1_30default_config_static_selectorELNS0_4arch9wavefront6targetE0EEEvT1_
	.p2align	8
	.type	_ZN7rocprim17ROCPRIM_400000_NS6detail17trampoline_kernelINS0_14default_configENS1_27scan_by_key_config_selectorIxiEEZZNS1_16scan_by_key_implILNS1_25lookback_scan_determinismE0ELb1ES3_N6thrust23THRUST_200600_302600_NS6detail15normal_iteratorINS9_10device_ptrIxEEEESE_SE_iNS9_4plusIvEENS9_8equal_toIvEEiEE10hipError_tPvRmT2_T3_T4_T5_mT6_T7_P12ihipStream_tbENKUlT_T0_E_clISt17integral_constantIbLb1EESY_IbLb0EEEEDaSU_SV_EUlSU_E_NS1_11comp_targetILNS1_3genE9ELNS1_11target_archE1100ELNS1_3gpuE3ELNS1_3repE0EEENS1_30default_config_static_selectorELNS0_4arch9wavefront6targetE0EEEvT1_,@function
_ZN7rocprim17ROCPRIM_400000_NS6detail17trampoline_kernelINS0_14default_configENS1_27scan_by_key_config_selectorIxiEEZZNS1_16scan_by_key_implILNS1_25lookback_scan_determinismE0ELb1ES3_N6thrust23THRUST_200600_302600_NS6detail15normal_iteratorINS9_10device_ptrIxEEEESE_SE_iNS9_4plusIvEENS9_8equal_toIvEEiEE10hipError_tPvRmT2_T3_T4_T5_mT6_T7_P12ihipStream_tbENKUlT_T0_E_clISt17integral_constantIbLb1EESY_IbLb0EEEEDaSU_SV_EUlSU_E_NS1_11comp_targetILNS1_3genE9ELNS1_11target_archE1100ELNS1_3gpuE3ELNS1_3repE0EEENS1_30default_config_static_selectorELNS0_4arch9wavefront6targetE0EEEvT1_: ; @_ZN7rocprim17ROCPRIM_400000_NS6detail17trampoline_kernelINS0_14default_configENS1_27scan_by_key_config_selectorIxiEEZZNS1_16scan_by_key_implILNS1_25lookback_scan_determinismE0ELb1ES3_N6thrust23THRUST_200600_302600_NS6detail15normal_iteratorINS9_10device_ptrIxEEEESE_SE_iNS9_4plusIvEENS9_8equal_toIvEEiEE10hipError_tPvRmT2_T3_T4_T5_mT6_T7_P12ihipStream_tbENKUlT_T0_E_clISt17integral_constantIbLb1EESY_IbLb0EEEEDaSU_SV_EUlSU_E_NS1_11comp_targetILNS1_3genE9ELNS1_11target_archE1100ELNS1_3gpuE3ELNS1_3repE0EEENS1_30default_config_static_selectorELNS0_4arch9wavefront6targetE0EEEvT1_
; %bb.0:
	.section	.rodata,"a",@progbits
	.p2align	6, 0x0
	.amdhsa_kernel _ZN7rocprim17ROCPRIM_400000_NS6detail17trampoline_kernelINS0_14default_configENS1_27scan_by_key_config_selectorIxiEEZZNS1_16scan_by_key_implILNS1_25lookback_scan_determinismE0ELb1ES3_N6thrust23THRUST_200600_302600_NS6detail15normal_iteratorINS9_10device_ptrIxEEEESE_SE_iNS9_4plusIvEENS9_8equal_toIvEEiEE10hipError_tPvRmT2_T3_T4_T5_mT6_T7_P12ihipStream_tbENKUlT_T0_E_clISt17integral_constantIbLb1EESY_IbLb0EEEEDaSU_SV_EUlSU_E_NS1_11comp_targetILNS1_3genE9ELNS1_11target_archE1100ELNS1_3gpuE3ELNS1_3repE0EEENS1_30default_config_static_selectorELNS0_4arch9wavefront6targetE0EEEvT1_
		.amdhsa_group_segment_fixed_size 0
		.amdhsa_private_segment_fixed_size 0
		.amdhsa_kernarg_size 112
		.amdhsa_user_sgpr_count 2
		.amdhsa_user_sgpr_dispatch_ptr 0
		.amdhsa_user_sgpr_queue_ptr 0
		.amdhsa_user_sgpr_kernarg_segment_ptr 1
		.amdhsa_user_sgpr_dispatch_id 0
		.amdhsa_user_sgpr_kernarg_preload_length 0
		.amdhsa_user_sgpr_kernarg_preload_offset 0
		.amdhsa_user_sgpr_private_segment_size 0
		.amdhsa_wavefront_size32 1
		.amdhsa_uses_dynamic_stack 0
		.amdhsa_enable_private_segment 0
		.amdhsa_system_sgpr_workgroup_id_x 1
		.amdhsa_system_sgpr_workgroup_id_y 0
		.amdhsa_system_sgpr_workgroup_id_z 0
		.amdhsa_system_sgpr_workgroup_info 0
		.amdhsa_system_vgpr_workitem_id 0
		.amdhsa_next_free_vgpr 1
		.amdhsa_next_free_sgpr 1
		.amdhsa_named_barrier_count 0
		.amdhsa_reserve_vcc 0
		.amdhsa_float_round_mode_32 0
		.amdhsa_float_round_mode_16_64 0
		.amdhsa_float_denorm_mode_32 3
		.amdhsa_float_denorm_mode_16_64 3
		.amdhsa_fp16_overflow 0
		.amdhsa_memory_ordered 1
		.amdhsa_forward_progress 1
		.amdhsa_inst_pref_size 0
		.amdhsa_round_robin_scheduling 0
		.amdhsa_exception_fp_ieee_invalid_op 0
		.amdhsa_exception_fp_denorm_src 0
		.amdhsa_exception_fp_ieee_div_zero 0
		.amdhsa_exception_fp_ieee_overflow 0
		.amdhsa_exception_fp_ieee_underflow 0
		.amdhsa_exception_fp_ieee_inexact 0
		.amdhsa_exception_int_div_zero 0
	.end_amdhsa_kernel
	.section	.text._ZN7rocprim17ROCPRIM_400000_NS6detail17trampoline_kernelINS0_14default_configENS1_27scan_by_key_config_selectorIxiEEZZNS1_16scan_by_key_implILNS1_25lookback_scan_determinismE0ELb1ES3_N6thrust23THRUST_200600_302600_NS6detail15normal_iteratorINS9_10device_ptrIxEEEESE_SE_iNS9_4plusIvEENS9_8equal_toIvEEiEE10hipError_tPvRmT2_T3_T4_T5_mT6_T7_P12ihipStream_tbENKUlT_T0_E_clISt17integral_constantIbLb1EESY_IbLb0EEEEDaSU_SV_EUlSU_E_NS1_11comp_targetILNS1_3genE9ELNS1_11target_archE1100ELNS1_3gpuE3ELNS1_3repE0EEENS1_30default_config_static_selectorELNS0_4arch9wavefront6targetE0EEEvT1_,"axG",@progbits,_ZN7rocprim17ROCPRIM_400000_NS6detail17trampoline_kernelINS0_14default_configENS1_27scan_by_key_config_selectorIxiEEZZNS1_16scan_by_key_implILNS1_25lookback_scan_determinismE0ELb1ES3_N6thrust23THRUST_200600_302600_NS6detail15normal_iteratorINS9_10device_ptrIxEEEESE_SE_iNS9_4plusIvEENS9_8equal_toIvEEiEE10hipError_tPvRmT2_T3_T4_T5_mT6_T7_P12ihipStream_tbENKUlT_T0_E_clISt17integral_constantIbLb1EESY_IbLb0EEEEDaSU_SV_EUlSU_E_NS1_11comp_targetILNS1_3genE9ELNS1_11target_archE1100ELNS1_3gpuE3ELNS1_3repE0EEENS1_30default_config_static_selectorELNS0_4arch9wavefront6targetE0EEEvT1_,comdat
.Lfunc_end1029:
	.size	_ZN7rocprim17ROCPRIM_400000_NS6detail17trampoline_kernelINS0_14default_configENS1_27scan_by_key_config_selectorIxiEEZZNS1_16scan_by_key_implILNS1_25lookback_scan_determinismE0ELb1ES3_N6thrust23THRUST_200600_302600_NS6detail15normal_iteratorINS9_10device_ptrIxEEEESE_SE_iNS9_4plusIvEENS9_8equal_toIvEEiEE10hipError_tPvRmT2_T3_T4_T5_mT6_T7_P12ihipStream_tbENKUlT_T0_E_clISt17integral_constantIbLb1EESY_IbLb0EEEEDaSU_SV_EUlSU_E_NS1_11comp_targetILNS1_3genE9ELNS1_11target_archE1100ELNS1_3gpuE3ELNS1_3repE0EEENS1_30default_config_static_selectorELNS0_4arch9wavefront6targetE0EEEvT1_, .Lfunc_end1029-_ZN7rocprim17ROCPRIM_400000_NS6detail17trampoline_kernelINS0_14default_configENS1_27scan_by_key_config_selectorIxiEEZZNS1_16scan_by_key_implILNS1_25lookback_scan_determinismE0ELb1ES3_N6thrust23THRUST_200600_302600_NS6detail15normal_iteratorINS9_10device_ptrIxEEEESE_SE_iNS9_4plusIvEENS9_8equal_toIvEEiEE10hipError_tPvRmT2_T3_T4_T5_mT6_T7_P12ihipStream_tbENKUlT_T0_E_clISt17integral_constantIbLb1EESY_IbLb0EEEEDaSU_SV_EUlSU_E_NS1_11comp_targetILNS1_3genE9ELNS1_11target_archE1100ELNS1_3gpuE3ELNS1_3repE0EEENS1_30default_config_static_selectorELNS0_4arch9wavefront6targetE0EEEvT1_
                                        ; -- End function
	.set _ZN7rocprim17ROCPRIM_400000_NS6detail17trampoline_kernelINS0_14default_configENS1_27scan_by_key_config_selectorIxiEEZZNS1_16scan_by_key_implILNS1_25lookback_scan_determinismE0ELb1ES3_N6thrust23THRUST_200600_302600_NS6detail15normal_iteratorINS9_10device_ptrIxEEEESE_SE_iNS9_4plusIvEENS9_8equal_toIvEEiEE10hipError_tPvRmT2_T3_T4_T5_mT6_T7_P12ihipStream_tbENKUlT_T0_E_clISt17integral_constantIbLb1EESY_IbLb0EEEEDaSU_SV_EUlSU_E_NS1_11comp_targetILNS1_3genE9ELNS1_11target_archE1100ELNS1_3gpuE3ELNS1_3repE0EEENS1_30default_config_static_selectorELNS0_4arch9wavefront6targetE0EEEvT1_.num_vgpr, 0
	.set _ZN7rocprim17ROCPRIM_400000_NS6detail17trampoline_kernelINS0_14default_configENS1_27scan_by_key_config_selectorIxiEEZZNS1_16scan_by_key_implILNS1_25lookback_scan_determinismE0ELb1ES3_N6thrust23THRUST_200600_302600_NS6detail15normal_iteratorINS9_10device_ptrIxEEEESE_SE_iNS9_4plusIvEENS9_8equal_toIvEEiEE10hipError_tPvRmT2_T3_T4_T5_mT6_T7_P12ihipStream_tbENKUlT_T0_E_clISt17integral_constantIbLb1EESY_IbLb0EEEEDaSU_SV_EUlSU_E_NS1_11comp_targetILNS1_3genE9ELNS1_11target_archE1100ELNS1_3gpuE3ELNS1_3repE0EEENS1_30default_config_static_selectorELNS0_4arch9wavefront6targetE0EEEvT1_.num_agpr, 0
	.set _ZN7rocprim17ROCPRIM_400000_NS6detail17trampoline_kernelINS0_14default_configENS1_27scan_by_key_config_selectorIxiEEZZNS1_16scan_by_key_implILNS1_25lookback_scan_determinismE0ELb1ES3_N6thrust23THRUST_200600_302600_NS6detail15normal_iteratorINS9_10device_ptrIxEEEESE_SE_iNS9_4plusIvEENS9_8equal_toIvEEiEE10hipError_tPvRmT2_T3_T4_T5_mT6_T7_P12ihipStream_tbENKUlT_T0_E_clISt17integral_constantIbLb1EESY_IbLb0EEEEDaSU_SV_EUlSU_E_NS1_11comp_targetILNS1_3genE9ELNS1_11target_archE1100ELNS1_3gpuE3ELNS1_3repE0EEENS1_30default_config_static_selectorELNS0_4arch9wavefront6targetE0EEEvT1_.numbered_sgpr, 0
	.set _ZN7rocprim17ROCPRIM_400000_NS6detail17trampoline_kernelINS0_14default_configENS1_27scan_by_key_config_selectorIxiEEZZNS1_16scan_by_key_implILNS1_25lookback_scan_determinismE0ELb1ES3_N6thrust23THRUST_200600_302600_NS6detail15normal_iteratorINS9_10device_ptrIxEEEESE_SE_iNS9_4plusIvEENS9_8equal_toIvEEiEE10hipError_tPvRmT2_T3_T4_T5_mT6_T7_P12ihipStream_tbENKUlT_T0_E_clISt17integral_constantIbLb1EESY_IbLb0EEEEDaSU_SV_EUlSU_E_NS1_11comp_targetILNS1_3genE9ELNS1_11target_archE1100ELNS1_3gpuE3ELNS1_3repE0EEENS1_30default_config_static_selectorELNS0_4arch9wavefront6targetE0EEEvT1_.num_named_barrier, 0
	.set _ZN7rocprim17ROCPRIM_400000_NS6detail17trampoline_kernelINS0_14default_configENS1_27scan_by_key_config_selectorIxiEEZZNS1_16scan_by_key_implILNS1_25lookback_scan_determinismE0ELb1ES3_N6thrust23THRUST_200600_302600_NS6detail15normal_iteratorINS9_10device_ptrIxEEEESE_SE_iNS9_4plusIvEENS9_8equal_toIvEEiEE10hipError_tPvRmT2_T3_T4_T5_mT6_T7_P12ihipStream_tbENKUlT_T0_E_clISt17integral_constantIbLb1EESY_IbLb0EEEEDaSU_SV_EUlSU_E_NS1_11comp_targetILNS1_3genE9ELNS1_11target_archE1100ELNS1_3gpuE3ELNS1_3repE0EEENS1_30default_config_static_selectorELNS0_4arch9wavefront6targetE0EEEvT1_.private_seg_size, 0
	.set _ZN7rocprim17ROCPRIM_400000_NS6detail17trampoline_kernelINS0_14default_configENS1_27scan_by_key_config_selectorIxiEEZZNS1_16scan_by_key_implILNS1_25lookback_scan_determinismE0ELb1ES3_N6thrust23THRUST_200600_302600_NS6detail15normal_iteratorINS9_10device_ptrIxEEEESE_SE_iNS9_4plusIvEENS9_8equal_toIvEEiEE10hipError_tPvRmT2_T3_T4_T5_mT6_T7_P12ihipStream_tbENKUlT_T0_E_clISt17integral_constantIbLb1EESY_IbLb0EEEEDaSU_SV_EUlSU_E_NS1_11comp_targetILNS1_3genE9ELNS1_11target_archE1100ELNS1_3gpuE3ELNS1_3repE0EEENS1_30default_config_static_selectorELNS0_4arch9wavefront6targetE0EEEvT1_.uses_vcc, 0
	.set _ZN7rocprim17ROCPRIM_400000_NS6detail17trampoline_kernelINS0_14default_configENS1_27scan_by_key_config_selectorIxiEEZZNS1_16scan_by_key_implILNS1_25lookback_scan_determinismE0ELb1ES3_N6thrust23THRUST_200600_302600_NS6detail15normal_iteratorINS9_10device_ptrIxEEEESE_SE_iNS9_4plusIvEENS9_8equal_toIvEEiEE10hipError_tPvRmT2_T3_T4_T5_mT6_T7_P12ihipStream_tbENKUlT_T0_E_clISt17integral_constantIbLb1EESY_IbLb0EEEEDaSU_SV_EUlSU_E_NS1_11comp_targetILNS1_3genE9ELNS1_11target_archE1100ELNS1_3gpuE3ELNS1_3repE0EEENS1_30default_config_static_selectorELNS0_4arch9wavefront6targetE0EEEvT1_.uses_flat_scratch, 0
	.set _ZN7rocprim17ROCPRIM_400000_NS6detail17trampoline_kernelINS0_14default_configENS1_27scan_by_key_config_selectorIxiEEZZNS1_16scan_by_key_implILNS1_25lookback_scan_determinismE0ELb1ES3_N6thrust23THRUST_200600_302600_NS6detail15normal_iteratorINS9_10device_ptrIxEEEESE_SE_iNS9_4plusIvEENS9_8equal_toIvEEiEE10hipError_tPvRmT2_T3_T4_T5_mT6_T7_P12ihipStream_tbENKUlT_T0_E_clISt17integral_constantIbLb1EESY_IbLb0EEEEDaSU_SV_EUlSU_E_NS1_11comp_targetILNS1_3genE9ELNS1_11target_archE1100ELNS1_3gpuE3ELNS1_3repE0EEENS1_30default_config_static_selectorELNS0_4arch9wavefront6targetE0EEEvT1_.has_dyn_sized_stack, 0
	.set _ZN7rocprim17ROCPRIM_400000_NS6detail17trampoline_kernelINS0_14default_configENS1_27scan_by_key_config_selectorIxiEEZZNS1_16scan_by_key_implILNS1_25lookback_scan_determinismE0ELb1ES3_N6thrust23THRUST_200600_302600_NS6detail15normal_iteratorINS9_10device_ptrIxEEEESE_SE_iNS9_4plusIvEENS9_8equal_toIvEEiEE10hipError_tPvRmT2_T3_T4_T5_mT6_T7_P12ihipStream_tbENKUlT_T0_E_clISt17integral_constantIbLb1EESY_IbLb0EEEEDaSU_SV_EUlSU_E_NS1_11comp_targetILNS1_3genE9ELNS1_11target_archE1100ELNS1_3gpuE3ELNS1_3repE0EEENS1_30default_config_static_selectorELNS0_4arch9wavefront6targetE0EEEvT1_.has_recursion, 0
	.set _ZN7rocprim17ROCPRIM_400000_NS6detail17trampoline_kernelINS0_14default_configENS1_27scan_by_key_config_selectorIxiEEZZNS1_16scan_by_key_implILNS1_25lookback_scan_determinismE0ELb1ES3_N6thrust23THRUST_200600_302600_NS6detail15normal_iteratorINS9_10device_ptrIxEEEESE_SE_iNS9_4plusIvEENS9_8equal_toIvEEiEE10hipError_tPvRmT2_T3_T4_T5_mT6_T7_P12ihipStream_tbENKUlT_T0_E_clISt17integral_constantIbLb1EESY_IbLb0EEEEDaSU_SV_EUlSU_E_NS1_11comp_targetILNS1_3genE9ELNS1_11target_archE1100ELNS1_3gpuE3ELNS1_3repE0EEENS1_30default_config_static_selectorELNS0_4arch9wavefront6targetE0EEEvT1_.has_indirect_call, 0
	.section	.AMDGPU.csdata,"",@progbits
; Kernel info:
; codeLenInByte = 0
; TotalNumSgprs: 0
; NumVgprs: 0
; ScratchSize: 0
; MemoryBound: 0
; FloatMode: 240
; IeeeMode: 1
; LDSByteSize: 0 bytes/workgroup (compile time only)
; SGPRBlocks: 0
; VGPRBlocks: 0
; NumSGPRsForWavesPerEU: 1
; NumVGPRsForWavesPerEU: 1
; NamedBarCnt: 0
; Occupancy: 16
; WaveLimiterHint : 0
; COMPUTE_PGM_RSRC2:SCRATCH_EN: 0
; COMPUTE_PGM_RSRC2:USER_SGPR: 2
; COMPUTE_PGM_RSRC2:TRAP_HANDLER: 0
; COMPUTE_PGM_RSRC2:TGID_X_EN: 1
; COMPUTE_PGM_RSRC2:TGID_Y_EN: 0
; COMPUTE_PGM_RSRC2:TGID_Z_EN: 0
; COMPUTE_PGM_RSRC2:TIDIG_COMP_CNT: 0
	.section	.text._ZN7rocprim17ROCPRIM_400000_NS6detail17trampoline_kernelINS0_14default_configENS1_27scan_by_key_config_selectorIxiEEZZNS1_16scan_by_key_implILNS1_25lookback_scan_determinismE0ELb1ES3_N6thrust23THRUST_200600_302600_NS6detail15normal_iteratorINS9_10device_ptrIxEEEESE_SE_iNS9_4plusIvEENS9_8equal_toIvEEiEE10hipError_tPvRmT2_T3_T4_T5_mT6_T7_P12ihipStream_tbENKUlT_T0_E_clISt17integral_constantIbLb1EESY_IbLb0EEEEDaSU_SV_EUlSU_E_NS1_11comp_targetILNS1_3genE8ELNS1_11target_archE1030ELNS1_3gpuE2ELNS1_3repE0EEENS1_30default_config_static_selectorELNS0_4arch9wavefront6targetE0EEEvT1_,"axG",@progbits,_ZN7rocprim17ROCPRIM_400000_NS6detail17trampoline_kernelINS0_14default_configENS1_27scan_by_key_config_selectorIxiEEZZNS1_16scan_by_key_implILNS1_25lookback_scan_determinismE0ELb1ES3_N6thrust23THRUST_200600_302600_NS6detail15normal_iteratorINS9_10device_ptrIxEEEESE_SE_iNS9_4plusIvEENS9_8equal_toIvEEiEE10hipError_tPvRmT2_T3_T4_T5_mT6_T7_P12ihipStream_tbENKUlT_T0_E_clISt17integral_constantIbLb1EESY_IbLb0EEEEDaSU_SV_EUlSU_E_NS1_11comp_targetILNS1_3genE8ELNS1_11target_archE1030ELNS1_3gpuE2ELNS1_3repE0EEENS1_30default_config_static_selectorELNS0_4arch9wavefront6targetE0EEEvT1_,comdat
	.protected	_ZN7rocprim17ROCPRIM_400000_NS6detail17trampoline_kernelINS0_14default_configENS1_27scan_by_key_config_selectorIxiEEZZNS1_16scan_by_key_implILNS1_25lookback_scan_determinismE0ELb1ES3_N6thrust23THRUST_200600_302600_NS6detail15normal_iteratorINS9_10device_ptrIxEEEESE_SE_iNS9_4plusIvEENS9_8equal_toIvEEiEE10hipError_tPvRmT2_T3_T4_T5_mT6_T7_P12ihipStream_tbENKUlT_T0_E_clISt17integral_constantIbLb1EESY_IbLb0EEEEDaSU_SV_EUlSU_E_NS1_11comp_targetILNS1_3genE8ELNS1_11target_archE1030ELNS1_3gpuE2ELNS1_3repE0EEENS1_30default_config_static_selectorELNS0_4arch9wavefront6targetE0EEEvT1_ ; -- Begin function _ZN7rocprim17ROCPRIM_400000_NS6detail17trampoline_kernelINS0_14default_configENS1_27scan_by_key_config_selectorIxiEEZZNS1_16scan_by_key_implILNS1_25lookback_scan_determinismE0ELb1ES3_N6thrust23THRUST_200600_302600_NS6detail15normal_iteratorINS9_10device_ptrIxEEEESE_SE_iNS9_4plusIvEENS9_8equal_toIvEEiEE10hipError_tPvRmT2_T3_T4_T5_mT6_T7_P12ihipStream_tbENKUlT_T0_E_clISt17integral_constantIbLb1EESY_IbLb0EEEEDaSU_SV_EUlSU_E_NS1_11comp_targetILNS1_3genE8ELNS1_11target_archE1030ELNS1_3gpuE2ELNS1_3repE0EEENS1_30default_config_static_selectorELNS0_4arch9wavefront6targetE0EEEvT1_
	.globl	_ZN7rocprim17ROCPRIM_400000_NS6detail17trampoline_kernelINS0_14default_configENS1_27scan_by_key_config_selectorIxiEEZZNS1_16scan_by_key_implILNS1_25lookback_scan_determinismE0ELb1ES3_N6thrust23THRUST_200600_302600_NS6detail15normal_iteratorINS9_10device_ptrIxEEEESE_SE_iNS9_4plusIvEENS9_8equal_toIvEEiEE10hipError_tPvRmT2_T3_T4_T5_mT6_T7_P12ihipStream_tbENKUlT_T0_E_clISt17integral_constantIbLb1EESY_IbLb0EEEEDaSU_SV_EUlSU_E_NS1_11comp_targetILNS1_3genE8ELNS1_11target_archE1030ELNS1_3gpuE2ELNS1_3repE0EEENS1_30default_config_static_selectorELNS0_4arch9wavefront6targetE0EEEvT1_
	.p2align	8
	.type	_ZN7rocprim17ROCPRIM_400000_NS6detail17trampoline_kernelINS0_14default_configENS1_27scan_by_key_config_selectorIxiEEZZNS1_16scan_by_key_implILNS1_25lookback_scan_determinismE0ELb1ES3_N6thrust23THRUST_200600_302600_NS6detail15normal_iteratorINS9_10device_ptrIxEEEESE_SE_iNS9_4plusIvEENS9_8equal_toIvEEiEE10hipError_tPvRmT2_T3_T4_T5_mT6_T7_P12ihipStream_tbENKUlT_T0_E_clISt17integral_constantIbLb1EESY_IbLb0EEEEDaSU_SV_EUlSU_E_NS1_11comp_targetILNS1_3genE8ELNS1_11target_archE1030ELNS1_3gpuE2ELNS1_3repE0EEENS1_30default_config_static_selectorELNS0_4arch9wavefront6targetE0EEEvT1_,@function
_ZN7rocprim17ROCPRIM_400000_NS6detail17trampoline_kernelINS0_14default_configENS1_27scan_by_key_config_selectorIxiEEZZNS1_16scan_by_key_implILNS1_25lookback_scan_determinismE0ELb1ES3_N6thrust23THRUST_200600_302600_NS6detail15normal_iteratorINS9_10device_ptrIxEEEESE_SE_iNS9_4plusIvEENS9_8equal_toIvEEiEE10hipError_tPvRmT2_T3_T4_T5_mT6_T7_P12ihipStream_tbENKUlT_T0_E_clISt17integral_constantIbLb1EESY_IbLb0EEEEDaSU_SV_EUlSU_E_NS1_11comp_targetILNS1_3genE8ELNS1_11target_archE1030ELNS1_3gpuE2ELNS1_3repE0EEENS1_30default_config_static_selectorELNS0_4arch9wavefront6targetE0EEEvT1_: ; @_ZN7rocprim17ROCPRIM_400000_NS6detail17trampoline_kernelINS0_14default_configENS1_27scan_by_key_config_selectorIxiEEZZNS1_16scan_by_key_implILNS1_25lookback_scan_determinismE0ELb1ES3_N6thrust23THRUST_200600_302600_NS6detail15normal_iteratorINS9_10device_ptrIxEEEESE_SE_iNS9_4plusIvEENS9_8equal_toIvEEiEE10hipError_tPvRmT2_T3_T4_T5_mT6_T7_P12ihipStream_tbENKUlT_T0_E_clISt17integral_constantIbLb1EESY_IbLb0EEEEDaSU_SV_EUlSU_E_NS1_11comp_targetILNS1_3genE8ELNS1_11target_archE1030ELNS1_3gpuE2ELNS1_3repE0EEENS1_30default_config_static_selectorELNS0_4arch9wavefront6targetE0EEEvT1_
; %bb.0:
	.section	.rodata,"a",@progbits
	.p2align	6, 0x0
	.amdhsa_kernel _ZN7rocprim17ROCPRIM_400000_NS6detail17trampoline_kernelINS0_14default_configENS1_27scan_by_key_config_selectorIxiEEZZNS1_16scan_by_key_implILNS1_25lookback_scan_determinismE0ELb1ES3_N6thrust23THRUST_200600_302600_NS6detail15normal_iteratorINS9_10device_ptrIxEEEESE_SE_iNS9_4plusIvEENS9_8equal_toIvEEiEE10hipError_tPvRmT2_T3_T4_T5_mT6_T7_P12ihipStream_tbENKUlT_T0_E_clISt17integral_constantIbLb1EESY_IbLb0EEEEDaSU_SV_EUlSU_E_NS1_11comp_targetILNS1_3genE8ELNS1_11target_archE1030ELNS1_3gpuE2ELNS1_3repE0EEENS1_30default_config_static_selectorELNS0_4arch9wavefront6targetE0EEEvT1_
		.amdhsa_group_segment_fixed_size 0
		.amdhsa_private_segment_fixed_size 0
		.amdhsa_kernarg_size 112
		.amdhsa_user_sgpr_count 2
		.amdhsa_user_sgpr_dispatch_ptr 0
		.amdhsa_user_sgpr_queue_ptr 0
		.amdhsa_user_sgpr_kernarg_segment_ptr 1
		.amdhsa_user_sgpr_dispatch_id 0
		.amdhsa_user_sgpr_kernarg_preload_length 0
		.amdhsa_user_sgpr_kernarg_preload_offset 0
		.amdhsa_user_sgpr_private_segment_size 0
		.amdhsa_wavefront_size32 1
		.amdhsa_uses_dynamic_stack 0
		.amdhsa_enable_private_segment 0
		.amdhsa_system_sgpr_workgroup_id_x 1
		.amdhsa_system_sgpr_workgroup_id_y 0
		.amdhsa_system_sgpr_workgroup_id_z 0
		.amdhsa_system_sgpr_workgroup_info 0
		.amdhsa_system_vgpr_workitem_id 0
		.amdhsa_next_free_vgpr 1
		.amdhsa_next_free_sgpr 1
		.amdhsa_named_barrier_count 0
		.amdhsa_reserve_vcc 0
		.amdhsa_float_round_mode_32 0
		.amdhsa_float_round_mode_16_64 0
		.amdhsa_float_denorm_mode_32 3
		.amdhsa_float_denorm_mode_16_64 3
		.amdhsa_fp16_overflow 0
		.amdhsa_memory_ordered 1
		.amdhsa_forward_progress 1
		.amdhsa_inst_pref_size 0
		.amdhsa_round_robin_scheduling 0
		.amdhsa_exception_fp_ieee_invalid_op 0
		.amdhsa_exception_fp_denorm_src 0
		.amdhsa_exception_fp_ieee_div_zero 0
		.amdhsa_exception_fp_ieee_overflow 0
		.amdhsa_exception_fp_ieee_underflow 0
		.amdhsa_exception_fp_ieee_inexact 0
		.amdhsa_exception_int_div_zero 0
	.end_amdhsa_kernel
	.section	.text._ZN7rocprim17ROCPRIM_400000_NS6detail17trampoline_kernelINS0_14default_configENS1_27scan_by_key_config_selectorIxiEEZZNS1_16scan_by_key_implILNS1_25lookback_scan_determinismE0ELb1ES3_N6thrust23THRUST_200600_302600_NS6detail15normal_iteratorINS9_10device_ptrIxEEEESE_SE_iNS9_4plusIvEENS9_8equal_toIvEEiEE10hipError_tPvRmT2_T3_T4_T5_mT6_T7_P12ihipStream_tbENKUlT_T0_E_clISt17integral_constantIbLb1EESY_IbLb0EEEEDaSU_SV_EUlSU_E_NS1_11comp_targetILNS1_3genE8ELNS1_11target_archE1030ELNS1_3gpuE2ELNS1_3repE0EEENS1_30default_config_static_selectorELNS0_4arch9wavefront6targetE0EEEvT1_,"axG",@progbits,_ZN7rocprim17ROCPRIM_400000_NS6detail17trampoline_kernelINS0_14default_configENS1_27scan_by_key_config_selectorIxiEEZZNS1_16scan_by_key_implILNS1_25lookback_scan_determinismE0ELb1ES3_N6thrust23THRUST_200600_302600_NS6detail15normal_iteratorINS9_10device_ptrIxEEEESE_SE_iNS9_4plusIvEENS9_8equal_toIvEEiEE10hipError_tPvRmT2_T3_T4_T5_mT6_T7_P12ihipStream_tbENKUlT_T0_E_clISt17integral_constantIbLb1EESY_IbLb0EEEEDaSU_SV_EUlSU_E_NS1_11comp_targetILNS1_3genE8ELNS1_11target_archE1030ELNS1_3gpuE2ELNS1_3repE0EEENS1_30default_config_static_selectorELNS0_4arch9wavefront6targetE0EEEvT1_,comdat
.Lfunc_end1030:
	.size	_ZN7rocprim17ROCPRIM_400000_NS6detail17trampoline_kernelINS0_14default_configENS1_27scan_by_key_config_selectorIxiEEZZNS1_16scan_by_key_implILNS1_25lookback_scan_determinismE0ELb1ES3_N6thrust23THRUST_200600_302600_NS6detail15normal_iteratorINS9_10device_ptrIxEEEESE_SE_iNS9_4plusIvEENS9_8equal_toIvEEiEE10hipError_tPvRmT2_T3_T4_T5_mT6_T7_P12ihipStream_tbENKUlT_T0_E_clISt17integral_constantIbLb1EESY_IbLb0EEEEDaSU_SV_EUlSU_E_NS1_11comp_targetILNS1_3genE8ELNS1_11target_archE1030ELNS1_3gpuE2ELNS1_3repE0EEENS1_30default_config_static_selectorELNS0_4arch9wavefront6targetE0EEEvT1_, .Lfunc_end1030-_ZN7rocprim17ROCPRIM_400000_NS6detail17trampoline_kernelINS0_14default_configENS1_27scan_by_key_config_selectorIxiEEZZNS1_16scan_by_key_implILNS1_25lookback_scan_determinismE0ELb1ES3_N6thrust23THRUST_200600_302600_NS6detail15normal_iteratorINS9_10device_ptrIxEEEESE_SE_iNS9_4plusIvEENS9_8equal_toIvEEiEE10hipError_tPvRmT2_T3_T4_T5_mT6_T7_P12ihipStream_tbENKUlT_T0_E_clISt17integral_constantIbLb1EESY_IbLb0EEEEDaSU_SV_EUlSU_E_NS1_11comp_targetILNS1_3genE8ELNS1_11target_archE1030ELNS1_3gpuE2ELNS1_3repE0EEENS1_30default_config_static_selectorELNS0_4arch9wavefront6targetE0EEEvT1_
                                        ; -- End function
	.set _ZN7rocprim17ROCPRIM_400000_NS6detail17trampoline_kernelINS0_14default_configENS1_27scan_by_key_config_selectorIxiEEZZNS1_16scan_by_key_implILNS1_25lookback_scan_determinismE0ELb1ES3_N6thrust23THRUST_200600_302600_NS6detail15normal_iteratorINS9_10device_ptrIxEEEESE_SE_iNS9_4plusIvEENS9_8equal_toIvEEiEE10hipError_tPvRmT2_T3_T4_T5_mT6_T7_P12ihipStream_tbENKUlT_T0_E_clISt17integral_constantIbLb1EESY_IbLb0EEEEDaSU_SV_EUlSU_E_NS1_11comp_targetILNS1_3genE8ELNS1_11target_archE1030ELNS1_3gpuE2ELNS1_3repE0EEENS1_30default_config_static_selectorELNS0_4arch9wavefront6targetE0EEEvT1_.num_vgpr, 0
	.set _ZN7rocprim17ROCPRIM_400000_NS6detail17trampoline_kernelINS0_14default_configENS1_27scan_by_key_config_selectorIxiEEZZNS1_16scan_by_key_implILNS1_25lookback_scan_determinismE0ELb1ES3_N6thrust23THRUST_200600_302600_NS6detail15normal_iteratorINS9_10device_ptrIxEEEESE_SE_iNS9_4plusIvEENS9_8equal_toIvEEiEE10hipError_tPvRmT2_T3_T4_T5_mT6_T7_P12ihipStream_tbENKUlT_T0_E_clISt17integral_constantIbLb1EESY_IbLb0EEEEDaSU_SV_EUlSU_E_NS1_11comp_targetILNS1_3genE8ELNS1_11target_archE1030ELNS1_3gpuE2ELNS1_3repE0EEENS1_30default_config_static_selectorELNS0_4arch9wavefront6targetE0EEEvT1_.num_agpr, 0
	.set _ZN7rocprim17ROCPRIM_400000_NS6detail17trampoline_kernelINS0_14default_configENS1_27scan_by_key_config_selectorIxiEEZZNS1_16scan_by_key_implILNS1_25lookback_scan_determinismE0ELb1ES3_N6thrust23THRUST_200600_302600_NS6detail15normal_iteratorINS9_10device_ptrIxEEEESE_SE_iNS9_4plusIvEENS9_8equal_toIvEEiEE10hipError_tPvRmT2_T3_T4_T5_mT6_T7_P12ihipStream_tbENKUlT_T0_E_clISt17integral_constantIbLb1EESY_IbLb0EEEEDaSU_SV_EUlSU_E_NS1_11comp_targetILNS1_3genE8ELNS1_11target_archE1030ELNS1_3gpuE2ELNS1_3repE0EEENS1_30default_config_static_selectorELNS0_4arch9wavefront6targetE0EEEvT1_.numbered_sgpr, 0
	.set _ZN7rocprim17ROCPRIM_400000_NS6detail17trampoline_kernelINS0_14default_configENS1_27scan_by_key_config_selectorIxiEEZZNS1_16scan_by_key_implILNS1_25lookback_scan_determinismE0ELb1ES3_N6thrust23THRUST_200600_302600_NS6detail15normal_iteratorINS9_10device_ptrIxEEEESE_SE_iNS9_4plusIvEENS9_8equal_toIvEEiEE10hipError_tPvRmT2_T3_T4_T5_mT6_T7_P12ihipStream_tbENKUlT_T0_E_clISt17integral_constantIbLb1EESY_IbLb0EEEEDaSU_SV_EUlSU_E_NS1_11comp_targetILNS1_3genE8ELNS1_11target_archE1030ELNS1_3gpuE2ELNS1_3repE0EEENS1_30default_config_static_selectorELNS0_4arch9wavefront6targetE0EEEvT1_.num_named_barrier, 0
	.set _ZN7rocprim17ROCPRIM_400000_NS6detail17trampoline_kernelINS0_14default_configENS1_27scan_by_key_config_selectorIxiEEZZNS1_16scan_by_key_implILNS1_25lookback_scan_determinismE0ELb1ES3_N6thrust23THRUST_200600_302600_NS6detail15normal_iteratorINS9_10device_ptrIxEEEESE_SE_iNS9_4plusIvEENS9_8equal_toIvEEiEE10hipError_tPvRmT2_T3_T4_T5_mT6_T7_P12ihipStream_tbENKUlT_T0_E_clISt17integral_constantIbLb1EESY_IbLb0EEEEDaSU_SV_EUlSU_E_NS1_11comp_targetILNS1_3genE8ELNS1_11target_archE1030ELNS1_3gpuE2ELNS1_3repE0EEENS1_30default_config_static_selectorELNS0_4arch9wavefront6targetE0EEEvT1_.private_seg_size, 0
	.set _ZN7rocprim17ROCPRIM_400000_NS6detail17trampoline_kernelINS0_14default_configENS1_27scan_by_key_config_selectorIxiEEZZNS1_16scan_by_key_implILNS1_25lookback_scan_determinismE0ELb1ES3_N6thrust23THRUST_200600_302600_NS6detail15normal_iteratorINS9_10device_ptrIxEEEESE_SE_iNS9_4plusIvEENS9_8equal_toIvEEiEE10hipError_tPvRmT2_T3_T4_T5_mT6_T7_P12ihipStream_tbENKUlT_T0_E_clISt17integral_constantIbLb1EESY_IbLb0EEEEDaSU_SV_EUlSU_E_NS1_11comp_targetILNS1_3genE8ELNS1_11target_archE1030ELNS1_3gpuE2ELNS1_3repE0EEENS1_30default_config_static_selectorELNS0_4arch9wavefront6targetE0EEEvT1_.uses_vcc, 0
	.set _ZN7rocprim17ROCPRIM_400000_NS6detail17trampoline_kernelINS0_14default_configENS1_27scan_by_key_config_selectorIxiEEZZNS1_16scan_by_key_implILNS1_25lookback_scan_determinismE0ELb1ES3_N6thrust23THRUST_200600_302600_NS6detail15normal_iteratorINS9_10device_ptrIxEEEESE_SE_iNS9_4plusIvEENS9_8equal_toIvEEiEE10hipError_tPvRmT2_T3_T4_T5_mT6_T7_P12ihipStream_tbENKUlT_T0_E_clISt17integral_constantIbLb1EESY_IbLb0EEEEDaSU_SV_EUlSU_E_NS1_11comp_targetILNS1_3genE8ELNS1_11target_archE1030ELNS1_3gpuE2ELNS1_3repE0EEENS1_30default_config_static_selectorELNS0_4arch9wavefront6targetE0EEEvT1_.uses_flat_scratch, 0
	.set _ZN7rocprim17ROCPRIM_400000_NS6detail17trampoline_kernelINS0_14default_configENS1_27scan_by_key_config_selectorIxiEEZZNS1_16scan_by_key_implILNS1_25lookback_scan_determinismE0ELb1ES3_N6thrust23THRUST_200600_302600_NS6detail15normal_iteratorINS9_10device_ptrIxEEEESE_SE_iNS9_4plusIvEENS9_8equal_toIvEEiEE10hipError_tPvRmT2_T3_T4_T5_mT6_T7_P12ihipStream_tbENKUlT_T0_E_clISt17integral_constantIbLb1EESY_IbLb0EEEEDaSU_SV_EUlSU_E_NS1_11comp_targetILNS1_3genE8ELNS1_11target_archE1030ELNS1_3gpuE2ELNS1_3repE0EEENS1_30default_config_static_selectorELNS0_4arch9wavefront6targetE0EEEvT1_.has_dyn_sized_stack, 0
	.set _ZN7rocprim17ROCPRIM_400000_NS6detail17trampoline_kernelINS0_14default_configENS1_27scan_by_key_config_selectorIxiEEZZNS1_16scan_by_key_implILNS1_25lookback_scan_determinismE0ELb1ES3_N6thrust23THRUST_200600_302600_NS6detail15normal_iteratorINS9_10device_ptrIxEEEESE_SE_iNS9_4plusIvEENS9_8equal_toIvEEiEE10hipError_tPvRmT2_T3_T4_T5_mT6_T7_P12ihipStream_tbENKUlT_T0_E_clISt17integral_constantIbLb1EESY_IbLb0EEEEDaSU_SV_EUlSU_E_NS1_11comp_targetILNS1_3genE8ELNS1_11target_archE1030ELNS1_3gpuE2ELNS1_3repE0EEENS1_30default_config_static_selectorELNS0_4arch9wavefront6targetE0EEEvT1_.has_recursion, 0
	.set _ZN7rocprim17ROCPRIM_400000_NS6detail17trampoline_kernelINS0_14default_configENS1_27scan_by_key_config_selectorIxiEEZZNS1_16scan_by_key_implILNS1_25lookback_scan_determinismE0ELb1ES3_N6thrust23THRUST_200600_302600_NS6detail15normal_iteratorINS9_10device_ptrIxEEEESE_SE_iNS9_4plusIvEENS9_8equal_toIvEEiEE10hipError_tPvRmT2_T3_T4_T5_mT6_T7_P12ihipStream_tbENKUlT_T0_E_clISt17integral_constantIbLb1EESY_IbLb0EEEEDaSU_SV_EUlSU_E_NS1_11comp_targetILNS1_3genE8ELNS1_11target_archE1030ELNS1_3gpuE2ELNS1_3repE0EEENS1_30default_config_static_selectorELNS0_4arch9wavefront6targetE0EEEvT1_.has_indirect_call, 0
	.section	.AMDGPU.csdata,"",@progbits
; Kernel info:
; codeLenInByte = 0
; TotalNumSgprs: 0
; NumVgprs: 0
; ScratchSize: 0
; MemoryBound: 0
; FloatMode: 240
; IeeeMode: 1
; LDSByteSize: 0 bytes/workgroup (compile time only)
; SGPRBlocks: 0
; VGPRBlocks: 0
; NumSGPRsForWavesPerEU: 1
; NumVGPRsForWavesPerEU: 1
; NamedBarCnt: 0
; Occupancy: 16
; WaveLimiterHint : 0
; COMPUTE_PGM_RSRC2:SCRATCH_EN: 0
; COMPUTE_PGM_RSRC2:USER_SGPR: 2
; COMPUTE_PGM_RSRC2:TRAP_HANDLER: 0
; COMPUTE_PGM_RSRC2:TGID_X_EN: 1
; COMPUTE_PGM_RSRC2:TGID_Y_EN: 0
; COMPUTE_PGM_RSRC2:TGID_Z_EN: 0
; COMPUTE_PGM_RSRC2:TIDIG_COMP_CNT: 0
	.section	.text._ZN7rocprim17ROCPRIM_400000_NS6detail30init_device_scan_by_key_kernelINS1_19lookback_scan_stateINS0_5tupleIJibEEELb0ELb1EEEN6thrust23THRUST_200600_302600_NS6detail15normal_iteratorINS8_10device_ptrIxEEEEjNS1_16block_id_wrapperIjLb1EEEEEvT_jjPNSG_10value_typeET0_PNSt15iterator_traitsISJ_E10value_typeEmT1_T2_,"axG",@progbits,_ZN7rocprim17ROCPRIM_400000_NS6detail30init_device_scan_by_key_kernelINS1_19lookback_scan_stateINS0_5tupleIJibEEELb0ELb1EEEN6thrust23THRUST_200600_302600_NS6detail15normal_iteratorINS8_10device_ptrIxEEEEjNS1_16block_id_wrapperIjLb1EEEEEvT_jjPNSG_10value_typeET0_PNSt15iterator_traitsISJ_E10value_typeEmT1_T2_,comdat
	.protected	_ZN7rocprim17ROCPRIM_400000_NS6detail30init_device_scan_by_key_kernelINS1_19lookback_scan_stateINS0_5tupleIJibEEELb0ELb1EEEN6thrust23THRUST_200600_302600_NS6detail15normal_iteratorINS8_10device_ptrIxEEEEjNS1_16block_id_wrapperIjLb1EEEEEvT_jjPNSG_10value_typeET0_PNSt15iterator_traitsISJ_E10value_typeEmT1_T2_ ; -- Begin function _ZN7rocprim17ROCPRIM_400000_NS6detail30init_device_scan_by_key_kernelINS1_19lookback_scan_stateINS0_5tupleIJibEEELb0ELb1EEEN6thrust23THRUST_200600_302600_NS6detail15normal_iteratorINS8_10device_ptrIxEEEEjNS1_16block_id_wrapperIjLb1EEEEEvT_jjPNSG_10value_typeET0_PNSt15iterator_traitsISJ_E10value_typeEmT1_T2_
	.globl	_ZN7rocprim17ROCPRIM_400000_NS6detail30init_device_scan_by_key_kernelINS1_19lookback_scan_stateINS0_5tupleIJibEEELb0ELb1EEEN6thrust23THRUST_200600_302600_NS6detail15normal_iteratorINS8_10device_ptrIxEEEEjNS1_16block_id_wrapperIjLb1EEEEEvT_jjPNSG_10value_typeET0_PNSt15iterator_traitsISJ_E10value_typeEmT1_T2_
	.p2align	8
	.type	_ZN7rocprim17ROCPRIM_400000_NS6detail30init_device_scan_by_key_kernelINS1_19lookback_scan_stateINS0_5tupleIJibEEELb0ELb1EEEN6thrust23THRUST_200600_302600_NS6detail15normal_iteratorINS8_10device_ptrIxEEEEjNS1_16block_id_wrapperIjLb1EEEEEvT_jjPNSG_10value_typeET0_PNSt15iterator_traitsISJ_E10value_typeEmT1_T2_,@function
_ZN7rocprim17ROCPRIM_400000_NS6detail30init_device_scan_by_key_kernelINS1_19lookback_scan_stateINS0_5tupleIJibEEELb0ELb1EEEN6thrust23THRUST_200600_302600_NS6detail15normal_iteratorINS8_10device_ptrIxEEEEjNS1_16block_id_wrapperIjLb1EEEEEvT_jjPNSG_10value_typeET0_PNSt15iterator_traitsISJ_E10value_typeEmT1_T2_: ; @_ZN7rocprim17ROCPRIM_400000_NS6detail30init_device_scan_by_key_kernelINS1_19lookback_scan_stateINS0_5tupleIJibEEELb0ELb1EEEN6thrust23THRUST_200600_302600_NS6detail15normal_iteratorINS8_10device_ptrIxEEEEjNS1_16block_id_wrapperIjLb1EEEEEvT_jjPNSG_10value_typeET0_PNSt15iterator_traitsISJ_E10value_typeEmT1_T2_
; %bb.0:
	s_clause 0x2
	s_load_b32 s2, s[0:1], 0x4c
	s_load_b32 s14, s[0:1], 0x40
	s_load_b256 s[4:11], s[0:1], 0x0
	s_bfe_u32 s3, ttmp6, 0x4000c
	s_and_b32 s12, ttmp6, 15
	s_add_co_i32 s3, s3, 1
	s_getreg_b32 s13, hwreg(HW_REG_IB_STS2, 6, 4)
	s_mul_i32 s3, ttmp9, s3
	s_delay_alu instid0(SALU_CYCLE_1)
	s_add_co_i32 s12, s12, s3
	s_wait_kmcnt 0x0
	s_and_b32 s15, s2, 0xffff
	s_cmp_eq_u32 s13, 0
	s_cselect_b32 s2, ttmp9, s12
	s_cmp_eq_u64 s[8:9], 0
	v_mad_u32 v4, s2, s15, v0
	s_cbranch_scc1 .LBB1031_8
; %bb.1:
	s_cmp_lt_u32 s7, s6
	s_mov_b32 s16, exec_lo
	s_cselect_b32 s2, s7, 0
	s_delay_alu instid0(VALU_DEP_1) | instid1(SALU_CYCLE_1)
	v_cmpx_eq_u32_e64 s2, v4
	s_cbranch_execz .LBB1031_7
; %bb.2:
	s_add_co_i32 s2, s7, 32
	s_mov_b32 s3, 0
	v_mov_b32_e32 v7, 0
	s_lshl_b64 s[12:13], s[2:3], 4
	s_mov_b32 s2, exec_lo
	s_add_nc_u64 s[12:13], s[4:5], s[12:13]
	s_delay_alu instid0(SALU_CYCLE_1) | instskip(SKIP_2) | instid1(VALU_DEP_1)
	v_mov_b64_e32 v[0:1], s[12:13]
	;;#ASMSTART
	global_load_b128 v[0:3], v[0:1] off scope:SCOPE_DEV	
s_wait_loadcnt 0x0
	;;#ASMEND
	v_and_b32_e32 v6, 0xff, v2
	v_cmpx_eq_u64_e32 0, v[6:7]
	s_cbranch_execz .LBB1031_6
; %bb.3:
	v_mov_b64_e32 v[8:9], s[12:13]
.LBB1031_4:                             ; =>This Inner Loop Header: Depth=1
	;;#ASMSTART
	global_load_b128 v[0:3], v[8:9] off scope:SCOPE_DEV	
s_wait_loadcnt 0x0
	;;#ASMEND
	v_and_b32_e32 v6, 0xff, v2
	s_delay_alu instid0(VALU_DEP_1) | instskip(SKIP_1) | instid1(SALU_CYCLE_1)
	v_cmp_ne_u64_e32 vcc_lo, 0, v[6:7]
	s_or_b32 s3, vcc_lo, s3
	s_and_not1_b32 exec_lo, exec_lo, s3
	s_cbranch_execnz .LBB1031_4
; %bb.5:
	s_or_b32 exec_lo, exec_lo, s3
.LBB1031_6:
	s_delay_alu instid0(SALU_CYCLE_1)
	s_or_b32 exec_lo, exec_lo, s2
	v_mov_b32_e32 v2, 0
	s_clause 0x1
	global_store_b32 v2, v0, s[8:9]
	global_store_b8 v2, v1, s[8:9] offset:4
.LBB1031_7:
	s_wait_xcnt 0x0
	s_or_b32 exec_lo, exec_lo, s16
.LBB1031_8:
	s_delay_alu instid0(SALU_CYCLE_1) | instskip(NEXT) | instid1(VALU_DEP_1)
	s_mov_b32 s2, exec_lo
	v_cmpx_eq_u32_e32 0, v4
	s_cbranch_execz .LBB1031_10
; %bb.9:
	s_load_b64 s[8:9], s[0:1], 0x38
	v_mov_b32_e32 v0, 0
	s_wait_kmcnt 0x0
	global_store_b32 v0, v0, s[8:9]
.LBB1031_10:
	s_wait_xcnt 0x0
	s_or_b32 exec_lo, exec_lo, s2
	s_delay_alu instid0(SALU_CYCLE_1)
	s_mov_b32 s2, exec_lo
	v_cmpx_gt_u32_e64 s6, v4
	s_cbranch_execz .LBB1031_12
; %bb.11:
	v_dual_mov_b32 v0, 0 :: v_dual_add_nc_u32 v5, 32, v4
	s_delay_alu instid0(VALU_DEP_1)
	v_dual_mov_b32 v1, v0 :: v_dual_mov_b32 v2, v0
	v_mov_b32_e32 v3, v0
	global_store_b128 v5, v[0:3], s[4:5] scale_offset
.LBB1031_12:
	s_wait_xcnt 0x0
	s_or_b32 exec_lo, exec_lo, s2
	v_mov_b32_e32 v5, 0
	s_mov_b32 s2, exec_lo
	v_cmpx_gt_u32_e32 32, v4
	s_cbranch_execz .LBB1031_14
; %bb.13:
	s_delay_alu instid0(VALU_DEP_2)
	v_lshl_add_u64 v[6:7], v[4:5], 4, s[4:5]
	v_dual_mov_b32 v2, 0xff :: v_dual_mov_b32 v1, v5
	v_dual_mov_b32 v0, v5 :: v_dual_mov_b32 v3, v5
	global_store_b128 v[6:7], v[0:3], off
.LBB1031_14:
	s_wait_xcnt 0x0
	s_or_b32 exec_lo, exec_lo, s2
	s_load_b64 s[2:3], s[0:1], 0x28
	s_mov_b32 s4, exec_lo
	s_wait_kmcnt 0x0
	v_cmpx_gt_u64_e64 s[2:3], v[4:5]
	s_cbranch_execz .LBB1031_17
; %bb.15:
	s_clause 0x1
	s_load_b32 s4, s[0:1], 0x30
	s_load_b64 s[6:7], s[0:1], 0x20
	s_mov_b32 s5, 0
	s_wait_xcnt 0x0
	s_mul_i32 s0, s14, s15
	s_mov_b32 s9, s5
	s_mov_b32 s1, s5
	s_wait_kmcnt 0x0
	v_mul_u64_e32 v[0:1], s[4:5], v[4:5]
	s_add_co_i32 s8, s4, -1
	v_lshl_add_u64 v[2:3], v[4:5], 3, s[6:7]
	s_lshl_b64 s[8:9], s[8:9], 3
	s_delay_alu instid0(SALU_CYCLE_1) | instskip(SKIP_1) | instid1(SALU_CYCLE_1)
	s_add_nc_u64 s[8:9], s[10:11], s[8:9]
	s_mul_u64 s[10:11], s[4:5], s[0:1]
	s_lshl_b64 s[6:7], s[10:11], 3
	s_delay_alu instid0(VALU_DEP_2)
	v_lshl_add_u64 v[0:1], v[0:1], 3, s[8:9]
	s_lshl_b64 s[8:9], s[0:1], 3
.LBB1031_16:                            ; =>This Inner Loop Header: Depth=1
	global_load_b64 v[6:7], v[0:1], off
	v_add_nc_u64_e32 v[4:5], s[0:1], v[4:5]
	s_wait_xcnt 0x0
	v_add_nc_u64_e32 v[0:1], s[6:7], v[0:1]
	s_delay_alu instid0(VALU_DEP_2)
	v_cmp_le_u64_e32 vcc_lo, s[2:3], v[4:5]
	s_or_b32 s5, vcc_lo, s5
	s_wait_loadcnt 0x0
	global_store_b64 v[2:3], v[6:7], off
	s_wait_xcnt 0x0
	v_add_nc_u64_e32 v[2:3], s[8:9], v[2:3]
	s_and_not1_b32 exec_lo, exec_lo, s5
	s_cbranch_execnz .LBB1031_16
.LBB1031_17:
	s_endpgm
	.section	.rodata,"a",@progbits
	.p2align	6, 0x0
	.amdhsa_kernel _ZN7rocprim17ROCPRIM_400000_NS6detail30init_device_scan_by_key_kernelINS1_19lookback_scan_stateINS0_5tupleIJibEEELb0ELb1EEEN6thrust23THRUST_200600_302600_NS6detail15normal_iteratorINS8_10device_ptrIxEEEEjNS1_16block_id_wrapperIjLb1EEEEEvT_jjPNSG_10value_typeET0_PNSt15iterator_traitsISJ_E10value_typeEmT1_T2_
		.amdhsa_group_segment_fixed_size 0
		.amdhsa_private_segment_fixed_size 0
		.amdhsa_kernarg_size 320
		.amdhsa_user_sgpr_count 2
		.amdhsa_user_sgpr_dispatch_ptr 0
		.amdhsa_user_sgpr_queue_ptr 0
		.amdhsa_user_sgpr_kernarg_segment_ptr 1
		.amdhsa_user_sgpr_dispatch_id 0
		.amdhsa_user_sgpr_kernarg_preload_length 0
		.amdhsa_user_sgpr_kernarg_preload_offset 0
		.amdhsa_user_sgpr_private_segment_size 0
		.amdhsa_wavefront_size32 1
		.amdhsa_uses_dynamic_stack 0
		.amdhsa_enable_private_segment 0
		.amdhsa_system_sgpr_workgroup_id_x 1
		.amdhsa_system_sgpr_workgroup_id_y 0
		.amdhsa_system_sgpr_workgroup_id_z 0
		.amdhsa_system_sgpr_workgroup_info 0
		.amdhsa_system_vgpr_workitem_id 0
		.amdhsa_next_free_vgpr 10
		.amdhsa_next_free_sgpr 17
		.amdhsa_named_barrier_count 0
		.amdhsa_reserve_vcc 1
		.amdhsa_float_round_mode_32 0
		.amdhsa_float_round_mode_16_64 0
		.amdhsa_float_denorm_mode_32 3
		.amdhsa_float_denorm_mode_16_64 3
		.amdhsa_fp16_overflow 0
		.amdhsa_memory_ordered 1
		.amdhsa_forward_progress 1
		.amdhsa_inst_pref_size 5
		.amdhsa_round_robin_scheduling 0
		.amdhsa_exception_fp_ieee_invalid_op 0
		.amdhsa_exception_fp_denorm_src 0
		.amdhsa_exception_fp_ieee_div_zero 0
		.amdhsa_exception_fp_ieee_overflow 0
		.amdhsa_exception_fp_ieee_underflow 0
		.amdhsa_exception_fp_ieee_inexact 0
		.amdhsa_exception_int_div_zero 0
	.end_amdhsa_kernel
	.section	.text._ZN7rocprim17ROCPRIM_400000_NS6detail30init_device_scan_by_key_kernelINS1_19lookback_scan_stateINS0_5tupleIJibEEELb0ELb1EEEN6thrust23THRUST_200600_302600_NS6detail15normal_iteratorINS8_10device_ptrIxEEEEjNS1_16block_id_wrapperIjLb1EEEEEvT_jjPNSG_10value_typeET0_PNSt15iterator_traitsISJ_E10value_typeEmT1_T2_,"axG",@progbits,_ZN7rocprim17ROCPRIM_400000_NS6detail30init_device_scan_by_key_kernelINS1_19lookback_scan_stateINS0_5tupleIJibEEELb0ELb1EEEN6thrust23THRUST_200600_302600_NS6detail15normal_iteratorINS8_10device_ptrIxEEEEjNS1_16block_id_wrapperIjLb1EEEEEvT_jjPNSG_10value_typeET0_PNSt15iterator_traitsISJ_E10value_typeEmT1_T2_,comdat
.Lfunc_end1031:
	.size	_ZN7rocprim17ROCPRIM_400000_NS6detail30init_device_scan_by_key_kernelINS1_19lookback_scan_stateINS0_5tupleIJibEEELb0ELb1EEEN6thrust23THRUST_200600_302600_NS6detail15normal_iteratorINS8_10device_ptrIxEEEEjNS1_16block_id_wrapperIjLb1EEEEEvT_jjPNSG_10value_typeET0_PNSt15iterator_traitsISJ_E10value_typeEmT1_T2_, .Lfunc_end1031-_ZN7rocprim17ROCPRIM_400000_NS6detail30init_device_scan_by_key_kernelINS1_19lookback_scan_stateINS0_5tupleIJibEEELb0ELb1EEEN6thrust23THRUST_200600_302600_NS6detail15normal_iteratorINS8_10device_ptrIxEEEEjNS1_16block_id_wrapperIjLb1EEEEEvT_jjPNSG_10value_typeET0_PNSt15iterator_traitsISJ_E10value_typeEmT1_T2_
                                        ; -- End function
	.set _ZN7rocprim17ROCPRIM_400000_NS6detail30init_device_scan_by_key_kernelINS1_19lookback_scan_stateINS0_5tupleIJibEEELb0ELb1EEEN6thrust23THRUST_200600_302600_NS6detail15normal_iteratorINS8_10device_ptrIxEEEEjNS1_16block_id_wrapperIjLb1EEEEEvT_jjPNSG_10value_typeET0_PNSt15iterator_traitsISJ_E10value_typeEmT1_T2_.num_vgpr, 10
	.set _ZN7rocprim17ROCPRIM_400000_NS6detail30init_device_scan_by_key_kernelINS1_19lookback_scan_stateINS0_5tupleIJibEEELb0ELb1EEEN6thrust23THRUST_200600_302600_NS6detail15normal_iteratorINS8_10device_ptrIxEEEEjNS1_16block_id_wrapperIjLb1EEEEEvT_jjPNSG_10value_typeET0_PNSt15iterator_traitsISJ_E10value_typeEmT1_T2_.num_agpr, 0
	.set _ZN7rocprim17ROCPRIM_400000_NS6detail30init_device_scan_by_key_kernelINS1_19lookback_scan_stateINS0_5tupleIJibEEELb0ELb1EEEN6thrust23THRUST_200600_302600_NS6detail15normal_iteratorINS8_10device_ptrIxEEEEjNS1_16block_id_wrapperIjLb1EEEEEvT_jjPNSG_10value_typeET0_PNSt15iterator_traitsISJ_E10value_typeEmT1_T2_.numbered_sgpr, 17
	.set _ZN7rocprim17ROCPRIM_400000_NS6detail30init_device_scan_by_key_kernelINS1_19lookback_scan_stateINS0_5tupleIJibEEELb0ELb1EEEN6thrust23THRUST_200600_302600_NS6detail15normal_iteratorINS8_10device_ptrIxEEEEjNS1_16block_id_wrapperIjLb1EEEEEvT_jjPNSG_10value_typeET0_PNSt15iterator_traitsISJ_E10value_typeEmT1_T2_.num_named_barrier, 0
	.set _ZN7rocprim17ROCPRIM_400000_NS6detail30init_device_scan_by_key_kernelINS1_19lookback_scan_stateINS0_5tupleIJibEEELb0ELb1EEEN6thrust23THRUST_200600_302600_NS6detail15normal_iteratorINS8_10device_ptrIxEEEEjNS1_16block_id_wrapperIjLb1EEEEEvT_jjPNSG_10value_typeET0_PNSt15iterator_traitsISJ_E10value_typeEmT1_T2_.private_seg_size, 0
	.set _ZN7rocprim17ROCPRIM_400000_NS6detail30init_device_scan_by_key_kernelINS1_19lookback_scan_stateINS0_5tupleIJibEEELb0ELb1EEEN6thrust23THRUST_200600_302600_NS6detail15normal_iteratorINS8_10device_ptrIxEEEEjNS1_16block_id_wrapperIjLb1EEEEEvT_jjPNSG_10value_typeET0_PNSt15iterator_traitsISJ_E10value_typeEmT1_T2_.uses_vcc, 1
	.set _ZN7rocprim17ROCPRIM_400000_NS6detail30init_device_scan_by_key_kernelINS1_19lookback_scan_stateINS0_5tupleIJibEEELb0ELb1EEEN6thrust23THRUST_200600_302600_NS6detail15normal_iteratorINS8_10device_ptrIxEEEEjNS1_16block_id_wrapperIjLb1EEEEEvT_jjPNSG_10value_typeET0_PNSt15iterator_traitsISJ_E10value_typeEmT1_T2_.uses_flat_scratch, 0
	.set _ZN7rocprim17ROCPRIM_400000_NS6detail30init_device_scan_by_key_kernelINS1_19lookback_scan_stateINS0_5tupleIJibEEELb0ELb1EEEN6thrust23THRUST_200600_302600_NS6detail15normal_iteratorINS8_10device_ptrIxEEEEjNS1_16block_id_wrapperIjLb1EEEEEvT_jjPNSG_10value_typeET0_PNSt15iterator_traitsISJ_E10value_typeEmT1_T2_.has_dyn_sized_stack, 0
	.set _ZN7rocprim17ROCPRIM_400000_NS6detail30init_device_scan_by_key_kernelINS1_19lookback_scan_stateINS0_5tupleIJibEEELb0ELb1EEEN6thrust23THRUST_200600_302600_NS6detail15normal_iteratorINS8_10device_ptrIxEEEEjNS1_16block_id_wrapperIjLb1EEEEEvT_jjPNSG_10value_typeET0_PNSt15iterator_traitsISJ_E10value_typeEmT1_T2_.has_recursion, 0
	.set _ZN7rocprim17ROCPRIM_400000_NS6detail30init_device_scan_by_key_kernelINS1_19lookback_scan_stateINS0_5tupleIJibEEELb0ELb1EEEN6thrust23THRUST_200600_302600_NS6detail15normal_iteratorINS8_10device_ptrIxEEEEjNS1_16block_id_wrapperIjLb1EEEEEvT_jjPNSG_10value_typeET0_PNSt15iterator_traitsISJ_E10value_typeEmT1_T2_.has_indirect_call, 0
	.section	.AMDGPU.csdata,"",@progbits
; Kernel info:
; codeLenInByte = 636
; TotalNumSgprs: 19
; NumVgprs: 10
; ScratchSize: 0
; MemoryBound: 0
; FloatMode: 240
; IeeeMode: 1
; LDSByteSize: 0 bytes/workgroup (compile time only)
; SGPRBlocks: 0
; VGPRBlocks: 0
; NumSGPRsForWavesPerEU: 19
; NumVGPRsForWavesPerEU: 10
; NamedBarCnt: 0
; Occupancy: 16
; WaveLimiterHint : 0
; COMPUTE_PGM_RSRC2:SCRATCH_EN: 0
; COMPUTE_PGM_RSRC2:USER_SGPR: 2
; COMPUTE_PGM_RSRC2:TRAP_HANDLER: 0
; COMPUTE_PGM_RSRC2:TGID_X_EN: 1
; COMPUTE_PGM_RSRC2:TGID_Y_EN: 0
; COMPUTE_PGM_RSRC2:TGID_Z_EN: 0
; COMPUTE_PGM_RSRC2:TIDIG_COMP_CNT: 0
	.section	.text._ZN7rocprim17ROCPRIM_400000_NS6detail17trampoline_kernelINS0_14default_configENS1_27scan_by_key_config_selectorIxiEEZZNS1_16scan_by_key_implILNS1_25lookback_scan_determinismE0ELb1ES3_N6thrust23THRUST_200600_302600_NS6detail15normal_iteratorINS9_10device_ptrIxEEEESE_SE_iNS9_4plusIvEENS9_8equal_toIvEEiEE10hipError_tPvRmT2_T3_T4_T5_mT6_T7_P12ihipStream_tbENKUlT_T0_E_clISt17integral_constantIbLb0EESY_IbLb1EEEEDaSU_SV_EUlSU_E_NS1_11comp_targetILNS1_3genE0ELNS1_11target_archE4294967295ELNS1_3gpuE0ELNS1_3repE0EEENS1_30default_config_static_selectorELNS0_4arch9wavefront6targetE0EEEvT1_,"axG",@progbits,_ZN7rocprim17ROCPRIM_400000_NS6detail17trampoline_kernelINS0_14default_configENS1_27scan_by_key_config_selectorIxiEEZZNS1_16scan_by_key_implILNS1_25lookback_scan_determinismE0ELb1ES3_N6thrust23THRUST_200600_302600_NS6detail15normal_iteratorINS9_10device_ptrIxEEEESE_SE_iNS9_4plusIvEENS9_8equal_toIvEEiEE10hipError_tPvRmT2_T3_T4_T5_mT6_T7_P12ihipStream_tbENKUlT_T0_E_clISt17integral_constantIbLb0EESY_IbLb1EEEEDaSU_SV_EUlSU_E_NS1_11comp_targetILNS1_3genE0ELNS1_11target_archE4294967295ELNS1_3gpuE0ELNS1_3repE0EEENS1_30default_config_static_selectorELNS0_4arch9wavefront6targetE0EEEvT1_,comdat
	.protected	_ZN7rocprim17ROCPRIM_400000_NS6detail17trampoline_kernelINS0_14default_configENS1_27scan_by_key_config_selectorIxiEEZZNS1_16scan_by_key_implILNS1_25lookback_scan_determinismE0ELb1ES3_N6thrust23THRUST_200600_302600_NS6detail15normal_iteratorINS9_10device_ptrIxEEEESE_SE_iNS9_4plusIvEENS9_8equal_toIvEEiEE10hipError_tPvRmT2_T3_T4_T5_mT6_T7_P12ihipStream_tbENKUlT_T0_E_clISt17integral_constantIbLb0EESY_IbLb1EEEEDaSU_SV_EUlSU_E_NS1_11comp_targetILNS1_3genE0ELNS1_11target_archE4294967295ELNS1_3gpuE0ELNS1_3repE0EEENS1_30default_config_static_selectorELNS0_4arch9wavefront6targetE0EEEvT1_ ; -- Begin function _ZN7rocprim17ROCPRIM_400000_NS6detail17trampoline_kernelINS0_14default_configENS1_27scan_by_key_config_selectorIxiEEZZNS1_16scan_by_key_implILNS1_25lookback_scan_determinismE0ELb1ES3_N6thrust23THRUST_200600_302600_NS6detail15normal_iteratorINS9_10device_ptrIxEEEESE_SE_iNS9_4plusIvEENS9_8equal_toIvEEiEE10hipError_tPvRmT2_T3_T4_T5_mT6_T7_P12ihipStream_tbENKUlT_T0_E_clISt17integral_constantIbLb0EESY_IbLb1EEEEDaSU_SV_EUlSU_E_NS1_11comp_targetILNS1_3genE0ELNS1_11target_archE4294967295ELNS1_3gpuE0ELNS1_3repE0EEENS1_30default_config_static_selectorELNS0_4arch9wavefront6targetE0EEEvT1_
	.globl	_ZN7rocprim17ROCPRIM_400000_NS6detail17trampoline_kernelINS0_14default_configENS1_27scan_by_key_config_selectorIxiEEZZNS1_16scan_by_key_implILNS1_25lookback_scan_determinismE0ELb1ES3_N6thrust23THRUST_200600_302600_NS6detail15normal_iteratorINS9_10device_ptrIxEEEESE_SE_iNS9_4plusIvEENS9_8equal_toIvEEiEE10hipError_tPvRmT2_T3_T4_T5_mT6_T7_P12ihipStream_tbENKUlT_T0_E_clISt17integral_constantIbLb0EESY_IbLb1EEEEDaSU_SV_EUlSU_E_NS1_11comp_targetILNS1_3genE0ELNS1_11target_archE4294967295ELNS1_3gpuE0ELNS1_3repE0EEENS1_30default_config_static_selectorELNS0_4arch9wavefront6targetE0EEEvT1_
	.p2align	8
	.type	_ZN7rocprim17ROCPRIM_400000_NS6detail17trampoline_kernelINS0_14default_configENS1_27scan_by_key_config_selectorIxiEEZZNS1_16scan_by_key_implILNS1_25lookback_scan_determinismE0ELb1ES3_N6thrust23THRUST_200600_302600_NS6detail15normal_iteratorINS9_10device_ptrIxEEEESE_SE_iNS9_4plusIvEENS9_8equal_toIvEEiEE10hipError_tPvRmT2_T3_T4_T5_mT6_T7_P12ihipStream_tbENKUlT_T0_E_clISt17integral_constantIbLb0EESY_IbLb1EEEEDaSU_SV_EUlSU_E_NS1_11comp_targetILNS1_3genE0ELNS1_11target_archE4294967295ELNS1_3gpuE0ELNS1_3repE0EEENS1_30default_config_static_selectorELNS0_4arch9wavefront6targetE0EEEvT1_,@function
_ZN7rocprim17ROCPRIM_400000_NS6detail17trampoline_kernelINS0_14default_configENS1_27scan_by_key_config_selectorIxiEEZZNS1_16scan_by_key_implILNS1_25lookback_scan_determinismE0ELb1ES3_N6thrust23THRUST_200600_302600_NS6detail15normal_iteratorINS9_10device_ptrIxEEEESE_SE_iNS9_4plusIvEENS9_8equal_toIvEEiEE10hipError_tPvRmT2_T3_T4_T5_mT6_T7_P12ihipStream_tbENKUlT_T0_E_clISt17integral_constantIbLb0EESY_IbLb1EEEEDaSU_SV_EUlSU_E_NS1_11comp_targetILNS1_3genE0ELNS1_11target_archE4294967295ELNS1_3gpuE0ELNS1_3repE0EEENS1_30default_config_static_selectorELNS0_4arch9wavefront6targetE0EEEvT1_: ; @_ZN7rocprim17ROCPRIM_400000_NS6detail17trampoline_kernelINS0_14default_configENS1_27scan_by_key_config_selectorIxiEEZZNS1_16scan_by_key_implILNS1_25lookback_scan_determinismE0ELb1ES3_N6thrust23THRUST_200600_302600_NS6detail15normal_iteratorINS9_10device_ptrIxEEEESE_SE_iNS9_4plusIvEENS9_8equal_toIvEEiEE10hipError_tPvRmT2_T3_T4_T5_mT6_T7_P12ihipStream_tbENKUlT_T0_E_clISt17integral_constantIbLb0EESY_IbLb1EEEEDaSU_SV_EUlSU_E_NS1_11comp_targetILNS1_3genE0ELNS1_11target_archE4294967295ELNS1_3gpuE0ELNS1_3repE0EEENS1_30default_config_static_selectorELNS0_4arch9wavefront6targetE0EEEvT1_
; %bb.0:
	s_clause 0x2
	s_load_b32 s33, s[0:1], 0x20
	s_load_b128 s[20:23], s[0:1], 0x28
	s_load_b64 s[30:31], s[0:1], 0x38
	v_cmp_ne_u32_e64 s3, 0, v0
	v_cmp_eq_u32_e64 s2, 0, v0
	s_and_saveexec_b32 s4, s2
	s_cbranch_execz .LBB1032_4
; %bb.1:
	s_mov_b32 s6, exec_lo
	s_mov_b32 s5, exec_lo
	v_mbcnt_lo_u32_b32 v1, s6, 0
                                        ; implicit-def: $vgpr2
	s_delay_alu instid0(VALU_DEP_1)
	v_cmpx_eq_u32_e32 0, v1
	s_cbranch_execz .LBB1032_3
; %bb.2:
	s_load_b64 s[8:9], s[0:1], 0x68
	s_bcnt1_i32_b32 s6, s6
	s_delay_alu instid0(SALU_CYCLE_1)
	v_dual_mov_b32 v2, 0 :: v_dual_mov_b32 v3, s6
	s_wait_xcnt 0x0
	s_wait_kmcnt 0x0
	global_atomic_add_u32 v2, v2, v3, s[8:9] th:TH_ATOMIC_RETURN scope:SCOPE_DEV
.LBB1032_3:
	s_wait_xcnt 0x0
	s_or_b32 exec_lo, exec_lo, s5
	s_wait_loadcnt 0x0
	v_readfirstlane_b32 s5, v2
	s_delay_alu instid0(VALU_DEP_1)
	v_dual_mov_b32 v2, 0 :: v_dual_add_nc_u32 v1, s5, v1
	ds_store_b32 v2, v1
.LBB1032_4:
	s_or_b32 exec_lo, exec_lo, s4
	v_mov_b32_e32 v3, 0
	s_clause 0x2
	s_load_b256 s[12:19], s[0:1], 0x0
	s_load_b32 s4, s[0:1], 0x40
	s_load_b128 s[24:27], s[0:1], 0x48
	s_wait_dscnt 0x0
	s_barrier_signal -1
	s_barrier_wait -1
	ds_load_b32 v2, v3
	s_mov_b32 s5, 0
	s_wait_dscnt 0x0
	s_barrier_signal -1
	s_barrier_wait -1
	s_barrier_signal -1
	s_barrier_wait -1
	s_wait_kmcnt 0x0
	s_lshl_b64 s[28:29], s[14:15], 3
	s_mul_u64 s[0:1], s[30:31], s[4:5]
	s_add_nc_u64 s[10:11], s[24:25], -1
	s_add_nc_u64 s[6:7], s[12:13], s[28:29]
	s_add_nc_u64 s[8:9], s[16:17], s[28:29]
	s_mul_i32 s23, s10, 0xfffff200
	v_add_nc_u64_e32 v[4:5], s[0:1], v[2:3]
	v_readfirstlane_b32 s38, v2
	s_mul_i32 s4, s38, 0xe00
	v_cmp_le_u64_e64 s0, s[10:11], v[4:5]
	s_lshl_b64 s[24:25], s[4:5], 3
	s_delay_alu instid0(SALU_CYCLE_1)
	s_add_nc_u64 s[36:37], s[6:7], s[24:25]
	s_add_nc_u64 s[34:35], s[8:9], s[24:25]
	s_and_b32 vcc_lo, exec_lo, s0
	s_cbranch_vccz .LBB1032_80
; %bb.5:
	flat_load_b64 v[2:3], v3, s[36:37]
	s_add_co_i32 s17, s23, s22
	s_delay_alu instid0(SALU_CYCLE_1)
	v_cmp_gt_u32_e32 vcc_lo, s17, v0
	s_wait_loadcnt_dscnt 0x0
	v_mov_b64_e32 v[4:5], v[2:3]
	s_and_saveexec_b32 s1, vcc_lo
	s_cbranch_execz .LBB1032_7
; %bb.6:
	flat_load_b64 v[4:5], v0, s[36:37] scale_offset
.LBB1032_7:
	s_wait_xcnt 0x0
	s_or_b32 exec_lo, exec_lo, s1
	v_or_b32_e32 v1, 0x100, v0
	v_mov_b64_e32 v[6:7], v[2:3]
	s_delay_alu instid0(VALU_DEP_2)
	v_cmp_gt_u32_e64 s1, s17, v1
	s_and_saveexec_b32 s4, s1
	s_cbranch_execz .LBB1032_9
; %bb.8:
	flat_load_b64 v[6:7], v0, s[36:37] offset:2048 scale_offset
.LBB1032_9:
	s_wait_xcnt 0x0
	s_or_b32 exec_lo, exec_lo, s4
	v_or_b32_e32 v1, 0x200, v0
	v_mov_b64_e32 v[8:9], v[2:3]
	s_delay_alu instid0(VALU_DEP_2)
	v_cmp_gt_u32_e64 s4, s17, v1
	s_and_saveexec_b32 s5, s4
	s_cbranch_execz .LBB1032_11
; %bb.10:
	flat_load_b64 v[8:9], v0, s[36:37] offset:4096 scale_offset
.LBB1032_11:
	;; [unrolled: 11-line block ×12, first 2 shown]
	s_wait_xcnt 0x0
	s_or_b32 exec_lo, exec_lo, s15
	v_or_b32_e32 v1, 0xd00, v0
	s_delay_alu instid0(VALU_DEP_1) | instskip(SKIP_2) | instid1(SALU_CYCLE_1)
	v_cmp_gt_u32_e64 s15, s17, v1
	v_cmp_le_u32_e64 s16, s17, v1
	s_and_saveexec_b32 s39, s16
	s_xor_b32 s16, exec_lo, s39
	s_delay_alu instid0(SALU_CYCLE_1)
	s_and_not1_saveexec_b32 s16, s16
	s_cbranch_execz .LBB1032_33
; %bb.32:
	flat_load_b64 v[2:3], v0, s[36:37] offset:26624 scale_offset
.LBB1032_33:
	s_wait_xcnt 0x0
	s_or_b32 exec_lo, exec_lo, s16
	v_lshlrev_b32_e32 v1, 3, v0
	s_mov_b32 s39, exec_lo
	s_wait_loadcnt_dscnt 0x0
	ds_store_2addr_stride64_b64 v1, v[4:5], v[6:7] offset1:4
	ds_store_2addr_stride64_b64 v1, v[8:9], v[10:11] offset0:8 offset1:12
	ds_store_2addr_stride64_b64 v1, v[12:13], v[14:15] offset0:16 offset1:20
	;; [unrolled: 1-line block ×6, first 2 shown]
	v_mov_b32_e32 v2, 0
	s_wait_dscnt 0x0
	s_barrier_signal -1
	s_barrier_wait -1
	flat_load_b64 v[32:33], v2, s[36:37]
	v_mad_u32_u24 v1, 0x68, v0, v1
	ds_load_b128 v[26:29], v1
	ds_load_b128 v[22:25], v1 offset:16
	ds_load_b128 v[18:21], v1 offset:32
	ds_load_b128 v[14:17], v1 offset:48
	ds_load_b128 v[10:13], v1 offset:64
	ds_load_b128 v[6:9], v1 offset:80
	s_wait_xcnt 0x0
	ds_load_b128 v[2:5], v1 offset:96
	v_mad_i32_i24 v30, 0xffffff98, v0, v1
	s_wait_dscnt 0x6
	ds_store_b64 v30, v[26:27] offset:30720
	s_wait_loadcnt_dscnt 0x0
	s_barrier_signal -1
	s_barrier_wait -1
	v_cmpx_ne_u32_e32 0xff, v0
; %bb.34:
	ds_load_b64 v[32:33], v30 offset:30728
; %bb.35:
	s_or_b32 exec_lo, exec_lo, s39
	v_lshlrev_b32_e32 v31, 3, v0
	s_wait_dscnt 0x0
	s_barrier_signal -1
	s_barrier_wait -1
                                        ; implicit-def: $vgpr34
	s_and_saveexec_b32 s16, vcc_lo
	s_cbranch_execz .LBB1032_116
; %bb.36:
	flat_load_b32 v34, v31, s[34:35]
	s_wait_xcnt 0x0
	s_or_b32 exec_lo, exec_lo, s16
                                        ; implicit-def: $vgpr35
	s_and_saveexec_b32 s16, s1
	s_cbranch_execnz .LBB1032_117
.LBB1032_37:
	s_or_b32 exec_lo, exec_lo, s16
                                        ; implicit-def: $vgpr36
	s_and_saveexec_b32 s1, s4
	s_cbranch_execz .LBB1032_118
.LBB1032_38:
	flat_load_b32 v36, v31, s[34:35] offset:4096
	s_wait_xcnt 0x0
	s_or_b32 exec_lo, exec_lo, s1
                                        ; implicit-def: $vgpr37
	s_and_saveexec_b32 s1, s5
	s_cbranch_execnz .LBB1032_119
.LBB1032_39:
	s_or_b32 exec_lo, exec_lo, s1
                                        ; implicit-def: $vgpr38
	s_and_saveexec_b32 s1, s6
	s_cbranch_execz .LBB1032_120
.LBB1032_40:
	flat_load_b32 v38, v31, s[34:35] offset:8192
	s_wait_xcnt 0x0
	s_or_b32 exec_lo, exec_lo, s1
                                        ; implicit-def: $vgpr39
	s_and_saveexec_b32 s1, s7
	s_cbranch_execnz .LBB1032_121
.LBB1032_41:
	s_or_b32 exec_lo, exec_lo, s1
                                        ; implicit-def: $vgpr40
	s_and_saveexec_b32 s1, s8
	s_cbranch_execz .LBB1032_122
.LBB1032_42:
	flat_load_b32 v40, v31, s[34:35] offset:12288
	s_wait_xcnt 0x0
	s_or_b32 exec_lo, exec_lo, s1
                                        ; implicit-def: $vgpr41
	s_and_saveexec_b32 s1, s9
	s_cbranch_execnz .LBB1032_123
.LBB1032_43:
	s_or_b32 exec_lo, exec_lo, s1
                                        ; implicit-def: $vgpr42
	s_and_saveexec_b32 s1, s10
	s_cbranch_execz .LBB1032_124
.LBB1032_44:
	flat_load_b32 v42, v31, s[34:35] offset:16384
	s_wait_xcnt 0x0
	s_or_b32 exec_lo, exec_lo, s1
                                        ; implicit-def: $vgpr43
	s_and_saveexec_b32 s1, s11
	s_cbranch_execnz .LBB1032_125
.LBB1032_45:
	s_or_b32 exec_lo, exec_lo, s1
                                        ; implicit-def: $vgpr44
	s_and_saveexec_b32 s1, s12
	s_cbranch_execz .LBB1032_126
.LBB1032_46:
	flat_load_b32 v44, v31, s[34:35] offset:20480
	s_wait_xcnt 0x0
	s_or_b32 exec_lo, exec_lo, s1
                                        ; implicit-def: $vgpr45
	s_and_saveexec_b32 s1, s13
	s_cbranch_execnz .LBB1032_127
.LBB1032_47:
	s_or_b32 exec_lo, exec_lo, s1
                                        ; implicit-def: $vgpr46
	s_and_saveexec_b32 s1, s14
	s_cbranch_execz .LBB1032_49
.LBB1032_48:
	flat_load_b32 v46, v31, s[34:35] offset:24576
.LBB1032_49:
	s_wait_xcnt 0x0
	s_or_b32 exec_lo, exec_lo, s1
	v_mul_u32_u24_e32 v1, 14, v0
                                        ; implicit-def: $vgpr47
	s_and_saveexec_b32 s1, s15
	s_cbranch_execz .LBB1032_51
; %bb.50:
	flat_load_b32 v47, v31, s[34:35] offset:26624
.LBB1032_51:
	s_wait_xcnt 0x0
	s_or_b32 exec_lo, exec_lo, s1
	v_lshlrev_b32_e32 v31, 2, v0
	v_mov_b64_e32 v[58:59], 0
	v_mov_b64_e32 v[60:61], 0
	;; [unrolled: 1-line block ×4, first 2 shown]
	v_sub_nc_u32_e32 v83, v30, v31
	v_mov_b64_e32 v[30:31], 0
	v_mov_b64_e32 v[66:67], 0
	;; [unrolled: 1-line block ×4, first 2 shown]
	s_wait_loadcnt_dscnt 0x0
	ds_store_2addr_stride64_b32 v83, v34, v35 offset1:4
	ds_store_2addr_stride64_b32 v83, v36, v37 offset0:8 offset1:12
	ds_store_2addr_stride64_b32 v83, v38, v39 offset0:16 offset1:20
	;; [unrolled: 1-line block ×6, first 2 shown]
	v_mov_b64_e32 v[72:73], 0
	v_mov_b64_e32 v[74:75], 0
	;; [unrolled: 1-line block ×17, first 2 shown]
	s_mov_b32 s1, 0
	s_mov_b32 s5, 0
	s_mov_b32 s4, exec_lo
	s_wait_dscnt 0x0
	s_barrier_signal -1
	s_barrier_wait -1
                                        ; implicit-def: $sgpr6
                                        ; implicit-def: $vgpr82
	v_cmpx_gt_u32_e64 s17, v1
	s_cbranch_execz .LBB1032_79
; %bb.52:
	v_mad_u32_u24 v30, v0, 52, v83
	v_cmp_eq_u64_e32 vcc_lo, v[26:27], v[28:29]
	v_mov_b64_e32 v[58:59], 0
	v_mov_b64_e32 v[60:61], 0
	;; [unrolled: 1-line block ×3, first 2 shown]
	ds_load_b32 v30, v30
	v_or_b32_e32 v56, 1, v1
	v_mov_b64_e32 v[64:65], 0
	v_mov_b64_e32 v[66:67], 0
	v_mov_b64_e32 v[68:69], 0
	v_mov_b64_e32 v[70:71], 0
	v_mov_b64_e32 v[72:73], 0
	v_mov_b64_e32 v[74:75], 0
	v_mov_b64_e32 v[76:77], 0
	v_mov_b64_e32 v[78:79], 0
	v_mov_b64_e32 v[80:81], 0
	v_mov_b64_e32 v[54:55], 0
	v_mov_b64_e32 v[52:53], 0
	v_mov_b64_e32 v[50:51], 0
	v_mov_b64_e32 v[48:49], 0
	v_mov_b64_e32 v[46:47], 0
	v_mov_b64_e32 v[44:45], 0
	v_mov_b64_e32 v[42:43], 0
	v_mov_b64_e32 v[40:41], 0
	v_mov_b64_e32 v[38:39], 0
	s_wait_dscnt 0x0
	v_cndmask_b32_e32 v30, s33, v30, vcc_lo
	v_cmp_ne_u64_e32 vcc_lo, v[26:27], v[28:29]
	v_mov_b64_e32 v[36:37], 0
	v_mov_b64_e32 v[34:35], 0
	s_mov_b32 s7, 0
	s_mov_b32 s5, exec_lo
                                        ; implicit-def: $sgpr6
                                        ; implicit-def: $vgpr82
	v_cndmask_b32_e64 v31, 0, 1, vcc_lo
	v_cmpx_gt_u32_e64 s17, v56
	s_cbranch_execz .LBB1032_78
; %bb.53:
	v_mul_u32_u24_e32 v26, 52, v0
	v_cmp_ne_u64_e32 vcc_lo, v[28:29], v[22:23]
	v_mov_b64_e32 v[60:61], 0
	v_mov_b64_e32 v[62:63], 0
	v_mov_b64_e32 v[64:65], 0
	v_dual_add_nc_u32 v54, v83, v26 :: v_dual_add_nc_u32 v55, 2, v1
	v_mov_b64_e32 v[66:67], 0
	v_cndmask_b32_e64 v59, 0, 1, vcc_lo
	v_cmp_eq_u64_e32 vcc_lo, v[28:29], v[22:23]
	ds_load_2addr_b32 v[26:27], v54 offset0:1 offset1:2
	v_mov_b64_e32 v[68:69], 0
	v_mov_b64_e32 v[70:71], 0
	;; [unrolled: 1-line block ×17, first 2 shown]
	s_mov_b32 s8, 0
	s_mov_b32 s7, exec_lo
	s_wait_dscnt 0x0
	v_cndmask_b32_e32 v58, s33, v26, vcc_lo
                                        ; implicit-def: $sgpr6
                                        ; implicit-def: $vgpr82
	v_cmpx_gt_u32_e64 s17, v55
	s_cbranch_execz .LBB1032_77
; %bb.54:
	v_cmp_eq_u64_e32 vcc_lo, v[22:23], v[24:25]
	v_mov_b64_e32 v[62:63], 0
	v_mov_b64_e32 v[64:65], 0
	;; [unrolled: 1-line block ×6, first 2 shown]
	v_dual_cndmask_b32 v60, s33, v27, vcc_lo :: v_dual_add_nc_u32 v26, 3, v1
	v_cmp_ne_u64_e32 vcc_lo, v[22:23], v[24:25]
	v_mov_b64_e32 v[74:75], 0
	v_mov_b64_e32 v[76:77], 0
	;; [unrolled: 1-line block ×13, first 2 shown]
	v_cndmask_b32_e64 v61, 0, 1, vcc_lo
	s_mov_b32 s9, 0
	s_mov_b32 s8, exec_lo
                                        ; implicit-def: $sgpr6
                                        ; implicit-def: $vgpr82
	v_cmpx_gt_u32_e64 s17, v26
	s_cbranch_execz .LBB1032_76
; %bb.55:
	ds_load_2addr_b32 v[22:23], v54 offset0:3 offset1:4
	v_cmp_eq_u64_e32 vcc_lo, v[24:25], v[18:19]
	v_add_nc_u32_e32 v26, 4, v1
	v_mov_b64_e32 v[64:65], 0
	v_mov_b64_e32 v[66:67], 0
	v_mov_b64_e32 v[68:69], 0
	v_mov_b64_e32 v[70:71], 0
	v_mov_b64_e32 v[72:73], 0
	v_mov_b64_e32 v[74:75], 0
	v_mov_b64_e32 v[76:77], 0
	v_mov_b64_e32 v[78:79], 0
	v_mov_b64_e32 v[80:81], 0
	v_mov_b64_e32 v[48:49], 0
	v_mov_b64_e32 v[46:47], 0
	v_mov_b64_e32 v[44:45], 0
	v_mov_b64_e32 v[42:43], 0
	v_mov_b64_e32 v[40:41], 0
	v_mov_b64_e32 v[38:39], 0
	v_mov_b64_e32 v[36:37], 0
	v_mov_b64_e32 v[34:35], 0
	s_wait_dscnt 0x0
	v_cndmask_b32_e32 v62, s33, v22, vcc_lo
	v_cmp_ne_u64_e32 vcc_lo, v[24:25], v[18:19]
	s_mov_b32 s10, 0
	s_mov_b32 s9, exec_lo
                                        ; implicit-def: $sgpr6
                                        ; implicit-def: $vgpr82
	v_cndmask_b32_e64 v63, 0, 1, vcc_lo
	v_cmpx_gt_u32_e64 s17, v26
	s_cbranch_execz .LBB1032_75
; %bb.56:
	v_cmp_eq_u64_e32 vcc_lo, v[18:19], v[20:21]
	v_mov_b64_e32 v[66:67], 0
	v_mov_b64_e32 v[68:69], 0
	;; [unrolled: 1-line block ×6, first 2 shown]
	v_dual_cndmask_b32 v64, s33, v23, vcc_lo :: v_dual_add_nc_u32 v22, 5, v1
	v_cmp_ne_u64_e32 vcc_lo, v[18:19], v[20:21]
	v_mov_b64_e32 v[78:79], 0
	v_mov_b64_e32 v[80:81], 0
	;; [unrolled: 1-line block ×9, first 2 shown]
	v_cndmask_b32_e64 v65, 0, 1, vcc_lo
	s_mov_b32 s11, 0
	s_mov_b32 s10, exec_lo
                                        ; implicit-def: $sgpr6
                                        ; implicit-def: $vgpr82
	v_cmpx_gt_u32_e64 s17, v22
	s_cbranch_execz .LBB1032_74
; %bb.57:
	ds_load_2addr_b32 v[18:19], v54 offset0:5 offset1:6
	v_cmp_ne_u64_e32 vcc_lo, v[20:21], v[14:15]
	v_mov_b64_e32 v[68:69], 0
	v_mov_b64_e32 v[70:71], 0
	v_mov_b64_e32 v[72:73], 0
	v_mov_b64_e32 v[74:75], 0
	v_mov_b64_e32 v[76:77], 0
	v_mov_b64_e32 v[78:79], 0
	v_cndmask_b32_e64 v67, 0, 1, vcc_lo
	v_cmp_eq_u64_e32 vcc_lo, v[20:21], v[14:15]
	v_mov_b64_e32 v[80:81], 0
	v_mov_b64_e32 v[44:45], 0
	;; [unrolled: 1-line block ×7, first 2 shown]
	v_add_nc_u32_e32 v22, 6, v1
	s_mov_b32 s12, 0
	s_mov_b32 s11, exec_lo
	s_wait_dscnt 0x0
	v_cndmask_b32_e32 v66, s33, v18, vcc_lo
                                        ; implicit-def: $sgpr6
                                        ; implicit-def: $vgpr82
	v_cmpx_gt_u32_e64 s17, v22
	s_cbranch_execz .LBB1032_73
; %bb.58:
	v_cmp_eq_u64_e32 vcc_lo, v[14:15], v[16:17]
	v_mov_b64_e32 v[70:71], 0
	v_mov_b64_e32 v[72:73], 0
	;; [unrolled: 1-line block ×6, first 2 shown]
	v_dual_cndmask_b32 v68, s33, v19, vcc_lo :: v_dual_add_nc_u32 v18, 7, v1
	v_cmp_ne_u64_e32 vcc_lo, v[14:15], v[16:17]
	v_mov_b64_e32 v[42:43], 0
	v_mov_b64_e32 v[40:41], 0
	;; [unrolled: 1-line block ×5, first 2 shown]
	s_mov_b32 s13, 0
	v_cndmask_b32_e64 v69, 0, 1, vcc_lo
	s_mov_b32 s12, exec_lo
                                        ; implicit-def: $sgpr6
                                        ; implicit-def: $vgpr82
	v_cmpx_gt_u32_e64 s17, v18
	s_cbranch_execz .LBB1032_72
; %bb.59:
	ds_load_2addr_b32 v[14:15], v54 offset0:7 offset1:8
	v_cmp_ne_u64_e32 vcc_lo, v[16:17], v[10:11]
	v_mov_b64_e32 v[72:73], 0
	v_mov_b64_e32 v[74:75], 0
	;; [unrolled: 1-line block ×6, first 2 shown]
	v_cndmask_b32_e64 v71, 0, 1, vcc_lo
	v_cmp_eq_u64_e32 vcc_lo, v[16:17], v[10:11]
	v_mov_b64_e32 v[38:39], 0
	v_mov_b64_e32 v[36:37], 0
	;; [unrolled: 1-line block ×3, first 2 shown]
	v_add_nc_u32_e32 v18, 8, v1
	s_mov_b32 s14, 0
	s_mov_b32 s13, exec_lo
                                        ; implicit-def: $sgpr6
                                        ; implicit-def: $vgpr82
	s_wait_dscnt 0x0
	v_cndmask_b32_e32 v70, s33, v14, vcc_lo
	v_cmpx_gt_u32_e64 s17, v18
	s_cbranch_execz .LBB1032_71
; %bb.60:
	v_cmp_eq_u64_e32 vcc_lo, v[10:11], v[12:13]
	v_mov_b64_e32 v[74:75], 0
	v_mov_b64_e32 v[76:77], 0
	;; [unrolled: 1-line block ×6, first 2 shown]
	v_dual_cndmask_b32 v72, s33, v15, vcc_lo :: v_dual_add_nc_u32 v14, 9, v1
	v_cmp_ne_u64_e32 vcc_lo, v[10:11], v[12:13]
	v_mov_b64_e32 v[34:35], 0
	s_mov_b32 s15, 0
	s_mov_b32 s14, exec_lo
                                        ; implicit-def: $sgpr6
                                        ; implicit-def: $vgpr82
	v_cndmask_b32_e64 v73, 0, 1, vcc_lo
	v_cmpx_gt_u32_e64 s17, v14
	s_cbranch_execz .LBB1032_70
; %bb.61:
	ds_load_2addr_b32 v[10:11], v54 offset0:9 offset1:10
	v_cmp_ne_u64_e32 vcc_lo, v[12:13], v[6:7]
	v_mov_b64_e32 v[76:77], 0
	v_mov_b64_e32 v[78:79], 0
	;; [unrolled: 1-line block ×5, first 2 shown]
	s_mov_b32 s16, 0
	v_cndmask_b32_e64 v75, 0, 1, vcc_lo
	v_cmp_eq_u64_e32 vcc_lo, v[12:13], v[6:7]
	v_add_nc_u32_e32 v14, 10, v1
	s_mov_b32 s15, exec_lo
                                        ; implicit-def: $sgpr6
                                        ; implicit-def: $vgpr82
	s_wait_dscnt 0x0
	v_cndmask_b32_e32 v74, s33, v10, vcc_lo
	s_delay_alu instid0(VALU_DEP_2)
	v_cmpx_gt_u32_e64 s17, v14
	s_cbranch_execz .LBB1032_69
; %bb.62:
	v_cmp_eq_u64_e32 vcc_lo, v[6:7], v[8:9]
	v_mov_b64_e32 v[78:79], 0
	v_mov_b64_e32 v[80:81], 0
	;; [unrolled: 1-line block ×3, first 2 shown]
	s_mov_b32 s39, 0
	s_mov_b32 s16, exec_lo
                                        ; implicit-def: $sgpr6
                                        ; implicit-def: $vgpr82
	v_dual_add_nc_u32 v10, 11, v1 :: v_dual_cndmask_b32 v76, s33, v11, vcc_lo
	v_cmp_ne_u64_e32 vcc_lo, v[6:7], v[8:9]
	v_cndmask_b32_e64 v77, 0, 1, vcc_lo
	s_delay_alu instid0(VALU_DEP_3)
	v_cmpx_gt_u32_e64 s17, v10
	s_cbranch_execz .LBB1032_68
; %bb.63:
	ds_load_2addr_b32 v[6:7], v54 offset0:11 offset1:12
	v_cmp_ne_u64_e32 vcc_lo, v[8:9], v[2:3]
	v_mov_b64_e32 v[80:81], 0
	s_mov_b32 s40, 0
	s_mov_b32 s39, exec_lo
                                        ; implicit-def: $sgpr6
                                        ; implicit-def: $vgpr82
	v_cndmask_b32_e64 v79, 0, 1, vcc_lo
	v_cmp_eq_u64_e32 vcc_lo, v[8:9], v[2:3]
	s_wait_dscnt 0x0
	v_dual_add_nc_u32 v10, 12, v1 :: v_dual_cndmask_b32 v78, s33, v6, vcc_lo
	s_delay_alu instid0(VALU_DEP_1)
	v_cmpx_gt_u32_e64 s17, v10
	s_cbranch_execz .LBB1032_67
; %bb.64:
	v_cmp_eq_u64_e32 vcc_lo, v[2:3], v[4:5]
	v_add_nc_u32_e32 v1, 13, v1
                                        ; implicit-def: $sgpr6
                                        ; implicit-def: $vgpr82
	v_cndmask_b32_e32 v80, s33, v7, vcc_lo
	v_cmp_ne_u64_e32 vcc_lo, v[2:3], v[4:5]
	v_cndmask_b32_e64 v81, 0, 1, vcc_lo
	s_delay_alu instid0(VALU_DEP_4) | instskip(SKIP_2) | instid1(SALU_CYCLE_1)
	v_cmp_gt_u32_e32 vcc_lo, s17, v1
	s_mov_b32 s17, 0
	s_and_saveexec_b32 s40, vcc_lo
	s_xor_b32 s40, exec_lo, s40
	s_cbranch_execz .LBB1032_66
; %bb.65:
	ds_load_b32 v1, v54 offset:52
	v_cmp_ne_u64_e64 s6, v[4:5], v[32:33]
	s_mov_b32 s17, exec_lo
	s_wait_dscnt 0x0
	v_cndmask_b32_e64 v82, v1, s33, s6
.LBB1032_66:
	s_or_b32 exec_lo, exec_lo, s40
	s_delay_alu instid0(SALU_CYCLE_1)
	s_and_b32 s40, s17, exec_lo
.LBB1032_67:
	s_or_b32 exec_lo, exec_lo, s39
	v_mov_b64_e32 v[34:35], v[80:81]
	s_and_b32 s39, s40, exec_lo
.LBB1032_68:
	s_or_b32 exec_lo, exec_lo, s16
	v_mov_b64_e32 v[36:37], v[78:79]
	s_and_b32 s16, s39, exec_lo
.LBB1032_69:
	s_or_b32 exec_lo, exec_lo, s15
	v_mov_b64_e32 v[38:39], v[76:77]
	s_and_b32 s15, s16, exec_lo
.LBB1032_70:
	s_or_b32 exec_lo, exec_lo, s14
	v_mov_b64_e32 v[40:41], v[74:75]
	s_and_b32 s14, s15, exec_lo
.LBB1032_71:
	s_or_b32 exec_lo, exec_lo, s13
	v_mov_b64_e32 v[42:43], v[72:73]
	s_and_b32 s13, s14, exec_lo
.LBB1032_72:
	s_or_b32 exec_lo, exec_lo, s12
	v_mov_b64_e32 v[44:45], v[70:71]
	s_and_b32 s12, s13, exec_lo
.LBB1032_73:
	s_or_b32 exec_lo, exec_lo, s11
	v_mov_b64_e32 v[46:47], v[68:69]
	s_and_b32 s11, s12, exec_lo
.LBB1032_74:
	s_or_b32 exec_lo, exec_lo, s10
	v_mov_b64_e32 v[48:49], v[66:67]
	s_and_b32 s10, s11, exec_lo
.LBB1032_75:
	s_or_b32 exec_lo, exec_lo, s9
	v_mov_b64_e32 v[50:51], v[64:65]
	s_and_b32 s9, s10, exec_lo
.LBB1032_76:
	s_or_b32 exec_lo, exec_lo, s8
	v_mov_b64_e32 v[52:53], v[62:63]
	s_and_b32 s8, s9, exec_lo
.LBB1032_77:
	s_or_b32 exec_lo, exec_lo, s7
	v_mov_b64_e32 v[54:55], v[60:61]
	s_and_b32 s7, s8, exec_lo
.LBB1032_78:
	s_or_b32 exec_lo, exec_lo, s5
	v_mov_b64_e32 v[56:57], v[58:59]
	s_and_b32 s5, s7, exec_lo
.LBB1032_79:
	s_or_b32 exec_lo, exec_lo, s4
	v_lshlrev_b32_e32 v32, 3, v0
	s_and_b32 vcc_lo, exec_lo, s1
	s_cbranch_vccnz .LBB1032_81
	s_branch .LBB1032_86
.LBB1032_80:
                                        ; implicit-def: $sgpr6
                                        ; implicit-def: $vgpr82
                                        ; implicit-def: $vgpr30_vgpr31
                                        ; implicit-def: $vgpr58_vgpr59
                                        ; implicit-def: $vgpr60_vgpr61
                                        ; implicit-def: $vgpr62_vgpr63
                                        ; implicit-def: $vgpr64_vgpr65
                                        ; implicit-def: $vgpr66_vgpr67
                                        ; implicit-def: $vgpr68_vgpr69
                                        ; implicit-def: $vgpr70_vgpr71
                                        ; implicit-def: $vgpr72_vgpr73
                                        ; implicit-def: $vgpr74_vgpr75
                                        ; implicit-def: $vgpr76_vgpr77
                                        ; implicit-def: $vgpr78_vgpr79
                                        ; implicit-def: $vgpr80_vgpr81
                                        ; implicit-def: $vgpr56_vgpr57
                                        ; implicit-def: $vgpr54_vgpr55
                                        ; implicit-def: $vgpr52_vgpr53
                                        ; implicit-def: $vgpr50_vgpr51
                                        ; implicit-def: $vgpr48_vgpr49
                                        ; implicit-def: $vgpr46_vgpr47
                                        ; implicit-def: $vgpr44_vgpr45
                                        ; implicit-def: $vgpr42_vgpr43
                                        ; implicit-def: $vgpr40_vgpr41
                                        ; implicit-def: $vgpr38_vgpr39
                                        ; implicit-def: $vgpr36_vgpr37
                                        ; implicit-def: $vgpr34_vgpr35
	v_lshlrev_b32_e32 v32, 3, v0
	s_cbranch_execz .LBB1032_86
.LBB1032_81:
	s_clause 0xd
	flat_load_b64 v[2:3], v0, s[36:37] scale_offset
	flat_load_b64 v[4:5], v0, s[36:37] offset:2048 scale_offset
	flat_load_b64 v[6:7], v0, s[36:37] offset:4096 scale_offset
	;; [unrolled: 1-line block ×13, first 2 shown]
	v_mov_b32_e32 v1, 0
	s_mov_b32 s1, exec_lo
	s_wait_loadcnt_dscnt 0xc0c
	ds_store_2addr_stride64_b64 v32, v[2:3], v[4:5] offset1:4
	s_wait_loadcnt_dscnt 0xa0b
	ds_store_2addr_stride64_b64 v32, v[6:7], v[8:9] offset0:8 offset1:12
	s_wait_loadcnt_dscnt 0x80a
	ds_store_2addr_stride64_b64 v32, v[10:11], v[12:13] offset0:16 offset1:20
	;; [unrolled: 2-line block ×6, first 2 shown]
	s_wait_dscnt 0x0
	s_barrier_signal -1
	s_barrier_wait -1
	flat_load_b64 v[34:35], v1, s[36:37] offset:28672
	s_wait_xcnt 0x0
	v_mad_u32_u24 v1, 0x68, v0, v32
	ds_load_b128 v[26:29], v1
	ds_load_b128 v[22:25], v1 offset:16
	ds_load_b128 v[18:21], v1 offset:32
	;; [unrolled: 1-line block ×6, first 2 shown]
	v_mad_i32_i24 v1, 0xffffff98, v0, v1
	s_wait_dscnt 0x6
	ds_store_b64 v1, v[26:27] offset:30720
	s_wait_loadcnt_dscnt 0x0
	s_barrier_signal -1
	s_barrier_wait -1
	v_cmpx_ne_u32_e32 0xff, v0
; %bb.82:
	ds_load_b64 v[34:35], v1 offset:30728
; %bb.83:
	s_or_b32 exec_lo, exec_lo, s1
	s_wait_dscnt 0x0
	s_barrier_signal -1
	s_barrier_wait -1
	s_clause 0xd
	flat_load_b32 v30, v32, s[34:35]
	flat_load_b32 v31, v32, s[34:35] offset:2048
	flat_load_b32 v36, v32, s[34:35] offset:4096
	flat_load_b32 v37, v32, s[34:35] offset:6144
	flat_load_b32 v38, v32, s[34:35] offset:8192
	flat_load_b32 v39, v32, s[34:35] offset:10240
	flat_load_b32 v40, v32, s[34:35] offset:12288
	flat_load_b32 v41, v32, s[34:35] offset:14336
	flat_load_b32 v42, v32, s[34:35] offset:16384
	flat_load_b32 v43, v32, s[34:35] offset:18432
	flat_load_b32 v44, v32, s[34:35] offset:20480
	flat_load_b32 v45, v32, s[34:35] offset:22528
	flat_load_b32 v46, v32, s[34:35] offset:24576
	flat_load_b32 v47, v32, s[34:35] offset:26624
	v_lshlrev_b32_e32 v33, 2, v0
	v_cmp_eq_u64_e32 vcc_lo, v[26:27], v[28:29]
	s_delay_alu instid0(VALU_DEP_2)
	v_dual_mov_b32 v26, s33 :: v_dual_sub_nc_u32 v33, v1, v33
	s_wait_loadcnt_dscnt 0xc0c
	ds_store_2addr_stride64_b32 v33, v30, v31 offset1:4
	s_wait_loadcnt_dscnt 0xa0b
	ds_store_2addr_stride64_b32 v33, v36, v37 offset0:8 offset1:12
	s_wait_loadcnt_dscnt 0x80a
	ds_store_2addr_stride64_b32 v33, v38, v39 offset0:16 offset1:20
	;; [unrolled: 2-line block ×6, first 2 shown]
	v_mad_u32_u24 v1, v0, 52, v33
	s_wait_dscnt 0x0
	s_barrier_signal -1
	s_barrier_wait -1
	ds_load_2addr_b32 v[46:47], v1 offset0:1 offset1:2
	ds_load_2addr_b32 v[44:45], v1 offset0:3 offset1:4
	;; [unrolled: 1-line block ×6, first 2 shown]
	ds_load_b32 v1, v1 offset:52
	v_mov_b64_e32 v[30:31], 0x100000000
	s_and_saveexec_b32 s1, vcc_lo
	s_cbranch_execz .LBB1032_85
; %bb.84:
	v_mul_u32_u24_e32 v26, 52, v0
	v_mov_b64_e32 v[30:31], 0
	s_delay_alu instid0(VALU_DEP_2)
	v_add_nc_u32_e32 v26, v33, v26
	ds_load_b32 v26, v26
.LBB1032_85:
	s_or_b32 exec_lo, exec_lo, s1
	v_cmp_eq_u64_e32 vcc_lo, v[28:29], v[22:23]
	v_cmp_ne_u64_e64 s6, v[4:5], v[34:35]
	s_mov_b32 s5, -1
	s_wait_dscnt 0x6
	v_cndmask_b32_e32 v58, s33, v46, vcc_lo
	v_cmp_ne_u64_e32 vcc_lo, v[28:29], v[22:23]
	s_wait_dscnt 0x0
	v_cndmask_b32_e64 v82, v1, s33, s6
	v_cndmask_b32_e64 v59, 0, 1, vcc_lo
	v_cmp_eq_u64_e32 vcc_lo, v[22:23], v[24:25]
	v_or_b32_e32 v30, v30, v26
	s_delay_alu instid0(VALU_DEP_3) | instskip(SKIP_4) | instid1(VALU_DEP_2)
	v_mov_b64_e32 v[56:57], v[58:59]
	v_cndmask_b32_e32 v60, s33, v47, vcc_lo
	v_cmp_ne_u64_e32 vcc_lo, v[22:23], v[24:25]
	v_cndmask_b32_e64 v61, 0, 1, vcc_lo
	v_cmp_eq_u64_e32 vcc_lo, v[24:25], v[18:19]
	v_mov_b64_e32 v[54:55], v[60:61]
	v_cndmask_b32_e32 v62, s33, v44, vcc_lo
	v_cmp_ne_u64_e32 vcc_lo, v[24:25], v[18:19]
	v_cndmask_b32_e64 v63, 0, 1, vcc_lo
	v_cmp_eq_u64_e32 vcc_lo, v[18:19], v[20:21]
	s_delay_alu instid0(VALU_DEP_2) | instskip(SKIP_4) | instid1(VALU_DEP_2)
	v_mov_b64_e32 v[52:53], v[62:63]
	v_cndmask_b32_e32 v64, s33, v45, vcc_lo
	v_cmp_ne_u64_e32 vcc_lo, v[18:19], v[20:21]
	v_cndmask_b32_e64 v65, 0, 1, vcc_lo
	v_cmp_eq_u64_e32 vcc_lo, v[20:21], v[14:15]
	v_mov_b64_e32 v[50:51], v[64:65]
	v_cndmask_b32_e32 v66, s33, v42, vcc_lo
	v_cmp_ne_u64_e32 vcc_lo, v[20:21], v[14:15]
	v_cndmask_b32_e64 v67, 0, 1, vcc_lo
	v_cmp_eq_u64_e32 vcc_lo, v[14:15], v[16:17]
	s_delay_alu instid0(VALU_DEP_2) | instskip(SKIP_4) | instid1(VALU_DEP_2)
	;; [unrolled: 11-line block ×4, first 2 shown]
	v_mov_b64_e32 v[40:41], v[74:75]
	v_cndmask_b32_e32 v76, s33, v39, vcc_lo
	v_cmp_ne_u64_e32 vcc_lo, v[6:7], v[8:9]
	v_cndmask_b32_e64 v77, 0, 1, vcc_lo
	v_cmp_eq_u64_e32 vcc_lo, v[8:9], v[2:3]
	v_mov_b64_e32 v[38:39], v[76:77]
	v_cndmask_b32_e32 v78, s33, v36, vcc_lo
	v_cmp_ne_u64_e32 vcc_lo, v[8:9], v[2:3]
	v_cndmask_b32_e64 v79, 0, 1, vcc_lo
	v_cmp_eq_u64_e32 vcc_lo, v[2:3], v[4:5]
	v_cndmask_b32_e32 v80, s33, v37, vcc_lo
	v_cmp_ne_u64_e32 vcc_lo, v[2:3], v[4:5]
	s_delay_alu instid0(VALU_DEP_4) | instskip(SKIP_1) | instid1(VALU_DEP_1)
	v_mov_b64_e32 v[36:37], v[78:79]
	v_cndmask_b32_e64 v81, 0, 1, vcc_lo
	v_mov_b64_e32 v[34:35], v[80:81]
.LBB1032_86:
	v_mov_b64_e32 v[8:9], 0
	s_and_saveexec_b32 s1, s5
	s_cbranch_execz .LBB1032_88
; %bb.87:
	v_cndmask_b32_e64 v83, 0, 1, s6
	v_mov_b64_e32 v[34:35], v[80:81]
	v_mov_b64_e32 v[36:37], v[78:79]
	;; [unrolled: 1-line block ×13, first 2 shown]
.LBB1032_88:
	s_or_b32 exec_lo, exec_lo, s1
	v_dual_lshrrev_b32 v1, 2, v0 :: v_dual_bitop2_b32 v19, v45, v43 bitop3:0x54
	s_delay_alu instid0(VALU_DEP_3)
	v_or_b32_e32 v18, v37, v35
	s_cmp_lg_u32 s38, 0
	v_cmp_gt_u32_e32 vcc_lo, 32, v0
	s_barrier_signal -1
	s_barrier_wait -1
	s_cbranch_scc0 .LBB1032_128
; %bb.89:
	v_or3_b32 v3, v19, v47, v49
	s_mov_b64 s[16:17], 0x100000000
	v_or3_b32 v4, v18, v39, v41
	v_cmp_gt_u64_e64 s1, s[16:17], v[56:57]
	v_cmp_gt_u64_e64 s4, s[16:17], v[54:55]
	v_or3_b32 v3, v3, v51, v53
	v_cmp_gt_u64_e64 s15, s[16:17], v[8:9]
	v_cmp_gt_u64_e64 s5, s[16:17], v[52:53]
	;; [unrolled: 1-line block ×4, first 2 shown]
	v_cndmask_b32_e64 v2, 0, v30, s1
	v_or3_b32 v3, v3, v55, v57
	v_cmp_gt_u64_e64 s8, s[16:17], v[46:47]
	v_cmp_gt_u64_e64 s9, s[16:17], v[44:45]
	;; [unrolled: 1-line block ×4, first 2 shown]
	v_or3_b32 v3, v9, v4, v3
	v_dual_add_nc_u32 v2, v2, v56 :: v_dual_bitop2_b32 v4, 56, v1 bitop3:0x40
	v_cmp_gt_u64_e64 s12, s[16:17], v[38:39]
	v_cmp_gt_u64_e64 s13, s[16:17], v[36:37]
	;; [unrolled: 1-line block ×3, first 2 shown]
	v_and_b32_e32 v3, 0xff, v3
	v_cndmask_b32_e64 v2, 0, v2, s4
	v_lshl_add_u32 v4, v0, 3, v4
	s_delay_alu instid0(VALU_DEP_2) | instskip(NEXT) | instid1(VALU_DEP_1)
	v_add_nc_u32_e32 v2, v2, v54
	v_cndmask_b32_e64 v2, 0, v2, s5
	s_delay_alu instid0(VALU_DEP_1) | instskip(NEXT) | instid1(VALU_DEP_1)
	v_add_nc_u32_e32 v2, v2, v52
	v_cndmask_b32_e64 v2, 0, v2, s6
	s_delay_alu instid0(VALU_DEP_1) | instskip(NEXT) | instid1(VALU_DEP_1)
	;; [unrolled: 3-line block ×10, first 2 shown]
	v_dual_mov_b32 v2, 0 :: v_dual_add_nc_u32 v5, v2, v34
	v_cndmask_b32_e64 v5, 0, v5, s15
	s_delay_alu instid0(VALU_DEP_2) | instskip(NEXT) | instid1(VALU_DEP_1)
	v_cmp_eq_u64_e64 s15, 0, v[2:3]
	v_dual_add_nc_u32 v14, v5, v8 :: v_dual_cndmask_b32 v15, 1, v31, s15
	ds_store_b32 v4, v14
	ds_store_b8 v4, v15 offset:4
	s_wait_dscnt 0x0
	s_barrier_signal -1
	s_barrier_wait -1
	s_and_saveexec_b32 s16, vcc_lo
	s_cbranch_execz .LBB1032_99
; %bb.90:
	v_dual_lshlrev_b32 v2, 1, v0 :: v_dual_lshlrev_b32 v3, 6, v0
	s_mov_b32 s17, exec_lo
	s_delay_alu instid0(VALU_DEP_1) | instskip(NEXT) | instid1(VALU_DEP_1)
	v_and_b32_e32 v2, 0x1f8, v2
	v_add_nc_u32_e32 v4, v2, v3
	ds_load_u8 v5, v4 offset:12
	ds_load_b64 v[2:3], v4
	ds_load_2addr_b32 v[6:7], v4 offset0:2 offset1:4
	ds_load_u8 v12, v4 offset:20
	ds_load_u8 v13, v4 offset:28
	;; [unrolled: 1-line block ×5, first 2 shown]
	ds_load_b32 v21, v4 offset:56
	s_wait_dscnt 0x8
	v_cmp_eq_u16_e64 s15, 0, v5
	s_wait_dscnt 0x5
	s_delay_alu instid0(VALU_DEP_1)
	v_dual_cndmask_b32 v22, 0, v2, s15 :: v_dual_bitop2_b32 v5, v12, v5 bitop3:0x54
	ds_load_2addr_b32 v[10:11], v4 offset0:6 offset1:8
	v_cmp_eq_u16_e64 s15, 0, v12
	s_wait_dscnt 0x4
	v_bitop3_b16 v5, v5, v16, v13 bitop3:0xfe
	v_add_nc_u32_e32 v6, v22, v6
	s_delay_alu instid0(VALU_DEP_1) | instskip(SKIP_1) | instid1(VALU_DEP_2)
	v_cndmask_b32_e64 v6, 0, v6, s15
	v_cmp_eq_u16_e64 s15, 0, v13
	v_add_nc_u32_e32 v6, v6, v7
	s_delay_alu instid0(VALU_DEP_1)
	v_cndmask_b32_e64 v22, 0, v6, s15
	ds_load_2addr_b32 v[6:7], v4 offset0:10 offset1:12
	v_cmp_eq_u16_e64 s15, 0, v16
	s_wait_dscnt 0x1
	v_add_nc_u32_e32 v10, v22, v10
	ds_load_u8 v22, v4 offset:60
	v_cndmask_b32_e64 v10, 0, v10, s15
	v_cmp_eq_u16_e64 s15, 0, v17
	s_delay_alu instid0(VALU_DEP_2) | instskip(SKIP_1) | instid1(VALU_DEP_2)
	v_add_nc_u32_e32 v10, v10, v11
	v_bitop3_b16 v11, v5, v20, v17 bitop3:0xfe
	v_dual_cndmask_b32 v10, 0, v10, s15 :: v_dual_bitop2_b32 v5, 1, v3 bitop3:0x40
	s_delay_alu instid0(VALU_DEP_2) | instskip(SKIP_1) | instid1(VALU_DEP_2)
	v_cmp_eq_u16_e64 s15, 0, v11
	s_wait_dscnt 0x1
	v_add_nc_u32_e32 v6, v10, v6
	s_wait_dscnt 0x0
	s_delay_alu instid0(VALU_DEP_2) | instskip(SKIP_1) | instid1(VALU_DEP_1)
	v_dual_cndmask_b32 v11, 1, v5, s15 :: v_dual_bitop2_b32 v10, 1, v22 bitop3:0x40
	v_cmp_eq_u16_e64 s15, 0, v20
	v_cndmask_b32_e64 v6, 0, v6, s15
	s_delay_alu instid0(VALU_DEP_3) | instskip(SKIP_1) | instid1(VALU_DEP_3)
	v_cmp_eq_u32_e64 s15, 1, v10
	v_mbcnt_lo_u32_b32 v10, -1, 0
	v_add_nc_u32_e32 v7, v6, v7
	s_delay_alu instid0(VALU_DEP_3) | instskip(SKIP_2) | instid1(VALU_DEP_3)
	v_cndmask_b32_e64 v11, v11, 1, s15
	v_cmp_eq_u16_e64 s15, 0, v22
	v_and_b32_e32 v6, 0xffffff00, v3
	v_and_b32_e32 v12, 0xffff, v11
	s_delay_alu instid0(VALU_DEP_1) | instskip(NEXT) | instid1(VALU_DEP_1)
	v_dual_cndmask_b32 v7, 0, v7, s15 :: v_dual_bitop2_b32 v13, v6, v12 bitop3:0x54
	v_dual_add_nc_u32 v7, v7, v21 :: v_dual_bitop2_b32 v12, 15, v10 bitop3:0x40
	s_delay_alu instid0(VALU_DEP_2) | instskip(NEXT) | instid1(VALU_DEP_2)
	v_mov_b32_dpp v17, v13 row_shr:1 row_mask:0xf bank_mask:0xf
	v_mov_b32_dpp v16, v7 row_shr:1 row_mask:0xf bank_mask:0xf
	s_delay_alu instid0(VALU_DEP_3)
	v_cmpx_ne_u32_e32 0, v12
	s_cbranch_execz .LBB1032_92
; %bb.91:
	v_and_b32_e32 v13, 1, v11
	v_and_b32_e32 v17, 1, v17
	s_delay_alu instid0(VALU_DEP_2) | instskip(NEXT) | instid1(VALU_DEP_1)
	v_cmp_eq_u32_e64 s15, 1, v13
	v_cndmask_b32_e64 v17, v17, 1, s15
	v_cmp_eq_u16_e64 s15, 0, v11
	s_delay_alu instid0(VALU_DEP_2) | instskip(NEXT) | instid1(VALU_DEP_1)
	v_and_b32_e32 v13, 0xffff, v17
	v_dual_cndmask_b32 v11, 0, v16, s15 :: v_dual_bitop2_b32 v13, v6, v13 bitop3:0x54
	s_delay_alu instid0(VALU_DEP_1)
	v_dual_add_nc_u32 v7, v11, v7 :: v_dual_mov_b32 v11, v17
.LBB1032_92:
	s_or_b32 exec_lo, exec_lo, s17
	s_delay_alu instid0(VALU_DEP_1) | instskip(NEXT) | instid1(VALU_DEP_3)
	v_mov_b32_dpp v16, v7 row_shr:2 row_mask:0xf bank_mask:0xf
	v_mov_b32_dpp v17, v13 row_shr:2 row_mask:0xf bank_mask:0xf
	s_mov_b32 s17, exec_lo
	v_cmpx_lt_u32_e32 1, v12
	s_cbranch_execz .LBB1032_94
; %bb.93:
	v_and_b32_e32 v13, 1, v11
	v_and_b32_e32 v17, 1, v17
	s_delay_alu instid0(VALU_DEP_2) | instskip(NEXT) | instid1(VALU_DEP_1)
	v_cmp_eq_u32_e64 s15, 1, v13
	v_cndmask_b32_e64 v17, v17, 1, s15
	v_cmp_eq_u16_e64 s15, 0, v11
	s_delay_alu instid0(VALU_DEP_2) | instskip(NEXT) | instid1(VALU_DEP_1)
	v_and_b32_e32 v13, 0xffff, v17
	v_dual_cndmask_b32 v11, 0, v16, s15 :: v_dual_bitop2_b32 v13, v6, v13 bitop3:0x54
	s_delay_alu instid0(VALU_DEP_1)
	v_dual_add_nc_u32 v7, v11, v7 :: v_dual_mov_b32 v11, v17
.LBB1032_94:
	s_or_b32 exec_lo, exec_lo, s17
	s_delay_alu instid0(VALU_DEP_1) | instskip(NEXT) | instid1(VALU_DEP_3)
	v_mov_b32_dpp v16, v7 row_shr:4 row_mask:0xf bank_mask:0xf
	v_mov_b32_dpp v17, v13 row_shr:4 row_mask:0xf bank_mask:0xf
	s_mov_b32 s17, exec_lo
	v_cmpx_lt_u32_e32 3, v12
	;; [unrolled: 20-line block ×3, first 2 shown]
	s_cbranch_execz .LBB1032_98
; %bb.97:
	v_and_b32_e32 v12, 1, v11
	v_and_b32_e32 v13, 1, v17
	s_delay_alu instid0(VALU_DEP_2) | instskip(NEXT) | instid1(VALU_DEP_1)
	v_cmp_eq_u32_e64 s15, 1, v12
	v_cndmask_b32_e64 v12, v13, 1, s15
	v_cmp_eq_u16_e64 s15, 0, v11
	s_delay_alu instid0(VALU_DEP_2) | instskip(NEXT) | instid1(VALU_DEP_1)
	v_and_b32_e32 v13, 0xffff, v12
	v_dual_cndmask_b32 v11, 0, v16, s15 :: v_dual_bitop2_b32 v13, v6, v13 bitop3:0x54
	s_delay_alu instid0(VALU_DEP_1)
	v_dual_add_nc_u32 v7, v11, v7 :: v_dual_mov_b32 v11, v12
.LBB1032_98:
	s_or_b32 exec_lo, exec_lo, s17
	ds_swizzle_b32 v12, v13 offset:swizzle(BROADCAST,32,15)
	ds_swizzle_b32 v13, v7 offset:swizzle(BROADCAST,32,15)
	v_and_b32_e32 v16, 1, v11
	v_bfe_i32 v20, v10, 4, 1
	v_and_b32_e32 v3, 0xff, v3
	; wave barrier
	s_delay_alu instid0(VALU_DEP_3) | instskip(SKIP_2) | instid1(VALU_DEP_1)
	v_cmp_eq_u32_e64 s15, 1, v16
	s_wait_dscnt 0x1
	v_dual_add_nc_u32 v16, -1, v10 :: v_dual_bitop2_b32 v12, 1, v12 bitop3:0x40
	v_cndmask_b32_e64 v12, v12, 1, s15
	v_and_b32_e32 v17, 16, v10
	v_cmp_eq_u16_e64 s15, 0, v11
	s_wait_dscnt 0x0
	s_delay_alu instid0(VALU_DEP_1) | instskip(NEXT) | instid1(VALU_DEP_3)
	v_cndmask_b32_e64 v13, 0, v13, s15
	v_cmp_eq_u32_e64 s15, 0, v17
	s_delay_alu instid0(VALU_DEP_1) | instskip(SKIP_1) | instid1(VALU_DEP_2)
	v_cndmask_b32_e64 v11, v12, v11, s15
	v_cmp_gt_i32_e64 s15, 0, v16
	v_and_b32_e32 v11, 0xffff, v11
	s_delay_alu instid0(VALU_DEP_2) | instskip(SKIP_1) | instid1(VALU_DEP_3)
	v_cndmask_b32_e64 v10, v16, v10, s15
	v_cmp_eq_u16_e64 s15, 0, v3
	v_or_b32_e32 v6, v6, v11
	s_delay_alu instid0(VALU_DEP_3)
	v_dual_lshlrev_b32 v10, 2, v10 :: v_dual_bitop2_b32 v12, v20, v13 bitop3:0x40
	ds_bpermute_b32 v6, v10, v6
	s_wait_dscnt 0x0
	v_dual_add_nc_u32 v7, v12, v7 :: v_dual_bitop2_b32 v6, 1, v6 bitop3:0x40
	ds_bpermute_b32 v7, v10, v7
	s_wait_dscnt 0x0
	v_cndmask_b32_e64 v3, 0, v7, s15
	v_cmp_eq_u32_e64 s15, 1, v5
	s_delay_alu instid0(VALU_DEP_2) | instskip(NEXT) | instid1(VALU_DEP_2)
	v_add_nc_u32_e32 v2, v3, v2
	v_cndmask_b32_e64 v3, v6, 1, s15
	s_delay_alu instid0(VALU_DEP_1)
	v_dual_cndmask_b32 v10, v3, v15, s2 :: v_dual_cndmask_b32 v5, v2, v14, s2
	ds_store_b32 v4, v5
	ds_store_b8 v4, v10 offset:4
	; wave barrier
	ds_load_u8 v11, v4 offset:12
	ds_load_2addr_b32 v[2:3], v4 offset0:2 offset1:4
	ds_load_u8 v12, v4 offset:20
	ds_load_u8 v13, v4 offset:28
	;; [unrolled: 1-line block ×5, first 2 shown]
	ds_load_b32 v21, v4 offset:56
	ds_load_u8 v22, v4 offset:60
	ds_load_2addr_b32 v[6:7], v4 offset0:6 offset1:8
	s_wait_dscnt 0x9
	v_cmp_eq_u16_e64 s15, 0, v11
	s_delay_alu instid0(VALU_DEP_1) | instskip(SKIP_2) | instid1(VALU_DEP_2)
	v_cndmask_b32_e64 v5, 0, v5, s15
	s_wait_dscnt 0x7
	v_cmp_eq_u16_e64 s15, 0, v12
	v_add_nc_u32_e32 v5, v5, v2
	s_delay_alu instid0(VALU_DEP_1) | instskip(SKIP_2) | instid1(VALU_DEP_2)
	v_cndmask_b32_e64 v2, 0, v5, s15
	s_wait_dscnt 0x6
	v_cmp_eq_u16_e64 s15, 0, v13
	v_add_nc_u32_e32 v23, v2, v3
	ds_load_2addr_b32 v[2:3], v4 offset0:10 offset1:12
	v_cndmask_b32_e64 v24, 0, v23, s15
	s_wait_dscnt 0x6
	v_cmp_eq_u16_e64 s15, 0, v16
	ds_store_2addr_b32 v4, v5, v23 offset0:2 offset1:4
	s_wait_dscnt 0x2
	v_dual_add_nc_u32 v6, v24, v6 :: v_dual_bitop2_b32 v11, 1, v11 bitop3:0x40
	s_delay_alu instid0(VALU_DEP_1) | instskip(NEXT) | instid1(VALU_DEP_2)
	v_dual_cndmask_b32 v24, 0, v6, s15 :: v_dual_bitop2_b32 v12, 1, v12 bitop3:0x40
	v_cmp_eq_u32_e64 s15, 1, v11
	s_delay_alu instid0(VALU_DEP_2) | instskip(NEXT) | instid1(VALU_DEP_2)
	v_add_nc_u32_e32 v7, v24, v7
	v_cndmask_b32_e64 v10, v10, 1, s15
	s_delay_alu instid0(VALU_DEP_4) | instskip(NEXT) | instid1(VALU_DEP_1)
	v_cmp_eq_u32_e64 s15, 1, v12
	v_cndmask_b32_e64 v12, v10, 1, s15
	v_cmp_eq_u16_e64 s15, 0, v17
	v_and_b32_e32 v11, 1, v13
	s_delay_alu instid0(VALU_DEP_2) | instskip(NEXT) | instid1(VALU_DEP_2)
	v_dual_cndmask_b32 v16, 0, v7, s15 :: v_dual_bitop2_b32 v13, 1, v16 bitop3:0x40
	v_cmp_eq_u32_e64 s15, 1, v11
	s_wait_dscnt 0x1
	s_delay_alu instid0(VALU_DEP_2) | instskip(NEXT) | instid1(VALU_DEP_2)
	v_add_nc_u32_e32 v2, v16, v2
	v_cndmask_b32_e64 v11, v12, 1, s15
	v_cmp_eq_u32_e64 s15, 1, v13
	v_and_b32_e32 v16, 1, v20
	s_delay_alu instid0(VALU_DEP_2) | instskip(SKIP_1) | instid1(VALU_DEP_1)
	v_cndmask_b32_e64 v13, v11, 1, s15
	v_cmp_eq_u16_e64 s15, 0, v20
	v_dual_cndmask_b32 v20, 0, v2, s15 :: v_dual_bitop2_b32 v17, 1, v17 bitop3:0x40
	s_delay_alu instid0(VALU_DEP_1) | instskip(NEXT) | instid1(VALU_DEP_2)
	v_cmp_eq_u32_e64 s15, 1, v17
	v_add_nc_u32_e32 v3, v20, v3
	s_delay_alu instid0(VALU_DEP_2)
	v_cndmask_b32_e64 v17, v13, 1, s15
	v_cmp_eq_u32_e64 s15, 1, v16
	ds_store_2addr_b32 v4, v6, v7 offset0:6 offset1:8
	ds_store_2addr_b32 v4, v2, v3 offset0:10 offset1:12
	v_cndmask_b32_e64 v16, v17, 1, s15
	v_cmp_eq_u16_e64 s15, 0, v22
	s_delay_alu instid0(VALU_DEP_1) | instskip(NEXT) | instid1(VALU_DEP_1)
	v_dual_cndmask_b32 v5, 0, v3, s15 :: v_dual_bitop2_b32 v24, 1, v22 bitop3:0x40
	v_cmp_eq_u32_e64 s15, 1, v24
	s_delay_alu instid0(VALU_DEP_2) | instskip(NEXT) | instid1(VALU_DEP_2)
	v_add_nc_u32_e32 v2, v5, v21
	v_cndmask_b32_e64 v20, v16, 1, s15
	ds_store_b8 v4, v10 offset:12
	ds_store_b8 v4, v12 offset:20
	ds_store_b8 v4, v11 offset:28
	ds_store_b8 v4, v13 offset:36
	ds_store_b8 v4, v17 offset:44
	ds_store_b8 v4, v16 offset:52
	ds_store_b32 v4, v2 offset:56
	ds_store_b8 v4, v20 offset:60
.LBB1032_99:
	s_or_b32 exec_lo, exec_lo, s16
	s_wait_dscnt 0x0
	s_barrier_signal -1
	s_barrier_wait -1
	s_and_saveexec_b32 s15, s3
	s_cbranch_execz .LBB1032_101
; %bb.100:
	v_add_nc_u32_e32 v2, -1, v0
	s_delay_alu instid0(VALU_DEP_1) | instskip(NEXT) | instid1(VALU_DEP_1)
	v_lshrrev_b32_e32 v3, 2, v2
	v_and_b32_e32 v3, 0x3ffffff8, v3
	s_delay_alu instid0(VALU_DEP_1)
	v_lshl_add_u32 v2, v2, 3, v3
	ds_load_b32 v14, v2
	ds_load_u8 v15, v2 offset:4
.LBB1032_101:
	s_or_b32 exec_lo, exec_lo, s15
	s_and_saveexec_b32 s36, vcc_lo
	s_cbranch_execz .LBB1032_181
; %bb.102:
	v_mov_b32_e32 v5, 0
	v_mbcnt_lo_u32_b32 v16, -1, 0
	s_mov_b32 s17, 0
	ds_load_b64 v[2:3], v5 offset:2096
	v_cmp_eq_u32_e64 s15, 0, v16
	s_and_saveexec_b32 s34, s15
	s_cbranch_execz .LBB1032_104
; %bb.103:
	s_add_co_i32 s16, s38, 32
	v_mov_b32_e32 v4, 1
	s_lshl_b64 s[16:17], s[16:17], 4
	s_delay_alu instid0(SALU_CYCLE_1) | instskip(NEXT) | instid1(SALU_CYCLE_1)
	s_add_nc_u64 s[16:17], s[20:21], s[16:17]
	v_mov_b64_e32 v[6:7], s[16:17]
	s_wait_dscnt 0x0
	;;#ASMSTART
	global_store_b128 v[6:7], v[2:5] off scope:SCOPE_DEV	
s_wait_storecnt 0x0
	;;#ASMEND
.LBB1032_104:
	s_or_b32 exec_lo, exec_lo, s34
	v_xad_u32 v10, v16, -1, s38
	s_mov_b32 s16, exec_lo
	s_delay_alu instid0(VALU_DEP_1) | instskip(NEXT) | instid1(VALU_DEP_1)
	v_add_nc_u32_e32 v4, 32, v10
	v_lshl_add_u64 v[12:13], v[4:5], 4, s[20:21]
	;;#ASMSTART
	global_load_b128 v[4:7], v[12:13] off scope:SCOPE_DEV	
s_wait_loadcnt 0x0
	;;#ASMEND
	v_and_b32_e32 v7, 0xff, v6
	v_and_b32_e32 v5, 0xff, v5
	s_delay_alu instid0(VALU_DEP_2)
	v_cmpx_eq_u16_e32 0, v7
	s_cbranch_execz .LBB1032_108
; %bb.105:
	s_mov_b32 s17, 0
.LBB1032_106:                           ; =>This Inner Loop Header: Depth=1
	;;#ASMSTART
	global_load_b128 v[4:7], v[12:13] off scope:SCOPE_DEV	
s_wait_loadcnt 0x0
	;;#ASMEND
	v_and_b32_e32 v7, 0xff, v6
	s_delay_alu instid0(VALU_DEP_1) | instskip(SKIP_1) | instid1(SALU_CYCLE_1)
	v_cmp_ne_u16_e32 vcc_lo, 0, v7
	s_or_b32 s17, vcc_lo, s17
	s_and_not1_b32 exec_lo, exec_lo, s17
	s_cbranch_execnz .LBB1032_106
; %bb.107:
	s_or_b32 exec_lo, exec_lo, s17
	v_and_b32_e32 v5, 0xff, v5
.LBB1032_108:
	s_or_b32 exec_lo, exec_lo, s16
	v_cmp_ne_u32_e32 vcc_lo, 31, v16
	v_and_b32_e32 v11, 0xff, v6
	v_lshlrev_b32_e64 v20, v16, -1
	s_mov_b64 s[34:35], 0x100000000
	v_lshl_or_b32 v29, v16, 2, 64
	v_add_co_ci_u32_e64 v7, null, 0, v16, vcc_lo
	v_cmp_eq_u16_e32 vcc_lo, 2, v11
	v_cmp_gt_u64_e64 s16, s[34:35], v[4:5]
	s_delay_alu instid0(VALU_DEP_3) | instskip(SKIP_2) | instid1(VALU_DEP_3)
	v_dual_lshlrev_b32 v17, 2, v7 :: v_dual_bitop2_b32 v12, 1, v5 bitop3:0x40
	v_add_nc_u32_e32 v33, 16, v16
	v_and_or_b32 v11, vcc_lo, v20, 0x80000000
	v_cmp_eq_u32_e32 vcc_lo, 1, v12
	ds_bpermute_b32 v7, v17, v5
	ds_bpermute_b32 v12, v17, v4
	v_ctz_i32_b32_e32 v11, v11
	s_wait_dscnt 0x1
	v_and_b32_e32 v7, 1, v7
	s_delay_alu instid0(VALU_DEP_1) | instskip(SKIP_1) | instid1(VALU_DEP_2)
	v_cndmask_b32_e64 v7, v7, 1, vcc_lo
	v_cmp_gt_u32_e32 vcc_lo, 30, v16
	v_and_b32_e32 v22, 0xffff, v7
	v_cndmask_b32_e64 v13, 0, 2, vcc_lo
	v_cmp_lt_u32_e32 vcc_lo, v16, v11
	s_delay_alu instid0(VALU_DEP_2) | instskip(NEXT) | instid1(VALU_DEP_4)
	v_add_lshl_u32 v21, v13, v16, 2
	v_dual_cndmask_b32 v13, v5, v22, vcc_lo :: v_dual_cndmask_b32 v7, v5, v7, vcc_lo
	s_and_b32 vcc_lo, vcc_lo, s16
	v_add_nc_u32_e32 v22, 2, v16
	s_wait_dscnt 0x0
	v_cndmask_b32_e32 v12, 0, v12, vcc_lo
	ds_bpermute_b32 v5, v21, v13
	v_and_b32_e32 v23, 1, v7
	v_and_b32_e32 v25, 0xff, v7
	v_add_nc_u32_e32 v4, v12, v4
	s_delay_alu instid0(VALU_DEP_3) | instskip(NEXT) | instid1(VALU_DEP_3)
	v_cmp_eq_u32_e32 vcc_lo, 1, v23
	v_cmp_eq_u16_e64 s16, 0, v25
	ds_bpermute_b32 v12, v21, v4
	s_wait_dscnt 0x1
	v_and_b32_e32 v5, 1, v5
	s_delay_alu instid0(VALU_DEP_1) | instskip(SKIP_1) | instid1(VALU_DEP_2)
	v_cndmask_b32_e64 v5, v5, 1, vcc_lo
	v_cmp_gt_u32_e32 vcc_lo, 28, v16
	v_and_b32_e32 v24, 0xffff, v5
	v_cndmask_b32_e64 v23, 0, 4, vcc_lo
	v_cmp_gt_u32_e32 vcc_lo, v22, v11
	s_delay_alu instid0(VALU_DEP_2) | instskip(NEXT) | instid1(VALU_DEP_4)
	v_add_lshl_u32 v23, v23, v16, 2
	v_dual_cndmask_b32 v5, v5, v7, vcc_lo :: v_dual_cndmask_b32 v7, v24, v13, vcc_lo
	s_wait_dscnt 0x0
	s_delay_alu instid0(VALU_DEP_1) | instskip(SKIP_4) | instid1(VALU_DEP_3)
	v_dual_cndmask_b32 v12, 0, v12, s16 :: v_dual_bitop2_b32 v25, 1, v5 bitop3:0x40
	ds_bpermute_b32 v13, v23, v7
	v_cndmask_b32_e64 v12, v12, 0, vcc_lo
	v_cmp_eq_u32_e32 vcc_lo, 1, v25
	v_and_b32_e32 v25, 0xff, v5
	v_add_nc_u32_e32 v4, v12, v4
	s_delay_alu instid0(VALU_DEP_2)
	v_cmp_eq_u16_e64 s16, 0, v25
	s_wait_dscnt 0x0
	v_and_b32_e32 v13, 1, v13
	ds_bpermute_b32 v12, v23, v4
	v_cndmask_b32_e64 v13, v13, 1, vcc_lo
	v_add_nc_u32_e32 v24, 4, v16
	v_cmp_gt_u32_e32 vcc_lo, 24, v16
	s_delay_alu instid0(VALU_DEP_3) | instskip(SKIP_1) | instid1(VALU_DEP_4)
	v_and_b32_e32 v27, 0xffff, v13
	v_cndmask_b32_e64 v26, 0, 8, vcc_lo
	v_cmp_gt_u32_e32 vcc_lo, v24, v11
	s_delay_alu instid0(VALU_DEP_2) | instskip(NEXT) | instid1(VALU_DEP_4)
	v_add_lshl_u32 v25, v26, v16, 2
	v_dual_cndmask_b32 v7, v27, v7, vcc_lo :: v_dual_cndmask_b32 v5, v13, v5, vcc_lo
	v_add_nc_u32_e32 v26, 8, v16
	s_wait_dscnt 0x0
	v_cndmask_b32_e64 v12, 0, v12, s16
	ds_bpermute_b32 v13, v25, v7
	v_and_b32_e32 v27, 1, v5
	v_and_b32_e32 v28, 0xff, v5
	v_cndmask_b32_e64 v12, v12, 0, vcc_lo
	s_delay_alu instid0(VALU_DEP_3) | instskip(NEXT) | instid1(VALU_DEP_2)
	v_cmp_eq_u32_e32 vcc_lo, 1, v27
	v_add_nc_u32_e32 v4, v12, v4
	ds_bpermute_b32 v12, v25, v4
	s_wait_dscnt 0x1
	v_and_b32_e32 v13, 1, v13
	s_delay_alu instid0(VALU_DEP_1) | instskip(SKIP_1) | instid1(VALU_DEP_2)
	v_cndmask_b32_e64 v13, v13, 1, vcc_lo
	v_cmp_eq_u16_e32 vcc_lo, 0, v28
	v_and_b32_e32 v27, 0xffff, v13
	s_wait_dscnt 0x0
	v_cndmask_b32_e32 v12, 0, v12, vcc_lo
	v_cmp_gt_u32_e32 vcc_lo, v26, v11
	v_cndmask_b32_e32 v5, v13, v5, vcc_lo
	s_delay_alu instid0(VALU_DEP_3) | instskip(SKIP_1) | instid1(VALU_DEP_3)
	v_cndmask_b32_e64 v12, v12, 0, vcc_lo
	v_cndmask_b32_e32 v7, v27, v7, vcc_lo
	v_and_b32_e32 v13, 0xff, v5
	s_delay_alu instid0(VALU_DEP_3)
	v_add_nc_u32_e32 v4, v12, v4
	ds_bpermute_b32 v7, v29, v7
	v_and_b32_e32 v27, 1, v5
	v_cmp_eq_u16_e32 vcc_lo, 0, v13
	ds_bpermute_b32 v12, v29, v4
	s_wait_dscnt 0x0
	v_dual_cndmask_b32 v12, 0, v12, vcc_lo :: v_dual_bitop2_b32 v7, 1, v7 bitop3:0x40
	v_cmp_eq_u32_e32 vcc_lo, 1, v27
	s_delay_alu instid0(VALU_DEP_2) | instskip(SKIP_1) | instid1(VALU_DEP_2)
	v_cndmask_b32_e64 v7, v7, 1, vcc_lo
	v_cmp_gt_u32_e32 vcc_lo, v33, v11
	v_dual_mov_b32 v11, 0 :: v_dual_cndmask_b32 v5, v7, v5, vcc_lo
	v_cndmask_b32_e64 v7, v12, 0, vcc_lo
	s_delay_alu instid0(VALU_DEP_1)
	v_add_nc_u32_e32 v4, v7, v4
	s_branch .LBB1032_112
.LBB1032_109:                           ;   in Loop: Header=BB1032_112 Depth=1
	s_or_b32 exec_lo, exec_lo, s17
	v_and_b32_e32 v5, 0xff, v5
.LBB1032_110:                           ;   in Loop: Header=BB1032_112 Depth=1
	s_or_b32 exec_lo, exec_lo, s16
	ds_bpermute_b32 v7, v17, v5
	v_and_b32_e32 v12, 0xff, v6
	v_cmp_gt_u64_e64 s16, s[34:35], v[4:5]
	v_subrev_nc_u32_e32 v10, 32, v10
	s_delay_alu instid0(VALU_DEP_3) | instskip(SKIP_2) | instid1(VALU_DEP_2)
	v_cmp_eq_u16_e32 vcc_lo, 2, v12
	v_and_b32_e32 v12, 1, v5
	v_and_or_b32 v13, vcc_lo, v20, 0x80000000
	v_cmp_eq_u32_e32 vcc_lo, 1, v12
	s_delay_alu instid0(VALU_DEP_2) | instskip(SKIP_3) | instid1(VALU_DEP_1)
	v_ctz_i32_b32_e32 v12, v13
	ds_bpermute_b32 v13, v17, v4
	s_wait_dscnt 0x1
	v_and_b32_e32 v7, 1, v7
	v_cndmask_b32_e64 v7, v7, 1, vcc_lo
	v_cmp_lt_u32_e32 vcc_lo, v16, v12
	s_delay_alu instid0(VALU_DEP_2) | instskip(NEXT) | instid1(VALU_DEP_1)
	v_and_b32_e32 v58, 0xffff, v7
	v_dual_cndmask_b32 v7, v5, v7 :: v_dual_cndmask_b32 v58, v5, v58
	s_and_b32 vcc_lo, vcc_lo, s16
	s_wait_dscnt 0x0
	s_delay_alu instid0(VALU_DEP_1)
	v_dual_cndmask_b32 v13, 0, v13, vcc_lo :: v_dual_bitop2_b32 v59, 1, v7 bitop3:0x40
	v_and_b32_e32 v60, 0xff, v7
	ds_bpermute_b32 v5, v21, v58
	v_cmp_eq_u32_e32 vcc_lo, 1, v59
	v_add_nc_u32_e32 v4, v13, v4
	v_cmp_eq_u16_e64 s16, 0, v60
	s_wait_dscnt 0x0
	v_and_b32_e32 v5, 1, v5
	ds_bpermute_b32 v13, v21, v4
	v_cndmask_b32_e64 v5, v5, 1, vcc_lo
	v_cmp_gt_u32_e32 vcc_lo, v22, v12
	s_delay_alu instid0(VALU_DEP_2) | instskip(NEXT) | instid1(VALU_DEP_1)
	v_and_b32_e32 v59, 0xffff, v5
	v_dual_cndmask_b32 v5, v5, v7, vcc_lo :: v_dual_cndmask_b32 v7, v59, v58, vcc_lo
	s_delay_alu instid0(VALU_DEP_1) | instskip(SKIP_3) | instid1(VALU_DEP_1)
	v_and_b32_e32 v59, 1, v5
	ds_bpermute_b32 v58, v23, v7
	s_wait_dscnt 0x0
	v_dual_cndmask_b32 v13, 0, v13, s16 :: v_dual_bitop2_b32 v58, 1, v58 bitop3:0x40
	v_cndmask_b32_e64 v13, v13, 0, vcc_lo
	v_cmp_eq_u32_e32 vcc_lo, 1, v59
	v_and_b32_e32 v59, 0xff, v5
	s_delay_alu instid0(VALU_DEP_3) | instskip(SKIP_2) | instid1(VALU_DEP_4)
	v_add_nc_u32_e32 v4, v13, v4
	v_cndmask_b32_e64 v58, v58, 1, vcc_lo
	v_cmp_gt_u32_e32 vcc_lo, v24, v12
	v_cmp_eq_u16_e64 s16, 0, v59
	ds_bpermute_b32 v13, v23, v4
	v_and_b32_e32 v60, 0xffff, v58
	s_wait_dscnt 0x0
	s_delay_alu instid0(VALU_DEP_1) | instskip(SKIP_1) | instid1(VALU_DEP_1)
	v_dual_cndmask_b32 v7, v60, v7, vcc_lo :: v_dual_cndmask_b32 v13, 0, v13, s16
	s_mov_b32 s16, 0
	v_cndmask_b32_e64 v13, v13, 0, vcc_lo
	v_cndmask_b32_e32 v5, v58, v5, vcc_lo
	ds_bpermute_b32 v58, v25, v7
	v_dual_add_nc_u32 v4, v13, v4 :: v_dual_bitop2_b32 v59, 1, v5 bitop3:0x40
	v_and_b32_e32 v60, 0xff, v5
	ds_bpermute_b32 v13, v25, v4
	v_cmp_eq_u32_e32 vcc_lo, 1, v59
	s_wait_dscnt 0x1
	v_and_b32_e32 v58, 1, v58
	s_delay_alu instid0(VALU_DEP_1) | instskip(SKIP_1) | instid1(VALU_DEP_2)
	v_cndmask_b32_e64 v58, v58, 1, vcc_lo
	v_cmp_eq_u16_e32 vcc_lo, 0, v60
	v_and_b32_e32 v59, 0xffff, v58
	s_wait_dscnt 0x0
	v_cndmask_b32_e32 v13, 0, v13, vcc_lo
	v_cmp_gt_u32_e32 vcc_lo, v26, v12
	s_delay_alu instid0(VALU_DEP_2) | instskip(SKIP_1) | instid1(VALU_DEP_2)
	v_cndmask_b32_e64 v13, v13, 0, vcc_lo
	v_dual_cndmask_b32 v7, v59, v7, vcc_lo :: v_dual_cndmask_b32 v5, v58, v5, vcc_lo
	v_add_nc_u32_e32 v4, v13, v4
	ds_bpermute_b32 v7, v29, v7
	v_and_b32_e32 v58, 1, v5
	v_and_b32_e32 v59, 0xff, v5
	ds_bpermute_b32 v13, v29, v4
	v_cmp_eq_u32_e32 vcc_lo, 1, v58
	s_wait_dscnt 0x1
	v_cndmask_b32_e64 v7, v7, 1, vcc_lo
	v_cmp_eq_u16_e32 vcc_lo, 0, v59
	s_wait_dscnt 0x0
	v_cndmask_b32_e32 v13, 0, v13, vcc_lo
	v_cmp_gt_u32_e32 vcc_lo, v33, v12
	v_and_b32_e32 v12, 0xff, v27
	v_cndmask_b32_e32 v5, v7, v5, vcc_lo
	s_delay_alu instid0(VALU_DEP_4) | instskip(NEXT) | instid1(VALU_DEP_3)
	v_cndmask_b32_e64 v7, v13, 0, vcc_lo
	v_cmp_eq_u16_e32 vcc_lo, 0, v12
	s_delay_alu instid0(VALU_DEP_2) | instskip(NEXT) | instid1(VALU_DEP_1)
	v_dual_add_nc_u32 v4, v7, v4 :: v_dual_bitop2_b32 v7, 1, v27 bitop3:0x40
	v_dual_cndmask_b32 v4, 0, v4, vcc_lo :: v_dual_bitop2_b32 v5, 1, v5 bitop3:0x40
	s_delay_alu instid0(VALU_DEP_2) | instskip(NEXT) | instid1(VALU_DEP_2)
	v_cmp_eq_u32_e32 vcc_lo, 1, v7
	v_add_nc_u32_e32 v4, v4, v28
	s_delay_alu instid0(VALU_DEP_3)
	v_cndmask_b32_e64 v5, v5, 1, vcc_lo
.LBB1032_111:                           ;   in Loop: Header=BB1032_112 Depth=1
	s_and_b32 vcc_lo, exec_lo, s16
	s_cbranch_vccnz .LBB1032_177
.LBB1032_112:                           ; =>This Loop Header: Depth=1
                                        ;     Child Loop BB1032_115 Depth 2
	v_and_b32_e32 v6, 0xff, v6
	s_delay_alu instid0(VALU_DEP_2) | instskip(SKIP_1) | instid1(VALU_DEP_2)
	v_dual_mov_b32 v27, v5 :: v_dual_mov_b32 v28, v4
	s_mov_b32 s16, -1
                                        ; implicit-def: $vgpr5
                                        ; implicit-def: $vgpr4
	v_cmp_ne_u16_e32 vcc_lo, 2, v6
                                        ; implicit-def: $vgpr6
	s_cmp_lg_u32 vcc_lo, exec_lo
	s_cbranch_scc1 .LBB1032_111
; %bb.113:                              ;   in Loop: Header=BB1032_112 Depth=1
	v_lshl_add_u64 v[12:13], v[10:11], 4, s[20:21]
	;;#ASMSTART
	global_load_b128 v[4:7], v[12:13] off scope:SCOPE_DEV	
s_wait_loadcnt 0x0
	;;#ASMEND
	v_and_b32_e32 v7, 0xff, v6
	v_and_b32_e32 v5, 0xff, v5
	s_mov_b32 s16, exec_lo
	s_delay_alu instid0(VALU_DEP_2)
	v_cmpx_eq_u16_e32 0, v7
	s_cbranch_execz .LBB1032_110
; %bb.114:                              ;   in Loop: Header=BB1032_112 Depth=1
	s_mov_b32 s17, 0
.LBB1032_115:                           ;   Parent Loop BB1032_112 Depth=1
                                        ; =>  This Inner Loop Header: Depth=2
	;;#ASMSTART
	global_load_b128 v[4:7], v[12:13] off scope:SCOPE_DEV	
s_wait_loadcnt 0x0
	;;#ASMEND
	v_and_b32_e32 v7, 0xff, v6
	s_delay_alu instid0(VALU_DEP_1) | instskip(SKIP_1) | instid1(SALU_CYCLE_1)
	v_cmp_ne_u16_e32 vcc_lo, 0, v7
	s_or_b32 s17, vcc_lo, s17
	s_and_not1_b32 exec_lo, exec_lo, s17
	s_cbranch_execnz .LBB1032_115
	s_branch .LBB1032_109
.LBB1032_116:
	s_or_b32 exec_lo, exec_lo, s16
                                        ; implicit-def: $vgpr35
	s_and_saveexec_b32 s16, s1
	s_cbranch_execz .LBB1032_37
.LBB1032_117:
	flat_load_b32 v35, v31, s[34:35] offset:2048
	s_wait_xcnt 0x0
	s_or_b32 exec_lo, exec_lo, s16
                                        ; implicit-def: $vgpr36
	s_and_saveexec_b32 s1, s4
	s_cbranch_execnz .LBB1032_38
.LBB1032_118:
	s_or_b32 exec_lo, exec_lo, s1
                                        ; implicit-def: $vgpr37
	s_and_saveexec_b32 s1, s5
	s_cbranch_execz .LBB1032_39
.LBB1032_119:
	flat_load_b32 v37, v31, s[34:35] offset:6144
	s_wait_xcnt 0x0
	s_or_b32 exec_lo, exec_lo, s1
                                        ; implicit-def: $vgpr38
	s_and_saveexec_b32 s1, s6
	s_cbranch_execnz .LBB1032_40
.LBB1032_120:
	s_or_b32 exec_lo, exec_lo, s1
                                        ; implicit-def: $vgpr39
	s_and_saveexec_b32 s1, s7
	s_cbranch_execz .LBB1032_41
.LBB1032_121:
	flat_load_b32 v39, v31, s[34:35] offset:10240
	s_wait_xcnt 0x0
	s_or_b32 exec_lo, exec_lo, s1
                                        ; implicit-def: $vgpr40
	s_and_saveexec_b32 s1, s8
	s_cbranch_execnz .LBB1032_42
.LBB1032_122:
	s_or_b32 exec_lo, exec_lo, s1
                                        ; implicit-def: $vgpr41
	s_and_saveexec_b32 s1, s9
	s_cbranch_execz .LBB1032_43
.LBB1032_123:
	flat_load_b32 v41, v31, s[34:35] offset:14336
	s_wait_xcnt 0x0
	s_or_b32 exec_lo, exec_lo, s1
                                        ; implicit-def: $vgpr42
	s_and_saveexec_b32 s1, s10
	s_cbranch_execnz .LBB1032_44
.LBB1032_124:
	s_or_b32 exec_lo, exec_lo, s1
                                        ; implicit-def: $vgpr43
	s_and_saveexec_b32 s1, s11
	s_cbranch_execz .LBB1032_45
.LBB1032_125:
	flat_load_b32 v43, v31, s[34:35] offset:18432
	s_wait_xcnt 0x0
	s_or_b32 exec_lo, exec_lo, s1
                                        ; implicit-def: $vgpr44
	s_and_saveexec_b32 s1, s12
	s_cbranch_execnz .LBB1032_46
.LBB1032_126:
	s_or_b32 exec_lo, exec_lo, s1
                                        ; implicit-def: $vgpr45
	s_and_saveexec_b32 s1, s13
	s_cbranch_execz .LBB1032_47
.LBB1032_127:
	flat_load_b32 v45, v31, s[34:35] offset:22528
	s_wait_xcnt 0x0
	s_or_b32 exec_lo, exec_lo, s1
                                        ; implicit-def: $vgpr46
	s_and_saveexec_b32 s1, s14
	s_cbranch_execz .LBB1032_49
	s_branch .LBB1032_48
.LBB1032_128:
                                        ; implicit-def: $vgpr17
                                        ; implicit-def: $vgpr13
                                        ; implicit-def: $vgpr11
                                        ; implicit-def: $vgpr5
                                        ; implicit-def: $vgpr14_vgpr15
                                        ; implicit-def: $vgpr6_vgpr7
                                        ; implicit-def: $vgpr2_vgpr3
	s_cbranch_execnz .LBB1032_182
.LBB1032_129:
	s_add_nc_u64 s[2:3], s[18:19], s[28:29]
	s_and_b32 vcc_lo, exec_lo, s0
	s_add_nc_u64 s[0:1], s[2:3], s[24:25]
	s_cbranch_vccz .LBB1032_199
.LBB1032_130:
	v_mul_u32_u24_e32 v1, 14, v0
	s_add_co_i32 s23, s23, s22
	s_mov_b32 s2, exec_lo
	s_delay_alu instid0(VALU_DEP_1)
	v_cmpx_gt_u32_e64 s23, v1
	s_cbranch_execz .LBB1032_150
; %bb.131:
	v_or_b32_e32 v8, 1, v1
	s_mov_b32 s3, exec_lo
	s_delay_alu instid0(VALU_DEP_1)
	v_cmpx_gt_u32_e64 s23, v8
	s_cbranch_execz .LBB1032_149
; %bb.132:
	v_add_nc_u32_e32 v8, 2, v1
	s_mov_b32 s4, exec_lo
	s_delay_alu instid0(VALU_DEP_1)
	v_cmpx_gt_u32_e64 s23, v8
	s_cbranch_execz .LBB1032_148
; %bb.133:
	v_add_nc_u32_e32 v8, 3, v1
	;; [unrolled: 6-line block ×8, first 2 shown]
	s_mov_b32 s11, exec_lo
	s_delay_alu instid0(VALU_DEP_1)
	v_cmpx_gt_u32_e64 s23, v8
; %bb.140:
	v_add_nc_u32_e32 v8, 10, v1
	s_mov_b32 s12, exec_lo
	s_delay_alu instid0(VALU_DEP_1)
	v_cmpx_gt_u32_e64 s23, v8
	s_or_b32 exec_lo, exec_lo, s12
; %bb.141:
	s_delay_alu instid0(SALU_CYCLE_1)
	s_or_b32 exec_lo, exec_lo, s11
.LBB1032_142:
	s_delay_alu instid0(SALU_CYCLE_1)
	s_or_b32 exec_lo, exec_lo, s10
.LBB1032_143:
	s_delay_alu instid0(SALU_CYCLE_1)
	s_or_b32 exec_lo, exec_lo, s9
.LBB1032_144:
	s_delay_alu instid0(SALU_CYCLE_1)
	s_or_b32 exec_lo, exec_lo, s8
.LBB1032_145:
	s_delay_alu instid0(SALU_CYCLE_1)
	s_or_b32 exec_lo, exec_lo, s7
.LBB1032_146:
	s_delay_alu instid0(SALU_CYCLE_1)
	s_or_b32 exec_lo, exec_lo, s6
.LBB1032_147:
	s_delay_alu instid0(SALU_CYCLE_1)
	s_or_b32 exec_lo, exec_lo, s5
.LBB1032_148:
	s_delay_alu instid0(SALU_CYCLE_1)
	s_or_b32 exec_lo, exec_lo, s4
.LBB1032_149:
	s_delay_alu instid0(SALU_CYCLE_1)
	s_or_b32 exec_lo, exec_lo, s3
.LBB1032_150:
	s_delay_alu instid0(SALU_CYCLE_1) | instskip(SKIP_3) | instid1(VALU_DEP_1)
	s_or_b32 exec_lo, exec_lo, s2
	v_dual_lshlrev_b32 v1, 2, v1 :: v_dual_mov_b32 v33, 0
	s_barrier_signal -1
	s_barrier_wait -1
	v_mad_i32_i24 v8, 0xffffffcc, v0, v1
	ds_store_2addr_b64 v1, v[2:3], v[4:5] offset1:1
	ds_store_2addr_b64 v1, v[6:7], v[10:11] offset0:2 offset1:3
	ds_store_2addr_b64 v1, v[14:15], v[12:13] offset0:4 offset1:5
	ds_store_b64 v1, v[16:17] offset:48
	s_wait_dscnt 0x0
	s_barrier_signal -1
	s_barrier_wait -1
	ds_load_2addr_stride64_b32 v[30:31], v8 offset0:4 offset1:8
	ds_load_2addr_stride64_b32 v[28:29], v8 offset0:12 offset1:16
	;; [unrolled: 1-line block ×6, first 2 shown]
	ds_load_b32 v9, v8 offset:13312
	v_add_nc_u64_e32 v[20:21], s[0:1], v[32:33]
	s_mov_b32 s2, exec_lo
	v_cmpx_gt_u32_e64 s23, v0
	s_cbranch_execz .LBB1032_152
; %bb.151:
	v_mul_i32_i24_e32 v8, 0xffffffcc, v0
	s_delay_alu instid0(VALU_DEP_1)
	v_add_nc_u32_e32 v1, v1, v8
	ds_load_b32 v32, v1
	s_wait_dscnt 0x0
	v_ashrrev_i32_e32 v33, 31, v32
	flat_store_b64 v[20:21], v[32:33]
.LBB1032_152:
	s_wait_xcnt 0x0
	s_or_b32 exec_lo, exec_lo, s2
	v_or_b32_e32 v1, 0x100, v0
	s_mov_b32 s2, exec_lo
	s_delay_alu instid0(VALU_DEP_1)
	v_cmpx_gt_u32_e64 s23, v1
	s_cbranch_execz .LBB1032_154
; %bb.153:
	s_wait_dscnt 0x6
	v_dual_mov_b32 v32, v30 :: v_dual_ashrrev_i32 v33, 31, v30
	flat_store_b64 v[20:21], v[32:33] offset:2048
.LBB1032_154:
	s_wait_xcnt 0x0
	s_or_b32 exec_lo, exec_lo, s2
	v_or_b32_e32 v1, 0x200, v0
	s_mov_b32 s2, exec_lo
	s_delay_alu instid0(VALU_DEP_1)
	v_cmpx_gt_u32_e64 s23, v1
	s_cbranch_execz .LBB1032_156
; %bb.155:
	s_wait_dscnt 0x6
	v_dual_mov_b32 v32, v31 :: v_dual_ashrrev_i32 v33, 31, v31
	flat_store_b64 v[20:21], v[32:33] offset:4096
.LBB1032_156:
	;; [unrolled: 12-line block ×12, first 2 shown]
	s_wait_xcnt 0x0
	s_or_b32 exec_lo, exec_lo, s2
	v_or_b32_e32 v1, 0xd00, v0
	s_delay_alu instid0(VALU_DEP_1)
	v_cmp_gt_u32_e64 s2, s23, v1
	s_branch .LBB1032_201
.LBB1032_177:
	s_and_saveexec_b32 s16, s15
	s_cbranch_execz .LBB1032_179
; %bb.178:
	v_and_b32_e32 v4, 0xff, v3
	s_mov_b32 s35, 0
	s_add_co_i32 s34, s38, 32
	s_delay_alu instid0(SALU_CYCLE_1) | instskip(NEXT) | instid1(VALU_DEP_1)
	s_lshl_b64 s[34:35], s[34:35], 4
	v_cmp_eq_u32_e32 vcc_lo, 0, v4
	v_and_b32_e32 v3, 1, v3
	s_add_nc_u64 s[34:35], s[20:21], s[34:35]
	s_delay_alu instid0(SALU_CYCLE_1) | instskip(SKIP_1) | instid1(VALU_DEP_3)
	v_mov_b64_e32 v[6:7], s[34:35]
	v_dual_cndmask_b32 v4, 0, v28, vcc_lo :: v_dual_bitop2_b32 v5, 1, v27 bitop3:0x40
	v_cmp_eq_u32_e32 vcc_lo, 1, v3
	s_delay_alu instid0(VALU_DEP_2) | instskip(NEXT) | instid1(VALU_DEP_3)
	v_dual_add_nc_u32 v2, v4, v2 :: v_dual_mov_b32 v4, 2
	v_cndmask_b32_e64 v3, v5, 1, vcc_lo
	v_mov_b32_e32 v5, 0
	;;#ASMSTART
	global_store_b128 v[6:7], v[2:5] off scope:SCOPE_DEV	
s_wait_storecnt 0x0
	;;#ASMEND
.LBB1032_179:
	s_or_b32 exec_lo, exec_lo, s16
	s_delay_alu instid0(SALU_CYCLE_1)
	s_and_b32 exec_lo, exec_lo, s2
	s_cbranch_execz .LBB1032_181
; %bb.180:
	v_mov_b32_e32 v2, 0
	ds_store_b32 v2, v28
	ds_store_b8 v2, v27 offset:4
.LBB1032_181:
	s_or_b32 exec_lo, exec_lo, s36
	s_wait_dscnt 0x0
	v_and_b32_e32 v3, 0xff, v15
	s_barrier_signal -1
	s_barrier_wait -1
	s_delay_alu instid0(VALU_DEP_1)
	v_cmp_eq_u16_e32 vcc_lo, 0, v3
	v_mov_b32_e32 v4, 0
	v_and_b32_e32 v5, 0xff, v31
	ds_load_b32 v2, v4
	s_wait_dscnt 0x0
	v_cndmask_b32_e32 v3, 0, v2, vcc_lo
	v_cmp_eq_u64_e32 vcc_lo, 0, v[4:5]
	s_delay_alu instid0(VALU_DEP_2) | instskip(NEXT) | instid1(VALU_DEP_1)
	v_add_nc_u32_e32 v3, v3, v14
	v_cndmask_b32_e64 v2, v3, v2, s2
	s_delay_alu instid0(VALU_DEP_1) | instskip(NEXT) | instid1(VALU_DEP_1)
	v_cndmask_b32_e32 v3, 0, v2, vcc_lo
	v_add_nc_u32_e32 v3, v3, v30
	s_delay_alu instid0(VALU_DEP_1) | instskip(NEXT) | instid1(VALU_DEP_1)
	v_cndmask_b32_e64 v4, 0, v3, s1
	v_add_nc_u32_e32 v4, v4, v56
	s_delay_alu instid0(VALU_DEP_1) | instskip(NEXT) | instid1(VALU_DEP_1)
	v_cndmask_b32_e64 v5, 0, v4, s4
	;; [unrolled: 3-line block ×12, first 2 shown]
	v_add_nc_u32_e32 v17, v17, v34
	s_branch .LBB1032_129
.LBB1032_182:
	s_cmp_eq_u64 s[30:31], 0
	v_mov_b32_e32 v20, s33
	s_cselect_b32 s1, -1, 0
	s_cmp_eq_u64 s[26:27], 0
	s_cselect_b32 s4, -1, 0
	s_delay_alu instid0(SALU_CYCLE_1) | instskip(NEXT) | instid1(SALU_CYCLE_1)
	s_or_b32 s1, s1, s4
	s_and_b32 vcc_lo, exec_lo, s1
	s_cbranch_vccnz .LBB1032_184
; %bb.183:
	v_mov_b32_e32 v2, 0
	global_load_b32 v20, v2, s[26:27]
.LBB1032_184:
	s_mov_b64 s[14:15], 0x100000000
	v_or3_b32 v3, v19, v47, v49
	v_cmp_gt_u64_e32 vcc_lo, s[14:15], v[56:57]
	v_cmp_gt_u64_e64 s1, s[14:15], v[54:55]
	v_cmp_gt_u64_e64 s4, s[14:15], v[52:53]
	;; [unrolled: 1-line block ×6, first 2 shown]
	s_wait_xcnt 0x0
	v_dual_cndmask_b32 v2, 0, v30, vcc_lo :: v_dual_bitop2_b32 v1, 56, v1 bitop3:0x40
	v_cmp_gt_u64_e64 s9, s[14:15], v[42:43]
	v_cmp_gt_u64_e64 s10, s[14:15], v[40:41]
	;; [unrolled: 1-line block ×6, first 2 shown]
	v_add_nc_u32_e32 v2, v2, v56
	v_or3_b32 v3, v3, v51, v53
	v_or3_b32 v4, v18, v39, v41
	v_lshl_add_u32 v1, v0, 3, v1
	s_mov_b32 s15, exec_lo
	v_cndmask_b32_e64 v2, 0, v2, s1
	v_or3_b32 v3, v3, v55, v57
	s_delay_alu instid0(VALU_DEP_2) | instskip(NEXT) | instid1(VALU_DEP_2)
	v_add_nc_u32_e32 v2, v2, v54
	v_or3_b32 v3, v9, v4, v3
	s_delay_alu instid0(VALU_DEP_2) | instskip(NEXT) | instid1(VALU_DEP_2)
	v_cndmask_b32_e64 v2, 0, v2, s4
	v_and_b32_e32 v3, 0xff, v3
	s_delay_alu instid0(VALU_DEP_2) | instskip(NEXT) | instid1(VALU_DEP_1)
	v_add_nc_u32_e32 v2, v2, v52
	v_cndmask_b32_e64 v2, 0, v2, s5
	s_delay_alu instid0(VALU_DEP_1) | instskip(NEXT) | instid1(VALU_DEP_1)
	v_add_nc_u32_e32 v2, v2, v50
	v_cndmask_b32_e64 v2, 0, v2, s6
	s_delay_alu instid0(VALU_DEP_1) | instskip(NEXT) | instid1(VALU_DEP_1)
	v_add_nc_u32_e32 v2, v2, v48
	v_cndmask_b32_e64 v2, 0, v2, s7
	s_delay_alu instid0(VALU_DEP_1) | instskip(NEXT) | instid1(VALU_DEP_1)
	v_add_nc_u32_e32 v2, v2, v46
	v_cndmask_b32_e64 v2, 0, v2, s8
	s_delay_alu instid0(VALU_DEP_1) | instskip(NEXT) | instid1(VALU_DEP_1)
	v_add_nc_u32_e32 v2, v2, v44
	v_cndmask_b32_e64 v2, 0, v2, s9
	s_delay_alu instid0(VALU_DEP_1) | instskip(NEXT) | instid1(VALU_DEP_1)
	v_add_nc_u32_e32 v2, v2, v42
	v_cndmask_b32_e64 v2, 0, v2, s10
	s_delay_alu instid0(VALU_DEP_1) | instskip(NEXT) | instid1(VALU_DEP_1)
	v_add_nc_u32_e32 v2, v2, v40
	v_cndmask_b32_e64 v2, 0, v2, s11
	s_delay_alu instid0(VALU_DEP_1) | instskip(NEXT) | instid1(VALU_DEP_1)
	v_add_nc_u32_e32 v2, v2, v38
	v_cndmask_b32_e64 v2, 0, v2, s12
	s_delay_alu instid0(VALU_DEP_1) | instskip(NEXT) | instid1(VALU_DEP_1)
	v_add_nc_u32_e32 v2, v2, v36
	v_cndmask_b32_e64 v2, 0, v2, s13
	s_delay_alu instid0(VALU_DEP_1) | instskip(NEXT) | instid1(VALU_DEP_1)
	v_dual_mov_b32 v2, 0 :: v_dual_add_nc_u32 v5, v2, v34
	v_cndmask_b32_e64 v4, 0, v5, s14
	s_delay_alu instid0(VALU_DEP_2) | instskip(NEXT) | instid1(VALU_DEP_1)
	v_cmp_eq_u64_e64 s14, 0, v[2:3]
	v_dual_add_nc_u32 v4, v4, v8 :: v_dual_cndmask_b32 v5, 1, v31, s14
	ds_store_b32 v1, v4
	ds_store_b8 v1, v5 offset:4
	s_wait_loadcnt_dscnt 0x0
	s_barrier_signal -1
	s_barrier_wait -1
	v_cmpx_gt_u32_e32 32, v0
	s_cbranch_execz .LBB1032_194
; %bb.185:
	v_dual_lshlrev_b32 v1, 1, v0 :: v_dual_lshlrev_b32 v2, 6, v0
	s_mov_b32 s16, exec_lo
	s_delay_alu instid0(VALU_DEP_1) | instskip(NEXT) | instid1(VALU_DEP_1)
	v_and_b32_e32 v1, 0x1f8, v1
	v_add_nc_u32_e32 v1, v1, v2
	ds_load_u8 v12, v1 offset:12
	ds_load_b64 v[2:3], v1
	ds_load_2addr_b32 v[6:7], v1 offset0:2 offset1:4
	ds_load_u8 v13, v1 offset:20
	ds_load_u8 v14, v1 offset:28
	;; [unrolled: 1-line block ×5, first 2 shown]
	ds_load_b32 v18, v1 offset:56
	s_wait_dscnt 0x8
	v_cmp_eq_u16_e64 s14, 0, v12
	s_wait_dscnt 0x7
	s_delay_alu instid0(VALU_DEP_1)
	v_cndmask_b32_e64 v10, 0, v2, s14
	ds_load_2addr_b32 v[8:9], v1 offset0:6 offset1:8
	s_wait_dscnt 0x6
	v_cmp_eq_u16_e64 s14, 0, v13
	v_add_nc_u32_e32 v6, v10, v6
	ds_load_2addr_b32 v[10:11], v1 offset0:10 offset1:12
	v_cndmask_b32_e64 v6, 0, v6, s14
	s_wait_dscnt 0x6
	v_cmp_eq_u16_e64 s14, 0, v14
	s_delay_alu instid0(VALU_DEP_2) | instskip(NEXT) | instid1(VALU_DEP_1)
	v_dual_add_nc_u32 v6, v6, v7 :: v_dual_bitop2_b32 v7, v13, v12 bitop3:0x54
	v_cndmask_b32_e64 v6, 0, v6, s14
	s_wait_dscnt 0x5
	v_cmp_eq_u16_e64 s14, 0, v15
	s_delay_alu instid0(VALU_DEP_3)
	v_bitop3_b16 v7, v7, v15, v14 bitop3:0xfe
	s_wait_dscnt 0x1
	v_add_nc_u32_e32 v6, v6, v8
	ds_load_u8 v8, v1 offset:60
	v_bitop3_b16 v7, v7, v17, v16 bitop3:0xfe
	v_cndmask_b32_e64 v6, 0, v6, s14
	v_cmp_eq_u16_e64 s14, 0, v16
	s_delay_alu instid0(VALU_DEP_2) | instskip(NEXT) | instid1(VALU_DEP_1)
	v_add_nc_u32_e32 v6, v6, v9
	v_dual_cndmask_b32 v9, 0, v6, s14 :: v_dual_bitop2_b32 v6, 1, v3 bitop3:0x40
	v_cmp_eq_u16_e64 s14, 0, v7
	s_wait_dscnt 0x0
	s_delay_alu instid0(VALU_DEP_2) | instskip(NEXT) | instid1(VALU_DEP_2)
	v_dual_add_nc_u32 v9, v9, v10 :: v_dual_bitop2_b32 v10, 1, v8 bitop3:0x40
	v_cndmask_b32_e64 v7, 1, v6, s14
	v_cmp_eq_u16_e64 s14, 0, v17
	s_delay_alu instid0(VALU_DEP_1) | instskip(NEXT) | instid1(VALU_DEP_4)
	v_cndmask_b32_e64 v9, 0, v9, s14
	v_cmp_eq_u32_e64 s14, 1, v10
	s_delay_alu instid0(VALU_DEP_2) | instskip(NEXT) | instid1(VALU_DEP_2)
	v_add_nc_u32_e32 v9, v9, v11
	v_cndmask_b32_e64 v10, v7, 1, s14
	v_cmp_eq_u16_e64 s14, 0, v8
	v_and_b32_e32 v7, 0xffffff00, v3
	s_delay_alu instid0(VALU_DEP_3) | instskip(NEXT) | instid1(VALU_DEP_3)
	v_and_b32_e32 v11, 0xffff, v10
	v_cndmask_b32_e64 v8, 0, v9, s14
	v_mbcnt_lo_u32_b32 v9, -1, 0
	s_delay_alu instid0(VALU_DEP_2) | instskip(NEXT) | instid1(VALU_DEP_2)
	v_dual_add_nc_u32 v8, v8, v18 :: v_dual_bitop2_b32 v12, v7, v11 bitop3:0x54
	v_and_b32_e32 v11, 15, v9
	s_delay_alu instid0(VALU_DEP_2) | instskip(NEXT) | instid1(VALU_DEP_3)
	v_mov_b32_dpp v14, v12 row_shr:1 row_mask:0xf bank_mask:0xf
	v_mov_b32_dpp v13, v8 row_shr:1 row_mask:0xf bank_mask:0xf
	s_delay_alu instid0(VALU_DEP_3)
	v_cmpx_ne_u32_e32 0, v11
	s_cbranch_execz .LBB1032_187
; %bb.186:
	v_and_b32_e32 v12, 1, v10
	v_and_b32_e32 v14, 1, v14
	s_delay_alu instid0(VALU_DEP_2) | instskip(NEXT) | instid1(VALU_DEP_1)
	v_cmp_eq_u32_e64 s14, 1, v12
	v_cndmask_b32_e64 v14, v14, 1, s14
	v_cmp_eq_u16_e64 s14, 0, v10
	s_delay_alu instid0(VALU_DEP_2) | instskip(NEXT) | instid1(VALU_DEP_1)
	v_and_b32_e32 v12, 0xffff, v14
	v_dual_cndmask_b32 v10, 0, v13, s14 :: v_dual_bitop2_b32 v12, v7, v12 bitop3:0x54
	s_delay_alu instid0(VALU_DEP_1)
	v_add_nc_u32_e32 v8, v10, v8
	v_mov_b32_e32 v10, v14
.LBB1032_187:
	s_or_b32 exec_lo, exec_lo, s16
	s_delay_alu instid0(VALU_DEP_2)
	v_mov_b32_dpp v13, v8 row_shr:2 row_mask:0xf bank_mask:0xf
	v_mov_b32_dpp v14, v12 row_shr:2 row_mask:0xf bank_mask:0xf
	s_mov_b32 s16, exec_lo
	v_cmpx_lt_u32_e32 1, v11
	s_cbranch_execz .LBB1032_189
; %bb.188:
	v_and_b32_e32 v12, 1, v10
	v_and_b32_e32 v14, 1, v14
	s_delay_alu instid0(VALU_DEP_2) | instskip(NEXT) | instid1(VALU_DEP_1)
	v_cmp_eq_u32_e64 s14, 1, v12
	v_cndmask_b32_e64 v14, v14, 1, s14
	v_cmp_eq_u16_e64 s14, 0, v10
	s_delay_alu instid0(VALU_DEP_2) | instskip(NEXT) | instid1(VALU_DEP_1)
	v_and_b32_e32 v12, 0xffff, v14
	v_dual_cndmask_b32 v10, 0, v13, s14 :: v_dual_bitop2_b32 v12, v7, v12 bitop3:0x54
	s_delay_alu instid0(VALU_DEP_1)
	v_add_nc_u32_e32 v8, v10, v8
	v_mov_b32_e32 v10, v14
.LBB1032_189:
	s_or_b32 exec_lo, exec_lo, s16
	s_delay_alu instid0(VALU_DEP_2)
	v_mov_b32_dpp v13, v8 row_shr:4 row_mask:0xf bank_mask:0xf
	v_mov_b32_dpp v14, v12 row_shr:4 row_mask:0xf bank_mask:0xf
	s_mov_b32 s16, exec_lo
	v_cmpx_lt_u32_e32 3, v11
	;; [unrolled: 21-line block ×3, first 2 shown]
	s_cbranch_execz .LBB1032_193
; %bb.192:
	v_and_b32_e32 v11, 1, v10
	v_and_b32_e32 v12, 1, v14
	s_delay_alu instid0(VALU_DEP_2) | instskip(NEXT) | instid1(VALU_DEP_1)
	v_cmp_eq_u32_e64 s14, 1, v11
	v_cndmask_b32_e64 v11, v12, 1, s14
	v_cmp_eq_u16_e64 s14, 0, v10
	s_delay_alu instid0(VALU_DEP_2) | instskip(NEXT) | instid1(VALU_DEP_1)
	v_and_b32_e32 v12, 0xffff, v11
	v_dual_cndmask_b32 v10, 0, v13, s14 :: v_dual_bitop2_b32 v12, v7, v12 bitop3:0x54
	s_delay_alu instid0(VALU_DEP_1)
	v_dual_add_nc_u32 v8, v10, v8 :: v_dual_mov_b32 v10, v11
.LBB1032_193:
	s_or_b32 exec_lo, exec_lo, s16
	ds_swizzle_b32 v11, v12 offset:swizzle(BROADCAST,32,15)
	ds_swizzle_b32 v12, v8 offset:swizzle(BROADCAST,32,15)
	v_and_b32_e32 v13, 1, v10
	v_bfe_i32 v15, v9, 4, 1
	v_and_b32_e32 v3, 0xff, v3
	; wave barrier
	s_delay_alu instid0(VALU_DEP_3) | instskip(SKIP_2) | instid1(VALU_DEP_1)
	v_cmp_eq_u32_e64 s14, 1, v13
	s_wait_dscnt 0x1
	v_dual_add_nc_u32 v13, -1, v9 :: v_dual_bitop2_b32 v11, 1, v11 bitop3:0x40
	v_cndmask_b32_e64 v11, v11, 1, s14
	v_and_b32_e32 v14, 16, v9
	v_cmp_eq_u16_e64 s14, 0, v10
	s_wait_dscnt 0x0
	s_delay_alu instid0(VALU_DEP_1) | instskip(NEXT) | instid1(VALU_DEP_3)
	v_cndmask_b32_e64 v12, 0, v12, s14
	v_cmp_eq_u32_e64 s14, 0, v14
	s_delay_alu instid0(VALU_DEP_1) | instskip(SKIP_1) | instid1(VALU_DEP_4)
	v_cndmask_b32_e64 v10, v11, v10, s14
	v_cmp_gt_i32_e64 s14, 0, v13
	v_and_b32_e32 v11, v15, v12
	s_delay_alu instid0(VALU_DEP_3) | instskip(NEXT) | instid1(VALU_DEP_2)
	v_and_b32_e32 v10, 0xffff, v10
	v_dual_cndmask_b32 v9, v13, v9, s14 :: v_dual_add_nc_u32 v8, v11, v8
	v_cmp_eq_u16_e64 s14, 0, v3
	s_delay_alu instid0(VALU_DEP_2)
	v_lshlrev_b32_e32 v9, 2, v9
	ds_bpermute_b32 v8, v9, v8
	s_wait_dscnt 0x0
	v_dual_cndmask_b32 v3, 0, v8, s14 :: v_dual_bitop2_b32 v7, v7, v10 bitop3:0x54
	ds_bpermute_b32 v7, v9, v7
	v_cmp_eq_u32_e64 s14, 1, v6
	s_wait_dscnt 0x0
	v_dual_add_nc_u32 v2, v3, v2 :: v_dual_bitop2_b32 v7, 1, v7 bitop3:0x40
	s_delay_alu instid0(VALU_DEP_1) | instskip(NEXT) | instid1(VALU_DEP_1)
	v_cndmask_b32_e64 v3, v7, 1, s14
	v_dual_cndmask_b32 v4, v2, v4, s2 :: v_dual_cndmask_b32 v6, v3, v5, s2
	ds_store_b32 v1, v4
	ds_store_b8 v1, v6 offset:4
	; wave barrier
	ds_load_u8 v7, v1 offset:12
	ds_load_2addr_b32 v[2:3], v1 offset0:2 offset1:4
	ds_load_u8 v8, v1 offset:20
	ds_load_u8 v9, v1 offset:28
	;; [unrolled: 1-line block ×5, first 2 shown]
	ds_load_b32 v13, v1 offset:56
	ds_load_u8 v14, v1 offset:60
	s_wait_dscnt 0x8
	v_cmp_eq_u16_e64 s14, 0, v7
	s_delay_alu instid0(VALU_DEP_1) | instskip(SKIP_4) | instid1(VALU_DEP_1)
	v_cndmask_b32_e64 v15, 0, v4, s14
	ds_load_2addr_b32 v[4:5], v1 offset0:6 offset1:8
	s_wait_dscnt 0x7
	v_cmp_eq_u16_e64 s14, 0, v8
	v_add_nc_u32_e32 v15, v15, v2
	v_cndmask_b32_e64 v2, 0, v15, s14
	s_wait_dscnt 0x6
	v_cmp_eq_u16_e64 s14, 0, v9
	s_delay_alu instid0(VALU_DEP_2)
	v_add_nc_u32_e32 v16, v2, v3
	ds_load_2addr_b32 v[2:3], v1 offset0:10 offset1:12
	v_cndmask_b32_e64 v17, 0, v16, s14
	s_wait_dscnt 0x6
	v_cmp_eq_u16_e64 s14, 0, v10
	ds_store_2addr_b32 v1, v15, v16 offset0:2 offset1:4
	s_wait_dscnt 0x2
	v_dual_add_nc_u32 v4, v17, v4 :: v_dual_bitop2_b32 v7, 1, v7 bitop3:0x40
	s_delay_alu instid0(VALU_DEP_1) | instskip(SKIP_1) | instid1(VALU_DEP_3)
	v_cndmask_b32_e64 v17, 0, v4, s14
	v_and_b32_e32 v8, 1, v8
	v_cmp_eq_u32_e64 s14, 1, v7
	v_and_b32_e32 v7, 1, v9
	s_delay_alu instid0(VALU_DEP_4) | instskip(NEXT) | instid1(VALU_DEP_3)
	v_add_nc_u32_e32 v5, v17, v5
	v_cndmask_b32_e64 v6, v6, 1, s14
	v_cmp_eq_u32_e64 s14, 1, v8
	s_delay_alu instid0(VALU_DEP_1) | instskip(SKIP_1) | instid1(VALU_DEP_1)
	v_cndmask_b32_e64 v8, v6, 1, s14
	v_cmp_eq_u16_e64 s14, 0, v11
	v_dual_cndmask_b32 v10, 0, v5, s14 :: v_dual_bitop2_b32 v9, 1, v10 bitop3:0x40
	s_wait_dscnt 0x1
	s_delay_alu instid0(VALU_DEP_1) | instskip(SKIP_2) | instid1(VALU_DEP_2)
	v_add_nc_u32_e32 v2, v10, v2
	v_cmp_eq_u32_e64 s14, 1, v7
	v_and_b32_e32 v10, 1, v12
	v_cndmask_b32_e64 v7, v8, 1, s14
	v_cmp_eq_u32_e64 s14, 1, v9
	s_delay_alu instid0(VALU_DEP_1) | instskip(SKIP_1) | instid1(VALU_DEP_1)
	v_cndmask_b32_e64 v9, v7, 1, s14
	v_cmp_eq_u16_e64 s14, 0, v12
	v_dual_cndmask_b32 v12, 0, v2, s14 :: v_dual_bitop2_b32 v11, 1, v11 bitop3:0x40
	s_delay_alu instid0(VALU_DEP_1) | instskip(NEXT) | instid1(VALU_DEP_2)
	v_cmp_eq_u32_e64 s14, 1, v11
	v_add_nc_u32_e32 v3, v12, v3
	s_delay_alu instid0(VALU_DEP_2)
	v_cndmask_b32_e64 v11, v9, 1, s14
	v_cmp_eq_u32_e64 s14, 1, v10
	ds_store_2addr_b32 v1, v4, v5 offset0:6 offset1:8
	ds_store_2addr_b32 v1, v2, v3 offset0:10 offset1:12
	v_cndmask_b32_e64 v10, v11, 1, s14
	v_cmp_eq_u16_e64 s14, 0, v14
	s_delay_alu instid0(VALU_DEP_1) | instskip(NEXT) | instid1(VALU_DEP_1)
	v_dual_cndmask_b32 v12, 0, v3, s14 :: v_dual_bitop2_b32 v17, 1, v14 bitop3:0x40
	v_cmp_eq_u32_e64 s14, 1, v17
	s_delay_alu instid0(VALU_DEP_2) | instskip(NEXT) | instid1(VALU_DEP_2)
	v_add_nc_u32_e32 v2, v12, v13
	v_cndmask_b32_e64 v14, v10, 1, s14
	ds_store_b8 v1, v6 offset:12
	ds_store_b8 v1, v8 offset:20
	;; [unrolled: 1-line block ×6, first 2 shown]
	ds_store_b32 v1, v2 offset:56
	ds_store_b8 v1, v14 offset:60
.LBB1032_194:
	s_or_b32 exec_lo, exec_lo, s15
	v_mov_b32_e32 v2, v20
	s_wait_dscnt 0x0
	s_barrier_signal -1
	s_barrier_wait -1
	s_and_saveexec_b32 s14, s3
	s_cbranch_execz .LBB1032_196
; %bb.195:
	v_add_nc_u32_e32 v1, -1, v0
	s_delay_alu instid0(VALU_DEP_1) | instskip(NEXT) | instid1(VALU_DEP_1)
	v_lshrrev_b32_e32 v2, 2, v1
	v_and_b32_e32 v2, 0x3ffffff8, v2
	s_delay_alu instid0(VALU_DEP_1) | instskip(SKIP_4) | instid1(VALU_DEP_1)
	v_lshl_add_u32 v1, v1, 3, v2
	ds_load_u8 v2, v1 offset:4
	ds_load_b32 v1, v1
	s_wait_dscnt 0x1
	v_cmp_eq_u16_e64 s3, 0, v2
	v_cndmask_b32_e64 v2, 0, v20, s3
	s_wait_dscnt 0x0
	s_delay_alu instid0(VALU_DEP_1)
	v_add_nc_u32_e32 v2, v2, v1
.LBB1032_196:
	s_or_b32 exec_lo, exec_lo, s14
	v_and_b32_e32 v9, 0xff, v31
	v_mov_b32_e32 v8, 0
	s_delay_alu instid0(VALU_DEP_1) | instskip(NEXT) | instid1(VALU_DEP_1)
	v_cmp_eq_u64_e64 s3, 0, v[8:9]
	v_cndmask_b32_e64 v1, 0, v2, s3
	s_delay_alu instid0(VALU_DEP_1) | instskip(NEXT) | instid1(VALU_DEP_1)
	v_add_nc_u32_e32 v3, v1, v30
	v_cndmask_b32_e32 v1, 0, v3, vcc_lo
	s_delay_alu instid0(VALU_DEP_1) | instskip(NEXT) | instid1(VALU_DEP_1)
	v_add_nc_u32_e32 v4, v1, v56
	v_cndmask_b32_e64 v1, 0, v4, s1
	s_delay_alu instid0(VALU_DEP_1) | instskip(NEXT) | instid1(VALU_DEP_1)
	v_add_nc_u32_e32 v5, v1, v54
	v_cndmask_b32_e64 v1, 0, v5, s4
	;; [unrolled: 3-line block ×11, first 2 shown]
	s_delay_alu instid0(VALU_DEP_1)
	v_add_nc_u32_e32 v17, v1, v34
	s_and_saveexec_b32 s1, s2
	s_cbranch_execz .LBB1032_198
; %bb.197:
	ds_load_u8 v1, v8 offset:2100
	ds_load_b32 v9, v8 offset:2096
	v_mov_b32_e32 v19, v8
	s_add_nc_u64 s[2:3], s[20:21], 0x200
	v_mov_b32_e32 v21, v8
	s_wait_dscnt 0x1
	v_and_b32_e32 v18, 0xffff, v1
	s_delay_alu instid0(VALU_DEP_1) | instskip(SKIP_2) | instid1(VALU_DEP_1)
	v_cmp_eq_u64_e32 vcc_lo, 0, v[18:19]
	v_dual_cndmask_b32 v1, 0, v20 :: v_dual_mov_b32 v20, 2
	s_wait_dscnt 0x0
	v_dual_mov_b32 v19, v18 :: v_dual_add_nc_u32 v18, v1, v9
	v_mov_b64_e32 v[8:9], s[2:3]
	;;#ASMSTART
	global_store_b128 v[8:9], v[18:21] off scope:SCOPE_DEV	
s_wait_storecnt 0x0
	;;#ASMEND
.LBB1032_198:
	s_or_b32 exec_lo, exec_lo, s1
	s_add_nc_u64 s[2:3], s[18:19], s[28:29]
	s_and_b32 vcc_lo, exec_lo, s0
	s_add_nc_u64 s[0:1], s[2:3], s[24:25]
	s_cbranch_vccnz .LBB1032_130
.LBB1032_199:
	s_mov_b32 s2, 0
                                        ; implicit-def: $vgpr9
	s_cbranch_execz .LBB1032_201
; %bb.200:
	v_mul_u32_u24_e32 v1, 56, v0
	v_mul_i32_i24_e32 v8, 0xffffffcc, v0
	s_wait_storecnt_dscnt 0x0
	s_barrier_signal -1
	s_barrier_wait -1
	ds_store_2addr_b64 v1, v[2:3], v[4:5] offset1:1
	ds_store_2addr_b64 v1, v[6:7], v[10:11] offset0:2 offset1:3
	ds_store_2addr_b64 v1, v[14:15], v[12:13] offset0:4 offset1:5
	ds_store_b64 v1, v[16:17] offset:48
	v_mad_u32_u24 v1, v0, 56, v8
	s_wait_dscnt 0x0
	s_barrier_signal -1
	s_barrier_wait -1
	ds_load_2addr_stride64_b32 v[2:3], v1 offset1:4
	ds_load_2addr_stride64_b32 v[4:5], v1 offset0:8 offset1:12
	ds_load_2addr_stride64_b32 v[6:7], v1 offset0:16 offset1:20
	;; [unrolled: 1-line block ×6, first 2 shown]
	s_or_b32 s2, s2, exec_lo
	s_wait_dscnt 0x6
	v_dual_mov_b32 v16, v2 :: v_dual_ashrrev_i32 v17, 31, v2
	v_dual_mov_b32 v18, v3 :: v_dual_ashrrev_i32 v19, 31, v3
	s_wait_dscnt 0x5
	v_dual_mov_b32 v2, v4 :: v_dual_ashrrev_i32 v3, 31, v4
	v_dual_mov_b32 v20, v5 :: v_dual_ashrrev_i32 v21, 31, v5
	s_wait_dscnt 0x4
	v_dual_mov_b32 v4, v6 :: v_dual_ashrrev_i32 v5, 31, v6
	v_dual_mov_b32 v22, v7 :: v_dual_ashrrev_i32 v23, 31, v7
	s_wait_dscnt 0x3
	v_dual_mov_b32 v6, v10 :: v_dual_ashrrev_i32 v7, 31, v10
	v_dual_mov_b32 v24, v11 :: v_dual_ashrrev_i32 v25, 31, v11
	s_wait_dscnt 0x2
	v_dual_mov_b32 v10, v12 :: v_dual_ashrrev_i32 v11, 31, v12
	v_dual_mov_b32 v26, v13 :: v_dual_ashrrev_i32 v27, 31, v13
	s_wait_dscnt 0x1
	v_dual_mov_b32 v12, v14 :: v_dual_ashrrev_i32 v13, 31, v14
	v_dual_mov_b32 v28, v15 :: v_dual_ashrrev_i32 v29, 31, v15
	s_wait_dscnt 0x0
	v_dual_mov_b32 v14, v8 :: v_dual_ashrrev_i32 v15, 31, v8
	s_clause 0xc
	flat_store_b64 v0, v[16:17], s[0:1] scale_offset
	flat_store_b64 v0, v[18:19], s[0:1] offset:2048 scale_offset
	flat_store_b64 v0, v[2:3], s[0:1] offset:4096 scale_offset
	;; [unrolled: 1-line block ×12, first 2 shown]
.LBB1032_201:
	s_wait_xcnt 0x0
	s_delay_alu instid0(VALU_DEP_1)
	s_and_saveexec_b32 s3, s2
	s_cbranch_execz .LBB1032_203
; %bb.202:
	s_wait_dscnt 0x0
	v_dual_mov_b32 v2, v9 :: v_dual_ashrrev_i32 v3, 31, v9
	flat_store_b64 v0, v[2:3], s[0:1] offset:26624 scale_offset
	s_sendmsg sendmsg(MSG_DEALLOC_VGPRS)
	s_endpgm
.LBB1032_203:
	s_sendmsg sendmsg(MSG_DEALLOC_VGPRS)
	s_endpgm
	.section	.rodata,"a",@progbits
	.p2align	6, 0x0
	.amdhsa_kernel _ZN7rocprim17ROCPRIM_400000_NS6detail17trampoline_kernelINS0_14default_configENS1_27scan_by_key_config_selectorIxiEEZZNS1_16scan_by_key_implILNS1_25lookback_scan_determinismE0ELb1ES3_N6thrust23THRUST_200600_302600_NS6detail15normal_iteratorINS9_10device_ptrIxEEEESE_SE_iNS9_4plusIvEENS9_8equal_toIvEEiEE10hipError_tPvRmT2_T3_T4_T5_mT6_T7_P12ihipStream_tbENKUlT_T0_E_clISt17integral_constantIbLb0EESY_IbLb1EEEEDaSU_SV_EUlSU_E_NS1_11comp_targetILNS1_3genE0ELNS1_11target_archE4294967295ELNS1_3gpuE0ELNS1_3repE0EEENS1_30default_config_static_selectorELNS0_4arch9wavefront6targetE0EEEvT1_
		.amdhsa_group_segment_fixed_size 32768
		.amdhsa_private_segment_fixed_size 0
		.amdhsa_kernarg_size 112
		.amdhsa_user_sgpr_count 2
		.amdhsa_user_sgpr_dispatch_ptr 0
		.amdhsa_user_sgpr_queue_ptr 0
		.amdhsa_user_sgpr_kernarg_segment_ptr 1
		.amdhsa_user_sgpr_dispatch_id 0
		.amdhsa_user_sgpr_kernarg_preload_length 0
		.amdhsa_user_sgpr_kernarg_preload_offset 0
		.amdhsa_user_sgpr_private_segment_size 0
		.amdhsa_wavefront_size32 1
		.amdhsa_uses_dynamic_stack 0
		.amdhsa_enable_private_segment 0
		.amdhsa_system_sgpr_workgroup_id_x 1
		.amdhsa_system_sgpr_workgroup_id_y 0
		.amdhsa_system_sgpr_workgroup_id_z 0
		.amdhsa_system_sgpr_workgroup_info 0
		.amdhsa_system_vgpr_workitem_id 0
		.amdhsa_next_free_vgpr 84
		.amdhsa_next_free_sgpr 41
		.amdhsa_named_barrier_count 0
		.amdhsa_reserve_vcc 1
		.amdhsa_float_round_mode_32 0
		.amdhsa_float_round_mode_16_64 0
		.amdhsa_float_denorm_mode_32 3
		.amdhsa_float_denorm_mode_16_64 3
		.amdhsa_fp16_overflow 0
		.amdhsa_memory_ordered 1
		.amdhsa_forward_progress 1
		.amdhsa_inst_pref_size 106
		.amdhsa_round_robin_scheduling 0
		.amdhsa_exception_fp_ieee_invalid_op 0
		.amdhsa_exception_fp_denorm_src 0
		.amdhsa_exception_fp_ieee_div_zero 0
		.amdhsa_exception_fp_ieee_overflow 0
		.amdhsa_exception_fp_ieee_underflow 0
		.amdhsa_exception_fp_ieee_inexact 0
		.amdhsa_exception_int_div_zero 0
	.end_amdhsa_kernel
	.section	.text._ZN7rocprim17ROCPRIM_400000_NS6detail17trampoline_kernelINS0_14default_configENS1_27scan_by_key_config_selectorIxiEEZZNS1_16scan_by_key_implILNS1_25lookback_scan_determinismE0ELb1ES3_N6thrust23THRUST_200600_302600_NS6detail15normal_iteratorINS9_10device_ptrIxEEEESE_SE_iNS9_4plusIvEENS9_8equal_toIvEEiEE10hipError_tPvRmT2_T3_T4_T5_mT6_T7_P12ihipStream_tbENKUlT_T0_E_clISt17integral_constantIbLb0EESY_IbLb1EEEEDaSU_SV_EUlSU_E_NS1_11comp_targetILNS1_3genE0ELNS1_11target_archE4294967295ELNS1_3gpuE0ELNS1_3repE0EEENS1_30default_config_static_selectorELNS0_4arch9wavefront6targetE0EEEvT1_,"axG",@progbits,_ZN7rocprim17ROCPRIM_400000_NS6detail17trampoline_kernelINS0_14default_configENS1_27scan_by_key_config_selectorIxiEEZZNS1_16scan_by_key_implILNS1_25lookback_scan_determinismE0ELb1ES3_N6thrust23THRUST_200600_302600_NS6detail15normal_iteratorINS9_10device_ptrIxEEEESE_SE_iNS9_4plusIvEENS9_8equal_toIvEEiEE10hipError_tPvRmT2_T3_T4_T5_mT6_T7_P12ihipStream_tbENKUlT_T0_E_clISt17integral_constantIbLb0EESY_IbLb1EEEEDaSU_SV_EUlSU_E_NS1_11comp_targetILNS1_3genE0ELNS1_11target_archE4294967295ELNS1_3gpuE0ELNS1_3repE0EEENS1_30default_config_static_selectorELNS0_4arch9wavefront6targetE0EEEvT1_,comdat
.Lfunc_end1032:
	.size	_ZN7rocprim17ROCPRIM_400000_NS6detail17trampoline_kernelINS0_14default_configENS1_27scan_by_key_config_selectorIxiEEZZNS1_16scan_by_key_implILNS1_25lookback_scan_determinismE0ELb1ES3_N6thrust23THRUST_200600_302600_NS6detail15normal_iteratorINS9_10device_ptrIxEEEESE_SE_iNS9_4plusIvEENS9_8equal_toIvEEiEE10hipError_tPvRmT2_T3_T4_T5_mT6_T7_P12ihipStream_tbENKUlT_T0_E_clISt17integral_constantIbLb0EESY_IbLb1EEEEDaSU_SV_EUlSU_E_NS1_11comp_targetILNS1_3genE0ELNS1_11target_archE4294967295ELNS1_3gpuE0ELNS1_3repE0EEENS1_30default_config_static_selectorELNS0_4arch9wavefront6targetE0EEEvT1_, .Lfunc_end1032-_ZN7rocprim17ROCPRIM_400000_NS6detail17trampoline_kernelINS0_14default_configENS1_27scan_by_key_config_selectorIxiEEZZNS1_16scan_by_key_implILNS1_25lookback_scan_determinismE0ELb1ES3_N6thrust23THRUST_200600_302600_NS6detail15normal_iteratorINS9_10device_ptrIxEEEESE_SE_iNS9_4plusIvEENS9_8equal_toIvEEiEE10hipError_tPvRmT2_T3_T4_T5_mT6_T7_P12ihipStream_tbENKUlT_T0_E_clISt17integral_constantIbLb0EESY_IbLb1EEEEDaSU_SV_EUlSU_E_NS1_11comp_targetILNS1_3genE0ELNS1_11target_archE4294967295ELNS1_3gpuE0ELNS1_3repE0EEENS1_30default_config_static_selectorELNS0_4arch9wavefront6targetE0EEEvT1_
                                        ; -- End function
	.set _ZN7rocprim17ROCPRIM_400000_NS6detail17trampoline_kernelINS0_14default_configENS1_27scan_by_key_config_selectorIxiEEZZNS1_16scan_by_key_implILNS1_25lookback_scan_determinismE0ELb1ES3_N6thrust23THRUST_200600_302600_NS6detail15normal_iteratorINS9_10device_ptrIxEEEESE_SE_iNS9_4plusIvEENS9_8equal_toIvEEiEE10hipError_tPvRmT2_T3_T4_T5_mT6_T7_P12ihipStream_tbENKUlT_T0_E_clISt17integral_constantIbLb0EESY_IbLb1EEEEDaSU_SV_EUlSU_E_NS1_11comp_targetILNS1_3genE0ELNS1_11target_archE4294967295ELNS1_3gpuE0ELNS1_3repE0EEENS1_30default_config_static_selectorELNS0_4arch9wavefront6targetE0EEEvT1_.num_vgpr, 84
	.set _ZN7rocprim17ROCPRIM_400000_NS6detail17trampoline_kernelINS0_14default_configENS1_27scan_by_key_config_selectorIxiEEZZNS1_16scan_by_key_implILNS1_25lookback_scan_determinismE0ELb1ES3_N6thrust23THRUST_200600_302600_NS6detail15normal_iteratorINS9_10device_ptrIxEEEESE_SE_iNS9_4plusIvEENS9_8equal_toIvEEiEE10hipError_tPvRmT2_T3_T4_T5_mT6_T7_P12ihipStream_tbENKUlT_T0_E_clISt17integral_constantIbLb0EESY_IbLb1EEEEDaSU_SV_EUlSU_E_NS1_11comp_targetILNS1_3genE0ELNS1_11target_archE4294967295ELNS1_3gpuE0ELNS1_3repE0EEENS1_30default_config_static_selectorELNS0_4arch9wavefront6targetE0EEEvT1_.num_agpr, 0
	.set _ZN7rocprim17ROCPRIM_400000_NS6detail17trampoline_kernelINS0_14default_configENS1_27scan_by_key_config_selectorIxiEEZZNS1_16scan_by_key_implILNS1_25lookback_scan_determinismE0ELb1ES3_N6thrust23THRUST_200600_302600_NS6detail15normal_iteratorINS9_10device_ptrIxEEEESE_SE_iNS9_4plusIvEENS9_8equal_toIvEEiEE10hipError_tPvRmT2_T3_T4_T5_mT6_T7_P12ihipStream_tbENKUlT_T0_E_clISt17integral_constantIbLb0EESY_IbLb1EEEEDaSU_SV_EUlSU_E_NS1_11comp_targetILNS1_3genE0ELNS1_11target_archE4294967295ELNS1_3gpuE0ELNS1_3repE0EEENS1_30default_config_static_selectorELNS0_4arch9wavefront6targetE0EEEvT1_.numbered_sgpr, 41
	.set _ZN7rocprim17ROCPRIM_400000_NS6detail17trampoline_kernelINS0_14default_configENS1_27scan_by_key_config_selectorIxiEEZZNS1_16scan_by_key_implILNS1_25lookback_scan_determinismE0ELb1ES3_N6thrust23THRUST_200600_302600_NS6detail15normal_iteratorINS9_10device_ptrIxEEEESE_SE_iNS9_4plusIvEENS9_8equal_toIvEEiEE10hipError_tPvRmT2_T3_T4_T5_mT6_T7_P12ihipStream_tbENKUlT_T0_E_clISt17integral_constantIbLb0EESY_IbLb1EEEEDaSU_SV_EUlSU_E_NS1_11comp_targetILNS1_3genE0ELNS1_11target_archE4294967295ELNS1_3gpuE0ELNS1_3repE0EEENS1_30default_config_static_selectorELNS0_4arch9wavefront6targetE0EEEvT1_.num_named_barrier, 0
	.set _ZN7rocprim17ROCPRIM_400000_NS6detail17trampoline_kernelINS0_14default_configENS1_27scan_by_key_config_selectorIxiEEZZNS1_16scan_by_key_implILNS1_25lookback_scan_determinismE0ELb1ES3_N6thrust23THRUST_200600_302600_NS6detail15normal_iteratorINS9_10device_ptrIxEEEESE_SE_iNS9_4plusIvEENS9_8equal_toIvEEiEE10hipError_tPvRmT2_T3_T4_T5_mT6_T7_P12ihipStream_tbENKUlT_T0_E_clISt17integral_constantIbLb0EESY_IbLb1EEEEDaSU_SV_EUlSU_E_NS1_11comp_targetILNS1_3genE0ELNS1_11target_archE4294967295ELNS1_3gpuE0ELNS1_3repE0EEENS1_30default_config_static_selectorELNS0_4arch9wavefront6targetE0EEEvT1_.private_seg_size, 0
	.set _ZN7rocprim17ROCPRIM_400000_NS6detail17trampoline_kernelINS0_14default_configENS1_27scan_by_key_config_selectorIxiEEZZNS1_16scan_by_key_implILNS1_25lookback_scan_determinismE0ELb1ES3_N6thrust23THRUST_200600_302600_NS6detail15normal_iteratorINS9_10device_ptrIxEEEESE_SE_iNS9_4plusIvEENS9_8equal_toIvEEiEE10hipError_tPvRmT2_T3_T4_T5_mT6_T7_P12ihipStream_tbENKUlT_T0_E_clISt17integral_constantIbLb0EESY_IbLb1EEEEDaSU_SV_EUlSU_E_NS1_11comp_targetILNS1_3genE0ELNS1_11target_archE4294967295ELNS1_3gpuE0ELNS1_3repE0EEENS1_30default_config_static_selectorELNS0_4arch9wavefront6targetE0EEEvT1_.uses_vcc, 1
	.set _ZN7rocprim17ROCPRIM_400000_NS6detail17trampoline_kernelINS0_14default_configENS1_27scan_by_key_config_selectorIxiEEZZNS1_16scan_by_key_implILNS1_25lookback_scan_determinismE0ELb1ES3_N6thrust23THRUST_200600_302600_NS6detail15normal_iteratorINS9_10device_ptrIxEEEESE_SE_iNS9_4plusIvEENS9_8equal_toIvEEiEE10hipError_tPvRmT2_T3_T4_T5_mT6_T7_P12ihipStream_tbENKUlT_T0_E_clISt17integral_constantIbLb0EESY_IbLb1EEEEDaSU_SV_EUlSU_E_NS1_11comp_targetILNS1_3genE0ELNS1_11target_archE4294967295ELNS1_3gpuE0ELNS1_3repE0EEENS1_30default_config_static_selectorELNS0_4arch9wavefront6targetE0EEEvT1_.uses_flat_scratch, 1
	.set _ZN7rocprim17ROCPRIM_400000_NS6detail17trampoline_kernelINS0_14default_configENS1_27scan_by_key_config_selectorIxiEEZZNS1_16scan_by_key_implILNS1_25lookback_scan_determinismE0ELb1ES3_N6thrust23THRUST_200600_302600_NS6detail15normal_iteratorINS9_10device_ptrIxEEEESE_SE_iNS9_4plusIvEENS9_8equal_toIvEEiEE10hipError_tPvRmT2_T3_T4_T5_mT6_T7_P12ihipStream_tbENKUlT_T0_E_clISt17integral_constantIbLb0EESY_IbLb1EEEEDaSU_SV_EUlSU_E_NS1_11comp_targetILNS1_3genE0ELNS1_11target_archE4294967295ELNS1_3gpuE0ELNS1_3repE0EEENS1_30default_config_static_selectorELNS0_4arch9wavefront6targetE0EEEvT1_.has_dyn_sized_stack, 0
	.set _ZN7rocprim17ROCPRIM_400000_NS6detail17trampoline_kernelINS0_14default_configENS1_27scan_by_key_config_selectorIxiEEZZNS1_16scan_by_key_implILNS1_25lookback_scan_determinismE0ELb1ES3_N6thrust23THRUST_200600_302600_NS6detail15normal_iteratorINS9_10device_ptrIxEEEESE_SE_iNS9_4plusIvEENS9_8equal_toIvEEiEE10hipError_tPvRmT2_T3_T4_T5_mT6_T7_P12ihipStream_tbENKUlT_T0_E_clISt17integral_constantIbLb0EESY_IbLb1EEEEDaSU_SV_EUlSU_E_NS1_11comp_targetILNS1_3genE0ELNS1_11target_archE4294967295ELNS1_3gpuE0ELNS1_3repE0EEENS1_30default_config_static_selectorELNS0_4arch9wavefront6targetE0EEEvT1_.has_recursion, 0
	.set _ZN7rocprim17ROCPRIM_400000_NS6detail17trampoline_kernelINS0_14default_configENS1_27scan_by_key_config_selectorIxiEEZZNS1_16scan_by_key_implILNS1_25lookback_scan_determinismE0ELb1ES3_N6thrust23THRUST_200600_302600_NS6detail15normal_iteratorINS9_10device_ptrIxEEEESE_SE_iNS9_4plusIvEENS9_8equal_toIvEEiEE10hipError_tPvRmT2_T3_T4_T5_mT6_T7_P12ihipStream_tbENKUlT_T0_E_clISt17integral_constantIbLb0EESY_IbLb1EEEEDaSU_SV_EUlSU_E_NS1_11comp_targetILNS1_3genE0ELNS1_11target_archE4294967295ELNS1_3gpuE0ELNS1_3repE0EEENS1_30default_config_static_selectorELNS0_4arch9wavefront6targetE0EEEvT1_.has_indirect_call, 0
	.section	.AMDGPU.csdata,"",@progbits
; Kernel info:
; codeLenInByte = 13504
; TotalNumSgprs: 43
; NumVgprs: 84
; ScratchSize: 0
; MemoryBound: 0
; FloatMode: 240
; IeeeMode: 1
; LDSByteSize: 32768 bytes/workgroup (compile time only)
; SGPRBlocks: 0
; VGPRBlocks: 5
; NumSGPRsForWavesPerEU: 43
; NumVGPRsForWavesPerEU: 84
; NamedBarCnt: 0
; Occupancy: 10
; WaveLimiterHint : 1
; COMPUTE_PGM_RSRC2:SCRATCH_EN: 0
; COMPUTE_PGM_RSRC2:USER_SGPR: 2
; COMPUTE_PGM_RSRC2:TRAP_HANDLER: 0
; COMPUTE_PGM_RSRC2:TGID_X_EN: 1
; COMPUTE_PGM_RSRC2:TGID_Y_EN: 0
; COMPUTE_PGM_RSRC2:TGID_Z_EN: 0
; COMPUTE_PGM_RSRC2:TIDIG_COMP_CNT: 0
	.section	.text._ZN7rocprim17ROCPRIM_400000_NS6detail17trampoline_kernelINS0_14default_configENS1_27scan_by_key_config_selectorIxiEEZZNS1_16scan_by_key_implILNS1_25lookback_scan_determinismE0ELb1ES3_N6thrust23THRUST_200600_302600_NS6detail15normal_iteratorINS9_10device_ptrIxEEEESE_SE_iNS9_4plusIvEENS9_8equal_toIvEEiEE10hipError_tPvRmT2_T3_T4_T5_mT6_T7_P12ihipStream_tbENKUlT_T0_E_clISt17integral_constantIbLb0EESY_IbLb1EEEEDaSU_SV_EUlSU_E_NS1_11comp_targetILNS1_3genE10ELNS1_11target_archE1201ELNS1_3gpuE5ELNS1_3repE0EEENS1_30default_config_static_selectorELNS0_4arch9wavefront6targetE0EEEvT1_,"axG",@progbits,_ZN7rocprim17ROCPRIM_400000_NS6detail17trampoline_kernelINS0_14default_configENS1_27scan_by_key_config_selectorIxiEEZZNS1_16scan_by_key_implILNS1_25lookback_scan_determinismE0ELb1ES3_N6thrust23THRUST_200600_302600_NS6detail15normal_iteratorINS9_10device_ptrIxEEEESE_SE_iNS9_4plusIvEENS9_8equal_toIvEEiEE10hipError_tPvRmT2_T3_T4_T5_mT6_T7_P12ihipStream_tbENKUlT_T0_E_clISt17integral_constantIbLb0EESY_IbLb1EEEEDaSU_SV_EUlSU_E_NS1_11comp_targetILNS1_3genE10ELNS1_11target_archE1201ELNS1_3gpuE5ELNS1_3repE0EEENS1_30default_config_static_selectorELNS0_4arch9wavefront6targetE0EEEvT1_,comdat
	.protected	_ZN7rocprim17ROCPRIM_400000_NS6detail17trampoline_kernelINS0_14default_configENS1_27scan_by_key_config_selectorIxiEEZZNS1_16scan_by_key_implILNS1_25lookback_scan_determinismE0ELb1ES3_N6thrust23THRUST_200600_302600_NS6detail15normal_iteratorINS9_10device_ptrIxEEEESE_SE_iNS9_4plusIvEENS9_8equal_toIvEEiEE10hipError_tPvRmT2_T3_T4_T5_mT6_T7_P12ihipStream_tbENKUlT_T0_E_clISt17integral_constantIbLb0EESY_IbLb1EEEEDaSU_SV_EUlSU_E_NS1_11comp_targetILNS1_3genE10ELNS1_11target_archE1201ELNS1_3gpuE5ELNS1_3repE0EEENS1_30default_config_static_selectorELNS0_4arch9wavefront6targetE0EEEvT1_ ; -- Begin function _ZN7rocprim17ROCPRIM_400000_NS6detail17trampoline_kernelINS0_14default_configENS1_27scan_by_key_config_selectorIxiEEZZNS1_16scan_by_key_implILNS1_25lookback_scan_determinismE0ELb1ES3_N6thrust23THRUST_200600_302600_NS6detail15normal_iteratorINS9_10device_ptrIxEEEESE_SE_iNS9_4plusIvEENS9_8equal_toIvEEiEE10hipError_tPvRmT2_T3_T4_T5_mT6_T7_P12ihipStream_tbENKUlT_T0_E_clISt17integral_constantIbLb0EESY_IbLb1EEEEDaSU_SV_EUlSU_E_NS1_11comp_targetILNS1_3genE10ELNS1_11target_archE1201ELNS1_3gpuE5ELNS1_3repE0EEENS1_30default_config_static_selectorELNS0_4arch9wavefront6targetE0EEEvT1_
	.globl	_ZN7rocprim17ROCPRIM_400000_NS6detail17trampoline_kernelINS0_14default_configENS1_27scan_by_key_config_selectorIxiEEZZNS1_16scan_by_key_implILNS1_25lookback_scan_determinismE0ELb1ES3_N6thrust23THRUST_200600_302600_NS6detail15normal_iteratorINS9_10device_ptrIxEEEESE_SE_iNS9_4plusIvEENS9_8equal_toIvEEiEE10hipError_tPvRmT2_T3_T4_T5_mT6_T7_P12ihipStream_tbENKUlT_T0_E_clISt17integral_constantIbLb0EESY_IbLb1EEEEDaSU_SV_EUlSU_E_NS1_11comp_targetILNS1_3genE10ELNS1_11target_archE1201ELNS1_3gpuE5ELNS1_3repE0EEENS1_30default_config_static_selectorELNS0_4arch9wavefront6targetE0EEEvT1_
	.p2align	8
	.type	_ZN7rocprim17ROCPRIM_400000_NS6detail17trampoline_kernelINS0_14default_configENS1_27scan_by_key_config_selectorIxiEEZZNS1_16scan_by_key_implILNS1_25lookback_scan_determinismE0ELb1ES3_N6thrust23THRUST_200600_302600_NS6detail15normal_iteratorINS9_10device_ptrIxEEEESE_SE_iNS9_4plusIvEENS9_8equal_toIvEEiEE10hipError_tPvRmT2_T3_T4_T5_mT6_T7_P12ihipStream_tbENKUlT_T0_E_clISt17integral_constantIbLb0EESY_IbLb1EEEEDaSU_SV_EUlSU_E_NS1_11comp_targetILNS1_3genE10ELNS1_11target_archE1201ELNS1_3gpuE5ELNS1_3repE0EEENS1_30default_config_static_selectorELNS0_4arch9wavefront6targetE0EEEvT1_,@function
_ZN7rocprim17ROCPRIM_400000_NS6detail17trampoline_kernelINS0_14default_configENS1_27scan_by_key_config_selectorIxiEEZZNS1_16scan_by_key_implILNS1_25lookback_scan_determinismE0ELb1ES3_N6thrust23THRUST_200600_302600_NS6detail15normal_iteratorINS9_10device_ptrIxEEEESE_SE_iNS9_4plusIvEENS9_8equal_toIvEEiEE10hipError_tPvRmT2_T3_T4_T5_mT6_T7_P12ihipStream_tbENKUlT_T0_E_clISt17integral_constantIbLb0EESY_IbLb1EEEEDaSU_SV_EUlSU_E_NS1_11comp_targetILNS1_3genE10ELNS1_11target_archE1201ELNS1_3gpuE5ELNS1_3repE0EEENS1_30default_config_static_selectorELNS0_4arch9wavefront6targetE0EEEvT1_: ; @_ZN7rocprim17ROCPRIM_400000_NS6detail17trampoline_kernelINS0_14default_configENS1_27scan_by_key_config_selectorIxiEEZZNS1_16scan_by_key_implILNS1_25lookback_scan_determinismE0ELb1ES3_N6thrust23THRUST_200600_302600_NS6detail15normal_iteratorINS9_10device_ptrIxEEEESE_SE_iNS9_4plusIvEENS9_8equal_toIvEEiEE10hipError_tPvRmT2_T3_T4_T5_mT6_T7_P12ihipStream_tbENKUlT_T0_E_clISt17integral_constantIbLb0EESY_IbLb1EEEEDaSU_SV_EUlSU_E_NS1_11comp_targetILNS1_3genE10ELNS1_11target_archE1201ELNS1_3gpuE5ELNS1_3repE0EEENS1_30default_config_static_selectorELNS0_4arch9wavefront6targetE0EEEvT1_
; %bb.0:
	.section	.rodata,"a",@progbits
	.p2align	6, 0x0
	.amdhsa_kernel _ZN7rocprim17ROCPRIM_400000_NS6detail17trampoline_kernelINS0_14default_configENS1_27scan_by_key_config_selectorIxiEEZZNS1_16scan_by_key_implILNS1_25lookback_scan_determinismE0ELb1ES3_N6thrust23THRUST_200600_302600_NS6detail15normal_iteratorINS9_10device_ptrIxEEEESE_SE_iNS9_4plusIvEENS9_8equal_toIvEEiEE10hipError_tPvRmT2_T3_T4_T5_mT6_T7_P12ihipStream_tbENKUlT_T0_E_clISt17integral_constantIbLb0EESY_IbLb1EEEEDaSU_SV_EUlSU_E_NS1_11comp_targetILNS1_3genE10ELNS1_11target_archE1201ELNS1_3gpuE5ELNS1_3repE0EEENS1_30default_config_static_selectorELNS0_4arch9wavefront6targetE0EEEvT1_
		.amdhsa_group_segment_fixed_size 0
		.amdhsa_private_segment_fixed_size 0
		.amdhsa_kernarg_size 112
		.amdhsa_user_sgpr_count 2
		.amdhsa_user_sgpr_dispatch_ptr 0
		.amdhsa_user_sgpr_queue_ptr 0
		.amdhsa_user_sgpr_kernarg_segment_ptr 1
		.amdhsa_user_sgpr_dispatch_id 0
		.amdhsa_user_sgpr_kernarg_preload_length 0
		.amdhsa_user_sgpr_kernarg_preload_offset 0
		.amdhsa_user_sgpr_private_segment_size 0
		.amdhsa_wavefront_size32 1
		.amdhsa_uses_dynamic_stack 0
		.amdhsa_enable_private_segment 0
		.amdhsa_system_sgpr_workgroup_id_x 1
		.amdhsa_system_sgpr_workgroup_id_y 0
		.amdhsa_system_sgpr_workgroup_id_z 0
		.amdhsa_system_sgpr_workgroup_info 0
		.amdhsa_system_vgpr_workitem_id 0
		.amdhsa_next_free_vgpr 1
		.amdhsa_next_free_sgpr 1
		.amdhsa_named_barrier_count 0
		.amdhsa_reserve_vcc 0
		.amdhsa_float_round_mode_32 0
		.amdhsa_float_round_mode_16_64 0
		.amdhsa_float_denorm_mode_32 3
		.amdhsa_float_denorm_mode_16_64 3
		.amdhsa_fp16_overflow 0
		.amdhsa_memory_ordered 1
		.amdhsa_forward_progress 1
		.amdhsa_inst_pref_size 0
		.amdhsa_round_robin_scheduling 0
		.amdhsa_exception_fp_ieee_invalid_op 0
		.amdhsa_exception_fp_denorm_src 0
		.amdhsa_exception_fp_ieee_div_zero 0
		.amdhsa_exception_fp_ieee_overflow 0
		.amdhsa_exception_fp_ieee_underflow 0
		.amdhsa_exception_fp_ieee_inexact 0
		.amdhsa_exception_int_div_zero 0
	.end_amdhsa_kernel
	.section	.text._ZN7rocprim17ROCPRIM_400000_NS6detail17trampoline_kernelINS0_14default_configENS1_27scan_by_key_config_selectorIxiEEZZNS1_16scan_by_key_implILNS1_25lookback_scan_determinismE0ELb1ES3_N6thrust23THRUST_200600_302600_NS6detail15normal_iteratorINS9_10device_ptrIxEEEESE_SE_iNS9_4plusIvEENS9_8equal_toIvEEiEE10hipError_tPvRmT2_T3_T4_T5_mT6_T7_P12ihipStream_tbENKUlT_T0_E_clISt17integral_constantIbLb0EESY_IbLb1EEEEDaSU_SV_EUlSU_E_NS1_11comp_targetILNS1_3genE10ELNS1_11target_archE1201ELNS1_3gpuE5ELNS1_3repE0EEENS1_30default_config_static_selectorELNS0_4arch9wavefront6targetE0EEEvT1_,"axG",@progbits,_ZN7rocprim17ROCPRIM_400000_NS6detail17trampoline_kernelINS0_14default_configENS1_27scan_by_key_config_selectorIxiEEZZNS1_16scan_by_key_implILNS1_25lookback_scan_determinismE0ELb1ES3_N6thrust23THRUST_200600_302600_NS6detail15normal_iteratorINS9_10device_ptrIxEEEESE_SE_iNS9_4plusIvEENS9_8equal_toIvEEiEE10hipError_tPvRmT2_T3_T4_T5_mT6_T7_P12ihipStream_tbENKUlT_T0_E_clISt17integral_constantIbLb0EESY_IbLb1EEEEDaSU_SV_EUlSU_E_NS1_11comp_targetILNS1_3genE10ELNS1_11target_archE1201ELNS1_3gpuE5ELNS1_3repE0EEENS1_30default_config_static_selectorELNS0_4arch9wavefront6targetE0EEEvT1_,comdat
.Lfunc_end1033:
	.size	_ZN7rocprim17ROCPRIM_400000_NS6detail17trampoline_kernelINS0_14default_configENS1_27scan_by_key_config_selectorIxiEEZZNS1_16scan_by_key_implILNS1_25lookback_scan_determinismE0ELb1ES3_N6thrust23THRUST_200600_302600_NS6detail15normal_iteratorINS9_10device_ptrIxEEEESE_SE_iNS9_4plusIvEENS9_8equal_toIvEEiEE10hipError_tPvRmT2_T3_T4_T5_mT6_T7_P12ihipStream_tbENKUlT_T0_E_clISt17integral_constantIbLb0EESY_IbLb1EEEEDaSU_SV_EUlSU_E_NS1_11comp_targetILNS1_3genE10ELNS1_11target_archE1201ELNS1_3gpuE5ELNS1_3repE0EEENS1_30default_config_static_selectorELNS0_4arch9wavefront6targetE0EEEvT1_, .Lfunc_end1033-_ZN7rocprim17ROCPRIM_400000_NS6detail17trampoline_kernelINS0_14default_configENS1_27scan_by_key_config_selectorIxiEEZZNS1_16scan_by_key_implILNS1_25lookback_scan_determinismE0ELb1ES3_N6thrust23THRUST_200600_302600_NS6detail15normal_iteratorINS9_10device_ptrIxEEEESE_SE_iNS9_4plusIvEENS9_8equal_toIvEEiEE10hipError_tPvRmT2_T3_T4_T5_mT6_T7_P12ihipStream_tbENKUlT_T0_E_clISt17integral_constantIbLb0EESY_IbLb1EEEEDaSU_SV_EUlSU_E_NS1_11comp_targetILNS1_3genE10ELNS1_11target_archE1201ELNS1_3gpuE5ELNS1_3repE0EEENS1_30default_config_static_selectorELNS0_4arch9wavefront6targetE0EEEvT1_
                                        ; -- End function
	.set _ZN7rocprim17ROCPRIM_400000_NS6detail17trampoline_kernelINS0_14default_configENS1_27scan_by_key_config_selectorIxiEEZZNS1_16scan_by_key_implILNS1_25lookback_scan_determinismE0ELb1ES3_N6thrust23THRUST_200600_302600_NS6detail15normal_iteratorINS9_10device_ptrIxEEEESE_SE_iNS9_4plusIvEENS9_8equal_toIvEEiEE10hipError_tPvRmT2_T3_T4_T5_mT6_T7_P12ihipStream_tbENKUlT_T0_E_clISt17integral_constantIbLb0EESY_IbLb1EEEEDaSU_SV_EUlSU_E_NS1_11comp_targetILNS1_3genE10ELNS1_11target_archE1201ELNS1_3gpuE5ELNS1_3repE0EEENS1_30default_config_static_selectorELNS0_4arch9wavefront6targetE0EEEvT1_.num_vgpr, 0
	.set _ZN7rocprim17ROCPRIM_400000_NS6detail17trampoline_kernelINS0_14default_configENS1_27scan_by_key_config_selectorIxiEEZZNS1_16scan_by_key_implILNS1_25lookback_scan_determinismE0ELb1ES3_N6thrust23THRUST_200600_302600_NS6detail15normal_iteratorINS9_10device_ptrIxEEEESE_SE_iNS9_4plusIvEENS9_8equal_toIvEEiEE10hipError_tPvRmT2_T3_T4_T5_mT6_T7_P12ihipStream_tbENKUlT_T0_E_clISt17integral_constantIbLb0EESY_IbLb1EEEEDaSU_SV_EUlSU_E_NS1_11comp_targetILNS1_3genE10ELNS1_11target_archE1201ELNS1_3gpuE5ELNS1_3repE0EEENS1_30default_config_static_selectorELNS0_4arch9wavefront6targetE0EEEvT1_.num_agpr, 0
	.set _ZN7rocprim17ROCPRIM_400000_NS6detail17trampoline_kernelINS0_14default_configENS1_27scan_by_key_config_selectorIxiEEZZNS1_16scan_by_key_implILNS1_25lookback_scan_determinismE0ELb1ES3_N6thrust23THRUST_200600_302600_NS6detail15normal_iteratorINS9_10device_ptrIxEEEESE_SE_iNS9_4plusIvEENS9_8equal_toIvEEiEE10hipError_tPvRmT2_T3_T4_T5_mT6_T7_P12ihipStream_tbENKUlT_T0_E_clISt17integral_constantIbLb0EESY_IbLb1EEEEDaSU_SV_EUlSU_E_NS1_11comp_targetILNS1_3genE10ELNS1_11target_archE1201ELNS1_3gpuE5ELNS1_3repE0EEENS1_30default_config_static_selectorELNS0_4arch9wavefront6targetE0EEEvT1_.numbered_sgpr, 0
	.set _ZN7rocprim17ROCPRIM_400000_NS6detail17trampoline_kernelINS0_14default_configENS1_27scan_by_key_config_selectorIxiEEZZNS1_16scan_by_key_implILNS1_25lookback_scan_determinismE0ELb1ES3_N6thrust23THRUST_200600_302600_NS6detail15normal_iteratorINS9_10device_ptrIxEEEESE_SE_iNS9_4plusIvEENS9_8equal_toIvEEiEE10hipError_tPvRmT2_T3_T4_T5_mT6_T7_P12ihipStream_tbENKUlT_T0_E_clISt17integral_constantIbLb0EESY_IbLb1EEEEDaSU_SV_EUlSU_E_NS1_11comp_targetILNS1_3genE10ELNS1_11target_archE1201ELNS1_3gpuE5ELNS1_3repE0EEENS1_30default_config_static_selectorELNS0_4arch9wavefront6targetE0EEEvT1_.num_named_barrier, 0
	.set _ZN7rocprim17ROCPRIM_400000_NS6detail17trampoline_kernelINS0_14default_configENS1_27scan_by_key_config_selectorIxiEEZZNS1_16scan_by_key_implILNS1_25lookback_scan_determinismE0ELb1ES3_N6thrust23THRUST_200600_302600_NS6detail15normal_iteratorINS9_10device_ptrIxEEEESE_SE_iNS9_4plusIvEENS9_8equal_toIvEEiEE10hipError_tPvRmT2_T3_T4_T5_mT6_T7_P12ihipStream_tbENKUlT_T0_E_clISt17integral_constantIbLb0EESY_IbLb1EEEEDaSU_SV_EUlSU_E_NS1_11comp_targetILNS1_3genE10ELNS1_11target_archE1201ELNS1_3gpuE5ELNS1_3repE0EEENS1_30default_config_static_selectorELNS0_4arch9wavefront6targetE0EEEvT1_.private_seg_size, 0
	.set _ZN7rocprim17ROCPRIM_400000_NS6detail17trampoline_kernelINS0_14default_configENS1_27scan_by_key_config_selectorIxiEEZZNS1_16scan_by_key_implILNS1_25lookback_scan_determinismE0ELb1ES3_N6thrust23THRUST_200600_302600_NS6detail15normal_iteratorINS9_10device_ptrIxEEEESE_SE_iNS9_4plusIvEENS9_8equal_toIvEEiEE10hipError_tPvRmT2_T3_T4_T5_mT6_T7_P12ihipStream_tbENKUlT_T0_E_clISt17integral_constantIbLb0EESY_IbLb1EEEEDaSU_SV_EUlSU_E_NS1_11comp_targetILNS1_3genE10ELNS1_11target_archE1201ELNS1_3gpuE5ELNS1_3repE0EEENS1_30default_config_static_selectorELNS0_4arch9wavefront6targetE0EEEvT1_.uses_vcc, 0
	.set _ZN7rocprim17ROCPRIM_400000_NS6detail17trampoline_kernelINS0_14default_configENS1_27scan_by_key_config_selectorIxiEEZZNS1_16scan_by_key_implILNS1_25lookback_scan_determinismE0ELb1ES3_N6thrust23THRUST_200600_302600_NS6detail15normal_iteratorINS9_10device_ptrIxEEEESE_SE_iNS9_4plusIvEENS9_8equal_toIvEEiEE10hipError_tPvRmT2_T3_T4_T5_mT6_T7_P12ihipStream_tbENKUlT_T0_E_clISt17integral_constantIbLb0EESY_IbLb1EEEEDaSU_SV_EUlSU_E_NS1_11comp_targetILNS1_3genE10ELNS1_11target_archE1201ELNS1_3gpuE5ELNS1_3repE0EEENS1_30default_config_static_selectorELNS0_4arch9wavefront6targetE0EEEvT1_.uses_flat_scratch, 0
	.set _ZN7rocprim17ROCPRIM_400000_NS6detail17trampoline_kernelINS0_14default_configENS1_27scan_by_key_config_selectorIxiEEZZNS1_16scan_by_key_implILNS1_25lookback_scan_determinismE0ELb1ES3_N6thrust23THRUST_200600_302600_NS6detail15normal_iteratorINS9_10device_ptrIxEEEESE_SE_iNS9_4plusIvEENS9_8equal_toIvEEiEE10hipError_tPvRmT2_T3_T4_T5_mT6_T7_P12ihipStream_tbENKUlT_T0_E_clISt17integral_constantIbLb0EESY_IbLb1EEEEDaSU_SV_EUlSU_E_NS1_11comp_targetILNS1_3genE10ELNS1_11target_archE1201ELNS1_3gpuE5ELNS1_3repE0EEENS1_30default_config_static_selectorELNS0_4arch9wavefront6targetE0EEEvT1_.has_dyn_sized_stack, 0
	.set _ZN7rocprim17ROCPRIM_400000_NS6detail17trampoline_kernelINS0_14default_configENS1_27scan_by_key_config_selectorIxiEEZZNS1_16scan_by_key_implILNS1_25lookback_scan_determinismE0ELb1ES3_N6thrust23THRUST_200600_302600_NS6detail15normal_iteratorINS9_10device_ptrIxEEEESE_SE_iNS9_4plusIvEENS9_8equal_toIvEEiEE10hipError_tPvRmT2_T3_T4_T5_mT6_T7_P12ihipStream_tbENKUlT_T0_E_clISt17integral_constantIbLb0EESY_IbLb1EEEEDaSU_SV_EUlSU_E_NS1_11comp_targetILNS1_3genE10ELNS1_11target_archE1201ELNS1_3gpuE5ELNS1_3repE0EEENS1_30default_config_static_selectorELNS0_4arch9wavefront6targetE0EEEvT1_.has_recursion, 0
	.set _ZN7rocprim17ROCPRIM_400000_NS6detail17trampoline_kernelINS0_14default_configENS1_27scan_by_key_config_selectorIxiEEZZNS1_16scan_by_key_implILNS1_25lookback_scan_determinismE0ELb1ES3_N6thrust23THRUST_200600_302600_NS6detail15normal_iteratorINS9_10device_ptrIxEEEESE_SE_iNS9_4plusIvEENS9_8equal_toIvEEiEE10hipError_tPvRmT2_T3_T4_T5_mT6_T7_P12ihipStream_tbENKUlT_T0_E_clISt17integral_constantIbLb0EESY_IbLb1EEEEDaSU_SV_EUlSU_E_NS1_11comp_targetILNS1_3genE10ELNS1_11target_archE1201ELNS1_3gpuE5ELNS1_3repE0EEENS1_30default_config_static_selectorELNS0_4arch9wavefront6targetE0EEEvT1_.has_indirect_call, 0
	.section	.AMDGPU.csdata,"",@progbits
; Kernel info:
; codeLenInByte = 0
; TotalNumSgprs: 0
; NumVgprs: 0
; ScratchSize: 0
; MemoryBound: 0
; FloatMode: 240
; IeeeMode: 1
; LDSByteSize: 0 bytes/workgroup (compile time only)
; SGPRBlocks: 0
; VGPRBlocks: 0
; NumSGPRsForWavesPerEU: 1
; NumVGPRsForWavesPerEU: 1
; NamedBarCnt: 0
; Occupancy: 16
; WaveLimiterHint : 0
; COMPUTE_PGM_RSRC2:SCRATCH_EN: 0
; COMPUTE_PGM_RSRC2:USER_SGPR: 2
; COMPUTE_PGM_RSRC2:TRAP_HANDLER: 0
; COMPUTE_PGM_RSRC2:TGID_X_EN: 1
; COMPUTE_PGM_RSRC2:TGID_Y_EN: 0
; COMPUTE_PGM_RSRC2:TGID_Z_EN: 0
; COMPUTE_PGM_RSRC2:TIDIG_COMP_CNT: 0
	.section	.text._ZN7rocprim17ROCPRIM_400000_NS6detail17trampoline_kernelINS0_14default_configENS1_27scan_by_key_config_selectorIxiEEZZNS1_16scan_by_key_implILNS1_25lookback_scan_determinismE0ELb1ES3_N6thrust23THRUST_200600_302600_NS6detail15normal_iteratorINS9_10device_ptrIxEEEESE_SE_iNS9_4plusIvEENS9_8equal_toIvEEiEE10hipError_tPvRmT2_T3_T4_T5_mT6_T7_P12ihipStream_tbENKUlT_T0_E_clISt17integral_constantIbLb0EESY_IbLb1EEEEDaSU_SV_EUlSU_E_NS1_11comp_targetILNS1_3genE5ELNS1_11target_archE942ELNS1_3gpuE9ELNS1_3repE0EEENS1_30default_config_static_selectorELNS0_4arch9wavefront6targetE0EEEvT1_,"axG",@progbits,_ZN7rocprim17ROCPRIM_400000_NS6detail17trampoline_kernelINS0_14default_configENS1_27scan_by_key_config_selectorIxiEEZZNS1_16scan_by_key_implILNS1_25lookback_scan_determinismE0ELb1ES3_N6thrust23THRUST_200600_302600_NS6detail15normal_iteratorINS9_10device_ptrIxEEEESE_SE_iNS9_4plusIvEENS9_8equal_toIvEEiEE10hipError_tPvRmT2_T3_T4_T5_mT6_T7_P12ihipStream_tbENKUlT_T0_E_clISt17integral_constantIbLb0EESY_IbLb1EEEEDaSU_SV_EUlSU_E_NS1_11comp_targetILNS1_3genE5ELNS1_11target_archE942ELNS1_3gpuE9ELNS1_3repE0EEENS1_30default_config_static_selectorELNS0_4arch9wavefront6targetE0EEEvT1_,comdat
	.protected	_ZN7rocprim17ROCPRIM_400000_NS6detail17trampoline_kernelINS0_14default_configENS1_27scan_by_key_config_selectorIxiEEZZNS1_16scan_by_key_implILNS1_25lookback_scan_determinismE0ELb1ES3_N6thrust23THRUST_200600_302600_NS6detail15normal_iteratorINS9_10device_ptrIxEEEESE_SE_iNS9_4plusIvEENS9_8equal_toIvEEiEE10hipError_tPvRmT2_T3_T4_T5_mT6_T7_P12ihipStream_tbENKUlT_T0_E_clISt17integral_constantIbLb0EESY_IbLb1EEEEDaSU_SV_EUlSU_E_NS1_11comp_targetILNS1_3genE5ELNS1_11target_archE942ELNS1_3gpuE9ELNS1_3repE0EEENS1_30default_config_static_selectorELNS0_4arch9wavefront6targetE0EEEvT1_ ; -- Begin function _ZN7rocprim17ROCPRIM_400000_NS6detail17trampoline_kernelINS0_14default_configENS1_27scan_by_key_config_selectorIxiEEZZNS1_16scan_by_key_implILNS1_25lookback_scan_determinismE0ELb1ES3_N6thrust23THRUST_200600_302600_NS6detail15normal_iteratorINS9_10device_ptrIxEEEESE_SE_iNS9_4plusIvEENS9_8equal_toIvEEiEE10hipError_tPvRmT2_T3_T4_T5_mT6_T7_P12ihipStream_tbENKUlT_T0_E_clISt17integral_constantIbLb0EESY_IbLb1EEEEDaSU_SV_EUlSU_E_NS1_11comp_targetILNS1_3genE5ELNS1_11target_archE942ELNS1_3gpuE9ELNS1_3repE0EEENS1_30default_config_static_selectorELNS0_4arch9wavefront6targetE0EEEvT1_
	.globl	_ZN7rocprim17ROCPRIM_400000_NS6detail17trampoline_kernelINS0_14default_configENS1_27scan_by_key_config_selectorIxiEEZZNS1_16scan_by_key_implILNS1_25lookback_scan_determinismE0ELb1ES3_N6thrust23THRUST_200600_302600_NS6detail15normal_iteratorINS9_10device_ptrIxEEEESE_SE_iNS9_4plusIvEENS9_8equal_toIvEEiEE10hipError_tPvRmT2_T3_T4_T5_mT6_T7_P12ihipStream_tbENKUlT_T0_E_clISt17integral_constantIbLb0EESY_IbLb1EEEEDaSU_SV_EUlSU_E_NS1_11comp_targetILNS1_3genE5ELNS1_11target_archE942ELNS1_3gpuE9ELNS1_3repE0EEENS1_30default_config_static_selectorELNS0_4arch9wavefront6targetE0EEEvT1_
	.p2align	8
	.type	_ZN7rocprim17ROCPRIM_400000_NS6detail17trampoline_kernelINS0_14default_configENS1_27scan_by_key_config_selectorIxiEEZZNS1_16scan_by_key_implILNS1_25lookback_scan_determinismE0ELb1ES3_N6thrust23THRUST_200600_302600_NS6detail15normal_iteratorINS9_10device_ptrIxEEEESE_SE_iNS9_4plusIvEENS9_8equal_toIvEEiEE10hipError_tPvRmT2_T3_T4_T5_mT6_T7_P12ihipStream_tbENKUlT_T0_E_clISt17integral_constantIbLb0EESY_IbLb1EEEEDaSU_SV_EUlSU_E_NS1_11comp_targetILNS1_3genE5ELNS1_11target_archE942ELNS1_3gpuE9ELNS1_3repE0EEENS1_30default_config_static_selectorELNS0_4arch9wavefront6targetE0EEEvT1_,@function
_ZN7rocprim17ROCPRIM_400000_NS6detail17trampoline_kernelINS0_14default_configENS1_27scan_by_key_config_selectorIxiEEZZNS1_16scan_by_key_implILNS1_25lookback_scan_determinismE0ELb1ES3_N6thrust23THRUST_200600_302600_NS6detail15normal_iteratorINS9_10device_ptrIxEEEESE_SE_iNS9_4plusIvEENS9_8equal_toIvEEiEE10hipError_tPvRmT2_T3_T4_T5_mT6_T7_P12ihipStream_tbENKUlT_T0_E_clISt17integral_constantIbLb0EESY_IbLb1EEEEDaSU_SV_EUlSU_E_NS1_11comp_targetILNS1_3genE5ELNS1_11target_archE942ELNS1_3gpuE9ELNS1_3repE0EEENS1_30default_config_static_selectorELNS0_4arch9wavefront6targetE0EEEvT1_: ; @_ZN7rocprim17ROCPRIM_400000_NS6detail17trampoline_kernelINS0_14default_configENS1_27scan_by_key_config_selectorIxiEEZZNS1_16scan_by_key_implILNS1_25lookback_scan_determinismE0ELb1ES3_N6thrust23THRUST_200600_302600_NS6detail15normal_iteratorINS9_10device_ptrIxEEEESE_SE_iNS9_4plusIvEENS9_8equal_toIvEEiEE10hipError_tPvRmT2_T3_T4_T5_mT6_T7_P12ihipStream_tbENKUlT_T0_E_clISt17integral_constantIbLb0EESY_IbLb1EEEEDaSU_SV_EUlSU_E_NS1_11comp_targetILNS1_3genE5ELNS1_11target_archE942ELNS1_3gpuE9ELNS1_3repE0EEENS1_30default_config_static_selectorELNS0_4arch9wavefront6targetE0EEEvT1_
; %bb.0:
	.section	.rodata,"a",@progbits
	.p2align	6, 0x0
	.amdhsa_kernel _ZN7rocprim17ROCPRIM_400000_NS6detail17trampoline_kernelINS0_14default_configENS1_27scan_by_key_config_selectorIxiEEZZNS1_16scan_by_key_implILNS1_25lookback_scan_determinismE0ELb1ES3_N6thrust23THRUST_200600_302600_NS6detail15normal_iteratorINS9_10device_ptrIxEEEESE_SE_iNS9_4plusIvEENS9_8equal_toIvEEiEE10hipError_tPvRmT2_T3_T4_T5_mT6_T7_P12ihipStream_tbENKUlT_T0_E_clISt17integral_constantIbLb0EESY_IbLb1EEEEDaSU_SV_EUlSU_E_NS1_11comp_targetILNS1_3genE5ELNS1_11target_archE942ELNS1_3gpuE9ELNS1_3repE0EEENS1_30default_config_static_selectorELNS0_4arch9wavefront6targetE0EEEvT1_
		.amdhsa_group_segment_fixed_size 0
		.amdhsa_private_segment_fixed_size 0
		.amdhsa_kernarg_size 112
		.amdhsa_user_sgpr_count 2
		.amdhsa_user_sgpr_dispatch_ptr 0
		.amdhsa_user_sgpr_queue_ptr 0
		.amdhsa_user_sgpr_kernarg_segment_ptr 1
		.amdhsa_user_sgpr_dispatch_id 0
		.amdhsa_user_sgpr_kernarg_preload_length 0
		.amdhsa_user_sgpr_kernarg_preload_offset 0
		.amdhsa_user_sgpr_private_segment_size 0
		.amdhsa_wavefront_size32 1
		.amdhsa_uses_dynamic_stack 0
		.amdhsa_enable_private_segment 0
		.amdhsa_system_sgpr_workgroup_id_x 1
		.amdhsa_system_sgpr_workgroup_id_y 0
		.amdhsa_system_sgpr_workgroup_id_z 0
		.amdhsa_system_sgpr_workgroup_info 0
		.amdhsa_system_vgpr_workitem_id 0
		.amdhsa_next_free_vgpr 1
		.amdhsa_next_free_sgpr 1
		.amdhsa_named_barrier_count 0
		.amdhsa_reserve_vcc 0
		.amdhsa_float_round_mode_32 0
		.amdhsa_float_round_mode_16_64 0
		.amdhsa_float_denorm_mode_32 3
		.amdhsa_float_denorm_mode_16_64 3
		.amdhsa_fp16_overflow 0
		.amdhsa_memory_ordered 1
		.amdhsa_forward_progress 1
		.amdhsa_inst_pref_size 0
		.amdhsa_round_robin_scheduling 0
		.amdhsa_exception_fp_ieee_invalid_op 0
		.amdhsa_exception_fp_denorm_src 0
		.amdhsa_exception_fp_ieee_div_zero 0
		.amdhsa_exception_fp_ieee_overflow 0
		.amdhsa_exception_fp_ieee_underflow 0
		.amdhsa_exception_fp_ieee_inexact 0
		.amdhsa_exception_int_div_zero 0
	.end_amdhsa_kernel
	.section	.text._ZN7rocprim17ROCPRIM_400000_NS6detail17trampoline_kernelINS0_14default_configENS1_27scan_by_key_config_selectorIxiEEZZNS1_16scan_by_key_implILNS1_25lookback_scan_determinismE0ELb1ES3_N6thrust23THRUST_200600_302600_NS6detail15normal_iteratorINS9_10device_ptrIxEEEESE_SE_iNS9_4plusIvEENS9_8equal_toIvEEiEE10hipError_tPvRmT2_T3_T4_T5_mT6_T7_P12ihipStream_tbENKUlT_T0_E_clISt17integral_constantIbLb0EESY_IbLb1EEEEDaSU_SV_EUlSU_E_NS1_11comp_targetILNS1_3genE5ELNS1_11target_archE942ELNS1_3gpuE9ELNS1_3repE0EEENS1_30default_config_static_selectorELNS0_4arch9wavefront6targetE0EEEvT1_,"axG",@progbits,_ZN7rocprim17ROCPRIM_400000_NS6detail17trampoline_kernelINS0_14default_configENS1_27scan_by_key_config_selectorIxiEEZZNS1_16scan_by_key_implILNS1_25lookback_scan_determinismE0ELb1ES3_N6thrust23THRUST_200600_302600_NS6detail15normal_iteratorINS9_10device_ptrIxEEEESE_SE_iNS9_4plusIvEENS9_8equal_toIvEEiEE10hipError_tPvRmT2_T3_T4_T5_mT6_T7_P12ihipStream_tbENKUlT_T0_E_clISt17integral_constantIbLb0EESY_IbLb1EEEEDaSU_SV_EUlSU_E_NS1_11comp_targetILNS1_3genE5ELNS1_11target_archE942ELNS1_3gpuE9ELNS1_3repE0EEENS1_30default_config_static_selectorELNS0_4arch9wavefront6targetE0EEEvT1_,comdat
.Lfunc_end1034:
	.size	_ZN7rocprim17ROCPRIM_400000_NS6detail17trampoline_kernelINS0_14default_configENS1_27scan_by_key_config_selectorIxiEEZZNS1_16scan_by_key_implILNS1_25lookback_scan_determinismE0ELb1ES3_N6thrust23THRUST_200600_302600_NS6detail15normal_iteratorINS9_10device_ptrIxEEEESE_SE_iNS9_4plusIvEENS9_8equal_toIvEEiEE10hipError_tPvRmT2_T3_T4_T5_mT6_T7_P12ihipStream_tbENKUlT_T0_E_clISt17integral_constantIbLb0EESY_IbLb1EEEEDaSU_SV_EUlSU_E_NS1_11comp_targetILNS1_3genE5ELNS1_11target_archE942ELNS1_3gpuE9ELNS1_3repE0EEENS1_30default_config_static_selectorELNS0_4arch9wavefront6targetE0EEEvT1_, .Lfunc_end1034-_ZN7rocprim17ROCPRIM_400000_NS6detail17trampoline_kernelINS0_14default_configENS1_27scan_by_key_config_selectorIxiEEZZNS1_16scan_by_key_implILNS1_25lookback_scan_determinismE0ELb1ES3_N6thrust23THRUST_200600_302600_NS6detail15normal_iteratorINS9_10device_ptrIxEEEESE_SE_iNS9_4plusIvEENS9_8equal_toIvEEiEE10hipError_tPvRmT2_T3_T4_T5_mT6_T7_P12ihipStream_tbENKUlT_T0_E_clISt17integral_constantIbLb0EESY_IbLb1EEEEDaSU_SV_EUlSU_E_NS1_11comp_targetILNS1_3genE5ELNS1_11target_archE942ELNS1_3gpuE9ELNS1_3repE0EEENS1_30default_config_static_selectorELNS0_4arch9wavefront6targetE0EEEvT1_
                                        ; -- End function
	.set _ZN7rocprim17ROCPRIM_400000_NS6detail17trampoline_kernelINS0_14default_configENS1_27scan_by_key_config_selectorIxiEEZZNS1_16scan_by_key_implILNS1_25lookback_scan_determinismE0ELb1ES3_N6thrust23THRUST_200600_302600_NS6detail15normal_iteratorINS9_10device_ptrIxEEEESE_SE_iNS9_4plusIvEENS9_8equal_toIvEEiEE10hipError_tPvRmT2_T3_T4_T5_mT6_T7_P12ihipStream_tbENKUlT_T0_E_clISt17integral_constantIbLb0EESY_IbLb1EEEEDaSU_SV_EUlSU_E_NS1_11comp_targetILNS1_3genE5ELNS1_11target_archE942ELNS1_3gpuE9ELNS1_3repE0EEENS1_30default_config_static_selectorELNS0_4arch9wavefront6targetE0EEEvT1_.num_vgpr, 0
	.set _ZN7rocprim17ROCPRIM_400000_NS6detail17trampoline_kernelINS0_14default_configENS1_27scan_by_key_config_selectorIxiEEZZNS1_16scan_by_key_implILNS1_25lookback_scan_determinismE0ELb1ES3_N6thrust23THRUST_200600_302600_NS6detail15normal_iteratorINS9_10device_ptrIxEEEESE_SE_iNS9_4plusIvEENS9_8equal_toIvEEiEE10hipError_tPvRmT2_T3_T4_T5_mT6_T7_P12ihipStream_tbENKUlT_T0_E_clISt17integral_constantIbLb0EESY_IbLb1EEEEDaSU_SV_EUlSU_E_NS1_11comp_targetILNS1_3genE5ELNS1_11target_archE942ELNS1_3gpuE9ELNS1_3repE0EEENS1_30default_config_static_selectorELNS0_4arch9wavefront6targetE0EEEvT1_.num_agpr, 0
	.set _ZN7rocprim17ROCPRIM_400000_NS6detail17trampoline_kernelINS0_14default_configENS1_27scan_by_key_config_selectorIxiEEZZNS1_16scan_by_key_implILNS1_25lookback_scan_determinismE0ELb1ES3_N6thrust23THRUST_200600_302600_NS6detail15normal_iteratorINS9_10device_ptrIxEEEESE_SE_iNS9_4plusIvEENS9_8equal_toIvEEiEE10hipError_tPvRmT2_T3_T4_T5_mT6_T7_P12ihipStream_tbENKUlT_T0_E_clISt17integral_constantIbLb0EESY_IbLb1EEEEDaSU_SV_EUlSU_E_NS1_11comp_targetILNS1_3genE5ELNS1_11target_archE942ELNS1_3gpuE9ELNS1_3repE0EEENS1_30default_config_static_selectorELNS0_4arch9wavefront6targetE0EEEvT1_.numbered_sgpr, 0
	.set _ZN7rocprim17ROCPRIM_400000_NS6detail17trampoline_kernelINS0_14default_configENS1_27scan_by_key_config_selectorIxiEEZZNS1_16scan_by_key_implILNS1_25lookback_scan_determinismE0ELb1ES3_N6thrust23THRUST_200600_302600_NS6detail15normal_iteratorINS9_10device_ptrIxEEEESE_SE_iNS9_4plusIvEENS9_8equal_toIvEEiEE10hipError_tPvRmT2_T3_T4_T5_mT6_T7_P12ihipStream_tbENKUlT_T0_E_clISt17integral_constantIbLb0EESY_IbLb1EEEEDaSU_SV_EUlSU_E_NS1_11comp_targetILNS1_3genE5ELNS1_11target_archE942ELNS1_3gpuE9ELNS1_3repE0EEENS1_30default_config_static_selectorELNS0_4arch9wavefront6targetE0EEEvT1_.num_named_barrier, 0
	.set _ZN7rocprim17ROCPRIM_400000_NS6detail17trampoline_kernelINS0_14default_configENS1_27scan_by_key_config_selectorIxiEEZZNS1_16scan_by_key_implILNS1_25lookback_scan_determinismE0ELb1ES3_N6thrust23THRUST_200600_302600_NS6detail15normal_iteratorINS9_10device_ptrIxEEEESE_SE_iNS9_4plusIvEENS9_8equal_toIvEEiEE10hipError_tPvRmT2_T3_T4_T5_mT6_T7_P12ihipStream_tbENKUlT_T0_E_clISt17integral_constantIbLb0EESY_IbLb1EEEEDaSU_SV_EUlSU_E_NS1_11comp_targetILNS1_3genE5ELNS1_11target_archE942ELNS1_3gpuE9ELNS1_3repE0EEENS1_30default_config_static_selectorELNS0_4arch9wavefront6targetE0EEEvT1_.private_seg_size, 0
	.set _ZN7rocprim17ROCPRIM_400000_NS6detail17trampoline_kernelINS0_14default_configENS1_27scan_by_key_config_selectorIxiEEZZNS1_16scan_by_key_implILNS1_25lookback_scan_determinismE0ELb1ES3_N6thrust23THRUST_200600_302600_NS6detail15normal_iteratorINS9_10device_ptrIxEEEESE_SE_iNS9_4plusIvEENS9_8equal_toIvEEiEE10hipError_tPvRmT2_T3_T4_T5_mT6_T7_P12ihipStream_tbENKUlT_T0_E_clISt17integral_constantIbLb0EESY_IbLb1EEEEDaSU_SV_EUlSU_E_NS1_11comp_targetILNS1_3genE5ELNS1_11target_archE942ELNS1_3gpuE9ELNS1_3repE0EEENS1_30default_config_static_selectorELNS0_4arch9wavefront6targetE0EEEvT1_.uses_vcc, 0
	.set _ZN7rocprim17ROCPRIM_400000_NS6detail17trampoline_kernelINS0_14default_configENS1_27scan_by_key_config_selectorIxiEEZZNS1_16scan_by_key_implILNS1_25lookback_scan_determinismE0ELb1ES3_N6thrust23THRUST_200600_302600_NS6detail15normal_iteratorINS9_10device_ptrIxEEEESE_SE_iNS9_4plusIvEENS9_8equal_toIvEEiEE10hipError_tPvRmT2_T3_T4_T5_mT6_T7_P12ihipStream_tbENKUlT_T0_E_clISt17integral_constantIbLb0EESY_IbLb1EEEEDaSU_SV_EUlSU_E_NS1_11comp_targetILNS1_3genE5ELNS1_11target_archE942ELNS1_3gpuE9ELNS1_3repE0EEENS1_30default_config_static_selectorELNS0_4arch9wavefront6targetE0EEEvT1_.uses_flat_scratch, 0
	.set _ZN7rocprim17ROCPRIM_400000_NS6detail17trampoline_kernelINS0_14default_configENS1_27scan_by_key_config_selectorIxiEEZZNS1_16scan_by_key_implILNS1_25lookback_scan_determinismE0ELb1ES3_N6thrust23THRUST_200600_302600_NS6detail15normal_iteratorINS9_10device_ptrIxEEEESE_SE_iNS9_4plusIvEENS9_8equal_toIvEEiEE10hipError_tPvRmT2_T3_T4_T5_mT6_T7_P12ihipStream_tbENKUlT_T0_E_clISt17integral_constantIbLb0EESY_IbLb1EEEEDaSU_SV_EUlSU_E_NS1_11comp_targetILNS1_3genE5ELNS1_11target_archE942ELNS1_3gpuE9ELNS1_3repE0EEENS1_30default_config_static_selectorELNS0_4arch9wavefront6targetE0EEEvT1_.has_dyn_sized_stack, 0
	.set _ZN7rocprim17ROCPRIM_400000_NS6detail17trampoline_kernelINS0_14default_configENS1_27scan_by_key_config_selectorIxiEEZZNS1_16scan_by_key_implILNS1_25lookback_scan_determinismE0ELb1ES3_N6thrust23THRUST_200600_302600_NS6detail15normal_iteratorINS9_10device_ptrIxEEEESE_SE_iNS9_4plusIvEENS9_8equal_toIvEEiEE10hipError_tPvRmT2_T3_T4_T5_mT6_T7_P12ihipStream_tbENKUlT_T0_E_clISt17integral_constantIbLb0EESY_IbLb1EEEEDaSU_SV_EUlSU_E_NS1_11comp_targetILNS1_3genE5ELNS1_11target_archE942ELNS1_3gpuE9ELNS1_3repE0EEENS1_30default_config_static_selectorELNS0_4arch9wavefront6targetE0EEEvT1_.has_recursion, 0
	.set _ZN7rocprim17ROCPRIM_400000_NS6detail17trampoline_kernelINS0_14default_configENS1_27scan_by_key_config_selectorIxiEEZZNS1_16scan_by_key_implILNS1_25lookback_scan_determinismE0ELb1ES3_N6thrust23THRUST_200600_302600_NS6detail15normal_iteratorINS9_10device_ptrIxEEEESE_SE_iNS9_4plusIvEENS9_8equal_toIvEEiEE10hipError_tPvRmT2_T3_T4_T5_mT6_T7_P12ihipStream_tbENKUlT_T0_E_clISt17integral_constantIbLb0EESY_IbLb1EEEEDaSU_SV_EUlSU_E_NS1_11comp_targetILNS1_3genE5ELNS1_11target_archE942ELNS1_3gpuE9ELNS1_3repE0EEENS1_30default_config_static_selectorELNS0_4arch9wavefront6targetE0EEEvT1_.has_indirect_call, 0
	.section	.AMDGPU.csdata,"",@progbits
; Kernel info:
; codeLenInByte = 0
; TotalNumSgprs: 0
; NumVgprs: 0
; ScratchSize: 0
; MemoryBound: 0
; FloatMode: 240
; IeeeMode: 1
; LDSByteSize: 0 bytes/workgroup (compile time only)
; SGPRBlocks: 0
; VGPRBlocks: 0
; NumSGPRsForWavesPerEU: 1
; NumVGPRsForWavesPerEU: 1
; NamedBarCnt: 0
; Occupancy: 16
; WaveLimiterHint : 0
; COMPUTE_PGM_RSRC2:SCRATCH_EN: 0
; COMPUTE_PGM_RSRC2:USER_SGPR: 2
; COMPUTE_PGM_RSRC2:TRAP_HANDLER: 0
; COMPUTE_PGM_RSRC2:TGID_X_EN: 1
; COMPUTE_PGM_RSRC2:TGID_Y_EN: 0
; COMPUTE_PGM_RSRC2:TGID_Z_EN: 0
; COMPUTE_PGM_RSRC2:TIDIG_COMP_CNT: 0
	.section	.text._ZN7rocprim17ROCPRIM_400000_NS6detail17trampoline_kernelINS0_14default_configENS1_27scan_by_key_config_selectorIxiEEZZNS1_16scan_by_key_implILNS1_25lookback_scan_determinismE0ELb1ES3_N6thrust23THRUST_200600_302600_NS6detail15normal_iteratorINS9_10device_ptrIxEEEESE_SE_iNS9_4plusIvEENS9_8equal_toIvEEiEE10hipError_tPvRmT2_T3_T4_T5_mT6_T7_P12ihipStream_tbENKUlT_T0_E_clISt17integral_constantIbLb0EESY_IbLb1EEEEDaSU_SV_EUlSU_E_NS1_11comp_targetILNS1_3genE4ELNS1_11target_archE910ELNS1_3gpuE8ELNS1_3repE0EEENS1_30default_config_static_selectorELNS0_4arch9wavefront6targetE0EEEvT1_,"axG",@progbits,_ZN7rocprim17ROCPRIM_400000_NS6detail17trampoline_kernelINS0_14default_configENS1_27scan_by_key_config_selectorIxiEEZZNS1_16scan_by_key_implILNS1_25lookback_scan_determinismE0ELb1ES3_N6thrust23THRUST_200600_302600_NS6detail15normal_iteratorINS9_10device_ptrIxEEEESE_SE_iNS9_4plusIvEENS9_8equal_toIvEEiEE10hipError_tPvRmT2_T3_T4_T5_mT6_T7_P12ihipStream_tbENKUlT_T0_E_clISt17integral_constantIbLb0EESY_IbLb1EEEEDaSU_SV_EUlSU_E_NS1_11comp_targetILNS1_3genE4ELNS1_11target_archE910ELNS1_3gpuE8ELNS1_3repE0EEENS1_30default_config_static_selectorELNS0_4arch9wavefront6targetE0EEEvT1_,comdat
	.protected	_ZN7rocprim17ROCPRIM_400000_NS6detail17trampoline_kernelINS0_14default_configENS1_27scan_by_key_config_selectorIxiEEZZNS1_16scan_by_key_implILNS1_25lookback_scan_determinismE0ELb1ES3_N6thrust23THRUST_200600_302600_NS6detail15normal_iteratorINS9_10device_ptrIxEEEESE_SE_iNS9_4plusIvEENS9_8equal_toIvEEiEE10hipError_tPvRmT2_T3_T4_T5_mT6_T7_P12ihipStream_tbENKUlT_T0_E_clISt17integral_constantIbLb0EESY_IbLb1EEEEDaSU_SV_EUlSU_E_NS1_11comp_targetILNS1_3genE4ELNS1_11target_archE910ELNS1_3gpuE8ELNS1_3repE0EEENS1_30default_config_static_selectorELNS0_4arch9wavefront6targetE0EEEvT1_ ; -- Begin function _ZN7rocprim17ROCPRIM_400000_NS6detail17trampoline_kernelINS0_14default_configENS1_27scan_by_key_config_selectorIxiEEZZNS1_16scan_by_key_implILNS1_25lookback_scan_determinismE0ELb1ES3_N6thrust23THRUST_200600_302600_NS6detail15normal_iteratorINS9_10device_ptrIxEEEESE_SE_iNS9_4plusIvEENS9_8equal_toIvEEiEE10hipError_tPvRmT2_T3_T4_T5_mT6_T7_P12ihipStream_tbENKUlT_T0_E_clISt17integral_constantIbLb0EESY_IbLb1EEEEDaSU_SV_EUlSU_E_NS1_11comp_targetILNS1_3genE4ELNS1_11target_archE910ELNS1_3gpuE8ELNS1_3repE0EEENS1_30default_config_static_selectorELNS0_4arch9wavefront6targetE0EEEvT1_
	.globl	_ZN7rocprim17ROCPRIM_400000_NS6detail17trampoline_kernelINS0_14default_configENS1_27scan_by_key_config_selectorIxiEEZZNS1_16scan_by_key_implILNS1_25lookback_scan_determinismE0ELb1ES3_N6thrust23THRUST_200600_302600_NS6detail15normal_iteratorINS9_10device_ptrIxEEEESE_SE_iNS9_4plusIvEENS9_8equal_toIvEEiEE10hipError_tPvRmT2_T3_T4_T5_mT6_T7_P12ihipStream_tbENKUlT_T0_E_clISt17integral_constantIbLb0EESY_IbLb1EEEEDaSU_SV_EUlSU_E_NS1_11comp_targetILNS1_3genE4ELNS1_11target_archE910ELNS1_3gpuE8ELNS1_3repE0EEENS1_30default_config_static_selectorELNS0_4arch9wavefront6targetE0EEEvT1_
	.p2align	8
	.type	_ZN7rocprim17ROCPRIM_400000_NS6detail17trampoline_kernelINS0_14default_configENS1_27scan_by_key_config_selectorIxiEEZZNS1_16scan_by_key_implILNS1_25lookback_scan_determinismE0ELb1ES3_N6thrust23THRUST_200600_302600_NS6detail15normal_iteratorINS9_10device_ptrIxEEEESE_SE_iNS9_4plusIvEENS9_8equal_toIvEEiEE10hipError_tPvRmT2_T3_T4_T5_mT6_T7_P12ihipStream_tbENKUlT_T0_E_clISt17integral_constantIbLb0EESY_IbLb1EEEEDaSU_SV_EUlSU_E_NS1_11comp_targetILNS1_3genE4ELNS1_11target_archE910ELNS1_3gpuE8ELNS1_3repE0EEENS1_30default_config_static_selectorELNS0_4arch9wavefront6targetE0EEEvT1_,@function
_ZN7rocprim17ROCPRIM_400000_NS6detail17trampoline_kernelINS0_14default_configENS1_27scan_by_key_config_selectorIxiEEZZNS1_16scan_by_key_implILNS1_25lookback_scan_determinismE0ELb1ES3_N6thrust23THRUST_200600_302600_NS6detail15normal_iteratorINS9_10device_ptrIxEEEESE_SE_iNS9_4plusIvEENS9_8equal_toIvEEiEE10hipError_tPvRmT2_T3_T4_T5_mT6_T7_P12ihipStream_tbENKUlT_T0_E_clISt17integral_constantIbLb0EESY_IbLb1EEEEDaSU_SV_EUlSU_E_NS1_11comp_targetILNS1_3genE4ELNS1_11target_archE910ELNS1_3gpuE8ELNS1_3repE0EEENS1_30default_config_static_selectorELNS0_4arch9wavefront6targetE0EEEvT1_: ; @_ZN7rocprim17ROCPRIM_400000_NS6detail17trampoline_kernelINS0_14default_configENS1_27scan_by_key_config_selectorIxiEEZZNS1_16scan_by_key_implILNS1_25lookback_scan_determinismE0ELb1ES3_N6thrust23THRUST_200600_302600_NS6detail15normal_iteratorINS9_10device_ptrIxEEEESE_SE_iNS9_4plusIvEENS9_8equal_toIvEEiEE10hipError_tPvRmT2_T3_T4_T5_mT6_T7_P12ihipStream_tbENKUlT_T0_E_clISt17integral_constantIbLb0EESY_IbLb1EEEEDaSU_SV_EUlSU_E_NS1_11comp_targetILNS1_3genE4ELNS1_11target_archE910ELNS1_3gpuE8ELNS1_3repE0EEENS1_30default_config_static_selectorELNS0_4arch9wavefront6targetE0EEEvT1_
; %bb.0:
	.section	.rodata,"a",@progbits
	.p2align	6, 0x0
	.amdhsa_kernel _ZN7rocprim17ROCPRIM_400000_NS6detail17trampoline_kernelINS0_14default_configENS1_27scan_by_key_config_selectorIxiEEZZNS1_16scan_by_key_implILNS1_25lookback_scan_determinismE0ELb1ES3_N6thrust23THRUST_200600_302600_NS6detail15normal_iteratorINS9_10device_ptrIxEEEESE_SE_iNS9_4plusIvEENS9_8equal_toIvEEiEE10hipError_tPvRmT2_T3_T4_T5_mT6_T7_P12ihipStream_tbENKUlT_T0_E_clISt17integral_constantIbLb0EESY_IbLb1EEEEDaSU_SV_EUlSU_E_NS1_11comp_targetILNS1_3genE4ELNS1_11target_archE910ELNS1_3gpuE8ELNS1_3repE0EEENS1_30default_config_static_selectorELNS0_4arch9wavefront6targetE0EEEvT1_
		.amdhsa_group_segment_fixed_size 0
		.amdhsa_private_segment_fixed_size 0
		.amdhsa_kernarg_size 112
		.amdhsa_user_sgpr_count 2
		.amdhsa_user_sgpr_dispatch_ptr 0
		.amdhsa_user_sgpr_queue_ptr 0
		.amdhsa_user_sgpr_kernarg_segment_ptr 1
		.amdhsa_user_sgpr_dispatch_id 0
		.amdhsa_user_sgpr_kernarg_preload_length 0
		.amdhsa_user_sgpr_kernarg_preload_offset 0
		.amdhsa_user_sgpr_private_segment_size 0
		.amdhsa_wavefront_size32 1
		.amdhsa_uses_dynamic_stack 0
		.amdhsa_enable_private_segment 0
		.amdhsa_system_sgpr_workgroup_id_x 1
		.amdhsa_system_sgpr_workgroup_id_y 0
		.amdhsa_system_sgpr_workgroup_id_z 0
		.amdhsa_system_sgpr_workgroup_info 0
		.amdhsa_system_vgpr_workitem_id 0
		.amdhsa_next_free_vgpr 1
		.amdhsa_next_free_sgpr 1
		.amdhsa_named_barrier_count 0
		.amdhsa_reserve_vcc 0
		.amdhsa_float_round_mode_32 0
		.amdhsa_float_round_mode_16_64 0
		.amdhsa_float_denorm_mode_32 3
		.amdhsa_float_denorm_mode_16_64 3
		.amdhsa_fp16_overflow 0
		.amdhsa_memory_ordered 1
		.amdhsa_forward_progress 1
		.amdhsa_inst_pref_size 0
		.amdhsa_round_robin_scheduling 0
		.amdhsa_exception_fp_ieee_invalid_op 0
		.amdhsa_exception_fp_denorm_src 0
		.amdhsa_exception_fp_ieee_div_zero 0
		.amdhsa_exception_fp_ieee_overflow 0
		.amdhsa_exception_fp_ieee_underflow 0
		.amdhsa_exception_fp_ieee_inexact 0
		.amdhsa_exception_int_div_zero 0
	.end_amdhsa_kernel
	.section	.text._ZN7rocprim17ROCPRIM_400000_NS6detail17trampoline_kernelINS0_14default_configENS1_27scan_by_key_config_selectorIxiEEZZNS1_16scan_by_key_implILNS1_25lookback_scan_determinismE0ELb1ES3_N6thrust23THRUST_200600_302600_NS6detail15normal_iteratorINS9_10device_ptrIxEEEESE_SE_iNS9_4plusIvEENS9_8equal_toIvEEiEE10hipError_tPvRmT2_T3_T4_T5_mT6_T7_P12ihipStream_tbENKUlT_T0_E_clISt17integral_constantIbLb0EESY_IbLb1EEEEDaSU_SV_EUlSU_E_NS1_11comp_targetILNS1_3genE4ELNS1_11target_archE910ELNS1_3gpuE8ELNS1_3repE0EEENS1_30default_config_static_selectorELNS0_4arch9wavefront6targetE0EEEvT1_,"axG",@progbits,_ZN7rocprim17ROCPRIM_400000_NS6detail17trampoline_kernelINS0_14default_configENS1_27scan_by_key_config_selectorIxiEEZZNS1_16scan_by_key_implILNS1_25lookback_scan_determinismE0ELb1ES3_N6thrust23THRUST_200600_302600_NS6detail15normal_iteratorINS9_10device_ptrIxEEEESE_SE_iNS9_4plusIvEENS9_8equal_toIvEEiEE10hipError_tPvRmT2_T3_T4_T5_mT6_T7_P12ihipStream_tbENKUlT_T0_E_clISt17integral_constantIbLb0EESY_IbLb1EEEEDaSU_SV_EUlSU_E_NS1_11comp_targetILNS1_3genE4ELNS1_11target_archE910ELNS1_3gpuE8ELNS1_3repE0EEENS1_30default_config_static_selectorELNS0_4arch9wavefront6targetE0EEEvT1_,comdat
.Lfunc_end1035:
	.size	_ZN7rocprim17ROCPRIM_400000_NS6detail17trampoline_kernelINS0_14default_configENS1_27scan_by_key_config_selectorIxiEEZZNS1_16scan_by_key_implILNS1_25lookback_scan_determinismE0ELb1ES3_N6thrust23THRUST_200600_302600_NS6detail15normal_iteratorINS9_10device_ptrIxEEEESE_SE_iNS9_4plusIvEENS9_8equal_toIvEEiEE10hipError_tPvRmT2_T3_T4_T5_mT6_T7_P12ihipStream_tbENKUlT_T0_E_clISt17integral_constantIbLb0EESY_IbLb1EEEEDaSU_SV_EUlSU_E_NS1_11comp_targetILNS1_3genE4ELNS1_11target_archE910ELNS1_3gpuE8ELNS1_3repE0EEENS1_30default_config_static_selectorELNS0_4arch9wavefront6targetE0EEEvT1_, .Lfunc_end1035-_ZN7rocprim17ROCPRIM_400000_NS6detail17trampoline_kernelINS0_14default_configENS1_27scan_by_key_config_selectorIxiEEZZNS1_16scan_by_key_implILNS1_25lookback_scan_determinismE0ELb1ES3_N6thrust23THRUST_200600_302600_NS6detail15normal_iteratorINS9_10device_ptrIxEEEESE_SE_iNS9_4plusIvEENS9_8equal_toIvEEiEE10hipError_tPvRmT2_T3_T4_T5_mT6_T7_P12ihipStream_tbENKUlT_T0_E_clISt17integral_constantIbLb0EESY_IbLb1EEEEDaSU_SV_EUlSU_E_NS1_11comp_targetILNS1_3genE4ELNS1_11target_archE910ELNS1_3gpuE8ELNS1_3repE0EEENS1_30default_config_static_selectorELNS0_4arch9wavefront6targetE0EEEvT1_
                                        ; -- End function
	.set _ZN7rocprim17ROCPRIM_400000_NS6detail17trampoline_kernelINS0_14default_configENS1_27scan_by_key_config_selectorIxiEEZZNS1_16scan_by_key_implILNS1_25lookback_scan_determinismE0ELb1ES3_N6thrust23THRUST_200600_302600_NS6detail15normal_iteratorINS9_10device_ptrIxEEEESE_SE_iNS9_4plusIvEENS9_8equal_toIvEEiEE10hipError_tPvRmT2_T3_T4_T5_mT6_T7_P12ihipStream_tbENKUlT_T0_E_clISt17integral_constantIbLb0EESY_IbLb1EEEEDaSU_SV_EUlSU_E_NS1_11comp_targetILNS1_3genE4ELNS1_11target_archE910ELNS1_3gpuE8ELNS1_3repE0EEENS1_30default_config_static_selectorELNS0_4arch9wavefront6targetE0EEEvT1_.num_vgpr, 0
	.set _ZN7rocprim17ROCPRIM_400000_NS6detail17trampoline_kernelINS0_14default_configENS1_27scan_by_key_config_selectorIxiEEZZNS1_16scan_by_key_implILNS1_25lookback_scan_determinismE0ELb1ES3_N6thrust23THRUST_200600_302600_NS6detail15normal_iteratorINS9_10device_ptrIxEEEESE_SE_iNS9_4plusIvEENS9_8equal_toIvEEiEE10hipError_tPvRmT2_T3_T4_T5_mT6_T7_P12ihipStream_tbENKUlT_T0_E_clISt17integral_constantIbLb0EESY_IbLb1EEEEDaSU_SV_EUlSU_E_NS1_11comp_targetILNS1_3genE4ELNS1_11target_archE910ELNS1_3gpuE8ELNS1_3repE0EEENS1_30default_config_static_selectorELNS0_4arch9wavefront6targetE0EEEvT1_.num_agpr, 0
	.set _ZN7rocprim17ROCPRIM_400000_NS6detail17trampoline_kernelINS0_14default_configENS1_27scan_by_key_config_selectorIxiEEZZNS1_16scan_by_key_implILNS1_25lookback_scan_determinismE0ELb1ES3_N6thrust23THRUST_200600_302600_NS6detail15normal_iteratorINS9_10device_ptrIxEEEESE_SE_iNS9_4plusIvEENS9_8equal_toIvEEiEE10hipError_tPvRmT2_T3_T4_T5_mT6_T7_P12ihipStream_tbENKUlT_T0_E_clISt17integral_constantIbLb0EESY_IbLb1EEEEDaSU_SV_EUlSU_E_NS1_11comp_targetILNS1_3genE4ELNS1_11target_archE910ELNS1_3gpuE8ELNS1_3repE0EEENS1_30default_config_static_selectorELNS0_4arch9wavefront6targetE0EEEvT1_.numbered_sgpr, 0
	.set _ZN7rocprim17ROCPRIM_400000_NS6detail17trampoline_kernelINS0_14default_configENS1_27scan_by_key_config_selectorIxiEEZZNS1_16scan_by_key_implILNS1_25lookback_scan_determinismE0ELb1ES3_N6thrust23THRUST_200600_302600_NS6detail15normal_iteratorINS9_10device_ptrIxEEEESE_SE_iNS9_4plusIvEENS9_8equal_toIvEEiEE10hipError_tPvRmT2_T3_T4_T5_mT6_T7_P12ihipStream_tbENKUlT_T0_E_clISt17integral_constantIbLb0EESY_IbLb1EEEEDaSU_SV_EUlSU_E_NS1_11comp_targetILNS1_3genE4ELNS1_11target_archE910ELNS1_3gpuE8ELNS1_3repE0EEENS1_30default_config_static_selectorELNS0_4arch9wavefront6targetE0EEEvT1_.num_named_barrier, 0
	.set _ZN7rocprim17ROCPRIM_400000_NS6detail17trampoline_kernelINS0_14default_configENS1_27scan_by_key_config_selectorIxiEEZZNS1_16scan_by_key_implILNS1_25lookback_scan_determinismE0ELb1ES3_N6thrust23THRUST_200600_302600_NS6detail15normal_iteratorINS9_10device_ptrIxEEEESE_SE_iNS9_4plusIvEENS9_8equal_toIvEEiEE10hipError_tPvRmT2_T3_T4_T5_mT6_T7_P12ihipStream_tbENKUlT_T0_E_clISt17integral_constantIbLb0EESY_IbLb1EEEEDaSU_SV_EUlSU_E_NS1_11comp_targetILNS1_3genE4ELNS1_11target_archE910ELNS1_3gpuE8ELNS1_3repE0EEENS1_30default_config_static_selectorELNS0_4arch9wavefront6targetE0EEEvT1_.private_seg_size, 0
	.set _ZN7rocprim17ROCPRIM_400000_NS6detail17trampoline_kernelINS0_14default_configENS1_27scan_by_key_config_selectorIxiEEZZNS1_16scan_by_key_implILNS1_25lookback_scan_determinismE0ELb1ES3_N6thrust23THRUST_200600_302600_NS6detail15normal_iteratorINS9_10device_ptrIxEEEESE_SE_iNS9_4plusIvEENS9_8equal_toIvEEiEE10hipError_tPvRmT2_T3_T4_T5_mT6_T7_P12ihipStream_tbENKUlT_T0_E_clISt17integral_constantIbLb0EESY_IbLb1EEEEDaSU_SV_EUlSU_E_NS1_11comp_targetILNS1_3genE4ELNS1_11target_archE910ELNS1_3gpuE8ELNS1_3repE0EEENS1_30default_config_static_selectorELNS0_4arch9wavefront6targetE0EEEvT1_.uses_vcc, 0
	.set _ZN7rocprim17ROCPRIM_400000_NS6detail17trampoline_kernelINS0_14default_configENS1_27scan_by_key_config_selectorIxiEEZZNS1_16scan_by_key_implILNS1_25lookback_scan_determinismE0ELb1ES3_N6thrust23THRUST_200600_302600_NS6detail15normal_iteratorINS9_10device_ptrIxEEEESE_SE_iNS9_4plusIvEENS9_8equal_toIvEEiEE10hipError_tPvRmT2_T3_T4_T5_mT6_T7_P12ihipStream_tbENKUlT_T0_E_clISt17integral_constantIbLb0EESY_IbLb1EEEEDaSU_SV_EUlSU_E_NS1_11comp_targetILNS1_3genE4ELNS1_11target_archE910ELNS1_3gpuE8ELNS1_3repE0EEENS1_30default_config_static_selectorELNS0_4arch9wavefront6targetE0EEEvT1_.uses_flat_scratch, 0
	.set _ZN7rocprim17ROCPRIM_400000_NS6detail17trampoline_kernelINS0_14default_configENS1_27scan_by_key_config_selectorIxiEEZZNS1_16scan_by_key_implILNS1_25lookback_scan_determinismE0ELb1ES3_N6thrust23THRUST_200600_302600_NS6detail15normal_iteratorINS9_10device_ptrIxEEEESE_SE_iNS9_4plusIvEENS9_8equal_toIvEEiEE10hipError_tPvRmT2_T3_T4_T5_mT6_T7_P12ihipStream_tbENKUlT_T0_E_clISt17integral_constantIbLb0EESY_IbLb1EEEEDaSU_SV_EUlSU_E_NS1_11comp_targetILNS1_3genE4ELNS1_11target_archE910ELNS1_3gpuE8ELNS1_3repE0EEENS1_30default_config_static_selectorELNS0_4arch9wavefront6targetE0EEEvT1_.has_dyn_sized_stack, 0
	.set _ZN7rocprim17ROCPRIM_400000_NS6detail17trampoline_kernelINS0_14default_configENS1_27scan_by_key_config_selectorIxiEEZZNS1_16scan_by_key_implILNS1_25lookback_scan_determinismE0ELb1ES3_N6thrust23THRUST_200600_302600_NS6detail15normal_iteratorINS9_10device_ptrIxEEEESE_SE_iNS9_4plusIvEENS9_8equal_toIvEEiEE10hipError_tPvRmT2_T3_T4_T5_mT6_T7_P12ihipStream_tbENKUlT_T0_E_clISt17integral_constantIbLb0EESY_IbLb1EEEEDaSU_SV_EUlSU_E_NS1_11comp_targetILNS1_3genE4ELNS1_11target_archE910ELNS1_3gpuE8ELNS1_3repE0EEENS1_30default_config_static_selectorELNS0_4arch9wavefront6targetE0EEEvT1_.has_recursion, 0
	.set _ZN7rocprim17ROCPRIM_400000_NS6detail17trampoline_kernelINS0_14default_configENS1_27scan_by_key_config_selectorIxiEEZZNS1_16scan_by_key_implILNS1_25lookback_scan_determinismE0ELb1ES3_N6thrust23THRUST_200600_302600_NS6detail15normal_iteratorINS9_10device_ptrIxEEEESE_SE_iNS9_4plusIvEENS9_8equal_toIvEEiEE10hipError_tPvRmT2_T3_T4_T5_mT6_T7_P12ihipStream_tbENKUlT_T0_E_clISt17integral_constantIbLb0EESY_IbLb1EEEEDaSU_SV_EUlSU_E_NS1_11comp_targetILNS1_3genE4ELNS1_11target_archE910ELNS1_3gpuE8ELNS1_3repE0EEENS1_30default_config_static_selectorELNS0_4arch9wavefront6targetE0EEEvT1_.has_indirect_call, 0
	.section	.AMDGPU.csdata,"",@progbits
; Kernel info:
; codeLenInByte = 0
; TotalNumSgprs: 0
; NumVgprs: 0
; ScratchSize: 0
; MemoryBound: 0
; FloatMode: 240
; IeeeMode: 1
; LDSByteSize: 0 bytes/workgroup (compile time only)
; SGPRBlocks: 0
; VGPRBlocks: 0
; NumSGPRsForWavesPerEU: 1
; NumVGPRsForWavesPerEU: 1
; NamedBarCnt: 0
; Occupancy: 16
; WaveLimiterHint : 0
; COMPUTE_PGM_RSRC2:SCRATCH_EN: 0
; COMPUTE_PGM_RSRC2:USER_SGPR: 2
; COMPUTE_PGM_RSRC2:TRAP_HANDLER: 0
; COMPUTE_PGM_RSRC2:TGID_X_EN: 1
; COMPUTE_PGM_RSRC2:TGID_Y_EN: 0
; COMPUTE_PGM_RSRC2:TGID_Z_EN: 0
; COMPUTE_PGM_RSRC2:TIDIG_COMP_CNT: 0
	.section	.text._ZN7rocprim17ROCPRIM_400000_NS6detail17trampoline_kernelINS0_14default_configENS1_27scan_by_key_config_selectorIxiEEZZNS1_16scan_by_key_implILNS1_25lookback_scan_determinismE0ELb1ES3_N6thrust23THRUST_200600_302600_NS6detail15normal_iteratorINS9_10device_ptrIxEEEESE_SE_iNS9_4plusIvEENS9_8equal_toIvEEiEE10hipError_tPvRmT2_T3_T4_T5_mT6_T7_P12ihipStream_tbENKUlT_T0_E_clISt17integral_constantIbLb0EESY_IbLb1EEEEDaSU_SV_EUlSU_E_NS1_11comp_targetILNS1_3genE3ELNS1_11target_archE908ELNS1_3gpuE7ELNS1_3repE0EEENS1_30default_config_static_selectorELNS0_4arch9wavefront6targetE0EEEvT1_,"axG",@progbits,_ZN7rocprim17ROCPRIM_400000_NS6detail17trampoline_kernelINS0_14default_configENS1_27scan_by_key_config_selectorIxiEEZZNS1_16scan_by_key_implILNS1_25lookback_scan_determinismE0ELb1ES3_N6thrust23THRUST_200600_302600_NS6detail15normal_iteratorINS9_10device_ptrIxEEEESE_SE_iNS9_4plusIvEENS9_8equal_toIvEEiEE10hipError_tPvRmT2_T3_T4_T5_mT6_T7_P12ihipStream_tbENKUlT_T0_E_clISt17integral_constantIbLb0EESY_IbLb1EEEEDaSU_SV_EUlSU_E_NS1_11comp_targetILNS1_3genE3ELNS1_11target_archE908ELNS1_3gpuE7ELNS1_3repE0EEENS1_30default_config_static_selectorELNS0_4arch9wavefront6targetE0EEEvT1_,comdat
	.protected	_ZN7rocprim17ROCPRIM_400000_NS6detail17trampoline_kernelINS0_14default_configENS1_27scan_by_key_config_selectorIxiEEZZNS1_16scan_by_key_implILNS1_25lookback_scan_determinismE0ELb1ES3_N6thrust23THRUST_200600_302600_NS6detail15normal_iteratorINS9_10device_ptrIxEEEESE_SE_iNS9_4plusIvEENS9_8equal_toIvEEiEE10hipError_tPvRmT2_T3_T4_T5_mT6_T7_P12ihipStream_tbENKUlT_T0_E_clISt17integral_constantIbLb0EESY_IbLb1EEEEDaSU_SV_EUlSU_E_NS1_11comp_targetILNS1_3genE3ELNS1_11target_archE908ELNS1_3gpuE7ELNS1_3repE0EEENS1_30default_config_static_selectorELNS0_4arch9wavefront6targetE0EEEvT1_ ; -- Begin function _ZN7rocprim17ROCPRIM_400000_NS6detail17trampoline_kernelINS0_14default_configENS1_27scan_by_key_config_selectorIxiEEZZNS1_16scan_by_key_implILNS1_25lookback_scan_determinismE0ELb1ES3_N6thrust23THRUST_200600_302600_NS6detail15normal_iteratorINS9_10device_ptrIxEEEESE_SE_iNS9_4plusIvEENS9_8equal_toIvEEiEE10hipError_tPvRmT2_T3_T4_T5_mT6_T7_P12ihipStream_tbENKUlT_T0_E_clISt17integral_constantIbLb0EESY_IbLb1EEEEDaSU_SV_EUlSU_E_NS1_11comp_targetILNS1_3genE3ELNS1_11target_archE908ELNS1_3gpuE7ELNS1_3repE0EEENS1_30default_config_static_selectorELNS0_4arch9wavefront6targetE0EEEvT1_
	.globl	_ZN7rocprim17ROCPRIM_400000_NS6detail17trampoline_kernelINS0_14default_configENS1_27scan_by_key_config_selectorIxiEEZZNS1_16scan_by_key_implILNS1_25lookback_scan_determinismE0ELb1ES3_N6thrust23THRUST_200600_302600_NS6detail15normal_iteratorINS9_10device_ptrIxEEEESE_SE_iNS9_4plusIvEENS9_8equal_toIvEEiEE10hipError_tPvRmT2_T3_T4_T5_mT6_T7_P12ihipStream_tbENKUlT_T0_E_clISt17integral_constantIbLb0EESY_IbLb1EEEEDaSU_SV_EUlSU_E_NS1_11comp_targetILNS1_3genE3ELNS1_11target_archE908ELNS1_3gpuE7ELNS1_3repE0EEENS1_30default_config_static_selectorELNS0_4arch9wavefront6targetE0EEEvT1_
	.p2align	8
	.type	_ZN7rocprim17ROCPRIM_400000_NS6detail17trampoline_kernelINS0_14default_configENS1_27scan_by_key_config_selectorIxiEEZZNS1_16scan_by_key_implILNS1_25lookback_scan_determinismE0ELb1ES3_N6thrust23THRUST_200600_302600_NS6detail15normal_iteratorINS9_10device_ptrIxEEEESE_SE_iNS9_4plusIvEENS9_8equal_toIvEEiEE10hipError_tPvRmT2_T3_T4_T5_mT6_T7_P12ihipStream_tbENKUlT_T0_E_clISt17integral_constantIbLb0EESY_IbLb1EEEEDaSU_SV_EUlSU_E_NS1_11comp_targetILNS1_3genE3ELNS1_11target_archE908ELNS1_3gpuE7ELNS1_3repE0EEENS1_30default_config_static_selectorELNS0_4arch9wavefront6targetE0EEEvT1_,@function
_ZN7rocprim17ROCPRIM_400000_NS6detail17trampoline_kernelINS0_14default_configENS1_27scan_by_key_config_selectorIxiEEZZNS1_16scan_by_key_implILNS1_25lookback_scan_determinismE0ELb1ES3_N6thrust23THRUST_200600_302600_NS6detail15normal_iteratorINS9_10device_ptrIxEEEESE_SE_iNS9_4plusIvEENS9_8equal_toIvEEiEE10hipError_tPvRmT2_T3_T4_T5_mT6_T7_P12ihipStream_tbENKUlT_T0_E_clISt17integral_constantIbLb0EESY_IbLb1EEEEDaSU_SV_EUlSU_E_NS1_11comp_targetILNS1_3genE3ELNS1_11target_archE908ELNS1_3gpuE7ELNS1_3repE0EEENS1_30default_config_static_selectorELNS0_4arch9wavefront6targetE0EEEvT1_: ; @_ZN7rocprim17ROCPRIM_400000_NS6detail17trampoline_kernelINS0_14default_configENS1_27scan_by_key_config_selectorIxiEEZZNS1_16scan_by_key_implILNS1_25lookback_scan_determinismE0ELb1ES3_N6thrust23THRUST_200600_302600_NS6detail15normal_iteratorINS9_10device_ptrIxEEEESE_SE_iNS9_4plusIvEENS9_8equal_toIvEEiEE10hipError_tPvRmT2_T3_T4_T5_mT6_T7_P12ihipStream_tbENKUlT_T0_E_clISt17integral_constantIbLb0EESY_IbLb1EEEEDaSU_SV_EUlSU_E_NS1_11comp_targetILNS1_3genE3ELNS1_11target_archE908ELNS1_3gpuE7ELNS1_3repE0EEENS1_30default_config_static_selectorELNS0_4arch9wavefront6targetE0EEEvT1_
; %bb.0:
	.section	.rodata,"a",@progbits
	.p2align	6, 0x0
	.amdhsa_kernel _ZN7rocprim17ROCPRIM_400000_NS6detail17trampoline_kernelINS0_14default_configENS1_27scan_by_key_config_selectorIxiEEZZNS1_16scan_by_key_implILNS1_25lookback_scan_determinismE0ELb1ES3_N6thrust23THRUST_200600_302600_NS6detail15normal_iteratorINS9_10device_ptrIxEEEESE_SE_iNS9_4plusIvEENS9_8equal_toIvEEiEE10hipError_tPvRmT2_T3_T4_T5_mT6_T7_P12ihipStream_tbENKUlT_T0_E_clISt17integral_constantIbLb0EESY_IbLb1EEEEDaSU_SV_EUlSU_E_NS1_11comp_targetILNS1_3genE3ELNS1_11target_archE908ELNS1_3gpuE7ELNS1_3repE0EEENS1_30default_config_static_selectorELNS0_4arch9wavefront6targetE0EEEvT1_
		.amdhsa_group_segment_fixed_size 0
		.amdhsa_private_segment_fixed_size 0
		.amdhsa_kernarg_size 112
		.amdhsa_user_sgpr_count 2
		.amdhsa_user_sgpr_dispatch_ptr 0
		.amdhsa_user_sgpr_queue_ptr 0
		.amdhsa_user_sgpr_kernarg_segment_ptr 1
		.amdhsa_user_sgpr_dispatch_id 0
		.amdhsa_user_sgpr_kernarg_preload_length 0
		.amdhsa_user_sgpr_kernarg_preload_offset 0
		.amdhsa_user_sgpr_private_segment_size 0
		.amdhsa_wavefront_size32 1
		.amdhsa_uses_dynamic_stack 0
		.amdhsa_enable_private_segment 0
		.amdhsa_system_sgpr_workgroup_id_x 1
		.amdhsa_system_sgpr_workgroup_id_y 0
		.amdhsa_system_sgpr_workgroup_id_z 0
		.amdhsa_system_sgpr_workgroup_info 0
		.amdhsa_system_vgpr_workitem_id 0
		.amdhsa_next_free_vgpr 1
		.amdhsa_next_free_sgpr 1
		.amdhsa_named_barrier_count 0
		.amdhsa_reserve_vcc 0
		.amdhsa_float_round_mode_32 0
		.amdhsa_float_round_mode_16_64 0
		.amdhsa_float_denorm_mode_32 3
		.amdhsa_float_denorm_mode_16_64 3
		.amdhsa_fp16_overflow 0
		.amdhsa_memory_ordered 1
		.amdhsa_forward_progress 1
		.amdhsa_inst_pref_size 0
		.amdhsa_round_robin_scheduling 0
		.amdhsa_exception_fp_ieee_invalid_op 0
		.amdhsa_exception_fp_denorm_src 0
		.amdhsa_exception_fp_ieee_div_zero 0
		.amdhsa_exception_fp_ieee_overflow 0
		.amdhsa_exception_fp_ieee_underflow 0
		.amdhsa_exception_fp_ieee_inexact 0
		.amdhsa_exception_int_div_zero 0
	.end_amdhsa_kernel
	.section	.text._ZN7rocprim17ROCPRIM_400000_NS6detail17trampoline_kernelINS0_14default_configENS1_27scan_by_key_config_selectorIxiEEZZNS1_16scan_by_key_implILNS1_25lookback_scan_determinismE0ELb1ES3_N6thrust23THRUST_200600_302600_NS6detail15normal_iteratorINS9_10device_ptrIxEEEESE_SE_iNS9_4plusIvEENS9_8equal_toIvEEiEE10hipError_tPvRmT2_T3_T4_T5_mT6_T7_P12ihipStream_tbENKUlT_T0_E_clISt17integral_constantIbLb0EESY_IbLb1EEEEDaSU_SV_EUlSU_E_NS1_11comp_targetILNS1_3genE3ELNS1_11target_archE908ELNS1_3gpuE7ELNS1_3repE0EEENS1_30default_config_static_selectorELNS0_4arch9wavefront6targetE0EEEvT1_,"axG",@progbits,_ZN7rocprim17ROCPRIM_400000_NS6detail17trampoline_kernelINS0_14default_configENS1_27scan_by_key_config_selectorIxiEEZZNS1_16scan_by_key_implILNS1_25lookback_scan_determinismE0ELb1ES3_N6thrust23THRUST_200600_302600_NS6detail15normal_iteratorINS9_10device_ptrIxEEEESE_SE_iNS9_4plusIvEENS9_8equal_toIvEEiEE10hipError_tPvRmT2_T3_T4_T5_mT6_T7_P12ihipStream_tbENKUlT_T0_E_clISt17integral_constantIbLb0EESY_IbLb1EEEEDaSU_SV_EUlSU_E_NS1_11comp_targetILNS1_3genE3ELNS1_11target_archE908ELNS1_3gpuE7ELNS1_3repE0EEENS1_30default_config_static_selectorELNS0_4arch9wavefront6targetE0EEEvT1_,comdat
.Lfunc_end1036:
	.size	_ZN7rocprim17ROCPRIM_400000_NS6detail17trampoline_kernelINS0_14default_configENS1_27scan_by_key_config_selectorIxiEEZZNS1_16scan_by_key_implILNS1_25lookback_scan_determinismE0ELb1ES3_N6thrust23THRUST_200600_302600_NS6detail15normal_iteratorINS9_10device_ptrIxEEEESE_SE_iNS9_4plusIvEENS9_8equal_toIvEEiEE10hipError_tPvRmT2_T3_T4_T5_mT6_T7_P12ihipStream_tbENKUlT_T0_E_clISt17integral_constantIbLb0EESY_IbLb1EEEEDaSU_SV_EUlSU_E_NS1_11comp_targetILNS1_3genE3ELNS1_11target_archE908ELNS1_3gpuE7ELNS1_3repE0EEENS1_30default_config_static_selectorELNS0_4arch9wavefront6targetE0EEEvT1_, .Lfunc_end1036-_ZN7rocprim17ROCPRIM_400000_NS6detail17trampoline_kernelINS0_14default_configENS1_27scan_by_key_config_selectorIxiEEZZNS1_16scan_by_key_implILNS1_25lookback_scan_determinismE0ELb1ES3_N6thrust23THRUST_200600_302600_NS6detail15normal_iteratorINS9_10device_ptrIxEEEESE_SE_iNS9_4plusIvEENS9_8equal_toIvEEiEE10hipError_tPvRmT2_T3_T4_T5_mT6_T7_P12ihipStream_tbENKUlT_T0_E_clISt17integral_constantIbLb0EESY_IbLb1EEEEDaSU_SV_EUlSU_E_NS1_11comp_targetILNS1_3genE3ELNS1_11target_archE908ELNS1_3gpuE7ELNS1_3repE0EEENS1_30default_config_static_selectorELNS0_4arch9wavefront6targetE0EEEvT1_
                                        ; -- End function
	.set _ZN7rocprim17ROCPRIM_400000_NS6detail17trampoline_kernelINS0_14default_configENS1_27scan_by_key_config_selectorIxiEEZZNS1_16scan_by_key_implILNS1_25lookback_scan_determinismE0ELb1ES3_N6thrust23THRUST_200600_302600_NS6detail15normal_iteratorINS9_10device_ptrIxEEEESE_SE_iNS9_4plusIvEENS9_8equal_toIvEEiEE10hipError_tPvRmT2_T3_T4_T5_mT6_T7_P12ihipStream_tbENKUlT_T0_E_clISt17integral_constantIbLb0EESY_IbLb1EEEEDaSU_SV_EUlSU_E_NS1_11comp_targetILNS1_3genE3ELNS1_11target_archE908ELNS1_3gpuE7ELNS1_3repE0EEENS1_30default_config_static_selectorELNS0_4arch9wavefront6targetE0EEEvT1_.num_vgpr, 0
	.set _ZN7rocprim17ROCPRIM_400000_NS6detail17trampoline_kernelINS0_14default_configENS1_27scan_by_key_config_selectorIxiEEZZNS1_16scan_by_key_implILNS1_25lookback_scan_determinismE0ELb1ES3_N6thrust23THRUST_200600_302600_NS6detail15normal_iteratorINS9_10device_ptrIxEEEESE_SE_iNS9_4plusIvEENS9_8equal_toIvEEiEE10hipError_tPvRmT2_T3_T4_T5_mT6_T7_P12ihipStream_tbENKUlT_T0_E_clISt17integral_constantIbLb0EESY_IbLb1EEEEDaSU_SV_EUlSU_E_NS1_11comp_targetILNS1_3genE3ELNS1_11target_archE908ELNS1_3gpuE7ELNS1_3repE0EEENS1_30default_config_static_selectorELNS0_4arch9wavefront6targetE0EEEvT1_.num_agpr, 0
	.set _ZN7rocprim17ROCPRIM_400000_NS6detail17trampoline_kernelINS0_14default_configENS1_27scan_by_key_config_selectorIxiEEZZNS1_16scan_by_key_implILNS1_25lookback_scan_determinismE0ELb1ES3_N6thrust23THRUST_200600_302600_NS6detail15normal_iteratorINS9_10device_ptrIxEEEESE_SE_iNS9_4plusIvEENS9_8equal_toIvEEiEE10hipError_tPvRmT2_T3_T4_T5_mT6_T7_P12ihipStream_tbENKUlT_T0_E_clISt17integral_constantIbLb0EESY_IbLb1EEEEDaSU_SV_EUlSU_E_NS1_11comp_targetILNS1_3genE3ELNS1_11target_archE908ELNS1_3gpuE7ELNS1_3repE0EEENS1_30default_config_static_selectorELNS0_4arch9wavefront6targetE0EEEvT1_.numbered_sgpr, 0
	.set _ZN7rocprim17ROCPRIM_400000_NS6detail17trampoline_kernelINS0_14default_configENS1_27scan_by_key_config_selectorIxiEEZZNS1_16scan_by_key_implILNS1_25lookback_scan_determinismE0ELb1ES3_N6thrust23THRUST_200600_302600_NS6detail15normal_iteratorINS9_10device_ptrIxEEEESE_SE_iNS9_4plusIvEENS9_8equal_toIvEEiEE10hipError_tPvRmT2_T3_T4_T5_mT6_T7_P12ihipStream_tbENKUlT_T0_E_clISt17integral_constantIbLb0EESY_IbLb1EEEEDaSU_SV_EUlSU_E_NS1_11comp_targetILNS1_3genE3ELNS1_11target_archE908ELNS1_3gpuE7ELNS1_3repE0EEENS1_30default_config_static_selectorELNS0_4arch9wavefront6targetE0EEEvT1_.num_named_barrier, 0
	.set _ZN7rocprim17ROCPRIM_400000_NS6detail17trampoline_kernelINS0_14default_configENS1_27scan_by_key_config_selectorIxiEEZZNS1_16scan_by_key_implILNS1_25lookback_scan_determinismE0ELb1ES3_N6thrust23THRUST_200600_302600_NS6detail15normal_iteratorINS9_10device_ptrIxEEEESE_SE_iNS9_4plusIvEENS9_8equal_toIvEEiEE10hipError_tPvRmT2_T3_T4_T5_mT6_T7_P12ihipStream_tbENKUlT_T0_E_clISt17integral_constantIbLb0EESY_IbLb1EEEEDaSU_SV_EUlSU_E_NS1_11comp_targetILNS1_3genE3ELNS1_11target_archE908ELNS1_3gpuE7ELNS1_3repE0EEENS1_30default_config_static_selectorELNS0_4arch9wavefront6targetE0EEEvT1_.private_seg_size, 0
	.set _ZN7rocprim17ROCPRIM_400000_NS6detail17trampoline_kernelINS0_14default_configENS1_27scan_by_key_config_selectorIxiEEZZNS1_16scan_by_key_implILNS1_25lookback_scan_determinismE0ELb1ES3_N6thrust23THRUST_200600_302600_NS6detail15normal_iteratorINS9_10device_ptrIxEEEESE_SE_iNS9_4plusIvEENS9_8equal_toIvEEiEE10hipError_tPvRmT2_T3_T4_T5_mT6_T7_P12ihipStream_tbENKUlT_T0_E_clISt17integral_constantIbLb0EESY_IbLb1EEEEDaSU_SV_EUlSU_E_NS1_11comp_targetILNS1_3genE3ELNS1_11target_archE908ELNS1_3gpuE7ELNS1_3repE0EEENS1_30default_config_static_selectorELNS0_4arch9wavefront6targetE0EEEvT1_.uses_vcc, 0
	.set _ZN7rocprim17ROCPRIM_400000_NS6detail17trampoline_kernelINS0_14default_configENS1_27scan_by_key_config_selectorIxiEEZZNS1_16scan_by_key_implILNS1_25lookback_scan_determinismE0ELb1ES3_N6thrust23THRUST_200600_302600_NS6detail15normal_iteratorINS9_10device_ptrIxEEEESE_SE_iNS9_4plusIvEENS9_8equal_toIvEEiEE10hipError_tPvRmT2_T3_T4_T5_mT6_T7_P12ihipStream_tbENKUlT_T0_E_clISt17integral_constantIbLb0EESY_IbLb1EEEEDaSU_SV_EUlSU_E_NS1_11comp_targetILNS1_3genE3ELNS1_11target_archE908ELNS1_3gpuE7ELNS1_3repE0EEENS1_30default_config_static_selectorELNS0_4arch9wavefront6targetE0EEEvT1_.uses_flat_scratch, 0
	.set _ZN7rocprim17ROCPRIM_400000_NS6detail17trampoline_kernelINS0_14default_configENS1_27scan_by_key_config_selectorIxiEEZZNS1_16scan_by_key_implILNS1_25lookback_scan_determinismE0ELb1ES3_N6thrust23THRUST_200600_302600_NS6detail15normal_iteratorINS9_10device_ptrIxEEEESE_SE_iNS9_4plusIvEENS9_8equal_toIvEEiEE10hipError_tPvRmT2_T3_T4_T5_mT6_T7_P12ihipStream_tbENKUlT_T0_E_clISt17integral_constantIbLb0EESY_IbLb1EEEEDaSU_SV_EUlSU_E_NS1_11comp_targetILNS1_3genE3ELNS1_11target_archE908ELNS1_3gpuE7ELNS1_3repE0EEENS1_30default_config_static_selectorELNS0_4arch9wavefront6targetE0EEEvT1_.has_dyn_sized_stack, 0
	.set _ZN7rocprim17ROCPRIM_400000_NS6detail17trampoline_kernelINS0_14default_configENS1_27scan_by_key_config_selectorIxiEEZZNS1_16scan_by_key_implILNS1_25lookback_scan_determinismE0ELb1ES3_N6thrust23THRUST_200600_302600_NS6detail15normal_iteratorINS9_10device_ptrIxEEEESE_SE_iNS9_4plusIvEENS9_8equal_toIvEEiEE10hipError_tPvRmT2_T3_T4_T5_mT6_T7_P12ihipStream_tbENKUlT_T0_E_clISt17integral_constantIbLb0EESY_IbLb1EEEEDaSU_SV_EUlSU_E_NS1_11comp_targetILNS1_3genE3ELNS1_11target_archE908ELNS1_3gpuE7ELNS1_3repE0EEENS1_30default_config_static_selectorELNS0_4arch9wavefront6targetE0EEEvT1_.has_recursion, 0
	.set _ZN7rocprim17ROCPRIM_400000_NS6detail17trampoline_kernelINS0_14default_configENS1_27scan_by_key_config_selectorIxiEEZZNS1_16scan_by_key_implILNS1_25lookback_scan_determinismE0ELb1ES3_N6thrust23THRUST_200600_302600_NS6detail15normal_iteratorINS9_10device_ptrIxEEEESE_SE_iNS9_4plusIvEENS9_8equal_toIvEEiEE10hipError_tPvRmT2_T3_T4_T5_mT6_T7_P12ihipStream_tbENKUlT_T0_E_clISt17integral_constantIbLb0EESY_IbLb1EEEEDaSU_SV_EUlSU_E_NS1_11comp_targetILNS1_3genE3ELNS1_11target_archE908ELNS1_3gpuE7ELNS1_3repE0EEENS1_30default_config_static_selectorELNS0_4arch9wavefront6targetE0EEEvT1_.has_indirect_call, 0
	.section	.AMDGPU.csdata,"",@progbits
; Kernel info:
; codeLenInByte = 0
; TotalNumSgprs: 0
; NumVgprs: 0
; ScratchSize: 0
; MemoryBound: 0
; FloatMode: 240
; IeeeMode: 1
; LDSByteSize: 0 bytes/workgroup (compile time only)
; SGPRBlocks: 0
; VGPRBlocks: 0
; NumSGPRsForWavesPerEU: 1
; NumVGPRsForWavesPerEU: 1
; NamedBarCnt: 0
; Occupancy: 16
; WaveLimiterHint : 0
; COMPUTE_PGM_RSRC2:SCRATCH_EN: 0
; COMPUTE_PGM_RSRC2:USER_SGPR: 2
; COMPUTE_PGM_RSRC2:TRAP_HANDLER: 0
; COMPUTE_PGM_RSRC2:TGID_X_EN: 1
; COMPUTE_PGM_RSRC2:TGID_Y_EN: 0
; COMPUTE_PGM_RSRC2:TGID_Z_EN: 0
; COMPUTE_PGM_RSRC2:TIDIG_COMP_CNT: 0
	.section	.text._ZN7rocprim17ROCPRIM_400000_NS6detail17trampoline_kernelINS0_14default_configENS1_27scan_by_key_config_selectorIxiEEZZNS1_16scan_by_key_implILNS1_25lookback_scan_determinismE0ELb1ES3_N6thrust23THRUST_200600_302600_NS6detail15normal_iteratorINS9_10device_ptrIxEEEESE_SE_iNS9_4plusIvEENS9_8equal_toIvEEiEE10hipError_tPvRmT2_T3_T4_T5_mT6_T7_P12ihipStream_tbENKUlT_T0_E_clISt17integral_constantIbLb0EESY_IbLb1EEEEDaSU_SV_EUlSU_E_NS1_11comp_targetILNS1_3genE2ELNS1_11target_archE906ELNS1_3gpuE6ELNS1_3repE0EEENS1_30default_config_static_selectorELNS0_4arch9wavefront6targetE0EEEvT1_,"axG",@progbits,_ZN7rocprim17ROCPRIM_400000_NS6detail17trampoline_kernelINS0_14default_configENS1_27scan_by_key_config_selectorIxiEEZZNS1_16scan_by_key_implILNS1_25lookback_scan_determinismE0ELb1ES3_N6thrust23THRUST_200600_302600_NS6detail15normal_iteratorINS9_10device_ptrIxEEEESE_SE_iNS9_4plusIvEENS9_8equal_toIvEEiEE10hipError_tPvRmT2_T3_T4_T5_mT6_T7_P12ihipStream_tbENKUlT_T0_E_clISt17integral_constantIbLb0EESY_IbLb1EEEEDaSU_SV_EUlSU_E_NS1_11comp_targetILNS1_3genE2ELNS1_11target_archE906ELNS1_3gpuE6ELNS1_3repE0EEENS1_30default_config_static_selectorELNS0_4arch9wavefront6targetE0EEEvT1_,comdat
	.protected	_ZN7rocprim17ROCPRIM_400000_NS6detail17trampoline_kernelINS0_14default_configENS1_27scan_by_key_config_selectorIxiEEZZNS1_16scan_by_key_implILNS1_25lookback_scan_determinismE0ELb1ES3_N6thrust23THRUST_200600_302600_NS6detail15normal_iteratorINS9_10device_ptrIxEEEESE_SE_iNS9_4plusIvEENS9_8equal_toIvEEiEE10hipError_tPvRmT2_T3_T4_T5_mT6_T7_P12ihipStream_tbENKUlT_T0_E_clISt17integral_constantIbLb0EESY_IbLb1EEEEDaSU_SV_EUlSU_E_NS1_11comp_targetILNS1_3genE2ELNS1_11target_archE906ELNS1_3gpuE6ELNS1_3repE0EEENS1_30default_config_static_selectorELNS0_4arch9wavefront6targetE0EEEvT1_ ; -- Begin function _ZN7rocprim17ROCPRIM_400000_NS6detail17trampoline_kernelINS0_14default_configENS1_27scan_by_key_config_selectorIxiEEZZNS1_16scan_by_key_implILNS1_25lookback_scan_determinismE0ELb1ES3_N6thrust23THRUST_200600_302600_NS6detail15normal_iteratorINS9_10device_ptrIxEEEESE_SE_iNS9_4plusIvEENS9_8equal_toIvEEiEE10hipError_tPvRmT2_T3_T4_T5_mT6_T7_P12ihipStream_tbENKUlT_T0_E_clISt17integral_constantIbLb0EESY_IbLb1EEEEDaSU_SV_EUlSU_E_NS1_11comp_targetILNS1_3genE2ELNS1_11target_archE906ELNS1_3gpuE6ELNS1_3repE0EEENS1_30default_config_static_selectorELNS0_4arch9wavefront6targetE0EEEvT1_
	.globl	_ZN7rocprim17ROCPRIM_400000_NS6detail17trampoline_kernelINS0_14default_configENS1_27scan_by_key_config_selectorIxiEEZZNS1_16scan_by_key_implILNS1_25lookback_scan_determinismE0ELb1ES3_N6thrust23THRUST_200600_302600_NS6detail15normal_iteratorINS9_10device_ptrIxEEEESE_SE_iNS9_4plusIvEENS9_8equal_toIvEEiEE10hipError_tPvRmT2_T3_T4_T5_mT6_T7_P12ihipStream_tbENKUlT_T0_E_clISt17integral_constantIbLb0EESY_IbLb1EEEEDaSU_SV_EUlSU_E_NS1_11comp_targetILNS1_3genE2ELNS1_11target_archE906ELNS1_3gpuE6ELNS1_3repE0EEENS1_30default_config_static_selectorELNS0_4arch9wavefront6targetE0EEEvT1_
	.p2align	8
	.type	_ZN7rocprim17ROCPRIM_400000_NS6detail17trampoline_kernelINS0_14default_configENS1_27scan_by_key_config_selectorIxiEEZZNS1_16scan_by_key_implILNS1_25lookback_scan_determinismE0ELb1ES3_N6thrust23THRUST_200600_302600_NS6detail15normal_iteratorINS9_10device_ptrIxEEEESE_SE_iNS9_4plusIvEENS9_8equal_toIvEEiEE10hipError_tPvRmT2_T3_T4_T5_mT6_T7_P12ihipStream_tbENKUlT_T0_E_clISt17integral_constantIbLb0EESY_IbLb1EEEEDaSU_SV_EUlSU_E_NS1_11comp_targetILNS1_3genE2ELNS1_11target_archE906ELNS1_3gpuE6ELNS1_3repE0EEENS1_30default_config_static_selectorELNS0_4arch9wavefront6targetE0EEEvT1_,@function
_ZN7rocprim17ROCPRIM_400000_NS6detail17trampoline_kernelINS0_14default_configENS1_27scan_by_key_config_selectorIxiEEZZNS1_16scan_by_key_implILNS1_25lookback_scan_determinismE0ELb1ES3_N6thrust23THRUST_200600_302600_NS6detail15normal_iteratorINS9_10device_ptrIxEEEESE_SE_iNS9_4plusIvEENS9_8equal_toIvEEiEE10hipError_tPvRmT2_T3_T4_T5_mT6_T7_P12ihipStream_tbENKUlT_T0_E_clISt17integral_constantIbLb0EESY_IbLb1EEEEDaSU_SV_EUlSU_E_NS1_11comp_targetILNS1_3genE2ELNS1_11target_archE906ELNS1_3gpuE6ELNS1_3repE0EEENS1_30default_config_static_selectorELNS0_4arch9wavefront6targetE0EEEvT1_: ; @_ZN7rocprim17ROCPRIM_400000_NS6detail17trampoline_kernelINS0_14default_configENS1_27scan_by_key_config_selectorIxiEEZZNS1_16scan_by_key_implILNS1_25lookback_scan_determinismE0ELb1ES3_N6thrust23THRUST_200600_302600_NS6detail15normal_iteratorINS9_10device_ptrIxEEEESE_SE_iNS9_4plusIvEENS9_8equal_toIvEEiEE10hipError_tPvRmT2_T3_T4_T5_mT6_T7_P12ihipStream_tbENKUlT_T0_E_clISt17integral_constantIbLb0EESY_IbLb1EEEEDaSU_SV_EUlSU_E_NS1_11comp_targetILNS1_3genE2ELNS1_11target_archE906ELNS1_3gpuE6ELNS1_3repE0EEENS1_30default_config_static_selectorELNS0_4arch9wavefront6targetE0EEEvT1_
; %bb.0:
	.section	.rodata,"a",@progbits
	.p2align	6, 0x0
	.amdhsa_kernel _ZN7rocprim17ROCPRIM_400000_NS6detail17trampoline_kernelINS0_14default_configENS1_27scan_by_key_config_selectorIxiEEZZNS1_16scan_by_key_implILNS1_25lookback_scan_determinismE0ELb1ES3_N6thrust23THRUST_200600_302600_NS6detail15normal_iteratorINS9_10device_ptrIxEEEESE_SE_iNS9_4plusIvEENS9_8equal_toIvEEiEE10hipError_tPvRmT2_T3_T4_T5_mT6_T7_P12ihipStream_tbENKUlT_T0_E_clISt17integral_constantIbLb0EESY_IbLb1EEEEDaSU_SV_EUlSU_E_NS1_11comp_targetILNS1_3genE2ELNS1_11target_archE906ELNS1_3gpuE6ELNS1_3repE0EEENS1_30default_config_static_selectorELNS0_4arch9wavefront6targetE0EEEvT1_
		.amdhsa_group_segment_fixed_size 0
		.amdhsa_private_segment_fixed_size 0
		.amdhsa_kernarg_size 112
		.amdhsa_user_sgpr_count 2
		.amdhsa_user_sgpr_dispatch_ptr 0
		.amdhsa_user_sgpr_queue_ptr 0
		.amdhsa_user_sgpr_kernarg_segment_ptr 1
		.amdhsa_user_sgpr_dispatch_id 0
		.amdhsa_user_sgpr_kernarg_preload_length 0
		.amdhsa_user_sgpr_kernarg_preload_offset 0
		.amdhsa_user_sgpr_private_segment_size 0
		.amdhsa_wavefront_size32 1
		.amdhsa_uses_dynamic_stack 0
		.amdhsa_enable_private_segment 0
		.amdhsa_system_sgpr_workgroup_id_x 1
		.amdhsa_system_sgpr_workgroup_id_y 0
		.amdhsa_system_sgpr_workgroup_id_z 0
		.amdhsa_system_sgpr_workgroup_info 0
		.amdhsa_system_vgpr_workitem_id 0
		.amdhsa_next_free_vgpr 1
		.amdhsa_next_free_sgpr 1
		.amdhsa_named_barrier_count 0
		.amdhsa_reserve_vcc 0
		.amdhsa_float_round_mode_32 0
		.amdhsa_float_round_mode_16_64 0
		.amdhsa_float_denorm_mode_32 3
		.amdhsa_float_denorm_mode_16_64 3
		.amdhsa_fp16_overflow 0
		.amdhsa_memory_ordered 1
		.amdhsa_forward_progress 1
		.amdhsa_inst_pref_size 0
		.amdhsa_round_robin_scheduling 0
		.amdhsa_exception_fp_ieee_invalid_op 0
		.amdhsa_exception_fp_denorm_src 0
		.amdhsa_exception_fp_ieee_div_zero 0
		.amdhsa_exception_fp_ieee_overflow 0
		.amdhsa_exception_fp_ieee_underflow 0
		.amdhsa_exception_fp_ieee_inexact 0
		.amdhsa_exception_int_div_zero 0
	.end_amdhsa_kernel
	.section	.text._ZN7rocprim17ROCPRIM_400000_NS6detail17trampoline_kernelINS0_14default_configENS1_27scan_by_key_config_selectorIxiEEZZNS1_16scan_by_key_implILNS1_25lookback_scan_determinismE0ELb1ES3_N6thrust23THRUST_200600_302600_NS6detail15normal_iteratorINS9_10device_ptrIxEEEESE_SE_iNS9_4plusIvEENS9_8equal_toIvEEiEE10hipError_tPvRmT2_T3_T4_T5_mT6_T7_P12ihipStream_tbENKUlT_T0_E_clISt17integral_constantIbLb0EESY_IbLb1EEEEDaSU_SV_EUlSU_E_NS1_11comp_targetILNS1_3genE2ELNS1_11target_archE906ELNS1_3gpuE6ELNS1_3repE0EEENS1_30default_config_static_selectorELNS0_4arch9wavefront6targetE0EEEvT1_,"axG",@progbits,_ZN7rocprim17ROCPRIM_400000_NS6detail17trampoline_kernelINS0_14default_configENS1_27scan_by_key_config_selectorIxiEEZZNS1_16scan_by_key_implILNS1_25lookback_scan_determinismE0ELb1ES3_N6thrust23THRUST_200600_302600_NS6detail15normal_iteratorINS9_10device_ptrIxEEEESE_SE_iNS9_4plusIvEENS9_8equal_toIvEEiEE10hipError_tPvRmT2_T3_T4_T5_mT6_T7_P12ihipStream_tbENKUlT_T0_E_clISt17integral_constantIbLb0EESY_IbLb1EEEEDaSU_SV_EUlSU_E_NS1_11comp_targetILNS1_3genE2ELNS1_11target_archE906ELNS1_3gpuE6ELNS1_3repE0EEENS1_30default_config_static_selectorELNS0_4arch9wavefront6targetE0EEEvT1_,comdat
.Lfunc_end1037:
	.size	_ZN7rocprim17ROCPRIM_400000_NS6detail17trampoline_kernelINS0_14default_configENS1_27scan_by_key_config_selectorIxiEEZZNS1_16scan_by_key_implILNS1_25lookback_scan_determinismE0ELb1ES3_N6thrust23THRUST_200600_302600_NS6detail15normal_iteratorINS9_10device_ptrIxEEEESE_SE_iNS9_4plusIvEENS9_8equal_toIvEEiEE10hipError_tPvRmT2_T3_T4_T5_mT6_T7_P12ihipStream_tbENKUlT_T0_E_clISt17integral_constantIbLb0EESY_IbLb1EEEEDaSU_SV_EUlSU_E_NS1_11comp_targetILNS1_3genE2ELNS1_11target_archE906ELNS1_3gpuE6ELNS1_3repE0EEENS1_30default_config_static_selectorELNS0_4arch9wavefront6targetE0EEEvT1_, .Lfunc_end1037-_ZN7rocprim17ROCPRIM_400000_NS6detail17trampoline_kernelINS0_14default_configENS1_27scan_by_key_config_selectorIxiEEZZNS1_16scan_by_key_implILNS1_25lookback_scan_determinismE0ELb1ES3_N6thrust23THRUST_200600_302600_NS6detail15normal_iteratorINS9_10device_ptrIxEEEESE_SE_iNS9_4plusIvEENS9_8equal_toIvEEiEE10hipError_tPvRmT2_T3_T4_T5_mT6_T7_P12ihipStream_tbENKUlT_T0_E_clISt17integral_constantIbLb0EESY_IbLb1EEEEDaSU_SV_EUlSU_E_NS1_11comp_targetILNS1_3genE2ELNS1_11target_archE906ELNS1_3gpuE6ELNS1_3repE0EEENS1_30default_config_static_selectorELNS0_4arch9wavefront6targetE0EEEvT1_
                                        ; -- End function
	.set _ZN7rocprim17ROCPRIM_400000_NS6detail17trampoline_kernelINS0_14default_configENS1_27scan_by_key_config_selectorIxiEEZZNS1_16scan_by_key_implILNS1_25lookback_scan_determinismE0ELb1ES3_N6thrust23THRUST_200600_302600_NS6detail15normal_iteratorINS9_10device_ptrIxEEEESE_SE_iNS9_4plusIvEENS9_8equal_toIvEEiEE10hipError_tPvRmT2_T3_T4_T5_mT6_T7_P12ihipStream_tbENKUlT_T0_E_clISt17integral_constantIbLb0EESY_IbLb1EEEEDaSU_SV_EUlSU_E_NS1_11comp_targetILNS1_3genE2ELNS1_11target_archE906ELNS1_3gpuE6ELNS1_3repE0EEENS1_30default_config_static_selectorELNS0_4arch9wavefront6targetE0EEEvT1_.num_vgpr, 0
	.set _ZN7rocprim17ROCPRIM_400000_NS6detail17trampoline_kernelINS0_14default_configENS1_27scan_by_key_config_selectorIxiEEZZNS1_16scan_by_key_implILNS1_25lookback_scan_determinismE0ELb1ES3_N6thrust23THRUST_200600_302600_NS6detail15normal_iteratorINS9_10device_ptrIxEEEESE_SE_iNS9_4plusIvEENS9_8equal_toIvEEiEE10hipError_tPvRmT2_T3_T4_T5_mT6_T7_P12ihipStream_tbENKUlT_T0_E_clISt17integral_constantIbLb0EESY_IbLb1EEEEDaSU_SV_EUlSU_E_NS1_11comp_targetILNS1_3genE2ELNS1_11target_archE906ELNS1_3gpuE6ELNS1_3repE0EEENS1_30default_config_static_selectorELNS0_4arch9wavefront6targetE0EEEvT1_.num_agpr, 0
	.set _ZN7rocprim17ROCPRIM_400000_NS6detail17trampoline_kernelINS0_14default_configENS1_27scan_by_key_config_selectorIxiEEZZNS1_16scan_by_key_implILNS1_25lookback_scan_determinismE0ELb1ES3_N6thrust23THRUST_200600_302600_NS6detail15normal_iteratorINS9_10device_ptrIxEEEESE_SE_iNS9_4plusIvEENS9_8equal_toIvEEiEE10hipError_tPvRmT2_T3_T4_T5_mT6_T7_P12ihipStream_tbENKUlT_T0_E_clISt17integral_constantIbLb0EESY_IbLb1EEEEDaSU_SV_EUlSU_E_NS1_11comp_targetILNS1_3genE2ELNS1_11target_archE906ELNS1_3gpuE6ELNS1_3repE0EEENS1_30default_config_static_selectorELNS0_4arch9wavefront6targetE0EEEvT1_.numbered_sgpr, 0
	.set _ZN7rocprim17ROCPRIM_400000_NS6detail17trampoline_kernelINS0_14default_configENS1_27scan_by_key_config_selectorIxiEEZZNS1_16scan_by_key_implILNS1_25lookback_scan_determinismE0ELb1ES3_N6thrust23THRUST_200600_302600_NS6detail15normal_iteratorINS9_10device_ptrIxEEEESE_SE_iNS9_4plusIvEENS9_8equal_toIvEEiEE10hipError_tPvRmT2_T3_T4_T5_mT6_T7_P12ihipStream_tbENKUlT_T0_E_clISt17integral_constantIbLb0EESY_IbLb1EEEEDaSU_SV_EUlSU_E_NS1_11comp_targetILNS1_3genE2ELNS1_11target_archE906ELNS1_3gpuE6ELNS1_3repE0EEENS1_30default_config_static_selectorELNS0_4arch9wavefront6targetE0EEEvT1_.num_named_barrier, 0
	.set _ZN7rocprim17ROCPRIM_400000_NS6detail17trampoline_kernelINS0_14default_configENS1_27scan_by_key_config_selectorIxiEEZZNS1_16scan_by_key_implILNS1_25lookback_scan_determinismE0ELb1ES3_N6thrust23THRUST_200600_302600_NS6detail15normal_iteratorINS9_10device_ptrIxEEEESE_SE_iNS9_4plusIvEENS9_8equal_toIvEEiEE10hipError_tPvRmT2_T3_T4_T5_mT6_T7_P12ihipStream_tbENKUlT_T0_E_clISt17integral_constantIbLb0EESY_IbLb1EEEEDaSU_SV_EUlSU_E_NS1_11comp_targetILNS1_3genE2ELNS1_11target_archE906ELNS1_3gpuE6ELNS1_3repE0EEENS1_30default_config_static_selectorELNS0_4arch9wavefront6targetE0EEEvT1_.private_seg_size, 0
	.set _ZN7rocprim17ROCPRIM_400000_NS6detail17trampoline_kernelINS0_14default_configENS1_27scan_by_key_config_selectorIxiEEZZNS1_16scan_by_key_implILNS1_25lookback_scan_determinismE0ELb1ES3_N6thrust23THRUST_200600_302600_NS6detail15normal_iteratorINS9_10device_ptrIxEEEESE_SE_iNS9_4plusIvEENS9_8equal_toIvEEiEE10hipError_tPvRmT2_T3_T4_T5_mT6_T7_P12ihipStream_tbENKUlT_T0_E_clISt17integral_constantIbLb0EESY_IbLb1EEEEDaSU_SV_EUlSU_E_NS1_11comp_targetILNS1_3genE2ELNS1_11target_archE906ELNS1_3gpuE6ELNS1_3repE0EEENS1_30default_config_static_selectorELNS0_4arch9wavefront6targetE0EEEvT1_.uses_vcc, 0
	.set _ZN7rocprim17ROCPRIM_400000_NS6detail17trampoline_kernelINS0_14default_configENS1_27scan_by_key_config_selectorIxiEEZZNS1_16scan_by_key_implILNS1_25lookback_scan_determinismE0ELb1ES3_N6thrust23THRUST_200600_302600_NS6detail15normal_iteratorINS9_10device_ptrIxEEEESE_SE_iNS9_4plusIvEENS9_8equal_toIvEEiEE10hipError_tPvRmT2_T3_T4_T5_mT6_T7_P12ihipStream_tbENKUlT_T0_E_clISt17integral_constantIbLb0EESY_IbLb1EEEEDaSU_SV_EUlSU_E_NS1_11comp_targetILNS1_3genE2ELNS1_11target_archE906ELNS1_3gpuE6ELNS1_3repE0EEENS1_30default_config_static_selectorELNS0_4arch9wavefront6targetE0EEEvT1_.uses_flat_scratch, 0
	.set _ZN7rocprim17ROCPRIM_400000_NS6detail17trampoline_kernelINS0_14default_configENS1_27scan_by_key_config_selectorIxiEEZZNS1_16scan_by_key_implILNS1_25lookback_scan_determinismE0ELb1ES3_N6thrust23THRUST_200600_302600_NS6detail15normal_iteratorINS9_10device_ptrIxEEEESE_SE_iNS9_4plusIvEENS9_8equal_toIvEEiEE10hipError_tPvRmT2_T3_T4_T5_mT6_T7_P12ihipStream_tbENKUlT_T0_E_clISt17integral_constantIbLb0EESY_IbLb1EEEEDaSU_SV_EUlSU_E_NS1_11comp_targetILNS1_3genE2ELNS1_11target_archE906ELNS1_3gpuE6ELNS1_3repE0EEENS1_30default_config_static_selectorELNS0_4arch9wavefront6targetE0EEEvT1_.has_dyn_sized_stack, 0
	.set _ZN7rocprim17ROCPRIM_400000_NS6detail17trampoline_kernelINS0_14default_configENS1_27scan_by_key_config_selectorIxiEEZZNS1_16scan_by_key_implILNS1_25lookback_scan_determinismE0ELb1ES3_N6thrust23THRUST_200600_302600_NS6detail15normal_iteratorINS9_10device_ptrIxEEEESE_SE_iNS9_4plusIvEENS9_8equal_toIvEEiEE10hipError_tPvRmT2_T3_T4_T5_mT6_T7_P12ihipStream_tbENKUlT_T0_E_clISt17integral_constantIbLb0EESY_IbLb1EEEEDaSU_SV_EUlSU_E_NS1_11comp_targetILNS1_3genE2ELNS1_11target_archE906ELNS1_3gpuE6ELNS1_3repE0EEENS1_30default_config_static_selectorELNS0_4arch9wavefront6targetE0EEEvT1_.has_recursion, 0
	.set _ZN7rocprim17ROCPRIM_400000_NS6detail17trampoline_kernelINS0_14default_configENS1_27scan_by_key_config_selectorIxiEEZZNS1_16scan_by_key_implILNS1_25lookback_scan_determinismE0ELb1ES3_N6thrust23THRUST_200600_302600_NS6detail15normal_iteratorINS9_10device_ptrIxEEEESE_SE_iNS9_4plusIvEENS9_8equal_toIvEEiEE10hipError_tPvRmT2_T3_T4_T5_mT6_T7_P12ihipStream_tbENKUlT_T0_E_clISt17integral_constantIbLb0EESY_IbLb1EEEEDaSU_SV_EUlSU_E_NS1_11comp_targetILNS1_3genE2ELNS1_11target_archE906ELNS1_3gpuE6ELNS1_3repE0EEENS1_30default_config_static_selectorELNS0_4arch9wavefront6targetE0EEEvT1_.has_indirect_call, 0
	.section	.AMDGPU.csdata,"",@progbits
; Kernel info:
; codeLenInByte = 0
; TotalNumSgprs: 0
; NumVgprs: 0
; ScratchSize: 0
; MemoryBound: 0
; FloatMode: 240
; IeeeMode: 1
; LDSByteSize: 0 bytes/workgroup (compile time only)
; SGPRBlocks: 0
; VGPRBlocks: 0
; NumSGPRsForWavesPerEU: 1
; NumVGPRsForWavesPerEU: 1
; NamedBarCnt: 0
; Occupancy: 16
; WaveLimiterHint : 0
; COMPUTE_PGM_RSRC2:SCRATCH_EN: 0
; COMPUTE_PGM_RSRC2:USER_SGPR: 2
; COMPUTE_PGM_RSRC2:TRAP_HANDLER: 0
; COMPUTE_PGM_RSRC2:TGID_X_EN: 1
; COMPUTE_PGM_RSRC2:TGID_Y_EN: 0
; COMPUTE_PGM_RSRC2:TGID_Z_EN: 0
; COMPUTE_PGM_RSRC2:TIDIG_COMP_CNT: 0
	.section	.text._ZN7rocprim17ROCPRIM_400000_NS6detail17trampoline_kernelINS0_14default_configENS1_27scan_by_key_config_selectorIxiEEZZNS1_16scan_by_key_implILNS1_25lookback_scan_determinismE0ELb1ES3_N6thrust23THRUST_200600_302600_NS6detail15normal_iteratorINS9_10device_ptrIxEEEESE_SE_iNS9_4plusIvEENS9_8equal_toIvEEiEE10hipError_tPvRmT2_T3_T4_T5_mT6_T7_P12ihipStream_tbENKUlT_T0_E_clISt17integral_constantIbLb0EESY_IbLb1EEEEDaSU_SV_EUlSU_E_NS1_11comp_targetILNS1_3genE10ELNS1_11target_archE1200ELNS1_3gpuE4ELNS1_3repE0EEENS1_30default_config_static_selectorELNS0_4arch9wavefront6targetE0EEEvT1_,"axG",@progbits,_ZN7rocprim17ROCPRIM_400000_NS6detail17trampoline_kernelINS0_14default_configENS1_27scan_by_key_config_selectorIxiEEZZNS1_16scan_by_key_implILNS1_25lookback_scan_determinismE0ELb1ES3_N6thrust23THRUST_200600_302600_NS6detail15normal_iteratorINS9_10device_ptrIxEEEESE_SE_iNS9_4plusIvEENS9_8equal_toIvEEiEE10hipError_tPvRmT2_T3_T4_T5_mT6_T7_P12ihipStream_tbENKUlT_T0_E_clISt17integral_constantIbLb0EESY_IbLb1EEEEDaSU_SV_EUlSU_E_NS1_11comp_targetILNS1_3genE10ELNS1_11target_archE1200ELNS1_3gpuE4ELNS1_3repE0EEENS1_30default_config_static_selectorELNS0_4arch9wavefront6targetE0EEEvT1_,comdat
	.protected	_ZN7rocprim17ROCPRIM_400000_NS6detail17trampoline_kernelINS0_14default_configENS1_27scan_by_key_config_selectorIxiEEZZNS1_16scan_by_key_implILNS1_25lookback_scan_determinismE0ELb1ES3_N6thrust23THRUST_200600_302600_NS6detail15normal_iteratorINS9_10device_ptrIxEEEESE_SE_iNS9_4plusIvEENS9_8equal_toIvEEiEE10hipError_tPvRmT2_T3_T4_T5_mT6_T7_P12ihipStream_tbENKUlT_T0_E_clISt17integral_constantIbLb0EESY_IbLb1EEEEDaSU_SV_EUlSU_E_NS1_11comp_targetILNS1_3genE10ELNS1_11target_archE1200ELNS1_3gpuE4ELNS1_3repE0EEENS1_30default_config_static_selectorELNS0_4arch9wavefront6targetE0EEEvT1_ ; -- Begin function _ZN7rocprim17ROCPRIM_400000_NS6detail17trampoline_kernelINS0_14default_configENS1_27scan_by_key_config_selectorIxiEEZZNS1_16scan_by_key_implILNS1_25lookback_scan_determinismE0ELb1ES3_N6thrust23THRUST_200600_302600_NS6detail15normal_iteratorINS9_10device_ptrIxEEEESE_SE_iNS9_4plusIvEENS9_8equal_toIvEEiEE10hipError_tPvRmT2_T3_T4_T5_mT6_T7_P12ihipStream_tbENKUlT_T0_E_clISt17integral_constantIbLb0EESY_IbLb1EEEEDaSU_SV_EUlSU_E_NS1_11comp_targetILNS1_3genE10ELNS1_11target_archE1200ELNS1_3gpuE4ELNS1_3repE0EEENS1_30default_config_static_selectorELNS0_4arch9wavefront6targetE0EEEvT1_
	.globl	_ZN7rocprim17ROCPRIM_400000_NS6detail17trampoline_kernelINS0_14default_configENS1_27scan_by_key_config_selectorIxiEEZZNS1_16scan_by_key_implILNS1_25lookback_scan_determinismE0ELb1ES3_N6thrust23THRUST_200600_302600_NS6detail15normal_iteratorINS9_10device_ptrIxEEEESE_SE_iNS9_4plusIvEENS9_8equal_toIvEEiEE10hipError_tPvRmT2_T3_T4_T5_mT6_T7_P12ihipStream_tbENKUlT_T0_E_clISt17integral_constantIbLb0EESY_IbLb1EEEEDaSU_SV_EUlSU_E_NS1_11comp_targetILNS1_3genE10ELNS1_11target_archE1200ELNS1_3gpuE4ELNS1_3repE0EEENS1_30default_config_static_selectorELNS0_4arch9wavefront6targetE0EEEvT1_
	.p2align	8
	.type	_ZN7rocprim17ROCPRIM_400000_NS6detail17trampoline_kernelINS0_14default_configENS1_27scan_by_key_config_selectorIxiEEZZNS1_16scan_by_key_implILNS1_25lookback_scan_determinismE0ELb1ES3_N6thrust23THRUST_200600_302600_NS6detail15normal_iteratorINS9_10device_ptrIxEEEESE_SE_iNS9_4plusIvEENS9_8equal_toIvEEiEE10hipError_tPvRmT2_T3_T4_T5_mT6_T7_P12ihipStream_tbENKUlT_T0_E_clISt17integral_constantIbLb0EESY_IbLb1EEEEDaSU_SV_EUlSU_E_NS1_11comp_targetILNS1_3genE10ELNS1_11target_archE1200ELNS1_3gpuE4ELNS1_3repE0EEENS1_30default_config_static_selectorELNS0_4arch9wavefront6targetE0EEEvT1_,@function
_ZN7rocprim17ROCPRIM_400000_NS6detail17trampoline_kernelINS0_14default_configENS1_27scan_by_key_config_selectorIxiEEZZNS1_16scan_by_key_implILNS1_25lookback_scan_determinismE0ELb1ES3_N6thrust23THRUST_200600_302600_NS6detail15normal_iteratorINS9_10device_ptrIxEEEESE_SE_iNS9_4plusIvEENS9_8equal_toIvEEiEE10hipError_tPvRmT2_T3_T4_T5_mT6_T7_P12ihipStream_tbENKUlT_T0_E_clISt17integral_constantIbLb0EESY_IbLb1EEEEDaSU_SV_EUlSU_E_NS1_11comp_targetILNS1_3genE10ELNS1_11target_archE1200ELNS1_3gpuE4ELNS1_3repE0EEENS1_30default_config_static_selectorELNS0_4arch9wavefront6targetE0EEEvT1_: ; @_ZN7rocprim17ROCPRIM_400000_NS6detail17trampoline_kernelINS0_14default_configENS1_27scan_by_key_config_selectorIxiEEZZNS1_16scan_by_key_implILNS1_25lookback_scan_determinismE0ELb1ES3_N6thrust23THRUST_200600_302600_NS6detail15normal_iteratorINS9_10device_ptrIxEEEESE_SE_iNS9_4plusIvEENS9_8equal_toIvEEiEE10hipError_tPvRmT2_T3_T4_T5_mT6_T7_P12ihipStream_tbENKUlT_T0_E_clISt17integral_constantIbLb0EESY_IbLb1EEEEDaSU_SV_EUlSU_E_NS1_11comp_targetILNS1_3genE10ELNS1_11target_archE1200ELNS1_3gpuE4ELNS1_3repE0EEENS1_30default_config_static_selectorELNS0_4arch9wavefront6targetE0EEEvT1_
; %bb.0:
	.section	.rodata,"a",@progbits
	.p2align	6, 0x0
	.amdhsa_kernel _ZN7rocprim17ROCPRIM_400000_NS6detail17trampoline_kernelINS0_14default_configENS1_27scan_by_key_config_selectorIxiEEZZNS1_16scan_by_key_implILNS1_25lookback_scan_determinismE0ELb1ES3_N6thrust23THRUST_200600_302600_NS6detail15normal_iteratorINS9_10device_ptrIxEEEESE_SE_iNS9_4plusIvEENS9_8equal_toIvEEiEE10hipError_tPvRmT2_T3_T4_T5_mT6_T7_P12ihipStream_tbENKUlT_T0_E_clISt17integral_constantIbLb0EESY_IbLb1EEEEDaSU_SV_EUlSU_E_NS1_11comp_targetILNS1_3genE10ELNS1_11target_archE1200ELNS1_3gpuE4ELNS1_3repE0EEENS1_30default_config_static_selectorELNS0_4arch9wavefront6targetE0EEEvT1_
		.amdhsa_group_segment_fixed_size 0
		.amdhsa_private_segment_fixed_size 0
		.amdhsa_kernarg_size 112
		.amdhsa_user_sgpr_count 2
		.amdhsa_user_sgpr_dispatch_ptr 0
		.amdhsa_user_sgpr_queue_ptr 0
		.amdhsa_user_sgpr_kernarg_segment_ptr 1
		.amdhsa_user_sgpr_dispatch_id 0
		.amdhsa_user_sgpr_kernarg_preload_length 0
		.amdhsa_user_sgpr_kernarg_preload_offset 0
		.amdhsa_user_sgpr_private_segment_size 0
		.amdhsa_wavefront_size32 1
		.amdhsa_uses_dynamic_stack 0
		.amdhsa_enable_private_segment 0
		.amdhsa_system_sgpr_workgroup_id_x 1
		.amdhsa_system_sgpr_workgroup_id_y 0
		.amdhsa_system_sgpr_workgroup_id_z 0
		.amdhsa_system_sgpr_workgroup_info 0
		.amdhsa_system_vgpr_workitem_id 0
		.amdhsa_next_free_vgpr 1
		.amdhsa_next_free_sgpr 1
		.amdhsa_named_barrier_count 0
		.amdhsa_reserve_vcc 0
		.amdhsa_float_round_mode_32 0
		.amdhsa_float_round_mode_16_64 0
		.amdhsa_float_denorm_mode_32 3
		.amdhsa_float_denorm_mode_16_64 3
		.amdhsa_fp16_overflow 0
		.amdhsa_memory_ordered 1
		.amdhsa_forward_progress 1
		.amdhsa_inst_pref_size 0
		.amdhsa_round_robin_scheduling 0
		.amdhsa_exception_fp_ieee_invalid_op 0
		.amdhsa_exception_fp_denorm_src 0
		.amdhsa_exception_fp_ieee_div_zero 0
		.amdhsa_exception_fp_ieee_overflow 0
		.amdhsa_exception_fp_ieee_underflow 0
		.amdhsa_exception_fp_ieee_inexact 0
		.amdhsa_exception_int_div_zero 0
	.end_amdhsa_kernel
	.section	.text._ZN7rocprim17ROCPRIM_400000_NS6detail17trampoline_kernelINS0_14default_configENS1_27scan_by_key_config_selectorIxiEEZZNS1_16scan_by_key_implILNS1_25lookback_scan_determinismE0ELb1ES3_N6thrust23THRUST_200600_302600_NS6detail15normal_iteratorINS9_10device_ptrIxEEEESE_SE_iNS9_4plusIvEENS9_8equal_toIvEEiEE10hipError_tPvRmT2_T3_T4_T5_mT6_T7_P12ihipStream_tbENKUlT_T0_E_clISt17integral_constantIbLb0EESY_IbLb1EEEEDaSU_SV_EUlSU_E_NS1_11comp_targetILNS1_3genE10ELNS1_11target_archE1200ELNS1_3gpuE4ELNS1_3repE0EEENS1_30default_config_static_selectorELNS0_4arch9wavefront6targetE0EEEvT1_,"axG",@progbits,_ZN7rocprim17ROCPRIM_400000_NS6detail17trampoline_kernelINS0_14default_configENS1_27scan_by_key_config_selectorIxiEEZZNS1_16scan_by_key_implILNS1_25lookback_scan_determinismE0ELb1ES3_N6thrust23THRUST_200600_302600_NS6detail15normal_iteratorINS9_10device_ptrIxEEEESE_SE_iNS9_4plusIvEENS9_8equal_toIvEEiEE10hipError_tPvRmT2_T3_T4_T5_mT6_T7_P12ihipStream_tbENKUlT_T0_E_clISt17integral_constantIbLb0EESY_IbLb1EEEEDaSU_SV_EUlSU_E_NS1_11comp_targetILNS1_3genE10ELNS1_11target_archE1200ELNS1_3gpuE4ELNS1_3repE0EEENS1_30default_config_static_selectorELNS0_4arch9wavefront6targetE0EEEvT1_,comdat
.Lfunc_end1038:
	.size	_ZN7rocprim17ROCPRIM_400000_NS6detail17trampoline_kernelINS0_14default_configENS1_27scan_by_key_config_selectorIxiEEZZNS1_16scan_by_key_implILNS1_25lookback_scan_determinismE0ELb1ES3_N6thrust23THRUST_200600_302600_NS6detail15normal_iteratorINS9_10device_ptrIxEEEESE_SE_iNS9_4plusIvEENS9_8equal_toIvEEiEE10hipError_tPvRmT2_T3_T4_T5_mT6_T7_P12ihipStream_tbENKUlT_T0_E_clISt17integral_constantIbLb0EESY_IbLb1EEEEDaSU_SV_EUlSU_E_NS1_11comp_targetILNS1_3genE10ELNS1_11target_archE1200ELNS1_3gpuE4ELNS1_3repE0EEENS1_30default_config_static_selectorELNS0_4arch9wavefront6targetE0EEEvT1_, .Lfunc_end1038-_ZN7rocprim17ROCPRIM_400000_NS6detail17trampoline_kernelINS0_14default_configENS1_27scan_by_key_config_selectorIxiEEZZNS1_16scan_by_key_implILNS1_25lookback_scan_determinismE0ELb1ES3_N6thrust23THRUST_200600_302600_NS6detail15normal_iteratorINS9_10device_ptrIxEEEESE_SE_iNS9_4plusIvEENS9_8equal_toIvEEiEE10hipError_tPvRmT2_T3_T4_T5_mT6_T7_P12ihipStream_tbENKUlT_T0_E_clISt17integral_constantIbLb0EESY_IbLb1EEEEDaSU_SV_EUlSU_E_NS1_11comp_targetILNS1_3genE10ELNS1_11target_archE1200ELNS1_3gpuE4ELNS1_3repE0EEENS1_30default_config_static_selectorELNS0_4arch9wavefront6targetE0EEEvT1_
                                        ; -- End function
	.set _ZN7rocprim17ROCPRIM_400000_NS6detail17trampoline_kernelINS0_14default_configENS1_27scan_by_key_config_selectorIxiEEZZNS1_16scan_by_key_implILNS1_25lookback_scan_determinismE0ELb1ES3_N6thrust23THRUST_200600_302600_NS6detail15normal_iteratorINS9_10device_ptrIxEEEESE_SE_iNS9_4plusIvEENS9_8equal_toIvEEiEE10hipError_tPvRmT2_T3_T4_T5_mT6_T7_P12ihipStream_tbENKUlT_T0_E_clISt17integral_constantIbLb0EESY_IbLb1EEEEDaSU_SV_EUlSU_E_NS1_11comp_targetILNS1_3genE10ELNS1_11target_archE1200ELNS1_3gpuE4ELNS1_3repE0EEENS1_30default_config_static_selectorELNS0_4arch9wavefront6targetE0EEEvT1_.num_vgpr, 0
	.set _ZN7rocprim17ROCPRIM_400000_NS6detail17trampoline_kernelINS0_14default_configENS1_27scan_by_key_config_selectorIxiEEZZNS1_16scan_by_key_implILNS1_25lookback_scan_determinismE0ELb1ES3_N6thrust23THRUST_200600_302600_NS6detail15normal_iteratorINS9_10device_ptrIxEEEESE_SE_iNS9_4plusIvEENS9_8equal_toIvEEiEE10hipError_tPvRmT2_T3_T4_T5_mT6_T7_P12ihipStream_tbENKUlT_T0_E_clISt17integral_constantIbLb0EESY_IbLb1EEEEDaSU_SV_EUlSU_E_NS1_11comp_targetILNS1_3genE10ELNS1_11target_archE1200ELNS1_3gpuE4ELNS1_3repE0EEENS1_30default_config_static_selectorELNS0_4arch9wavefront6targetE0EEEvT1_.num_agpr, 0
	.set _ZN7rocprim17ROCPRIM_400000_NS6detail17trampoline_kernelINS0_14default_configENS1_27scan_by_key_config_selectorIxiEEZZNS1_16scan_by_key_implILNS1_25lookback_scan_determinismE0ELb1ES3_N6thrust23THRUST_200600_302600_NS6detail15normal_iteratorINS9_10device_ptrIxEEEESE_SE_iNS9_4plusIvEENS9_8equal_toIvEEiEE10hipError_tPvRmT2_T3_T4_T5_mT6_T7_P12ihipStream_tbENKUlT_T0_E_clISt17integral_constantIbLb0EESY_IbLb1EEEEDaSU_SV_EUlSU_E_NS1_11comp_targetILNS1_3genE10ELNS1_11target_archE1200ELNS1_3gpuE4ELNS1_3repE0EEENS1_30default_config_static_selectorELNS0_4arch9wavefront6targetE0EEEvT1_.numbered_sgpr, 0
	.set _ZN7rocprim17ROCPRIM_400000_NS6detail17trampoline_kernelINS0_14default_configENS1_27scan_by_key_config_selectorIxiEEZZNS1_16scan_by_key_implILNS1_25lookback_scan_determinismE0ELb1ES3_N6thrust23THRUST_200600_302600_NS6detail15normal_iteratorINS9_10device_ptrIxEEEESE_SE_iNS9_4plusIvEENS9_8equal_toIvEEiEE10hipError_tPvRmT2_T3_T4_T5_mT6_T7_P12ihipStream_tbENKUlT_T0_E_clISt17integral_constantIbLb0EESY_IbLb1EEEEDaSU_SV_EUlSU_E_NS1_11comp_targetILNS1_3genE10ELNS1_11target_archE1200ELNS1_3gpuE4ELNS1_3repE0EEENS1_30default_config_static_selectorELNS0_4arch9wavefront6targetE0EEEvT1_.num_named_barrier, 0
	.set _ZN7rocprim17ROCPRIM_400000_NS6detail17trampoline_kernelINS0_14default_configENS1_27scan_by_key_config_selectorIxiEEZZNS1_16scan_by_key_implILNS1_25lookback_scan_determinismE0ELb1ES3_N6thrust23THRUST_200600_302600_NS6detail15normal_iteratorINS9_10device_ptrIxEEEESE_SE_iNS9_4plusIvEENS9_8equal_toIvEEiEE10hipError_tPvRmT2_T3_T4_T5_mT6_T7_P12ihipStream_tbENKUlT_T0_E_clISt17integral_constantIbLb0EESY_IbLb1EEEEDaSU_SV_EUlSU_E_NS1_11comp_targetILNS1_3genE10ELNS1_11target_archE1200ELNS1_3gpuE4ELNS1_3repE0EEENS1_30default_config_static_selectorELNS0_4arch9wavefront6targetE0EEEvT1_.private_seg_size, 0
	.set _ZN7rocprim17ROCPRIM_400000_NS6detail17trampoline_kernelINS0_14default_configENS1_27scan_by_key_config_selectorIxiEEZZNS1_16scan_by_key_implILNS1_25lookback_scan_determinismE0ELb1ES3_N6thrust23THRUST_200600_302600_NS6detail15normal_iteratorINS9_10device_ptrIxEEEESE_SE_iNS9_4plusIvEENS9_8equal_toIvEEiEE10hipError_tPvRmT2_T3_T4_T5_mT6_T7_P12ihipStream_tbENKUlT_T0_E_clISt17integral_constantIbLb0EESY_IbLb1EEEEDaSU_SV_EUlSU_E_NS1_11comp_targetILNS1_3genE10ELNS1_11target_archE1200ELNS1_3gpuE4ELNS1_3repE0EEENS1_30default_config_static_selectorELNS0_4arch9wavefront6targetE0EEEvT1_.uses_vcc, 0
	.set _ZN7rocprim17ROCPRIM_400000_NS6detail17trampoline_kernelINS0_14default_configENS1_27scan_by_key_config_selectorIxiEEZZNS1_16scan_by_key_implILNS1_25lookback_scan_determinismE0ELb1ES3_N6thrust23THRUST_200600_302600_NS6detail15normal_iteratorINS9_10device_ptrIxEEEESE_SE_iNS9_4plusIvEENS9_8equal_toIvEEiEE10hipError_tPvRmT2_T3_T4_T5_mT6_T7_P12ihipStream_tbENKUlT_T0_E_clISt17integral_constantIbLb0EESY_IbLb1EEEEDaSU_SV_EUlSU_E_NS1_11comp_targetILNS1_3genE10ELNS1_11target_archE1200ELNS1_3gpuE4ELNS1_3repE0EEENS1_30default_config_static_selectorELNS0_4arch9wavefront6targetE0EEEvT1_.uses_flat_scratch, 0
	.set _ZN7rocprim17ROCPRIM_400000_NS6detail17trampoline_kernelINS0_14default_configENS1_27scan_by_key_config_selectorIxiEEZZNS1_16scan_by_key_implILNS1_25lookback_scan_determinismE0ELb1ES3_N6thrust23THRUST_200600_302600_NS6detail15normal_iteratorINS9_10device_ptrIxEEEESE_SE_iNS9_4plusIvEENS9_8equal_toIvEEiEE10hipError_tPvRmT2_T3_T4_T5_mT6_T7_P12ihipStream_tbENKUlT_T0_E_clISt17integral_constantIbLb0EESY_IbLb1EEEEDaSU_SV_EUlSU_E_NS1_11comp_targetILNS1_3genE10ELNS1_11target_archE1200ELNS1_3gpuE4ELNS1_3repE0EEENS1_30default_config_static_selectorELNS0_4arch9wavefront6targetE0EEEvT1_.has_dyn_sized_stack, 0
	.set _ZN7rocprim17ROCPRIM_400000_NS6detail17trampoline_kernelINS0_14default_configENS1_27scan_by_key_config_selectorIxiEEZZNS1_16scan_by_key_implILNS1_25lookback_scan_determinismE0ELb1ES3_N6thrust23THRUST_200600_302600_NS6detail15normal_iteratorINS9_10device_ptrIxEEEESE_SE_iNS9_4plusIvEENS9_8equal_toIvEEiEE10hipError_tPvRmT2_T3_T4_T5_mT6_T7_P12ihipStream_tbENKUlT_T0_E_clISt17integral_constantIbLb0EESY_IbLb1EEEEDaSU_SV_EUlSU_E_NS1_11comp_targetILNS1_3genE10ELNS1_11target_archE1200ELNS1_3gpuE4ELNS1_3repE0EEENS1_30default_config_static_selectorELNS0_4arch9wavefront6targetE0EEEvT1_.has_recursion, 0
	.set _ZN7rocprim17ROCPRIM_400000_NS6detail17trampoline_kernelINS0_14default_configENS1_27scan_by_key_config_selectorIxiEEZZNS1_16scan_by_key_implILNS1_25lookback_scan_determinismE0ELb1ES3_N6thrust23THRUST_200600_302600_NS6detail15normal_iteratorINS9_10device_ptrIxEEEESE_SE_iNS9_4plusIvEENS9_8equal_toIvEEiEE10hipError_tPvRmT2_T3_T4_T5_mT6_T7_P12ihipStream_tbENKUlT_T0_E_clISt17integral_constantIbLb0EESY_IbLb1EEEEDaSU_SV_EUlSU_E_NS1_11comp_targetILNS1_3genE10ELNS1_11target_archE1200ELNS1_3gpuE4ELNS1_3repE0EEENS1_30default_config_static_selectorELNS0_4arch9wavefront6targetE0EEEvT1_.has_indirect_call, 0
	.section	.AMDGPU.csdata,"",@progbits
; Kernel info:
; codeLenInByte = 0
; TotalNumSgprs: 0
; NumVgprs: 0
; ScratchSize: 0
; MemoryBound: 0
; FloatMode: 240
; IeeeMode: 1
; LDSByteSize: 0 bytes/workgroup (compile time only)
; SGPRBlocks: 0
; VGPRBlocks: 0
; NumSGPRsForWavesPerEU: 1
; NumVGPRsForWavesPerEU: 1
; NamedBarCnt: 0
; Occupancy: 16
; WaveLimiterHint : 0
; COMPUTE_PGM_RSRC2:SCRATCH_EN: 0
; COMPUTE_PGM_RSRC2:USER_SGPR: 2
; COMPUTE_PGM_RSRC2:TRAP_HANDLER: 0
; COMPUTE_PGM_RSRC2:TGID_X_EN: 1
; COMPUTE_PGM_RSRC2:TGID_Y_EN: 0
; COMPUTE_PGM_RSRC2:TGID_Z_EN: 0
; COMPUTE_PGM_RSRC2:TIDIG_COMP_CNT: 0
	.section	.text._ZN7rocprim17ROCPRIM_400000_NS6detail17trampoline_kernelINS0_14default_configENS1_27scan_by_key_config_selectorIxiEEZZNS1_16scan_by_key_implILNS1_25lookback_scan_determinismE0ELb1ES3_N6thrust23THRUST_200600_302600_NS6detail15normal_iteratorINS9_10device_ptrIxEEEESE_SE_iNS9_4plusIvEENS9_8equal_toIvEEiEE10hipError_tPvRmT2_T3_T4_T5_mT6_T7_P12ihipStream_tbENKUlT_T0_E_clISt17integral_constantIbLb0EESY_IbLb1EEEEDaSU_SV_EUlSU_E_NS1_11comp_targetILNS1_3genE9ELNS1_11target_archE1100ELNS1_3gpuE3ELNS1_3repE0EEENS1_30default_config_static_selectorELNS0_4arch9wavefront6targetE0EEEvT1_,"axG",@progbits,_ZN7rocprim17ROCPRIM_400000_NS6detail17trampoline_kernelINS0_14default_configENS1_27scan_by_key_config_selectorIxiEEZZNS1_16scan_by_key_implILNS1_25lookback_scan_determinismE0ELb1ES3_N6thrust23THRUST_200600_302600_NS6detail15normal_iteratorINS9_10device_ptrIxEEEESE_SE_iNS9_4plusIvEENS9_8equal_toIvEEiEE10hipError_tPvRmT2_T3_T4_T5_mT6_T7_P12ihipStream_tbENKUlT_T0_E_clISt17integral_constantIbLb0EESY_IbLb1EEEEDaSU_SV_EUlSU_E_NS1_11comp_targetILNS1_3genE9ELNS1_11target_archE1100ELNS1_3gpuE3ELNS1_3repE0EEENS1_30default_config_static_selectorELNS0_4arch9wavefront6targetE0EEEvT1_,comdat
	.protected	_ZN7rocprim17ROCPRIM_400000_NS6detail17trampoline_kernelINS0_14default_configENS1_27scan_by_key_config_selectorIxiEEZZNS1_16scan_by_key_implILNS1_25lookback_scan_determinismE0ELb1ES3_N6thrust23THRUST_200600_302600_NS6detail15normal_iteratorINS9_10device_ptrIxEEEESE_SE_iNS9_4plusIvEENS9_8equal_toIvEEiEE10hipError_tPvRmT2_T3_T4_T5_mT6_T7_P12ihipStream_tbENKUlT_T0_E_clISt17integral_constantIbLb0EESY_IbLb1EEEEDaSU_SV_EUlSU_E_NS1_11comp_targetILNS1_3genE9ELNS1_11target_archE1100ELNS1_3gpuE3ELNS1_3repE0EEENS1_30default_config_static_selectorELNS0_4arch9wavefront6targetE0EEEvT1_ ; -- Begin function _ZN7rocprim17ROCPRIM_400000_NS6detail17trampoline_kernelINS0_14default_configENS1_27scan_by_key_config_selectorIxiEEZZNS1_16scan_by_key_implILNS1_25lookback_scan_determinismE0ELb1ES3_N6thrust23THRUST_200600_302600_NS6detail15normal_iteratorINS9_10device_ptrIxEEEESE_SE_iNS9_4plusIvEENS9_8equal_toIvEEiEE10hipError_tPvRmT2_T3_T4_T5_mT6_T7_P12ihipStream_tbENKUlT_T0_E_clISt17integral_constantIbLb0EESY_IbLb1EEEEDaSU_SV_EUlSU_E_NS1_11comp_targetILNS1_3genE9ELNS1_11target_archE1100ELNS1_3gpuE3ELNS1_3repE0EEENS1_30default_config_static_selectorELNS0_4arch9wavefront6targetE0EEEvT1_
	.globl	_ZN7rocprim17ROCPRIM_400000_NS6detail17trampoline_kernelINS0_14default_configENS1_27scan_by_key_config_selectorIxiEEZZNS1_16scan_by_key_implILNS1_25lookback_scan_determinismE0ELb1ES3_N6thrust23THRUST_200600_302600_NS6detail15normal_iteratorINS9_10device_ptrIxEEEESE_SE_iNS9_4plusIvEENS9_8equal_toIvEEiEE10hipError_tPvRmT2_T3_T4_T5_mT6_T7_P12ihipStream_tbENKUlT_T0_E_clISt17integral_constantIbLb0EESY_IbLb1EEEEDaSU_SV_EUlSU_E_NS1_11comp_targetILNS1_3genE9ELNS1_11target_archE1100ELNS1_3gpuE3ELNS1_3repE0EEENS1_30default_config_static_selectorELNS0_4arch9wavefront6targetE0EEEvT1_
	.p2align	8
	.type	_ZN7rocprim17ROCPRIM_400000_NS6detail17trampoline_kernelINS0_14default_configENS1_27scan_by_key_config_selectorIxiEEZZNS1_16scan_by_key_implILNS1_25lookback_scan_determinismE0ELb1ES3_N6thrust23THRUST_200600_302600_NS6detail15normal_iteratorINS9_10device_ptrIxEEEESE_SE_iNS9_4plusIvEENS9_8equal_toIvEEiEE10hipError_tPvRmT2_T3_T4_T5_mT6_T7_P12ihipStream_tbENKUlT_T0_E_clISt17integral_constantIbLb0EESY_IbLb1EEEEDaSU_SV_EUlSU_E_NS1_11comp_targetILNS1_3genE9ELNS1_11target_archE1100ELNS1_3gpuE3ELNS1_3repE0EEENS1_30default_config_static_selectorELNS0_4arch9wavefront6targetE0EEEvT1_,@function
_ZN7rocprim17ROCPRIM_400000_NS6detail17trampoline_kernelINS0_14default_configENS1_27scan_by_key_config_selectorIxiEEZZNS1_16scan_by_key_implILNS1_25lookback_scan_determinismE0ELb1ES3_N6thrust23THRUST_200600_302600_NS6detail15normal_iteratorINS9_10device_ptrIxEEEESE_SE_iNS9_4plusIvEENS9_8equal_toIvEEiEE10hipError_tPvRmT2_T3_T4_T5_mT6_T7_P12ihipStream_tbENKUlT_T0_E_clISt17integral_constantIbLb0EESY_IbLb1EEEEDaSU_SV_EUlSU_E_NS1_11comp_targetILNS1_3genE9ELNS1_11target_archE1100ELNS1_3gpuE3ELNS1_3repE0EEENS1_30default_config_static_selectorELNS0_4arch9wavefront6targetE0EEEvT1_: ; @_ZN7rocprim17ROCPRIM_400000_NS6detail17trampoline_kernelINS0_14default_configENS1_27scan_by_key_config_selectorIxiEEZZNS1_16scan_by_key_implILNS1_25lookback_scan_determinismE0ELb1ES3_N6thrust23THRUST_200600_302600_NS6detail15normal_iteratorINS9_10device_ptrIxEEEESE_SE_iNS9_4plusIvEENS9_8equal_toIvEEiEE10hipError_tPvRmT2_T3_T4_T5_mT6_T7_P12ihipStream_tbENKUlT_T0_E_clISt17integral_constantIbLb0EESY_IbLb1EEEEDaSU_SV_EUlSU_E_NS1_11comp_targetILNS1_3genE9ELNS1_11target_archE1100ELNS1_3gpuE3ELNS1_3repE0EEENS1_30default_config_static_selectorELNS0_4arch9wavefront6targetE0EEEvT1_
; %bb.0:
	.section	.rodata,"a",@progbits
	.p2align	6, 0x0
	.amdhsa_kernel _ZN7rocprim17ROCPRIM_400000_NS6detail17trampoline_kernelINS0_14default_configENS1_27scan_by_key_config_selectorIxiEEZZNS1_16scan_by_key_implILNS1_25lookback_scan_determinismE0ELb1ES3_N6thrust23THRUST_200600_302600_NS6detail15normal_iteratorINS9_10device_ptrIxEEEESE_SE_iNS9_4plusIvEENS9_8equal_toIvEEiEE10hipError_tPvRmT2_T3_T4_T5_mT6_T7_P12ihipStream_tbENKUlT_T0_E_clISt17integral_constantIbLb0EESY_IbLb1EEEEDaSU_SV_EUlSU_E_NS1_11comp_targetILNS1_3genE9ELNS1_11target_archE1100ELNS1_3gpuE3ELNS1_3repE0EEENS1_30default_config_static_selectorELNS0_4arch9wavefront6targetE0EEEvT1_
		.amdhsa_group_segment_fixed_size 0
		.amdhsa_private_segment_fixed_size 0
		.amdhsa_kernarg_size 112
		.amdhsa_user_sgpr_count 2
		.amdhsa_user_sgpr_dispatch_ptr 0
		.amdhsa_user_sgpr_queue_ptr 0
		.amdhsa_user_sgpr_kernarg_segment_ptr 1
		.amdhsa_user_sgpr_dispatch_id 0
		.amdhsa_user_sgpr_kernarg_preload_length 0
		.amdhsa_user_sgpr_kernarg_preload_offset 0
		.amdhsa_user_sgpr_private_segment_size 0
		.amdhsa_wavefront_size32 1
		.amdhsa_uses_dynamic_stack 0
		.amdhsa_enable_private_segment 0
		.amdhsa_system_sgpr_workgroup_id_x 1
		.amdhsa_system_sgpr_workgroup_id_y 0
		.amdhsa_system_sgpr_workgroup_id_z 0
		.amdhsa_system_sgpr_workgroup_info 0
		.amdhsa_system_vgpr_workitem_id 0
		.amdhsa_next_free_vgpr 1
		.amdhsa_next_free_sgpr 1
		.amdhsa_named_barrier_count 0
		.amdhsa_reserve_vcc 0
		.amdhsa_float_round_mode_32 0
		.amdhsa_float_round_mode_16_64 0
		.amdhsa_float_denorm_mode_32 3
		.amdhsa_float_denorm_mode_16_64 3
		.amdhsa_fp16_overflow 0
		.amdhsa_memory_ordered 1
		.amdhsa_forward_progress 1
		.amdhsa_inst_pref_size 0
		.amdhsa_round_robin_scheduling 0
		.amdhsa_exception_fp_ieee_invalid_op 0
		.amdhsa_exception_fp_denorm_src 0
		.amdhsa_exception_fp_ieee_div_zero 0
		.amdhsa_exception_fp_ieee_overflow 0
		.amdhsa_exception_fp_ieee_underflow 0
		.amdhsa_exception_fp_ieee_inexact 0
		.amdhsa_exception_int_div_zero 0
	.end_amdhsa_kernel
	.section	.text._ZN7rocprim17ROCPRIM_400000_NS6detail17trampoline_kernelINS0_14default_configENS1_27scan_by_key_config_selectorIxiEEZZNS1_16scan_by_key_implILNS1_25lookback_scan_determinismE0ELb1ES3_N6thrust23THRUST_200600_302600_NS6detail15normal_iteratorINS9_10device_ptrIxEEEESE_SE_iNS9_4plusIvEENS9_8equal_toIvEEiEE10hipError_tPvRmT2_T3_T4_T5_mT6_T7_P12ihipStream_tbENKUlT_T0_E_clISt17integral_constantIbLb0EESY_IbLb1EEEEDaSU_SV_EUlSU_E_NS1_11comp_targetILNS1_3genE9ELNS1_11target_archE1100ELNS1_3gpuE3ELNS1_3repE0EEENS1_30default_config_static_selectorELNS0_4arch9wavefront6targetE0EEEvT1_,"axG",@progbits,_ZN7rocprim17ROCPRIM_400000_NS6detail17trampoline_kernelINS0_14default_configENS1_27scan_by_key_config_selectorIxiEEZZNS1_16scan_by_key_implILNS1_25lookback_scan_determinismE0ELb1ES3_N6thrust23THRUST_200600_302600_NS6detail15normal_iteratorINS9_10device_ptrIxEEEESE_SE_iNS9_4plusIvEENS9_8equal_toIvEEiEE10hipError_tPvRmT2_T3_T4_T5_mT6_T7_P12ihipStream_tbENKUlT_T0_E_clISt17integral_constantIbLb0EESY_IbLb1EEEEDaSU_SV_EUlSU_E_NS1_11comp_targetILNS1_3genE9ELNS1_11target_archE1100ELNS1_3gpuE3ELNS1_3repE0EEENS1_30default_config_static_selectorELNS0_4arch9wavefront6targetE0EEEvT1_,comdat
.Lfunc_end1039:
	.size	_ZN7rocprim17ROCPRIM_400000_NS6detail17trampoline_kernelINS0_14default_configENS1_27scan_by_key_config_selectorIxiEEZZNS1_16scan_by_key_implILNS1_25lookback_scan_determinismE0ELb1ES3_N6thrust23THRUST_200600_302600_NS6detail15normal_iteratorINS9_10device_ptrIxEEEESE_SE_iNS9_4plusIvEENS9_8equal_toIvEEiEE10hipError_tPvRmT2_T3_T4_T5_mT6_T7_P12ihipStream_tbENKUlT_T0_E_clISt17integral_constantIbLb0EESY_IbLb1EEEEDaSU_SV_EUlSU_E_NS1_11comp_targetILNS1_3genE9ELNS1_11target_archE1100ELNS1_3gpuE3ELNS1_3repE0EEENS1_30default_config_static_selectorELNS0_4arch9wavefront6targetE0EEEvT1_, .Lfunc_end1039-_ZN7rocprim17ROCPRIM_400000_NS6detail17trampoline_kernelINS0_14default_configENS1_27scan_by_key_config_selectorIxiEEZZNS1_16scan_by_key_implILNS1_25lookback_scan_determinismE0ELb1ES3_N6thrust23THRUST_200600_302600_NS6detail15normal_iteratorINS9_10device_ptrIxEEEESE_SE_iNS9_4plusIvEENS9_8equal_toIvEEiEE10hipError_tPvRmT2_T3_T4_T5_mT6_T7_P12ihipStream_tbENKUlT_T0_E_clISt17integral_constantIbLb0EESY_IbLb1EEEEDaSU_SV_EUlSU_E_NS1_11comp_targetILNS1_3genE9ELNS1_11target_archE1100ELNS1_3gpuE3ELNS1_3repE0EEENS1_30default_config_static_selectorELNS0_4arch9wavefront6targetE0EEEvT1_
                                        ; -- End function
	.set _ZN7rocprim17ROCPRIM_400000_NS6detail17trampoline_kernelINS0_14default_configENS1_27scan_by_key_config_selectorIxiEEZZNS1_16scan_by_key_implILNS1_25lookback_scan_determinismE0ELb1ES3_N6thrust23THRUST_200600_302600_NS6detail15normal_iteratorINS9_10device_ptrIxEEEESE_SE_iNS9_4plusIvEENS9_8equal_toIvEEiEE10hipError_tPvRmT2_T3_T4_T5_mT6_T7_P12ihipStream_tbENKUlT_T0_E_clISt17integral_constantIbLb0EESY_IbLb1EEEEDaSU_SV_EUlSU_E_NS1_11comp_targetILNS1_3genE9ELNS1_11target_archE1100ELNS1_3gpuE3ELNS1_3repE0EEENS1_30default_config_static_selectorELNS0_4arch9wavefront6targetE0EEEvT1_.num_vgpr, 0
	.set _ZN7rocprim17ROCPRIM_400000_NS6detail17trampoline_kernelINS0_14default_configENS1_27scan_by_key_config_selectorIxiEEZZNS1_16scan_by_key_implILNS1_25lookback_scan_determinismE0ELb1ES3_N6thrust23THRUST_200600_302600_NS6detail15normal_iteratorINS9_10device_ptrIxEEEESE_SE_iNS9_4plusIvEENS9_8equal_toIvEEiEE10hipError_tPvRmT2_T3_T4_T5_mT6_T7_P12ihipStream_tbENKUlT_T0_E_clISt17integral_constantIbLb0EESY_IbLb1EEEEDaSU_SV_EUlSU_E_NS1_11comp_targetILNS1_3genE9ELNS1_11target_archE1100ELNS1_3gpuE3ELNS1_3repE0EEENS1_30default_config_static_selectorELNS0_4arch9wavefront6targetE0EEEvT1_.num_agpr, 0
	.set _ZN7rocprim17ROCPRIM_400000_NS6detail17trampoline_kernelINS0_14default_configENS1_27scan_by_key_config_selectorIxiEEZZNS1_16scan_by_key_implILNS1_25lookback_scan_determinismE0ELb1ES3_N6thrust23THRUST_200600_302600_NS6detail15normal_iteratorINS9_10device_ptrIxEEEESE_SE_iNS9_4plusIvEENS9_8equal_toIvEEiEE10hipError_tPvRmT2_T3_T4_T5_mT6_T7_P12ihipStream_tbENKUlT_T0_E_clISt17integral_constantIbLb0EESY_IbLb1EEEEDaSU_SV_EUlSU_E_NS1_11comp_targetILNS1_3genE9ELNS1_11target_archE1100ELNS1_3gpuE3ELNS1_3repE0EEENS1_30default_config_static_selectorELNS0_4arch9wavefront6targetE0EEEvT1_.numbered_sgpr, 0
	.set _ZN7rocprim17ROCPRIM_400000_NS6detail17trampoline_kernelINS0_14default_configENS1_27scan_by_key_config_selectorIxiEEZZNS1_16scan_by_key_implILNS1_25lookback_scan_determinismE0ELb1ES3_N6thrust23THRUST_200600_302600_NS6detail15normal_iteratorINS9_10device_ptrIxEEEESE_SE_iNS9_4plusIvEENS9_8equal_toIvEEiEE10hipError_tPvRmT2_T3_T4_T5_mT6_T7_P12ihipStream_tbENKUlT_T0_E_clISt17integral_constantIbLb0EESY_IbLb1EEEEDaSU_SV_EUlSU_E_NS1_11comp_targetILNS1_3genE9ELNS1_11target_archE1100ELNS1_3gpuE3ELNS1_3repE0EEENS1_30default_config_static_selectorELNS0_4arch9wavefront6targetE0EEEvT1_.num_named_barrier, 0
	.set _ZN7rocprim17ROCPRIM_400000_NS6detail17trampoline_kernelINS0_14default_configENS1_27scan_by_key_config_selectorIxiEEZZNS1_16scan_by_key_implILNS1_25lookback_scan_determinismE0ELb1ES3_N6thrust23THRUST_200600_302600_NS6detail15normal_iteratorINS9_10device_ptrIxEEEESE_SE_iNS9_4plusIvEENS9_8equal_toIvEEiEE10hipError_tPvRmT2_T3_T4_T5_mT6_T7_P12ihipStream_tbENKUlT_T0_E_clISt17integral_constantIbLb0EESY_IbLb1EEEEDaSU_SV_EUlSU_E_NS1_11comp_targetILNS1_3genE9ELNS1_11target_archE1100ELNS1_3gpuE3ELNS1_3repE0EEENS1_30default_config_static_selectorELNS0_4arch9wavefront6targetE0EEEvT1_.private_seg_size, 0
	.set _ZN7rocprim17ROCPRIM_400000_NS6detail17trampoline_kernelINS0_14default_configENS1_27scan_by_key_config_selectorIxiEEZZNS1_16scan_by_key_implILNS1_25lookback_scan_determinismE0ELb1ES3_N6thrust23THRUST_200600_302600_NS6detail15normal_iteratorINS9_10device_ptrIxEEEESE_SE_iNS9_4plusIvEENS9_8equal_toIvEEiEE10hipError_tPvRmT2_T3_T4_T5_mT6_T7_P12ihipStream_tbENKUlT_T0_E_clISt17integral_constantIbLb0EESY_IbLb1EEEEDaSU_SV_EUlSU_E_NS1_11comp_targetILNS1_3genE9ELNS1_11target_archE1100ELNS1_3gpuE3ELNS1_3repE0EEENS1_30default_config_static_selectorELNS0_4arch9wavefront6targetE0EEEvT1_.uses_vcc, 0
	.set _ZN7rocprim17ROCPRIM_400000_NS6detail17trampoline_kernelINS0_14default_configENS1_27scan_by_key_config_selectorIxiEEZZNS1_16scan_by_key_implILNS1_25lookback_scan_determinismE0ELb1ES3_N6thrust23THRUST_200600_302600_NS6detail15normal_iteratorINS9_10device_ptrIxEEEESE_SE_iNS9_4plusIvEENS9_8equal_toIvEEiEE10hipError_tPvRmT2_T3_T4_T5_mT6_T7_P12ihipStream_tbENKUlT_T0_E_clISt17integral_constantIbLb0EESY_IbLb1EEEEDaSU_SV_EUlSU_E_NS1_11comp_targetILNS1_3genE9ELNS1_11target_archE1100ELNS1_3gpuE3ELNS1_3repE0EEENS1_30default_config_static_selectorELNS0_4arch9wavefront6targetE0EEEvT1_.uses_flat_scratch, 0
	.set _ZN7rocprim17ROCPRIM_400000_NS6detail17trampoline_kernelINS0_14default_configENS1_27scan_by_key_config_selectorIxiEEZZNS1_16scan_by_key_implILNS1_25lookback_scan_determinismE0ELb1ES3_N6thrust23THRUST_200600_302600_NS6detail15normal_iteratorINS9_10device_ptrIxEEEESE_SE_iNS9_4plusIvEENS9_8equal_toIvEEiEE10hipError_tPvRmT2_T3_T4_T5_mT6_T7_P12ihipStream_tbENKUlT_T0_E_clISt17integral_constantIbLb0EESY_IbLb1EEEEDaSU_SV_EUlSU_E_NS1_11comp_targetILNS1_3genE9ELNS1_11target_archE1100ELNS1_3gpuE3ELNS1_3repE0EEENS1_30default_config_static_selectorELNS0_4arch9wavefront6targetE0EEEvT1_.has_dyn_sized_stack, 0
	.set _ZN7rocprim17ROCPRIM_400000_NS6detail17trampoline_kernelINS0_14default_configENS1_27scan_by_key_config_selectorIxiEEZZNS1_16scan_by_key_implILNS1_25lookback_scan_determinismE0ELb1ES3_N6thrust23THRUST_200600_302600_NS6detail15normal_iteratorINS9_10device_ptrIxEEEESE_SE_iNS9_4plusIvEENS9_8equal_toIvEEiEE10hipError_tPvRmT2_T3_T4_T5_mT6_T7_P12ihipStream_tbENKUlT_T0_E_clISt17integral_constantIbLb0EESY_IbLb1EEEEDaSU_SV_EUlSU_E_NS1_11comp_targetILNS1_3genE9ELNS1_11target_archE1100ELNS1_3gpuE3ELNS1_3repE0EEENS1_30default_config_static_selectorELNS0_4arch9wavefront6targetE0EEEvT1_.has_recursion, 0
	.set _ZN7rocprim17ROCPRIM_400000_NS6detail17trampoline_kernelINS0_14default_configENS1_27scan_by_key_config_selectorIxiEEZZNS1_16scan_by_key_implILNS1_25lookback_scan_determinismE0ELb1ES3_N6thrust23THRUST_200600_302600_NS6detail15normal_iteratorINS9_10device_ptrIxEEEESE_SE_iNS9_4plusIvEENS9_8equal_toIvEEiEE10hipError_tPvRmT2_T3_T4_T5_mT6_T7_P12ihipStream_tbENKUlT_T0_E_clISt17integral_constantIbLb0EESY_IbLb1EEEEDaSU_SV_EUlSU_E_NS1_11comp_targetILNS1_3genE9ELNS1_11target_archE1100ELNS1_3gpuE3ELNS1_3repE0EEENS1_30default_config_static_selectorELNS0_4arch9wavefront6targetE0EEEvT1_.has_indirect_call, 0
	.section	.AMDGPU.csdata,"",@progbits
; Kernel info:
; codeLenInByte = 0
; TotalNumSgprs: 0
; NumVgprs: 0
; ScratchSize: 0
; MemoryBound: 0
; FloatMode: 240
; IeeeMode: 1
; LDSByteSize: 0 bytes/workgroup (compile time only)
; SGPRBlocks: 0
; VGPRBlocks: 0
; NumSGPRsForWavesPerEU: 1
; NumVGPRsForWavesPerEU: 1
; NamedBarCnt: 0
; Occupancy: 16
; WaveLimiterHint : 0
; COMPUTE_PGM_RSRC2:SCRATCH_EN: 0
; COMPUTE_PGM_RSRC2:USER_SGPR: 2
; COMPUTE_PGM_RSRC2:TRAP_HANDLER: 0
; COMPUTE_PGM_RSRC2:TGID_X_EN: 1
; COMPUTE_PGM_RSRC2:TGID_Y_EN: 0
; COMPUTE_PGM_RSRC2:TGID_Z_EN: 0
; COMPUTE_PGM_RSRC2:TIDIG_COMP_CNT: 0
	.section	.text._ZN7rocprim17ROCPRIM_400000_NS6detail17trampoline_kernelINS0_14default_configENS1_27scan_by_key_config_selectorIxiEEZZNS1_16scan_by_key_implILNS1_25lookback_scan_determinismE0ELb1ES3_N6thrust23THRUST_200600_302600_NS6detail15normal_iteratorINS9_10device_ptrIxEEEESE_SE_iNS9_4plusIvEENS9_8equal_toIvEEiEE10hipError_tPvRmT2_T3_T4_T5_mT6_T7_P12ihipStream_tbENKUlT_T0_E_clISt17integral_constantIbLb0EESY_IbLb1EEEEDaSU_SV_EUlSU_E_NS1_11comp_targetILNS1_3genE8ELNS1_11target_archE1030ELNS1_3gpuE2ELNS1_3repE0EEENS1_30default_config_static_selectorELNS0_4arch9wavefront6targetE0EEEvT1_,"axG",@progbits,_ZN7rocprim17ROCPRIM_400000_NS6detail17trampoline_kernelINS0_14default_configENS1_27scan_by_key_config_selectorIxiEEZZNS1_16scan_by_key_implILNS1_25lookback_scan_determinismE0ELb1ES3_N6thrust23THRUST_200600_302600_NS6detail15normal_iteratorINS9_10device_ptrIxEEEESE_SE_iNS9_4plusIvEENS9_8equal_toIvEEiEE10hipError_tPvRmT2_T3_T4_T5_mT6_T7_P12ihipStream_tbENKUlT_T0_E_clISt17integral_constantIbLb0EESY_IbLb1EEEEDaSU_SV_EUlSU_E_NS1_11comp_targetILNS1_3genE8ELNS1_11target_archE1030ELNS1_3gpuE2ELNS1_3repE0EEENS1_30default_config_static_selectorELNS0_4arch9wavefront6targetE0EEEvT1_,comdat
	.protected	_ZN7rocprim17ROCPRIM_400000_NS6detail17trampoline_kernelINS0_14default_configENS1_27scan_by_key_config_selectorIxiEEZZNS1_16scan_by_key_implILNS1_25lookback_scan_determinismE0ELb1ES3_N6thrust23THRUST_200600_302600_NS6detail15normal_iteratorINS9_10device_ptrIxEEEESE_SE_iNS9_4plusIvEENS9_8equal_toIvEEiEE10hipError_tPvRmT2_T3_T4_T5_mT6_T7_P12ihipStream_tbENKUlT_T0_E_clISt17integral_constantIbLb0EESY_IbLb1EEEEDaSU_SV_EUlSU_E_NS1_11comp_targetILNS1_3genE8ELNS1_11target_archE1030ELNS1_3gpuE2ELNS1_3repE0EEENS1_30default_config_static_selectorELNS0_4arch9wavefront6targetE0EEEvT1_ ; -- Begin function _ZN7rocprim17ROCPRIM_400000_NS6detail17trampoline_kernelINS0_14default_configENS1_27scan_by_key_config_selectorIxiEEZZNS1_16scan_by_key_implILNS1_25lookback_scan_determinismE0ELb1ES3_N6thrust23THRUST_200600_302600_NS6detail15normal_iteratorINS9_10device_ptrIxEEEESE_SE_iNS9_4plusIvEENS9_8equal_toIvEEiEE10hipError_tPvRmT2_T3_T4_T5_mT6_T7_P12ihipStream_tbENKUlT_T0_E_clISt17integral_constantIbLb0EESY_IbLb1EEEEDaSU_SV_EUlSU_E_NS1_11comp_targetILNS1_3genE8ELNS1_11target_archE1030ELNS1_3gpuE2ELNS1_3repE0EEENS1_30default_config_static_selectorELNS0_4arch9wavefront6targetE0EEEvT1_
	.globl	_ZN7rocprim17ROCPRIM_400000_NS6detail17trampoline_kernelINS0_14default_configENS1_27scan_by_key_config_selectorIxiEEZZNS1_16scan_by_key_implILNS1_25lookback_scan_determinismE0ELb1ES3_N6thrust23THRUST_200600_302600_NS6detail15normal_iteratorINS9_10device_ptrIxEEEESE_SE_iNS9_4plusIvEENS9_8equal_toIvEEiEE10hipError_tPvRmT2_T3_T4_T5_mT6_T7_P12ihipStream_tbENKUlT_T0_E_clISt17integral_constantIbLb0EESY_IbLb1EEEEDaSU_SV_EUlSU_E_NS1_11comp_targetILNS1_3genE8ELNS1_11target_archE1030ELNS1_3gpuE2ELNS1_3repE0EEENS1_30default_config_static_selectorELNS0_4arch9wavefront6targetE0EEEvT1_
	.p2align	8
	.type	_ZN7rocprim17ROCPRIM_400000_NS6detail17trampoline_kernelINS0_14default_configENS1_27scan_by_key_config_selectorIxiEEZZNS1_16scan_by_key_implILNS1_25lookback_scan_determinismE0ELb1ES3_N6thrust23THRUST_200600_302600_NS6detail15normal_iteratorINS9_10device_ptrIxEEEESE_SE_iNS9_4plusIvEENS9_8equal_toIvEEiEE10hipError_tPvRmT2_T3_T4_T5_mT6_T7_P12ihipStream_tbENKUlT_T0_E_clISt17integral_constantIbLb0EESY_IbLb1EEEEDaSU_SV_EUlSU_E_NS1_11comp_targetILNS1_3genE8ELNS1_11target_archE1030ELNS1_3gpuE2ELNS1_3repE0EEENS1_30default_config_static_selectorELNS0_4arch9wavefront6targetE0EEEvT1_,@function
_ZN7rocprim17ROCPRIM_400000_NS6detail17trampoline_kernelINS0_14default_configENS1_27scan_by_key_config_selectorIxiEEZZNS1_16scan_by_key_implILNS1_25lookback_scan_determinismE0ELb1ES3_N6thrust23THRUST_200600_302600_NS6detail15normal_iteratorINS9_10device_ptrIxEEEESE_SE_iNS9_4plusIvEENS9_8equal_toIvEEiEE10hipError_tPvRmT2_T3_T4_T5_mT6_T7_P12ihipStream_tbENKUlT_T0_E_clISt17integral_constantIbLb0EESY_IbLb1EEEEDaSU_SV_EUlSU_E_NS1_11comp_targetILNS1_3genE8ELNS1_11target_archE1030ELNS1_3gpuE2ELNS1_3repE0EEENS1_30default_config_static_selectorELNS0_4arch9wavefront6targetE0EEEvT1_: ; @_ZN7rocprim17ROCPRIM_400000_NS6detail17trampoline_kernelINS0_14default_configENS1_27scan_by_key_config_selectorIxiEEZZNS1_16scan_by_key_implILNS1_25lookback_scan_determinismE0ELb1ES3_N6thrust23THRUST_200600_302600_NS6detail15normal_iteratorINS9_10device_ptrIxEEEESE_SE_iNS9_4plusIvEENS9_8equal_toIvEEiEE10hipError_tPvRmT2_T3_T4_T5_mT6_T7_P12ihipStream_tbENKUlT_T0_E_clISt17integral_constantIbLb0EESY_IbLb1EEEEDaSU_SV_EUlSU_E_NS1_11comp_targetILNS1_3genE8ELNS1_11target_archE1030ELNS1_3gpuE2ELNS1_3repE0EEENS1_30default_config_static_selectorELNS0_4arch9wavefront6targetE0EEEvT1_
; %bb.0:
	.section	.rodata,"a",@progbits
	.p2align	6, 0x0
	.amdhsa_kernel _ZN7rocprim17ROCPRIM_400000_NS6detail17trampoline_kernelINS0_14default_configENS1_27scan_by_key_config_selectorIxiEEZZNS1_16scan_by_key_implILNS1_25lookback_scan_determinismE0ELb1ES3_N6thrust23THRUST_200600_302600_NS6detail15normal_iteratorINS9_10device_ptrIxEEEESE_SE_iNS9_4plusIvEENS9_8equal_toIvEEiEE10hipError_tPvRmT2_T3_T4_T5_mT6_T7_P12ihipStream_tbENKUlT_T0_E_clISt17integral_constantIbLb0EESY_IbLb1EEEEDaSU_SV_EUlSU_E_NS1_11comp_targetILNS1_3genE8ELNS1_11target_archE1030ELNS1_3gpuE2ELNS1_3repE0EEENS1_30default_config_static_selectorELNS0_4arch9wavefront6targetE0EEEvT1_
		.amdhsa_group_segment_fixed_size 0
		.amdhsa_private_segment_fixed_size 0
		.amdhsa_kernarg_size 112
		.amdhsa_user_sgpr_count 2
		.amdhsa_user_sgpr_dispatch_ptr 0
		.amdhsa_user_sgpr_queue_ptr 0
		.amdhsa_user_sgpr_kernarg_segment_ptr 1
		.amdhsa_user_sgpr_dispatch_id 0
		.amdhsa_user_sgpr_kernarg_preload_length 0
		.amdhsa_user_sgpr_kernarg_preload_offset 0
		.amdhsa_user_sgpr_private_segment_size 0
		.amdhsa_wavefront_size32 1
		.amdhsa_uses_dynamic_stack 0
		.amdhsa_enable_private_segment 0
		.amdhsa_system_sgpr_workgroup_id_x 1
		.amdhsa_system_sgpr_workgroup_id_y 0
		.amdhsa_system_sgpr_workgroup_id_z 0
		.amdhsa_system_sgpr_workgroup_info 0
		.amdhsa_system_vgpr_workitem_id 0
		.amdhsa_next_free_vgpr 1
		.amdhsa_next_free_sgpr 1
		.amdhsa_named_barrier_count 0
		.amdhsa_reserve_vcc 0
		.amdhsa_float_round_mode_32 0
		.amdhsa_float_round_mode_16_64 0
		.amdhsa_float_denorm_mode_32 3
		.amdhsa_float_denorm_mode_16_64 3
		.amdhsa_fp16_overflow 0
		.amdhsa_memory_ordered 1
		.amdhsa_forward_progress 1
		.amdhsa_inst_pref_size 0
		.amdhsa_round_robin_scheduling 0
		.amdhsa_exception_fp_ieee_invalid_op 0
		.amdhsa_exception_fp_denorm_src 0
		.amdhsa_exception_fp_ieee_div_zero 0
		.amdhsa_exception_fp_ieee_overflow 0
		.amdhsa_exception_fp_ieee_underflow 0
		.amdhsa_exception_fp_ieee_inexact 0
		.amdhsa_exception_int_div_zero 0
	.end_amdhsa_kernel
	.section	.text._ZN7rocprim17ROCPRIM_400000_NS6detail17trampoline_kernelINS0_14default_configENS1_27scan_by_key_config_selectorIxiEEZZNS1_16scan_by_key_implILNS1_25lookback_scan_determinismE0ELb1ES3_N6thrust23THRUST_200600_302600_NS6detail15normal_iteratorINS9_10device_ptrIxEEEESE_SE_iNS9_4plusIvEENS9_8equal_toIvEEiEE10hipError_tPvRmT2_T3_T4_T5_mT6_T7_P12ihipStream_tbENKUlT_T0_E_clISt17integral_constantIbLb0EESY_IbLb1EEEEDaSU_SV_EUlSU_E_NS1_11comp_targetILNS1_3genE8ELNS1_11target_archE1030ELNS1_3gpuE2ELNS1_3repE0EEENS1_30default_config_static_selectorELNS0_4arch9wavefront6targetE0EEEvT1_,"axG",@progbits,_ZN7rocprim17ROCPRIM_400000_NS6detail17trampoline_kernelINS0_14default_configENS1_27scan_by_key_config_selectorIxiEEZZNS1_16scan_by_key_implILNS1_25lookback_scan_determinismE0ELb1ES3_N6thrust23THRUST_200600_302600_NS6detail15normal_iteratorINS9_10device_ptrIxEEEESE_SE_iNS9_4plusIvEENS9_8equal_toIvEEiEE10hipError_tPvRmT2_T3_T4_T5_mT6_T7_P12ihipStream_tbENKUlT_T0_E_clISt17integral_constantIbLb0EESY_IbLb1EEEEDaSU_SV_EUlSU_E_NS1_11comp_targetILNS1_3genE8ELNS1_11target_archE1030ELNS1_3gpuE2ELNS1_3repE0EEENS1_30default_config_static_selectorELNS0_4arch9wavefront6targetE0EEEvT1_,comdat
.Lfunc_end1040:
	.size	_ZN7rocprim17ROCPRIM_400000_NS6detail17trampoline_kernelINS0_14default_configENS1_27scan_by_key_config_selectorIxiEEZZNS1_16scan_by_key_implILNS1_25lookback_scan_determinismE0ELb1ES3_N6thrust23THRUST_200600_302600_NS6detail15normal_iteratorINS9_10device_ptrIxEEEESE_SE_iNS9_4plusIvEENS9_8equal_toIvEEiEE10hipError_tPvRmT2_T3_T4_T5_mT6_T7_P12ihipStream_tbENKUlT_T0_E_clISt17integral_constantIbLb0EESY_IbLb1EEEEDaSU_SV_EUlSU_E_NS1_11comp_targetILNS1_3genE8ELNS1_11target_archE1030ELNS1_3gpuE2ELNS1_3repE0EEENS1_30default_config_static_selectorELNS0_4arch9wavefront6targetE0EEEvT1_, .Lfunc_end1040-_ZN7rocprim17ROCPRIM_400000_NS6detail17trampoline_kernelINS0_14default_configENS1_27scan_by_key_config_selectorIxiEEZZNS1_16scan_by_key_implILNS1_25lookback_scan_determinismE0ELb1ES3_N6thrust23THRUST_200600_302600_NS6detail15normal_iteratorINS9_10device_ptrIxEEEESE_SE_iNS9_4plusIvEENS9_8equal_toIvEEiEE10hipError_tPvRmT2_T3_T4_T5_mT6_T7_P12ihipStream_tbENKUlT_T0_E_clISt17integral_constantIbLb0EESY_IbLb1EEEEDaSU_SV_EUlSU_E_NS1_11comp_targetILNS1_3genE8ELNS1_11target_archE1030ELNS1_3gpuE2ELNS1_3repE0EEENS1_30default_config_static_selectorELNS0_4arch9wavefront6targetE0EEEvT1_
                                        ; -- End function
	.set _ZN7rocprim17ROCPRIM_400000_NS6detail17trampoline_kernelINS0_14default_configENS1_27scan_by_key_config_selectorIxiEEZZNS1_16scan_by_key_implILNS1_25lookback_scan_determinismE0ELb1ES3_N6thrust23THRUST_200600_302600_NS6detail15normal_iteratorINS9_10device_ptrIxEEEESE_SE_iNS9_4plusIvEENS9_8equal_toIvEEiEE10hipError_tPvRmT2_T3_T4_T5_mT6_T7_P12ihipStream_tbENKUlT_T0_E_clISt17integral_constantIbLb0EESY_IbLb1EEEEDaSU_SV_EUlSU_E_NS1_11comp_targetILNS1_3genE8ELNS1_11target_archE1030ELNS1_3gpuE2ELNS1_3repE0EEENS1_30default_config_static_selectorELNS0_4arch9wavefront6targetE0EEEvT1_.num_vgpr, 0
	.set _ZN7rocprim17ROCPRIM_400000_NS6detail17trampoline_kernelINS0_14default_configENS1_27scan_by_key_config_selectorIxiEEZZNS1_16scan_by_key_implILNS1_25lookback_scan_determinismE0ELb1ES3_N6thrust23THRUST_200600_302600_NS6detail15normal_iteratorINS9_10device_ptrIxEEEESE_SE_iNS9_4plusIvEENS9_8equal_toIvEEiEE10hipError_tPvRmT2_T3_T4_T5_mT6_T7_P12ihipStream_tbENKUlT_T0_E_clISt17integral_constantIbLb0EESY_IbLb1EEEEDaSU_SV_EUlSU_E_NS1_11comp_targetILNS1_3genE8ELNS1_11target_archE1030ELNS1_3gpuE2ELNS1_3repE0EEENS1_30default_config_static_selectorELNS0_4arch9wavefront6targetE0EEEvT1_.num_agpr, 0
	.set _ZN7rocprim17ROCPRIM_400000_NS6detail17trampoline_kernelINS0_14default_configENS1_27scan_by_key_config_selectorIxiEEZZNS1_16scan_by_key_implILNS1_25lookback_scan_determinismE0ELb1ES3_N6thrust23THRUST_200600_302600_NS6detail15normal_iteratorINS9_10device_ptrIxEEEESE_SE_iNS9_4plusIvEENS9_8equal_toIvEEiEE10hipError_tPvRmT2_T3_T4_T5_mT6_T7_P12ihipStream_tbENKUlT_T0_E_clISt17integral_constantIbLb0EESY_IbLb1EEEEDaSU_SV_EUlSU_E_NS1_11comp_targetILNS1_3genE8ELNS1_11target_archE1030ELNS1_3gpuE2ELNS1_3repE0EEENS1_30default_config_static_selectorELNS0_4arch9wavefront6targetE0EEEvT1_.numbered_sgpr, 0
	.set _ZN7rocprim17ROCPRIM_400000_NS6detail17trampoline_kernelINS0_14default_configENS1_27scan_by_key_config_selectorIxiEEZZNS1_16scan_by_key_implILNS1_25lookback_scan_determinismE0ELb1ES3_N6thrust23THRUST_200600_302600_NS6detail15normal_iteratorINS9_10device_ptrIxEEEESE_SE_iNS9_4plusIvEENS9_8equal_toIvEEiEE10hipError_tPvRmT2_T3_T4_T5_mT6_T7_P12ihipStream_tbENKUlT_T0_E_clISt17integral_constantIbLb0EESY_IbLb1EEEEDaSU_SV_EUlSU_E_NS1_11comp_targetILNS1_3genE8ELNS1_11target_archE1030ELNS1_3gpuE2ELNS1_3repE0EEENS1_30default_config_static_selectorELNS0_4arch9wavefront6targetE0EEEvT1_.num_named_barrier, 0
	.set _ZN7rocprim17ROCPRIM_400000_NS6detail17trampoline_kernelINS0_14default_configENS1_27scan_by_key_config_selectorIxiEEZZNS1_16scan_by_key_implILNS1_25lookback_scan_determinismE0ELb1ES3_N6thrust23THRUST_200600_302600_NS6detail15normal_iteratorINS9_10device_ptrIxEEEESE_SE_iNS9_4plusIvEENS9_8equal_toIvEEiEE10hipError_tPvRmT2_T3_T4_T5_mT6_T7_P12ihipStream_tbENKUlT_T0_E_clISt17integral_constantIbLb0EESY_IbLb1EEEEDaSU_SV_EUlSU_E_NS1_11comp_targetILNS1_3genE8ELNS1_11target_archE1030ELNS1_3gpuE2ELNS1_3repE0EEENS1_30default_config_static_selectorELNS0_4arch9wavefront6targetE0EEEvT1_.private_seg_size, 0
	.set _ZN7rocprim17ROCPRIM_400000_NS6detail17trampoline_kernelINS0_14default_configENS1_27scan_by_key_config_selectorIxiEEZZNS1_16scan_by_key_implILNS1_25lookback_scan_determinismE0ELb1ES3_N6thrust23THRUST_200600_302600_NS6detail15normal_iteratorINS9_10device_ptrIxEEEESE_SE_iNS9_4plusIvEENS9_8equal_toIvEEiEE10hipError_tPvRmT2_T3_T4_T5_mT6_T7_P12ihipStream_tbENKUlT_T0_E_clISt17integral_constantIbLb0EESY_IbLb1EEEEDaSU_SV_EUlSU_E_NS1_11comp_targetILNS1_3genE8ELNS1_11target_archE1030ELNS1_3gpuE2ELNS1_3repE0EEENS1_30default_config_static_selectorELNS0_4arch9wavefront6targetE0EEEvT1_.uses_vcc, 0
	.set _ZN7rocprim17ROCPRIM_400000_NS6detail17trampoline_kernelINS0_14default_configENS1_27scan_by_key_config_selectorIxiEEZZNS1_16scan_by_key_implILNS1_25lookback_scan_determinismE0ELb1ES3_N6thrust23THRUST_200600_302600_NS6detail15normal_iteratorINS9_10device_ptrIxEEEESE_SE_iNS9_4plusIvEENS9_8equal_toIvEEiEE10hipError_tPvRmT2_T3_T4_T5_mT6_T7_P12ihipStream_tbENKUlT_T0_E_clISt17integral_constantIbLb0EESY_IbLb1EEEEDaSU_SV_EUlSU_E_NS1_11comp_targetILNS1_3genE8ELNS1_11target_archE1030ELNS1_3gpuE2ELNS1_3repE0EEENS1_30default_config_static_selectorELNS0_4arch9wavefront6targetE0EEEvT1_.uses_flat_scratch, 0
	.set _ZN7rocprim17ROCPRIM_400000_NS6detail17trampoline_kernelINS0_14default_configENS1_27scan_by_key_config_selectorIxiEEZZNS1_16scan_by_key_implILNS1_25lookback_scan_determinismE0ELb1ES3_N6thrust23THRUST_200600_302600_NS6detail15normal_iteratorINS9_10device_ptrIxEEEESE_SE_iNS9_4plusIvEENS9_8equal_toIvEEiEE10hipError_tPvRmT2_T3_T4_T5_mT6_T7_P12ihipStream_tbENKUlT_T0_E_clISt17integral_constantIbLb0EESY_IbLb1EEEEDaSU_SV_EUlSU_E_NS1_11comp_targetILNS1_3genE8ELNS1_11target_archE1030ELNS1_3gpuE2ELNS1_3repE0EEENS1_30default_config_static_selectorELNS0_4arch9wavefront6targetE0EEEvT1_.has_dyn_sized_stack, 0
	.set _ZN7rocprim17ROCPRIM_400000_NS6detail17trampoline_kernelINS0_14default_configENS1_27scan_by_key_config_selectorIxiEEZZNS1_16scan_by_key_implILNS1_25lookback_scan_determinismE0ELb1ES3_N6thrust23THRUST_200600_302600_NS6detail15normal_iteratorINS9_10device_ptrIxEEEESE_SE_iNS9_4plusIvEENS9_8equal_toIvEEiEE10hipError_tPvRmT2_T3_T4_T5_mT6_T7_P12ihipStream_tbENKUlT_T0_E_clISt17integral_constantIbLb0EESY_IbLb1EEEEDaSU_SV_EUlSU_E_NS1_11comp_targetILNS1_3genE8ELNS1_11target_archE1030ELNS1_3gpuE2ELNS1_3repE0EEENS1_30default_config_static_selectorELNS0_4arch9wavefront6targetE0EEEvT1_.has_recursion, 0
	.set _ZN7rocprim17ROCPRIM_400000_NS6detail17trampoline_kernelINS0_14default_configENS1_27scan_by_key_config_selectorIxiEEZZNS1_16scan_by_key_implILNS1_25lookback_scan_determinismE0ELb1ES3_N6thrust23THRUST_200600_302600_NS6detail15normal_iteratorINS9_10device_ptrIxEEEESE_SE_iNS9_4plusIvEENS9_8equal_toIvEEiEE10hipError_tPvRmT2_T3_T4_T5_mT6_T7_P12ihipStream_tbENKUlT_T0_E_clISt17integral_constantIbLb0EESY_IbLb1EEEEDaSU_SV_EUlSU_E_NS1_11comp_targetILNS1_3genE8ELNS1_11target_archE1030ELNS1_3gpuE2ELNS1_3repE0EEENS1_30default_config_static_selectorELNS0_4arch9wavefront6targetE0EEEvT1_.has_indirect_call, 0
	.section	.AMDGPU.csdata,"",@progbits
; Kernel info:
; codeLenInByte = 0
; TotalNumSgprs: 0
; NumVgprs: 0
; ScratchSize: 0
; MemoryBound: 0
; FloatMode: 240
; IeeeMode: 1
; LDSByteSize: 0 bytes/workgroup (compile time only)
; SGPRBlocks: 0
; VGPRBlocks: 0
; NumSGPRsForWavesPerEU: 1
; NumVGPRsForWavesPerEU: 1
; NamedBarCnt: 0
; Occupancy: 16
; WaveLimiterHint : 0
; COMPUTE_PGM_RSRC2:SCRATCH_EN: 0
; COMPUTE_PGM_RSRC2:USER_SGPR: 2
; COMPUTE_PGM_RSRC2:TRAP_HANDLER: 0
; COMPUTE_PGM_RSRC2:TGID_X_EN: 1
; COMPUTE_PGM_RSRC2:TGID_Y_EN: 0
; COMPUTE_PGM_RSRC2:TGID_Z_EN: 0
; COMPUTE_PGM_RSRC2:TIDIG_COMP_CNT: 0
	.section	.text._ZN7rocprim17ROCPRIM_400000_NS6detail30init_device_scan_by_key_kernelINS1_19lookback_scan_stateINS0_5tupleIJibEEELb0ELb1EEEN6thrust23THRUST_200600_302600_NS6detail15normal_iteratorINS8_10device_ptrIsEEEEjNS1_16block_id_wrapperIjLb0EEEEEvT_jjPNSG_10value_typeET0_PNSt15iterator_traitsISJ_E10value_typeEmT1_T2_,"axG",@progbits,_ZN7rocprim17ROCPRIM_400000_NS6detail30init_device_scan_by_key_kernelINS1_19lookback_scan_stateINS0_5tupleIJibEEELb0ELb1EEEN6thrust23THRUST_200600_302600_NS6detail15normal_iteratorINS8_10device_ptrIsEEEEjNS1_16block_id_wrapperIjLb0EEEEEvT_jjPNSG_10value_typeET0_PNSt15iterator_traitsISJ_E10value_typeEmT1_T2_,comdat
	.protected	_ZN7rocprim17ROCPRIM_400000_NS6detail30init_device_scan_by_key_kernelINS1_19lookback_scan_stateINS0_5tupleIJibEEELb0ELb1EEEN6thrust23THRUST_200600_302600_NS6detail15normal_iteratorINS8_10device_ptrIsEEEEjNS1_16block_id_wrapperIjLb0EEEEEvT_jjPNSG_10value_typeET0_PNSt15iterator_traitsISJ_E10value_typeEmT1_T2_ ; -- Begin function _ZN7rocprim17ROCPRIM_400000_NS6detail30init_device_scan_by_key_kernelINS1_19lookback_scan_stateINS0_5tupleIJibEEELb0ELb1EEEN6thrust23THRUST_200600_302600_NS6detail15normal_iteratorINS8_10device_ptrIsEEEEjNS1_16block_id_wrapperIjLb0EEEEEvT_jjPNSG_10value_typeET0_PNSt15iterator_traitsISJ_E10value_typeEmT1_T2_
	.globl	_ZN7rocprim17ROCPRIM_400000_NS6detail30init_device_scan_by_key_kernelINS1_19lookback_scan_stateINS0_5tupleIJibEEELb0ELb1EEEN6thrust23THRUST_200600_302600_NS6detail15normal_iteratorINS8_10device_ptrIsEEEEjNS1_16block_id_wrapperIjLb0EEEEEvT_jjPNSG_10value_typeET0_PNSt15iterator_traitsISJ_E10value_typeEmT1_T2_
	.p2align	8
	.type	_ZN7rocprim17ROCPRIM_400000_NS6detail30init_device_scan_by_key_kernelINS1_19lookback_scan_stateINS0_5tupleIJibEEELb0ELb1EEEN6thrust23THRUST_200600_302600_NS6detail15normal_iteratorINS8_10device_ptrIsEEEEjNS1_16block_id_wrapperIjLb0EEEEEvT_jjPNSG_10value_typeET0_PNSt15iterator_traitsISJ_E10value_typeEmT1_T2_,@function
_ZN7rocprim17ROCPRIM_400000_NS6detail30init_device_scan_by_key_kernelINS1_19lookback_scan_stateINS0_5tupleIJibEEELb0ELb1EEEN6thrust23THRUST_200600_302600_NS6detail15normal_iteratorINS8_10device_ptrIsEEEEjNS1_16block_id_wrapperIjLb0EEEEEvT_jjPNSG_10value_typeET0_PNSt15iterator_traitsISJ_E10value_typeEmT1_T2_: ; @_ZN7rocprim17ROCPRIM_400000_NS6detail30init_device_scan_by_key_kernelINS1_19lookback_scan_stateINS0_5tupleIJibEEELb0ELb1EEEN6thrust23THRUST_200600_302600_NS6detail15normal_iteratorINS8_10device_ptrIsEEEEjNS1_16block_id_wrapperIjLb0EEEEEvT_jjPNSG_10value_typeET0_PNSt15iterator_traitsISJ_E10value_typeEmT1_T2_
; %bb.0:
	s_clause 0x2
	s_load_b32 s2, s[0:1], 0x44
	s_load_b32 s14, s[0:1], 0x38
	s_load_b256 s[4:11], s[0:1], 0x0
	s_bfe_u32 s3, ttmp6, 0x4000c
	s_and_b32 s12, ttmp6, 15
	s_add_co_i32 s3, s3, 1
	s_getreg_b32 s13, hwreg(HW_REG_IB_STS2, 6, 4)
	s_mul_i32 s3, ttmp9, s3
	s_delay_alu instid0(SALU_CYCLE_1)
	s_add_co_i32 s12, s12, s3
	s_wait_kmcnt 0x0
	s_and_b32 s15, s2, 0xffff
	s_cmp_eq_u32 s13, 0
	s_cselect_b32 s2, ttmp9, s12
	s_cmp_eq_u64 s[8:9], 0
	v_mad_u32 v4, s2, s15, v0
	s_cbranch_scc1 .LBB1041_8
; %bb.1:
	s_cmp_lt_u32 s7, s6
	s_mov_b32 s16, exec_lo
	s_cselect_b32 s2, s7, 0
	s_delay_alu instid0(VALU_DEP_1) | instid1(SALU_CYCLE_1)
	v_cmpx_eq_u32_e64 s2, v4
	s_cbranch_execz .LBB1041_7
; %bb.2:
	s_add_co_i32 s2, s7, 32
	s_mov_b32 s3, 0
	v_mov_b32_e32 v7, 0
	s_lshl_b64 s[12:13], s[2:3], 4
	s_mov_b32 s2, exec_lo
	s_add_nc_u64 s[12:13], s[4:5], s[12:13]
	s_delay_alu instid0(SALU_CYCLE_1) | instskip(SKIP_2) | instid1(VALU_DEP_1)
	v_mov_b64_e32 v[0:1], s[12:13]
	;;#ASMSTART
	global_load_b128 v[0:3], v[0:1] off scope:SCOPE_DEV	
s_wait_loadcnt 0x0
	;;#ASMEND
	v_and_b32_e32 v6, 0xff, v2
	v_cmpx_eq_u64_e32 0, v[6:7]
	s_cbranch_execz .LBB1041_6
; %bb.3:
	v_mov_b64_e32 v[8:9], s[12:13]
.LBB1041_4:                             ; =>This Inner Loop Header: Depth=1
	;;#ASMSTART
	global_load_b128 v[0:3], v[8:9] off scope:SCOPE_DEV	
s_wait_loadcnt 0x0
	;;#ASMEND
	v_and_b32_e32 v6, 0xff, v2
	s_delay_alu instid0(VALU_DEP_1) | instskip(SKIP_1) | instid1(SALU_CYCLE_1)
	v_cmp_ne_u64_e32 vcc_lo, 0, v[6:7]
	s_or_b32 s3, vcc_lo, s3
	s_and_not1_b32 exec_lo, exec_lo, s3
	s_cbranch_execnz .LBB1041_4
; %bb.5:
	s_or_b32 exec_lo, exec_lo, s3
.LBB1041_6:
	s_delay_alu instid0(SALU_CYCLE_1)
	s_or_b32 exec_lo, exec_lo, s2
	v_mov_b32_e32 v2, 0
	s_clause 0x1
	global_store_b32 v2, v0, s[8:9]
	global_store_b8 v2, v1, s[8:9] offset:4
.LBB1041_7:
	s_wait_xcnt 0x0
	s_or_b32 exec_lo, exec_lo, s16
.LBB1041_8:
	s_delay_alu instid0(SALU_CYCLE_1) | instskip(NEXT) | instid1(VALU_DEP_1)
	s_mov_b32 s2, exec_lo
	v_cmpx_gt_u32_e64 s6, v4
	s_cbranch_execz .LBB1041_10
; %bb.9:
	v_dual_mov_b32 v0, 0 :: v_dual_add_nc_u32 v5, 32, v4
	s_delay_alu instid0(VALU_DEP_1)
	v_dual_mov_b32 v1, v0 :: v_dual_mov_b32 v2, v0
	v_mov_b32_e32 v3, v0
	global_store_b128 v5, v[0:3], s[4:5] scale_offset
.LBB1041_10:
	s_wait_xcnt 0x0
	s_or_b32 exec_lo, exec_lo, s2
	v_mov_b32_e32 v5, 0
	s_mov_b32 s2, exec_lo
	v_cmpx_gt_u32_e32 32, v4
	s_cbranch_execz .LBB1041_12
; %bb.11:
	s_delay_alu instid0(VALU_DEP_2)
	v_lshl_add_u64 v[6:7], v[4:5], 4, s[4:5]
	v_dual_mov_b32 v2, 0xff :: v_dual_mov_b32 v1, v5
	v_dual_mov_b32 v0, v5 :: v_dual_mov_b32 v3, v5
	global_store_b128 v[6:7], v[0:3], off
.LBB1041_12:
	s_wait_xcnt 0x0
	s_or_b32 exec_lo, exec_lo, s2
	s_load_b64 s[2:3], s[0:1], 0x28
	s_mov_b32 s4, exec_lo
	s_wait_kmcnt 0x0
	v_cmpx_gt_u64_e64 s[2:3], v[4:5]
	s_cbranch_execz .LBB1041_15
; %bb.13:
	s_clause 0x1
	s_load_b32 s4, s[0:1], 0x30
	s_load_b64 s[6:7], s[0:1], 0x20
	s_mov_b32 s5, 0
	s_wait_xcnt 0x0
	s_mul_i32 s0, s14, s15
	s_mov_b32 s9, s5
	s_mov_b32 s1, s5
	s_wait_kmcnt 0x0
	v_mul_u64_e32 v[0:1], s[4:5], v[4:5]
	s_add_co_i32 s8, s4, -1
	v_lshl_add_u64 v[2:3], v[4:5], 1, s[6:7]
	s_lshl_b64 s[8:9], s[8:9], 1
	s_delay_alu instid0(SALU_CYCLE_1) | instskip(SKIP_1) | instid1(SALU_CYCLE_1)
	s_add_nc_u64 s[8:9], s[10:11], s[8:9]
	s_mul_u64 s[10:11], s[4:5], s[0:1]
	s_lshl_b64 s[6:7], s[10:11], 1
	s_delay_alu instid0(VALU_DEP_2)
	v_lshl_add_u64 v[0:1], v[0:1], 1, s[8:9]
	s_lshl_b64 s[8:9], s[0:1], 1
.LBB1041_14:                            ; =>This Inner Loop Header: Depth=1
	global_load_u16 v6, v[0:1], off
	v_add_nc_u64_e32 v[4:5], s[0:1], v[4:5]
	s_wait_xcnt 0x0
	v_add_nc_u64_e32 v[0:1], s[6:7], v[0:1]
	s_delay_alu instid0(VALU_DEP_2)
	v_cmp_le_u64_e32 vcc_lo, s[2:3], v[4:5]
	s_or_b32 s5, vcc_lo, s5
	s_wait_loadcnt 0x0
	global_store_b16 v[2:3], v6, off
	s_wait_xcnt 0x0
	v_add_nc_u64_e32 v[2:3], s[8:9], v[2:3]
	s_and_not1_b32 exec_lo, exec_lo, s5
	s_cbranch_execnz .LBB1041_14
.LBB1041_15:
	s_endpgm
	.section	.rodata,"a",@progbits
	.p2align	6, 0x0
	.amdhsa_kernel _ZN7rocprim17ROCPRIM_400000_NS6detail30init_device_scan_by_key_kernelINS1_19lookback_scan_stateINS0_5tupleIJibEEELb0ELb1EEEN6thrust23THRUST_200600_302600_NS6detail15normal_iteratorINS8_10device_ptrIsEEEEjNS1_16block_id_wrapperIjLb0EEEEEvT_jjPNSG_10value_typeET0_PNSt15iterator_traitsISJ_E10value_typeEmT1_T2_
		.amdhsa_group_segment_fixed_size 0
		.amdhsa_private_segment_fixed_size 0
		.amdhsa_kernarg_size 312
		.amdhsa_user_sgpr_count 2
		.amdhsa_user_sgpr_dispatch_ptr 0
		.amdhsa_user_sgpr_queue_ptr 0
		.amdhsa_user_sgpr_kernarg_segment_ptr 1
		.amdhsa_user_sgpr_dispatch_id 0
		.amdhsa_user_sgpr_kernarg_preload_length 0
		.amdhsa_user_sgpr_kernarg_preload_offset 0
		.amdhsa_user_sgpr_private_segment_size 0
		.amdhsa_wavefront_size32 1
		.amdhsa_uses_dynamic_stack 0
		.amdhsa_enable_private_segment 0
		.amdhsa_system_sgpr_workgroup_id_x 1
		.amdhsa_system_sgpr_workgroup_id_y 0
		.amdhsa_system_sgpr_workgroup_id_z 0
		.amdhsa_system_sgpr_workgroup_info 0
		.amdhsa_system_vgpr_workitem_id 0
		.amdhsa_next_free_vgpr 10
		.amdhsa_next_free_sgpr 17
		.amdhsa_named_barrier_count 0
		.amdhsa_reserve_vcc 1
		.amdhsa_float_round_mode_32 0
		.amdhsa_float_round_mode_16_64 0
		.amdhsa_float_denorm_mode_32 3
		.amdhsa_float_denorm_mode_16_64 3
		.amdhsa_fp16_overflow 0
		.amdhsa_memory_ordered 1
		.amdhsa_forward_progress 1
		.amdhsa_inst_pref_size 5
		.amdhsa_round_robin_scheduling 0
		.amdhsa_exception_fp_ieee_invalid_op 0
		.amdhsa_exception_fp_denorm_src 0
		.amdhsa_exception_fp_ieee_div_zero 0
		.amdhsa_exception_fp_ieee_overflow 0
		.amdhsa_exception_fp_ieee_underflow 0
		.amdhsa_exception_fp_ieee_inexact 0
		.amdhsa_exception_int_div_zero 0
	.end_amdhsa_kernel
	.section	.text._ZN7rocprim17ROCPRIM_400000_NS6detail30init_device_scan_by_key_kernelINS1_19lookback_scan_stateINS0_5tupleIJibEEELb0ELb1EEEN6thrust23THRUST_200600_302600_NS6detail15normal_iteratorINS8_10device_ptrIsEEEEjNS1_16block_id_wrapperIjLb0EEEEEvT_jjPNSG_10value_typeET0_PNSt15iterator_traitsISJ_E10value_typeEmT1_T2_,"axG",@progbits,_ZN7rocprim17ROCPRIM_400000_NS6detail30init_device_scan_by_key_kernelINS1_19lookback_scan_stateINS0_5tupleIJibEEELb0ELb1EEEN6thrust23THRUST_200600_302600_NS6detail15normal_iteratorINS8_10device_ptrIsEEEEjNS1_16block_id_wrapperIjLb0EEEEEvT_jjPNSG_10value_typeET0_PNSt15iterator_traitsISJ_E10value_typeEmT1_T2_,comdat
.Lfunc_end1041:
	.size	_ZN7rocprim17ROCPRIM_400000_NS6detail30init_device_scan_by_key_kernelINS1_19lookback_scan_stateINS0_5tupleIJibEEELb0ELb1EEEN6thrust23THRUST_200600_302600_NS6detail15normal_iteratorINS8_10device_ptrIsEEEEjNS1_16block_id_wrapperIjLb0EEEEEvT_jjPNSG_10value_typeET0_PNSt15iterator_traitsISJ_E10value_typeEmT1_T2_, .Lfunc_end1041-_ZN7rocprim17ROCPRIM_400000_NS6detail30init_device_scan_by_key_kernelINS1_19lookback_scan_stateINS0_5tupleIJibEEELb0ELb1EEEN6thrust23THRUST_200600_302600_NS6detail15normal_iteratorINS8_10device_ptrIsEEEEjNS1_16block_id_wrapperIjLb0EEEEEvT_jjPNSG_10value_typeET0_PNSt15iterator_traitsISJ_E10value_typeEmT1_T2_
                                        ; -- End function
	.set _ZN7rocprim17ROCPRIM_400000_NS6detail30init_device_scan_by_key_kernelINS1_19lookback_scan_stateINS0_5tupleIJibEEELb0ELb1EEEN6thrust23THRUST_200600_302600_NS6detail15normal_iteratorINS8_10device_ptrIsEEEEjNS1_16block_id_wrapperIjLb0EEEEEvT_jjPNSG_10value_typeET0_PNSt15iterator_traitsISJ_E10value_typeEmT1_T2_.num_vgpr, 10
	.set _ZN7rocprim17ROCPRIM_400000_NS6detail30init_device_scan_by_key_kernelINS1_19lookback_scan_stateINS0_5tupleIJibEEELb0ELb1EEEN6thrust23THRUST_200600_302600_NS6detail15normal_iteratorINS8_10device_ptrIsEEEEjNS1_16block_id_wrapperIjLb0EEEEEvT_jjPNSG_10value_typeET0_PNSt15iterator_traitsISJ_E10value_typeEmT1_T2_.num_agpr, 0
	.set _ZN7rocprim17ROCPRIM_400000_NS6detail30init_device_scan_by_key_kernelINS1_19lookback_scan_stateINS0_5tupleIJibEEELb0ELb1EEEN6thrust23THRUST_200600_302600_NS6detail15normal_iteratorINS8_10device_ptrIsEEEEjNS1_16block_id_wrapperIjLb0EEEEEvT_jjPNSG_10value_typeET0_PNSt15iterator_traitsISJ_E10value_typeEmT1_T2_.numbered_sgpr, 17
	.set _ZN7rocprim17ROCPRIM_400000_NS6detail30init_device_scan_by_key_kernelINS1_19lookback_scan_stateINS0_5tupleIJibEEELb0ELb1EEEN6thrust23THRUST_200600_302600_NS6detail15normal_iteratorINS8_10device_ptrIsEEEEjNS1_16block_id_wrapperIjLb0EEEEEvT_jjPNSG_10value_typeET0_PNSt15iterator_traitsISJ_E10value_typeEmT1_T2_.num_named_barrier, 0
	.set _ZN7rocprim17ROCPRIM_400000_NS6detail30init_device_scan_by_key_kernelINS1_19lookback_scan_stateINS0_5tupleIJibEEELb0ELb1EEEN6thrust23THRUST_200600_302600_NS6detail15normal_iteratorINS8_10device_ptrIsEEEEjNS1_16block_id_wrapperIjLb0EEEEEvT_jjPNSG_10value_typeET0_PNSt15iterator_traitsISJ_E10value_typeEmT1_T2_.private_seg_size, 0
	.set _ZN7rocprim17ROCPRIM_400000_NS6detail30init_device_scan_by_key_kernelINS1_19lookback_scan_stateINS0_5tupleIJibEEELb0ELb1EEEN6thrust23THRUST_200600_302600_NS6detail15normal_iteratorINS8_10device_ptrIsEEEEjNS1_16block_id_wrapperIjLb0EEEEEvT_jjPNSG_10value_typeET0_PNSt15iterator_traitsISJ_E10value_typeEmT1_T2_.uses_vcc, 1
	.set _ZN7rocprim17ROCPRIM_400000_NS6detail30init_device_scan_by_key_kernelINS1_19lookback_scan_stateINS0_5tupleIJibEEELb0ELb1EEEN6thrust23THRUST_200600_302600_NS6detail15normal_iteratorINS8_10device_ptrIsEEEEjNS1_16block_id_wrapperIjLb0EEEEEvT_jjPNSG_10value_typeET0_PNSt15iterator_traitsISJ_E10value_typeEmT1_T2_.uses_flat_scratch, 0
	.set _ZN7rocprim17ROCPRIM_400000_NS6detail30init_device_scan_by_key_kernelINS1_19lookback_scan_stateINS0_5tupleIJibEEELb0ELb1EEEN6thrust23THRUST_200600_302600_NS6detail15normal_iteratorINS8_10device_ptrIsEEEEjNS1_16block_id_wrapperIjLb0EEEEEvT_jjPNSG_10value_typeET0_PNSt15iterator_traitsISJ_E10value_typeEmT1_T2_.has_dyn_sized_stack, 0
	.set _ZN7rocprim17ROCPRIM_400000_NS6detail30init_device_scan_by_key_kernelINS1_19lookback_scan_stateINS0_5tupleIJibEEELb0ELb1EEEN6thrust23THRUST_200600_302600_NS6detail15normal_iteratorINS8_10device_ptrIsEEEEjNS1_16block_id_wrapperIjLb0EEEEEvT_jjPNSG_10value_typeET0_PNSt15iterator_traitsISJ_E10value_typeEmT1_T2_.has_recursion, 0
	.set _ZN7rocprim17ROCPRIM_400000_NS6detail30init_device_scan_by_key_kernelINS1_19lookback_scan_stateINS0_5tupleIJibEEELb0ELb1EEEN6thrust23THRUST_200600_302600_NS6detail15normal_iteratorINS8_10device_ptrIsEEEEjNS1_16block_id_wrapperIjLb0EEEEEvT_jjPNSG_10value_typeET0_PNSt15iterator_traitsISJ_E10value_typeEmT1_T2_.has_indirect_call, 0
	.section	.AMDGPU.csdata,"",@progbits
; Kernel info:
; codeLenInByte = 584
; TotalNumSgprs: 19
; NumVgprs: 10
; ScratchSize: 0
; MemoryBound: 0
; FloatMode: 240
; IeeeMode: 1
; LDSByteSize: 0 bytes/workgroup (compile time only)
; SGPRBlocks: 0
; VGPRBlocks: 0
; NumSGPRsForWavesPerEU: 19
; NumVGPRsForWavesPerEU: 10
; NamedBarCnt: 0
; Occupancy: 16
; WaveLimiterHint : 0
; COMPUTE_PGM_RSRC2:SCRATCH_EN: 0
; COMPUTE_PGM_RSRC2:USER_SGPR: 2
; COMPUTE_PGM_RSRC2:TRAP_HANDLER: 0
; COMPUTE_PGM_RSRC2:TGID_X_EN: 1
; COMPUTE_PGM_RSRC2:TGID_Y_EN: 0
; COMPUTE_PGM_RSRC2:TGID_Z_EN: 0
; COMPUTE_PGM_RSRC2:TIDIG_COMP_CNT: 0
	.section	.text._ZN7rocprim17ROCPRIM_400000_NS6detail17trampoline_kernelINS0_14default_configENS1_27scan_by_key_config_selectorIsiEEZZNS1_16scan_by_key_implILNS1_25lookback_scan_determinismE0ELb1ES3_N6thrust23THRUST_200600_302600_NS6detail15normal_iteratorINS9_10device_ptrIsEEEESE_SE_iNS9_4plusIvEENS9_8equal_toIvEEiEE10hipError_tPvRmT2_T3_T4_T5_mT6_T7_P12ihipStream_tbENKUlT_T0_E_clISt17integral_constantIbLb0EESZ_EEDaSU_SV_EUlSU_E_NS1_11comp_targetILNS1_3genE0ELNS1_11target_archE4294967295ELNS1_3gpuE0ELNS1_3repE0EEENS1_30default_config_static_selectorELNS0_4arch9wavefront6targetE0EEEvT1_,"axG",@progbits,_ZN7rocprim17ROCPRIM_400000_NS6detail17trampoline_kernelINS0_14default_configENS1_27scan_by_key_config_selectorIsiEEZZNS1_16scan_by_key_implILNS1_25lookback_scan_determinismE0ELb1ES3_N6thrust23THRUST_200600_302600_NS6detail15normal_iteratorINS9_10device_ptrIsEEEESE_SE_iNS9_4plusIvEENS9_8equal_toIvEEiEE10hipError_tPvRmT2_T3_T4_T5_mT6_T7_P12ihipStream_tbENKUlT_T0_E_clISt17integral_constantIbLb0EESZ_EEDaSU_SV_EUlSU_E_NS1_11comp_targetILNS1_3genE0ELNS1_11target_archE4294967295ELNS1_3gpuE0ELNS1_3repE0EEENS1_30default_config_static_selectorELNS0_4arch9wavefront6targetE0EEEvT1_,comdat
	.protected	_ZN7rocprim17ROCPRIM_400000_NS6detail17trampoline_kernelINS0_14default_configENS1_27scan_by_key_config_selectorIsiEEZZNS1_16scan_by_key_implILNS1_25lookback_scan_determinismE0ELb1ES3_N6thrust23THRUST_200600_302600_NS6detail15normal_iteratorINS9_10device_ptrIsEEEESE_SE_iNS9_4plusIvEENS9_8equal_toIvEEiEE10hipError_tPvRmT2_T3_T4_T5_mT6_T7_P12ihipStream_tbENKUlT_T0_E_clISt17integral_constantIbLb0EESZ_EEDaSU_SV_EUlSU_E_NS1_11comp_targetILNS1_3genE0ELNS1_11target_archE4294967295ELNS1_3gpuE0ELNS1_3repE0EEENS1_30default_config_static_selectorELNS0_4arch9wavefront6targetE0EEEvT1_ ; -- Begin function _ZN7rocprim17ROCPRIM_400000_NS6detail17trampoline_kernelINS0_14default_configENS1_27scan_by_key_config_selectorIsiEEZZNS1_16scan_by_key_implILNS1_25lookback_scan_determinismE0ELb1ES3_N6thrust23THRUST_200600_302600_NS6detail15normal_iteratorINS9_10device_ptrIsEEEESE_SE_iNS9_4plusIvEENS9_8equal_toIvEEiEE10hipError_tPvRmT2_T3_T4_T5_mT6_T7_P12ihipStream_tbENKUlT_T0_E_clISt17integral_constantIbLb0EESZ_EEDaSU_SV_EUlSU_E_NS1_11comp_targetILNS1_3genE0ELNS1_11target_archE4294967295ELNS1_3gpuE0ELNS1_3repE0EEENS1_30default_config_static_selectorELNS0_4arch9wavefront6targetE0EEEvT1_
	.globl	_ZN7rocprim17ROCPRIM_400000_NS6detail17trampoline_kernelINS0_14default_configENS1_27scan_by_key_config_selectorIsiEEZZNS1_16scan_by_key_implILNS1_25lookback_scan_determinismE0ELb1ES3_N6thrust23THRUST_200600_302600_NS6detail15normal_iteratorINS9_10device_ptrIsEEEESE_SE_iNS9_4plusIvEENS9_8equal_toIvEEiEE10hipError_tPvRmT2_T3_T4_T5_mT6_T7_P12ihipStream_tbENKUlT_T0_E_clISt17integral_constantIbLb0EESZ_EEDaSU_SV_EUlSU_E_NS1_11comp_targetILNS1_3genE0ELNS1_11target_archE4294967295ELNS1_3gpuE0ELNS1_3repE0EEENS1_30default_config_static_selectorELNS0_4arch9wavefront6targetE0EEEvT1_
	.p2align	8
	.type	_ZN7rocprim17ROCPRIM_400000_NS6detail17trampoline_kernelINS0_14default_configENS1_27scan_by_key_config_selectorIsiEEZZNS1_16scan_by_key_implILNS1_25lookback_scan_determinismE0ELb1ES3_N6thrust23THRUST_200600_302600_NS6detail15normal_iteratorINS9_10device_ptrIsEEEESE_SE_iNS9_4plusIvEENS9_8equal_toIvEEiEE10hipError_tPvRmT2_T3_T4_T5_mT6_T7_P12ihipStream_tbENKUlT_T0_E_clISt17integral_constantIbLb0EESZ_EEDaSU_SV_EUlSU_E_NS1_11comp_targetILNS1_3genE0ELNS1_11target_archE4294967295ELNS1_3gpuE0ELNS1_3repE0EEENS1_30default_config_static_selectorELNS0_4arch9wavefront6targetE0EEEvT1_,@function
_ZN7rocprim17ROCPRIM_400000_NS6detail17trampoline_kernelINS0_14default_configENS1_27scan_by_key_config_selectorIsiEEZZNS1_16scan_by_key_implILNS1_25lookback_scan_determinismE0ELb1ES3_N6thrust23THRUST_200600_302600_NS6detail15normal_iteratorINS9_10device_ptrIsEEEESE_SE_iNS9_4plusIvEENS9_8equal_toIvEEiEE10hipError_tPvRmT2_T3_T4_T5_mT6_T7_P12ihipStream_tbENKUlT_T0_E_clISt17integral_constantIbLb0EESZ_EEDaSU_SV_EUlSU_E_NS1_11comp_targetILNS1_3genE0ELNS1_11target_archE4294967295ELNS1_3gpuE0ELNS1_3repE0EEENS1_30default_config_static_selectorELNS0_4arch9wavefront6targetE0EEEvT1_: ; @_ZN7rocprim17ROCPRIM_400000_NS6detail17trampoline_kernelINS0_14default_configENS1_27scan_by_key_config_selectorIsiEEZZNS1_16scan_by_key_implILNS1_25lookback_scan_determinismE0ELb1ES3_N6thrust23THRUST_200600_302600_NS6detail15normal_iteratorINS9_10device_ptrIsEEEESE_SE_iNS9_4plusIvEENS9_8equal_toIvEEiEE10hipError_tPvRmT2_T3_T4_T5_mT6_T7_P12ihipStream_tbENKUlT_T0_E_clISt17integral_constantIbLb0EESZ_EEDaSU_SV_EUlSU_E_NS1_11comp_targetILNS1_3genE0ELNS1_11target_archE4294967295ELNS1_3gpuE0ELNS1_3repE0EEENS1_30default_config_static_selectorELNS0_4arch9wavefront6targetE0EEEvT1_
; %bb.0:
	s_clause 0x2
	s_load_b96 s[28:30], s[0:1], 0x38
	s_load_b256 s[12:19], s[0:1], 0x0
	s_load_b128 s[24:27], s[0:1], 0x48
	s_bfe_u32 s4, ttmp6, 0x4000c
	s_delay_alu instid0(SALU_CYCLE_1)
	s_add_co_i32 s4, s4, 1
	s_clause 0x1
	s_load_b32 s40, s[0:1], 0x20
	s_load_b128 s[20:23], s[0:1], 0x28
	s_and_b32 s2, ttmp6, 15
	s_wait_xcnt 0x0
	s_mul_i32 s0, ttmp9, s4
	s_getreg_b32 s5, hwreg(HW_REG_IB_STS2, 6, 4)
	s_add_co_i32 s6, s2, s0
	s_mov_b32 s3, 0
	s_barrier_signal -1
	s_mov_b32 s35, s3
	s_barrier_wait -1
	s_wait_kmcnt 0x0
	s_mov_b32 s2, s30
	s_lshl_b64 s[30:31], s[14:15], 1
	s_cmp_eq_u32 s5, 0
	s_mul_u64 s[4:5], s[28:29], s[2:3]
	s_cselect_b32 s34, ttmp9, s6
	s_add_nc_u64 s[8:9], s[24:25], -1
	s_add_nc_u64 s[4:5], s[4:5], s[34:35]
	s_mul_i32 s2, s34, 0x1200
	v_cmp_ge_u64_e64 s23, s[4:5], s[8:9]
	s_add_nc_u64 s[0:1], s[12:13], s[30:31]
	s_add_nc_u64 s[6:7], s[16:17], s[30:31]
	s_lshl_b64 s[24:25], s[2:3], 1
	s_mul_i32 s33, s8, 0xffffee00
	s_add_nc_u64 s[38:39], s[0:1], s[24:25]
	s_add_nc_u64 s[36:37], s[6:7], s[24:25]
	s_and_b32 vcc_lo, exec_lo, s23
	s_cbranch_vccz .LBB1042_96
; %bb.1:
	v_mov_b32_e32 v1, 0
	s_add_co_i32 s35, s33, s22
	s_delay_alu instid0(SALU_CYCLE_1)
	v_cmp_gt_u32_e32 vcc_lo, s35, v0
	flat_load_u16 v1, v1, s[38:39]
	s_wait_loadcnt_dscnt 0x0
	v_mov_b32_e32 v2, v1
	s_and_saveexec_b32 s0, vcc_lo
	s_cbranch_execz .LBB1042_3
; %bb.2:
	flat_load_u16 v2, v0, s[38:39] scale_offset
.LBB1042_3:
	s_wait_xcnt 0x0
	s_or_b32 exec_lo, exec_lo, s0
	v_or_b32_e32 v3, 0x100, v0
	s_delay_alu instid0(VALU_DEP_1)
	v_cmp_gt_u32_e64 s0, s35, v3
	v_mov_b32_e32 v3, v1
	s_and_saveexec_b32 s1, s0
	s_cbranch_execz .LBB1042_5
; %bb.4:
	flat_load_u16 v3, v0, s[38:39] offset:512 scale_offset
.LBB1042_5:
	s_wait_xcnt 0x0
	s_or_b32 exec_lo, exec_lo, s1
	v_or_b32_e32 v4, 0x200, v0
	s_delay_alu instid0(VALU_DEP_1)
	v_cmp_gt_u32_e64 s1, s35, v4
	v_mov_b32_e32 v4, v1
	s_and_saveexec_b32 s2, s1
	s_cbranch_execz .LBB1042_7
; %bb.6:
	flat_load_u16 v4, v0, s[38:39] offset:1024 scale_offset
.LBB1042_7:
	s_wait_xcnt 0x0
	s_or_b32 exec_lo, exec_lo, s2
	v_or_b32_e32 v5, 0x300, v0
	s_delay_alu instid0(VALU_DEP_1)
	v_cmp_gt_u32_e64 s2, s35, v5
	v_mov_b32_e32 v5, v1
	s_and_saveexec_b32 s3, s2
	s_cbranch_execz .LBB1042_9
; %bb.8:
	flat_load_u16 v5, v0, s[38:39] offset:1536 scale_offset
.LBB1042_9:
	s_wait_xcnt 0x0
	s_or_b32 exec_lo, exec_lo, s3
	v_or_b32_e32 v6, 0x400, v0
	s_delay_alu instid0(VALU_DEP_1)
	v_cmp_gt_u32_e64 s3, s35, v6
	v_mov_b32_e32 v6, v1
	s_and_saveexec_b32 s4, s3
	s_cbranch_execz .LBB1042_11
; %bb.10:
	flat_load_u16 v6, v0, s[38:39] offset:2048 scale_offset
.LBB1042_11:
	s_wait_xcnt 0x0
	s_or_b32 exec_lo, exec_lo, s4
	v_or_b32_e32 v7, 0x500, v0
	s_delay_alu instid0(VALU_DEP_1)
	v_cmp_gt_u32_e64 s4, s35, v7
	v_mov_b32_e32 v7, v1
	s_and_saveexec_b32 s5, s4
	s_cbranch_execz .LBB1042_13
; %bb.12:
	flat_load_u16 v7, v0, s[38:39] offset:2560 scale_offset
.LBB1042_13:
	s_wait_xcnt 0x0
	s_or_b32 exec_lo, exec_lo, s5
	v_or_b32_e32 v8, 0x600, v0
	s_delay_alu instid0(VALU_DEP_1)
	v_cmp_gt_u32_e64 s5, s35, v8
	v_mov_b32_e32 v8, v1
	s_and_saveexec_b32 s6, s5
	s_cbranch_execz .LBB1042_15
; %bb.14:
	flat_load_u16 v8, v0, s[38:39] offset:3072 scale_offset
.LBB1042_15:
	s_wait_xcnt 0x0
	s_or_b32 exec_lo, exec_lo, s6
	v_or_b32_e32 v9, 0x700, v0
	s_delay_alu instid0(VALU_DEP_1)
	v_cmp_gt_u32_e64 s6, s35, v9
	v_mov_b32_e32 v9, v1
	s_and_saveexec_b32 s7, s6
	s_cbranch_execz .LBB1042_17
; %bb.16:
	flat_load_u16 v9, v0, s[38:39] offset:3584 scale_offset
.LBB1042_17:
	s_wait_xcnt 0x0
	s_or_b32 exec_lo, exec_lo, s7
	v_or_b32_e32 v10, 0x800, v0
	s_delay_alu instid0(VALU_DEP_1)
	v_cmp_gt_u32_e64 s7, s35, v10
	v_mov_b32_e32 v10, v1
	s_and_saveexec_b32 s8, s7
	s_cbranch_execz .LBB1042_19
; %bb.18:
	flat_load_u16 v10, v0, s[38:39] offset:4096 scale_offset
.LBB1042_19:
	s_wait_xcnt 0x0
	s_or_b32 exec_lo, exec_lo, s8
	v_or_b32_e32 v11, 0x900, v0
	s_delay_alu instid0(VALU_DEP_1)
	v_cmp_gt_u32_e64 s8, s35, v11
	v_mov_b32_e32 v11, v1
	s_and_saveexec_b32 s9, s8
	s_cbranch_execz .LBB1042_21
; %bb.20:
	flat_load_u16 v11, v0, s[38:39] offset:4608 scale_offset
.LBB1042_21:
	s_wait_xcnt 0x0
	s_or_b32 exec_lo, exec_lo, s9
	v_or_b32_e32 v12, 0xa00, v0
	s_delay_alu instid0(VALU_DEP_1)
	v_cmp_gt_u32_e64 s9, s35, v12
	v_mov_b32_e32 v12, v1
	s_and_saveexec_b32 s10, s9
	s_cbranch_execz .LBB1042_23
; %bb.22:
	flat_load_u16 v12, v0, s[38:39] offset:5120 scale_offset
.LBB1042_23:
	s_wait_xcnt 0x0
	s_or_b32 exec_lo, exec_lo, s10
	v_or_b32_e32 v13, 0xb00, v0
	s_delay_alu instid0(VALU_DEP_1)
	v_cmp_gt_u32_e64 s10, s35, v13
	v_mov_b32_e32 v13, v1
	s_and_saveexec_b32 s11, s10
	s_cbranch_execz .LBB1042_25
; %bb.24:
	flat_load_u16 v13, v0, s[38:39] offset:5632 scale_offset
.LBB1042_25:
	s_wait_xcnt 0x0
	s_or_b32 exec_lo, exec_lo, s11
	v_or_b32_e32 v14, 0xc00, v0
	s_delay_alu instid0(VALU_DEP_1)
	v_cmp_gt_u32_e64 s11, s35, v14
	v_mov_b32_e32 v14, v1
	s_and_saveexec_b32 s12, s11
	s_cbranch_execz .LBB1042_27
; %bb.26:
	flat_load_u16 v14, v0, s[38:39] offset:6144 scale_offset
.LBB1042_27:
	s_wait_xcnt 0x0
	s_or_b32 exec_lo, exec_lo, s12
	v_or_b32_e32 v15, 0xd00, v0
	s_delay_alu instid0(VALU_DEP_1)
	v_cmp_gt_u32_e64 s12, s35, v15
	v_mov_b32_e32 v15, v1
	s_and_saveexec_b32 s13, s12
	s_cbranch_execz .LBB1042_29
; %bb.28:
	flat_load_u16 v15, v0, s[38:39] offset:6656 scale_offset
.LBB1042_29:
	s_wait_xcnt 0x0
	s_or_b32 exec_lo, exec_lo, s13
	v_or_b32_e32 v16, 0xe00, v0
	s_delay_alu instid0(VALU_DEP_1)
	v_cmp_gt_u32_e64 s13, s35, v16
	v_mov_b32_e32 v16, v1
	s_and_saveexec_b32 s14, s13
	s_cbranch_execz .LBB1042_31
; %bb.30:
	flat_load_u16 v16, v0, s[38:39] offset:7168 scale_offset
.LBB1042_31:
	s_wait_xcnt 0x0
	s_or_b32 exec_lo, exec_lo, s14
	v_or_b32_e32 v17, 0xf00, v0
	s_delay_alu instid0(VALU_DEP_1)
	v_cmp_gt_u32_e64 s14, s35, v17
	v_mov_b32_e32 v17, v1
	s_and_saveexec_b32 s15, s14
	s_cbranch_execz .LBB1042_33
; %bb.32:
	flat_load_u16 v17, v0, s[38:39] offset:7680 scale_offset
.LBB1042_33:
	s_wait_xcnt 0x0
	s_or_b32 exec_lo, exec_lo, s15
	v_or_b32_e32 v18, 0x1000, v0
	s_delay_alu instid0(VALU_DEP_1)
	v_cmp_gt_u32_e64 s15, s35, v18
	v_mov_b32_e32 v18, v1
	s_and_saveexec_b32 s16, s15
	s_cbranch_execz .LBB1042_35
; %bb.34:
	flat_load_u16 v18, v0, s[38:39] offset:8192 scale_offset
.LBB1042_35:
	s_wait_xcnt 0x0
	s_or_b32 exec_lo, exec_lo, s16
	v_or_b32_e32 v19, 0x1100, v0
	s_delay_alu instid0(VALU_DEP_1) | instskip(SKIP_2) | instid1(SALU_CYCLE_1)
	v_cmp_gt_u32_e64 s16, s35, v19
	v_cmp_le_u32_e64 s17, s35, v19
	s_and_saveexec_b32 s41, s17
	s_xor_b32 s17, exec_lo, s41
	s_delay_alu instid0(SALU_CYCLE_1)
	s_and_not1_saveexec_b32 s17, s17
	s_cbranch_execz .LBB1042_37
; %bb.36:
	flat_load_u16 v1, v0, s[38:39] offset:8704 scale_offset
.LBB1042_37:
	s_wait_xcnt 0x0
	s_or_b32 exec_lo, exec_lo, s17
	v_lshlrev_b32_e32 v19, 1, v0
	s_mov_b32 s41, exec_lo
	s_wait_loadcnt_dscnt 0x0
	ds_store_b16 v19, v2
	ds_store_b16 v19, v3 offset:512
	ds_store_b16 v19, v4 offset:1024
	;; [unrolled: 1-line block ×17, first 2 shown]
	v_mov_b32_e32 v1, 0
	s_wait_dscnt 0x0
	s_barrier_signal -1
	s_barrier_wait -1
	flat_load_u16 v1, v1, s[38:39]
	v_mad_u32_u24 v2, v0, 34, v19
	ds_load_2addr_b32 v[76:77], v2 offset1:1
	ds_load_2addr_b32 v[74:75], v2 offset0:2 offset1:3
	ds_load_2addr_b32 v[70:71], v2 offset0:4 offset1:5
	;; [unrolled: 1-line block ×3, first 2 shown]
	ds_load_b32 v73, v2 offset:32
	v_mad_i32_i24 v2, 0xffffffde, v0, v2
	s_wait_dscnt 0x4
	ds_store_b16 v2, v76 offset:9728
	s_wait_loadcnt_dscnt 0x0
	s_barrier_signal -1
	s_barrier_wait -1
	v_cmpx_ne_u32_e32 0xff, v0
; %bb.38:
	ds_load_u16 v1, v2 offset:9730
; %bb.39:
	s_or_b32 exec_lo, exec_lo, s41
	s_wait_dscnt 0x0
	s_barrier_signal -1
	s_barrier_wait -1
                                        ; implicit-def: $vgpr3
	s_and_saveexec_b32 s17, vcc_lo
	s_cbranch_execz .LBB1042_129
; %bb.40:
	flat_load_i16 v3, v0, s[36:37] scale_offset
	s_wait_xcnt 0x0
	s_or_b32 exec_lo, exec_lo, s17
                                        ; implicit-def: $vgpr4
	s_and_saveexec_b32 s17, s0
	s_cbranch_execnz .LBB1042_130
.LBB1042_41:
	s_or_b32 exec_lo, exec_lo, s17
                                        ; implicit-def: $vgpr5
	s_and_saveexec_b32 s0, s1
	s_cbranch_execz .LBB1042_131
.LBB1042_42:
	flat_load_i16 v5, v0, s[36:37] offset:1024 scale_offset
	s_wait_xcnt 0x0
	s_or_b32 exec_lo, exec_lo, s0
                                        ; implicit-def: $vgpr6
	s_and_saveexec_b32 s0, s2
	s_cbranch_execnz .LBB1042_132
.LBB1042_43:
	s_or_b32 exec_lo, exec_lo, s0
                                        ; implicit-def: $vgpr7
	s_and_saveexec_b32 s0, s3
	s_cbranch_execz .LBB1042_133
.LBB1042_44:
	flat_load_i16 v7, v0, s[36:37] offset:2048 scale_offset
	s_wait_xcnt 0x0
	s_or_b32 exec_lo, exec_lo, s0
                                        ; implicit-def: $vgpr8
	s_and_saveexec_b32 s0, s4
	s_cbranch_execnz .LBB1042_134
.LBB1042_45:
	s_or_b32 exec_lo, exec_lo, s0
                                        ; implicit-def: $vgpr9
	s_and_saveexec_b32 s0, s5
	s_cbranch_execz .LBB1042_135
.LBB1042_46:
	flat_load_i16 v9, v0, s[36:37] offset:3072 scale_offset
	s_wait_xcnt 0x0
	s_or_b32 exec_lo, exec_lo, s0
                                        ; implicit-def: $vgpr12
	s_and_saveexec_b32 s0, s6
	s_cbranch_execnz .LBB1042_136
.LBB1042_47:
	s_or_b32 exec_lo, exec_lo, s0
                                        ; implicit-def: $vgpr13
	s_and_saveexec_b32 s0, s7
	s_cbranch_execz .LBB1042_137
.LBB1042_48:
	flat_load_i16 v13, v0, s[36:37] offset:4096 scale_offset
	s_wait_xcnt 0x0
	s_or_b32 exec_lo, exec_lo, s0
                                        ; implicit-def: $vgpr14
	s_and_saveexec_b32 s0, s8
	s_cbranch_execnz .LBB1042_138
.LBB1042_49:
	s_or_b32 exec_lo, exec_lo, s0
                                        ; implicit-def: $vgpr15
	s_and_saveexec_b32 s0, s9
	s_cbranch_execz .LBB1042_139
.LBB1042_50:
	flat_load_i16 v15, v0, s[36:37] offset:5120 scale_offset
	s_wait_xcnt 0x0
	s_or_b32 exec_lo, exec_lo, s0
                                        ; implicit-def: $vgpr16
	s_and_saveexec_b32 s0, s10
	s_cbranch_execnz .LBB1042_140
.LBB1042_51:
	s_or_b32 exec_lo, exec_lo, s0
                                        ; implicit-def: $vgpr17
	s_and_saveexec_b32 s0, s11
	s_cbranch_execz .LBB1042_141
.LBB1042_52:
	flat_load_i16 v17, v0, s[36:37] offset:6144 scale_offset
	s_wait_xcnt 0x0
	s_or_b32 exec_lo, exec_lo, s0
                                        ; implicit-def: $vgpr18
	s_and_saveexec_b32 s0, s12
	s_cbranch_execnz .LBB1042_142
.LBB1042_53:
	s_or_b32 exec_lo, exec_lo, s0
                                        ; implicit-def: $vgpr19
	s_and_saveexec_b32 s0, s13
	s_cbranch_execz .LBB1042_143
.LBB1042_54:
	flat_load_i16 v19, v0, s[36:37] offset:7168 scale_offset
	s_wait_xcnt 0x0
	s_or_b32 exec_lo, exec_lo, s0
                                        ; implicit-def: $vgpr20
	s_and_saveexec_b32 s0, s14
	s_cbranch_execnz .LBB1042_144
.LBB1042_55:
	s_or_b32 exec_lo, exec_lo, s0
                                        ; implicit-def: $vgpr21
	s_and_saveexec_b32 s0, s15
	s_cbranch_execz .LBB1042_57
.LBB1042_56:
	flat_load_i16 v21, v0, s[36:37] offset:8192 scale_offset
.LBB1042_57:
	s_wait_xcnt 0x0
	s_or_b32 exec_lo, exec_lo, s0
	v_mul_u32_u24_e32 v78, 18, v0
                                        ; implicit-def: $vgpr22
	s_and_saveexec_b32 s0, s16
	s_cbranch_execz .LBB1042_59
; %bb.58:
	flat_load_i16 v22, v0, s[36:37] offset:8704 scale_offset
.LBB1042_59:
	s_wait_xcnt 0x0
	s_or_b32 exec_lo, exec_lo, s0
	v_lshl_add_u32 v79, v0, 1, v2
	v_mov_b64_e32 v[42:43], 0
	v_mov_b64_e32 v[44:45], 0
	;; [unrolled: 1-line block ×4, first 2 shown]
	s_wait_loadcnt_dscnt 0x0
	ds_store_2addr_stride64_b32 v79, v3, v4 offset1:4
	ds_store_2addr_stride64_b32 v79, v5, v6 offset0:8 offset1:12
	ds_store_2addr_stride64_b32 v79, v7, v8 offset0:16 offset1:20
	;; [unrolled: 1-line block ×8, first 2 shown]
	v_mov_b64_e32 v[8:9], 0
	v_mov_b64_e32 v[4:5], 0
	;; [unrolled: 1-line block ×29, first 2 shown]
	s_mov_b32 s0, 0
	s_mov_b32 s3, 0
	s_mov_b32 s1, exec_lo
	s_wait_dscnt 0x0
	s_barrier_signal -1
	s_barrier_wait -1
                                        ; implicit-def: $sgpr4
                                        ; implicit-def: $vgpr72
	v_cmpx_gt_u32_e64 s35, v78
	s_cbranch_execz .LBB1042_95
; %bb.60:
	v_mad_u32_u24 v6, 0x44, v0, v79
	v_dual_lshrrev_b32 v49, 16, v76 :: v_dual_bitop2_b32 v48, 1, v78 bitop3:0x54
	v_mov_b64_e32 v[4:5], 0
	v_mov_b64_e32 v[2:3], 0
	ds_load_b32 v8, v6
	v_cmp_eq_u16_e32 vcc_lo, v76, v49
	v_mov_b64_e32 v[6:7], 0
	v_mov_b64_e32 v[42:43], 0
	;; [unrolled: 1-line block ×18, first 2 shown]
	s_wait_dscnt 0x0
	v_cndmask_b32_e32 v8, s40, v8, vcc_lo
	v_cmp_ne_u16_e32 vcc_lo, v76, v49
	v_mov_b64_e32 v[32:33], 0
	v_mov_b64_e32 v[30:31], 0
	;; [unrolled: 1-line block ×11, first 2 shown]
	v_cndmask_b32_e64 v9, 0, 1, vcc_lo
	s_mov_b32 s2, exec_lo
                                        ; implicit-def: $sgpr4
                                        ; implicit-def: $vgpr72
	v_cmpx_gt_u32_e64 s35, v48
	s_cbranch_execz .LBB1042_94
; %bb.61:
	v_mul_u32_u24_e32 v4, 0x44, v0
	v_add_nc_u32_e32 v72, 2, v78
	v_cmp_eq_u16_e32 vcc_lo, v49, v77
	v_mov_b64_e32 v[2:3], 0
	v_mov_b64_e32 v[6:7], 0
	v_add_nc_u32_e32 v48, v79, v4
	v_mov_b64_e32 v[42:43], 0
	v_mov_b64_e32 v[44:45], 0
	;; [unrolled: 1-line block ×4, first 2 shown]
	ds_load_2addr_b32 v[40:41], v48 offset0:1 offset1:2
	v_mov_b64_e32 v[52:53], 0
	v_mov_b64_e32 v[54:55], 0
	v_mov_b64_e32 v[56:57], 0
	v_mov_b64_e32 v[58:59], 0
	v_mov_b64_e32 v[60:61], 0
	v_mov_b64_e32 v[62:63], 0
	v_mov_b64_e32 v[64:65], 0
	v_mov_b64_e32 v[66:67], 0
	v_mov_b64_e32 v[68:69], 0
	v_mov_b64_e32 v[38:39], 0
	v_mov_b64_e32 v[36:37], 0
	v_mov_b64_e32 v[34:35], 0
	v_mov_b64_e32 v[32:33], 0
	v_mov_b64_e32 v[30:31], 0
	v_mov_b64_e32 v[28:29], 0
	v_mov_b64_e32 v[26:27], 0
	v_mov_b64_e32 v[24:25], 0
	v_mov_b64_e32 v[22:23], 0
	v_mov_b64_e32 v[20:21], 0
	s_wait_dscnt 0x0
	v_cndmask_b32_e32 v4, s40, v40, vcc_lo
	v_cmp_ne_u16_e32 vcc_lo, v49, v77
	v_mov_b64_e32 v[18:19], 0
	v_mov_b64_e32 v[16:17], 0
	;; [unrolled: 1-line block ×4, first 2 shown]
	v_cndmask_b32_e64 v5, 0, 1, vcc_lo
	v_cmp_gt_u32_e32 vcc_lo, s35, v72
	s_mov_b32 s5, 0
                                        ; implicit-def: $sgpr4
                                        ; implicit-def: $vgpr72
	s_and_saveexec_b32 s3, vcc_lo
	s_cbranch_execz .LBB1042_93
; %bb.62:
	v_dual_lshrrev_b32 v38, 16, v77 :: v_dual_add_nc_u32 v39, 3, v78
	v_mov_b64_e32 v[6:7], 0
	v_mov_b64_e32 v[42:43], 0
	v_mov_b64_e32 v[44:45], 0
	s_delay_alu instid0(VALU_DEP_4)
	v_cmp_eq_u16_e32 vcc_lo, v77, v38
	v_mov_b64_e32 v[46:47], 0
	v_mov_b64_e32 v[50:51], 0
	;; [unrolled: 1-line block ×4, first 2 shown]
	v_cndmask_b32_e32 v2, s40, v41, vcc_lo
	v_cmp_ne_u16_e32 vcc_lo, v77, v38
	v_mov_b64_e32 v[56:57], 0
	v_mov_b64_e32 v[58:59], 0
	;; [unrolled: 1-line block ×20, first 2 shown]
	v_cndmask_b32_e64 v3, 0, 1, vcc_lo
	s_mov_b32 s6, 0
	s_mov_b32 s5, exec_lo
                                        ; implicit-def: $sgpr4
                                        ; implicit-def: $vgpr72
	v_cmpx_gt_u32_e64 s35, v39
	s_cbranch_execz .LBB1042_92
; %bb.63:
	ds_load_2addr_b32 v[36:37], v48 offset0:3 offset1:4
	v_cmp_eq_u16_e32 vcc_lo, v38, v74
	v_add_nc_u32_e32 v39, 4, v78
	v_mov_b64_e32 v[42:43], 0
	v_mov_b64_e32 v[44:45], 0
	;; [unrolled: 1-line block ×17, first 2 shown]
	s_wait_dscnt 0x0
	v_cndmask_b32_e32 v6, s40, v36, vcc_lo
	v_cmp_ne_u16_e32 vcc_lo, v38, v74
	v_mov_b64_e32 v[26:27], 0
	v_mov_b64_e32 v[24:25], 0
	;; [unrolled: 1-line block ×8, first 2 shown]
	v_cndmask_b32_e64 v7, 0, 1, vcc_lo
	s_mov_b32 s7, 0
	s_mov_b32 s6, exec_lo
                                        ; implicit-def: $sgpr4
                                        ; implicit-def: $vgpr72
	v_cmpx_gt_u32_e64 s35, v39
	s_cbranch_execz .LBB1042_91
; %bb.64:
	v_lshrrev_b32_e32 v34, 16, v74
	v_mov_b64_e32 v[44:45], 0
	v_mov_b64_e32 v[46:47], 0
	;; [unrolled: 1-line block ×4, first 2 shown]
	v_cmp_eq_u16_e32 vcc_lo, v74, v34
	v_mov_b64_e32 v[54:55], 0
	v_mov_b64_e32 v[56:57], 0
	;; [unrolled: 1-line block ×4, first 2 shown]
	v_cndmask_b32_e32 v42, s40, v37, vcc_lo
	v_cmp_ne_u16_e32 vcc_lo, v74, v34
	v_mov_b64_e32 v[62:63], 0
	v_mov_b64_e32 v[64:65], 0
	;; [unrolled: 1-line block ×15, first 2 shown]
	v_add_nc_u32_e32 v35, 5, v78
	v_cndmask_b32_e64 v43, 0, 1, vcc_lo
	s_mov_b32 s8, 0
	s_mov_b32 s7, exec_lo
                                        ; implicit-def: $sgpr4
                                        ; implicit-def: $vgpr72
	s_delay_alu instid0(VALU_DEP_2)
	v_cmpx_gt_u32_e64 s35, v35
	s_cbranch_execz .LBB1042_90
; %bb.65:
	ds_load_2addr_b32 v[32:33], v48 offset0:5 offset1:6
	v_cmp_eq_u16_e32 vcc_lo, v34, v75
	v_add_nc_u32_e32 v35, 6, v78
	v_mov_b64_e32 v[46:47], 0
	v_mov_b64_e32 v[50:51], 0
	v_mov_b64_e32 v[52:53], 0
	v_mov_b64_e32 v[54:55], 0
	v_mov_b64_e32 v[56:57], 0
	v_mov_b64_e32 v[58:59], 0
	v_mov_b64_e32 v[60:61], 0
	v_mov_b64_e32 v[62:63], 0
	v_mov_b64_e32 v[64:65], 0
	v_mov_b64_e32 v[66:67], 0
	v_mov_b64_e32 v[68:69], 0
	v_mov_b64_e32 v[30:31], 0
	v_mov_b64_e32 v[28:29], 0
	v_mov_b64_e32 v[26:27], 0
	v_mov_b64_e32 v[24:25], 0
	v_mov_b64_e32 v[22:23], 0
	v_mov_b64_e32 v[20:21], 0
	s_wait_dscnt 0x0
	v_cndmask_b32_e32 v44, s40, v32, vcc_lo
	v_cmp_ne_u16_e32 vcc_lo, v34, v75
	v_mov_b64_e32 v[18:19], 0
	v_mov_b64_e32 v[16:17], 0
	;; [unrolled: 1-line block ×4, first 2 shown]
	v_cndmask_b32_e64 v45, 0, 1, vcc_lo
	s_mov_b32 s9, 0
	s_mov_b32 s8, exec_lo
                                        ; implicit-def: $sgpr4
                                        ; implicit-def: $vgpr72
	v_cmpx_gt_u32_e64 s35, v35
	s_cbranch_execz .LBB1042_89
; %bb.66:
	v_dual_lshrrev_b32 v30, 16, v75 :: v_dual_add_nc_u32 v31, 7, v78
	v_mov_b64_e32 v[50:51], 0
	v_mov_b64_e32 v[52:53], 0
	;; [unrolled: 1-line block ×3, first 2 shown]
	s_delay_alu instid0(VALU_DEP_4)
	v_cmp_eq_u16_e32 vcc_lo, v75, v30
	v_mov_b64_e32 v[56:57], 0
	v_mov_b64_e32 v[58:59], 0
	v_mov_b64_e32 v[60:61], 0
	v_mov_b64_e32 v[62:63], 0
	v_cndmask_b32_e32 v46, s40, v33, vcc_lo
	v_cmp_ne_u16_e32 vcc_lo, v75, v30
	v_mov_b64_e32 v[64:65], 0
	v_mov_b64_e32 v[66:67], 0
	;; [unrolled: 1-line block ×12, first 2 shown]
	v_cndmask_b32_e64 v47, 0, 1, vcc_lo
	s_mov_b32 s10, 0
	s_mov_b32 s9, exec_lo
                                        ; implicit-def: $sgpr4
                                        ; implicit-def: $vgpr72
	v_cmpx_gt_u32_e64 s35, v31
	s_cbranch_execz .LBB1042_88
; %bb.67:
	ds_load_2addr_b32 v[28:29], v48 offset0:7 offset1:8
	v_cmp_eq_u16_e32 vcc_lo, v30, v70
	v_add_nc_u32_e32 v31, 8, v78
	v_mov_b64_e32 v[52:53], 0
	v_mov_b64_e32 v[54:55], 0
	;; [unrolled: 1-line block ×17, first 2 shown]
	s_wait_dscnt 0x0
	v_cndmask_b32_e32 v50, s40, v28, vcc_lo
	v_cmp_ne_u16_e32 vcc_lo, v30, v70
	s_mov_b32 s11, 0
	s_mov_b32 s10, exec_lo
                                        ; implicit-def: $sgpr4
                                        ; implicit-def: $vgpr72
	v_cndmask_b32_e64 v51, 0, 1, vcc_lo
	v_cmpx_gt_u32_e64 s35, v31
	s_cbranch_execz .LBB1042_87
; %bb.68:
	v_lshrrev_b32_e32 v26, 16, v70
	v_mov_b64_e32 v[54:55], 0
	v_mov_b64_e32 v[56:57], 0
	;; [unrolled: 1-line block ×4, first 2 shown]
	v_cmp_eq_u16_e32 vcc_lo, v70, v26
	v_mov_b64_e32 v[62:63], 0
	v_mov_b64_e32 v[64:65], 0
	;; [unrolled: 1-line block ×4, first 2 shown]
	v_cndmask_b32_e32 v52, s40, v29, vcc_lo
	v_cmp_ne_u16_e32 vcc_lo, v70, v26
	v_mov_b64_e32 v[24:25], 0
	v_mov_b64_e32 v[22:23], 0
	v_mov_b64_e32 v[20:21], 0
	v_mov_b64_e32 v[18:19], 0
	v_mov_b64_e32 v[16:17], 0
	v_mov_b64_e32 v[14:15], 0
	v_mov_b64_e32 v[12:13], 0
	v_add_nc_u32_e32 v27, 9, v78
	v_cndmask_b32_e64 v53, 0, 1, vcc_lo
	s_mov_b32 s12, 0
	s_mov_b32 s11, exec_lo
                                        ; implicit-def: $sgpr4
                                        ; implicit-def: $vgpr72
	s_delay_alu instid0(VALU_DEP_2)
	v_cmpx_gt_u32_e64 s35, v27
	s_cbranch_execz .LBB1042_86
; %bb.69:
	ds_load_2addr_b32 v[24:25], v48 offset0:9 offset1:10
	v_cmp_ne_u16_e32 vcc_lo, v26, v71
	v_mov_b64_e32 v[56:57], 0
	v_mov_b64_e32 v[58:59], 0
	;; [unrolled: 1-line block ×4, first 2 shown]
	v_cndmask_b32_e64 v55, 0, 1, vcc_lo
	v_cmp_eq_u16_e32 vcc_lo, v26, v71
	v_mov_b64_e32 v[64:65], 0
	v_mov_b64_e32 v[66:67], 0
	;; [unrolled: 1-line block ×9, first 2 shown]
	v_add_nc_u32_e32 v27, 10, v78
	s_mov_b32 s13, 0
	s_mov_b32 s12, exec_lo
	s_wait_dscnt 0x0
	v_cndmask_b32_e32 v54, s40, v24, vcc_lo
                                        ; implicit-def: $sgpr4
                                        ; implicit-def: $vgpr72
	v_cmpx_gt_u32_e64 s35, v27
	s_cbranch_execz .LBB1042_85
; %bb.70:
	v_dual_lshrrev_b32 v22, 16, v71 :: v_dual_add_nc_u32 v23, 11, v78
	v_mov_b64_e32 v[58:59], 0
	v_mov_b64_e32 v[60:61], 0
	;; [unrolled: 1-line block ×3, first 2 shown]
	s_delay_alu instid0(VALU_DEP_4)
	v_cmp_eq_u16_e32 vcc_lo, v71, v22
	v_mov_b64_e32 v[64:65], 0
	v_mov_b64_e32 v[66:67], 0
	;; [unrolled: 1-line block ×4, first 2 shown]
	v_cndmask_b32_e32 v56, s40, v25, vcc_lo
	v_cmp_ne_u16_e32 vcc_lo, v71, v22
	v_mov_b64_e32 v[18:19], 0
	v_mov_b64_e32 v[16:17], 0
	;; [unrolled: 1-line block ×4, first 2 shown]
	v_cndmask_b32_e64 v57, 0, 1, vcc_lo
	s_mov_b32 s14, 0
	s_mov_b32 s13, exec_lo
                                        ; implicit-def: $sgpr4
                                        ; implicit-def: $vgpr72
	v_cmpx_gt_u32_e64 s35, v23
	s_cbranch_execz .LBB1042_84
; %bb.71:
	ds_load_2addr_b32 v[20:21], v48 offset0:11 offset1:12
	v_cmp_ne_u16_e32 vcc_lo, v22, v10
	v_mov_b64_e32 v[60:61], 0
	v_mov_b64_e32 v[62:63], 0
	v_mov_b64_e32 v[64:65], 0
	v_mov_b64_e32 v[66:67], 0
	v_cndmask_b32_e64 v59, 0, 1, vcc_lo
	v_cmp_eq_u16_e32 vcc_lo, v22, v10
	v_mov_b64_e32 v[68:69], 0
	v_mov_b64_e32 v[18:19], 0
	;; [unrolled: 1-line block ×5, first 2 shown]
	v_add_nc_u32_e32 v23, 12, v78
	s_mov_b32 s15, 0
	s_mov_b32 s14, exec_lo
                                        ; implicit-def: $sgpr4
                                        ; implicit-def: $vgpr72
	s_wait_dscnt 0x0
	v_cndmask_b32_e32 v58, s40, v20, vcc_lo
	v_cmpx_gt_u32_e64 s35, v23
	s_cbranch_execz .LBB1042_83
; %bb.72:
	v_lshrrev_b32_e32 v18, 16, v10
	v_mov_b64_e32 v[62:63], 0
	v_mov_b64_e32 v[64:65], 0
	;; [unrolled: 1-line block ×4, first 2 shown]
	v_cmp_eq_u16_e32 vcc_lo, v10, v18
	v_mov_b64_e32 v[16:17], 0
	v_mov_b64_e32 v[14:15], 0
	;; [unrolled: 1-line block ×3, first 2 shown]
	v_dual_cndmask_b32 v60, s40, v21 :: v_dual_add_nc_u32 v19, 13, v78
	v_cmp_ne_u16_e32 vcc_lo, v10, v18
	s_mov_b32 s16, 0
	s_mov_b32 s15, exec_lo
                                        ; implicit-def: $sgpr4
                                        ; implicit-def: $vgpr72
	v_cndmask_b32_e64 v61, 0, 1, vcc_lo
	v_cmpx_gt_u32_e64 s35, v19
	s_cbranch_execz .LBB1042_82
; %bb.73:
	ds_load_2addr_b32 v[16:17], v48 offset0:13 offset1:14
	v_cmp_ne_u16_e32 vcc_lo, v18, v11
	v_mov_b64_e32 v[64:65], 0
	v_mov_b64_e32 v[66:67], 0
	;; [unrolled: 1-line block ×4, first 2 shown]
	v_cndmask_b32_e64 v63, 0, 1, vcc_lo
	v_cmp_eq_u16_e32 vcc_lo, v18, v11
	v_mov_b64_e32 v[12:13], 0
	v_add_nc_u32_e32 v10, 14, v78
	s_mov_b32 s17, 0
	s_mov_b32 s16, exec_lo
                                        ; implicit-def: $sgpr4
                                        ; implicit-def: $vgpr72
	s_wait_dscnt 0x0
	v_cndmask_b32_e32 v62, s40, v16, vcc_lo
	v_cmpx_gt_u32_e64 s35, v10
	s_cbranch_execz .LBB1042_81
; %bb.74:
	v_dual_lshrrev_b32 v14, 16, v11 :: v_dual_add_nc_u32 v10, 15, v78
	v_mov_b64_e32 v[66:67], 0
	v_mov_b64_e32 v[68:69], 0
	;; [unrolled: 1-line block ×3, first 2 shown]
	s_delay_alu instid0(VALU_DEP_4)
	v_cmp_eq_u16_e32 vcc_lo, v11, v14
	s_mov_b32 s41, 0
	s_mov_b32 s17, exec_lo
                                        ; implicit-def: $sgpr4
                                        ; implicit-def: $vgpr72
	v_cndmask_b32_e32 v64, s40, v17, vcc_lo
	v_cmp_ne_u16_e32 vcc_lo, v11, v14
	v_cndmask_b32_e64 v65, 0, 1, vcc_lo
	v_cmpx_gt_u32_e64 s35, v10
	s_cbranch_execz .LBB1042_80
; %bb.75:
	ds_load_2addr_b32 v[10:11], v48 offset0:15 offset1:16
	v_cmp_ne_u16_e32 vcc_lo, v14, v73
	v_mov_b64_e32 v[68:69], 0
	v_add_nc_u32_e32 v12, 16, v78
	s_mov_b32 s42, 0
	s_mov_b32 s41, exec_lo
	v_cndmask_b32_e64 v67, 0, 1, vcc_lo
	v_cmp_eq_u16_e32 vcc_lo, v14, v73
                                        ; implicit-def: $sgpr4
                                        ; implicit-def: $vgpr72
	s_wait_dscnt 0x0
	v_cndmask_b32_e32 v66, s40, v10, vcc_lo
	v_cmpx_gt_u32_e64 s35, v12
	s_cbranch_execz .LBB1042_79
; %bb.76:
	v_dual_lshrrev_b32 v10, 16, v73 :: v_dual_add_nc_u32 v12, 17, v78
                                        ; implicit-def: $sgpr4
                                        ; implicit-def: $vgpr72
	s_delay_alu instid0(VALU_DEP_1)
	v_cmp_eq_u16_e32 vcc_lo, v73, v10
	v_cndmask_b32_e32 v68, s40, v11, vcc_lo
	v_cmp_ne_u16_e32 vcc_lo, v73, v10
	v_cndmask_b32_e64 v69, 0, 1, vcc_lo
	v_cmp_gt_u32_e32 vcc_lo, s35, v12
	s_mov_b32 s35, 0
	s_and_saveexec_b32 s42, vcc_lo
	s_delay_alu instid0(SALU_CYCLE_1)
	s_xor_b32 s42, exec_lo, s42
	s_cbranch_execz .LBB1042_78
; %bb.77:
	ds_load_b32 v11, v48 offset:68
	v_cmp_ne_u16_e64 s4, v10, v1
	s_mov_b32 s35, exec_lo
	s_wait_dscnt 0x0
	v_cndmask_b32_e64 v72, v11, s40, s4
.LBB1042_78:
	s_or_b32 exec_lo, exec_lo, s42
	s_delay_alu instid0(SALU_CYCLE_1)
	s_and_b32 s42, s35, exec_lo
.LBB1042_79:
	s_or_b32 exec_lo, exec_lo, s41
	v_mov_b64_e32 v[12:13], v[68:69]
	s_and_b32 s41, s42, exec_lo
.LBB1042_80:
	s_or_b32 exec_lo, exec_lo, s17
	v_mov_b64_e32 v[14:15], v[66:67]
	s_and_b32 s17, s41, exec_lo
.LBB1042_81:
	s_or_b32 exec_lo, exec_lo, s16
	v_mov_b64_e32 v[16:17], v[64:65]
	s_and_b32 s16, s17, exec_lo
.LBB1042_82:
	s_or_b32 exec_lo, exec_lo, s15
	v_mov_b64_e32 v[18:19], v[62:63]
	s_and_b32 s15, s16, exec_lo
.LBB1042_83:
	s_or_b32 exec_lo, exec_lo, s14
	v_mov_b64_e32 v[20:21], v[60:61]
	s_and_b32 s14, s15, exec_lo
.LBB1042_84:
	s_or_b32 exec_lo, exec_lo, s13
	v_mov_b64_e32 v[22:23], v[58:59]
	s_and_b32 s13, s14, exec_lo
.LBB1042_85:
	s_or_b32 exec_lo, exec_lo, s12
	v_mov_b64_e32 v[24:25], v[56:57]
	s_and_b32 s12, s13, exec_lo
.LBB1042_86:
	s_or_b32 exec_lo, exec_lo, s11
	v_mov_b64_e32 v[26:27], v[54:55]
	s_and_b32 s11, s12, exec_lo
.LBB1042_87:
	s_or_b32 exec_lo, exec_lo, s10
	v_mov_b64_e32 v[28:29], v[52:53]
	s_and_b32 s10, s11, exec_lo
.LBB1042_88:
	s_or_b32 exec_lo, exec_lo, s9
	v_mov_b64_e32 v[30:31], v[50:51]
	s_and_b32 s9, s10, exec_lo
.LBB1042_89:
	s_or_b32 exec_lo, exec_lo, s8
	v_mov_b64_e32 v[32:33], v[46:47]
	s_and_b32 s8, s9, exec_lo
.LBB1042_90:
	s_or_b32 exec_lo, exec_lo, s7
	v_mov_b64_e32 v[34:35], v[44:45]
	s_and_b32 s7, s8, exec_lo
.LBB1042_91:
	s_or_b32 exec_lo, exec_lo, s6
	v_mov_b64_e32 v[36:37], v[42:43]
	s_and_b32 s6, s7, exec_lo
.LBB1042_92:
	s_or_b32 exec_lo, exec_lo, s5
	v_mov_b64_e32 v[38:39], v[6:7]
	s_and_b32 s5, s6, exec_lo
.LBB1042_93:
	s_or_b32 exec_lo, exec_lo, s3
	v_mov_b64_e32 v[40:41], v[2:3]
	s_and_b32 s3, s5, exec_lo
.LBB1042_94:
	s_or_b32 exec_lo, exec_lo, s2
	v_mov_b64_e32 v[48:49], v[4:5]
	s_and_b32 s3, s3, exec_lo
.LBB1042_95:
	s_or_b32 exec_lo, exec_lo, s1
	v_lshlrev_b32_e32 v10, 1, v0
	s_and_b32 vcc_lo, exec_lo, s0
	s_cbranch_vccnz .LBB1042_97
	s_branch .LBB1042_102
.LBB1042_96:
                                        ; implicit-def: $sgpr4
                                        ; implicit-def: $vgpr72
                                        ; implicit-def: $vgpr8_vgpr9
                                        ; implicit-def: $vgpr4_vgpr5
                                        ; implicit-def: $vgpr2_vgpr3
                                        ; implicit-def: $vgpr6_vgpr7
                                        ; implicit-def: $vgpr42_vgpr43
                                        ; implicit-def: $vgpr44_vgpr45
                                        ; implicit-def: $vgpr46_vgpr47
                                        ; implicit-def: $vgpr50_vgpr51
                                        ; implicit-def: $vgpr52_vgpr53
                                        ; implicit-def: $vgpr54_vgpr55
                                        ; implicit-def: $vgpr56_vgpr57
                                        ; implicit-def: $vgpr58_vgpr59
                                        ; implicit-def: $vgpr60_vgpr61
                                        ; implicit-def: $vgpr62_vgpr63
                                        ; implicit-def: $vgpr64_vgpr65
                                        ; implicit-def: $vgpr66_vgpr67
                                        ; implicit-def: $vgpr68_vgpr69
                                        ; implicit-def: $vgpr48_vgpr49
                                        ; implicit-def: $vgpr40_vgpr41
                                        ; implicit-def: $vgpr38_vgpr39
                                        ; implicit-def: $vgpr36_vgpr37
                                        ; implicit-def: $vgpr34_vgpr35
                                        ; implicit-def: $vgpr32_vgpr33
                                        ; implicit-def: $vgpr30_vgpr31
                                        ; implicit-def: $vgpr28_vgpr29
                                        ; implicit-def: $vgpr26_vgpr27
                                        ; implicit-def: $vgpr24_vgpr25
                                        ; implicit-def: $vgpr22_vgpr23
                                        ; implicit-def: $vgpr20_vgpr21
                                        ; implicit-def: $vgpr18_vgpr19
                                        ; implicit-def: $vgpr16_vgpr17
                                        ; implicit-def: $vgpr14_vgpr15
                                        ; implicit-def: $vgpr12_vgpr13
	v_lshlrev_b32_e32 v10, 1, v0
	s_cbranch_execz .LBB1042_102
.LBB1042_97:
	s_clause 0x11
	flat_load_u16 v1, v0, s[38:39] scale_offset
	flat_load_u16 v2, v0, s[38:39] offset:512 scale_offset
	flat_load_u16 v3, v0, s[38:39] offset:1024 scale_offset
	;; [unrolled: 1-line block ×17, first 2 shown]
	v_mov_b32_e32 v20, 0
	s_mov_b32 s0, exec_lo
	s_wait_loadcnt_dscnt 0x1111
	ds_store_b16 v10, v1
	s_wait_loadcnt_dscnt 0x1011
	ds_store_b16 v10, v2 offset:512
	s_wait_loadcnt_dscnt 0xf11
	ds_store_b16 v10, v3 offset:1024
	;; [unrolled: 2-line block ×17, first 2 shown]
	s_wait_dscnt 0x0
	s_barrier_signal -1
	s_barrier_wait -1
	flat_load_u16 v1, v20, s[38:39] offset:9216
	v_mad_u32_u24 v4, v0, 34, v10
	ds_load_2addr_b32 v[2:3], v4 offset1:1
	ds_load_2addr_b32 v[16:17], v4 offset0:2 offset1:3
	ds_load_2addr_b32 v[14:15], v4 offset0:4 offset1:5
	;; [unrolled: 1-line block ×3, first 2 shown]
	ds_load_b32 v11, v4 offset:32
	v_mad_i32_i24 v4, 0xffffffde, v0, v4
	s_wait_dscnt 0x4
	ds_store_b16 v4, v2 offset:9728
	s_wait_loadcnt_dscnt 0x0
	s_barrier_signal -1
	s_barrier_wait -1
	v_cmpx_ne_u32_e32 0xff, v0
; %bb.98:
	ds_load_u16 v1, v4 offset:9730
; %bb.99:
	s_or_b32 exec_lo, exec_lo, s0
	s_wait_dscnt 0x0
	s_barrier_signal -1
	s_barrier_wait -1
	s_clause 0x11
	flat_load_i16 v5, v0, s[36:37] scale_offset
	flat_load_i16 v6, v0, s[36:37] offset:512 scale_offset
	flat_load_i16 v7, v0, s[36:37] offset:1024 scale_offset
	;; [unrolled: 1-line block ×17, first 2 shown]
	v_lshl_add_u32 v4, v0, 1, v4
	s_wait_loadcnt_dscnt 0x1010
	ds_store_2addr_stride64_b32 v4, v5, v6 offset1:4
	s_wait_loadcnt_dscnt 0xe0f
	ds_store_2addr_stride64_b32 v4, v7, v8 offset0:8 offset1:12
	s_wait_loadcnt_dscnt 0xc0e
	ds_store_2addr_stride64_b32 v4, v9, v18 offset0:16 offset1:20
	;; [unrolled: 2-line block ×8, first 2 shown]
	v_mad_u32_u24 v32, 0x44, v0, v4
	s_wait_dscnt 0x0
	s_barrier_signal -1
	s_barrier_wait -1
	ds_load_2addr_b32 v[6:7], v32 offset0:1 offset1:2
	ds_load_2addr_b32 v[30:31], v32 offset0:3 offset1:4
	;; [unrolled: 1-line block ×8, first 2 shown]
	ds_load_b32 v32, v32 offset:68
	v_lshrrev_b32_e32 v5, 16, v2
	v_mov_b64_e32 v[8:9], 0x100000000
	s_delay_alu instid0(VALU_DEP_2)
	v_cmp_eq_u16_e32 vcc_lo, v2, v5
	v_mov_b32_e32 v2, s40
	s_and_saveexec_b32 s0, vcc_lo
	s_cbranch_execz .LBB1042_101
; %bb.100:
	v_mul_u32_u24_e32 v2, 0x44, v0
	v_mov_b64_e32 v[8:9], 0
	s_delay_alu instid0(VALU_DEP_2)
	v_add_nc_u32_e32 v2, v4, v2
	ds_load_b32 v2, v2
.LBB1042_101:
	s_or_b32 exec_lo, exec_lo, s0
	v_cmp_eq_u16_e32 vcc_lo, v5, v3
	v_dual_lshrrev_b32 v34, 16, v3 :: v_dual_lshrrev_b32 v36, 16, v17
	v_dual_lshrrev_b32 v33, 16, v11 :: v_dual_lshrrev_b32 v35, 16, v16
	s_wait_dscnt 0x8
	v_cndmask_b32_e32 v4, s40, v6, vcc_lo
	v_cmp_ne_u16_e32 vcc_lo, v5, v3
	v_dual_lshrrev_b32 v37, 16, v14 :: v_dual_lshrrev_b32 v38, 16, v15
	v_dual_lshrrev_b32 v39, 16, v12 :: v_dual_lshrrev_b32 v40, 16, v13
	v_cndmask_b32_e64 v5, 0, 1, vcc_lo
	v_cmp_eq_u16_e32 vcc_lo, v3, v34
	s_wait_dscnt 0x0
	v_or_b32_e32 v8, v8, v2
	v_cmp_ne_u16_e64 s4, v33, v1
	s_mov_b32 s3, -1
	v_mov_b64_e32 v[48:49], v[4:5]
	v_cndmask_b32_e32 v2, s40, v7, vcc_lo
	v_cmp_ne_u16_e32 vcc_lo, v3, v34
	v_cndmask_b32_e64 v72, v32, s40, s4
	v_cndmask_b32_e64 v3, 0, 1, vcc_lo
	v_cmp_eq_u16_e32 vcc_lo, v34, v16
	v_cndmask_b32_e32 v6, s40, v30, vcc_lo
	v_cmp_ne_u16_e32 vcc_lo, v34, v16
	v_cndmask_b32_e64 v7, 0, 1, vcc_lo
	v_cmp_eq_u16_e32 vcc_lo, v16, v35
	v_cndmask_b32_e32 v42, s40, v31, vcc_lo
	v_cmp_ne_u16_e32 vcc_lo, v16, v35
	;; [unrolled: 4-line block ×3, first 2 shown]
	v_cndmask_b32_e64 v45, 0, 1, vcc_lo
	v_cmp_eq_u16_e32 vcc_lo, v17, v36
	s_delay_alu instid0(VALU_DEP_2)
	v_mov_b64_e32 v[34:35], v[44:45]
	v_cndmask_b32_e32 v46, s40, v29, vcc_lo
	v_cmp_ne_u16_e32 vcc_lo, v17, v36
	v_cndmask_b32_e64 v47, 0, 1, vcc_lo
	v_cmp_eq_u16_e32 vcc_lo, v36, v14
	v_cndmask_b32_e32 v50, s40, v26, vcc_lo
	v_cmp_ne_u16_e32 vcc_lo, v36, v14
	v_cndmask_b32_e64 v51, 0, 1, vcc_lo
	v_cmp_eq_u16_e32 vcc_lo, v14, v37
	s_delay_alu instid0(VALU_DEP_2) | instskip(SKIP_4) | instid1(VALU_DEP_2)
	v_mov_b64_e32 v[30:31], v[50:51]
	v_cndmask_b32_e32 v52, s40, v27, vcc_lo
	v_cmp_ne_u16_e32 vcc_lo, v14, v37
	v_cndmask_b32_e64 v53, 0, 1, vcc_lo
	v_cmp_eq_u16_e32 vcc_lo, v37, v15
	v_mov_b64_e32 v[28:29], v[52:53]
	v_cndmask_b32_e32 v54, s40, v24, vcc_lo
	v_cmp_ne_u16_e32 vcc_lo, v37, v15
	v_mov_b64_e32 v[36:37], v[42:43]
	v_cndmask_b32_e64 v55, 0, 1, vcc_lo
	v_cmp_eq_u16_e32 vcc_lo, v15, v38
	s_delay_alu instid0(VALU_DEP_2) | instskip(SKIP_4) | instid1(VALU_DEP_2)
	v_mov_b64_e32 v[26:27], v[54:55]
	v_cndmask_b32_e32 v56, s40, v25, vcc_lo
	v_cmp_ne_u16_e32 vcc_lo, v15, v38
	v_cndmask_b32_e64 v57, 0, 1, vcc_lo
	v_cmp_eq_u16_e32 vcc_lo, v38, v12
	v_mov_b64_e32 v[24:25], v[56:57]
	v_cndmask_b32_e32 v58, s40, v22, vcc_lo
	v_cmp_ne_u16_e32 vcc_lo, v38, v12
	v_cndmask_b32_e64 v59, 0, 1, vcc_lo
	v_cmp_eq_u16_e32 vcc_lo, v12, v39
	v_cndmask_b32_e32 v60, s40, v23, vcc_lo
	v_cmp_ne_u16_e32 vcc_lo, v12, v39
	s_delay_alu instid0(VALU_DEP_4)
	v_mov_b64_e32 v[22:23], v[58:59]
	v_cndmask_b32_e64 v61, 0, 1, vcc_lo
	v_cmp_eq_u16_e32 vcc_lo, v39, v13
	v_cndmask_b32_e32 v62, s40, v20, vcc_lo
	v_cmp_ne_u16_e32 vcc_lo, v39, v13
	v_mov_b64_e32 v[38:39], v[6:7]
	v_cndmask_b32_e64 v63, 0, 1, vcc_lo
	v_cmp_eq_u16_e32 vcc_lo, v13, v40
	v_cndmask_b32_e32 v64, s40, v21, vcc_lo
	v_cmp_ne_u16_e32 vcc_lo, v13, v40
	v_mov_b64_e32 v[20:21], v[60:61]
	v_cndmask_b32_e64 v65, 0, 1, vcc_lo
	v_cmp_eq_u16_e32 vcc_lo, v40, v11
	s_delay_alu instid0(VALU_DEP_2)
	v_mov_b64_e32 v[16:17], v[64:65]
	v_cndmask_b32_e32 v66, s40, v18, vcc_lo
	v_cmp_ne_u16_e32 vcc_lo, v40, v11
	v_mov_b64_e32 v[40:41], v[2:3]
	v_cndmask_b32_e64 v67, 0, 1, vcc_lo
	v_cmp_eq_u16_e32 vcc_lo, v11, v33
	s_delay_alu instid0(VALU_DEP_2)
	v_mov_b64_e32 v[14:15], v[66:67]
	v_cndmask_b32_e32 v68, s40, v19, vcc_lo
	v_cmp_ne_u16_e32 vcc_lo, v11, v33
	v_mov_b64_e32 v[32:33], v[46:47]
	v_mov_b64_e32 v[18:19], v[62:63]
	v_cndmask_b32_e64 v69, 0, 1, vcc_lo
	s_delay_alu instid0(VALU_DEP_1)
	v_mov_b64_e32 v[12:13], v[68:69]
.LBB1042_102:
	v_mov_b64_e32 v[70:71], 0
	s_and_saveexec_b32 s0, s3
	s_cbranch_execz .LBB1042_104
; %bb.103:
	v_cndmask_b32_e64 v73, 0, 1, s4
	v_mov_b64_e32 v[12:13], v[68:69]
	v_mov_b64_e32 v[14:15], v[66:67]
	;; [unrolled: 1-line block ×17, first 2 shown]
.LBB1042_104:
	s_or_b32 exec_lo, exec_lo, s0
	v_dual_lshrrev_b32 v11, 5, v0 :: v_dual_bitop2_b32 v61, v31, v29 bitop3:0x54
	s_delay_alu instid0(VALU_DEP_3)
	v_or_b32_e32 v60, v15, v13
	v_mbcnt_lo_u32_b32 v1, -1, 0
	v_or_b32_e32 v59, 31, v0
	s_cmp_lg_u32 s34, 0
	s_barrier_signal -1
	s_barrier_wait -1
	s_cbranch_scc0 .LBB1042_145
; %bb.105:
	s_mov_b64 s[16:17], 0x100000000
	v_or3_b32 v3, v61, v33, v35
	v_cmp_gt_u64_e64 s0, s[16:17], v[48:49]
	v_cmp_gt_u64_e64 s1, s[16:17], v[40:41]
	;; [unrolled: 1-line block ×7, first 2 shown]
	v_cndmask_b32_e64 v2, 0, v8, s0
	v_cmp_gt_u64_e64 s6, s[16:17], v[30:31]
	v_cmp_gt_u64_e64 s7, s[16:17], v[28:29]
	;; [unrolled: 1-line block ×4, first 2 shown]
	v_add_nc_u32_e32 v2, v2, v48
	v_cmp_gt_u64_e64 s10, s[16:17], v[22:23]
	v_cmp_gt_u64_e64 s11, s[16:17], v[20:21]
	;; [unrolled: 1-line block ×3, first 2 shown]
	v_or3_b32 v4, v60, v17, v19
	v_cndmask_b32_e64 v2, 0, v2, s1
	v_cmp_gt_u64_e64 s13, s[16:17], v[16:17]
	v_or3_b32 v3, v3, v37, v39
	v_cmp_gt_u64_e64 s14, s[16:17], v[14:15]
	v_or3_b32 v4, v4, v21, v23
	v_dual_add_nc_u32 v2, v2, v40 :: v_dual_bitop2_b32 v7, 15, v1 bitop3:0x40
	s_delay_alu instid0(VALU_DEP_4) | instskip(NEXT) | instid1(VALU_DEP_3)
	v_or3_b32 v3, v3, v41, v49
	v_or3_b32 v4, v4, v25, v27
	s_delay_alu instid0(VALU_DEP_3) | instskip(NEXT) | instid1(VALU_DEP_2)
	v_cndmask_b32_e64 v2, 0, v2, s2
	v_or3_b32 v3, v71, v4, v3
	s_delay_alu instid0(VALU_DEP_2) | instskip(NEXT) | instid1(VALU_DEP_2)
	v_add_nc_u32_e32 v2, v2, v38
	v_and_b32_e32 v3, 0xff, v3
	s_delay_alu instid0(VALU_DEP_2) | instskip(NEXT) | instid1(VALU_DEP_1)
	v_cndmask_b32_e64 v2, 0, v2, s3
	v_add_nc_u32_e32 v2, v2, v36
	s_delay_alu instid0(VALU_DEP_1) | instskip(NEXT) | instid1(VALU_DEP_1)
	v_cndmask_b32_e64 v2, 0, v2, s4
	v_add_nc_u32_e32 v2, v2, v34
	s_delay_alu instid0(VALU_DEP_1) | instskip(NEXT) | instid1(VALU_DEP_1)
	;; [unrolled: 3-line block ×11, first 2 shown]
	v_dual_cndmask_b32 v4, 0, v2, s14 :: v_dual_mov_b32 v2, 0
	v_add_nc_u32_e32 v4, v4, v14
	s_delay_alu instid0(VALU_DEP_2) | instskip(NEXT) | instid1(VALU_DEP_2)
	v_cmp_eq_u64_e32 vcc_lo, 0, v[2:3]
	v_dual_cndmask_b32 v3, 0, v4, s15 :: v_dual_cndmask_b32 v2, 1, v9, vcc_lo
	v_cmp_gt_u64_e32 vcc_lo, s[16:17], v[70:71]
	s_delay_alu instid0(VALU_DEP_2) | instskip(NEXT) | instid1(VALU_DEP_3)
	v_add_nc_u32_e32 v3, v3, v12
	v_and_b32_e32 v4, 0xff, v2
	s_delay_alu instid0(VALU_DEP_2) | instskip(NEXT) | instid1(VALU_DEP_2)
	v_dual_cndmask_b32 v3, 0, v3, vcc_lo :: v_dual_bitop2_b32 v6, 1, v2 bitop3:0x40
	v_mov_b32_dpp v5, v4 row_shr:1 row_mask:0xf bank_mask:0xf
	s_delay_alu instid0(VALU_DEP_2) | instskip(NEXT) | instid1(VALU_DEP_2)
	v_cmp_eq_u32_e32 vcc_lo, 1, v6
	v_dual_add_nc_u32 v3, v3, v70 :: v_dual_bitop2_b32 v5, 1, v5 bitop3:0x40
	s_delay_alu instid0(VALU_DEP_1) | instskip(NEXT) | instid1(VALU_DEP_2)
	v_mov_b32_dpp v6, v3 row_shr:1 row_mask:0xf bank_mask:0xf
	v_cndmask_b32_e64 v5, v5, 1, vcc_lo
	v_cmp_eq_u16_e32 vcc_lo, 0, v4
	s_delay_alu instid0(VALU_DEP_2) | instskip(NEXT) | instid1(VALU_DEP_4)
	v_and_b32_e32 v42, 0xffff, v5
	v_cndmask_b32_e32 v6, 0, v6, vcc_lo
	v_cmp_eq_u32_e32 vcc_lo, 0, v7
	s_delay_alu instid0(VALU_DEP_3) | instskip(NEXT) | instid1(VALU_DEP_3)
	v_dual_cndmask_b32 v4, v42, v4, vcc_lo :: v_dual_cndmask_b32 v2, v5, v2, vcc_lo
	v_cndmask_b32_e64 v6, v6, 0, vcc_lo
	s_delay_alu instid0(VALU_DEP_2) | instskip(NEXT) | instid1(VALU_DEP_2)
	v_mov_b32_dpp v5, v4 row_shr:2 row_mask:0xf bank_mask:0xf
	v_dual_add_nc_u32 v3, v6, v3 :: v_dual_bitop2_b32 v42, 1, v2 bitop3:0x40
	s_delay_alu instid0(VALU_DEP_2) | instskip(NEXT) | instid1(VALU_DEP_2)
	v_and_b32_e32 v5, 1, v5
	v_cmp_eq_u32_e32 vcc_lo, 1, v42
	s_delay_alu instid0(VALU_DEP_2) | instskip(SKIP_1) | instid1(VALU_DEP_2)
	v_cndmask_b32_e64 v5, v5, 1, vcc_lo
	v_cmp_lt_u32_e32 vcc_lo, 1, v7
	v_and_b32_e32 v42, 0xffff, v5
	v_cndmask_b32_e32 v5, v2, v5, vcc_lo
	v_and_b32_e32 v2, 0xff, v2
	s_delay_alu instid0(VALU_DEP_2) | instskip(NEXT) | instid1(VALU_DEP_2)
	v_dual_cndmask_b32 v4, v4, v42, vcc_lo :: v_dual_bitop2_b32 v6, 1, v5 bitop3:0x40
	v_cmp_eq_u16_e64 s16, 0, v2
	v_mov_b32_dpp v2, v3 row_shr:2 row_mask:0xf bank_mask:0xf
	v_and_b32_e32 v43, 0xff, v5
	s_delay_alu instid0(VALU_DEP_4)
	v_mov_b32_dpp v42, v4 row_shr:4 row_mask:0xf bank_mask:0xf
	v_cmp_eq_u32_e64 s17, 1, v6
	s_and_b32 vcc_lo, vcc_lo, s16
	v_cndmask_b32_e32 v2, 0, v2, vcc_lo
	v_and_b32_e32 v42, 1, v42
	v_cmp_lt_u32_e32 vcc_lo, 3, v7
	v_cmp_eq_u16_e64 s16, 0, v43
	s_delay_alu instid0(VALU_DEP_4) | instskip(NEXT) | instid1(VALU_DEP_4)
	v_add_nc_u32_e32 v2, v2, v3
	v_cndmask_b32_e64 v6, v42, 1, s17
	s_delay_alu instid0(VALU_DEP_1) | instskip(SKIP_1) | instid1(VALU_DEP_4)
	v_and_b32_e32 v42, 0xffff, v6
	v_cndmask_b32_e32 v3, v5, v6, vcc_lo
	v_mov_b32_dpp v5, v2 row_shr:4 row_mask:0xf bank_mask:0xf
	s_delay_alu instid0(VALU_DEP_3)
	v_cndmask_b32_e32 v4, v4, v42, vcc_lo
	s_and_b32 vcc_lo, vcc_lo, s16
	s_delay_alu instid0(VALU_DEP_2) | instid1(SALU_CYCLE_1)
	v_dual_cndmask_b32 v5, 0, v5, vcc_lo :: v_dual_bitop2_b32 v43, 1, v3 bitop3:0x40
	v_and_b32_e32 v42, 0xff, v3
	s_delay_alu instid0(VALU_DEP_3) | instskip(NEXT) | instid1(VALU_DEP_3)
	v_mov_b32_dpp v6, v4 row_shr:8 row_mask:0xf bank_mask:0xf
	v_cmp_eq_u32_e64 s16, 1, v43
	s_delay_alu instid0(VALU_DEP_4) | instskip(NEXT) | instid1(VALU_DEP_4)
	v_add_nc_u32_e32 v2, v5, v2
	v_cmp_eq_u16_e32 vcc_lo, 0, v42
	s_delay_alu instid0(VALU_DEP_4) | instskip(SKIP_1) | instid1(VALU_DEP_2)
	v_and_b32_e32 v6, 1, v6
	v_and_b32_e32 v42, 16, v1
	v_cndmask_b32_e64 v5, v6, 1, s16
	v_cmp_lt_u32_e64 s16, 7, v7
	v_mov_b32_dpp v6, v2 row_shr:8 row_mask:0xf bank_mask:0xf
	v_bfe_i32 v7, v1, 4, 1
	s_and_b32 vcc_lo, s16, vcc_lo
	s_delay_alu instid0(VALU_DEP_2) | instid1(SALU_CYCLE_1)
	v_dual_cndmask_b32 v3, v3, v5, s16 :: v_dual_cndmask_b32 v6, 0, v6, vcc_lo
	v_and_b32_e32 v5, 0xffff, v5
	s_delay_alu instid0(VALU_DEP_1) | instskip(NEXT) | instid1(VALU_DEP_3)
	v_dual_add_nc_u32 v2, v6, v2 :: v_dual_cndmask_b32 v4, v4, v5, s16
	v_and_b32_e32 v6, 0xff, v3
	v_cmp_eq_u32_e64 s16, 0, v42
	ds_swizzle_b32 v5, v2 offset:swizzle(BROADCAST,32,15)
	ds_swizzle_b32 v4, v4 offset:swizzle(BROADCAST,32,15)
	v_cmp_eq_u16_e32 vcc_lo, 0, v6
	s_wait_dscnt 0x1
	v_dual_cndmask_b32 v5, 0, v5, vcc_lo :: v_dual_bitop2_b32 v6, 1, v3 bitop3:0x40
	s_wait_dscnt 0x0
	v_and_b32_e32 v4, 1, v4
	s_delay_alu instid0(VALU_DEP_2) | instskip(NEXT) | instid1(VALU_DEP_3)
	v_cmp_eq_u32_e32 vcc_lo, 1, v6
	v_and_b32_e32 v5, v7, v5
	s_delay_alu instid0(VALU_DEP_3) | instskip(NEXT) | instid1(VALU_DEP_1)
	v_cndmask_b32_e64 v6, v4, 1, vcc_lo
	v_dual_add_nc_u32 v4, v5, v2 :: v_dual_cndmask_b32 v5, v6, v3, s16
	v_lshlrev_b32_e32 v6, 3, v11
	s_mov_b32 s16, exec_lo
	v_cmpx_eq_u32_e64 v0, v59
	s_cbranch_execz .LBB1042_107
; %bb.106:
	ds_store_b32 v6, v4
	ds_store_b8 v6, v5 offset:4
.LBB1042_107:
	s_or_b32 exec_lo, exec_lo, s16
	s_delay_alu instid0(SALU_CYCLE_1)
	s_mov_b32 s17, exec_lo
	s_wait_dscnt 0x0
	s_barrier_signal -1
	s_barrier_wait -1
	v_cmpx_gt_u32_e32 8, v0
	s_cbranch_execz .LBB1042_113
; %bb.108:
	v_dual_lshlrev_b32 v7, 3, v0 :: v_dual_bitop2_b32 v42, 7, v1 bitop3:0x40
	s_mov_b32 s16, exec_lo
	ds_load_b64 v[2:3], v7
	s_wait_dscnt 0x0
	v_and_b32_e32 v43, 0xffffff00, v3
	v_mov_b32_dpp v45, v2 row_shr:1 row_mask:0xf bank_mask:0xf
	v_mov_b32_dpp v46, v3 row_shr:1 row_mask:0xf bank_mask:0xf
	v_mov_b32_e32 v44, v3
	v_cmpx_ne_u32_e32 0, v42
	s_cbranch_execz .LBB1042_110
; %bb.109:
	v_and_b32_e32 v44, 1, v3
	v_and_b32_e32 v46, 1, v46
	;; [unrolled: 1-line block ×3, first 2 shown]
	s_delay_alu instid0(VALU_DEP_3) | instskip(NEXT) | instid1(VALU_DEP_3)
	v_cmp_eq_u32_e32 vcc_lo, 1, v44
	v_cndmask_b32_e64 v3, v46, 1, vcc_lo
	s_delay_alu instid0(VALU_DEP_3) | instskip(SKIP_1) | instid1(VALU_DEP_3)
	v_cmp_eq_u16_e32 vcc_lo, 0, v47
	v_cndmask_b32_e32 v44, 0, v45, vcc_lo
	v_and_b32_e32 v45, 0xffff, v3
	s_delay_alu instid0(VALU_DEP_1)
	v_dual_add_nc_u32 v2, v44, v2 :: v_dual_bitop2_b32 v44, v43, v45 bitop3:0x54
.LBB1042_110:
	s_or_b32 exec_lo, exec_lo, s16
	s_delay_alu instid0(VALU_DEP_1) | instskip(NEXT) | instid1(VALU_DEP_2)
	v_mov_b32_dpp v45, v2 row_shr:2 row_mask:0xf bank_mask:0xf
	v_mov_b32_dpp v46, v44 row_shr:2 row_mask:0xf bank_mask:0xf
	s_mov_b32 s16, exec_lo
	v_cmpx_lt_u32_e32 1, v42
	s_cbranch_execz .LBB1042_112
; %bb.111:
	v_and_b32_e32 v44, 1, v3
	v_and_b32_e32 v46, 1, v46
	;; [unrolled: 1-line block ×3, first 2 shown]
	s_delay_alu instid0(VALU_DEP_3) | instskip(NEXT) | instid1(VALU_DEP_3)
	v_cmp_eq_u32_e32 vcc_lo, 1, v44
	v_cndmask_b32_e64 v3, v46, 1, vcc_lo
	s_delay_alu instid0(VALU_DEP_3) | instskip(SKIP_1) | instid1(VALU_DEP_3)
	v_cmp_eq_u16_e32 vcc_lo, 0, v47
	v_cndmask_b32_e32 v44, 0, v45, vcc_lo
	v_and_b32_e32 v45, 0xffff, v3
	s_delay_alu instid0(VALU_DEP_1)
	v_dual_add_nc_u32 v2, v44, v2 :: v_dual_bitop2_b32 v44, v43, v45 bitop3:0x54
.LBB1042_112:
	s_or_b32 exec_lo, exec_lo, s16
	s_delay_alu instid0(VALU_DEP_1) | instskip(SKIP_2) | instid1(VALU_DEP_3)
	v_mov_b32_dpp v43, v44 row_shr:4 row_mask:0xf bank_mask:0xf
	v_and_b32_e32 v45, 1, v3
	v_and_b32_e32 v44, 0xff, v3
	;; [unrolled: 1-line block ×3, first 2 shown]
	s_delay_alu instid0(VALU_DEP_3) | instskip(NEXT) | instid1(VALU_DEP_3)
	v_cmp_eq_u32_e64 s16, 1, v45
	v_cmp_eq_u16_e32 vcc_lo, 0, v44
	s_delay_alu instid0(VALU_DEP_2)
	v_cndmask_b32_e64 v43, v43, 1, s16
	v_cmp_lt_u32_e64 s16, 3, v42
	v_mov_b32_dpp v42, v2 row_shr:4 row_mask:0xf bank_mask:0xf
	s_and_b32 vcc_lo, s16, vcc_lo
	s_delay_alu instid0(VALU_DEP_1) | instid1(SALU_CYCLE_1)
	v_dual_cndmask_b32 v3, v3, v43, s16 :: v_dual_cndmask_b32 v42, 0, v42, vcc_lo
	s_delay_alu instid0(VALU_DEP_1)
	v_add_nc_u32_e32 v2, v42, v2
	ds_store_b32 v7, v2
	ds_store_b8 v7, v3 offset:4
.LBB1042_113:
	s_or_b32 exec_lo, exec_lo, s17
	v_dual_mov_b32 v47, 0 :: v_dual_mov_b32 v46, 0
	s_mov_b32 s17, exec_lo
	v_cmp_gt_u32_e32 vcc_lo, 32, v0
	s_wait_dscnt 0x0
	s_barrier_signal -1
	s_barrier_wait -1
	v_cmpx_lt_u32_e32 31, v0
	s_cbranch_execz .LBB1042_115
; %bb.114:
	v_dual_add_nc_u32 v2, -8, v6 :: v_dual_bitop2_b32 v3, 1, v5 bitop3:0x40
	ds_load_b32 v46, v2
	v_add_nc_u32_e32 v2, -4, v6
	ds_load_u8 v47, v2
	v_and_b32_e32 v2, 0xff, v5
	s_delay_alu instid0(VALU_DEP_1) | instskip(SKIP_1) | instid1(VALU_DEP_1)
	v_cmp_eq_u16_e64 s16, 0, v2
	s_wait_dscnt 0x1
	v_cndmask_b32_e64 v2, 0, v46, s16
	v_cmp_eq_u32_e64 s16, 1, v3
	s_delay_alu instid0(VALU_DEP_2) | instskip(SKIP_1) | instid1(VALU_DEP_2)
	v_add_nc_u32_e32 v4, v2, v4
	s_wait_dscnt 0x0
	v_cndmask_b32_e64 v5, v47, 1, s16
.LBB1042_115:
	s_or_b32 exec_lo, exec_lo, s17
	v_sub_co_u32 v2, s16, v1, 1
	s_delay_alu instid0(VALU_DEP_2) | instskip(NEXT) | instid1(VALU_DEP_2)
	v_and_b32_e32 v3, 0xff, v5
	v_cmp_gt_i32_e64 s17, 0, v2
	s_delay_alu instid0(VALU_DEP_1) | instskip(NEXT) | instid1(VALU_DEP_1)
	v_cndmask_b32_e64 v2, v2, v1, s17
	v_lshlrev_b32_e32 v2, 2, v2
	ds_bpermute_b32 v50, v2, v4
	ds_bpermute_b32 v51, v2, v3
	s_and_saveexec_b32 s35, vcc_lo
	s_cbranch_execz .LBB1042_214
; %bb.116:
	v_mov_b32_e32 v5, 0
	ds_load_b64 v[2:3], v5 offset:56
	s_and_saveexec_b32 s17, s16
	s_cbranch_execz .LBB1042_118
; %bb.117:
	s_add_co_i32 s36, s34, 32
	s_mov_b32 s37, 0
	v_mov_b32_e32 v4, 1
	s_lshl_b64 s[36:37], s[36:37], 4
	s_delay_alu instid0(SALU_CYCLE_1) | instskip(NEXT) | instid1(SALU_CYCLE_1)
	s_add_nc_u64 s[36:37], s[20:21], s[36:37]
	v_mov_b64_e32 v[6:7], s[36:37]
	s_wait_dscnt 0x0
	;;#ASMSTART
	global_store_b128 v[6:7], v[2:5] off scope:SCOPE_DEV	
s_wait_storecnt 0x0
	;;#ASMEND
.LBB1042_118:
	s_or_b32 exec_lo, exec_lo, s17
	v_xad_u32 v42, v1, -1, s34
	s_mov_b32 s36, 0
	s_mov_b32 s17, exec_lo
	s_delay_alu instid0(VALU_DEP_1) | instskip(NEXT) | instid1(VALU_DEP_1)
	v_add_nc_u32_e32 v4, 32, v42
	v_lshl_add_u64 v[44:45], v[4:5], 4, s[20:21]
	;;#ASMSTART
	global_load_b128 v[4:7], v[44:45] off scope:SCOPE_DEV	
s_wait_loadcnt 0x0
	;;#ASMEND
	v_and_b32_e32 v7, 0xff, v6
	v_and_b32_e32 v5, 0xff, v5
	s_delay_alu instid0(VALU_DEP_2)
	v_cmpx_eq_u16_e32 0, v7
	s_cbranch_execz .LBB1042_121
.LBB1042_119:                           ; =>This Inner Loop Header: Depth=1
	;;#ASMSTART
	global_load_b128 v[4:7], v[44:45] off scope:SCOPE_DEV	
s_wait_loadcnt 0x0
	;;#ASMEND
	v_and_b32_e32 v7, 0xff, v6
	s_delay_alu instid0(VALU_DEP_1) | instskip(SKIP_1) | instid1(SALU_CYCLE_1)
	v_cmp_ne_u16_e32 vcc_lo, 0, v7
	s_or_b32 s36, vcc_lo, s36
	s_and_not1_b32 exec_lo, exec_lo, s36
	s_cbranch_execnz .LBB1042_119
; %bb.120:
	s_or_b32 exec_lo, exec_lo, s36
	v_and_b32_e32 v5, 0xff, v5
.LBB1042_121:
	s_or_b32 exec_lo, exec_lo, s17
	v_cmp_ne_u32_e32 vcc_lo, 31, v1
	v_and_b32_e32 v43, 0xff, v6
	v_lshlrev_b32_e64 v53, v1, -1
	s_mov_b64 s[36:37], 0x100000000
	v_lshl_or_b32 v65, v1, 2, 64
	v_add_co_ci_u32_e64 v7, null, 0, v1, vcc_lo
	v_cmp_eq_u16_e32 vcc_lo, 2, v43
	v_cmp_gt_u64_e64 s17, s[36:37], v[4:5]
	s_delay_alu instid0(VALU_DEP_3) | instskip(SKIP_2) | instid1(VALU_DEP_3)
	v_dual_lshlrev_b32 v52, 2, v7 :: v_dual_bitop2_b32 v44, 1, v5 bitop3:0x40
	v_add_nc_u32_e32 v66, 16, v1
	v_and_or_b32 v43, vcc_lo, v53, 0x80000000
	v_cmp_eq_u32_e32 vcc_lo, 1, v44
	ds_bpermute_b32 v7, v52, v5
	ds_bpermute_b32 v44, v52, v4
	v_ctz_i32_b32_e32 v43, v43
	s_wait_dscnt 0x1
	v_and_b32_e32 v7, 1, v7
	s_delay_alu instid0(VALU_DEP_1) | instskip(SKIP_1) | instid1(VALU_DEP_2)
	v_cndmask_b32_e64 v7, v7, 1, vcc_lo
	v_cmp_gt_u32_e32 vcc_lo, 30, v1
	v_and_b32_e32 v55, 0xffff, v7
	v_cndmask_b32_e64 v45, 0, 2, vcc_lo
	v_cmp_lt_u32_e32 vcc_lo, v1, v43
	s_delay_alu instid0(VALU_DEP_2) | instskip(NEXT) | instid1(VALU_DEP_4)
	v_add_lshl_u32 v54, v45, v1, 2
	v_cndmask_b32_e32 v45, v5, v55, vcc_lo
	v_cndmask_b32_e32 v7, v5, v7, vcc_lo
	s_and_b32 vcc_lo, vcc_lo, s17
	s_wait_dscnt 0x0
	v_dual_cndmask_b32 v44, 0, v44 :: v_dual_add_nc_u32 v55, 2, v1
	ds_bpermute_b32 v5, v54, v45
	v_dual_add_nc_u32 v4, v44, v4 :: v_dual_bitop2_b32 v56, 1, v7 bitop3:0x40
	v_and_b32_e32 v58, 0xff, v7
	ds_bpermute_b32 v44, v54, v4
	v_cmp_eq_u32_e32 vcc_lo, 1, v56
	v_cmp_eq_u16_e64 s17, 0, v58
	s_wait_dscnt 0x1
	v_and_b32_e32 v5, 1, v5
	s_delay_alu instid0(VALU_DEP_1) | instskip(SKIP_3) | instid1(VALU_DEP_3)
	v_cndmask_b32_e64 v5, v5, 1, vcc_lo
	v_cmp_gt_u32_e32 vcc_lo, 28, v1
	s_wait_dscnt 0x0
	v_cndmask_b32_e64 v44, 0, v44, s17
	v_and_b32_e32 v57, 0xffff, v5
	v_cndmask_b32_e64 v56, 0, 4, vcc_lo
	v_cmp_gt_u32_e32 vcc_lo, v55, v43
	s_delay_alu instid0(VALU_DEP_2) | instskip(SKIP_2) | instid1(VALU_DEP_1)
	v_add_lshl_u32 v56, v56, v1, 2
	v_cndmask_b32_e32 v5, v5, v7, vcc_lo
	v_cndmask_b32_e64 v44, v44, 0, vcc_lo
	v_dual_cndmask_b32 v7, v57, v45 :: v_dual_add_nc_u32 v4, v44, v4
	ds_bpermute_b32 v45, v56, v7
	v_add_nc_u32_e32 v57, 4, v1
	ds_bpermute_b32 v44, v56, v4
	v_and_b32_e32 v58, 1, v5
	s_delay_alu instid0(VALU_DEP_1) | instskip(SKIP_1) | instid1(VALU_DEP_1)
	v_cmp_eq_u32_e32 vcc_lo, 1, v58
	v_and_b32_e32 v58, 0xff, v5
	v_cmp_eq_u16_e64 s17, 0, v58
	s_wait_dscnt 0x0
	s_delay_alu instid0(VALU_DEP_1) | instskip(NEXT) | instid1(VALU_DEP_1)
	v_dual_cndmask_b32 v44, 0, v44, s17 :: v_dual_bitop2_b32 v45, 1, v45 bitop3:0x40
	v_cndmask_b32_e64 v45, v45, 1, vcc_lo
	v_cmp_gt_u32_e32 vcc_lo, 24, v1
	s_delay_alu instid0(VALU_DEP_2) | instskip(SKIP_2) | instid1(VALU_DEP_2)
	v_and_b32_e32 v63, 0xffff, v45
	v_cndmask_b32_e64 v62, 0, 8, vcc_lo
	v_cmp_gt_u32_e32 vcc_lo, v57, v43
	v_add_lshl_u32 v58, v62, v1, 2
	v_cndmask_b32_e64 v44, v44, 0, vcc_lo
	s_delay_alu instid0(VALU_DEP_1)
	v_dual_cndmask_b32 v7, v63, v7 :: v_dual_add_nc_u32 v4, v44, v4
	v_add_nc_u32_e32 v63, 8, v1
	ds_bpermute_b32 v44, v58, v4
	v_cndmask_b32_e32 v5, v45, v5, vcc_lo
	ds_bpermute_b32 v45, v58, v7
	v_and_b32_e32 v62, 1, v5
	v_and_b32_e32 v64, 0xff, v5
	s_delay_alu instid0(VALU_DEP_2) | instskip(SKIP_2) | instid1(VALU_DEP_1)
	v_cmp_eq_u32_e32 vcc_lo, 1, v62
	s_wait_dscnt 0x0
	v_and_b32_e32 v45, 1, v45
	v_cndmask_b32_e64 v45, v45, 1, vcc_lo
	v_cmp_eq_u16_e32 vcc_lo, 0, v64
	s_delay_alu instid0(VALU_DEP_2) | instskip(SKIP_2) | instid1(VALU_DEP_2)
	v_and_b32_e32 v62, 0xffff, v45
	v_cndmask_b32_e32 v44, 0, v44, vcc_lo
	v_cmp_gt_u32_e32 vcc_lo, v63, v43
	v_cndmask_b32_e64 v44, v44, 0, vcc_lo
	s_delay_alu instid0(VALU_DEP_4) | instskip(NEXT) | instid1(VALU_DEP_2)
	v_dual_cndmask_b32 v7, v62, v7, vcc_lo :: v_dual_cndmask_b32 v5, v45, v5, vcc_lo
	v_add_nc_u32_e32 v4, v44, v4
	ds_bpermute_b32 v7, v65, v7
	v_and_b32_e32 v45, 0xff, v5
	ds_bpermute_b32 v44, v65, v4
	v_cmp_eq_u16_e32 vcc_lo, 0, v45
	v_and_b32_e32 v62, 1, v5
	s_wait_dscnt 0x0
	v_dual_cndmask_b32 v44, 0, v44, vcc_lo :: v_dual_bitop2_b32 v7, 1, v7 bitop3:0x40
	s_delay_alu instid0(VALU_DEP_2) | instskip(NEXT) | instid1(VALU_DEP_2)
	v_cmp_eq_u32_e32 vcc_lo, 1, v62
	v_cndmask_b32_e64 v7, v7, 1, vcc_lo
	v_cmp_gt_u32_e32 vcc_lo, v66, v43
	s_delay_alu instid0(VALU_DEP_2) | instskip(SKIP_1) | instid1(VALU_DEP_1)
	v_dual_mov_b32 v43, 0 :: v_dual_cndmask_b32 v5, v7, v5, vcc_lo
	v_cndmask_b32_e64 v7, v44, 0, vcc_lo
	v_add_nc_u32_e32 v4, v7, v4
	s_branch .LBB1042_125
.LBB1042_122:                           ;   in Loop: Header=BB1042_125 Depth=1
	s_or_b32 exec_lo, exec_lo, s38
	v_and_b32_e32 v5, 0xff, v5
.LBB1042_123:                           ;   in Loop: Header=BB1042_125 Depth=1
	s_or_b32 exec_lo, exec_lo, s17
	ds_bpermute_b32 v7, v52, v5
	v_and_b32_e32 v44, 0xff, v6
	v_cmp_gt_u64_e64 s17, s[36:37], v[4:5]
	v_subrev_nc_u32_e32 v42, 32, v42
	s_delay_alu instid0(VALU_DEP_3) | instskip(SKIP_2) | instid1(VALU_DEP_2)
	v_cmp_eq_u16_e32 vcc_lo, 2, v44
	v_and_b32_e32 v44, 1, v5
	v_and_or_b32 v45, vcc_lo, v53, 0x80000000
	v_cmp_eq_u32_e32 vcc_lo, 1, v44
	s_delay_alu instid0(VALU_DEP_2) | instskip(SKIP_3) | instid1(VALU_DEP_1)
	v_ctz_i32_b32_e32 v44, v45
	ds_bpermute_b32 v45, v52, v4
	s_wait_dscnt 0x1
	v_and_b32_e32 v7, 1, v7
	v_cndmask_b32_e64 v7, v7, 1, vcc_lo
	v_cmp_lt_u32_e32 vcc_lo, v1, v44
	s_delay_alu instid0(VALU_DEP_2) | instskip(SKIP_1) | instid1(VALU_DEP_2)
	v_and_b32_e32 v67, 0xffff, v7
	v_cndmask_b32_e32 v7, v5, v7, vcc_lo
	v_cndmask_b32_e32 v67, v5, v67, vcc_lo
	s_and_b32 vcc_lo, vcc_lo, s17
	s_delay_alu instid0(VALU_DEP_2)
	v_and_b32_e32 v69, 0xff, v7
	s_wait_dscnt 0x0
	v_dual_cndmask_b32 v45, 0, v45, vcc_lo :: v_dual_bitop2_b32 v68, 1, v7 bitop3:0x40
	ds_bpermute_b32 v5, v54, v67
	v_cmp_eq_u16_e64 s17, 0, v69
	v_add_nc_u32_e32 v4, v45, v4
	v_cmp_eq_u32_e32 vcc_lo, 1, v68
	ds_bpermute_b32 v45, v54, v4
	s_wait_dscnt 0x1
	v_and_b32_e32 v5, 1, v5
	s_delay_alu instid0(VALU_DEP_1) | instskip(SKIP_3) | instid1(VALU_DEP_3)
	v_cndmask_b32_e64 v5, v5, 1, vcc_lo
	v_cmp_gt_u32_e32 vcc_lo, v55, v44
	s_wait_dscnt 0x0
	v_cndmask_b32_e64 v45, 0, v45, s17
	v_and_b32_e32 v68, 0xffff, v5
	v_cndmask_b32_e32 v5, v5, v7, vcc_lo
	s_delay_alu instid0(VALU_DEP_3) | instskip(NEXT) | instid1(VALU_DEP_2)
	v_cndmask_b32_e64 v45, v45, 0, vcc_lo
	v_dual_cndmask_b32 v7, v68, v67, vcc_lo :: v_dual_bitop2_b32 v68, 1, v5 bitop3:0x40
	s_delay_alu instid0(VALU_DEP_2)
	v_add_nc_u32_e32 v4, v45, v4
	ds_bpermute_b32 v67, v56, v7
	v_cmp_eq_u32_e32 vcc_lo, 1, v68
	v_and_b32_e32 v68, 0xff, v5
	ds_bpermute_b32 v45, v56, v4
	v_cmp_eq_u16_e64 s17, 0, v68
	s_wait_dscnt 0x0
	s_delay_alu instid0(VALU_DEP_1) | instskip(SKIP_1) | instid1(VALU_DEP_1)
	v_dual_cndmask_b32 v45, 0, v45, s17 :: v_dual_bitop2_b32 v67, 1, v67 bitop3:0x40
	s_mov_b32 s17, 0
	v_cndmask_b32_e64 v67, v67, 1, vcc_lo
	v_cmp_gt_u32_e32 vcc_lo, v57, v44
	s_delay_alu instid0(VALU_DEP_2) | instskip(SKIP_2) | instid1(VALU_DEP_2)
	v_and_b32_e32 v69, 0xffff, v67
	v_cndmask_b32_e32 v5, v67, v5, vcc_lo
	v_cndmask_b32_e64 v45, v45, 0, vcc_lo
	v_dual_cndmask_b32 v7, v69, v7, vcc_lo :: v_dual_bitop2_b32 v68, 1, v5 bitop3:0x40
	v_and_b32_e32 v69, 0xff, v5
	ds_bpermute_b32 v67, v58, v7
	v_add_nc_u32_e32 v4, v45, v4
	v_cmp_eq_u32_e32 vcc_lo, 1, v68
	s_wait_dscnt 0x0
	v_and_b32_e32 v67, 1, v67
	ds_bpermute_b32 v45, v58, v4
	v_cndmask_b32_e64 v67, v67, 1, vcc_lo
	v_cmp_eq_u16_e32 vcc_lo, 0, v69
	s_delay_alu instid0(VALU_DEP_2) | instskip(SKIP_3) | instid1(VALU_DEP_3)
	v_and_b32_e32 v68, 0xffff, v67
	s_wait_dscnt 0x0
	v_cndmask_b32_e32 v45, 0, v45, vcc_lo
	v_cmp_gt_u32_e32 vcc_lo, v63, v44
	v_cndmask_b32_e32 v7, v68, v7, vcc_lo
	s_delay_alu instid0(VALU_DEP_3)
	v_cndmask_b32_e64 v45, v45, 0, vcc_lo
	v_cndmask_b32_e32 v5, v67, v5, vcc_lo
	ds_bpermute_b32 v7, v65, v7
	v_dual_add_nc_u32 v4, v45, v4 :: v_dual_bitop2_b32 v67, 1, v5 bitop3:0x40
	v_and_b32_e32 v68, 0xff, v5
	ds_bpermute_b32 v45, v65, v4
	v_cmp_eq_u32_e32 vcc_lo, 1, v67
	s_wait_dscnt 0x1
	v_cndmask_b32_e64 v7, v7, 1, vcc_lo
	v_cmp_eq_u16_e32 vcc_lo, 0, v68
	s_wait_dscnt 0x0
	v_cndmask_b32_e32 v45, 0, v45, vcc_lo
	v_cmp_gt_u32_e32 vcc_lo, v66, v44
	v_and_b32_e32 v44, 0xff, v62
	v_cndmask_b32_e32 v5, v7, v5, vcc_lo
	s_delay_alu instid0(VALU_DEP_4) | instskip(NEXT) | instid1(VALU_DEP_3)
	v_cndmask_b32_e64 v7, v45, 0, vcc_lo
	v_cmp_eq_u16_e32 vcc_lo, 0, v44
	s_delay_alu instid0(VALU_DEP_2) | instskip(NEXT) | instid1(VALU_DEP_1)
	v_dual_add_nc_u32 v4, v7, v4 :: v_dual_bitop2_b32 v7, 1, v62 bitop3:0x40
	v_dual_cndmask_b32 v4, 0, v4, vcc_lo :: v_dual_bitop2_b32 v5, 1, v5 bitop3:0x40
	s_delay_alu instid0(VALU_DEP_2) | instskip(NEXT) | instid1(VALU_DEP_2)
	v_cmp_eq_u32_e32 vcc_lo, 1, v7
	v_add_nc_u32_e32 v4, v4, v64
	s_delay_alu instid0(VALU_DEP_3)
	v_cndmask_b32_e64 v5, v5, 1, vcc_lo
.LBB1042_124:                           ;   in Loop: Header=BB1042_125 Depth=1
	s_and_b32 vcc_lo, exec_lo, s17
	s_cbranch_vccnz .LBB1042_210
.LBB1042_125:                           ; =>This Loop Header: Depth=1
                                        ;     Child Loop BB1042_128 Depth 2
	v_and_b32_e32 v6, 0xff, v6
	s_delay_alu instid0(VALU_DEP_2) | instskip(SKIP_1) | instid1(VALU_DEP_2)
	v_dual_mov_b32 v62, v5 :: v_dual_mov_b32 v64, v4
	s_mov_b32 s17, -1
                                        ; implicit-def: $vgpr5
                                        ; implicit-def: $vgpr4
	v_cmp_ne_u16_e32 vcc_lo, 2, v6
                                        ; implicit-def: $vgpr6
	s_cmp_lg_u32 vcc_lo, exec_lo
	s_cbranch_scc1 .LBB1042_124
; %bb.126:                              ;   in Loop: Header=BB1042_125 Depth=1
	v_lshl_add_u64 v[44:45], v[42:43], 4, s[20:21]
	;;#ASMSTART
	global_load_b128 v[4:7], v[44:45] off scope:SCOPE_DEV	
s_wait_loadcnt 0x0
	;;#ASMEND
	v_and_b32_e32 v7, 0xff, v6
	v_and_b32_e32 v5, 0xff, v5
	s_mov_b32 s17, exec_lo
	s_delay_alu instid0(VALU_DEP_2)
	v_cmpx_eq_u16_e32 0, v7
	s_cbranch_execz .LBB1042_123
; %bb.127:                              ;   in Loop: Header=BB1042_125 Depth=1
	s_mov_b32 s38, 0
.LBB1042_128:                           ;   Parent Loop BB1042_125 Depth=1
                                        ; =>  This Inner Loop Header: Depth=2
	;;#ASMSTART
	global_load_b128 v[4:7], v[44:45] off scope:SCOPE_DEV	
s_wait_loadcnt 0x0
	;;#ASMEND
	v_and_b32_e32 v7, 0xff, v6
	s_delay_alu instid0(VALU_DEP_1) | instskip(SKIP_1) | instid1(SALU_CYCLE_1)
	v_cmp_ne_u16_e32 vcc_lo, 0, v7
	s_or_b32 s38, vcc_lo, s38
	s_and_not1_b32 exec_lo, exec_lo, s38
	s_cbranch_execnz .LBB1042_128
	s_branch .LBB1042_122
.LBB1042_129:
	s_or_b32 exec_lo, exec_lo, s17
                                        ; implicit-def: $vgpr4
	s_and_saveexec_b32 s17, s0
	s_cbranch_execz .LBB1042_41
.LBB1042_130:
	flat_load_i16 v4, v0, s[36:37] offset:512 scale_offset
	s_wait_xcnt 0x0
	s_or_b32 exec_lo, exec_lo, s17
                                        ; implicit-def: $vgpr5
	s_and_saveexec_b32 s0, s1
	s_cbranch_execnz .LBB1042_42
.LBB1042_131:
	s_or_b32 exec_lo, exec_lo, s0
                                        ; implicit-def: $vgpr6
	s_and_saveexec_b32 s0, s2
	s_cbranch_execz .LBB1042_43
.LBB1042_132:
	flat_load_i16 v6, v0, s[36:37] offset:1536 scale_offset
	s_wait_xcnt 0x0
	s_or_b32 exec_lo, exec_lo, s0
                                        ; implicit-def: $vgpr7
	s_and_saveexec_b32 s0, s3
	s_cbranch_execnz .LBB1042_44
.LBB1042_133:
	s_or_b32 exec_lo, exec_lo, s0
                                        ; implicit-def: $vgpr8
	s_and_saveexec_b32 s0, s4
	s_cbranch_execz .LBB1042_45
.LBB1042_134:
	flat_load_i16 v8, v0, s[36:37] offset:2560 scale_offset
	s_wait_xcnt 0x0
	s_or_b32 exec_lo, exec_lo, s0
                                        ; implicit-def: $vgpr9
	s_and_saveexec_b32 s0, s5
	s_cbranch_execnz .LBB1042_46
.LBB1042_135:
	s_or_b32 exec_lo, exec_lo, s0
                                        ; implicit-def: $vgpr12
	s_and_saveexec_b32 s0, s6
	s_cbranch_execz .LBB1042_47
.LBB1042_136:
	flat_load_i16 v12, v0, s[36:37] offset:3584 scale_offset
	s_wait_xcnt 0x0
	s_or_b32 exec_lo, exec_lo, s0
                                        ; implicit-def: $vgpr13
	s_and_saveexec_b32 s0, s7
	s_cbranch_execnz .LBB1042_48
.LBB1042_137:
	s_or_b32 exec_lo, exec_lo, s0
                                        ; implicit-def: $vgpr14
	s_and_saveexec_b32 s0, s8
	s_cbranch_execz .LBB1042_49
.LBB1042_138:
	flat_load_i16 v14, v0, s[36:37] offset:4608 scale_offset
	s_wait_xcnt 0x0
	s_or_b32 exec_lo, exec_lo, s0
                                        ; implicit-def: $vgpr15
	s_and_saveexec_b32 s0, s9
	s_cbranch_execnz .LBB1042_50
.LBB1042_139:
	s_or_b32 exec_lo, exec_lo, s0
                                        ; implicit-def: $vgpr16
	s_and_saveexec_b32 s0, s10
	s_cbranch_execz .LBB1042_51
.LBB1042_140:
	flat_load_i16 v16, v0, s[36:37] offset:5632 scale_offset
	s_wait_xcnt 0x0
	s_or_b32 exec_lo, exec_lo, s0
                                        ; implicit-def: $vgpr17
	s_and_saveexec_b32 s0, s11
	s_cbranch_execnz .LBB1042_52
.LBB1042_141:
	s_or_b32 exec_lo, exec_lo, s0
                                        ; implicit-def: $vgpr18
	s_and_saveexec_b32 s0, s12
	s_cbranch_execz .LBB1042_53
.LBB1042_142:
	flat_load_i16 v18, v0, s[36:37] offset:6656 scale_offset
	s_wait_xcnt 0x0
	s_or_b32 exec_lo, exec_lo, s0
                                        ; implicit-def: $vgpr19
	s_and_saveexec_b32 s0, s13
	s_cbranch_execnz .LBB1042_54
.LBB1042_143:
	s_or_b32 exec_lo, exec_lo, s0
                                        ; implicit-def: $vgpr20
	s_and_saveexec_b32 s0, s14
	s_cbranch_execz .LBB1042_55
.LBB1042_144:
	flat_load_i16 v20, v0, s[36:37] offset:7680 scale_offset
	s_wait_xcnt 0x0
	s_or_b32 exec_lo, exec_lo, s0
                                        ; implicit-def: $vgpr21
	s_and_saveexec_b32 s0, s15
	s_cbranch_execz .LBB1042_57
	s_branch .LBB1042_56
.LBB1042_145:
                                        ; implicit-def: $vgpr51
                                        ; implicit-def: $vgpr45
                                        ; implicit-def: $vgpr5
                                        ; implicit-def: $vgpr3
                                        ; implicit-def: $vgpr43
                                        ; implicit-def: $vgpr54_vgpr55
                                        ; implicit-def: $vgpr56_vgpr57
                                        ; implicit-def: $vgpr52_vgpr53
                                        ; implicit-def: $vgpr46_vgpr47
                                        ; implicit-def: $vgpr6_vgpr7
	s_cbranch_execnz .LBB1042_215
.LBB1042_146:
	s_add_nc_u64 s[0:1], s[18:19], s[30:31]
	s_and_b32 vcc_lo, exec_lo, s23
	s_add_nc_u64 s[0:1], s[0:1], s[24:25]
	s_cbranch_vccz .LBB1042_230
.LBB1042_147:
	v_mul_u32_u24_e32 v1, 18, v0
	s_add_co_i32 s33, s33, s22
	s_mov_b32 s2, exec_lo
	s_delay_alu instid0(VALU_DEP_1)
	v_cmpx_gt_u32_e64 s33, v1
	s_cbranch_execz .LBB1042_175
; %bb.148:
	v_or_b32_e32 v8, 1, v1
	s_mov_b32 s3, exec_lo
	s_delay_alu instid0(VALU_DEP_1)
	v_cmpx_gt_u32_e64 s33, v8
	s_cbranch_execz .LBB1042_174
; %bb.149:
	v_add_nc_u32_e32 v8, 2, v1
	s_mov_b32 s4, exec_lo
	s_delay_alu instid0(VALU_DEP_1)
	v_cmpx_gt_u32_e64 s33, v8
	s_cbranch_execz .LBB1042_173
; %bb.150:
	v_add_nc_u32_e32 v8, 3, v1
	;; [unrolled: 6-line block ×12, first 2 shown]
	s_mov_b32 s15, exec_lo
	s_delay_alu instid0(VALU_DEP_1)
	v_cmpx_gt_u32_e64 s33, v8
; %bb.161:
	v_add_nc_u32_e32 v8, 14, v1
	s_mov_b32 s16, exec_lo
	s_delay_alu instid0(VALU_DEP_1)
	v_cmpx_gt_u32_e64 s33, v8
	s_or_b32 exec_lo, exec_lo, s16
; %bb.162:
	s_delay_alu instid0(SALU_CYCLE_1)
	s_or_b32 exec_lo, exec_lo, s15
.LBB1042_163:
	s_delay_alu instid0(SALU_CYCLE_1)
	s_or_b32 exec_lo, exec_lo, s14
.LBB1042_164:
	s_delay_alu instid0(SALU_CYCLE_1)
	s_or_b32 exec_lo, exec_lo, s13
.LBB1042_165:
	s_delay_alu instid0(SALU_CYCLE_1)
	s_or_b32 exec_lo, exec_lo, s12
.LBB1042_166:
	s_delay_alu instid0(SALU_CYCLE_1)
	s_or_b32 exec_lo, exec_lo, s11
.LBB1042_167:
	s_delay_alu instid0(SALU_CYCLE_1)
	s_or_b32 exec_lo, exec_lo, s10
.LBB1042_168:
	s_delay_alu instid0(SALU_CYCLE_1)
	s_or_b32 exec_lo, exec_lo, s9
.LBB1042_169:
	s_delay_alu instid0(SALU_CYCLE_1)
	s_or_b32 exec_lo, exec_lo, s8
.LBB1042_170:
	s_delay_alu instid0(SALU_CYCLE_1)
	s_or_b32 exec_lo, exec_lo, s7
.LBB1042_171:
	s_delay_alu instid0(SALU_CYCLE_1)
	s_or_b32 exec_lo, exec_lo, s6
.LBB1042_172:
	s_delay_alu instid0(SALU_CYCLE_1)
	s_or_b32 exec_lo, exec_lo, s5
.LBB1042_173:
	s_delay_alu instid0(SALU_CYCLE_1)
	s_or_b32 exec_lo, exec_lo, s4
.LBB1042_174:
	s_delay_alu instid0(SALU_CYCLE_1)
	s_or_b32 exec_lo, exec_lo, s3
.LBB1042_175:
	s_delay_alu instid0(SALU_CYCLE_1) | instskip(SKIP_3) | instid1(VALU_DEP_1)
	s_or_b32 exec_lo, exec_lo, s2
	v_dual_lshlrev_b32 v1, 2, v1 :: v_dual_mov_b32 v11, 0
	s_barrier_signal -1
	s_barrier_wait -1
	v_mad_i32_i24 v8, 0xffffffbc, v0, v1
	ds_store_2addr_b64 v1, v[56:57], v[42:43] offset1:1
	ds_store_2addr_b64 v1, v[6:7], v[2:3] offset0:2 offset1:3
	ds_store_2addr_b64 v1, v[46:47], v[4:5] offset0:4 offset1:5
	;; [unrolled: 1-line block ×3, first 2 shown]
	ds_store_b64 v1, v[50:51] offset:64
	s_wait_dscnt 0x0
	s_barrier_signal -1
	s_barrier_wait -1
	ds_load_2addr_stride64_b32 v[26:27], v8 offset0:4 offset1:8
	ds_load_2addr_stride64_b32 v[24:25], v8 offset0:12 offset1:16
	;; [unrolled: 1-line block ×8, first 2 shown]
	ds_load_b32 v9, v8 offset:17408
	v_add_nc_u64_e32 v[10:11], s[0:1], v[10:11]
	s_mov_b32 s2, exec_lo
	v_cmpx_gt_u32_e64 s33, v0
	s_cbranch_execz .LBB1042_177
; %bb.176:
	v_mul_i32_i24_e32 v8, 0xffffffbc, v0
	s_delay_alu instid0(VALU_DEP_1)
	v_add_nc_u32_e32 v1, v1, v8
	ds_load_b32 v1, v1
	s_wait_dscnt 0x0
	flat_store_b16 v[10:11], v1
.LBB1042_177:
	s_wait_xcnt 0x0
	s_or_b32 exec_lo, exec_lo, s2
	v_or_b32_e32 v1, 0x100, v0
	s_mov_b32 s2, exec_lo
	s_delay_alu instid0(VALU_DEP_1)
	v_cmpx_gt_u32_e64 s33, v1
	s_cbranch_execz .LBB1042_179
; %bb.178:
	s_wait_dscnt 0x8
	flat_store_b16 v[10:11], v26 offset:512
.LBB1042_179:
	s_wait_xcnt 0x0
	s_or_b32 exec_lo, exec_lo, s2
	v_or_b32_e32 v1, 0x200, v0
	s_mov_b32 s2, exec_lo
	s_delay_alu instid0(VALU_DEP_1)
	v_cmpx_gt_u32_e64 s33, v1
	s_cbranch_execz .LBB1042_181
; %bb.180:
	s_wait_dscnt 0x8
	flat_store_b16 v[10:11], v27 offset:1024
.LBB1042_181:
	;; [unrolled: 11-line block ×16, first 2 shown]
	s_wait_xcnt 0x0
	s_or_b32 exec_lo, exec_lo, s2
	v_or_b32_e32 v1, 0x1100, v0
	s_delay_alu instid0(VALU_DEP_1)
	v_cmp_gt_u32_e64 s2, s33, v1
	s_branch .LBB1042_232
.LBB1042_210:
	s_and_saveexec_b32 s17, s16
	s_cbranch_execz .LBB1042_212
; %bb.211:
	v_and_b32_e32 v4, 0xff, v3
	s_mov_b32 s37, 0
	s_add_co_i32 s36, s34, 32
	v_and_b32_e32 v5, 1, v62
	s_lshl_b64 s[36:37], s[36:37], 4
	v_cmp_eq_u32_e32 vcc_lo, 0, v4
	v_and_b32_e32 v3, 1, v3
	s_add_nc_u64 s[36:37], s[20:21], s[36:37]
	s_delay_alu instid0(SALU_CYCLE_1) | instskip(SKIP_1) | instid1(VALU_DEP_3)
	v_mov_b64_e32 v[6:7], s[36:37]
	v_cndmask_b32_e32 v4, 0, v64, vcc_lo
	v_cmp_eq_u32_e32 vcc_lo, 1, v3
	s_delay_alu instid0(VALU_DEP_2)
	v_dual_add_nc_u32 v2, v4, v2 :: v_dual_mov_b32 v4, 2
	v_cndmask_b32_e64 v3, v5, 1, vcc_lo
	v_mov_b32_e32 v5, 0
	;;#ASMSTART
	global_store_b128 v[6:7], v[2:5] off scope:SCOPE_DEV	
s_wait_storecnt 0x0
	;;#ASMEND
.LBB1042_212:
	s_or_b32 exec_lo, exec_lo, s17
	v_cmp_eq_u32_e32 vcc_lo, 0, v0
	s_and_b32 exec_lo, exec_lo, vcc_lo
	s_cbranch_execz .LBB1042_214
; %bb.213:
	v_mov_b32_e32 v2, 0
	ds_store_b32 v2, v64 offset:56
	ds_store_b8 v2, v62 offset:60
.LBB1042_214:
	s_or_b32 exec_lo, exec_lo, s35
	s_wait_dscnt 0x0
	v_dual_mov_b32 v2, 0 :: v_dual_cndmask_b32 v3, v51, v47, s16
	s_barrier_signal -1
	s_barrier_wait -1
	ds_load_b32 v4, v2 offset:56
	v_and_b32_e32 v3, 0xff, v3
	s_delay_alu instid0(VALU_DEP_1) | instskip(SKIP_3) | instid1(VALU_DEP_2)
	v_cmp_eq_u16_e32 vcc_lo, 0, v3
	s_wait_dscnt 0x0
	v_dual_cndmask_b32 v5, v50, v46, s16 :: v_dual_cndmask_b32 v3, 0, v4, vcc_lo
	v_cmp_eq_u32_e32 vcc_lo, 0, v0
	v_add_nc_u32_e32 v5, v3, v5
	v_and_b32_e32 v3, 0xff, v9
	s_delay_alu instid0(VALU_DEP_2) | instskip(NEXT) | instid1(VALU_DEP_2)
	v_cndmask_b32_e32 v56, v5, v4, vcc_lo
	v_cmp_eq_u64_e32 vcc_lo, 0, v[2:3]
	s_delay_alu instid0(VALU_DEP_2) | instskip(NEXT) | instid1(VALU_DEP_1)
	v_cndmask_b32_e32 v2, 0, v56, vcc_lo
	v_add_nc_u32_e32 v57, v2, v8
	s_delay_alu instid0(VALU_DEP_1) | instskip(NEXT) | instid1(VALU_DEP_1)
	v_cndmask_b32_e64 v2, 0, v57, s0
	v_add_nc_u32_e32 v42, v2, v48
	s_delay_alu instid0(VALU_DEP_1) | instskip(SKIP_1) | instid1(VALU_DEP_2)
	v_cndmask_b32_e64 v2, 0, v42, s1
	v_mov_b64_e32 v[54:55], v[56:57]
	v_add_nc_u32_e32 v43, v2, v40
	s_delay_alu instid0(VALU_DEP_1) | instskip(NEXT) | instid1(VALU_DEP_1)
	v_cndmask_b32_e64 v2, 0, v43, s2
	v_add_nc_u32_e32 v6, v2, v38
	s_delay_alu instid0(VALU_DEP_1) | instskip(NEXT) | instid1(VALU_DEP_1)
	v_cndmask_b32_e64 v2, 0, v6, s3
	v_add_nc_u32_e32 v7, v2, v36
	s_delay_alu instid0(VALU_DEP_1) | instskip(NEXT) | instid1(VALU_DEP_1)
	v_cndmask_b32_e64 v2, 0, v7, s4
	v_add_nc_u32_e32 v2, v2, v34
	s_delay_alu instid0(VALU_DEP_1) | instskip(NEXT) | instid1(VALU_DEP_1)
	v_cndmask_b32_e64 v3, 0, v2, s5
	v_add_nc_u32_e32 v3, v3, v32
	s_delay_alu instid0(VALU_DEP_1) | instskip(NEXT) | instid1(VALU_DEP_1)
	v_cndmask_b32_e64 v4, 0, v3, s6
	v_add_nc_u32_e32 v46, v4, v30
	s_delay_alu instid0(VALU_DEP_1) | instskip(NEXT) | instid1(VALU_DEP_1)
	v_cndmask_b32_e64 v4, 0, v46, s7
	v_add_nc_u32_e32 v47, v4, v28
	s_delay_alu instid0(VALU_DEP_1) | instskip(NEXT) | instid1(VALU_DEP_1)
	v_cndmask_b32_e64 v4, 0, v47, s8
	v_add_nc_u32_e32 v4, v4, v26
	s_delay_alu instid0(VALU_DEP_1) | instskip(NEXT) | instid1(VALU_DEP_1)
	v_cndmask_b32_e64 v5, 0, v4, s9
	v_add_nc_u32_e32 v5, v5, v24
	s_delay_alu instid0(VALU_DEP_1) | instskip(NEXT) | instid1(VALU_DEP_1)
	v_cndmask_b32_e64 v44, 0, v5, s10
	v_add_nc_u32_e32 v52, v44, v22
	s_delay_alu instid0(VALU_DEP_1) | instskip(NEXT) | instid1(VALU_DEP_1)
	v_cndmask_b32_e64 v44, 0, v52, s11
	v_add_nc_u32_e32 v53, v44, v20
	s_delay_alu instid0(VALU_DEP_1) | instskip(NEXT) | instid1(VALU_DEP_1)
	v_cndmask_b32_e64 v44, 0, v53, s12
	v_add_nc_u32_e32 v44, v44, v18
	s_delay_alu instid0(VALU_DEP_1) | instskip(NEXT) | instid1(VALU_DEP_1)
	v_cndmask_b32_e64 v45, 0, v44, s13
	v_add_nc_u32_e32 v45, v45, v16
	s_delay_alu instid0(VALU_DEP_1) | instskip(NEXT) | instid1(VALU_DEP_1)
	v_cndmask_b32_e64 v50, 0, v45, s14
	v_add_nc_u32_e32 v50, v50, v14
	s_delay_alu instid0(VALU_DEP_1) | instskip(NEXT) | instid1(VALU_DEP_1)
	v_cndmask_b32_e64 v51, 0, v50, s15
	v_add_nc_u32_e32 v51, v51, v12
	s_branch .LBB1042_146
.LBB1042_215:
	s_cmp_eq_u64 s[28:29], 0
	v_mov_b32_e32 v58, s40
	s_cselect_b32 s0, -1, 0
	s_cmp_eq_u64 s[26:27], 0
	s_cselect_b32 s1, -1, 0
	s_delay_alu instid0(SALU_CYCLE_1) | instskip(NEXT) | instid1(SALU_CYCLE_1)
	s_or_b32 s0, s0, s1
	s_and_b32 vcc_lo, exec_lo, s0
	s_cbranch_vccnz .LBB1042_217
; %bb.216:
	v_mov_b32_e32 v2, 0
	global_load_b32 v58, v2, s[26:27]
.LBB1042_217:
	s_mov_b64 s[16:17], 0x100000000
	v_or3_b32 v3, v61, v33, v35
	v_cmp_gt_u64_e32 vcc_lo, s[16:17], v[48:49]
	v_cmp_gt_u64_e64 s0, s[16:17], v[40:41]
	v_cmp_gt_u64_e64 s15, s[16:17], v[70:71]
	;; [unrolled: 1-line block ×6, first 2 shown]
	s_wait_xcnt 0x0
	v_cndmask_b32_e32 v2, 0, v8, vcc_lo
	v_cmp_gt_u64_e64 s5, s[16:17], v[30:31]
	v_cmp_gt_u64_e64 s6, s[16:17], v[28:29]
	;; [unrolled: 1-line block ×4, first 2 shown]
	v_add_nc_u32_e32 v2, v2, v48
	v_cmp_gt_u64_e64 s9, s[16:17], v[22:23]
	v_cmp_gt_u64_e64 s10, s[16:17], v[20:21]
	;; [unrolled: 1-line block ×3, first 2 shown]
	v_or3_b32 v4, v60, v17, v19
	v_cndmask_b32_e64 v2, 0, v2, s0
	v_cmp_gt_u64_e64 s12, s[16:17], v[16:17]
	v_or3_b32 v3, v3, v37, v39
	v_cmp_gt_u64_e64 s13, s[16:17], v[14:15]
	v_or3_b32 v4, v4, v21, v23
	v_dual_add_nc_u32 v2, v2, v40 :: v_dual_bitop2_b32 v7, 15, v1 bitop3:0x40
	s_delay_alu instid0(VALU_DEP_4) | instskip(NEXT) | instid1(VALU_DEP_3)
	v_or3_b32 v3, v3, v41, v49
	v_or3_b32 v4, v4, v25, v27
	s_delay_alu instid0(VALU_DEP_3) | instskip(NEXT) | instid1(VALU_DEP_2)
	v_cndmask_b32_e64 v2, 0, v2, s1
	v_or3_b32 v3, v71, v4, v3
	s_delay_alu instid0(VALU_DEP_2) | instskip(NEXT) | instid1(VALU_DEP_2)
	v_add_nc_u32_e32 v2, v2, v38
	v_and_b32_e32 v3, 0xff, v3
	s_delay_alu instid0(VALU_DEP_2) | instskip(NEXT) | instid1(VALU_DEP_1)
	v_cndmask_b32_e64 v2, 0, v2, s2
	v_add_nc_u32_e32 v2, v2, v36
	s_delay_alu instid0(VALU_DEP_1) | instskip(NEXT) | instid1(VALU_DEP_1)
	v_cndmask_b32_e64 v2, 0, v2, s3
	v_add_nc_u32_e32 v2, v2, v34
	s_delay_alu instid0(VALU_DEP_1) | instskip(NEXT) | instid1(VALU_DEP_1)
	;; [unrolled: 3-line block ×11, first 2 shown]
	v_dual_cndmask_b32 v4, 0, v2, s13 :: v_dual_mov_b32 v2, 0
	v_add_nc_u32_e32 v4, v4, v14
	s_delay_alu instid0(VALU_DEP_2) | instskip(NEXT) | instid1(VALU_DEP_1)
	v_cmp_eq_u64_e64 s14, 0, v[2:3]
	v_cndmask_b32_e64 v2, 1, v9, s14
	v_cmp_gt_u64_e64 s14, s[16:17], v[12:13]
	s_delay_alu instid0(VALU_DEP_1) | instskip(SKIP_1) | instid1(VALU_DEP_2)
	v_dual_cndmask_b32 v3, 0, v4, s14 :: v_dual_bitop2_b32 v6, 1, v2 bitop3:0x40
	v_and_b32_e32 v4, 0xff, v2
	v_add_nc_u32_e32 v3, v3, v12
	s_delay_alu instid0(VALU_DEP_2) | instskip(NEXT) | instid1(VALU_DEP_1)
	v_mov_b32_dpp v5, v4 row_shr:1 row_mask:0xf bank_mask:0xf
	v_dual_cndmask_b32 v3, 0, v3, s15 :: v_dual_bitop2_b32 v5, 1, v5 bitop3:0x40
	v_cmp_eq_u32_e64 s15, 1, v6
	s_delay_alu instid0(VALU_DEP_2) | instskip(NEXT) | instid1(VALU_DEP_2)
	v_add_nc_u32_e32 v3, v3, v70
	v_cndmask_b32_e64 v5, v5, 1, s15
	v_cmp_eq_u16_e64 s15, 0, v4
	s_delay_alu instid0(VALU_DEP_3) | instskip(NEXT) | instid1(VALU_DEP_3)
	v_mov_b32_dpp v6, v3 row_shr:1 row_mask:0xf bank_mask:0xf
	v_and_b32_e32 v13, 0xffff, v5
	s_delay_alu instid0(VALU_DEP_2) | instskip(SKIP_1) | instid1(VALU_DEP_1)
	v_cndmask_b32_e64 v6, 0, v6, s15
	v_cmp_eq_u32_e64 s15, 0, v7
	v_cndmask_b32_e64 v4, v13, v4, s15
	v_cndmask_b32_e64 v2, v5, v2, s15
	s_delay_alu instid0(VALU_DEP_4) | instskip(NEXT) | instid1(VALU_DEP_3)
	v_cndmask_b32_e64 v6, v6, 0, s15
	v_mov_b32_dpp v5, v4 row_shr:2 row_mask:0xf bank_mask:0xf
	s_delay_alu instid0(VALU_DEP_2) | instskip(NEXT) | instid1(VALU_DEP_2)
	v_dual_add_nc_u32 v3, v6, v3 :: v_dual_bitop2_b32 v13, 1, v2 bitop3:0x40
	v_and_b32_e32 v5, 1, v5
	s_delay_alu instid0(VALU_DEP_2) | instskip(NEXT) | instid1(VALU_DEP_1)
	v_cmp_eq_u32_e64 s15, 1, v13
	v_cndmask_b32_e64 v5, v5, 1, s15
	v_cmp_lt_u32_e64 s15, 1, v7
	s_delay_alu instid0(VALU_DEP_2) | instskip(NEXT) | instid1(VALU_DEP_2)
	v_and_b32_e32 v13, 0xffff, v5
	v_cndmask_b32_e64 v5, v2, v5, s15
	v_and_b32_e32 v2, 0xff, v2
	s_delay_alu instid0(VALU_DEP_3) | instskip(NEXT) | instid1(VALU_DEP_3)
	v_cndmask_b32_e64 v4, v4, v13, s15
	v_and_b32_e32 v6, 1, v5
	s_delay_alu instid0(VALU_DEP_3)
	v_cmp_eq_u16_e64 s16, 0, v2
	v_mov_b32_dpp v2, v3 row_shr:2 row_mask:0xf bank_mask:0xf
	v_and_b32_e32 v15, 0xff, v5
	v_mov_b32_dpp v13, v4 row_shr:4 row_mask:0xf bank_mask:0xf
	v_cmp_eq_u32_e64 s17, 1, v6
	s_and_b32 s15, s15, s16
	s_delay_alu instid0(SALU_CYCLE_1) | instskip(SKIP_2) | instid1(VALU_DEP_3)
	v_dual_cndmask_b32 v2, 0, v2, s15 :: v_dual_bitop2_b32 v13, 1, v13 bitop3:0x40
	v_cmp_lt_u32_e64 s15, 3, v7
	v_cmp_eq_u16_e64 s16, 0, v15
	v_add_nc_u32_e32 v2, v2, v3
	s_delay_alu instid0(VALU_DEP_4) | instskip(NEXT) | instid1(VALU_DEP_1)
	v_cndmask_b32_e64 v6, v13, 1, s17
	v_and_b32_e32 v13, 0xffff, v6
	v_cndmask_b32_e64 v3, v5, v6, s15
	s_delay_alu instid0(VALU_DEP_4) | instskip(NEXT) | instid1(VALU_DEP_3)
	v_mov_b32_dpp v5, v2 row_shr:4 row_mask:0xf bank_mask:0xf
	v_cndmask_b32_e64 v4, v4, v13, s15
	s_and_b32 s15, s15, s16
	s_delay_alu instid0(VALU_DEP_2) | instid1(SALU_CYCLE_1)
	v_dual_cndmask_b32 v5, 0, v5, s15 :: v_dual_bitop2_b32 v15, 1, v3 bitop3:0x40
	v_and_b32_e32 v13, 0xff, v3
	s_delay_alu instid0(VALU_DEP_3) | instskip(NEXT) | instid1(VALU_DEP_3)
	v_mov_b32_dpp v6, v4 row_shr:8 row_mask:0xf bank_mask:0xf
	v_cmp_eq_u32_e64 s16, 1, v15
	s_delay_alu instid0(VALU_DEP_4) | instskip(NEXT) | instid1(VALU_DEP_4)
	v_add_nc_u32_e32 v2, v5, v2
	v_cmp_eq_u16_e64 s15, 0, v13
	s_delay_alu instid0(VALU_DEP_4) | instskip(SKIP_1) | instid1(VALU_DEP_2)
	v_and_b32_e32 v6, 1, v6
	v_and_b32_e32 v13, 16, v1
	v_cndmask_b32_e64 v5, v6, 1, s16
	v_cmp_lt_u32_e64 s16, 7, v7
	v_mov_b32_dpp v6, v2 row_shr:8 row_mask:0xf bank_mask:0xf
	v_bfe_i32 v7, v1, 4, 1
	s_and_b32 s15, s16, s15
	s_delay_alu instid0(VALU_DEP_2) | instid1(SALU_CYCLE_1)
	v_dual_cndmask_b32 v3, v3, v5, s16 :: v_dual_cndmask_b32 v6, 0, v6, s15
	v_and_b32_e32 v5, 0xffff, v5
	s_delay_alu instid0(VALU_DEP_1) | instskip(NEXT) | instid1(VALU_DEP_3)
	v_dual_add_nc_u32 v2, v6, v2 :: v_dual_cndmask_b32 v4, v4, v5, s16
	v_and_b32_e32 v6, 0xff, v3
	v_cmp_eq_u32_e64 s16, 0, v13
	ds_swizzle_b32 v5, v2 offset:swizzle(BROADCAST,32,15)
	ds_swizzle_b32 v4, v4 offset:swizzle(BROADCAST,32,15)
	v_cmp_eq_u16_e64 s15, 0, v6
	s_wait_dscnt 0x1
	s_delay_alu instid0(VALU_DEP_1) | instskip(SKIP_2) | instid1(VALU_DEP_2)
	v_dual_cndmask_b32 v5, 0, v5, s15 :: v_dual_bitop2_b32 v6, 1, v3 bitop3:0x40
	s_wait_dscnt 0x0
	v_and_b32_e32 v4, 1, v4
	v_cmp_eq_u32_e64 s15, 1, v6
	s_delay_alu instid0(VALU_DEP_3) | instskip(NEXT) | instid1(VALU_DEP_2)
	v_and_b32_e32 v5, v7, v5
	v_cndmask_b32_e64 v6, v4, 1, s15
	s_delay_alu instid0(VALU_DEP_1)
	v_dual_add_nc_u32 v4, v5, v2 :: v_dual_cndmask_b32 v5, v6, v3, s16
	v_lshlrev_b32_e32 v6, 3, v11
	s_mov_b32 s16, exec_lo
	v_cmpx_eq_u32_e64 v0, v59
	s_cbranch_execz .LBB1042_219
; %bb.218:
	ds_store_b32 v6, v4
	ds_store_b8 v6, v5 offset:4
.LBB1042_219:
	s_or_b32 exec_lo, exec_lo, s16
	s_delay_alu instid0(SALU_CYCLE_1)
	s_mov_b32 s17, exec_lo
	s_wait_loadcnt_dscnt 0x0
	s_barrier_signal -1
	s_barrier_wait -1
	v_cmpx_gt_u32_e32 8, v0
	s_cbranch_execz .LBB1042_225
; %bb.220:
	v_dual_lshlrev_b32 v7, 3, v0 :: v_dual_bitop2_b32 v11, 7, v1 bitop3:0x40
	s_mov_b32 s16, exec_lo
	ds_load_b64 v[2:3], v7
	s_wait_dscnt 0x0
	v_and_b32_e32 v13, 0xffffff00, v3
	v_mov_b32_dpp v17, v2 row_shr:1 row_mask:0xf bank_mask:0xf
	v_mov_b32_dpp v19, v3 row_shr:1 row_mask:0xf bank_mask:0xf
	v_mov_b32_e32 v15, v3
	v_cmpx_ne_u32_e32 0, v11
	s_cbranch_execz .LBB1042_222
; %bb.221:
	v_and_b32_e32 v15, 1, v3
	v_and_b32_e32 v19, 1, v19
	;; [unrolled: 1-line block ×3, first 2 shown]
	s_delay_alu instid0(VALU_DEP_3) | instskip(NEXT) | instid1(VALU_DEP_1)
	v_cmp_eq_u32_e64 s15, 1, v15
	v_cndmask_b32_e64 v3, v19, 1, s15
	s_delay_alu instid0(VALU_DEP_3) | instskip(NEXT) | instid1(VALU_DEP_1)
	v_cmp_eq_u16_e64 s15, 0, v21
	v_cndmask_b32_e64 v15, 0, v17, s15
	s_delay_alu instid0(VALU_DEP_3) | instskip(NEXT) | instid1(VALU_DEP_1)
	v_and_b32_e32 v17, 0xffff, v3
	v_dual_add_nc_u32 v2, v15, v2 :: v_dual_bitop2_b32 v15, v13, v17 bitop3:0x54
.LBB1042_222:
	s_or_b32 exec_lo, exec_lo, s16
	s_delay_alu instid0(VALU_DEP_1) | instskip(NEXT) | instid1(VALU_DEP_2)
	v_mov_b32_dpp v17, v2 row_shr:2 row_mask:0xf bank_mask:0xf
	v_mov_b32_dpp v19, v15 row_shr:2 row_mask:0xf bank_mask:0xf
	s_mov_b32 s16, exec_lo
	v_cmpx_lt_u32_e32 1, v11
	s_cbranch_execz .LBB1042_224
; %bb.223:
	v_and_b32_e32 v15, 1, v3
	v_and_b32_e32 v19, 1, v19
	;; [unrolled: 1-line block ×3, first 2 shown]
	s_delay_alu instid0(VALU_DEP_3) | instskip(NEXT) | instid1(VALU_DEP_1)
	v_cmp_eq_u32_e64 s15, 1, v15
	v_cndmask_b32_e64 v3, v19, 1, s15
	s_delay_alu instid0(VALU_DEP_3) | instskip(NEXT) | instid1(VALU_DEP_1)
	v_cmp_eq_u16_e64 s15, 0, v21
	v_cndmask_b32_e64 v15, 0, v17, s15
	s_delay_alu instid0(VALU_DEP_3) | instskip(NEXT) | instid1(VALU_DEP_1)
	v_and_b32_e32 v17, 0xffff, v3
	v_dual_add_nc_u32 v2, v15, v2 :: v_dual_bitop2_b32 v15, v13, v17 bitop3:0x54
.LBB1042_224:
	s_or_b32 exec_lo, exec_lo, s16
	s_delay_alu instid0(VALU_DEP_1) | instskip(SKIP_2) | instid1(VALU_DEP_3)
	v_mov_b32_dpp v13, v15 row_shr:4 row_mask:0xf bank_mask:0xf
	v_and_b32_e32 v17, 1, v3
	v_and_b32_e32 v15, 0xff, v3
	;; [unrolled: 1-line block ×3, first 2 shown]
	s_delay_alu instid0(VALU_DEP_3) | instskip(NEXT) | instid1(VALU_DEP_3)
	v_cmp_eq_u32_e64 s16, 1, v17
	v_cmp_eq_u16_e64 s15, 0, v15
	s_delay_alu instid0(VALU_DEP_2)
	v_cndmask_b32_e64 v13, v13, 1, s16
	v_cmp_lt_u32_e64 s16, 3, v11
	v_mov_b32_dpp v11, v2 row_shr:4 row_mask:0xf bank_mask:0xf
	s_and_b32 s15, s16, s15
	s_delay_alu instid0(VALU_DEP_1) | instid1(SALU_CYCLE_1)
	v_dual_cndmask_b32 v3, v3, v13, s16 :: v_dual_cndmask_b32 v11, 0, v11, s15
	s_delay_alu instid0(VALU_DEP_1)
	v_add_nc_u32_e32 v2, v11, v2
	ds_store_b32 v7, v2
	ds_store_b8 v7, v3 offset:4
.LBB1042_225:
	s_or_b32 exec_lo, exec_lo, s17
	v_mov_b32_e32 v2, v58
	s_mov_b32 s16, exec_lo
	s_wait_dscnt 0x0
	s_barrier_signal -1
	s_barrier_wait -1
	v_cmpx_lt_u32_e32 31, v0
	s_cbranch_execz .LBB1042_227
; %bb.226:
	v_dual_add_nc_u32 v2, -4, v6 :: v_dual_add_nc_u32 v3, -8, v6
	ds_load_u8 v2, v2
	ds_load_b32 v3, v3
	s_wait_dscnt 0x1
	v_cmp_eq_u16_e64 s15, 0, v2
	s_delay_alu instid0(VALU_DEP_1) | instskip(SKIP_1) | instid1(VALU_DEP_1)
	v_cndmask_b32_e64 v2, 0, v58, s15
	s_wait_dscnt 0x0
	v_add_nc_u32_e32 v2, v2, v3
.LBB1042_227:
	s_or_b32 exec_lo, exec_lo, s16
	v_and_b32_e32 v3, 0xff, v5
	v_sub_co_u32 v5, s15, v1, 1
	v_and_b32_e32 v61, 0xff, v9
	v_mov_b32_e32 v60, 0
	s_delay_alu instid0(VALU_DEP_4) | instskip(NEXT) | instid1(VALU_DEP_1)
	v_cmp_eq_u16_e64 s16, 0, v3
	v_cndmask_b32_e64 v3, 0, v2, s16
	v_cmp_gt_i32_e64 s16, 0, v5
	s_delay_alu instid0(VALU_DEP_1) | instskip(SKIP_1) | instid1(VALU_DEP_2)
	v_dual_cndmask_b32 v1, v5, v1, s16 :: v_dual_add_nc_u32 v3, v3, v4
	v_cmp_eq_u64_e64 s16, 0, v[60:61]
	v_lshlrev_b32_e32 v1, 2, v1
	ds_bpermute_b32 v1, v1, v3
	s_wait_dscnt 0x0
	v_cndmask_b32_e64 v56, v1, v2, s15
	v_cmp_eq_u32_e64 s15, 0, v0
	s_delay_alu instid0(VALU_DEP_1) | instskip(NEXT) | instid1(VALU_DEP_1)
	v_cndmask_b32_e64 v1, v56, v58, s15
	v_cndmask_b32_e64 v1, 0, v1, s16
	s_delay_alu instid0(VALU_DEP_1) | instskip(NEXT) | instid1(VALU_DEP_1)
	v_add_nc_u32_e32 v57, v1, v8
	v_cndmask_b32_e32 v1, 0, v57, vcc_lo
	s_delay_alu instid0(VALU_DEP_1) | instskip(NEXT) | instid1(VALU_DEP_1)
	v_add_nc_u32_e32 v42, v1, v48
	v_cndmask_b32_e64 v1, 0, v42, s0
	v_mov_b64_e32 v[54:55], v[56:57]
	s_delay_alu instid0(VALU_DEP_2) | instskip(NEXT) | instid1(VALU_DEP_1)
	v_add_nc_u32_e32 v43, v1, v40
	v_cndmask_b32_e64 v1, 0, v43, s1
	s_delay_alu instid0(VALU_DEP_1) | instskip(NEXT) | instid1(VALU_DEP_1)
	v_add_nc_u32_e32 v6, v1, v38
	v_cndmask_b32_e64 v1, 0, v6, s2
	s_delay_alu instid0(VALU_DEP_1) | instskip(NEXT) | instid1(VALU_DEP_1)
	;; [unrolled: 3-line block ×13, first 2 shown]
	v_add_nc_u32_e32 v50, v1, v14
	v_cndmask_b32_e64 v1, 0, v50, s14
	s_delay_alu instid0(VALU_DEP_1)
	v_add_nc_u32_e32 v51, v1, v12
	s_and_saveexec_b32 s0, s15
	s_cbranch_execz .LBB1042_229
; %bb.228:
	ds_load_u8 v1, v60 offset:60
	ds_load_b32 v11, v60 offset:56
	v_mov_b32_e32 v9, v60
	s_add_nc_u64 s[2:3], s[20:21], 0x200
	v_dual_mov_b32 v14, 2 :: v_dual_mov_b32 v15, v60
	v_mov_b32_e32 v56, v58
	s_wait_dscnt 0x1
	v_and_b32_e32 v8, 0xffff, v1
	s_delay_alu instid0(VALU_DEP_1) | instskip(SKIP_1) | instid1(VALU_DEP_2)
	v_dual_mov_b32 v59, v57 :: v_dual_mov_b32 v13, v8
	v_cmp_eq_u64_e32 vcc_lo, 0, v[8:9]
	v_mov_b64_e32 v[54:55], v[58:59]
	v_mov_b64_e32 v[8:9], s[2:3]
	v_cndmask_b32_e32 v1, 0, v58, vcc_lo
	s_wait_dscnt 0x0
	s_delay_alu instid0(VALU_DEP_1)
	v_add_nc_u32_e32 v12, v1, v11
	;;#ASMSTART
	global_store_b128 v[8:9], v[12:15] off scope:SCOPE_DEV	
s_wait_storecnt 0x0
	;;#ASMEND
.LBB1042_229:
	s_or_b32 exec_lo, exec_lo, s0
	s_add_nc_u64 s[0:1], s[18:19], s[30:31]
	s_and_b32 vcc_lo, exec_lo, s23
	s_add_nc_u64 s[0:1], s[0:1], s[24:25]
	s_cbranch_vccnz .LBB1042_147
.LBB1042_230:
	s_mov_b32 s2, 0
                                        ; implicit-def: $vgpr9
	s_cbranch_execz .LBB1042_232
; %bb.231:
	v_mul_u32_u24_e32 v1, 0x48, v0
	v_mul_i32_i24_e32 v8, 0xffffffbc, v0
	s_wait_storecnt_dscnt 0x0
	s_barrier_signal -1
	s_barrier_wait -1
	ds_store_2addr_b64 v1, v[54:55], v[42:43] offset1:1
	ds_store_2addr_b64 v1, v[6:7], v[2:3] offset0:2 offset1:3
	ds_store_2addr_b64 v1, v[46:47], v[4:5] offset0:4 offset1:5
	;; [unrolled: 1-line block ×3, first 2 shown]
	ds_store_b64 v1, v[50:51] offset:64
	v_mad_u32_u24 v1, 0x48, v0, v8
	s_wait_dscnt 0x0
	s_barrier_signal -1
	s_barrier_wait -1
	ds_load_2addr_stride64_b32 v[2:3], v1 offset1:4
	ds_load_2addr_stride64_b32 v[4:5], v1 offset0:8 offset1:12
	ds_load_2addr_stride64_b32 v[6:7], v1 offset0:16 offset1:20
	;; [unrolled: 1-line block ×8, first 2 shown]
	s_or_b32 s2, s2, exec_lo
	s_wait_dscnt 0x8
	s_clause 0x1
	flat_store_b16 v0, v2, s[0:1] scale_offset
	flat_store_b16 v0, v3, s[0:1] offset:512 scale_offset
	s_wait_dscnt 0x9
	s_clause 0x1
	flat_store_b16 v0, v4, s[0:1] offset:1024 scale_offset
	flat_store_b16 v0, v5, s[0:1] offset:1536 scale_offset
	s_wait_dscnt 0xa
	s_clause 0x1
	flat_store_b16 v0, v6, s[0:1] offset:2048 scale_offset
	;; [unrolled: 4-line block ×7, first 2 shown]
	flat_store_b16 v0, v19, s[0:1] offset:7680 scale_offset
	s_wait_dscnt 0x10
	flat_store_b16 v0, v8, s[0:1] offset:8192 scale_offset
.LBB1042_232:
	s_wait_xcnt 0x0
	s_delay_alu instid0(VALU_DEP_1)
	s_and_saveexec_b32 s3, s2
	s_cbranch_execz .LBB1042_234
; %bb.233:
	s_wait_dscnt 0x0
	flat_store_b16 v0, v9, s[0:1] offset:8704 scale_offset
	s_sendmsg sendmsg(MSG_DEALLOC_VGPRS)
	s_endpgm
.LBB1042_234:
	s_sendmsg sendmsg(MSG_DEALLOC_VGPRS)
	s_endpgm
	.section	.rodata,"a",@progbits
	.p2align	6, 0x0
	.amdhsa_kernel _ZN7rocprim17ROCPRIM_400000_NS6detail17trampoline_kernelINS0_14default_configENS1_27scan_by_key_config_selectorIsiEEZZNS1_16scan_by_key_implILNS1_25lookback_scan_determinismE0ELb1ES3_N6thrust23THRUST_200600_302600_NS6detail15normal_iteratorINS9_10device_ptrIsEEEESE_SE_iNS9_4plusIvEENS9_8equal_toIvEEiEE10hipError_tPvRmT2_T3_T4_T5_mT6_T7_P12ihipStream_tbENKUlT_T0_E_clISt17integral_constantIbLb0EESZ_EEDaSU_SV_EUlSU_E_NS1_11comp_targetILNS1_3genE0ELNS1_11target_archE4294967295ELNS1_3gpuE0ELNS1_3repE0EEENS1_30default_config_static_selectorELNS0_4arch9wavefront6targetE0EEEvT1_
		.amdhsa_group_segment_fixed_size 18432
		.amdhsa_private_segment_fixed_size 0
		.amdhsa_kernarg_size 112
		.amdhsa_user_sgpr_count 2
		.amdhsa_user_sgpr_dispatch_ptr 0
		.amdhsa_user_sgpr_queue_ptr 0
		.amdhsa_user_sgpr_kernarg_segment_ptr 1
		.amdhsa_user_sgpr_dispatch_id 0
		.amdhsa_user_sgpr_kernarg_preload_length 0
		.amdhsa_user_sgpr_kernarg_preload_offset 0
		.amdhsa_user_sgpr_private_segment_size 0
		.amdhsa_wavefront_size32 1
		.amdhsa_uses_dynamic_stack 0
		.amdhsa_enable_private_segment 0
		.amdhsa_system_sgpr_workgroup_id_x 1
		.amdhsa_system_sgpr_workgroup_id_y 0
		.amdhsa_system_sgpr_workgroup_id_z 0
		.amdhsa_system_sgpr_workgroup_info 0
		.amdhsa_system_vgpr_workitem_id 0
		.amdhsa_next_free_vgpr 80
		.amdhsa_next_free_sgpr 43
		.amdhsa_named_barrier_count 0
		.amdhsa_reserve_vcc 1
		.amdhsa_float_round_mode_32 0
		.amdhsa_float_round_mode_16_64 0
		.amdhsa_float_denorm_mode_32 3
		.amdhsa_float_denorm_mode_16_64 3
		.amdhsa_fp16_overflow 0
		.amdhsa_memory_ordered 1
		.amdhsa_forward_progress 1
		.amdhsa_inst_pref_size 113
		.amdhsa_round_robin_scheduling 0
		.amdhsa_exception_fp_ieee_invalid_op 0
		.amdhsa_exception_fp_denorm_src 0
		.amdhsa_exception_fp_ieee_div_zero 0
		.amdhsa_exception_fp_ieee_overflow 0
		.amdhsa_exception_fp_ieee_underflow 0
		.amdhsa_exception_fp_ieee_inexact 0
		.amdhsa_exception_int_div_zero 0
	.end_amdhsa_kernel
	.section	.text._ZN7rocprim17ROCPRIM_400000_NS6detail17trampoline_kernelINS0_14default_configENS1_27scan_by_key_config_selectorIsiEEZZNS1_16scan_by_key_implILNS1_25lookback_scan_determinismE0ELb1ES3_N6thrust23THRUST_200600_302600_NS6detail15normal_iteratorINS9_10device_ptrIsEEEESE_SE_iNS9_4plusIvEENS9_8equal_toIvEEiEE10hipError_tPvRmT2_T3_T4_T5_mT6_T7_P12ihipStream_tbENKUlT_T0_E_clISt17integral_constantIbLb0EESZ_EEDaSU_SV_EUlSU_E_NS1_11comp_targetILNS1_3genE0ELNS1_11target_archE4294967295ELNS1_3gpuE0ELNS1_3repE0EEENS1_30default_config_static_selectorELNS0_4arch9wavefront6targetE0EEEvT1_,"axG",@progbits,_ZN7rocprim17ROCPRIM_400000_NS6detail17trampoline_kernelINS0_14default_configENS1_27scan_by_key_config_selectorIsiEEZZNS1_16scan_by_key_implILNS1_25lookback_scan_determinismE0ELb1ES3_N6thrust23THRUST_200600_302600_NS6detail15normal_iteratorINS9_10device_ptrIsEEEESE_SE_iNS9_4plusIvEENS9_8equal_toIvEEiEE10hipError_tPvRmT2_T3_T4_T5_mT6_T7_P12ihipStream_tbENKUlT_T0_E_clISt17integral_constantIbLb0EESZ_EEDaSU_SV_EUlSU_E_NS1_11comp_targetILNS1_3genE0ELNS1_11target_archE4294967295ELNS1_3gpuE0ELNS1_3repE0EEENS1_30default_config_static_selectorELNS0_4arch9wavefront6targetE0EEEvT1_,comdat
.Lfunc_end1042:
	.size	_ZN7rocprim17ROCPRIM_400000_NS6detail17trampoline_kernelINS0_14default_configENS1_27scan_by_key_config_selectorIsiEEZZNS1_16scan_by_key_implILNS1_25lookback_scan_determinismE0ELb1ES3_N6thrust23THRUST_200600_302600_NS6detail15normal_iteratorINS9_10device_ptrIsEEEESE_SE_iNS9_4plusIvEENS9_8equal_toIvEEiEE10hipError_tPvRmT2_T3_T4_T5_mT6_T7_P12ihipStream_tbENKUlT_T0_E_clISt17integral_constantIbLb0EESZ_EEDaSU_SV_EUlSU_E_NS1_11comp_targetILNS1_3genE0ELNS1_11target_archE4294967295ELNS1_3gpuE0ELNS1_3repE0EEENS1_30default_config_static_selectorELNS0_4arch9wavefront6targetE0EEEvT1_, .Lfunc_end1042-_ZN7rocprim17ROCPRIM_400000_NS6detail17trampoline_kernelINS0_14default_configENS1_27scan_by_key_config_selectorIsiEEZZNS1_16scan_by_key_implILNS1_25lookback_scan_determinismE0ELb1ES3_N6thrust23THRUST_200600_302600_NS6detail15normal_iteratorINS9_10device_ptrIsEEEESE_SE_iNS9_4plusIvEENS9_8equal_toIvEEiEE10hipError_tPvRmT2_T3_T4_T5_mT6_T7_P12ihipStream_tbENKUlT_T0_E_clISt17integral_constantIbLb0EESZ_EEDaSU_SV_EUlSU_E_NS1_11comp_targetILNS1_3genE0ELNS1_11target_archE4294967295ELNS1_3gpuE0ELNS1_3repE0EEENS1_30default_config_static_selectorELNS0_4arch9wavefront6targetE0EEEvT1_
                                        ; -- End function
	.set _ZN7rocprim17ROCPRIM_400000_NS6detail17trampoline_kernelINS0_14default_configENS1_27scan_by_key_config_selectorIsiEEZZNS1_16scan_by_key_implILNS1_25lookback_scan_determinismE0ELb1ES3_N6thrust23THRUST_200600_302600_NS6detail15normal_iteratorINS9_10device_ptrIsEEEESE_SE_iNS9_4plusIvEENS9_8equal_toIvEEiEE10hipError_tPvRmT2_T3_T4_T5_mT6_T7_P12ihipStream_tbENKUlT_T0_E_clISt17integral_constantIbLb0EESZ_EEDaSU_SV_EUlSU_E_NS1_11comp_targetILNS1_3genE0ELNS1_11target_archE4294967295ELNS1_3gpuE0ELNS1_3repE0EEENS1_30default_config_static_selectorELNS0_4arch9wavefront6targetE0EEEvT1_.num_vgpr, 80
	.set _ZN7rocprim17ROCPRIM_400000_NS6detail17trampoline_kernelINS0_14default_configENS1_27scan_by_key_config_selectorIsiEEZZNS1_16scan_by_key_implILNS1_25lookback_scan_determinismE0ELb1ES3_N6thrust23THRUST_200600_302600_NS6detail15normal_iteratorINS9_10device_ptrIsEEEESE_SE_iNS9_4plusIvEENS9_8equal_toIvEEiEE10hipError_tPvRmT2_T3_T4_T5_mT6_T7_P12ihipStream_tbENKUlT_T0_E_clISt17integral_constantIbLb0EESZ_EEDaSU_SV_EUlSU_E_NS1_11comp_targetILNS1_3genE0ELNS1_11target_archE4294967295ELNS1_3gpuE0ELNS1_3repE0EEENS1_30default_config_static_selectorELNS0_4arch9wavefront6targetE0EEEvT1_.num_agpr, 0
	.set _ZN7rocprim17ROCPRIM_400000_NS6detail17trampoline_kernelINS0_14default_configENS1_27scan_by_key_config_selectorIsiEEZZNS1_16scan_by_key_implILNS1_25lookback_scan_determinismE0ELb1ES3_N6thrust23THRUST_200600_302600_NS6detail15normal_iteratorINS9_10device_ptrIsEEEESE_SE_iNS9_4plusIvEENS9_8equal_toIvEEiEE10hipError_tPvRmT2_T3_T4_T5_mT6_T7_P12ihipStream_tbENKUlT_T0_E_clISt17integral_constantIbLb0EESZ_EEDaSU_SV_EUlSU_E_NS1_11comp_targetILNS1_3genE0ELNS1_11target_archE4294967295ELNS1_3gpuE0ELNS1_3repE0EEENS1_30default_config_static_selectorELNS0_4arch9wavefront6targetE0EEEvT1_.numbered_sgpr, 43
	.set _ZN7rocprim17ROCPRIM_400000_NS6detail17trampoline_kernelINS0_14default_configENS1_27scan_by_key_config_selectorIsiEEZZNS1_16scan_by_key_implILNS1_25lookback_scan_determinismE0ELb1ES3_N6thrust23THRUST_200600_302600_NS6detail15normal_iteratorINS9_10device_ptrIsEEEESE_SE_iNS9_4plusIvEENS9_8equal_toIvEEiEE10hipError_tPvRmT2_T3_T4_T5_mT6_T7_P12ihipStream_tbENKUlT_T0_E_clISt17integral_constantIbLb0EESZ_EEDaSU_SV_EUlSU_E_NS1_11comp_targetILNS1_3genE0ELNS1_11target_archE4294967295ELNS1_3gpuE0ELNS1_3repE0EEENS1_30default_config_static_selectorELNS0_4arch9wavefront6targetE0EEEvT1_.num_named_barrier, 0
	.set _ZN7rocprim17ROCPRIM_400000_NS6detail17trampoline_kernelINS0_14default_configENS1_27scan_by_key_config_selectorIsiEEZZNS1_16scan_by_key_implILNS1_25lookback_scan_determinismE0ELb1ES3_N6thrust23THRUST_200600_302600_NS6detail15normal_iteratorINS9_10device_ptrIsEEEESE_SE_iNS9_4plusIvEENS9_8equal_toIvEEiEE10hipError_tPvRmT2_T3_T4_T5_mT6_T7_P12ihipStream_tbENKUlT_T0_E_clISt17integral_constantIbLb0EESZ_EEDaSU_SV_EUlSU_E_NS1_11comp_targetILNS1_3genE0ELNS1_11target_archE4294967295ELNS1_3gpuE0ELNS1_3repE0EEENS1_30default_config_static_selectorELNS0_4arch9wavefront6targetE0EEEvT1_.private_seg_size, 0
	.set _ZN7rocprim17ROCPRIM_400000_NS6detail17trampoline_kernelINS0_14default_configENS1_27scan_by_key_config_selectorIsiEEZZNS1_16scan_by_key_implILNS1_25lookback_scan_determinismE0ELb1ES3_N6thrust23THRUST_200600_302600_NS6detail15normal_iteratorINS9_10device_ptrIsEEEESE_SE_iNS9_4plusIvEENS9_8equal_toIvEEiEE10hipError_tPvRmT2_T3_T4_T5_mT6_T7_P12ihipStream_tbENKUlT_T0_E_clISt17integral_constantIbLb0EESZ_EEDaSU_SV_EUlSU_E_NS1_11comp_targetILNS1_3genE0ELNS1_11target_archE4294967295ELNS1_3gpuE0ELNS1_3repE0EEENS1_30default_config_static_selectorELNS0_4arch9wavefront6targetE0EEEvT1_.uses_vcc, 1
	.set _ZN7rocprim17ROCPRIM_400000_NS6detail17trampoline_kernelINS0_14default_configENS1_27scan_by_key_config_selectorIsiEEZZNS1_16scan_by_key_implILNS1_25lookback_scan_determinismE0ELb1ES3_N6thrust23THRUST_200600_302600_NS6detail15normal_iteratorINS9_10device_ptrIsEEEESE_SE_iNS9_4plusIvEENS9_8equal_toIvEEiEE10hipError_tPvRmT2_T3_T4_T5_mT6_T7_P12ihipStream_tbENKUlT_T0_E_clISt17integral_constantIbLb0EESZ_EEDaSU_SV_EUlSU_E_NS1_11comp_targetILNS1_3genE0ELNS1_11target_archE4294967295ELNS1_3gpuE0ELNS1_3repE0EEENS1_30default_config_static_selectorELNS0_4arch9wavefront6targetE0EEEvT1_.uses_flat_scratch, 1
	.set _ZN7rocprim17ROCPRIM_400000_NS6detail17trampoline_kernelINS0_14default_configENS1_27scan_by_key_config_selectorIsiEEZZNS1_16scan_by_key_implILNS1_25lookback_scan_determinismE0ELb1ES3_N6thrust23THRUST_200600_302600_NS6detail15normal_iteratorINS9_10device_ptrIsEEEESE_SE_iNS9_4plusIvEENS9_8equal_toIvEEiEE10hipError_tPvRmT2_T3_T4_T5_mT6_T7_P12ihipStream_tbENKUlT_T0_E_clISt17integral_constantIbLb0EESZ_EEDaSU_SV_EUlSU_E_NS1_11comp_targetILNS1_3genE0ELNS1_11target_archE4294967295ELNS1_3gpuE0ELNS1_3repE0EEENS1_30default_config_static_selectorELNS0_4arch9wavefront6targetE0EEEvT1_.has_dyn_sized_stack, 0
	.set _ZN7rocprim17ROCPRIM_400000_NS6detail17trampoline_kernelINS0_14default_configENS1_27scan_by_key_config_selectorIsiEEZZNS1_16scan_by_key_implILNS1_25lookback_scan_determinismE0ELb1ES3_N6thrust23THRUST_200600_302600_NS6detail15normal_iteratorINS9_10device_ptrIsEEEESE_SE_iNS9_4plusIvEENS9_8equal_toIvEEiEE10hipError_tPvRmT2_T3_T4_T5_mT6_T7_P12ihipStream_tbENKUlT_T0_E_clISt17integral_constantIbLb0EESZ_EEDaSU_SV_EUlSU_E_NS1_11comp_targetILNS1_3genE0ELNS1_11target_archE4294967295ELNS1_3gpuE0ELNS1_3repE0EEENS1_30default_config_static_selectorELNS0_4arch9wavefront6targetE0EEEvT1_.has_recursion, 0
	.set _ZN7rocprim17ROCPRIM_400000_NS6detail17trampoline_kernelINS0_14default_configENS1_27scan_by_key_config_selectorIsiEEZZNS1_16scan_by_key_implILNS1_25lookback_scan_determinismE0ELb1ES3_N6thrust23THRUST_200600_302600_NS6detail15normal_iteratorINS9_10device_ptrIsEEEESE_SE_iNS9_4plusIvEENS9_8equal_toIvEEiEE10hipError_tPvRmT2_T3_T4_T5_mT6_T7_P12ihipStream_tbENKUlT_T0_E_clISt17integral_constantIbLb0EESZ_EEDaSU_SV_EUlSU_E_NS1_11comp_targetILNS1_3genE0ELNS1_11target_archE4294967295ELNS1_3gpuE0ELNS1_3repE0EEENS1_30default_config_static_selectorELNS0_4arch9wavefront6targetE0EEEvT1_.has_indirect_call, 0
	.section	.AMDGPU.csdata,"",@progbits
; Kernel info:
; codeLenInByte = 14448
; TotalNumSgprs: 45
; NumVgprs: 80
; ScratchSize: 0
; MemoryBound: 0
; FloatMode: 240
; IeeeMode: 1
; LDSByteSize: 18432 bytes/workgroup (compile time only)
; SGPRBlocks: 0
; VGPRBlocks: 4
; NumSGPRsForWavesPerEU: 45
; NumVGPRsForWavesPerEU: 80
; NamedBarCnt: 0
; Occupancy: 12
; WaveLimiterHint : 1
; COMPUTE_PGM_RSRC2:SCRATCH_EN: 0
; COMPUTE_PGM_RSRC2:USER_SGPR: 2
; COMPUTE_PGM_RSRC2:TRAP_HANDLER: 0
; COMPUTE_PGM_RSRC2:TGID_X_EN: 1
; COMPUTE_PGM_RSRC2:TGID_Y_EN: 0
; COMPUTE_PGM_RSRC2:TGID_Z_EN: 0
; COMPUTE_PGM_RSRC2:TIDIG_COMP_CNT: 0
	.section	.text._ZN7rocprim17ROCPRIM_400000_NS6detail17trampoline_kernelINS0_14default_configENS1_27scan_by_key_config_selectorIsiEEZZNS1_16scan_by_key_implILNS1_25lookback_scan_determinismE0ELb1ES3_N6thrust23THRUST_200600_302600_NS6detail15normal_iteratorINS9_10device_ptrIsEEEESE_SE_iNS9_4plusIvEENS9_8equal_toIvEEiEE10hipError_tPvRmT2_T3_T4_T5_mT6_T7_P12ihipStream_tbENKUlT_T0_E_clISt17integral_constantIbLb0EESZ_EEDaSU_SV_EUlSU_E_NS1_11comp_targetILNS1_3genE10ELNS1_11target_archE1201ELNS1_3gpuE5ELNS1_3repE0EEENS1_30default_config_static_selectorELNS0_4arch9wavefront6targetE0EEEvT1_,"axG",@progbits,_ZN7rocprim17ROCPRIM_400000_NS6detail17trampoline_kernelINS0_14default_configENS1_27scan_by_key_config_selectorIsiEEZZNS1_16scan_by_key_implILNS1_25lookback_scan_determinismE0ELb1ES3_N6thrust23THRUST_200600_302600_NS6detail15normal_iteratorINS9_10device_ptrIsEEEESE_SE_iNS9_4plusIvEENS9_8equal_toIvEEiEE10hipError_tPvRmT2_T3_T4_T5_mT6_T7_P12ihipStream_tbENKUlT_T0_E_clISt17integral_constantIbLb0EESZ_EEDaSU_SV_EUlSU_E_NS1_11comp_targetILNS1_3genE10ELNS1_11target_archE1201ELNS1_3gpuE5ELNS1_3repE0EEENS1_30default_config_static_selectorELNS0_4arch9wavefront6targetE0EEEvT1_,comdat
	.protected	_ZN7rocprim17ROCPRIM_400000_NS6detail17trampoline_kernelINS0_14default_configENS1_27scan_by_key_config_selectorIsiEEZZNS1_16scan_by_key_implILNS1_25lookback_scan_determinismE0ELb1ES3_N6thrust23THRUST_200600_302600_NS6detail15normal_iteratorINS9_10device_ptrIsEEEESE_SE_iNS9_4plusIvEENS9_8equal_toIvEEiEE10hipError_tPvRmT2_T3_T4_T5_mT6_T7_P12ihipStream_tbENKUlT_T0_E_clISt17integral_constantIbLb0EESZ_EEDaSU_SV_EUlSU_E_NS1_11comp_targetILNS1_3genE10ELNS1_11target_archE1201ELNS1_3gpuE5ELNS1_3repE0EEENS1_30default_config_static_selectorELNS0_4arch9wavefront6targetE0EEEvT1_ ; -- Begin function _ZN7rocprim17ROCPRIM_400000_NS6detail17trampoline_kernelINS0_14default_configENS1_27scan_by_key_config_selectorIsiEEZZNS1_16scan_by_key_implILNS1_25lookback_scan_determinismE0ELb1ES3_N6thrust23THRUST_200600_302600_NS6detail15normal_iteratorINS9_10device_ptrIsEEEESE_SE_iNS9_4plusIvEENS9_8equal_toIvEEiEE10hipError_tPvRmT2_T3_T4_T5_mT6_T7_P12ihipStream_tbENKUlT_T0_E_clISt17integral_constantIbLb0EESZ_EEDaSU_SV_EUlSU_E_NS1_11comp_targetILNS1_3genE10ELNS1_11target_archE1201ELNS1_3gpuE5ELNS1_3repE0EEENS1_30default_config_static_selectorELNS0_4arch9wavefront6targetE0EEEvT1_
	.globl	_ZN7rocprim17ROCPRIM_400000_NS6detail17trampoline_kernelINS0_14default_configENS1_27scan_by_key_config_selectorIsiEEZZNS1_16scan_by_key_implILNS1_25lookback_scan_determinismE0ELb1ES3_N6thrust23THRUST_200600_302600_NS6detail15normal_iteratorINS9_10device_ptrIsEEEESE_SE_iNS9_4plusIvEENS9_8equal_toIvEEiEE10hipError_tPvRmT2_T3_T4_T5_mT6_T7_P12ihipStream_tbENKUlT_T0_E_clISt17integral_constantIbLb0EESZ_EEDaSU_SV_EUlSU_E_NS1_11comp_targetILNS1_3genE10ELNS1_11target_archE1201ELNS1_3gpuE5ELNS1_3repE0EEENS1_30default_config_static_selectorELNS0_4arch9wavefront6targetE0EEEvT1_
	.p2align	8
	.type	_ZN7rocprim17ROCPRIM_400000_NS6detail17trampoline_kernelINS0_14default_configENS1_27scan_by_key_config_selectorIsiEEZZNS1_16scan_by_key_implILNS1_25lookback_scan_determinismE0ELb1ES3_N6thrust23THRUST_200600_302600_NS6detail15normal_iteratorINS9_10device_ptrIsEEEESE_SE_iNS9_4plusIvEENS9_8equal_toIvEEiEE10hipError_tPvRmT2_T3_T4_T5_mT6_T7_P12ihipStream_tbENKUlT_T0_E_clISt17integral_constantIbLb0EESZ_EEDaSU_SV_EUlSU_E_NS1_11comp_targetILNS1_3genE10ELNS1_11target_archE1201ELNS1_3gpuE5ELNS1_3repE0EEENS1_30default_config_static_selectorELNS0_4arch9wavefront6targetE0EEEvT1_,@function
_ZN7rocprim17ROCPRIM_400000_NS6detail17trampoline_kernelINS0_14default_configENS1_27scan_by_key_config_selectorIsiEEZZNS1_16scan_by_key_implILNS1_25lookback_scan_determinismE0ELb1ES3_N6thrust23THRUST_200600_302600_NS6detail15normal_iteratorINS9_10device_ptrIsEEEESE_SE_iNS9_4plusIvEENS9_8equal_toIvEEiEE10hipError_tPvRmT2_T3_T4_T5_mT6_T7_P12ihipStream_tbENKUlT_T0_E_clISt17integral_constantIbLb0EESZ_EEDaSU_SV_EUlSU_E_NS1_11comp_targetILNS1_3genE10ELNS1_11target_archE1201ELNS1_3gpuE5ELNS1_3repE0EEENS1_30default_config_static_selectorELNS0_4arch9wavefront6targetE0EEEvT1_: ; @_ZN7rocprim17ROCPRIM_400000_NS6detail17trampoline_kernelINS0_14default_configENS1_27scan_by_key_config_selectorIsiEEZZNS1_16scan_by_key_implILNS1_25lookback_scan_determinismE0ELb1ES3_N6thrust23THRUST_200600_302600_NS6detail15normal_iteratorINS9_10device_ptrIsEEEESE_SE_iNS9_4plusIvEENS9_8equal_toIvEEiEE10hipError_tPvRmT2_T3_T4_T5_mT6_T7_P12ihipStream_tbENKUlT_T0_E_clISt17integral_constantIbLb0EESZ_EEDaSU_SV_EUlSU_E_NS1_11comp_targetILNS1_3genE10ELNS1_11target_archE1201ELNS1_3gpuE5ELNS1_3repE0EEENS1_30default_config_static_selectorELNS0_4arch9wavefront6targetE0EEEvT1_
; %bb.0:
	.section	.rodata,"a",@progbits
	.p2align	6, 0x0
	.amdhsa_kernel _ZN7rocprim17ROCPRIM_400000_NS6detail17trampoline_kernelINS0_14default_configENS1_27scan_by_key_config_selectorIsiEEZZNS1_16scan_by_key_implILNS1_25lookback_scan_determinismE0ELb1ES3_N6thrust23THRUST_200600_302600_NS6detail15normal_iteratorINS9_10device_ptrIsEEEESE_SE_iNS9_4plusIvEENS9_8equal_toIvEEiEE10hipError_tPvRmT2_T3_T4_T5_mT6_T7_P12ihipStream_tbENKUlT_T0_E_clISt17integral_constantIbLb0EESZ_EEDaSU_SV_EUlSU_E_NS1_11comp_targetILNS1_3genE10ELNS1_11target_archE1201ELNS1_3gpuE5ELNS1_3repE0EEENS1_30default_config_static_selectorELNS0_4arch9wavefront6targetE0EEEvT1_
		.amdhsa_group_segment_fixed_size 0
		.amdhsa_private_segment_fixed_size 0
		.amdhsa_kernarg_size 112
		.amdhsa_user_sgpr_count 2
		.amdhsa_user_sgpr_dispatch_ptr 0
		.amdhsa_user_sgpr_queue_ptr 0
		.amdhsa_user_sgpr_kernarg_segment_ptr 1
		.amdhsa_user_sgpr_dispatch_id 0
		.amdhsa_user_sgpr_kernarg_preload_length 0
		.amdhsa_user_sgpr_kernarg_preload_offset 0
		.amdhsa_user_sgpr_private_segment_size 0
		.amdhsa_wavefront_size32 1
		.amdhsa_uses_dynamic_stack 0
		.amdhsa_enable_private_segment 0
		.amdhsa_system_sgpr_workgroup_id_x 1
		.amdhsa_system_sgpr_workgroup_id_y 0
		.amdhsa_system_sgpr_workgroup_id_z 0
		.amdhsa_system_sgpr_workgroup_info 0
		.amdhsa_system_vgpr_workitem_id 0
		.amdhsa_next_free_vgpr 1
		.amdhsa_next_free_sgpr 1
		.amdhsa_named_barrier_count 0
		.amdhsa_reserve_vcc 0
		.amdhsa_float_round_mode_32 0
		.amdhsa_float_round_mode_16_64 0
		.amdhsa_float_denorm_mode_32 3
		.amdhsa_float_denorm_mode_16_64 3
		.amdhsa_fp16_overflow 0
		.amdhsa_memory_ordered 1
		.amdhsa_forward_progress 1
		.amdhsa_inst_pref_size 0
		.amdhsa_round_robin_scheduling 0
		.amdhsa_exception_fp_ieee_invalid_op 0
		.amdhsa_exception_fp_denorm_src 0
		.amdhsa_exception_fp_ieee_div_zero 0
		.amdhsa_exception_fp_ieee_overflow 0
		.amdhsa_exception_fp_ieee_underflow 0
		.amdhsa_exception_fp_ieee_inexact 0
		.amdhsa_exception_int_div_zero 0
	.end_amdhsa_kernel
	.section	.text._ZN7rocprim17ROCPRIM_400000_NS6detail17trampoline_kernelINS0_14default_configENS1_27scan_by_key_config_selectorIsiEEZZNS1_16scan_by_key_implILNS1_25lookback_scan_determinismE0ELb1ES3_N6thrust23THRUST_200600_302600_NS6detail15normal_iteratorINS9_10device_ptrIsEEEESE_SE_iNS9_4plusIvEENS9_8equal_toIvEEiEE10hipError_tPvRmT2_T3_T4_T5_mT6_T7_P12ihipStream_tbENKUlT_T0_E_clISt17integral_constantIbLb0EESZ_EEDaSU_SV_EUlSU_E_NS1_11comp_targetILNS1_3genE10ELNS1_11target_archE1201ELNS1_3gpuE5ELNS1_3repE0EEENS1_30default_config_static_selectorELNS0_4arch9wavefront6targetE0EEEvT1_,"axG",@progbits,_ZN7rocprim17ROCPRIM_400000_NS6detail17trampoline_kernelINS0_14default_configENS1_27scan_by_key_config_selectorIsiEEZZNS1_16scan_by_key_implILNS1_25lookback_scan_determinismE0ELb1ES3_N6thrust23THRUST_200600_302600_NS6detail15normal_iteratorINS9_10device_ptrIsEEEESE_SE_iNS9_4plusIvEENS9_8equal_toIvEEiEE10hipError_tPvRmT2_T3_T4_T5_mT6_T7_P12ihipStream_tbENKUlT_T0_E_clISt17integral_constantIbLb0EESZ_EEDaSU_SV_EUlSU_E_NS1_11comp_targetILNS1_3genE10ELNS1_11target_archE1201ELNS1_3gpuE5ELNS1_3repE0EEENS1_30default_config_static_selectorELNS0_4arch9wavefront6targetE0EEEvT1_,comdat
.Lfunc_end1043:
	.size	_ZN7rocprim17ROCPRIM_400000_NS6detail17trampoline_kernelINS0_14default_configENS1_27scan_by_key_config_selectorIsiEEZZNS1_16scan_by_key_implILNS1_25lookback_scan_determinismE0ELb1ES3_N6thrust23THRUST_200600_302600_NS6detail15normal_iteratorINS9_10device_ptrIsEEEESE_SE_iNS9_4plusIvEENS9_8equal_toIvEEiEE10hipError_tPvRmT2_T3_T4_T5_mT6_T7_P12ihipStream_tbENKUlT_T0_E_clISt17integral_constantIbLb0EESZ_EEDaSU_SV_EUlSU_E_NS1_11comp_targetILNS1_3genE10ELNS1_11target_archE1201ELNS1_3gpuE5ELNS1_3repE0EEENS1_30default_config_static_selectorELNS0_4arch9wavefront6targetE0EEEvT1_, .Lfunc_end1043-_ZN7rocprim17ROCPRIM_400000_NS6detail17trampoline_kernelINS0_14default_configENS1_27scan_by_key_config_selectorIsiEEZZNS1_16scan_by_key_implILNS1_25lookback_scan_determinismE0ELb1ES3_N6thrust23THRUST_200600_302600_NS6detail15normal_iteratorINS9_10device_ptrIsEEEESE_SE_iNS9_4plusIvEENS9_8equal_toIvEEiEE10hipError_tPvRmT2_T3_T4_T5_mT6_T7_P12ihipStream_tbENKUlT_T0_E_clISt17integral_constantIbLb0EESZ_EEDaSU_SV_EUlSU_E_NS1_11comp_targetILNS1_3genE10ELNS1_11target_archE1201ELNS1_3gpuE5ELNS1_3repE0EEENS1_30default_config_static_selectorELNS0_4arch9wavefront6targetE0EEEvT1_
                                        ; -- End function
	.set _ZN7rocprim17ROCPRIM_400000_NS6detail17trampoline_kernelINS0_14default_configENS1_27scan_by_key_config_selectorIsiEEZZNS1_16scan_by_key_implILNS1_25lookback_scan_determinismE0ELb1ES3_N6thrust23THRUST_200600_302600_NS6detail15normal_iteratorINS9_10device_ptrIsEEEESE_SE_iNS9_4plusIvEENS9_8equal_toIvEEiEE10hipError_tPvRmT2_T3_T4_T5_mT6_T7_P12ihipStream_tbENKUlT_T0_E_clISt17integral_constantIbLb0EESZ_EEDaSU_SV_EUlSU_E_NS1_11comp_targetILNS1_3genE10ELNS1_11target_archE1201ELNS1_3gpuE5ELNS1_3repE0EEENS1_30default_config_static_selectorELNS0_4arch9wavefront6targetE0EEEvT1_.num_vgpr, 0
	.set _ZN7rocprim17ROCPRIM_400000_NS6detail17trampoline_kernelINS0_14default_configENS1_27scan_by_key_config_selectorIsiEEZZNS1_16scan_by_key_implILNS1_25lookback_scan_determinismE0ELb1ES3_N6thrust23THRUST_200600_302600_NS6detail15normal_iteratorINS9_10device_ptrIsEEEESE_SE_iNS9_4plusIvEENS9_8equal_toIvEEiEE10hipError_tPvRmT2_T3_T4_T5_mT6_T7_P12ihipStream_tbENKUlT_T0_E_clISt17integral_constantIbLb0EESZ_EEDaSU_SV_EUlSU_E_NS1_11comp_targetILNS1_3genE10ELNS1_11target_archE1201ELNS1_3gpuE5ELNS1_3repE0EEENS1_30default_config_static_selectorELNS0_4arch9wavefront6targetE0EEEvT1_.num_agpr, 0
	.set _ZN7rocprim17ROCPRIM_400000_NS6detail17trampoline_kernelINS0_14default_configENS1_27scan_by_key_config_selectorIsiEEZZNS1_16scan_by_key_implILNS1_25lookback_scan_determinismE0ELb1ES3_N6thrust23THRUST_200600_302600_NS6detail15normal_iteratorINS9_10device_ptrIsEEEESE_SE_iNS9_4plusIvEENS9_8equal_toIvEEiEE10hipError_tPvRmT2_T3_T4_T5_mT6_T7_P12ihipStream_tbENKUlT_T0_E_clISt17integral_constantIbLb0EESZ_EEDaSU_SV_EUlSU_E_NS1_11comp_targetILNS1_3genE10ELNS1_11target_archE1201ELNS1_3gpuE5ELNS1_3repE0EEENS1_30default_config_static_selectorELNS0_4arch9wavefront6targetE0EEEvT1_.numbered_sgpr, 0
	.set _ZN7rocprim17ROCPRIM_400000_NS6detail17trampoline_kernelINS0_14default_configENS1_27scan_by_key_config_selectorIsiEEZZNS1_16scan_by_key_implILNS1_25lookback_scan_determinismE0ELb1ES3_N6thrust23THRUST_200600_302600_NS6detail15normal_iteratorINS9_10device_ptrIsEEEESE_SE_iNS9_4plusIvEENS9_8equal_toIvEEiEE10hipError_tPvRmT2_T3_T4_T5_mT6_T7_P12ihipStream_tbENKUlT_T0_E_clISt17integral_constantIbLb0EESZ_EEDaSU_SV_EUlSU_E_NS1_11comp_targetILNS1_3genE10ELNS1_11target_archE1201ELNS1_3gpuE5ELNS1_3repE0EEENS1_30default_config_static_selectorELNS0_4arch9wavefront6targetE0EEEvT1_.num_named_barrier, 0
	.set _ZN7rocprim17ROCPRIM_400000_NS6detail17trampoline_kernelINS0_14default_configENS1_27scan_by_key_config_selectorIsiEEZZNS1_16scan_by_key_implILNS1_25lookback_scan_determinismE0ELb1ES3_N6thrust23THRUST_200600_302600_NS6detail15normal_iteratorINS9_10device_ptrIsEEEESE_SE_iNS9_4plusIvEENS9_8equal_toIvEEiEE10hipError_tPvRmT2_T3_T4_T5_mT6_T7_P12ihipStream_tbENKUlT_T0_E_clISt17integral_constantIbLb0EESZ_EEDaSU_SV_EUlSU_E_NS1_11comp_targetILNS1_3genE10ELNS1_11target_archE1201ELNS1_3gpuE5ELNS1_3repE0EEENS1_30default_config_static_selectorELNS0_4arch9wavefront6targetE0EEEvT1_.private_seg_size, 0
	.set _ZN7rocprim17ROCPRIM_400000_NS6detail17trampoline_kernelINS0_14default_configENS1_27scan_by_key_config_selectorIsiEEZZNS1_16scan_by_key_implILNS1_25lookback_scan_determinismE0ELb1ES3_N6thrust23THRUST_200600_302600_NS6detail15normal_iteratorINS9_10device_ptrIsEEEESE_SE_iNS9_4plusIvEENS9_8equal_toIvEEiEE10hipError_tPvRmT2_T3_T4_T5_mT6_T7_P12ihipStream_tbENKUlT_T0_E_clISt17integral_constantIbLb0EESZ_EEDaSU_SV_EUlSU_E_NS1_11comp_targetILNS1_3genE10ELNS1_11target_archE1201ELNS1_3gpuE5ELNS1_3repE0EEENS1_30default_config_static_selectorELNS0_4arch9wavefront6targetE0EEEvT1_.uses_vcc, 0
	.set _ZN7rocprim17ROCPRIM_400000_NS6detail17trampoline_kernelINS0_14default_configENS1_27scan_by_key_config_selectorIsiEEZZNS1_16scan_by_key_implILNS1_25lookback_scan_determinismE0ELb1ES3_N6thrust23THRUST_200600_302600_NS6detail15normal_iteratorINS9_10device_ptrIsEEEESE_SE_iNS9_4plusIvEENS9_8equal_toIvEEiEE10hipError_tPvRmT2_T3_T4_T5_mT6_T7_P12ihipStream_tbENKUlT_T0_E_clISt17integral_constantIbLb0EESZ_EEDaSU_SV_EUlSU_E_NS1_11comp_targetILNS1_3genE10ELNS1_11target_archE1201ELNS1_3gpuE5ELNS1_3repE0EEENS1_30default_config_static_selectorELNS0_4arch9wavefront6targetE0EEEvT1_.uses_flat_scratch, 0
	.set _ZN7rocprim17ROCPRIM_400000_NS6detail17trampoline_kernelINS0_14default_configENS1_27scan_by_key_config_selectorIsiEEZZNS1_16scan_by_key_implILNS1_25lookback_scan_determinismE0ELb1ES3_N6thrust23THRUST_200600_302600_NS6detail15normal_iteratorINS9_10device_ptrIsEEEESE_SE_iNS9_4plusIvEENS9_8equal_toIvEEiEE10hipError_tPvRmT2_T3_T4_T5_mT6_T7_P12ihipStream_tbENKUlT_T0_E_clISt17integral_constantIbLb0EESZ_EEDaSU_SV_EUlSU_E_NS1_11comp_targetILNS1_3genE10ELNS1_11target_archE1201ELNS1_3gpuE5ELNS1_3repE0EEENS1_30default_config_static_selectorELNS0_4arch9wavefront6targetE0EEEvT1_.has_dyn_sized_stack, 0
	.set _ZN7rocprim17ROCPRIM_400000_NS6detail17trampoline_kernelINS0_14default_configENS1_27scan_by_key_config_selectorIsiEEZZNS1_16scan_by_key_implILNS1_25lookback_scan_determinismE0ELb1ES3_N6thrust23THRUST_200600_302600_NS6detail15normal_iteratorINS9_10device_ptrIsEEEESE_SE_iNS9_4plusIvEENS9_8equal_toIvEEiEE10hipError_tPvRmT2_T3_T4_T5_mT6_T7_P12ihipStream_tbENKUlT_T0_E_clISt17integral_constantIbLb0EESZ_EEDaSU_SV_EUlSU_E_NS1_11comp_targetILNS1_3genE10ELNS1_11target_archE1201ELNS1_3gpuE5ELNS1_3repE0EEENS1_30default_config_static_selectorELNS0_4arch9wavefront6targetE0EEEvT1_.has_recursion, 0
	.set _ZN7rocprim17ROCPRIM_400000_NS6detail17trampoline_kernelINS0_14default_configENS1_27scan_by_key_config_selectorIsiEEZZNS1_16scan_by_key_implILNS1_25lookback_scan_determinismE0ELb1ES3_N6thrust23THRUST_200600_302600_NS6detail15normal_iteratorINS9_10device_ptrIsEEEESE_SE_iNS9_4plusIvEENS9_8equal_toIvEEiEE10hipError_tPvRmT2_T3_T4_T5_mT6_T7_P12ihipStream_tbENKUlT_T0_E_clISt17integral_constantIbLb0EESZ_EEDaSU_SV_EUlSU_E_NS1_11comp_targetILNS1_3genE10ELNS1_11target_archE1201ELNS1_3gpuE5ELNS1_3repE0EEENS1_30default_config_static_selectorELNS0_4arch9wavefront6targetE0EEEvT1_.has_indirect_call, 0
	.section	.AMDGPU.csdata,"",@progbits
; Kernel info:
; codeLenInByte = 0
; TotalNumSgprs: 0
; NumVgprs: 0
; ScratchSize: 0
; MemoryBound: 0
; FloatMode: 240
; IeeeMode: 1
; LDSByteSize: 0 bytes/workgroup (compile time only)
; SGPRBlocks: 0
; VGPRBlocks: 0
; NumSGPRsForWavesPerEU: 1
; NumVGPRsForWavesPerEU: 1
; NamedBarCnt: 0
; Occupancy: 16
; WaveLimiterHint : 0
; COMPUTE_PGM_RSRC2:SCRATCH_EN: 0
; COMPUTE_PGM_RSRC2:USER_SGPR: 2
; COMPUTE_PGM_RSRC2:TRAP_HANDLER: 0
; COMPUTE_PGM_RSRC2:TGID_X_EN: 1
; COMPUTE_PGM_RSRC2:TGID_Y_EN: 0
; COMPUTE_PGM_RSRC2:TGID_Z_EN: 0
; COMPUTE_PGM_RSRC2:TIDIG_COMP_CNT: 0
	.section	.text._ZN7rocprim17ROCPRIM_400000_NS6detail17trampoline_kernelINS0_14default_configENS1_27scan_by_key_config_selectorIsiEEZZNS1_16scan_by_key_implILNS1_25lookback_scan_determinismE0ELb1ES3_N6thrust23THRUST_200600_302600_NS6detail15normal_iteratorINS9_10device_ptrIsEEEESE_SE_iNS9_4plusIvEENS9_8equal_toIvEEiEE10hipError_tPvRmT2_T3_T4_T5_mT6_T7_P12ihipStream_tbENKUlT_T0_E_clISt17integral_constantIbLb0EESZ_EEDaSU_SV_EUlSU_E_NS1_11comp_targetILNS1_3genE5ELNS1_11target_archE942ELNS1_3gpuE9ELNS1_3repE0EEENS1_30default_config_static_selectorELNS0_4arch9wavefront6targetE0EEEvT1_,"axG",@progbits,_ZN7rocprim17ROCPRIM_400000_NS6detail17trampoline_kernelINS0_14default_configENS1_27scan_by_key_config_selectorIsiEEZZNS1_16scan_by_key_implILNS1_25lookback_scan_determinismE0ELb1ES3_N6thrust23THRUST_200600_302600_NS6detail15normal_iteratorINS9_10device_ptrIsEEEESE_SE_iNS9_4plusIvEENS9_8equal_toIvEEiEE10hipError_tPvRmT2_T3_T4_T5_mT6_T7_P12ihipStream_tbENKUlT_T0_E_clISt17integral_constantIbLb0EESZ_EEDaSU_SV_EUlSU_E_NS1_11comp_targetILNS1_3genE5ELNS1_11target_archE942ELNS1_3gpuE9ELNS1_3repE0EEENS1_30default_config_static_selectorELNS0_4arch9wavefront6targetE0EEEvT1_,comdat
	.protected	_ZN7rocprim17ROCPRIM_400000_NS6detail17trampoline_kernelINS0_14default_configENS1_27scan_by_key_config_selectorIsiEEZZNS1_16scan_by_key_implILNS1_25lookback_scan_determinismE0ELb1ES3_N6thrust23THRUST_200600_302600_NS6detail15normal_iteratorINS9_10device_ptrIsEEEESE_SE_iNS9_4plusIvEENS9_8equal_toIvEEiEE10hipError_tPvRmT2_T3_T4_T5_mT6_T7_P12ihipStream_tbENKUlT_T0_E_clISt17integral_constantIbLb0EESZ_EEDaSU_SV_EUlSU_E_NS1_11comp_targetILNS1_3genE5ELNS1_11target_archE942ELNS1_3gpuE9ELNS1_3repE0EEENS1_30default_config_static_selectorELNS0_4arch9wavefront6targetE0EEEvT1_ ; -- Begin function _ZN7rocprim17ROCPRIM_400000_NS6detail17trampoline_kernelINS0_14default_configENS1_27scan_by_key_config_selectorIsiEEZZNS1_16scan_by_key_implILNS1_25lookback_scan_determinismE0ELb1ES3_N6thrust23THRUST_200600_302600_NS6detail15normal_iteratorINS9_10device_ptrIsEEEESE_SE_iNS9_4plusIvEENS9_8equal_toIvEEiEE10hipError_tPvRmT2_T3_T4_T5_mT6_T7_P12ihipStream_tbENKUlT_T0_E_clISt17integral_constantIbLb0EESZ_EEDaSU_SV_EUlSU_E_NS1_11comp_targetILNS1_3genE5ELNS1_11target_archE942ELNS1_3gpuE9ELNS1_3repE0EEENS1_30default_config_static_selectorELNS0_4arch9wavefront6targetE0EEEvT1_
	.globl	_ZN7rocprim17ROCPRIM_400000_NS6detail17trampoline_kernelINS0_14default_configENS1_27scan_by_key_config_selectorIsiEEZZNS1_16scan_by_key_implILNS1_25lookback_scan_determinismE0ELb1ES3_N6thrust23THRUST_200600_302600_NS6detail15normal_iteratorINS9_10device_ptrIsEEEESE_SE_iNS9_4plusIvEENS9_8equal_toIvEEiEE10hipError_tPvRmT2_T3_T4_T5_mT6_T7_P12ihipStream_tbENKUlT_T0_E_clISt17integral_constantIbLb0EESZ_EEDaSU_SV_EUlSU_E_NS1_11comp_targetILNS1_3genE5ELNS1_11target_archE942ELNS1_3gpuE9ELNS1_3repE0EEENS1_30default_config_static_selectorELNS0_4arch9wavefront6targetE0EEEvT1_
	.p2align	8
	.type	_ZN7rocprim17ROCPRIM_400000_NS6detail17trampoline_kernelINS0_14default_configENS1_27scan_by_key_config_selectorIsiEEZZNS1_16scan_by_key_implILNS1_25lookback_scan_determinismE0ELb1ES3_N6thrust23THRUST_200600_302600_NS6detail15normal_iteratorINS9_10device_ptrIsEEEESE_SE_iNS9_4plusIvEENS9_8equal_toIvEEiEE10hipError_tPvRmT2_T3_T4_T5_mT6_T7_P12ihipStream_tbENKUlT_T0_E_clISt17integral_constantIbLb0EESZ_EEDaSU_SV_EUlSU_E_NS1_11comp_targetILNS1_3genE5ELNS1_11target_archE942ELNS1_3gpuE9ELNS1_3repE0EEENS1_30default_config_static_selectorELNS0_4arch9wavefront6targetE0EEEvT1_,@function
_ZN7rocprim17ROCPRIM_400000_NS6detail17trampoline_kernelINS0_14default_configENS1_27scan_by_key_config_selectorIsiEEZZNS1_16scan_by_key_implILNS1_25lookback_scan_determinismE0ELb1ES3_N6thrust23THRUST_200600_302600_NS6detail15normal_iteratorINS9_10device_ptrIsEEEESE_SE_iNS9_4plusIvEENS9_8equal_toIvEEiEE10hipError_tPvRmT2_T3_T4_T5_mT6_T7_P12ihipStream_tbENKUlT_T0_E_clISt17integral_constantIbLb0EESZ_EEDaSU_SV_EUlSU_E_NS1_11comp_targetILNS1_3genE5ELNS1_11target_archE942ELNS1_3gpuE9ELNS1_3repE0EEENS1_30default_config_static_selectorELNS0_4arch9wavefront6targetE0EEEvT1_: ; @_ZN7rocprim17ROCPRIM_400000_NS6detail17trampoline_kernelINS0_14default_configENS1_27scan_by_key_config_selectorIsiEEZZNS1_16scan_by_key_implILNS1_25lookback_scan_determinismE0ELb1ES3_N6thrust23THRUST_200600_302600_NS6detail15normal_iteratorINS9_10device_ptrIsEEEESE_SE_iNS9_4plusIvEENS9_8equal_toIvEEiEE10hipError_tPvRmT2_T3_T4_T5_mT6_T7_P12ihipStream_tbENKUlT_T0_E_clISt17integral_constantIbLb0EESZ_EEDaSU_SV_EUlSU_E_NS1_11comp_targetILNS1_3genE5ELNS1_11target_archE942ELNS1_3gpuE9ELNS1_3repE0EEENS1_30default_config_static_selectorELNS0_4arch9wavefront6targetE0EEEvT1_
; %bb.0:
	.section	.rodata,"a",@progbits
	.p2align	6, 0x0
	.amdhsa_kernel _ZN7rocprim17ROCPRIM_400000_NS6detail17trampoline_kernelINS0_14default_configENS1_27scan_by_key_config_selectorIsiEEZZNS1_16scan_by_key_implILNS1_25lookback_scan_determinismE0ELb1ES3_N6thrust23THRUST_200600_302600_NS6detail15normal_iteratorINS9_10device_ptrIsEEEESE_SE_iNS9_4plusIvEENS9_8equal_toIvEEiEE10hipError_tPvRmT2_T3_T4_T5_mT6_T7_P12ihipStream_tbENKUlT_T0_E_clISt17integral_constantIbLb0EESZ_EEDaSU_SV_EUlSU_E_NS1_11comp_targetILNS1_3genE5ELNS1_11target_archE942ELNS1_3gpuE9ELNS1_3repE0EEENS1_30default_config_static_selectorELNS0_4arch9wavefront6targetE0EEEvT1_
		.amdhsa_group_segment_fixed_size 0
		.amdhsa_private_segment_fixed_size 0
		.amdhsa_kernarg_size 112
		.amdhsa_user_sgpr_count 2
		.amdhsa_user_sgpr_dispatch_ptr 0
		.amdhsa_user_sgpr_queue_ptr 0
		.amdhsa_user_sgpr_kernarg_segment_ptr 1
		.amdhsa_user_sgpr_dispatch_id 0
		.amdhsa_user_sgpr_kernarg_preload_length 0
		.amdhsa_user_sgpr_kernarg_preload_offset 0
		.amdhsa_user_sgpr_private_segment_size 0
		.amdhsa_wavefront_size32 1
		.amdhsa_uses_dynamic_stack 0
		.amdhsa_enable_private_segment 0
		.amdhsa_system_sgpr_workgroup_id_x 1
		.amdhsa_system_sgpr_workgroup_id_y 0
		.amdhsa_system_sgpr_workgroup_id_z 0
		.amdhsa_system_sgpr_workgroup_info 0
		.amdhsa_system_vgpr_workitem_id 0
		.amdhsa_next_free_vgpr 1
		.amdhsa_next_free_sgpr 1
		.amdhsa_named_barrier_count 0
		.amdhsa_reserve_vcc 0
		.amdhsa_float_round_mode_32 0
		.amdhsa_float_round_mode_16_64 0
		.amdhsa_float_denorm_mode_32 3
		.amdhsa_float_denorm_mode_16_64 3
		.amdhsa_fp16_overflow 0
		.amdhsa_memory_ordered 1
		.amdhsa_forward_progress 1
		.amdhsa_inst_pref_size 0
		.amdhsa_round_robin_scheduling 0
		.amdhsa_exception_fp_ieee_invalid_op 0
		.amdhsa_exception_fp_denorm_src 0
		.amdhsa_exception_fp_ieee_div_zero 0
		.amdhsa_exception_fp_ieee_overflow 0
		.amdhsa_exception_fp_ieee_underflow 0
		.amdhsa_exception_fp_ieee_inexact 0
		.amdhsa_exception_int_div_zero 0
	.end_amdhsa_kernel
	.section	.text._ZN7rocprim17ROCPRIM_400000_NS6detail17trampoline_kernelINS0_14default_configENS1_27scan_by_key_config_selectorIsiEEZZNS1_16scan_by_key_implILNS1_25lookback_scan_determinismE0ELb1ES3_N6thrust23THRUST_200600_302600_NS6detail15normal_iteratorINS9_10device_ptrIsEEEESE_SE_iNS9_4plusIvEENS9_8equal_toIvEEiEE10hipError_tPvRmT2_T3_T4_T5_mT6_T7_P12ihipStream_tbENKUlT_T0_E_clISt17integral_constantIbLb0EESZ_EEDaSU_SV_EUlSU_E_NS1_11comp_targetILNS1_3genE5ELNS1_11target_archE942ELNS1_3gpuE9ELNS1_3repE0EEENS1_30default_config_static_selectorELNS0_4arch9wavefront6targetE0EEEvT1_,"axG",@progbits,_ZN7rocprim17ROCPRIM_400000_NS6detail17trampoline_kernelINS0_14default_configENS1_27scan_by_key_config_selectorIsiEEZZNS1_16scan_by_key_implILNS1_25lookback_scan_determinismE0ELb1ES3_N6thrust23THRUST_200600_302600_NS6detail15normal_iteratorINS9_10device_ptrIsEEEESE_SE_iNS9_4plusIvEENS9_8equal_toIvEEiEE10hipError_tPvRmT2_T3_T4_T5_mT6_T7_P12ihipStream_tbENKUlT_T0_E_clISt17integral_constantIbLb0EESZ_EEDaSU_SV_EUlSU_E_NS1_11comp_targetILNS1_3genE5ELNS1_11target_archE942ELNS1_3gpuE9ELNS1_3repE0EEENS1_30default_config_static_selectorELNS0_4arch9wavefront6targetE0EEEvT1_,comdat
.Lfunc_end1044:
	.size	_ZN7rocprim17ROCPRIM_400000_NS6detail17trampoline_kernelINS0_14default_configENS1_27scan_by_key_config_selectorIsiEEZZNS1_16scan_by_key_implILNS1_25lookback_scan_determinismE0ELb1ES3_N6thrust23THRUST_200600_302600_NS6detail15normal_iteratorINS9_10device_ptrIsEEEESE_SE_iNS9_4plusIvEENS9_8equal_toIvEEiEE10hipError_tPvRmT2_T3_T4_T5_mT6_T7_P12ihipStream_tbENKUlT_T0_E_clISt17integral_constantIbLb0EESZ_EEDaSU_SV_EUlSU_E_NS1_11comp_targetILNS1_3genE5ELNS1_11target_archE942ELNS1_3gpuE9ELNS1_3repE0EEENS1_30default_config_static_selectorELNS0_4arch9wavefront6targetE0EEEvT1_, .Lfunc_end1044-_ZN7rocprim17ROCPRIM_400000_NS6detail17trampoline_kernelINS0_14default_configENS1_27scan_by_key_config_selectorIsiEEZZNS1_16scan_by_key_implILNS1_25lookback_scan_determinismE0ELb1ES3_N6thrust23THRUST_200600_302600_NS6detail15normal_iteratorINS9_10device_ptrIsEEEESE_SE_iNS9_4plusIvEENS9_8equal_toIvEEiEE10hipError_tPvRmT2_T3_T4_T5_mT6_T7_P12ihipStream_tbENKUlT_T0_E_clISt17integral_constantIbLb0EESZ_EEDaSU_SV_EUlSU_E_NS1_11comp_targetILNS1_3genE5ELNS1_11target_archE942ELNS1_3gpuE9ELNS1_3repE0EEENS1_30default_config_static_selectorELNS0_4arch9wavefront6targetE0EEEvT1_
                                        ; -- End function
	.set _ZN7rocprim17ROCPRIM_400000_NS6detail17trampoline_kernelINS0_14default_configENS1_27scan_by_key_config_selectorIsiEEZZNS1_16scan_by_key_implILNS1_25lookback_scan_determinismE0ELb1ES3_N6thrust23THRUST_200600_302600_NS6detail15normal_iteratorINS9_10device_ptrIsEEEESE_SE_iNS9_4plusIvEENS9_8equal_toIvEEiEE10hipError_tPvRmT2_T3_T4_T5_mT6_T7_P12ihipStream_tbENKUlT_T0_E_clISt17integral_constantIbLb0EESZ_EEDaSU_SV_EUlSU_E_NS1_11comp_targetILNS1_3genE5ELNS1_11target_archE942ELNS1_3gpuE9ELNS1_3repE0EEENS1_30default_config_static_selectorELNS0_4arch9wavefront6targetE0EEEvT1_.num_vgpr, 0
	.set _ZN7rocprim17ROCPRIM_400000_NS6detail17trampoline_kernelINS0_14default_configENS1_27scan_by_key_config_selectorIsiEEZZNS1_16scan_by_key_implILNS1_25lookback_scan_determinismE0ELb1ES3_N6thrust23THRUST_200600_302600_NS6detail15normal_iteratorINS9_10device_ptrIsEEEESE_SE_iNS9_4plusIvEENS9_8equal_toIvEEiEE10hipError_tPvRmT2_T3_T4_T5_mT6_T7_P12ihipStream_tbENKUlT_T0_E_clISt17integral_constantIbLb0EESZ_EEDaSU_SV_EUlSU_E_NS1_11comp_targetILNS1_3genE5ELNS1_11target_archE942ELNS1_3gpuE9ELNS1_3repE0EEENS1_30default_config_static_selectorELNS0_4arch9wavefront6targetE0EEEvT1_.num_agpr, 0
	.set _ZN7rocprim17ROCPRIM_400000_NS6detail17trampoline_kernelINS0_14default_configENS1_27scan_by_key_config_selectorIsiEEZZNS1_16scan_by_key_implILNS1_25lookback_scan_determinismE0ELb1ES3_N6thrust23THRUST_200600_302600_NS6detail15normal_iteratorINS9_10device_ptrIsEEEESE_SE_iNS9_4plusIvEENS9_8equal_toIvEEiEE10hipError_tPvRmT2_T3_T4_T5_mT6_T7_P12ihipStream_tbENKUlT_T0_E_clISt17integral_constantIbLb0EESZ_EEDaSU_SV_EUlSU_E_NS1_11comp_targetILNS1_3genE5ELNS1_11target_archE942ELNS1_3gpuE9ELNS1_3repE0EEENS1_30default_config_static_selectorELNS0_4arch9wavefront6targetE0EEEvT1_.numbered_sgpr, 0
	.set _ZN7rocprim17ROCPRIM_400000_NS6detail17trampoline_kernelINS0_14default_configENS1_27scan_by_key_config_selectorIsiEEZZNS1_16scan_by_key_implILNS1_25lookback_scan_determinismE0ELb1ES3_N6thrust23THRUST_200600_302600_NS6detail15normal_iteratorINS9_10device_ptrIsEEEESE_SE_iNS9_4plusIvEENS9_8equal_toIvEEiEE10hipError_tPvRmT2_T3_T4_T5_mT6_T7_P12ihipStream_tbENKUlT_T0_E_clISt17integral_constantIbLb0EESZ_EEDaSU_SV_EUlSU_E_NS1_11comp_targetILNS1_3genE5ELNS1_11target_archE942ELNS1_3gpuE9ELNS1_3repE0EEENS1_30default_config_static_selectorELNS0_4arch9wavefront6targetE0EEEvT1_.num_named_barrier, 0
	.set _ZN7rocprim17ROCPRIM_400000_NS6detail17trampoline_kernelINS0_14default_configENS1_27scan_by_key_config_selectorIsiEEZZNS1_16scan_by_key_implILNS1_25lookback_scan_determinismE0ELb1ES3_N6thrust23THRUST_200600_302600_NS6detail15normal_iteratorINS9_10device_ptrIsEEEESE_SE_iNS9_4plusIvEENS9_8equal_toIvEEiEE10hipError_tPvRmT2_T3_T4_T5_mT6_T7_P12ihipStream_tbENKUlT_T0_E_clISt17integral_constantIbLb0EESZ_EEDaSU_SV_EUlSU_E_NS1_11comp_targetILNS1_3genE5ELNS1_11target_archE942ELNS1_3gpuE9ELNS1_3repE0EEENS1_30default_config_static_selectorELNS0_4arch9wavefront6targetE0EEEvT1_.private_seg_size, 0
	.set _ZN7rocprim17ROCPRIM_400000_NS6detail17trampoline_kernelINS0_14default_configENS1_27scan_by_key_config_selectorIsiEEZZNS1_16scan_by_key_implILNS1_25lookback_scan_determinismE0ELb1ES3_N6thrust23THRUST_200600_302600_NS6detail15normal_iteratorINS9_10device_ptrIsEEEESE_SE_iNS9_4plusIvEENS9_8equal_toIvEEiEE10hipError_tPvRmT2_T3_T4_T5_mT6_T7_P12ihipStream_tbENKUlT_T0_E_clISt17integral_constantIbLb0EESZ_EEDaSU_SV_EUlSU_E_NS1_11comp_targetILNS1_3genE5ELNS1_11target_archE942ELNS1_3gpuE9ELNS1_3repE0EEENS1_30default_config_static_selectorELNS0_4arch9wavefront6targetE0EEEvT1_.uses_vcc, 0
	.set _ZN7rocprim17ROCPRIM_400000_NS6detail17trampoline_kernelINS0_14default_configENS1_27scan_by_key_config_selectorIsiEEZZNS1_16scan_by_key_implILNS1_25lookback_scan_determinismE0ELb1ES3_N6thrust23THRUST_200600_302600_NS6detail15normal_iteratorINS9_10device_ptrIsEEEESE_SE_iNS9_4plusIvEENS9_8equal_toIvEEiEE10hipError_tPvRmT2_T3_T4_T5_mT6_T7_P12ihipStream_tbENKUlT_T0_E_clISt17integral_constantIbLb0EESZ_EEDaSU_SV_EUlSU_E_NS1_11comp_targetILNS1_3genE5ELNS1_11target_archE942ELNS1_3gpuE9ELNS1_3repE0EEENS1_30default_config_static_selectorELNS0_4arch9wavefront6targetE0EEEvT1_.uses_flat_scratch, 0
	.set _ZN7rocprim17ROCPRIM_400000_NS6detail17trampoline_kernelINS0_14default_configENS1_27scan_by_key_config_selectorIsiEEZZNS1_16scan_by_key_implILNS1_25lookback_scan_determinismE0ELb1ES3_N6thrust23THRUST_200600_302600_NS6detail15normal_iteratorINS9_10device_ptrIsEEEESE_SE_iNS9_4plusIvEENS9_8equal_toIvEEiEE10hipError_tPvRmT2_T3_T4_T5_mT6_T7_P12ihipStream_tbENKUlT_T0_E_clISt17integral_constantIbLb0EESZ_EEDaSU_SV_EUlSU_E_NS1_11comp_targetILNS1_3genE5ELNS1_11target_archE942ELNS1_3gpuE9ELNS1_3repE0EEENS1_30default_config_static_selectorELNS0_4arch9wavefront6targetE0EEEvT1_.has_dyn_sized_stack, 0
	.set _ZN7rocprim17ROCPRIM_400000_NS6detail17trampoline_kernelINS0_14default_configENS1_27scan_by_key_config_selectorIsiEEZZNS1_16scan_by_key_implILNS1_25lookback_scan_determinismE0ELb1ES3_N6thrust23THRUST_200600_302600_NS6detail15normal_iteratorINS9_10device_ptrIsEEEESE_SE_iNS9_4plusIvEENS9_8equal_toIvEEiEE10hipError_tPvRmT2_T3_T4_T5_mT6_T7_P12ihipStream_tbENKUlT_T0_E_clISt17integral_constantIbLb0EESZ_EEDaSU_SV_EUlSU_E_NS1_11comp_targetILNS1_3genE5ELNS1_11target_archE942ELNS1_3gpuE9ELNS1_3repE0EEENS1_30default_config_static_selectorELNS0_4arch9wavefront6targetE0EEEvT1_.has_recursion, 0
	.set _ZN7rocprim17ROCPRIM_400000_NS6detail17trampoline_kernelINS0_14default_configENS1_27scan_by_key_config_selectorIsiEEZZNS1_16scan_by_key_implILNS1_25lookback_scan_determinismE0ELb1ES3_N6thrust23THRUST_200600_302600_NS6detail15normal_iteratorINS9_10device_ptrIsEEEESE_SE_iNS9_4plusIvEENS9_8equal_toIvEEiEE10hipError_tPvRmT2_T3_T4_T5_mT6_T7_P12ihipStream_tbENKUlT_T0_E_clISt17integral_constantIbLb0EESZ_EEDaSU_SV_EUlSU_E_NS1_11comp_targetILNS1_3genE5ELNS1_11target_archE942ELNS1_3gpuE9ELNS1_3repE0EEENS1_30default_config_static_selectorELNS0_4arch9wavefront6targetE0EEEvT1_.has_indirect_call, 0
	.section	.AMDGPU.csdata,"",@progbits
; Kernel info:
; codeLenInByte = 0
; TotalNumSgprs: 0
; NumVgprs: 0
; ScratchSize: 0
; MemoryBound: 0
; FloatMode: 240
; IeeeMode: 1
; LDSByteSize: 0 bytes/workgroup (compile time only)
; SGPRBlocks: 0
; VGPRBlocks: 0
; NumSGPRsForWavesPerEU: 1
; NumVGPRsForWavesPerEU: 1
; NamedBarCnt: 0
; Occupancy: 16
; WaveLimiterHint : 0
; COMPUTE_PGM_RSRC2:SCRATCH_EN: 0
; COMPUTE_PGM_RSRC2:USER_SGPR: 2
; COMPUTE_PGM_RSRC2:TRAP_HANDLER: 0
; COMPUTE_PGM_RSRC2:TGID_X_EN: 1
; COMPUTE_PGM_RSRC2:TGID_Y_EN: 0
; COMPUTE_PGM_RSRC2:TGID_Z_EN: 0
; COMPUTE_PGM_RSRC2:TIDIG_COMP_CNT: 0
	.section	.text._ZN7rocprim17ROCPRIM_400000_NS6detail17trampoline_kernelINS0_14default_configENS1_27scan_by_key_config_selectorIsiEEZZNS1_16scan_by_key_implILNS1_25lookback_scan_determinismE0ELb1ES3_N6thrust23THRUST_200600_302600_NS6detail15normal_iteratorINS9_10device_ptrIsEEEESE_SE_iNS9_4plusIvEENS9_8equal_toIvEEiEE10hipError_tPvRmT2_T3_T4_T5_mT6_T7_P12ihipStream_tbENKUlT_T0_E_clISt17integral_constantIbLb0EESZ_EEDaSU_SV_EUlSU_E_NS1_11comp_targetILNS1_3genE4ELNS1_11target_archE910ELNS1_3gpuE8ELNS1_3repE0EEENS1_30default_config_static_selectorELNS0_4arch9wavefront6targetE0EEEvT1_,"axG",@progbits,_ZN7rocprim17ROCPRIM_400000_NS6detail17trampoline_kernelINS0_14default_configENS1_27scan_by_key_config_selectorIsiEEZZNS1_16scan_by_key_implILNS1_25lookback_scan_determinismE0ELb1ES3_N6thrust23THRUST_200600_302600_NS6detail15normal_iteratorINS9_10device_ptrIsEEEESE_SE_iNS9_4plusIvEENS9_8equal_toIvEEiEE10hipError_tPvRmT2_T3_T4_T5_mT6_T7_P12ihipStream_tbENKUlT_T0_E_clISt17integral_constantIbLb0EESZ_EEDaSU_SV_EUlSU_E_NS1_11comp_targetILNS1_3genE4ELNS1_11target_archE910ELNS1_3gpuE8ELNS1_3repE0EEENS1_30default_config_static_selectorELNS0_4arch9wavefront6targetE0EEEvT1_,comdat
	.protected	_ZN7rocprim17ROCPRIM_400000_NS6detail17trampoline_kernelINS0_14default_configENS1_27scan_by_key_config_selectorIsiEEZZNS1_16scan_by_key_implILNS1_25lookback_scan_determinismE0ELb1ES3_N6thrust23THRUST_200600_302600_NS6detail15normal_iteratorINS9_10device_ptrIsEEEESE_SE_iNS9_4plusIvEENS9_8equal_toIvEEiEE10hipError_tPvRmT2_T3_T4_T5_mT6_T7_P12ihipStream_tbENKUlT_T0_E_clISt17integral_constantIbLb0EESZ_EEDaSU_SV_EUlSU_E_NS1_11comp_targetILNS1_3genE4ELNS1_11target_archE910ELNS1_3gpuE8ELNS1_3repE0EEENS1_30default_config_static_selectorELNS0_4arch9wavefront6targetE0EEEvT1_ ; -- Begin function _ZN7rocprim17ROCPRIM_400000_NS6detail17trampoline_kernelINS0_14default_configENS1_27scan_by_key_config_selectorIsiEEZZNS1_16scan_by_key_implILNS1_25lookback_scan_determinismE0ELb1ES3_N6thrust23THRUST_200600_302600_NS6detail15normal_iteratorINS9_10device_ptrIsEEEESE_SE_iNS9_4plusIvEENS9_8equal_toIvEEiEE10hipError_tPvRmT2_T3_T4_T5_mT6_T7_P12ihipStream_tbENKUlT_T0_E_clISt17integral_constantIbLb0EESZ_EEDaSU_SV_EUlSU_E_NS1_11comp_targetILNS1_3genE4ELNS1_11target_archE910ELNS1_3gpuE8ELNS1_3repE0EEENS1_30default_config_static_selectorELNS0_4arch9wavefront6targetE0EEEvT1_
	.globl	_ZN7rocprim17ROCPRIM_400000_NS6detail17trampoline_kernelINS0_14default_configENS1_27scan_by_key_config_selectorIsiEEZZNS1_16scan_by_key_implILNS1_25lookback_scan_determinismE0ELb1ES3_N6thrust23THRUST_200600_302600_NS6detail15normal_iteratorINS9_10device_ptrIsEEEESE_SE_iNS9_4plusIvEENS9_8equal_toIvEEiEE10hipError_tPvRmT2_T3_T4_T5_mT6_T7_P12ihipStream_tbENKUlT_T0_E_clISt17integral_constantIbLb0EESZ_EEDaSU_SV_EUlSU_E_NS1_11comp_targetILNS1_3genE4ELNS1_11target_archE910ELNS1_3gpuE8ELNS1_3repE0EEENS1_30default_config_static_selectorELNS0_4arch9wavefront6targetE0EEEvT1_
	.p2align	8
	.type	_ZN7rocprim17ROCPRIM_400000_NS6detail17trampoline_kernelINS0_14default_configENS1_27scan_by_key_config_selectorIsiEEZZNS1_16scan_by_key_implILNS1_25lookback_scan_determinismE0ELb1ES3_N6thrust23THRUST_200600_302600_NS6detail15normal_iteratorINS9_10device_ptrIsEEEESE_SE_iNS9_4plusIvEENS9_8equal_toIvEEiEE10hipError_tPvRmT2_T3_T4_T5_mT6_T7_P12ihipStream_tbENKUlT_T0_E_clISt17integral_constantIbLb0EESZ_EEDaSU_SV_EUlSU_E_NS1_11comp_targetILNS1_3genE4ELNS1_11target_archE910ELNS1_3gpuE8ELNS1_3repE0EEENS1_30default_config_static_selectorELNS0_4arch9wavefront6targetE0EEEvT1_,@function
_ZN7rocprim17ROCPRIM_400000_NS6detail17trampoline_kernelINS0_14default_configENS1_27scan_by_key_config_selectorIsiEEZZNS1_16scan_by_key_implILNS1_25lookback_scan_determinismE0ELb1ES3_N6thrust23THRUST_200600_302600_NS6detail15normal_iteratorINS9_10device_ptrIsEEEESE_SE_iNS9_4plusIvEENS9_8equal_toIvEEiEE10hipError_tPvRmT2_T3_T4_T5_mT6_T7_P12ihipStream_tbENKUlT_T0_E_clISt17integral_constantIbLb0EESZ_EEDaSU_SV_EUlSU_E_NS1_11comp_targetILNS1_3genE4ELNS1_11target_archE910ELNS1_3gpuE8ELNS1_3repE0EEENS1_30default_config_static_selectorELNS0_4arch9wavefront6targetE0EEEvT1_: ; @_ZN7rocprim17ROCPRIM_400000_NS6detail17trampoline_kernelINS0_14default_configENS1_27scan_by_key_config_selectorIsiEEZZNS1_16scan_by_key_implILNS1_25lookback_scan_determinismE0ELb1ES3_N6thrust23THRUST_200600_302600_NS6detail15normal_iteratorINS9_10device_ptrIsEEEESE_SE_iNS9_4plusIvEENS9_8equal_toIvEEiEE10hipError_tPvRmT2_T3_T4_T5_mT6_T7_P12ihipStream_tbENKUlT_T0_E_clISt17integral_constantIbLb0EESZ_EEDaSU_SV_EUlSU_E_NS1_11comp_targetILNS1_3genE4ELNS1_11target_archE910ELNS1_3gpuE8ELNS1_3repE0EEENS1_30default_config_static_selectorELNS0_4arch9wavefront6targetE0EEEvT1_
; %bb.0:
	.section	.rodata,"a",@progbits
	.p2align	6, 0x0
	.amdhsa_kernel _ZN7rocprim17ROCPRIM_400000_NS6detail17trampoline_kernelINS0_14default_configENS1_27scan_by_key_config_selectorIsiEEZZNS1_16scan_by_key_implILNS1_25lookback_scan_determinismE0ELb1ES3_N6thrust23THRUST_200600_302600_NS6detail15normal_iteratorINS9_10device_ptrIsEEEESE_SE_iNS9_4plusIvEENS9_8equal_toIvEEiEE10hipError_tPvRmT2_T3_T4_T5_mT6_T7_P12ihipStream_tbENKUlT_T0_E_clISt17integral_constantIbLb0EESZ_EEDaSU_SV_EUlSU_E_NS1_11comp_targetILNS1_3genE4ELNS1_11target_archE910ELNS1_3gpuE8ELNS1_3repE0EEENS1_30default_config_static_selectorELNS0_4arch9wavefront6targetE0EEEvT1_
		.amdhsa_group_segment_fixed_size 0
		.amdhsa_private_segment_fixed_size 0
		.amdhsa_kernarg_size 112
		.amdhsa_user_sgpr_count 2
		.amdhsa_user_sgpr_dispatch_ptr 0
		.amdhsa_user_sgpr_queue_ptr 0
		.amdhsa_user_sgpr_kernarg_segment_ptr 1
		.amdhsa_user_sgpr_dispatch_id 0
		.amdhsa_user_sgpr_kernarg_preload_length 0
		.amdhsa_user_sgpr_kernarg_preload_offset 0
		.amdhsa_user_sgpr_private_segment_size 0
		.amdhsa_wavefront_size32 1
		.amdhsa_uses_dynamic_stack 0
		.amdhsa_enable_private_segment 0
		.amdhsa_system_sgpr_workgroup_id_x 1
		.amdhsa_system_sgpr_workgroup_id_y 0
		.amdhsa_system_sgpr_workgroup_id_z 0
		.amdhsa_system_sgpr_workgroup_info 0
		.amdhsa_system_vgpr_workitem_id 0
		.amdhsa_next_free_vgpr 1
		.amdhsa_next_free_sgpr 1
		.amdhsa_named_barrier_count 0
		.amdhsa_reserve_vcc 0
		.amdhsa_float_round_mode_32 0
		.amdhsa_float_round_mode_16_64 0
		.amdhsa_float_denorm_mode_32 3
		.amdhsa_float_denorm_mode_16_64 3
		.amdhsa_fp16_overflow 0
		.amdhsa_memory_ordered 1
		.amdhsa_forward_progress 1
		.amdhsa_inst_pref_size 0
		.amdhsa_round_robin_scheduling 0
		.amdhsa_exception_fp_ieee_invalid_op 0
		.amdhsa_exception_fp_denorm_src 0
		.amdhsa_exception_fp_ieee_div_zero 0
		.amdhsa_exception_fp_ieee_overflow 0
		.amdhsa_exception_fp_ieee_underflow 0
		.amdhsa_exception_fp_ieee_inexact 0
		.amdhsa_exception_int_div_zero 0
	.end_amdhsa_kernel
	.section	.text._ZN7rocprim17ROCPRIM_400000_NS6detail17trampoline_kernelINS0_14default_configENS1_27scan_by_key_config_selectorIsiEEZZNS1_16scan_by_key_implILNS1_25lookback_scan_determinismE0ELb1ES3_N6thrust23THRUST_200600_302600_NS6detail15normal_iteratorINS9_10device_ptrIsEEEESE_SE_iNS9_4plusIvEENS9_8equal_toIvEEiEE10hipError_tPvRmT2_T3_T4_T5_mT6_T7_P12ihipStream_tbENKUlT_T0_E_clISt17integral_constantIbLb0EESZ_EEDaSU_SV_EUlSU_E_NS1_11comp_targetILNS1_3genE4ELNS1_11target_archE910ELNS1_3gpuE8ELNS1_3repE0EEENS1_30default_config_static_selectorELNS0_4arch9wavefront6targetE0EEEvT1_,"axG",@progbits,_ZN7rocprim17ROCPRIM_400000_NS6detail17trampoline_kernelINS0_14default_configENS1_27scan_by_key_config_selectorIsiEEZZNS1_16scan_by_key_implILNS1_25lookback_scan_determinismE0ELb1ES3_N6thrust23THRUST_200600_302600_NS6detail15normal_iteratorINS9_10device_ptrIsEEEESE_SE_iNS9_4plusIvEENS9_8equal_toIvEEiEE10hipError_tPvRmT2_T3_T4_T5_mT6_T7_P12ihipStream_tbENKUlT_T0_E_clISt17integral_constantIbLb0EESZ_EEDaSU_SV_EUlSU_E_NS1_11comp_targetILNS1_3genE4ELNS1_11target_archE910ELNS1_3gpuE8ELNS1_3repE0EEENS1_30default_config_static_selectorELNS0_4arch9wavefront6targetE0EEEvT1_,comdat
.Lfunc_end1045:
	.size	_ZN7rocprim17ROCPRIM_400000_NS6detail17trampoline_kernelINS0_14default_configENS1_27scan_by_key_config_selectorIsiEEZZNS1_16scan_by_key_implILNS1_25lookback_scan_determinismE0ELb1ES3_N6thrust23THRUST_200600_302600_NS6detail15normal_iteratorINS9_10device_ptrIsEEEESE_SE_iNS9_4plusIvEENS9_8equal_toIvEEiEE10hipError_tPvRmT2_T3_T4_T5_mT6_T7_P12ihipStream_tbENKUlT_T0_E_clISt17integral_constantIbLb0EESZ_EEDaSU_SV_EUlSU_E_NS1_11comp_targetILNS1_3genE4ELNS1_11target_archE910ELNS1_3gpuE8ELNS1_3repE0EEENS1_30default_config_static_selectorELNS0_4arch9wavefront6targetE0EEEvT1_, .Lfunc_end1045-_ZN7rocprim17ROCPRIM_400000_NS6detail17trampoline_kernelINS0_14default_configENS1_27scan_by_key_config_selectorIsiEEZZNS1_16scan_by_key_implILNS1_25lookback_scan_determinismE0ELb1ES3_N6thrust23THRUST_200600_302600_NS6detail15normal_iteratorINS9_10device_ptrIsEEEESE_SE_iNS9_4plusIvEENS9_8equal_toIvEEiEE10hipError_tPvRmT2_T3_T4_T5_mT6_T7_P12ihipStream_tbENKUlT_T0_E_clISt17integral_constantIbLb0EESZ_EEDaSU_SV_EUlSU_E_NS1_11comp_targetILNS1_3genE4ELNS1_11target_archE910ELNS1_3gpuE8ELNS1_3repE0EEENS1_30default_config_static_selectorELNS0_4arch9wavefront6targetE0EEEvT1_
                                        ; -- End function
	.set _ZN7rocprim17ROCPRIM_400000_NS6detail17trampoline_kernelINS0_14default_configENS1_27scan_by_key_config_selectorIsiEEZZNS1_16scan_by_key_implILNS1_25lookback_scan_determinismE0ELb1ES3_N6thrust23THRUST_200600_302600_NS6detail15normal_iteratorINS9_10device_ptrIsEEEESE_SE_iNS9_4plusIvEENS9_8equal_toIvEEiEE10hipError_tPvRmT2_T3_T4_T5_mT6_T7_P12ihipStream_tbENKUlT_T0_E_clISt17integral_constantIbLb0EESZ_EEDaSU_SV_EUlSU_E_NS1_11comp_targetILNS1_3genE4ELNS1_11target_archE910ELNS1_3gpuE8ELNS1_3repE0EEENS1_30default_config_static_selectorELNS0_4arch9wavefront6targetE0EEEvT1_.num_vgpr, 0
	.set _ZN7rocprim17ROCPRIM_400000_NS6detail17trampoline_kernelINS0_14default_configENS1_27scan_by_key_config_selectorIsiEEZZNS1_16scan_by_key_implILNS1_25lookback_scan_determinismE0ELb1ES3_N6thrust23THRUST_200600_302600_NS6detail15normal_iteratorINS9_10device_ptrIsEEEESE_SE_iNS9_4plusIvEENS9_8equal_toIvEEiEE10hipError_tPvRmT2_T3_T4_T5_mT6_T7_P12ihipStream_tbENKUlT_T0_E_clISt17integral_constantIbLb0EESZ_EEDaSU_SV_EUlSU_E_NS1_11comp_targetILNS1_3genE4ELNS1_11target_archE910ELNS1_3gpuE8ELNS1_3repE0EEENS1_30default_config_static_selectorELNS0_4arch9wavefront6targetE0EEEvT1_.num_agpr, 0
	.set _ZN7rocprim17ROCPRIM_400000_NS6detail17trampoline_kernelINS0_14default_configENS1_27scan_by_key_config_selectorIsiEEZZNS1_16scan_by_key_implILNS1_25lookback_scan_determinismE0ELb1ES3_N6thrust23THRUST_200600_302600_NS6detail15normal_iteratorINS9_10device_ptrIsEEEESE_SE_iNS9_4plusIvEENS9_8equal_toIvEEiEE10hipError_tPvRmT2_T3_T4_T5_mT6_T7_P12ihipStream_tbENKUlT_T0_E_clISt17integral_constantIbLb0EESZ_EEDaSU_SV_EUlSU_E_NS1_11comp_targetILNS1_3genE4ELNS1_11target_archE910ELNS1_3gpuE8ELNS1_3repE0EEENS1_30default_config_static_selectorELNS0_4arch9wavefront6targetE0EEEvT1_.numbered_sgpr, 0
	.set _ZN7rocprim17ROCPRIM_400000_NS6detail17trampoline_kernelINS0_14default_configENS1_27scan_by_key_config_selectorIsiEEZZNS1_16scan_by_key_implILNS1_25lookback_scan_determinismE0ELb1ES3_N6thrust23THRUST_200600_302600_NS6detail15normal_iteratorINS9_10device_ptrIsEEEESE_SE_iNS9_4plusIvEENS9_8equal_toIvEEiEE10hipError_tPvRmT2_T3_T4_T5_mT6_T7_P12ihipStream_tbENKUlT_T0_E_clISt17integral_constantIbLb0EESZ_EEDaSU_SV_EUlSU_E_NS1_11comp_targetILNS1_3genE4ELNS1_11target_archE910ELNS1_3gpuE8ELNS1_3repE0EEENS1_30default_config_static_selectorELNS0_4arch9wavefront6targetE0EEEvT1_.num_named_barrier, 0
	.set _ZN7rocprim17ROCPRIM_400000_NS6detail17trampoline_kernelINS0_14default_configENS1_27scan_by_key_config_selectorIsiEEZZNS1_16scan_by_key_implILNS1_25lookback_scan_determinismE0ELb1ES3_N6thrust23THRUST_200600_302600_NS6detail15normal_iteratorINS9_10device_ptrIsEEEESE_SE_iNS9_4plusIvEENS9_8equal_toIvEEiEE10hipError_tPvRmT2_T3_T4_T5_mT6_T7_P12ihipStream_tbENKUlT_T0_E_clISt17integral_constantIbLb0EESZ_EEDaSU_SV_EUlSU_E_NS1_11comp_targetILNS1_3genE4ELNS1_11target_archE910ELNS1_3gpuE8ELNS1_3repE0EEENS1_30default_config_static_selectorELNS0_4arch9wavefront6targetE0EEEvT1_.private_seg_size, 0
	.set _ZN7rocprim17ROCPRIM_400000_NS6detail17trampoline_kernelINS0_14default_configENS1_27scan_by_key_config_selectorIsiEEZZNS1_16scan_by_key_implILNS1_25lookback_scan_determinismE0ELb1ES3_N6thrust23THRUST_200600_302600_NS6detail15normal_iteratorINS9_10device_ptrIsEEEESE_SE_iNS9_4plusIvEENS9_8equal_toIvEEiEE10hipError_tPvRmT2_T3_T4_T5_mT6_T7_P12ihipStream_tbENKUlT_T0_E_clISt17integral_constantIbLb0EESZ_EEDaSU_SV_EUlSU_E_NS1_11comp_targetILNS1_3genE4ELNS1_11target_archE910ELNS1_3gpuE8ELNS1_3repE0EEENS1_30default_config_static_selectorELNS0_4arch9wavefront6targetE0EEEvT1_.uses_vcc, 0
	.set _ZN7rocprim17ROCPRIM_400000_NS6detail17trampoline_kernelINS0_14default_configENS1_27scan_by_key_config_selectorIsiEEZZNS1_16scan_by_key_implILNS1_25lookback_scan_determinismE0ELb1ES3_N6thrust23THRUST_200600_302600_NS6detail15normal_iteratorINS9_10device_ptrIsEEEESE_SE_iNS9_4plusIvEENS9_8equal_toIvEEiEE10hipError_tPvRmT2_T3_T4_T5_mT6_T7_P12ihipStream_tbENKUlT_T0_E_clISt17integral_constantIbLb0EESZ_EEDaSU_SV_EUlSU_E_NS1_11comp_targetILNS1_3genE4ELNS1_11target_archE910ELNS1_3gpuE8ELNS1_3repE0EEENS1_30default_config_static_selectorELNS0_4arch9wavefront6targetE0EEEvT1_.uses_flat_scratch, 0
	.set _ZN7rocprim17ROCPRIM_400000_NS6detail17trampoline_kernelINS0_14default_configENS1_27scan_by_key_config_selectorIsiEEZZNS1_16scan_by_key_implILNS1_25lookback_scan_determinismE0ELb1ES3_N6thrust23THRUST_200600_302600_NS6detail15normal_iteratorINS9_10device_ptrIsEEEESE_SE_iNS9_4plusIvEENS9_8equal_toIvEEiEE10hipError_tPvRmT2_T3_T4_T5_mT6_T7_P12ihipStream_tbENKUlT_T0_E_clISt17integral_constantIbLb0EESZ_EEDaSU_SV_EUlSU_E_NS1_11comp_targetILNS1_3genE4ELNS1_11target_archE910ELNS1_3gpuE8ELNS1_3repE0EEENS1_30default_config_static_selectorELNS0_4arch9wavefront6targetE0EEEvT1_.has_dyn_sized_stack, 0
	.set _ZN7rocprim17ROCPRIM_400000_NS6detail17trampoline_kernelINS0_14default_configENS1_27scan_by_key_config_selectorIsiEEZZNS1_16scan_by_key_implILNS1_25lookback_scan_determinismE0ELb1ES3_N6thrust23THRUST_200600_302600_NS6detail15normal_iteratorINS9_10device_ptrIsEEEESE_SE_iNS9_4plusIvEENS9_8equal_toIvEEiEE10hipError_tPvRmT2_T3_T4_T5_mT6_T7_P12ihipStream_tbENKUlT_T0_E_clISt17integral_constantIbLb0EESZ_EEDaSU_SV_EUlSU_E_NS1_11comp_targetILNS1_3genE4ELNS1_11target_archE910ELNS1_3gpuE8ELNS1_3repE0EEENS1_30default_config_static_selectorELNS0_4arch9wavefront6targetE0EEEvT1_.has_recursion, 0
	.set _ZN7rocprim17ROCPRIM_400000_NS6detail17trampoline_kernelINS0_14default_configENS1_27scan_by_key_config_selectorIsiEEZZNS1_16scan_by_key_implILNS1_25lookback_scan_determinismE0ELb1ES3_N6thrust23THRUST_200600_302600_NS6detail15normal_iteratorINS9_10device_ptrIsEEEESE_SE_iNS9_4plusIvEENS9_8equal_toIvEEiEE10hipError_tPvRmT2_T3_T4_T5_mT6_T7_P12ihipStream_tbENKUlT_T0_E_clISt17integral_constantIbLb0EESZ_EEDaSU_SV_EUlSU_E_NS1_11comp_targetILNS1_3genE4ELNS1_11target_archE910ELNS1_3gpuE8ELNS1_3repE0EEENS1_30default_config_static_selectorELNS0_4arch9wavefront6targetE0EEEvT1_.has_indirect_call, 0
	.section	.AMDGPU.csdata,"",@progbits
; Kernel info:
; codeLenInByte = 0
; TotalNumSgprs: 0
; NumVgprs: 0
; ScratchSize: 0
; MemoryBound: 0
; FloatMode: 240
; IeeeMode: 1
; LDSByteSize: 0 bytes/workgroup (compile time only)
; SGPRBlocks: 0
; VGPRBlocks: 0
; NumSGPRsForWavesPerEU: 1
; NumVGPRsForWavesPerEU: 1
; NamedBarCnt: 0
; Occupancy: 16
; WaveLimiterHint : 0
; COMPUTE_PGM_RSRC2:SCRATCH_EN: 0
; COMPUTE_PGM_RSRC2:USER_SGPR: 2
; COMPUTE_PGM_RSRC2:TRAP_HANDLER: 0
; COMPUTE_PGM_RSRC2:TGID_X_EN: 1
; COMPUTE_PGM_RSRC2:TGID_Y_EN: 0
; COMPUTE_PGM_RSRC2:TGID_Z_EN: 0
; COMPUTE_PGM_RSRC2:TIDIG_COMP_CNT: 0
	.section	.text._ZN7rocprim17ROCPRIM_400000_NS6detail17trampoline_kernelINS0_14default_configENS1_27scan_by_key_config_selectorIsiEEZZNS1_16scan_by_key_implILNS1_25lookback_scan_determinismE0ELb1ES3_N6thrust23THRUST_200600_302600_NS6detail15normal_iteratorINS9_10device_ptrIsEEEESE_SE_iNS9_4plusIvEENS9_8equal_toIvEEiEE10hipError_tPvRmT2_T3_T4_T5_mT6_T7_P12ihipStream_tbENKUlT_T0_E_clISt17integral_constantIbLb0EESZ_EEDaSU_SV_EUlSU_E_NS1_11comp_targetILNS1_3genE3ELNS1_11target_archE908ELNS1_3gpuE7ELNS1_3repE0EEENS1_30default_config_static_selectorELNS0_4arch9wavefront6targetE0EEEvT1_,"axG",@progbits,_ZN7rocprim17ROCPRIM_400000_NS6detail17trampoline_kernelINS0_14default_configENS1_27scan_by_key_config_selectorIsiEEZZNS1_16scan_by_key_implILNS1_25lookback_scan_determinismE0ELb1ES3_N6thrust23THRUST_200600_302600_NS6detail15normal_iteratorINS9_10device_ptrIsEEEESE_SE_iNS9_4plusIvEENS9_8equal_toIvEEiEE10hipError_tPvRmT2_T3_T4_T5_mT6_T7_P12ihipStream_tbENKUlT_T0_E_clISt17integral_constantIbLb0EESZ_EEDaSU_SV_EUlSU_E_NS1_11comp_targetILNS1_3genE3ELNS1_11target_archE908ELNS1_3gpuE7ELNS1_3repE0EEENS1_30default_config_static_selectorELNS0_4arch9wavefront6targetE0EEEvT1_,comdat
	.protected	_ZN7rocprim17ROCPRIM_400000_NS6detail17trampoline_kernelINS0_14default_configENS1_27scan_by_key_config_selectorIsiEEZZNS1_16scan_by_key_implILNS1_25lookback_scan_determinismE0ELb1ES3_N6thrust23THRUST_200600_302600_NS6detail15normal_iteratorINS9_10device_ptrIsEEEESE_SE_iNS9_4plusIvEENS9_8equal_toIvEEiEE10hipError_tPvRmT2_T3_T4_T5_mT6_T7_P12ihipStream_tbENKUlT_T0_E_clISt17integral_constantIbLb0EESZ_EEDaSU_SV_EUlSU_E_NS1_11comp_targetILNS1_3genE3ELNS1_11target_archE908ELNS1_3gpuE7ELNS1_3repE0EEENS1_30default_config_static_selectorELNS0_4arch9wavefront6targetE0EEEvT1_ ; -- Begin function _ZN7rocprim17ROCPRIM_400000_NS6detail17trampoline_kernelINS0_14default_configENS1_27scan_by_key_config_selectorIsiEEZZNS1_16scan_by_key_implILNS1_25lookback_scan_determinismE0ELb1ES3_N6thrust23THRUST_200600_302600_NS6detail15normal_iteratorINS9_10device_ptrIsEEEESE_SE_iNS9_4plusIvEENS9_8equal_toIvEEiEE10hipError_tPvRmT2_T3_T4_T5_mT6_T7_P12ihipStream_tbENKUlT_T0_E_clISt17integral_constantIbLb0EESZ_EEDaSU_SV_EUlSU_E_NS1_11comp_targetILNS1_3genE3ELNS1_11target_archE908ELNS1_3gpuE7ELNS1_3repE0EEENS1_30default_config_static_selectorELNS0_4arch9wavefront6targetE0EEEvT1_
	.globl	_ZN7rocprim17ROCPRIM_400000_NS6detail17trampoline_kernelINS0_14default_configENS1_27scan_by_key_config_selectorIsiEEZZNS1_16scan_by_key_implILNS1_25lookback_scan_determinismE0ELb1ES3_N6thrust23THRUST_200600_302600_NS6detail15normal_iteratorINS9_10device_ptrIsEEEESE_SE_iNS9_4plusIvEENS9_8equal_toIvEEiEE10hipError_tPvRmT2_T3_T4_T5_mT6_T7_P12ihipStream_tbENKUlT_T0_E_clISt17integral_constantIbLb0EESZ_EEDaSU_SV_EUlSU_E_NS1_11comp_targetILNS1_3genE3ELNS1_11target_archE908ELNS1_3gpuE7ELNS1_3repE0EEENS1_30default_config_static_selectorELNS0_4arch9wavefront6targetE0EEEvT1_
	.p2align	8
	.type	_ZN7rocprim17ROCPRIM_400000_NS6detail17trampoline_kernelINS0_14default_configENS1_27scan_by_key_config_selectorIsiEEZZNS1_16scan_by_key_implILNS1_25lookback_scan_determinismE0ELb1ES3_N6thrust23THRUST_200600_302600_NS6detail15normal_iteratorINS9_10device_ptrIsEEEESE_SE_iNS9_4plusIvEENS9_8equal_toIvEEiEE10hipError_tPvRmT2_T3_T4_T5_mT6_T7_P12ihipStream_tbENKUlT_T0_E_clISt17integral_constantIbLb0EESZ_EEDaSU_SV_EUlSU_E_NS1_11comp_targetILNS1_3genE3ELNS1_11target_archE908ELNS1_3gpuE7ELNS1_3repE0EEENS1_30default_config_static_selectorELNS0_4arch9wavefront6targetE0EEEvT1_,@function
_ZN7rocprim17ROCPRIM_400000_NS6detail17trampoline_kernelINS0_14default_configENS1_27scan_by_key_config_selectorIsiEEZZNS1_16scan_by_key_implILNS1_25lookback_scan_determinismE0ELb1ES3_N6thrust23THRUST_200600_302600_NS6detail15normal_iteratorINS9_10device_ptrIsEEEESE_SE_iNS9_4plusIvEENS9_8equal_toIvEEiEE10hipError_tPvRmT2_T3_T4_T5_mT6_T7_P12ihipStream_tbENKUlT_T0_E_clISt17integral_constantIbLb0EESZ_EEDaSU_SV_EUlSU_E_NS1_11comp_targetILNS1_3genE3ELNS1_11target_archE908ELNS1_3gpuE7ELNS1_3repE0EEENS1_30default_config_static_selectorELNS0_4arch9wavefront6targetE0EEEvT1_: ; @_ZN7rocprim17ROCPRIM_400000_NS6detail17trampoline_kernelINS0_14default_configENS1_27scan_by_key_config_selectorIsiEEZZNS1_16scan_by_key_implILNS1_25lookback_scan_determinismE0ELb1ES3_N6thrust23THRUST_200600_302600_NS6detail15normal_iteratorINS9_10device_ptrIsEEEESE_SE_iNS9_4plusIvEENS9_8equal_toIvEEiEE10hipError_tPvRmT2_T3_T4_T5_mT6_T7_P12ihipStream_tbENKUlT_T0_E_clISt17integral_constantIbLb0EESZ_EEDaSU_SV_EUlSU_E_NS1_11comp_targetILNS1_3genE3ELNS1_11target_archE908ELNS1_3gpuE7ELNS1_3repE0EEENS1_30default_config_static_selectorELNS0_4arch9wavefront6targetE0EEEvT1_
; %bb.0:
	.section	.rodata,"a",@progbits
	.p2align	6, 0x0
	.amdhsa_kernel _ZN7rocprim17ROCPRIM_400000_NS6detail17trampoline_kernelINS0_14default_configENS1_27scan_by_key_config_selectorIsiEEZZNS1_16scan_by_key_implILNS1_25lookback_scan_determinismE0ELb1ES3_N6thrust23THRUST_200600_302600_NS6detail15normal_iteratorINS9_10device_ptrIsEEEESE_SE_iNS9_4plusIvEENS9_8equal_toIvEEiEE10hipError_tPvRmT2_T3_T4_T5_mT6_T7_P12ihipStream_tbENKUlT_T0_E_clISt17integral_constantIbLb0EESZ_EEDaSU_SV_EUlSU_E_NS1_11comp_targetILNS1_3genE3ELNS1_11target_archE908ELNS1_3gpuE7ELNS1_3repE0EEENS1_30default_config_static_selectorELNS0_4arch9wavefront6targetE0EEEvT1_
		.amdhsa_group_segment_fixed_size 0
		.amdhsa_private_segment_fixed_size 0
		.amdhsa_kernarg_size 112
		.amdhsa_user_sgpr_count 2
		.amdhsa_user_sgpr_dispatch_ptr 0
		.amdhsa_user_sgpr_queue_ptr 0
		.amdhsa_user_sgpr_kernarg_segment_ptr 1
		.amdhsa_user_sgpr_dispatch_id 0
		.amdhsa_user_sgpr_kernarg_preload_length 0
		.amdhsa_user_sgpr_kernarg_preload_offset 0
		.amdhsa_user_sgpr_private_segment_size 0
		.amdhsa_wavefront_size32 1
		.amdhsa_uses_dynamic_stack 0
		.amdhsa_enable_private_segment 0
		.amdhsa_system_sgpr_workgroup_id_x 1
		.amdhsa_system_sgpr_workgroup_id_y 0
		.amdhsa_system_sgpr_workgroup_id_z 0
		.amdhsa_system_sgpr_workgroup_info 0
		.amdhsa_system_vgpr_workitem_id 0
		.amdhsa_next_free_vgpr 1
		.amdhsa_next_free_sgpr 1
		.amdhsa_named_barrier_count 0
		.amdhsa_reserve_vcc 0
		.amdhsa_float_round_mode_32 0
		.amdhsa_float_round_mode_16_64 0
		.amdhsa_float_denorm_mode_32 3
		.amdhsa_float_denorm_mode_16_64 3
		.amdhsa_fp16_overflow 0
		.amdhsa_memory_ordered 1
		.amdhsa_forward_progress 1
		.amdhsa_inst_pref_size 0
		.amdhsa_round_robin_scheduling 0
		.amdhsa_exception_fp_ieee_invalid_op 0
		.amdhsa_exception_fp_denorm_src 0
		.amdhsa_exception_fp_ieee_div_zero 0
		.amdhsa_exception_fp_ieee_overflow 0
		.amdhsa_exception_fp_ieee_underflow 0
		.amdhsa_exception_fp_ieee_inexact 0
		.amdhsa_exception_int_div_zero 0
	.end_amdhsa_kernel
	.section	.text._ZN7rocprim17ROCPRIM_400000_NS6detail17trampoline_kernelINS0_14default_configENS1_27scan_by_key_config_selectorIsiEEZZNS1_16scan_by_key_implILNS1_25lookback_scan_determinismE0ELb1ES3_N6thrust23THRUST_200600_302600_NS6detail15normal_iteratorINS9_10device_ptrIsEEEESE_SE_iNS9_4plusIvEENS9_8equal_toIvEEiEE10hipError_tPvRmT2_T3_T4_T5_mT6_T7_P12ihipStream_tbENKUlT_T0_E_clISt17integral_constantIbLb0EESZ_EEDaSU_SV_EUlSU_E_NS1_11comp_targetILNS1_3genE3ELNS1_11target_archE908ELNS1_3gpuE7ELNS1_3repE0EEENS1_30default_config_static_selectorELNS0_4arch9wavefront6targetE0EEEvT1_,"axG",@progbits,_ZN7rocprim17ROCPRIM_400000_NS6detail17trampoline_kernelINS0_14default_configENS1_27scan_by_key_config_selectorIsiEEZZNS1_16scan_by_key_implILNS1_25lookback_scan_determinismE0ELb1ES3_N6thrust23THRUST_200600_302600_NS6detail15normal_iteratorINS9_10device_ptrIsEEEESE_SE_iNS9_4plusIvEENS9_8equal_toIvEEiEE10hipError_tPvRmT2_T3_T4_T5_mT6_T7_P12ihipStream_tbENKUlT_T0_E_clISt17integral_constantIbLb0EESZ_EEDaSU_SV_EUlSU_E_NS1_11comp_targetILNS1_3genE3ELNS1_11target_archE908ELNS1_3gpuE7ELNS1_3repE0EEENS1_30default_config_static_selectorELNS0_4arch9wavefront6targetE0EEEvT1_,comdat
.Lfunc_end1046:
	.size	_ZN7rocprim17ROCPRIM_400000_NS6detail17trampoline_kernelINS0_14default_configENS1_27scan_by_key_config_selectorIsiEEZZNS1_16scan_by_key_implILNS1_25lookback_scan_determinismE0ELb1ES3_N6thrust23THRUST_200600_302600_NS6detail15normal_iteratorINS9_10device_ptrIsEEEESE_SE_iNS9_4plusIvEENS9_8equal_toIvEEiEE10hipError_tPvRmT2_T3_T4_T5_mT6_T7_P12ihipStream_tbENKUlT_T0_E_clISt17integral_constantIbLb0EESZ_EEDaSU_SV_EUlSU_E_NS1_11comp_targetILNS1_3genE3ELNS1_11target_archE908ELNS1_3gpuE7ELNS1_3repE0EEENS1_30default_config_static_selectorELNS0_4arch9wavefront6targetE0EEEvT1_, .Lfunc_end1046-_ZN7rocprim17ROCPRIM_400000_NS6detail17trampoline_kernelINS0_14default_configENS1_27scan_by_key_config_selectorIsiEEZZNS1_16scan_by_key_implILNS1_25lookback_scan_determinismE0ELb1ES3_N6thrust23THRUST_200600_302600_NS6detail15normal_iteratorINS9_10device_ptrIsEEEESE_SE_iNS9_4plusIvEENS9_8equal_toIvEEiEE10hipError_tPvRmT2_T3_T4_T5_mT6_T7_P12ihipStream_tbENKUlT_T0_E_clISt17integral_constantIbLb0EESZ_EEDaSU_SV_EUlSU_E_NS1_11comp_targetILNS1_3genE3ELNS1_11target_archE908ELNS1_3gpuE7ELNS1_3repE0EEENS1_30default_config_static_selectorELNS0_4arch9wavefront6targetE0EEEvT1_
                                        ; -- End function
	.set _ZN7rocprim17ROCPRIM_400000_NS6detail17trampoline_kernelINS0_14default_configENS1_27scan_by_key_config_selectorIsiEEZZNS1_16scan_by_key_implILNS1_25lookback_scan_determinismE0ELb1ES3_N6thrust23THRUST_200600_302600_NS6detail15normal_iteratorINS9_10device_ptrIsEEEESE_SE_iNS9_4plusIvEENS9_8equal_toIvEEiEE10hipError_tPvRmT2_T3_T4_T5_mT6_T7_P12ihipStream_tbENKUlT_T0_E_clISt17integral_constantIbLb0EESZ_EEDaSU_SV_EUlSU_E_NS1_11comp_targetILNS1_3genE3ELNS1_11target_archE908ELNS1_3gpuE7ELNS1_3repE0EEENS1_30default_config_static_selectorELNS0_4arch9wavefront6targetE0EEEvT1_.num_vgpr, 0
	.set _ZN7rocprim17ROCPRIM_400000_NS6detail17trampoline_kernelINS0_14default_configENS1_27scan_by_key_config_selectorIsiEEZZNS1_16scan_by_key_implILNS1_25lookback_scan_determinismE0ELb1ES3_N6thrust23THRUST_200600_302600_NS6detail15normal_iteratorINS9_10device_ptrIsEEEESE_SE_iNS9_4plusIvEENS9_8equal_toIvEEiEE10hipError_tPvRmT2_T3_T4_T5_mT6_T7_P12ihipStream_tbENKUlT_T0_E_clISt17integral_constantIbLb0EESZ_EEDaSU_SV_EUlSU_E_NS1_11comp_targetILNS1_3genE3ELNS1_11target_archE908ELNS1_3gpuE7ELNS1_3repE0EEENS1_30default_config_static_selectorELNS0_4arch9wavefront6targetE0EEEvT1_.num_agpr, 0
	.set _ZN7rocprim17ROCPRIM_400000_NS6detail17trampoline_kernelINS0_14default_configENS1_27scan_by_key_config_selectorIsiEEZZNS1_16scan_by_key_implILNS1_25lookback_scan_determinismE0ELb1ES3_N6thrust23THRUST_200600_302600_NS6detail15normal_iteratorINS9_10device_ptrIsEEEESE_SE_iNS9_4plusIvEENS9_8equal_toIvEEiEE10hipError_tPvRmT2_T3_T4_T5_mT6_T7_P12ihipStream_tbENKUlT_T0_E_clISt17integral_constantIbLb0EESZ_EEDaSU_SV_EUlSU_E_NS1_11comp_targetILNS1_3genE3ELNS1_11target_archE908ELNS1_3gpuE7ELNS1_3repE0EEENS1_30default_config_static_selectorELNS0_4arch9wavefront6targetE0EEEvT1_.numbered_sgpr, 0
	.set _ZN7rocprim17ROCPRIM_400000_NS6detail17trampoline_kernelINS0_14default_configENS1_27scan_by_key_config_selectorIsiEEZZNS1_16scan_by_key_implILNS1_25lookback_scan_determinismE0ELb1ES3_N6thrust23THRUST_200600_302600_NS6detail15normal_iteratorINS9_10device_ptrIsEEEESE_SE_iNS9_4plusIvEENS9_8equal_toIvEEiEE10hipError_tPvRmT2_T3_T4_T5_mT6_T7_P12ihipStream_tbENKUlT_T0_E_clISt17integral_constantIbLb0EESZ_EEDaSU_SV_EUlSU_E_NS1_11comp_targetILNS1_3genE3ELNS1_11target_archE908ELNS1_3gpuE7ELNS1_3repE0EEENS1_30default_config_static_selectorELNS0_4arch9wavefront6targetE0EEEvT1_.num_named_barrier, 0
	.set _ZN7rocprim17ROCPRIM_400000_NS6detail17trampoline_kernelINS0_14default_configENS1_27scan_by_key_config_selectorIsiEEZZNS1_16scan_by_key_implILNS1_25lookback_scan_determinismE0ELb1ES3_N6thrust23THRUST_200600_302600_NS6detail15normal_iteratorINS9_10device_ptrIsEEEESE_SE_iNS9_4plusIvEENS9_8equal_toIvEEiEE10hipError_tPvRmT2_T3_T4_T5_mT6_T7_P12ihipStream_tbENKUlT_T0_E_clISt17integral_constantIbLb0EESZ_EEDaSU_SV_EUlSU_E_NS1_11comp_targetILNS1_3genE3ELNS1_11target_archE908ELNS1_3gpuE7ELNS1_3repE0EEENS1_30default_config_static_selectorELNS0_4arch9wavefront6targetE0EEEvT1_.private_seg_size, 0
	.set _ZN7rocprim17ROCPRIM_400000_NS6detail17trampoline_kernelINS0_14default_configENS1_27scan_by_key_config_selectorIsiEEZZNS1_16scan_by_key_implILNS1_25lookback_scan_determinismE0ELb1ES3_N6thrust23THRUST_200600_302600_NS6detail15normal_iteratorINS9_10device_ptrIsEEEESE_SE_iNS9_4plusIvEENS9_8equal_toIvEEiEE10hipError_tPvRmT2_T3_T4_T5_mT6_T7_P12ihipStream_tbENKUlT_T0_E_clISt17integral_constantIbLb0EESZ_EEDaSU_SV_EUlSU_E_NS1_11comp_targetILNS1_3genE3ELNS1_11target_archE908ELNS1_3gpuE7ELNS1_3repE0EEENS1_30default_config_static_selectorELNS0_4arch9wavefront6targetE0EEEvT1_.uses_vcc, 0
	.set _ZN7rocprim17ROCPRIM_400000_NS6detail17trampoline_kernelINS0_14default_configENS1_27scan_by_key_config_selectorIsiEEZZNS1_16scan_by_key_implILNS1_25lookback_scan_determinismE0ELb1ES3_N6thrust23THRUST_200600_302600_NS6detail15normal_iteratorINS9_10device_ptrIsEEEESE_SE_iNS9_4plusIvEENS9_8equal_toIvEEiEE10hipError_tPvRmT2_T3_T4_T5_mT6_T7_P12ihipStream_tbENKUlT_T0_E_clISt17integral_constantIbLb0EESZ_EEDaSU_SV_EUlSU_E_NS1_11comp_targetILNS1_3genE3ELNS1_11target_archE908ELNS1_3gpuE7ELNS1_3repE0EEENS1_30default_config_static_selectorELNS0_4arch9wavefront6targetE0EEEvT1_.uses_flat_scratch, 0
	.set _ZN7rocprim17ROCPRIM_400000_NS6detail17trampoline_kernelINS0_14default_configENS1_27scan_by_key_config_selectorIsiEEZZNS1_16scan_by_key_implILNS1_25lookback_scan_determinismE0ELb1ES3_N6thrust23THRUST_200600_302600_NS6detail15normal_iteratorINS9_10device_ptrIsEEEESE_SE_iNS9_4plusIvEENS9_8equal_toIvEEiEE10hipError_tPvRmT2_T3_T4_T5_mT6_T7_P12ihipStream_tbENKUlT_T0_E_clISt17integral_constantIbLb0EESZ_EEDaSU_SV_EUlSU_E_NS1_11comp_targetILNS1_3genE3ELNS1_11target_archE908ELNS1_3gpuE7ELNS1_3repE0EEENS1_30default_config_static_selectorELNS0_4arch9wavefront6targetE0EEEvT1_.has_dyn_sized_stack, 0
	.set _ZN7rocprim17ROCPRIM_400000_NS6detail17trampoline_kernelINS0_14default_configENS1_27scan_by_key_config_selectorIsiEEZZNS1_16scan_by_key_implILNS1_25lookback_scan_determinismE0ELb1ES3_N6thrust23THRUST_200600_302600_NS6detail15normal_iteratorINS9_10device_ptrIsEEEESE_SE_iNS9_4plusIvEENS9_8equal_toIvEEiEE10hipError_tPvRmT2_T3_T4_T5_mT6_T7_P12ihipStream_tbENKUlT_T0_E_clISt17integral_constantIbLb0EESZ_EEDaSU_SV_EUlSU_E_NS1_11comp_targetILNS1_3genE3ELNS1_11target_archE908ELNS1_3gpuE7ELNS1_3repE0EEENS1_30default_config_static_selectorELNS0_4arch9wavefront6targetE0EEEvT1_.has_recursion, 0
	.set _ZN7rocprim17ROCPRIM_400000_NS6detail17trampoline_kernelINS0_14default_configENS1_27scan_by_key_config_selectorIsiEEZZNS1_16scan_by_key_implILNS1_25lookback_scan_determinismE0ELb1ES3_N6thrust23THRUST_200600_302600_NS6detail15normal_iteratorINS9_10device_ptrIsEEEESE_SE_iNS9_4plusIvEENS9_8equal_toIvEEiEE10hipError_tPvRmT2_T3_T4_T5_mT6_T7_P12ihipStream_tbENKUlT_T0_E_clISt17integral_constantIbLb0EESZ_EEDaSU_SV_EUlSU_E_NS1_11comp_targetILNS1_3genE3ELNS1_11target_archE908ELNS1_3gpuE7ELNS1_3repE0EEENS1_30default_config_static_selectorELNS0_4arch9wavefront6targetE0EEEvT1_.has_indirect_call, 0
	.section	.AMDGPU.csdata,"",@progbits
; Kernel info:
; codeLenInByte = 0
; TotalNumSgprs: 0
; NumVgprs: 0
; ScratchSize: 0
; MemoryBound: 0
; FloatMode: 240
; IeeeMode: 1
; LDSByteSize: 0 bytes/workgroup (compile time only)
; SGPRBlocks: 0
; VGPRBlocks: 0
; NumSGPRsForWavesPerEU: 1
; NumVGPRsForWavesPerEU: 1
; NamedBarCnt: 0
; Occupancy: 16
; WaveLimiterHint : 0
; COMPUTE_PGM_RSRC2:SCRATCH_EN: 0
; COMPUTE_PGM_RSRC2:USER_SGPR: 2
; COMPUTE_PGM_RSRC2:TRAP_HANDLER: 0
; COMPUTE_PGM_RSRC2:TGID_X_EN: 1
; COMPUTE_PGM_RSRC2:TGID_Y_EN: 0
; COMPUTE_PGM_RSRC2:TGID_Z_EN: 0
; COMPUTE_PGM_RSRC2:TIDIG_COMP_CNT: 0
	.section	.text._ZN7rocprim17ROCPRIM_400000_NS6detail17trampoline_kernelINS0_14default_configENS1_27scan_by_key_config_selectorIsiEEZZNS1_16scan_by_key_implILNS1_25lookback_scan_determinismE0ELb1ES3_N6thrust23THRUST_200600_302600_NS6detail15normal_iteratorINS9_10device_ptrIsEEEESE_SE_iNS9_4plusIvEENS9_8equal_toIvEEiEE10hipError_tPvRmT2_T3_T4_T5_mT6_T7_P12ihipStream_tbENKUlT_T0_E_clISt17integral_constantIbLb0EESZ_EEDaSU_SV_EUlSU_E_NS1_11comp_targetILNS1_3genE2ELNS1_11target_archE906ELNS1_3gpuE6ELNS1_3repE0EEENS1_30default_config_static_selectorELNS0_4arch9wavefront6targetE0EEEvT1_,"axG",@progbits,_ZN7rocprim17ROCPRIM_400000_NS6detail17trampoline_kernelINS0_14default_configENS1_27scan_by_key_config_selectorIsiEEZZNS1_16scan_by_key_implILNS1_25lookback_scan_determinismE0ELb1ES3_N6thrust23THRUST_200600_302600_NS6detail15normal_iteratorINS9_10device_ptrIsEEEESE_SE_iNS9_4plusIvEENS9_8equal_toIvEEiEE10hipError_tPvRmT2_T3_T4_T5_mT6_T7_P12ihipStream_tbENKUlT_T0_E_clISt17integral_constantIbLb0EESZ_EEDaSU_SV_EUlSU_E_NS1_11comp_targetILNS1_3genE2ELNS1_11target_archE906ELNS1_3gpuE6ELNS1_3repE0EEENS1_30default_config_static_selectorELNS0_4arch9wavefront6targetE0EEEvT1_,comdat
	.protected	_ZN7rocprim17ROCPRIM_400000_NS6detail17trampoline_kernelINS0_14default_configENS1_27scan_by_key_config_selectorIsiEEZZNS1_16scan_by_key_implILNS1_25lookback_scan_determinismE0ELb1ES3_N6thrust23THRUST_200600_302600_NS6detail15normal_iteratorINS9_10device_ptrIsEEEESE_SE_iNS9_4plusIvEENS9_8equal_toIvEEiEE10hipError_tPvRmT2_T3_T4_T5_mT6_T7_P12ihipStream_tbENKUlT_T0_E_clISt17integral_constantIbLb0EESZ_EEDaSU_SV_EUlSU_E_NS1_11comp_targetILNS1_3genE2ELNS1_11target_archE906ELNS1_3gpuE6ELNS1_3repE0EEENS1_30default_config_static_selectorELNS0_4arch9wavefront6targetE0EEEvT1_ ; -- Begin function _ZN7rocprim17ROCPRIM_400000_NS6detail17trampoline_kernelINS0_14default_configENS1_27scan_by_key_config_selectorIsiEEZZNS1_16scan_by_key_implILNS1_25lookback_scan_determinismE0ELb1ES3_N6thrust23THRUST_200600_302600_NS6detail15normal_iteratorINS9_10device_ptrIsEEEESE_SE_iNS9_4plusIvEENS9_8equal_toIvEEiEE10hipError_tPvRmT2_T3_T4_T5_mT6_T7_P12ihipStream_tbENKUlT_T0_E_clISt17integral_constantIbLb0EESZ_EEDaSU_SV_EUlSU_E_NS1_11comp_targetILNS1_3genE2ELNS1_11target_archE906ELNS1_3gpuE6ELNS1_3repE0EEENS1_30default_config_static_selectorELNS0_4arch9wavefront6targetE0EEEvT1_
	.globl	_ZN7rocprim17ROCPRIM_400000_NS6detail17trampoline_kernelINS0_14default_configENS1_27scan_by_key_config_selectorIsiEEZZNS1_16scan_by_key_implILNS1_25lookback_scan_determinismE0ELb1ES3_N6thrust23THRUST_200600_302600_NS6detail15normal_iteratorINS9_10device_ptrIsEEEESE_SE_iNS9_4plusIvEENS9_8equal_toIvEEiEE10hipError_tPvRmT2_T3_T4_T5_mT6_T7_P12ihipStream_tbENKUlT_T0_E_clISt17integral_constantIbLb0EESZ_EEDaSU_SV_EUlSU_E_NS1_11comp_targetILNS1_3genE2ELNS1_11target_archE906ELNS1_3gpuE6ELNS1_3repE0EEENS1_30default_config_static_selectorELNS0_4arch9wavefront6targetE0EEEvT1_
	.p2align	8
	.type	_ZN7rocprim17ROCPRIM_400000_NS6detail17trampoline_kernelINS0_14default_configENS1_27scan_by_key_config_selectorIsiEEZZNS1_16scan_by_key_implILNS1_25lookback_scan_determinismE0ELb1ES3_N6thrust23THRUST_200600_302600_NS6detail15normal_iteratorINS9_10device_ptrIsEEEESE_SE_iNS9_4plusIvEENS9_8equal_toIvEEiEE10hipError_tPvRmT2_T3_T4_T5_mT6_T7_P12ihipStream_tbENKUlT_T0_E_clISt17integral_constantIbLb0EESZ_EEDaSU_SV_EUlSU_E_NS1_11comp_targetILNS1_3genE2ELNS1_11target_archE906ELNS1_3gpuE6ELNS1_3repE0EEENS1_30default_config_static_selectorELNS0_4arch9wavefront6targetE0EEEvT1_,@function
_ZN7rocprim17ROCPRIM_400000_NS6detail17trampoline_kernelINS0_14default_configENS1_27scan_by_key_config_selectorIsiEEZZNS1_16scan_by_key_implILNS1_25lookback_scan_determinismE0ELb1ES3_N6thrust23THRUST_200600_302600_NS6detail15normal_iteratorINS9_10device_ptrIsEEEESE_SE_iNS9_4plusIvEENS9_8equal_toIvEEiEE10hipError_tPvRmT2_T3_T4_T5_mT6_T7_P12ihipStream_tbENKUlT_T0_E_clISt17integral_constantIbLb0EESZ_EEDaSU_SV_EUlSU_E_NS1_11comp_targetILNS1_3genE2ELNS1_11target_archE906ELNS1_3gpuE6ELNS1_3repE0EEENS1_30default_config_static_selectorELNS0_4arch9wavefront6targetE0EEEvT1_: ; @_ZN7rocprim17ROCPRIM_400000_NS6detail17trampoline_kernelINS0_14default_configENS1_27scan_by_key_config_selectorIsiEEZZNS1_16scan_by_key_implILNS1_25lookback_scan_determinismE0ELb1ES3_N6thrust23THRUST_200600_302600_NS6detail15normal_iteratorINS9_10device_ptrIsEEEESE_SE_iNS9_4plusIvEENS9_8equal_toIvEEiEE10hipError_tPvRmT2_T3_T4_T5_mT6_T7_P12ihipStream_tbENKUlT_T0_E_clISt17integral_constantIbLb0EESZ_EEDaSU_SV_EUlSU_E_NS1_11comp_targetILNS1_3genE2ELNS1_11target_archE906ELNS1_3gpuE6ELNS1_3repE0EEENS1_30default_config_static_selectorELNS0_4arch9wavefront6targetE0EEEvT1_
; %bb.0:
	.section	.rodata,"a",@progbits
	.p2align	6, 0x0
	.amdhsa_kernel _ZN7rocprim17ROCPRIM_400000_NS6detail17trampoline_kernelINS0_14default_configENS1_27scan_by_key_config_selectorIsiEEZZNS1_16scan_by_key_implILNS1_25lookback_scan_determinismE0ELb1ES3_N6thrust23THRUST_200600_302600_NS6detail15normal_iteratorINS9_10device_ptrIsEEEESE_SE_iNS9_4plusIvEENS9_8equal_toIvEEiEE10hipError_tPvRmT2_T3_T4_T5_mT6_T7_P12ihipStream_tbENKUlT_T0_E_clISt17integral_constantIbLb0EESZ_EEDaSU_SV_EUlSU_E_NS1_11comp_targetILNS1_3genE2ELNS1_11target_archE906ELNS1_3gpuE6ELNS1_3repE0EEENS1_30default_config_static_selectorELNS0_4arch9wavefront6targetE0EEEvT1_
		.amdhsa_group_segment_fixed_size 0
		.amdhsa_private_segment_fixed_size 0
		.amdhsa_kernarg_size 112
		.amdhsa_user_sgpr_count 2
		.amdhsa_user_sgpr_dispatch_ptr 0
		.amdhsa_user_sgpr_queue_ptr 0
		.amdhsa_user_sgpr_kernarg_segment_ptr 1
		.amdhsa_user_sgpr_dispatch_id 0
		.amdhsa_user_sgpr_kernarg_preload_length 0
		.amdhsa_user_sgpr_kernarg_preload_offset 0
		.amdhsa_user_sgpr_private_segment_size 0
		.amdhsa_wavefront_size32 1
		.amdhsa_uses_dynamic_stack 0
		.amdhsa_enable_private_segment 0
		.amdhsa_system_sgpr_workgroup_id_x 1
		.amdhsa_system_sgpr_workgroup_id_y 0
		.amdhsa_system_sgpr_workgroup_id_z 0
		.amdhsa_system_sgpr_workgroup_info 0
		.amdhsa_system_vgpr_workitem_id 0
		.amdhsa_next_free_vgpr 1
		.amdhsa_next_free_sgpr 1
		.amdhsa_named_barrier_count 0
		.amdhsa_reserve_vcc 0
		.amdhsa_float_round_mode_32 0
		.amdhsa_float_round_mode_16_64 0
		.amdhsa_float_denorm_mode_32 3
		.amdhsa_float_denorm_mode_16_64 3
		.amdhsa_fp16_overflow 0
		.amdhsa_memory_ordered 1
		.amdhsa_forward_progress 1
		.amdhsa_inst_pref_size 0
		.amdhsa_round_robin_scheduling 0
		.amdhsa_exception_fp_ieee_invalid_op 0
		.amdhsa_exception_fp_denorm_src 0
		.amdhsa_exception_fp_ieee_div_zero 0
		.amdhsa_exception_fp_ieee_overflow 0
		.amdhsa_exception_fp_ieee_underflow 0
		.amdhsa_exception_fp_ieee_inexact 0
		.amdhsa_exception_int_div_zero 0
	.end_amdhsa_kernel
	.section	.text._ZN7rocprim17ROCPRIM_400000_NS6detail17trampoline_kernelINS0_14default_configENS1_27scan_by_key_config_selectorIsiEEZZNS1_16scan_by_key_implILNS1_25lookback_scan_determinismE0ELb1ES3_N6thrust23THRUST_200600_302600_NS6detail15normal_iteratorINS9_10device_ptrIsEEEESE_SE_iNS9_4plusIvEENS9_8equal_toIvEEiEE10hipError_tPvRmT2_T3_T4_T5_mT6_T7_P12ihipStream_tbENKUlT_T0_E_clISt17integral_constantIbLb0EESZ_EEDaSU_SV_EUlSU_E_NS1_11comp_targetILNS1_3genE2ELNS1_11target_archE906ELNS1_3gpuE6ELNS1_3repE0EEENS1_30default_config_static_selectorELNS0_4arch9wavefront6targetE0EEEvT1_,"axG",@progbits,_ZN7rocprim17ROCPRIM_400000_NS6detail17trampoline_kernelINS0_14default_configENS1_27scan_by_key_config_selectorIsiEEZZNS1_16scan_by_key_implILNS1_25lookback_scan_determinismE0ELb1ES3_N6thrust23THRUST_200600_302600_NS6detail15normal_iteratorINS9_10device_ptrIsEEEESE_SE_iNS9_4plusIvEENS9_8equal_toIvEEiEE10hipError_tPvRmT2_T3_T4_T5_mT6_T7_P12ihipStream_tbENKUlT_T0_E_clISt17integral_constantIbLb0EESZ_EEDaSU_SV_EUlSU_E_NS1_11comp_targetILNS1_3genE2ELNS1_11target_archE906ELNS1_3gpuE6ELNS1_3repE0EEENS1_30default_config_static_selectorELNS0_4arch9wavefront6targetE0EEEvT1_,comdat
.Lfunc_end1047:
	.size	_ZN7rocprim17ROCPRIM_400000_NS6detail17trampoline_kernelINS0_14default_configENS1_27scan_by_key_config_selectorIsiEEZZNS1_16scan_by_key_implILNS1_25lookback_scan_determinismE0ELb1ES3_N6thrust23THRUST_200600_302600_NS6detail15normal_iteratorINS9_10device_ptrIsEEEESE_SE_iNS9_4plusIvEENS9_8equal_toIvEEiEE10hipError_tPvRmT2_T3_T4_T5_mT6_T7_P12ihipStream_tbENKUlT_T0_E_clISt17integral_constantIbLb0EESZ_EEDaSU_SV_EUlSU_E_NS1_11comp_targetILNS1_3genE2ELNS1_11target_archE906ELNS1_3gpuE6ELNS1_3repE0EEENS1_30default_config_static_selectorELNS0_4arch9wavefront6targetE0EEEvT1_, .Lfunc_end1047-_ZN7rocprim17ROCPRIM_400000_NS6detail17trampoline_kernelINS0_14default_configENS1_27scan_by_key_config_selectorIsiEEZZNS1_16scan_by_key_implILNS1_25lookback_scan_determinismE0ELb1ES3_N6thrust23THRUST_200600_302600_NS6detail15normal_iteratorINS9_10device_ptrIsEEEESE_SE_iNS9_4plusIvEENS9_8equal_toIvEEiEE10hipError_tPvRmT2_T3_T4_T5_mT6_T7_P12ihipStream_tbENKUlT_T0_E_clISt17integral_constantIbLb0EESZ_EEDaSU_SV_EUlSU_E_NS1_11comp_targetILNS1_3genE2ELNS1_11target_archE906ELNS1_3gpuE6ELNS1_3repE0EEENS1_30default_config_static_selectorELNS0_4arch9wavefront6targetE0EEEvT1_
                                        ; -- End function
	.set _ZN7rocprim17ROCPRIM_400000_NS6detail17trampoline_kernelINS0_14default_configENS1_27scan_by_key_config_selectorIsiEEZZNS1_16scan_by_key_implILNS1_25lookback_scan_determinismE0ELb1ES3_N6thrust23THRUST_200600_302600_NS6detail15normal_iteratorINS9_10device_ptrIsEEEESE_SE_iNS9_4plusIvEENS9_8equal_toIvEEiEE10hipError_tPvRmT2_T3_T4_T5_mT6_T7_P12ihipStream_tbENKUlT_T0_E_clISt17integral_constantIbLb0EESZ_EEDaSU_SV_EUlSU_E_NS1_11comp_targetILNS1_3genE2ELNS1_11target_archE906ELNS1_3gpuE6ELNS1_3repE0EEENS1_30default_config_static_selectorELNS0_4arch9wavefront6targetE0EEEvT1_.num_vgpr, 0
	.set _ZN7rocprim17ROCPRIM_400000_NS6detail17trampoline_kernelINS0_14default_configENS1_27scan_by_key_config_selectorIsiEEZZNS1_16scan_by_key_implILNS1_25lookback_scan_determinismE0ELb1ES3_N6thrust23THRUST_200600_302600_NS6detail15normal_iteratorINS9_10device_ptrIsEEEESE_SE_iNS9_4plusIvEENS9_8equal_toIvEEiEE10hipError_tPvRmT2_T3_T4_T5_mT6_T7_P12ihipStream_tbENKUlT_T0_E_clISt17integral_constantIbLb0EESZ_EEDaSU_SV_EUlSU_E_NS1_11comp_targetILNS1_3genE2ELNS1_11target_archE906ELNS1_3gpuE6ELNS1_3repE0EEENS1_30default_config_static_selectorELNS0_4arch9wavefront6targetE0EEEvT1_.num_agpr, 0
	.set _ZN7rocprim17ROCPRIM_400000_NS6detail17trampoline_kernelINS0_14default_configENS1_27scan_by_key_config_selectorIsiEEZZNS1_16scan_by_key_implILNS1_25lookback_scan_determinismE0ELb1ES3_N6thrust23THRUST_200600_302600_NS6detail15normal_iteratorINS9_10device_ptrIsEEEESE_SE_iNS9_4plusIvEENS9_8equal_toIvEEiEE10hipError_tPvRmT2_T3_T4_T5_mT6_T7_P12ihipStream_tbENKUlT_T0_E_clISt17integral_constantIbLb0EESZ_EEDaSU_SV_EUlSU_E_NS1_11comp_targetILNS1_3genE2ELNS1_11target_archE906ELNS1_3gpuE6ELNS1_3repE0EEENS1_30default_config_static_selectorELNS0_4arch9wavefront6targetE0EEEvT1_.numbered_sgpr, 0
	.set _ZN7rocprim17ROCPRIM_400000_NS6detail17trampoline_kernelINS0_14default_configENS1_27scan_by_key_config_selectorIsiEEZZNS1_16scan_by_key_implILNS1_25lookback_scan_determinismE0ELb1ES3_N6thrust23THRUST_200600_302600_NS6detail15normal_iteratorINS9_10device_ptrIsEEEESE_SE_iNS9_4plusIvEENS9_8equal_toIvEEiEE10hipError_tPvRmT2_T3_T4_T5_mT6_T7_P12ihipStream_tbENKUlT_T0_E_clISt17integral_constantIbLb0EESZ_EEDaSU_SV_EUlSU_E_NS1_11comp_targetILNS1_3genE2ELNS1_11target_archE906ELNS1_3gpuE6ELNS1_3repE0EEENS1_30default_config_static_selectorELNS0_4arch9wavefront6targetE0EEEvT1_.num_named_barrier, 0
	.set _ZN7rocprim17ROCPRIM_400000_NS6detail17trampoline_kernelINS0_14default_configENS1_27scan_by_key_config_selectorIsiEEZZNS1_16scan_by_key_implILNS1_25lookback_scan_determinismE0ELb1ES3_N6thrust23THRUST_200600_302600_NS6detail15normal_iteratorINS9_10device_ptrIsEEEESE_SE_iNS9_4plusIvEENS9_8equal_toIvEEiEE10hipError_tPvRmT2_T3_T4_T5_mT6_T7_P12ihipStream_tbENKUlT_T0_E_clISt17integral_constantIbLb0EESZ_EEDaSU_SV_EUlSU_E_NS1_11comp_targetILNS1_3genE2ELNS1_11target_archE906ELNS1_3gpuE6ELNS1_3repE0EEENS1_30default_config_static_selectorELNS0_4arch9wavefront6targetE0EEEvT1_.private_seg_size, 0
	.set _ZN7rocprim17ROCPRIM_400000_NS6detail17trampoline_kernelINS0_14default_configENS1_27scan_by_key_config_selectorIsiEEZZNS1_16scan_by_key_implILNS1_25lookback_scan_determinismE0ELb1ES3_N6thrust23THRUST_200600_302600_NS6detail15normal_iteratorINS9_10device_ptrIsEEEESE_SE_iNS9_4plusIvEENS9_8equal_toIvEEiEE10hipError_tPvRmT2_T3_T4_T5_mT6_T7_P12ihipStream_tbENKUlT_T0_E_clISt17integral_constantIbLb0EESZ_EEDaSU_SV_EUlSU_E_NS1_11comp_targetILNS1_3genE2ELNS1_11target_archE906ELNS1_3gpuE6ELNS1_3repE0EEENS1_30default_config_static_selectorELNS0_4arch9wavefront6targetE0EEEvT1_.uses_vcc, 0
	.set _ZN7rocprim17ROCPRIM_400000_NS6detail17trampoline_kernelINS0_14default_configENS1_27scan_by_key_config_selectorIsiEEZZNS1_16scan_by_key_implILNS1_25lookback_scan_determinismE0ELb1ES3_N6thrust23THRUST_200600_302600_NS6detail15normal_iteratorINS9_10device_ptrIsEEEESE_SE_iNS9_4plusIvEENS9_8equal_toIvEEiEE10hipError_tPvRmT2_T3_T4_T5_mT6_T7_P12ihipStream_tbENKUlT_T0_E_clISt17integral_constantIbLb0EESZ_EEDaSU_SV_EUlSU_E_NS1_11comp_targetILNS1_3genE2ELNS1_11target_archE906ELNS1_3gpuE6ELNS1_3repE0EEENS1_30default_config_static_selectorELNS0_4arch9wavefront6targetE0EEEvT1_.uses_flat_scratch, 0
	.set _ZN7rocprim17ROCPRIM_400000_NS6detail17trampoline_kernelINS0_14default_configENS1_27scan_by_key_config_selectorIsiEEZZNS1_16scan_by_key_implILNS1_25lookback_scan_determinismE0ELb1ES3_N6thrust23THRUST_200600_302600_NS6detail15normal_iteratorINS9_10device_ptrIsEEEESE_SE_iNS9_4plusIvEENS9_8equal_toIvEEiEE10hipError_tPvRmT2_T3_T4_T5_mT6_T7_P12ihipStream_tbENKUlT_T0_E_clISt17integral_constantIbLb0EESZ_EEDaSU_SV_EUlSU_E_NS1_11comp_targetILNS1_3genE2ELNS1_11target_archE906ELNS1_3gpuE6ELNS1_3repE0EEENS1_30default_config_static_selectorELNS0_4arch9wavefront6targetE0EEEvT1_.has_dyn_sized_stack, 0
	.set _ZN7rocprim17ROCPRIM_400000_NS6detail17trampoline_kernelINS0_14default_configENS1_27scan_by_key_config_selectorIsiEEZZNS1_16scan_by_key_implILNS1_25lookback_scan_determinismE0ELb1ES3_N6thrust23THRUST_200600_302600_NS6detail15normal_iteratorINS9_10device_ptrIsEEEESE_SE_iNS9_4plusIvEENS9_8equal_toIvEEiEE10hipError_tPvRmT2_T3_T4_T5_mT6_T7_P12ihipStream_tbENKUlT_T0_E_clISt17integral_constantIbLb0EESZ_EEDaSU_SV_EUlSU_E_NS1_11comp_targetILNS1_3genE2ELNS1_11target_archE906ELNS1_3gpuE6ELNS1_3repE0EEENS1_30default_config_static_selectorELNS0_4arch9wavefront6targetE0EEEvT1_.has_recursion, 0
	.set _ZN7rocprim17ROCPRIM_400000_NS6detail17trampoline_kernelINS0_14default_configENS1_27scan_by_key_config_selectorIsiEEZZNS1_16scan_by_key_implILNS1_25lookback_scan_determinismE0ELb1ES3_N6thrust23THRUST_200600_302600_NS6detail15normal_iteratorINS9_10device_ptrIsEEEESE_SE_iNS9_4plusIvEENS9_8equal_toIvEEiEE10hipError_tPvRmT2_T3_T4_T5_mT6_T7_P12ihipStream_tbENKUlT_T0_E_clISt17integral_constantIbLb0EESZ_EEDaSU_SV_EUlSU_E_NS1_11comp_targetILNS1_3genE2ELNS1_11target_archE906ELNS1_3gpuE6ELNS1_3repE0EEENS1_30default_config_static_selectorELNS0_4arch9wavefront6targetE0EEEvT1_.has_indirect_call, 0
	.section	.AMDGPU.csdata,"",@progbits
; Kernel info:
; codeLenInByte = 0
; TotalNumSgprs: 0
; NumVgprs: 0
; ScratchSize: 0
; MemoryBound: 0
; FloatMode: 240
; IeeeMode: 1
; LDSByteSize: 0 bytes/workgroup (compile time only)
; SGPRBlocks: 0
; VGPRBlocks: 0
; NumSGPRsForWavesPerEU: 1
; NumVGPRsForWavesPerEU: 1
; NamedBarCnt: 0
; Occupancy: 16
; WaveLimiterHint : 0
; COMPUTE_PGM_RSRC2:SCRATCH_EN: 0
; COMPUTE_PGM_RSRC2:USER_SGPR: 2
; COMPUTE_PGM_RSRC2:TRAP_HANDLER: 0
; COMPUTE_PGM_RSRC2:TGID_X_EN: 1
; COMPUTE_PGM_RSRC2:TGID_Y_EN: 0
; COMPUTE_PGM_RSRC2:TGID_Z_EN: 0
; COMPUTE_PGM_RSRC2:TIDIG_COMP_CNT: 0
	.section	.text._ZN7rocprim17ROCPRIM_400000_NS6detail17trampoline_kernelINS0_14default_configENS1_27scan_by_key_config_selectorIsiEEZZNS1_16scan_by_key_implILNS1_25lookback_scan_determinismE0ELb1ES3_N6thrust23THRUST_200600_302600_NS6detail15normal_iteratorINS9_10device_ptrIsEEEESE_SE_iNS9_4plusIvEENS9_8equal_toIvEEiEE10hipError_tPvRmT2_T3_T4_T5_mT6_T7_P12ihipStream_tbENKUlT_T0_E_clISt17integral_constantIbLb0EESZ_EEDaSU_SV_EUlSU_E_NS1_11comp_targetILNS1_3genE10ELNS1_11target_archE1200ELNS1_3gpuE4ELNS1_3repE0EEENS1_30default_config_static_selectorELNS0_4arch9wavefront6targetE0EEEvT1_,"axG",@progbits,_ZN7rocprim17ROCPRIM_400000_NS6detail17trampoline_kernelINS0_14default_configENS1_27scan_by_key_config_selectorIsiEEZZNS1_16scan_by_key_implILNS1_25lookback_scan_determinismE0ELb1ES3_N6thrust23THRUST_200600_302600_NS6detail15normal_iteratorINS9_10device_ptrIsEEEESE_SE_iNS9_4plusIvEENS9_8equal_toIvEEiEE10hipError_tPvRmT2_T3_T4_T5_mT6_T7_P12ihipStream_tbENKUlT_T0_E_clISt17integral_constantIbLb0EESZ_EEDaSU_SV_EUlSU_E_NS1_11comp_targetILNS1_3genE10ELNS1_11target_archE1200ELNS1_3gpuE4ELNS1_3repE0EEENS1_30default_config_static_selectorELNS0_4arch9wavefront6targetE0EEEvT1_,comdat
	.protected	_ZN7rocprim17ROCPRIM_400000_NS6detail17trampoline_kernelINS0_14default_configENS1_27scan_by_key_config_selectorIsiEEZZNS1_16scan_by_key_implILNS1_25lookback_scan_determinismE0ELb1ES3_N6thrust23THRUST_200600_302600_NS6detail15normal_iteratorINS9_10device_ptrIsEEEESE_SE_iNS9_4plusIvEENS9_8equal_toIvEEiEE10hipError_tPvRmT2_T3_T4_T5_mT6_T7_P12ihipStream_tbENKUlT_T0_E_clISt17integral_constantIbLb0EESZ_EEDaSU_SV_EUlSU_E_NS1_11comp_targetILNS1_3genE10ELNS1_11target_archE1200ELNS1_3gpuE4ELNS1_3repE0EEENS1_30default_config_static_selectorELNS0_4arch9wavefront6targetE0EEEvT1_ ; -- Begin function _ZN7rocprim17ROCPRIM_400000_NS6detail17trampoline_kernelINS0_14default_configENS1_27scan_by_key_config_selectorIsiEEZZNS1_16scan_by_key_implILNS1_25lookback_scan_determinismE0ELb1ES3_N6thrust23THRUST_200600_302600_NS6detail15normal_iteratorINS9_10device_ptrIsEEEESE_SE_iNS9_4plusIvEENS9_8equal_toIvEEiEE10hipError_tPvRmT2_T3_T4_T5_mT6_T7_P12ihipStream_tbENKUlT_T0_E_clISt17integral_constantIbLb0EESZ_EEDaSU_SV_EUlSU_E_NS1_11comp_targetILNS1_3genE10ELNS1_11target_archE1200ELNS1_3gpuE4ELNS1_3repE0EEENS1_30default_config_static_selectorELNS0_4arch9wavefront6targetE0EEEvT1_
	.globl	_ZN7rocprim17ROCPRIM_400000_NS6detail17trampoline_kernelINS0_14default_configENS1_27scan_by_key_config_selectorIsiEEZZNS1_16scan_by_key_implILNS1_25lookback_scan_determinismE0ELb1ES3_N6thrust23THRUST_200600_302600_NS6detail15normal_iteratorINS9_10device_ptrIsEEEESE_SE_iNS9_4plusIvEENS9_8equal_toIvEEiEE10hipError_tPvRmT2_T3_T4_T5_mT6_T7_P12ihipStream_tbENKUlT_T0_E_clISt17integral_constantIbLb0EESZ_EEDaSU_SV_EUlSU_E_NS1_11comp_targetILNS1_3genE10ELNS1_11target_archE1200ELNS1_3gpuE4ELNS1_3repE0EEENS1_30default_config_static_selectorELNS0_4arch9wavefront6targetE0EEEvT1_
	.p2align	8
	.type	_ZN7rocprim17ROCPRIM_400000_NS6detail17trampoline_kernelINS0_14default_configENS1_27scan_by_key_config_selectorIsiEEZZNS1_16scan_by_key_implILNS1_25lookback_scan_determinismE0ELb1ES3_N6thrust23THRUST_200600_302600_NS6detail15normal_iteratorINS9_10device_ptrIsEEEESE_SE_iNS9_4plusIvEENS9_8equal_toIvEEiEE10hipError_tPvRmT2_T3_T4_T5_mT6_T7_P12ihipStream_tbENKUlT_T0_E_clISt17integral_constantIbLb0EESZ_EEDaSU_SV_EUlSU_E_NS1_11comp_targetILNS1_3genE10ELNS1_11target_archE1200ELNS1_3gpuE4ELNS1_3repE0EEENS1_30default_config_static_selectorELNS0_4arch9wavefront6targetE0EEEvT1_,@function
_ZN7rocprim17ROCPRIM_400000_NS6detail17trampoline_kernelINS0_14default_configENS1_27scan_by_key_config_selectorIsiEEZZNS1_16scan_by_key_implILNS1_25lookback_scan_determinismE0ELb1ES3_N6thrust23THRUST_200600_302600_NS6detail15normal_iteratorINS9_10device_ptrIsEEEESE_SE_iNS9_4plusIvEENS9_8equal_toIvEEiEE10hipError_tPvRmT2_T3_T4_T5_mT6_T7_P12ihipStream_tbENKUlT_T0_E_clISt17integral_constantIbLb0EESZ_EEDaSU_SV_EUlSU_E_NS1_11comp_targetILNS1_3genE10ELNS1_11target_archE1200ELNS1_3gpuE4ELNS1_3repE0EEENS1_30default_config_static_selectorELNS0_4arch9wavefront6targetE0EEEvT1_: ; @_ZN7rocprim17ROCPRIM_400000_NS6detail17trampoline_kernelINS0_14default_configENS1_27scan_by_key_config_selectorIsiEEZZNS1_16scan_by_key_implILNS1_25lookback_scan_determinismE0ELb1ES3_N6thrust23THRUST_200600_302600_NS6detail15normal_iteratorINS9_10device_ptrIsEEEESE_SE_iNS9_4plusIvEENS9_8equal_toIvEEiEE10hipError_tPvRmT2_T3_T4_T5_mT6_T7_P12ihipStream_tbENKUlT_T0_E_clISt17integral_constantIbLb0EESZ_EEDaSU_SV_EUlSU_E_NS1_11comp_targetILNS1_3genE10ELNS1_11target_archE1200ELNS1_3gpuE4ELNS1_3repE0EEENS1_30default_config_static_selectorELNS0_4arch9wavefront6targetE0EEEvT1_
; %bb.0:
	.section	.rodata,"a",@progbits
	.p2align	6, 0x0
	.amdhsa_kernel _ZN7rocprim17ROCPRIM_400000_NS6detail17trampoline_kernelINS0_14default_configENS1_27scan_by_key_config_selectorIsiEEZZNS1_16scan_by_key_implILNS1_25lookback_scan_determinismE0ELb1ES3_N6thrust23THRUST_200600_302600_NS6detail15normal_iteratorINS9_10device_ptrIsEEEESE_SE_iNS9_4plusIvEENS9_8equal_toIvEEiEE10hipError_tPvRmT2_T3_T4_T5_mT6_T7_P12ihipStream_tbENKUlT_T0_E_clISt17integral_constantIbLb0EESZ_EEDaSU_SV_EUlSU_E_NS1_11comp_targetILNS1_3genE10ELNS1_11target_archE1200ELNS1_3gpuE4ELNS1_3repE0EEENS1_30default_config_static_selectorELNS0_4arch9wavefront6targetE0EEEvT1_
		.amdhsa_group_segment_fixed_size 0
		.amdhsa_private_segment_fixed_size 0
		.amdhsa_kernarg_size 112
		.amdhsa_user_sgpr_count 2
		.amdhsa_user_sgpr_dispatch_ptr 0
		.amdhsa_user_sgpr_queue_ptr 0
		.amdhsa_user_sgpr_kernarg_segment_ptr 1
		.amdhsa_user_sgpr_dispatch_id 0
		.amdhsa_user_sgpr_kernarg_preload_length 0
		.amdhsa_user_sgpr_kernarg_preload_offset 0
		.amdhsa_user_sgpr_private_segment_size 0
		.amdhsa_wavefront_size32 1
		.amdhsa_uses_dynamic_stack 0
		.amdhsa_enable_private_segment 0
		.amdhsa_system_sgpr_workgroup_id_x 1
		.amdhsa_system_sgpr_workgroup_id_y 0
		.amdhsa_system_sgpr_workgroup_id_z 0
		.amdhsa_system_sgpr_workgroup_info 0
		.amdhsa_system_vgpr_workitem_id 0
		.amdhsa_next_free_vgpr 1
		.amdhsa_next_free_sgpr 1
		.amdhsa_named_barrier_count 0
		.amdhsa_reserve_vcc 0
		.amdhsa_float_round_mode_32 0
		.amdhsa_float_round_mode_16_64 0
		.amdhsa_float_denorm_mode_32 3
		.amdhsa_float_denorm_mode_16_64 3
		.amdhsa_fp16_overflow 0
		.amdhsa_memory_ordered 1
		.amdhsa_forward_progress 1
		.amdhsa_inst_pref_size 0
		.amdhsa_round_robin_scheduling 0
		.amdhsa_exception_fp_ieee_invalid_op 0
		.amdhsa_exception_fp_denorm_src 0
		.amdhsa_exception_fp_ieee_div_zero 0
		.amdhsa_exception_fp_ieee_overflow 0
		.amdhsa_exception_fp_ieee_underflow 0
		.amdhsa_exception_fp_ieee_inexact 0
		.amdhsa_exception_int_div_zero 0
	.end_amdhsa_kernel
	.section	.text._ZN7rocprim17ROCPRIM_400000_NS6detail17trampoline_kernelINS0_14default_configENS1_27scan_by_key_config_selectorIsiEEZZNS1_16scan_by_key_implILNS1_25lookback_scan_determinismE0ELb1ES3_N6thrust23THRUST_200600_302600_NS6detail15normal_iteratorINS9_10device_ptrIsEEEESE_SE_iNS9_4plusIvEENS9_8equal_toIvEEiEE10hipError_tPvRmT2_T3_T4_T5_mT6_T7_P12ihipStream_tbENKUlT_T0_E_clISt17integral_constantIbLb0EESZ_EEDaSU_SV_EUlSU_E_NS1_11comp_targetILNS1_3genE10ELNS1_11target_archE1200ELNS1_3gpuE4ELNS1_3repE0EEENS1_30default_config_static_selectorELNS0_4arch9wavefront6targetE0EEEvT1_,"axG",@progbits,_ZN7rocprim17ROCPRIM_400000_NS6detail17trampoline_kernelINS0_14default_configENS1_27scan_by_key_config_selectorIsiEEZZNS1_16scan_by_key_implILNS1_25lookback_scan_determinismE0ELb1ES3_N6thrust23THRUST_200600_302600_NS6detail15normal_iteratorINS9_10device_ptrIsEEEESE_SE_iNS9_4plusIvEENS9_8equal_toIvEEiEE10hipError_tPvRmT2_T3_T4_T5_mT6_T7_P12ihipStream_tbENKUlT_T0_E_clISt17integral_constantIbLb0EESZ_EEDaSU_SV_EUlSU_E_NS1_11comp_targetILNS1_3genE10ELNS1_11target_archE1200ELNS1_3gpuE4ELNS1_3repE0EEENS1_30default_config_static_selectorELNS0_4arch9wavefront6targetE0EEEvT1_,comdat
.Lfunc_end1048:
	.size	_ZN7rocprim17ROCPRIM_400000_NS6detail17trampoline_kernelINS0_14default_configENS1_27scan_by_key_config_selectorIsiEEZZNS1_16scan_by_key_implILNS1_25lookback_scan_determinismE0ELb1ES3_N6thrust23THRUST_200600_302600_NS6detail15normal_iteratorINS9_10device_ptrIsEEEESE_SE_iNS9_4plusIvEENS9_8equal_toIvEEiEE10hipError_tPvRmT2_T3_T4_T5_mT6_T7_P12ihipStream_tbENKUlT_T0_E_clISt17integral_constantIbLb0EESZ_EEDaSU_SV_EUlSU_E_NS1_11comp_targetILNS1_3genE10ELNS1_11target_archE1200ELNS1_3gpuE4ELNS1_3repE0EEENS1_30default_config_static_selectorELNS0_4arch9wavefront6targetE0EEEvT1_, .Lfunc_end1048-_ZN7rocprim17ROCPRIM_400000_NS6detail17trampoline_kernelINS0_14default_configENS1_27scan_by_key_config_selectorIsiEEZZNS1_16scan_by_key_implILNS1_25lookback_scan_determinismE0ELb1ES3_N6thrust23THRUST_200600_302600_NS6detail15normal_iteratorINS9_10device_ptrIsEEEESE_SE_iNS9_4plusIvEENS9_8equal_toIvEEiEE10hipError_tPvRmT2_T3_T4_T5_mT6_T7_P12ihipStream_tbENKUlT_T0_E_clISt17integral_constantIbLb0EESZ_EEDaSU_SV_EUlSU_E_NS1_11comp_targetILNS1_3genE10ELNS1_11target_archE1200ELNS1_3gpuE4ELNS1_3repE0EEENS1_30default_config_static_selectorELNS0_4arch9wavefront6targetE0EEEvT1_
                                        ; -- End function
	.set _ZN7rocprim17ROCPRIM_400000_NS6detail17trampoline_kernelINS0_14default_configENS1_27scan_by_key_config_selectorIsiEEZZNS1_16scan_by_key_implILNS1_25lookback_scan_determinismE0ELb1ES3_N6thrust23THRUST_200600_302600_NS6detail15normal_iteratorINS9_10device_ptrIsEEEESE_SE_iNS9_4plusIvEENS9_8equal_toIvEEiEE10hipError_tPvRmT2_T3_T4_T5_mT6_T7_P12ihipStream_tbENKUlT_T0_E_clISt17integral_constantIbLb0EESZ_EEDaSU_SV_EUlSU_E_NS1_11comp_targetILNS1_3genE10ELNS1_11target_archE1200ELNS1_3gpuE4ELNS1_3repE0EEENS1_30default_config_static_selectorELNS0_4arch9wavefront6targetE0EEEvT1_.num_vgpr, 0
	.set _ZN7rocprim17ROCPRIM_400000_NS6detail17trampoline_kernelINS0_14default_configENS1_27scan_by_key_config_selectorIsiEEZZNS1_16scan_by_key_implILNS1_25lookback_scan_determinismE0ELb1ES3_N6thrust23THRUST_200600_302600_NS6detail15normal_iteratorINS9_10device_ptrIsEEEESE_SE_iNS9_4plusIvEENS9_8equal_toIvEEiEE10hipError_tPvRmT2_T3_T4_T5_mT6_T7_P12ihipStream_tbENKUlT_T0_E_clISt17integral_constantIbLb0EESZ_EEDaSU_SV_EUlSU_E_NS1_11comp_targetILNS1_3genE10ELNS1_11target_archE1200ELNS1_3gpuE4ELNS1_3repE0EEENS1_30default_config_static_selectorELNS0_4arch9wavefront6targetE0EEEvT1_.num_agpr, 0
	.set _ZN7rocprim17ROCPRIM_400000_NS6detail17trampoline_kernelINS0_14default_configENS1_27scan_by_key_config_selectorIsiEEZZNS1_16scan_by_key_implILNS1_25lookback_scan_determinismE0ELb1ES3_N6thrust23THRUST_200600_302600_NS6detail15normal_iteratorINS9_10device_ptrIsEEEESE_SE_iNS9_4plusIvEENS9_8equal_toIvEEiEE10hipError_tPvRmT2_T3_T4_T5_mT6_T7_P12ihipStream_tbENKUlT_T0_E_clISt17integral_constantIbLb0EESZ_EEDaSU_SV_EUlSU_E_NS1_11comp_targetILNS1_3genE10ELNS1_11target_archE1200ELNS1_3gpuE4ELNS1_3repE0EEENS1_30default_config_static_selectorELNS0_4arch9wavefront6targetE0EEEvT1_.numbered_sgpr, 0
	.set _ZN7rocprim17ROCPRIM_400000_NS6detail17trampoline_kernelINS0_14default_configENS1_27scan_by_key_config_selectorIsiEEZZNS1_16scan_by_key_implILNS1_25lookback_scan_determinismE0ELb1ES3_N6thrust23THRUST_200600_302600_NS6detail15normal_iteratorINS9_10device_ptrIsEEEESE_SE_iNS9_4plusIvEENS9_8equal_toIvEEiEE10hipError_tPvRmT2_T3_T4_T5_mT6_T7_P12ihipStream_tbENKUlT_T0_E_clISt17integral_constantIbLb0EESZ_EEDaSU_SV_EUlSU_E_NS1_11comp_targetILNS1_3genE10ELNS1_11target_archE1200ELNS1_3gpuE4ELNS1_3repE0EEENS1_30default_config_static_selectorELNS0_4arch9wavefront6targetE0EEEvT1_.num_named_barrier, 0
	.set _ZN7rocprim17ROCPRIM_400000_NS6detail17trampoline_kernelINS0_14default_configENS1_27scan_by_key_config_selectorIsiEEZZNS1_16scan_by_key_implILNS1_25lookback_scan_determinismE0ELb1ES3_N6thrust23THRUST_200600_302600_NS6detail15normal_iteratorINS9_10device_ptrIsEEEESE_SE_iNS9_4plusIvEENS9_8equal_toIvEEiEE10hipError_tPvRmT2_T3_T4_T5_mT6_T7_P12ihipStream_tbENKUlT_T0_E_clISt17integral_constantIbLb0EESZ_EEDaSU_SV_EUlSU_E_NS1_11comp_targetILNS1_3genE10ELNS1_11target_archE1200ELNS1_3gpuE4ELNS1_3repE0EEENS1_30default_config_static_selectorELNS0_4arch9wavefront6targetE0EEEvT1_.private_seg_size, 0
	.set _ZN7rocprim17ROCPRIM_400000_NS6detail17trampoline_kernelINS0_14default_configENS1_27scan_by_key_config_selectorIsiEEZZNS1_16scan_by_key_implILNS1_25lookback_scan_determinismE0ELb1ES3_N6thrust23THRUST_200600_302600_NS6detail15normal_iteratorINS9_10device_ptrIsEEEESE_SE_iNS9_4plusIvEENS9_8equal_toIvEEiEE10hipError_tPvRmT2_T3_T4_T5_mT6_T7_P12ihipStream_tbENKUlT_T0_E_clISt17integral_constantIbLb0EESZ_EEDaSU_SV_EUlSU_E_NS1_11comp_targetILNS1_3genE10ELNS1_11target_archE1200ELNS1_3gpuE4ELNS1_3repE0EEENS1_30default_config_static_selectorELNS0_4arch9wavefront6targetE0EEEvT1_.uses_vcc, 0
	.set _ZN7rocprim17ROCPRIM_400000_NS6detail17trampoline_kernelINS0_14default_configENS1_27scan_by_key_config_selectorIsiEEZZNS1_16scan_by_key_implILNS1_25lookback_scan_determinismE0ELb1ES3_N6thrust23THRUST_200600_302600_NS6detail15normal_iteratorINS9_10device_ptrIsEEEESE_SE_iNS9_4plusIvEENS9_8equal_toIvEEiEE10hipError_tPvRmT2_T3_T4_T5_mT6_T7_P12ihipStream_tbENKUlT_T0_E_clISt17integral_constantIbLb0EESZ_EEDaSU_SV_EUlSU_E_NS1_11comp_targetILNS1_3genE10ELNS1_11target_archE1200ELNS1_3gpuE4ELNS1_3repE0EEENS1_30default_config_static_selectorELNS0_4arch9wavefront6targetE0EEEvT1_.uses_flat_scratch, 0
	.set _ZN7rocprim17ROCPRIM_400000_NS6detail17trampoline_kernelINS0_14default_configENS1_27scan_by_key_config_selectorIsiEEZZNS1_16scan_by_key_implILNS1_25lookback_scan_determinismE0ELb1ES3_N6thrust23THRUST_200600_302600_NS6detail15normal_iteratorINS9_10device_ptrIsEEEESE_SE_iNS9_4plusIvEENS9_8equal_toIvEEiEE10hipError_tPvRmT2_T3_T4_T5_mT6_T7_P12ihipStream_tbENKUlT_T0_E_clISt17integral_constantIbLb0EESZ_EEDaSU_SV_EUlSU_E_NS1_11comp_targetILNS1_3genE10ELNS1_11target_archE1200ELNS1_3gpuE4ELNS1_3repE0EEENS1_30default_config_static_selectorELNS0_4arch9wavefront6targetE0EEEvT1_.has_dyn_sized_stack, 0
	.set _ZN7rocprim17ROCPRIM_400000_NS6detail17trampoline_kernelINS0_14default_configENS1_27scan_by_key_config_selectorIsiEEZZNS1_16scan_by_key_implILNS1_25lookback_scan_determinismE0ELb1ES3_N6thrust23THRUST_200600_302600_NS6detail15normal_iteratorINS9_10device_ptrIsEEEESE_SE_iNS9_4plusIvEENS9_8equal_toIvEEiEE10hipError_tPvRmT2_T3_T4_T5_mT6_T7_P12ihipStream_tbENKUlT_T0_E_clISt17integral_constantIbLb0EESZ_EEDaSU_SV_EUlSU_E_NS1_11comp_targetILNS1_3genE10ELNS1_11target_archE1200ELNS1_3gpuE4ELNS1_3repE0EEENS1_30default_config_static_selectorELNS0_4arch9wavefront6targetE0EEEvT1_.has_recursion, 0
	.set _ZN7rocprim17ROCPRIM_400000_NS6detail17trampoline_kernelINS0_14default_configENS1_27scan_by_key_config_selectorIsiEEZZNS1_16scan_by_key_implILNS1_25lookback_scan_determinismE0ELb1ES3_N6thrust23THRUST_200600_302600_NS6detail15normal_iteratorINS9_10device_ptrIsEEEESE_SE_iNS9_4plusIvEENS9_8equal_toIvEEiEE10hipError_tPvRmT2_T3_T4_T5_mT6_T7_P12ihipStream_tbENKUlT_T0_E_clISt17integral_constantIbLb0EESZ_EEDaSU_SV_EUlSU_E_NS1_11comp_targetILNS1_3genE10ELNS1_11target_archE1200ELNS1_3gpuE4ELNS1_3repE0EEENS1_30default_config_static_selectorELNS0_4arch9wavefront6targetE0EEEvT1_.has_indirect_call, 0
	.section	.AMDGPU.csdata,"",@progbits
; Kernel info:
; codeLenInByte = 0
; TotalNumSgprs: 0
; NumVgprs: 0
; ScratchSize: 0
; MemoryBound: 0
; FloatMode: 240
; IeeeMode: 1
; LDSByteSize: 0 bytes/workgroup (compile time only)
; SGPRBlocks: 0
; VGPRBlocks: 0
; NumSGPRsForWavesPerEU: 1
; NumVGPRsForWavesPerEU: 1
; NamedBarCnt: 0
; Occupancy: 16
; WaveLimiterHint : 0
; COMPUTE_PGM_RSRC2:SCRATCH_EN: 0
; COMPUTE_PGM_RSRC2:USER_SGPR: 2
; COMPUTE_PGM_RSRC2:TRAP_HANDLER: 0
; COMPUTE_PGM_RSRC2:TGID_X_EN: 1
; COMPUTE_PGM_RSRC2:TGID_Y_EN: 0
; COMPUTE_PGM_RSRC2:TGID_Z_EN: 0
; COMPUTE_PGM_RSRC2:TIDIG_COMP_CNT: 0
	.section	.text._ZN7rocprim17ROCPRIM_400000_NS6detail17trampoline_kernelINS0_14default_configENS1_27scan_by_key_config_selectorIsiEEZZNS1_16scan_by_key_implILNS1_25lookback_scan_determinismE0ELb1ES3_N6thrust23THRUST_200600_302600_NS6detail15normal_iteratorINS9_10device_ptrIsEEEESE_SE_iNS9_4plusIvEENS9_8equal_toIvEEiEE10hipError_tPvRmT2_T3_T4_T5_mT6_T7_P12ihipStream_tbENKUlT_T0_E_clISt17integral_constantIbLb0EESZ_EEDaSU_SV_EUlSU_E_NS1_11comp_targetILNS1_3genE9ELNS1_11target_archE1100ELNS1_3gpuE3ELNS1_3repE0EEENS1_30default_config_static_selectorELNS0_4arch9wavefront6targetE0EEEvT1_,"axG",@progbits,_ZN7rocprim17ROCPRIM_400000_NS6detail17trampoline_kernelINS0_14default_configENS1_27scan_by_key_config_selectorIsiEEZZNS1_16scan_by_key_implILNS1_25lookback_scan_determinismE0ELb1ES3_N6thrust23THRUST_200600_302600_NS6detail15normal_iteratorINS9_10device_ptrIsEEEESE_SE_iNS9_4plusIvEENS9_8equal_toIvEEiEE10hipError_tPvRmT2_T3_T4_T5_mT6_T7_P12ihipStream_tbENKUlT_T0_E_clISt17integral_constantIbLb0EESZ_EEDaSU_SV_EUlSU_E_NS1_11comp_targetILNS1_3genE9ELNS1_11target_archE1100ELNS1_3gpuE3ELNS1_3repE0EEENS1_30default_config_static_selectorELNS0_4arch9wavefront6targetE0EEEvT1_,comdat
	.protected	_ZN7rocprim17ROCPRIM_400000_NS6detail17trampoline_kernelINS0_14default_configENS1_27scan_by_key_config_selectorIsiEEZZNS1_16scan_by_key_implILNS1_25lookback_scan_determinismE0ELb1ES3_N6thrust23THRUST_200600_302600_NS6detail15normal_iteratorINS9_10device_ptrIsEEEESE_SE_iNS9_4plusIvEENS9_8equal_toIvEEiEE10hipError_tPvRmT2_T3_T4_T5_mT6_T7_P12ihipStream_tbENKUlT_T0_E_clISt17integral_constantIbLb0EESZ_EEDaSU_SV_EUlSU_E_NS1_11comp_targetILNS1_3genE9ELNS1_11target_archE1100ELNS1_3gpuE3ELNS1_3repE0EEENS1_30default_config_static_selectorELNS0_4arch9wavefront6targetE0EEEvT1_ ; -- Begin function _ZN7rocprim17ROCPRIM_400000_NS6detail17trampoline_kernelINS0_14default_configENS1_27scan_by_key_config_selectorIsiEEZZNS1_16scan_by_key_implILNS1_25lookback_scan_determinismE0ELb1ES3_N6thrust23THRUST_200600_302600_NS6detail15normal_iteratorINS9_10device_ptrIsEEEESE_SE_iNS9_4plusIvEENS9_8equal_toIvEEiEE10hipError_tPvRmT2_T3_T4_T5_mT6_T7_P12ihipStream_tbENKUlT_T0_E_clISt17integral_constantIbLb0EESZ_EEDaSU_SV_EUlSU_E_NS1_11comp_targetILNS1_3genE9ELNS1_11target_archE1100ELNS1_3gpuE3ELNS1_3repE0EEENS1_30default_config_static_selectorELNS0_4arch9wavefront6targetE0EEEvT1_
	.globl	_ZN7rocprim17ROCPRIM_400000_NS6detail17trampoline_kernelINS0_14default_configENS1_27scan_by_key_config_selectorIsiEEZZNS1_16scan_by_key_implILNS1_25lookback_scan_determinismE0ELb1ES3_N6thrust23THRUST_200600_302600_NS6detail15normal_iteratorINS9_10device_ptrIsEEEESE_SE_iNS9_4plusIvEENS9_8equal_toIvEEiEE10hipError_tPvRmT2_T3_T4_T5_mT6_T7_P12ihipStream_tbENKUlT_T0_E_clISt17integral_constantIbLb0EESZ_EEDaSU_SV_EUlSU_E_NS1_11comp_targetILNS1_3genE9ELNS1_11target_archE1100ELNS1_3gpuE3ELNS1_3repE0EEENS1_30default_config_static_selectorELNS0_4arch9wavefront6targetE0EEEvT1_
	.p2align	8
	.type	_ZN7rocprim17ROCPRIM_400000_NS6detail17trampoline_kernelINS0_14default_configENS1_27scan_by_key_config_selectorIsiEEZZNS1_16scan_by_key_implILNS1_25lookback_scan_determinismE0ELb1ES3_N6thrust23THRUST_200600_302600_NS6detail15normal_iteratorINS9_10device_ptrIsEEEESE_SE_iNS9_4plusIvEENS9_8equal_toIvEEiEE10hipError_tPvRmT2_T3_T4_T5_mT6_T7_P12ihipStream_tbENKUlT_T0_E_clISt17integral_constantIbLb0EESZ_EEDaSU_SV_EUlSU_E_NS1_11comp_targetILNS1_3genE9ELNS1_11target_archE1100ELNS1_3gpuE3ELNS1_3repE0EEENS1_30default_config_static_selectorELNS0_4arch9wavefront6targetE0EEEvT1_,@function
_ZN7rocprim17ROCPRIM_400000_NS6detail17trampoline_kernelINS0_14default_configENS1_27scan_by_key_config_selectorIsiEEZZNS1_16scan_by_key_implILNS1_25lookback_scan_determinismE0ELb1ES3_N6thrust23THRUST_200600_302600_NS6detail15normal_iteratorINS9_10device_ptrIsEEEESE_SE_iNS9_4plusIvEENS9_8equal_toIvEEiEE10hipError_tPvRmT2_T3_T4_T5_mT6_T7_P12ihipStream_tbENKUlT_T0_E_clISt17integral_constantIbLb0EESZ_EEDaSU_SV_EUlSU_E_NS1_11comp_targetILNS1_3genE9ELNS1_11target_archE1100ELNS1_3gpuE3ELNS1_3repE0EEENS1_30default_config_static_selectorELNS0_4arch9wavefront6targetE0EEEvT1_: ; @_ZN7rocprim17ROCPRIM_400000_NS6detail17trampoline_kernelINS0_14default_configENS1_27scan_by_key_config_selectorIsiEEZZNS1_16scan_by_key_implILNS1_25lookback_scan_determinismE0ELb1ES3_N6thrust23THRUST_200600_302600_NS6detail15normal_iteratorINS9_10device_ptrIsEEEESE_SE_iNS9_4plusIvEENS9_8equal_toIvEEiEE10hipError_tPvRmT2_T3_T4_T5_mT6_T7_P12ihipStream_tbENKUlT_T0_E_clISt17integral_constantIbLb0EESZ_EEDaSU_SV_EUlSU_E_NS1_11comp_targetILNS1_3genE9ELNS1_11target_archE1100ELNS1_3gpuE3ELNS1_3repE0EEENS1_30default_config_static_selectorELNS0_4arch9wavefront6targetE0EEEvT1_
; %bb.0:
	.section	.rodata,"a",@progbits
	.p2align	6, 0x0
	.amdhsa_kernel _ZN7rocprim17ROCPRIM_400000_NS6detail17trampoline_kernelINS0_14default_configENS1_27scan_by_key_config_selectorIsiEEZZNS1_16scan_by_key_implILNS1_25lookback_scan_determinismE0ELb1ES3_N6thrust23THRUST_200600_302600_NS6detail15normal_iteratorINS9_10device_ptrIsEEEESE_SE_iNS9_4plusIvEENS9_8equal_toIvEEiEE10hipError_tPvRmT2_T3_T4_T5_mT6_T7_P12ihipStream_tbENKUlT_T0_E_clISt17integral_constantIbLb0EESZ_EEDaSU_SV_EUlSU_E_NS1_11comp_targetILNS1_3genE9ELNS1_11target_archE1100ELNS1_3gpuE3ELNS1_3repE0EEENS1_30default_config_static_selectorELNS0_4arch9wavefront6targetE0EEEvT1_
		.amdhsa_group_segment_fixed_size 0
		.amdhsa_private_segment_fixed_size 0
		.amdhsa_kernarg_size 112
		.amdhsa_user_sgpr_count 2
		.amdhsa_user_sgpr_dispatch_ptr 0
		.amdhsa_user_sgpr_queue_ptr 0
		.amdhsa_user_sgpr_kernarg_segment_ptr 1
		.amdhsa_user_sgpr_dispatch_id 0
		.amdhsa_user_sgpr_kernarg_preload_length 0
		.amdhsa_user_sgpr_kernarg_preload_offset 0
		.amdhsa_user_sgpr_private_segment_size 0
		.amdhsa_wavefront_size32 1
		.amdhsa_uses_dynamic_stack 0
		.amdhsa_enable_private_segment 0
		.amdhsa_system_sgpr_workgroup_id_x 1
		.amdhsa_system_sgpr_workgroup_id_y 0
		.amdhsa_system_sgpr_workgroup_id_z 0
		.amdhsa_system_sgpr_workgroup_info 0
		.amdhsa_system_vgpr_workitem_id 0
		.amdhsa_next_free_vgpr 1
		.amdhsa_next_free_sgpr 1
		.amdhsa_named_barrier_count 0
		.amdhsa_reserve_vcc 0
		.amdhsa_float_round_mode_32 0
		.amdhsa_float_round_mode_16_64 0
		.amdhsa_float_denorm_mode_32 3
		.amdhsa_float_denorm_mode_16_64 3
		.amdhsa_fp16_overflow 0
		.amdhsa_memory_ordered 1
		.amdhsa_forward_progress 1
		.amdhsa_inst_pref_size 0
		.amdhsa_round_robin_scheduling 0
		.amdhsa_exception_fp_ieee_invalid_op 0
		.amdhsa_exception_fp_denorm_src 0
		.amdhsa_exception_fp_ieee_div_zero 0
		.amdhsa_exception_fp_ieee_overflow 0
		.amdhsa_exception_fp_ieee_underflow 0
		.amdhsa_exception_fp_ieee_inexact 0
		.amdhsa_exception_int_div_zero 0
	.end_amdhsa_kernel
	.section	.text._ZN7rocprim17ROCPRIM_400000_NS6detail17trampoline_kernelINS0_14default_configENS1_27scan_by_key_config_selectorIsiEEZZNS1_16scan_by_key_implILNS1_25lookback_scan_determinismE0ELb1ES3_N6thrust23THRUST_200600_302600_NS6detail15normal_iteratorINS9_10device_ptrIsEEEESE_SE_iNS9_4plusIvEENS9_8equal_toIvEEiEE10hipError_tPvRmT2_T3_T4_T5_mT6_T7_P12ihipStream_tbENKUlT_T0_E_clISt17integral_constantIbLb0EESZ_EEDaSU_SV_EUlSU_E_NS1_11comp_targetILNS1_3genE9ELNS1_11target_archE1100ELNS1_3gpuE3ELNS1_3repE0EEENS1_30default_config_static_selectorELNS0_4arch9wavefront6targetE0EEEvT1_,"axG",@progbits,_ZN7rocprim17ROCPRIM_400000_NS6detail17trampoline_kernelINS0_14default_configENS1_27scan_by_key_config_selectorIsiEEZZNS1_16scan_by_key_implILNS1_25lookback_scan_determinismE0ELb1ES3_N6thrust23THRUST_200600_302600_NS6detail15normal_iteratorINS9_10device_ptrIsEEEESE_SE_iNS9_4plusIvEENS9_8equal_toIvEEiEE10hipError_tPvRmT2_T3_T4_T5_mT6_T7_P12ihipStream_tbENKUlT_T0_E_clISt17integral_constantIbLb0EESZ_EEDaSU_SV_EUlSU_E_NS1_11comp_targetILNS1_3genE9ELNS1_11target_archE1100ELNS1_3gpuE3ELNS1_3repE0EEENS1_30default_config_static_selectorELNS0_4arch9wavefront6targetE0EEEvT1_,comdat
.Lfunc_end1049:
	.size	_ZN7rocprim17ROCPRIM_400000_NS6detail17trampoline_kernelINS0_14default_configENS1_27scan_by_key_config_selectorIsiEEZZNS1_16scan_by_key_implILNS1_25lookback_scan_determinismE0ELb1ES3_N6thrust23THRUST_200600_302600_NS6detail15normal_iteratorINS9_10device_ptrIsEEEESE_SE_iNS9_4plusIvEENS9_8equal_toIvEEiEE10hipError_tPvRmT2_T3_T4_T5_mT6_T7_P12ihipStream_tbENKUlT_T0_E_clISt17integral_constantIbLb0EESZ_EEDaSU_SV_EUlSU_E_NS1_11comp_targetILNS1_3genE9ELNS1_11target_archE1100ELNS1_3gpuE3ELNS1_3repE0EEENS1_30default_config_static_selectorELNS0_4arch9wavefront6targetE0EEEvT1_, .Lfunc_end1049-_ZN7rocprim17ROCPRIM_400000_NS6detail17trampoline_kernelINS0_14default_configENS1_27scan_by_key_config_selectorIsiEEZZNS1_16scan_by_key_implILNS1_25lookback_scan_determinismE0ELb1ES3_N6thrust23THRUST_200600_302600_NS6detail15normal_iteratorINS9_10device_ptrIsEEEESE_SE_iNS9_4plusIvEENS9_8equal_toIvEEiEE10hipError_tPvRmT2_T3_T4_T5_mT6_T7_P12ihipStream_tbENKUlT_T0_E_clISt17integral_constantIbLb0EESZ_EEDaSU_SV_EUlSU_E_NS1_11comp_targetILNS1_3genE9ELNS1_11target_archE1100ELNS1_3gpuE3ELNS1_3repE0EEENS1_30default_config_static_selectorELNS0_4arch9wavefront6targetE0EEEvT1_
                                        ; -- End function
	.set _ZN7rocprim17ROCPRIM_400000_NS6detail17trampoline_kernelINS0_14default_configENS1_27scan_by_key_config_selectorIsiEEZZNS1_16scan_by_key_implILNS1_25lookback_scan_determinismE0ELb1ES3_N6thrust23THRUST_200600_302600_NS6detail15normal_iteratorINS9_10device_ptrIsEEEESE_SE_iNS9_4plusIvEENS9_8equal_toIvEEiEE10hipError_tPvRmT2_T3_T4_T5_mT6_T7_P12ihipStream_tbENKUlT_T0_E_clISt17integral_constantIbLb0EESZ_EEDaSU_SV_EUlSU_E_NS1_11comp_targetILNS1_3genE9ELNS1_11target_archE1100ELNS1_3gpuE3ELNS1_3repE0EEENS1_30default_config_static_selectorELNS0_4arch9wavefront6targetE0EEEvT1_.num_vgpr, 0
	.set _ZN7rocprim17ROCPRIM_400000_NS6detail17trampoline_kernelINS0_14default_configENS1_27scan_by_key_config_selectorIsiEEZZNS1_16scan_by_key_implILNS1_25lookback_scan_determinismE0ELb1ES3_N6thrust23THRUST_200600_302600_NS6detail15normal_iteratorINS9_10device_ptrIsEEEESE_SE_iNS9_4plusIvEENS9_8equal_toIvEEiEE10hipError_tPvRmT2_T3_T4_T5_mT6_T7_P12ihipStream_tbENKUlT_T0_E_clISt17integral_constantIbLb0EESZ_EEDaSU_SV_EUlSU_E_NS1_11comp_targetILNS1_3genE9ELNS1_11target_archE1100ELNS1_3gpuE3ELNS1_3repE0EEENS1_30default_config_static_selectorELNS0_4arch9wavefront6targetE0EEEvT1_.num_agpr, 0
	.set _ZN7rocprim17ROCPRIM_400000_NS6detail17trampoline_kernelINS0_14default_configENS1_27scan_by_key_config_selectorIsiEEZZNS1_16scan_by_key_implILNS1_25lookback_scan_determinismE0ELb1ES3_N6thrust23THRUST_200600_302600_NS6detail15normal_iteratorINS9_10device_ptrIsEEEESE_SE_iNS9_4plusIvEENS9_8equal_toIvEEiEE10hipError_tPvRmT2_T3_T4_T5_mT6_T7_P12ihipStream_tbENKUlT_T0_E_clISt17integral_constantIbLb0EESZ_EEDaSU_SV_EUlSU_E_NS1_11comp_targetILNS1_3genE9ELNS1_11target_archE1100ELNS1_3gpuE3ELNS1_3repE0EEENS1_30default_config_static_selectorELNS0_4arch9wavefront6targetE0EEEvT1_.numbered_sgpr, 0
	.set _ZN7rocprim17ROCPRIM_400000_NS6detail17trampoline_kernelINS0_14default_configENS1_27scan_by_key_config_selectorIsiEEZZNS1_16scan_by_key_implILNS1_25lookback_scan_determinismE0ELb1ES3_N6thrust23THRUST_200600_302600_NS6detail15normal_iteratorINS9_10device_ptrIsEEEESE_SE_iNS9_4plusIvEENS9_8equal_toIvEEiEE10hipError_tPvRmT2_T3_T4_T5_mT6_T7_P12ihipStream_tbENKUlT_T0_E_clISt17integral_constantIbLb0EESZ_EEDaSU_SV_EUlSU_E_NS1_11comp_targetILNS1_3genE9ELNS1_11target_archE1100ELNS1_3gpuE3ELNS1_3repE0EEENS1_30default_config_static_selectorELNS0_4arch9wavefront6targetE0EEEvT1_.num_named_barrier, 0
	.set _ZN7rocprim17ROCPRIM_400000_NS6detail17trampoline_kernelINS0_14default_configENS1_27scan_by_key_config_selectorIsiEEZZNS1_16scan_by_key_implILNS1_25lookback_scan_determinismE0ELb1ES3_N6thrust23THRUST_200600_302600_NS6detail15normal_iteratorINS9_10device_ptrIsEEEESE_SE_iNS9_4plusIvEENS9_8equal_toIvEEiEE10hipError_tPvRmT2_T3_T4_T5_mT6_T7_P12ihipStream_tbENKUlT_T0_E_clISt17integral_constantIbLb0EESZ_EEDaSU_SV_EUlSU_E_NS1_11comp_targetILNS1_3genE9ELNS1_11target_archE1100ELNS1_3gpuE3ELNS1_3repE0EEENS1_30default_config_static_selectorELNS0_4arch9wavefront6targetE0EEEvT1_.private_seg_size, 0
	.set _ZN7rocprim17ROCPRIM_400000_NS6detail17trampoline_kernelINS0_14default_configENS1_27scan_by_key_config_selectorIsiEEZZNS1_16scan_by_key_implILNS1_25lookback_scan_determinismE0ELb1ES3_N6thrust23THRUST_200600_302600_NS6detail15normal_iteratorINS9_10device_ptrIsEEEESE_SE_iNS9_4plusIvEENS9_8equal_toIvEEiEE10hipError_tPvRmT2_T3_T4_T5_mT6_T7_P12ihipStream_tbENKUlT_T0_E_clISt17integral_constantIbLb0EESZ_EEDaSU_SV_EUlSU_E_NS1_11comp_targetILNS1_3genE9ELNS1_11target_archE1100ELNS1_3gpuE3ELNS1_3repE0EEENS1_30default_config_static_selectorELNS0_4arch9wavefront6targetE0EEEvT1_.uses_vcc, 0
	.set _ZN7rocprim17ROCPRIM_400000_NS6detail17trampoline_kernelINS0_14default_configENS1_27scan_by_key_config_selectorIsiEEZZNS1_16scan_by_key_implILNS1_25lookback_scan_determinismE0ELb1ES3_N6thrust23THRUST_200600_302600_NS6detail15normal_iteratorINS9_10device_ptrIsEEEESE_SE_iNS9_4plusIvEENS9_8equal_toIvEEiEE10hipError_tPvRmT2_T3_T4_T5_mT6_T7_P12ihipStream_tbENKUlT_T0_E_clISt17integral_constantIbLb0EESZ_EEDaSU_SV_EUlSU_E_NS1_11comp_targetILNS1_3genE9ELNS1_11target_archE1100ELNS1_3gpuE3ELNS1_3repE0EEENS1_30default_config_static_selectorELNS0_4arch9wavefront6targetE0EEEvT1_.uses_flat_scratch, 0
	.set _ZN7rocprim17ROCPRIM_400000_NS6detail17trampoline_kernelINS0_14default_configENS1_27scan_by_key_config_selectorIsiEEZZNS1_16scan_by_key_implILNS1_25lookback_scan_determinismE0ELb1ES3_N6thrust23THRUST_200600_302600_NS6detail15normal_iteratorINS9_10device_ptrIsEEEESE_SE_iNS9_4plusIvEENS9_8equal_toIvEEiEE10hipError_tPvRmT2_T3_T4_T5_mT6_T7_P12ihipStream_tbENKUlT_T0_E_clISt17integral_constantIbLb0EESZ_EEDaSU_SV_EUlSU_E_NS1_11comp_targetILNS1_3genE9ELNS1_11target_archE1100ELNS1_3gpuE3ELNS1_3repE0EEENS1_30default_config_static_selectorELNS0_4arch9wavefront6targetE0EEEvT1_.has_dyn_sized_stack, 0
	.set _ZN7rocprim17ROCPRIM_400000_NS6detail17trampoline_kernelINS0_14default_configENS1_27scan_by_key_config_selectorIsiEEZZNS1_16scan_by_key_implILNS1_25lookback_scan_determinismE0ELb1ES3_N6thrust23THRUST_200600_302600_NS6detail15normal_iteratorINS9_10device_ptrIsEEEESE_SE_iNS9_4plusIvEENS9_8equal_toIvEEiEE10hipError_tPvRmT2_T3_T4_T5_mT6_T7_P12ihipStream_tbENKUlT_T0_E_clISt17integral_constantIbLb0EESZ_EEDaSU_SV_EUlSU_E_NS1_11comp_targetILNS1_3genE9ELNS1_11target_archE1100ELNS1_3gpuE3ELNS1_3repE0EEENS1_30default_config_static_selectorELNS0_4arch9wavefront6targetE0EEEvT1_.has_recursion, 0
	.set _ZN7rocprim17ROCPRIM_400000_NS6detail17trampoline_kernelINS0_14default_configENS1_27scan_by_key_config_selectorIsiEEZZNS1_16scan_by_key_implILNS1_25lookback_scan_determinismE0ELb1ES3_N6thrust23THRUST_200600_302600_NS6detail15normal_iteratorINS9_10device_ptrIsEEEESE_SE_iNS9_4plusIvEENS9_8equal_toIvEEiEE10hipError_tPvRmT2_T3_T4_T5_mT6_T7_P12ihipStream_tbENKUlT_T0_E_clISt17integral_constantIbLb0EESZ_EEDaSU_SV_EUlSU_E_NS1_11comp_targetILNS1_3genE9ELNS1_11target_archE1100ELNS1_3gpuE3ELNS1_3repE0EEENS1_30default_config_static_selectorELNS0_4arch9wavefront6targetE0EEEvT1_.has_indirect_call, 0
	.section	.AMDGPU.csdata,"",@progbits
; Kernel info:
; codeLenInByte = 0
; TotalNumSgprs: 0
; NumVgprs: 0
; ScratchSize: 0
; MemoryBound: 0
; FloatMode: 240
; IeeeMode: 1
; LDSByteSize: 0 bytes/workgroup (compile time only)
; SGPRBlocks: 0
; VGPRBlocks: 0
; NumSGPRsForWavesPerEU: 1
; NumVGPRsForWavesPerEU: 1
; NamedBarCnt: 0
; Occupancy: 16
; WaveLimiterHint : 0
; COMPUTE_PGM_RSRC2:SCRATCH_EN: 0
; COMPUTE_PGM_RSRC2:USER_SGPR: 2
; COMPUTE_PGM_RSRC2:TRAP_HANDLER: 0
; COMPUTE_PGM_RSRC2:TGID_X_EN: 1
; COMPUTE_PGM_RSRC2:TGID_Y_EN: 0
; COMPUTE_PGM_RSRC2:TGID_Z_EN: 0
; COMPUTE_PGM_RSRC2:TIDIG_COMP_CNT: 0
	.section	.text._ZN7rocprim17ROCPRIM_400000_NS6detail17trampoline_kernelINS0_14default_configENS1_27scan_by_key_config_selectorIsiEEZZNS1_16scan_by_key_implILNS1_25lookback_scan_determinismE0ELb1ES3_N6thrust23THRUST_200600_302600_NS6detail15normal_iteratorINS9_10device_ptrIsEEEESE_SE_iNS9_4plusIvEENS9_8equal_toIvEEiEE10hipError_tPvRmT2_T3_T4_T5_mT6_T7_P12ihipStream_tbENKUlT_T0_E_clISt17integral_constantIbLb0EESZ_EEDaSU_SV_EUlSU_E_NS1_11comp_targetILNS1_3genE8ELNS1_11target_archE1030ELNS1_3gpuE2ELNS1_3repE0EEENS1_30default_config_static_selectorELNS0_4arch9wavefront6targetE0EEEvT1_,"axG",@progbits,_ZN7rocprim17ROCPRIM_400000_NS6detail17trampoline_kernelINS0_14default_configENS1_27scan_by_key_config_selectorIsiEEZZNS1_16scan_by_key_implILNS1_25lookback_scan_determinismE0ELb1ES3_N6thrust23THRUST_200600_302600_NS6detail15normal_iteratorINS9_10device_ptrIsEEEESE_SE_iNS9_4plusIvEENS9_8equal_toIvEEiEE10hipError_tPvRmT2_T3_T4_T5_mT6_T7_P12ihipStream_tbENKUlT_T0_E_clISt17integral_constantIbLb0EESZ_EEDaSU_SV_EUlSU_E_NS1_11comp_targetILNS1_3genE8ELNS1_11target_archE1030ELNS1_3gpuE2ELNS1_3repE0EEENS1_30default_config_static_selectorELNS0_4arch9wavefront6targetE0EEEvT1_,comdat
	.protected	_ZN7rocprim17ROCPRIM_400000_NS6detail17trampoline_kernelINS0_14default_configENS1_27scan_by_key_config_selectorIsiEEZZNS1_16scan_by_key_implILNS1_25lookback_scan_determinismE0ELb1ES3_N6thrust23THRUST_200600_302600_NS6detail15normal_iteratorINS9_10device_ptrIsEEEESE_SE_iNS9_4plusIvEENS9_8equal_toIvEEiEE10hipError_tPvRmT2_T3_T4_T5_mT6_T7_P12ihipStream_tbENKUlT_T0_E_clISt17integral_constantIbLb0EESZ_EEDaSU_SV_EUlSU_E_NS1_11comp_targetILNS1_3genE8ELNS1_11target_archE1030ELNS1_3gpuE2ELNS1_3repE0EEENS1_30default_config_static_selectorELNS0_4arch9wavefront6targetE0EEEvT1_ ; -- Begin function _ZN7rocprim17ROCPRIM_400000_NS6detail17trampoline_kernelINS0_14default_configENS1_27scan_by_key_config_selectorIsiEEZZNS1_16scan_by_key_implILNS1_25lookback_scan_determinismE0ELb1ES3_N6thrust23THRUST_200600_302600_NS6detail15normal_iteratorINS9_10device_ptrIsEEEESE_SE_iNS9_4plusIvEENS9_8equal_toIvEEiEE10hipError_tPvRmT2_T3_T4_T5_mT6_T7_P12ihipStream_tbENKUlT_T0_E_clISt17integral_constantIbLb0EESZ_EEDaSU_SV_EUlSU_E_NS1_11comp_targetILNS1_3genE8ELNS1_11target_archE1030ELNS1_3gpuE2ELNS1_3repE0EEENS1_30default_config_static_selectorELNS0_4arch9wavefront6targetE0EEEvT1_
	.globl	_ZN7rocprim17ROCPRIM_400000_NS6detail17trampoline_kernelINS0_14default_configENS1_27scan_by_key_config_selectorIsiEEZZNS1_16scan_by_key_implILNS1_25lookback_scan_determinismE0ELb1ES3_N6thrust23THRUST_200600_302600_NS6detail15normal_iteratorINS9_10device_ptrIsEEEESE_SE_iNS9_4plusIvEENS9_8equal_toIvEEiEE10hipError_tPvRmT2_T3_T4_T5_mT6_T7_P12ihipStream_tbENKUlT_T0_E_clISt17integral_constantIbLb0EESZ_EEDaSU_SV_EUlSU_E_NS1_11comp_targetILNS1_3genE8ELNS1_11target_archE1030ELNS1_3gpuE2ELNS1_3repE0EEENS1_30default_config_static_selectorELNS0_4arch9wavefront6targetE0EEEvT1_
	.p2align	8
	.type	_ZN7rocprim17ROCPRIM_400000_NS6detail17trampoline_kernelINS0_14default_configENS1_27scan_by_key_config_selectorIsiEEZZNS1_16scan_by_key_implILNS1_25lookback_scan_determinismE0ELb1ES3_N6thrust23THRUST_200600_302600_NS6detail15normal_iteratorINS9_10device_ptrIsEEEESE_SE_iNS9_4plusIvEENS9_8equal_toIvEEiEE10hipError_tPvRmT2_T3_T4_T5_mT6_T7_P12ihipStream_tbENKUlT_T0_E_clISt17integral_constantIbLb0EESZ_EEDaSU_SV_EUlSU_E_NS1_11comp_targetILNS1_3genE8ELNS1_11target_archE1030ELNS1_3gpuE2ELNS1_3repE0EEENS1_30default_config_static_selectorELNS0_4arch9wavefront6targetE0EEEvT1_,@function
_ZN7rocprim17ROCPRIM_400000_NS6detail17trampoline_kernelINS0_14default_configENS1_27scan_by_key_config_selectorIsiEEZZNS1_16scan_by_key_implILNS1_25lookback_scan_determinismE0ELb1ES3_N6thrust23THRUST_200600_302600_NS6detail15normal_iteratorINS9_10device_ptrIsEEEESE_SE_iNS9_4plusIvEENS9_8equal_toIvEEiEE10hipError_tPvRmT2_T3_T4_T5_mT6_T7_P12ihipStream_tbENKUlT_T0_E_clISt17integral_constantIbLb0EESZ_EEDaSU_SV_EUlSU_E_NS1_11comp_targetILNS1_3genE8ELNS1_11target_archE1030ELNS1_3gpuE2ELNS1_3repE0EEENS1_30default_config_static_selectorELNS0_4arch9wavefront6targetE0EEEvT1_: ; @_ZN7rocprim17ROCPRIM_400000_NS6detail17trampoline_kernelINS0_14default_configENS1_27scan_by_key_config_selectorIsiEEZZNS1_16scan_by_key_implILNS1_25lookback_scan_determinismE0ELb1ES3_N6thrust23THRUST_200600_302600_NS6detail15normal_iteratorINS9_10device_ptrIsEEEESE_SE_iNS9_4plusIvEENS9_8equal_toIvEEiEE10hipError_tPvRmT2_T3_T4_T5_mT6_T7_P12ihipStream_tbENKUlT_T0_E_clISt17integral_constantIbLb0EESZ_EEDaSU_SV_EUlSU_E_NS1_11comp_targetILNS1_3genE8ELNS1_11target_archE1030ELNS1_3gpuE2ELNS1_3repE0EEENS1_30default_config_static_selectorELNS0_4arch9wavefront6targetE0EEEvT1_
; %bb.0:
	.section	.rodata,"a",@progbits
	.p2align	6, 0x0
	.amdhsa_kernel _ZN7rocprim17ROCPRIM_400000_NS6detail17trampoline_kernelINS0_14default_configENS1_27scan_by_key_config_selectorIsiEEZZNS1_16scan_by_key_implILNS1_25lookback_scan_determinismE0ELb1ES3_N6thrust23THRUST_200600_302600_NS6detail15normal_iteratorINS9_10device_ptrIsEEEESE_SE_iNS9_4plusIvEENS9_8equal_toIvEEiEE10hipError_tPvRmT2_T3_T4_T5_mT6_T7_P12ihipStream_tbENKUlT_T0_E_clISt17integral_constantIbLb0EESZ_EEDaSU_SV_EUlSU_E_NS1_11comp_targetILNS1_3genE8ELNS1_11target_archE1030ELNS1_3gpuE2ELNS1_3repE0EEENS1_30default_config_static_selectorELNS0_4arch9wavefront6targetE0EEEvT1_
		.amdhsa_group_segment_fixed_size 0
		.amdhsa_private_segment_fixed_size 0
		.amdhsa_kernarg_size 112
		.amdhsa_user_sgpr_count 2
		.amdhsa_user_sgpr_dispatch_ptr 0
		.amdhsa_user_sgpr_queue_ptr 0
		.amdhsa_user_sgpr_kernarg_segment_ptr 1
		.amdhsa_user_sgpr_dispatch_id 0
		.amdhsa_user_sgpr_kernarg_preload_length 0
		.amdhsa_user_sgpr_kernarg_preload_offset 0
		.amdhsa_user_sgpr_private_segment_size 0
		.amdhsa_wavefront_size32 1
		.amdhsa_uses_dynamic_stack 0
		.amdhsa_enable_private_segment 0
		.amdhsa_system_sgpr_workgroup_id_x 1
		.amdhsa_system_sgpr_workgroup_id_y 0
		.amdhsa_system_sgpr_workgroup_id_z 0
		.amdhsa_system_sgpr_workgroup_info 0
		.amdhsa_system_vgpr_workitem_id 0
		.amdhsa_next_free_vgpr 1
		.amdhsa_next_free_sgpr 1
		.amdhsa_named_barrier_count 0
		.amdhsa_reserve_vcc 0
		.amdhsa_float_round_mode_32 0
		.amdhsa_float_round_mode_16_64 0
		.amdhsa_float_denorm_mode_32 3
		.amdhsa_float_denorm_mode_16_64 3
		.amdhsa_fp16_overflow 0
		.amdhsa_memory_ordered 1
		.amdhsa_forward_progress 1
		.amdhsa_inst_pref_size 0
		.amdhsa_round_robin_scheduling 0
		.amdhsa_exception_fp_ieee_invalid_op 0
		.amdhsa_exception_fp_denorm_src 0
		.amdhsa_exception_fp_ieee_div_zero 0
		.amdhsa_exception_fp_ieee_overflow 0
		.amdhsa_exception_fp_ieee_underflow 0
		.amdhsa_exception_fp_ieee_inexact 0
		.amdhsa_exception_int_div_zero 0
	.end_amdhsa_kernel
	.section	.text._ZN7rocprim17ROCPRIM_400000_NS6detail17trampoline_kernelINS0_14default_configENS1_27scan_by_key_config_selectorIsiEEZZNS1_16scan_by_key_implILNS1_25lookback_scan_determinismE0ELb1ES3_N6thrust23THRUST_200600_302600_NS6detail15normal_iteratorINS9_10device_ptrIsEEEESE_SE_iNS9_4plusIvEENS9_8equal_toIvEEiEE10hipError_tPvRmT2_T3_T4_T5_mT6_T7_P12ihipStream_tbENKUlT_T0_E_clISt17integral_constantIbLb0EESZ_EEDaSU_SV_EUlSU_E_NS1_11comp_targetILNS1_3genE8ELNS1_11target_archE1030ELNS1_3gpuE2ELNS1_3repE0EEENS1_30default_config_static_selectorELNS0_4arch9wavefront6targetE0EEEvT1_,"axG",@progbits,_ZN7rocprim17ROCPRIM_400000_NS6detail17trampoline_kernelINS0_14default_configENS1_27scan_by_key_config_selectorIsiEEZZNS1_16scan_by_key_implILNS1_25lookback_scan_determinismE0ELb1ES3_N6thrust23THRUST_200600_302600_NS6detail15normal_iteratorINS9_10device_ptrIsEEEESE_SE_iNS9_4plusIvEENS9_8equal_toIvEEiEE10hipError_tPvRmT2_T3_T4_T5_mT6_T7_P12ihipStream_tbENKUlT_T0_E_clISt17integral_constantIbLb0EESZ_EEDaSU_SV_EUlSU_E_NS1_11comp_targetILNS1_3genE8ELNS1_11target_archE1030ELNS1_3gpuE2ELNS1_3repE0EEENS1_30default_config_static_selectorELNS0_4arch9wavefront6targetE0EEEvT1_,comdat
.Lfunc_end1050:
	.size	_ZN7rocprim17ROCPRIM_400000_NS6detail17trampoline_kernelINS0_14default_configENS1_27scan_by_key_config_selectorIsiEEZZNS1_16scan_by_key_implILNS1_25lookback_scan_determinismE0ELb1ES3_N6thrust23THRUST_200600_302600_NS6detail15normal_iteratorINS9_10device_ptrIsEEEESE_SE_iNS9_4plusIvEENS9_8equal_toIvEEiEE10hipError_tPvRmT2_T3_T4_T5_mT6_T7_P12ihipStream_tbENKUlT_T0_E_clISt17integral_constantIbLb0EESZ_EEDaSU_SV_EUlSU_E_NS1_11comp_targetILNS1_3genE8ELNS1_11target_archE1030ELNS1_3gpuE2ELNS1_3repE0EEENS1_30default_config_static_selectorELNS0_4arch9wavefront6targetE0EEEvT1_, .Lfunc_end1050-_ZN7rocprim17ROCPRIM_400000_NS6detail17trampoline_kernelINS0_14default_configENS1_27scan_by_key_config_selectorIsiEEZZNS1_16scan_by_key_implILNS1_25lookback_scan_determinismE0ELb1ES3_N6thrust23THRUST_200600_302600_NS6detail15normal_iteratorINS9_10device_ptrIsEEEESE_SE_iNS9_4plusIvEENS9_8equal_toIvEEiEE10hipError_tPvRmT2_T3_T4_T5_mT6_T7_P12ihipStream_tbENKUlT_T0_E_clISt17integral_constantIbLb0EESZ_EEDaSU_SV_EUlSU_E_NS1_11comp_targetILNS1_3genE8ELNS1_11target_archE1030ELNS1_3gpuE2ELNS1_3repE0EEENS1_30default_config_static_selectorELNS0_4arch9wavefront6targetE0EEEvT1_
                                        ; -- End function
	.set _ZN7rocprim17ROCPRIM_400000_NS6detail17trampoline_kernelINS0_14default_configENS1_27scan_by_key_config_selectorIsiEEZZNS1_16scan_by_key_implILNS1_25lookback_scan_determinismE0ELb1ES3_N6thrust23THRUST_200600_302600_NS6detail15normal_iteratorINS9_10device_ptrIsEEEESE_SE_iNS9_4plusIvEENS9_8equal_toIvEEiEE10hipError_tPvRmT2_T3_T4_T5_mT6_T7_P12ihipStream_tbENKUlT_T0_E_clISt17integral_constantIbLb0EESZ_EEDaSU_SV_EUlSU_E_NS1_11comp_targetILNS1_3genE8ELNS1_11target_archE1030ELNS1_3gpuE2ELNS1_3repE0EEENS1_30default_config_static_selectorELNS0_4arch9wavefront6targetE0EEEvT1_.num_vgpr, 0
	.set _ZN7rocprim17ROCPRIM_400000_NS6detail17trampoline_kernelINS0_14default_configENS1_27scan_by_key_config_selectorIsiEEZZNS1_16scan_by_key_implILNS1_25lookback_scan_determinismE0ELb1ES3_N6thrust23THRUST_200600_302600_NS6detail15normal_iteratorINS9_10device_ptrIsEEEESE_SE_iNS9_4plusIvEENS9_8equal_toIvEEiEE10hipError_tPvRmT2_T3_T4_T5_mT6_T7_P12ihipStream_tbENKUlT_T0_E_clISt17integral_constantIbLb0EESZ_EEDaSU_SV_EUlSU_E_NS1_11comp_targetILNS1_3genE8ELNS1_11target_archE1030ELNS1_3gpuE2ELNS1_3repE0EEENS1_30default_config_static_selectorELNS0_4arch9wavefront6targetE0EEEvT1_.num_agpr, 0
	.set _ZN7rocprim17ROCPRIM_400000_NS6detail17trampoline_kernelINS0_14default_configENS1_27scan_by_key_config_selectorIsiEEZZNS1_16scan_by_key_implILNS1_25lookback_scan_determinismE0ELb1ES3_N6thrust23THRUST_200600_302600_NS6detail15normal_iteratorINS9_10device_ptrIsEEEESE_SE_iNS9_4plusIvEENS9_8equal_toIvEEiEE10hipError_tPvRmT2_T3_T4_T5_mT6_T7_P12ihipStream_tbENKUlT_T0_E_clISt17integral_constantIbLb0EESZ_EEDaSU_SV_EUlSU_E_NS1_11comp_targetILNS1_3genE8ELNS1_11target_archE1030ELNS1_3gpuE2ELNS1_3repE0EEENS1_30default_config_static_selectorELNS0_4arch9wavefront6targetE0EEEvT1_.numbered_sgpr, 0
	.set _ZN7rocprim17ROCPRIM_400000_NS6detail17trampoline_kernelINS0_14default_configENS1_27scan_by_key_config_selectorIsiEEZZNS1_16scan_by_key_implILNS1_25lookback_scan_determinismE0ELb1ES3_N6thrust23THRUST_200600_302600_NS6detail15normal_iteratorINS9_10device_ptrIsEEEESE_SE_iNS9_4plusIvEENS9_8equal_toIvEEiEE10hipError_tPvRmT2_T3_T4_T5_mT6_T7_P12ihipStream_tbENKUlT_T0_E_clISt17integral_constantIbLb0EESZ_EEDaSU_SV_EUlSU_E_NS1_11comp_targetILNS1_3genE8ELNS1_11target_archE1030ELNS1_3gpuE2ELNS1_3repE0EEENS1_30default_config_static_selectorELNS0_4arch9wavefront6targetE0EEEvT1_.num_named_barrier, 0
	.set _ZN7rocprim17ROCPRIM_400000_NS6detail17trampoline_kernelINS0_14default_configENS1_27scan_by_key_config_selectorIsiEEZZNS1_16scan_by_key_implILNS1_25lookback_scan_determinismE0ELb1ES3_N6thrust23THRUST_200600_302600_NS6detail15normal_iteratorINS9_10device_ptrIsEEEESE_SE_iNS9_4plusIvEENS9_8equal_toIvEEiEE10hipError_tPvRmT2_T3_T4_T5_mT6_T7_P12ihipStream_tbENKUlT_T0_E_clISt17integral_constantIbLb0EESZ_EEDaSU_SV_EUlSU_E_NS1_11comp_targetILNS1_3genE8ELNS1_11target_archE1030ELNS1_3gpuE2ELNS1_3repE0EEENS1_30default_config_static_selectorELNS0_4arch9wavefront6targetE0EEEvT1_.private_seg_size, 0
	.set _ZN7rocprim17ROCPRIM_400000_NS6detail17trampoline_kernelINS0_14default_configENS1_27scan_by_key_config_selectorIsiEEZZNS1_16scan_by_key_implILNS1_25lookback_scan_determinismE0ELb1ES3_N6thrust23THRUST_200600_302600_NS6detail15normal_iteratorINS9_10device_ptrIsEEEESE_SE_iNS9_4plusIvEENS9_8equal_toIvEEiEE10hipError_tPvRmT2_T3_T4_T5_mT6_T7_P12ihipStream_tbENKUlT_T0_E_clISt17integral_constantIbLb0EESZ_EEDaSU_SV_EUlSU_E_NS1_11comp_targetILNS1_3genE8ELNS1_11target_archE1030ELNS1_3gpuE2ELNS1_3repE0EEENS1_30default_config_static_selectorELNS0_4arch9wavefront6targetE0EEEvT1_.uses_vcc, 0
	.set _ZN7rocprim17ROCPRIM_400000_NS6detail17trampoline_kernelINS0_14default_configENS1_27scan_by_key_config_selectorIsiEEZZNS1_16scan_by_key_implILNS1_25lookback_scan_determinismE0ELb1ES3_N6thrust23THRUST_200600_302600_NS6detail15normal_iteratorINS9_10device_ptrIsEEEESE_SE_iNS9_4plusIvEENS9_8equal_toIvEEiEE10hipError_tPvRmT2_T3_T4_T5_mT6_T7_P12ihipStream_tbENKUlT_T0_E_clISt17integral_constantIbLb0EESZ_EEDaSU_SV_EUlSU_E_NS1_11comp_targetILNS1_3genE8ELNS1_11target_archE1030ELNS1_3gpuE2ELNS1_3repE0EEENS1_30default_config_static_selectorELNS0_4arch9wavefront6targetE0EEEvT1_.uses_flat_scratch, 0
	.set _ZN7rocprim17ROCPRIM_400000_NS6detail17trampoline_kernelINS0_14default_configENS1_27scan_by_key_config_selectorIsiEEZZNS1_16scan_by_key_implILNS1_25lookback_scan_determinismE0ELb1ES3_N6thrust23THRUST_200600_302600_NS6detail15normal_iteratorINS9_10device_ptrIsEEEESE_SE_iNS9_4plusIvEENS9_8equal_toIvEEiEE10hipError_tPvRmT2_T3_T4_T5_mT6_T7_P12ihipStream_tbENKUlT_T0_E_clISt17integral_constantIbLb0EESZ_EEDaSU_SV_EUlSU_E_NS1_11comp_targetILNS1_3genE8ELNS1_11target_archE1030ELNS1_3gpuE2ELNS1_3repE0EEENS1_30default_config_static_selectorELNS0_4arch9wavefront6targetE0EEEvT1_.has_dyn_sized_stack, 0
	.set _ZN7rocprim17ROCPRIM_400000_NS6detail17trampoline_kernelINS0_14default_configENS1_27scan_by_key_config_selectorIsiEEZZNS1_16scan_by_key_implILNS1_25lookback_scan_determinismE0ELb1ES3_N6thrust23THRUST_200600_302600_NS6detail15normal_iteratorINS9_10device_ptrIsEEEESE_SE_iNS9_4plusIvEENS9_8equal_toIvEEiEE10hipError_tPvRmT2_T3_T4_T5_mT6_T7_P12ihipStream_tbENKUlT_T0_E_clISt17integral_constantIbLb0EESZ_EEDaSU_SV_EUlSU_E_NS1_11comp_targetILNS1_3genE8ELNS1_11target_archE1030ELNS1_3gpuE2ELNS1_3repE0EEENS1_30default_config_static_selectorELNS0_4arch9wavefront6targetE0EEEvT1_.has_recursion, 0
	.set _ZN7rocprim17ROCPRIM_400000_NS6detail17trampoline_kernelINS0_14default_configENS1_27scan_by_key_config_selectorIsiEEZZNS1_16scan_by_key_implILNS1_25lookback_scan_determinismE0ELb1ES3_N6thrust23THRUST_200600_302600_NS6detail15normal_iteratorINS9_10device_ptrIsEEEESE_SE_iNS9_4plusIvEENS9_8equal_toIvEEiEE10hipError_tPvRmT2_T3_T4_T5_mT6_T7_P12ihipStream_tbENKUlT_T0_E_clISt17integral_constantIbLb0EESZ_EEDaSU_SV_EUlSU_E_NS1_11comp_targetILNS1_3genE8ELNS1_11target_archE1030ELNS1_3gpuE2ELNS1_3repE0EEENS1_30default_config_static_selectorELNS0_4arch9wavefront6targetE0EEEvT1_.has_indirect_call, 0
	.section	.AMDGPU.csdata,"",@progbits
; Kernel info:
; codeLenInByte = 0
; TotalNumSgprs: 0
; NumVgprs: 0
; ScratchSize: 0
; MemoryBound: 0
; FloatMode: 240
; IeeeMode: 1
; LDSByteSize: 0 bytes/workgroup (compile time only)
; SGPRBlocks: 0
; VGPRBlocks: 0
; NumSGPRsForWavesPerEU: 1
; NumVGPRsForWavesPerEU: 1
; NamedBarCnt: 0
; Occupancy: 16
; WaveLimiterHint : 0
; COMPUTE_PGM_RSRC2:SCRATCH_EN: 0
; COMPUTE_PGM_RSRC2:USER_SGPR: 2
; COMPUTE_PGM_RSRC2:TRAP_HANDLER: 0
; COMPUTE_PGM_RSRC2:TGID_X_EN: 1
; COMPUTE_PGM_RSRC2:TGID_Y_EN: 0
; COMPUTE_PGM_RSRC2:TGID_Z_EN: 0
; COMPUTE_PGM_RSRC2:TIDIG_COMP_CNT: 0
	.section	.text._ZN7rocprim17ROCPRIM_400000_NS6detail30init_device_scan_by_key_kernelINS1_19lookback_scan_stateINS0_5tupleIJibEEELb1ELb1EEEN6thrust23THRUST_200600_302600_NS6detail15normal_iteratorINS8_10device_ptrIsEEEEjNS1_16block_id_wrapperIjLb1EEEEEvT_jjPNSG_10value_typeET0_PNSt15iterator_traitsISJ_E10value_typeEmT1_T2_,"axG",@progbits,_ZN7rocprim17ROCPRIM_400000_NS6detail30init_device_scan_by_key_kernelINS1_19lookback_scan_stateINS0_5tupleIJibEEELb1ELb1EEEN6thrust23THRUST_200600_302600_NS6detail15normal_iteratorINS8_10device_ptrIsEEEEjNS1_16block_id_wrapperIjLb1EEEEEvT_jjPNSG_10value_typeET0_PNSt15iterator_traitsISJ_E10value_typeEmT1_T2_,comdat
	.protected	_ZN7rocprim17ROCPRIM_400000_NS6detail30init_device_scan_by_key_kernelINS1_19lookback_scan_stateINS0_5tupleIJibEEELb1ELb1EEEN6thrust23THRUST_200600_302600_NS6detail15normal_iteratorINS8_10device_ptrIsEEEEjNS1_16block_id_wrapperIjLb1EEEEEvT_jjPNSG_10value_typeET0_PNSt15iterator_traitsISJ_E10value_typeEmT1_T2_ ; -- Begin function _ZN7rocprim17ROCPRIM_400000_NS6detail30init_device_scan_by_key_kernelINS1_19lookback_scan_stateINS0_5tupleIJibEEELb1ELb1EEEN6thrust23THRUST_200600_302600_NS6detail15normal_iteratorINS8_10device_ptrIsEEEEjNS1_16block_id_wrapperIjLb1EEEEEvT_jjPNSG_10value_typeET0_PNSt15iterator_traitsISJ_E10value_typeEmT1_T2_
	.globl	_ZN7rocprim17ROCPRIM_400000_NS6detail30init_device_scan_by_key_kernelINS1_19lookback_scan_stateINS0_5tupleIJibEEELb1ELb1EEEN6thrust23THRUST_200600_302600_NS6detail15normal_iteratorINS8_10device_ptrIsEEEEjNS1_16block_id_wrapperIjLb1EEEEEvT_jjPNSG_10value_typeET0_PNSt15iterator_traitsISJ_E10value_typeEmT1_T2_
	.p2align	8
	.type	_ZN7rocprim17ROCPRIM_400000_NS6detail30init_device_scan_by_key_kernelINS1_19lookback_scan_stateINS0_5tupleIJibEEELb1ELb1EEEN6thrust23THRUST_200600_302600_NS6detail15normal_iteratorINS8_10device_ptrIsEEEEjNS1_16block_id_wrapperIjLb1EEEEEvT_jjPNSG_10value_typeET0_PNSt15iterator_traitsISJ_E10value_typeEmT1_T2_,@function
_ZN7rocprim17ROCPRIM_400000_NS6detail30init_device_scan_by_key_kernelINS1_19lookback_scan_stateINS0_5tupleIJibEEELb1ELb1EEEN6thrust23THRUST_200600_302600_NS6detail15normal_iteratorINS8_10device_ptrIsEEEEjNS1_16block_id_wrapperIjLb1EEEEEvT_jjPNSG_10value_typeET0_PNSt15iterator_traitsISJ_E10value_typeEmT1_T2_: ; @_ZN7rocprim17ROCPRIM_400000_NS6detail30init_device_scan_by_key_kernelINS1_19lookback_scan_stateINS0_5tupleIJibEEELb1ELb1EEEN6thrust23THRUST_200600_302600_NS6detail15normal_iteratorINS8_10device_ptrIsEEEEjNS1_16block_id_wrapperIjLb1EEEEEvT_jjPNSG_10value_typeET0_PNSt15iterator_traitsISJ_E10value_typeEmT1_T2_
; %bb.0:
	s_clause 0x2
	s_load_b32 s2, s[0:1], 0x4c
	s_load_b32 s14, s[0:1], 0x40
	s_load_b256 s[4:11], s[0:1], 0x0
	s_bfe_u32 s3, ttmp6, 0x4000c
	s_and_b32 s12, ttmp6, 15
	s_add_co_i32 s3, s3, 1
	s_getreg_b32 s13, hwreg(HW_REG_IB_STS2, 6, 4)
	s_mul_i32 s3, ttmp9, s3
	s_delay_alu instid0(SALU_CYCLE_1)
	s_add_co_i32 s12, s12, s3
	s_wait_kmcnt 0x0
	s_and_b32 s15, s2, 0xffff
	s_cmp_eq_u32 s13, 0
	s_cselect_b32 s2, ttmp9, s12
	s_cmp_eq_u64 s[8:9], 0
	v_mad_u32 v4, s2, s15, v0
	s_cbranch_scc1 .LBB1051_10
; %bb.1:
	s_cmp_lt_u32 s7, s6
	s_mov_b32 s16, exec_lo
	s_cselect_b32 s2, s7, 0
	s_delay_alu instid0(VALU_DEP_1) | instid1(SALU_CYCLE_1)
	v_cmpx_eq_u32_e64 s2, v4
	s_cbranch_execz .LBB1051_9
; %bb.2:
	s_add_co_i32 s2, s7, 32
	s_mov_b32 s3, 0
	v_mov_b32_e32 v7, 0
	s_lshl_b64 s[12:13], s[2:3], 4
	s_mov_b32 s2, exec_lo
	s_add_nc_u64 s[12:13], s[4:5], s[12:13]
	s_delay_alu instid0(SALU_CYCLE_1) | instskip(SKIP_2) | instid1(VALU_DEP_1)
	v_mov_b64_e32 v[0:1], s[12:13]
	;;#ASMSTART
	global_load_b128 v[0:3], v[0:1] off scope:SCOPE_DEV	
s_wait_loadcnt 0x0
	;;#ASMEND
	v_and_b32_e32 v6, 0xff, v2
	v_cmpx_eq_u64_e32 0, v[6:7]
	s_cbranch_execz .LBB1051_8
; %bb.3:
	v_mov_b64_e32 v[8:9], s[12:13]
	s_mov_b32 s7, 1
.LBB1051_4:                             ; =>This Loop Header: Depth=1
                                        ;     Child Loop BB1051_5 Depth 2
	s_delay_alu instid0(SALU_CYCLE_1)
	s_mov_b32 s12, s7
.LBB1051_5:                             ;   Parent Loop BB1051_4 Depth=1
                                        ; =>  This Inner Loop Header: Depth=2
	s_delay_alu instid0(SALU_CYCLE_1)
	s_add_co_i32 s12, s12, -1
	s_sleep 1
	s_cmp_eq_u32 s12, 0
	s_cbranch_scc0 .LBB1051_5
; %bb.6:                                ;   in Loop: Header=BB1051_4 Depth=1
	;;#ASMSTART
	global_load_b128 v[0:3], v[8:9] off scope:SCOPE_DEV	
s_wait_loadcnt 0x0
	;;#ASMEND
	v_and_b32_e32 v6, 0xff, v2
	s_cmp_lt_u32 s7, 32
	s_cselect_b32 s12, -1, 0
	s_delay_alu instid0(VALU_DEP_1) | instskip(SKIP_3) | instid1(SALU_CYCLE_1)
	v_cmp_ne_u64_e32 vcc_lo, 0, v[6:7]
	s_cmp_lg_u32 s12, 0
	s_add_co_ci_u32 s7, s7, 0
	s_or_b32 s3, vcc_lo, s3
	s_and_not1_b32 exec_lo, exec_lo, s3
	s_cbranch_execnz .LBB1051_4
; %bb.7:
	s_or_b32 exec_lo, exec_lo, s3
.LBB1051_8:
	s_delay_alu instid0(SALU_CYCLE_1)
	s_or_b32 exec_lo, exec_lo, s2
	v_mov_b32_e32 v2, 0
	s_clause 0x1
	global_store_b32 v2, v0, s[8:9]
	global_store_b8 v2, v1, s[8:9] offset:4
.LBB1051_9:
	s_wait_xcnt 0x0
	s_or_b32 exec_lo, exec_lo, s16
.LBB1051_10:
	s_delay_alu instid0(SALU_CYCLE_1) | instskip(NEXT) | instid1(VALU_DEP_1)
	s_mov_b32 s2, exec_lo
	v_cmpx_eq_u32_e32 0, v4
	s_cbranch_execz .LBB1051_12
; %bb.11:
	s_load_b64 s[8:9], s[0:1], 0x38
	v_mov_b32_e32 v0, 0
	s_wait_kmcnt 0x0
	global_store_b32 v0, v0, s[8:9]
.LBB1051_12:
	s_wait_xcnt 0x0
	s_or_b32 exec_lo, exec_lo, s2
	s_delay_alu instid0(SALU_CYCLE_1)
	s_mov_b32 s2, exec_lo
	v_cmpx_gt_u32_e64 s6, v4
	s_cbranch_execz .LBB1051_14
; %bb.13:
	v_dual_mov_b32 v0, 0 :: v_dual_add_nc_u32 v5, 32, v4
	s_delay_alu instid0(VALU_DEP_1)
	v_dual_mov_b32 v1, v0 :: v_dual_mov_b32 v2, v0
	v_mov_b32_e32 v3, v0
	global_store_b128 v5, v[0:3], s[4:5] scale_offset
.LBB1051_14:
	s_wait_xcnt 0x0
	s_or_b32 exec_lo, exec_lo, s2
	v_mov_b32_e32 v5, 0
	s_mov_b32 s2, exec_lo
	v_cmpx_gt_u32_e32 32, v4
	s_cbranch_execz .LBB1051_16
; %bb.15:
	s_delay_alu instid0(VALU_DEP_2)
	v_lshl_add_u64 v[6:7], v[4:5], 4, s[4:5]
	v_dual_mov_b32 v2, 0xff :: v_dual_mov_b32 v1, v5
	v_dual_mov_b32 v0, v5 :: v_dual_mov_b32 v3, v5
	global_store_b128 v[6:7], v[0:3], off
.LBB1051_16:
	s_wait_xcnt 0x0
	s_or_b32 exec_lo, exec_lo, s2
	s_load_b64 s[2:3], s[0:1], 0x28
	s_mov_b32 s4, exec_lo
	s_wait_kmcnt 0x0
	v_cmpx_gt_u64_e64 s[2:3], v[4:5]
	s_cbranch_execz .LBB1051_19
; %bb.17:
	s_clause 0x1
	s_load_b32 s4, s[0:1], 0x30
	s_load_b64 s[6:7], s[0:1], 0x20
	s_mov_b32 s5, 0
	s_wait_xcnt 0x0
	s_mul_i32 s0, s14, s15
	s_mov_b32 s9, s5
	s_mov_b32 s1, s5
	s_wait_kmcnt 0x0
	v_mul_u64_e32 v[0:1], s[4:5], v[4:5]
	s_add_co_i32 s8, s4, -1
	v_lshl_add_u64 v[2:3], v[4:5], 1, s[6:7]
	s_lshl_b64 s[8:9], s[8:9], 1
	s_delay_alu instid0(SALU_CYCLE_1) | instskip(SKIP_1) | instid1(SALU_CYCLE_1)
	s_add_nc_u64 s[8:9], s[10:11], s[8:9]
	s_mul_u64 s[10:11], s[4:5], s[0:1]
	s_lshl_b64 s[6:7], s[10:11], 1
	s_delay_alu instid0(VALU_DEP_2)
	v_lshl_add_u64 v[0:1], v[0:1], 1, s[8:9]
	s_lshl_b64 s[8:9], s[0:1], 1
.LBB1051_18:                            ; =>This Inner Loop Header: Depth=1
	global_load_u16 v6, v[0:1], off
	v_add_nc_u64_e32 v[4:5], s[0:1], v[4:5]
	s_wait_xcnt 0x0
	v_add_nc_u64_e32 v[0:1], s[6:7], v[0:1]
	s_delay_alu instid0(VALU_DEP_2)
	v_cmp_le_u64_e32 vcc_lo, s[2:3], v[4:5]
	s_or_b32 s5, vcc_lo, s5
	s_wait_loadcnt 0x0
	global_store_b16 v[2:3], v6, off
	s_wait_xcnt 0x0
	v_add_nc_u64_e32 v[2:3], s[8:9], v[2:3]
	s_and_not1_b32 exec_lo, exec_lo, s5
	s_cbranch_execnz .LBB1051_18
.LBB1051_19:
	s_endpgm
	.section	.rodata,"a",@progbits
	.p2align	6, 0x0
	.amdhsa_kernel _ZN7rocprim17ROCPRIM_400000_NS6detail30init_device_scan_by_key_kernelINS1_19lookback_scan_stateINS0_5tupleIJibEEELb1ELb1EEEN6thrust23THRUST_200600_302600_NS6detail15normal_iteratorINS8_10device_ptrIsEEEEjNS1_16block_id_wrapperIjLb1EEEEEvT_jjPNSG_10value_typeET0_PNSt15iterator_traitsISJ_E10value_typeEmT1_T2_
		.amdhsa_group_segment_fixed_size 0
		.amdhsa_private_segment_fixed_size 0
		.amdhsa_kernarg_size 320
		.amdhsa_user_sgpr_count 2
		.amdhsa_user_sgpr_dispatch_ptr 0
		.amdhsa_user_sgpr_queue_ptr 0
		.amdhsa_user_sgpr_kernarg_segment_ptr 1
		.amdhsa_user_sgpr_dispatch_id 0
		.amdhsa_user_sgpr_kernarg_preload_length 0
		.amdhsa_user_sgpr_kernarg_preload_offset 0
		.amdhsa_user_sgpr_private_segment_size 0
		.amdhsa_wavefront_size32 1
		.amdhsa_uses_dynamic_stack 0
		.amdhsa_enable_private_segment 0
		.amdhsa_system_sgpr_workgroup_id_x 1
		.amdhsa_system_sgpr_workgroup_id_y 0
		.amdhsa_system_sgpr_workgroup_id_z 0
		.amdhsa_system_sgpr_workgroup_info 0
		.amdhsa_system_vgpr_workitem_id 0
		.amdhsa_next_free_vgpr 10
		.amdhsa_next_free_sgpr 17
		.amdhsa_named_barrier_count 0
		.amdhsa_reserve_vcc 1
		.amdhsa_float_round_mode_32 0
		.amdhsa_float_round_mode_16_64 0
		.amdhsa_float_denorm_mode_32 3
		.amdhsa_float_denorm_mode_16_64 3
		.amdhsa_fp16_overflow 0
		.amdhsa_memory_ordered 1
		.amdhsa_forward_progress 1
		.amdhsa_inst_pref_size 6
		.amdhsa_round_robin_scheduling 0
		.amdhsa_exception_fp_ieee_invalid_op 0
		.amdhsa_exception_fp_denorm_src 0
		.amdhsa_exception_fp_ieee_div_zero 0
		.amdhsa_exception_fp_ieee_overflow 0
		.amdhsa_exception_fp_ieee_underflow 0
		.amdhsa_exception_fp_ieee_inexact 0
		.amdhsa_exception_int_div_zero 0
	.end_amdhsa_kernel
	.section	.text._ZN7rocprim17ROCPRIM_400000_NS6detail30init_device_scan_by_key_kernelINS1_19lookback_scan_stateINS0_5tupleIJibEEELb1ELb1EEEN6thrust23THRUST_200600_302600_NS6detail15normal_iteratorINS8_10device_ptrIsEEEEjNS1_16block_id_wrapperIjLb1EEEEEvT_jjPNSG_10value_typeET0_PNSt15iterator_traitsISJ_E10value_typeEmT1_T2_,"axG",@progbits,_ZN7rocprim17ROCPRIM_400000_NS6detail30init_device_scan_by_key_kernelINS1_19lookback_scan_stateINS0_5tupleIJibEEELb1ELb1EEEN6thrust23THRUST_200600_302600_NS6detail15normal_iteratorINS8_10device_ptrIsEEEEjNS1_16block_id_wrapperIjLb1EEEEEvT_jjPNSG_10value_typeET0_PNSt15iterator_traitsISJ_E10value_typeEmT1_T2_,comdat
.Lfunc_end1051:
	.size	_ZN7rocprim17ROCPRIM_400000_NS6detail30init_device_scan_by_key_kernelINS1_19lookback_scan_stateINS0_5tupleIJibEEELb1ELb1EEEN6thrust23THRUST_200600_302600_NS6detail15normal_iteratorINS8_10device_ptrIsEEEEjNS1_16block_id_wrapperIjLb1EEEEEvT_jjPNSG_10value_typeET0_PNSt15iterator_traitsISJ_E10value_typeEmT1_T2_, .Lfunc_end1051-_ZN7rocprim17ROCPRIM_400000_NS6detail30init_device_scan_by_key_kernelINS1_19lookback_scan_stateINS0_5tupleIJibEEELb1ELb1EEEN6thrust23THRUST_200600_302600_NS6detail15normal_iteratorINS8_10device_ptrIsEEEEjNS1_16block_id_wrapperIjLb1EEEEEvT_jjPNSG_10value_typeET0_PNSt15iterator_traitsISJ_E10value_typeEmT1_T2_
                                        ; -- End function
	.set _ZN7rocprim17ROCPRIM_400000_NS6detail30init_device_scan_by_key_kernelINS1_19lookback_scan_stateINS0_5tupleIJibEEELb1ELb1EEEN6thrust23THRUST_200600_302600_NS6detail15normal_iteratorINS8_10device_ptrIsEEEEjNS1_16block_id_wrapperIjLb1EEEEEvT_jjPNSG_10value_typeET0_PNSt15iterator_traitsISJ_E10value_typeEmT1_T2_.num_vgpr, 10
	.set _ZN7rocprim17ROCPRIM_400000_NS6detail30init_device_scan_by_key_kernelINS1_19lookback_scan_stateINS0_5tupleIJibEEELb1ELb1EEEN6thrust23THRUST_200600_302600_NS6detail15normal_iteratorINS8_10device_ptrIsEEEEjNS1_16block_id_wrapperIjLb1EEEEEvT_jjPNSG_10value_typeET0_PNSt15iterator_traitsISJ_E10value_typeEmT1_T2_.num_agpr, 0
	.set _ZN7rocprim17ROCPRIM_400000_NS6detail30init_device_scan_by_key_kernelINS1_19lookback_scan_stateINS0_5tupleIJibEEELb1ELb1EEEN6thrust23THRUST_200600_302600_NS6detail15normal_iteratorINS8_10device_ptrIsEEEEjNS1_16block_id_wrapperIjLb1EEEEEvT_jjPNSG_10value_typeET0_PNSt15iterator_traitsISJ_E10value_typeEmT1_T2_.numbered_sgpr, 17
	.set _ZN7rocprim17ROCPRIM_400000_NS6detail30init_device_scan_by_key_kernelINS1_19lookback_scan_stateINS0_5tupleIJibEEELb1ELb1EEEN6thrust23THRUST_200600_302600_NS6detail15normal_iteratorINS8_10device_ptrIsEEEEjNS1_16block_id_wrapperIjLb1EEEEEvT_jjPNSG_10value_typeET0_PNSt15iterator_traitsISJ_E10value_typeEmT1_T2_.num_named_barrier, 0
	.set _ZN7rocprim17ROCPRIM_400000_NS6detail30init_device_scan_by_key_kernelINS1_19lookback_scan_stateINS0_5tupleIJibEEELb1ELb1EEEN6thrust23THRUST_200600_302600_NS6detail15normal_iteratorINS8_10device_ptrIsEEEEjNS1_16block_id_wrapperIjLb1EEEEEvT_jjPNSG_10value_typeET0_PNSt15iterator_traitsISJ_E10value_typeEmT1_T2_.private_seg_size, 0
	.set _ZN7rocprim17ROCPRIM_400000_NS6detail30init_device_scan_by_key_kernelINS1_19lookback_scan_stateINS0_5tupleIJibEEELb1ELb1EEEN6thrust23THRUST_200600_302600_NS6detail15normal_iteratorINS8_10device_ptrIsEEEEjNS1_16block_id_wrapperIjLb1EEEEEvT_jjPNSG_10value_typeET0_PNSt15iterator_traitsISJ_E10value_typeEmT1_T2_.uses_vcc, 1
	.set _ZN7rocprim17ROCPRIM_400000_NS6detail30init_device_scan_by_key_kernelINS1_19lookback_scan_stateINS0_5tupleIJibEEELb1ELb1EEEN6thrust23THRUST_200600_302600_NS6detail15normal_iteratorINS8_10device_ptrIsEEEEjNS1_16block_id_wrapperIjLb1EEEEEvT_jjPNSG_10value_typeET0_PNSt15iterator_traitsISJ_E10value_typeEmT1_T2_.uses_flat_scratch, 0
	.set _ZN7rocprim17ROCPRIM_400000_NS6detail30init_device_scan_by_key_kernelINS1_19lookback_scan_stateINS0_5tupleIJibEEELb1ELb1EEEN6thrust23THRUST_200600_302600_NS6detail15normal_iteratorINS8_10device_ptrIsEEEEjNS1_16block_id_wrapperIjLb1EEEEEvT_jjPNSG_10value_typeET0_PNSt15iterator_traitsISJ_E10value_typeEmT1_T2_.has_dyn_sized_stack, 0
	.set _ZN7rocprim17ROCPRIM_400000_NS6detail30init_device_scan_by_key_kernelINS1_19lookback_scan_stateINS0_5tupleIJibEEELb1ELb1EEEN6thrust23THRUST_200600_302600_NS6detail15normal_iteratorINS8_10device_ptrIsEEEEjNS1_16block_id_wrapperIjLb1EEEEEvT_jjPNSG_10value_typeET0_PNSt15iterator_traitsISJ_E10value_typeEmT1_T2_.has_recursion, 0
	.set _ZN7rocprim17ROCPRIM_400000_NS6detail30init_device_scan_by_key_kernelINS1_19lookback_scan_stateINS0_5tupleIJibEEELb1ELb1EEEN6thrust23THRUST_200600_302600_NS6detail15normal_iteratorINS8_10device_ptrIsEEEEjNS1_16block_id_wrapperIjLb1EEEEEvT_jjPNSG_10value_typeET0_PNSt15iterator_traitsISJ_E10value_typeEmT1_T2_.has_indirect_call, 0
	.section	.AMDGPU.csdata,"",@progbits
; Kernel info:
; codeLenInByte = 684
; TotalNumSgprs: 19
; NumVgprs: 10
; ScratchSize: 0
; MemoryBound: 0
; FloatMode: 240
; IeeeMode: 1
; LDSByteSize: 0 bytes/workgroup (compile time only)
; SGPRBlocks: 0
; VGPRBlocks: 0
; NumSGPRsForWavesPerEU: 19
; NumVGPRsForWavesPerEU: 10
; NamedBarCnt: 0
; Occupancy: 16
; WaveLimiterHint : 0
; COMPUTE_PGM_RSRC2:SCRATCH_EN: 0
; COMPUTE_PGM_RSRC2:USER_SGPR: 2
; COMPUTE_PGM_RSRC2:TRAP_HANDLER: 0
; COMPUTE_PGM_RSRC2:TGID_X_EN: 1
; COMPUTE_PGM_RSRC2:TGID_Y_EN: 0
; COMPUTE_PGM_RSRC2:TGID_Z_EN: 0
; COMPUTE_PGM_RSRC2:TIDIG_COMP_CNT: 0
	.section	.text._ZN7rocprim17ROCPRIM_400000_NS6detail17trampoline_kernelINS0_14default_configENS1_27scan_by_key_config_selectorIsiEEZZNS1_16scan_by_key_implILNS1_25lookback_scan_determinismE0ELb1ES3_N6thrust23THRUST_200600_302600_NS6detail15normal_iteratorINS9_10device_ptrIsEEEESE_SE_iNS9_4plusIvEENS9_8equal_toIvEEiEE10hipError_tPvRmT2_T3_T4_T5_mT6_T7_P12ihipStream_tbENKUlT_T0_E_clISt17integral_constantIbLb1EESZ_EEDaSU_SV_EUlSU_E_NS1_11comp_targetILNS1_3genE0ELNS1_11target_archE4294967295ELNS1_3gpuE0ELNS1_3repE0EEENS1_30default_config_static_selectorELNS0_4arch9wavefront6targetE0EEEvT1_,"axG",@progbits,_ZN7rocprim17ROCPRIM_400000_NS6detail17trampoline_kernelINS0_14default_configENS1_27scan_by_key_config_selectorIsiEEZZNS1_16scan_by_key_implILNS1_25lookback_scan_determinismE0ELb1ES3_N6thrust23THRUST_200600_302600_NS6detail15normal_iteratorINS9_10device_ptrIsEEEESE_SE_iNS9_4plusIvEENS9_8equal_toIvEEiEE10hipError_tPvRmT2_T3_T4_T5_mT6_T7_P12ihipStream_tbENKUlT_T0_E_clISt17integral_constantIbLb1EESZ_EEDaSU_SV_EUlSU_E_NS1_11comp_targetILNS1_3genE0ELNS1_11target_archE4294967295ELNS1_3gpuE0ELNS1_3repE0EEENS1_30default_config_static_selectorELNS0_4arch9wavefront6targetE0EEEvT1_,comdat
	.protected	_ZN7rocprim17ROCPRIM_400000_NS6detail17trampoline_kernelINS0_14default_configENS1_27scan_by_key_config_selectorIsiEEZZNS1_16scan_by_key_implILNS1_25lookback_scan_determinismE0ELb1ES3_N6thrust23THRUST_200600_302600_NS6detail15normal_iteratorINS9_10device_ptrIsEEEESE_SE_iNS9_4plusIvEENS9_8equal_toIvEEiEE10hipError_tPvRmT2_T3_T4_T5_mT6_T7_P12ihipStream_tbENKUlT_T0_E_clISt17integral_constantIbLb1EESZ_EEDaSU_SV_EUlSU_E_NS1_11comp_targetILNS1_3genE0ELNS1_11target_archE4294967295ELNS1_3gpuE0ELNS1_3repE0EEENS1_30default_config_static_selectorELNS0_4arch9wavefront6targetE0EEEvT1_ ; -- Begin function _ZN7rocprim17ROCPRIM_400000_NS6detail17trampoline_kernelINS0_14default_configENS1_27scan_by_key_config_selectorIsiEEZZNS1_16scan_by_key_implILNS1_25lookback_scan_determinismE0ELb1ES3_N6thrust23THRUST_200600_302600_NS6detail15normal_iteratorINS9_10device_ptrIsEEEESE_SE_iNS9_4plusIvEENS9_8equal_toIvEEiEE10hipError_tPvRmT2_T3_T4_T5_mT6_T7_P12ihipStream_tbENKUlT_T0_E_clISt17integral_constantIbLb1EESZ_EEDaSU_SV_EUlSU_E_NS1_11comp_targetILNS1_3genE0ELNS1_11target_archE4294967295ELNS1_3gpuE0ELNS1_3repE0EEENS1_30default_config_static_selectorELNS0_4arch9wavefront6targetE0EEEvT1_
	.globl	_ZN7rocprim17ROCPRIM_400000_NS6detail17trampoline_kernelINS0_14default_configENS1_27scan_by_key_config_selectorIsiEEZZNS1_16scan_by_key_implILNS1_25lookback_scan_determinismE0ELb1ES3_N6thrust23THRUST_200600_302600_NS6detail15normal_iteratorINS9_10device_ptrIsEEEESE_SE_iNS9_4plusIvEENS9_8equal_toIvEEiEE10hipError_tPvRmT2_T3_T4_T5_mT6_T7_P12ihipStream_tbENKUlT_T0_E_clISt17integral_constantIbLb1EESZ_EEDaSU_SV_EUlSU_E_NS1_11comp_targetILNS1_3genE0ELNS1_11target_archE4294967295ELNS1_3gpuE0ELNS1_3repE0EEENS1_30default_config_static_selectorELNS0_4arch9wavefront6targetE0EEEvT1_
	.p2align	8
	.type	_ZN7rocprim17ROCPRIM_400000_NS6detail17trampoline_kernelINS0_14default_configENS1_27scan_by_key_config_selectorIsiEEZZNS1_16scan_by_key_implILNS1_25lookback_scan_determinismE0ELb1ES3_N6thrust23THRUST_200600_302600_NS6detail15normal_iteratorINS9_10device_ptrIsEEEESE_SE_iNS9_4plusIvEENS9_8equal_toIvEEiEE10hipError_tPvRmT2_T3_T4_T5_mT6_T7_P12ihipStream_tbENKUlT_T0_E_clISt17integral_constantIbLb1EESZ_EEDaSU_SV_EUlSU_E_NS1_11comp_targetILNS1_3genE0ELNS1_11target_archE4294967295ELNS1_3gpuE0ELNS1_3repE0EEENS1_30default_config_static_selectorELNS0_4arch9wavefront6targetE0EEEvT1_,@function
_ZN7rocprim17ROCPRIM_400000_NS6detail17trampoline_kernelINS0_14default_configENS1_27scan_by_key_config_selectorIsiEEZZNS1_16scan_by_key_implILNS1_25lookback_scan_determinismE0ELb1ES3_N6thrust23THRUST_200600_302600_NS6detail15normal_iteratorINS9_10device_ptrIsEEEESE_SE_iNS9_4plusIvEENS9_8equal_toIvEEiEE10hipError_tPvRmT2_T3_T4_T5_mT6_T7_P12ihipStream_tbENKUlT_T0_E_clISt17integral_constantIbLb1EESZ_EEDaSU_SV_EUlSU_E_NS1_11comp_targetILNS1_3genE0ELNS1_11target_archE4294967295ELNS1_3gpuE0ELNS1_3repE0EEENS1_30default_config_static_selectorELNS0_4arch9wavefront6targetE0EEEvT1_: ; @_ZN7rocprim17ROCPRIM_400000_NS6detail17trampoline_kernelINS0_14default_configENS1_27scan_by_key_config_selectorIsiEEZZNS1_16scan_by_key_implILNS1_25lookback_scan_determinismE0ELb1ES3_N6thrust23THRUST_200600_302600_NS6detail15normal_iteratorINS9_10device_ptrIsEEEESE_SE_iNS9_4plusIvEENS9_8equal_toIvEEiEE10hipError_tPvRmT2_T3_T4_T5_mT6_T7_P12ihipStream_tbENKUlT_T0_E_clISt17integral_constantIbLb1EESZ_EEDaSU_SV_EUlSU_E_NS1_11comp_targetILNS1_3genE0ELNS1_11target_archE4294967295ELNS1_3gpuE0ELNS1_3repE0EEENS1_30default_config_static_selectorELNS0_4arch9wavefront6targetE0EEEvT1_
; %bb.0:
	s_endpgm
	.section	.rodata,"a",@progbits
	.p2align	6, 0x0
	.amdhsa_kernel _ZN7rocprim17ROCPRIM_400000_NS6detail17trampoline_kernelINS0_14default_configENS1_27scan_by_key_config_selectorIsiEEZZNS1_16scan_by_key_implILNS1_25lookback_scan_determinismE0ELb1ES3_N6thrust23THRUST_200600_302600_NS6detail15normal_iteratorINS9_10device_ptrIsEEEESE_SE_iNS9_4plusIvEENS9_8equal_toIvEEiEE10hipError_tPvRmT2_T3_T4_T5_mT6_T7_P12ihipStream_tbENKUlT_T0_E_clISt17integral_constantIbLb1EESZ_EEDaSU_SV_EUlSU_E_NS1_11comp_targetILNS1_3genE0ELNS1_11target_archE4294967295ELNS1_3gpuE0ELNS1_3repE0EEENS1_30default_config_static_selectorELNS0_4arch9wavefront6targetE0EEEvT1_
		.amdhsa_group_segment_fixed_size 0
		.amdhsa_private_segment_fixed_size 0
		.amdhsa_kernarg_size 112
		.amdhsa_user_sgpr_count 2
		.amdhsa_user_sgpr_dispatch_ptr 0
		.amdhsa_user_sgpr_queue_ptr 0
		.amdhsa_user_sgpr_kernarg_segment_ptr 1
		.amdhsa_user_sgpr_dispatch_id 0
		.amdhsa_user_sgpr_kernarg_preload_length 0
		.amdhsa_user_sgpr_kernarg_preload_offset 0
		.amdhsa_user_sgpr_private_segment_size 0
		.amdhsa_wavefront_size32 1
		.amdhsa_uses_dynamic_stack 0
		.amdhsa_enable_private_segment 0
		.amdhsa_system_sgpr_workgroup_id_x 1
		.amdhsa_system_sgpr_workgroup_id_y 0
		.amdhsa_system_sgpr_workgroup_id_z 0
		.amdhsa_system_sgpr_workgroup_info 0
		.amdhsa_system_vgpr_workitem_id 0
		.amdhsa_next_free_vgpr 1
		.amdhsa_next_free_sgpr 1
		.amdhsa_named_barrier_count 0
		.amdhsa_reserve_vcc 0
		.amdhsa_float_round_mode_32 0
		.amdhsa_float_round_mode_16_64 0
		.amdhsa_float_denorm_mode_32 3
		.amdhsa_float_denorm_mode_16_64 3
		.amdhsa_fp16_overflow 0
		.amdhsa_memory_ordered 1
		.amdhsa_forward_progress 1
		.amdhsa_inst_pref_size 1
		.amdhsa_round_robin_scheduling 0
		.amdhsa_exception_fp_ieee_invalid_op 0
		.amdhsa_exception_fp_denorm_src 0
		.amdhsa_exception_fp_ieee_div_zero 0
		.amdhsa_exception_fp_ieee_overflow 0
		.amdhsa_exception_fp_ieee_underflow 0
		.amdhsa_exception_fp_ieee_inexact 0
		.amdhsa_exception_int_div_zero 0
	.end_amdhsa_kernel
	.section	.text._ZN7rocprim17ROCPRIM_400000_NS6detail17trampoline_kernelINS0_14default_configENS1_27scan_by_key_config_selectorIsiEEZZNS1_16scan_by_key_implILNS1_25lookback_scan_determinismE0ELb1ES3_N6thrust23THRUST_200600_302600_NS6detail15normal_iteratorINS9_10device_ptrIsEEEESE_SE_iNS9_4plusIvEENS9_8equal_toIvEEiEE10hipError_tPvRmT2_T3_T4_T5_mT6_T7_P12ihipStream_tbENKUlT_T0_E_clISt17integral_constantIbLb1EESZ_EEDaSU_SV_EUlSU_E_NS1_11comp_targetILNS1_3genE0ELNS1_11target_archE4294967295ELNS1_3gpuE0ELNS1_3repE0EEENS1_30default_config_static_selectorELNS0_4arch9wavefront6targetE0EEEvT1_,"axG",@progbits,_ZN7rocprim17ROCPRIM_400000_NS6detail17trampoline_kernelINS0_14default_configENS1_27scan_by_key_config_selectorIsiEEZZNS1_16scan_by_key_implILNS1_25lookback_scan_determinismE0ELb1ES3_N6thrust23THRUST_200600_302600_NS6detail15normal_iteratorINS9_10device_ptrIsEEEESE_SE_iNS9_4plusIvEENS9_8equal_toIvEEiEE10hipError_tPvRmT2_T3_T4_T5_mT6_T7_P12ihipStream_tbENKUlT_T0_E_clISt17integral_constantIbLb1EESZ_EEDaSU_SV_EUlSU_E_NS1_11comp_targetILNS1_3genE0ELNS1_11target_archE4294967295ELNS1_3gpuE0ELNS1_3repE0EEENS1_30default_config_static_selectorELNS0_4arch9wavefront6targetE0EEEvT1_,comdat
.Lfunc_end1052:
	.size	_ZN7rocprim17ROCPRIM_400000_NS6detail17trampoline_kernelINS0_14default_configENS1_27scan_by_key_config_selectorIsiEEZZNS1_16scan_by_key_implILNS1_25lookback_scan_determinismE0ELb1ES3_N6thrust23THRUST_200600_302600_NS6detail15normal_iteratorINS9_10device_ptrIsEEEESE_SE_iNS9_4plusIvEENS9_8equal_toIvEEiEE10hipError_tPvRmT2_T3_T4_T5_mT6_T7_P12ihipStream_tbENKUlT_T0_E_clISt17integral_constantIbLb1EESZ_EEDaSU_SV_EUlSU_E_NS1_11comp_targetILNS1_3genE0ELNS1_11target_archE4294967295ELNS1_3gpuE0ELNS1_3repE0EEENS1_30default_config_static_selectorELNS0_4arch9wavefront6targetE0EEEvT1_, .Lfunc_end1052-_ZN7rocprim17ROCPRIM_400000_NS6detail17trampoline_kernelINS0_14default_configENS1_27scan_by_key_config_selectorIsiEEZZNS1_16scan_by_key_implILNS1_25lookback_scan_determinismE0ELb1ES3_N6thrust23THRUST_200600_302600_NS6detail15normal_iteratorINS9_10device_ptrIsEEEESE_SE_iNS9_4plusIvEENS9_8equal_toIvEEiEE10hipError_tPvRmT2_T3_T4_T5_mT6_T7_P12ihipStream_tbENKUlT_T0_E_clISt17integral_constantIbLb1EESZ_EEDaSU_SV_EUlSU_E_NS1_11comp_targetILNS1_3genE0ELNS1_11target_archE4294967295ELNS1_3gpuE0ELNS1_3repE0EEENS1_30default_config_static_selectorELNS0_4arch9wavefront6targetE0EEEvT1_
                                        ; -- End function
	.set _ZN7rocprim17ROCPRIM_400000_NS6detail17trampoline_kernelINS0_14default_configENS1_27scan_by_key_config_selectorIsiEEZZNS1_16scan_by_key_implILNS1_25lookback_scan_determinismE0ELb1ES3_N6thrust23THRUST_200600_302600_NS6detail15normal_iteratorINS9_10device_ptrIsEEEESE_SE_iNS9_4plusIvEENS9_8equal_toIvEEiEE10hipError_tPvRmT2_T3_T4_T5_mT6_T7_P12ihipStream_tbENKUlT_T0_E_clISt17integral_constantIbLb1EESZ_EEDaSU_SV_EUlSU_E_NS1_11comp_targetILNS1_3genE0ELNS1_11target_archE4294967295ELNS1_3gpuE0ELNS1_3repE0EEENS1_30default_config_static_selectorELNS0_4arch9wavefront6targetE0EEEvT1_.num_vgpr, 0
	.set _ZN7rocprim17ROCPRIM_400000_NS6detail17trampoline_kernelINS0_14default_configENS1_27scan_by_key_config_selectorIsiEEZZNS1_16scan_by_key_implILNS1_25lookback_scan_determinismE0ELb1ES3_N6thrust23THRUST_200600_302600_NS6detail15normal_iteratorINS9_10device_ptrIsEEEESE_SE_iNS9_4plusIvEENS9_8equal_toIvEEiEE10hipError_tPvRmT2_T3_T4_T5_mT6_T7_P12ihipStream_tbENKUlT_T0_E_clISt17integral_constantIbLb1EESZ_EEDaSU_SV_EUlSU_E_NS1_11comp_targetILNS1_3genE0ELNS1_11target_archE4294967295ELNS1_3gpuE0ELNS1_3repE0EEENS1_30default_config_static_selectorELNS0_4arch9wavefront6targetE0EEEvT1_.num_agpr, 0
	.set _ZN7rocprim17ROCPRIM_400000_NS6detail17trampoline_kernelINS0_14default_configENS1_27scan_by_key_config_selectorIsiEEZZNS1_16scan_by_key_implILNS1_25lookback_scan_determinismE0ELb1ES3_N6thrust23THRUST_200600_302600_NS6detail15normal_iteratorINS9_10device_ptrIsEEEESE_SE_iNS9_4plusIvEENS9_8equal_toIvEEiEE10hipError_tPvRmT2_T3_T4_T5_mT6_T7_P12ihipStream_tbENKUlT_T0_E_clISt17integral_constantIbLb1EESZ_EEDaSU_SV_EUlSU_E_NS1_11comp_targetILNS1_3genE0ELNS1_11target_archE4294967295ELNS1_3gpuE0ELNS1_3repE0EEENS1_30default_config_static_selectorELNS0_4arch9wavefront6targetE0EEEvT1_.numbered_sgpr, 0
	.set _ZN7rocprim17ROCPRIM_400000_NS6detail17trampoline_kernelINS0_14default_configENS1_27scan_by_key_config_selectorIsiEEZZNS1_16scan_by_key_implILNS1_25lookback_scan_determinismE0ELb1ES3_N6thrust23THRUST_200600_302600_NS6detail15normal_iteratorINS9_10device_ptrIsEEEESE_SE_iNS9_4plusIvEENS9_8equal_toIvEEiEE10hipError_tPvRmT2_T3_T4_T5_mT6_T7_P12ihipStream_tbENKUlT_T0_E_clISt17integral_constantIbLb1EESZ_EEDaSU_SV_EUlSU_E_NS1_11comp_targetILNS1_3genE0ELNS1_11target_archE4294967295ELNS1_3gpuE0ELNS1_3repE0EEENS1_30default_config_static_selectorELNS0_4arch9wavefront6targetE0EEEvT1_.num_named_barrier, 0
	.set _ZN7rocprim17ROCPRIM_400000_NS6detail17trampoline_kernelINS0_14default_configENS1_27scan_by_key_config_selectorIsiEEZZNS1_16scan_by_key_implILNS1_25lookback_scan_determinismE0ELb1ES3_N6thrust23THRUST_200600_302600_NS6detail15normal_iteratorINS9_10device_ptrIsEEEESE_SE_iNS9_4plusIvEENS9_8equal_toIvEEiEE10hipError_tPvRmT2_T3_T4_T5_mT6_T7_P12ihipStream_tbENKUlT_T0_E_clISt17integral_constantIbLb1EESZ_EEDaSU_SV_EUlSU_E_NS1_11comp_targetILNS1_3genE0ELNS1_11target_archE4294967295ELNS1_3gpuE0ELNS1_3repE0EEENS1_30default_config_static_selectorELNS0_4arch9wavefront6targetE0EEEvT1_.private_seg_size, 0
	.set _ZN7rocprim17ROCPRIM_400000_NS6detail17trampoline_kernelINS0_14default_configENS1_27scan_by_key_config_selectorIsiEEZZNS1_16scan_by_key_implILNS1_25lookback_scan_determinismE0ELb1ES3_N6thrust23THRUST_200600_302600_NS6detail15normal_iteratorINS9_10device_ptrIsEEEESE_SE_iNS9_4plusIvEENS9_8equal_toIvEEiEE10hipError_tPvRmT2_T3_T4_T5_mT6_T7_P12ihipStream_tbENKUlT_T0_E_clISt17integral_constantIbLb1EESZ_EEDaSU_SV_EUlSU_E_NS1_11comp_targetILNS1_3genE0ELNS1_11target_archE4294967295ELNS1_3gpuE0ELNS1_3repE0EEENS1_30default_config_static_selectorELNS0_4arch9wavefront6targetE0EEEvT1_.uses_vcc, 0
	.set _ZN7rocprim17ROCPRIM_400000_NS6detail17trampoline_kernelINS0_14default_configENS1_27scan_by_key_config_selectorIsiEEZZNS1_16scan_by_key_implILNS1_25lookback_scan_determinismE0ELb1ES3_N6thrust23THRUST_200600_302600_NS6detail15normal_iteratorINS9_10device_ptrIsEEEESE_SE_iNS9_4plusIvEENS9_8equal_toIvEEiEE10hipError_tPvRmT2_T3_T4_T5_mT6_T7_P12ihipStream_tbENKUlT_T0_E_clISt17integral_constantIbLb1EESZ_EEDaSU_SV_EUlSU_E_NS1_11comp_targetILNS1_3genE0ELNS1_11target_archE4294967295ELNS1_3gpuE0ELNS1_3repE0EEENS1_30default_config_static_selectorELNS0_4arch9wavefront6targetE0EEEvT1_.uses_flat_scratch, 0
	.set _ZN7rocprim17ROCPRIM_400000_NS6detail17trampoline_kernelINS0_14default_configENS1_27scan_by_key_config_selectorIsiEEZZNS1_16scan_by_key_implILNS1_25lookback_scan_determinismE0ELb1ES3_N6thrust23THRUST_200600_302600_NS6detail15normal_iteratorINS9_10device_ptrIsEEEESE_SE_iNS9_4plusIvEENS9_8equal_toIvEEiEE10hipError_tPvRmT2_T3_T4_T5_mT6_T7_P12ihipStream_tbENKUlT_T0_E_clISt17integral_constantIbLb1EESZ_EEDaSU_SV_EUlSU_E_NS1_11comp_targetILNS1_3genE0ELNS1_11target_archE4294967295ELNS1_3gpuE0ELNS1_3repE0EEENS1_30default_config_static_selectorELNS0_4arch9wavefront6targetE0EEEvT1_.has_dyn_sized_stack, 0
	.set _ZN7rocprim17ROCPRIM_400000_NS6detail17trampoline_kernelINS0_14default_configENS1_27scan_by_key_config_selectorIsiEEZZNS1_16scan_by_key_implILNS1_25lookback_scan_determinismE0ELb1ES3_N6thrust23THRUST_200600_302600_NS6detail15normal_iteratorINS9_10device_ptrIsEEEESE_SE_iNS9_4plusIvEENS9_8equal_toIvEEiEE10hipError_tPvRmT2_T3_T4_T5_mT6_T7_P12ihipStream_tbENKUlT_T0_E_clISt17integral_constantIbLb1EESZ_EEDaSU_SV_EUlSU_E_NS1_11comp_targetILNS1_3genE0ELNS1_11target_archE4294967295ELNS1_3gpuE0ELNS1_3repE0EEENS1_30default_config_static_selectorELNS0_4arch9wavefront6targetE0EEEvT1_.has_recursion, 0
	.set _ZN7rocprim17ROCPRIM_400000_NS6detail17trampoline_kernelINS0_14default_configENS1_27scan_by_key_config_selectorIsiEEZZNS1_16scan_by_key_implILNS1_25lookback_scan_determinismE0ELb1ES3_N6thrust23THRUST_200600_302600_NS6detail15normal_iteratorINS9_10device_ptrIsEEEESE_SE_iNS9_4plusIvEENS9_8equal_toIvEEiEE10hipError_tPvRmT2_T3_T4_T5_mT6_T7_P12ihipStream_tbENKUlT_T0_E_clISt17integral_constantIbLb1EESZ_EEDaSU_SV_EUlSU_E_NS1_11comp_targetILNS1_3genE0ELNS1_11target_archE4294967295ELNS1_3gpuE0ELNS1_3repE0EEENS1_30default_config_static_selectorELNS0_4arch9wavefront6targetE0EEEvT1_.has_indirect_call, 0
	.section	.AMDGPU.csdata,"",@progbits
; Kernel info:
; codeLenInByte = 4
; TotalNumSgprs: 0
; NumVgprs: 0
; ScratchSize: 0
; MemoryBound: 0
; FloatMode: 240
; IeeeMode: 1
; LDSByteSize: 0 bytes/workgroup (compile time only)
; SGPRBlocks: 0
; VGPRBlocks: 0
; NumSGPRsForWavesPerEU: 1
; NumVGPRsForWavesPerEU: 1
; NamedBarCnt: 0
; Occupancy: 16
; WaveLimiterHint : 0
; COMPUTE_PGM_RSRC2:SCRATCH_EN: 0
; COMPUTE_PGM_RSRC2:USER_SGPR: 2
; COMPUTE_PGM_RSRC2:TRAP_HANDLER: 0
; COMPUTE_PGM_RSRC2:TGID_X_EN: 1
; COMPUTE_PGM_RSRC2:TGID_Y_EN: 0
; COMPUTE_PGM_RSRC2:TGID_Z_EN: 0
; COMPUTE_PGM_RSRC2:TIDIG_COMP_CNT: 0
	.section	.text._ZN7rocprim17ROCPRIM_400000_NS6detail17trampoline_kernelINS0_14default_configENS1_27scan_by_key_config_selectorIsiEEZZNS1_16scan_by_key_implILNS1_25lookback_scan_determinismE0ELb1ES3_N6thrust23THRUST_200600_302600_NS6detail15normal_iteratorINS9_10device_ptrIsEEEESE_SE_iNS9_4plusIvEENS9_8equal_toIvEEiEE10hipError_tPvRmT2_T3_T4_T5_mT6_T7_P12ihipStream_tbENKUlT_T0_E_clISt17integral_constantIbLb1EESZ_EEDaSU_SV_EUlSU_E_NS1_11comp_targetILNS1_3genE10ELNS1_11target_archE1201ELNS1_3gpuE5ELNS1_3repE0EEENS1_30default_config_static_selectorELNS0_4arch9wavefront6targetE0EEEvT1_,"axG",@progbits,_ZN7rocprim17ROCPRIM_400000_NS6detail17trampoline_kernelINS0_14default_configENS1_27scan_by_key_config_selectorIsiEEZZNS1_16scan_by_key_implILNS1_25lookback_scan_determinismE0ELb1ES3_N6thrust23THRUST_200600_302600_NS6detail15normal_iteratorINS9_10device_ptrIsEEEESE_SE_iNS9_4plusIvEENS9_8equal_toIvEEiEE10hipError_tPvRmT2_T3_T4_T5_mT6_T7_P12ihipStream_tbENKUlT_T0_E_clISt17integral_constantIbLb1EESZ_EEDaSU_SV_EUlSU_E_NS1_11comp_targetILNS1_3genE10ELNS1_11target_archE1201ELNS1_3gpuE5ELNS1_3repE0EEENS1_30default_config_static_selectorELNS0_4arch9wavefront6targetE0EEEvT1_,comdat
	.protected	_ZN7rocprim17ROCPRIM_400000_NS6detail17trampoline_kernelINS0_14default_configENS1_27scan_by_key_config_selectorIsiEEZZNS1_16scan_by_key_implILNS1_25lookback_scan_determinismE0ELb1ES3_N6thrust23THRUST_200600_302600_NS6detail15normal_iteratorINS9_10device_ptrIsEEEESE_SE_iNS9_4plusIvEENS9_8equal_toIvEEiEE10hipError_tPvRmT2_T3_T4_T5_mT6_T7_P12ihipStream_tbENKUlT_T0_E_clISt17integral_constantIbLb1EESZ_EEDaSU_SV_EUlSU_E_NS1_11comp_targetILNS1_3genE10ELNS1_11target_archE1201ELNS1_3gpuE5ELNS1_3repE0EEENS1_30default_config_static_selectorELNS0_4arch9wavefront6targetE0EEEvT1_ ; -- Begin function _ZN7rocprim17ROCPRIM_400000_NS6detail17trampoline_kernelINS0_14default_configENS1_27scan_by_key_config_selectorIsiEEZZNS1_16scan_by_key_implILNS1_25lookback_scan_determinismE0ELb1ES3_N6thrust23THRUST_200600_302600_NS6detail15normal_iteratorINS9_10device_ptrIsEEEESE_SE_iNS9_4plusIvEENS9_8equal_toIvEEiEE10hipError_tPvRmT2_T3_T4_T5_mT6_T7_P12ihipStream_tbENKUlT_T0_E_clISt17integral_constantIbLb1EESZ_EEDaSU_SV_EUlSU_E_NS1_11comp_targetILNS1_3genE10ELNS1_11target_archE1201ELNS1_3gpuE5ELNS1_3repE0EEENS1_30default_config_static_selectorELNS0_4arch9wavefront6targetE0EEEvT1_
	.globl	_ZN7rocprim17ROCPRIM_400000_NS6detail17trampoline_kernelINS0_14default_configENS1_27scan_by_key_config_selectorIsiEEZZNS1_16scan_by_key_implILNS1_25lookback_scan_determinismE0ELb1ES3_N6thrust23THRUST_200600_302600_NS6detail15normal_iteratorINS9_10device_ptrIsEEEESE_SE_iNS9_4plusIvEENS9_8equal_toIvEEiEE10hipError_tPvRmT2_T3_T4_T5_mT6_T7_P12ihipStream_tbENKUlT_T0_E_clISt17integral_constantIbLb1EESZ_EEDaSU_SV_EUlSU_E_NS1_11comp_targetILNS1_3genE10ELNS1_11target_archE1201ELNS1_3gpuE5ELNS1_3repE0EEENS1_30default_config_static_selectorELNS0_4arch9wavefront6targetE0EEEvT1_
	.p2align	8
	.type	_ZN7rocprim17ROCPRIM_400000_NS6detail17trampoline_kernelINS0_14default_configENS1_27scan_by_key_config_selectorIsiEEZZNS1_16scan_by_key_implILNS1_25lookback_scan_determinismE0ELb1ES3_N6thrust23THRUST_200600_302600_NS6detail15normal_iteratorINS9_10device_ptrIsEEEESE_SE_iNS9_4plusIvEENS9_8equal_toIvEEiEE10hipError_tPvRmT2_T3_T4_T5_mT6_T7_P12ihipStream_tbENKUlT_T0_E_clISt17integral_constantIbLb1EESZ_EEDaSU_SV_EUlSU_E_NS1_11comp_targetILNS1_3genE10ELNS1_11target_archE1201ELNS1_3gpuE5ELNS1_3repE0EEENS1_30default_config_static_selectorELNS0_4arch9wavefront6targetE0EEEvT1_,@function
_ZN7rocprim17ROCPRIM_400000_NS6detail17trampoline_kernelINS0_14default_configENS1_27scan_by_key_config_selectorIsiEEZZNS1_16scan_by_key_implILNS1_25lookback_scan_determinismE0ELb1ES3_N6thrust23THRUST_200600_302600_NS6detail15normal_iteratorINS9_10device_ptrIsEEEESE_SE_iNS9_4plusIvEENS9_8equal_toIvEEiEE10hipError_tPvRmT2_T3_T4_T5_mT6_T7_P12ihipStream_tbENKUlT_T0_E_clISt17integral_constantIbLb1EESZ_EEDaSU_SV_EUlSU_E_NS1_11comp_targetILNS1_3genE10ELNS1_11target_archE1201ELNS1_3gpuE5ELNS1_3repE0EEENS1_30default_config_static_selectorELNS0_4arch9wavefront6targetE0EEEvT1_: ; @_ZN7rocprim17ROCPRIM_400000_NS6detail17trampoline_kernelINS0_14default_configENS1_27scan_by_key_config_selectorIsiEEZZNS1_16scan_by_key_implILNS1_25lookback_scan_determinismE0ELb1ES3_N6thrust23THRUST_200600_302600_NS6detail15normal_iteratorINS9_10device_ptrIsEEEESE_SE_iNS9_4plusIvEENS9_8equal_toIvEEiEE10hipError_tPvRmT2_T3_T4_T5_mT6_T7_P12ihipStream_tbENKUlT_T0_E_clISt17integral_constantIbLb1EESZ_EEDaSU_SV_EUlSU_E_NS1_11comp_targetILNS1_3genE10ELNS1_11target_archE1201ELNS1_3gpuE5ELNS1_3repE0EEENS1_30default_config_static_selectorELNS0_4arch9wavefront6targetE0EEEvT1_
; %bb.0:
	.section	.rodata,"a",@progbits
	.p2align	6, 0x0
	.amdhsa_kernel _ZN7rocprim17ROCPRIM_400000_NS6detail17trampoline_kernelINS0_14default_configENS1_27scan_by_key_config_selectorIsiEEZZNS1_16scan_by_key_implILNS1_25lookback_scan_determinismE0ELb1ES3_N6thrust23THRUST_200600_302600_NS6detail15normal_iteratorINS9_10device_ptrIsEEEESE_SE_iNS9_4plusIvEENS9_8equal_toIvEEiEE10hipError_tPvRmT2_T3_T4_T5_mT6_T7_P12ihipStream_tbENKUlT_T0_E_clISt17integral_constantIbLb1EESZ_EEDaSU_SV_EUlSU_E_NS1_11comp_targetILNS1_3genE10ELNS1_11target_archE1201ELNS1_3gpuE5ELNS1_3repE0EEENS1_30default_config_static_selectorELNS0_4arch9wavefront6targetE0EEEvT1_
		.amdhsa_group_segment_fixed_size 0
		.amdhsa_private_segment_fixed_size 0
		.amdhsa_kernarg_size 112
		.amdhsa_user_sgpr_count 2
		.amdhsa_user_sgpr_dispatch_ptr 0
		.amdhsa_user_sgpr_queue_ptr 0
		.amdhsa_user_sgpr_kernarg_segment_ptr 1
		.amdhsa_user_sgpr_dispatch_id 0
		.amdhsa_user_sgpr_kernarg_preload_length 0
		.amdhsa_user_sgpr_kernarg_preload_offset 0
		.amdhsa_user_sgpr_private_segment_size 0
		.amdhsa_wavefront_size32 1
		.amdhsa_uses_dynamic_stack 0
		.amdhsa_enable_private_segment 0
		.amdhsa_system_sgpr_workgroup_id_x 1
		.amdhsa_system_sgpr_workgroup_id_y 0
		.amdhsa_system_sgpr_workgroup_id_z 0
		.amdhsa_system_sgpr_workgroup_info 0
		.amdhsa_system_vgpr_workitem_id 0
		.amdhsa_next_free_vgpr 1
		.amdhsa_next_free_sgpr 1
		.amdhsa_named_barrier_count 0
		.amdhsa_reserve_vcc 0
		.amdhsa_float_round_mode_32 0
		.amdhsa_float_round_mode_16_64 0
		.amdhsa_float_denorm_mode_32 3
		.amdhsa_float_denorm_mode_16_64 3
		.amdhsa_fp16_overflow 0
		.amdhsa_memory_ordered 1
		.amdhsa_forward_progress 1
		.amdhsa_inst_pref_size 0
		.amdhsa_round_robin_scheduling 0
		.amdhsa_exception_fp_ieee_invalid_op 0
		.amdhsa_exception_fp_denorm_src 0
		.amdhsa_exception_fp_ieee_div_zero 0
		.amdhsa_exception_fp_ieee_overflow 0
		.amdhsa_exception_fp_ieee_underflow 0
		.amdhsa_exception_fp_ieee_inexact 0
		.amdhsa_exception_int_div_zero 0
	.end_amdhsa_kernel
	.section	.text._ZN7rocprim17ROCPRIM_400000_NS6detail17trampoline_kernelINS0_14default_configENS1_27scan_by_key_config_selectorIsiEEZZNS1_16scan_by_key_implILNS1_25lookback_scan_determinismE0ELb1ES3_N6thrust23THRUST_200600_302600_NS6detail15normal_iteratorINS9_10device_ptrIsEEEESE_SE_iNS9_4plusIvEENS9_8equal_toIvEEiEE10hipError_tPvRmT2_T3_T4_T5_mT6_T7_P12ihipStream_tbENKUlT_T0_E_clISt17integral_constantIbLb1EESZ_EEDaSU_SV_EUlSU_E_NS1_11comp_targetILNS1_3genE10ELNS1_11target_archE1201ELNS1_3gpuE5ELNS1_3repE0EEENS1_30default_config_static_selectorELNS0_4arch9wavefront6targetE0EEEvT1_,"axG",@progbits,_ZN7rocprim17ROCPRIM_400000_NS6detail17trampoline_kernelINS0_14default_configENS1_27scan_by_key_config_selectorIsiEEZZNS1_16scan_by_key_implILNS1_25lookback_scan_determinismE0ELb1ES3_N6thrust23THRUST_200600_302600_NS6detail15normal_iteratorINS9_10device_ptrIsEEEESE_SE_iNS9_4plusIvEENS9_8equal_toIvEEiEE10hipError_tPvRmT2_T3_T4_T5_mT6_T7_P12ihipStream_tbENKUlT_T0_E_clISt17integral_constantIbLb1EESZ_EEDaSU_SV_EUlSU_E_NS1_11comp_targetILNS1_3genE10ELNS1_11target_archE1201ELNS1_3gpuE5ELNS1_3repE0EEENS1_30default_config_static_selectorELNS0_4arch9wavefront6targetE0EEEvT1_,comdat
.Lfunc_end1053:
	.size	_ZN7rocprim17ROCPRIM_400000_NS6detail17trampoline_kernelINS0_14default_configENS1_27scan_by_key_config_selectorIsiEEZZNS1_16scan_by_key_implILNS1_25lookback_scan_determinismE0ELb1ES3_N6thrust23THRUST_200600_302600_NS6detail15normal_iteratorINS9_10device_ptrIsEEEESE_SE_iNS9_4plusIvEENS9_8equal_toIvEEiEE10hipError_tPvRmT2_T3_T4_T5_mT6_T7_P12ihipStream_tbENKUlT_T0_E_clISt17integral_constantIbLb1EESZ_EEDaSU_SV_EUlSU_E_NS1_11comp_targetILNS1_3genE10ELNS1_11target_archE1201ELNS1_3gpuE5ELNS1_3repE0EEENS1_30default_config_static_selectorELNS0_4arch9wavefront6targetE0EEEvT1_, .Lfunc_end1053-_ZN7rocprim17ROCPRIM_400000_NS6detail17trampoline_kernelINS0_14default_configENS1_27scan_by_key_config_selectorIsiEEZZNS1_16scan_by_key_implILNS1_25lookback_scan_determinismE0ELb1ES3_N6thrust23THRUST_200600_302600_NS6detail15normal_iteratorINS9_10device_ptrIsEEEESE_SE_iNS9_4plusIvEENS9_8equal_toIvEEiEE10hipError_tPvRmT2_T3_T4_T5_mT6_T7_P12ihipStream_tbENKUlT_T0_E_clISt17integral_constantIbLb1EESZ_EEDaSU_SV_EUlSU_E_NS1_11comp_targetILNS1_3genE10ELNS1_11target_archE1201ELNS1_3gpuE5ELNS1_3repE0EEENS1_30default_config_static_selectorELNS0_4arch9wavefront6targetE0EEEvT1_
                                        ; -- End function
	.set _ZN7rocprim17ROCPRIM_400000_NS6detail17trampoline_kernelINS0_14default_configENS1_27scan_by_key_config_selectorIsiEEZZNS1_16scan_by_key_implILNS1_25lookback_scan_determinismE0ELb1ES3_N6thrust23THRUST_200600_302600_NS6detail15normal_iteratorINS9_10device_ptrIsEEEESE_SE_iNS9_4plusIvEENS9_8equal_toIvEEiEE10hipError_tPvRmT2_T3_T4_T5_mT6_T7_P12ihipStream_tbENKUlT_T0_E_clISt17integral_constantIbLb1EESZ_EEDaSU_SV_EUlSU_E_NS1_11comp_targetILNS1_3genE10ELNS1_11target_archE1201ELNS1_3gpuE5ELNS1_3repE0EEENS1_30default_config_static_selectorELNS0_4arch9wavefront6targetE0EEEvT1_.num_vgpr, 0
	.set _ZN7rocprim17ROCPRIM_400000_NS6detail17trampoline_kernelINS0_14default_configENS1_27scan_by_key_config_selectorIsiEEZZNS1_16scan_by_key_implILNS1_25lookback_scan_determinismE0ELb1ES3_N6thrust23THRUST_200600_302600_NS6detail15normal_iteratorINS9_10device_ptrIsEEEESE_SE_iNS9_4plusIvEENS9_8equal_toIvEEiEE10hipError_tPvRmT2_T3_T4_T5_mT6_T7_P12ihipStream_tbENKUlT_T0_E_clISt17integral_constantIbLb1EESZ_EEDaSU_SV_EUlSU_E_NS1_11comp_targetILNS1_3genE10ELNS1_11target_archE1201ELNS1_3gpuE5ELNS1_3repE0EEENS1_30default_config_static_selectorELNS0_4arch9wavefront6targetE0EEEvT1_.num_agpr, 0
	.set _ZN7rocprim17ROCPRIM_400000_NS6detail17trampoline_kernelINS0_14default_configENS1_27scan_by_key_config_selectorIsiEEZZNS1_16scan_by_key_implILNS1_25lookback_scan_determinismE0ELb1ES3_N6thrust23THRUST_200600_302600_NS6detail15normal_iteratorINS9_10device_ptrIsEEEESE_SE_iNS9_4plusIvEENS9_8equal_toIvEEiEE10hipError_tPvRmT2_T3_T4_T5_mT6_T7_P12ihipStream_tbENKUlT_T0_E_clISt17integral_constantIbLb1EESZ_EEDaSU_SV_EUlSU_E_NS1_11comp_targetILNS1_3genE10ELNS1_11target_archE1201ELNS1_3gpuE5ELNS1_3repE0EEENS1_30default_config_static_selectorELNS0_4arch9wavefront6targetE0EEEvT1_.numbered_sgpr, 0
	.set _ZN7rocprim17ROCPRIM_400000_NS6detail17trampoline_kernelINS0_14default_configENS1_27scan_by_key_config_selectorIsiEEZZNS1_16scan_by_key_implILNS1_25lookback_scan_determinismE0ELb1ES3_N6thrust23THRUST_200600_302600_NS6detail15normal_iteratorINS9_10device_ptrIsEEEESE_SE_iNS9_4plusIvEENS9_8equal_toIvEEiEE10hipError_tPvRmT2_T3_T4_T5_mT6_T7_P12ihipStream_tbENKUlT_T0_E_clISt17integral_constantIbLb1EESZ_EEDaSU_SV_EUlSU_E_NS1_11comp_targetILNS1_3genE10ELNS1_11target_archE1201ELNS1_3gpuE5ELNS1_3repE0EEENS1_30default_config_static_selectorELNS0_4arch9wavefront6targetE0EEEvT1_.num_named_barrier, 0
	.set _ZN7rocprim17ROCPRIM_400000_NS6detail17trampoline_kernelINS0_14default_configENS1_27scan_by_key_config_selectorIsiEEZZNS1_16scan_by_key_implILNS1_25lookback_scan_determinismE0ELb1ES3_N6thrust23THRUST_200600_302600_NS6detail15normal_iteratorINS9_10device_ptrIsEEEESE_SE_iNS9_4plusIvEENS9_8equal_toIvEEiEE10hipError_tPvRmT2_T3_T4_T5_mT6_T7_P12ihipStream_tbENKUlT_T0_E_clISt17integral_constantIbLb1EESZ_EEDaSU_SV_EUlSU_E_NS1_11comp_targetILNS1_3genE10ELNS1_11target_archE1201ELNS1_3gpuE5ELNS1_3repE0EEENS1_30default_config_static_selectorELNS0_4arch9wavefront6targetE0EEEvT1_.private_seg_size, 0
	.set _ZN7rocprim17ROCPRIM_400000_NS6detail17trampoline_kernelINS0_14default_configENS1_27scan_by_key_config_selectorIsiEEZZNS1_16scan_by_key_implILNS1_25lookback_scan_determinismE0ELb1ES3_N6thrust23THRUST_200600_302600_NS6detail15normal_iteratorINS9_10device_ptrIsEEEESE_SE_iNS9_4plusIvEENS9_8equal_toIvEEiEE10hipError_tPvRmT2_T3_T4_T5_mT6_T7_P12ihipStream_tbENKUlT_T0_E_clISt17integral_constantIbLb1EESZ_EEDaSU_SV_EUlSU_E_NS1_11comp_targetILNS1_3genE10ELNS1_11target_archE1201ELNS1_3gpuE5ELNS1_3repE0EEENS1_30default_config_static_selectorELNS0_4arch9wavefront6targetE0EEEvT1_.uses_vcc, 0
	.set _ZN7rocprim17ROCPRIM_400000_NS6detail17trampoline_kernelINS0_14default_configENS1_27scan_by_key_config_selectorIsiEEZZNS1_16scan_by_key_implILNS1_25lookback_scan_determinismE0ELb1ES3_N6thrust23THRUST_200600_302600_NS6detail15normal_iteratorINS9_10device_ptrIsEEEESE_SE_iNS9_4plusIvEENS9_8equal_toIvEEiEE10hipError_tPvRmT2_T3_T4_T5_mT6_T7_P12ihipStream_tbENKUlT_T0_E_clISt17integral_constantIbLb1EESZ_EEDaSU_SV_EUlSU_E_NS1_11comp_targetILNS1_3genE10ELNS1_11target_archE1201ELNS1_3gpuE5ELNS1_3repE0EEENS1_30default_config_static_selectorELNS0_4arch9wavefront6targetE0EEEvT1_.uses_flat_scratch, 0
	.set _ZN7rocprim17ROCPRIM_400000_NS6detail17trampoline_kernelINS0_14default_configENS1_27scan_by_key_config_selectorIsiEEZZNS1_16scan_by_key_implILNS1_25lookback_scan_determinismE0ELb1ES3_N6thrust23THRUST_200600_302600_NS6detail15normal_iteratorINS9_10device_ptrIsEEEESE_SE_iNS9_4plusIvEENS9_8equal_toIvEEiEE10hipError_tPvRmT2_T3_T4_T5_mT6_T7_P12ihipStream_tbENKUlT_T0_E_clISt17integral_constantIbLb1EESZ_EEDaSU_SV_EUlSU_E_NS1_11comp_targetILNS1_3genE10ELNS1_11target_archE1201ELNS1_3gpuE5ELNS1_3repE0EEENS1_30default_config_static_selectorELNS0_4arch9wavefront6targetE0EEEvT1_.has_dyn_sized_stack, 0
	.set _ZN7rocprim17ROCPRIM_400000_NS6detail17trampoline_kernelINS0_14default_configENS1_27scan_by_key_config_selectorIsiEEZZNS1_16scan_by_key_implILNS1_25lookback_scan_determinismE0ELb1ES3_N6thrust23THRUST_200600_302600_NS6detail15normal_iteratorINS9_10device_ptrIsEEEESE_SE_iNS9_4plusIvEENS9_8equal_toIvEEiEE10hipError_tPvRmT2_T3_T4_T5_mT6_T7_P12ihipStream_tbENKUlT_T0_E_clISt17integral_constantIbLb1EESZ_EEDaSU_SV_EUlSU_E_NS1_11comp_targetILNS1_3genE10ELNS1_11target_archE1201ELNS1_3gpuE5ELNS1_3repE0EEENS1_30default_config_static_selectorELNS0_4arch9wavefront6targetE0EEEvT1_.has_recursion, 0
	.set _ZN7rocprim17ROCPRIM_400000_NS6detail17trampoline_kernelINS0_14default_configENS1_27scan_by_key_config_selectorIsiEEZZNS1_16scan_by_key_implILNS1_25lookback_scan_determinismE0ELb1ES3_N6thrust23THRUST_200600_302600_NS6detail15normal_iteratorINS9_10device_ptrIsEEEESE_SE_iNS9_4plusIvEENS9_8equal_toIvEEiEE10hipError_tPvRmT2_T3_T4_T5_mT6_T7_P12ihipStream_tbENKUlT_T0_E_clISt17integral_constantIbLb1EESZ_EEDaSU_SV_EUlSU_E_NS1_11comp_targetILNS1_3genE10ELNS1_11target_archE1201ELNS1_3gpuE5ELNS1_3repE0EEENS1_30default_config_static_selectorELNS0_4arch9wavefront6targetE0EEEvT1_.has_indirect_call, 0
	.section	.AMDGPU.csdata,"",@progbits
; Kernel info:
; codeLenInByte = 0
; TotalNumSgprs: 0
; NumVgprs: 0
; ScratchSize: 0
; MemoryBound: 0
; FloatMode: 240
; IeeeMode: 1
; LDSByteSize: 0 bytes/workgroup (compile time only)
; SGPRBlocks: 0
; VGPRBlocks: 0
; NumSGPRsForWavesPerEU: 1
; NumVGPRsForWavesPerEU: 1
; NamedBarCnt: 0
; Occupancy: 16
; WaveLimiterHint : 0
; COMPUTE_PGM_RSRC2:SCRATCH_EN: 0
; COMPUTE_PGM_RSRC2:USER_SGPR: 2
; COMPUTE_PGM_RSRC2:TRAP_HANDLER: 0
; COMPUTE_PGM_RSRC2:TGID_X_EN: 1
; COMPUTE_PGM_RSRC2:TGID_Y_EN: 0
; COMPUTE_PGM_RSRC2:TGID_Z_EN: 0
; COMPUTE_PGM_RSRC2:TIDIG_COMP_CNT: 0
	.section	.text._ZN7rocprim17ROCPRIM_400000_NS6detail17trampoline_kernelINS0_14default_configENS1_27scan_by_key_config_selectorIsiEEZZNS1_16scan_by_key_implILNS1_25lookback_scan_determinismE0ELb1ES3_N6thrust23THRUST_200600_302600_NS6detail15normal_iteratorINS9_10device_ptrIsEEEESE_SE_iNS9_4plusIvEENS9_8equal_toIvEEiEE10hipError_tPvRmT2_T3_T4_T5_mT6_T7_P12ihipStream_tbENKUlT_T0_E_clISt17integral_constantIbLb1EESZ_EEDaSU_SV_EUlSU_E_NS1_11comp_targetILNS1_3genE5ELNS1_11target_archE942ELNS1_3gpuE9ELNS1_3repE0EEENS1_30default_config_static_selectorELNS0_4arch9wavefront6targetE0EEEvT1_,"axG",@progbits,_ZN7rocprim17ROCPRIM_400000_NS6detail17trampoline_kernelINS0_14default_configENS1_27scan_by_key_config_selectorIsiEEZZNS1_16scan_by_key_implILNS1_25lookback_scan_determinismE0ELb1ES3_N6thrust23THRUST_200600_302600_NS6detail15normal_iteratorINS9_10device_ptrIsEEEESE_SE_iNS9_4plusIvEENS9_8equal_toIvEEiEE10hipError_tPvRmT2_T3_T4_T5_mT6_T7_P12ihipStream_tbENKUlT_T0_E_clISt17integral_constantIbLb1EESZ_EEDaSU_SV_EUlSU_E_NS1_11comp_targetILNS1_3genE5ELNS1_11target_archE942ELNS1_3gpuE9ELNS1_3repE0EEENS1_30default_config_static_selectorELNS0_4arch9wavefront6targetE0EEEvT1_,comdat
	.protected	_ZN7rocprim17ROCPRIM_400000_NS6detail17trampoline_kernelINS0_14default_configENS1_27scan_by_key_config_selectorIsiEEZZNS1_16scan_by_key_implILNS1_25lookback_scan_determinismE0ELb1ES3_N6thrust23THRUST_200600_302600_NS6detail15normal_iteratorINS9_10device_ptrIsEEEESE_SE_iNS9_4plusIvEENS9_8equal_toIvEEiEE10hipError_tPvRmT2_T3_T4_T5_mT6_T7_P12ihipStream_tbENKUlT_T0_E_clISt17integral_constantIbLb1EESZ_EEDaSU_SV_EUlSU_E_NS1_11comp_targetILNS1_3genE5ELNS1_11target_archE942ELNS1_3gpuE9ELNS1_3repE0EEENS1_30default_config_static_selectorELNS0_4arch9wavefront6targetE0EEEvT1_ ; -- Begin function _ZN7rocprim17ROCPRIM_400000_NS6detail17trampoline_kernelINS0_14default_configENS1_27scan_by_key_config_selectorIsiEEZZNS1_16scan_by_key_implILNS1_25lookback_scan_determinismE0ELb1ES3_N6thrust23THRUST_200600_302600_NS6detail15normal_iteratorINS9_10device_ptrIsEEEESE_SE_iNS9_4plusIvEENS9_8equal_toIvEEiEE10hipError_tPvRmT2_T3_T4_T5_mT6_T7_P12ihipStream_tbENKUlT_T0_E_clISt17integral_constantIbLb1EESZ_EEDaSU_SV_EUlSU_E_NS1_11comp_targetILNS1_3genE5ELNS1_11target_archE942ELNS1_3gpuE9ELNS1_3repE0EEENS1_30default_config_static_selectorELNS0_4arch9wavefront6targetE0EEEvT1_
	.globl	_ZN7rocprim17ROCPRIM_400000_NS6detail17trampoline_kernelINS0_14default_configENS1_27scan_by_key_config_selectorIsiEEZZNS1_16scan_by_key_implILNS1_25lookback_scan_determinismE0ELb1ES3_N6thrust23THRUST_200600_302600_NS6detail15normal_iteratorINS9_10device_ptrIsEEEESE_SE_iNS9_4plusIvEENS9_8equal_toIvEEiEE10hipError_tPvRmT2_T3_T4_T5_mT6_T7_P12ihipStream_tbENKUlT_T0_E_clISt17integral_constantIbLb1EESZ_EEDaSU_SV_EUlSU_E_NS1_11comp_targetILNS1_3genE5ELNS1_11target_archE942ELNS1_3gpuE9ELNS1_3repE0EEENS1_30default_config_static_selectorELNS0_4arch9wavefront6targetE0EEEvT1_
	.p2align	8
	.type	_ZN7rocprim17ROCPRIM_400000_NS6detail17trampoline_kernelINS0_14default_configENS1_27scan_by_key_config_selectorIsiEEZZNS1_16scan_by_key_implILNS1_25lookback_scan_determinismE0ELb1ES3_N6thrust23THRUST_200600_302600_NS6detail15normal_iteratorINS9_10device_ptrIsEEEESE_SE_iNS9_4plusIvEENS9_8equal_toIvEEiEE10hipError_tPvRmT2_T3_T4_T5_mT6_T7_P12ihipStream_tbENKUlT_T0_E_clISt17integral_constantIbLb1EESZ_EEDaSU_SV_EUlSU_E_NS1_11comp_targetILNS1_3genE5ELNS1_11target_archE942ELNS1_3gpuE9ELNS1_3repE0EEENS1_30default_config_static_selectorELNS0_4arch9wavefront6targetE0EEEvT1_,@function
_ZN7rocprim17ROCPRIM_400000_NS6detail17trampoline_kernelINS0_14default_configENS1_27scan_by_key_config_selectorIsiEEZZNS1_16scan_by_key_implILNS1_25lookback_scan_determinismE0ELb1ES3_N6thrust23THRUST_200600_302600_NS6detail15normal_iteratorINS9_10device_ptrIsEEEESE_SE_iNS9_4plusIvEENS9_8equal_toIvEEiEE10hipError_tPvRmT2_T3_T4_T5_mT6_T7_P12ihipStream_tbENKUlT_T0_E_clISt17integral_constantIbLb1EESZ_EEDaSU_SV_EUlSU_E_NS1_11comp_targetILNS1_3genE5ELNS1_11target_archE942ELNS1_3gpuE9ELNS1_3repE0EEENS1_30default_config_static_selectorELNS0_4arch9wavefront6targetE0EEEvT1_: ; @_ZN7rocprim17ROCPRIM_400000_NS6detail17trampoline_kernelINS0_14default_configENS1_27scan_by_key_config_selectorIsiEEZZNS1_16scan_by_key_implILNS1_25lookback_scan_determinismE0ELb1ES3_N6thrust23THRUST_200600_302600_NS6detail15normal_iteratorINS9_10device_ptrIsEEEESE_SE_iNS9_4plusIvEENS9_8equal_toIvEEiEE10hipError_tPvRmT2_T3_T4_T5_mT6_T7_P12ihipStream_tbENKUlT_T0_E_clISt17integral_constantIbLb1EESZ_EEDaSU_SV_EUlSU_E_NS1_11comp_targetILNS1_3genE5ELNS1_11target_archE942ELNS1_3gpuE9ELNS1_3repE0EEENS1_30default_config_static_selectorELNS0_4arch9wavefront6targetE0EEEvT1_
; %bb.0:
	.section	.rodata,"a",@progbits
	.p2align	6, 0x0
	.amdhsa_kernel _ZN7rocprim17ROCPRIM_400000_NS6detail17trampoline_kernelINS0_14default_configENS1_27scan_by_key_config_selectorIsiEEZZNS1_16scan_by_key_implILNS1_25lookback_scan_determinismE0ELb1ES3_N6thrust23THRUST_200600_302600_NS6detail15normal_iteratorINS9_10device_ptrIsEEEESE_SE_iNS9_4plusIvEENS9_8equal_toIvEEiEE10hipError_tPvRmT2_T3_T4_T5_mT6_T7_P12ihipStream_tbENKUlT_T0_E_clISt17integral_constantIbLb1EESZ_EEDaSU_SV_EUlSU_E_NS1_11comp_targetILNS1_3genE5ELNS1_11target_archE942ELNS1_3gpuE9ELNS1_3repE0EEENS1_30default_config_static_selectorELNS0_4arch9wavefront6targetE0EEEvT1_
		.amdhsa_group_segment_fixed_size 0
		.amdhsa_private_segment_fixed_size 0
		.amdhsa_kernarg_size 112
		.amdhsa_user_sgpr_count 2
		.amdhsa_user_sgpr_dispatch_ptr 0
		.amdhsa_user_sgpr_queue_ptr 0
		.amdhsa_user_sgpr_kernarg_segment_ptr 1
		.amdhsa_user_sgpr_dispatch_id 0
		.amdhsa_user_sgpr_kernarg_preload_length 0
		.amdhsa_user_sgpr_kernarg_preload_offset 0
		.amdhsa_user_sgpr_private_segment_size 0
		.amdhsa_wavefront_size32 1
		.amdhsa_uses_dynamic_stack 0
		.amdhsa_enable_private_segment 0
		.amdhsa_system_sgpr_workgroup_id_x 1
		.amdhsa_system_sgpr_workgroup_id_y 0
		.amdhsa_system_sgpr_workgroup_id_z 0
		.amdhsa_system_sgpr_workgroup_info 0
		.amdhsa_system_vgpr_workitem_id 0
		.amdhsa_next_free_vgpr 1
		.amdhsa_next_free_sgpr 1
		.amdhsa_named_barrier_count 0
		.amdhsa_reserve_vcc 0
		.amdhsa_float_round_mode_32 0
		.amdhsa_float_round_mode_16_64 0
		.amdhsa_float_denorm_mode_32 3
		.amdhsa_float_denorm_mode_16_64 3
		.amdhsa_fp16_overflow 0
		.amdhsa_memory_ordered 1
		.amdhsa_forward_progress 1
		.amdhsa_inst_pref_size 0
		.amdhsa_round_robin_scheduling 0
		.amdhsa_exception_fp_ieee_invalid_op 0
		.amdhsa_exception_fp_denorm_src 0
		.amdhsa_exception_fp_ieee_div_zero 0
		.amdhsa_exception_fp_ieee_overflow 0
		.amdhsa_exception_fp_ieee_underflow 0
		.amdhsa_exception_fp_ieee_inexact 0
		.amdhsa_exception_int_div_zero 0
	.end_amdhsa_kernel
	.section	.text._ZN7rocprim17ROCPRIM_400000_NS6detail17trampoline_kernelINS0_14default_configENS1_27scan_by_key_config_selectorIsiEEZZNS1_16scan_by_key_implILNS1_25lookback_scan_determinismE0ELb1ES3_N6thrust23THRUST_200600_302600_NS6detail15normal_iteratorINS9_10device_ptrIsEEEESE_SE_iNS9_4plusIvEENS9_8equal_toIvEEiEE10hipError_tPvRmT2_T3_T4_T5_mT6_T7_P12ihipStream_tbENKUlT_T0_E_clISt17integral_constantIbLb1EESZ_EEDaSU_SV_EUlSU_E_NS1_11comp_targetILNS1_3genE5ELNS1_11target_archE942ELNS1_3gpuE9ELNS1_3repE0EEENS1_30default_config_static_selectorELNS0_4arch9wavefront6targetE0EEEvT1_,"axG",@progbits,_ZN7rocprim17ROCPRIM_400000_NS6detail17trampoline_kernelINS0_14default_configENS1_27scan_by_key_config_selectorIsiEEZZNS1_16scan_by_key_implILNS1_25lookback_scan_determinismE0ELb1ES3_N6thrust23THRUST_200600_302600_NS6detail15normal_iteratorINS9_10device_ptrIsEEEESE_SE_iNS9_4plusIvEENS9_8equal_toIvEEiEE10hipError_tPvRmT2_T3_T4_T5_mT6_T7_P12ihipStream_tbENKUlT_T0_E_clISt17integral_constantIbLb1EESZ_EEDaSU_SV_EUlSU_E_NS1_11comp_targetILNS1_3genE5ELNS1_11target_archE942ELNS1_3gpuE9ELNS1_3repE0EEENS1_30default_config_static_selectorELNS0_4arch9wavefront6targetE0EEEvT1_,comdat
.Lfunc_end1054:
	.size	_ZN7rocprim17ROCPRIM_400000_NS6detail17trampoline_kernelINS0_14default_configENS1_27scan_by_key_config_selectorIsiEEZZNS1_16scan_by_key_implILNS1_25lookback_scan_determinismE0ELb1ES3_N6thrust23THRUST_200600_302600_NS6detail15normal_iteratorINS9_10device_ptrIsEEEESE_SE_iNS9_4plusIvEENS9_8equal_toIvEEiEE10hipError_tPvRmT2_T3_T4_T5_mT6_T7_P12ihipStream_tbENKUlT_T0_E_clISt17integral_constantIbLb1EESZ_EEDaSU_SV_EUlSU_E_NS1_11comp_targetILNS1_3genE5ELNS1_11target_archE942ELNS1_3gpuE9ELNS1_3repE0EEENS1_30default_config_static_selectorELNS0_4arch9wavefront6targetE0EEEvT1_, .Lfunc_end1054-_ZN7rocprim17ROCPRIM_400000_NS6detail17trampoline_kernelINS0_14default_configENS1_27scan_by_key_config_selectorIsiEEZZNS1_16scan_by_key_implILNS1_25lookback_scan_determinismE0ELb1ES3_N6thrust23THRUST_200600_302600_NS6detail15normal_iteratorINS9_10device_ptrIsEEEESE_SE_iNS9_4plusIvEENS9_8equal_toIvEEiEE10hipError_tPvRmT2_T3_T4_T5_mT6_T7_P12ihipStream_tbENKUlT_T0_E_clISt17integral_constantIbLb1EESZ_EEDaSU_SV_EUlSU_E_NS1_11comp_targetILNS1_3genE5ELNS1_11target_archE942ELNS1_3gpuE9ELNS1_3repE0EEENS1_30default_config_static_selectorELNS0_4arch9wavefront6targetE0EEEvT1_
                                        ; -- End function
	.set _ZN7rocprim17ROCPRIM_400000_NS6detail17trampoline_kernelINS0_14default_configENS1_27scan_by_key_config_selectorIsiEEZZNS1_16scan_by_key_implILNS1_25lookback_scan_determinismE0ELb1ES3_N6thrust23THRUST_200600_302600_NS6detail15normal_iteratorINS9_10device_ptrIsEEEESE_SE_iNS9_4plusIvEENS9_8equal_toIvEEiEE10hipError_tPvRmT2_T3_T4_T5_mT6_T7_P12ihipStream_tbENKUlT_T0_E_clISt17integral_constantIbLb1EESZ_EEDaSU_SV_EUlSU_E_NS1_11comp_targetILNS1_3genE5ELNS1_11target_archE942ELNS1_3gpuE9ELNS1_3repE0EEENS1_30default_config_static_selectorELNS0_4arch9wavefront6targetE0EEEvT1_.num_vgpr, 0
	.set _ZN7rocprim17ROCPRIM_400000_NS6detail17trampoline_kernelINS0_14default_configENS1_27scan_by_key_config_selectorIsiEEZZNS1_16scan_by_key_implILNS1_25lookback_scan_determinismE0ELb1ES3_N6thrust23THRUST_200600_302600_NS6detail15normal_iteratorINS9_10device_ptrIsEEEESE_SE_iNS9_4plusIvEENS9_8equal_toIvEEiEE10hipError_tPvRmT2_T3_T4_T5_mT6_T7_P12ihipStream_tbENKUlT_T0_E_clISt17integral_constantIbLb1EESZ_EEDaSU_SV_EUlSU_E_NS1_11comp_targetILNS1_3genE5ELNS1_11target_archE942ELNS1_3gpuE9ELNS1_3repE0EEENS1_30default_config_static_selectorELNS0_4arch9wavefront6targetE0EEEvT1_.num_agpr, 0
	.set _ZN7rocprim17ROCPRIM_400000_NS6detail17trampoline_kernelINS0_14default_configENS1_27scan_by_key_config_selectorIsiEEZZNS1_16scan_by_key_implILNS1_25lookback_scan_determinismE0ELb1ES3_N6thrust23THRUST_200600_302600_NS6detail15normal_iteratorINS9_10device_ptrIsEEEESE_SE_iNS9_4plusIvEENS9_8equal_toIvEEiEE10hipError_tPvRmT2_T3_T4_T5_mT6_T7_P12ihipStream_tbENKUlT_T0_E_clISt17integral_constantIbLb1EESZ_EEDaSU_SV_EUlSU_E_NS1_11comp_targetILNS1_3genE5ELNS1_11target_archE942ELNS1_3gpuE9ELNS1_3repE0EEENS1_30default_config_static_selectorELNS0_4arch9wavefront6targetE0EEEvT1_.numbered_sgpr, 0
	.set _ZN7rocprim17ROCPRIM_400000_NS6detail17trampoline_kernelINS0_14default_configENS1_27scan_by_key_config_selectorIsiEEZZNS1_16scan_by_key_implILNS1_25lookback_scan_determinismE0ELb1ES3_N6thrust23THRUST_200600_302600_NS6detail15normal_iteratorINS9_10device_ptrIsEEEESE_SE_iNS9_4plusIvEENS9_8equal_toIvEEiEE10hipError_tPvRmT2_T3_T4_T5_mT6_T7_P12ihipStream_tbENKUlT_T0_E_clISt17integral_constantIbLb1EESZ_EEDaSU_SV_EUlSU_E_NS1_11comp_targetILNS1_3genE5ELNS1_11target_archE942ELNS1_3gpuE9ELNS1_3repE0EEENS1_30default_config_static_selectorELNS0_4arch9wavefront6targetE0EEEvT1_.num_named_barrier, 0
	.set _ZN7rocprim17ROCPRIM_400000_NS6detail17trampoline_kernelINS0_14default_configENS1_27scan_by_key_config_selectorIsiEEZZNS1_16scan_by_key_implILNS1_25lookback_scan_determinismE0ELb1ES3_N6thrust23THRUST_200600_302600_NS6detail15normal_iteratorINS9_10device_ptrIsEEEESE_SE_iNS9_4plusIvEENS9_8equal_toIvEEiEE10hipError_tPvRmT2_T3_T4_T5_mT6_T7_P12ihipStream_tbENKUlT_T0_E_clISt17integral_constantIbLb1EESZ_EEDaSU_SV_EUlSU_E_NS1_11comp_targetILNS1_3genE5ELNS1_11target_archE942ELNS1_3gpuE9ELNS1_3repE0EEENS1_30default_config_static_selectorELNS0_4arch9wavefront6targetE0EEEvT1_.private_seg_size, 0
	.set _ZN7rocprim17ROCPRIM_400000_NS6detail17trampoline_kernelINS0_14default_configENS1_27scan_by_key_config_selectorIsiEEZZNS1_16scan_by_key_implILNS1_25lookback_scan_determinismE0ELb1ES3_N6thrust23THRUST_200600_302600_NS6detail15normal_iteratorINS9_10device_ptrIsEEEESE_SE_iNS9_4plusIvEENS9_8equal_toIvEEiEE10hipError_tPvRmT2_T3_T4_T5_mT6_T7_P12ihipStream_tbENKUlT_T0_E_clISt17integral_constantIbLb1EESZ_EEDaSU_SV_EUlSU_E_NS1_11comp_targetILNS1_3genE5ELNS1_11target_archE942ELNS1_3gpuE9ELNS1_3repE0EEENS1_30default_config_static_selectorELNS0_4arch9wavefront6targetE0EEEvT1_.uses_vcc, 0
	.set _ZN7rocprim17ROCPRIM_400000_NS6detail17trampoline_kernelINS0_14default_configENS1_27scan_by_key_config_selectorIsiEEZZNS1_16scan_by_key_implILNS1_25lookback_scan_determinismE0ELb1ES3_N6thrust23THRUST_200600_302600_NS6detail15normal_iteratorINS9_10device_ptrIsEEEESE_SE_iNS9_4plusIvEENS9_8equal_toIvEEiEE10hipError_tPvRmT2_T3_T4_T5_mT6_T7_P12ihipStream_tbENKUlT_T0_E_clISt17integral_constantIbLb1EESZ_EEDaSU_SV_EUlSU_E_NS1_11comp_targetILNS1_3genE5ELNS1_11target_archE942ELNS1_3gpuE9ELNS1_3repE0EEENS1_30default_config_static_selectorELNS0_4arch9wavefront6targetE0EEEvT1_.uses_flat_scratch, 0
	.set _ZN7rocprim17ROCPRIM_400000_NS6detail17trampoline_kernelINS0_14default_configENS1_27scan_by_key_config_selectorIsiEEZZNS1_16scan_by_key_implILNS1_25lookback_scan_determinismE0ELb1ES3_N6thrust23THRUST_200600_302600_NS6detail15normal_iteratorINS9_10device_ptrIsEEEESE_SE_iNS9_4plusIvEENS9_8equal_toIvEEiEE10hipError_tPvRmT2_T3_T4_T5_mT6_T7_P12ihipStream_tbENKUlT_T0_E_clISt17integral_constantIbLb1EESZ_EEDaSU_SV_EUlSU_E_NS1_11comp_targetILNS1_3genE5ELNS1_11target_archE942ELNS1_3gpuE9ELNS1_3repE0EEENS1_30default_config_static_selectorELNS0_4arch9wavefront6targetE0EEEvT1_.has_dyn_sized_stack, 0
	.set _ZN7rocprim17ROCPRIM_400000_NS6detail17trampoline_kernelINS0_14default_configENS1_27scan_by_key_config_selectorIsiEEZZNS1_16scan_by_key_implILNS1_25lookback_scan_determinismE0ELb1ES3_N6thrust23THRUST_200600_302600_NS6detail15normal_iteratorINS9_10device_ptrIsEEEESE_SE_iNS9_4plusIvEENS9_8equal_toIvEEiEE10hipError_tPvRmT2_T3_T4_T5_mT6_T7_P12ihipStream_tbENKUlT_T0_E_clISt17integral_constantIbLb1EESZ_EEDaSU_SV_EUlSU_E_NS1_11comp_targetILNS1_3genE5ELNS1_11target_archE942ELNS1_3gpuE9ELNS1_3repE0EEENS1_30default_config_static_selectorELNS0_4arch9wavefront6targetE0EEEvT1_.has_recursion, 0
	.set _ZN7rocprim17ROCPRIM_400000_NS6detail17trampoline_kernelINS0_14default_configENS1_27scan_by_key_config_selectorIsiEEZZNS1_16scan_by_key_implILNS1_25lookback_scan_determinismE0ELb1ES3_N6thrust23THRUST_200600_302600_NS6detail15normal_iteratorINS9_10device_ptrIsEEEESE_SE_iNS9_4plusIvEENS9_8equal_toIvEEiEE10hipError_tPvRmT2_T3_T4_T5_mT6_T7_P12ihipStream_tbENKUlT_T0_E_clISt17integral_constantIbLb1EESZ_EEDaSU_SV_EUlSU_E_NS1_11comp_targetILNS1_3genE5ELNS1_11target_archE942ELNS1_3gpuE9ELNS1_3repE0EEENS1_30default_config_static_selectorELNS0_4arch9wavefront6targetE0EEEvT1_.has_indirect_call, 0
	.section	.AMDGPU.csdata,"",@progbits
; Kernel info:
; codeLenInByte = 0
; TotalNumSgprs: 0
; NumVgprs: 0
; ScratchSize: 0
; MemoryBound: 0
; FloatMode: 240
; IeeeMode: 1
; LDSByteSize: 0 bytes/workgroup (compile time only)
; SGPRBlocks: 0
; VGPRBlocks: 0
; NumSGPRsForWavesPerEU: 1
; NumVGPRsForWavesPerEU: 1
; NamedBarCnt: 0
; Occupancy: 16
; WaveLimiterHint : 0
; COMPUTE_PGM_RSRC2:SCRATCH_EN: 0
; COMPUTE_PGM_RSRC2:USER_SGPR: 2
; COMPUTE_PGM_RSRC2:TRAP_HANDLER: 0
; COMPUTE_PGM_RSRC2:TGID_X_EN: 1
; COMPUTE_PGM_RSRC2:TGID_Y_EN: 0
; COMPUTE_PGM_RSRC2:TGID_Z_EN: 0
; COMPUTE_PGM_RSRC2:TIDIG_COMP_CNT: 0
	.section	.text._ZN7rocprim17ROCPRIM_400000_NS6detail17trampoline_kernelINS0_14default_configENS1_27scan_by_key_config_selectorIsiEEZZNS1_16scan_by_key_implILNS1_25lookback_scan_determinismE0ELb1ES3_N6thrust23THRUST_200600_302600_NS6detail15normal_iteratorINS9_10device_ptrIsEEEESE_SE_iNS9_4plusIvEENS9_8equal_toIvEEiEE10hipError_tPvRmT2_T3_T4_T5_mT6_T7_P12ihipStream_tbENKUlT_T0_E_clISt17integral_constantIbLb1EESZ_EEDaSU_SV_EUlSU_E_NS1_11comp_targetILNS1_3genE4ELNS1_11target_archE910ELNS1_3gpuE8ELNS1_3repE0EEENS1_30default_config_static_selectorELNS0_4arch9wavefront6targetE0EEEvT1_,"axG",@progbits,_ZN7rocprim17ROCPRIM_400000_NS6detail17trampoline_kernelINS0_14default_configENS1_27scan_by_key_config_selectorIsiEEZZNS1_16scan_by_key_implILNS1_25lookback_scan_determinismE0ELb1ES3_N6thrust23THRUST_200600_302600_NS6detail15normal_iteratorINS9_10device_ptrIsEEEESE_SE_iNS9_4plusIvEENS9_8equal_toIvEEiEE10hipError_tPvRmT2_T3_T4_T5_mT6_T7_P12ihipStream_tbENKUlT_T0_E_clISt17integral_constantIbLb1EESZ_EEDaSU_SV_EUlSU_E_NS1_11comp_targetILNS1_3genE4ELNS1_11target_archE910ELNS1_3gpuE8ELNS1_3repE0EEENS1_30default_config_static_selectorELNS0_4arch9wavefront6targetE0EEEvT1_,comdat
	.protected	_ZN7rocprim17ROCPRIM_400000_NS6detail17trampoline_kernelINS0_14default_configENS1_27scan_by_key_config_selectorIsiEEZZNS1_16scan_by_key_implILNS1_25lookback_scan_determinismE0ELb1ES3_N6thrust23THRUST_200600_302600_NS6detail15normal_iteratorINS9_10device_ptrIsEEEESE_SE_iNS9_4plusIvEENS9_8equal_toIvEEiEE10hipError_tPvRmT2_T3_T4_T5_mT6_T7_P12ihipStream_tbENKUlT_T0_E_clISt17integral_constantIbLb1EESZ_EEDaSU_SV_EUlSU_E_NS1_11comp_targetILNS1_3genE4ELNS1_11target_archE910ELNS1_3gpuE8ELNS1_3repE0EEENS1_30default_config_static_selectorELNS0_4arch9wavefront6targetE0EEEvT1_ ; -- Begin function _ZN7rocprim17ROCPRIM_400000_NS6detail17trampoline_kernelINS0_14default_configENS1_27scan_by_key_config_selectorIsiEEZZNS1_16scan_by_key_implILNS1_25lookback_scan_determinismE0ELb1ES3_N6thrust23THRUST_200600_302600_NS6detail15normal_iteratorINS9_10device_ptrIsEEEESE_SE_iNS9_4plusIvEENS9_8equal_toIvEEiEE10hipError_tPvRmT2_T3_T4_T5_mT6_T7_P12ihipStream_tbENKUlT_T0_E_clISt17integral_constantIbLb1EESZ_EEDaSU_SV_EUlSU_E_NS1_11comp_targetILNS1_3genE4ELNS1_11target_archE910ELNS1_3gpuE8ELNS1_3repE0EEENS1_30default_config_static_selectorELNS0_4arch9wavefront6targetE0EEEvT1_
	.globl	_ZN7rocprim17ROCPRIM_400000_NS6detail17trampoline_kernelINS0_14default_configENS1_27scan_by_key_config_selectorIsiEEZZNS1_16scan_by_key_implILNS1_25lookback_scan_determinismE0ELb1ES3_N6thrust23THRUST_200600_302600_NS6detail15normal_iteratorINS9_10device_ptrIsEEEESE_SE_iNS9_4plusIvEENS9_8equal_toIvEEiEE10hipError_tPvRmT2_T3_T4_T5_mT6_T7_P12ihipStream_tbENKUlT_T0_E_clISt17integral_constantIbLb1EESZ_EEDaSU_SV_EUlSU_E_NS1_11comp_targetILNS1_3genE4ELNS1_11target_archE910ELNS1_3gpuE8ELNS1_3repE0EEENS1_30default_config_static_selectorELNS0_4arch9wavefront6targetE0EEEvT1_
	.p2align	8
	.type	_ZN7rocprim17ROCPRIM_400000_NS6detail17trampoline_kernelINS0_14default_configENS1_27scan_by_key_config_selectorIsiEEZZNS1_16scan_by_key_implILNS1_25lookback_scan_determinismE0ELb1ES3_N6thrust23THRUST_200600_302600_NS6detail15normal_iteratorINS9_10device_ptrIsEEEESE_SE_iNS9_4plusIvEENS9_8equal_toIvEEiEE10hipError_tPvRmT2_T3_T4_T5_mT6_T7_P12ihipStream_tbENKUlT_T0_E_clISt17integral_constantIbLb1EESZ_EEDaSU_SV_EUlSU_E_NS1_11comp_targetILNS1_3genE4ELNS1_11target_archE910ELNS1_3gpuE8ELNS1_3repE0EEENS1_30default_config_static_selectorELNS0_4arch9wavefront6targetE0EEEvT1_,@function
_ZN7rocprim17ROCPRIM_400000_NS6detail17trampoline_kernelINS0_14default_configENS1_27scan_by_key_config_selectorIsiEEZZNS1_16scan_by_key_implILNS1_25lookback_scan_determinismE0ELb1ES3_N6thrust23THRUST_200600_302600_NS6detail15normal_iteratorINS9_10device_ptrIsEEEESE_SE_iNS9_4plusIvEENS9_8equal_toIvEEiEE10hipError_tPvRmT2_T3_T4_T5_mT6_T7_P12ihipStream_tbENKUlT_T0_E_clISt17integral_constantIbLb1EESZ_EEDaSU_SV_EUlSU_E_NS1_11comp_targetILNS1_3genE4ELNS1_11target_archE910ELNS1_3gpuE8ELNS1_3repE0EEENS1_30default_config_static_selectorELNS0_4arch9wavefront6targetE0EEEvT1_: ; @_ZN7rocprim17ROCPRIM_400000_NS6detail17trampoline_kernelINS0_14default_configENS1_27scan_by_key_config_selectorIsiEEZZNS1_16scan_by_key_implILNS1_25lookback_scan_determinismE0ELb1ES3_N6thrust23THRUST_200600_302600_NS6detail15normal_iteratorINS9_10device_ptrIsEEEESE_SE_iNS9_4plusIvEENS9_8equal_toIvEEiEE10hipError_tPvRmT2_T3_T4_T5_mT6_T7_P12ihipStream_tbENKUlT_T0_E_clISt17integral_constantIbLb1EESZ_EEDaSU_SV_EUlSU_E_NS1_11comp_targetILNS1_3genE4ELNS1_11target_archE910ELNS1_3gpuE8ELNS1_3repE0EEENS1_30default_config_static_selectorELNS0_4arch9wavefront6targetE0EEEvT1_
; %bb.0:
	.section	.rodata,"a",@progbits
	.p2align	6, 0x0
	.amdhsa_kernel _ZN7rocprim17ROCPRIM_400000_NS6detail17trampoline_kernelINS0_14default_configENS1_27scan_by_key_config_selectorIsiEEZZNS1_16scan_by_key_implILNS1_25lookback_scan_determinismE0ELb1ES3_N6thrust23THRUST_200600_302600_NS6detail15normal_iteratorINS9_10device_ptrIsEEEESE_SE_iNS9_4plusIvEENS9_8equal_toIvEEiEE10hipError_tPvRmT2_T3_T4_T5_mT6_T7_P12ihipStream_tbENKUlT_T0_E_clISt17integral_constantIbLb1EESZ_EEDaSU_SV_EUlSU_E_NS1_11comp_targetILNS1_3genE4ELNS1_11target_archE910ELNS1_3gpuE8ELNS1_3repE0EEENS1_30default_config_static_selectorELNS0_4arch9wavefront6targetE0EEEvT1_
		.amdhsa_group_segment_fixed_size 0
		.amdhsa_private_segment_fixed_size 0
		.amdhsa_kernarg_size 112
		.amdhsa_user_sgpr_count 2
		.amdhsa_user_sgpr_dispatch_ptr 0
		.amdhsa_user_sgpr_queue_ptr 0
		.amdhsa_user_sgpr_kernarg_segment_ptr 1
		.amdhsa_user_sgpr_dispatch_id 0
		.amdhsa_user_sgpr_kernarg_preload_length 0
		.amdhsa_user_sgpr_kernarg_preload_offset 0
		.amdhsa_user_sgpr_private_segment_size 0
		.amdhsa_wavefront_size32 1
		.amdhsa_uses_dynamic_stack 0
		.amdhsa_enable_private_segment 0
		.amdhsa_system_sgpr_workgroup_id_x 1
		.amdhsa_system_sgpr_workgroup_id_y 0
		.amdhsa_system_sgpr_workgroup_id_z 0
		.amdhsa_system_sgpr_workgroup_info 0
		.amdhsa_system_vgpr_workitem_id 0
		.amdhsa_next_free_vgpr 1
		.amdhsa_next_free_sgpr 1
		.amdhsa_named_barrier_count 0
		.amdhsa_reserve_vcc 0
		.amdhsa_float_round_mode_32 0
		.amdhsa_float_round_mode_16_64 0
		.amdhsa_float_denorm_mode_32 3
		.amdhsa_float_denorm_mode_16_64 3
		.amdhsa_fp16_overflow 0
		.amdhsa_memory_ordered 1
		.amdhsa_forward_progress 1
		.amdhsa_inst_pref_size 0
		.amdhsa_round_robin_scheduling 0
		.amdhsa_exception_fp_ieee_invalid_op 0
		.amdhsa_exception_fp_denorm_src 0
		.amdhsa_exception_fp_ieee_div_zero 0
		.amdhsa_exception_fp_ieee_overflow 0
		.amdhsa_exception_fp_ieee_underflow 0
		.amdhsa_exception_fp_ieee_inexact 0
		.amdhsa_exception_int_div_zero 0
	.end_amdhsa_kernel
	.section	.text._ZN7rocprim17ROCPRIM_400000_NS6detail17trampoline_kernelINS0_14default_configENS1_27scan_by_key_config_selectorIsiEEZZNS1_16scan_by_key_implILNS1_25lookback_scan_determinismE0ELb1ES3_N6thrust23THRUST_200600_302600_NS6detail15normal_iteratorINS9_10device_ptrIsEEEESE_SE_iNS9_4plusIvEENS9_8equal_toIvEEiEE10hipError_tPvRmT2_T3_T4_T5_mT6_T7_P12ihipStream_tbENKUlT_T0_E_clISt17integral_constantIbLb1EESZ_EEDaSU_SV_EUlSU_E_NS1_11comp_targetILNS1_3genE4ELNS1_11target_archE910ELNS1_3gpuE8ELNS1_3repE0EEENS1_30default_config_static_selectorELNS0_4arch9wavefront6targetE0EEEvT1_,"axG",@progbits,_ZN7rocprim17ROCPRIM_400000_NS6detail17trampoline_kernelINS0_14default_configENS1_27scan_by_key_config_selectorIsiEEZZNS1_16scan_by_key_implILNS1_25lookback_scan_determinismE0ELb1ES3_N6thrust23THRUST_200600_302600_NS6detail15normal_iteratorINS9_10device_ptrIsEEEESE_SE_iNS9_4plusIvEENS9_8equal_toIvEEiEE10hipError_tPvRmT2_T3_T4_T5_mT6_T7_P12ihipStream_tbENKUlT_T0_E_clISt17integral_constantIbLb1EESZ_EEDaSU_SV_EUlSU_E_NS1_11comp_targetILNS1_3genE4ELNS1_11target_archE910ELNS1_3gpuE8ELNS1_3repE0EEENS1_30default_config_static_selectorELNS0_4arch9wavefront6targetE0EEEvT1_,comdat
.Lfunc_end1055:
	.size	_ZN7rocprim17ROCPRIM_400000_NS6detail17trampoline_kernelINS0_14default_configENS1_27scan_by_key_config_selectorIsiEEZZNS1_16scan_by_key_implILNS1_25lookback_scan_determinismE0ELb1ES3_N6thrust23THRUST_200600_302600_NS6detail15normal_iteratorINS9_10device_ptrIsEEEESE_SE_iNS9_4plusIvEENS9_8equal_toIvEEiEE10hipError_tPvRmT2_T3_T4_T5_mT6_T7_P12ihipStream_tbENKUlT_T0_E_clISt17integral_constantIbLb1EESZ_EEDaSU_SV_EUlSU_E_NS1_11comp_targetILNS1_3genE4ELNS1_11target_archE910ELNS1_3gpuE8ELNS1_3repE0EEENS1_30default_config_static_selectorELNS0_4arch9wavefront6targetE0EEEvT1_, .Lfunc_end1055-_ZN7rocprim17ROCPRIM_400000_NS6detail17trampoline_kernelINS0_14default_configENS1_27scan_by_key_config_selectorIsiEEZZNS1_16scan_by_key_implILNS1_25lookback_scan_determinismE0ELb1ES3_N6thrust23THRUST_200600_302600_NS6detail15normal_iteratorINS9_10device_ptrIsEEEESE_SE_iNS9_4plusIvEENS9_8equal_toIvEEiEE10hipError_tPvRmT2_T3_T4_T5_mT6_T7_P12ihipStream_tbENKUlT_T0_E_clISt17integral_constantIbLb1EESZ_EEDaSU_SV_EUlSU_E_NS1_11comp_targetILNS1_3genE4ELNS1_11target_archE910ELNS1_3gpuE8ELNS1_3repE0EEENS1_30default_config_static_selectorELNS0_4arch9wavefront6targetE0EEEvT1_
                                        ; -- End function
	.set _ZN7rocprim17ROCPRIM_400000_NS6detail17trampoline_kernelINS0_14default_configENS1_27scan_by_key_config_selectorIsiEEZZNS1_16scan_by_key_implILNS1_25lookback_scan_determinismE0ELb1ES3_N6thrust23THRUST_200600_302600_NS6detail15normal_iteratorINS9_10device_ptrIsEEEESE_SE_iNS9_4plusIvEENS9_8equal_toIvEEiEE10hipError_tPvRmT2_T3_T4_T5_mT6_T7_P12ihipStream_tbENKUlT_T0_E_clISt17integral_constantIbLb1EESZ_EEDaSU_SV_EUlSU_E_NS1_11comp_targetILNS1_3genE4ELNS1_11target_archE910ELNS1_3gpuE8ELNS1_3repE0EEENS1_30default_config_static_selectorELNS0_4arch9wavefront6targetE0EEEvT1_.num_vgpr, 0
	.set _ZN7rocprim17ROCPRIM_400000_NS6detail17trampoline_kernelINS0_14default_configENS1_27scan_by_key_config_selectorIsiEEZZNS1_16scan_by_key_implILNS1_25lookback_scan_determinismE0ELb1ES3_N6thrust23THRUST_200600_302600_NS6detail15normal_iteratorINS9_10device_ptrIsEEEESE_SE_iNS9_4plusIvEENS9_8equal_toIvEEiEE10hipError_tPvRmT2_T3_T4_T5_mT6_T7_P12ihipStream_tbENKUlT_T0_E_clISt17integral_constantIbLb1EESZ_EEDaSU_SV_EUlSU_E_NS1_11comp_targetILNS1_3genE4ELNS1_11target_archE910ELNS1_3gpuE8ELNS1_3repE0EEENS1_30default_config_static_selectorELNS0_4arch9wavefront6targetE0EEEvT1_.num_agpr, 0
	.set _ZN7rocprim17ROCPRIM_400000_NS6detail17trampoline_kernelINS0_14default_configENS1_27scan_by_key_config_selectorIsiEEZZNS1_16scan_by_key_implILNS1_25lookback_scan_determinismE0ELb1ES3_N6thrust23THRUST_200600_302600_NS6detail15normal_iteratorINS9_10device_ptrIsEEEESE_SE_iNS9_4plusIvEENS9_8equal_toIvEEiEE10hipError_tPvRmT2_T3_T4_T5_mT6_T7_P12ihipStream_tbENKUlT_T0_E_clISt17integral_constantIbLb1EESZ_EEDaSU_SV_EUlSU_E_NS1_11comp_targetILNS1_3genE4ELNS1_11target_archE910ELNS1_3gpuE8ELNS1_3repE0EEENS1_30default_config_static_selectorELNS0_4arch9wavefront6targetE0EEEvT1_.numbered_sgpr, 0
	.set _ZN7rocprim17ROCPRIM_400000_NS6detail17trampoline_kernelINS0_14default_configENS1_27scan_by_key_config_selectorIsiEEZZNS1_16scan_by_key_implILNS1_25lookback_scan_determinismE0ELb1ES3_N6thrust23THRUST_200600_302600_NS6detail15normal_iteratorINS9_10device_ptrIsEEEESE_SE_iNS9_4plusIvEENS9_8equal_toIvEEiEE10hipError_tPvRmT2_T3_T4_T5_mT6_T7_P12ihipStream_tbENKUlT_T0_E_clISt17integral_constantIbLb1EESZ_EEDaSU_SV_EUlSU_E_NS1_11comp_targetILNS1_3genE4ELNS1_11target_archE910ELNS1_3gpuE8ELNS1_3repE0EEENS1_30default_config_static_selectorELNS0_4arch9wavefront6targetE0EEEvT1_.num_named_barrier, 0
	.set _ZN7rocprim17ROCPRIM_400000_NS6detail17trampoline_kernelINS0_14default_configENS1_27scan_by_key_config_selectorIsiEEZZNS1_16scan_by_key_implILNS1_25lookback_scan_determinismE0ELb1ES3_N6thrust23THRUST_200600_302600_NS6detail15normal_iteratorINS9_10device_ptrIsEEEESE_SE_iNS9_4plusIvEENS9_8equal_toIvEEiEE10hipError_tPvRmT2_T3_T4_T5_mT6_T7_P12ihipStream_tbENKUlT_T0_E_clISt17integral_constantIbLb1EESZ_EEDaSU_SV_EUlSU_E_NS1_11comp_targetILNS1_3genE4ELNS1_11target_archE910ELNS1_3gpuE8ELNS1_3repE0EEENS1_30default_config_static_selectorELNS0_4arch9wavefront6targetE0EEEvT1_.private_seg_size, 0
	.set _ZN7rocprim17ROCPRIM_400000_NS6detail17trampoline_kernelINS0_14default_configENS1_27scan_by_key_config_selectorIsiEEZZNS1_16scan_by_key_implILNS1_25lookback_scan_determinismE0ELb1ES3_N6thrust23THRUST_200600_302600_NS6detail15normal_iteratorINS9_10device_ptrIsEEEESE_SE_iNS9_4plusIvEENS9_8equal_toIvEEiEE10hipError_tPvRmT2_T3_T4_T5_mT6_T7_P12ihipStream_tbENKUlT_T0_E_clISt17integral_constantIbLb1EESZ_EEDaSU_SV_EUlSU_E_NS1_11comp_targetILNS1_3genE4ELNS1_11target_archE910ELNS1_3gpuE8ELNS1_3repE0EEENS1_30default_config_static_selectorELNS0_4arch9wavefront6targetE0EEEvT1_.uses_vcc, 0
	.set _ZN7rocprim17ROCPRIM_400000_NS6detail17trampoline_kernelINS0_14default_configENS1_27scan_by_key_config_selectorIsiEEZZNS1_16scan_by_key_implILNS1_25lookback_scan_determinismE0ELb1ES3_N6thrust23THRUST_200600_302600_NS6detail15normal_iteratorINS9_10device_ptrIsEEEESE_SE_iNS9_4plusIvEENS9_8equal_toIvEEiEE10hipError_tPvRmT2_T3_T4_T5_mT6_T7_P12ihipStream_tbENKUlT_T0_E_clISt17integral_constantIbLb1EESZ_EEDaSU_SV_EUlSU_E_NS1_11comp_targetILNS1_3genE4ELNS1_11target_archE910ELNS1_3gpuE8ELNS1_3repE0EEENS1_30default_config_static_selectorELNS0_4arch9wavefront6targetE0EEEvT1_.uses_flat_scratch, 0
	.set _ZN7rocprim17ROCPRIM_400000_NS6detail17trampoline_kernelINS0_14default_configENS1_27scan_by_key_config_selectorIsiEEZZNS1_16scan_by_key_implILNS1_25lookback_scan_determinismE0ELb1ES3_N6thrust23THRUST_200600_302600_NS6detail15normal_iteratorINS9_10device_ptrIsEEEESE_SE_iNS9_4plusIvEENS9_8equal_toIvEEiEE10hipError_tPvRmT2_T3_T4_T5_mT6_T7_P12ihipStream_tbENKUlT_T0_E_clISt17integral_constantIbLb1EESZ_EEDaSU_SV_EUlSU_E_NS1_11comp_targetILNS1_3genE4ELNS1_11target_archE910ELNS1_3gpuE8ELNS1_3repE0EEENS1_30default_config_static_selectorELNS0_4arch9wavefront6targetE0EEEvT1_.has_dyn_sized_stack, 0
	.set _ZN7rocprim17ROCPRIM_400000_NS6detail17trampoline_kernelINS0_14default_configENS1_27scan_by_key_config_selectorIsiEEZZNS1_16scan_by_key_implILNS1_25lookback_scan_determinismE0ELb1ES3_N6thrust23THRUST_200600_302600_NS6detail15normal_iteratorINS9_10device_ptrIsEEEESE_SE_iNS9_4plusIvEENS9_8equal_toIvEEiEE10hipError_tPvRmT2_T3_T4_T5_mT6_T7_P12ihipStream_tbENKUlT_T0_E_clISt17integral_constantIbLb1EESZ_EEDaSU_SV_EUlSU_E_NS1_11comp_targetILNS1_3genE4ELNS1_11target_archE910ELNS1_3gpuE8ELNS1_3repE0EEENS1_30default_config_static_selectorELNS0_4arch9wavefront6targetE0EEEvT1_.has_recursion, 0
	.set _ZN7rocprim17ROCPRIM_400000_NS6detail17trampoline_kernelINS0_14default_configENS1_27scan_by_key_config_selectorIsiEEZZNS1_16scan_by_key_implILNS1_25lookback_scan_determinismE0ELb1ES3_N6thrust23THRUST_200600_302600_NS6detail15normal_iteratorINS9_10device_ptrIsEEEESE_SE_iNS9_4plusIvEENS9_8equal_toIvEEiEE10hipError_tPvRmT2_T3_T4_T5_mT6_T7_P12ihipStream_tbENKUlT_T0_E_clISt17integral_constantIbLb1EESZ_EEDaSU_SV_EUlSU_E_NS1_11comp_targetILNS1_3genE4ELNS1_11target_archE910ELNS1_3gpuE8ELNS1_3repE0EEENS1_30default_config_static_selectorELNS0_4arch9wavefront6targetE0EEEvT1_.has_indirect_call, 0
	.section	.AMDGPU.csdata,"",@progbits
; Kernel info:
; codeLenInByte = 0
; TotalNumSgprs: 0
; NumVgprs: 0
; ScratchSize: 0
; MemoryBound: 0
; FloatMode: 240
; IeeeMode: 1
; LDSByteSize: 0 bytes/workgroup (compile time only)
; SGPRBlocks: 0
; VGPRBlocks: 0
; NumSGPRsForWavesPerEU: 1
; NumVGPRsForWavesPerEU: 1
; NamedBarCnt: 0
; Occupancy: 16
; WaveLimiterHint : 0
; COMPUTE_PGM_RSRC2:SCRATCH_EN: 0
; COMPUTE_PGM_RSRC2:USER_SGPR: 2
; COMPUTE_PGM_RSRC2:TRAP_HANDLER: 0
; COMPUTE_PGM_RSRC2:TGID_X_EN: 1
; COMPUTE_PGM_RSRC2:TGID_Y_EN: 0
; COMPUTE_PGM_RSRC2:TGID_Z_EN: 0
; COMPUTE_PGM_RSRC2:TIDIG_COMP_CNT: 0
	.section	.text._ZN7rocprim17ROCPRIM_400000_NS6detail17trampoline_kernelINS0_14default_configENS1_27scan_by_key_config_selectorIsiEEZZNS1_16scan_by_key_implILNS1_25lookback_scan_determinismE0ELb1ES3_N6thrust23THRUST_200600_302600_NS6detail15normal_iteratorINS9_10device_ptrIsEEEESE_SE_iNS9_4plusIvEENS9_8equal_toIvEEiEE10hipError_tPvRmT2_T3_T4_T5_mT6_T7_P12ihipStream_tbENKUlT_T0_E_clISt17integral_constantIbLb1EESZ_EEDaSU_SV_EUlSU_E_NS1_11comp_targetILNS1_3genE3ELNS1_11target_archE908ELNS1_3gpuE7ELNS1_3repE0EEENS1_30default_config_static_selectorELNS0_4arch9wavefront6targetE0EEEvT1_,"axG",@progbits,_ZN7rocprim17ROCPRIM_400000_NS6detail17trampoline_kernelINS0_14default_configENS1_27scan_by_key_config_selectorIsiEEZZNS1_16scan_by_key_implILNS1_25lookback_scan_determinismE0ELb1ES3_N6thrust23THRUST_200600_302600_NS6detail15normal_iteratorINS9_10device_ptrIsEEEESE_SE_iNS9_4plusIvEENS9_8equal_toIvEEiEE10hipError_tPvRmT2_T3_T4_T5_mT6_T7_P12ihipStream_tbENKUlT_T0_E_clISt17integral_constantIbLb1EESZ_EEDaSU_SV_EUlSU_E_NS1_11comp_targetILNS1_3genE3ELNS1_11target_archE908ELNS1_3gpuE7ELNS1_3repE0EEENS1_30default_config_static_selectorELNS0_4arch9wavefront6targetE0EEEvT1_,comdat
	.protected	_ZN7rocprim17ROCPRIM_400000_NS6detail17trampoline_kernelINS0_14default_configENS1_27scan_by_key_config_selectorIsiEEZZNS1_16scan_by_key_implILNS1_25lookback_scan_determinismE0ELb1ES3_N6thrust23THRUST_200600_302600_NS6detail15normal_iteratorINS9_10device_ptrIsEEEESE_SE_iNS9_4plusIvEENS9_8equal_toIvEEiEE10hipError_tPvRmT2_T3_T4_T5_mT6_T7_P12ihipStream_tbENKUlT_T0_E_clISt17integral_constantIbLb1EESZ_EEDaSU_SV_EUlSU_E_NS1_11comp_targetILNS1_3genE3ELNS1_11target_archE908ELNS1_3gpuE7ELNS1_3repE0EEENS1_30default_config_static_selectorELNS0_4arch9wavefront6targetE0EEEvT1_ ; -- Begin function _ZN7rocprim17ROCPRIM_400000_NS6detail17trampoline_kernelINS0_14default_configENS1_27scan_by_key_config_selectorIsiEEZZNS1_16scan_by_key_implILNS1_25lookback_scan_determinismE0ELb1ES3_N6thrust23THRUST_200600_302600_NS6detail15normal_iteratorINS9_10device_ptrIsEEEESE_SE_iNS9_4plusIvEENS9_8equal_toIvEEiEE10hipError_tPvRmT2_T3_T4_T5_mT6_T7_P12ihipStream_tbENKUlT_T0_E_clISt17integral_constantIbLb1EESZ_EEDaSU_SV_EUlSU_E_NS1_11comp_targetILNS1_3genE3ELNS1_11target_archE908ELNS1_3gpuE7ELNS1_3repE0EEENS1_30default_config_static_selectorELNS0_4arch9wavefront6targetE0EEEvT1_
	.globl	_ZN7rocprim17ROCPRIM_400000_NS6detail17trampoline_kernelINS0_14default_configENS1_27scan_by_key_config_selectorIsiEEZZNS1_16scan_by_key_implILNS1_25lookback_scan_determinismE0ELb1ES3_N6thrust23THRUST_200600_302600_NS6detail15normal_iteratorINS9_10device_ptrIsEEEESE_SE_iNS9_4plusIvEENS9_8equal_toIvEEiEE10hipError_tPvRmT2_T3_T4_T5_mT6_T7_P12ihipStream_tbENKUlT_T0_E_clISt17integral_constantIbLb1EESZ_EEDaSU_SV_EUlSU_E_NS1_11comp_targetILNS1_3genE3ELNS1_11target_archE908ELNS1_3gpuE7ELNS1_3repE0EEENS1_30default_config_static_selectorELNS0_4arch9wavefront6targetE0EEEvT1_
	.p2align	8
	.type	_ZN7rocprim17ROCPRIM_400000_NS6detail17trampoline_kernelINS0_14default_configENS1_27scan_by_key_config_selectorIsiEEZZNS1_16scan_by_key_implILNS1_25lookback_scan_determinismE0ELb1ES3_N6thrust23THRUST_200600_302600_NS6detail15normal_iteratorINS9_10device_ptrIsEEEESE_SE_iNS9_4plusIvEENS9_8equal_toIvEEiEE10hipError_tPvRmT2_T3_T4_T5_mT6_T7_P12ihipStream_tbENKUlT_T0_E_clISt17integral_constantIbLb1EESZ_EEDaSU_SV_EUlSU_E_NS1_11comp_targetILNS1_3genE3ELNS1_11target_archE908ELNS1_3gpuE7ELNS1_3repE0EEENS1_30default_config_static_selectorELNS0_4arch9wavefront6targetE0EEEvT1_,@function
_ZN7rocprim17ROCPRIM_400000_NS6detail17trampoline_kernelINS0_14default_configENS1_27scan_by_key_config_selectorIsiEEZZNS1_16scan_by_key_implILNS1_25lookback_scan_determinismE0ELb1ES3_N6thrust23THRUST_200600_302600_NS6detail15normal_iteratorINS9_10device_ptrIsEEEESE_SE_iNS9_4plusIvEENS9_8equal_toIvEEiEE10hipError_tPvRmT2_T3_T4_T5_mT6_T7_P12ihipStream_tbENKUlT_T0_E_clISt17integral_constantIbLb1EESZ_EEDaSU_SV_EUlSU_E_NS1_11comp_targetILNS1_3genE3ELNS1_11target_archE908ELNS1_3gpuE7ELNS1_3repE0EEENS1_30default_config_static_selectorELNS0_4arch9wavefront6targetE0EEEvT1_: ; @_ZN7rocprim17ROCPRIM_400000_NS6detail17trampoline_kernelINS0_14default_configENS1_27scan_by_key_config_selectorIsiEEZZNS1_16scan_by_key_implILNS1_25lookback_scan_determinismE0ELb1ES3_N6thrust23THRUST_200600_302600_NS6detail15normal_iteratorINS9_10device_ptrIsEEEESE_SE_iNS9_4plusIvEENS9_8equal_toIvEEiEE10hipError_tPvRmT2_T3_T4_T5_mT6_T7_P12ihipStream_tbENKUlT_T0_E_clISt17integral_constantIbLb1EESZ_EEDaSU_SV_EUlSU_E_NS1_11comp_targetILNS1_3genE3ELNS1_11target_archE908ELNS1_3gpuE7ELNS1_3repE0EEENS1_30default_config_static_selectorELNS0_4arch9wavefront6targetE0EEEvT1_
; %bb.0:
	.section	.rodata,"a",@progbits
	.p2align	6, 0x0
	.amdhsa_kernel _ZN7rocprim17ROCPRIM_400000_NS6detail17trampoline_kernelINS0_14default_configENS1_27scan_by_key_config_selectorIsiEEZZNS1_16scan_by_key_implILNS1_25lookback_scan_determinismE0ELb1ES3_N6thrust23THRUST_200600_302600_NS6detail15normal_iteratorINS9_10device_ptrIsEEEESE_SE_iNS9_4plusIvEENS9_8equal_toIvEEiEE10hipError_tPvRmT2_T3_T4_T5_mT6_T7_P12ihipStream_tbENKUlT_T0_E_clISt17integral_constantIbLb1EESZ_EEDaSU_SV_EUlSU_E_NS1_11comp_targetILNS1_3genE3ELNS1_11target_archE908ELNS1_3gpuE7ELNS1_3repE0EEENS1_30default_config_static_selectorELNS0_4arch9wavefront6targetE0EEEvT1_
		.amdhsa_group_segment_fixed_size 0
		.amdhsa_private_segment_fixed_size 0
		.amdhsa_kernarg_size 112
		.amdhsa_user_sgpr_count 2
		.amdhsa_user_sgpr_dispatch_ptr 0
		.amdhsa_user_sgpr_queue_ptr 0
		.amdhsa_user_sgpr_kernarg_segment_ptr 1
		.amdhsa_user_sgpr_dispatch_id 0
		.amdhsa_user_sgpr_kernarg_preload_length 0
		.amdhsa_user_sgpr_kernarg_preload_offset 0
		.amdhsa_user_sgpr_private_segment_size 0
		.amdhsa_wavefront_size32 1
		.amdhsa_uses_dynamic_stack 0
		.amdhsa_enable_private_segment 0
		.amdhsa_system_sgpr_workgroup_id_x 1
		.amdhsa_system_sgpr_workgroup_id_y 0
		.amdhsa_system_sgpr_workgroup_id_z 0
		.amdhsa_system_sgpr_workgroup_info 0
		.amdhsa_system_vgpr_workitem_id 0
		.amdhsa_next_free_vgpr 1
		.amdhsa_next_free_sgpr 1
		.amdhsa_named_barrier_count 0
		.amdhsa_reserve_vcc 0
		.amdhsa_float_round_mode_32 0
		.amdhsa_float_round_mode_16_64 0
		.amdhsa_float_denorm_mode_32 3
		.amdhsa_float_denorm_mode_16_64 3
		.amdhsa_fp16_overflow 0
		.amdhsa_memory_ordered 1
		.amdhsa_forward_progress 1
		.amdhsa_inst_pref_size 0
		.amdhsa_round_robin_scheduling 0
		.amdhsa_exception_fp_ieee_invalid_op 0
		.amdhsa_exception_fp_denorm_src 0
		.amdhsa_exception_fp_ieee_div_zero 0
		.amdhsa_exception_fp_ieee_overflow 0
		.amdhsa_exception_fp_ieee_underflow 0
		.amdhsa_exception_fp_ieee_inexact 0
		.amdhsa_exception_int_div_zero 0
	.end_amdhsa_kernel
	.section	.text._ZN7rocprim17ROCPRIM_400000_NS6detail17trampoline_kernelINS0_14default_configENS1_27scan_by_key_config_selectorIsiEEZZNS1_16scan_by_key_implILNS1_25lookback_scan_determinismE0ELb1ES3_N6thrust23THRUST_200600_302600_NS6detail15normal_iteratorINS9_10device_ptrIsEEEESE_SE_iNS9_4plusIvEENS9_8equal_toIvEEiEE10hipError_tPvRmT2_T3_T4_T5_mT6_T7_P12ihipStream_tbENKUlT_T0_E_clISt17integral_constantIbLb1EESZ_EEDaSU_SV_EUlSU_E_NS1_11comp_targetILNS1_3genE3ELNS1_11target_archE908ELNS1_3gpuE7ELNS1_3repE0EEENS1_30default_config_static_selectorELNS0_4arch9wavefront6targetE0EEEvT1_,"axG",@progbits,_ZN7rocprim17ROCPRIM_400000_NS6detail17trampoline_kernelINS0_14default_configENS1_27scan_by_key_config_selectorIsiEEZZNS1_16scan_by_key_implILNS1_25lookback_scan_determinismE0ELb1ES3_N6thrust23THRUST_200600_302600_NS6detail15normal_iteratorINS9_10device_ptrIsEEEESE_SE_iNS9_4plusIvEENS9_8equal_toIvEEiEE10hipError_tPvRmT2_T3_T4_T5_mT6_T7_P12ihipStream_tbENKUlT_T0_E_clISt17integral_constantIbLb1EESZ_EEDaSU_SV_EUlSU_E_NS1_11comp_targetILNS1_3genE3ELNS1_11target_archE908ELNS1_3gpuE7ELNS1_3repE0EEENS1_30default_config_static_selectorELNS0_4arch9wavefront6targetE0EEEvT1_,comdat
.Lfunc_end1056:
	.size	_ZN7rocprim17ROCPRIM_400000_NS6detail17trampoline_kernelINS0_14default_configENS1_27scan_by_key_config_selectorIsiEEZZNS1_16scan_by_key_implILNS1_25lookback_scan_determinismE0ELb1ES3_N6thrust23THRUST_200600_302600_NS6detail15normal_iteratorINS9_10device_ptrIsEEEESE_SE_iNS9_4plusIvEENS9_8equal_toIvEEiEE10hipError_tPvRmT2_T3_T4_T5_mT6_T7_P12ihipStream_tbENKUlT_T0_E_clISt17integral_constantIbLb1EESZ_EEDaSU_SV_EUlSU_E_NS1_11comp_targetILNS1_3genE3ELNS1_11target_archE908ELNS1_3gpuE7ELNS1_3repE0EEENS1_30default_config_static_selectorELNS0_4arch9wavefront6targetE0EEEvT1_, .Lfunc_end1056-_ZN7rocprim17ROCPRIM_400000_NS6detail17trampoline_kernelINS0_14default_configENS1_27scan_by_key_config_selectorIsiEEZZNS1_16scan_by_key_implILNS1_25lookback_scan_determinismE0ELb1ES3_N6thrust23THRUST_200600_302600_NS6detail15normal_iteratorINS9_10device_ptrIsEEEESE_SE_iNS9_4plusIvEENS9_8equal_toIvEEiEE10hipError_tPvRmT2_T3_T4_T5_mT6_T7_P12ihipStream_tbENKUlT_T0_E_clISt17integral_constantIbLb1EESZ_EEDaSU_SV_EUlSU_E_NS1_11comp_targetILNS1_3genE3ELNS1_11target_archE908ELNS1_3gpuE7ELNS1_3repE0EEENS1_30default_config_static_selectorELNS0_4arch9wavefront6targetE0EEEvT1_
                                        ; -- End function
	.set _ZN7rocprim17ROCPRIM_400000_NS6detail17trampoline_kernelINS0_14default_configENS1_27scan_by_key_config_selectorIsiEEZZNS1_16scan_by_key_implILNS1_25lookback_scan_determinismE0ELb1ES3_N6thrust23THRUST_200600_302600_NS6detail15normal_iteratorINS9_10device_ptrIsEEEESE_SE_iNS9_4plusIvEENS9_8equal_toIvEEiEE10hipError_tPvRmT2_T3_T4_T5_mT6_T7_P12ihipStream_tbENKUlT_T0_E_clISt17integral_constantIbLb1EESZ_EEDaSU_SV_EUlSU_E_NS1_11comp_targetILNS1_3genE3ELNS1_11target_archE908ELNS1_3gpuE7ELNS1_3repE0EEENS1_30default_config_static_selectorELNS0_4arch9wavefront6targetE0EEEvT1_.num_vgpr, 0
	.set _ZN7rocprim17ROCPRIM_400000_NS6detail17trampoline_kernelINS0_14default_configENS1_27scan_by_key_config_selectorIsiEEZZNS1_16scan_by_key_implILNS1_25lookback_scan_determinismE0ELb1ES3_N6thrust23THRUST_200600_302600_NS6detail15normal_iteratorINS9_10device_ptrIsEEEESE_SE_iNS9_4plusIvEENS9_8equal_toIvEEiEE10hipError_tPvRmT2_T3_T4_T5_mT6_T7_P12ihipStream_tbENKUlT_T0_E_clISt17integral_constantIbLb1EESZ_EEDaSU_SV_EUlSU_E_NS1_11comp_targetILNS1_3genE3ELNS1_11target_archE908ELNS1_3gpuE7ELNS1_3repE0EEENS1_30default_config_static_selectorELNS0_4arch9wavefront6targetE0EEEvT1_.num_agpr, 0
	.set _ZN7rocprim17ROCPRIM_400000_NS6detail17trampoline_kernelINS0_14default_configENS1_27scan_by_key_config_selectorIsiEEZZNS1_16scan_by_key_implILNS1_25lookback_scan_determinismE0ELb1ES3_N6thrust23THRUST_200600_302600_NS6detail15normal_iteratorINS9_10device_ptrIsEEEESE_SE_iNS9_4plusIvEENS9_8equal_toIvEEiEE10hipError_tPvRmT2_T3_T4_T5_mT6_T7_P12ihipStream_tbENKUlT_T0_E_clISt17integral_constantIbLb1EESZ_EEDaSU_SV_EUlSU_E_NS1_11comp_targetILNS1_3genE3ELNS1_11target_archE908ELNS1_3gpuE7ELNS1_3repE0EEENS1_30default_config_static_selectorELNS0_4arch9wavefront6targetE0EEEvT1_.numbered_sgpr, 0
	.set _ZN7rocprim17ROCPRIM_400000_NS6detail17trampoline_kernelINS0_14default_configENS1_27scan_by_key_config_selectorIsiEEZZNS1_16scan_by_key_implILNS1_25lookback_scan_determinismE0ELb1ES3_N6thrust23THRUST_200600_302600_NS6detail15normal_iteratorINS9_10device_ptrIsEEEESE_SE_iNS9_4plusIvEENS9_8equal_toIvEEiEE10hipError_tPvRmT2_T3_T4_T5_mT6_T7_P12ihipStream_tbENKUlT_T0_E_clISt17integral_constantIbLb1EESZ_EEDaSU_SV_EUlSU_E_NS1_11comp_targetILNS1_3genE3ELNS1_11target_archE908ELNS1_3gpuE7ELNS1_3repE0EEENS1_30default_config_static_selectorELNS0_4arch9wavefront6targetE0EEEvT1_.num_named_barrier, 0
	.set _ZN7rocprim17ROCPRIM_400000_NS6detail17trampoline_kernelINS0_14default_configENS1_27scan_by_key_config_selectorIsiEEZZNS1_16scan_by_key_implILNS1_25lookback_scan_determinismE0ELb1ES3_N6thrust23THRUST_200600_302600_NS6detail15normal_iteratorINS9_10device_ptrIsEEEESE_SE_iNS9_4plusIvEENS9_8equal_toIvEEiEE10hipError_tPvRmT2_T3_T4_T5_mT6_T7_P12ihipStream_tbENKUlT_T0_E_clISt17integral_constantIbLb1EESZ_EEDaSU_SV_EUlSU_E_NS1_11comp_targetILNS1_3genE3ELNS1_11target_archE908ELNS1_3gpuE7ELNS1_3repE0EEENS1_30default_config_static_selectorELNS0_4arch9wavefront6targetE0EEEvT1_.private_seg_size, 0
	.set _ZN7rocprim17ROCPRIM_400000_NS6detail17trampoline_kernelINS0_14default_configENS1_27scan_by_key_config_selectorIsiEEZZNS1_16scan_by_key_implILNS1_25lookback_scan_determinismE0ELb1ES3_N6thrust23THRUST_200600_302600_NS6detail15normal_iteratorINS9_10device_ptrIsEEEESE_SE_iNS9_4plusIvEENS9_8equal_toIvEEiEE10hipError_tPvRmT2_T3_T4_T5_mT6_T7_P12ihipStream_tbENKUlT_T0_E_clISt17integral_constantIbLb1EESZ_EEDaSU_SV_EUlSU_E_NS1_11comp_targetILNS1_3genE3ELNS1_11target_archE908ELNS1_3gpuE7ELNS1_3repE0EEENS1_30default_config_static_selectorELNS0_4arch9wavefront6targetE0EEEvT1_.uses_vcc, 0
	.set _ZN7rocprim17ROCPRIM_400000_NS6detail17trampoline_kernelINS0_14default_configENS1_27scan_by_key_config_selectorIsiEEZZNS1_16scan_by_key_implILNS1_25lookback_scan_determinismE0ELb1ES3_N6thrust23THRUST_200600_302600_NS6detail15normal_iteratorINS9_10device_ptrIsEEEESE_SE_iNS9_4plusIvEENS9_8equal_toIvEEiEE10hipError_tPvRmT2_T3_T4_T5_mT6_T7_P12ihipStream_tbENKUlT_T0_E_clISt17integral_constantIbLb1EESZ_EEDaSU_SV_EUlSU_E_NS1_11comp_targetILNS1_3genE3ELNS1_11target_archE908ELNS1_3gpuE7ELNS1_3repE0EEENS1_30default_config_static_selectorELNS0_4arch9wavefront6targetE0EEEvT1_.uses_flat_scratch, 0
	.set _ZN7rocprim17ROCPRIM_400000_NS6detail17trampoline_kernelINS0_14default_configENS1_27scan_by_key_config_selectorIsiEEZZNS1_16scan_by_key_implILNS1_25lookback_scan_determinismE0ELb1ES3_N6thrust23THRUST_200600_302600_NS6detail15normal_iteratorINS9_10device_ptrIsEEEESE_SE_iNS9_4plusIvEENS9_8equal_toIvEEiEE10hipError_tPvRmT2_T3_T4_T5_mT6_T7_P12ihipStream_tbENKUlT_T0_E_clISt17integral_constantIbLb1EESZ_EEDaSU_SV_EUlSU_E_NS1_11comp_targetILNS1_3genE3ELNS1_11target_archE908ELNS1_3gpuE7ELNS1_3repE0EEENS1_30default_config_static_selectorELNS0_4arch9wavefront6targetE0EEEvT1_.has_dyn_sized_stack, 0
	.set _ZN7rocprim17ROCPRIM_400000_NS6detail17trampoline_kernelINS0_14default_configENS1_27scan_by_key_config_selectorIsiEEZZNS1_16scan_by_key_implILNS1_25lookback_scan_determinismE0ELb1ES3_N6thrust23THRUST_200600_302600_NS6detail15normal_iteratorINS9_10device_ptrIsEEEESE_SE_iNS9_4plusIvEENS9_8equal_toIvEEiEE10hipError_tPvRmT2_T3_T4_T5_mT6_T7_P12ihipStream_tbENKUlT_T0_E_clISt17integral_constantIbLb1EESZ_EEDaSU_SV_EUlSU_E_NS1_11comp_targetILNS1_3genE3ELNS1_11target_archE908ELNS1_3gpuE7ELNS1_3repE0EEENS1_30default_config_static_selectorELNS0_4arch9wavefront6targetE0EEEvT1_.has_recursion, 0
	.set _ZN7rocprim17ROCPRIM_400000_NS6detail17trampoline_kernelINS0_14default_configENS1_27scan_by_key_config_selectorIsiEEZZNS1_16scan_by_key_implILNS1_25lookback_scan_determinismE0ELb1ES3_N6thrust23THRUST_200600_302600_NS6detail15normal_iteratorINS9_10device_ptrIsEEEESE_SE_iNS9_4plusIvEENS9_8equal_toIvEEiEE10hipError_tPvRmT2_T3_T4_T5_mT6_T7_P12ihipStream_tbENKUlT_T0_E_clISt17integral_constantIbLb1EESZ_EEDaSU_SV_EUlSU_E_NS1_11comp_targetILNS1_3genE3ELNS1_11target_archE908ELNS1_3gpuE7ELNS1_3repE0EEENS1_30default_config_static_selectorELNS0_4arch9wavefront6targetE0EEEvT1_.has_indirect_call, 0
	.section	.AMDGPU.csdata,"",@progbits
; Kernel info:
; codeLenInByte = 0
; TotalNumSgprs: 0
; NumVgprs: 0
; ScratchSize: 0
; MemoryBound: 0
; FloatMode: 240
; IeeeMode: 1
; LDSByteSize: 0 bytes/workgroup (compile time only)
; SGPRBlocks: 0
; VGPRBlocks: 0
; NumSGPRsForWavesPerEU: 1
; NumVGPRsForWavesPerEU: 1
; NamedBarCnt: 0
; Occupancy: 16
; WaveLimiterHint : 0
; COMPUTE_PGM_RSRC2:SCRATCH_EN: 0
; COMPUTE_PGM_RSRC2:USER_SGPR: 2
; COMPUTE_PGM_RSRC2:TRAP_HANDLER: 0
; COMPUTE_PGM_RSRC2:TGID_X_EN: 1
; COMPUTE_PGM_RSRC2:TGID_Y_EN: 0
; COMPUTE_PGM_RSRC2:TGID_Z_EN: 0
; COMPUTE_PGM_RSRC2:TIDIG_COMP_CNT: 0
	.section	.text._ZN7rocprim17ROCPRIM_400000_NS6detail17trampoline_kernelINS0_14default_configENS1_27scan_by_key_config_selectorIsiEEZZNS1_16scan_by_key_implILNS1_25lookback_scan_determinismE0ELb1ES3_N6thrust23THRUST_200600_302600_NS6detail15normal_iteratorINS9_10device_ptrIsEEEESE_SE_iNS9_4plusIvEENS9_8equal_toIvEEiEE10hipError_tPvRmT2_T3_T4_T5_mT6_T7_P12ihipStream_tbENKUlT_T0_E_clISt17integral_constantIbLb1EESZ_EEDaSU_SV_EUlSU_E_NS1_11comp_targetILNS1_3genE2ELNS1_11target_archE906ELNS1_3gpuE6ELNS1_3repE0EEENS1_30default_config_static_selectorELNS0_4arch9wavefront6targetE0EEEvT1_,"axG",@progbits,_ZN7rocprim17ROCPRIM_400000_NS6detail17trampoline_kernelINS0_14default_configENS1_27scan_by_key_config_selectorIsiEEZZNS1_16scan_by_key_implILNS1_25lookback_scan_determinismE0ELb1ES3_N6thrust23THRUST_200600_302600_NS6detail15normal_iteratorINS9_10device_ptrIsEEEESE_SE_iNS9_4plusIvEENS9_8equal_toIvEEiEE10hipError_tPvRmT2_T3_T4_T5_mT6_T7_P12ihipStream_tbENKUlT_T0_E_clISt17integral_constantIbLb1EESZ_EEDaSU_SV_EUlSU_E_NS1_11comp_targetILNS1_3genE2ELNS1_11target_archE906ELNS1_3gpuE6ELNS1_3repE0EEENS1_30default_config_static_selectorELNS0_4arch9wavefront6targetE0EEEvT1_,comdat
	.protected	_ZN7rocprim17ROCPRIM_400000_NS6detail17trampoline_kernelINS0_14default_configENS1_27scan_by_key_config_selectorIsiEEZZNS1_16scan_by_key_implILNS1_25lookback_scan_determinismE0ELb1ES3_N6thrust23THRUST_200600_302600_NS6detail15normal_iteratorINS9_10device_ptrIsEEEESE_SE_iNS9_4plusIvEENS9_8equal_toIvEEiEE10hipError_tPvRmT2_T3_T4_T5_mT6_T7_P12ihipStream_tbENKUlT_T0_E_clISt17integral_constantIbLb1EESZ_EEDaSU_SV_EUlSU_E_NS1_11comp_targetILNS1_3genE2ELNS1_11target_archE906ELNS1_3gpuE6ELNS1_3repE0EEENS1_30default_config_static_selectorELNS0_4arch9wavefront6targetE0EEEvT1_ ; -- Begin function _ZN7rocprim17ROCPRIM_400000_NS6detail17trampoline_kernelINS0_14default_configENS1_27scan_by_key_config_selectorIsiEEZZNS1_16scan_by_key_implILNS1_25lookback_scan_determinismE0ELb1ES3_N6thrust23THRUST_200600_302600_NS6detail15normal_iteratorINS9_10device_ptrIsEEEESE_SE_iNS9_4plusIvEENS9_8equal_toIvEEiEE10hipError_tPvRmT2_T3_T4_T5_mT6_T7_P12ihipStream_tbENKUlT_T0_E_clISt17integral_constantIbLb1EESZ_EEDaSU_SV_EUlSU_E_NS1_11comp_targetILNS1_3genE2ELNS1_11target_archE906ELNS1_3gpuE6ELNS1_3repE0EEENS1_30default_config_static_selectorELNS0_4arch9wavefront6targetE0EEEvT1_
	.globl	_ZN7rocprim17ROCPRIM_400000_NS6detail17trampoline_kernelINS0_14default_configENS1_27scan_by_key_config_selectorIsiEEZZNS1_16scan_by_key_implILNS1_25lookback_scan_determinismE0ELb1ES3_N6thrust23THRUST_200600_302600_NS6detail15normal_iteratorINS9_10device_ptrIsEEEESE_SE_iNS9_4plusIvEENS9_8equal_toIvEEiEE10hipError_tPvRmT2_T3_T4_T5_mT6_T7_P12ihipStream_tbENKUlT_T0_E_clISt17integral_constantIbLb1EESZ_EEDaSU_SV_EUlSU_E_NS1_11comp_targetILNS1_3genE2ELNS1_11target_archE906ELNS1_3gpuE6ELNS1_3repE0EEENS1_30default_config_static_selectorELNS0_4arch9wavefront6targetE0EEEvT1_
	.p2align	8
	.type	_ZN7rocprim17ROCPRIM_400000_NS6detail17trampoline_kernelINS0_14default_configENS1_27scan_by_key_config_selectorIsiEEZZNS1_16scan_by_key_implILNS1_25lookback_scan_determinismE0ELb1ES3_N6thrust23THRUST_200600_302600_NS6detail15normal_iteratorINS9_10device_ptrIsEEEESE_SE_iNS9_4plusIvEENS9_8equal_toIvEEiEE10hipError_tPvRmT2_T3_T4_T5_mT6_T7_P12ihipStream_tbENKUlT_T0_E_clISt17integral_constantIbLb1EESZ_EEDaSU_SV_EUlSU_E_NS1_11comp_targetILNS1_3genE2ELNS1_11target_archE906ELNS1_3gpuE6ELNS1_3repE0EEENS1_30default_config_static_selectorELNS0_4arch9wavefront6targetE0EEEvT1_,@function
_ZN7rocprim17ROCPRIM_400000_NS6detail17trampoline_kernelINS0_14default_configENS1_27scan_by_key_config_selectorIsiEEZZNS1_16scan_by_key_implILNS1_25lookback_scan_determinismE0ELb1ES3_N6thrust23THRUST_200600_302600_NS6detail15normal_iteratorINS9_10device_ptrIsEEEESE_SE_iNS9_4plusIvEENS9_8equal_toIvEEiEE10hipError_tPvRmT2_T3_T4_T5_mT6_T7_P12ihipStream_tbENKUlT_T0_E_clISt17integral_constantIbLb1EESZ_EEDaSU_SV_EUlSU_E_NS1_11comp_targetILNS1_3genE2ELNS1_11target_archE906ELNS1_3gpuE6ELNS1_3repE0EEENS1_30default_config_static_selectorELNS0_4arch9wavefront6targetE0EEEvT1_: ; @_ZN7rocprim17ROCPRIM_400000_NS6detail17trampoline_kernelINS0_14default_configENS1_27scan_by_key_config_selectorIsiEEZZNS1_16scan_by_key_implILNS1_25lookback_scan_determinismE0ELb1ES3_N6thrust23THRUST_200600_302600_NS6detail15normal_iteratorINS9_10device_ptrIsEEEESE_SE_iNS9_4plusIvEENS9_8equal_toIvEEiEE10hipError_tPvRmT2_T3_T4_T5_mT6_T7_P12ihipStream_tbENKUlT_T0_E_clISt17integral_constantIbLb1EESZ_EEDaSU_SV_EUlSU_E_NS1_11comp_targetILNS1_3genE2ELNS1_11target_archE906ELNS1_3gpuE6ELNS1_3repE0EEENS1_30default_config_static_selectorELNS0_4arch9wavefront6targetE0EEEvT1_
; %bb.0:
	.section	.rodata,"a",@progbits
	.p2align	6, 0x0
	.amdhsa_kernel _ZN7rocprim17ROCPRIM_400000_NS6detail17trampoline_kernelINS0_14default_configENS1_27scan_by_key_config_selectorIsiEEZZNS1_16scan_by_key_implILNS1_25lookback_scan_determinismE0ELb1ES3_N6thrust23THRUST_200600_302600_NS6detail15normal_iteratorINS9_10device_ptrIsEEEESE_SE_iNS9_4plusIvEENS9_8equal_toIvEEiEE10hipError_tPvRmT2_T3_T4_T5_mT6_T7_P12ihipStream_tbENKUlT_T0_E_clISt17integral_constantIbLb1EESZ_EEDaSU_SV_EUlSU_E_NS1_11comp_targetILNS1_3genE2ELNS1_11target_archE906ELNS1_3gpuE6ELNS1_3repE0EEENS1_30default_config_static_selectorELNS0_4arch9wavefront6targetE0EEEvT1_
		.amdhsa_group_segment_fixed_size 0
		.amdhsa_private_segment_fixed_size 0
		.amdhsa_kernarg_size 112
		.amdhsa_user_sgpr_count 2
		.amdhsa_user_sgpr_dispatch_ptr 0
		.amdhsa_user_sgpr_queue_ptr 0
		.amdhsa_user_sgpr_kernarg_segment_ptr 1
		.amdhsa_user_sgpr_dispatch_id 0
		.amdhsa_user_sgpr_kernarg_preload_length 0
		.amdhsa_user_sgpr_kernarg_preload_offset 0
		.amdhsa_user_sgpr_private_segment_size 0
		.amdhsa_wavefront_size32 1
		.amdhsa_uses_dynamic_stack 0
		.amdhsa_enable_private_segment 0
		.amdhsa_system_sgpr_workgroup_id_x 1
		.amdhsa_system_sgpr_workgroup_id_y 0
		.amdhsa_system_sgpr_workgroup_id_z 0
		.amdhsa_system_sgpr_workgroup_info 0
		.amdhsa_system_vgpr_workitem_id 0
		.amdhsa_next_free_vgpr 1
		.amdhsa_next_free_sgpr 1
		.amdhsa_named_barrier_count 0
		.amdhsa_reserve_vcc 0
		.amdhsa_float_round_mode_32 0
		.amdhsa_float_round_mode_16_64 0
		.amdhsa_float_denorm_mode_32 3
		.amdhsa_float_denorm_mode_16_64 3
		.amdhsa_fp16_overflow 0
		.amdhsa_memory_ordered 1
		.amdhsa_forward_progress 1
		.amdhsa_inst_pref_size 0
		.amdhsa_round_robin_scheduling 0
		.amdhsa_exception_fp_ieee_invalid_op 0
		.amdhsa_exception_fp_denorm_src 0
		.amdhsa_exception_fp_ieee_div_zero 0
		.amdhsa_exception_fp_ieee_overflow 0
		.amdhsa_exception_fp_ieee_underflow 0
		.amdhsa_exception_fp_ieee_inexact 0
		.amdhsa_exception_int_div_zero 0
	.end_amdhsa_kernel
	.section	.text._ZN7rocprim17ROCPRIM_400000_NS6detail17trampoline_kernelINS0_14default_configENS1_27scan_by_key_config_selectorIsiEEZZNS1_16scan_by_key_implILNS1_25lookback_scan_determinismE0ELb1ES3_N6thrust23THRUST_200600_302600_NS6detail15normal_iteratorINS9_10device_ptrIsEEEESE_SE_iNS9_4plusIvEENS9_8equal_toIvEEiEE10hipError_tPvRmT2_T3_T4_T5_mT6_T7_P12ihipStream_tbENKUlT_T0_E_clISt17integral_constantIbLb1EESZ_EEDaSU_SV_EUlSU_E_NS1_11comp_targetILNS1_3genE2ELNS1_11target_archE906ELNS1_3gpuE6ELNS1_3repE0EEENS1_30default_config_static_selectorELNS0_4arch9wavefront6targetE0EEEvT1_,"axG",@progbits,_ZN7rocprim17ROCPRIM_400000_NS6detail17trampoline_kernelINS0_14default_configENS1_27scan_by_key_config_selectorIsiEEZZNS1_16scan_by_key_implILNS1_25lookback_scan_determinismE0ELb1ES3_N6thrust23THRUST_200600_302600_NS6detail15normal_iteratorINS9_10device_ptrIsEEEESE_SE_iNS9_4plusIvEENS9_8equal_toIvEEiEE10hipError_tPvRmT2_T3_T4_T5_mT6_T7_P12ihipStream_tbENKUlT_T0_E_clISt17integral_constantIbLb1EESZ_EEDaSU_SV_EUlSU_E_NS1_11comp_targetILNS1_3genE2ELNS1_11target_archE906ELNS1_3gpuE6ELNS1_3repE0EEENS1_30default_config_static_selectorELNS0_4arch9wavefront6targetE0EEEvT1_,comdat
.Lfunc_end1057:
	.size	_ZN7rocprim17ROCPRIM_400000_NS6detail17trampoline_kernelINS0_14default_configENS1_27scan_by_key_config_selectorIsiEEZZNS1_16scan_by_key_implILNS1_25lookback_scan_determinismE0ELb1ES3_N6thrust23THRUST_200600_302600_NS6detail15normal_iteratorINS9_10device_ptrIsEEEESE_SE_iNS9_4plusIvEENS9_8equal_toIvEEiEE10hipError_tPvRmT2_T3_T4_T5_mT6_T7_P12ihipStream_tbENKUlT_T0_E_clISt17integral_constantIbLb1EESZ_EEDaSU_SV_EUlSU_E_NS1_11comp_targetILNS1_3genE2ELNS1_11target_archE906ELNS1_3gpuE6ELNS1_3repE0EEENS1_30default_config_static_selectorELNS0_4arch9wavefront6targetE0EEEvT1_, .Lfunc_end1057-_ZN7rocprim17ROCPRIM_400000_NS6detail17trampoline_kernelINS0_14default_configENS1_27scan_by_key_config_selectorIsiEEZZNS1_16scan_by_key_implILNS1_25lookback_scan_determinismE0ELb1ES3_N6thrust23THRUST_200600_302600_NS6detail15normal_iteratorINS9_10device_ptrIsEEEESE_SE_iNS9_4plusIvEENS9_8equal_toIvEEiEE10hipError_tPvRmT2_T3_T4_T5_mT6_T7_P12ihipStream_tbENKUlT_T0_E_clISt17integral_constantIbLb1EESZ_EEDaSU_SV_EUlSU_E_NS1_11comp_targetILNS1_3genE2ELNS1_11target_archE906ELNS1_3gpuE6ELNS1_3repE0EEENS1_30default_config_static_selectorELNS0_4arch9wavefront6targetE0EEEvT1_
                                        ; -- End function
	.set _ZN7rocprim17ROCPRIM_400000_NS6detail17trampoline_kernelINS0_14default_configENS1_27scan_by_key_config_selectorIsiEEZZNS1_16scan_by_key_implILNS1_25lookback_scan_determinismE0ELb1ES3_N6thrust23THRUST_200600_302600_NS6detail15normal_iteratorINS9_10device_ptrIsEEEESE_SE_iNS9_4plusIvEENS9_8equal_toIvEEiEE10hipError_tPvRmT2_T3_T4_T5_mT6_T7_P12ihipStream_tbENKUlT_T0_E_clISt17integral_constantIbLb1EESZ_EEDaSU_SV_EUlSU_E_NS1_11comp_targetILNS1_3genE2ELNS1_11target_archE906ELNS1_3gpuE6ELNS1_3repE0EEENS1_30default_config_static_selectorELNS0_4arch9wavefront6targetE0EEEvT1_.num_vgpr, 0
	.set _ZN7rocprim17ROCPRIM_400000_NS6detail17trampoline_kernelINS0_14default_configENS1_27scan_by_key_config_selectorIsiEEZZNS1_16scan_by_key_implILNS1_25lookback_scan_determinismE0ELb1ES3_N6thrust23THRUST_200600_302600_NS6detail15normal_iteratorINS9_10device_ptrIsEEEESE_SE_iNS9_4plusIvEENS9_8equal_toIvEEiEE10hipError_tPvRmT2_T3_T4_T5_mT6_T7_P12ihipStream_tbENKUlT_T0_E_clISt17integral_constantIbLb1EESZ_EEDaSU_SV_EUlSU_E_NS1_11comp_targetILNS1_3genE2ELNS1_11target_archE906ELNS1_3gpuE6ELNS1_3repE0EEENS1_30default_config_static_selectorELNS0_4arch9wavefront6targetE0EEEvT1_.num_agpr, 0
	.set _ZN7rocprim17ROCPRIM_400000_NS6detail17trampoline_kernelINS0_14default_configENS1_27scan_by_key_config_selectorIsiEEZZNS1_16scan_by_key_implILNS1_25lookback_scan_determinismE0ELb1ES3_N6thrust23THRUST_200600_302600_NS6detail15normal_iteratorINS9_10device_ptrIsEEEESE_SE_iNS9_4plusIvEENS9_8equal_toIvEEiEE10hipError_tPvRmT2_T3_T4_T5_mT6_T7_P12ihipStream_tbENKUlT_T0_E_clISt17integral_constantIbLb1EESZ_EEDaSU_SV_EUlSU_E_NS1_11comp_targetILNS1_3genE2ELNS1_11target_archE906ELNS1_3gpuE6ELNS1_3repE0EEENS1_30default_config_static_selectorELNS0_4arch9wavefront6targetE0EEEvT1_.numbered_sgpr, 0
	.set _ZN7rocprim17ROCPRIM_400000_NS6detail17trampoline_kernelINS0_14default_configENS1_27scan_by_key_config_selectorIsiEEZZNS1_16scan_by_key_implILNS1_25lookback_scan_determinismE0ELb1ES3_N6thrust23THRUST_200600_302600_NS6detail15normal_iteratorINS9_10device_ptrIsEEEESE_SE_iNS9_4plusIvEENS9_8equal_toIvEEiEE10hipError_tPvRmT2_T3_T4_T5_mT6_T7_P12ihipStream_tbENKUlT_T0_E_clISt17integral_constantIbLb1EESZ_EEDaSU_SV_EUlSU_E_NS1_11comp_targetILNS1_3genE2ELNS1_11target_archE906ELNS1_3gpuE6ELNS1_3repE0EEENS1_30default_config_static_selectorELNS0_4arch9wavefront6targetE0EEEvT1_.num_named_barrier, 0
	.set _ZN7rocprim17ROCPRIM_400000_NS6detail17trampoline_kernelINS0_14default_configENS1_27scan_by_key_config_selectorIsiEEZZNS1_16scan_by_key_implILNS1_25lookback_scan_determinismE0ELb1ES3_N6thrust23THRUST_200600_302600_NS6detail15normal_iteratorINS9_10device_ptrIsEEEESE_SE_iNS9_4plusIvEENS9_8equal_toIvEEiEE10hipError_tPvRmT2_T3_T4_T5_mT6_T7_P12ihipStream_tbENKUlT_T0_E_clISt17integral_constantIbLb1EESZ_EEDaSU_SV_EUlSU_E_NS1_11comp_targetILNS1_3genE2ELNS1_11target_archE906ELNS1_3gpuE6ELNS1_3repE0EEENS1_30default_config_static_selectorELNS0_4arch9wavefront6targetE0EEEvT1_.private_seg_size, 0
	.set _ZN7rocprim17ROCPRIM_400000_NS6detail17trampoline_kernelINS0_14default_configENS1_27scan_by_key_config_selectorIsiEEZZNS1_16scan_by_key_implILNS1_25lookback_scan_determinismE0ELb1ES3_N6thrust23THRUST_200600_302600_NS6detail15normal_iteratorINS9_10device_ptrIsEEEESE_SE_iNS9_4plusIvEENS9_8equal_toIvEEiEE10hipError_tPvRmT2_T3_T4_T5_mT6_T7_P12ihipStream_tbENKUlT_T0_E_clISt17integral_constantIbLb1EESZ_EEDaSU_SV_EUlSU_E_NS1_11comp_targetILNS1_3genE2ELNS1_11target_archE906ELNS1_3gpuE6ELNS1_3repE0EEENS1_30default_config_static_selectorELNS0_4arch9wavefront6targetE0EEEvT1_.uses_vcc, 0
	.set _ZN7rocprim17ROCPRIM_400000_NS6detail17trampoline_kernelINS0_14default_configENS1_27scan_by_key_config_selectorIsiEEZZNS1_16scan_by_key_implILNS1_25lookback_scan_determinismE0ELb1ES3_N6thrust23THRUST_200600_302600_NS6detail15normal_iteratorINS9_10device_ptrIsEEEESE_SE_iNS9_4plusIvEENS9_8equal_toIvEEiEE10hipError_tPvRmT2_T3_T4_T5_mT6_T7_P12ihipStream_tbENKUlT_T0_E_clISt17integral_constantIbLb1EESZ_EEDaSU_SV_EUlSU_E_NS1_11comp_targetILNS1_3genE2ELNS1_11target_archE906ELNS1_3gpuE6ELNS1_3repE0EEENS1_30default_config_static_selectorELNS0_4arch9wavefront6targetE0EEEvT1_.uses_flat_scratch, 0
	.set _ZN7rocprim17ROCPRIM_400000_NS6detail17trampoline_kernelINS0_14default_configENS1_27scan_by_key_config_selectorIsiEEZZNS1_16scan_by_key_implILNS1_25lookback_scan_determinismE0ELb1ES3_N6thrust23THRUST_200600_302600_NS6detail15normal_iteratorINS9_10device_ptrIsEEEESE_SE_iNS9_4plusIvEENS9_8equal_toIvEEiEE10hipError_tPvRmT2_T3_T4_T5_mT6_T7_P12ihipStream_tbENKUlT_T0_E_clISt17integral_constantIbLb1EESZ_EEDaSU_SV_EUlSU_E_NS1_11comp_targetILNS1_3genE2ELNS1_11target_archE906ELNS1_3gpuE6ELNS1_3repE0EEENS1_30default_config_static_selectorELNS0_4arch9wavefront6targetE0EEEvT1_.has_dyn_sized_stack, 0
	.set _ZN7rocprim17ROCPRIM_400000_NS6detail17trampoline_kernelINS0_14default_configENS1_27scan_by_key_config_selectorIsiEEZZNS1_16scan_by_key_implILNS1_25lookback_scan_determinismE0ELb1ES3_N6thrust23THRUST_200600_302600_NS6detail15normal_iteratorINS9_10device_ptrIsEEEESE_SE_iNS9_4plusIvEENS9_8equal_toIvEEiEE10hipError_tPvRmT2_T3_T4_T5_mT6_T7_P12ihipStream_tbENKUlT_T0_E_clISt17integral_constantIbLb1EESZ_EEDaSU_SV_EUlSU_E_NS1_11comp_targetILNS1_3genE2ELNS1_11target_archE906ELNS1_3gpuE6ELNS1_3repE0EEENS1_30default_config_static_selectorELNS0_4arch9wavefront6targetE0EEEvT1_.has_recursion, 0
	.set _ZN7rocprim17ROCPRIM_400000_NS6detail17trampoline_kernelINS0_14default_configENS1_27scan_by_key_config_selectorIsiEEZZNS1_16scan_by_key_implILNS1_25lookback_scan_determinismE0ELb1ES3_N6thrust23THRUST_200600_302600_NS6detail15normal_iteratorINS9_10device_ptrIsEEEESE_SE_iNS9_4plusIvEENS9_8equal_toIvEEiEE10hipError_tPvRmT2_T3_T4_T5_mT6_T7_P12ihipStream_tbENKUlT_T0_E_clISt17integral_constantIbLb1EESZ_EEDaSU_SV_EUlSU_E_NS1_11comp_targetILNS1_3genE2ELNS1_11target_archE906ELNS1_3gpuE6ELNS1_3repE0EEENS1_30default_config_static_selectorELNS0_4arch9wavefront6targetE0EEEvT1_.has_indirect_call, 0
	.section	.AMDGPU.csdata,"",@progbits
; Kernel info:
; codeLenInByte = 0
; TotalNumSgprs: 0
; NumVgprs: 0
; ScratchSize: 0
; MemoryBound: 0
; FloatMode: 240
; IeeeMode: 1
; LDSByteSize: 0 bytes/workgroup (compile time only)
; SGPRBlocks: 0
; VGPRBlocks: 0
; NumSGPRsForWavesPerEU: 1
; NumVGPRsForWavesPerEU: 1
; NamedBarCnt: 0
; Occupancy: 16
; WaveLimiterHint : 0
; COMPUTE_PGM_RSRC2:SCRATCH_EN: 0
; COMPUTE_PGM_RSRC2:USER_SGPR: 2
; COMPUTE_PGM_RSRC2:TRAP_HANDLER: 0
; COMPUTE_PGM_RSRC2:TGID_X_EN: 1
; COMPUTE_PGM_RSRC2:TGID_Y_EN: 0
; COMPUTE_PGM_RSRC2:TGID_Z_EN: 0
; COMPUTE_PGM_RSRC2:TIDIG_COMP_CNT: 0
	.section	.text._ZN7rocprim17ROCPRIM_400000_NS6detail17trampoline_kernelINS0_14default_configENS1_27scan_by_key_config_selectorIsiEEZZNS1_16scan_by_key_implILNS1_25lookback_scan_determinismE0ELb1ES3_N6thrust23THRUST_200600_302600_NS6detail15normal_iteratorINS9_10device_ptrIsEEEESE_SE_iNS9_4plusIvEENS9_8equal_toIvEEiEE10hipError_tPvRmT2_T3_T4_T5_mT6_T7_P12ihipStream_tbENKUlT_T0_E_clISt17integral_constantIbLb1EESZ_EEDaSU_SV_EUlSU_E_NS1_11comp_targetILNS1_3genE10ELNS1_11target_archE1200ELNS1_3gpuE4ELNS1_3repE0EEENS1_30default_config_static_selectorELNS0_4arch9wavefront6targetE0EEEvT1_,"axG",@progbits,_ZN7rocprim17ROCPRIM_400000_NS6detail17trampoline_kernelINS0_14default_configENS1_27scan_by_key_config_selectorIsiEEZZNS1_16scan_by_key_implILNS1_25lookback_scan_determinismE0ELb1ES3_N6thrust23THRUST_200600_302600_NS6detail15normal_iteratorINS9_10device_ptrIsEEEESE_SE_iNS9_4plusIvEENS9_8equal_toIvEEiEE10hipError_tPvRmT2_T3_T4_T5_mT6_T7_P12ihipStream_tbENKUlT_T0_E_clISt17integral_constantIbLb1EESZ_EEDaSU_SV_EUlSU_E_NS1_11comp_targetILNS1_3genE10ELNS1_11target_archE1200ELNS1_3gpuE4ELNS1_3repE0EEENS1_30default_config_static_selectorELNS0_4arch9wavefront6targetE0EEEvT1_,comdat
	.protected	_ZN7rocprim17ROCPRIM_400000_NS6detail17trampoline_kernelINS0_14default_configENS1_27scan_by_key_config_selectorIsiEEZZNS1_16scan_by_key_implILNS1_25lookback_scan_determinismE0ELb1ES3_N6thrust23THRUST_200600_302600_NS6detail15normal_iteratorINS9_10device_ptrIsEEEESE_SE_iNS9_4plusIvEENS9_8equal_toIvEEiEE10hipError_tPvRmT2_T3_T4_T5_mT6_T7_P12ihipStream_tbENKUlT_T0_E_clISt17integral_constantIbLb1EESZ_EEDaSU_SV_EUlSU_E_NS1_11comp_targetILNS1_3genE10ELNS1_11target_archE1200ELNS1_3gpuE4ELNS1_3repE0EEENS1_30default_config_static_selectorELNS0_4arch9wavefront6targetE0EEEvT1_ ; -- Begin function _ZN7rocprim17ROCPRIM_400000_NS6detail17trampoline_kernelINS0_14default_configENS1_27scan_by_key_config_selectorIsiEEZZNS1_16scan_by_key_implILNS1_25lookback_scan_determinismE0ELb1ES3_N6thrust23THRUST_200600_302600_NS6detail15normal_iteratorINS9_10device_ptrIsEEEESE_SE_iNS9_4plusIvEENS9_8equal_toIvEEiEE10hipError_tPvRmT2_T3_T4_T5_mT6_T7_P12ihipStream_tbENKUlT_T0_E_clISt17integral_constantIbLb1EESZ_EEDaSU_SV_EUlSU_E_NS1_11comp_targetILNS1_3genE10ELNS1_11target_archE1200ELNS1_3gpuE4ELNS1_3repE0EEENS1_30default_config_static_selectorELNS0_4arch9wavefront6targetE0EEEvT1_
	.globl	_ZN7rocprim17ROCPRIM_400000_NS6detail17trampoline_kernelINS0_14default_configENS1_27scan_by_key_config_selectorIsiEEZZNS1_16scan_by_key_implILNS1_25lookback_scan_determinismE0ELb1ES3_N6thrust23THRUST_200600_302600_NS6detail15normal_iteratorINS9_10device_ptrIsEEEESE_SE_iNS9_4plusIvEENS9_8equal_toIvEEiEE10hipError_tPvRmT2_T3_T4_T5_mT6_T7_P12ihipStream_tbENKUlT_T0_E_clISt17integral_constantIbLb1EESZ_EEDaSU_SV_EUlSU_E_NS1_11comp_targetILNS1_3genE10ELNS1_11target_archE1200ELNS1_3gpuE4ELNS1_3repE0EEENS1_30default_config_static_selectorELNS0_4arch9wavefront6targetE0EEEvT1_
	.p2align	8
	.type	_ZN7rocprim17ROCPRIM_400000_NS6detail17trampoline_kernelINS0_14default_configENS1_27scan_by_key_config_selectorIsiEEZZNS1_16scan_by_key_implILNS1_25lookback_scan_determinismE0ELb1ES3_N6thrust23THRUST_200600_302600_NS6detail15normal_iteratorINS9_10device_ptrIsEEEESE_SE_iNS9_4plusIvEENS9_8equal_toIvEEiEE10hipError_tPvRmT2_T3_T4_T5_mT6_T7_P12ihipStream_tbENKUlT_T0_E_clISt17integral_constantIbLb1EESZ_EEDaSU_SV_EUlSU_E_NS1_11comp_targetILNS1_3genE10ELNS1_11target_archE1200ELNS1_3gpuE4ELNS1_3repE0EEENS1_30default_config_static_selectorELNS0_4arch9wavefront6targetE0EEEvT1_,@function
_ZN7rocprim17ROCPRIM_400000_NS6detail17trampoline_kernelINS0_14default_configENS1_27scan_by_key_config_selectorIsiEEZZNS1_16scan_by_key_implILNS1_25lookback_scan_determinismE0ELb1ES3_N6thrust23THRUST_200600_302600_NS6detail15normal_iteratorINS9_10device_ptrIsEEEESE_SE_iNS9_4plusIvEENS9_8equal_toIvEEiEE10hipError_tPvRmT2_T3_T4_T5_mT6_T7_P12ihipStream_tbENKUlT_T0_E_clISt17integral_constantIbLb1EESZ_EEDaSU_SV_EUlSU_E_NS1_11comp_targetILNS1_3genE10ELNS1_11target_archE1200ELNS1_3gpuE4ELNS1_3repE0EEENS1_30default_config_static_selectorELNS0_4arch9wavefront6targetE0EEEvT1_: ; @_ZN7rocprim17ROCPRIM_400000_NS6detail17trampoline_kernelINS0_14default_configENS1_27scan_by_key_config_selectorIsiEEZZNS1_16scan_by_key_implILNS1_25lookback_scan_determinismE0ELb1ES3_N6thrust23THRUST_200600_302600_NS6detail15normal_iteratorINS9_10device_ptrIsEEEESE_SE_iNS9_4plusIvEENS9_8equal_toIvEEiEE10hipError_tPvRmT2_T3_T4_T5_mT6_T7_P12ihipStream_tbENKUlT_T0_E_clISt17integral_constantIbLb1EESZ_EEDaSU_SV_EUlSU_E_NS1_11comp_targetILNS1_3genE10ELNS1_11target_archE1200ELNS1_3gpuE4ELNS1_3repE0EEENS1_30default_config_static_selectorELNS0_4arch9wavefront6targetE0EEEvT1_
; %bb.0:
	.section	.rodata,"a",@progbits
	.p2align	6, 0x0
	.amdhsa_kernel _ZN7rocprim17ROCPRIM_400000_NS6detail17trampoline_kernelINS0_14default_configENS1_27scan_by_key_config_selectorIsiEEZZNS1_16scan_by_key_implILNS1_25lookback_scan_determinismE0ELb1ES3_N6thrust23THRUST_200600_302600_NS6detail15normal_iteratorINS9_10device_ptrIsEEEESE_SE_iNS9_4plusIvEENS9_8equal_toIvEEiEE10hipError_tPvRmT2_T3_T4_T5_mT6_T7_P12ihipStream_tbENKUlT_T0_E_clISt17integral_constantIbLb1EESZ_EEDaSU_SV_EUlSU_E_NS1_11comp_targetILNS1_3genE10ELNS1_11target_archE1200ELNS1_3gpuE4ELNS1_3repE0EEENS1_30default_config_static_selectorELNS0_4arch9wavefront6targetE0EEEvT1_
		.amdhsa_group_segment_fixed_size 0
		.amdhsa_private_segment_fixed_size 0
		.amdhsa_kernarg_size 112
		.amdhsa_user_sgpr_count 2
		.amdhsa_user_sgpr_dispatch_ptr 0
		.amdhsa_user_sgpr_queue_ptr 0
		.amdhsa_user_sgpr_kernarg_segment_ptr 1
		.amdhsa_user_sgpr_dispatch_id 0
		.amdhsa_user_sgpr_kernarg_preload_length 0
		.amdhsa_user_sgpr_kernarg_preload_offset 0
		.amdhsa_user_sgpr_private_segment_size 0
		.amdhsa_wavefront_size32 1
		.amdhsa_uses_dynamic_stack 0
		.amdhsa_enable_private_segment 0
		.amdhsa_system_sgpr_workgroup_id_x 1
		.amdhsa_system_sgpr_workgroup_id_y 0
		.amdhsa_system_sgpr_workgroup_id_z 0
		.amdhsa_system_sgpr_workgroup_info 0
		.amdhsa_system_vgpr_workitem_id 0
		.amdhsa_next_free_vgpr 1
		.amdhsa_next_free_sgpr 1
		.amdhsa_named_barrier_count 0
		.amdhsa_reserve_vcc 0
		.amdhsa_float_round_mode_32 0
		.amdhsa_float_round_mode_16_64 0
		.amdhsa_float_denorm_mode_32 3
		.amdhsa_float_denorm_mode_16_64 3
		.amdhsa_fp16_overflow 0
		.amdhsa_memory_ordered 1
		.amdhsa_forward_progress 1
		.amdhsa_inst_pref_size 0
		.amdhsa_round_robin_scheduling 0
		.amdhsa_exception_fp_ieee_invalid_op 0
		.amdhsa_exception_fp_denorm_src 0
		.amdhsa_exception_fp_ieee_div_zero 0
		.amdhsa_exception_fp_ieee_overflow 0
		.amdhsa_exception_fp_ieee_underflow 0
		.amdhsa_exception_fp_ieee_inexact 0
		.amdhsa_exception_int_div_zero 0
	.end_amdhsa_kernel
	.section	.text._ZN7rocprim17ROCPRIM_400000_NS6detail17trampoline_kernelINS0_14default_configENS1_27scan_by_key_config_selectorIsiEEZZNS1_16scan_by_key_implILNS1_25lookback_scan_determinismE0ELb1ES3_N6thrust23THRUST_200600_302600_NS6detail15normal_iteratorINS9_10device_ptrIsEEEESE_SE_iNS9_4plusIvEENS9_8equal_toIvEEiEE10hipError_tPvRmT2_T3_T4_T5_mT6_T7_P12ihipStream_tbENKUlT_T0_E_clISt17integral_constantIbLb1EESZ_EEDaSU_SV_EUlSU_E_NS1_11comp_targetILNS1_3genE10ELNS1_11target_archE1200ELNS1_3gpuE4ELNS1_3repE0EEENS1_30default_config_static_selectorELNS0_4arch9wavefront6targetE0EEEvT1_,"axG",@progbits,_ZN7rocprim17ROCPRIM_400000_NS6detail17trampoline_kernelINS0_14default_configENS1_27scan_by_key_config_selectorIsiEEZZNS1_16scan_by_key_implILNS1_25lookback_scan_determinismE0ELb1ES3_N6thrust23THRUST_200600_302600_NS6detail15normal_iteratorINS9_10device_ptrIsEEEESE_SE_iNS9_4plusIvEENS9_8equal_toIvEEiEE10hipError_tPvRmT2_T3_T4_T5_mT6_T7_P12ihipStream_tbENKUlT_T0_E_clISt17integral_constantIbLb1EESZ_EEDaSU_SV_EUlSU_E_NS1_11comp_targetILNS1_3genE10ELNS1_11target_archE1200ELNS1_3gpuE4ELNS1_3repE0EEENS1_30default_config_static_selectorELNS0_4arch9wavefront6targetE0EEEvT1_,comdat
.Lfunc_end1058:
	.size	_ZN7rocprim17ROCPRIM_400000_NS6detail17trampoline_kernelINS0_14default_configENS1_27scan_by_key_config_selectorIsiEEZZNS1_16scan_by_key_implILNS1_25lookback_scan_determinismE0ELb1ES3_N6thrust23THRUST_200600_302600_NS6detail15normal_iteratorINS9_10device_ptrIsEEEESE_SE_iNS9_4plusIvEENS9_8equal_toIvEEiEE10hipError_tPvRmT2_T3_T4_T5_mT6_T7_P12ihipStream_tbENKUlT_T0_E_clISt17integral_constantIbLb1EESZ_EEDaSU_SV_EUlSU_E_NS1_11comp_targetILNS1_3genE10ELNS1_11target_archE1200ELNS1_3gpuE4ELNS1_3repE0EEENS1_30default_config_static_selectorELNS0_4arch9wavefront6targetE0EEEvT1_, .Lfunc_end1058-_ZN7rocprim17ROCPRIM_400000_NS6detail17trampoline_kernelINS0_14default_configENS1_27scan_by_key_config_selectorIsiEEZZNS1_16scan_by_key_implILNS1_25lookback_scan_determinismE0ELb1ES3_N6thrust23THRUST_200600_302600_NS6detail15normal_iteratorINS9_10device_ptrIsEEEESE_SE_iNS9_4plusIvEENS9_8equal_toIvEEiEE10hipError_tPvRmT2_T3_T4_T5_mT6_T7_P12ihipStream_tbENKUlT_T0_E_clISt17integral_constantIbLb1EESZ_EEDaSU_SV_EUlSU_E_NS1_11comp_targetILNS1_3genE10ELNS1_11target_archE1200ELNS1_3gpuE4ELNS1_3repE0EEENS1_30default_config_static_selectorELNS0_4arch9wavefront6targetE0EEEvT1_
                                        ; -- End function
	.set _ZN7rocprim17ROCPRIM_400000_NS6detail17trampoline_kernelINS0_14default_configENS1_27scan_by_key_config_selectorIsiEEZZNS1_16scan_by_key_implILNS1_25lookback_scan_determinismE0ELb1ES3_N6thrust23THRUST_200600_302600_NS6detail15normal_iteratorINS9_10device_ptrIsEEEESE_SE_iNS9_4plusIvEENS9_8equal_toIvEEiEE10hipError_tPvRmT2_T3_T4_T5_mT6_T7_P12ihipStream_tbENKUlT_T0_E_clISt17integral_constantIbLb1EESZ_EEDaSU_SV_EUlSU_E_NS1_11comp_targetILNS1_3genE10ELNS1_11target_archE1200ELNS1_3gpuE4ELNS1_3repE0EEENS1_30default_config_static_selectorELNS0_4arch9wavefront6targetE0EEEvT1_.num_vgpr, 0
	.set _ZN7rocprim17ROCPRIM_400000_NS6detail17trampoline_kernelINS0_14default_configENS1_27scan_by_key_config_selectorIsiEEZZNS1_16scan_by_key_implILNS1_25lookback_scan_determinismE0ELb1ES3_N6thrust23THRUST_200600_302600_NS6detail15normal_iteratorINS9_10device_ptrIsEEEESE_SE_iNS9_4plusIvEENS9_8equal_toIvEEiEE10hipError_tPvRmT2_T3_T4_T5_mT6_T7_P12ihipStream_tbENKUlT_T0_E_clISt17integral_constantIbLb1EESZ_EEDaSU_SV_EUlSU_E_NS1_11comp_targetILNS1_3genE10ELNS1_11target_archE1200ELNS1_3gpuE4ELNS1_3repE0EEENS1_30default_config_static_selectorELNS0_4arch9wavefront6targetE0EEEvT1_.num_agpr, 0
	.set _ZN7rocprim17ROCPRIM_400000_NS6detail17trampoline_kernelINS0_14default_configENS1_27scan_by_key_config_selectorIsiEEZZNS1_16scan_by_key_implILNS1_25lookback_scan_determinismE0ELb1ES3_N6thrust23THRUST_200600_302600_NS6detail15normal_iteratorINS9_10device_ptrIsEEEESE_SE_iNS9_4plusIvEENS9_8equal_toIvEEiEE10hipError_tPvRmT2_T3_T4_T5_mT6_T7_P12ihipStream_tbENKUlT_T0_E_clISt17integral_constantIbLb1EESZ_EEDaSU_SV_EUlSU_E_NS1_11comp_targetILNS1_3genE10ELNS1_11target_archE1200ELNS1_3gpuE4ELNS1_3repE0EEENS1_30default_config_static_selectorELNS0_4arch9wavefront6targetE0EEEvT1_.numbered_sgpr, 0
	.set _ZN7rocprim17ROCPRIM_400000_NS6detail17trampoline_kernelINS0_14default_configENS1_27scan_by_key_config_selectorIsiEEZZNS1_16scan_by_key_implILNS1_25lookback_scan_determinismE0ELb1ES3_N6thrust23THRUST_200600_302600_NS6detail15normal_iteratorINS9_10device_ptrIsEEEESE_SE_iNS9_4plusIvEENS9_8equal_toIvEEiEE10hipError_tPvRmT2_T3_T4_T5_mT6_T7_P12ihipStream_tbENKUlT_T0_E_clISt17integral_constantIbLb1EESZ_EEDaSU_SV_EUlSU_E_NS1_11comp_targetILNS1_3genE10ELNS1_11target_archE1200ELNS1_3gpuE4ELNS1_3repE0EEENS1_30default_config_static_selectorELNS0_4arch9wavefront6targetE0EEEvT1_.num_named_barrier, 0
	.set _ZN7rocprim17ROCPRIM_400000_NS6detail17trampoline_kernelINS0_14default_configENS1_27scan_by_key_config_selectorIsiEEZZNS1_16scan_by_key_implILNS1_25lookback_scan_determinismE0ELb1ES3_N6thrust23THRUST_200600_302600_NS6detail15normal_iteratorINS9_10device_ptrIsEEEESE_SE_iNS9_4plusIvEENS9_8equal_toIvEEiEE10hipError_tPvRmT2_T3_T4_T5_mT6_T7_P12ihipStream_tbENKUlT_T0_E_clISt17integral_constantIbLb1EESZ_EEDaSU_SV_EUlSU_E_NS1_11comp_targetILNS1_3genE10ELNS1_11target_archE1200ELNS1_3gpuE4ELNS1_3repE0EEENS1_30default_config_static_selectorELNS0_4arch9wavefront6targetE0EEEvT1_.private_seg_size, 0
	.set _ZN7rocprim17ROCPRIM_400000_NS6detail17trampoline_kernelINS0_14default_configENS1_27scan_by_key_config_selectorIsiEEZZNS1_16scan_by_key_implILNS1_25lookback_scan_determinismE0ELb1ES3_N6thrust23THRUST_200600_302600_NS6detail15normal_iteratorINS9_10device_ptrIsEEEESE_SE_iNS9_4plusIvEENS9_8equal_toIvEEiEE10hipError_tPvRmT2_T3_T4_T5_mT6_T7_P12ihipStream_tbENKUlT_T0_E_clISt17integral_constantIbLb1EESZ_EEDaSU_SV_EUlSU_E_NS1_11comp_targetILNS1_3genE10ELNS1_11target_archE1200ELNS1_3gpuE4ELNS1_3repE0EEENS1_30default_config_static_selectorELNS0_4arch9wavefront6targetE0EEEvT1_.uses_vcc, 0
	.set _ZN7rocprim17ROCPRIM_400000_NS6detail17trampoline_kernelINS0_14default_configENS1_27scan_by_key_config_selectorIsiEEZZNS1_16scan_by_key_implILNS1_25lookback_scan_determinismE0ELb1ES3_N6thrust23THRUST_200600_302600_NS6detail15normal_iteratorINS9_10device_ptrIsEEEESE_SE_iNS9_4plusIvEENS9_8equal_toIvEEiEE10hipError_tPvRmT2_T3_T4_T5_mT6_T7_P12ihipStream_tbENKUlT_T0_E_clISt17integral_constantIbLb1EESZ_EEDaSU_SV_EUlSU_E_NS1_11comp_targetILNS1_3genE10ELNS1_11target_archE1200ELNS1_3gpuE4ELNS1_3repE0EEENS1_30default_config_static_selectorELNS0_4arch9wavefront6targetE0EEEvT1_.uses_flat_scratch, 0
	.set _ZN7rocprim17ROCPRIM_400000_NS6detail17trampoline_kernelINS0_14default_configENS1_27scan_by_key_config_selectorIsiEEZZNS1_16scan_by_key_implILNS1_25lookback_scan_determinismE0ELb1ES3_N6thrust23THRUST_200600_302600_NS6detail15normal_iteratorINS9_10device_ptrIsEEEESE_SE_iNS9_4plusIvEENS9_8equal_toIvEEiEE10hipError_tPvRmT2_T3_T4_T5_mT6_T7_P12ihipStream_tbENKUlT_T0_E_clISt17integral_constantIbLb1EESZ_EEDaSU_SV_EUlSU_E_NS1_11comp_targetILNS1_3genE10ELNS1_11target_archE1200ELNS1_3gpuE4ELNS1_3repE0EEENS1_30default_config_static_selectorELNS0_4arch9wavefront6targetE0EEEvT1_.has_dyn_sized_stack, 0
	.set _ZN7rocprim17ROCPRIM_400000_NS6detail17trampoline_kernelINS0_14default_configENS1_27scan_by_key_config_selectorIsiEEZZNS1_16scan_by_key_implILNS1_25lookback_scan_determinismE0ELb1ES3_N6thrust23THRUST_200600_302600_NS6detail15normal_iteratorINS9_10device_ptrIsEEEESE_SE_iNS9_4plusIvEENS9_8equal_toIvEEiEE10hipError_tPvRmT2_T3_T4_T5_mT6_T7_P12ihipStream_tbENKUlT_T0_E_clISt17integral_constantIbLb1EESZ_EEDaSU_SV_EUlSU_E_NS1_11comp_targetILNS1_3genE10ELNS1_11target_archE1200ELNS1_3gpuE4ELNS1_3repE0EEENS1_30default_config_static_selectorELNS0_4arch9wavefront6targetE0EEEvT1_.has_recursion, 0
	.set _ZN7rocprim17ROCPRIM_400000_NS6detail17trampoline_kernelINS0_14default_configENS1_27scan_by_key_config_selectorIsiEEZZNS1_16scan_by_key_implILNS1_25lookback_scan_determinismE0ELb1ES3_N6thrust23THRUST_200600_302600_NS6detail15normal_iteratorINS9_10device_ptrIsEEEESE_SE_iNS9_4plusIvEENS9_8equal_toIvEEiEE10hipError_tPvRmT2_T3_T4_T5_mT6_T7_P12ihipStream_tbENKUlT_T0_E_clISt17integral_constantIbLb1EESZ_EEDaSU_SV_EUlSU_E_NS1_11comp_targetILNS1_3genE10ELNS1_11target_archE1200ELNS1_3gpuE4ELNS1_3repE0EEENS1_30default_config_static_selectorELNS0_4arch9wavefront6targetE0EEEvT1_.has_indirect_call, 0
	.section	.AMDGPU.csdata,"",@progbits
; Kernel info:
; codeLenInByte = 0
; TotalNumSgprs: 0
; NumVgprs: 0
; ScratchSize: 0
; MemoryBound: 0
; FloatMode: 240
; IeeeMode: 1
; LDSByteSize: 0 bytes/workgroup (compile time only)
; SGPRBlocks: 0
; VGPRBlocks: 0
; NumSGPRsForWavesPerEU: 1
; NumVGPRsForWavesPerEU: 1
; NamedBarCnt: 0
; Occupancy: 16
; WaveLimiterHint : 0
; COMPUTE_PGM_RSRC2:SCRATCH_EN: 0
; COMPUTE_PGM_RSRC2:USER_SGPR: 2
; COMPUTE_PGM_RSRC2:TRAP_HANDLER: 0
; COMPUTE_PGM_RSRC2:TGID_X_EN: 1
; COMPUTE_PGM_RSRC2:TGID_Y_EN: 0
; COMPUTE_PGM_RSRC2:TGID_Z_EN: 0
; COMPUTE_PGM_RSRC2:TIDIG_COMP_CNT: 0
	.section	.text._ZN7rocprim17ROCPRIM_400000_NS6detail17trampoline_kernelINS0_14default_configENS1_27scan_by_key_config_selectorIsiEEZZNS1_16scan_by_key_implILNS1_25lookback_scan_determinismE0ELb1ES3_N6thrust23THRUST_200600_302600_NS6detail15normal_iteratorINS9_10device_ptrIsEEEESE_SE_iNS9_4plusIvEENS9_8equal_toIvEEiEE10hipError_tPvRmT2_T3_T4_T5_mT6_T7_P12ihipStream_tbENKUlT_T0_E_clISt17integral_constantIbLb1EESZ_EEDaSU_SV_EUlSU_E_NS1_11comp_targetILNS1_3genE9ELNS1_11target_archE1100ELNS1_3gpuE3ELNS1_3repE0EEENS1_30default_config_static_selectorELNS0_4arch9wavefront6targetE0EEEvT1_,"axG",@progbits,_ZN7rocprim17ROCPRIM_400000_NS6detail17trampoline_kernelINS0_14default_configENS1_27scan_by_key_config_selectorIsiEEZZNS1_16scan_by_key_implILNS1_25lookback_scan_determinismE0ELb1ES3_N6thrust23THRUST_200600_302600_NS6detail15normal_iteratorINS9_10device_ptrIsEEEESE_SE_iNS9_4plusIvEENS9_8equal_toIvEEiEE10hipError_tPvRmT2_T3_T4_T5_mT6_T7_P12ihipStream_tbENKUlT_T0_E_clISt17integral_constantIbLb1EESZ_EEDaSU_SV_EUlSU_E_NS1_11comp_targetILNS1_3genE9ELNS1_11target_archE1100ELNS1_3gpuE3ELNS1_3repE0EEENS1_30default_config_static_selectorELNS0_4arch9wavefront6targetE0EEEvT1_,comdat
	.protected	_ZN7rocprim17ROCPRIM_400000_NS6detail17trampoline_kernelINS0_14default_configENS1_27scan_by_key_config_selectorIsiEEZZNS1_16scan_by_key_implILNS1_25lookback_scan_determinismE0ELb1ES3_N6thrust23THRUST_200600_302600_NS6detail15normal_iteratorINS9_10device_ptrIsEEEESE_SE_iNS9_4plusIvEENS9_8equal_toIvEEiEE10hipError_tPvRmT2_T3_T4_T5_mT6_T7_P12ihipStream_tbENKUlT_T0_E_clISt17integral_constantIbLb1EESZ_EEDaSU_SV_EUlSU_E_NS1_11comp_targetILNS1_3genE9ELNS1_11target_archE1100ELNS1_3gpuE3ELNS1_3repE0EEENS1_30default_config_static_selectorELNS0_4arch9wavefront6targetE0EEEvT1_ ; -- Begin function _ZN7rocprim17ROCPRIM_400000_NS6detail17trampoline_kernelINS0_14default_configENS1_27scan_by_key_config_selectorIsiEEZZNS1_16scan_by_key_implILNS1_25lookback_scan_determinismE0ELb1ES3_N6thrust23THRUST_200600_302600_NS6detail15normal_iteratorINS9_10device_ptrIsEEEESE_SE_iNS9_4plusIvEENS9_8equal_toIvEEiEE10hipError_tPvRmT2_T3_T4_T5_mT6_T7_P12ihipStream_tbENKUlT_T0_E_clISt17integral_constantIbLb1EESZ_EEDaSU_SV_EUlSU_E_NS1_11comp_targetILNS1_3genE9ELNS1_11target_archE1100ELNS1_3gpuE3ELNS1_3repE0EEENS1_30default_config_static_selectorELNS0_4arch9wavefront6targetE0EEEvT1_
	.globl	_ZN7rocprim17ROCPRIM_400000_NS6detail17trampoline_kernelINS0_14default_configENS1_27scan_by_key_config_selectorIsiEEZZNS1_16scan_by_key_implILNS1_25lookback_scan_determinismE0ELb1ES3_N6thrust23THRUST_200600_302600_NS6detail15normal_iteratorINS9_10device_ptrIsEEEESE_SE_iNS9_4plusIvEENS9_8equal_toIvEEiEE10hipError_tPvRmT2_T3_T4_T5_mT6_T7_P12ihipStream_tbENKUlT_T0_E_clISt17integral_constantIbLb1EESZ_EEDaSU_SV_EUlSU_E_NS1_11comp_targetILNS1_3genE9ELNS1_11target_archE1100ELNS1_3gpuE3ELNS1_3repE0EEENS1_30default_config_static_selectorELNS0_4arch9wavefront6targetE0EEEvT1_
	.p2align	8
	.type	_ZN7rocprim17ROCPRIM_400000_NS6detail17trampoline_kernelINS0_14default_configENS1_27scan_by_key_config_selectorIsiEEZZNS1_16scan_by_key_implILNS1_25lookback_scan_determinismE0ELb1ES3_N6thrust23THRUST_200600_302600_NS6detail15normal_iteratorINS9_10device_ptrIsEEEESE_SE_iNS9_4plusIvEENS9_8equal_toIvEEiEE10hipError_tPvRmT2_T3_T4_T5_mT6_T7_P12ihipStream_tbENKUlT_T0_E_clISt17integral_constantIbLb1EESZ_EEDaSU_SV_EUlSU_E_NS1_11comp_targetILNS1_3genE9ELNS1_11target_archE1100ELNS1_3gpuE3ELNS1_3repE0EEENS1_30default_config_static_selectorELNS0_4arch9wavefront6targetE0EEEvT1_,@function
_ZN7rocprim17ROCPRIM_400000_NS6detail17trampoline_kernelINS0_14default_configENS1_27scan_by_key_config_selectorIsiEEZZNS1_16scan_by_key_implILNS1_25lookback_scan_determinismE0ELb1ES3_N6thrust23THRUST_200600_302600_NS6detail15normal_iteratorINS9_10device_ptrIsEEEESE_SE_iNS9_4plusIvEENS9_8equal_toIvEEiEE10hipError_tPvRmT2_T3_T4_T5_mT6_T7_P12ihipStream_tbENKUlT_T0_E_clISt17integral_constantIbLb1EESZ_EEDaSU_SV_EUlSU_E_NS1_11comp_targetILNS1_3genE9ELNS1_11target_archE1100ELNS1_3gpuE3ELNS1_3repE0EEENS1_30default_config_static_selectorELNS0_4arch9wavefront6targetE0EEEvT1_: ; @_ZN7rocprim17ROCPRIM_400000_NS6detail17trampoline_kernelINS0_14default_configENS1_27scan_by_key_config_selectorIsiEEZZNS1_16scan_by_key_implILNS1_25lookback_scan_determinismE0ELb1ES3_N6thrust23THRUST_200600_302600_NS6detail15normal_iteratorINS9_10device_ptrIsEEEESE_SE_iNS9_4plusIvEENS9_8equal_toIvEEiEE10hipError_tPvRmT2_T3_T4_T5_mT6_T7_P12ihipStream_tbENKUlT_T0_E_clISt17integral_constantIbLb1EESZ_EEDaSU_SV_EUlSU_E_NS1_11comp_targetILNS1_3genE9ELNS1_11target_archE1100ELNS1_3gpuE3ELNS1_3repE0EEENS1_30default_config_static_selectorELNS0_4arch9wavefront6targetE0EEEvT1_
; %bb.0:
	.section	.rodata,"a",@progbits
	.p2align	6, 0x0
	.amdhsa_kernel _ZN7rocprim17ROCPRIM_400000_NS6detail17trampoline_kernelINS0_14default_configENS1_27scan_by_key_config_selectorIsiEEZZNS1_16scan_by_key_implILNS1_25lookback_scan_determinismE0ELb1ES3_N6thrust23THRUST_200600_302600_NS6detail15normal_iteratorINS9_10device_ptrIsEEEESE_SE_iNS9_4plusIvEENS9_8equal_toIvEEiEE10hipError_tPvRmT2_T3_T4_T5_mT6_T7_P12ihipStream_tbENKUlT_T0_E_clISt17integral_constantIbLb1EESZ_EEDaSU_SV_EUlSU_E_NS1_11comp_targetILNS1_3genE9ELNS1_11target_archE1100ELNS1_3gpuE3ELNS1_3repE0EEENS1_30default_config_static_selectorELNS0_4arch9wavefront6targetE0EEEvT1_
		.amdhsa_group_segment_fixed_size 0
		.amdhsa_private_segment_fixed_size 0
		.amdhsa_kernarg_size 112
		.amdhsa_user_sgpr_count 2
		.amdhsa_user_sgpr_dispatch_ptr 0
		.amdhsa_user_sgpr_queue_ptr 0
		.amdhsa_user_sgpr_kernarg_segment_ptr 1
		.amdhsa_user_sgpr_dispatch_id 0
		.amdhsa_user_sgpr_kernarg_preload_length 0
		.amdhsa_user_sgpr_kernarg_preload_offset 0
		.amdhsa_user_sgpr_private_segment_size 0
		.amdhsa_wavefront_size32 1
		.amdhsa_uses_dynamic_stack 0
		.amdhsa_enable_private_segment 0
		.amdhsa_system_sgpr_workgroup_id_x 1
		.amdhsa_system_sgpr_workgroup_id_y 0
		.amdhsa_system_sgpr_workgroup_id_z 0
		.amdhsa_system_sgpr_workgroup_info 0
		.amdhsa_system_vgpr_workitem_id 0
		.amdhsa_next_free_vgpr 1
		.amdhsa_next_free_sgpr 1
		.amdhsa_named_barrier_count 0
		.amdhsa_reserve_vcc 0
		.amdhsa_float_round_mode_32 0
		.amdhsa_float_round_mode_16_64 0
		.amdhsa_float_denorm_mode_32 3
		.amdhsa_float_denorm_mode_16_64 3
		.amdhsa_fp16_overflow 0
		.amdhsa_memory_ordered 1
		.amdhsa_forward_progress 1
		.amdhsa_inst_pref_size 0
		.amdhsa_round_robin_scheduling 0
		.amdhsa_exception_fp_ieee_invalid_op 0
		.amdhsa_exception_fp_denorm_src 0
		.amdhsa_exception_fp_ieee_div_zero 0
		.amdhsa_exception_fp_ieee_overflow 0
		.amdhsa_exception_fp_ieee_underflow 0
		.amdhsa_exception_fp_ieee_inexact 0
		.amdhsa_exception_int_div_zero 0
	.end_amdhsa_kernel
	.section	.text._ZN7rocprim17ROCPRIM_400000_NS6detail17trampoline_kernelINS0_14default_configENS1_27scan_by_key_config_selectorIsiEEZZNS1_16scan_by_key_implILNS1_25lookback_scan_determinismE0ELb1ES3_N6thrust23THRUST_200600_302600_NS6detail15normal_iteratorINS9_10device_ptrIsEEEESE_SE_iNS9_4plusIvEENS9_8equal_toIvEEiEE10hipError_tPvRmT2_T3_T4_T5_mT6_T7_P12ihipStream_tbENKUlT_T0_E_clISt17integral_constantIbLb1EESZ_EEDaSU_SV_EUlSU_E_NS1_11comp_targetILNS1_3genE9ELNS1_11target_archE1100ELNS1_3gpuE3ELNS1_3repE0EEENS1_30default_config_static_selectorELNS0_4arch9wavefront6targetE0EEEvT1_,"axG",@progbits,_ZN7rocprim17ROCPRIM_400000_NS6detail17trampoline_kernelINS0_14default_configENS1_27scan_by_key_config_selectorIsiEEZZNS1_16scan_by_key_implILNS1_25lookback_scan_determinismE0ELb1ES3_N6thrust23THRUST_200600_302600_NS6detail15normal_iteratorINS9_10device_ptrIsEEEESE_SE_iNS9_4plusIvEENS9_8equal_toIvEEiEE10hipError_tPvRmT2_T3_T4_T5_mT6_T7_P12ihipStream_tbENKUlT_T0_E_clISt17integral_constantIbLb1EESZ_EEDaSU_SV_EUlSU_E_NS1_11comp_targetILNS1_3genE9ELNS1_11target_archE1100ELNS1_3gpuE3ELNS1_3repE0EEENS1_30default_config_static_selectorELNS0_4arch9wavefront6targetE0EEEvT1_,comdat
.Lfunc_end1059:
	.size	_ZN7rocprim17ROCPRIM_400000_NS6detail17trampoline_kernelINS0_14default_configENS1_27scan_by_key_config_selectorIsiEEZZNS1_16scan_by_key_implILNS1_25lookback_scan_determinismE0ELb1ES3_N6thrust23THRUST_200600_302600_NS6detail15normal_iteratorINS9_10device_ptrIsEEEESE_SE_iNS9_4plusIvEENS9_8equal_toIvEEiEE10hipError_tPvRmT2_T3_T4_T5_mT6_T7_P12ihipStream_tbENKUlT_T0_E_clISt17integral_constantIbLb1EESZ_EEDaSU_SV_EUlSU_E_NS1_11comp_targetILNS1_3genE9ELNS1_11target_archE1100ELNS1_3gpuE3ELNS1_3repE0EEENS1_30default_config_static_selectorELNS0_4arch9wavefront6targetE0EEEvT1_, .Lfunc_end1059-_ZN7rocprim17ROCPRIM_400000_NS6detail17trampoline_kernelINS0_14default_configENS1_27scan_by_key_config_selectorIsiEEZZNS1_16scan_by_key_implILNS1_25lookback_scan_determinismE0ELb1ES3_N6thrust23THRUST_200600_302600_NS6detail15normal_iteratorINS9_10device_ptrIsEEEESE_SE_iNS9_4plusIvEENS9_8equal_toIvEEiEE10hipError_tPvRmT2_T3_T4_T5_mT6_T7_P12ihipStream_tbENKUlT_T0_E_clISt17integral_constantIbLb1EESZ_EEDaSU_SV_EUlSU_E_NS1_11comp_targetILNS1_3genE9ELNS1_11target_archE1100ELNS1_3gpuE3ELNS1_3repE0EEENS1_30default_config_static_selectorELNS0_4arch9wavefront6targetE0EEEvT1_
                                        ; -- End function
	.set _ZN7rocprim17ROCPRIM_400000_NS6detail17trampoline_kernelINS0_14default_configENS1_27scan_by_key_config_selectorIsiEEZZNS1_16scan_by_key_implILNS1_25lookback_scan_determinismE0ELb1ES3_N6thrust23THRUST_200600_302600_NS6detail15normal_iteratorINS9_10device_ptrIsEEEESE_SE_iNS9_4plusIvEENS9_8equal_toIvEEiEE10hipError_tPvRmT2_T3_T4_T5_mT6_T7_P12ihipStream_tbENKUlT_T0_E_clISt17integral_constantIbLb1EESZ_EEDaSU_SV_EUlSU_E_NS1_11comp_targetILNS1_3genE9ELNS1_11target_archE1100ELNS1_3gpuE3ELNS1_3repE0EEENS1_30default_config_static_selectorELNS0_4arch9wavefront6targetE0EEEvT1_.num_vgpr, 0
	.set _ZN7rocprim17ROCPRIM_400000_NS6detail17trampoline_kernelINS0_14default_configENS1_27scan_by_key_config_selectorIsiEEZZNS1_16scan_by_key_implILNS1_25lookback_scan_determinismE0ELb1ES3_N6thrust23THRUST_200600_302600_NS6detail15normal_iteratorINS9_10device_ptrIsEEEESE_SE_iNS9_4plusIvEENS9_8equal_toIvEEiEE10hipError_tPvRmT2_T3_T4_T5_mT6_T7_P12ihipStream_tbENKUlT_T0_E_clISt17integral_constantIbLb1EESZ_EEDaSU_SV_EUlSU_E_NS1_11comp_targetILNS1_3genE9ELNS1_11target_archE1100ELNS1_3gpuE3ELNS1_3repE0EEENS1_30default_config_static_selectorELNS0_4arch9wavefront6targetE0EEEvT1_.num_agpr, 0
	.set _ZN7rocprim17ROCPRIM_400000_NS6detail17trampoline_kernelINS0_14default_configENS1_27scan_by_key_config_selectorIsiEEZZNS1_16scan_by_key_implILNS1_25lookback_scan_determinismE0ELb1ES3_N6thrust23THRUST_200600_302600_NS6detail15normal_iteratorINS9_10device_ptrIsEEEESE_SE_iNS9_4plusIvEENS9_8equal_toIvEEiEE10hipError_tPvRmT2_T3_T4_T5_mT6_T7_P12ihipStream_tbENKUlT_T0_E_clISt17integral_constantIbLb1EESZ_EEDaSU_SV_EUlSU_E_NS1_11comp_targetILNS1_3genE9ELNS1_11target_archE1100ELNS1_3gpuE3ELNS1_3repE0EEENS1_30default_config_static_selectorELNS0_4arch9wavefront6targetE0EEEvT1_.numbered_sgpr, 0
	.set _ZN7rocprim17ROCPRIM_400000_NS6detail17trampoline_kernelINS0_14default_configENS1_27scan_by_key_config_selectorIsiEEZZNS1_16scan_by_key_implILNS1_25lookback_scan_determinismE0ELb1ES3_N6thrust23THRUST_200600_302600_NS6detail15normal_iteratorINS9_10device_ptrIsEEEESE_SE_iNS9_4plusIvEENS9_8equal_toIvEEiEE10hipError_tPvRmT2_T3_T4_T5_mT6_T7_P12ihipStream_tbENKUlT_T0_E_clISt17integral_constantIbLb1EESZ_EEDaSU_SV_EUlSU_E_NS1_11comp_targetILNS1_3genE9ELNS1_11target_archE1100ELNS1_3gpuE3ELNS1_3repE0EEENS1_30default_config_static_selectorELNS0_4arch9wavefront6targetE0EEEvT1_.num_named_barrier, 0
	.set _ZN7rocprim17ROCPRIM_400000_NS6detail17trampoline_kernelINS0_14default_configENS1_27scan_by_key_config_selectorIsiEEZZNS1_16scan_by_key_implILNS1_25lookback_scan_determinismE0ELb1ES3_N6thrust23THRUST_200600_302600_NS6detail15normal_iteratorINS9_10device_ptrIsEEEESE_SE_iNS9_4plusIvEENS9_8equal_toIvEEiEE10hipError_tPvRmT2_T3_T4_T5_mT6_T7_P12ihipStream_tbENKUlT_T0_E_clISt17integral_constantIbLb1EESZ_EEDaSU_SV_EUlSU_E_NS1_11comp_targetILNS1_3genE9ELNS1_11target_archE1100ELNS1_3gpuE3ELNS1_3repE0EEENS1_30default_config_static_selectorELNS0_4arch9wavefront6targetE0EEEvT1_.private_seg_size, 0
	.set _ZN7rocprim17ROCPRIM_400000_NS6detail17trampoline_kernelINS0_14default_configENS1_27scan_by_key_config_selectorIsiEEZZNS1_16scan_by_key_implILNS1_25lookback_scan_determinismE0ELb1ES3_N6thrust23THRUST_200600_302600_NS6detail15normal_iteratorINS9_10device_ptrIsEEEESE_SE_iNS9_4plusIvEENS9_8equal_toIvEEiEE10hipError_tPvRmT2_T3_T4_T5_mT6_T7_P12ihipStream_tbENKUlT_T0_E_clISt17integral_constantIbLb1EESZ_EEDaSU_SV_EUlSU_E_NS1_11comp_targetILNS1_3genE9ELNS1_11target_archE1100ELNS1_3gpuE3ELNS1_3repE0EEENS1_30default_config_static_selectorELNS0_4arch9wavefront6targetE0EEEvT1_.uses_vcc, 0
	.set _ZN7rocprim17ROCPRIM_400000_NS6detail17trampoline_kernelINS0_14default_configENS1_27scan_by_key_config_selectorIsiEEZZNS1_16scan_by_key_implILNS1_25lookback_scan_determinismE0ELb1ES3_N6thrust23THRUST_200600_302600_NS6detail15normal_iteratorINS9_10device_ptrIsEEEESE_SE_iNS9_4plusIvEENS9_8equal_toIvEEiEE10hipError_tPvRmT2_T3_T4_T5_mT6_T7_P12ihipStream_tbENKUlT_T0_E_clISt17integral_constantIbLb1EESZ_EEDaSU_SV_EUlSU_E_NS1_11comp_targetILNS1_3genE9ELNS1_11target_archE1100ELNS1_3gpuE3ELNS1_3repE0EEENS1_30default_config_static_selectorELNS0_4arch9wavefront6targetE0EEEvT1_.uses_flat_scratch, 0
	.set _ZN7rocprim17ROCPRIM_400000_NS6detail17trampoline_kernelINS0_14default_configENS1_27scan_by_key_config_selectorIsiEEZZNS1_16scan_by_key_implILNS1_25lookback_scan_determinismE0ELb1ES3_N6thrust23THRUST_200600_302600_NS6detail15normal_iteratorINS9_10device_ptrIsEEEESE_SE_iNS9_4plusIvEENS9_8equal_toIvEEiEE10hipError_tPvRmT2_T3_T4_T5_mT6_T7_P12ihipStream_tbENKUlT_T0_E_clISt17integral_constantIbLb1EESZ_EEDaSU_SV_EUlSU_E_NS1_11comp_targetILNS1_3genE9ELNS1_11target_archE1100ELNS1_3gpuE3ELNS1_3repE0EEENS1_30default_config_static_selectorELNS0_4arch9wavefront6targetE0EEEvT1_.has_dyn_sized_stack, 0
	.set _ZN7rocprim17ROCPRIM_400000_NS6detail17trampoline_kernelINS0_14default_configENS1_27scan_by_key_config_selectorIsiEEZZNS1_16scan_by_key_implILNS1_25lookback_scan_determinismE0ELb1ES3_N6thrust23THRUST_200600_302600_NS6detail15normal_iteratorINS9_10device_ptrIsEEEESE_SE_iNS9_4plusIvEENS9_8equal_toIvEEiEE10hipError_tPvRmT2_T3_T4_T5_mT6_T7_P12ihipStream_tbENKUlT_T0_E_clISt17integral_constantIbLb1EESZ_EEDaSU_SV_EUlSU_E_NS1_11comp_targetILNS1_3genE9ELNS1_11target_archE1100ELNS1_3gpuE3ELNS1_3repE0EEENS1_30default_config_static_selectorELNS0_4arch9wavefront6targetE0EEEvT1_.has_recursion, 0
	.set _ZN7rocprim17ROCPRIM_400000_NS6detail17trampoline_kernelINS0_14default_configENS1_27scan_by_key_config_selectorIsiEEZZNS1_16scan_by_key_implILNS1_25lookback_scan_determinismE0ELb1ES3_N6thrust23THRUST_200600_302600_NS6detail15normal_iteratorINS9_10device_ptrIsEEEESE_SE_iNS9_4plusIvEENS9_8equal_toIvEEiEE10hipError_tPvRmT2_T3_T4_T5_mT6_T7_P12ihipStream_tbENKUlT_T0_E_clISt17integral_constantIbLb1EESZ_EEDaSU_SV_EUlSU_E_NS1_11comp_targetILNS1_3genE9ELNS1_11target_archE1100ELNS1_3gpuE3ELNS1_3repE0EEENS1_30default_config_static_selectorELNS0_4arch9wavefront6targetE0EEEvT1_.has_indirect_call, 0
	.section	.AMDGPU.csdata,"",@progbits
; Kernel info:
; codeLenInByte = 0
; TotalNumSgprs: 0
; NumVgprs: 0
; ScratchSize: 0
; MemoryBound: 0
; FloatMode: 240
; IeeeMode: 1
; LDSByteSize: 0 bytes/workgroup (compile time only)
; SGPRBlocks: 0
; VGPRBlocks: 0
; NumSGPRsForWavesPerEU: 1
; NumVGPRsForWavesPerEU: 1
; NamedBarCnt: 0
; Occupancy: 16
; WaveLimiterHint : 0
; COMPUTE_PGM_RSRC2:SCRATCH_EN: 0
; COMPUTE_PGM_RSRC2:USER_SGPR: 2
; COMPUTE_PGM_RSRC2:TRAP_HANDLER: 0
; COMPUTE_PGM_RSRC2:TGID_X_EN: 1
; COMPUTE_PGM_RSRC2:TGID_Y_EN: 0
; COMPUTE_PGM_RSRC2:TGID_Z_EN: 0
; COMPUTE_PGM_RSRC2:TIDIG_COMP_CNT: 0
	.section	.text._ZN7rocprim17ROCPRIM_400000_NS6detail17trampoline_kernelINS0_14default_configENS1_27scan_by_key_config_selectorIsiEEZZNS1_16scan_by_key_implILNS1_25lookback_scan_determinismE0ELb1ES3_N6thrust23THRUST_200600_302600_NS6detail15normal_iteratorINS9_10device_ptrIsEEEESE_SE_iNS9_4plusIvEENS9_8equal_toIvEEiEE10hipError_tPvRmT2_T3_T4_T5_mT6_T7_P12ihipStream_tbENKUlT_T0_E_clISt17integral_constantIbLb1EESZ_EEDaSU_SV_EUlSU_E_NS1_11comp_targetILNS1_3genE8ELNS1_11target_archE1030ELNS1_3gpuE2ELNS1_3repE0EEENS1_30default_config_static_selectorELNS0_4arch9wavefront6targetE0EEEvT1_,"axG",@progbits,_ZN7rocprim17ROCPRIM_400000_NS6detail17trampoline_kernelINS0_14default_configENS1_27scan_by_key_config_selectorIsiEEZZNS1_16scan_by_key_implILNS1_25lookback_scan_determinismE0ELb1ES3_N6thrust23THRUST_200600_302600_NS6detail15normal_iteratorINS9_10device_ptrIsEEEESE_SE_iNS9_4plusIvEENS9_8equal_toIvEEiEE10hipError_tPvRmT2_T3_T4_T5_mT6_T7_P12ihipStream_tbENKUlT_T0_E_clISt17integral_constantIbLb1EESZ_EEDaSU_SV_EUlSU_E_NS1_11comp_targetILNS1_3genE8ELNS1_11target_archE1030ELNS1_3gpuE2ELNS1_3repE0EEENS1_30default_config_static_selectorELNS0_4arch9wavefront6targetE0EEEvT1_,comdat
	.protected	_ZN7rocprim17ROCPRIM_400000_NS6detail17trampoline_kernelINS0_14default_configENS1_27scan_by_key_config_selectorIsiEEZZNS1_16scan_by_key_implILNS1_25lookback_scan_determinismE0ELb1ES3_N6thrust23THRUST_200600_302600_NS6detail15normal_iteratorINS9_10device_ptrIsEEEESE_SE_iNS9_4plusIvEENS9_8equal_toIvEEiEE10hipError_tPvRmT2_T3_T4_T5_mT6_T7_P12ihipStream_tbENKUlT_T0_E_clISt17integral_constantIbLb1EESZ_EEDaSU_SV_EUlSU_E_NS1_11comp_targetILNS1_3genE8ELNS1_11target_archE1030ELNS1_3gpuE2ELNS1_3repE0EEENS1_30default_config_static_selectorELNS0_4arch9wavefront6targetE0EEEvT1_ ; -- Begin function _ZN7rocprim17ROCPRIM_400000_NS6detail17trampoline_kernelINS0_14default_configENS1_27scan_by_key_config_selectorIsiEEZZNS1_16scan_by_key_implILNS1_25lookback_scan_determinismE0ELb1ES3_N6thrust23THRUST_200600_302600_NS6detail15normal_iteratorINS9_10device_ptrIsEEEESE_SE_iNS9_4plusIvEENS9_8equal_toIvEEiEE10hipError_tPvRmT2_T3_T4_T5_mT6_T7_P12ihipStream_tbENKUlT_T0_E_clISt17integral_constantIbLb1EESZ_EEDaSU_SV_EUlSU_E_NS1_11comp_targetILNS1_3genE8ELNS1_11target_archE1030ELNS1_3gpuE2ELNS1_3repE0EEENS1_30default_config_static_selectorELNS0_4arch9wavefront6targetE0EEEvT1_
	.globl	_ZN7rocprim17ROCPRIM_400000_NS6detail17trampoline_kernelINS0_14default_configENS1_27scan_by_key_config_selectorIsiEEZZNS1_16scan_by_key_implILNS1_25lookback_scan_determinismE0ELb1ES3_N6thrust23THRUST_200600_302600_NS6detail15normal_iteratorINS9_10device_ptrIsEEEESE_SE_iNS9_4plusIvEENS9_8equal_toIvEEiEE10hipError_tPvRmT2_T3_T4_T5_mT6_T7_P12ihipStream_tbENKUlT_T0_E_clISt17integral_constantIbLb1EESZ_EEDaSU_SV_EUlSU_E_NS1_11comp_targetILNS1_3genE8ELNS1_11target_archE1030ELNS1_3gpuE2ELNS1_3repE0EEENS1_30default_config_static_selectorELNS0_4arch9wavefront6targetE0EEEvT1_
	.p2align	8
	.type	_ZN7rocprim17ROCPRIM_400000_NS6detail17trampoline_kernelINS0_14default_configENS1_27scan_by_key_config_selectorIsiEEZZNS1_16scan_by_key_implILNS1_25lookback_scan_determinismE0ELb1ES3_N6thrust23THRUST_200600_302600_NS6detail15normal_iteratorINS9_10device_ptrIsEEEESE_SE_iNS9_4plusIvEENS9_8equal_toIvEEiEE10hipError_tPvRmT2_T3_T4_T5_mT6_T7_P12ihipStream_tbENKUlT_T0_E_clISt17integral_constantIbLb1EESZ_EEDaSU_SV_EUlSU_E_NS1_11comp_targetILNS1_3genE8ELNS1_11target_archE1030ELNS1_3gpuE2ELNS1_3repE0EEENS1_30default_config_static_selectorELNS0_4arch9wavefront6targetE0EEEvT1_,@function
_ZN7rocprim17ROCPRIM_400000_NS6detail17trampoline_kernelINS0_14default_configENS1_27scan_by_key_config_selectorIsiEEZZNS1_16scan_by_key_implILNS1_25lookback_scan_determinismE0ELb1ES3_N6thrust23THRUST_200600_302600_NS6detail15normal_iteratorINS9_10device_ptrIsEEEESE_SE_iNS9_4plusIvEENS9_8equal_toIvEEiEE10hipError_tPvRmT2_T3_T4_T5_mT6_T7_P12ihipStream_tbENKUlT_T0_E_clISt17integral_constantIbLb1EESZ_EEDaSU_SV_EUlSU_E_NS1_11comp_targetILNS1_3genE8ELNS1_11target_archE1030ELNS1_3gpuE2ELNS1_3repE0EEENS1_30default_config_static_selectorELNS0_4arch9wavefront6targetE0EEEvT1_: ; @_ZN7rocprim17ROCPRIM_400000_NS6detail17trampoline_kernelINS0_14default_configENS1_27scan_by_key_config_selectorIsiEEZZNS1_16scan_by_key_implILNS1_25lookback_scan_determinismE0ELb1ES3_N6thrust23THRUST_200600_302600_NS6detail15normal_iteratorINS9_10device_ptrIsEEEESE_SE_iNS9_4plusIvEENS9_8equal_toIvEEiEE10hipError_tPvRmT2_T3_T4_T5_mT6_T7_P12ihipStream_tbENKUlT_T0_E_clISt17integral_constantIbLb1EESZ_EEDaSU_SV_EUlSU_E_NS1_11comp_targetILNS1_3genE8ELNS1_11target_archE1030ELNS1_3gpuE2ELNS1_3repE0EEENS1_30default_config_static_selectorELNS0_4arch9wavefront6targetE0EEEvT1_
; %bb.0:
	.section	.rodata,"a",@progbits
	.p2align	6, 0x0
	.amdhsa_kernel _ZN7rocprim17ROCPRIM_400000_NS6detail17trampoline_kernelINS0_14default_configENS1_27scan_by_key_config_selectorIsiEEZZNS1_16scan_by_key_implILNS1_25lookback_scan_determinismE0ELb1ES3_N6thrust23THRUST_200600_302600_NS6detail15normal_iteratorINS9_10device_ptrIsEEEESE_SE_iNS9_4plusIvEENS9_8equal_toIvEEiEE10hipError_tPvRmT2_T3_T4_T5_mT6_T7_P12ihipStream_tbENKUlT_T0_E_clISt17integral_constantIbLb1EESZ_EEDaSU_SV_EUlSU_E_NS1_11comp_targetILNS1_3genE8ELNS1_11target_archE1030ELNS1_3gpuE2ELNS1_3repE0EEENS1_30default_config_static_selectorELNS0_4arch9wavefront6targetE0EEEvT1_
		.amdhsa_group_segment_fixed_size 0
		.amdhsa_private_segment_fixed_size 0
		.amdhsa_kernarg_size 112
		.amdhsa_user_sgpr_count 2
		.amdhsa_user_sgpr_dispatch_ptr 0
		.amdhsa_user_sgpr_queue_ptr 0
		.amdhsa_user_sgpr_kernarg_segment_ptr 1
		.amdhsa_user_sgpr_dispatch_id 0
		.amdhsa_user_sgpr_kernarg_preload_length 0
		.amdhsa_user_sgpr_kernarg_preload_offset 0
		.amdhsa_user_sgpr_private_segment_size 0
		.amdhsa_wavefront_size32 1
		.amdhsa_uses_dynamic_stack 0
		.amdhsa_enable_private_segment 0
		.amdhsa_system_sgpr_workgroup_id_x 1
		.amdhsa_system_sgpr_workgroup_id_y 0
		.amdhsa_system_sgpr_workgroup_id_z 0
		.amdhsa_system_sgpr_workgroup_info 0
		.amdhsa_system_vgpr_workitem_id 0
		.amdhsa_next_free_vgpr 1
		.amdhsa_next_free_sgpr 1
		.amdhsa_named_barrier_count 0
		.amdhsa_reserve_vcc 0
		.amdhsa_float_round_mode_32 0
		.amdhsa_float_round_mode_16_64 0
		.amdhsa_float_denorm_mode_32 3
		.amdhsa_float_denorm_mode_16_64 3
		.amdhsa_fp16_overflow 0
		.amdhsa_memory_ordered 1
		.amdhsa_forward_progress 1
		.amdhsa_inst_pref_size 0
		.amdhsa_round_robin_scheduling 0
		.amdhsa_exception_fp_ieee_invalid_op 0
		.amdhsa_exception_fp_denorm_src 0
		.amdhsa_exception_fp_ieee_div_zero 0
		.amdhsa_exception_fp_ieee_overflow 0
		.amdhsa_exception_fp_ieee_underflow 0
		.amdhsa_exception_fp_ieee_inexact 0
		.amdhsa_exception_int_div_zero 0
	.end_amdhsa_kernel
	.section	.text._ZN7rocprim17ROCPRIM_400000_NS6detail17trampoline_kernelINS0_14default_configENS1_27scan_by_key_config_selectorIsiEEZZNS1_16scan_by_key_implILNS1_25lookback_scan_determinismE0ELb1ES3_N6thrust23THRUST_200600_302600_NS6detail15normal_iteratorINS9_10device_ptrIsEEEESE_SE_iNS9_4plusIvEENS9_8equal_toIvEEiEE10hipError_tPvRmT2_T3_T4_T5_mT6_T7_P12ihipStream_tbENKUlT_T0_E_clISt17integral_constantIbLb1EESZ_EEDaSU_SV_EUlSU_E_NS1_11comp_targetILNS1_3genE8ELNS1_11target_archE1030ELNS1_3gpuE2ELNS1_3repE0EEENS1_30default_config_static_selectorELNS0_4arch9wavefront6targetE0EEEvT1_,"axG",@progbits,_ZN7rocprim17ROCPRIM_400000_NS6detail17trampoline_kernelINS0_14default_configENS1_27scan_by_key_config_selectorIsiEEZZNS1_16scan_by_key_implILNS1_25lookback_scan_determinismE0ELb1ES3_N6thrust23THRUST_200600_302600_NS6detail15normal_iteratorINS9_10device_ptrIsEEEESE_SE_iNS9_4plusIvEENS9_8equal_toIvEEiEE10hipError_tPvRmT2_T3_T4_T5_mT6_T7_P12ihipStream_tbENKUlT_T0_E_clISt17integral_constantIbLb1EESZ_EEDaSU_SV_EUlSU_E_NS1_11comp_targetILNS1_3genE8ELNS1_11target_archE1030ELNS1_3gpuE2ELNS1_3repE0EEENS1_30default_config_static_selectorELNS0_4arch9wavefront6targetE0EEEvT1_,comdat
.Lfunc_end1060:
	.size	_ZN7rocprim17ROCPRIM_400000_NS6detail17trampoline_kernelINS0_14default_configENS1_27scan_by_key_config_selectorIsiEEZZNS1_16scan_by_key_implILNS1_25lookback_scan_determinismE0ELb1ES3_N6thrust23THRUST_200600_302600_NS6detail15normal_iteratorINS9_10device_ptrIsEEEESE_SE_iNS9_4plusIvEENS9_8equal_toIvEEiEE10hipError_tPvRmT2_T3_T4_T5_mT6_T7_P12ihipStream_tbENKUlT_T0_E_clISt17integral_constantIbLb1EESZ_EEDaSU_SV_EUlSU_E_NS1_11comp_targetILNS1_3genE8ELNS1_11target_archE1030ELNS1_3gpuE2ELNS1_3repE0EEENS1_30default_config_static_selectorELNS0_4arch9wavefront6targetE0EEEvT1_, .Lfunc_end1060-_ZN7rocprim17ROCPRIM_400000_NS6detail17trampoline_kernelINS0_14default_configENS1_27scan_by_key_config_selectorIsiEEZZNS1_16scan_by_key_implILNS1_25lookback_scan_determinismE0ELb1ES3_N6thrust23THRUST_200600_302600_NS6detail15normal_iteratorINS9_10device_ptrIsEEEESE_SE_iNS9_4plusIvEENS9_8equal_toIvEEiEE10hipError_tPvRmT2_T3_T4_T5_mT6_T7_P12ihipStream_tbENKUlT_T0_E_clISt17integral_constantIbLb1EESZ_EEDaSU_SV_EUlSU_E_NS1_11comp_targetILNS1_3genE8ELNS1_11target_archE1030ELNS1_3gpuE2ELNS1_3repE0EEENS1_30default_config_static_selectorELNS0_4arch9wavefront6targetE0EEEvT1_
                                        ; -- End function
	.set _ZN7rocprim17ROCPRIM_400000_NS6detail17trampoline_kernelINS0_14default_configENS1_27scan_by_key_config_selectorIsiEEZZNS1_16scan_by_key_implILNS1_25lookback_scan_determinismE0ELb1ES3_N6thrust23THRUST_200600_302600_NS6detail15normal_iteratorINS9_10device_ptrIsEEEESE_SE_iNS9_4plusIvEENS9_8equal_toIvEEiEE10hipError_tPvRmT2_T3_T4_T5_mT6_T7_P12ihipStream_tbENKUlT_T0_E_clISt17integral_constantIbLb1EESZ_EEDaSU_SV_EUlSU_E_NS1_11comp_targetILNS1_3genE8ELNS1_11target_archE1030ELNS1_3gpuE2ELNS1_3repE0EEENS1_30default_config_static_selectorELNS0_4arch9wavefront6targetE0EEEvT1_.num_vgpr, 0
	.set _ZN7rocprim17ROCPRIM_400000_NS6detail17trampoline_kernelINS0_14default_configENS1_27scan_by_key_config_selectorIsiEEZZNS1_16scan_by_key_implILNS1_25lookback_scan_determinismE0ELb1ES3_N6thrust23THRUST_200600_302600_NS6detail15normal_iteratorINS9_10device_ptrIsEEEESE_SE_iNS9_4plusIvEENS9_8equal_toIvEEiEE10hipError_tPvRmT2_T3_T4_T5_mT6_T7_P12ihipStream_tbENKUlT_T0_E_clISt17integral_constantIbLb1EESZ_EEDaSU_SV_EUlSU_E_NS1_11comp_targetILNS1_3genE8ELNS1_11target_archE1030ELNS1_3gpuE2ELNS1_3repE0EEENS1_30default_config_static_selectorELNS0_4arch9wavefront6targetE0EEEvT1_.num_agpr, 0
	.set _ZN7rocprim17ROCPRIM_400000_NS6detail17trampoline_kernelINS0_14default_configENS1_27scan_by_key_config_selectorIsiEEZZNS1_16scan_by_key_implILNS1_25lookback_scan_determinismE0ELb1ES3_N6thrust23THRUST_200600_302600_NS6detail15normal_iteratorINS9_10device_ptrIsEEEESE_SE_iNS9_4plusIvEENS9_8equal_toIvEEiEE10hipError_tPvRmT2_T3_T4_T5_mT6_T7_P12ihipStream_tbENKUlT_T0_E_clISt17integral_constantIbLb1EESZ_EEDaSU_SV_EUlSU_E_NS1_11comp_targetILNS1_3genE8ELNS1_11target_archE1030ELNS1_3gpuE2ELNS1_3repE0EEENS1_30default_config_static_selectorELNS0_4arch9wavefront6targetE0EEEvT1_.numbered_sgpr, 0
	.set _ZN7rocprim17ROCPRIM_400000_NS6detail17trampoline_kernelINS0_14default_configENS1_27scan_by_key_config_selectorIsiEEZZNS1_16scan_by_key_implILNS1_25lookback_scan_determinismE0ELb1ES3_N6thrust23THRUST_200600_302600_NS6detail15normal_iteratorINS9_10device_ptrIsEEEESE_SE_iNS9_4plusIvEENS9_8equal_toIvEEiEE10hipError_tPvRmT2_T3_T4_T5_mT6_T7_P12ihipStream_tbENKUlT_T0_E_clISt17integral_constantIbLb1EESZ_EEDaSU_SV_EUlSU_E_NS1_11comp_targetILNS1_3genE8ELNS1_11target_archE1030ELNS1_3gpuE2ELNS1_3repE0EEENS1_30default_config_static_selectorELNS0_4arch9wavefront6targetE0EEEvT1_.num_named_barrier, 0
	.set _ZN7rocprim17ROCPRIM_400000_NS6detail17trampoline_kernelINS0_14default_configENS1_27scan_by_key_config_selectorIsiEEZZNS1_16scan_by_key_implILNS1_25lookback_scan_determinismE0ELb1ES3_N6thrust23THRUST_200600_302600_NS6detail15normal_iteratorINS9_10device_ptrIsEEEESE_SE_iNS9_4plusIvEENS9_8equal_toIvEEiEE10hipError_tPvRmT2_T3_T4_T5_mT6_T7_P12ihipStream_tbENKUlT_T0_E_clISt17integral_constantIbLb1EESZ_EEDaSU_SV_EUlSU_E_NS1_11comp_targetILNS1_3genE8ELNS1_11target_archE1030ELNS1_3gpuE2ELNS1_3repE0EEENS1_30default_config_static_selectorELNS0_4arch9wavefront6targetE0EEEvT1_.private_seg_size, 0
	.set _ZN7rocprim17ROCPRIM_400000_NS6detail17trampoline_kernelINS0_14default_configENS1_27scan_by_key_config_selectorIsiEEZZNS1_16scan_by_key_implILNS1_25lookback_scan_determinismE0ELb1ES3_N6thrust23THRUST_200600_302600_NS6detail15normal_iteratorINS9_10device_ptrIsEEEESE_SE_iNS9_4plusIvEENS9_8equal_toIvEEiEE10hipError_tPvRmT2_T3_T4_T5_mT6_T7_P12ihipStream_tbENKUlT_T0_E_clISt17integral_constantIbLb1EESZ_EEDaSU_SV_EUlSU_E_NS1_11comp_targetILNS1_3genE8ELNS1_11target_archE1030ELNS1_3gpuE2ELNS1_3repE0EEENS1_30default_config_static_selectorELNS0_4arch9wavefront6targetE0EEEvT1_.uses_vcc, 0
	.set _ZN7rocprim17ROCPRIM_400000_NS6detail17trampoline_kernelINS0_14default_configENS1_27scan_by_key_config_selectorIsiEEZZNS1_16scan_by_key_implILNS1_25lookback_scan_determinismE0ELb1ES3_N6thrust23THRUST_200600_302600_NS6detail15normal_iteratorINS9_10device_ptrIsEEEESE_SE_iNS9_4plusIvEENS9_8equal_toIvEEiEE10hipError_tPvRmT2_T3_T4_T5_mT6_T7_P12ihipStream_tbENKUlT_T0_E_clISt17integral_constantIbLb1EESZ_EEDaSU_SV_EUlSU_E_NS1_11comp_targetILNS1_3genE8ELNS1_11target_archE1030ELNS1_3gpuE2ELNS1_3repE0EEENS1_30default_config_static_selectorELNS0_4arch9wavefront6targetE0EEEvT1_.uses_flat_scratch, 0
	.set _ZN7rocprim17ROCPRIM_400000_NS6detail17trampoline_kernelINS0_14default_configENS1_27scan_by_key_config_selectorIsiEEZZNS1_16scan_by_key_implILNS1_25lookback_scan_determinismE0ELb1ES3_N6thrust23THRUST_200600_302600_NS6detail15normal_iteratorINS9_10device_ptrIsEEEESE_SE_iNS9_4plusIvEENS9_8equal_toIvEEiEE10hipError_tPvRmT2_T3_T4_T5_mT6_T7_P12ihipStream_tbENKUlT_T0_E_clISt17integral_constantIbLb1EESZ_EEDaSU_SV_EUlSU_E_NS1_11comp_targetILNS1_3genE8ELNS1_11target_archE1030ELNS1_3gpuE2ELNS1_3repE0EEENS1_30default_config_static_selectorELNS0_4arch9wavefront6targetE0EEEvT1_.has_dyn_sized_stack, 0
	.set _ZN7rocprim17ROCPRIM_400000_NS6detail17trampoline_kernelINS0_14default_configENS1_27scan_by_key_config_selectorIsiEEZZNS1_16scan_by_key_implILNS1_25lookback_scan_determinismE0ELb1ES3_N6thrust23THRUST_200600_302600_NS6detail15normal_iteratorINS9_10device_ptrIsEEEESE_SE_iNS9_4plusIvEENS9_8equal_toIvEEiEE10hipError_tPvRmT2_T3_T4_T5_mT6_T7_P12ihipStream_tbENKUlT_T0_E_clISt17integral_constantIbLb1EESZ_EEDaSU_SV_EUlSU_E_NS1_11comp_targetILNS1_3genE8ELNS1_11target_archE1030ELNS1_3gpuE2ELNS1_3repE0EEENS1_30default_config_static_selectorELNS0_4arch9wavefront6targetE0EEEvT1_.has_recursion, 0
	.set _ZN7rocprim17ROCPRIM_400000_NS6detail17trampoline_kernelINS0_14default_configENS1_27scan_by_key_config_selectorIsiEEZZNS1_16scan_by_key_implILNS1_25lookback_scan_determinismE0ELb1ES3_N6thrust23THRUST_200600_302600_NS6detail15normal_iteratorINS9_10device_ptrIsEEEESE_SE_iNS9_4plusIvEENS9_8equal_toIvEEiEE10hipError_tPvRmT2_T3_T4_T5_mT6_T7_P12ihipStream_tbENKUlT_T0_E_clISt17integral_constantIbLb1EESZ_EEDaSU_SV_EUlSU_E_NS1_11comp_targetILNS1_3genE8ELNS1_11target_archE1030ELNS1_3gpuE2ELNS1_3repE0EEENS1_30default_config_static_selectorELNS0_4arch9wavefront6targetE0EEEvT1_.has_indirect_call, 0
	.section	.AMDGPU.csdata,"",@progbits
; Kernel info:
; codeLenInByte = 0
; TotalNumSgprs: 0
; NumVgprs: 0
; ScratchSize: 0
; MemoryBound: 0
; FloatMode: 240
; IeeeMode: 1
; LDSByteSize: 0 bytes/workgroup (compile time only)
; SGPRBlocks: 0
; VGPRBlocks: 0
; NumSGPRsForWavesPerEU: 1
; NumVGPRsForWavesPerEU: 1
; NamedBarCnt: 0
; Occupancy: 16
; WaveLimiterHint : 0
; COMPUTE_PGM_RSRC2:SCRATCH_EN: 0
; COMPUTE_PGM_RSRC2:USER_SGPR: 2
; COMPUTE_PGM_RSRC2:TRAP_HANDLER: 0
; COMPUTE_PGM_RSRC2:TGID_X_EN: 1
; COMPUTE_PGM_RSRC2:TGID_Y_EN: 0
; COMPUTE_PGM_RSRC2:TGID_Z_EN: 0
; COMPUTE_PGM_RSRC2:TIDIG_COMP_CNT: 0
	.section	.text._ZN7rocprim17ROCPRIM_400000_NS6detail30init_device_scan_by_key_kernelINS1_19lookback_scan_stateINS0_5tupleIJibEEELb1ELb1EEEN6thrust23THRUST_200600_302600_NS6detail15normal_iteratorINS8_10device_ptrIsEEEEjNS1_16block_id_wrapperIjLb0EEEEEvT_jjPNSG_10value_typeET0_PNSt15iterator_traitsISJ_E10value_typeEmT1_T2_,"axG",@progbits,_ZN7rocprim17ROCPRIM_400000_NS6detail30init_device_scan_by_key_kernelINS1_19lookback_scan_stateINS0_5tupleIJibEEELb1ELb1EEEN6thrust23THRUST_200600_302600_NS6detail15normal_iteratorINS8_10device_ptrIsEEEEjNS1_16block_id_wrapperIjLb0EEEEEvT_jjPNSG_10value_typeET0_PNSt15iterator_traitsISJ_E10value_typeEmT1_T2_,comdat
	.protected	_ZN7rocprim17ROCPRIM_400000_NS6detail30init_device_scan_by_key_kernelINS1_19lookback_scan_stateINS0_5tupleIJibEEELb1ELb1EEEN6thrust23THRUST_200600_302600_NS6detail15normal_iteratorINS8_10device_ptrIsEEEEjNS1_16block_id_wrapperIjLb0EEEEEvT_jjPNSG_10value_typeET0_PNSt15iterator_traitsISJ_E10value_typeEmT1_T2_ ; -- Begin function _ZN7rocprim17ROCPRIM_400000_NS6detail30init_device_scan_by_key_kernelINS1_19lookback_scan_stateINS0_5tupleIJibEEELb1ELb1EEEN6thrust23THRUST_200600_302600_NS6detail15normal_iteratorINS8_10device_ptrIsEEEEjNS1_16block_id_wrapperIjLb0EEEEEvT_jjPNSG_10value_typeET0_PNSt15iterator_traitsISJ_E10value_typeEmT1_T2_
	.globl	_ZN7rocprim17ROCPRIM_400000_NS6detail30init_device_scan_by_key_kernelINS1_19lookback_scan_stateINS0_5tupleIJibEEELb1ELb1EEEN6thrust23THRUST_200600_302600_NS6detail15normal_iteratorINS8_10device_ptrIsEEEEjNS1_16block_id_wrapperIjLb0EEEEEvT_jjPNSG_10value_typeET0_PNSt15iterator_traitsISJ_E10value_typeEmT1_T2_
	.p2align	8
	.type	_ZN7rocprim17ROCPRIM_400000_NS6detail30init_device_scan_by_key_kernelINS1_19lookback_scan_stateINS0_5tupleIJibEEELb1ELb1EEEN6thrust23THRUST_200600_302600_NS6detail15normal_iteratorINS8_10device_ptrIsEEEEjNS1_16block_id_wrapperIjLb0EEEEEvT_jjPNSG_10value_typeET0_PNSt15iterator_traitsISJ_E10value_typeEmT1_T2_,@function
_ZN7rocprim17ROCPRIM_400000_NS6detail30init_device_scan_by_key_kernelINS1_19lookback_scan_stateINS0_5tupleIJibEEELb1ELb1EEEN6thrust23THRUST_200600_302600_NS6detail15normal_iteratorINS8_10device_ptrIsEEEEjNS1_16block_id_wrapperIjLb0EEEEEvT_jjPNSG_10value_typeET0_PNSt15iterator_traitsISJ_E10value_typeEmT1_T2_: ; @_ZN7rocprim17ROCPRIM_400000_NS6detail30init_device_scan_by_key_kernelINS1_19lookback_scan_stateINS0_5tupleIJibEEELb1ELb1EEEN6thrust23THRUST_200600_302600_NS6detail15normal_iteratorINS8_10device_ptrIsEEEEjNS1_16block_id_wrapperIjLb0EEEEEvT_jjPNSG_10value_typeET0_PNSt15iterator_traitsISJ_E10value_typeEmT1_T2_
; %bb.0:
	s_clause 0x2
	s_load_b32 s2, s[0:1], 0x44
	s_load_b32 s14, s[0:1], 0x38
	s_load_b256 s[4:11], s[0:1], 0x0
	s_bfe_u32 s3, ttmp6, 0x4000c
	s_and_b32 s12, ttmp6, 15
	s_add_co_i32 s3, s3, 1
	s_getreg_b32 s13, hwreg(HW_REG_IB_STS2, 6, 4)
	s_mul_i32 s3, ttmp9, s3
	s_delay_alu instid0(SALU_CYCLE_1)
	s_add_co_i32 s12, s12, s3
	s_wait_kmcnt 0x0
	s_and_b32 s15, s2, 0xffff
	s_cmp_eq_u32 s13, 0
	s_cselect_b32 s2, ttmp9, s12
	s_cmp_eq_u64 s[8:9], 0
	v_mad_u32 v4, s2, s15, v0
	s_cbranch_scc1 .LBB1061_10
; %bb.1:
	s_cmp_lt_u32 s7, s6
	s_mov_b32 s16, exec_lo
	s_cselect_b32 s2, s7, 0
	s_delay_alu instid0(VALU_DEP_1) | instid1(SALU_CYCLE_1)
	v_cmpx_eq_u32_e64 s2, v4
	s_cbranch_execz .LBB1061_9
; %bb.2:
	s_add_co_i32 s2, s7, 32
	s_mov_b32 s3, 0
	v_mov_b32_e32 v7, 0
	s_lshl_b64 s[12:13], s[2:3], 4
	s_mov_b32 s2, exec_lo
	s_add_nc_u64 s[12:13], s[4:5], s[12:13]
	s_delay_alu instid0(SALU_CYCLE_1) | instskip(SKIP_2) | instid1(VALU_DEP_1)
	v_mov_b64_e32 v[0:1], s[12:13]
	;;#ASMSTART
	global_load_b128 v[0:3], v[0:1] off scope:SCOPE_DEV	
s_wait_loadcnt 0x0
	;;#ASMEND
	v_and_b32_e32 v6, 0xff, v2
	v_cmpx_eq_u64_e32 0, v[6:7]
	s_cbranch_execz .LBB1061_8
; %bb.3:
	v_mov_b64_e32 v[8:9], s[12:13]
	s_mov_b32 s7, 1
.LBB1061_4:                             ; =>This Loop Header: Depth=1
                                        ;     Child Loop BB1061_5 Depth 2
	s_delay_alu instid0(SALU_CYCLE_1)
	s_mov_b32 s12, s7
.LBB1061_5:                             ;   Parent Loop BB1061_4 Depth=1
                                        ; =>  This Inner Loop Header: Depth=2
	s_delay_alu instid0(SALU_CYCLE_1)
	s_add_co_i32 s12, s12, -1
	s_sleep 1
	s_cmp_eq_u32 s12, 0
	s_cbranch_scc0 .LBB1061_5
; %bb.6:                                ;   in Loop: Header=BB1061_4 Depth=1
	;;#ASMSTART
	global_load_b128 v[0:3], v[8:9] off scope:SCOPE_DEV	
s_wait_loadcnt 0x0
	;;#ASMEND
	v_and_b32_e32 v6, 0xff, v2
	s_cmp_lt_u32 s7, 32
	s_cselect_b32 s12, -1, 0
	s_delay_alu instid0(VALU_DEP_1) | instskip(SKIP_3) | instid1(SALU_CYCLE_1)
	v_cmp_ne_u64_e32 vcc_lo, 0, v[6:7]
	s_cmp_lg_u32 s12, 0
	s_add_co_ci_u32 s7, s7, 0
	s_or_b32 s3, vcc_lo, s3
	s_and_not1_b32 exec_lo, exec_lo, s3
	s_cbranch_execnz .LBB1061_4
; %bb.7:
	s_or_b32 exec_lo, exec_lo, s3
.LBB1061_8:
	s_delay_alu instid0(SALU_CYCLE_1)
	s_or_b32 exec_lo, exec_lo, s2
	v_mov_b32_e32 v2, 0
	s_clause 0x1
	global_store_b32 v2, v0, s[8:9]
	global_store_b8 v2, v1, s[8:9] offset:4
.LBB1061_9:
	s_wait_xcnt 0x0
	s_or_b32 exec_lo, exec_lo, s16
.LBB1061_10:
	s_delay_alu instid0(SALU_CYCLE_1) | instskip(NEXT) | instid1(VALU_DEP_1)
	s_mov_b32 s2, exec_lo
	v_cmpx_gt_u32_e64 s6, v4
	s_cbranch_execz .LBB1061_12
; %bb.11:
	v_dual_mov_b32 v0, 0 :: v_dual_add_nc_u32 v5, 32, v4
	s_delay_alu instid0(VALU_DEP_1)
	v_dual_mov_b32 v1, v0 :: v_dual_mov_b32 v2, v0
	v_mov_b32_e32 v3, v0
	global_store_b128 v5, v[0:3], s[4:5] scale_offset
.LBB1061_12:
	s_wait_xcnt 0x0
	s_or_b32 exec_lo, exec_lo, s2
	v_mov_b32_e32 v5, 0
	s_mov_b32 s2, exec_lo
	v_cmpx_gt_u32_e32 32, v4
	s_cbranch_execz .LBB1061_14
; %bb.13:
	s_delay_alu instid0(VALU_DEP_2)
	v_lshl_add_u64 v[6:7], v[4:5], 4, s[4:5]
	v_dual_mov_b32 v2, 0xff :: v_dual_mov_b32 v1, v5
	v_dual_mov_b32 v0, v5 :: v_dual_mov_b32 v3, v5
	global_store_b128 v[6:7], v[0:3], off
.LBB1061_14:
	s_wait_xcnt 0x0
	s_or_b32 exec_lo, exec_lo, s2
	s_load_b64 s[2:3], s[0:1], 0x28
	s_mov_b32 s4, exec_lo
	s_wait_kmcnt 0x0
	v_cmpx_gt_u64_e64 s[2:3], v[4:5]
	s_cbranch_execz .LBB1061_17
; %bb.15:
	s_clause 0x1
	s_load_b32 s4, s[0:1], 0x30
	s_load_b64 s[6:7], s[0:1], 0x20
	s_mov_b32 s5, 0
	s_wait_xcnt 0x0
	s_mul_i32 s0, s14, s15
	s_mov_b32 s9, s5
	s_mov_b32 s1, s5
	s_wait_kmcnt 0x0
	v_mul_u64_e32 v[0:1], s[4:5], v[4:5]
	s_add_co_i32 s8, s4, -1
	v_lshl_add_u64 v[2:3], v[4:5], 1, s[6:7]
	s_lshl_b64 s[8:9], s[8:9], 1
	s_delay_alu instid0(SALU_CYCLE_1) | instskip(SKIP_1) | instid1(SALU_CYCLE_1)
	s_add_nc_u64 s[8:9], s[10:11], s[8:9]
	s_mul_u64 s[10:11], s[4:5], s[0:1]
	s_lshl_b64 s[6:7], s[10:11], 1
	s_delay_alu instid0(VALU_DEP_2)
	v_lshl_add_u64 v[0:1], v[0:1], 1, s[8:9]
	s_lshl_b64 s[8:9], s[0:1], 1
.LBB1061_16:                            ; =>This Inner Loop Header: Depth=1
	global_load_u16 v6, v[0:1], off
	v_add_nc_u64_e32 v[4:5], s[0:1], v[4:5]
	s_wait_xcnt 0x0
	v_add_nc_u64_e32 v[0:1], s[6:7], v[0:1]
	s_delay_alu instid0(VALU_DEP_2)
	v_cmp_le_u64_e32 vcc_lo, s[2:3], v[4:5]
	s_or_b32 s5, vcc_lo, s5
	s_wait_loadcnt 0x0
	global_store_b16 v[2:3], v6, off
	s_wait_xcnt 0x0
	v_add_nc_u64_e32 v[2:3], s[8:9], v[2:3]
	s_and_not1_b32 exec_lo, exec_lo, s5
	s_cbranch_execnz .LBB1061_16
.LBB1061_17:
	s_endpgm
	.section	.rodata,"a",@progbits
	.p2align	6, 0x0
	.amdhsa_kernel _ZN7rocprim17ROCPRIM_400000_NS6detail30init_device_scan_by_key_kernelINS1_19lookback_scan_stateINS0_5tupleIJibEEELb1ELb1EEEN6thrust23THRUST_200600_302600_NS6detail15normal_iteratorINS8_10device_ptrIsEEEEjNS1_16block_id_wrapperIjLb0EEEEEvT_jjPNSG_10value_typeET0_PNSt15iterator_traitsISJ_E10value_typeEmT1_T2_
		.amdhsa_group_segment_fixed_size 0
		.amdhsa_private_segment_fixed_size 0
		.amdhsa_kernarg_size 312
		.amdhsa_user_sgpr_count 2
		.amdhsa_user_sgpr_dispatch_ptr 0
		.amdhsa_user_sgpr_queue_ptr 0
		.amdhsa_user_sgpr_kernarg_segment_ptr 1
		.amdhsa_user_sgpr_dispatch_id 0
		.amdhsa_user_sgpr_kernarg_preload_length 0
		.amdhsa_user_sgpr_kernarg_preload_offset 0
		.amdhsa_user_sgpr_private_segment_size 0
		.amdhsa_wavefront_size32 1
		.amdhsa_uses_dynamic_stack 0
		.amdhsa_enable_private_segment 0
		.amdhsa_system_sgpr_workgroup_id_x 1
		.amdhsa_system_sgpr_workgroup_id_y 0
		.amdhsa_system_sgpr_workgroup_id_z 0
		.amdhsa_system_sgpr_workgroup_info 0
		.amdhsa_system_vgpr_workitem_id 0
		.amdhsa_next_free_vgpr 10
		.amdhsa_next_free_sgpr 17
		.amdhsa_named_barrier_count 0
		.amdhsa_reserve_vcc 1
		.amdhsa_float_round_mode_32 0
		.amdhsa_float_round_mode_16_64 0
		.amdhsa_float_denorm_mode_32 3
		.amdhsa_float_denorm_mode_16_64 3
		.amdhsa_fp16_overflow 0
		.amdhsa_memory_ordered 1
		.amdhsa_forward_progress 1
		.amdhsa_inst_pref_size 5
		.amdhsa_round_robin_scheduling 0
		.amdhsa_exception_fp_ieee_invalid_op 0
		.amdhsa_exception_fp_denorm_src 0
		.amdhsa_exception_fp_ieee_div_zero 0
		.amdhsa_exception_fp_ieee_overflow 0
		.amdhsa_exception_fp_ieee_underflow 0
		.amdhsa_exception_fp_ieee_inexact 0
		.amdhsa_exception_int_div_zero 0
	.end_amdhsa_kernel
	.section	.text._ZN7rocprim17ROCPRIM_400000_NS6detail30init_device_scan_by_key_kernelINS1_19lookback_scan_stateINS0_5tupleIJibEEELb1ELb1EEEN6thrust23THRUST_200600_302600_NS6detail15normal_iteratorINS8_10device_ptrIsEEEEjNS1_16block_id_wrapperIjLb0EEEEEvT_jjPNSG_10value_typeET0_PNSt15iterator_traitsISJ_E10value_typeEmT1_T2_,"axG",@progbits,_ZN7rocprim17ROCPRIM_400000_NS6detail30init_device_scan_by_key_kernelINS1_19lookback_scan_stateINS0_5tupleIJibEEELb1ELb1EEEN6thrust23THRUST_200600_302600_NS6detail15normal_iteratorINS8_10device_ptrIsEEEEjNS1_16block_id_wrapperIjLb0EEEEEvT_jjPNSG_10value_typeET0_PNSt15iterator_traitsISJ_E10value_typeEmT1_T2_,comdat
.Lfunc_end1061:
	.size	_ZN7rocprim17ROCPRIM_400000_NS6detail30init_device_scan_by_key_kernelINS1_19lookback_scan_stateINS0_5tupleIJibEEELb1ELb1EEEN6thrust23THRUST_200600_302600_NS6detail15normal_iteratorINS8_10device_ptrIsEEEEjNS1_16block_id_wrapperIjLb0EEEEEvT_jjPNSG_10value_typeET0_PNSt15iterator_traitsISJ_E10value_typeEmT1_T2_, .Lfunc_end1061-_ZN7rocprim17ROCPRIM_400000_NS6detail30init_device_scan_by_key_kernelINS1_19lookback_scan_stateINS0_5tupleIJibEEELb1ELb1EEEN6thrust23THRUST_200600_302600_NS6detail15normal_iteratorINS8_10device_ptrIsEEEEjNS1_16block_id_wrapperIjLb0EEEEEvT_jjPNSG_10value_typeET0_PNSt15iterator_traitsISJ_E10value_typeEmT1_T2_
                                        ; -- End function
	.set _ZN7rocprim17ROCPRIM_400000_NS6detail30init_device_scan_by_key_kernelINS1_19lookback_scan_stateINS0_5tupleIJibEEELb1ELb1EEEN6thrust23THRUST_200600_302600_NS6detail15normal_iteratorINS8_10device_ptrIsEEEEjNS1_16block_id_wrapperIjLb0EEEEEvT_jjPNSG_10value_typeET0_PNSt15iterator_traitsISJ_E10value_typeEmT1_T2_.num_vgpr, 10
	.set _ZN7rocprim17ROCPRIM_400000_NS6detail30init_device_scan_by_key_kernelINS1_19lookback_scan_stateINS0_5tupleIJibEEELb1ELb1EEEN6thrust23THRUST_200600_302600_NS6detail15normal_iteratorINS8_10device_ptrIsEEEEjNS1_16block_id_wrapperIjLb0EEEEEvT_jjPNSG_10value_typeET0_PNSt15iterator_traitsISJ_E10value_typeEmT1_T2_.num_agpr, 0
	.set _ZN7rocprim17ROCPRIM_400000_NS6detail30init_device_scan_by_key_kernelINS1_19lookback_scan_stateINS0_5tupleIJibEEELb1ELb1EEEN6thrust23THRUST_200600_302600_NS6detail15normal_iteratorINS8_10device_ptrIsEEEEjNS1_16block_id_wrapperIjLb0EEEEEvT_jjPNSG_10value_typeET0_PNSt15iterator_traitsISJ_E10value_typeEmT1_T2_.numbered_sgpr, 17
	.set _ZN7rocprim17ROCPRIM_400000_NS6detail30init_device_scan_by_key_kernelINS1_19lookback_scan_stateINS0_5tupleIJibEEELb1ELb1EEEN6thrust23THRUST_200600_302600_NS6detail15normal_iteratorINS8_10device_ptrIsEEEEjNS1_16block_id_wrapperIjLb0EEEEEvT_jjPNSG_10value_typeET0_PNSt15iterator_traitsISJ_E10value_typeEmT1_T2_.num_named_barrier, 0
	.set _ZN7rocprim17ROCPRIM_400000_NS6detail30init_device_scan_by_key_kernelINS1_19lookback_scan_stateINS0_5tupleIJibEEELb1ELb1EEEN6thrust23THRUST_200600_302600_NS6detail15normal_iteratorINS8_10device_ptrIsEEEEjNS1_16block_id_wrapperIjLb0EEEEEvT_jjPNSG_10value_typeET0_PNSt15iterator_traitsISJ_E10value_typeEmT1_T2_.private_seg_size, 0
	.set _ZN7rocprim17ROCPRIM_400000_NS6detail30init_device_scan_by_key_kernelINS1_19lookback_scan_stateINS0_5tupleIJibEEELb1ELb1EEEN6thrust23THRUST_200600_302600_NS6detail15normal_iteratorINS8_10device_ptrIsEEEEjNS1_16block_id_wrapperIjLb0EEEEEvT_jjPNSG_10value_typeET0_PNSt15iterator_traitsISJ_E10value_typeEmT1_T2_.uses_vcc, 1
	.set _ZN7rocprim17ROCPRIM_400000_NS6detail30init_device_scan_by_key_kernelINS1_19lookback_scan_stateINS0_5tupleIJibEEELb1ELb1EEEN6thrust23THRUST_200600_302600_NS6detail15normal_iteratorINS8_10device_ptrIsEEEEjNS1_16block_id_wrapperIjLb0EEEEEvT_jjPNSG_10value_typeET0_PNSt15iterator_traitsISJ_E10value_typeEmT1_T2_.uses_flat_scratch, 0
	.set _ZN7rocprim17ROCPRIM_400000_NS6detail30init_device_scan_by_key_kernelINS1_19lookback_scan_stateINS0_5tupleIJibEEELb1ELb1EEEN6thrust23THRUST_200600_302600_NS6detail15normal_iteratorINS8_10device_ptrIsEEEEjNS1_16block_id_wrapperIjLb0EEEEEvT_jjPNSG_10value_typeET0_PNSt15iterator_traitsISJ_E10value_typeEmT1_T2_.has_dyn_sized_stack, 0
	.set _ZN7rocprim17ROCPRIM_400000_NS6detail30init_device_scan_by_key_kernelINS1_19lookback_scan_stateINS0_5tupleIJibEEELb1ELb1EEEN6thrust23THRUST_200600_302600_NS6detail15normal_iteratorINS8_10device_ptrIsEEEEjNS1_16block_id_wrapperIjLb0EEEEEvT_jjPNSG_10value_typeET0_PNSt15iterator_traitsISJ_E10value_typeEmT1_T2_.has_recursion, 0
	.set _ZN7rocprim17ROCPRIM_400000_NS6detail30init_device_scan_by_key_kernelINS1_19lookback_scan_stateINS0_5tupleIJibEEELb1ELb1EEEN6thrust23THRUST_200600_302600_NS6detail15normal_iteratorINS8_10device_ptrIsEEEEjNS1_16block_id_wrapperIjLb0EEEEEvT_jjPNSG_10value_typeET0_PNSt15iterator_traitsISJ_E10value_typeEmT1_T2_.has_indirect_call, 0
	.section	.AMDGPU.csdata,"",@progbits
; Kernel info:
; codeLenInByte = 632
; TotalNumSgprs: 19
; NumVgprs: 10
; ScratchSize: 0
; MemoryBound: 0
; FloatMode: 240
; IeeeMode: 1
; LDSByteSize: 0 bytes/workgroup (compile time only)
; SGPRBlocks: 0
; VGPRBlocks: 0
; NumSGPRsForWavesPerEU: 19
; NumVGPRsForWavesPerEU: 10
; NamedBarCnt: 0
; Occupancy: 16
; WaveLimiterHint : 0
; COMPUTE_PGM_RSRC2:SCRATCH_EN: 0
; COMPUTE_PGM_RSRC2:USER_SGPR: 2
; COMPUTE_PGM_RSRC2:TRAP_HANDLER: 0
; COMPUTE_PGM_RSRC2:TGID_X_EN: 1
; COMPUTE_PGM_RSRC2:TGID_Y_EN: 0
; COMPUTE_PGM_RSRC2:TGID_Z_EN: 0
; COMPUTE_PGM_RSRC2:TIDIG_COMP_CNT: 0
	.section	.text._ZN7rocprim17ROCPRIM_400000_NS6detail17trampoline_kernelINS0_14default_configENS1_27scan_by_key_config_selectorIsiEEZZNS1_16scan_by_key_implILNS1_25lookback_scan_determinismE0ELb1ES3_N6thrust23THRUST_200600_302600_NS6detail15normal_iteratorINS9_10device_ptrIsEEEESE_SE_iNS9_4plusIvEENS9_8equal_toIvEEiEE10hipError_tPvRmT2_T3_T4_T5_mT6_T7_P12ihipStream_tbENKUlT_T0_E_clISt17integral_constantIbLb1EESY_IbLb0EEEEDaSU_SV_EUlSU_E_NS1_11comp_targetILNS1_3genE0ELNS1_11target_archE4294967295ELNS1_3gpuE0ELNS1_3repE0EEENS1_30default_config_static_selectorELNS0_4arch9wavefront6targetE0EEEvT1_,"axG",@progbits,_ZN7rocprim17ROCPRIM_400000_NS6detail17trampoline_kernelINS0_14default_configENS1_27scan_by_key_config_selectorIsiEEZZNS1_16scan_by_key_implILNS1_25lookback_scan_determinismE0ELb1ES3_N6thrust23THRUST_200600_302600_NS6detail15normal_iteratorINS9_10device_ptrIsEEEESE_SE_iNS9_4plusIvEENS9_8equal_toIvEEiEE10hipError_tPvRmT2_T3_T4_T5_mT6_T7_P12ihipStream_tbENKUlT_T0_E_clISt17integral_constantIbLb1EESY_IbLb0EEEEDaSU_SV_EUlSU_E_NS1_11comp_targetILNS1_3genE0ELNS1_11target_archE4294967295ELNS1_3gpuE0ELNS1_3repE0EEENS1_30default_config_static_selectorELNS0_4arch9wavefront6targetE0EEEvT1_,comdat
	.protected	_ZN7rocprim17ROCPRIM_400000_NS6detail17trampoline_kernelINS0_14default_configENS1_27scan_by_key_config_selectorIsiEEZZNS1_16scan_by_key_implILNS1_25lookback_scan_determinismE0ELb1ES3_N6thrust23THRUST_200600_302600_NS6detail15normal_iteratorINS9_10device_ptrIsEEEESE_SE_iNS9_4plusIvEENS9_8equal_toIvEEiEE10hipError_tPvRmT2_T3_T4_T5_mT6_T7_P12ihipStream_tbENKUlT_T0_E_clISt17integral_constantIbLb1EESY_IbLb0EEEEDaSU_SV_EUlSU_E_NS1_11comp_targetILNS1_3genE0ELNS1_11target_archE4294967295ELNS1_3gpuE0ELNS1_3repE0EEENS1_30default_config_static_selectorELNS0_4arch9wavefront6targetE0EEEvT1_ ; -- Begin function _ZN7rocprim17ROCPRIM_400000_NS6detail17trampoline_kernelINS0_14default_configENS1_27scan_by_key_config_selectorIsiEEZZNS1_16scan_by_key_implILNS1_25lookback_scan_determinismE0ELb1ES3_N6thrust23THRUST_200600_302600_NS6detail15normal_iteratorINS9_10device_ptrIsEEEESE_SE_iNS9_4plusIvEENS9_8equal_toIvEEiEE10hipError_tPvRmT2_T3_T4_T5_mT6_T7_P12ihipStream_tbENKUlT_T0_E_clISt17integral_constantIbLb1EESY_IbLb0EEEEDaSU_SV_EUlSU_E_NS1_11comp_targetILNS1_3genE0ELNS1_11target_archE4294967295ELNS1_3gpuE0ELNS1_3repE0EEENS1_30default_config_static_selectorELNS0_4arch9wavefront6targetE0EEEvT1_
	.globl	_ZN7rocprim17ROCPRIM_400000_NS6detail17trampoline_kernelINS0_14default_configENS1_27scan_by_key_config_selectorIsiEEZZNS1_16scan_by_key_implILNS1_25lookback_scan_determinismE0ELb1ES3_N6thrust23THRUST_200600_302600_NS6detail15normal_iteratorINS9_10device_ptrIsEEEESE_SE_iNS9_4plusIvEENS9_8equal_toIvEEiEE10hipError_tPvRmT2_T3_T4_T5_mT6_T7_P12ihipStream_tbENKUlT_T0_E_clISt17integral_constantIbLb1EESY_IbLb0EEEEDaSU_SV_EUlSU_E_NS1_11comp_targetILNS1_3genE0ELNS1_11target_archE4294967295ELNS1_3gpuE0ELNS1_3repE0EEENS1_30default_config_static_selectorELNS0_4arch9wavefront6targetE0EEEvT1_
	.p2align	8
	.type	_ZN7rocprim17ROCPRIM_400000_NS6detail17trampoline_kernelINS0_14default_configENS1_27scan_by_key_config_selectorIsiEEZZNS1_16scan_by_key_implILNS1_25lookback_scan_determinismE0ELb1ES3_N6thrust23THRUST_200600_302600_NS6detail15normal_iteratorINS9_10device_ptrIsEEEESE_SE_iNS9_4plusIvEENS9_8equal_toIvEEiEE10hipError_tPvRmT2_T3_T4_T5_mT6_T7_P12ihipStream_tbENKUlT_T0_E_clISt17integral_constantIbLb1EESY_IbLb0EEEEDaSU_SV_EUlSU_E_NS1_11comp_targetILNS1_3genE0ELNS1_11target_archE4294967295ELNS1_3gpuE0ELNS1_3repE0EEENS1_30default_config_static_selectorELNS0_4arch9wavefront6targetE0EEEvT1_,@function
_ZN7rocprim17ROCPRIM_400000_NS6detail17trampoline_kernelINS0_14default_configENS1_27scan_by_key_config_selectorIsiEEZZNS1_16scan_by_key_implILNS1_25lookback_scan_determinismE0ELb1ES3_N6thrust23THRUST_200600_302600_NS6detail15normal_iteratorINS9_10device_ptrIsEEEESE_SE_iNS9_4plusIvEENS9_8equal_toIvEEiEE10hipError_tPvRmT2_T3_T4_T5_mT6_T7_P12ihipStream_tbENKUlT_T0_E_clISt17integral_constantIbLb1EESY_IbLb0EEEEDaSU_SV_EUlSU_E_NS1_11comp_targetILNS1_3genE0ELNS1_11target_archE4294967295ELNS1_3gpuE0ELNS1_3repE0EEENS1_30default_config_static_selectorELNS0_4arch9wavefront6targetE0EEEvT1_: ; @_ZN7rocprim17ROCPRIM_400000_NS6detail17trampoline_kernelINS0_14default_configENS1_27scan_by_key_config_selectorIsiEEZZNS1_16scan_by_key_implILNS1_25lookback_scan_determinismE0ELb1ES3_N6thrust23THRUST_200600_302600_NS6detail15normal_iteratorINS9_10device_ptrIsEEEESE_SE_iNS9_4plusIvEENS9_8equal_toIvEEiEE10hipError_tPvRmT2_T3_T4_T5_mT6_T7_P12ihipStream_tbENKUlT_T0_E_clISt17integral_constantIbLb1EESY_IbLb0EEEEDaSU_SV_EUlSU_E_NS1_11comp_targetILNS1_3genE0ELNS1_11target_archE4294967295ELNS1_3gpuE0ELNS1_3repE0EEENS1_30default_config_static_selectorELNS0_4arch9wavefront6targetE0EEEvT1_
; %bb.0:
	s_endpgm
	.section	.rodata,"a",@progbits
	.p2align	6, 0x0
	.amdhsa_kernel _ZN7rocprim17ROCPRIM_400000_NS6detail17trampoline_kernelINS0_14default_configENS1_27scan_by_key_config_selectorIsiEEZZNS1_16scan_by_key_implILNS1_25lookback_scan_determinismE0ELb1ES3_N6thrust23THRUST_200600_302600_NS6detail15normal_iteratorINS9_10device_ptrIsEEEESE_SE_iNS9_4plusIvEENS9_8equal_toIvEEiEE10hipError_tPvRmT2_T3_T4_T5_mT6_T7_P12ihipStream_tbENKUlT_T0_E_clISt17integral_constantIbLb1EESY_IbLb0EEEEDaSU_SV_EUlSU_E_NS1_11comp_targetILNS1_3genE0ELNS1_11target_archE4294967295ELNS1_3gpuE0ELNS1_3repE0EEENS1_30default_config_static_selectorELNS0_4arch9wavefront6targetE0EEEvT1_
		.amdhsa_group_segment_fixed_size 0
		.amdhsa_private_segment_fixed_size 0
		.amdhsa_kernarg_size 112
		.amdhsa_user_sgpr_count 2
		.amdhsa_user_sgpr_dispatch_ptr 0
		.amdhsa_user_sgpr_queue_ptr 0
		.amdhsa_user_sgpr_kernarg_segment_ptr 1
		.amdhsa_user_sgpr_dispatch_id 0
		.amdhsa_user_sgpr_kernarg_preload_length 0
		.amdhsa_user_sgpr_kernarg_preload_offset 0
		.amdhsa_user_sgpr_private_segment_size 0
		.amdhsa_wavefront_size32 1
		.amdhsa_uses_dynamic_stack 0
		.amdhsa_enable_private_segment 0
		.amdhsa_system_sgpr_workgroup_id_x 1
		.amdhsa_system_sgpr_workgroup_id_y 0
		.amdhsa_system_sgpr_workgroup_id_z 0
		.amdhsa_system_sgpr_workgroup_info 0
		.amdhsa_system_vgpr_workitem_id 0
		.amdhsa_next_free_vgpr 1
		.amdhsa_next_free_sgpr 1
		.amdhsa_named_barrier_count 0
		.amdhsa_reserve_vcc 0
		.amdhsa_float_round_mode_32 0
		.amdhsa_float_round_mode_16_64 0
		.amdhsa_float_denorm_mode_32 3
		.amdhsa_float_denorm_mode_16_64 3
		.amdhsa_fp16_overflow 0
		.amdhsa_memory_ordered 1
		.amdhsa_forward_progress 1
		.amdhsa_inst_pref_size 1
		.amdhsa_round_robin_scheduling 0
		.amdhsa_exception_fp_ieee_invalid_op 0
		.amdhsa_exception_fp_denorm_src 0
		.amdhsa_exception_fp_ieee_div_zero 0
		.amdhsa_exception_fp_ieee_overflow 0
		.amdhsa_exception_fp_ieee_underflow 0
		.amdhsa_exception_fp_ieee_inexact 0
		.amdhsa_exception_int_div_zero 0
	.end_amdhsa_kernel
	.section	.text._ZN7rocprim17ROCPRIM_400000_NS6detail17trampoline_kernelINS0_14default_configENS1_27scan_by_key_config_selectorIsiEEZZNS1_16scan_by_key_implILNS1_25lookback_scan_determinismE0ELb1ES3_N6thrust23THRUST_200600_302600_NS6detail15normal_iteratorINS9_10device_ptrIsEEEESE_SE_iNS9_4plusIvEENS9_8equal_toIvEEiEE10hipError_tPvRmT2_T3_T4_T5_mT6_T7_P12ihipStream_tbENKUlT_T0_E_clISt17integral_constantIbLb1EESY_IbLb0EEEEDaSU_SV_EUlSU_E_NS1_11comp_targetILNS1_3genE0ELNS1_11target_archE4294967295ELNS1_3gpuE0ELNS1_3repE0EEENS1_30default_config_static_selectorELNS0_4arch9wavefront6targetE0EEEvT1_,"axG",@progbits,_ZN7rocprim17ROCPRIM_400000_NS6detail17trampoline_kernelINS0_14default_configENS1_27scan_by_key_config_selectorIsiEEZZNS1_16scan_by_key_implILNS1_25lookback_scan_determinismE0ELb1ES3_N6thrust23THRUST_200600_302600_NS6detail15normal_iteratorINS9_10device_ptrIsEEEESE_SE_iNS9_4plusIvEENS9_8equal_toIvEEiEE10hipError_tPvRmT2_T3_T4_T5_mT6_T7_P12ihipStream_tbENKUlT_T0_E_clISt17integral_constantIbLb1EESY_IbLb0EEEEDaSU_SV_EUlSU_E_NS1_11comp_targetILNS1_3genE0ELNS1_11target_archE4294967295ELNS1_3gpuE0ELNS1_3repE0EEENS1_30default_config_static_selectorELNS0_4arch9wavefront6targetE0EEEvT1_,comdat
.Lfunc_end1062:
	.size	_ZN7rocprim17ROCPRIM_400000_NS6detail17trampoline_kernelINS0_14default_configENS1_27scan_by_key_config_selectorIsiEEZZNS1_16scan_by_key_implILNS1_25lookback_scan_determinismE0ELb1ES3_N6thrust23THRUST_200600_302600_NS6detail15normal_iteratorINS9_10device_ptrIsEEEESE_SE_iNS9_4plusIvEENS9_8equal_toIvEEiEE10hipError_tPvRmT2_T3_T4_T5_mT6_T7_P12ihipStream_tbENKUlT_T0_E_clISt17integral_constantIbLb1EESY_IbLb0EEEEDaSU_SV_EUlSU_E_NS1_11comp_targetILNS1_3genE0ELNS1_11target_archE4294967295ELNS1_3gpuE0ELNS1_3repE0EEENS1_30default_config_static_selectorELNS0_4arch9wavefront6targetE0EEEvT1_, .Lfunc_end1062-_ZN7rocprim17ROCPRIM_400000_NS6detail17trampoline_kernelINS0_14default_configENS1_27scan_by_key_config_selectorIsiEEZZNS1_16scan_by_key_implILNS1_25lookback_scan_determinismE0ELb1ES3_N6thrust23THRUST_200600_302600_NS6detail15normal_iteratorINS9_10device_ptrIsEEEESE_SE_iNS9_4plusIvEENS9_8equal_toIvEEiEE10hipError_tPvRmT2_T3_T4_T5_mT6_T7_P12ihipStream_tbENKUlT_T0_E_clISt17integral_constantIbLb1EESY_IbLb0EEEEDaSU_SV_EUlSU_E_NS1_11comp_targetILNS1_3genE0ELNS1_11target_archE4294967295ELNS1_3gpuE0ELNS1_3repE0EEENS1_30default_config_static_selectorELNS0_4arch9wavefront6targetE0EEEvT1_
                                        ; -- End function
	.set _ZN7rocprim17ROCPRIM_400000_NS6detail17trampoline_kernelINS0_14default_configENS1_27scan_by_key_config_selectorIsiEEZZNS1_16scan_by_key_implILNS1_25lookback_scan_determinismE0ELb1ES3_N6thrust23THRUST_200600_302600_NS6detail15normal_iteratorINS9_10device_ptrIsEEEESE_SE_iNS9_4plusIvEENS9_8equal_toIvEEiEE10hipError_tPvRmT2_T3_T4_T5_mT6_T7_P12ihipStream_tbENKUlT_T0_E_clISt17integral_constantIbLb1EESY_IbLb0EEEEDaSU_SV_EUlSU_E_NS1_11comp_targetILNS1_3genE0ELNS1_11target_archE4294967295ELNS1_3gpuE0ELNS1_3repE0EEENS1_30default_config_static_selectorELNS0_4arch9wavefront6targetE0EEEvT1_.num_vgpr, 0
	.set _ZN7rocprim17ROCPRIM_400000_NS6detail17trampoline_kernelINS0_14default_configENS1_27scan_by_key_config_selectorIsiEEZZNS1_16scan_by_key_implILNS1_25lookback_scan_determinismE0ELb1ES3_N6thrust23THRUST_200600_302600_NS6detail15normal_iteratorINS9_10device_ptrIsEEEESE_SE_iNS9_4plusIvEENS9_8equal_toIvEEiEE10hipError_tPvRmT2_T3_T4_T5_mT6_T7_P12ihipStream_tbENKUlT_T0_E_clISt17integral_constantIbLb1EESY_IbLb0EEEEDaSU_SV_EUlSU_E_NS1_11comp_targetILNS1_3genE0ELNS1_11target_archE4294967295ELNS1_3gpuE0ELNS1_3repE0EEENS1_30default_config_static_selectorELNS0_4arch9wavefront6targetE0EEEvT1_.num_agpr, 0
	.set _ZN7rocprim17ROCPRIM_400000_NS6detail17trampoline_kernelINS0_14default_configENS1_27scan_by_key_config_selectorIsiEEZZNS1_16scan_by_key_implILNS1_25lookback_scan_determinismE0ELb1ES3_N6thrust23THRUST_200600_302600_NS6detail15normal_iteratorINS9_10device_ptrIsEEEESE_SE_iNS9_4plusIvEENS9_8equal_toIvEEiEE10hipError_tPvRmT2_T3_T4_T5_mT6_T7_P12ihipStream_tbENKUlT_T0_E_clISt17integral_constantIbLb1EESY_IbLb0EEEEDaSU_SV_EUlSU_E_NS1_11comp_targetILNS1_3genE0ELNS1_11target_archE4294967295ELNS1_3gpuE0ELNS1_3repE0EEENS1_30default_config_static_selectorELNS0_4arch9wavefront6targetE0EEEvT1_.numbered_sgpr, 0
	.set _ZN7rocprim17ROCPRIM_400000_NS6detail17trampoline_kernelINS0_14default_configENS1_27scan_by_key_config_selectorIsiEEZZNS1_16scan_by_key_implILNS1_25lookback_scan_determinismE0ELb1ES3_N6thrust23THRUST_200600_302600_NS6detail15normal_iteratorINS9_10device_ptrIsEEEESE_SE_iNS9_4plusIvEENS9_8equal_toIvEEiEE10hipError_tPvRmT2_T3_T4_T5_mT6_T7_P12ihipStream_tbENKUlT_T0_E_clISt17integral_constantIbLb1EESY_IbLb0EEEEDaSU_SV_EUlSU_E_NS1_11comp_targetILNS1_3genE0ELNS1_11target_archE4294967295ELNS1_3gpuE0ELNS1_3repE0EEENS1_30default_config_static_selectorELNS0_4arch9wavefront6targetE0EEEvT1_.num_named_barrier, 0
	.set _ZN7rocprim17ROCPRIM_400000_NS6detail17trampoline_kernelINS0_14default_configENS1_27scan_by_key_config_selectorIsiEEZZNS1_16scan_by_key_implILNS1_25lookback_scan_determinismE0ELb1ES3_N6thrust23THRUST_200600_302600_NS6detail15normal_iteratorINS9_10device_ptrIsEEEESE_SE_iNS9_4plusIvEENS9_8equal_toIvEEiEE10hipError_tPvRmT2_T3_T4_T5_mT6_T7_P12ihipStream_tbENKUlT_T0_E_clISt17integral_constantIbLb1EESY_IbLb0EEEEDaSU_SV_EUlSU_E_NS1_11comp_targetILNS1_3genE0ELNS1_11target_archE4294967295ELNS1_3gpuE0ELNS1_3repE0EEENS1_30default_config_static_selectorELNS0_4arch9wavefront6targetE0EEEvT1_.private_seg_size, 0
	.set _ZN7rocprim17ROCPRIM_400000_NS6detail17trampoline_kernelINS0_14default_configENS1_27scan_by_key_config_selectorIsiEEZZNS1_16scan_by_key_implILNS1_25lookback_scan_determinismE0ELb1ES3_N6thrust23THRUST_200600_302600_NS6detail15normal_iteratorINS9_10device_ptrIsEEEESE_SE_iNS9_4plusIvEENS9_8equal_toIvEEiEE10hipError_tPvRmT2_T3_T4_T5_mT6_T7_P12ihipStream_tbENKUlT_T0_E_clISt17integral_constantIbLb1EESY_IbLb0EEEEDaSU_SV_EUlSU_E_NS1_11comp_targetILNS1_3genE0ELNS1_11target_archE4294967295ELNS1_3gpuE0ELNS1_3repE0EEENS1_30default_config_static_selectorELNS0_4arch9wavefront6targetE0EEEvT1_.uses_vcc, 0
	.set _ZN7rocprim17ROCPRIM_400000_NS6detail17trampoline_kernelINS0_14default_configENS1_27scan_by_key_config_selectorIsiEEZZNS1_16scan_by_key_implILNS1_25lookback_scan_determinismE0ELb1ES3_N6thrust23THRUST_200600_302600_NS6detail15normal_iteratorINS9_10device_ptrIsEEEESE_SE_iNS9_4plusIvEENS9_8equal_toIvEEiEE10hipError_tPvRmT2_T3_T4_T5_mT6_T7_P12ihipStream_tbENKUlT_T0_E_clISt17integral_constantIbLb1EESY_IbLb0EEEEDaSU_SV_EUlSU_E_NS1_11comp_targetILNS1_3genE0ELNS1_11target_archE4294967295ELNS1_3gpuE0ELNS1_3repE0EEENS1_30default_config_static_selectorELNS0_4arch9wavefront6targetE0EEEvT1_.uses_flat_scratch, 0
	.set _ZN7rocprim17ROCPRIM_400000_NS6detail17trampoline_kernelINS0_14default_configENS1_27scan_by_key_config_selectorIsiEEZZNS1_16scan_by_key_implILNS1_25lookback_scan_determinismE0ELb1ES3_N6thrust23THRUST_200600_302600_NS6detail15normal_iteratorINS9_10device_ptrIsEEEESE_SE_iNS9_4plusIvEENS9_8equal_toIvEEiEE10hipError_tPvRmT2_T3_T4_T5_mT6_T7_P12ihipStream_tbENKUlT_T0_E_clISt17integral_constantIbLb1EESY_IbLb0EEEEDaSU_SV_EUlSU_E_NS1_11comp_targetILNS1_3genE0ELNS1_11target_archE4294967295ELNS1_3gpuE0ELNS1_3repE0EEENS1_30default_config_static_selectorELNS0_4arch9wavefront6targetE0EEEvT1_.has_dyn_sized_stack, 0
	.set _ZN7rocprim17ROCPRIM_400000_NS6detail17trampoline_kernelINS0_14default_configENS1_27scan_by_key_config_selectorIsiEEZZNS1_16scan_by_key_implILNS1_25lookback_scan_determinismE0ELb1ES3_N6thrust23THRUST_200600_302600_NS6detail15normal_iteratorINS9_10device_ptrIsEEEESE_SE_iNS9_4plusIvEENS9_8equal_toIvEEiEE10hipError_tPvRmT2_T3_T4_T5_mT6_T7_P12ihipStream_tbENKUlT_T0_E_clISt17integral_constantIbLb1EESY_IbLb0EEEEDaSU_SV_EUlSU_E_NS1_11comp_targetILNS1_3genE0ELNS1_11target_archE4294967295ELNS1_3gpuE0ELNS1_3repE0EEENS1_30default_config_static_selectorELNS0_4arch9wavefront6targetE0EEEvT1_.has_recursion, 0
	.set _ZN7rocprim17ROCPRIM_400000_NS6detail17trampoline_kernelINS0_14default_configENS1_27scan_by_key_config_selectorIsiEEZZNS1_16scan_by_key_implILNS1_25lookback_scan_determinismE0ELb1ES3_N6thrust23THRUST_200600_302600_NS6detail15normal_iteratorINS9_10device_ptrIsEEEESE_SE_iNS9_4plusIvEENS9_8equal_toIvEEiEE10hipError_tPvRmT2_T3_T4_T5_mT6_T7_P12ihipStream_tbENKUlT_T0_E_clISt17integral_constantIbLb1EESY_IbLb0EEEEDaSU_SV_EUlSU_E_NS1_11comp_targetILNS1_3genE0ELNS1_11target_archE4294967295ELNS1_3gpuE0ELNS1_3repE0EEENS1_30default_config_static_selectorELNS0_4arch9wavefront6targetE0EEEvT1_.has_indirect_call, 0
	.section	.AMDGPU.csdata,"",@progbits
; Kernel info:
; codeLenInByte = 4
; TotalNumSgprs: 0
; NumVgprs: 0
; ScratchSize: 0
; MemoryBound: 0
; FloatMode: 240
; IeeeMode: 1
; LDSByteSize: 0 bytes/workgroup (compile time only)
; SGPRBlocks: 0
; VGPRBlocks: 0
; NumSGPRsForWavesPerEU: 1
; NumVGPRsForWavesPerEU: 1
; NamedBarCnt: 0
; Occupancy: 16
; WaveLimiterHint : 0
; COMPUTE_PGM_RSRC2:SCRATCH_EN: 0
; COMPUTE_PGM_RSRC2:USER_SGPR: 2
; COMPUTE_PGM_RSRC2:TRAP_HANDLER: 0
; COMPUTE_PGM_RSRC2:TGID_X_EN: 1
; COMPUTE_PGM_RSRC2:TGID_Y_EN: 0
; COMPUTE_PGM_RSRC2:TGID_Z_EN: 0
; COMPUTE_PGM_RSRC2:TIDIG_COMP_CNT: 0
	.section	.text._ZN7rocprim17ROCPRIM_400000_NS6detail17trampoline_kernelINS0_14default_configENS1_27scan_by_key_config_selectorIsiEEZZNS1_16scan_by_key_implILNS1_25lookback_scan_determinismE0ELb1ES3_N6thrust23THRUST_200600_302600_NS6detail15normal_iteratorINS9_10device_ptrIsEEEESE_SE_iNS9_4plusIvEENS9_8equal_toIvEEiEE10hipError_tPvRmT2_T3_T4_T5_mT6_T7_P12ihipStream_tbENKUlT_T0_E_clISt17integral_constantIbLb1EESY_IbLb0EEEEDaSU_SV_EUlSU_E_NS1_11comp_targetILNS1_3genE10ELNS1_11target_archE1201ELNS1_3gpuE5ELNS1_3repE0EEENS1_30default_config_static_selectorELNS0_4arch9wavefront6targetE0EEEvT1_,"axG",@progbits,_ZN7rocprim17ROCPRIM_400000_NS6detail17trampoline_kernelINS0_14default_configENS1_27scan_by_key_config_selectorIsiEEZZNS1_16scan_by_key_implILNS1_25lookback_scan_determinismE0ELb1ES3_N6thrust23THRUST_200600_302600_NS6detail15normal_iteratorINS9_10device_ptrIsEEEESE_SE_iNS9_4plusIvEENS9_8equal_toIvEEiEE10hipError_tPvRmT2_T3_T4_T5_mT6_T7_P12ihipStream_tbENKUlT_T0_E_clISt17integral_constantIbLb1EESY_IbLb0EEEEDaSU_SV_EUlSU_E_NS1_11comp_targetILNS1_3genE10ELNS1_11target_archE1201ELNS1_3gpuE5ELNS1_3repE0EEENS1_30default_config_static_selectorELNS0_4arch9wavefront6targetE0EEEvT1_,comdat
	.protected	_ZN7rocprim17ROCPRIM_400000_NS6detail17trampoline_kernelINS0_14default_configENS1_27scan_by_key_config_selectorIsiEEZZNS1_16scan_by_key_implILNS1_25lookback_scan_determinismE0ELb1ES3_N6thrust23THRUST_200600_302600_NS6detail15normal_iteratorINS9_10device_ptrIsEEEESE_SE_iNS9_4plusIvEENS9_8equal_toIvEEiEE10hipError_tPvRmT2_T3_T4_T5_mT6_T7_P12ihipStream_tbENKUlT_T0_E_clISt17integral_constantIbLb1EESY_IbLb0EEEEDaSU_SV_EUlSU_E_NS1_11comp_targetILNS1_3genE10ELNS1_11target_archE1201ELNS1_3gpuE5ELNS1_3repE0EEENS1_30default_config_static_selectorELNS0_4arch9wavefront6targetE0EEEvT1_ ; -- Begin function _ZN7rocprim17ROCPRIM_400000_NS6detail17trampoline_kernelINS0_14default_configENS1_27scan_by_key_config_selectorIsiEEZZNS1_16scan_by_key_implILNS1_25lookback_scan_determinismE0ELb1ES3_N6thrust23THRUST_200600_302600_NS6detail15normal_iteratorINS9_10device_ptrIsEEEESE_SE_iNS9_4plusIvEENS9_8equal_toIvEEiEE10hipError_tPvRmT2_T3_T4_T5_mT6_T7_P12ihipStream_tbENKUlT_T0_E_clISt17integral_constantIbLb1EESY_IbLb0EEEEDaSU_SV_EUlSU_E_NS1_11comp_targetILNS1_3genE10ELNS1_11target_archE1201ELNS1_3gpuE5ELNS1_3repE0EEENS1_30default_config_static_selectorELNS0_4arch9wavefront6targetE0EEEvT1_
	.globl	_ZN7rocprim17ROCPRIM_400000_NS6detail17trampoline_kernelINS0_14default_configENS1_27scan_by_key_config_selectorIsiEEZZNS1_16scan_by_key_implILNS1_25lookback_scan_determinismE0ELb1ES3_N6thrust23THRUST_200600_302600_NS6detail15normal_iteratorINS9_10device_ptrIsEEEESE_SE_iNS9_4plusIvEENS9_8equal_toIvEEiEE10hipError_tPvRmT2_T3_T4_T5_mT6_T7_P12ihipStream_tbENKUlT_T0_E_clISt17integral_constantIbLb1EESY_IbLb0EEEEDaSU_SV_EUlSU_E_NS1_11comp_targetILNS1_3genE10ELNS1_11target_archE1201ELNS1_3gpuE5ELNS1_3repE0EEENS1_30default_config_static_selectorELNS0_4arch9wavefront6targetE0EEEvT1_
	.p2align	8
	.type	_ZN7rocprim17ROCPRIM_400000_NS6detail17trampoline_kernelINS0_14default_configENS1_27scan_by_key_config_selectorIsiEEZZNS1_16scan_by_key_implILNS1_25lookback_scan_determinismE0ELb1ES3_N6thrust23THRUST_200600_302600_NS6detail15normal_iteratorINS9_10device_ptrIsEEEESE_SE_iNS9_4plusIvEENS9_8equal_toIvEEiEE10hipError_tPvRmT2_T3_T4_T5_mT6_T7_P12ihipStream_tbENKUlT_T0_E_clISt17integral_constantIbLb1EESY_IbLb0EEEEDaSU_SV_EUlSU_E_NS1_11comp_targetILNS1_3genE10ELNS1_11target_archE1201ELNS1_3gpuE5ELNS1_3repE0EEENS1_30default_config_static_selectorELNS0_4arch9wavefront6targetE0EEEvT1_,@function
_ZN7rocprim17ROCPRIM_400000_NS6detail17trampoline_kernelINS0_14default_configENS1_27scan_by_key_config_selectorIsiEEZZNS1_16scan_by_key_implILNS1_25lookback_scan_determinismE0ELb1ES3_N6thrust23THRUST_200600_302600_NS6detail15normal_iteratorINS9_10device_ptrIsEEEESE_SE_iNS9_4plusIvEENS9_8equal_toIvEEiEE10hipError_tPvRmT2_T3_T4_T5_mT6_T7_P12ihipStream_tbENKUlT_T0_E_clISt17integral_constantIbLb1EESY_IbLb0EEEEDaSU_SV_EUlSU_E_NS1_11comp_targetILNS1_3genE10ELNS1_11target_archE1201ELNS1_3gpuE5ELNS1_3repE0EEENS1_30default_config_static_selectorELNS0_4arch9wavefront6targetE0EEEvT1_: ; @_ZN7rocprim17ROCPRIM_400000_NS6detail17trampoline_kernelINS0_14default_configENS1_27scan_by_key_config_selectorIsiEEZZNS1_16scan_by_key_implILNS1_25lookback_scan_determinismE0ELb1ES3_N6thrust23THRUST_200600_302600_NS6detail15normal_iteratorINS9_10device_ptrIsEEEESE_SE_iNS9_4plusIvEENS9_8equal_toIvEEiEE10hipError_tPvRmT2_T3_T4_T5_mT6_T7_P12ihipStream_tbENKUlT_T0_E_clISt17integral_constantIbLb1EESY_IbLb0EEEEDaSU_SV_EUlSU_E_NS1_11comp_targetILNS1_3genE10ELNS1_11target_archE1201ELNS1_3gpuE5ELNS1_3repE0EEENS1_30default_config_static_selectorELNS0_4arch9wavefront6targetE0EEEvT1_
; %bb.0:
	.section	.rodata,"a",@progbits
	.p2align	6, 0x0
	.amdhsa_kernel _ZN7rocprim17ROCPRIM_400000_NS6detail17trampoline_kernelINS0_14default_configENS1_27scan_by_key_config_selectorIsiEEZZNS1_16scan_by_key_implILNS1_25lookback_scan_determinismE0ELb1ES3_N6thrust23THRUST_200600_302600_NS6detail15normal_iteratorINS9_10device_ptrIsEEEESE_SE_iNS9_4plusIvEENS9_8equal_toIvEEiEE10hipError_tPvRmT2_T3_T4_T5_mT6_T7_P12ihipStream_tbENKUlT_T0_E_clISt17integral_constantIbLb1EESY_IbLb0EEEEDaSU_SV_EUlSU_E_NS1_11comp_targetILNS1_3genE10ELNS1_11target_archE1201ELNS1_3gpuE5ELNS1_3repE0EEENS1_30default_config_static_selectorELNS0_4arch9wavefront6targetE0EEEvT1_
		.amdhsa_group_segment_fixed_size 0
		.amdhsa_private_segment_fixed_size 0
		.amdhsa_kernarg_size 112
		.amdhsa_user_sgpr_count 2
		.amdhsa_user_sgpr_dispatch_ptr 0
		.amdhsa_user_sgpr_queue_ptr 0
		.amdhsa_user_sgpr_kernarg_segment_ptr 1
		.amdhsa_user_sgpr_dispatch_id 0
		.amdhsa_user_sgpr_kernarg_preload_length 0
		.amdhsa_user_sgpr_kernarg_preload_offset 0
		.amdhsa_user_sgpr_private_segment_size 0
		.amdhsa_wavefront_size32 1
		.amdhsa_uses_dynamic_stack 0
		.amdhsa_enable_private_segment 0
		.amdhsa_system_sgpr_workgroup_id_x 1
		.amdhsa_system_sgpr_workgroup_id_y 0
		.amdhsa_system_sgpr_workgroup_id_z 0
		.amdhsa_system_sgpr_workgroup_info 0
		.amdhsa_system_vgpr_workitem_id 0
		.amdhsa_next_free_vgpr 1
		.amdhsa_next_free_sgpr 1
		.amdhsa_named_barrier_count 0
		.amdhsa_reserve_vcc 0
		.amdhsa_float_round_mode_32 0
		.amdhsa_float_round_mode_16_64 0
		.amdhsa_float_denorm_mode_32 3
		.amdhsa_float_denorm_mode_16_64 3
		.amdhsa_fp16_overflow 0
		.amdhsa_memory_ordered 1
		.amdhsa_forward_progress 1
		.amdhsa_inst_pref_size 0
		.amdhsa_round_robin_scheduling 0
		.amdhsa_exception_fp_ieee_invalid_op 0
		.amdhsa_exception_fp_denorm_src 0
		.amdhsa_exception_fp_ieee_div_zero 0
		.amdhsa_exception_fp_ieee_overflow 0
		.amdhsa_exception_fp_ieee_underflow 0
		.amdhsa_exception_fp_ieee_inexact 0
		.amdhsa_exception_int_div_zero 0
	.end_amdhsa_kernel
	.section	.text._ZN7rocprim17ROCPRIM_400000_NS6detail17trampoline_kernelINS0_14default_configENS1_27scan_by_key_config_selectorIsiEEZZNS1_16scan_by_key_implILNS1_25lookback_scan_determinismE0ELb1ES3_N6thrust23THRUST_200600_302600_NS6detail15normal_iteratorINS9_10device_ptrIsEEEESE_SE_iNS9_4plusIvEENS9_8equal_toIvEEiEE10hipError_tPvRmT2_T3_T4_T5_mT6_T7_P12ihipStream_tbENKUlT_T0_E_clISt17integral_constantIbLb1EESY_IbLb0EEEEDaSU_SV_EUlSU_E_NS1_11comp_targetILNS1_3genE10ELNS1_11target_archE1201ELNS1_3gpuE5ELNS1_3repE0EEENS1_30default_config_static_selectorELNS0_4arch9wavefront6targetE0EEEvT1_,"axG",@progbits,_ZN7rocprim17ROCPRIM_400000_NS6detail17trampoline_kernelINS0_14default_configENS1_27scan_by_key_config_selectorIsiEEZZNS1_16scan_by_key_implILNS1_25lookback_scan_determinismE0ELb1ES3_N6thrust23THRUST_200600_302600_NS6detail15normal_iteratorINS9_10device_ptrIsEEEESE_SE_iNS9_4plusIvEENS9_8equal_toIvEEiEE10hipError_tPvRmT2_T3_T4_T5_mT6_T7_P12ihipStream_tbENKUlT_T0_E_clISt17integral_constantIbLb1EESY_IbLb0EEEEDaSU_SV_EUlSU_E_NS1_11comp_targetILNS1_3genE10ELNS1_11target_archE1201ELNS1_3gpuE5ELNS1_3repE0EEENS1_30default_config_static_selectorELNS0_4arch9wavefront6targetE0EEEvT1_,comdat
.Lfunc_end1063:
	.size	_ZN7rocprim17ROCPRIM_400000_NS6detail17trampoline_kernelINS0_14default_configENS1_27scan_by_key_config_selectorIsiEEZZNS1_16scan_by_key_implILNS1_25lookback_scan_determinismE0ELb1ES3_N6thrust23THRUST_200600_302600_NS6detail15normal_iteratorINS9_10device_ptrIsEEEESE_SE_iNS9_4plusIvEENS9_8equal_toIvEEiEE10hipError_tPvRmT2_T3_T4_T5_mT6_T7_P12ihipStream_tbENKUlT_T0_E_clISt17integral_constantIbLb1EESY_IbLb0EEEEDaSU_SV_EUlSU_E_NS1_11comp_targetILNS1_3genE10ELNS1_11target_archE1201ELNS1_3gpuE5ELNS1_3repE0EEENS1_30default_config_static_selectorELNS0_4arch9wavefront6targetE0EEEvT1_, .Lfunc_end1063-_ZN7rocprim17ROCPRIM_400000_NS6detail17trampoline_kernelINS0_14default_configENS1_27scan_by_key_config_selectorIsiEEZZNS1_16scan_by_key_implILNS1_25lookback_scan_determinismE0ELb1ES3_N6thrust23THRUST_200600_302600_NS6detail15normal_iteratorINS9_10device_ptrIsEEEESE_SE_iNS9_4plusIvEENS9_8equal_toIvEEiEE10hipError_tPvRmT2_T3_T4_T5_mT6_T7_P12ihipStream_tbENKUlT_T0_E_clISt17integral_constantIbLb1EESY_IbLb0EEEEDaSU_SV_EUlSU_E_NS1_11comp_targetILNS1_3genE10ELNS1_11target_archE1201ELNS1_3gpuE5ELNS1_3repE0EEENS1_30default_config_static_selectorELNS0_4arch9wavefront6targetE0EEEvT1_
                                        ; -- End function
	.set _ZN7rocprim17ROCPRIM_400000_NS6detail17trampoline_kernelINS0_14default_configENS1_27scan_by_key_config_selectorIsiEEZZNS1_16scan_by_key_implILNS1_25lookback_scan_determinismE0ELb1ES3_N6thrust23THRUST_200600_302600_NS6detail15normal_iteratorINS9_10device_ptrIsEEEESE_SE_iNS9_4plusIvEENS9_8equal_toIvEEiEE10hipError_tPvRmT2_T3_T4_T5_mT6_T7_P12ihipStream_tbENKUlT_T0_E_clISt17integral_constantIbLb1EESY_IbLb0EEEEDaSU_SV_EUlSU_E_NS1_11comp_targetILNS1_3genE10ELNS1_11target_archE1201ELNS1_3gpuE5ELNS1_3repE0EEENS1_30default_config_static_selectorELNS0_4arch9wavefront6targetE0EEEvT1_.num_vgpr, 0
	.set _ZN7rocprim17ROCPRIM_400000_NS6detail17trampoline_kernelINS0_14default_configENS1_27scan_by_key_config_selectorIsiEEZZNS1_16scan_by_key_implILNS1_25lookback_scan_determinismE0ELb1ES3_N6thrust23THRUST_200600_302600_NS6detail15normal_iteratorINS9_10device_ptrIsEEEESE_SE_iNS9_4plusIvEENS9_8equal_toIvEEiEE10hipError_tPvRmT2_T3_T4_T5_mT6_T7_P12ihipStream_tbENKUlT_T0_E_clISt17integral_constantIbLb1EESY_IbLb0EEEEDaSU_SV_EUlSU_E_NS1_11comp_targetILNS1_3genE10ELNS1_11target_archE1201ELNS1_3gpuE5ELNS1_3repE0EEENS1_30default_config_static_selectorELNS0_4arch9wavefront6targetE0EEEvT1_.num_agpr, 0
	.set _ZN7rocprim17ROCPRIM_400000_NS6detail17trampoline_kernelINS0_14default_configENS1_27scan_by_key_config_selectorIsiEEZZNS1_16scan_by_key_implILNS1_25lookback_scan_determinismE0ELb1ES3_N6thrust23THRUST_200600_302600_NS6detail15normal_iteratorINS9_10device_ptrIsEEEESE_SE_iNS9_4plusIvEENS9_8equal_toIvEEiEE10hipError_tPvRmT2_T3_T4_T5_mT6_T7_P12ihipStream_tbENKUlT_T0_E_clISt17integral_constantIbLb1EESY_IbLb0EEEEDaSU_SV_EUlSU_E_NS1_11comp_targetILNS1_3genE10ELNS1_11target_archE1201ELNS1_3gpuE5ELNS1_3repE0EEENS1_30default_config_static_selectorELNS0_4arch9wavefront6targetE0EEEvT1_.numbered_sgpr, 0
	.set _ZN7rocprim17ROCPRIM_400000_NS6detail17trampoline_kernelINS0_14default_configENS1_27scan_by_key_config_selectorIsiEEZZNS1_16scan_by_key_implILNS1_25lookback_scan_determinismE0ELb1ES3_N6thrust23THRUST_200600_302600_NS6detail15normal_iteratorINS9_10device_ptrIsEEEESE_SE_iNS9_4plusIvEENS9_8equal_toIvEEiEE10hipError_tPvRmT2_T3_T4_T5_mT6_T7_P12ihipStream_tbENKUlT_T0_E_clISt17integral_constantIbLb1EESY_IbLb0EEEEDaSU_SV_EUlSU_E_NS1_11comp_targetILNS1_3genE10ELNS1_11target_archE1201ELNS1_3gpuE5ELNS1_3repE0EEENS1_30default_config_static_selectorELNS0_4arch9wavefront6targetE0EEEvT1_.num_named_barrier, 0
	.set _ZN7rocprim17ROCPRIM_400000_NS6detail17trampoline_kernelINS0_14default_configENS1_27scan_by_key_config_selectorIsiEEZZNS1_16scan_by_key_implILNS1_25lookback_scan_determinismE0ELb1ES3_N6thrust23THRUST_200600_302600_NS6detail15normal_iteratorINS9_10device_ptrIsEEEESE_SE_iNS9_4plusIvEENS9_8equal_toIvEEiEE10hipError_tPvRmT2_T3_T4_T5_mT6_T7_P12ihipStream_tbENKUlT_T0_E_clISt17integral_constantIbLb1EESY_IbLb0EEEEDaSU_SV_EUlSU_E_NS1_11comp_targetILNS1_3genE10ELNS1_11target_archE1201ELNS1_3gpuE5ELNS1_3repE0EEENS1_30default_config_static_selectorELNS0_4arch9wavefront6targetE0EEEvT1_.private_seg_size, 0
	.set _ZN7rocprim17ROCPRIM_400000_NS6detail17trampoline_kernelINS0_14default_configENS1_27scan_by_key_config_selectorIsiEEZZNS1_16scan_by_key_implILNS1_25lookback_scan_determinismE0ELb1ES3_N6thrust23THRUST_200600_302600_NS6detail15normal_iteratorINS9_10device_ptrIsEEEESE_SE_iNS9_4plusIvEENS9_8equal_toIvEEiEE10hipError_tPvRmT2_T3_T4_T5_mT6_T7_P12ihipStream_tbENKUlT_T0_E_clISt17integral_constantIbLb1EESY_IbLb0EEEEDaSU_SV_EUlSU_E_NS1_11comp_targetILNS1_3genE10ELNS1_11target_archE1201ELNS1_3gpuE5ELNS1_3repE0EEENS1_30default_config_static_selectorELNS0_4arch9wavefront6targetE0EEEvT1_.uses_vcc, 0
	.set _ZN7rocprim17ROCPRIM_400000_NS6detail17trampoline_kernelINS0_14default_configENS1_27scan_by_key_config_selectorIsiEEZZNS1_16scan_by_key_implILNS1_25lookback_scan_determinismE0ELb1ES3_N6thrust23THRUST_200600_302600_NS6detail15normal_iteratorINS9_10device_ptrIsEEEESE_SE_iNS9_4plusIvEENS9_8equal_toIvEEiEE10hipError_tPvRmT2_T3_T4_T5_mT6_T7_P12ihipStream_tbENKUlT_T0_E_clISt17integral_constantIbLb1EESY_IbLb0EEEEDaSU_SV_EUlSU_E_NS1_11comp_targetILNS1_3genE10ELNS1_11target_archE1201ELNS1_3gpuE5ELNS1_3repE0EEENS1_30default_config_static_selectorELNS0_4arch9wavefront6targetE0EEEvT1_.uses_flat_scratch, 0
	.set _ZN7rocprim17ROCPRIM_400000_NS6detail17trampoline_kernelINS0_14default_configENS1_27scan_by_key_config_selectorIsiEEZZNS1_16scan_by_key_implILNS1_25lookback_scan_determinismE0ELb1ES3_N6thrust23THRUST_200600_302600_NS6detail15normal_iteratorINS9_10device_ptrIsEEEESE_SE_iNS9_4plusIvEENS9_8equal_toIvEEiEE10hipError_tPvRmT2_T3_T4_T5_mT6_T7_P12ihipStream_tbENKUlT_T0_E_clISt17integral_constantIbLb1EESY_IbLb0EEEEDaSU_SV_EUlSU_E_NS1_11comp_targetILNS1_3genE10ELNS1_11target_archE1201ELNS1_3gpuE5ELNS1_3repE0EEENS1_30default_config_static_selectorELNS0_4arch9wavefront6targetE0EEEvT1_.has_dyn_sized_stack, 0
	.set _ZN7rocprim17ROCPRIM_400000_NS6detail17trampoline_kernelINS0_14default_configENS1_27scan_by_key_config_selectorIsiEEZZNS1_16scan_by_key_implILNS1_25lookback_scan_determinismE0ELb1ES3_N6thrust23THRUST_200600_302600_NS6detail15normal_iteratorINS9_10device_ptrIsEEEESE_SE_iNS9_4plusIvEENS9_8equal_toIvEEiEE10hipError_tPvRmT2_T3_T4_T5_mT6_T7_P12ihipStream_tbENKUlT_T0_E_clISt17integral_constantIbLb1EESY_IbLb0EEEEDaSU_SV_EUlSU_E_NS1_11comp_targetILNS1_3genE10ELNS1_11target_archE1201ELNS1_3gpuE5ELNS1_3repE0EEENS1_30default_config_static_selectorELNS0_4arch9wavefront6targetE0EEEvT1_.has_recursion, 0
	.set _ZN7rocprim17ROCPRIM_400000_NS6detail17trampoline_kernelINS0_14default_configENS1_27scan_by_key_config_selectorIsiEEZZNS1_16scan_by_key_implILNS1_25lookback_scan_determinismE0ELb1ES3_N6thrust23THRUST_200600_302600_NS6detail15normal_iteratorINS9_10device_ptrIsEEEESE_SE_iNS9_4plusIvEENS9_8equal_toIvEEiEE10hipError_tPvRmT2_T3_T4_T5_mT6_T7_P12ihipStream_tbENKUlT_T0_E_clISt17integral_constantIbLb1EESY_IbLb0EEEEDaSU_SV_EUlSU_E_NS1_11comp_targetILNS1_3genE10ELNS1_11target_archE1201ELNS1_3gpuE5ELNS1_3repE0EEENS1_30default_config_static_selectorELNS0_4arch9wavefront6targetE0EEEvT1_.has_indirect_call, 0
	.section	.AMDGPU.csdata,"",@progbits
; Kernel info:
; codeLenInByte = 0
; TotalNumSgprs: 0
; NumVgprs: 0
; ScratchSize: 0
; MemoryBound: 0
; FloatMode: 240
; IeeeMode: 1
; LDSByteSize: 0 bytes/workgroup (compile time only)
; SGPRBlocks: 0
; VGPRBlocks: 0
; NumSGPRsForWavesPerEU: 1
; NumVGPRsForWavesPerEU: 1
; NamedBarCnt: 0
; Occupancy: 16
; WaveLimiterHint : 0
; COMPUTE_PGM_RSRC2:SCRATCH_EN: 0
; COMPUTE_PGM_RSRC2:USER_SGPR: 2
; COMPUTE_PGM_RSRC2:TRAP_HANDLER: 0
; COMPUTE_PGM_RSRC2:TGID_X_EN: 1
; COMPUTE_PGM_RSRC2:TGID_Y_EN: 0
; COMPUTE_PGM_RSRC2:TGID_Z_EN: 0
; COMPUTE_PGM_RSRC2:TIDIG_COMP_CNT: 0
	.section	.text._ZN7rocprim17ROCPRIM_400000_NS6detail17trampoline_kernelINS0_14default_configENS1_27scan_by_key_config_selectorIsiEEZZNS1_16scan_by_key_implILNS1_25lookback_scan_determinismE0ELb1ES3_N6thrust23THRUST_200600_302600_NS6detail15normal_iteratorINS9_10device_ptrIsEEEESE_SE_iNS9_4plusIvEENS9_8equal_toIvEEiEE10hipError_tPvRmT2_T3_T4_T5_mT6_T7_P12ihipStream_tbENKUlT_T0_E_clISt17integral_constantIbLb1EESY_IbLb0EEEEDaSU_SV_EUlSU_E_NS1_11comp_targetILNS1_3genE5ELNS1_11target_archE942ELNS1_3gpuE9ELNS1_3repE0EEENS1_30default_config_static_selectorELNS0_4arch9wavefront6targetE0EEEvT1_,"axG",@progbits,_ZN7rocprim17ROCPRIM_400000_NS6detail17trampoline_kernelINS0_14default_configENS1_27scan_by_key_config_selectorIsiEEZZNS1_16scan_by_key_implILNS1_25lookback_scan_determinismE0ELb1ES3_N6thrust23THRUST_200600_302600_NS6detail15normal_iteratorINS9_10device_ptrIsEEEESE_SE_iNS9_4plusIvEENS9_8equal_toIvEEiEE10hipError_tPvRmT2_T3_T4_T5_mT6_T7_P12ihipStream_tbENKUlT_T0_E_clISt17integral_constantIbLb1EESY_IbLb0EEEEDaSU_SV_EUlSU_E_NS1_11comp_targetILNS1_3genE5ELNS1_11target_archE942ELNS1_3gpuE9ELNS1_3repE0EEENS1_30default_config_static_selectorELNS0_4arch9wavefront6targetE0EEEvT1_,comdat
	.protected	_ZN7rocprim17ROCPRIM_400000_NS6detail17trampoline_kernelINS0_14default_configENS1_27scan_by_key_config_selectorIsiEEZZNS1_16scan_by_key_implILNS1_25lookback_scan_determinismE0ELb1ES3_N6thrust23THRUST_200600_302600_NS6detail15normal_iteratorINS9_10device_ptrIsEEEESE_SE_iNS9_4plusIvEENS9_8equal_toIvEEiEE10hipError_tPvRmT2_T3_T4_T5_mT6_T7_P12ihipStream_tbENKUlT_T0_E_clISt17integral_constantIbLb1EESY_IbLb0EEEEDaSU_SV_EUlSU_E_NS1_11comp_targetILNS1_3genE5ELNS1_11target_archE942ELNS1_3gpuE9ELNS1_3repE0EEENS1_30default_config_static_selectorELNS0_4arch9wavefront6targetE0EEEvT1_ ; -- Begin function _ZN7rocprim17ROCPRIM_400000_NS6detail17trampoline_kernelINS0_14default_configENS1_27scan_by_key_config_selectorIsiEEZZNS1_16scan_by_key_implILNS1_25lookback_scan_determinismE0ELb1ES3_N6thrust23THRUST_200600_302600_NS6detail15normal_iteratorINS9_10device_ptrIsEEEESE_SE_iNS9_4plusIvEENS9_8equal_toIvEEiEE10hipError_tPvRmT2_T3_T4_T5_mT6_T7_P12ihipStream_tbENKUlT_T0_E_clISt17integral_constantIbLb1EESY_IbLb0EEEEDaSU_SV_EUlSU_E_NS1_11comp_targetILNS1_3genE5ELNS1_11target_archE942ELNS1_3gpuE9ELNS1_3repE0EEENS1_30default_config_static_selectorELNS0_4arch9wavefront6targetE0EEEvT1_
	.globl	_ZN7rocprim17ROCPRIM_400000_NS6detail17trampoline_kernelINS0_14default_configENS1_27scan_by_key_config_selectorIsiEEZZNS1_16scan_by_key_implILNS1_25lookback_scan_determinismE0ELb1ES3_N6thrust23THRUST_200600_302600_NS6detail15normal_iteratorINS9_10device_ptrIsEEEESE_SE_iNS9_4plusIvEENS9_8equal_toIvEEiEE10hipError_tPvRmT2_T3_T4_T5_mT6_T7_P12ihipStream_tbENKUlT_T0_E_clISt17integral_constantIbLb1EESY_IbLb0EEEEDaSU_SV_EUlSU_E_NS1_11comp_targetILNS1_3genE5ELNS1_11target_archE942ELNS1_3gpuE9ELNS1_3repE0EEENS1_30default_config_static_selectorELNS0_4arch9wavefront6targetE0EEEvT1_
	.p2align	8
	.type	_ZN7rocprim17ROCPRIM_400000_NS6detail17trampoline_kernelINS0_14default_configENS1_27scan_by_key_config_selectorIsiEEZZNS1_16scan_by_key_implILNS1_25lookback_scan_determinismE0ELb1ES3_N6thrust23THRUST_200600_302600_NS6detail15normal_iteratorINS9_10device_ptrIsEEEESE_SE_iNS9_4plusIvEENS9_8equal_toIvEEiEE10hipError_tPvRmT2_T3_T4_T5_mT6_T7_P12ihipStream_tbENKUlT_T0_E_clISt17integral_constantIbLb1EESY_IbLb0EEEEDaSU_SV_EUlSU_E_NS1_11comp_targetILNS1_3genE5ELNS1_11target_archE942ELNS1_3gpuE9ELNS1_3repE0EEENS1_30default_config_static_selectorELNS0_4arch9wavefront6targetE0EEEvT1_,@function
_ZN7rocprim17ROCPRIM_400000_NS6detail17trampoline_kernelINS0_14default_configENS1_27scan_by_key_config_selectorIsiEEZZNS1_16scan_by_key_implILNS1_25lookback_scan_determinismE0ELb1ES3_N6thrust23THRUST_200600_302600_NS6detail15normal_iteratorINS9_10device_ptrIsEEEESE_SE_iNS9_4plusIvEENS9_8equal_toIvEEiEE10hipError_tPvRmT2_T3_T4_T5_mT6_T7_P12ihipStream_tbENKUlT_T0_E_clISt17integral_constantIbLb1EESY_IbLb0EEEEDaSU_SV_EUlSU_E_NS1_11comp_targetILNS1_3genE5ELNS1_11target_archE942ELNS1_3gpuE9ELNS1_3repE0EEENS1_30default_config_static_selectorELNS0_4arch9wavefront6targetE0EEEvT1_: ; @_ZN7rocprim17ROCPRIM_400000_NS6detail17trampoline_kernelINS0_14default_configENS1_27scan_by_key_config_selectorIsiEEZZNS1_16scan_by_key_implILNS1_25lookback_scan_determinismE0ELb1ES3_N6thrust23THRUST_200600_302600_NS6detail15normal_iteratorINS9_10device_ptrIsEEEESE_SE_iNS9_4plusIvEENS9_8equal_toIvEEiEE10hipError_tPvRmT2_T3_T4_T5_mT6_T7_P12ihipStream_tbENKUlT_T0_E_clISt17integral_constantIbLb1EESY_IbLb0EEEEDaSU_SV_EUlSU_E_NS1_11comp_targetILNS1_3genE5ELNS1_11target_archE942ELNS1_3gpuE9ELNS1_3repE0EEENS1_30default_config_static_selectorELNS0_4arch9wavefront6targetE0EEEvT1_
; %bb.0:
	.section	.rodata,"a",@progbits
	.p2align	6, 0x0
	.amdhsa_kernel _ZN7rocprim17ROCPRIM_400000_NS6detail17trampoline_kernelINS0_14default_configENS1_27scan_by_key_config_selectorIsiEEZZNS1_16scan_by_key_implILNS1_25lookback_scan_determinismE0ELb1ES3_N6thrust23THRUST_200600_302600_NS6detail15normal_iteratorINS9_10device_ptrIsEEEESE_SE_iNS9_4plusIvEENS9_8equal_toIvEEiEE10hipError_tPvRmT2_T3_T4_T5_mT6_T7_P12ihipStream_tbENKUlT_T0_E_clISt17integral_constantIbLb1EESY_IbLb0EEEEDaSU_SV_EUlSU_E_NS1_11comp_targetILNS1_3genE5ELNS1_11target_archE942ELNS1_3gpuE9ELNS1_3repE0EEENS1_30default_config_static_selectorELNS0_4arch9wavefront6targetE0EEEvT1_
		.amdhsa_group_segment_fixed_size 0
		.amdhsa_private_segment_fixed_size 0
		.amdhsa_kernarg_size 112
		.amdhsa_user_sgpr_count 2
		.amdhsa_user_sgpr_dispatch_ptr 0
		.amdhsa_user_sgpr_queue_ptr 0
		.amdhsa_user_sgpr_kernarg_segment_ptr 1
		.amdhsa_user_sgpr_dispatch_id 0
		.amdhsa_user_sgpr_kernarg_preload_length 0
		.amdhsa_user_sgpr_kernarg_preload_offset 0
		.amdhsa_user_sgpr_private_segment_size 0
		.amdhsa_wavefront_size32 1
		.amdhsa_uses_dynamic_stack 0
		.amdhsa_enable_private_segment 0
		.amdhsa_system_sgpr_workgroup_id_x 1
		.amdhsa_system_sgpr_workgroup_id_y 0
		.amdhsa_system_sgpr_workgroup_id_z 0
		.amdhsa_system_sgpr_workgroup_info 0
		.amdhsa_system_vgpr_workitem_id 0
		.amdhsa_next_free_vgpr 1
		.amdhsa_next_free_sgpr 1
		.amdhsa_named_barrier_count 0
		.amdhsa_reserve_vcc 0
		.amdhsa_float_round_mode_32 0
		.amdhsa_float_round_mode_16_64 0
		.amdhsa_float_denorm_mode_32 3
		.amdhsa_float_denorm_mode_16_64 3
		.amdhsa_fp16_overflow 0
		.amdhsa_memory_ordered 1
		.amdhsa_forward_progress 1
		.amdhsa_inst_pref_size 0
		.amdhsa_round_robin_scheduling 0
		.amdhsa_exception_fp_ieee_invalid_op 0
		.amdhsa_exception_fp_denorm_src 0
		.amdhsa_exception_fp_ieee_div_zero 0
		.amdhsa_exception_fp_ieee_overflow 0
		.amdhsa_exception_fp_ieee_underflow 0
		.amdhsa_exception_fp_ieee_inexact 0
		.amdhsa_exception_int_div_zero 0
	.end_amdhsa_kernel
	.section	.text._ZN7rocprim17ROCPRIM_400000_NS6detail17trampoline_kernelINS0_14default_configENS1_27scan_by_key_config_selectorIsiEEZZNS1_16scan_by_key_implILNS1_25lookback_scan_determinismE0ELb1ES3_N6thrust23THRUST_200600_302600_NS6detail15normal_iteratorINS9_10device_ptrIsEEEESE_SE_iNS9_4plusIvEENS9_8equal_toIvEEiEE10hipError_tPvRmT2_T3_T4_T5_mT6_T7_P12ihipStream_tbENKUlT_T0_E_clISt17integral_constantIbLb1EESY_IbLb0EEEEDaSU_SV_EUlSU_E_NS1_11comp_targetILNS1_3genE5ELNS1_11target_archE942ELNS1_3gpuE9ELNS1_3repE0EEENS1_30default_config_static_selectorELNS0_4arch9wavefront6targetE0EEEvT1_,"axG",@progbits,_ZN7rocprim17ROCPRIM_400000_NS6detail17trampoline_kernelINS0_14default_configENS1_27scan_by_key_config_selectorIsiEEZZNS1_16scan_by_key_implILNS1_25lookback_scan_determinismE0ELb1ES3_N6thrust23THRUST_200600_302600_NS6detail15normal_iteratorINS9_10device_ptrIsEEEESE_SE_iNS9_4plusIvEENS9_8equal_toIvEEiEE10hipError_tPvRmT2_T3_T4_T5_mT6_T7_P12ihipStream_tbENKUlT_T0_E_clISt17integral_constantIbLb1EESY_IbLb0EEEEDaSU_SV_EUlSU_E_NS1_11comp_targetILNS1_3genE5ELNS1_11target_archE942ELNS1_3gpuE9ELNS1_3repE0EEENS1_30default_config_static_selectorELNS0_4arch9wavefront6targetE0EEEvT1_,comdat
.Lfunc_end1064:
	.size	_ZN7rocprim17ROCPRIM_400000_NS6detail17trampoline_kernelINS0_14default_configENS1_27scan_by_key_config_selectorIsiEEZZNS1_16scan_by_key_implILNS1_25lookback_scan_determinismE0ELb1ES3_N6thrust23THRUST_200600_302600_NS6detail15normal_iteratorINS9_10device_ptrIsEEEESE_SE_iNS9_4plusIvEENS9_8equal_toIvEEiEE10hipError_tPvRmT2_T3_T4_T5_mT6_T7_P12ihipStream_tbENKUlT_T0_E_clISt17integral_constantIbLb1EESY_IbLb0EEEEDaSU_SV_EUlSU_E_NS1_11comp_targetILNS1_3genE5ELNS1_11target_archE942ELNS1_3gpuE9ELNS1_3repE0EEENS1_30default_config_static_selectorELNS0_4arch9wavefront6targetE0EEEvT1_, .Lfunc_end1064-_ZN7rocprim17ROCPRIM_400000_NS6detail17trampoline_kernelINS0_14default_configENS1_27scan_by_key_config_selectorIsiEEZZNS1_16scan_by_key_implILNS1_25lookback_scan_determinismE0ELb1ES3_N6thrust23THRUST_200600_302600_NS6detail15normal_iteratorINS9_10device_ptrIsEEEESE_SE_iNS9_4plusIvEENS9_8equal_toIvEEiEE10hipError_tPvRmT2_T3_T4_T5_mT6_T7_P12ihipStream_tbENKUlT_T0_E_clISt17integral_constantIbLb1EESY_IbLb0EEEEDaSU_SV_EUlSU_E_NS1_11comp_targetILNS1_3genE5ELNS1_11target_archE942ELNS1_3gpuE9ELNS1_3repE0EEENS1_30default_config_static_selectorELNS0_4arch9wavefront6targetE0EEEvT1_
                                        ; -- End function
	.set _ZN7rocprim17ROCPRIM_400000_NS6detail17trampoline_kernelINS0_14default_configENS1_27scan_by_key_config_selectorIsiEEZZNS1_16scan_by_key_implILNS1_25lookback_scan_determinismE0ELb1ES3_N6thrust23THRUST_200600_302600_NS6detail15normal_iteratorINS9_10device_ptrIsEEEESE_SE_iNS9_4plusIvEENS9_8equal_toIvEEiEE10hipError_tPvRmT2_T3_T4_T5_mT6_T7_P12ihipStream_tbENKUlT_T0_E_clISt17integral_constantIbLb1EESY_IbLb0EEEEDaSU_SV_EUlSU_E_NS1_11comp_targetILNS1_3genE5ELNS1_11target_archE942ELNS1_3gpuE9ELNS1_3repE0EEENS1_30default_config_static_selectorELNS0_4arch9wavefront6targetE0EEEvT1_.num_vgpr, 0
	.set _ZN7rocprim17ROCPRIM_400000_NS6detail17trampoline_kernelINS0_14default_configENS1_27scan_by_key_config_selectorIsiEEZZNS1_16scan_by_key_implILNS1_25lookback_scan_determinismE0ELb1ES3_N6thrust23THRUST_200600_302600_NS6detail15normal_iteratorINS9_10device_ptrIsEEEESE_SE_iNS9_4plusIvEENS9_8equal_toIvEEiEE10hipError_tPvRmT2_T3_T4_T5_mT6_T7_P12ihipStream_tbENKUlT_T0_E_clISt17integral_constantIbLb1EESY_IbLb0EEEEDaSU_SV_EUlSU_E_NS1_11comp_targetILNS1_3genE5ELNS1_11target_archE942ELNS1_3gpuE9ELNS1_3repE0EEENS1_30default_config_static_selectorELNS0_4arch9wavefront6targetE0EEEvT1_.num_agpr, 0
	.set _ZN7rocprim17ROCPRIM_400000_NS6detail17trampoline_kernelINS0_14default_configENS1_27scan_by_key_config_selectorIsiEEZZNS1_16scan_by_key_implILNS1_25lookback_scan_determinismE0ELb1ES3_N6thrust23THRUST_200600_302600_NS6detail15normal_iteratorINS9_10device_ptrIsEEEESE_SE_iNS9_4plusIvEENS9_8equal_toIvEEiEE10hipError_tPvRmT2_T3_T4_T5_mT6_T7_P12ihipStream_tbENKUlT_T0_E_clISt17integral_constantIbLb1EESY_IbLb0EEEEDaSU_SV_EUlSU_E_NS1_11comp_targetILNS1_3genE5ELNS1_11target_archE942ELNS1_3gpuE9ELNS1_3repE0EEENS1_30default_config_static_selectorELNS0_4arch9wavefront6targetE0EEEvT1_.numbered_sgpr, 0
	.set _ZN7rocprim17ROCPRIM_400000_NS6detail17trampoline_kernelINS0_14default_configENS1_27scan_by_key_config_selectorIsiEEZZNS1_16scan_by_key_implILNS1_25lookback_scan_determinismE0ELb1ES3_N6thrust23THRUST_200600_302600_NS6detail15normal_iteratorINS9_10device_ptrIsEEEESE_SE_iNS9_4plusIvEENS9_8equal_toIvEEiEE10hipError_tPvRmT2_T3_T4_T5_mT6_T7_P12ihipStream_tbENKUlT_T0_E_clISt17integral_constantIbLb1EESY_IbLb0EEEEDaSU_SV_EUlSU_E_NS1_11comp_targetILNS1_3genE5ELNS1_11target_archE942ELNS1_3gpuE9ELNS1_3repE0EEENS1_30default_config_static_selectorELNS0_4arch9wavefront6targetE0EEEvT1_.num_named_barrier, 0
	.set _ZN7rocprim17ROCPRIM_400000_NS6detail17trampoline_kernelINS0_14default_configENS1_27scan_by_key_config_selectorIsiEEZZNS1_16scan_by_key_implILNS1_25lookback_scan_determinismE0ELb1ES3_N6thrust23THRUST_200600_302600_NS6detail15normal_iteratorINS9_10device_ptrIsEEEESE_SE_iNS9_4plusIvEENS9_8equal_toIvEEiEE10hipError_tPvRmT2_T3_T4_T5_mT6_T7_P12ihipStream_tbENKUlT_T0_E_clISt17integral_constantIbLb1EESY_IbLb0EEEEDaSU_SV_EUlSU_E_NS1_11comp_targetILNS1_3genE5ELNS1_11target_archE942ELNS1_3gpuE9ELNS1_3repE0EEENS1_30default_config_static_selectorELNS0_4arch9wavefront6targetE0EEEvT1_.private_seg_size, 0
	.set _ZN7rocprim17ROCPRIM_400000_NS6detail17trampoline_kernelINS0_14default_configENS1_27scan_by_key_config_selectorIsiEEZZNS1_16scan_by_key_implILNS1_25lookback_scan_determinismE0ELb1ES3_N6thrust23THRUST_200600_302600_NS6detail15normal_iteratorINS9_10device_ptrIsEEEESE_SE_iNS9_4plusIvEENS9_8equal_toIvEEiEE10hipError_tPvRmT2_T3_T4_T5_mT6_T7_P12ihipStream_tbENKUlT_T0_E_clISt17integral_constantIbLb1EESY_IbLb0EEEEDaSU_SV_EUlSU_E_NS1_11comp_targetILNS1_3genE5ELNS1_11target_archE942ELNS1_3gpuE9ELNS1_3repE0EEENS1_30default_config_static_selectorELNS0_4arch9wavefront6targetE0EEEvT1_.uses_vcc, 0
	.set _ZN7rocprim17ROCPRIM_400000_NS6detail17trampoline_kernelINS0_14default_configENS1_27scan_by_key_config_selectorIsiEEZZNS1_16scan_by_key_implILNS1_25lookback_scan_determinismE0ELb1ES3_N6thrust23THRUST_200600_302600_NS6detail15normal_iteratorINS9_10device_ptrIsEEEESE_SE_iNS9_4plusIvEENS9_8equal_toIvEEiEE10hipError_tPvRmT2_T3_T4_T5_mT6_T7_P12ihipStream_tbENKUlT_T0_E_clISt17integral_constantIbLb1EESY_IbLb0EEEEDaSU_SV_EUlSU_E_NS1_11comp_targetILNS1_3genE5ELNS1_11target_archE942ELNS1_3gpuE9ELNS1_3repE0EEENS1_30default_config_static_selectorELNS0_4arch9wavefront6targetE0EEEvT1_.uses_flat_scratch, 0
	.set _ZN7rocprim17ROCPRIM_400000_NS6detail17trampoline_kernelINS0_14default_configENS1_27scan_by_key_config_selectorIsiEEZZNS1_16scan_by_key_implILNS1_25lookback_scan_determinismE0ELb1ES3_N6thrust23THRUST_200600_302600_NS6detail15normal_iteratorINS9_10device_ptrIsEEEESE_SE_iNS9_4plusIvEENS9_8equal_toIvEEiEE10hipError_tPvRmT2_T3_T4_T5_mT6_T7_P12ihipStream_tbENKUlT_T0_E_clISt17integral_constantIbLb1EESY_IbLb0EEEEDaSU_SV_EUlSU_E_NS1_11comp_targetILNS1_3genE5ELNS1_11target_archE942ELNS1_3gpuE9ELNS1_3repE0EEENS1_30default_config_static_selectorELNS0_4arch9wavefront6targetE0EEEvT1_.has_dyn_sized_stack, 0
	.set _ZN7rocprim17ROCPRIM_400000_NS6detail17trampoline_kernelINS0_14default_configENS1_27scan_by_key_config_selectorIsiEEZZNS1_16scan_by_key_implILNS1_25lookback_scan_determinismE0ELb1ES3_N6thrust23THRUST_200600_302600_NS6detail15normal_iteratorINS9_10device_ptrIsEEEESE_SE_iNS9_4plusIvEENS9_8equal_toIvEEiEE10hipError_tPvRmT2_T3_T4_T5_mT6_T7_P12ihipStream_tbENKUlT_T0_E_clISt17integral_constantIbLb1EESY_IbLb0EEEEDaSU_SV_EUlSU_E_NS1_11comp_targetILNS1_3genE5ELNS1_11target_archE942ELNS1_3gpuE9ELNS1_3repE0EEENS1_30default_config_static_selectorELNS0_4arch9wavefront6targetE0EEEvT1_.has_recursion, 0
	.set _ZN7rocprim17ROCPRIM_400000_NS6detail17trampoline_kernelINS0_14default_configENS1_27scan_by_key_config_selectorIsiEEZZNS1_16scan_by_key_implILNS1_25lookback_scan_determinismE0ELb1ES3_N6thrust23THRUST_200600_302600_NS6detail15normal_iteratorINS9_10device_ptrIsEEEESE_SE_iNS9_4plusIvEENS9_8equal_toIvEEiEE10hipError_tPvRmT2_T3_T4_T5_mT6_T7_P12ihipStream_tbENKUlT_T0_E_clISt17integral_constantIbLb1EESY_IbLb0EEEEDaSU_SV_EUlSU_E_NS1_11comp_targetILNS1_3genE5ELNS1_11target_archE942ELNS1_3gpuE9ELNS1_3repE0EEENS1_30default_config_static_selectorELNS0_4arch9wavefront6targetE0EEEvT1_.has_indirect_call, 0
	.section	.AMDGPU.csdata,"",@progbits
; Kernel info:
; codeLenInByte = 0
; TotalNumSgprs: 0
; NumVgprs: 0
; ScratchSize: 0
; MemoryBound: 0
; FloatMode: 240
; IeeeMode: 1
; LDSByteSize: 0 bytes/workgroup (compile time only)
; SGPRBlocks: 0
; VGPRBlocks: 0
; NumSGPRsForWavesPerEU: 1
; NumVGPRsForWavesPerEU: 1
; NamedBarCnt: 0
; Occupancy: 16
; WaveLimiterHint : 0
; COMPUTE_PGM_RSRC2:SCRATCH_EN: 0
; COMPUTE_PGM_RSRC2:USER_SGPR: 2
; COMPUTE_PGM_RSRC2:TRAP_HANDLER: 0
; COMPUTE_PGM_RSRC2:TGID_X_EN: 1
; COMPUTE_PGM_RSRC2:TGID_Y_EN: 0
; COMPUTE_PGM_RSRC2:TGID_Z_EN: 0
; COMPUTE_PGM_RSRC2:TIDIG_COMP_CNT: 0
	.section	.text._ZN7rocprim17ROCPRIM_400000_NS6detail17trampoline_kernelINS0_14default_configENS1_27scan_by_key_config_selectorIsiEEZZNS1_16scan_by_key_implILNS1_25lookback_scan_determinismE0ELb1ES3_N6thrust23THRUST_200600_302600_NS6detail15normal_iteratorINS9_10device_ptrIsEEEESE_SE_iNS9_4plusIvEENS9_8equal_toIvEEiEE10hipError_tPvRmT2_T3_T4_T5_mT6_T7_P12ihipStream_tbENKUlT_T0_E_clISt17integral_constantIbLb1EESY_IbLb0EEEEDaSU_SV_EUlSU_E_NS1_11comp_targetILNS1_3genE4ELNS1_11target_archE910ELNS1_3gpuE8ELNS1_3repE0EEENS1_30default_config_static_selectorELNS0_4arch9wavefront6targetE0EEEvT1_,"axG",@progbits,_ZN7rocprim17ROCPRIM_400000_NS6detail17trampoline_kernelINS0_14default_configENS1_27scan_by_key_config_selectorIsiEEZZNS1_16scan_by_key_implILNS1_25lookback_scan_determinismE0ELb1ES3_N6thrust23THRUST_200600_302600_NS6detail15normal_iteratorINS9_10device_ptrIsEEEESE_SE_iNS9_4plusIvEENS9_8equal_toIvEEiEE10hipError_tPvRmT2_T3_T4_T5_mT6_T7_P12ihipStream_tbENKUlT_T0_E_clISt17integral_constantIbLb1EESY_IbLb0EEEEDaSU_SV_EUlSU_E_NS1_11comp_targetILNS1_3genE4ELNS1_11target_archE910ELNS1_3gpuE8ELNS1_3repE0EEENS1_30default_config_static_selectorELNS0_4arch9wavefront6targetE0EEEvT1_,comdat
	.protected	_ZN7rocprim17ROCPRIM_400000_NS6detail17trampoline_kernelINS0_14default_configENS1_27scan_by_key_config_selectorIsiEEZZNS1_16scan_by_key_implILNS1_25lookback_scan_determinismE0ELb1ES3_N6thrust23THRUST_200600_302600_NS6detail15normal_iteratorINS9_10device_ptrIsEEEESE_SE_iNS9_4plusIvEENS9_8equal_toIvEEiEE10hipError_tPvRmT2_T3_T4_T5_mT6_T7_P12ihipStream_tbENKUlT_T0_E_clISt17integral_constantIbLb1EESY_IbLb0EEEEDaSU_SV_EUlSU_E_NS1_11comp_targetILNS1_3genE4ELNS1_11target_archE910ELNS1_3gpuE8ELNS1_3repE0EEENS1_30default_config_static_selectorELNS0_4arch9wavefront6targetE0EEEvT1_ ; -- Begin function _ZN7rocprim17ROCPRIM_400000_NS6detail17trampoline_kernelINS0_14default_configENS1_27scan_by_key_config_selectorIsiEEZZNS1_16scan_by_key_implILNS1_25lookback_scan_determinismE0ELb1ES3_N6thrust23THRUST_200600_302600_NS6detail15normal_iteratorINS9_10device_ptrIsEEEESE_SE_iNS9_4plusIvEENS9_8equal_toIvEEiEE10hipError_tPvRmT2_T3_T4_T5_mT6_T7_P12ihipStream_tbENKUlT_T0_E_clISt17integral_constantIbLb1EESY_IbLb0EEEEDaSU_SV_EUlSU_E_NS1_11comp_targetILNS1_3genE4ELNS1_11target_archE910ELNS1_3gpuE8ELNS1_3repE0EEENS1_30default_config_static_selectorELNS0_4arch9wavefront6targetE0EEEvT1_
	.globl	_ZN7rocprim17ROCPRIM_400000_NS6detail17trampoline_kernelINS0_14default_configENS1_27scan_by_key_config_selectorIsiEEZZNS1_16scan_by_key_implILNS1_25lookback_scan_determinismE0ELb1ES3_N6thrust23THRUST_200600_302600_NS6detail15normal_iteratorINS9_10device_ptrIsEEEESE_SE_iNS9_4plusIvEENS9_8equal_toIvEEiEE10hipError_tPvRmT2_T3_T4_T5_mT6_T7_P12ihipStream_tbENKUlT_T0_E_clISt17integral_constantIbLb1EESY_IbLb0EEEEDaSU_SV_EUlSU_E_NS1_11comp_targetILNS1_3genE4ELNS1_11target_archE910ELNS1_3gpuE8ELNS1_3repE0EEENS1_30default_config_static_selectorELNS0_4arch9wavefront6targetE0EEEvT1_
	.p2align	8
	.type	_ZN7rocprim17ROCPRIM_400000_NS6detail17trampoline_kernelINS0_14default_configENS1_27scan_by_key_config_selectorIsiEEZZNS1_16scan_by_key_implILNS1_25lookback_scan_determinismE0ELb1ES3_N6thrust23THRUST_200600_302600_NS6detail15normal_iteratorINS9_10device_ptrIsEEEESE_SE_iNS9_4plusIvEENS9_8equal_toIvEEiEE10hipError_tPvRmT2_T3_T4_T5_mT6_T7_P12ihipStream_tbENKUlT_T0_E_clISt17integral_constantIbLb1EESY_IbLb0EEEEDaSU_SV_EUlSU_E_NS1_11comp_targetILNS1_3genE4ELNS1_11target_archE910ELNS1_3gpuE8ELNS1_3repE0EEENS1_30default_config_static_selectorELNS0_4arch9wavefront6targetE0EEEvT1_,@function
_ZN7rocprim17ROCPRIM_400000_NS6detail17trampoline_kernelINS0_14default_configENS1_27scan_by_key_config_selectorIsiEEZZNS1_16scan_by_key_implILNS1_25lookback_scan_determinismE0ELb1ES3_N6thrust23THRUST_200600_302600_NS6detail15normal_iteratorINS9_10device_ptrIsEEEESE_SE_iNS9_4plusIvEENS9_8equal_toIvEEiEE10hipError_tPvRmT2_T3_T4_T5_mT6_T7_P12ihipStream_tbENKUlT_T0_E_clISt17integral_constantIbLb1EESY_IbLb0EEEEDaSU_SV_EUlSU_E_NS1_11comp_targetILNS1_3genE4ELNS1_11target_archE910ELNS1_3gpuE8ELNS1_3repE0EEENS1_30default_config_static_selectorELNS0_4arch9wavefront6targetE0EEEvT1_: ; @_ZN7rocprim17ROCPRIM_400000_NS6detail17trampoline_kernelINS0_14default_configENS1_27scan_by_key_config_selectorIsiEEZZNS1_16scan_by_key_implILNS1_25lookback_scan_determinismE0ELb1ES3_N6thrust23THRUST_200600_302600_NS6detail15normal_iteratorINS9_10device_ptrIsEEEESE_SE_iNS9_4plusIvEENS9_8equal_toIvEEiEE10hipError_tPvRmT2_T3_T4_T5_mT6_T7_P12ihipStream_tbENKUlT_T0_E_clISt17integral_constantIbLb1EESY_IbLb0EEEEDaSU_SV_EUlSU_E_NS1_11comp_targetILNS1_3genE4ELNS1_11target_archE910ELNS1_3gpuE8ELNS1_3repE0EEENS1_30default_config_static_selectorELNS0_4arch9wavefront6targetE0EEEvT1_
; %bb.0:
	.section	.rodata,"a",@progbits
	.p2align	6, 0x0
	.amdhsa_kernel _ZN7rocprim17ROCPRIM_400000_NS6detail17trampoline_kernelINS0_14default_configENS1_27scan_by_key_config_selectorIsiEEZZNS1_16scan_by_key_implILNS1_25lookback_scan_determinismE0ELb1ES3_N6thrust23THRUST_200600_302600_NS6detail15normal_iteratorINS9_10device_ptrIsEEEESE_SE_iNS9_4plusIvEENS9_8equal_toIvEEiEE10hipError_tPvRmT2_T3_T4_T5_mT6_T7_P12ihipStream_tbENKUlT_T0_E_clISt17integral_constantIbLb1EESY_IbLb0EEEEDaSU_SV_EUlSU_E_NS1_11comp_targetILNS1_3genE4ELNS1_11target_archE910ELNS1_3gpuE8ELNS1_3repE0EEENS1_30default_config_static_selectorELNS0_4arch9wavefront6targetE0EEEvT1_
		.amdhsa_group_segment_fixed_size 0
		.amdhsa_private_segment_fixed_size 0
		.amdhsa_kernarg_size 112
		.amdhsa_user_sgpr_count 2
		.amdhsa_user_sgpr_dispatch_ptr 0
		.amdhsa_user_sgpr_queue_ptr 0
		.amdhsa_user_sgpr_kernarg_segment_ptr 1
		.amdhsa_user_sgpr_dispatch_id 0
		.amdhsa_user_sgpr_kernarg_preload_length 0
		.amdhsa_user_sgpr_kernarg_preload_offset 0
		.amdhsa_user_sgpr_private_segment_size 0
		.amdhsa_wavefront_size32 1
		.amdhsa_uses_dynamic_stack 0
		.amdhsa_enable_private_segment 0
		.amdhsa_system_sgpr_workgroup_id_x 1
		.amdhsa_system_sgpr_workgroup_id_y 0
		.amdhsa_system_sgpr_workgroup_id_z 0
		.amdhsa_system_sgpr_workgroup_info 0
		.amdhsa_system_vgpr_workitem_id 0
		.amdhsa_next_free_vgpr 1
		.amdhsa_next_free_sgpr 1
		.amdhsa_named_barrier_count 0
		.amdhsa_reserve_vcc 0
		.amdhsa_float_round_mode_32 0
		.amdhsa_float_round_mode_16_64 0
		.amdhsa_float_denorm_mode_32 3
		.amdhsa_float_denorm_mode_16_64 3
		.amdhsa_fp16_overflow 0
		.amdhsa_memory_ordered 1
		.amdhsa_forward_progress 1
		.amdhsa_inst_pref_size 0
		.amdhsa_round_robin_scheduling 0
		.amdhsa_exception_fp_ieee_invalid_op 0
		.amdhsa_exception_fp_denorm_src 0
		.amdhsa_exception_fp_ieee_div_zero 0
		.amdhsa_exception_fp_ieee_overflow 0
		.amdhsa_exception_fp_ieee_underflow 0
		.amdhsa_exception_fp_ieee_inexact 0
		.amdhsa_exception_int_div_zero 0
	.end_amdhsa_kernel
	.section	.text._ZN7rocprim17ROCPRIM_400000_NS6detail17trampoline_kernelINS0_14default_configENS1_27scan_by_key_config_selectorIsiEEZZNS1_16scan_by_key_implILNS1_25lookback_scan_determinismE0ELb1ES3_N6thrust23THRUST_200600_302600_NS6detail15normal_iteratorINS9_10device_ptrIsEEEESE_SE_iNS9_4plusIvEENS9_8equal_toIvEEiEE10hipError_tPvRmT2_T3_T4_T5_mT6_T7_P12ihipStream_tbENKUlT_T0_E_clISt17integral_constantIbLb1EESY_IbLb0EEEEDaSU_SV_EUlSU_E_NS1_11comp_targetILNS1_3genE4ELNS1_11target_archE910ELNS1_3gpuE8ELNS1_3repE0EEENS1_30default_config_static_selectorELNS0_4arch9wavefront6targetE0EEEvT1_,"axG",@progbits,_ZN7rocprim17ROCPRIM_400000_NS6detail17trampoline_kernelINS0_14default_configENS1_27scan_by_key_config_selectorIsiEEZZNS1_16scan_by_key_implILNS1_25lookback_scan_determinismE0ELb1ES3_N6thrust23THRUST_200600_302600_NS6detail15normal_iteratorINS9_10device_ptrIsEEEESE_SE_iNS9_4plusIvEENS9_8equal_toIvEEiEE10hipError_tPvRmT2_T3_T4_T5_mT6_T7_P12ihipStream_tbENKUlT_T0_E_clISt17integral_constantIbLb1EESY_IbLb0EEEEDaSU_SV_EUlSU_E_NS1_11comp_targetILNS1_3genE4ELNS1_11target_archE910ELNS1_3gpuE8ELNS1_3repE0EEENS1_30default_config_static_selectorELNS0_4arch9wavefront6targetE0EEEvT1_,comdat
.Lfunc_end1065:
	.size	_ZN7rocprim17ROCPRIM_400000_NS6detail17trampoline_kernelINS0_14default_configENS1_27scan_by_key_config_selectorIsiEEZZNS1_16scan_by_key_implILNS1_25lookback_scan_determinismE0ELb1ES3_N6thrust23THRUST_200600_302600_NS6detail15normal_iteratorINS9_10device_ptrIsEEEESE_SE_iNS9_4plusIvEENS9_8equal_toIvEEiEE10hipError_tPvRmT2_T3_T4_T5_mT6_T7_P12ihipStream_tbENKUlT_T0_E_clISt17integral_constantIbLb1EESY_IbLb0EEEEDaSU_SV_EUlSU_E_NS1_11comp_targetILNS1_3genE4ELNS1_11target_archE910ELNS1_3gpuE8ELNS1_3repE0EEENS1_30default_config_static_selectorELNS0_4arch9wavefront6targetE0EEEvT1_, .Lfunc_end1065-_ZN7rocprim17ROCPRIM_400000_NS6detail17trampoline_kernelINS0_14default_configENS1_27scan_by_key_config_selectorIsiEEZZNS1_16scan_by_key_implILNS1_25lookback_scan_determinismE0ELb1ES3_N6thrust23THRUST_200600_302600_NS6detail15normal_iteratorINS9_10device_ptrIsEEEESE_SE_iNS9_4plusIvEENS9_8equal_toIvEEiEE10hipError_tPvRmT2_T3_T4_T5_mT6_T7_P12ihipStream_tbENKUlT_T0_E_clISt17integral_constantIbLb1EESY_IbLb0EEEEDaSU_SV_EUlSU_E_NS1_11comp_targetILNS1_3genE4ELNS1_11target_archE910ELNS1_3gpuE8ELNS1_3repE0EEENS1_30default_config_static_selectorELNS0_4arch9wavefront6targetE0EEEvT1_
                                        ; -- End function
	.set _ZN7rocprim17ROCPRIM_400000_NS6detail17trampoline_kernelINS0_14default_configENS1_27scan_by_key_config_selectorIsiEEZZNS1_16scan_by_key_implILNS1_25lookback_scan_determinismE0ELb1ES3_N6thrust23THRUST_200600_302600_NS6detail15normal_iteratorINS9_10device_ptrIsEEEESE_SE_iNS9_4plusIvEENS9_8equal_toIvEEiEE10hipError_tPvRmT2_T3_T4_T5_mT6_T7_P12ihipStream_tbENKUlT_T0_E_clISt17integral_constantIbLb1EESY_IbLb0EEEEDaSU_SV_EUlSU_E_NS1_11comp_targetILNS1_3genE4ELNS1_11target_archE910ELNS1_3gpuE8ELNS1_3repE0EEENS1_30default_config_static_selectorELNS0_4arch9wavefront6targetE0EEEvT1_.num_vgpr, 0
	.set _ZN7rocprim17ROCPRIM_400000_NS6detail17trampoline_kernelINS0_14default_configENS1_27scan_by_key_config_selectorIsiEEZZNS1_16scan_by_key_implILNS1_25lookback_scan_determinismE0ELb1ES3_N6thrust23THRUST_200600_302600_NS6detail15normal_iteratorINS9_10device_ptrIsEEEESE_SE_iNS9_4plusIvEENS9_8equal_toIvEEiEE10hipError_tPvRmT2_T3_T4_T5_mT6_T7_P12ihipStream_tbENKUlT_T0_E_clISt17integral_constantIbLb1EESY_IbLb0EEEEDaSU_SV_EUlSU_E_NS1_11comp_targetILNS1_3genE4ELNS1_11target_archE910ELNS1_3gpuE8ELNS1_3repE0EEENS1_30default_config_static_selectorELNS0_4arch9wavefront6targetE0EEEvT1_.num_agpr, 0
	.set _ZN7rocprim17ROCPRIM_400000_NS6detail17trampoline_kernelINS0_14default_configENS1_27scan_by_key_config_selectorIsiEEZZNS1_16scan_by_key_implILNS1_25lookback_scan_determinismE0ELb1ES3_N6thrust23THRUST_200600_302600_NS6detail15normal_iteratorINS9_10device_ptrIsEEEESE_SE_iNS9_4plusIvEENS9_8equal_toIvEEiEE10hipError_tPvRmT2_T3_T4_T5_mT6_T7_P12ihipStream_tbENKUlT_T0_E_clISt17integral_constantIbLb1EESY_IbLb0EEEEDaSU_SV_EUlSU_E_NS1_11comp_targetILNS1_3genE4ELNS1_11target_archE910ELNS1_3gpuE8ELNS1_3repE0EEENS1_30default_config_static_selectorELNS0_4arch9wavefront6targetE0EEEvT1_.numbered_sgpr, 0
	.set _ZN7rocprim17ROCPRIM_400000_NS6detail17trampoline_kernelINS0_14default_configENS1_27scan_by_key_config_selectorIsiEEZZNS1_16scan_by_key_implILNS1_25lookback_scan_determinismE0ELb1ES3_N6thrust23THRUST_200600_302600_NS6detail15normal_iteratorINS9_10device_ptrIsEEEESE_SE_iNS9_4plusIvEENS9_8equal_toIvEEiEE10hipError_tPvRmT2_T3_T4_T5_mT6_T7_P12ihipStream_tbENKUlT_T0_E_clISt17integral_constantIbLb1EESY_IbLb0EEEEDaSU_SV_EUlSU_E_NS1_11comp_targetILNS1_3genE4ELNS1_11target_archE910ELNS1_3gpuE8ELNS1_3repE0EEENS1_30default_config_static_selectorELNS0_4arch9wavefront6targetE0EEEvT1_.num_named_barrier, 0
	.set _ZN7rocprim17ROCPRIM_400000_NS6detail17trampoline_kernelINS0_14default_configENS1_27scan_by_key_config_selectorIsiEEZZNS1_16scan_by_key_implILNS1_25lookback_scan_determinismE0ELb1ES3_N6thrust23THRUST_200600_302600_NS6detail15normal_iteratorINS9_10device_ptrIsEEEESE_SE_iNS9_4plusIvEENS9_8equal_toIvEEiEE10hipError_tPvRmT2_T3_T4_T5_mT6_T7_P12ihipStream_tbENKUlT_T0_E_clISt17integral_constantIbLb1EESY_IbLb0EEEEDaSU_SV_EUlSU_E_NS1_11comp_targetILNS1_3genE4ELNS1_11target_archE910ELNS1_3gpuE8ELNS1_3repE0EEENS1_30default_config_static_selectorELNS0_4arch9wavefront6targetE0EEEvT1_.private_seg_size, 0
	.set _ZN7rocprim17ROCPRIM_400000_NS6detail17trampoline_kernelINS0_14default_configENS1_27scan_by_key_config_selectorIsiEEZZNS1_16scan_by_key_implILNS1_25lookback_scan_determinismE0ELb1ES3_N6thrust23THRUST_200600_302600_NS6detail15normal_iteratorINS9_10device_ptrIsEEEESE_SE_iNS9_4plusIvEENS9_8equal_toIvEEiEE10hipError_tPvRmT2_T3_T4_T5_mT6_T7_P12ihipStream_tbENKUlT_T0_E_clISt17integral_constantIbLb1EESY_IbLb0EEEEDaSU_SV_EUlSU_E_NS1_11comp_targetILNS1_3genE4ELNS1_11target_archE910ELNS1_3gpuE8ELNS1_3repE0EEENS1_30default_config_static_selectorELNS0_4arch9wavefront6targetE0EEEvT1_.uses_vcc, 0
	.set _ZN7rocprim17ROCPRIM_400000_NS6detail17trampoline_kernelINS0_14default_configENS1_27scan_by_key_config_selectorIsiEEZZNS1_16scan_by_key_implILNS1_25lookback_scan_determinismE0ELb1ES3_N6thrust23THRUST_200600_302600_NS6detail15normal_iteratorINS9_10device_ptrIsEEEESE_SE_iNS9_4plusIvEENS9_8equal_toIvEEiEE10hipError_tPvRmT2_T3_T4_T5_mT6_T7_P12ihipStream_tbENKUlT_T0_E_clISt17integral_constantIbLb1EESY_IbLb0EEEEDaSU_SV_EUlSU_E_NS1_11comp_targetILNS1_3genE4ELNS1_11target_archE910ELNS1_3gpuE8ELNS1_3repE0EEENS1_30default_config_static_selectorELNS0_4arch9wavefront6targetE0EEEvT1_.uses_flat_scratch, 0
	.set _ZN7rocprim17ROCPRIM_400000_NS6detail17trampoline_kernelINS0_14default_configENS1_27scan_by_key_config_selectorIsiEEZZNS1_16scan_by_key_implILNS1_25lookback_scan_determinismE0ELb1ES3_N6thrust23THRUST_200600_302600_NS6detail15normal_iteratorINS9_10device_ptrIsEEEESE_SE_iNS9_4plusIvEENS9_8equal_toIvEEiEE10hipError_tPvRmT2_T3_T4_T5_mT6_T7_P12ihipStream_tbENKUlT_T0_E_clISt17integral_constantIbLb1EESY_IbLb0EEEEDaSU_SV_EUlSU_E_NS1_11comp_targetILNS1_3genE4ELNS1_11target_archE910ELNS1_3gpuE8ELNS1_3repE0EEENS1_30default_config_static_selectorELNS0_4arch9wavefront6targetE0EEEvT1_.has_dyn_sized_stack, 0
	.set _ZN7rocprim17ROCPRIM_400000_NS6detail17trampoline_kernelINS0_14default_configENS1_27scan_by_key_config_selectorIsiEEZZNS1_16scan_by_key_implILNS1_25lookback_scan_determinismE0ELb1ES3_N6thrust23THRUST_200600_302600_NS6detail15normal_iteratorINS9_10device_ptrIsEEEESE_SE_iNS9_4plusIvEENS9_8equal_toIvEEiEE10hipError_tPvRmT2_T3_T4_T5_mT6_T7_P12ihipStream_tbENKUlT_T0_E_clISt17integral_constantIbLb1EESY_IbLb0EEEEDaSU_SV_EUlSU_E_NS1_11comp_targetILNS1_3genE4ELNS1_11target_archE910ELNS1_3gpuE8ELNS1_3repE0EEENS1_30default_config_static_selectorELNS0_4arch9wavefront6targetE0EEEvT1_.has_recursion, 0
	.set _ZN7rocprim17ROCPRIM_400000_NS6detail17trampoline_kernelINS0_14default_configENS1_27scan_by_key_config_selectorIsiEEZZNS1_16scan_by_key_implILNS1_25lookback_scan_determinismE0ELb1ES3_N6thrust23THRUST_200600_302600_NS6detail15normal_iteratorINS9_10device_ptrIsEEEESE_SE_iNS9_4plusIvEENS9_8equal_toIvEEiEE10hipError_tPvRmT2_T3_T4_T5_mT6_T7_P12ihipStream_tbENKUlT_T0_E_clISt17integral_constantIbLb1EESY_IbLb0EEEEDaSU_SV_EUlSU_E_NS1_11comp_targetILNS1_3genE4ELNS1_11target_archE910ELNS1_3gpuE8ELNS1_3repE0EEENS1_30default_config_static_selectorELNS0_4arch9wavefront6targetE0EEEvT1_.has_indirect_call, 0
	.section	.AMDGPU.csdata,"",@progbits
; Kernel info:
; codeLenInByte = 0
; TotalNumSgprs: 0
; NumVgprs: 0
; ScratchSize: 0
; MemoryBound: 0
; FloatMode: 240
; IeeeMode: 1
; LDSByteSize: 0 bytes/workgroup (compile time only)
; SGPRBlocks: 0
; VGPRBlocks: 0
; NumSGPRsForWavesPerEU: 1
; NumVGPRsForWavesPerEU: 1
; NamedBarCnt: 0
; Occupancy: 16
; WaveLimiterHint : 0
; COMPUTE_PGM_RSRC2:SCRATCH_EN: 0
; COMPUTE_PGM_RSRC2:USER_SGPR: 2
; COMPUTE_PGM_RSRC2:TRAP_HANDLER: 0
; COMPUTE_PGM_RSRC2:TGID_X_EN: 1
; COMPUTE_PGM_RSRC2:TGID_Y_EN: 0
; COMPUTE_PGM_RSRC2:TGID_Z_EN: 0
; COMPUTE_PGM_RSRC2:TIDIG_COMP_CNT: 0
	.section	.text._ZN7rocprim17ROCPRIM_400000_NS6detail17trampoline_kernelINS0_14default_configENS1_27scan_by_key_config_selectorIsiEEZZNS1_16scan_by_key_implILNS1_25lookback_scan_determinismE0ELb1ES3_N6thrust23THRUST_200600_302600_NS6detail15normal_iteratorINS9_10device_ptrIsEEEESE_SE_iNS9_4plusIvEENS9_8equal_toIvEEiEE10hipError_tPvRmT2_T3_T4_T5_mT6_T7_P12ihipStream_tbENKUlT_T0_E_clISt17integral_constantIbLb1EESY_IbLb0EEEEDaSU_SV_EUlSU_E_NS1_11comp_targetILNS1_3genE3ELNS1_11target_archE908ELNS1_3gpuE7ELNS1_3repE0EEENS1_30default_config_static_selectorELNS0_4arch9wavefront6targetE0EEEvT1_,"axG",@progbits,_ZN7rocprim17ROCPRIM_400000_NS6detail17trampoline_kernelINS0_14default_configENS1_27scan_by_key_config_selectorIsiEEZZNS1_16scan_by_key_implILNS1_25lookback_scan_determinismE0ELb1ES3_N6thrust23THRUST_200600_302600_NS6detail15normal_iteratorINS9_10device_ptrIsEEEESE_SE_iNS9_4plusIvEENS9_8equal_toIvEEiEE10hipError_tPvRmT2_T3_T4_T5_mT6_T7_P12ihipStream_tbENKUlT_T0_E_clISt17integral_constantIbLb1EESY_IbLb0EEEEDaSU_SV_EUlSU_E_NS1_11comp_targetILNS1_3genE3ELNS1_11target_archE908ELNS1_3gpuE7ELNS1_3repE0EEENS1_30default_config_static_selectorELNS0_4arch9wavefront6targetE0EEEvT1_,comdat
	.protected	_ZN7rocprim17ROCPRIM_400000_NS6detail17trampoline_kernelINS0_14default_configENS1_27scan_by_key_config_selectorIsiEEZZNS1_16scan_by_key_implILNS1_25lookback_scan_determinismE0ELb1ES3_N6thrust23THRUST_200600_302600_NS6detail15normal_iteratorINS9_10device_ptrIsEEEESE_SE_iNS9_4plusIvEENS9_8equal_toIvEEiEE10hipError_tPvRmT2_T3_T4_T5_mT6_T7_P12ihipStream_tbENKUlT_T0_E_clISt17integral_constantIbLb1EESY_IbLb0EEEEDaSU_SV_EUlSU_E_NS1_11comp_targetILNS1_3genE3ELNS1_11target_archE908ELNS1_3gpuE7ELNS1_3repE0EEENS1_30default_config_static_selectorELNS0_4arch9wavefront6targetE0EEEvT1_ ; -- Begin function _ZN7rocprim17ROCPRIM_400000_NS6detail17trampoline_kernelINS0_14default_configENS1_27scan_by_key_config_selectorIsiEEZZNS1_16scan_by_key_implILNS1_25lookback_scan_determinismE0ELb1ES3_N6thrust23THRUST_200600_302600_NS6detail15normal_iteratorINS9_10device_ptrIsEEEESE_SE_iNS9_4plusIvEENS9_8equal_toIvEEiEE10hipError_tPvRmT2_T3_T4_T5_mT6_T7_P12ihipStream_tbENKUlT_T0_E_clISt17integral_constantIbLb1EESY_IbLb0EEEEDaSU_SV_EUlSU_E_NS1_11comp_targetILNS1_3genE3ELNS1_11target_archE908ELNS1_3gpuE7ELNS1_3repE0EEENS1_30default_config_static_selectorELNS0_4arch9wavefront6targetE0EEEvT1_
	.globl	_ZN7rocprim17ROCPRIM_400000_NS6detail17trampoline_kernelINS0_14default_configENS1_27scan_by_key_config_selectorIsiEEZZNS1_16scan_by_key_implILNS1_25lookback_scan_determinismE0ELb1ES3_N6thrust23THRUST_200600_302600_NS6detail15normal_iteratorINS9_10device_ptrIsEEEESE_SE_iNS9_4plusIvEENS9_8equal_toIvEEiEE10hipError_tPvRmT2_T3_T4_T5_mT6_T7_P12ihipStream_tbENKUlT_T0_E_clISt17integral_constantIbLb1EESY_IbLb0EEEEDaSU_SV_EUlSU_E_NS1_11comp_targetILNS1_3genE3ELNS1_11target_archE908ELNS1_3gpuE7ELNS1_3repE0EEENS1_30default_config_static_selectorELNS0_4arch9wavefront6targetE0EEEvT1_
	.p2align	8
	.type	_ZN7rocprim17ROCPRIM_400000_NS6detail17trampoline_kernelINS0_14default_configENS1_27scan_by_key_config_selectorIsiEEZZNS1_16scan_by_key_implILNS1_25lookback_scan_determinismE0ELb1ES3_N6thrust23THRUST_200600_302600_NS6detail15normal_iteratorINS9_10device_ptrIsEEEESE_SE_iNS9_4plusIvEENS9_8equal_toIvEEiEE10hipError_tPvRmT2_T3_T4_T5_mT6_T7_P12ihipStream_tbENKUlT_T0_E_clISt17integral_constantIbLb1EESY_IbLb0EEEEDaSU_SV_EUlSU_E_NS1_11comp_targetILNS1_3genE3ELNS1_11target_archE908ELNS1_3gpuE7ELNS1_3repE0EEENS1_30default_config_static_selectorELNS0_4arch9wavefront6targetE0EEEvT1_,@function
_ZN7rocprim17ROCPRIM_400000_NS6detail17trampoline_kernelINS0_14default_configENS1_27scan_by_key_config_selectorIsiEEZZNS1_16scan_by_key_implILNS1_25lookback_scan_determinismE0ELb1ES3_N6thrust23THRUST_200600_302600_NS6detail15normal_iteratorINS9_10device_ptrIsEEEESE_SE_iNS9_4plusIvEENS9_8equal_toIvEEiEE10hipError_tPvRmT2_T3_T4_T5_mT6_T7_P12ihipStream_tbENKUlT_T0_E_clISt17integral_constantIbLb1EESY_IbLb0EEEEDaSU_SV_EUlSU_E_NS1_11comp_targetILNS1_3genE3ELNS1_11target_archE908ELNS1_3gpuE7ELNS1_3repE0EEENS1_30default_config_static_selectorELNS0_4arch9wavefront6targetE0EEEvT1_: ; @_ZN7rocprim17ROCPRIM_400000_NS6detail17trampoline_kernelINS0_14default_configENS1_27scan_by_key_config_selectorIsiEEZZNS1_16scan_by_key_implILNS1_25lookback_scan_determinismE0ELb1ES3_N6thrust23THRUST_200600_302600_NS6detail15normal_iteratorINS9_10device_ptrIsEEEESE_SE_iNS9_4plusIvEENS9_8equal_toIvEEiEE10hipError_tPvRmT2_T3_T4_T5_mT6_T7_P12ihipStream_tbENKUlT_T0_E_clISt17integral_constantIbLb1EESY_IbLb0EEEEDaSU_SV_EUlSU_E_NS1_11comp_targetILNS1_3genE3ELNS1_11target_archE908ELNS1_3gpuE7ELNS1_3repE0EEENS1_30default_config_static_selectorELNS0_4arch9wavefront6targetE0EEEvT1_
; %bb.0:
	.section	.rodata,"a",@progbits
	.p2align	6, 0x0
	.amdhsa_kernel _ZN7rocprim17ROCPRIM_400000_NS6detail17trampoline_kernelINS0_14default_configENS1_27scan_by_key_config_selectorIsiEEZZNS1_16scan_by_key_implILNS1_25lookback_scan_determinismE0ELb1ES3_N6thrust23THRUST_200600_302600_NS6detail15normal_iteratorINS9_10device_ptrIsEEEESE_SE_iNS9_4plusIvEENS9_8equal_toIvEEiEE10hipError_tPvRmT2_T3_T4_T5_mT6_T7_P12ihipStream_tbENKUlT_T0_E_clISt17integral_constantIbLb1EESY_IbLb0EEEEDaSU_SV_EUlSU_E_NS1_11comp_targetILNS1_3genE3ELNS1_11target_archE908ELNS1_3gpuE7ELNS1_3repE0EEENS1_30default_config_static_selectorELNS0_4arch9wavefront6targetE0EEEvT1_
		.amdhsa_group_segment_fixed_size 0
		.amdhsa_private_segment_fixed_size 0
		.amdhsa_kernarg_size 112
		.amdhsa_user_sgpr_count 2
		.amdhsa_user_sgpr_dispatch_ptr 0
		.amdhsa_user_sgpr_queue_ptr 0
		.amdhsa_user_sgpr_kernarg_segment_ptr 1
		.amdhsa_user_sgpr_dispatch_id 0
		.amdhsa_user_sgpr_kernarg_preload_length 0
		.amdhsa_user_sgpr_kernarg_preload_offset 0
		.amdhsa_user_sgpr_private_segment_size 0
		.amdhsa_wavefront_size32 1
		.amdhsa_uses_dynamic_stack 0
		.amdhsa_enable_private_segment 0
		.amdhsa_system_sgpr_workgroup_id_x 1
		.amdhsa_system_sgpr_workgroup_id_y 0
		.amdhsa_system_sgpr_workgroup_id_z 0
		.amdhsa_system_sgpr_workgroup_info 0
		.amdhsa_system_vgpr_workitem_id 0
		.amdhsa_next_free_vgpr 1
		.amdhsa_next_free_sgpr 1
		.amdhsa_named_barrier_count 0
		.amdhsa_reserve_vcc 0
		.amdhsa_float_round_mode_32 0
		.amdhsa_float_round_mode_16_64 0
		.amdhsa_float_denorm_mode_32 3
		.amdhsa_float_denorm_mode_16_64 3
		.amdhsa_fp16_overflow 0
		.amdhsa_memory_ordered 1
		.amdhsa_forward_progress 1
		.amdhsa_inst_pref_size 0
		.amdhsa_round_robin_scheduling 0
		.amdhsa_exception_fp_ieee_invalid_op 0
		.amdhsa_exception_fp_denorm_src 0
		.amdhsa_exception_fp_ieee_div_zero 0
		.amdhsa_exception_fp_ieee_overflow 0
		.amdhsa_exception_fp_ieee_underflow 0
		.amdhsa_exception_fp_ieee_inexact 0
		.amdhsa_exception_int_div_zero 0
	.end_amdhsa_kernel
	.section	.text._ZN7rocprim17ROCPRIM_400000_NS6detail17trampoline_kernelINS0_14default_configENS1_27scan_by_key_config_selectorIsiEEZZNS1_16scan_by_key_implILNS1_25lookback_scan_determinismE0ELb1ES3_N6thrust23THRUST_200600_302600_NS6detail15normal_iteratorINS9_10device_ptrIsEEEESE_SE_iNS9_4plusIvEENS9_8equal_toIvEEiEE10hipError_tPvRmT2_T3_T4_T5_mT6_T7_P12ihipStream_tbENKUlT_T0_E_clISt17integral_constantIbLb1EESY_IbLb0EEEEDaSU_SV_EUlSU_E_NS1_11comp_targetILNS1_3genE3ELNS1_11target_archE908ELNS1_3gpuE7ELNS1_3repE0EEENS1_30default_config_static_selectorELNS0_4arch9wavefront6targetE0EEEvT1_,"axG",@progbits,_ZN7rocprim17ROCPRIM_400000_NS6detail17trampoline_kernelINS0_14default_configENS1_27scan_by_key_config_selectorIsiEEZZNS1_16scan_by_key_implILNS1_25lookback_scan_determinismE0ELb1ES3_N6thrust23THRUST_200600_302600_NS6detail15normal_iteratorINS9_10device_ptrIsEEEESE_SE_iNS9_4plusIvEENS9_8equal_toIvEEiEE10hipError_tPvRmT2_T3_T4_T5_mT6_T7_P12ihipStream_tbENKUlT_T0_E_clISt17integral_constantIbLb1EESY_IbLb0EEEEDaSU_SV_EUlSU_E_NS1_11comp_targetILNS1_3genE3ELNS1_11target_archE908ELNS1_3gpuE7ELNS1_3repE0EEENS1_30default_config_static_selectorELNS0_4arch9wavefront6targetE0EEEvT1_,comdat
.Lfunc_end1066:
	.size	_ZN7rocprim17ROCPRIM_400000_NS6detail17trampoline_kernelINS0_14default_configENS1_27scan_by_key_config_selectorIsiEEZZNS1_16scan_by_key_implILNS1_25lookback_scan_determinismE0ELb1ES3_N6thrust23THRUST_200600_302600_NS6detail15normal_iteratorINS9_10device_ptrIsEEEESE_SE_iNS9_4plusIvEENS9_8equal_toIvEEiEE10hipError_tPvRmT2_T3_T4_T5_mT6_T7_P12ihipStream_tbENKUlT_T0_E_clISt17integral_constantIbLb1EESY_IbLb0EEEEDaSU_SV_EUlSU_E_NS1_11comp_targetILNS1_3genE3ELNS1_11target_archE908ELNS1_3gpuE7ELNS1_3repE0EEENS1_30default_config_static_selectorELNS0_4arch9wavefront6targetE0EEEvT1_, .Lfunc_end1066-_ZN7rocprim17ROCPRIM_400000_NS6detail17trampoline_kernelINS0_14default_configENS1_27scan_by_key_config_selectorIsiEEZZNS1_16scan_by_key_implILNS1_25lookback_scan_determinismE0ELb1ES3_N6thrust23THRUST_200600_302600_NS6detail15normal_iteratorINS9_10device_ptrIsEEEESE_SE_iNS9_4plusIvEENS9_8equal_toIvEEiEE10hipError_tPvRmT2_T3_T4_T5_mT6_T7_P12ihipStream_tbENKUlT_T0_E_clISt17integral_constantIbLb1EESY_IbLb0EEEEDaSU_SV_EUlSU_E_NS1_11comp_targetILNS1_3genE3ELNS1_11target_archE908ELNS1_3gpuE7ELNS1_3repE0EEENS1_30default_config_static_selectorELNS0_4arch9wavefront6targetE0EEEvT1_
                                        ; -- End function
	.set _ZN7rocprim17ROCPRIM_400000_NS6detail17trampoline_kernelINS0_14default_configENS1_27scan_by_key_config_selectorIsiEEZZNS1_16scan_by_key_implILNS1_25lookback_scan_determinismE0ELb1ES3_N6thrust23THRUST_200600_302600_NS6detail15normal_iteratorINS9_10device_ptrIsEEEESE_SE_iNS9_4plusIvEENS9_8equal_toIvEEiEE10hipError_tPvRmT2_T3_T4_T5_mT6_T7_P12ihipStream_tbENKUlT_T0_E_clISt17integral_constantIbLb1EESY_IbLb0EEEEDaSU_SV_EUlSU_E_NS1_11comp_targetILNS1_3genE3ELNS1_11target_archE908ELNS1_3gpuE7ELNS1_3repE0EEENS1_30default_config_static_selectorELNS0_4arch9wavefront6targetE0EEEvT1_.num_vgpr, 0
	.set _ZN7rocprim17ROCPRIM_400000_NS6detail17trampoline_kernelINS0_14default_configENS1_27scan_by_key_config_selectorIsiEEZZNS1_16scan_by_key_implILNS1_25lookback_scan_determinismE0ELb1ES3_N6thrust23THRUST_200600_302600_NS6detail15normal_iteratorINS9_10device_ptrIsEEEESE_SE_iNS9_4plusIvEENS9_8equal_toIvEEiEE10hipError_tPvRmT2_T3_T4_T5_mT6_T7_P12ihipStream_tbENKUlT_T0_E_clISt17integral_constantIbLb1EESY_IbLb0EEEEDaSU_SV_EUlSU_E_NS1_11comp_targetILNS1_3genE3ELNS1_11target_archE908ELNS1_3gpuE7ELNS1_3repE0EEENS1_30default_config_static_selectorELNS0_4arch9wavefront6targetE0EEEvT1_.num_agpr, 0
	.set _ZN7rocprim17ROCPRIM_400000_NS6detail17trampoline_kernelINS0_14default_configENS1_27scan_by_key_config_selectorIsiEEZZNS1_16scan_by_key_implILNS1_25lookback_scan_determinismE0ELb1ES3_N6thrust23THRUST_200600_302600_NS6detail15normal_iteratorINS9_10device_ptrIsEEEESE_SE_iNS9_4plusIvEENS9_8equal_toIvEEiEE10hipError_tPvRmT2_T3_T4_T5_mT6_T7_P12ihipStream_tbENKUlT_T0_E_clISt17integral_constantIbLb1EESY_IbLb0EEEEDaSU_SV_EUlSU_E_NS1_11comp_targetILNS1_3genE3ELNS1_11target_archE908ELNS1_3gpuE7ELNS1_3repE0EEENS1_30default_config_static_selectorELNS0_4arch9wavefront6targetE0EEEvT1_.numbered_sgpr, 0
	.set _ZN7rocprim17ROCPRIM_400000_NS6detail17trampoline_kernelINS0_14default_configENS1_27scan_by_key_config_selectorIsiEEZZNS1_16scan_by_key_implILNS1_25lookback_scan_determinismE0ELb1ES3_N6thrust23THRUST_200600_302600_NS6detail15normal_iteratorINS9_10device_ptrIsEEEESE_SE_iNS9_4plusIvEENS9_8equal_toIvEEiEE10hipError_tPvRmT2_T3_T4_T5_mT6_T7_P12ihipStream_tbENKUlT_T0_E_clISt17integral_constantIbLb1EESY_IbLb0EEEEDaSU_SV_EUlSU_E_NS1_11comp_targetILNS1_3genE3ELNS1_11target_archE908ELNS1_3gpuE7ELNS1_3repE0EEENS1_30default_config_static_selectorELNS0_4arch9wavefront6targetE0EEEvT1_.num_named_barrier, 0
	.set _ZN7rocprim17ROCPRIM_400000_NS6detail17trampoline_kernelINS0_14default_configENS1_27scan_by_key_config_selectorIsiEEZZNS1_16scan_by_key_implILNS1_25lookback_scan_determinismE0ELb1ES3_N6thrust23THRUST_200600_302600_NS6detail15normal_iteratorINS9_10device_ptrIsEEEESE_SE_iNS9_4plusIvEENS9_8equal_toIvEEiEE10hipError_tPvRmT2_T3_T4_T5_mT6_T7_P12ihipStream_tbENKUlT_T0_E_clISt17integral_constantIbLb1EESY_IbLb0EEEEDaSU_SV_EUlSU_E_NS1_11comp_targetILNS1_3genE3ELNS1_11target_archE908ELNS1_3gpuE7ELNS1_3repE0EEENS1_30default_config_static_selectorELNS0_4arch9wavefront6targetE0EEEvT1_.private_seg_size, 0
	.set _ZN7rocprim17ROCPRIM_400000_NS6detail17trampoline_kernelINS0_14default_configENS1_27scan_by_key_config_selectorIsiEEZZNS1_16scan_by_key_implILNS1_25lookback_scan_determinismE0ELb1ES3_N6thrust23THRUST_200600_302600_NS6detail15normal_iteratorINS9_10device_ptrIsEEEESE_SE_iNS9_4plusIvEENS9_8equal_toIvEEiEE10hipError_tPvRmT2_T3_T4_T5_mT6_T7_P12ihipStream_tbENKUlT_T0_E_clISt17integral_constantIbLb1EESY_IbLb0EEEEDaSU_SV_EUlSU_E_NS1_11comp_targetILNS1_3genE3ELNS1_11target_archE908ELNS1_3gpuE7ELNS1_3repE0EEENS1_30default_config_static_selectorELNS0_4arch9wavefront6targetE0EEEvT1_.uses_vcc, 0
	.set _ZN7rocprim17ROCPRIM_400000_NS6detail17trampoline_kernelINS0_14default_configENS1_27scan_by_key_config_selectorIsiEEZZNS1_16scan_by_key_implILNS1_25lookback_scan_determinismE0ELb1ES3_N6thrust23THRUST_200600_302600_NS6detail15normal_iteratorINS9_10device_ptrIsEEEESE_SE_iNS9_4plusIvEENS9_8equal_toIvEEiEE10hipError_tPvRmT2_T3_T4_T5_mT6_T7_P12ihipStream_tbENKUlT_T0_E_clISt17integral_constantIbLb1EESY_IbLb0EEEEDaSU_SV_EUlSU_E_NS1_11comp_targetILNS1_3genE3ELNS1_11target_archE908ELNS1_3gpuE7ELNS1_3repE0EEENS1_30default_config_static_selectorELNS0_4arch9wavefront6targetE0EEEvT1_.uses_flat_scratch, 0
	.set _ZN7rocprim17ROCPRIM_400000_NS6detail17trampoline_kernelINS0_14default_configENS1_27scan_by_key_config_selectorIsiEEZZNS1_16scan_by_key_implILNS1_25lookback_scan_determinismE0ELb1ES3_N6thrust23THRUST_200600_302600_NS6detail15normal_iteratorINS9_10device_ptrIsEEEESE_SE_iNS9_4plusIvEENS9_8equal_toIvEEiEE10hipError_tPvRmT2_T3_T4_T5_mT6_T7_P12ihipStream_tbENKUlT_T0_E_clISt17integral_constantIbLb1EESY_IbLb0EEEEDaSU_SV_EUlSU_E_NS1_11comp_targetILNS1_3genE3ELNS1_11target_archE908ELNS1_3gpuE7ELNS1_3repE0EEENS1_30default_config_static_selectorELNS0_4arch9wavefront6targetE0EEEvT1_.has_dyn_sized_stack, 0
	.set _ZN7rocprim17ROCPRIM_400000_NS6detail17trampoline_kernelINS0_14default_configENS1_27scan_by_key_config_selectorIsiEEZZNS1_16scan_by_key_implILNS1_25lookback_scan_determinismE0ELb1ES3_N6thrust23THRUST_200600_302600_NS6detail15normal_iteratorINS9_10device_ptrIsEEEESE_SE_iNS9_4plusIvEENS9_8equal_toIvEEiEE10hipError_tPvRmT2_T3_T4_T5_mT6_T7_P12ihipStream_tbENKUlT_T0_E_clISt17integral_constantIbLb1EESY_IbLb0EEEEDaSU_SV_EUlSU_E_NS1_11comp_targetILNS1_3genE3ELNS1_11target_archE908ELNS1_3gpuE7ELNS1_3repE0EEENS1_30default_config_static_selectorELNS0_4arch9wavefront6targetE0EEEvT1_.has_recursion, 0
	.set _ZN7rocprim17ROCPRIM_400000_NS6detail17trampoline_kernelINS0_14default_configENS1_27scan_by_key_config_selectorIsiEEZZNS1_16scan_by_key_implILNS1_25lookback_scan_determinismE0ELb1ES3_N6thrust23THRUST_200600_302600_NS6detail15normal_iteratorINS9_10device_ptrIsEEEESE_SE_iNS9_4plusIvEENS9_8equal_toIvEEiEE10hipError_tPvRmT2_T3_T4_T5_mT6_T7_P12ihipStream_tbENKUlT_T0_E_clISt17integral_constantIbLb1EESY_IbLb0EEEEDaSU_SV_EUlSU_E_NS1_11comp_targetILNS1_3genE3ELNS1_11target_archE908ELNS1_3gpuE7ELNS1_3repE0EEENS1_30default_config_static_selectorELNS0_4arch9wavefront6targetE0EEEvT1_.has_indirect_call, 0
	.section	.AMDGPU.csdata,"",@progbits
; Kernel info:
; codeLenInByte = 0
; TotalNumSgprs: 0
; NumVgprs: 0
; ScratchSize: 0
; MemoryBound: 0
; FloatMode: 240
; IeeeMode: 1
; LDSByteSize: 0 bytes/workgroup (compile time only)
; SGPRBlocks: 0
; VGPRBlocks: 0
; NumSGPRsForWavesPerEU: 1
; NumVGPRsForWavesPerEU: 1
; NamedBarCnt: 0
; Occupancy: 16
; WaveLimiterHint : 0
; COMPUTE_PGM_RSRC2:SCRATCH_EN: 0
; COMPUTE_PGM_RSRC2:USER_SGPR: 2
; COMPUTE_PGM_RSRC2:TRAP_HANDLER: 0
; COMPUTE_PGM_RSRC2:TGID_X_EN: 1
; COMPUTE_PGM_RSRC2:TGID_Y_EN: 0
; COMPUTE_PGM_RSRC2:TGID_Z_EN: 0
; COMPUTE_PGM_RSRC2:TIDIG_COMP_CNT: 0
	.section	.text._ZN7rocprim17ROCPRIM_400000_NS6detail17trampoline_kernelINS0_14default_configENS1_27scan_by_key_config_selectorIsiEEZZNS1_16scan_by_key_implILNS1_25lookback_scan_determinismE0ELb1ES3_N6thrust23THRUST_200600_302600_NS6detail15normal_iteratorINS9_10device_ptrIsEEEESE_SE_iNS9_4plusIvEENS9_8equal_toIvEEiEE10hipError_tPvRmT2_T3_T4_T5_mT6_T7_P12ihipStream_tbENKUlT_T0_E_clISt17integral_constantIbLb1EESY_IbLb0EEEEDaSU_SV_EUlSU_E_NS1_11comp_targetILNS1_3genE2ELNS1_11target_archE906ELNS1_3gpuE6ELNS1_3repE0EEENS1_30default_config_static_selectorELNS0_4arch9wavefront6targetE0EEEvT1_,"axG",@progbits,_ZN7rocprim17ROCPRIM_400000_NS6detail17trampoline_kernelINS0_14default_configENS1_27scan_by_key_config_selectorIsiEEZZNS1_16scan_by_key_implILNS1_25lookback_scan_determinismE0ELb1ES3_N6thrust23THRUST_200600_302600_NS6detail15normal_iteratorINS9_10device_ptrIsEEEESE_SE_iNS9_4plusIvEENS9_8equal_toIvEEiEE10hipError_tPvRmT2_T3_T4_T5_mT6_T7_P12ihipStream_tbENKUlT_T0_E_clISt17integral_constantIbLb1EESY_IbLb0EEEEDaSU_SV_EUlSU_E_NS1_11comp_targetILNS1_3genE2ELNS1_11target_archE906ELNS1_3gpuE6ELNS1_3repE0EEENS1_30default_config_static_selectorELNS0_4arch9wavefront6targetE0EEEvT1_,comdat
	.protected	_ZN7rocprim17ROCPRIM_400000_NS6detail17trampoline_kernelINS0_14default_configENS1_27scan_by_key_config_selectorIsiEEZZNS1_16scan_by_key_implILNS1_25lookback_scan_determinismE0ELb1ES3_N6thrust23THRUST_200600_302600_NS6detail15normal_iteratorINS9_10device_ptrIsEEEESE_SE_iNS9_4plusIvEENS9_8equal_toIvEEiEE10hipError_tPvRmT2_T3_T4_T5_mT6_T7_P12ihipStream_tbENKUlT_T0_E_clISt17integral_constantIbLb1EESY_IbLb0EEEEDaSU_SV_EUlSU_E_NS1_11comp_targetILNS1_3genE2ELNS1_11target_archE906ELNS1_3gpuE6ELNS1_3repE0EEENS1_30default_config_static_selectorELNS0_4arch9wavefront6targetE0EEEvT1_ ; -- Begin function _ZN7rocprim17ROCPRIM_400000_NS6detail17trampoline_kernelINS0_14default_configENS1_27scan_by_key_config_selectorIsiEEZZNS1_16scan_by_key_implILNS1_25lookback_scan_determinismE0ELb1ES3_N6thrust23THRUST_200600_302600_NS6detail15normal_iteratorINS9_10device_ptrIsEEEESE_SE_iNS9_4plusIvEENS9_8equal_toIvEEiEE10hipError_tPvRmT2_T3_T4_T5_mT6_T7_P12ihipStream_tbENKUlT_T0_E_clISt17integral_constantIbLb1EESY_IbLb0EEEEDaSU_SV_EUlSU_E_NS1_11comp_targetILNS1_3genE2ELNS1_11target_archE906ELNS1_3gpuE6ELNS1_3repE0EEENS1_30default_config_static_selectorELNS0_4arch9wavefront6targetE0EEEvT1_
	.globl	_ZN7rocprim17ROCPRIM_400000_NS6detail17trampoline_kernelINS0_14default_configENS1_27scan_by_key_config_selectorIsiEEZZNS1_16scan_by_key_implILNS1_25lookback_scan_determinismE0ELb1ES3_N6thrust23THRUST_200600_302600_NS6detail15normal_iteratorINS9_10device_ptrIsEEEESE_SE_iNS9_4plusIvEENS9_8equal_toIvEEiEE10hipError_tPvRmT2_T3_T4_T5_mT6_T7_P12ihipStream_tbENKUlT_T0_E_clISt17integral_constantIbLb1EESY_IbLb0EEEEDaSU_SV_EUlSU_E_NS1_11comp_targetILNS1_3genE2ELNS1_11target_archE906ELNS1_3gpuE6ELNS1_3repE0EEENS1_30default_config_static_selectorELNS0_4arch9wavefront6targetE0EEEvT1_
	.p2align	8
	.type	_ZN7rocprim17ROCPRIM_400000_NS6detail17trampoline_kernelINS0_14default_configENS1_27scan_by_key_config_selectorIsiEEZZNS1_16scan_by_key_implILNS1_25lookback_scan_determinismE0ELb1ES3_N6thrust23THRUST_200600_302600_NS6detail15normal_iteratorINS9_10device_ptrIsEEEESE_SE_iNS9_4plusIvEENS9_8equal_toIvEEiEE10hipError_tPvRmT2_T3_T4_T5_mT6_T7_P12ihipStream_tbENKUlT_T0_E_clISt17integral_constantIbLb1EESY_IbLb0EEEEDaSU_SV_EUlSU_E_NS1_11comp_targetILNS1_3genE2ELNS1_11target_archE906ELNS1_3gpuE6ELNS1_3repE0EEENS1_30default_config_static_selectorELNS0_4arch9wavefront6targetE0EEEvT1_,@function
_ZN7rocprim17ROCPRIM_400000_NS6detail17trampoline_kernelINS0_14default_configENS1_27scan_by_key_config_selectorIsiEEZZNS1_16scan_by_key_implILNS1_25lookback_scan_determinismE0ELb1ES3_N6thrust23THRUST_200600_302600_NS6detail15normal_iteratorINS9_10device_ptrIsEEEESE_SE_iNS9_4plusIvEENS9_8equal_toIvEEiEE10hipError_tPvRmT2_T3_T4_T5_mT6_T7_P12ihipStream_tbENKUlT_T0_E_clISt17integral_constantIbLb1EESY_IbLb0EEEEDaSU_SV_EUlSU_E_NS1_11comp_targetILNS1_3genE2ELNS1_11target_archE906ELNS1_3gpuE6ELNS1_3repE0EEENS1_30default_config_static_selectorELNS0_4arch9wavefront6targetE0EEEvT1_: ; @_ZN7rocprim17ROCPRIM_400000_NS6detail17trampoline_kernelINS0_14default_configENS1_27scan_by_key_config_selectorIsiEEZZNS1_16scan_by_key_implILNS1_25lookback_scan_determinismE0ELb1ES3_N6thrust23THRUST_200600_302600_NS6detail15normal_iteratorINS9_10device_ptrIsEEEESE_SE_iNS9_4plusIvEENS9_8equal_toIvEEiEE10hipError_tPvRmT2_T3_T4_T5_mT6_T7_P12ihipStream_tbENKUlT_T0_E_clISt17integral_constantIbLb1EESY_IbLb0EEEEDaSU_SV_EUlSU_E_NS1_11comp_targetILNS1_3genE2ELNS1_11target_archE906ELNS1_3gpuE6ELNS1_3repE0EEENS1_30default_config_static_selectorELNS0_4arch9wavefront6targetE0EEEvT1_
; %bb.0:
	.section	.rodata,"a",@progbits
	.p2align	6, 0x0
	.amdhsa_kernel _ZN7rocprim17ROCPRIM_400000_NS6detail17trampoline_kernelINS0_14default_configENS1_27scan_by_key_config_selectorIsiEEZZNS1_16scan_by_key_implILNS1_25lookback_scan_determinismE0ELb1ES3_N6thrust23THRUST_200600_302600_NS6detail15normal_iteratorINS9_10device_ptrIsEEEESE_SE_iNS9_4plusIvEENS9_8equal_toIvEEiEE10hipError_tPvRmT2_T3_T4_T5_mT6_T7_P12ihipStream_tbENKUlT_T0_E_clISt17integral_constantIbLb1EESY_IbLb0EEEEDaSU_SV_EUlSU_E_NS1_11comp_targetILNS1_3genE2ELNS1_11target_archE906ELNS1_3gpuE6ELNS1_3repE0EEENS1_30default_config_static_selectorELNS0_4arch9wavefront6targetE0EEEvT1_
		.amdhsa_group_segment_fixed_size 0
		.amdhsa_private_segment_fixed_size 0
		.amdhsa_kernarg_size 112
		.amdhsa_user_sgpr_count 2
		.amdhsa_user_sgpr_dispatch_ptr 0
		.amdhsa_user_sgpr_queue_ptr 0
		.amdhsa_user_sgpr_kernarg_segment_ptr 1
		.amdhsa_user_sgpr_dispatch_id 0
		.amdhsa_user_sgpr_kernarg_preload_length 0
		.amdhsa_user_sgpr_kernarg_preload_offset 0
		.amdhsa_user_sgpr_private_segment_size 0
		.amdhsa_wavefront_size32 1
		.amdhsa_uses_dynamic_stack 0
		.amdhsa_enable_private_segment 0
		.amdhsa_system_sgpr_workgroup_id_x 1
		.amdhsa_system_sgpr_workgroup_id_y 0
		.amdhsa_system_sgpr_workgroup_id_z 0
		.amdhsa_system_sgpr_workgroup_info 0
		.amdhsa_system_vgpr_workitem_id 0
		.amdhsa_next_free_vgpr 1
		.amdhsa_next_free_sgpr 1
		.amdhsa_named_barrier_count 0
		.amdhsa_reserve_vcc 0
		.amdhsa_float_round_mode_32 0
		.amdhsa_float_round_mode_16_64 0
		.amdhsa_float_denorm_mode_32 3
		.amdhsa_float_denorm_mode_16_64 3
		.amdhsa_fp16_overflow 0
		.amdhsa_memory_ordered 1
		.amdhsa_forward_progress 1
		.amdhsa_inst_pref_size 0
		.amdhsa_round_robin_scheduling 0
		.amdhsa_exception_fp_ieee_invalid_op 0
		.amdhsa_exception_fp_denorm_src 0
		.amdhsa_exception_fp_ieee_div_zero 0
		.amdhsa_exception_fp_ieee_overflow 0
		.amdhsa_exception_fp_ieee_underflow 0
		.amdhsa_exception_fp_ieee_inexact 0
		.amdhsa_exception_int_div_zero 0
	.end_amdhsa_kernel
	.section	.text._ZN7rocprim17ROCPRIM_400000_NS6detail17trampoline_kernelINS0_14default_configENS1_27scan_by_key_config_selectorIsiEEZZNS1_16scan_by_key_implILNS1_25lookback_scan_determinismE0ELb1ES3_N6thrust23THRUST_200600_302600_NS6detail15normal_iteratorINS9_10device_ptrIsEEEESE_SE_iNS9_4plusIvEENS9_8equal_toIvEEiEE10hipError_tPvRmT2_T3_T4_T5_mT6_T7_P12ihipStream_tbENKUlT_T0_E_clISt17integral_constantIbLb1EESY_IbLb0EEEEDaSU_SV_EUlSU_E_NS1_11comp_targetILNS1_3genE2ELNS1_11target_archE906ELNS1_3gpuE6ELNS1_3repE0EEENS1_30default_config_static_selectorELNS0_4arch9wavefront6targetE0EEEvT1_,"axG",@progbits,_ZN7rocprim17ROCPRIM_400000_NS6detail17trampoline_kernelINS0_14default_configENS1_27scan_by_key_config_selectorIsiEEZZNS1_16scan_by_key_implILNS1_25lookback_scan_determinismE0ELb1ES3_N6thrust23THRUST_200600_302600_NS6detail15normal_iteratorINS9_10device_ptrIsEEEESE_SE_iNS9_4plusIvEENS9_8equal_toIvEEiEE10hipError_tPvRmT2_T3_T4_T5_mT6_T7_P12ihipStream_tbENKUlT_T0_E_clISt17integral_constantIbLb1EESY_IbLb0EEEEDaSU_SV_EUlSU_E_NS1_11comp_targetILNS1_3genE2ELNS1_11target_archE906ELNS1_3gpuE6ELNS1_3repE0EEENS1_30default_config_static_selectorELNS0_4arch9wavefront6targetE0EEEvT1_,comdat
.Lfunc_end1067:
	.size	_ZN7rocprim17ROCPRIM_400000_NS6detail17trampoline_kernelINS0_14default_configENS1_27scan_by_key_config_selectorIsiEEZZNS1_16scan_by_key_implILNS1_25lookback_scan_determinismE0ELb1ES3_N6thrust23THRUST_200600_302600_NS6detail15normal_iteratorINS9_10device_ptrIsEEEESE_SE_iNS9_4plusIvEENS9_8equal_toIvEEiEE10hipError_tPvRmT2_T3_T4_T5_mT6_T7_P12ihipStream_tbENKUlT_T0_E_clISt17integral_constantIbLb1EESY_IbLb0EEEEDaSU_SV_EUlSU_E_NS1_11comp_targetILNS1_3genE2ELNS1_11target_archE906ELNS1_3gpuE6ELNS1_3repE0EEENS1_30default_config_static_selectorELNS0_4arch9wavefront6targetE0EEEvT1_, .Lfunc_end1067-_ZN7rocprim17ROCPRIM_400000_NS6detail17trampoline_kernelINS0_14default_configENS1_27scan_by_key_config_selectorIsiEEZZNS1_16scan_by_key_implILNS1_25lookback_scan_determinismE0ELb1ES3_N6thrust23THRUST_200600_302600_NS6detail15normal_iteratorINS9_10device_ptrIsEEEESE_SE_iNS9_4plusIvEENS9_8equal_toIvEEiEE10hipError_tPvRmT2_T3_T4_T5_mT6_T7_P12ihipStream_tbENKUlT_T0_E_clISt17integral_constantIbLb1EESY_IbLb0EEEEDaSU_SV_EUlSU_E_NS1_11comp_targetILNS1_3genE2ELNS1_11target_archE906ELNS1_3gpuE6ELNS1_3repE0EEENS1_30default_config_static_selectorELNS0_4arch9wavefront6targetE0EEEvT1_
                                        ; -- End function
	.set _ZN7rocprim17ROCPRIM_400000_NS6detail17trampoline_kernelINS0_14default_configENS1_27scan_by_key_config_selectorIsiEEZZNS1_16scan_by_key_implILNS1_25lookback_scan_determinismE0ELb1ES3_N6thrust23THRUST_200600_302600_NS6detail15normal_iteratorINS9_10device_ptrIsEEEESE_SE_iNS9_4plusIvEENS9_8equal_toIvEEiEE10hipError_tPvRmT2_T3_T4_T5_mT6_T7_P12ihipStream_tbENKUlT_T0_E_clISt17integral_constantIbLb1EESY_IbLb0EEEEDaSU_SV_EUlSU_E_NS1_11comp_targetILNS1_3genE2ELNS1_11target_archE906ELNS1_3gpuE6ELNS1_3repE0EEENS1_30default_config_static_selectorELNS0_4arch9wavefront6targetE0EEEvT1_.num_vgpr, 0
	.set _ZN7rocprim17ROCPRIM_400000_NS6detail17trampoline_kernelINS0_14default_configENS1_27scan_by_key_config_selectorIsiEEZZNS1_16scan_by_key_implILNS1_25lookback_scan_determinismE0ELb1ES3_N6thrust23THRUST_200600_302600_NS6detail15normal_iteratorINS9_10device_ptrIsEEEESE_SE_iNS9_4plusIvEENS9_8equal_toIvEEiEE10hipError_tPvRmT2_T3_T4_T5_mT6_T7_P12ihipStream_tbENKUlT_T0_E_clISt17integral_constantIbLb1EESY_IbLb0EEEEDaSU_SV_EUlSU_E_NS1_11comp_targetILNS1_3genE2ELNS1_11target_archE906ELNS1_3gpuE6ELNS1_3repE0EEENS1_30default_config_static_selectorELNS0_4arch9wavefront6targetE0EEEvT1_.num_agpr, 0
	.set _ZN7rocprim17ROCPRIM_400000_NS6detail17trampoline_kernelINS0_14default_configENS1_27scan_by_key_config_selectorIsiEEZZNS1_16scan_by_key_implILNS1_25lookback_scan_determinismE0ELb1ES3_N6thrust23THRUST_200600_302600_NS6detail15normal_iteratorINS9_10device_ptrIsEEEESE_SE_iNS9_4plusIvEENS9_8equal_toIvEEiEE10hipError_tPvRmT2_T3_T4_T5_mT6_T7_P12ihipStream_tbENKUlT_T0_E_clISt17integral_constantIbLb1EESY_IbLb0EEEEDaSU_SV_EUlSU_E_NS1_11comp_targetILNS1_3genE2ELNS1_11target_archE906ELNS1_3gpuE6ELNS1_3repE0EEENS1_30default_config_static_selectorELNS0_4arch9wavefront6targetE0EEEvT1_.numbered_sgpr, 0
	.set _ZN7rocprim17ROCPRIM_400000_NS6detail17trampoline_kernelINS0_14default_configENS1_27scan_by_key_config_selectorIsiEEZZNS1_16scan_by_key_implILNS1_25lookback_scan_determinismE0ELb1ES3_N6thrust23THRUST_200600_302600_NS6detail15normal_iteratorINS9_10device_ptrIsEEEESE_SE_iNS9_4plusIvEENS9_8equal_toIvEEiEE10hipError_tPvRmT2_T3_T4_T5_mT6_T7_P12ihipStream_tbENKUlT_T0_E_clISt17integral_constantIbLb1EESY_IbLb0EEEEDaSU_SV_EUlSU_E_NS1_11comp_targetILNS1_3genE2ELNS1_11target_archE906ELNS1_3gpuE6ELNS1_3repE0EEENS1_30default_config_static_selectorELNS0_4arch9wavefront6targetE0EEEvT1_.num_named_barrier, 0
	.set _ZN7rocprim17ROCPRIM_400000_NS6detail17trampoline_kernelINS0_14default_configENS1_27scan_by_key_config_selectorIsiEEZZNS1_16scan_by_key_implILNS1_25lookback_scan_determinismE0ELb1ES3_N6thrust23THRUST_200600_302600_NS6detail15normal_iteratorINS9_10device_ptrIsEEEESE_SE_iNS9_4plusIvEENS9_8equal_toIvEEiEE10hipError_tPvRmT2_T3_T4_T5_mT6_T7_P12ihipStream_tbENKUlT_T0_E_clISt17integral_constantIbLb1EESY_IbLb0EEEEDaSU_SV_EUlSU_E_NS1_11comp_targetILNS1_3genE2ELNS1_11target_archE906ELNS1_3gpuE6ELNS1_3repE0EEENS1_30default_config_static_selectorELNS0_4arch9wavefront6targetE0EEEvT1_.private_seg_size, 0
	.set _ZN7rocprim17ROCPRIM_400000_NS6detail17trampoline_kernelINS0_14default_configENS1_27scan_by_key_config_selectorIsiEEZZNS1_16scan_by_key_implILNS1_25lookback_scan_determinismE0ELb1ES3_N6thrust23THRUST_200600_302600_NS6detail15normal_iteratorINS9_10device_ptrIsEEEESE_SE_iNS9_4plusIvEENS9_8equal_toIvEEiEE10hipError_tPvRmT2_T3_T4_T5_mT6_T7_P12ihipStream_tbENKUlT_T0_E_clISt17integral_constantIbLb1EESY_IbLb0EEEEDaSU_SV_EUlSU_E_NS1_11comp_targetILNS1_3genE2ELNS1_11target_archE906ELNS1_3gpuE6ELNS1_3repE0EEENS1_30default_config_static_selectorELNS0_4arch9wavefront6targetE0EEEvT1_.uses_vcc, 0
	.set _ZN7rocprim17ROCPRIM_400000_NS6detail17trampoline_kernelINS0_14default_configENS1_27scan_by_key_config_selectorIsiEEZZNS1_16scan_by_key_implILNS1_25lookback_scan_determinismE0ELb1ES3_N6thrust23THRUST_200600_302600_NS6detail15normal_iteratorINS9_10device_ptrIsEEEESE_SE_iNS9_4plusIvEENS9_8equal_toIvEEiEE10hipError_tPvRmT2_T3_T4_T5_mT6_T7_P12ihipStream_tbENKUlT_T0_E_clISt17integral_constantIbLb1EESY_IbLb0EEEEDaSU_SV_EUlSU_E_NS1_11comp_targetILNS1_3genE2ELNS1_11target_archE906ELNS1_3gpuE6ELNS1_3repE0EEENS1_30default_config_static_selectorELNS0_4arch9wavefront6targetE0EEEvT1_.uses_flat_scratch, 0
	.set _ZN7rocprim17ROCPRIM_400000_NS6detail17trampoline_kernelINS0_14default_configENS1_27scan_by_key_config_selectorIsiEEZZNS1_16scan_by_key_implILNS1_25lookback_scan_determinismE0ELb1ES3_N6thrust23THRUST_200600_302600_NS6detail15normal_iteratorINS9_10device_ptrIsEEEESE_SE_iNS9_4plusIvEENS9_8equal_toIvEEiEE10hipError_tPvRmT2_T3_T4_T5_mT6_T7_P12ihipStream_tbENKUlT_T0_E_clISt17integral_constantIbLb1EESY_IbLb0EEEEDaSU_SV_EUlSU_E_NS1_11comp_targetILNS1_3genE2ELNS1_11target_archE906ELNS1_3gpuE6ELNS1_3repE0EEENS1_30default_config_static_selectorELNS0_4arch9wavefront6targetE0EEEvT1_.has_dyn_sized_stack, 0
	.set _ZN7rocprim17ROCPRIM_400000_NS6detail17trampoline_kernelINS0_14default_configENS1_27scan_by_key_config_selectorIsiEEZZNS1_16scan_by_key_implILNS1_25lookback_scan_determinismE0ELb1ES3_N6thrust23THRUST_200600_302600_NS6detail15normal_iteratorINS9_10device_ptrIsEEEESE_SE_iNS9_4plusIvEENS9_8equal_toIvEEiEE10hipError_tPvRmT2_T3_T4_T5_mT6_T7_P12ihipStream_tbENKUlT_T0_E_clISt17integral_constantIbLb1EESY_IbLb0EEEEDaSU_SV_EUlSU_E_NS1_11comp_targetILNS1_3genE2ELNS1_11target_archE906ELNS1_3gpuE6ELNS1_3repE0EEENS1_30default_config_static_selectorELNS0_4arch9wavefront6targetE0EEEvT1_.has_recursion, 0
	.set _ZN7rocprim17ROCPRIM_400000_NS6detail17trampoline_kernelINS0_14default_configENS1_27scan_by_key_config_selectorIsiEEZZNS1_16scan_by_key_implILNS1_25lookback_scan_determinismE0ELb1ES3_N6thrust23THRUST_200600_302600_NS6detail15normal_iteratorINS9_10device_ptrIsEEEESE_SE_iNS9_4plusIvEENS9_8equal_toIvEEiEE10hipError_tPvRmT2_T3_T4_T5_mT6_T7_P12ihipStream_tbENKUlT_T0_E_clISt17integral_constantIbLb1EESY_IbLb0EEEEDaSU_SV_EUlSU_E_NS1_11comp_targetILNS1_3genE2ELNS1_11target_archE906ELNS1_3gpuE6ELNS1_3repE0EEENS1_30default_config_static_selectorELNS0_4arch9wavefront6targetE0EEEvT1_.has_indirect_call, 0
	.section	.AMDGPU.csdata,"",@progbits
; Kernel info:
; codeLenInByte = 0
; TotalNumSgprs: 0
; NumVgprs: 0
; ScratchSize: 0
; MemoryBound: 0
; FloatMode: 240
; IeeeMode: 1
; LDSByteSize: 0 bytes/workgroup (compile time only)
; SGPRBlocks: 0
; VGPRBlocks: 0
; NumSGPRsForWavesPerEU: 1
; NumVGPRsForWavesPerEU: 1
; NamedBarCnt: 0
; Occupancy: 16
; WaveLimiterHint : 0
; COMPUTE_PGM_RSRC2:SCRATCH_EN: 0
; COMPUTE_PGM_RSRC2:USER_SGPR: 2
; COMPUTE_PGM_RSRC2:TRAP_HANDLER: 0
; COMPUTE_PGM_RSRC2:TGID_X_EN: 1
; COMPUTE_PGM_RSRC2:TGID_Y_EN: 0
; COMPUTE_PGM_RSRC2:TGID_Z_EN: 0
; COMPUTE_PGM_RSRC2:TIDIG_COMP_CNT: 0
	.section	.text._ZN7rocprim17ROCPRIM_400000_NS6detail17trampoline_kernelINS0_14default_configENS1_27scan_by_key_config_selectorIsiEEZZNS1_16scan_by_key_implILNS1_25lookback_scan_determinismE0ELb1ES3_N6thrust23THRUST_200600_302600_NS6detail15normal_iteratorINS9_10device_ptrIsEEEESE_SE_iNS9_4plusIvEENS9_8equal_toIvEEiEE10hipError_tPvRmT2_T3_T4_T5_mT6_T7_P12ihipStream_tbENKUlT_T0_E_clISt17integral_constantIbLb1EESY_IbLb0EEEEDaSU_SV_EUlSU_E_NS1_11comp_targetILNS1_3genE10ELNS1_11target_archE1200ELNS1_3gpuE4ELNS1_3repE0EEENS1_30default_config_static_selectorELNS0_4arch9wavefront6targetE0EEEvT1_,"axG",@progbits,_ZN7rocprim17ROCPRIM_400000_NS6detail17trampoline_kernelINS0_14default_configENS1_27scan_by_key_config_selectorIsiEEZZNS1_16scan_by_key_implILNS1_25lookback_scan_determinismE0ELb1ES3_N6thrust23THRUST_200600_302600_NS6detail15normal_iteratorINS9_10device_ptrIsEEEESE_SE_iNS9_4plusIvEENS9_8equal_toIvEEiEE10hipError_tPvRmT2_T3_T4_T5_mT6_T7_P12ihipStream_tbENKUlT_T0_E_clISt17integral_constantIbLb1EESY_IbLb0EEEEDaSU_SV_EUlSU_E_NS1_11comp_targetILNS1_3genE10ELNS1_11target_archE1200ELNS1_3gpuE4ELNS1_3repE0EEENS1_30default_config_static_selectorELNS0_4arch9wavefront6targetE0EEEvT1_,comdat
	.protected	_ZN7rocprim17ROCPRIM_400000_NS6detail17trampoline_kernelINS0_14default_configENS1_27scan_by_key_config_selectorIsiEEZZNS1_16scan_by_key_implILNS1_25lookback_scan_determinismE0ELb1ES3_N6thrust23THRUST_200600_302600_NS6detail15normal_iteratorINS9_10device_ptrIsEEEESE_SE_iNS9_4plusIvEENS9_8equal_toIvEEiEE10hipError_tPvRmT2_T3_T4_T5_mT6_T7_P12ihipStream_tbENKUlT_T0_E_clISt17integral_constantIbLb1EESY_IbLb0EEEEDaSU_SV_EUlSU_E_NS1_11comp_targetILNS1_3genE10ELNS1_11target_archE1200ELNS1_3gpuE4ELNS1_3repE0EEENS1_30default_config_static_selectorELNS0_4arch9wavefront6targetE0EEEvT1_ ; -- Begin function _ZN7rocprim17ROCPRIM_400000_NS6detail17trampoline_kernelINS0_14default_configENS1_27scan_by_key_config_selectorIsiEEZZNS1_16scan_by_key_implILNS1_25lookback_scan_determinismE0ELb1ES3_N6thrust23THRUST_200600_302600_NS6detail15normal_iteratorINS9_10device_ptrIsEEEESE_SE_iNS9_4plusIvEENS9_8equal_toIvEEiEE10hipError_tPvRmT2_T3_T4_T5_mT6_T7_P12ihipStream_tbENKUlT_T0_E_clISt17integral_constantIbLb1EESY_IbLb0EEEEDaSU_SV_EUlSU_E_NS1_11comp_targetILNS1_3genE10ELNS1_11target_archE1200ELNS1_3gpuE4ELNS1_3repE0EEENS1_30default_config_static_selectorELNS0_4arch9wavefront6targetE0EEEvT1_
	.globl	_ZN7rocprim17ROCPRIM_400000_NS6detail17trampoline_kernelINS0_14default_configENS1_27scan_by_key_config_selectorIsiEEZZNS1_16scan_by_key_implILNS1_25lookback_scan_determinismE0ELb1ES3_N6thrust23THRUST_200600_302600_NS6detail15normal_iteratorINS9_10device_ptrIsEEEESE_SE_iNS9_4plusIvEENS9_8equal_toIvEEiEE10hipError_tPvRmT2_T3_T4_T5_mT6_T7_P12ihipStream_tbENKUlT_T0_E_clISt17integral_constantIbLb1EESY_IbLb0EEEEDaSU_SV_EUlSU_E_NS1_11comp_targetILNS1_3genE10ELNS1_11target_archE1200ELNS1_3gpuE4ELNS1_3repE0EEENS1_30default_config_static_selectorELNS0_4arch9wavefront6targetE0EEEvT1_
	.p2align	8
	.type	_ZN7rocprim17ROCPRIM_400000_NS6detail17trampoline_kernelINS0_14default_configENS1_27scan_by_key_config_selectorIsiEEZZNS1_16scan_by_key_implILNS1_25lookback_scan_determinismE0ELb1ES3_N6thrust23THRUST_200600_302600_NS6detail15normal_iteratorINS9_10device_ptrIsEEEESE_SE_iNS9_4plusIvEENS9_8equal_toIvEEiEE10hipError_tPvRmT2_T3_T4_T5_mT6_T7_P12ihipStream_tbENKUlT_T0_E_clISt17integral_constantIbLb1EESY_IbLb0EEEEDaSU_SV_EUlSU_E_NS1_11comp_targetILNS1_3genE10ELNS1_11target_archE1200ELNS1_3gpuE4ELNS1_3repE0EEENS1_30default_config_static_selectorELNS0_4arch9wavefront6targetE0EEEvT1_,@function
_ZN7rocprim17ROCPRIM_400000_NS6detail17trampoline_kernelINS0_14default_configENS1_27scan_by_key_config_selectorIsiEEZZNS1_16scan_by_key_implILNS1_25lookback_scan_determinismE0ELb1ES3_N6thrust23THRUST_200600_302600_NS6detail15normal_iteratorINS9_10device_ptrIsEEEESE_SE_iNS9_4plusIvEENS9_8equal_toIvEEiEE10hipError_tPvRmT2_T3_T4_T5_mT6_T7_P12ihipStream_tbENKUlT_T0_E_clISt17integral_constantIbLb1EESY_IbLb0EEEEDaSU_SV_EUlSU_E_NS1_11comp_targetILNS1_3genE10ELNS1_11target_archE1200ELNS1_3gpuE4ELNS1_3repE0EEENS1_30default_config_static_selectorELNS0_4arch9wavefront6targetE0EEEvT1_: ; @_ZN7rocprim17ROCPRIM_400000_NS6detail17trampoline_kernelINS0_14default_configENS1_27scan_by_key_config_selectorIsiEEZZNS1_16scan_by_key_implILNS1_25lookback_scan_determinismE0ELb1ES3_N6thrust23THRUST_200600_302600_NS6detail15normal_iteratorINS9_10device_ptrIsEEEESE_SE_iNS9_4plusIvEENS9_8equal_toIvEEiEE10hipError_tPvRmT2_T3_T4_T5_mT6_T7_P12ihipStream_tbENKUlT_T0_E_clISt17integral_constantIbLb1EESY_IbLb0EEEEDaSU_SV_EUlSU_E_NS1_11comp_targetILNS1_3genE10ELNS1_11target_archE1200ELNS1_3gpuE4ELNS1_3repE0EEENS1_30default_config_static_selectorELNS0_4arch9wavefront6targetE0EEEvT1_
; %bb.0:
	.section	.rodata,"a",@progbits
	.p2align	6, 0x0
	.amdhsa_kernel _ZN7rocprim17ROCPRIM_400000_NS6detail17trampoline_kernelINS0_14default_configENS1_27scan_by_key_config_selectorIsiEEZZNS1_16scan_by_key_implILNS1_25lookback_scan_determinismE0ELb1ES3_N6thrust23THRUST_200600_302600_NS6detail15normal_iteratorINS9_10device_ptrIsEEEESE_SE_iNS9_4plusIvEENS9_8equal_toIvEEiEE10hipError_tPvRmT2_T3_T4_T5_mT6_T7_P12ihipStream_tbENKUlT_T0_E_clISt17integral_constantIbLb1EESY_IbLb0EEEEDaSU_SV_EUlSU_E_NS1_11comp_targetILNS1_3genE10ELNS1_11target_archE1200ELNS1_3gpuE4ELNS1_3repE0EEENS1_30default_config_static_selectorELNS0_4arch9wavefront6targetE0EEEvT1_
		.amdhsa_group_segment_fixed_size 0
		.amdhsa_private_segment_fixed_size 0
		.amdhsa_kernarg_size 112
		.amdhsa_user_sgpr_count 2
		.amdhsa_user_sgpr_dispatch_ptr 0
		.amdhsa_user_sgpr_queue_ptr 0
		.amdhsa_user_sgpr_kernarg_segment_ptr 1
		.amdhsa_user_sgpr_dispatch_id 0
		.amdhsa_user_sgpr_kernarg_preload_length 0
		.amdhsa_user_sgpr_kernarg_preload_offset 0
		.amdhsa_user_sgpr_private_segment_size 0
		.amdhsa_wavefront_size32 1
		.amdhsa_uses_dynamic_stack 0
		.amdhsa_enable_private_segment 0
		.amdhsa_system_sgpr_workgroup_id_x 1
		.amdhsa_system_sgpr_workgroup_id_y 0
		.amdhsa_system_sgpr_workgroup_id_z 0
		.amdhsa_system_sgpr_workgroup_info 0
		.amdhsa_system_vgpr_workitem_id 0
		.amdhsa_next_free_vgpr 1
		.amdhsa_next_free_sgpr 1
		.amdhsa_named_barrier_count 0
		.amdhsa_reserve_vcc 0
		.amdhsa_float_round_mode_32 0
		.amdhsa_float_round_mode_16_64 0
		.amdhsa_float_denorm_mode_32 3
		.amdhsa_float_denorm_mode_16_64 3
		.amdhsa_fp16_overflow 0
		.amdhsa_memory_ordered 1
		.amdhsa_forward_progress 1
		.amdhsa_inst_pref_size 0
		.amdhsa_round_robin_scheduling 0
		.amdhsa_exception_fp_ieee_invalid_op 0
		.amdhsa_exception_fp_denorm_src 0
		.amdhsa_exception_fp_ieee_div_zero 0
		.amdhsa_exception_fp_ieee_overflow 0
		.amdhsa_exception_fp_ieee_underflow 0
		.amdhsa_exception_fp_ieee_inexact 0
		.amdhsa_exception_int_div_zero 0
	.end_amdhsa_kernel
	.section	.text._ZN7rocprim17ROCPRIM_400000_NS6detail17trampoline_kernelINS0_14default_configENS1_27scan_by_key_config_selectorIsiEEZZNS1_16scan_by_key_implILNS1_25lookback_scan_determinismE0ELb1ES3_N6thrust23THRUST_200600_302600_NS6detail15normal_iteratorINS9_10device_ptrIsEEEESE_SE_iNS9_4plusIvEENS9_8equal_toIvEEiEE10hipError_tPvRmT2_T3_T4_T5_mT6_T7_P12ihipStream_tbENKUlT_T0_E_clISt17integral_constantIbLb1EESY_IbLb0EEEEDaSU_SV_EUlSU_E_NS1_11comp_targetILNS1_3genE10ELNS1_11target_archE1200ELNS1_3gpuE4ELNS1_3repE0EEENS1_30default_config_static_selectorELNS0_4arch9wavefront6targetE0EEEvT1_,"axG",@progbits,_ZN7rocprim17ROCPRIM_400000_NS6detail17trampoline_kernelINS0_14default_configENS1_27scan_by_key_config_selectorIsiEEZZNS1_16scan_by_key_implILNS1_25lookback_scan_determinismE0ELb1ES3_N6thrust23THRUST_200600_302600_NS6detail15normal_iteratorINS9_10device_ptrIsEEEESE_SE_iNS9_4plusIvEENS9_8equal_toIvEEiEE10hipError_tPvRmT2_T3_T4_T5_mT6_T7_P12ihipStream_tbENKUlT_T0_E_clISt17integral_constantIbLb1EESY_IbLb0EEEEDaSU_SV_EUlSU_E_NS1_11comp_targetILNS1_3genE10ELNS1_11target_archE1200ELNS1_3gpuE4ELNS1_3repE0EEENS1_30default_config_static_selectorELNS0_4arch9wavefront6targetE0EEEvT1_,comdat
.Lfunc_end1068:
	.size	_ZN7rocprim17ROCPRIM_400000_NS6detail17trampoline_kernelINS0_14default_configENS1_27scan_by_key_config_selectorIsiEEZZNS1_16scan_by_key_implILNS1_25lookback_scan_determinismE0ELb1ES3_N6thrust23THRUST_200600_302600_NS6detail15normal_iteratorINS9_10device_ptrIsEEEESE_SE_iNS9_4plusIvEENS9_8equal_toIvEEiEE10hipError_tPvRmT2_T3_T4_T5_mT6_T7_P12ihipStream_tbENKUlT_T0_E_clISt17integral_constantIbLb1EESY_IbLb0EEEEDaSU_SV_EUlSU_E_NS1_11comp_targetILNS1_3genE10ELNS1_11target_archE1200ELNS1_3gpuE4ELNS1_3repE0EEENS1_30default_config_static_selectorELNS0_4arch9wavefront6targetE0EEEvT1_, .Lfunc_end1068-_ZN7rocprim17ROCPRIM_400000_NS6detail17trampoline_kernelINS0_14default_configENS1_27scan_by_key_config_selectorIsiEEZZNS1_16scan_by_key_implILNS1_25lookback_scan_determinismE0ELb1ES3_N6thrust23THRUST_200600_302600_NS6detail15normal_iteratorINS9_10device_ptrIsEEEESE_SE_iNS9_4plusIvEENS9_8equal_toIvEEiEE10hipError_tPvRmT2_T3_T4_T5_mT6_T7_P12ihipStream_tbENKUlT_T0_E_clISt17integral_constantIbLb1EESY_IbLb0EEEEDaSU_SV_EUlSU_E_NS1_11comp_targetILNS1_3genE10ELNS1_11target_archE1200ELNS1_3gpuE4ELNS1_3repE0EEENS1_30default_config_static_selectorELNS0_4arch9wavefront6targetE0EEEvT1_
                                        ; -- End function
	.set _ZN7rocprim17ROCPRIM_400000_NS6detail17trampoline_kernelINS0_14default_configENS1_27scan_by_key_config_selectorIsiEEZZNS1_16scan_by_key_implILNS1_25lookback_scan_determinismE0ELb1ES3_N6thrust23THRUST_200600_302600_NS6detail15normal_iteratorINS9_10device_ptrIsEEEESE_SE_iNS9_4plusIvEENS9_8equal_toIvEEiEE10hipError_tPvRmT2_T3_T4_T5_mT6_T7_P12ihipStream_tbENKUlT_T0_E_clISt17integral_constantIbLb1EESY_IbLb0EEEEDaSU_SV_EUlSU_E_NS1_11comp_targetILNS1_3genE10ELNS1_11target_archE1200ELNS1_3gpuE4ELNS1_3repE0EEENS1_30default_config_static_selectorELNS0_4arch9wavefront6targetE0EEEvT1_.num_vgpr, 0
	.set _ZN7rocprim17ROCPRIM_400000_NS6detail17trampoline_kernelINS0_14default_configENS1_27scan_by_key_config_selectorIsiEEZZNS1_16scan_by_key_implILNS1_25lookback_scan_determinismE0ELb1ES3_N6thrust23THRUST_200600_302600_NS6detail15normal_iteratorINS9_10device_ptrIsEEEESE_SE_iNS9_4plusIvEENS9_8equal_toIvEEiEE10hipError_tPvRmT2_T3_T4_T5_mT6_T7_P12ihipStream_tbENKUlT_T0_E_clISt17integral_constantIbLb1EESY_IbLb0EEEEDaSU_SV_EUlSU_E_NS1_11comp_targetILNS1_3genE10ELNS1_11target_archE1200ELNS1_3gpuE4ELNS1_3repE0EEENS1_30default_config_static_selectorELNS0_4arch9wavefront6targetE0EEEvT1_.num_agpr, 0
	.set _ZN7rocprim17ROCPRIM_400000_NS6detail17trampoline_kernelINS0_14default_configENS1_27scan_by_key_config_selectorIsiEEZZNS1_16scan_by_key_implILNS1_25lookback_scan_determinismE0ELb1ES3_N6thrust23THRUST_200600_302600_NS6detail15normal_iteratorINS9_10device_ptrIsEEEESE_SE_iNS9_4plusIvEENS9_8equal_toIvEEiEE10hipError_tPvRmT2_T3_T4_T5_mT6_T7_P12ihipStream_tbENKUlT_T0_E_clISt17integral_constantIbLb1EESY_IbLb0EEEEDaSU_SV_EUlSU_E_NS1_11comp_targetILNS1_3genE10ELNS1_11target_archE1200ELNS1_3gpuE4ELNS1_3repE0EEENS1_30default_config_static_selectorELNS0_4arch9wavefront6targetE0EEEvT1_.numbered_sgpr, 0
	.set _ZN7rocprim17ROCPRIM_400000_NS6detail17trampoline_kernelINS0_14default_configENS1_27scan_by_key_config_selectorIsiEEZZNS1_16scan_by_key_implILNS1_25lookback_scan_determinismE0ELb1ES3_N6thrust23THRUST_200600_302600_NS6detail15normal_iteratorINS9_10device_ptrIsEEEESE_SE_iNS9_4plusIvEENS9_8equal_toIvEEiEE10hipError_tPvRmT2_T3_T4_T5_mT6_T7_P12ihipStream_tbENKUlT_T0_E_clISt17integral_constantIbLb1EESY_IbLb0EEEEDaSU_SV_EUlSU_E_NS1_11comp_targetILNS1_3genE10ELNS1_11target_archE1200ELNS1_3gpuE4ELNS1_3repE0EEENS1_30default_config_static_selectorELNS0_4arch9wavefront6targetE0EEEvT1_.num_named_barrier, 0
	.set _ZN7rocprim17ROCPRIM_400000_NS6detail17trampoline_kernelINS0_14default_configENS1_27scan_by_key_config_selectorIsiEEZZNS1_16scan_by_key_implILNS1_25lookback_scan_determinismE0ELb1ES3_N6thrust23THRUST_200600_302600_NS6detail15normal_iteratorINS9_10device_ptrIsEEEESE_SE_iNS9_4plusIvEENS9_8equal_toIvEEiEE10hipError_tPvRmT2_T3_T4_T5_mT6_T7_P12ihipStream_tbENKUlT_T0_E_clISt17integral_constantIbLb1EESY_IbLb0EEEEDaSU_SV_EUlSU_E_NS1_11comp_targetILNS1_3genE10ELNS1_11target_archE1200ELNS1_3gpuE4ELNS1_3repE0EEENS1_30default_config_static_selectorELNS0_4arch9wavefront6targetE0EEEvT1_.private_seg_size, 0
	.set _ZN7rocprim17ROCPRIM_400000_NS6detail17trampoline_kernelINS0_14default_configENS1_27scan_by_key_config_selectorIsiEEZZNS1_16scan_by_key_implILNS1_25lookback_scan_determinismE0ELb1ES3_N6thrust23THRUST_200600_302600_NS6detail15normal_iteratorINS9_10device_ptrIsEEEESE_SE_iNS9_4plusIvEENS9_8equal_toIvEEiEE10hipError_tPvRmT2_T3_T4_T5_mT6_T7_P12ihipStream_tbENKUlT_T0_E_clISt17integral_constantIbLb1EESY_IbLb0EEEEDaSU_SV_EUlSU_E_NS1_11comp_targetILNS1_3genE10ELNS1_11target_archE1200ELNS1_3gpuE4ELNS1_3repE0EEENS1_30default_config_static_selectorELNS0_4arch9wavefront6targetE0EEEvT1_.uses_vcc, 0
	.set _ZN7rocprim17ROCPRIM_400000_NS6detail17trampoline_kernelINS0_14default_configENS1_27scan_by_key_config_selectorIsiEEZZNS1_16scan_by_key_implILNS1_25lookback_scan_determinismE0ELb1ES3_N6thrust23THRUST_200600_302600_NS6detail15normal_iteratorINS9_10device_ptrIsEEEESE_SE_iNS9_4plusIvEENS9_8equal_toIvEEiEE10hipError_tPvRmT2_T3_T4_T5_mT6_T7_P12ihipStream_tbENKUlT_T0_E_clISt17integral_constantIbLb1EESY_IbLb0EEEEDaSU_SV_EUlSU_E_NS1_11comp_targetILNS1_3genE10ELNS1_11target_archE1200ELNS1_3gpuE4ELNS1_3repE0EEENS1_30default_config_static_selectorELNS0_4arch9wavefront6targetE0EEEvT1_.uses_flat_scratch, 0
	.set _ZN7rocprim17ROCPRIM_400000_NS6detail17trampoline_kernelINS0_14default_configENS1_27scan_by_key_config_selectorIsiEEZZNS1_16scan_by_key_implILNS1_25lookback_scan_determinismE0ELb1ES3_N6thrust23THRUST_200600_302600_NS6detail15normal_iteratorINS9_10device_ptrIsEEEESE_SE_iNS9_4plusIvEENS9_8equal_toIvEEiEE10hipError_tPvRmT2_T3_T4_T5_mT6_T7_P12ihipStream_tbENKUlT_T0_E_clISt17integral_constantIbLb1EESY_IbLb0EEEEDaSU_SV_EUlSU_E_NS1_11comp_targetILNS1_3genE10ELNS1_11target_archE1200ELNS1_3gpuE4ELNS1_3repE0EEENS1_30default_config_static_selectorELNS0_4arch9wavefront6targetE0EEEvT1_.has_dyn_sized_stack, 0
	.set _ZN7rocprim17ROCPRIM_400000_NS6detail17trampoline_kernelINS0_14default_configENS1_27scan_by_key_config_selectorIsiEEZZNS1_16scan_by_key_implILNS1_25lookback_scan_determinismE0ELb1ES3_N6thrust23THRUST_200600_302600_NS6detail15normal_iteratorINS9_10device_ptrIsEEEESE_SE_iNS9_4plusIvEENS9_8equal_toIvEEiEE10hipError_tPvRmT2_T3_T4_T5_mT6_T7_P12ihipStream_tbENKUlT_T0_E_clISt17integral_constantIbLb1EESY_IbLb0EEEEDaSU_SV_EUlSU_E_NS1_11comp_targetILNS1_3genE10ELNS1_11target_archE1200ELNS1_3gpuE4ELNS1_3repE0EEENS1_30default_config_static_selectorELNS0_4arch9wavefront6targetE0EEEvT1_.has_recursion, 0
	.set _ZN7rocprim17ROCPRIM_400000_NS6detail17trampoline_kernelINS0_14default_configENS1_27scan_by_key_config_selectorIsiEEZZNS1_16scan_by_key_implILNS1_25lookback_scan_determinismE0ELb1ES3_N6thrust23THRUST_200600_302600_NS6detail15normal_iteratorINS9_10device_ptrIsEEEESE_SE_iNS9_4plusIvEENS9_8equal_toIvEEiEE10hipError_tPvRmT2_T3_T4_T5_mT6_T7_P12ihipStream_tbENKUlT_T0_E_clISt17integral_constantIbLb1EESY_IbLb0EEEEDaSU_SV_EUlSU_E_NS1_11comp_targetILNS1_3genE10ELNS1_11target_archE1200ELNS1_3gpuE4ELNS1_3repE0EEENS1_30default_config_static_selectorELNS0_4arch9wavefront6targetE0EEEvT1_.has_indirect_call, 0
	.section	.AMDGPU.csdata,"",@progbits
; Kernel info:
; codeLenInByte = 0
; TotalNumSgprs: 0
; NumVgprs: 0
; ScratchSize: 0
; MemoryBound: 0
; FloatMode: 240
; IeeeMode: 1
; LDSByteSize: 0 bytes/workgroup (compile time only)
; SGPRBlocks: 0
; VGPRBlocks: 0
; NumSGPRsForWavesPerEU: 1
; NumVGPRsForWavesPerEU: 1
; NamedBarCnt: 0
; Occupancy: 16
; WaveLimiterHint : 0
; COMPUTE_PGM_RSRC2:SCRATCH_EN: 0
; COMPUTE_PGM_RSRC2:USER_SGPR: 2
; COMPUTE_PGM_RSRC2:TRAP_HANDLER: 0
; COMPUTE_PGM_RSRC2:TGID_X_EN: 1
; COMPUTE_PGM_RSRC2:TGID_Y_EN: 0
; COMPUTE_PGM_RSRC2:TGID_Z_EN: 0
; COMPUTE_PGM_RSRC2:TIDIG_COMP_CNT: 0
	.section	.text._ZN7rocprim17ROCPRIM_400000_NS6detail17trampoline_kernelINS0_14default_configENS1_27scan_by_key_config_selectorIsiEEZZNS1_16scan_by_key_implILNS1_25lookback_scan_determinismE0ELb1ES3_N6thrust23THRUST_200600_302600_NS6detail15normal_iteratorINS9_10device_ptrIsEEEESE_SE_iNS9_4plusIvEENS9_8equal_toIvEEiEE10hipError_tPvRmT2_T3_T4_T5_mT6_T7_P12ihipStream_tbENKUlT_T0_E_clISt17integral_constantIbLb1EESY_IbLb0EEEEDaSU_SV_EUlSU_E_NS1_11comp_targetILNS1_3genE9ELNS1_11target_archE1100ELNS1_3gpuE3ELNS1_3repE0EEENS1_30default_config_static_selectorELNS0_4arch9wavefront6targetE0EEEvT1_,"axG",@progbits,_ZN7rocprim17ROCPRIM_400000_NS6detail17trampoline_kernelINS0_14default_configENS1_27scan_by_key_config_selectorIsiEEZZNS1_16scan_by_key_implILNS1_25lookback_scan_determinismE0ELb1ES3_N6thrust23THRUST_200600_302600_NS6detail15normal_iteratorINS9_10device_ptrIsEEEESE_SE_iNS9_4plusIvEENS9_8equal_toIvEEiEE10hipError_tPvRmT2_T3_T4_T5_mT6_T7_P12ihipStream_tbENKUlT_T0_E_clISt17integral_constantIbLb1EESY_IbLb0EEEEDaSU_SV_EUlSU_E_NS1_11comp_targetILNS1_3genE9ELNS1_11target_archE1100ELNS1_3gpuE3ELNS1_3repE0EEENS1_30default_config_static_selectorELNS0_4arch9wavefront6targetE0EEEvT1_,comdat
	.protected	_ZN7rocprim17ROCPRIM_400000_NS6detail17trampoline_kernelINS0_14default_configENS1_27scan_by_key_config_selectorIsiEEZZNS1_16scan_by_key_implILNS1_25lookback_scan_determinismE0ELb1ES3_N6thrust23THRUST_200600_302600_NS6detail15normal_iteratorINS9_10device_ptrIsEEEESE_SE_iNS9_4plusIvEENS9_8equal_toIvEEiEE10hipError_tPvRmT2_T3_T4_T5_mT6_T7_P12ihipStream_tbENKUlT_T0_E_clISt17integral_constantIbLb1EESY_IbLb0EEEEDaSU_SV_EUlSU_E_NS1_11comp_targetILNS1_3genE9ELNS1_11target_archE1100ELNS1_3gpuE3ELNS1_3repE0EEENS1_30default_config_static_selectorELNS0_4arch9wavefront6targetE0EEEvT1_ ; -- Begin function _ZN7rocprim17ROCPRIM_400000_NS6detail17trampoline_kernelINS0_14default_configENS1_27scan_by_key_config_selectorIsiEEZZNS1_16scan_by_key_implILNS1_25lookback_scan_determinismE0ELb1ES3_N6thrust23THRUST_200600_302600_NS6detail15normal_iteratorINS9_10device_ptrIsEEEESE_SE_iNS9_4plusIvEENS9_8equal_toIvEEiEE10hipError_tPvRmT2_T3_T4_T5_mT6_T7_P12ihipStream_tbENKUlT_T0_E_clISt17integral_constantIbLb1EESY_IbLb0EEEEDaSU_SV_EUlSU_E_NS1_11comp_targetILNS1_3genE9ELNS1_11target_archE1100ELNS1_3gpuE3ELNS1_3repE0EEENS1_30default_config_static_selectorELNS0_4arch9wavefront6targetE0EEEvT1_
	.globl	_ZN7rocprim17ROCPRIM_400000_NS6detail17trampoline_kernelINS0_14default_configENS1_27scan_by_key_config_selectorIsiEEZZNS1_16scan_by_key_implILNS1_25lookback_scan_determinismE0ELb1ES3_N6thrust23THRUST_200600_302600_NS6detail15normal_iteratorINS9_10device_ptrIsEEEESE_SE_iNS9_4plusIvEENS9_8equal_toIvEEiEE10hipError_tPvRmT2_T3_T4_T5_mT6_T7_P12ihipStream_tbENKUlT_T0_E_clISt17integral_constantIbLb1EESY_IbLb0EEEEDaSU_SV_EUlSU_E_NS1_11comp_targetILNS1_3genE9ELNS1_11target_archE1100ELNS1_3gpuE3ELNS1_3repE0EEENS1_30default_config_static_selectorELNS0_4arch9wavefront6targetE0EEEvT1_
	.p2align	8
	.type	_ZN7rocprim17ROCPRIM_400000_NS6detail17trampoline_kernelINS0_14default_configENS1_27scan_by_key_config_selectorIsiEEZZNS1_16scan_by_key_implILNS1_25lookback_scan_determinismE0ELb1ES3_N6thrust23THRUST_200600_302600_NS6detail15normal_iteratorINS9_10device_ptrIsEEEESE_SE_iNS9_4plusIvEENS9_8equal_toIvEEiEE10hipError_tPvRmT2_T3_T4_T5_mT6_T7_P12ihipStream_tbENKUlT_T0_E_clISt17integral_constantIbLb1EESY_IbLb0EEEEDaSU_SV_EUlSU_E_NS1_11comp_targetILNS1_3genE9ELNS1_11target_archE1100ELNS1_3gpuE3ELNS1_3repE0EEENS1_30default_config_static_selectorELNS0_4arch9wavefront6targetE0EEEvT1_,@function
_ZN7rocprim17ROCPRIM_400000_NS6detail17trampoline_kernelINS0_14default_configENS1_27scan_by_key_config_selectorIsiEEZZNS1_16scan_by_key_implILNS1_25lookback_scan_determinismE0ELb1ES3_N6thrust23THRUST_200600_302600_NS6detail15normal_iteratorINS9_10device_ptrIsEEEESE_SE_iNS9_4plusIvEENS9_8equal_toIvEEiEE10hipError_tPvRmT2_T3_T4_T5_mT6_T7_P12ihipStream_tbENKUlT_T0_E_clISt17integral_constantIbLb1EESY_IbLb0EEEEDaSU_SV_EUlSU_E_NS1_11comp_targetILNS1_3genE9ELNS1_11target_archE1100ELNS1_3gpuE3ELNS1_3repE0EEENS1_30default_config_static_selectorELNS0_4arch9wavefront6targetE0EEEvT1_: ; @_ZN7rocprim17ROCPRIM_400000_NS6detail17trampoline_kernelINS0_14default_configENS1_27scan_by_key_config_selectorIsiEEZZNS1_16scan_by_key_implILNS1_25lookback_scan_determinismE0ELb1ES3_N6thrust23THRUST_200600_302600_NS6detail15normal_iteratorINS9_10device_ptrIsEEEESE_SE_iNS9_4plusIvEENS9_8equal_toIvEEiEE10hipError_tPvRmT2_T3_T4_T5_mT6_T7_P12ihipStream_tbENKUlT_T0_E_clISt17integral_constantIbLb1EESY_IbLb0EEEEDaSU_SV_EUlSU_E_NS1_11comp_targetILNS1_3genE9ELNS1_11target_archE1100ELNS1_3gpuE3ELNS1_3repE0EEENS1_30default_config_static_selectorELNS0_4arch9wavefront6targetE0EEEvT1_
; %bb.0:
	.section	.rodata,"a",@progbits
	.p2align	6, 0x0
	.amdhsa_kernel _ZN7rocprim17ROCPRIM_400000_NS6detail17trampoline_kernelINS0_14default_configENS1_27scan_by_key_config_selectorIsiEEZZNS1_16scan_by_key_implILNS1_25lookback_scan_determinismE0ELb1ES3_N6thrust23THRUST_200600_302600_NS6detail15normal_iteratorINS9_10device_ptrIsEEEESE_SE_iNS9_4plusIvEENS9_8equal_toIvEEiEE10hipError_tPvRmT2_T3_T4_T5_mT6_T7_P12ihipStream_tbENKUlT_T0_E_clISt17integral_constantIbLb1EESY_IbLb0EEEEDaSU_SV_EUlSU_E_NS1_11comp_targetILNS1_3genE9ELNS1_11target_archE1100ELNS1_3gpuE3ELNS1_3repE0EEENS1_30default_config_static_selectorELNS0_4arch9wavefront6targetE0EEEvT1_
		.amdhsa_group_segment_fixed_size 0
		.amdhsa_private_segment_fixed_size 0
		.amdhsa_kernarg_size 112
		.amdhsa_user_sgpr_count 2
		.amdhsa_user_sgpr_dispatch_ptr 0
		.amdhsa_user_sgpr_queue_ptr 0
		.amdhsa_user_sgpr_kernarg_segment_ptr 1
		.amdhsa_user_sgpr_dispatch_id 0
		.amdhsa_user_sgpr_kernarg_preload_length 0
		.amdhsa_user_sgpr_kernarg_preload_offset 0
		.amdhsa_user_sgpr_private_segment_size 0
		.amdhsa_wavefront_size32 1
		.amdhsa_uses_dynamic_stack 0
		.amdhsa_enable_private_segment 0
		.amdhsa_system_sgpr_workgroup_id_x 1
		.amdhsa_system_sgpr_workgroup_id_y 0
		.amdhsa_system_sgpr_workgroup_id_z 0
		.amdhsa_system_sgpr_workgroup_info 0
		.amdhsa_system_vgpr_workitem_id 0
		.amdhsa_next_free_vgpr 1
		.amdhsa_next_free_sgpr 1
		.amdhsa_named_barrier_count 0
		.amdhsa_reserve_vcc 0
		.amdhsa_float_round_mode_32 0
		.amdhsa_float_round_mode_16_64 0
		.amdhsa_float_denorm_mode_32 3
		.amdhsa_float_denorm_mode_16_64 3
		.amdhsa_fp16_overflow 0
		.amdhsa_memory_ordered 1
		.amdhsa_forward_progress 1
		.amdhsa_inst_pref_size 0
		.amdhsa_round_robin_scheduling 0
		.amdhsa_exception_fp_ieee_invalid_op 0
		.amdhsa_exception_fp_denorm_src 0
		.amdhsa_exception_fp_ieee_div_zero 0
		.amdhsa_exception_fp_ieee_overflow 0
		.amdhsa_exception_fp_ieee_underflow 0
		.amdhsa_exception_fp_ieee_inexact 0
		.amdhsa_exception_int_div_zero 0
	.end_amdhsa_kernel
	.section	.text._ZN7rocprim17ROCPRIM_400000_NS6detail17trampoline_kernelINS0_14default_configENS1_27scan_by_key_config_selectorIsiEEZZNS1_16scan_by_key_implILNS1_25lookback_scan_determinismE0ELb1ES3_N6thrust23THRUST_200600_302600_NS6detail15normal_iteratorINS9_10device_ptrIsEEEESE_SE_iNS9_4plusIvEENS9_8equal_toIvEEiEE10hipError_tPvRmT2_T3_T4_T5_mT6_T7_P12ihipStream_tbENKUlT_T0_E_clISt17integral_constantIbLb1EESY_IbLb0EEEEDaSU_SV_EUlSU_E_NS1_11comp_targetILNS1_3genE9ELNS1_11target_archE1100ELNS1_3gpuE3ELNS1_3repE0EEENS1_30default_config_static_selectorELNS0_4arch9wavefront6targetE0EEEvT1_,"axG",@progbits,_ZN7rocprim17ROCPRIM_400000_NS6detail17trampoline_kernelINS0_14default_configENS1_27scan_by_key_config_selectorIsiEEZZNS1_16scan_by_key_implILNS1_25lookback_scan_determinismE0ELb1ES3_N6thrust23THRUST_200600_302600_NS6detail15normal_iteratorINS9_10device_ptrIsEEEESE_SE_iNS9_4plusIvEENS9_8equal_toIvEEiEE10hipError_tPvRmT2_T3_T4_T5_mT6_T7_P12ihipStream_tbENKUlT_T0_E_clISt17integral_constantIbLb1EESY_IbLb0EEEEDaSU_SV_EUlSU_E_NS1_11comp_targetILNS1_3genE9ELNS1_11target_archE1100ELNS1_3gpuE3ELNS1_3repE0EEENS1_30default_config_static_selectorELNS0_4arch9wavefront6targetE0EEEvT1_,comdat
.Lfunc_end1069:
	.size	_ZN7rocprim17ROCPRIM_400000_NS6detail17trampoline_kernelINS0_14default_configENS1_27scan_by_key_config_selectorIsiEEZZNS1_16scan_by_key_implILNS1_25lookback_scan_determinismE0ELb1ES3_N6thrust23THRUST_200600_302600_NS6detail15normal_iteratorINS9_10device_ptrIsEEEESE_SE_iNS9_4plusIvEENS9_8equal_toIvEEiEE10hipError_tPvRmT2_T3_T4_T5_mT6_T7_P12ihipStream_tbENKUlT_T0_E_clISt17integral_constantIbLb1EESY_IbLb0EEEEDaSU_SV_EUlSU_E_NS1_11comp_targetILNS1_3genE9ELNS1_11target_archE1100ELNS1_3gpuE3ELNS1_3repE0EEENS1_30default_config_static_selectorELNS0_4arch9wavefront6targetE0EEEvT1_, .Lfunc_end1069-_ZN7rocprim17ROCPRIM_400000_NS6detail17trampoline_kernelINS0_14default_configENS1_27scan_by_key_config_selectorIsiEEZZNS1_16scan_by_key_implILNS1_25lookback_scan_determinismE0ELb1ES3_N6thrust23THRUST_200600_302600_NS6detail15normal_iteratorINS9_10device_ptrIsEEEESE_SE_iNS9_4plusIvEENS9_8equal_toIvEEiEE10hipError_tPvRmT2_T3_T4_T5_mT6_T7_P12ihipStream_tbENKUlT_T0_E_clISt17integral_constantIbLb1EESY_IbLb0EEEEDaSU_SV_EUlSU_E_NS1_11comp_targetILNS1_3genE9ELNS1_11target_archE1100ELNS1_3gpuE3ELNS1_3repE0EEENS1_30default_config_static_selectorELNS0_4arch9wavefront6targetE0EEEvT1_
                                        ; -- End function
	.set _ZN7rocprim17ROCPRIM_400000_NS6detail17trampoline_kernelINS0_14default_configENS1_27scan_by_key_config_selectorIsiEEZZNS1_16scan_by_key_implILNS1_25lookback_scan_determinismE0ELb1ES3_N6thrust23THRUST_200600_302600_NS6detail15normal_iteratorINS9_10device_ptrIsEEEESE_SE_iNS9_4plusIvEENS9_8equal_toIvEEiEE10hipError_tPvRmT2_T3_T4_T5_mT6_T7_P12ihipStream_tbENKUlT_T0_E_clISt17integral_constantIbLb1EESY_IbLb0EEEEDaSU_SV_EUlSU_E_NS1_11comp_targetILNS1_3genE9ELNS1_11target_archE1100ELNS1_3gpuE3ELNS1_3repE0EEENS1_30default_config_static_selectorELNS0_4arch9wavefront6targetE0EEEvT1_.num_vgpr, 0
	.set _ZN7rocprim17ROCPRIM_400000_NS6detail17trampoline_kernelINS0_14default_configENS1_27scan_by_key_config_selectorIsiEEZZNS1_16scan_by_key_implILNS1_25lookback_scan_determinismE0ELb1ES3_N6thrust23THRUST_200600_302600_NS6detail15normal_iteratorINS9_10device_ptrIsEEEESE_SE_iNS9_4plusIvEENS9_8equal_toIvEEiEE10hipError_tPvRmT2_T3_T4_T5_mT6_T7_P12ihipStream_tbENKUlT_T0_E_clISt17integral_constantIbLb1EESY_IbLb0EEEEDaSU_SV_EUlSU_E_NS1_11comp_targetILNS1_3genE9ELNS1_11target_archE1100ELNS1_3gpuE3ELNS1_3repE0EEENS1_30default_config_static_selectorELNS0_4arch9wavefront6targetE0EEEvT1_.num_agpr, 0
	.set _ZN7rocprim17ROCPRIM_400000_NS6detail17trampoline_kernelINS0_14default_configENS1_27scan_by_key_config_selectorIsiEEZZNS1_16scan_by_key_implILNS1_25lookback_scan_determinismE0ELb1ES3_N6thrust23THRUST_200600_302600_NS6detail15normal_iteratorINS9_10device_ptrIsEEEESE_SE_iNS9_4plusIvEENS9_8equal_toIvEEiEE10hipError_tPvRmT2_T3_T4_T5_mT6_T7_P12ihipStream_tbENKUlT_T0_E_clISt17integral_constantIbLb1EESY_IbLb0EEEEDaSU_SV_EUlSU_E_NS1_11comp_targetILNS1_3genE9ELNS1_11target_archE1100ELNS1_3gpuE3ELNS1_3repE0EEENS1_30default_config_static_selectorELNS0_4arch9wavefront6targetE0EEEvT1_.numbered_sgpr, 0
	.set _ZN7rocprim17ROCPRIM_400000_NS6detail17trampoline_kernelINS0_14default_configENS1_27scan_by_key_config_selectorIsiEEZZNS1_16scan_by_key_implILNS1_25lookback_scan_determinismE0ELb1ES3_N6thrust23THRUST_200600_302600_NS6detail15normal_iteratorINS9_10device_ptrIsEEEESE_SE_iNS9_4plusIvEENS9_8equal_toIvEEiEE10hipError_tPvRmT2_T3_T4_T5_mT6_T7_P12ihipStream_tbENKUlT_T0_E_clISt17integral_constantIbLb1EESY_IbLb0EEEEDaSU_SV_EUlSU_E_NS1_11comp_targetILNS1_3genE9ELNS1_11target_archE1100ELNS1_3gpuE3ELNS1_3repE0EEENS1_30default_config_static_selectorELNS0_4arch9wavefront6targetE0EEEvT1_.num_named_barrier, 0
	.set _ZN7rocprim17ROCPRIM_400000_NS6detail17trampoline_kernelINS0_14default_configENS1_27scan_by_key_config_selectorIsiEEZZNS1_16scan_by_key_implILNS1_25lookback_scan_determinismE0ELb1ES3_N6thrust23THRUST_200600_302600_NS6detail15normal_iteratorINS9_10device_ptrIsEEEESE_SE_iNS9_4plusIvEENS9_8equal_toIvEEiEE10hipError_tPvRmT2_T3_T4_T5_mT6_T7_P12ihipStream_tbENKUlT_T0_E_clISt17integral_constantIbLb1EESY_IbLb0EEEEDaSU_SV_EUlSU_E_NS1_11comp_targetILNS1_3genE9ELNS1_11target_archE1100ELNS1_3gpuE3ELNS1_3repE0EEENS1_30default_config_static_selectorELNS0_4arch9wavefront6targetE0EEEvT1_.private_seg_size, 0
	.set _ZN7rocprim17ROCPRIM_400000_NS6detail17trampoline_kernelINS0_14default_configENS1_27scan_by_key_config_selectorIsiEEZZNS1_16scan_by_key_implILNS1_25lookback_scan_determinismE0ELb1ES3_N6thrust23THRUST_200600_302600_NS6detail15normal_iteratorINS9_10device_ptrIsEEEESE_SE_iNS9_4plusIvEENS9_8equal_toIvEEiEE10hipError_tPvRmT2_T3_T4_T5_mT6_T7_P12ihipStream_tbENKUlT_T0_E_clISt17integral_constantIbLb1EESY_IbLb0EEEEDaSU_SV_EUlSU_E_NS1_11comp_targetILNS1_3genE9ELNS1_11target_archE1100ELNS1_3gpuE3ELNS1_3repE0EEENS1_30default_config_static_selectorELNS0_4arch9wavefront6targetE0EEEvT1_.uses_vcc, 0
	.set _ZN7rocprim17ROCPRIM_400000_NS6detail17trampoline_kernelINS0_14default_configENS1_27scan_by_key_config_selectorIsiEEZZNS1_16scan_by_key_implILNS1_25lookback_scan_determinismE0ELb1ES3_N6thrust23THRUST_200600_302600_NS6detail15normal_iteratorINS9_10device_ptrIsEEEESE_SE_iNS9_4plusIvEENS9_8equal_toIvEEiEE10hipError_tPvRmT2_T3_T4_T5_mT6_T7_P12ihipStream_tbENKUlT_T0_E_clISt17integral_constantIbLb1EESY_IbLb0EEEEDaSU_SV_EUlSU_E_NS1_11comp_targetILNS1_3genE9ELNS1_11target_archE1100ELNS1_3gpuE3ELNS1_3repE0EEENS1_30default_config_static_selectorELNS0_4arch9wavefront6targetE0EEEvT1_.uses_flat_scratch, 0
	.set _ZN7rocprim17ROCPRIM_400000_NS6detail17trampoline_kernelINS0_14default_configENS1_27scan_by_key_config_selectorIsiEEZZNS1_16scan_by_key_implILNS1_25lookback_scan_determinismE0ELb1ES3_N6thrust23THRUST_200600_302600_NS6detail15normal_iteratorINS9_10device_ptrIsEEEESE_SE_iNS9_4plusIvEENS9_8equal_toIvEEiEE10hipError_tPvRmT2_T3_T4_T5_mT6_T7_P12ihipStream_tbENKUlT_T0_E_clISt17integral_constantIbLb1EESY_IbLb0EEEEDaSU_SV_EUlSU_E_NS1_11comp_targetILNS1_3genE9ELNS1_11target_archE1100ELNS1_3gpuE3ELNS1_3repE0EEENS1_30default_config_static_selectorELNS0_4arch9wavefront6targetE0EEEvT1_.has_dyn_sized_stack, 0
	.set _ZN7rocprim17ROCPRIM_400000_NS6detail17trampoline_kernelINS0_14default_configENS1_27scan_by_key_config_selectorIsiEEZZNS1_16scan_by_key_implILNS1_25lookback_scan_determinismE0ELb1ES3_N6thrust23THRUST_200600_302600_NS6detail15normal_iteratorINS9_10device_ptrIsEEEESE_SE_iNS9_4plusIvEENS9_8equal_toIvEEiEE10hipError_tPvRmT2_T3_T4_T5_mT6_T7_P12ihipStream_tbENKUlT_T0_E_clISt17integral_constantIbLb1EESY_IbLb0EEEEDaSU_SV_EUlSU_E_NS1_11comp_targetILNS1_3genE9ELNS1_11target_archE1100ELNS1_3gpuE3ELNS1_3repE0EEENS1_30default_config_static_selectorELNS0_4arch9wavefront6targetE0EEEvT1_.has_recursion, 0
	.set _ZN7rocprim17ROCPRIM_400000_NS6detail17trampoline_kernelINS0_14default_configENS1_27scan_by_key_config_selectorIsiEEZZNS1_16scan_by_key_implILNS1_25lookback_scan_determinismE0ELb1ES3_N6thrust23THRUST_200600_302600_NS6detail15normal_iteratorINS9_10device_ptrIsEEEESE_SE_iNS9_4plusIvEENS9_8equal_toIvEEiEE10hipError_tPvRmT2_T3_T4_T5_mT6_T7_P12ihipStream_tbENKUlT_T0_E_clISt17integral_constantIbLb1EESY_IbLb0EEEEDaSU_SV_EUlSU_E_NS1_11comp_targetILNS1_3genE9ELNS1_11target_archE1100ELNS1_3gpuE3ELNS1_3repE0EEENS1_30default_config_static_selectorELNS0_4arch9wavefront6targetE0EEEvT1_.has_indirect_call, 0
	.section	.AMDGPU.csdata,"",@progbits
; Kernel info:
; codeLenInByte = 0
; TotalNumSgprs: 0
; NumVgprs: 0
; ScratchSize: 0
; MemoryBound: 0
; FloatMode: 240
; IeeeMode: 1
; LDSByteSize: 0 bytes/workgroup (compile time only)
; SGPRBlocks: 0
; VGPRBlocks: 0
; NumSGPRsForWavesPerEU: 1
; NumVGPRsForWavesPerEU: 1
; NamedBarCnt: 0
; Occupancy: 16
; WaveLimiterHint : 0
; COMPUTE_PGM_RSRC2:SCRATCH_EN: 0
; COMPUTE_PGM_RSRC2:USER_SGPR: 2
; COMPUTE_PGM_RSRC2:TRAP_HANDLER: 0
; COMPUTE_PGM_RSRC2:TGID_X_EN: 1
; COMPUTE_PGM_RSRC2:TGID_Y_EN: 0
; COMPUTE_PGM_RSRC2:TGID_Z_EN: 0
; COMPUTE_PGM_RSRC2:TIDIG_COMP_CNT: 0
	.section	.text._ZN7rocprim17ROCPRIM_400000_NS6detail17trampoline_kernelINS0_14default_configENS1_27scan_by_key_config_selectorIsiEEZZNS1_16scan_by_key_implILNS1_25lookback_scan_determinismE0ELb1ES3_N6thrust23THRUST_200600_302600_NS6detail15normal_iteratorINS9_10device_ptrIsEEEESE_SE_iNS9_4plusIvEENS9_8equal_toIvEEiEE10hipError_tPvRmT2_T3_T4_T5_mT6_T7_P12ihipStream_tbENKUlT_T0_E_clISt17integral_constantIbLb1EESY_IbLb0EEEEDaSU_SV_EUlSU_E_NS1_11comp_targetILNS1_3genE8ELNS1_11target_archE1030ELNS1_3gpuE2ELNS1_3repE0EEENS1_30default_config_static_selectorELNS0_4arch9wavefront6targetE0EEEvT1_,"axG",@progbits,_ZN7rocprim17ROCPRIM_400000_NS6detail17trampoline_kernelINS0_14default_configENS1_27scan_by_key_config_selectorIsiEEZZNS1_16scan_by_key_implILNS1_25lookback_scan_determinismE0ELb1ES3_N6thrust23THRUST_200600_302600_NS6detail15normal_iteratorINS9_10device_ptrIsEEEESE_SE_iNS9_4plusIvEENS9_8equal_toIvEEiEE10hipError_tPvRmT2_T3_T4_T5_mT6_T7_P12ihipStream_tbENKUlT_T0_E_clISt17integral_constantIbLb1EESY_IbLb0EEEEDaSU_SV_EUlSU_E_NS1_11comp_targetILNS1_3genE8ELNS1_11target_archE1030ELNS1_3gpuE2ELNS1_3repE0EEENS1_30default_config_static_selectorELNS0_4arch9wavefront6targetE0EEEvT1_,comdat
	.protected	_ZN7rocprim17ROCPRIM_400000_NS6detail17trampoline_kernelINS0_14default_configENS1_27scan_by_key_config_selectorIsiEEZZNS1_16scan_by_key_implILNS1_25lookback_scan_determinismE0ELb1ES3_N6thrust23THRUST_200600_302600_NS6detail15normal_iteratorINS9_10device_ptrIsEEEESE_SE_iNS9_4plusIvEENS9_8equal_toIvEEiEE10hipError_tPvRmT2_T3_T4_T5_mT6_T7_P12ihipStream_tbENKUlT_T0_E_clISt17integral_constantIbLb1EESY_IbLb0EEEEDaSU_SV_EUlSU_E_NS1_11comp_targetILNS1_3genE8ELNS1_11target_archE1030ELNS1_3gpuE2ELNS1_3repE0EEENS1_30default_config_static_selectorELNS0_4arch9wavefront6targetE0EEEvT1_ ; -- Begin function _ZN7rocprim17ROCPRIM_400000_NS6detail17trampoline_kernelINS0_14default_configENS1_27scan_by_key_config_selectorIsiEEZZNS1_16scan_by_key_implILNS1_25lookback_scan_determinismE0ELb1ES3_N6thrust23THRUST_200600_302600_NS6detail15normal_iteratorINS9_10device_ptrIsEEEESE_SE_iNS9_4plusIvEENS9_8equal_toIvEEiEE10hipError_tPvRmT2_T3_T4_T5_mT6_T7_P12ihipStream_tbENKUlT_T0_E_clISt17integral_constantIbLb1EESY_IbLb0EEEEDaSU_SV_EUlSU_E_NS1_11comp_targetILNS1_3genE8ELNS1_11target_archE1030ELNS1_3gpuE2ELNS1_3repE0EEENS1_30default_config_static_selectorELNS0_4arch9wavefront6targetE0EEEvT1_
	.globl	_ZN7rocprim17ROCPRIM_400000_NS6detail17trampoline_kernelINS0_14default_configENS1_27scan_by_key_config_selectorIsiEEZZNS1_16scan_by_key_implILNS1_25lookback_scan_determinismE0ELb1ES3_N6thrust23THRUST_200600_302600_NS6detail15normal_iteratorINS9_10device_ptrIsEEEESE_SE_iNS9_4plusIvEENS9_8equal_toIvEEiEE10hipError_tPvRmT2_T3_T4_T5_mT6_T7_P12ihipStream_tbENKUlT_T0_E_clISt17integral_constantIbLb1EESY_IbLb0EEEEDaSU_SV_EUlSU_E_NS1_11comp_targetILNS1_3genE8ELNS1_11target_archE1030ELNS1_3gpuE2ELNS1_3repE0EEENS1_30default_config_static_selectorELNS0_4arch9wavefront6targetE0EEEvT1_
	.p2align	8
	.type	_ZN7rocprim17ROCPRIM_400000_NS6detail17trampoline_kernelINS0_14default_configENS1_27scan_by_key_config_selectorIsiEEZZNS1_16scan_by_key_implILNS1_25lookback_scan_determinismE0ELb1ES3_N6thrust23THRUST_200600_302600_NS6detail15normal_iteratorINS9_10device_ptrIsEEEESE_SE_iNS9_4plusIvEENS9_8equal_toIvEEiEE10hipError_tPvRmT2_T3_T4_T5_mT6_T7_P12ihipStream_tbENKUlT_T0_E_clISt17integral_constantIbLb1EESY_IbLb0EEEEDaSU_SV_EUlSU_E_NS1_11comp_targetILNS1_3genE8ELNS1_11target_archE1030ELNS1_3gpuE2ELNS1_3repE0EEENS1_30default_config_static_selectorELNS0_4arch9wavefront6targetE0EEEvT1_,@function
_ZN7rocprim17ROCPRIM_400000_NS6detail17trampoline_kernelINS0_14default_configENS1_27scan_by_key_config_selectorIsiEEZZNS1_16scan_by_key_implILNS1_25lookback_scan_determinismE0ELb1ES3_N6thrust23THRUST_200600_302600_NS6detail15normal_iteratorINS9_10device_ptrIsEEEESE_SE_iNS9_4plusIvEENS9_8equal_toIvEEiEE10hipError_tPvRmT2_T3_T4_T5_mT6_T7_P12ihipStream_tbENKUlT_T0_E_clISt17integral_constantIbLb1EESY_IbLb0EEEEDaSU_SV_EUlSU_E_NS1_11comp_targetILNS1_3genE8ELNS1_11target_archE1030ELNS1_3gpuE2ELNS1_3repE0EEENS1_30default_config_static_selectorELNS0_4arch9wavefront6targetE0EEEvT1_: ; @_ZN7rocprim17ROCPRIM_400000_NS6detail17trampoline_kernelINS0_14default_configENS1_27scan_by_key_config_selectorIsiEEZZNS1_16scan_by_key_implILNS1_25lookback_scan_determinismE0ELb1ES3_N6thrust23THRUST_200600_302600_NS6detail15normal_iteratorINS9_10device_ptrIsEEEESE_SE_iNS9_4plusIvEENS9_8equal_toIvEEiEE10hipError_tPvRmT2_T3_T4_T5_mT6_T7_P12ihipStream_tbENKUlT_T0_E_clISt17integral_constantIbLb1EESY_IbLb0EEEEDaSU_SV_EUlSU_E_NS1_11comp_targetILNS1_3genE8ELNS1_11target_archE1030ELNS1_3gpuE2ELNS1_3repE0EEENS1_30default_config_static_selectorELNS0_4arch9wavefront6targetE0EEEvT1_
; %bb.0:
	.section	.rodata,"a",@progbits
	.p2align	6, 0x0
	.amdhsa_kernel _ZN7rocprim17ROCPRIM_400000_NS6detail17trampoline_kernelINS0_14default_configENS1_27scan_by_key_config_selectorIsiEEZZNS1_16scan_by_key_implILNS1_25lookback_scan_determinismE0ELb1ES3_N6thrust23THRUST_200600_302600_NS6detail15normal_iteratorINS9_10device_ptrIsEEEESE_SE_iNS9_4plusIvEENS9_8equal_toIvEEiEE10hipError_tPvRmT2_T3_T4_T5_mT6_T7_P12ihipStream_tbENKUlT_T0_E_clISt17integral_constantIbLb1EESY_IbLb0EEEEDaSU_SV_EUlSU_E_NS1_11comp_targetILNS1_3genE8ELNS1_11target_archE1030ELNS1_3gpuE2ELNS1_3repE0EEENS1_30default_config_static_selectorELNS0_4arch9wavefront6targetE0EEEvT1_
		.amdhsa_group_segment_fixed_size 0
		.amdhsa_private_segment_fixed_size 0
		.amdhsa_kernarg_size 112
		.amdhsa_user_sgpr_count 2
		.amdhsa_user_sgpr_dispatch_ptr 0
		.amdhsa_user_sgpr_queue_ptr 0
		.amdhsa_user_sgpr_kernarg_segment_ptr 1
		.amdhsa_user_sgpr_dispatch_id 0
		.amdhsa_user_sgpr_kernarg_preload_length 0
		.amdhsa_user_sgpr_kernarg_preload_offset 0
		.amdhsa_user_sgpr_private_segment_size 0
		.amdhsa_wavefront_size32 1
		.amdhsa_uses_dynamic_stack 0
		.amdhsa_enable_private_segment 0
		.amdhsa_system_sgpr_workgroup_id_x 1
		.amdhsa_system_sgpr_workgroup_id_y 0
		.amdhsa_system_sgpr_workgroup_id_z 0
		.amdhsa_system_sgpr_workgroup_info 0
		.amdhsa_system_vgpr_workitem_id 0
		.amdhsa_next_free_vgpr 1
		.amdhsa_next_free_sgpr 1
		.amdhsa_named_barrier_count 0
		.amdhsa_reserve_vcc 0
		.amdhsa_float_round_mode_32 0
		.amdhsa_float_round_mode_16_64 0
		.amdhsa_float_denorm_mode_32 3
		.amdhsa_float_denorm_mode_16_64 3
		.amdhsa_fp16_overflow 0
		.amdhsa_memory_ordered 1
		.amdhsa_forward_progress 1
		.amdhsa_inst_pref_size 0
		.amdhsa_round_robin_scheduling 0
		.amdhsa_exception_fp_ieee_invalid_op 0
		.amdhsa_exception_fp_denorm_src 0
		.amdhsa_exception_fp_ieee_div_zero 0
		.amdhsa_exception_fp_ieee_overflow 0
		.amdhsa_exception_fp_ieee_underflow 0
		.amdhsa_exception_fp_ieee_inexact 0
		.amdhsa_exception_int_div_zero 0
	.end_amdhsa_kernel
	.section	.text._ZN7rocprim17ROCPRIM_400000_NS6detail17trampoline_kernelINS0_14default_configENS1_27scan_by_key_config_selectorIsiEEZZNS1_16scan_by_key_implILNS1_25lookback_scan_determinismE0ELb1ES3_N6thrust23THRUST_200600_302600_NS6detail15normal_iteratorINS9_10device_ptrIsEEEESE_SE_iNS9_4plusIvEENS9_8equal_toIvEEiEE10hipError_tPvRmT2_T3_T4_T5_mT6_T7_P12ihipStream_tbENKUlT_T0_E_clISt17integral_constantIbLb1EESY_IbLb0EEEEDaSU_SV_EUlSU_E_NS1_11comp_targetILNS1_3genE8ELNS1_11target_archE1030ELNS1_3gpuE2ELNS1_3repE0EEENS1_30default_config_static_selectorELNS0_4arch9wavefront6targetE0EEEvT1_,"axG",@progbits,_ZN7rocprim17ROCPRIM_400000_NS6detail17trampoline_kernelINS0_14default_configENS1_27scan_by_key_config_selectorIsiEEZZNS1_16scan_by_key_implILNS1_25lookback_scan_determinismE0ELb1ES3_N6thrust23THRUST_200600_302600_NS6detail15normal_iteratorINS9_10device_ptrIsEEEESE_SE_iNS9_4plusIvEENS9_8equal_toIvEEiEE10hipError_tPvRmT2_T3_T4_T5_mT6_T7_P12ihipStream_tbENKUlT_T0_E_clISt17integral_constantIbLb1EESY_IbLb0EEEEDaSU_SV_EUlSU_E_NS1_11comp_targetILNS1_3genE8ELNS1_11target_archE1030ELNS1_3gpuE2ELNS1_3repE0EEENS1_30default_config_static_selectorELNS0_4arch9wavefront6targetE0EEEvT1_,comdat
.Lfunc_end1070:
	.size	_ZN7rocprim17ROCPRIM_400000_NS6detail17trampoline_kernelINS0_14default_configENS1_27scan_by_key_config_selectorIsiEEZZNS1_16scan_by_key_implILNS1_25lookback_scan_determinismE0ELb1ES3_N6thrust23THRUST_200600_302600_NS6detail15normal_iteratorINS9_10device_ptrIsEEEESE_SE_iNS9_4plusIvEENS9_8equal_toIvEEiEE10hipError_tPvRmT2_T3_T4_T5_mT6_T7_P12ihipStream_tbENKUlT_T0_E_clISt17integral_constantIbLb1EESY_IbLb0EEEEDaSU_SV_EUlSU_E_NS1_11comp_targetILNS1_3genE8ELNS1_11target_archE1030ELNS1_3gpuE2ELNS1_3repE0EEENS1_30default_config_static_selectorELNS0_4arch9wavefront6targetE0EEEvT1_, .Lfunc_end1070-_ZN7rocprim17ROCPRIM_400000_NS6detail17trampoline_kernelINS0_14default_configENS1_27scan_by_key_config_selectorIsiEEZZNS1_16scan_by_key_implILNS1_25lookback_scan_determinismE0ELb1ES3_N6thrust23THRUST_200600_302600_NS6detail15normal_iteratorINS9_10device_ptrIsEEEESE_SE_iNS9_4plusIvEENS9_8equal_toIvEEiEE10hipError_tPvRmT2_T3_T4_T5_mT6_T7_P12ihipStream_tbENKUlT_T0_E_clISt17integral_constantIbLb1EESY_IbLb0EEEEDaSU_SV_EUlSU_E_NS1_11comp_targetILNS1_3genE8ELNS1_11target_archE1030ELNS1_3gpuE2ELNS1_3repE0EEENS1_30default_config_static_selectorELNS0_4arch9wavefront6targetE0EEEvT1_
                                        ; -- End function
	.set _ZN7rocprim17ROCPRIM_400000_NS6detail17trampoline_kernelINS0_14default_configENS1_27scan_by_key_config_selectorIsiEEZZNS1_16scan_by_key_implILNS1_25lookback_scan_determinismE0ELb1ES3_N6thrust23THRUST_200600_302600_NS6detail15normal_iteratorINS9_10device_ptrIsEEEESE_SE_iNS9_4plusIvEENS9_8equal_toIvEEiEE10hipError_tPvRmT2_T3_T4_T5_mT6_T7_P12ihipStream_tbENKUlT_T0_E_clISt17integral_constantIbLb1EESY_IbLb0EEEEDaSU_SV_EUlSU_E_NS1_11comp_targetILNS1_3genE8ELNS1_11target_archE1030ELNS1_3gpuE2ELNS1_3repE0EEENS1_30default_config_static_selectorELNS0_4arch9wavefront6targetE0EEEvT1_.num_vgpr, 0
	.set _ZN7rocprim17ROCPRIM_400000_NS6detail17trampoline_kernelINS0_14default_configENS1_27scan_by_key_config_selectorIsiEEZZNS1_16scan_by_key_implILNS1_25lookback_scan_determinismE0ELb1ES3_N6thrust23THRUST_200600_302600_NS6detail15normal_iteratorINS9_10device_ptrIsEEEESE_SE_iNS9_4plusIvEENS9_8equal_toIvEEiEE10hipError_tPvRmT2_T3_T4_T5_mT6_T7_P12ihipStream_tbENKUlT_T0_E_clISt17integral_constantIbLb1EESY_IbLb0EEEEDaSU_SV_EUlSU_E_NS1_11comp_targetILNS1_3genE8ELNS1_11target_archE1030ELNS1_3gpuE2ELNS1_3repE0EEENS1_30default_config_static_selectorELNS0_4arch9wavefront6targetE0EEEvT1_.num_agpr, 0
	.set _ZN7rocprim17ROCPRIM_400000_NS6detail17trampoline_kernelINS0_14default_configENS1_27scan_by_key_config_selectorIsiEEZZNS1_16scan_by_key_implILNS1_25lookback_scan_determinismE0ELb1ES3_N6thrust23THRUST_200600_302600_NS6detail15normal_iteratorINS9_10device_ptrIsEEEESE_SE_iNS9_4plusIvEENS9_8equal_toIvEEiEE10hipError_tPvRmT2_T3_T4_T5_mT6_T7_P12ihipStream_tbENKUlT_T0_E_clISt17integral_constantIbLb1EESY_IbLb0EEEEDaSU_SV_EUlSU_E_NS1_11comp_targetILNS1_3genE8ELNS1_11target_archE1030ELNS1_3gpuE2ELNS1_3repE0EEENS1_30default_config_static_selectorELNS0_4arch9wavefront6targetE0EEEvT1_.numbered_sgpr, 0
	.set _ZN7rocprim17ROCPRIM_400000_NS6detail17trampoline_kernelINS0_14default_configENS1_27scan_by_key_config_selectorIsiEEZZNS1_16scan_by_key_implILNS1_25lookback_scan_determinismE0ELb1ES3_N6thrust23THRUST_200600_302600_NS6detail15normal_iteratorINS9_10device_ptrIsEEEESE_SE_iNS9_4plusIvEENS9_8equal_toIvEEiEE10hipError_tPvRmT2_T3_T4_T5_mT6_T7_P12ihipStream_tbENKUlT_T0_E_clISt17integral_constantIbLb1EESY_IbLb0EEEEDaSU_SV_EUlSU_E_NS1_11comp_targetILNS1_3genE8ELNS1_11target_archE1030ELNS1_3gpuE2ELNS1_3repE0EEENS1_30default_config_static_selectorELNS0_4arch9wavefront6targetE0EEEvT1_.num_named_barrier, 0
	.set _ZN7rocprim17ROCPRIM_400000_NS6detail17trampoline_kernelINS0_14default_configENS1_27scan_by_key_config_selectorIsiEEZZNS1_16scan_by_key_implILNS1_25lookback_scan_determinismE0ELb1ES3_N6thrust23THRUST_200600_302600_NS6detail15normal_iteratorINS9_10device_ptrIsEEEESE_SE_iNS9_4plusIvEENS9_8equal_toIvEEiEE10hipError_tPvRmT2_T3_T4_T5_mT6_T7_P12ihipStream_tbENKUlT_T0_E_clISt17integral_constantIbLb1EESY_IbLb0EEEEDaSU_SV_EUlSU_E_NS1_11comp_targetILNS1_3genE8ELNS1_11target_archE1030ELNS1_3gpuE2ELNS1_3repE0EEENS1_30default_config_static_selectorELNS0_4arch9wavefront6targetE0EEEvT1_.private_seg_size, 0
	.set _ZN7rocprim17ROCPRIM_400000_NS6detail17trampoline_kernelINS0_14default_configENS1_27scan_by_key_config_selectorIsiEEZZNS1_16scan_by_key_implILNS1_25lookback_scan_determinismE0ELb1ES3_N6thrust23THRUST_200600_302600_NS6detail15normal_iteratorINS9_10device_ptrIsEEEESE_SE_iNS9_4plusIvEENS9_8equal_toIvEEiEE10hipError_tPvRmT2_T3_T4_T5_mT6_T7_P12ihipStream_tbENKUlT_T0_E_clISt17integral_constantIbLb1EESY_IbLb0EEEEDaSU_SV_EUlSU_E_NS1_11comp_targetILNS1_3genE8ELNS1_11target_archE1030ELNS1_3gpuE2ELNS1_3repE0EEENS1_30default_config_static_selectorELNS0_4arch9wavefront6targetE0EEEvT1_.uses_vcc, 0
	.set _ZN7rocprim17ROCPRIM_400000_NS6detail17trampoline_kernelINS0_14default_configENS1_27scan_by_key_config_selectorIsiEEZZNS1_16scan_by_key_implILNS1_25lookback_scan_determinismE0ELb1ES3_N6thrust23THRUST_200600_302600_NS6detail15normal_iteratorINS9_10device_ptrIsEEEESE_SE_iNS9_4plusIvEENS9_8equal_toIvEEiEE10hipError_tPvRmT2_T3_T4_T5_mT6_T7_P12ihipStream_tbENKUlT_T0_E_clISt17integral_constantIbLb1EESY_IbLb0EEEEDaSU_SV_EUlSU_E_NS1_11comp_targetILNS1_3genE8ELNS1_11target_archE1030ELNS1_3gpuE2ELNS1_3repE0EEENS1_30default_config_static_selectorELNS0_4arch9wavefront6targetE0EEEvT1_.uses_flat_scratch, 0
	.set _ZN7rocprim17ROCPRIM_400000_NS6detail17trampoline_kernelINS0_14default_configENS1_27scan_by_key_config_selectorIsiEEZZNS1_16scan_by_key_implILNS1_25lookback_scan_determinismE0ELb1ES3_N6thrust23THRUST_200600_302600_NS6detail15normal_iteratorINS9_10device_ptrIsEEEESE_SE_iNS9_4plusIvEENS9_8equal_toIvEEiEE10hipError_tPvRmT2_T3_T4_T5_mT6_T7_P12ihipStream_tbENKUlT_T0_E_clISt17integral_constantIbLb1EESY_IbLb0EEEEDaSU_SV_EUlSU_E_NS1_11comp_targetILNS1_3genE8ELNS1_11target_archE1030ELNS1_3gpuE2ELNS1_3repE0EEENS1_30default_config_static_selectorELNS0_4arch9wavefront6targetE0EEEvT1_.has_dyn_sized_stack, 0
	.set _ZN7rocprim17ROCPRIM_400000_NS6detail17trampoline_kernelINS0_14default_configENS1_27scan_by_key_config_selectorIsiEEZZNS1_16scan_by_key_implILNS1_25lookback_scan_determinismE0ELb1ES3_N6thrust23THRUST_200600_302600_NS6detail15normal_iteratorINS9_10device_ptrIsEEEESE_SE_iNS9_4plusIvEENS9_8equal_toIvEEiEE10hipError_tPvRmT2_T3_T4_T5_mT6_T7_P12ihipStream_tbENKUlT_T0_E_clISt17integral_constantIbLb1EESY_IbLb0EEEEDaSU_SV_EUlSU_E_NS1_11comp_targetILNS1_3genE8ELNS1_11target_archE1030ELNS1_3gpuE2ELNS1_3repE0EEENS1_30default_config_static_selectorELNS0_4arch9wavefront6targetE0EEEvT1_.has_recursion, 0
	.set _ZN7rocprim17ROCPRIM_400000_NS6detail17trampoline_kernelINS0_14default_configENS1_27scan_by_key_config_selectorIsiEEZZNS1_16scan_by_key_implILNS1_25lookback_scan_determinismE0ELb1ES3_N6thrust23THRUST_200600_302600_NS6detail15normal_iteratorINS9_10device_ptrIsEEEESE_SE_iNS9_4plusIvEENS9_8equal_toIvEEiEE10hipError_tPvRmT2_T3_T4_T5_mT6_T7_P12ihipStream_tbENKUlT_T0_E_clISt17integral_constantIbLb1EESY_IbLb0EEEEDaSU_SV_EUlSU_E_NS1_11comp_targetILNS1_3genE8ELNS1_11target_archE1030ELNS1_3gpuE2ELNS1_3repE0EEENS1_30default_config_static_selectorELNS0_4arch9wavefront6targetE0EEEvT1_.has_indirect_call, 0
	.section	.AMDGPU.csdata,"",@progbits
; Kernel info:
; codeLenInByte = 0
; TotalNumSgprs: 0
; NumVgprs: 0
; ScratchSize: 0
; MemoryBound: 0
; FloatMode: 240
; IeeeMode: 1
; LDSByteSize: 0 bytes/workgroup (compile time only)
; SGPRBlocks: 0
; VGPRBlocks: 0
; NumSGPRsForWavesPerEU: 1
; NumVGPRsForWavesPerEU: 1
; NamedBarCnt: 0
; Occupancy: 16
; WaveLimiterHint : 0
; COMPUTE_PGM_RSRC2:SCRATCH_EN: 0
; COMPUTE_PGM_RSRC2:USER_SGPR: 2
; COMPUTE_PGM_RSRC2:TRAP_HANDLER: 0
; COMPUTE_PGM_RSRC2:TGID_X_EN: 1
; COMPUTE_PGM_RSRC2:TGID_Y_EN: 0
; COMPUTE_PGM_RSRC2:TGID_Z_EN: 0
; COMPUTE_PGM_RSRC2:TIDIG_COMP_CNT: 0
	.section	.text._ZN7rocprim17ROCPRIM_400000_NS6detail30init_device_scan_by_key_kernelINS1_19lookback_scan_stateINS0_5tupleIJibEEELb0ELb1EEEN6thrust23THRUST_200600_302600_NS6detail15normal_iteratorINS8_10device_ptrIsEEEEjNS1_16block_id_wrapperIjLb1EEEEEvT_jjPNSG_10value_typeET0_PNSt15iterator_traitsISJ_E10value_typeEmT1_T2_,"axG",@progbits,_ZN7rocprim17ROCPRIM_400000_NS6detail30init_device_scan_by_key_kernelINS1_19lookback_scan_stateINS0_5tupleIJibEEELb0ELb1EEEN6thrust23THRUST_200600_302600_NS6detail15normal_iteratorINS8_10device_ptrIsEEEEjNS1_16block_id_wrapperIjLb1EEEEEvT_jjPNSG_10value_typeET0_PNSt15iterator_traitsISJ_E10value_typeEmT1_T2_,comdat
	.protected	_ZN7rocprim17ROCPRIM_400000_NS6detail30init_device_scan_by_key_kernelINS1_19lookback_scan_stateINS0_5tupleIJibEEELb0ELb1EEEN6thrust23THRUST_200600_302600_NS6detail15normal_iteratorINS8_10device_ptrIsEEEEjNS1_16block_id_wrapperIjLb1EEEEEvT_jjPNSG_10value_typeET0_PNSt15iterator_traitsISJ_E10value_typeEmT1_T2_ ; -- Begin function _ZN7rocprim17ROCPRIM_400000_NS6detail30init_device_scan_by_key_kernelINS1_19lookback_scan_stateINS0_5tupleIJibEEELb0ELb1EEEN6thrust23THRUST_200600_302600_NS6detail15normal_iteratorINS8_10device_ptrIsEEEEjNS1_16block_id_wrapperIjLb1EEEEEvT_jjPNSG_10value_typeET0_PNSt15iterator_traitsISJ_E10value_typeEmT1_T2_
	.globl	_ZN7rocprim17ROCPRIM_400000_NS6detail30init_device_scan_by_key_kernelINS1_19lookback_scan_stateINS0_5tupleIJibEEELb0ELb1EEEN6thrust23THRUST_200600_302600_NS6detail15normal_iteratorINS8_10device_ptrIsEEEEjNS1_16block_id_wrapperIjLb1EEEEEvT_jjPNSG_10value_typeET0_PNSt15iterator_traitsISJ_E10value_typeEmT1_T2_
	.p2align	8
	.type	_ZN7rocprim17ROCPRIM_400000_NS6detail30init_device_scan_by_key_kernelINS1_19lookback_scan_stateINS0_5tupleIJibEEELb0ELb1EEEN6thrust23THRUST_200600_302600_NS6detail15normal_iteratorINS8_10device_ptrIsEEEEjNS1_16block_id_wrapperIjLb1EEEEEvT_jjPNSG_10value_typeET0_PNSt15iterator_traitsISJ_E10value_typeEmT1_T2_,@function
_ZN7rocprim17ROCPRIM_400000_NS6detail30init_device_scan_by_key_kernelINS1_19lookback_scan_stateINS0_5tupleIJibEEELb0ELb1EEEN6thrust23THRUST_200600_302600_NS6detail15normal_iteratorINS8_10device_ptrIsEEEEjNS1_16block_id_wrapperIjLb1EEEEEvT_jjPNSG_10value_typeET0_PNSt15iterator_traitsISJ_E10value_typeEmT1_T2_: ; @_ZN7rocprim17ROCPRIM_400000_NS6detail30init_device_scan_by_key_kernelINS1_19lookback_scan_stateINS0_5tupleIJibEEELb0ELb1EEEN6thrust23THRUST_200600_302600_NS6detail15normal_iteratorINS8_10device_ptrIsEEEEjNS1_16block_id_wrapperIjLb1EEEEEvT_jjPNSG_10value_typeET0_PNSt15iterator_traitsISJ_E10value_typeEmT1_T2_
; %bb.0:
	s_clause 0x2
	s_load_b32 s2, s[0:1], 0x4c
	s_load_b32 s14, s[0:1], 0x40
	s_load_b256 s[4:11], s[0:1], 0x0
	s_bfe_u32 s3, ttmp6, 0x4000c
	s_and_b32 s12, ttmp6, 15
	s_add_co_i32 s3, s3, 1
	s_getreg_b32 s13, hwreg(HW_REG_IB_STS2, 6, 4)
	s_mul_i32 s3, ttmp9, s3
	s_delay_alu instid0(SALU_CYCLE_1)
	s_add_co_i32 s12, s12, s3
	s_wait_kmcnt 0x0
	s_and_b32 s15, s2, 0xffff
	s_cmp_eq_u32 s13, 0
	s_cselect_b32 s2, ttmp9, s12
	s_cmp_eq_u64 s[8:9], 0
	v_mad_u32 v4, s2, s15, v0
	s_cbranch_scc1 .LBB1071_8
; %bb.1:
	s_cmp_lt_u32 s7, s6
	s_mov_b32 s16, exec_lo
	s_cselect_b32 s2, s7, 0
	s_delay_alu instid0(VALU_DEP_1) | instid1(SALU_CYCLE_1)
	v_cmpx_eq_u32_e64 s2, v4
	s_cbranch_execz .LBB1071_7
; %bb.2:
	s_add_co_i32 s2, s7, 32
	s_mov_b32 s3, 0
	v_mov_b32_e32 v7, 0
	s_lshl_b64 s[12:13], s[2:3], 4
	s_mov_b32 s2, exec_lo
	s_add_nc_u64 s[12:13], s[4:5], s[12:13]
	s_delay_alu instid0(SALU_CYCLE_1) | instskip(SKIP_2) | instid1(VALU_DEP_1)
	v_mov_b64_e32 v[0:1], s[12:13]
	;;#ASMSTART
	global_load_b128 v[0:3], v[0:1] off scope:SCOPE_DEV	
s_wait_loadcnt 0x0
	;;#ASMEND
	v_and_b32_e32 v6, 0xff, v2
	v_cmpx_eq_u64_e32 0, v[6:7]
	s_cbranch_execz .LBB1071_6
; %bb.3:
	v_mov_b64_e32 v[8:9], s[12:13]
.LBB1071_4:                             ; =>This Inner Loop Header: Depth=1
	;;#ASMSTART
	global_load_b128 v[0:3], v[8:9] off scope:SCOPE_DEV	
s_wait_loadcnt 0x0
	;;#ASMEND
	v_and_b32_e32 v6, 0xff, v2
	s_delay_alu instid0(VALU_DEP_1) | instskip(SKIP_1) | instid1(SALU_CYCLE_1)
	v_cmp_ne_u64_e32 vcc_lo, 0, v[6:7]
	s_or_b32 s3, vcc_lo, s3
	s_and_not1_b32 exec_lo, exec_lo, s3
	s_cbranch_execnz .LBB1071_4
; %bb.5:
	s_or_b32 exec_lo, exec_lo, s3
.LBB1071_6:
	s_delay_alu instid0(SALU_CYCLE_1)
	s_or_b32 exec_lo, exec_lo, s2
	v_mov_b32_e32 v2, 0
	s_clause 0x1
	global_store_b32 v2, v0, s[8:9]
	global_store_b8 v2, v1, s[8:9] offset:4
.LBB1071_7:
	s_wait_xcnt 0x0
	s_or_b32 exec_lo, exec_lo, s16
.LBB1071_8:
	s_delay_alu instid0(SALU_CYCLE_1) | instskip(NEXT) | instid1(VALU_DEP_1)
	s_mov_b32 s2, exec_lo
	v_cmpx_eq_u32_e32 0, v4
	s_cbranch_execz .LBB1071_10
; %bb.9:
	s_load_b64 s[8:9], s[0:1], 0x38
	v_mov_b32_e32 v0, 0
	s_wait_kmcnt 0x0
	global_store_b32 v0, v0, s[8:9]
.LBB1071_10:
	s_wait_xcnt 0x0
	s_or_b32 exec_lo, exec_lo, s2
	s_delay_alu instid0(SALU_CYCLE_1)
	s_mov_b32 s2, exec_lo
	v_cmpx_gt_u32_e64 s6, v4
	s_cbranch_execz .LBB1071_12
; %bb.11:
	v_dual_mov_b32 v0, 0 :: v_dual_add_nc_u32 v5, 32, v4
	s_delay_alu instid0(VALU_DEP_1)
	v_dual_mov_b32 v1, v0 :: v_dual_mov_b32 v2, v0
	v_mov_b32_e32 v3, v0
	global_store_b128 v5, v[0:3], s[4:5] scale_offset
.LBB1071_12:
	s_wait_xcnt 0x0
	s_or_b32 exec_lo, exec_lo, s2
	v_mov_b32_e32 v5, 0
	s_mov_b32 s2, exec_lo
	v_cmpx_gt_u32_e32 32, v4
	s_cbranch_execz .LBB1071_14
; %bb.13:
	s_delay_alu instid0(VALU_DEP_2)
	v_lshl_add_u64 v[6:7], v[4:5], 4, s[4:5]
	v_dual_mov_b32 v2, 0xff :: v_dual_mov_b32 v1, v5
	v_dual_mov_b32 v0, v5 :: v_dual_mov_b32 v3, v5
	global_store_b128 v[6:7], v[0:3], off
.LBB1071_14:
	s_wait_xcnt 0x0
	s_or_b32 exec_lo, exec_lo, s2
	s_load_b64 s[2:3], s[0:1], 0x28
	s_mov_b32 s4, exec_lo
	s_wait_kmcnt 0x0
	v_cmpx_gt_u64_e64 s[2:3], v[4:5]
	s_cbranch_execz .LBB1071_17
; %bb.15:
	s_clause 0x1
	s_load_b32 s4, s[0:1], 0x30
	s_load_b64 s[6:7], s[0:1], 0x20
	s_mov_b32 s5, 0
	s_wait_xcnt 0x0
	s_mul_i32 s0, s14, s15
	s_mov_b32 s9, s5
	s_mov_b32 s1, s5
	s_wait_kmcnt 0x0
	v_mul_u64_e32 v[0:1], s[4:5], v[4:5]
	s_add_co_i32 s8, s4, -1
	v_lshl_add_u64 v[2:3], v[4:5], 1, s[6:7]
	s_lshl_b64 s[8:9], s[8:9], 1
	s_delay_alu instid0(SALU_CYCLE_1) | instskip(SKIP_1) | instid1(SALU_CYCLE_1)
	s_add_nc_u64 s[8:9], s[10:11], s[8:9]
	s_mul_u64 s[10:11], s[4:5], s[0:1]
	s_lshl_b64 s[6:7], s[10:11], 1
	s_delay_alu instid0(VALU_DEP_2)
	v_lshl_add_u64 v[0:1], v[0:1], 1, s[8:9]
	s_lshl_b64 s[8:9], s[0:1], 1
.LBB1071_16:                            ; =>This Inner Loop Header: Depth=1
	global_load_u16 v6, v[0:1], off
	v_add_nc_u64_e32 v[4:5], s[0:1], v[4:5]
	s_wait_xcnt 0x0
	v_add_nc_u64_e32 v[0:1], s[6:7], v[0:1]
	s_delay_alu instid0(VALU_DEP_2)
	v_cmp_le_u64_e32 vcc_lo, s[2:3], v[4:5]
	s_or_b32 s5, vcc_lo, s5
	s_wait_loadcnt 0x0
	global_store_b16 v[2:3], v6, off
	s_wait_xcnt 0x0
	v_add_nc_u64_e32 v[2:3], s[8:9], v[2:3]
	s_and_not1_b32 exec_lo, exec_lo, s5
	s_cbranch_execnz .LBB1071_16
.LBB1071_17:
	s_endpgm
	.section	.rodata,"a",@progbits
	.p2align	6, 0x0
	.amdhsa_kernel _ZN7rocprim17ROCPRIM_400000_NS6detail30init_device_scan_by_key_kernelINS1_19lookback_scan_stateINS0_5tupleIJibEEELb0ELb1EEEN6thrust23THRUST_200600_302600_NS6detail15normal_iteratorINS8_10device_ptrIsEEEEjNS1_16block_id_wrapperIjLb1EEEEEvT_jjPNSG_10value_typeET0_PNSt15iterator_traitsISJ_E10value_typeEmT1_T2_
		.amdhsa_group_segment_fixed_size 0
		.amdhsa_private_segment_fixed_size 0
		.amdhsa_kernarg_size 320
		.amdhsa_user_sgpr_count 2
		.amdhsa_user_sgpr_dispatch_ptr 0
		.amdhsa_user_sgpr_queue_ptr 0
		.amdhsa_user_sgpr_kernarg_segment_ptr 1
		.amdhsa_user_sgpr_dispatch_id 0
		.amdhsa_user_sgpr_kernarg_preload_length 0
		.amdhsa_user_sgpr_kernarg_preload_offset 0
		.amdhsa_user_sgpr_private_segment_size 0
		.amdhsa_wavefront_size32 1
		.amdhsa_uses_dynamic_stack 0
		.amdhsa_enable_private_segment 0
		.amdhsa_system_sgpr_workgroup_id_x 1
		.amdhsa_system_sgpr_workgroup_id_y 0
		.amdhsa_system_sgpr_workgroup_id_z 0
		.amdhsa_system_sgpr_workgroup_info 0
		.amdhsa_system_vgpr_workitem_id 0
		.amdhsa_next_free_vgpr 10
		.amdhsa_next_free_sgpr 17
		.amdhsa_named_barrier_count 0
		.amdhsa_reserve_vcc 1
		.amdhsa_float_round_mode_32 0
		.amdhsa_float_round_mode_16_64 0
		.amdhsa_float_denorm_mode_32 3
		.amdhsa_float_denorm_mode_16_64 3
		.amdhsa_fp16_overflow 0
		.amdhsa_memory_ordered 1
		.amdhsa_forward_progress 1
		.amdhsa_inst_pref_size 5
		.amdhsa_round_robin_scheduling 0
		.amdhsa_exception_fp_ieee_invalid_op 0
		.amdhsa_exception_fp_denorm_src 0
		.amdhsa_exception_fp_ieee_div_zero 0
		.amdhsa_exception_fp_ieee_overflow 0
		.amdhsa_exception_fp_ieee_underflow 0
		.amdhsa_exception_fp_ieee_inexact 0
		.amdhsa_exception_int_div_zero 0
	.end_amdhsa_kernel
	.section	.text._ZN7rocprim17ROCPRIM_400000_NS6detail30init_device_scan_by_key_kernelINS1_19lookback_scan_stateINS0_5tupleIJibEEELb0ELb1EEEN6thrust23THRUST_200600_302600_NS6detail15normal_iteratorINS8_10device_ptrIsEEEEjNS1_16block_id_wrapperIjLb1EEEEEvT_jjPNSG_10value_typeET0_PNSt15iterator_traitsISJ_E10value_typeEmT1_T2_,"axG",@progbits,_ZN7rocprim17ROCPRIM_400000_NS6detail30init_device_scan_by_key_kernelINS1_19lookback_scan_stateINS0_5tupleIJibEEELb0ELb1EEEN6thrust23THRUST_200600_302600_NS6detail15normal_iteratorINS8_10device_ptrIsEEEEjNS1_16block_id_wrapperIjLb1EEEEEvT_jjPNSG_10value_typeET0_PNSt15iterator_traitsISJ_E10value_typeEmT1_T2_,comdat
.Lfunc_end1071:
	.size	_ZN7rocprim17ROCPRIM_400000_NS6detail30init_device_scan_by_key_kernelINS1_19lookback_scan_stateINS0_5tupleIJibEEELb0ELb1EEEN6thrust23THRUST_200600_302600_NS6detail15normal_iteratorINS8_10device_ptrIsEEEEjNS1_16block_id_wrapperIjLb1EEEEEvT_jjPNSG_10value_typeET0_PNSt15iterator_traitsISJ_E10value_typeEmT1_T2_, .Lfunc_end1071-_ZN7rocprim17ROCPRIM_400000_NS6detail30init_device_scan_by_key_kernelINS1_19lookback_scan_stateINS0_5tupleIJibEEELb0ELb1EEEN6thrust23THRUST_200600_302600_NS6detail15normal_iteratorINS8_10device_ptrIsEEEEjNS1_16block_id_wrapperIjLb1EEEEEvT_jjPNSG_10value_typeET0_PNSt15iterator_traitsISJ_E10value_typeEmT1_T2_
                                        ; -- End function
	.set _ZN7rocprim17ROCPRIM_400000_NS6detail30init_device_scan_by_key_kernelINS1_19lookback_scan_stateINS0_5tupleIJibEEELb0ELb1EEEN6thrust23THRUST_200600_302600_NS6detail15normal_iteratorINS8_10device_ptrIsEEEEjNS1_16block_id_wrapperIjLb1EEEEEvT_jjPNSG_10value_typeET0_PNSt15iterator_traitsISJ_E10value_typeEmT1_T2_.num_vgpr, 10
	.set _ZN7rocprim17ROCPRIM_400000_NS6detail30init_device_scan_by_key_kernelINS1_19lookback_scan_stateINS0_5tupleIJibEEELb0ELb1EEEN6thrust23THRUST_200600_302600_NS6detail15normal_iteratorINS8_10device_ptrIsEEEEjNS1_16block_id_wrapperIjLb1EEEEEvT_jjPNSG_10value_typeET0_PNSt15iterator_traitsISJ_E10value_typeEmT1_T2_.num_agpr, 0
	.set _ZN7rocprim17ROCPRIM_400000_NS6detail30init_device_scan_by_key_kernelINS1_19lookback_scan_stateINS0_5tupleIJibEEELb0ELb1EEEN6thrust23THRUST_200600_302600_NS6detail15normal_iteratorINS8_10device_ptrIsEEEEjNS1_16block_id_wrapperIjLb1EEEEEvT_jjPNSG_10value_typeET0_PNSt15iterator_traitsISJ_E10value_typeEmT1_T2_.numbered_sgpr, 17
	.set _ZN7rocprim17ROCPRIM_400000_NS6detail30init_device_scan_by_key_kernelINS1_19lookback_scan_stateINS0_5tupleIJibEEELb0ELb1EEEN6thrust23THRUST_200600_302600_NS6detail15normal_iteratorINS8_10device_ptrIsEEEEjNS1_16block_id_wrapperIjLb1EEEEEvT_jjPNSG_10value_typeET0_PNSt15iterator_traitsISJ_E10value_typeEmT1_T2_.num_named_barrier, 0
	.set _ZN7rocprim17ROCPRIM_400000_NS6detail30init_device_scan_by_key_kernelINS1_19lookback_scan_stateINS0_5tupleIJibEEELb0ELb1EEEN6thrust23THRUST_200600_302600_NS6detail15normal_iteratorINS8_10device_ptrIsEEEEjNS1_16block_id_wrapperIjLb1EEEEEvT_jjPNSG_10value_typeET0_PNSt15iterator_traitsISJ_E10value_typeEmT1_T2_.private_seg_size, 0
	.set _ZN7rocprim17ROCPRIM_400000_NS6detail30init_device_scan_by_key_kernelINS1_19lookback_scan_stateINS0_5tupleIJibEEELb0ELb1EEEN6thrust23THRUST_200600_302600_NS6detail15normal_iteratorINS8_10device_ptrIsEEEEjNS1_16block_id_wrapperIjLb1EEEEEvT_jjPNSG_10value_typeET0_PNSt15iterator_traitsISJ_E10value_typeEmT1_T2_.uses_vcc, 1
	.set _ZN7rocprim17ROCPRIM_400000_NS6detail30init_device_scan_by_key_kernelINS1_19lookback_scan_stateINS0_5tupleIJibEEELb0ELb1EEEN6thrust23THRUST_200600_302600_NS6detail15normal_iteratorINS8_10device_ptrIsEEEEjNS1_16block_id_wrapperIjLb1EEEEEvT_jjPNSG_10value_typeET0_PNSt15iterator_traitsISJ_E10value_typeEmT1_T2_.uses_flat_scratch, 0
	.set _ZN7rocprim17ROCPRIM_400000_NS6detail30init_device_scan_by_key_kernelINS1_19lookback_scan_stateINS0_5tupleIJibEEELb0ELb1EEEN6thrust23THRUST_200600_302600_NS6detail15normal_iteratorINS8_10device_ptrIsEEEEjNS1_16block_id_wrapperIjLb1EEEEEvT_jjPNSG_10value_typeET0_PNSt15iterator_traitsISJ_E10value_typeEmT1_T2_.has_dyn_sized_stack, 0
	.set _ZN7rocprim17ROCPRIM_400000_NS6detail30init_device_scan_by_key_kernelINS1_19lookback_scan_stateINS0_5tupleIJibEEELb0ELb1EEEN6thrust23THRUST_200600_302600_NS6detail15normal_iteratorINS8_10device_ptrIsEEEEjNS1_16block_id_wrapperIjLb1EEEEEvT_jjPNSG_10value_typeET0_PNSt15iterator_traitsISJ_E10value_typeEmT1_T2_.has_recursion, 0
	.set _ZN7rocprim17ROCPRIM_400000_NS6detail30init_device_scan_by_key_kernelINS1_19lookback_scan_stateINS0_5tupleIJibEEELb0ELb1EEEN6thrust23THRUST_200600_302600_NS6detail15normal_iteratorINS8_10device_ptrIsEEEEjNS1_16block_id_wrapperIjLb1EEEEEvT_jjPNSG_10value_typeET0_PNSt15iterator_traitsISJ_E10value_typeEmT1_T2_.has_indirect_call, 0
	.section	.AMDGPU.csdata,"",@progbits
; Kernel info:
; codeLenInByte = 636
; TotalNumSgprs: 19
; NumVgprs: 10
; ScratchSize: 0
; MemoryBound: 0
; FloatMode: 240
; IeeeMode: 1
; LDSByteSize: 0 bytes/workgroup (compile time only)
; SGPRBlocks: 0
; VGPRBlocks: 0
; NumSGPRsForWavesPerEU: 19
; NumVGPRsForWavesPerEU: 10
; NamedBarCnt: 0
; Occupancy: 16
; WaveLimiterHint : 0
; COMPUTE_PGM_RSRC2:SCRATCH_EN: 0
; COMPUTE_PGM_RSRC2:USER_SGPR: 2
; COMPUTE_PGM_RSRC2:TRAP_HANDLER: 0
; COMPUTE_PGM_RSRC2:TGID_X_EN: 1
; COMPUTE_PGM_RSRC2:TGID_Y_EN: 0
; COMPUTE_PGM_RSRC2:TGID_Z_EN: 0
; COMPUTE_PGM_RSRC2:TIDIG_COMP_CNT: 0
	.section	.text._ZN7rocprim17ROCPRIM_400000_NS6detail17trampoline_kernelINS0_14default_configENS1_27scan_by_key_config_selectorIsiEEZZNS1_16scan_by_key_implILNS1_25lookback_scan_determinismE0ELb1ES3_N6thrust23THRUST_200600_302600_NS6detail15normal_iteratorINS9_10device_ptrIsEEEESE_SE_iNS9_4plusIvEENS9_8equal_toIvEEiEE10hipError_tPvRmT2_T3_T4_T5_mT6_T7_P12ihipStream_tbENKUlT_T0_E_clISt17integral_constantIbLb0EESY_IbLb1EEEEDaSU_SV_EUlSU_E_NS1_11comp_targetILNS1_3genE0ELNS1_11target_archE4294967295ELNS1_3gpuE0ELNS1_3repE0EEENS1_30default_config_static_selectorELNS0_4arch9wavefront6targetE0EEEvT1_,"axG",@progbits,_ZN7rocprim17ROCPRIM_400000_NS6detail17trampoline_kernelINS0_14default_configENS1_27scan_by_key_config_selectorIsiEEZZNS1_16scan_by_key_implILNS1_25lookback_scan_determinismE0ELb1ES3_N6thrust23THRUST_200600_302600_NS6detail15normal_iteratorINS9_10device_ptrIsEEEESE_SE_iNS9_4plusIvEENS9_8equal_toIvEEiEE10hipError_tPvRmT2_T3_T4_T5_mT6_T7_P12ihipStream_tbENKUlT_T0_E_clISt17integral_constantIbLb0EESY_IbLb1EEEEDaSU_SV_EUlSU_E_NS1_11comp_targetILNS1_3genE0ELNS1_11target_archE4294967295ELNS1_3gpuE0ELNS1_3repE0EEENS1_30default_config_static_selectorELNS0_4arch9wavefront6targetE0EEEvT1_,comdat
	.protected	_ZN7rocprim17ROCPRIM_400000_NS6detail17trampoline_kernelINS0_14default_configENS1_27scan_by_key_config_selectorIsiEEZZNS1_16scan_by_key_implILNS1_25lookback_scan_determinismE0ELb1ES3_N6thrust23THRUST_200600_302600_NS6detail15normal_iteratorINS9_10device_ptrIsEEEESE_SE_iNS9_4plusIvEENS9_8equal_toIvEEiEE10hipError_tPvRmT2_T3_T4_T5_mT6_T7_P12ihipStream_tbENKUlT_T0_E_clISt17integral_constantIbLb0EESY_IbLb1EEEEDaSU_SV_EUlSU_E_NS1_11comp_targetILNS1_3genE0ELNS1_11target_archE4294967295ELNS1_3gpuE0ELNS1_3repE0EEENS1_30default_config_static_selectorELNS0_4arch9wavefront6targetE0EEEvT1_ ; -- Begin function _ZN7rocprim17ROCPRIM_400000_NS6detail17trampoline_kernelINS0_14default_configENS1_27scan_by_key_config_selectorIsiEEZZNS1_16scan_by_key_implILNS1_25lookback_scan_determinismE0ELb1ES3_N6thrust23THRUST_200600_302600_NS6detail15normal_iteratorINS9_10device_ptrIsEEEESE_SE_iNS9_4plusIvEENS9_8equal_toIvEEiEE10hipError_tPvRmT2_T3_T4_T5_mT6_T7_P12ihipStream_tbENKUlT_T0_E_clISt17integral_constantIbLb0EESY_IbLb1EEEEDaSU_SV_EUlSU_E_NS1_11comp_targetILNS1_3genE0ELNS1_11target_archE4294967295ELNS1_3gpuE0ELNS1_3repE0EEENS1_30default_config_static_selectorELNS0_4arch9wavefront6targetE0EEEvT1_
	.globl	_ZN7rocprim17ROCPRIM_400000_NS6detail17trampoline_kernelINS0_14default_configENS1_27scan_by_key_config_selectorIsiEEZZNS1_16scan_by_key_implILNS1_25lookback_scan_determinismE0ELb1ES3_N6thrust23THRUST_200600_302600_NS6detail15normal_iteratorINS9_10device_ptrIsEEEESE_SE_iNS9_4plusIvEENS9_8equal_toIvEEiEE10hipError_tPvRmT2_T3_T4_T5_mT6_T7_P12ihipStream_tbENKUlT_T0_E_clISt17integral_constantIbLb0EESY_IbLb1EEEEDaSU_SV_EUlSU_E_NS1_11comp_targetILNS1_3genE0ELNS1_11target_archE4294967295ELNS1_3gpuE0ELNS1_3repE0EEENS1_30default_config_static_selectorELNS0_4arch9wavefront6targetE0EEEvT1_
	.p2align	8
	.type	_ZN7rocprim17ROCPRIM_400000_NS6detail17trampoline_kernelINS0_14default_configENS1_27scan_by_key_config_selectorIsiEEZZNS1_16scan_by_key_implILNS1_25lookback_scan_determinismE0ELb1ES3_N6thrust23THRUST_200600_302600_NS6detail15normal_iteratorINS9_10device_ptrIsEEEESE_SE_iNS9_4plusIvEENS9_8equal_toIvEEiEE10hipError_tPvRmT2_T3_T4_T5_mT6_T7_P12ihipStream_tbENKUlT_T0_E_clISt17integral_constantIbLb0EESY_IbLb1EEEEDaSU_SV_EUlSU_E_NS1_11comp_targetILNS1_3genE0ELNS1_11target_archE4294967295ELNS1_3gpuE0ELNS1_3repE0EEENS1_30default_config_static_selectorELNS0_4arch9wavefront6targetE0EEEvT1_,@function
_ZN7rocprim17ROCPRIM_400000_NS6detail17trampoline_kernelINS0_14default_configENS1_27scan_by_key_config_selectorIsiEEZZNS1_16scan_by_key_implILNS1_25lookback_scan_determinismE0ELb1ES3_N6thrust23THRUST_200600_302600_NS6detail15normal_iteratorINS9_10device_ptrIsEEEESE_SE_iNS9_4plusIvEENS9_8equal_toIvEEiEE10hipError_tPvRmT2_T3_T4_T5_mT6_T7_P12ihipStream_tbENKUlT_T0_E_clISt17integral_constantIbLb0EESY_IbLb1EEEEDaSU_SV_EUlSU_E_NS1_11comp_targetILNS1_3genE0ELNS1_11target_archE4294967295ELNS1_3gpuE0ELNS1_3repE0EEENS1_30default_config_static_selectorELNS0_4arch9wavefront6targetE0EEEvT1_: ; @_ZN7rocprim17ROCPRIM_400000_NS6detail17trampoline_kernelINS0_14default_configENS1_27scan_by_key_config_selectorIsiEEZZNS1_16scan_by_key_implILNS1_25lookback_scan_determinismE0ELb1ES3_N6thrust23THRUST_200600_302600_NS6detail15normal_iteratorINS9_10device_ptrIsEEEESE_SE_iNS9_4plusIvEENS9_8equal_toIvEEiEE10hipError_tPvRmT2_T3_T4_T5_mT6_T7_P12ihipStream_tbENKUlT_T0_E_clISt17integral_constantIbLb0EESY_IbLb1EEEEDaSU_SV_EUlSU_E_NS1_11comp_targetILNS1_3genE0ELNS1_11target_archE4294967295ELNS1_3gpuE0ELNS1_3repE0EEENS1_30default_config_static_selectorELNS0_4arch9wavefront6targetE0EEEvT1_
; %bb.0:
	s_clause 0x2
	s_load_b32 s33, s[0:1], 0x20
	s_load_b128 s[24:27], s[0:1], 0x28
	s_load_b64 s[36:37], s[0:1], 0x38
	v_cmp_eq_u32_e64 s2, 0, v0
	s_and_saveexec_b32 s3, s2
	s_cbranch_execz .LBB1072_4
; %bb.1:
	s_mov_b32 s5, exec_lo
	s_mov_b32 s4, exec_lo
	v_mbcnt_lo_u32_b32 v1, s5, 0
                                        ; implicit-def: $vgpr2
	s_delay_alu instid0(VALU_DEP_1)
	v_cmpx_eq_u32_e32 0, v1
	s_cbranch_execz .LBB1072_3
; %bb.2:
	s_load_b64 s[6:7], s[0:1], 0x68
	s_bcnt1_i32_b32 s5, s5
	s_delay_alu instid0(SALU_CYCLE_1)
	v_dual_mov_b32 v2, 0 :: v_dual_mov_b32 v3, s5
	s_wait_xcnt 0x0
	s_wait_kmcnt 0x0
	global_atomic_add_u32 v2, v2, v3, s[6:7] th:TH_ATOMIC_RETURN scope:SCOPE_DEV
.LBB1072_3:
	s_wait_xcnt 0x0
	s_or_b32 exec_lo, exec_lo, s4
	s_wait_loadcnt 0x0
	v_readfirstlane_b32 s4, v2
	s_delay_alu instid0(VALU_DEP_1)
	v_dual_mov_b32 v2, 0 :: v_dual_add_nc_u32 v1, s4, v1
	ds_store_b32 v2, v1
.LBB1072_4:
	s_or_b32 exec_lo, exec_lo, s3
	v_mov_b32_e32 v3, 0
	s_clause 0x2
	s_load_b256 s[16:23], s[0:1], 0x0
	s_load_b32 s4, s[0:1], 0x40
	s_load_b128 s[28:31], s[0:1], 0x48
	s_wait_dscnt 0x0
	s_barrier_signal -1
	s_barrier_wait -1
	ds_load_b32 v2, v3
	s_mov_b32 s5, 0
	s_wait_dscnt 0x0
	s_barrier_signal -1
	s_barrier_wait -1
	s_barrier_signal -1
	s_barrier_wait -1
	s_wait_kmcnt 0x0
	s_lshl_b64 s[34:35], s[18:19], 1
	s_mul_u64 s[0:1], s[36:37], s[4:5]
	s_add_nc_u64 s[10:11], s[28:29], -1
	s_add_nc_u64 s[6:7], s[16:17], s[34:35]
	s_add_nc_u64 s[8:9], s[20:21], s[34:35]
	s_mul_i32 s27, s10, 0xffffee00
	v_add_nc_u64_e32 v[4:5], s[0:1], v[2:3]
	v_readfirstlane_b32 s40, v2
	s_mul_i32 s4, s40, 0x1200
	v_cmp_le_u64_e64 s0, s[10:11], v[4:5]
	s_lshl_b64 s[20:21], s[4:5], 1
	s_delay_alu instid0(SALU_CYCLE_1)
	s_add_nc_u64 s[38:39], s[6:7], s[20:21]
	s_add_nc_u64 s[28:29], s[8:9], s[20:21]
	s_and_b32 vcc_lo, exec_lo, s0
	s_cbranch_vccz .LBB1072_100
; %bb.5:
	flat_load_u16 v1, v3, s[38:39]
	s_add_co_i32 s41, s27, s26
	s_delay_alu instid0(SALU_CYCLE_1)
	v_cmp_gt_u32_e32 vcc_lo, s41, v0
	s_wait_loadcnt_dscnt 0x0
	v_mov_b32_e32 v2, v1
	s_and_saveexec_b32 s1, vcc_lo
	s_cbranch_execz .LBB1072_7
; %bb.6:
	flat_load_u16 v2, v0, s[38:39] scale_offset
.LBB1072_7:
	s_wait_xcnt 0x0
	s_or_b32 exec_lo, exec_lo, s1
	v_or_b32_e32 v3, 0x100, v0
	s_delay_alu instid0(VALU_DEP_1)
	v_cmp_gt_u32_e64 s1, s41, v3
	v_mov_b32_e32 v3, v1
	s_and_saveexec_b32 s3, s1
	s_cbranch_execz .LBB1072_9
; %bb.8:
	flat_load_u16 v3, v0, s[38:39] offset:512 scale_offset
.LBB1072_9:
	s_wait_xcnt 0x0
	s_or_b32 exec_lo, exec_lo, s3
	v_or_b32_e32 v4, 0x200, v0
	s_delay_alu instid0(VALU_DEP_1)
	v_cmp_gt_u32_e64 s3, s41, v4
	v_mov_b32_e32 v4, v1
	s_and_saveexec_b32 s4, s3
	s_cbranch_execz .LBB1072_11
; %bb.10:
	flat_load_u16 v4, v0, s[38:39] offset:1024 scale_offset
.LBB1072_11:
	;; [unrolled: 11-line block ×16, first 2 shown]
	s_wait_xcnt 0x0
	s_or_b32 exec_lo, exec_lo, s18
	v_or_b32_e32 v19, 0x1100, v0
	s_delay_alu instid0(VALU_DEP_1) | instskip(SKIP_2) | instid1(SALU_CYCLE_1)
	v_cmp_gt_u32_e64 s18, s41, v19
	v_cmp_le_u32_e64 s19, s41, v19
	s_and_saveexec_b32 s42, s19
	s_xor_b32 s19, exec_lo, s42
	s_delay_alu instid0(SALU_CYCLE_1)
	s_and_not1_saveexec_b32 s19, s19
	s_cbranch_execz .LBB1072_41
; %bb.40:
	flat_load_u16 v1, v0, s[38:39] offset:8704 scale_offset
.LBB1072_41:
	s_wait_xcnt 0x0
	s_or_b32 exec_lo, exec_lo, s19
	v_lshlrev_b32_e32 v19, 1, v0
	s_mov_b32 s42, exec_lo
	s_wait_loadcnt_dscnt 0x0
	ds_store_b16 v19, v2
	ds_store_b16 v19, v3 offset:512
	ds_store_b16 v19, v4 offset:1024
	;; [unrolled: 1-line block ×17, first 2 shown]
	v_mov_b32_e32 v1, 0
	s_wait_dscnt 0x0
	s_barrier_signal -1
	s_barrier_wait -1
	flat_load_u16 v1, v1, s[38:39]
	v_mad_u32_u24 v2, v0, 34, v19
	ds_load_2addr_b32 v[76:77], v2 offset1:1
	ds_load_2addr_b32 v[74:75], v2 offset0:2 offset1:3
	ds_load_2addr_b32 v[70:71], v2 offset0:4 offset1:5
	;; [unrolled: 1-line block ×3, first 2 shown]
	ds_load_b32 v73, v2 offset:32
	v_mad_i32_i24 v2, 0xffffffde, v0, v2
	s_wait_dscnt 0x4
	ds_store_b16 v2, v76 offset:9728
	s_wait_loadcnt_dscnt 0x0
	s_barrier_signal -1
	s_barrier_wait -1
	v_cmpx_ne_u32_e32 0xff, v0
; %bb.42:
	ds_load_u16 v1, v2 offset:9730
; %bb.43:
	s_or_b32 exec_lo, exec_lo, s42
	s_wait_dscnt 0x0
	s_barrier_signal -1
	s_barrier_wait -1
                                        ; implicit-def: $vgpr3
	s_and_saveexec_b32 s19, vcc_lo
	s_cbranch_execz .LBB1072_133
; %bb.44:
	flat_load_i16 v3, v0, s[28:29] scale_offset
	s_wait_xcnt 0x0
	s_or_b32 exec_lo, exec_lo, s19
                                        ; implicit-def: $vgpr4
	s_and_saveexec_b32 s19, s1
	s_cbranch_execnz .LBB1072_134
.LBB1072_45:
	s_or_b32 exec_lo, exec_lo, s19
                                        ; implicit-def: $vgpr5
	s_and_saveexec_b32 s1, s3
	s_cbranch_execz .LBB1072_135
.LBB1072_46:
	flat_load_i16 v5, v0, s[28:29] offset:1024 scale_offset
	s_wait_xcnt 0x0
	s_or_b32 exec_lo, exec_lo, s1
                                        ; implicit-def: $vgpr6
	s_and_saveexec_b32 s1, s4
	s_cbranch_execnz .LBB1072_136
.LBB1072_47:
	s_or_b32 exec_lo, exec_lo, s1
                                        ; implicit-def: $vgpr7
	s_and_saveexec_b32 s1, s5
	s_cbranch_execz .LBB1072_137
.LBB1072_48:
	flat_load_i16 v7, v0, s[28:29] offset:2048 scale_offset
	s_wait_xcnt 0x0
	s_or_b32 exec_lo, exec_lo, s1
                                        ; implicit-def: $vgpr8
	s_and_saveexec_b32 s1, s6
	s_cbranch_execnz .LBB1072_138
.LBB1072_49:
	s_or_b32 exec_lo, exec_lo, s1
                                        ; implicit-def: $vgpr9
	s_and_saveexec_b32 s1, s7
	s_cbranch_execz .LBB1072_139
.LBB1072_50:
	flat_load_i16 v9, v0, s[28:29] offset:3072 scale_offset
	s_wait_xcnt 0x0
	s_or_b32 exec_lo, exec_lo, s1
                                        ; implicit-def: $vgpr12
	s_and_saveexec_b32 s1, s8
	s_cbranch_execnz .LBB1072_140
.LBB1072_51:
	s_or_b32 exec_lo, exec_lo, s1
                                        ; implicit-def: $vgpr13
	s_and_saveexec_b32 s1, s9
	s_cbranch_execz .LBB1072_141
.LBB1072_52:
	flat_load_i16 v13, v0, s[28:29] offset:4096 scale_offset
	s_wait_xcnt 0x0
	s_or_b32 exec_lo, exec_lo, s1
                                        ; implicit-def: $vgpr14
	s_and_saveexec_b32 s1, s10
	s_cbranch_execnz .LBB1072_142
.LBB1072_53:
	s_or_b32 exec_lo, exec_lo, s1
                                        ; implicit-def: $vgpr15
	s_and_saveexec_b32 s1, s11
	s_cbranch_execz .LBB1072_143
.LBB1072_54:
	flat_load_i16 v15, v0, s[28:29] offset:5120 scale_offset
	s_wait_xcnt 0x0
	s_or_b32 exec_lo, exec_lo, s1
                                        ; implicit-def: $vgpr16
	s_and_saveexec_b32 s1, s12
	s_cbranch_execnz .LBB1072_144
.LBB1072_55:
	s_or_b32 exec_lo, exec_lo, s1
                                        ; implicit-def: $vgpr17
	s_and_saveexec_b32 s1, s13
	s_cbranch_execz .LBB1072_145
.LBB1072_56:
	flat_load_i16 v17, v0, s[28:29] offset:6144 scale_offset
	s_wait_xcnt 0x0
	s_or_b32 exec_lo, exec_lo, s1
                                        ; implicit-def: $vgpr18
	s_and_saveexec_b32 s1, s14
	s_cbranch_execnz .LBB1072_146
.LBB1072_57:
	s_or_b32 exec_lo, exec_lo, s1
                                        ; implicit-def: $vgpr19
	s_and_saveexec_b32 s1, s15
	s_cbranch_execz .LBB1072_147
.LBB1072_58:
	flat_load_i16 v19, v0, s[28:29] offset:7168 scale_offset
	s_wait_xcnt 0x0
	s_or_b32 exec_lo, exec_lo, s1
                                        ; implicit-def: $vgpr20
	s_and_saveexec_b32 s1, s16
	s_cbranch_execnz .LBB1072_148
.LBB1072_59:
	s_or_b32 exec_lo, exec_lo, s1
                                        ; implicit-def: $vgpr21
	s_and_saveexec_b32 s1, s17
	s_cbranch_execz .LBB1072_61
.LBB1072_60:
	flat_load_i16 v21, v0, s[28:29] offset:8192 scale_offset
.LBB1072_61:
	s_wait_xcnt 0x0
	s_or_b32 exec_lo, exec_lo, s1
	v_mul_u32_u24_e32 v78, 18, v0
                                        ; implicit-def: $vgpr22
	s_and_saveexec_b32 s1, s18
	s_cbranch_execz .LBB1072_63
; %bb.62:
	flat_load_i16 v22, v0, s[28:29] offset:8704 scale_offset
.LBB1072_63:
	s_wait_xcnt 0x0
	s_or_b32 exec_lo, exec_lo, s1
	v_lshl_add_u32 v79, v0, 1, v2
	v_mov_b64_e32 v[42:43], 0
	v_mov_b64_e32 v[44:45], 0
	;; [unrolled: 1-line block ×4, first 2 shown]
	s_wait_loadcnt_dscnt 0x0
	ds_store_2addr_stride64_b32 v79, v3, v4 offset1:4
	ds_store_2addr_stride64_b32 v79, v5, v6 offset0:8 offset1:12
	ds_store_2addr_stride64_b32 v79, v7, v8 offset0:16 offset1:20
	;; [unrolled: 1-line block ×8, first 2 shown]
	v_mov_b64_e32 v[8:9], 0
	v_mov_b64_e32 v[4:5], 0
	;; [unrolled: 1-line block ×29, first 2 shown]
	s_mov_b32 s1, 0
	s_mov_b32 s5, 0
	s_mov_b32 s3, exec_lo
	s_wait_dscnt 0x0
	s_barrier_signal -1
	s_barrier_wait -1
                                        ; implicit-def: $sgpr6
                                        ; implicit-def: $vgpr72
	v_cmpx_gt_u32_e64 s41, v78
	s_cbranch_execz .LBB1072_99
; %bb.64:
	v_mad_u32_u24 v6, 0x44, v0, v79
	v_dual_lshrrev_b32 v49, 16, v76 :: v_dual_bitop2_b32 v48, 1, v78 bitop3:0x54
	v_mov_b64_e32 v[4:5], 0
	v_mov_b64_e32 v[2:3], 0
	ds_load_b32 v8, v6
	v_cmp_eq_u16_e32 vcc_lo, v76, v49
	v_mov_b64_e32 v[6:7], 0
	v_mov_b64_e32 v[42:43], 0
	;; [unrolled: 1-line block ×18, first 2 shown]
	s_wait_dscnt 0x0
	v_cndmask_b32_e32 v8, s33, v8, vcc_lo
	v_cmp_ne_u16_e32 vcc_lo, v76, v49
	v_mov_b64_e32 v[32:33], 0
	v_mov_b64_e32 v[30:31], 0
	;; [unrolled: 1-line block ×11, first 2 shown]
	v_cndmask_b32_e64 v9, 0, 1, vcc_lo
	s_mov_b32 s4, exec_lo
                                        ; implicit-def: $sgpr6
                                        ; implicit-def: $vgpr72
	v_cmpx_gt_u32_e64 s41, v48
	s_cbranch_execz .LBB1072_98
; %bb.65:
	v_mul_u32_u24_e32 v4, 0x44, v0
	v_add_nc_u32_e32 v72, 2, v78
	v_cmp_eq_u16_e32 vcc_lo, v49, v77
	v_mov_b64_e32 v[2:3], 0
	v_mov_b64_e32 v[6:7], 0
	v_add_nc_u32_e32 v48, v79, v4
	v_mov_b64_e32 v[42:43], 0
	v_mov_b64_e32 v[44:45], 0
	;; [unrolled: 1-line block ×4, first 2 shown]
	ds_load_2addr_b32 v[40:41], v48 offset0:1 offset1:2
	v_mov_b64_e32 v[52:53], 0
	v_mov_b64_e32 v[54:55], 0
	;; [unrolled: 1-line block ×19, first 2 shown]
	s_wait_dscnt 0x0
	v_cndmask_b32_e32 v4, s33, v40, vcc_lo
	v_cmp_ne_u16_e32 vcc_lo, v49, v77
	v_mov_b64_e32 v[18:19], 0
	v_mov_b64_e32 v[16:17], 0
	;; [unrolled: 1-line block ×4, first 2 shown]
	v_cndmask_b32_e64 v5, 0, 1, vcc_lo
	v_cmp_gt_u32_e32 vcc_lo, s41, v72
	s_mov_b32 s7, 0
                                        ; implicit-def: $sgpr6
                                        ; implicit-def: $vgpr72
	s_and_saveexec_b32 s5, vcc_lo
	s_cbranch_execz .LBB1072_97
; %bb.66:
	v_dual_lshrrev_b32 v38, 16, v77 :: v_dual_add_nc_u32 v39, 3, v78
	v_mov_b64_e32 v[6:7], 0
	v_mov_b64_e32 v[42:43], 0
	;; [unrolled: 1-line block ×3, first 2 shown]
	s_delay_alu instid0(VALU_DEP_4)
	v_cmp_eq_u16_e32 vcc_lo, v77, v38
	v_mov_b64_e32 v[46:47], 0
	v_mov_b64_e32 v[50:51], 0
	;; [unrolled: 1-line block ×4, first 2 shown]
	v_cndmask_b32_e32 v2, s33, v41, vcc_lo
	v_cmp_ne_u16_e32 vcc_lo, v77, v38
	v_mov_b64_e32 v[56:57], 0
	v_mov_b64_e32 v[58:59], 0
	;; [unrolled: 1-line block ×20, first 2 shown]
	v_cndmask_b32_e64 v3, 0, 1, vcc_lo
	s_mov_b32 s8, 0
	s_mov_b32 s7, exec_lo
                                        ; implicit-def: $sgpr6
                                        ; implicit-def: $vgpr72
	v_cmpx_gt_u32_e64 s41, v39
	s_cbranch_execz .LBB1072_96
; %bb.67:
	ds_load_2addr_b32 v[36:37], v48 offset0:3 offset1:4
	v_cmp_eq_u16_e32 vcc_lo, v38, v74
	v_add_nc_u32_e32 v39, 4, v78
	v_mov_b64_e32 v[42:43], 0
	v_mov_b64_e32 v[44:45], 0
	;; [unrolled: 1-line block ×17, first 2 shown]
	s_wait_dscnt 0x0
	v_cndmask_b32_e32 v6, s33, v36, vcc_lo
	v_cmp_ne_u16_e32 vcc_lo, v38, v74
	v_mov_b64_e32 v[26:27], 0
	v_mov_b64_e32 v[24:25], 0
	;; [unrolled: 1-line block ×8, first 2 shown]
	v_cndmask_b32_e64 v7, 0, 1, vcc_lo
	s_mov_b32 s9, 0
	s_mov_b32 s8, exec_lo
                                        ; implicit-def: $sgpr6
                                        ; implicit-def: $vgpr72
	v_cmpx_gt_u32_e64 s41, v39
	s_cbranch_execz .LBB1072_95
; %bb.68:
	v_lshrrev_b32_e32 v34, 16, v74
	v_mov_b64_e32 v[44:45], 0
	v_mov_b64_e32 v[46:47], 0
	;; [unrolled: 1-line block ×4, first 2 shown]
	v_cmp_eq_u16_e32 vcc_lo, v74, v34
	v_mov_b64_e32 v[54:55], 0
	v_mov_b64_e32 v[56:57], 0
	;; [unrolled: 1-line block ×4, first 2 shown]
	v_cndmask_b32_e32 v42, s33, v37, vcc_lo
	v_cmp_ne_u16_e32 vcc_lo, v74, v34
	v_mov_b64_e32 v[62:63], 0
	v_mov_b64_e32 v[64:65], 0
	;; [unrolled: 1-line block ×15, first 2 shown]
	v_add_nc_u32_e32 v35, 5, v78
	v_cndmask_b32_e64 v43, 0, 1, vcc_lo
	s_mov_b32 s10, 0
	s_mov_b32 s9, exec_lo
                                        ; implicit-def: $sgpr6
                                        ; implicit-def: $vgpr72
	s_delay_alu instid0(VALU_DEP_2)
	v_cmpx_gt_u32_e64 s41, v35
	s_cbranch_execz .LBB1072_94
; %bb.69:
	ds_load_2addr_b32 v[32:33], v48 offset0:5 offset1:6
	v_cmp_eq_u16_e32 vcc_lo, v34, v75
	v_add_nc_u32_e32 v35, 6, v78
	v_mov_b64_e32 v[46:47], 0
	v_mov_b64_e32 v[50:51], 0
	;; [unrolled: 1-line block ×17, first 2 shown]
	s_wait_dscnt 0x0
	v_cndmask_b32_e32 v44, s33, v32, vcc_lo
	v_cmp_ne_u16_e32 vcc_lo, v34, v75
	v_mov_b64_e32 v[18:19], 0
	v_mov_b64_e32 v[16:17], 0
	;; [unrolled: 1-line block ×4, first 2 shown]
	v_cndmask_b32_e64 v45, 0, 1, vcc_lo
	s_mov_b32 s11, 0
	s_mov_b32 s10, exec_lo
                                        ; implicit-def: $sgpr6
                                        ; implicit-def: $vgpr72
	v_cmpx_gt_u32_e64 s41, v35
	s_cbranch_execz .LBB1072_93
; %bb.70:
	v_dual_lshrrev_b32 v30, 16, v75 :: v_dual_add_nc_u32 v31, 7, v78
	v_mov_b64_e32 v[50:51], 0
	v_mov_b64_e32 v[52:53], 0
	;; [unrolled: 1-line block ×3, first 2 shown]
	s_delay_alu instid0(VALU_DEP_4)
	v_cmp_eq_u16_e32 vcc_lo, v75, v30
	v_mov_b64_e32 v[56:57], 0
	v_mov_b64_e32 v[58:59], 0
	;; [unrolled: 1-line block ×4, first 2 shown]
	v_cndmask_b32_e32 v46, s33, v33, vcc_lo
	v_cmp_ne_u16_e32 vcc_lo, v75, v30
	v_mov_b64_e32 v[64:65], 0
	v_mov_b64_e32 v[66:67], 0
	;; [unrolled: 1-line block ×12, first 2 shown]
	v_cndmask_b32_e64 v47, 0, 1, vcc_lo
	s_mov_b32 s12, 0
	s_mov_b32 s11, exec_lo
                                        ; implicit-def: $sgpr6
                                        ; implicit-def: $vgpr72
	v_cmpx_gt_u32_e64 s41, v31
	s_cbranch_execz .LBB1072_92
; %bb.71:
	ds_load_2addr_b32 v[28:29], v48 offset0:7 offset1:8
	v_cmp_eq_u16_e32 vcc_lo, v30, v70
	v_add_nc_u32_e32 v31, 8, v78
	v_mov_b64_e32 v[52:53], 0
	v_mov_b64_e32 v[54:55], 0
	;; [unrolled: 1-line block ×17, first 2 shown]
	s_wait_dscnt 0x0
	v_cndmask_b32_e32 v50, s33, v28, vcc_lo
	v_cmp_ne_u16_e32 vcc_lo, v30, v70
	s_mov_b32 s13, 0
	s_mov_b32 s12, exec_lo
                                        ; implicit-def: $sgpr6
                                        ; implicit-def: $vgpr72
	v_cndmask_b32_e64 v51, 0, 1, vcc_lo
	v_cmpx_gt_u32_e64 s41, v31
	s_cbranch_execz .LBB1072_91
; %bb.72:
	v_lshrrev_b32_e32 v26, 16, v70
	v_mov_b64_e32 v[54:55], 0
	v_mov_b64_e32 v[56:57], 0
	;; [unrolled: 1-line block ×4, first 2 shown]
	v_cmp_eq_u16_e32 vcc_lo, v70, v26
	v_mov_b64_e32 v[62:63], 0
	v_mov_b64_e32 v[64:65], 0
	v_mov_b64_e32 v[66:67], 0
	v_mov_b64_e32 v[68:69], 0
	v_cndmask_b32_e32 v52, s33, v29, vcc_lo
	v_cmp_ne_u16_e32 vcc_lo, v70, v26
	v_mov_b64_e32 v[24:25], 0
	v_mov_b64_e32 v[22:23], 0
	;; [unrolled: 1-line block ×7, first 2 shown]
	v_add_nc_u32_e32 v27, 9, v78
	v_cndmask_b32_e64 v53, 0, 1, vcc_lo
	s_mov_b32 s14, 0
	s_mov_b32 s13, exec_lo
                                        ; implicit-def: $sgpr6
                                        ; implicit-def: $vgpr72
	s_delay_alu instid0(VALU_DEP_2)
	v_cmpx_gt_u32_e64 s41, v27
	s_cbranch_execz .LBB1072_90
; %bb.73:
	ds_load_2addr_b32 v[24:25], v48 offset0:9 offset1:10
	v_cmp_ne_u16_e32 vcc_lo, v26, v71
	v_mov_b64_e32 v[56:57], 0
	v_mov_b64_e32 v[58:59], 0
	v_mov_b64_e32 v[60:61], 0
	v_mov_b64_e32 v[62:63], 0
	v_cndmask_b32_e64 v55, 0, 1, vcc_lo
	v_cmp_eq_u16_e32 vcc_lo, v26, v71
	v_mov_b64_e32 v[64:65], 0
	v_mov_b64_e32 v[66:67], 0
	;; [unrolled: 1-line block ×9, first 2 shown]
	v_add_nc_u32_e32 v27, 10, v78
	s_mov_b32 s15, 0
	s_mov_b32 s14, exec_lo
	s_wait_dscnt 0x0
	v_cndmask_b32_e32 v54, s33, v24, vcc_lo
                                        ; implicit-def: $sgpr6
                                        ; implicit-def: $vgpr72
	v_cmpx_gt_u32_e64 s41, v27
	s_cbranch_execz .LBB1072_89
; %bb.74:
	v_dual_lshrrev_b32 v22, 16, v71 :: v_dual_add_nc_u32 v23, 11, v78
	v_mov_b64_e32 v[58:59], 0
	v_mov_b64_e32 v[60:61], 0
	;; [unrolled: 1-line block ×3, first 2 shown]
	s_delay_alu instid0(VALU_DEP_4)
	v_cmp_eq_u16_e32 vcc_lo, v71, v22
	v_mov_b64_e32 v[64:65], 0
	v_mov_b64_e32 v[66:67], 0
	;; [unrolled: 1-line block ×4, first 2 shown]
	v_cndmask_b32_e32 v56, s33, v25, vcc_lo
	v_cmp_ne_u16_e32 vcc_lo, v71, v22
	v_mov_b64_e32 v[18:19], 0
	v_mov_b64_e32 v[16:17], 0
	v_mov_b64_e32 v[14:15], 0
	v_mov_b64_e32 v[12:13], 0
	v_cndmask_b32_e64 v57, 0, 1, vcc_lo
	s_mov_b32 s16, 0
	s_mov_b32 s15, exec_lo
                                        ; implicit-def: $sgpr6
                                        ; implicit-def: $vgpr72
	v_cmpx_gt_u32_e64 s41, v23
	s_cbranch_execz .LBB1072_88
; %bb.75:
	ds_load_2addr_b32 v[20:21], v48 offset0:11 offset1:12
	v_cmp_ne_u16_e32 vcc_lo, v22, v10
	v_mov_b64_e32 v[60:61], 0
	v_mov_b64_e32 v[62:63], 0
	;; [unrolled: 1-line block ×4, first 2 shown]
	v_cndmask_b32_e64 v59, 0, 1, vcc_lo
	v_cmp_eq_u16_e32 vcc_lo, v22, v10
	v_mov_b64_e32 v[68:69], 0
	v_mov_b64_e32 v[18:19], 0
	;; [unrolled: 1-line block ×5, first 2 shown]
	v_add_nc_u32_e32 v23, 12, v78
	s_mov_b32 s17, 0
	s_mov_b32 s16, exec_lo
                                        ; implicit-def: $sgpr6
                                        ; implicit-def: $vgpr72
	s_wait_dscnt 0x0
	v_cndmask_b32_e32 v58, s33, v20, vcc_lo
	v_cmpx_gt_u32_e64 s41, v23
	s_cbranch_execz .LBB1072_87
; %bb.76:
	v_lshrrev_b32_e32 v18, 16, v10
	v_mov_b64_e32 v[62:63], 0
	v_mov_b64_e32 v[64:65], 0
	v_mov_b64_e32 v[66:67], 0
	v_mov_b64_e32 v[68:69], 0
	v_cmp_eq_u16_e32 vcc_lo, v10, v18
	v_mov_b64_e32 v[16:17], 0
	v_mov_b64_e32 v[14:15], 0
	;; [unrolled: 1-line block ×3, first 2 shown]
	v_dual_cndmask_b32 v60, s33, v21 :: v_dual_add_nc_u32 v19, 13, v78
	v_cmp_ne_u16_e32 vcc_lo, v10, v18
	s_mov_b32 s18, 0
	s_mov_b32 s17, exec_lo
                                        ; implicit-def: $sgpr6
                                        ; implicit-def: $vgpr72
	v_cndmask_b32_e64 v61, 0, 1, vcc_lo
	v_cmpx_gt_u32_e64 s41, v19
	s_cbranch_execz .LBB1072_86
; %bb.77:
	ds_load_2addr_b32 v[16:17], v48 offset0:13 offset1:14
	v_cmp_ne_u16_e32 vcc_lo, v18, v11
	v_mov_b64_e32 v[64:65], 0
	v_mov_b64_e32 v[66:67], 0
	;; [unrolled: 1-line block ×4, first 2 shown]
	v_cndmask_b32_e64 v63, 0, 1, vcc_lo
	v_cmp_eq_u16_e32 vcc_lo, v18, v11
	v_mov_b64_e32 v[12:13], 0
	v_add_nc_u32_e32 v10, 14, v78
	s_mov_b32 s19, 0
	s_mov_b32 s18, exec_lo
                                        ; implicit-def: $sgpr6
                                        ; implicit-def: $vgpr72
	s_wait_dscnt 0x0
	v_cndmask_b32_e32 v62, s33, v16, vcc_lo
	v_cmpx_gt_u32_e64 s41, v10
	s_cbranch_execz .LBB1072_85
; %bb.78:
	v_dual_lshrrev_b32 v14, 16, v11 :: v_dual_add_nc_u32 v10, 15, v78
	v_mov_b64_e32 v[66:67], 0
	v_mov_b64_e32 v[68:69], 0
	;; [unrolled: 1-line block ×3, first 2 shown]
	s_delay_alu instid0(VALU_DEP_4)
	v_cmp_eq_u16_e32 vcc_lo, v11, v14
	s_mov_b32 s42, 0
	s_mov_b32 s19, exec_lo
                                        ; implicit-def: $sgpr6
                                        ; implicit-def: $vgpr72
	v_cndmask_b32_e32 v64, s33, v17, vcc_lo
	v_cmp_ne_u16_e32 vcc_lo, v11, v14
	v_cndmask_b32_e64 v65, 0, 1, vcc_lo
	v_cmpx_gt_u32_e64 s41, v10
	s_cbranch_execz .LBB1072_84
; %bb.79:
	ds_load_2addr_b32 v[10:11], v48 offset0:15 offset1:16
	v_cmp_ne_u16_e32 vcc_lo, v14, v73
	v_mov_b64_e32 v[68:69], 0
	v_add_nc_u32_e32 v12, 16, v78
	s_mov_b32 s43, 0
	s_mov_b32 s42, exec_lo
	v_cndmask_b32_e64 v67, 0, 1, vcc_lo
	v_cmp_eq_u16_e32 vcc_lo, v14, v73
                                        ; implicit-def: $sgpr6
                                        ; implicit-def: $vgpr72
	s_wait_dscnt 0x0
	v_cndmask_b32_e32 v66, s33, v10, vcc_lo
	v_cmpx_gt_u32_e64 s41, v12
	s_cbranch_execz .LBB1072_83
; %bb.80:
	v_dual_lshrrev_b32 v10, 16, v73 :: v_dual_add_nc_u32 v12, 17, v78
                                        ; implicit-def: $sgpr6
                                        ; implicit-def: $vgpr72
	s_delay_alu instid0(VALU_DEP_1)
	v_cmp_eq_u16_e32 vcc_lo, v73, v10
	v_cndmask_b32_e32 v68, s33, v11, vcc_lo
	v_cmp_ne_u16_e32 vcc_lo, v73, v10
	v_cndmask_b32_e64 v69, 0, 1, vcc_lo
	v_cmp_gt_u32_e32 vcc_lo, s41, v12
	s_mov_b32 s41, 0
	s_and_saveexec_b32 s43, vcc_lo
	s_delay_alu instid0(SALU_CYCLE_1)
	s_xor_b32 s43, exec_lo, s43
	s_cbranch_execz .LBB1072_82
; %bb.81:
	ds_load_b32 v11, v48 offset:68
	v_cmp_ne_u16_e64 s6, v10, v1
	s_mov_b32 s41, exec_lo
	s_wait_dscnt 0x0
	v_cndmask_b32_e64 v72, v11, s33, s6
.LBB1072_82:
	s_or_b32 exec_lo, exec_lo, s43
	s_delay_alu instid0(SALU_CYCLE_1)
	s_and_b32 s43, s41, exec_lo
.LBB1072_83:
	s_or_b32 exec_lo, exec_lo, s42
	v_mov_b64_e32 v[12:13], v[68:69]
	s_and_b32 s42, s43, exec_lo
.LBB1072_84:
	s_or_b32 exec_lo, exec_lo, s19
	v_mov_b64_e32 v[14:15], v[66:67]
	s_and_b32 s19, s42, exec_lo
.LBB1072_85:
	s_or_b32 exec_lo, exec_lo, s18
	v_mov_b64_e32 v[16:17], v[64:65]
	s_and_b32 s18, s19, exec_lo
.LBB1072_86:
	s_or_b32 exec_lo, exec_lo, s17
	v_mov_b64_e32 v[18:19], v[62:63]
	s_and_b32 s17, s18, exec_lo
.LBB1072_87:
	s_or_b32 exec_lo, exec_lo, s16
	v_mov_b64_e32 v[20:21], v[60:61]
	s_and_b32 s16, s17, exec_lo
.LBB1072_88:
	s_or_b32 exec_lo, exec_lo, s15
	v_mov_b64_e32 v[22:23], v[58:59]
	s_and_b32 s15, s16, exec_lo
.LBB1072_89:
	s_or_b32 exec_lo, exec_lo, s14
	v_mov_b64_e32 v[24:25], v[56:57]
	s_and_b32 s14, s15, exec_lo
.LBB1072_90:
	s_or_b32 exec_lo, exec_lo, s13
	v_mov_b64_e32 v[26:27], v[54:55]
	s_and_b32 s13, s14, exec_lo
.LBB1072_91:
	s_or_b32 exec_lo, exec_lo, s12
	v_mov_b64_e32 v[28:29], v[52:53]
	s_and_b32 s12, s13, exec_lo
.LBB1072_92:
	s_or_b32 exec_lo, exec_lo, s11
	v_mov_b64_e32 v[30:31], v[50:51]
	s_and_b32 s11, s12, exec_lo
.LBB1072_93:
	s_or_b32 exec_lo, exec_lo, s10
	v_mov_b64_e32 v[32:33], v[46:47]
	s_and_b32 s10, s11, exec_lo
.LBB1072_94:
	s_or_b32 exec_lo, exec_lo, s9
	v_mov_b64_e32 v[34:35], v[44:45]
	s_and_b32 s9, s10, exec_lo
.LBB1072_95:
	s_or_b32 exec_lo, exec_lo, s8
	v_mov_b64_e32 v[36:37], v[42:43]
	s_and_b32 s8, s9, exec_lo
.LBB1072_96:
	s_or_b32 exec_lo, exec_lo, s7
	v_mov_b64_e32 v[38:39], v[6:7]
	s_and_b32 s7, s8, exec_lo
.LBB1072_97:
	s_or_b32 exec_lo, exec_lo, s5
	v_mov_b64_e32 v[40:41], v[2:3]
	s_and_b32 s5, s7, exec_lo
.LBB1072_98:
	s_or_b32 exec_lo, exec_lo, s4
	v_mov_b64_e32 v[48:49], v[4:5]
	s_and_b32 s5, s5, exec_lo
.LBB1072_99:
	s_or_b32 exec_lo, exec_lo, s3
	v_lshlrev_b32_e32 v10, 1, v0
	s_and_b32 vcc_lo, exec_lo, s1
	s_cbranch_vccnz .LBB1072_101
	s_branch .LBB1072_106
.LBB1072_100:
                                        ; implicit-def: $sgpr6
                                        ; implicit-def: $vgpr72
                                        ; implicit-def: $vgpr8_vgpr9
                                        ; implicit-def: $vgpr4_vgpr5
                                        ; implicit-def: $vgpr2_vgpr3
                                        ; implicit-def: $vgpr6_vgpr7
                                        ; implicit-def: $vgpr42_vgpr43
                                        ; implicit-def: $vgpr44_vgpr45
                                        ; implicit-def: $vgpr46_vgpr47
                                        ; implicit-def: $vgpr50_vgpr51
                                        ; implicit-def: $vgpr52_vgpr53
                                        ; implicit-def: $vgpr54_vgpr55
                                        ; implicit-def: $vgpr56_vgpr57
                                        ; implicit-def: $vgpr58_vgpr59
                                        ; implicit-def: $vgpr60_vgpr61
                                        ; implicit-def: $vgpr62_vgpr63
                                        ; implicit-def: $vgpr64_vgpr65
                                        ; implicit-def: $vgpr66_vgpr67
                                        ; implicit-def: $vgpr68_vgpr69
                                        ; implicit-def: $vgpr48_vgpr49
                                        ; implicit-def: $vgpr40_vgpr41
                                        ; implicit-def: $vgpr38_vgpr39
                                        ; implicit-def: $vgpr36_vgpr37
                                        ; implicit-def: $vgpr34_vgpr35
                                        ; implicit-def: $vgpr32_vgpr33
                                        ; implicit-def: $vgpr30_vgpr31
                                        ; implicit-def: $vgpr28_vgpr29
                                        ; implicit-def: $vgpr26_vgpr27
                                        ; implicit-def: $vgpr24_vgpr25
                                        ; implicit-def: $vgpr22_vgpr23
                                        ; implicit-def: $vgpr20_vgpr21
                                        ; implicit-def: $vgpr18_vgpr19
                                        ; implicit-def: $vgpr16_vgpr17
                                        ; implicit-def: $vgpr14_vgpr15
                                        ; implicit-def: $vgpr12_vgpr13
	v_lshlrev_b32_e32 v10, 1, v0
	s_cbranch_execz .LBB1072_106
.LBB1072_101:
	s_clause 0x11
	flat_load_u16 v1, v0, s[38:39] scale_offset
	flat_load_u16 v2, v0, s[38:39] offset:512 scale_offset
	flat_load_u16 v3, v0, s[38:39] offset:1024 scale_offset
	;; [unrolled: 1-line block ×17, first 2 shown]
	v_mov_b32_e32 v20, 0
	s_mov_b32 s1, exec_lo
	s_wait_loadcnt_dscnt 0x1111
	ds_store_b16 v10, v1
	s_wait_loadcnt_dscnt 0x1011
	ds_store_b16 v10, v2 offset:512
	s_wait_loadcnt_dscnt 0xf11
	ds_store_b16 v10, v3 offset:1024
	;; [unrolled: 2-line block ×17, first 2 shown]
	s_wait_dscnt 0x0
	s_barrier_signal -1
	s_barrier_wait -1
	flat_load_u16 v1, v20, s[38:39] offset:9216
	v_mad_u32_u24 v4, v0, 34, v10
	ds_load_2addr_b32 v[2:3], v4 offset1:1
	ds_load_2addr_b32 v[16:17], v4 offset0:2 offset1:3
	ds_load_2addr_b32 v[14:15], v4 offset0:4 offset1:5
	;; [unrolled: 1-line block ×3, first 2 shown]
	ds_load_b32 v11, v4 offset:32
	v_mad_i32_i24 v4, 0xffffffde, v0, v4
	s_wait_dscnt 0x4
	ds_store_b16 v4, v2 offset:9728
	s_wait_loadcnt_dscnt 0x0
	s_barrier_signal -1
	s_barrier_wait -1
	v_cmpx_ne_u32_e32 0xff, v0
; %bb.102:
	ds_load_u16 v1, v4 offset:9730
; %bb.103:
	s_or_b32 exec_lo, exec_lo, s1
	s_wait_dscnt 0x0
	s_barrier_signal -1
	s_barrier_wait -1
	s_clause 0x11
	flat_load_i16 v5, v0, s[28:29] scale_offset
	flat_load_i16 v6, v0, s[28:29] offset:512 scale_offset
	flat_load_i16 v7, v0, s[28:29] offset:1024 scale_offset
	;; [unrolled: 1-line block ×17, first 2 shown]
	v_lshl_add_u32 v4, v0, 1, v4
	s_wait_loadcnt_dscnt 0x1010
	ds_store_2addr_stride64_b32 v4, v5, v6 offset1:4
	s_wait_loadcnt_dscnt 0xe0f
	ds_store_2addr_stride64_b32 v4, v7, v8 offset0:8 offset1:12
	s_wait_loadcnt_dscnt 0xc0e
	ds_store_2addr_stride64_b32 v4, v9, v18 offset0:16 offset1:20
	s_wait_loadcnt_dscnt 0xa0d
	ds_store_2addr_stride64_b32 v4, v19, v20 offset0:24 offset1:28
	s_wait_loadcnt_dscnt 0x80c
	ds_store_2addr_stride64_b32 v4, v21, v22 offset0:32 offset1:36
	s_wait_loadcnt_dscnt 0x60b
	ds_store_2addr_stride64_b32 v4, v23, v24 offset0:40 offset1:44
	s_wait_loadcnt_dscnt 0x40a
	ds_store_2addr_stride64_b32 v4, v25, v26 offset0:48 offset1:52
	s_wait_loadcnt_dscnt 0x209
	ds_store_2addr_stride64_b32 v4, v27, v28 offset0:56 offset1:60
	s_wait_loadcnt_dscnt 0x8
	ds_store_2addr_stride64_b32 v4, v29, v30 offset0:64 offset1:68
	v_mad_u32_u24 v32, 0x44, v0, v4
	s_wait_dscnt 0x0
	s_barrier_signal -1
	s_barrier_wait -1
	ds_load_2addr_b32 v[6:7], v32 offset0:1 offset1:2
	ds_load_2addr_b32 v[30:31], v32 offset0:3 offset1:4
	;; [unrolled: 1-line block ×8, first 2 shown]
	ds_load_b32 v32, v32 offset:68
	v_lshrrev_b32_e32 v5, 16, v2
	v_mov_b64_e32 v[8:9], 0x100000000
	s_delay_alu instid0(VALU_DEP_2)
	v_cmp_eq_u16_e32 vcc_lo, v2, v5
	v_mov_b32_e32 v2, s33
	s_and_saveexec_b32 s1, vcc_lo
	s_cbranch_execz .LBB1072_105
; %bb.104:
	v_mul_u32_u24_e32 v2, 0x44, v0
	v_mov_b64_e32 v[8:9], 0
	s_delay_alu instid0(VALU_DEP_2)
	v_add_nc_u32_e32 v2, v4, v2
	ds_load_b32 v2, v2
.LBB1072_105:
	s_or_b32 exec_lo, exec_lo, s1
	v_cmp_eq_u16_e32 vcc_lo, v5, v3
	v_dual_lshrrev_b32 v34, 16, v3 :: v_dual_lshrrev_b32 v36, 16, v17
	v_dual_lshrrev_b32 v33, 16, v11 :: v_dual_lshrrev_b32 v35, 16, v16
	s_wait_dscnt 0x8
	v_cndmask_b32_e32 v4, s33, v6, vcc_lo
	v_cmp_ne_u16_e32 vcc_lo, v5, v3
	v_dual_lshrrev_b32 v37, 16, v14 :: v_dual_lshrrev_b32 v38, 16, v15
	v_dual_lshrrev_b32 v39, 16, v12 :: v_dual_lshrrev_b32 v40, 16, v13
	v_cndmask_b32_e64 v5, 0, 1, vcc_lo
	v_cmp_eq_u16_e32 vcc_lo, v3, v34
	s_wait_dscnt 0x0
	v_or_b32_e32 v8, v8, v2
	v_cmp_ne_u16_e64 s6, v33, v1
	s_mov_b32 s5, -1
	v_mov_b64_e32 v[48:49], v[4:5]
	v_cndmask_b32_e32 v2, s33, v7, vcc_lo
	v_cmp_ne_u16_e32 vcc_lo, v3, v34
	v_cndmask_b32_e64 v72, v32, s33, s6
	v_cndmask_b32_e64 v3, 0, 1, vcc_lo
	v_cmp_eq_u16_e32 vcc_lo, v34, v16
	v_cndmask_b32_e32 v6, s33, v30, vcc_lo
	v_cmp_ne_u16_e32 vcc_lo, v34, v16
	v_cndmask_b32_e64 v7, 0, 1, vcc_lo
	v_cmp_eq_u16_e32 vcc_lo, v16, v35
	v_cndmask_b32_e32 v42, s33, v31, vcc_lo
	v_cmp_ne_u16_e32 vcc_lo, v16, v35
	;; [unrolled: 4-line block ×3, first 2 shown]
	v_cndmask_b32_e64 v45, 0, 1, vcc_lo
	v_cmp_eq_u16_e32 vcc_lo, v17, v36
	s_delay_alu instid0(VALU_DEP_2)
	v_mov_b64_e32 v[34:35], v[44:45]
	v_cndmask_b32_e32 v46, s33, v29, vcc_lo
	v_cmp_ne_u16_e32 vcc_lo, v17, v36
	v_cndmask_b32_e64 v47, 0, 1, vcc_lo
	v_cmp_eq_u16_e32 vcc_lo, v36, v14
	v_cndmask_b32_e32 v50, s33, v26, vcc_lo
	v_cmp_ne_u16_e32 vcc_lo, v36, v14
	v_cndmask_b32_e64 v51, 0, 1, vcc_lo
	v_cmp_eq_u16_e32 vcc_lo, v14, v37
	s_delay_alu instid0(VALU_DEP_2) | instskip(SKIP_4) | instid1(VALU_DEP_2)
	v_mov_b64_e32 v[30:31], v[50:51]
	v_cndmask_b32_e32 v52, s33, v27, vcc_lo
	v_cmp_ne_u16_e32 vcc_lo, v14, v37
	v_cndmask_b32_e64 v53, 0, 1, vcc_lo
	v_cmp_eq_u16_e32 vcc_lo, v37, v15
	v_mov_b64_e32 v[28:29], v[52:53]
	v_cndmask_b32_e32 v54, s33, v24, vcc_lo
	v_cmp_ne_u16_e32 vcc_lo, v37, v15
	v_mov_b64_e32 v[36:37], v[42:43]
	v_cndmask_b32_e64 v55, 0, 1, vcc_lo
	v_cmp_eq_u16_e32 vcc_lo, v15, v38
	s_delay_alu instid0(VALU_DEP_2) | instskip(SKIP_4) | instid1(VALU_DEP_2)
	v_mov_b64_e32 v[26:27], v[54:55]
	v_cndmask_b32_e32 v56, s33, v25, vcc_lo
	v_cmp_ne_u16_e32 vcc_lo, v15, v38
	v_cndmask_b32_e64 v57, 0, 1, vcc_lo
	v_cmp_eq_u16_e32 vcc_lo, v38, v12
	v_mov_b64_e32 v[24:25], v[56:57]
	v_cndmask_b32_e32 v58, s33, v22, vcc_lo
	v_cmp_ne_u16_e32 vcc_lo, v38, v12
	v_cndmask_b32_e64 v59, 0, 1, vcc_lo
	v_cmp_eq_u16_e32 vcc_lo, v12, v39
	v_cndmask_b32_e32 v60, s33, v23, vcc_lo
	v_cmp_ne_u16_e32 vcc_lo, v12, v39
	s_delay_alu instid0(VALU_DEP_4)
	v_mov_b64_e32 v[22:23], v[58:59]
	v_cndmask_b32_e64 v61, 0, 1, vcc_lo
	v_cmp_eq_u16_e32 vcc_lo, v39, v13
	v_cndmask_b32_e32 v62, s33, v20, vcc_lo
	v_cmp_ne_u16_e32 vcc_lo, v39, v13
	v_mov_b64_e32 v[38:39], v[6:7]
	v_cndmask_b32_e64 v63, 0, 1, vcc_lo
	v_cmp_eq_u16_e32 vcc_lo, v13, v40
	v_cndmask_b32_e32 v64, s33, v21, vcc_lo
	v_cmp_ne_u16_e32 vcc_lo, v13, v40
	v_mov_b64_e32 v[20:21], v[60:61]
	v_cndmask_b32_e64 v65, 0, 1, vcc_lo
	v_cmp_eq_u16_e32 vcc_lo, v40, v11
	s_delay_alu instid0(VALU_DEP_2)
	v_mov_b64_e32 v[16:17], v[64:65]
	v_cndmask_b32_e32 v66, s33, v18, vcc_lo
	v_cmp_ne_u16_e32 vcc_lo, v40, v11
	v_mov_b64_e32 v[40:41], v[2:3]
	v_cndmask_b32_e64 v67, 0, 1, vcc_lo
	v_cmp_eq_u16_e32 vcc_lo, v11, v33
	s_delay_alu instid0(VALU_DEP_2)
	v_mov_b64_e32 v[14:15], v[66:67]
	v_cndmask_b32_e32 v68, s33, v19, vcc_lo
	v_cmp_ne_u16_e32 vcc_lo, v11, v33
	v_mov_b64_e32 v[32:33], v[46:47]
	v_mov_b64_e32 v[18:19], v[62:63]
	v_cndmask_b32_e64 v69, 0, 1, vcc_lo
	s_delay_alu instid0(VALU_DEP_1)
	v_mov_b64_e32 v[12:13], v[68:69]
.LBB1072_106:
	v_mov_b64_e32 v[70:71], 0
	s_and_saveexec_b32 s1, s5
	s_cbranch_execz .LBB1072_108
; %bb.107:
	v_cndmask_b32_e64 v73, 0, 1, s6
	v_mov_b64_e32 v[12:13], v[68:69]
	v_mov_b64_e32 v[14:15], v[66:67]
	;; [unrolled: 1-line block ×17, first 2 shown]
.LBB1072_108:
	s_or_b32 exec_lo, exec_lo, s1
	v_dual_lshrrev_b32 v11, 5, v0 :: v_dual_bitop2_b32 v61, v31, v29 bitop3:0x54
	s_delay_alu instid0(VALU_DEP_3)
	v_or_b32_e32 v60, v15, v13
	v_mbcnt_lo_u32_b32 v1, -1, 0
	v_or_b32_e32 v59, 31, v0
	s_cmp_lg_u32 s40, 0
	s_barrier_signal -1
	s_barrier_wait -1
	s_cbranch_scc0 .LBB1072_149
; %bb.109:
	s_mov_b64 s[18:19], 0x100000000
	v_or3_b32 v3, v61, v33, v35
	v_cmp_gt_u64_e64 s1, s[18:19], v[48:49]
	v_cmp_gt_u64_e64 s3, s[18:19], v[40:41]
	;; [unrolled: 1-line block ×7, first 2 shown]
	v_cndmask_b32_e64 v2, 0, v8, s1
	v_cmp_gt_u64_e64 s8, s[18:19], v[30:31]
	v_cmp_gt_u64_e64 s9, s[18:19], v[28:29]
	;; [unrolled: 1-line block ×4, first 2 shown]
	v_add_nc_u32_e32 v2, v2, v48
	v_cmp_gt_u64_e64 s12, s[18:19], v[22:23]
	v_cmp_gt_u64_e64 s13, s[18:19], v[20:21]
	;; [unrolled: 1-line block ×3, first 2 shown]
	v_or3_b32 v4, v60, v17, v19
	v_cndmask_b32_e64 v2, 0, v2, s3
	v_cmp_gt_u64_e64 s15, s[18:19], v[16:17]
	v_or3_b32 v3, v3, v37, v39
	v_cmp_gt_u64_e64 s16, s[18:19], v[14:15]
	v_or3_b32 v4, v4, v21, v23
	v_dual_add_nc_u32 v2, v2, v40 :: v_dual_bitop2_b32 v7, 15, v1 bitop3:0x40
	s_delay_alu instid0(VALU_DEP_4) | instskip(NEXT) | instid1(VALU_DEP_3)
	v_or3_b32 v3, v3, v41, v49
	v_or3_b32 v4, v4, v25, v27
	s_delay_alu instid0(VALU_DEP_3) | instskip(NEXT) | instid1(VALU_DEP_2)
	v_cndmask_b32_e64 v2, 0, v2, s4
	v_or3_b32 v3, v71, v4, v3
	s_delay_alu instid0(VALU_DEP_2) | instskip(NEXT) | instid1(VALU_DEP_2)
	v_add_nc_u32_e32 v2, v2, v38
	v_and_b32_e32 v3, 0xff, v3
	s_delay_alu instid0(VALU_DEP_2) | instskip(NEXT) | instid1(VALU_DEP_1)
	v_cndmask_b32_e64 v2, 0, v2, s5
	v_add_nc_u32_e32 v2, v2, v36
	s_delay_alu instid0(VALU_DEP_1) | instskip(NEXT) | instid1(VALU_DEP_1)
	v_cndmask_b32_e64 v2, 0, v2, s6
	v_add_nc_u32_e32 v2, v2, v34
	s_delay_alu instid0(VALU_DEP_1) | instskip(NEXT) | instid1(VALU_DEP_1)
	v_cndmask_b32_e64 v2, 0, v2, s7
	v_add_nc_u32_e32 v2, v2, v32
	s_delay_alu instid0(VALU_DEP_1) | instskip(NEXT) | instid1(VALU_DEP_1)
	v_cndmask_b32_e64 v2, 0, v2, s8
	v_add_nc_u32_e32 v2, v2, v30
	s_delay_alu instid0(VALU_DEP_1) | instskip(NEXT) | instid1(VALU_DEP_1)
	v_cndmask_b32_e64 v2, 0, v2, s9
	v_add_nc_u32_e32 v2, v2, v28
	s_delay_alu instid0(VALU_DEP_1) | instskip(NEXT) | instid1(VALU_DEP_1)
	v_cndmask_b32_e64 v2, 0, v2, s10
	v_add_nc_u32_e32 v2, v2, v26
	s_delay_alu instid0(VALU_DEP_1) | instskip(NEXT) | instid1(VALU_DEP_1)
	v_cndmask_b32_e64 v2, 0, v2, s11
	v_add_nc_u32_e32 v2, v2, v24
	s_delay_alu instid0(VALU_DEP_1) | instskip(NEXT) | instid1(VALU_DEP_1)
	v_cndmask_b32_e64 v2, 0, v2, s12
	v_add_nc_u32_e32 v2, v2, v22
	s_delay_alu instid0(VALU_DEP_1) | instskip(NEXT) | instid1(VALU_DEP_1)
	v_cndmask_b32_e64 v2, 0, v2, s13
	v_add_nc_u32_e32 v2, v2, v20
	s_delay_alu instid0(VALU_DEP_1) | instskip(NEXT) | instid1(VALU_DEP_1)
	v_cndmask_b32_e64 v2, 0, v2, s14
	v_add_nc_u32_e32 v2, v2, v18
	s_delay_alu instid0(VALU_DEP_1) | instskip(NEXT) | instid1(VALU_DEP_1)
	v_cndmask_b32_e64 v2, 0, v2, s15
	v_add_nc_u32_e32 v2, v2, v16
	s_delay_alu instid0(VALU_DEP_1) | instskip(NEXT) | instid1(VALU_DEP_1)
	v_dual_cndmask_b32 v4, 0, v2, s16 :: v_dual_mov_b32 v2, 0
	v_add_nc_u32_e32 v4, v4, v14
	s_delay_alu instid0(VALU_DEP_2) | instskip(NEXT) | instid1(VALU_DEP_2)
	v_cmp_eq_u64_e32 vcc_lo, 0, v[2:3]
	v_dual_cndmask_b32 v3, 0, v4, s17 :: v_dual_cndmask_b32 v2, 1, v9, vcc_lo
	v_cmp_gt_u64_e32 vcc_lo, s[18:19], v[70:71]
	s_delay_alu instid0(VALU_DEP_2) | instskip(NEXT) | instid1(VALU_DEP_3)
	v_add_nc_u32_e32 v3, v3, v12
	v_and_b32_e32 v4, 0xff, v2
	s_delay_alu instid0(VALU_DEP_2) | instskip(NEXT) | instid1(VALU_DEP_2)
	v_dual_cndmask_b32 v3, 0, v3, vcc_lo :: v_dual_bitop2_b32 v6, 1, v2 bitop3:0x40
	v_mov_b32_dpp v5, v4 row_shr:1 row_mask:0xf bank_mask:0xf
	s_delay_alu instid0(VALU_DEP_2) | instskip(NEXT) | instid1(VALU_DEP_2)
	v_cmp_eq_u32_e32 vcc_lo, 1, v6
	v_dual_add_nc_u32 v3, v3, v70 :: v_dual_bitop2_b32 v5, 1, v5 bitop3:0x40
	s_delay_alu instid0(VALU_DEP_1) | instskip(NEXT) | instid1(VALU_DEP_2)
	v_mov_b32_dpp v6, v3 row_shr:1 row_mask:0xf bank_mask:0xf
	v_cndmask_b32_e64 v5, v5, 1, vcc_lo
	v_cmp_eq_u16_e32 vcc_lo, 0, v4
	s_delay_alu instid0(VALU_DEP_2) | instskip(NEXT) | instid1(VALU_DEP_4)
	v_and_b32_e32 v42, 0xffff, v5
	v_cndmask_b32_e32 v6, 0, v6, vcc_lo
	v_cmp_eq_u32_e32 vcc_lo, 0, v7
	s_delay_alu instid0(VALU_DEP_3) | instskip(NEXT) | instid1(VALU_DEP_3)
	v_dual_cndmask_b32 v4, v42, v4, vcc_lo :: v_dual_cndmask_b32 v2, v5, v2, vcc_lo
	v_cndmask_b32_e64 v6, v6, 0, vcc_lo
	s_delay_alu instid0(VALU_DEP_2) | instskip(NEXT) | instid1(VALU_DEP_2)
	v_mov_b32_dpp v5, v4 row_shr:2 row_mask:0xf bank_mask:0xf
	v_dual_add_nc_u32 v3, v6, v3 :: v_dual_bitop2_b32 v42, 1, v2 bitop3:0x40
	s_delay_alu instid0(VALU_DEP_2) | instskip(NEXT) | instid1(VALU_DEP_2)
	v_and_b32_e32 v5, 1, v5
	v_cmp_eq_u32_e32 vcc_lo, 1, v42
	s_delay_alu instid0(VALU_DEP_2) | instskip(SKIP_1) | instid1(VALU_DEP_2)
	v_cndmask_b32_e64 v5, v5, 1, vcc_lo
	v_cmp_lt_u32_e32 vcc_lo, 1, v7
	v_and_b32_e32 v42, 0xffff, v5
	v_cndmask_b32_e32 v5, v2, v5, vcc_lo
	v_and_b32_e32 v2, 0xff, v2
	s_delay_alu instid0(VALU_DEP_2) | instskip(NEXT) | instid1(VALU_DEP_2)
	v_dual_cndmask_b32 v4, v4, v42, vcc_lo :: v_dual_bitop2_b32 v6, 1, v5 bitop3:0x40
	v_cmp_eq_u16_e64 s18, 0, v2
	v_mov_b32_dpp v2, v3 row_shr:2 row_mask:0xf bank_mask:0xf
	v_and_b32_e32 v43, 0xff, v5
	s_delay_alu instid0(VALU_DEP_4)
	v_mov_b32_dpp v42, v4 row_shr:4 row_mask:0xf bank_mask:0xf
	v_cmp_eq_u32_e64 s19, 1, v6
	s_and_b32 vcc_lo, vcc_lo, s18
	v_cndmask_b32_e32 v2, 0, v2, vcc_lo
	v_and_b32_e32 v42, 1, v42
	v_cmp_lt_u32_e32 vcc_lo, 3, v7
	v_cmp_eq_u16_e64 s18, 0, v43
	s_delay_alu instid0(VALU_DEP_4) | instskip(NEXT) | instid1(VALU_DEP_4)
	v_add_nc_u32_e32 v2, v2, v3
	v_cndmask_b32_e64 v6, v42, 1, s19
	s_delay_alu instid0(VALU_DEP_1) | instskip(SKIP_1) | instid1(VALU_DEP_4)
	v_and_b32_e32 v42, 0xffff, v6
	v_cndmask_b32_e32 v3, v5, v6, vcc_lo
	v_mov_b32_dpp v5, v2 row_shr:4 row_mask:0xf bank_mask:0xf
	s_delay_alu instid0(VALU_DEP_3)
	v_cndmask_b32_e32 v4, v4, v42, vcc_lo
	s_and_b32 vcc_lo, vcc_lo, s18
	s_delay_alu instid0(VALU_DEP_2) | instid1(SALU_CYCLE_1)
	v_dual_cndmask_b32 v5, 0, v5, vcc_lo :: v_dual_bitop2_b32 v43, 1, v3 bitop3:0x40
	v_and_b32_e32 v42, 0xff, v3
	s_delay_alu instid0(VALU_DEP_3) | instskip(NEXT) | instid1(VALU_DEP_3)
	v_mov_b32_dpp v6, v4 row_shr:8 row_mask:0xf bank_mask:0xf
	v_cmp_eq_u32_e64 s18, 1, v43
	s_delay_alu instid0(VALU_DEP_4) | instskip(NEXT) | instid1(VALU_DEP_4)
	v_add_nc_u32_e32 v2, v5, v2
	v_cmp_eq_u16_e32 vcc_lo, 0, v42
	s_delay_alu instid0(VALU_DEP_4) | instskip(SKIP_1) | instid1(VALU_DEP_2)
	v_and_b32_e32 v6, 1, v6
	v_and_b32_e32 v42, 16, v1
	v_cndmask_b32_e64 v5, v6, 1, s18
	v_cmp_lt_u32_e64 s18, 7, v7
	v_mov_b32_dpp v6, v2 row_shr:8 row_mask:0xf bank_mask:0xf
	v_bfe_i32 v7, v1, 4, 1
	s_and_b32 vcc_lo, s18, vcc_lo
	s_delay_alu instid0(VALU_DEP_2) | instid1(SALU_CYCLE_1)
	v_dual_cndmask_b32 v3, v3, v5, s18 :: v_dual_cndmask_b32 v6, 0, v6, vcc_lo
	v_and_b32_e32 v5, 0xffff, v5
	s_delay_alu instid0(VALU_DEP_1) | instskip(NEXT) | instid1(VALU_DEP_3)
	v_dual_add_nc_u32 v2, v6, v2 :: v_dual_cndmask_b32 v4, v4, v5, s18
	v_and_b32_e32 v6, 0xff, v3
	v_cmp_eq_u32_e64 s18, 0, v42
	ds_swizzle_b32 v5, v2 offset:swizzle(BROADCAST,32,15)
	ds_swizzle_b32 v4, v4 offset:swizzle(BROADCAST,32,15)
	v_cmp_eq_u16_e32 vcc_lo, 0, v6
	s_wait_dscnt 0x1
	v_dual_cndmask_b32 v5, 0, v5, vcc_lo :: v_dual_bitop2_b32 v6, 1, v3 bitop3:0x40
	s_wait_dscnt 0x0
	v_and_b32_e32 v4, 1, v4
	s_delay_alu instid0(VALU_DEP_2) | instskip(NEXT) | instid1(VALU_DEP_3)
	v_cmp_eq_u32_e32 vcc_lo, 1, v6
	v_and_b32_e32 v5, v7, v5
	s_delay_alu instid0(VALU_DEP_3) | instskip(NEXT) | instid1(VALU_DEP_1)
	v_cndmask_b32_e64 v6, v4, 1, vcc_lo
	v_dual_add_nc_u32 v4, v5, v2 :: v_dual_cndmask_b32 v5, v6, v3, s18
	v_lshlrev_b32_e32 v6, 3, v11
	s_mov_b32 s18, exec_lo
	v_cmpx_eq_u32_e64 v0, v59
	s_cbranch_execz .LBB1072_111
; %bb.110:
	ds_store_b32 v6, v4
	ds_store_b8 v6, v5 offset:4
.LBB1072_111:
	s_or_b32 exec_lo, exec_lo, s18
	s_delay_alu instid0(SALU_CYCLE_1)
	s_mov_b32 s19, exec_lo
	s_wait_dscnt 0x0
	s_barrier_signal -1
	s_barrier_wait -1
	v_cmpx_gt_u32_e32 8, v0
	s_cbranch_execz .LBB1072_117
; %bb.112:
	v_dual_lshlrev_b32 v7, 3, v0 :: v_dual_bitop2_b32 v42, 7, v1 bitop3:0x40
	s_mov_b32 s18, exec_lo
	ds_load_b64 v[2:3], v7
	s_wait_dscnt 0x0
	v_and_b32_e32 v43, 0xffffff00, v3
	v_mov_b32_dpp v45, v2 row_shr:1 row_mask:0xf bank_mask:0xf
	v_mov_b32_dpp v46, v3 row_shr:1 row_mask:0xf bank_mask:0xf
	v_mov_b32_e32 v44, v3
	v_cmpx_ne_u32_e32 0, v42
	s_cbranch_execz .LBB1072_114
; %bb.113:
	v_and_b32_e32 v44, 1, v3
	v_and_b32_e32 v46, 1, v46
	;; [unrolled: 1-line block ×3, first 2 shown]
	s_delay_alu instid0(VALU_DEP_3) | instskip(NEXT) | instid1(VALU_DEP_3)
	v_cmp_eq_u32_e32 vcc_lo, 1, v44
	v_cndmask_b32_e64 v3, v46, 1, vcc_lo
	s_delay_alu instid0(VALU_DEP_3) | instskip(SKIP_1) | instid1(VALU_DEP_3)
	v_cmp_eq_u16_e32 vcc_lo, 0, v47
	v_cndmask_b32_e32 v44, 0, v45, vcc_lo
	v_and_b32_e32 v45, 0xffff, v3
	s_delay_alu instid0(VALU_DEP_1)
	v_dual_add_nc_u32 v2, v44, v2 :: v_dual_bitop2_b32 v44, v43, v45 bitop3:0x54
.LBB1072_114:
	s_or_b32 exec_lo, exec_lo, s18
	s_delay_alu instid0(VALU_DEP_1) | instskip(NEXT) | instid1(VALU_DEP_2)
	v_mov_b32_dpp v45, v2 row_shr:2 row_mask:0xf bank_mask:0xf
	v_mov_b32_dpp v46, v44 row_shr:2 row_mask:0xf bank_mask:0xf
	s_mov_b32 s18, exec_lo
	v_cmpx_lt_u32_e32 1, v42
	s_cbranch_execz .LBB1072_116
; %bb.115:
	v_and_b32_e32 v44, 1, v3
	v_and_b32_e32 v46, 1, v46
	;; [unrolled: 1-line block ×3, first 2 shown]
	s_delay_alu instid0(VALU_DEP_3) | instskip(NEXT) | instid1(VALU_DEP_3)
	v_cmp_eq_u32_e32 vcc_lo, 1, v44
	v_cndmask_b32_e64 v3, v46, 1, vcc_lo
	s_delay_alu instid0(VALU_DEP_3) | instskip(SKIP_1) | instid1(VALU_DEP_3)
	v_cmp_eq_u16_e32 vcc_lo, 0, v47
	v_cndmask_b32_e32 v44, 0, v45, vcc_lo
	v_and_b32_e32 v45, 0xffff, v3
	s_delay_alu instid0(VALU_DEP_1)
	v_dual_add_nc_u32 v2, v44, v2 :: v_dual_bitop2_b32 v44, v43, v45 bitop3:0x54
.LBB1072_116:
	s_or_b32 exec_lo, exec_lo, s18
	s_delay_alu instid0(VALU_DEP_1) | instskip(SKIP_2) | instid1(VALU_DEP_3)
	v_mov_b32_dpp v43, v44 row_shr:4 row_mask:0xf bank_mask:0xf
	v_and_b32_e32 v45, 1, v3
	v_and_b32_e32 v44, 0xff, v3
	v_and_b32_e32 v43, 1, v43
	s_delay_alu instid0(VALU_DEP_3) | instskip(NEXT) | instid1(VALU_DEP_3)
	v_cmp_eq_u32_e64 s18, 1, v45
	v_cmp_eq_u16_e32 vcc_lo, 0, v44
	s_delay_alu instid0(VALU_DEP_2)
	v_cndmask_b32_e64 v43, v43, 1, s18
	v_cmp_lt_u32_e64 s18, 3, v42
	v_mov_b32_dpp v42, v2 row_shr:4 row_mask:0xf bank_mask:0xf
	s_and_b32 vcc_lo, s18, vcc_lo
	s_delay_alu instid0(VALU_DEP_1) | instid1(SALU_CYCLE_1)
	v_dual_cndmask_b32 v3, v3, v43, s18 :: v_dual_cndmask_b32 v42, 0, v42, vcc_lo
	s_delay_alu instid0(VALU_DEP_1)
	v_add_nc_u32_e32 v2, v42, v2
	ds_store_b32 v7, v2
	ds_store_b8 v7, v3 offset:4
.LBB1072_117:
	s_or_b32 exec_lo, exec_lo, s19
	v_dual_mov_b32 v47, 0 :: v_dual_mov_b32 v46, 0
	s_mov_b32 s19, exec_lo
	v_cmp_gt_u32_e32 vcc_lo, 32, v0
	s_wait_dscnt 0x0
	s_barrier_signal -1
	s_barrier_wait -1
	v_cmpx_lt_u32_e32 31, v0
	s_cbranch_execz .LBB1072_119
; %bb.118:
	v_dual_add_nc_u32 v2, -8, v6 :: v_dual_bitop2_b32 v3, 1, v5 bitop3:0x40
	ds_load_b32 v46, v2
	v_add_nc_u32_e32 v2, -4, v6
	ds_load_u8 v47, v2
	v_and_b32_e32 v2, 0xff, v5
	s_delay_alu instid0(VALU_DEP_1) | instskip(SKIP_1) | instid1(VALU_DEP_1)
	v_cmp_eq_u16_e64 s18, 0, v2
	s_wait_dscnt 0x1
	v_cndmask_b32_e64 v2, 0, v46, s18
	v_cmp_eq_u32_e64 s18, 1, v3
	s_delay_alu instid0(VALU_DEP_2) | instskip(SKIP_1) | instid1(VALU_DEP_2)
	v_add_nc_u32_e32 v4, v2, v4
	s_wait_dscnt 0x0
	v_cndmask_b32_e64 v5, v47, 1, s18
.LBB1072_119:
	s_or_b32 exec_lo, exec_lo, s19
	v_sub_co_u32 v2, s18, v1, 1
	s_delay_alu instid0(VALU_DEP_2) | instskip(NEXT) | instid1(VALU_DEP_2)
	v_and_b32_e32 v3, 0xff, v5
	v_cmp_gt_i32_e64 s19, 0, v2
	s_delay_alu instid0(VALU_DEP_1) | instskip(NEXT) | instid1(VALU_DEP_1)
	v_cndmask_b32_e64 v2, v2, v1, s19
	v_lshlrev_b32_e32 v2, 2, v2
	ds_bpermute_b32 v50, v2, v4
	ds_bpermute_b32 v51, v2, v3
	s_and_saveexec_b32 s38, vcc_lo
	s_cbranch_execz .LBB1072_218
; %bb.120:
	v_mov_b32_e32 v5, 0
	ds_load_b64 v[2:3], v5 offset:56
	s_and_saveexec_b32 s19, s18
	s_cbranch_execz .LBB1072_122
; %bb.121:
	s_add_co_i32 s28, s40, 32
	s_mov_b32 s29, 0
	v_mov_b32_e32 v4, 1
	s_lshl_b64 s[28:29], s[28:29], 4
	s_delay_alu instid0(SALU_CYCLE_1) | instskip(NEXT) | instid1(SALU_CYCLE_1)
	s_add_nc_u64 s[28:29], s[24:25], s[28:29]
	v_mov_b64_e32 v[6:7], s[28:29]
	s_wait_dscnt 0x0
	;;#ASMSTART
	global_store_b128 v[6:7], v[2:5] off scope:SCOPE_DEV	
s_wait_storecnt 0x0
	;;#ASMEND
.LBB1072_122:
	s_or_b32 exec_lo, exec_lo, s19
	v_xad_u32 v42, v1, -1, s40
	s_mov_b32 s28, 0
	s_mov_b32 s19, exec_lo
	s_delay_alu instid0(VALU_DEP_1) | instskip(NEXT) | instid1(VALU_DEP_1)
	v_add_nc_u32_e32 v4, 32, v42
	v_lshl_add_u64 v[44:45], v[4:5], 4, s[24:25]
	;;#ASMSTART
	global_load_b128 v[4:7], v[44:45] off scope:SCOPE_DEV	
s_wait_loadcnt 0x0
	;;#ASMEND
	v_and_b32_e32 v7, 0xff, v6
	v_and_b32_e32 v5, 0xff, v5
	s_delay_alu instid0(VALU_DEP_2)
	v_cmpx_eq_u16_e32 0, v7
	s_cbranch_execz .LBB1072_125
.LBB1072_123:                           ; =>This Inner Loop Header: Depth=1
	;;#ASMSTART
	global_load_b128 v[4:7], v[44:45] off scope:SCOPE_DEV	
s_wait_loadcnt 0x0
	;;#ASMEND
	v_and_b32_e32 v7, 0xff, v6
	s_delay_alu instid0(VALU_DEP_1) | instskip(SKIP_1) | instid1(SALU_CYCLE_1)
	v_cmp_ne_u16_e32 vcc_lo, 0, v7
	s_or_b32 s28, vcc_lo, s28
	s_and_not1_b32 exec_lo, exec_lo, s28
	s_cbranch_execnz .LBB1072_123
; %bb.124:
	s_or_b32 exec_lo, exec_lo, s28
	v_and_b32_e32 v5, 0xff, v5
.LBB1072_125:
	s_or_b32 exec_lo, exec_lo, s19
	v_cmp_ne_u32_e32 vcc_lo, 31, v1
	v_and_b32_e32 v43, 0xff, v6
	v_lshlrev_b32_e64 v53, v1, -1
	s_mov_b64 s[28:29], 0x100000000
	v_lshl_or_b32 v65, v1, 2, 64
	v_add_co_ci_u32_e64 v7, null, 0, v1, vcc_lo
	v_cmp_eq_u16_e32 vcc_lo, 2, v43
	v_cmp_gt_u64_e64 s19, s[28:29], v[4:5]
	s_delay_alu instid0(VALU_DEP_3) | instskip(SKIP_2) | instid1(VALU_DEP_3)
	v_dual_lshlrev_b32 v52, 2, v7 :: v_dual_bitop2_b32 v44, 1, v5 bitop3:0x40
	v_add_nc_u32_e32 v66, 16, v1
	v_and_or_b32 v43, vcc_lo, v53, 0x80000000
	v_cmp_eq_u32_e32 vcc_lo, 1, v44
	ds_bpermute_b32 v7, v52, v5
	ds_bpermute_b32 v44, v52, v4
	v_ctz_i32_b32_e32 v43, v43
	s_wait_dscnt 0x1
	v_and_b32_e32 v7, 1, v7
	s_delay_alu instid0(VALU_DEP_1) | instskip(SKIP_1) | instid1(VALU_DEP_2)
	v_cndmask_b32_e64 v7, v7, 1, vcc_lo
	v_cmp_gt_u32_e32 vcc_lo, 30, v1
	v_and_b32_e32 v55, 0xffff, v7
	v_cndmask_b32_e64 v45, 0, 2, vcc_lo
	v_cmp_lt_u32_e32 vcc_lo, v1, v43
	s_delay_alu instid0(VALU_DEP_2) | instskip(NEXT) | instid1(VALU_DEP_4)
	v_add_lshl_u32 v54, v45, v1, 2
	v_cndmask_b32_e32 v45, v5, v55, vcc_lo
	v_cndmask_b32_e32 v7, v5, v7, vcc_lo
	s_and_b32 vcc_lo, vcc_lo, s19
	s_wait_dscnt 0x0
	v_dual_cndmask_b32 v44, 0, v44 :: v_dual_add_nc_u32 v55, 2, v1
	ds_bpermute_b32 v5, v54, v45
	v_dual_add_nc_u32 v4, v44, v4 :: v_dual_bitop2_b32 v56, 1, v7 bitop3:0x40
	v_and_b32_e32 v58, 0xff, v7
	ds_bpermute_b32 v44, v54, v4
	v_cmp_eq_u32_e32 vcc_lo, 1, v56
	v_cmp_eq_u16_e64 s19, 0, v58
	s_wait_dscnt 0x1
	v_and_b32_e32 v5, 1, v5
	s_delay_alu instid0(VALU_DEP_1) | instskip(SKIP_3) | instid1(VALU_DEP_3)
	v_cndmask_b32_e64 v5, v5, 1, vcc_lo
	v_cmp_gt_u32_e32 vcc_lo, 28, v1
	s_wait_dscnt 0x0
	v_cndmask_b32_e64 v44, 0, v44, s19
	v_and_b32_e32 v57, 0xffff, v5
	v_cndmask_b32_e64 v56, 0, 4, vcc_lo
	v_cmp_gt_u32_e32 vcc_lo, v55, v43
	s_delay_alu instid0(VALU_DEP_2) | instskip(SKIP_2) | instid1(VALU_DEP_1)
	v_add_lshl_u32 v56, v56, v1, 2
	v_cndmask_b32_e32 v5, v5, v7, vcc_lo
	v_cndmask_b32_e64 v44, v44, 0, vcc_lo
	v_dual_cndmask_b32 v7, v57, v45 :: v_dual_add_nc_u32 v4, v44, v4
	ds_bpermute_b32 v45, v56, v7
	v_add_nc_u32_e32 v57, 4, v1
	ds_bpermute_b32 v44, v56, v4
	v_and_b32_e32 v58, 1, v5
	s_delay_alu instid0(VALU_DEP_1) | instskip(SKIP_1) | instid1(VALU_DEP_1)
	v_cmp_eq_u32_e32 vcc_lo, 1, v58
	v_and_b32_e32 v58, 0xff, v5
	v_cmp_eq_u16_e64 s19, 0, v58
	s_wait_dscnt 0x0
	s_delay_alu instid0(VALU_DEP_1) | instskip(NEXT) | instid1(VALU_DEP_1)
	v_dual_cndmask_b32 v44, 0, v44, s19 :: v_dual_bitop2_b32 v45, 1, v45 bitop3:0x40
	v_cndmask_b32_e64 v45, v45, 1, vcc_lo
	v_cmp_gt_u32_e32 vcc_lo, 24, v1
	s_delay_alu instid0(VALU_DEP_2) | instskip(SKIP_2) | instid1(VALU_DEP_2)
	v_and_b32_e32 v63, 0xffff, v45
	v_cndmask_b32_e64 v62, 0, 8, vcc_lo
	v_cmp_gt_u32_e32 vcc_lo, v57, v43
	v_add_lshl_u32 v58, v62, v1, 2
	v_cndmask_b32_e64 v44, v44, 0, vcc_lo
	s_delay_alu instid0(VALU_DEP_1)
	v_dual_cndmask_b32 v7, v63, v7 :: v_dual_add_nc_u32 v4, v44, v4
	v_add_nc_u32_e32 v62, 8, v1
	ds_bpermute_b32 v44, v58, v4
	v_cndmask_b32_e32 v5, v45, v5, vcc_lo
	ds_bpermute_b32 v45, v58, v7
	v_and_b32_e32 v63, 1, v5
	v_and_b32_e32 v64, 0xff, v5
	s_delay_alu instid0(VALU_DEP_2) | instskip(SKIP_2) | instid1(VALU_DEP_1)
	v_cmp_eq_u32_e32 vcc_lo, 1, v63
	s_wait_dscnt 0x0
	v_and_b32_e32 v45, 1, v45
	v_cndmask_b32_e64 v45, v45, 1, vcc_lo
	v_cmp_eq_u16_e32 vcc_lo, 0, v64
	s_delay_alu instid0(VALU_DEP_2) | instskip(SKIP_2) | instid1(VALU_DEP_2)
	v_and_b32_e32 v63, 0xffff, v45
	v_cndmask_b32_e32 v44, 0, v44, vcc_lo
	v_cmp_gt_u32_e32 vcc_lo, v62, v43
	v_cndmask_b32_e64 v44, v44, 0, vcc_lo
	s_delay_alu instid0(VALU_DEP_4) | instskip(NEXT) | instid1(VALU_DEP_2)
	v_dual_cndmask_b32 v7, v63, v7, vcc_lo :: v_dual_cndmask_b32 v5, v45, v5, vcc_lo
	v_add_nc_u32_e32 v4, v44, v4
	ds_bpermute_b32 v7, v65, v7
	v_and_b32_e32 v45, 0xff, v5
	ds_bpermute_b32 v44, v65, v4
	v_cmp_eq_u16_e32 vcc_lo, 0, v45
	v_and_b32_e32 v63, 1, v5
	s_wait_dscnt 0x0
	v_dual_cndmask_b32 v44, 0, v44, vcc_lo :: v_dual_bitop2_b32 v7, 1, v7 bitop3:0x40
	s_delay_alu instid0(VALU_DEP_2) | instskip(NEXT) | instid1(VALU_DEP_2)
	v_cmp_eq_u32_e32 vcc_lo, 1, v63
	v_cndmask_b32_e64 v7, v7, 1, vcc_lo
	v_cmp_gt_u32_e32 vcc_lo, v66, v43
	s_delay_alu instid0(VALU_DEP_2) | instskip(SKIP_1) | instid1(VALU_DEP_1)
	v_dual_mov_b32 v43, 0 :: v_dual_cndmask_b32 v5, v7, v5, vcc_lo
	v_cndmask_b32_e64 v7, v44, 0, vcc_lo
	v_add_nc_u32_e32 v4, v7, v4
	s_branch .LBB1072_129
.LBB1072_126:                           ;   in Loop: Header=BB1072_129 Depth=1
	s_or_b32 exec_lo, exec_lo, s39
	v_and_b32_e32 v5, 0xff, v5
.LBB1072_127:                           ;   in Loop: Header=BB1072_129 Depth=1
	s_or_b32 exec_lo, exec_lo, s19
	ds_bpermute_b32 v7, v52, v5
	v_and_b32_e32 v44, 0xff, v6
	v_cmp_gt_u64_e64 s19, s[28:29], v[4:5]
	v_subrev_nc_u32_e32 v42, 32, v42
	s_delay_alu instid0(VALU_DEP_3) | instskip(SKIP_2) | instid1(VALU_DEP_2)
	v_cmp_eq_u16_e32 vcc_lo, 2, v44
	v_and_b32_e32 v44, 1, v5
	v_and_or_b32 v45, vcc_lo, v53, 0x80000000
	v_cmp_eq_u32_e32 vcc_lo, 1, v44
	s_delay_alu instid0(VALU_DEP_2) | instskip(SKIP_3) | instid1(VALU_DEP_1)
	v_ctz_i32_b32_e32 v44, v45
	ds_bpermute_b32 v45, v52, v4
	s_wait_dscnt 0x1
	v_and_b32_e32 v7, 1, v7
	v_cndmask_b32_e64 v7, v7, 1, vcc_lo
	v_cmp_lt_u32_e32 vcc_lo, v1, v44
	s_delay_alu instid0(VALU_DEP_2) | instskip(SKIP_1) | instid1(VALU_DEP_2)
	v_and_b32_e32 v67, 0xffff, v7
	v_cndmask_b32_e32 v7, v5, v7, vcc_lo
	v_cndmask_b32_e32 v67, v5, v67, vcc_lo
	s_and_b32 vcc_lo, vcc_lo, s19
	s_delay_alu instid0(VALU_DEP_2)
	v_and_b32_e32 v69, 0xff, v7
	s_wait_dscnt 0x0
	v_dual_cndmask_b32 v45, 0, v45, vcc_lo :: v_dual_bitop2_b32 v68, 1, v7 bitop3:0x40
	ds_bpermute_b32 v5, v54, v67
	v_cmp_eq_u16_e64 s19, 0, v69
	v_add_nc_u32_e32 v4, v45, v4
	v_cmp_eq_u32_e32 vcc_lo, 1, v68
	ds_bpermute_b32 v45, v54, v4
	s_wait_dscnt 0x1
	v_and_b32_e32 v5, 1, v5
	s_delay_alu instid0(VALU_DEP_1) | instskip(SKIP_3) | instid1(VALU_DEP_3)
	v_cndmask_b32_e64 v5, v5, 1, vcc_lo
	v_cmp_gt_u32_e32 vcc_lo, v55, v44
	s_wait_dscnt 0x0
	v_cndmask_b32_e64 v45, 0, v45, s19
	v_and_b32_e32 v68, 0xffff, v5
	v_cndmask_b32_e32 v5, v5, v7, vcc_lo
	s_delay_alu instid0(VALU_DEP_3) | instskip(NEXT) | instid1(VALU_DEP_2)
	v_cndmask_b32_e64 v45, v45, 0, vcc_lo
	v_dual_cndmask_b32 v7, v68, v67, vcc_lo :: v_dual_bitop2_b32 v68, 1, v5 bitop3:0x40
	s_delay_alu instid0(VALU_DEP_2)
	v_add_nc_u32_e32 v4, v45, v4
	ds_bpermute_b32 v67, v56, v7
	v_cmp_eq_u32_e32 vcc_lo, 1, v68
	v_and_b32_e32 v68, 0xff, v5
	ds_bpermute_b32 v45, v56, v4
	v_cmp_eq_u16_e64 s19, 0, v68
	s_wait_dscnt 0x0
	s_delay_alu instid0(VALU_DEP_1) | instskip(SKIP_1) | instid1(VALU_DEP_1)
	v_dual_cndmask_b32 v45, 0, v45, s19 :: v_dual_bitop2_b32 v67, 1, v67 bitop3:0x40
	s_mov_b32 s19, 0
	v_cndmask_b32_e64 v67, v67, 1, vcc_lo
	v_cmp_gt_u32_e32 vcc_lo, v57, v44
	s_delay_alu instid0(VALU_DEP_2) | instskip(SKIP_2) | instid1(VALU_DEP_2)
	v_and_b32_e32 v69, 0xffff, v67
	v_cndmask_b32_e32 v5, v67, v5, vcc_lo
	v_cndmask_b32_e64 v45, v45, 0, vcc_lo
	v_dual_cndmask_b32 v7, v69, v7, vcc_lo :: v_dual_bitop2_b32 v68, 1, v5 bitop3:0x40
	v_and_b32_e32 v69, 0xff, v5
	ds_bpermute_b32 v67, v58, v7
	v_add_nc_u32_e32 v4, v45, v4
	v_cmp_eq_u32_e32 vcc_lo, 1, v68
	s_wait_dscnt 0x0
	v_and_b32_e32 v67, 1, v67
	ds_bpermute_b32 v45, v58, v4
	v_cndmask_b32_e64 v67, v67, 1, vcc_lo
	v_cmp_eq_u16_e32 vcc_lo, 0, v69
	s_delay_alu instid0(VALU_DEP_2) | instskip(SKIP_3) | instid1(VALU_DEP_3)
	v_and_b32_e32 v68, 0xffff, v67
	s_wait_dscnt 0x0
	v_cndmask_b32_e32 v45, 0, v45, vcc_lo
	v_cmp_gt_u32_e32 vcc_lo, v62, v44
	v_cndmask_b32_e32 v7, v68, v7, vcc_lo
	s_delay_alu instid0(VALU_DEP_3)
	v_cndmask_b32_e64 v45, v45, 0, vcc_lo
	v_cndmask_b32_e32 v5, v67, v5, vcc_lo
	ds_bpermute_b32 v7, v65, v7
	v_dual_add_nc_u32 v4, v45, v4 :: v_dual_bitop2_b32 v67, 1, v5 bitop3:0x40
	v_and_b32_e32 v68, 0xff, v5
	ds_bpermute_b32 v45, v65, v4
	v_cmp_eq_u32_e32 vcc_lo, 1, v67
	s_wait_dscnt 0x1
	v_cndmask_b32_e64 v7, v7, 1, vcc_lo
	v_cmp_eq_u16_e32 vcc_lo, 0, v68
	s_wait_dscnt 0x0
	v_cndmask_b32_e32 v45, 0, v45, vcc_lo
	v_cmp_gt_u32_e32 vcc_lo, v66, v44
	v_and_b32_e32 v44, 0xff, v63
	v_cndmask_b32_e32 v5, v7, v5, vcc_lo
	s_delay_alu instid0(VALU_DEP_4) | instskip(NEXT) | instid1(VALU_DEP_3)
	v_cndmask_b32_e64 v7, v45, 0, vcc_lo
	v_cmp_eq_u16_e32 vcc_lo, 0, v44
	s_delay_alu instid0(VALU_DEP_2) | instskip(NEXT) | instid1(VALU_DEP_1)
	v_dual_add_nc_u32 v4, v7, v4 :: v_dual_bitop2_b32 v7, 1, v63 bitop3:0x40
	v_dual_cndmask_b32 v4, 0, v4, vcc_lo :: v_dual_bitop2_b32 v5, 1, v5 bitop3:0x40
	s_delay_alu instid0(VALU_DEP_2) | instskip(NEXT) | instid1(VALU_DEP_2)
	v_cmp_eq_u32_e32 vcc_lo, 1, v7
	v_add_nc_u32_e32 v4, v4, v64
	s_delay_alu instid0(VALU_DEP_3)
	v_cndmask_b32_e64 v5, v5, 1, vcc_lo
.LBB1072_128:                           ;   in Loop: Header=BB1072_129 Depth=1
	s_and_b32 vcc_lo, exec_lo, s19
	s_cbranch_vccnz .LBB1072_214
.LBB1072_129:                           ; =>This Loop Header: Depth=1
                                        ;     Child Loop BB1072_132 Depth 2
	v_and_b32_e32 v6, 0xff, v6
	s_delay_alu instid0(VALU_DEP_2) | instskip(SKIP_1) | instid1(VALU_DEP_2)
	v_dual_mov_b32 v63, v5 :: v_dual_mov_b32 v64, v4
	s_mov_b32 s19, -1
                                        ; implicit-def: $vgpr5
                                        ; implicit-def: $vgpr4
	v_cmp_ne_u16_e32 vcc_lo, 2, v6
                                        ; implicit-def: $vgpr6
	s_cmp_lg_u32 vcc_lo, exec_lo
	s_cbranch_scc1 .LBB1072_128
; %bb.130:                              ;   in Loop: Header=BB1072_129 Depth=1
	v_lshl_add_u64 v[44:45], v[42:43], 4, s[24:25]
	;;#ASMSTART
	global_load_b128 v[4:7], v[44:45] off scope:SCOPE_DEV	
s_wait_loadcnt 0x0
	;;#ASMEND
	v_and_b32_e32 v7, 0xff, v6
	v_and_b32_e32 v5, 0xff, v5
	s_mov_b32 s19, exec_lo
	s_delay_alu instid0(VALU_DEP_2)
	v_cmpx_eq_u16_e32 0, v7
	s_cbranch_execz .LBB1072_127
; %bb.131:                              ;   in Loop: Header=BB1072_129 Depth=1
	s_mov_b32 s39, 0
.LBB1072_132:                           ;   Parent Loop BB1072_129 Depth=1
                                        ; =>  This Inner Loop Header: Depth=2
	;;#ASMSTART
	global_load_b128 v[4:7], v[44:45] off scope:SCOPE_DEV	
s_wait_loadcnt 0x0
	;;#ASMEND
	v_and_b32_e32 v7, 0xff, v6
	s_delay_alu instid0(VALU_DEP_1) | instskip(SKIP_1) | instid1(SALU_CYCLE_1)
	v_cmp_ne_u16_e32 vcc_lo, 0, v7
	s_or_b32 s39, vcc_lo, s39
	s_and_not1_b32 exec_lo, exec_lo, s39
	s_cbranch_execnz .LBB1072_132
	s_branch .LBB1072_126
.LBB1072_133:
	s_or_b32 exec_lo, exec_lo, s19
                                        ; implicit-def: $vgpr4
	s_and_saveexec_b32 s19, s1
	s_cbranch_execz .LBB1072_45
.LBB1072_134:
	flat_load_i16 v4, v0, s[28:29] offset:512 scale_offset
	s_wait_xcnt 0x0
	s_or_b32 exec_lo, exec_lo, s19
                                        ; implicit-def: $vgpr5
	s_and_saveexec_b32 s1, s3
	s_cbranch_execnz .LBB1072_46
.LBB1072_135:
	s_or_b32 exec_lo, exec_lo, s1
                                        ; implicit-def: $vgpr6
	s_and_saveexec_b32 s1, s4
	s_cbranch_execz .LBB1072_47
.LBB1072_136:
	flat_load_i16 v6, v0, s[28:29] offset:1536 scale_offset
	s_wait_xcnt 0x0
	s_or_b32 exec_lo, exec_lo, s1
                                        ; implicit-def: $vgpr7
	s_and_saveexec_b32 s1, s5
	s_cbranch_execnz .LBB1072_48
.LBB1072_137:
	s_or_b32 exec_lo, exec_lo, s1
                                        ; implicit-def: $vgpr8
	s_and_saveexec_b32 s1, s6
	s_cbranch_execz .LBB1072_49
.LBB1072_138:
	flat_load_i16 v8, v0, s[28:29] offset:2560 scale_offset
	s_wait_xcnt 0x0
	s_or_b32 exec_lo, exec_lo, s1
                                        ; implicit-def: $vgpr9
	s_and_saveexec_b32 s1, s7
	s_cbranch_execnz .LBB1072_50
.LBB1072_139:
	s_or_b32 exec_lo, exec_lo, s1
                                        ; implicit-def: $vgpr12
	s_and_saveexec_b32 s1, s8
	s_cbranch_execz .LBB1072_51
.LBB1072_140:
	flat_load_i16 v12, v0, s[28:29] offset:3584 scale_offset
	s_wait_xcnt 0x0
	s_or_b32 exec_lo, exec_lo, s1
                                        ; implicit-def: $vgpr13
	s_and_saveexec_b32 s1, s9
	s_cbranch_execnz .LBB1072_52
.LBB1072_141:
	s_or_b32 exec_lo, exec_lo, s1
                                        ; implicit-def: $vgpr14
	s_and_saveexec_b32 s1, s10
	s_cbranch_execz .LBB1072_53
.LBB1072_142:
	flat_load_i16 v14, v0, s[28:29] offset:4608 scale_offset
	s_wait_xcnt 0x0
	s_or_b32 exec_lo, exec_lo, s1
                                        ; implicit-def: $vgpr15
	s_and_saveexec_b32 s1, s11
	s_cbranch_execnz .LBB1072_54
.LBB1072_143:
	s_or_b32 exec_lo, exec_lo, s1
                                        ; implicit-def: $vgpr16
	s_and_saveexec_b32 s1, s12
	s_cbranch_execz .LBB1072_55
.LBB1072_144:
	flat_load_i16 v16, v0, s[28:29] offset:5632 scale_offset
	s_wait_xcnt 0x0
	s_or_b32 exec_lo, exec_lo, s1
                                        ; implicit-def: $vgpr17
	s_and_saveexec_b32 s1, s13
	s_cbranch_execnz .LBB1072_56
.LBB1072_145:
	s_or_b32 exec_lo, exec_lo, s1
                                        ; implicit-def: $vgpr18
	s_and_saveexec_b32 s1, s14
	s_cbranch_execz .LBB1072_57
.LBB1072_146:
	flat_load_i16 v18, v0, s[28:29] offset:6656 scale_offset
	s_wait_xcnt 0x0
	s_or_b32 exec_lo, exec_lo, s1
                                        ; implicit-def: $vgpr19
	s_and_saveexec_b32 s1, s15
	s_cbranch_execnz .LBB1072_58
.LBB1072_147:
	s_or_b32 exec_lo, exec_lo, s1
                                        ; implicit-def: $vgpr20
	s_and_saveexec_b32 s1, s16
	s_cbranch_execz .LBB1072_59
.LBB1072_148:
	flat_load_i16 v20, v0, s[28:29] offset:7680 scale_offset
	s_wait_xcnt 0x0
	s_or_b32 exec_lo, exec_lo, s1
                                        ; implicit-def: $vgpr21
	s_and_saveexec_b32 s1, s17
	s_cbranch_execz .LBB1072_61
	s_branch .LBB1072_60
.LBB1072_149:
                                        ; implicit-def: $vgpr51
                                        ; implicit-def: $vgpr45
                                        ; implicit-def: $vgpr5
                                        ; implicit-def: $vgpr3
                                        ; implicit-def: $vgpr43
                                        ; implicit-def: $vgpr54_vgpr55
                                        ; implicit-def: $vgpr56_vgpr57
                                        ; implicit-def: $vgpr52_vgpr53
                                        ; implicit-def: $vgpr46_vgpr47
                                        ; implicit-def: $vgpr6_vgpr7
	s_cbranch_execnz .LBB1072_219
.LBB1072_150:
	s_add_nc_u64 s[2:3], s[22:23], s[34:35]
	s_and_b32 vcc_lo, exec_lo, s0
	s_add_nc_u64 s[0:1], s[2:3], s[20:21]
	s_cbranch_vccz .LBB1072_234
.LBB1072_151:
	v_mul_u32_u24_e32 v1, 18, v0
	s_add_co_i32 s27, s27, s26
	s_mov_b32 s2, exec_lo
	s_delay_alu instid0(VALU_DEP_1)
	v_cmpx_gt_u32_e64 s27, v1
	s_cbranch_execz .LBB1072_179
; %bb.152:
	v_or_b32_e32 v8, 1, v1
	s_mov_b32 s3, exec_lo
	s_delay_alu instid0(VALU_DEP_1)
	v_cmpx_gt_u32_e64 s27, v8
	s_cbranch_execz .LBB1072_178
; %bb.153:
	v_add_nc_u32_e32 v8, 2, v1
	s_mov_b32 s4, exec_lo
	s_delay_alu instid0(VALU_DEP_1)
	v_cmpx_gt_u32_e64 s27, v8
	s_cbranch_execz .LBB1072_177
; %bb.154:
	v_add_nc_u32_e32 v8, 3, v1
	;; [unrolled: 6-line block ×12, first 2 shown]
	s_mov_b32 s15, exec_lo
	s_delay_alu instid0(VALU_DEP_1)
	v_cmpx_gt_u32_e64 s27, v8
; %bb.165:
	v_add_nc_u32_e32 v8, 14, v1
	s_mov_b32 s16, exec_lo
	s_delay_alu instid0(VALU_DEP_1)
	v_cmpx_gt_u32_e64 s27, v8
	s_or_b32 exec_lo, exec_lo, s16
; %bb.166:
	s_delay_alu instid0(SALU_CYCLE_1)
	s_or_b32 exec_lo, exec_lo, s15
.LBB1072_167:
	s_delay_alu instid0(SALU_CYCLE_1)
	s_or_b32 exec_lo, exec_lo, s14
.LBB1072_168:
	s_delay_alu instid0(SALU_CYCLE_1)
	s_or_b32 exec_lo, exec_lo, s13
.LBB1072_169:
	s_delay_alu instid0(SALU_CYCLE_1)
	s_or_b32 exec_lo, exec_lo, s12
.LBB1072_170:
	s_delay_alu instid0(SALU_CYCLE_1)
	s_or_b32 exec_lo, exec_lo, s11
.LBB1072_171:
	s_delay_alu instid0(SALU_CYCLE_1)
	s_or_b32 exec_lo, exec_lo, s10
.LBB1072_172:
	s_delay_alu instid0(SALU_CYCLE_1)
	s_or_b32 exec_lo, exec_lo, s9
.LBB1072_173:
	s_delay_alu instid0(SALU_CYCLE_1)
	s_or_b32 exec_lo, exec_lo, s8
.LBB1072_174:
	s_delay_alu instid0(SALU_CYCLE_1)
	s_or_b32 exec_lo, exec_lo, s7
.LBB1072_175:
	s_delay_alu instid0(SALU_CYCLE_1)
	s_or_b32 exec_lo, exec_lo, s6
.LBB1072_176:
	s_delay_alu instid0(SALU_CYCLE_1)
	s_or_b32 exec_lo, exec_lo, s5
.LBB1072_177:
	s_delay_alu instid0(SALU_CYCLE_1)
	s_or_b32 exec_lo, exec_lo, s4
.LBB1072_178:
	s_delay_alu instid0(SALU_CYCLE_1)
	s_or_b32 exec_lo, exec_lo, s3
.LBB1072_179:
	s_delay_alu instid0(SALU_CYCLE_1) | instskip(SKIP_3) | instid1(VALU_DEP_1)
	s_or_b32 exec_lo, exec_lo, s2
	v_dual_lshlrev_b32 v1, 2, v1 :: v_dual_mov_b32 v11, 0
	s_barrier_signal -1
	s_barrier_wait -1
	v_mad_i32_i24 v8, 0xffffffbc, v0, v1
	ds_store_2addr_b64 v1, v[56:57], v[42:43] offset1:1
	ds_store_2addr_b64 v1, v[6:7], v[2:3] offset0:2 offset1:3
	ds_store_2addr_b64 v1, v[46:47], v[4:5] offset0:4 offset1:5
	;; [unrolled: 1-line block ×3, first 2 shown]
	ds_store_b64 v1, v[50:51] offset:64
	s_wait_dscnt 0x0
	s_barrier_signal -1
	s_barrier_wait -1
	ds_load_2addr_stride64_b32 v[26:27], v8 offset0:4 offset1:8
	ds_load_2addr_stride64_b32 v[24:25], v8 offset0:12 offset1:16
	;; [unrolled: 1-line block ×8, first 2 shown]
	ds_load_b32 v9, v8 offset:17408
	v_add_nc_u64_e32 v[10:11], s[0:1], v[10:11]
	s_mov_b32 s2, exec_lo
	v_cmpx_gt_u32_e64 s27, v0
	s_cbranch_execz .LBB1072_181
; %bb.180:
	v_mul_i32_i24_e32 v8, 0xffffffbc, v0
	s_delay_alu instid0(VALU_DEP_1)
	v_add_nc_u32_e32 v1, v1, v8
	ds_load_b32 v1, v1
	s_wait_dscnt 0x0
	flat_store_b16 v[10:11], v1
.LBB1072_181:
	s_wait_xcnt 0x0
	s_or_b32 exec_lo, exec_lo, s2
	v_or_b32_e32 v1, 0x100, v0
	s_mov_b32 s2, exec_lo
	s_delay_alu instid0(VALU_DEP_1)
	v_cmpx_gt_u32_e64 s27, v1
	s_cbranch_execz .LBB1072_183
; %bb.182:
	s_wait_dscnt 0x8
	flat_store_b16 v[10:11], v26 offset:512
.LBB1072_183:
	s_wait_xcnt 0x0
	s_or_b32 exec_lo, exec_lo, s2
	v_or_b32_e32 v1, 0x200, v0
	s_mov_b32 s2, exec_lo
	s_delay_alu instid0(VALU_DEP_1)
	v_cmpx_gt_u32_e64 s27, v1
	s_cbranch_execz .LBB1072_185
; %bb.184:
	s_wait_dscnt 0x8
	flat_store_b16 v[10:11], v27 offset:1024
.LBB1072_185:
	;; [unrolled: 11-line block ×16, first 2 shown]
	s_wait_xcnt 0x0
	s_or_b32 exec_lo, exec_lo, s2
	v_or_b32_e32 v1, 0x1100, v0
	s_delay_alu instid0(VALU_DEP_1)
	v_cmp_gt_u32_e64 s2, s27, v1
	s_branch .LBB1072_236
.LBB1072_214:
	s_and_saveexec_b32 s19, s18
	s_cbranch_execz .LBB1072_216
; %bb.215:
	v_and_b32_e32 v4, 0xff, v3
	s_mov_b32 s29, 0
	s_add_co_i32 s28, s40, 32
	s_delay_alu instid0(SALU_CYCLE_1) | instskip(NEXT) | instid1(VALU_DEP_1)
	s_lshl_b64 s[28:29], s[28:29], 4
	v_cmp_eq_u32_e32 vcc_lo, 0, v4
	v_and_b32_e32 v3, 1, v3
	s_add_nc_u64 s[28:29], s[24:25], s[28:29]
	s_delay_alu instid0(SALU_CYCLE_1) | instskip(SKIP_1) | instid1(VALU_DEP_3)
	v_mov_b64_e32 v[6:7], s[28:29]
	v_dual_cndmask_b32 v4, 0, v64, vcc_lo :: v_dual_bitop2_b32 v5, 1, v63 bitop3:0x40
	v_cmp_eq_u32_e32 vcc_lo, 1, v3
	s_delay_alu instid0(VALU_DEP_2) | instskip(NEXT) | instid1(VALU_DEP_3)
	v_dual_add_nc_u32 v2, v4, v2 :: v_dual_mov_b32 v4, 2
	v_cndmask_b32_e64 v3, v5, 1, vcc_lo
	v_mov_b32_e32 v5, 0
	;;#ASMSTART
	global_store_b128 v[6:7], v[2:5] off scope:SCOPE_DEV	
s_wait_storecnt 0x0
	;;#ASMEND
.LBB1072_216:
	s_or_b32 exec_lo, exec_lo, s19
	s_delay_alu instid0(SALU_CYCLE_1)
	s_and_b32 exec_lo, exec_lo, s2
	s_cbranch_execz .LBB1072_218
; %bb.217:
	v_mov_b32_e32 v2, 0
	ds_store_b32 v2, v64 offset:56
	ds_store_b8 v2, v63 offset:60
.LBB1072_218:
	s_or_b32 exec_lo, exec_lo, s38
	s_wait_dscnt 0x0
	v_dual_mov_b32 v2, 0 :: v_dual_cndmask_b32 v3, v51, v47, s18
	s_barrier_signal -1
	s_barrier_wait -1
	ds_load_b32 v4, v2 offset:56
	v_and_b32_e32 v3, 0xff, v3
	s_delay_alu instid0(VALU_DEP_1) | instskip(SKIP_2) | instid1(VALU_DEP_1)
	v_cmp_eq_u16_e32 vcc_lo, 0, v3
	s_wait_dscnt 0x0
	v_dual_cndmask_b32 v5, v50, v46, s18 :: v_dual_cndmask_b32 v3, 0, v4, vcc_lo
	v_add_nc_u32_e32 v5, v3, v5
	v_and_b32_e32 v3, 0xff, v9
	s_delay_alu instid0(VALU_DEP_2) | instskip(NEXT) | instid1(VALU_DEP_2)
	v_cndmask_b32_e64 v56, v5, v4, s2
	v_cmp_eq_u64_e32 vcc_lo, 0, v[2:3]
	s_delay_alu instid0(VALU_DEP_2) | instskip(NEXT) | instid1(VALU_DEP_1)
	v_cndmask_b32_e32 v2, 0, v56, vcc_lo
	v_add_nc_u32_e32 v57, v2, v8
	s_delay_alu instid0(VALU_DEP_1) | instskip(NEXT) | instid1(VALU_DEP_1)
	v_cndmask_b32_e64 v2, 0, v57, s1
	v_add_nc_u32_e32 v42, v2, v48
	s_delay_alu instid0(VALU_DEP_1) | instskip(SKIP_1) | instid1(VALU_DEP_2)
	v_cndmask_b32_e64 v2, 0, v42, s3
	v_mov_b64_e32 v[54:55], v[56:57]
	v_add_nc_u32_e32 v43, v2, v40
	s_delay_alu instid0(VALU_DEP_1) | instskip(NEXT) | instid1(VALU_DEP_1)
	v_cndmask_b32_e64 v2, 0, v43, s4
	v_add_nc_u32_e32 v6, v2, v38
	s_delay_alu instid0(VALU_DEP_1) | instskip(NEXT) | instid1(VALU_DEP_1)
	v_cndmask_b32_e64 v2, 0, v6, s5
	;; [unrolled: 3-line block ×14, first 2 shown]
	v_add_nc_u32_e32 v51, v51, v12
	s_branch .LBB1072_150
.LBB1072_219:
	s_cmp_eq_u64 s[36:37], 0
	v_mov_b32_e32 v58, s33
	s_cselect_b32 s1, -1, 0
	s_cmp_eq_u64 s[30:31], 0
	s_cselect_b32 s3, -1, 0
	s_delay_alu instid0(SALU_CYCLE_1) | instskip(NEXT) | instid1(SALU_CYCLE_1)
	s_or_b32 s1, s1, s3
	s_and_b32 vcc_lo, exec_lo, s1
	s_cbranch_vccnz .LBB1072_221
; %bb.220:
	v_mov_b32_e32 v2, 0
	global_load_b32 v58, v2, s[30:31]
.LBB1072_221:
	s_mov_b64 s[18:19], 0x100000000
	v_or3_b32 v3, v61, v33, v35
	v_cmp_gt_u64_e32 vcc_lo, s[18:19], v[48:49]
	v_cmp_gt_u64_e64 s1, s[18:19], v[40:41]
	v_cmp_gt_u64_e64 s17, s[18:19], v[70:71]
	;; [unrolled: 1-line block ×6, first 2 shown]
	s_wait_xcnt 0x0
	v_cndmask_b32_e32 v2, 0, v8, vcc_lo
	v_cmp_gt_u64_e64 s7, s[18:19], v[30:31]
	v_cmp_gt_u64_e64 s8, s[18:19], v[28:29]
	;; [unrolled: 1-line block ×4, first 2 shown]
	v_add_nc_u32_e32 v2, v2, v48
	v_cmp_gt_u64_e64 s11, s[18:19], v[22:23]
	v_cmp_gt_u64_e64 s12, s[18:19], v[20:21]
	;; [unrolled: 1-line block ×3, first 2 shown]
	v_or3_b32 v4, v60, v17, v19
	v_cndmask_b32_e64 v2, 0, v2, s1
	v_cmp_gt_u64_e64 s14, s[18:19], v[16:17]
	v_or3_b32 v3, v3, v37, v39
	v_cmp_gt_u64_e64 s15, s[18:19], v[14:15]
	v_or3_b32 v4, v4, v21, v23
	v_dual_add_nc_u32 v2, v2, v40 :: v_dual_bitop2_b32 v7, 15, v1 bitop3:0x40
	s_delay_alu instid0(VALU_DEP_4) | instskip(NEXT) | instid1(VALU_DEP_3)
	v_or3_b32 v3, v3, v41, v49
	v_or3_b32 v4, v4, v25, v27
	s_delay_alu instid0(VALU_DEP_3) | instskip(NEXT) | instid1(VALU_DEP_2)
	v_cndmask_b32_e64 v2, 0, v2, s3
	v_or3_b32 v3, v71, v4, v3
	s_delay_alu instid0(VALU_DEP_2) | instskip(NEXT) | instid1(VALU_DEP_2)
	v_add_nc_u32_e32 v2, v2, v38
	v_and_b32_e32 v3, 0xff, v3
	s_delay_alu instid0(VALU_DEP_2) | instskip(NEXT) | instid1(VALU_DEP_1)
	v_cndmask_b32_e64 v2, 0, v2, s4
	v_add_nc_u32_e32 v2, v2, v36
	s_delay_alu instid0(VALU_DEP_1) | instskip(NEXT) | instid1(VALU_DEP_1)
	v_cndmask_b32_e64 v2, 0, v2, s5
	v_add_nc_u32_e32 v2, v2, v34
	s_delay_alu instid0(VALU_DEP_1) | instskip(NEXT) | instid1(VALU_DEP_1)
	;; [unrolled: 3-line block ×11, first 2 shown]
	v_dual_cndmask_b32 v4, 0, v2, s15 :: v_dual_mov_b32 v2, 0
	v_add_nc_u32_e32 v4, v4, v14
	s_delay_alu instid0(VALU_DEP_2) | instskip(NEXT) | instid1(VALU_DEP_1)
	v_cmp_eq_u64_e64 s16, 0, v[2:3]
	v_cndmask_b32_e64 v2, 1, v9, s16
	v_cmp_gt_u64_e64 s16, s[18:19], v[12:13]
	s_delay_alu instid0(VALU_DEP_1) | instskip(SKIP_1) | instid1(VALU_DEP_2)
	v_dual_cndmask_b32 v3, 0, v4, s16 :: v_dual_bitop2_b32 v6, 1, v2 bitop3:0x40
	v_and_b32_e32 v4, 0xff, v2
	v_add_nc_u32_e32 v3, v3, v12
	s_delay_alu instid0(VALU_DEP_2) | instskip(NEXT) | instid1(VALU_DEP_1)
	v_mov_b32_dpp v5, v4 row_shr:1 row_mask:0xf bank_mask:0xf
	v_dual_cndmask_b32 v3, 0, v3, s17 :: v_dual_bitop2_b32 v5, 1, v5 bitop3:0x40
	v_cmp_eq_u32_e64 s17, 1, v6
	s_delay_alu instid0(VALU_DEP_2) | instskip(NEXT) | instid1(VALU_DEP_2)
	v_add_nc_u32_e32 v3, v3, v70
	v_cndmask_b32_e64 v5, v5, 1, s17
	v_cmp_eq_u16_e64 s17, 0, v4
	s_delay_alu instid0(VALU_DEP_3) | instskip(NEXT) | instid1(VALU_DEP_3)
	v_mov_b32_dpp v6, v3 row_shr:1 row_mask:0xf bank_mask:0xf
	v_and_b32_e32 v13, 0xffff, v5
	s_delay_alu instid0(VALU_DEP_2) | instskip(SKIP_1) | instid1(VALU_DEP_1)
	v_cndmask_b32_e64 v6, 0, v6, s17
	v_cmp_eq_u32_e64 s17, 0, v7
	v_cndmask_b32_e64 v4, v13, v4, s17
	v_cndmask_b32_e64 v2, v5, v2, s17
	s_delay_alu instid0(VALU_DEP_4) | instskip(NEXT) | instid1(VALU_DEP_3)
	v_cndmask_b32_e64 v6, v6, 0, s17
	v_mov_b32_dpp v5, v4 row_shr:2 row_mask:0xf bank_mask:0xf
	s_delay_alu instid0(VALU_DEP_2) | instskip(NEXT) | instid1(VALU_DEP_2)
	v_dual_add_nc_u32 v3, v6, v3 :: v_dual_bitop2_b32 v13, 1, v2 bitop3:0x40
	v_and_b32_e32 v5, 1, v5
	s_delay_alu instid0(VALU_DEP_2) | instskip(NEXT) | instid1(VALU_DEP_1)
	v_cmp_eq_u32_e64 s17, 1, v13
	v_cndmask_b32_e64 v5, v5, 1, s17
	v_cmp_lt_u32_e64 s17, 1, v7
	s_delay_alu instid0(VALU_DEP_2) | instskip(NEXT) | instid1(VALU_DEP_2)
	v_and_b32_e32 v13, 0xffff, v5
	v_cndmask_b32_e64 v5, v2, v5, s17
	v_and_b32_e32 v2, 0xff, v2
	s_delay_alu instid0(VALU_DEP_3) | instskip(NEXT) | instid1(VALU_DEP_3)
	v_cndmask_b32_e64 v4, v4, v13, s17
	v_and_b32_e32 v6, 1, v5
	s_delay_alu instid0(VALU_DEP_3)
	v_cmp_eq_u16_e64 s18, 0, v2
	v_mov_b32_dpp v2, v3 row_shr:2 row_mask:0xf bank_mask:0xf
	v_and_b32_e32 v15, 0xff, v5
	v_mov_b32_dpp v13, v4 row_shr:4 row_mask:0xf bank_mask:0xf
	v_cmp_eq_u32_e64 s19, 1, v6
	s_and_b32 s17, s17, s18
	s_delay_alu instid0(SALU_CYCLE_1) | instskip(SKIP_2) | instid1(VALU_DEP_3)
	v_dual_cndmask_b32 v2, 0, v2, s17 :: v_dual_bitop2_b32 v13, 1, v13 bitop3:0x40
	v_cmp_lt_u32_e64 s17, 3, v7
	v_cmp_eq_u16_e64 s18, 0, v15
	v_add_nc_u32_e32 v2, v2, v3
	s_delay_alu instid0(VALU_DEP_4) | instskip(NEXT) | instid1(VALU_DEP_1)
	v_cndmask_b32_e64 v6, v13, 1, s19
	v_and_b32_e32 v13, 0xffff, v6
	v_cndmask_b32_e64 v3, v5, v6, s17
	s_delay_alu instid0(VALU_DEP_4) | instskip(NEXT) | instid1(VALU_DEP_3)
	v_mov_b32_dpp v5, v2 row_shr:4 row_mask:0xf bank_mask:0xf
	v_cndmask_b32_e64 v4, v4, v13, s17
	s_and_b32 s17, s17, s18
	s_delay_alu instid0(VALU_DEP_2) | instid1(SALU_CYCLE_1)
	v_dual_cndmask_b32 v5, 0, v5, s17 :: v_dual_bitop2_b32 v15, 1, v3 bitop3:0x40
	v_and_b32_e32 v13, 0xff, v3
	s_delay_alu instid0(VALU_DEP_3) | instskip(NEXT) | instid1(VALU_DEP_3)
	v_mov_b32_dpp v6, v4 row_shr:8 row_mask:0xf bank_mask:0xf
	v_cmp_eq_u32_e64 s18, 1, v15
	s_delay_alu instid0(VALU_DEP_4) | instskip(NEXT) | instid1(VALU_DEP_4)
	v_add_nc_u32_e32 v2, v5, v2
	v_cmp_eq_u16_e64 s17, 0, v13
	s_delay_alu instid0(VALU_DEP_4) | instskip(SKIP_1) | instid1(VALU_DEP_2)
	v_and_b32_e32 v6, 1, v6
	v_and_b32_e32 v13, 16, v1
	v_cndmask_b32_e64 v5, v6, 1, s18
	v_cmp_lt_u32_e64 s18, 7, v7
	v_mov_b32_dpp v6, v2 row_shr:8 row_mask:0xf bank_mask:0xf
	v_bfe_i32 v7, v1, 4, 1
	s_and_b32 s17, s18, s17
	s_delay_alu instid0(VALU_DEP_2) | instid1(SALU_CYCLE_1)
	v_dual_cndmask_b32 v3, v3, v5, s18 :: v_dual_cndmask_b32 v6, 0, v6, s17
	v_and_b32_e32 v5, 0xffff, v5
	s_delay_alu instid0(VALU_DEP_1) | instskip(NEXT) | instid1(VALU_DEP_3)
	v_dual_add_nc_u32 v2, v6, v2 :: v_dual_cndmask_b32 v4, v4, v5, s18
	v_and_b32_e32 v6, 0xff, v3
	v_cmp_eq_u32_e64 s18, 0, v13
	ds_swizzle_b32 v5, v2 offset:swizzle(BROADCAST,32,15)
	ds_swizzle_b32 v4, v4 offset:swizzle(BROADCAST,32,15)
	v_cmp_eq_u16_e64 s17, 0, v6
	s_wait_dscnt 0x1
	s_delay_alu instid0(VALU_DEP_1) | instskip(SKIP_2) | instid1(VALU_DEP_2)
	v_dual_cndmask_b32 v5, 0, v5, s17 :: v_dual_bitop2_b32 v6, 1, v3 bitop3:0x40
	s_wait_dscnt 0x0
	v_and_b32_e32 v4, 1, v4
	v_cmp_eq_u32_e64 s17, 1, v6
	s_delay_alu instid0(VALU_DEP_3) | instskip(NEXT) | instid1(VALU_DEP_2)
	v_and_b32_e32 v5, v7, v5
	v_cndmask_b32_e64 v6, v4, 1, s17
	s_delay_alu instid0(VALU_DEP_1)
	v_dual_add_nc_u32 v4, v5, v2 :: v_dual_cndmask_b32 v5, v6, v3, s18
	v_lshlrev_b32_e32 v6, 3, v11
	s_mov_b32 s18, exec_lo
	v_cmpx_eq_u32_e64 v0, v59
	s_cbranch_execz .LBB1072_223
; %bb.222:
	ds_store_b32 v6, v4
	ds_store_b8 v6, v5 offset:4
.LBB1072_223:
	s_or_b32 exec_lo, exec_lo, s18
	s_delay_alu instid0(SALU_CYCLE_1)
	s_mov_b32 s19, exec_lo
	s_wait_loadcnt_dscnt 0x0
	s_barrier_signal -1
	s_barrier_wait -1
	v_cmpx_gt_u32_e32 8, v0
	s_cbranch_execz .LBB1072_229
; %bb.224:
	v_dual_lshlrev_b32 v7, 3, v0 :: v_dual_bitop2_b32 v11, 7, v1 bitop3:0x40
	s_mov_b32 s18, exec_lo
	ds_load_b64 v[2:3], v7
	s_wait_dscnt 0x0
	v_and_b32_e32 v13, 0xffffff00, v3
	v_mov_b32_dpp v17, v2 row_shr:1 row_mask:0xf bank_mask:0xf
	v_mov_b32_dpp v19, v3 row_shr:1 row_mask:0xf bank_mask:0xf
	v_mov_b32_e32 v15, v3
	v_cmpx_ne_u32_e32 0, v11
	s_cbranch_execz .LBB1072_226
; %bb.225:
	v_and_b32_e32 v15, 1, v3
	v_and_b32_e32 v19, 1, v19
	;; [unrolled: 1-line block ×3, first 2 shown]
	s_delay_alu instid0(VALU_DEP_3) | instskip(NEXT) | instid1(VALU_DEP_1)
	v_cmp_eq_u32_e64 s17, 1, v15
	v_cndmask_b32_e64 v3, v19, 1, s17
	s_delay_alu instid0(VALU_DEP_3) | instskip(NEXT) | instid1(VALU_DEP_1)
	v_cmp_eq_u16_e64 s17, 0, v21
	v_cndmask_b32_e64 v15, 0, v17, s17
	s_delay_alu instid0(VALU_DEP_3) | instskip(NEXT) | instid1(VALU_DEP_1)
	v_and_b32_e32 v17, 0xffff, v3
	v_dual_add_nc_u32 v2, v15, v2 :: v_dual_bitop2_b32 v15, v13, v17 bitop3:0x54
.LBB1072_226:
	s_or_b32 exec_lo, exec_lo, s18
	s_delay_alu instid0(VALU_DEP_1) | instskip(NEXT) | instid1(VALU_DEP_2)
	v_mov_b32_dpp v17, v2 row_shr:2 row_mask:0xf bank_mask:0xf
	v_mov_b32_dpp v19, v15 row_shr:2 row_mask:0xf bank_mask:0xf
	s_mov_b32 s18, exec_lo
	v_cmpx_lt_u32_e32 1, v11
	s_cbranch_execz .LBB1072_228
; %bb.227:
	v_and_b32_e32 v15, 1, v3
	v_and_b32_e32 v19, 1, v19
	;; [unrolled: 1-line block ×3, first 2 shown]
	s_delay_alu instid0(VALU_DEP_3) | instskip(NEXT) | instid1(VALU_DEP_1)
	v_cmp_eq_u32_e64 s17, 1, v15
	v_cndmask_b32_e64 v3, v19, 1, s17
	s_delay_alu instid0(VALU_DEP_3) | instskip(NEXT) | instid1(VALU_DEP_1)
	v_cmp_eq_u16_e64 s17, 0, v21
	v_cndmask_b32_e64 v15, 0, v17, s17
	s_delay_alu instid0(VALU_DEP_3) | instskip(NEXT) | instid1(VALU_DEP_1)
	v_and_b32_e32 v17, 0xffff, v3
	v_dual_add_nc_u32 v2, v15, v2 :: v_dual_bitop2_b32 v15, v13, v17 bitop3:0x54
.LBB1072_228:
	s_or_b32 exec_lo, exec_lo, s18
	s_delay_alu instid0(VALU_DEP_1) | instskip(SKIP_2) | instid1(VALU_DEP_3)
	v_mov_b32_dpp v13, v15 row_shr:4 row_mask:0xf bank_mask:0xf
	v_and_b32_e32 v17, 1, v3
	v_and_b32_e32 v15, 0xff, v3
	;; [unrolled: 1-line block ×3, first 2 shown]
	s_delay_alu instid0(VALU_DEP_3) | instskip(NEXT) | instid1(VALU_DEP_3)
	v_cmp_eq_u32_e64 s18, 1, v17
	v_cmp_eq_u16_e64 s17, 0, v15
	s_delay_alu instid0(VALU_DEP_2)
	v_cndmask_b32_e64 v13, v13, 1, s18
	v_cmp_lt_u32_e64 s18, 3, v11
	v_mov_b32_dpp v11, v2 row_shr:4 row_mask:0xf bank_mask:0xf
	s_and_b32 s17, s18, s17
	s_delay_alu instid0(VALU_DEP_1) | instid1(SALU_CYCLE_1)
	v_dual_cndmask_b32 v3, v3, v13, s18 :: v_dual_cndmask_b32 v11, 0, v11, s17
	s_delay_alu instid0(VALU_DEP_1)
	v_add_nc_u32_e32 v2, v11, v2
	ds_store_b32 v7, v2
	ds_store_b8 v7, v3 offset:4
.LBB1072_229:
	s_or_b32 exec_lo, exec_lo, s19
	v_mov_b32_e32 v2, v58
	s_mov_b32 s18, exec_lo
	s_wait_dscnt 0x0
	s_barrier_signal -1
	s_barrier_wait -1
	v_cmpx_lt_u32_e32 31, v0
	s_cbranch_execz .LBB1072_231
; %bb.230:
	v_dual_add_nc_u32 v2, -4, v6 :: v_dual_add_nc_u32 v3, -8, v6
	ds_load_u8 v2, v2
	ds_load_b32 v3, v3
	s_wait_dscnt 0x1
	v_cmp_eq_u16_e64 s17, 0, v2
	s_delay_alu instid0(VALU_DEP_1) | instskip(SKIP_1) | instid1(VALU_DEP_1)
	v_cndmask_b32_e64 v2, 0, v58, s17
	s_wait_dscnt 0x0
	v_add_nc_u32_e32 v2, v2, v3
.LBB1072_231:
	s_or_b32 exec_lo, exec_lo, s18
	v_and_b32_e32 v3, 0xff, v5
	v_sub_co_u32 v5, s17, v1, 1
	v_and_b32_e32 v61, 0xff, v9
	v_mov_b32_e32 v60, 0
	s_delay_alu instid0(VALU_DEP_4) | instskip(NEXT) | instid1(VALU_DEP_1)
	v_cmp_eq_u16_e64 s18, 0, v3
	v_cndmask_b32_e64 v3, 0, v2, s18
	v_cmp_gt_i32_e64 s18, 0, v5
	s_delay_alu instid0(VALU_DEP_1) | instskip(NEXT) | instid1(VALU_DEP_1)
	v_dual_cndmask_b32 v1, v5, v1, s18 :: v_dual_add_nc_u32 v3, v3, v4
	v_lshlrev_b32_e32 v1, 2, v1
	ds_bpermute_b32 v1, v1, v3
	s_wait_dscnt 0x0
	v_cndmask_b32_e64 v56, v1, v2, s17
	v_cmp_eq_u64_e64 s17, 0, v[60:61]
	s_delay_alu instid0(VALU_DEP_2) | instskip(NEXT) | instid1(VALU_DEP_1)
	v_cndmask_b32_e64 v1, v56, v58, s2
	v_cndmask_b32_e64 v1, 0, v1, s17
	s_delay_alu instid0(VALU_DEP_1) | instskip(NEXT) | instid1(VALU_DEP_1)
	v_add_nc_u32_e32 v57, v1, v8
	v_cndmask_b32_e32 v1, 0, v57, vcc_lo
	s_delay_alu instid0(VALU_DEP_1) | instskip(NEXT) | instid1(VALU_DEP_1)
	v_add_nc_u32_e32 v42, v1, v48
	v_cndmask_b32_e64 v1, 0, v42, s1
	v_mov_b64_e32 v[54:55], v[56:57]
	s_delay_alu instid0(VALU_DEP_2) | instskip(NEXT) | instid1(VALU_DEP_1)
	v_add_nc_u32_e32 v43, v1, v40
	v_cndmask_b32_e64 v1, 0, v43, s3
	s_delay_alu instid0(VALU_DEP_1) | instskip(NEXT) | instid1(VALU_DEP_1)
	v_add_nc_u32_e32 v6, v1, v38
	v_cndmask_b32_e64 v1, 0, v6, s4
	s_delay_alu instid0(VALU_DEP_1) | instskip(NEXT) | instid1(VALU_DEP_1)
	;; [unrolled: 3-line block ×13, first 2 shown]
	v_add_nc_u32_e32 v50, v1, v14
	v_cndmask_b32_e64 v1, 0, v50, s16
	s_delay_alu instid0(VALU_DEP_1)
	v_add_nc_u32_e32 v51, v1, v12
	s_and_saveexec_b32 s1, s2
	s_cbranch_execz .LBB1072_233
; %bb.232:
	ds_load_u8 v1, v60 offset:60
	ds_load_b32 v11, v60 offset:56
	v_mov_b32_e32 v9, v60
	s_add_nc_u64 s[2:3], s[24:25], 0x200
	v_dual_mov_b32 v14, 2 :: v_dual_mov_b32 v15, v60
	v_mov_b32_e32 v56, v58
	s_wait_dscnt 0x1
	v_and_b32_e32 v8, 0xffff, v1
	s_delay_alu instid0(VALU_DEP_1) | instskip(SKIP_1) | instid1(VALU_DEP_2)
	v_dual_mov_b32 v59, v57 :: v_dual_mov_b32 v13, v8
	v_cmp_eq_u64_e32 vcc_lo, 0, v[8:9]
	v_mov_b64_e32 v[54:55], v[58:59]
	v_mov_b64_e32 v[8:9], s[2:3]
	v_cndmask_b32_e32 v1, 0, v58, vcc_lo
	s_wait_dscnt 0x0
	s_delay_alu instid0(VALU_DEP_1)
	v_add_nc_u32_e32 v12, v1, v11
	;;#ASMSTART
	global_store_b128 v[8:9], v[12:15] off scope:SCOPE_DEV	
s_wait_storecnt 0x0
	;;#ASMEND
.LBB1072_233:
	s_or_b32 exec_lo, exec_lo, s1
	s_add_nc_u64 s[2:3], s[22:23], s[34:35]
	s_and_b32 vcc_lo, exec_lo, s0
	s_add_nc_u64 s[0:1], s[2:3], s[20:21]
	s_cbranch_vccnz .LBB1072_151
.LBB1072_234:
	s_mov_b32 s2, 0
                                        ; implicit-def: $vgpr9
	s_cbranch_execz .LBB1072_236
; %bb.235:
	v_mul_u32_u24_e32 v1, 0x48, v0
	v_mul_i32_i24_e32 v8, 0xffffffbc, v0
	s_wait_storecnt_dscnt 0x0
	s_barrier_signal -1
	s_barrier_wait -1
	ds_store_2addr_b64 v1, v[54:55], v[42:43] offset1:1
	ds_store_2addr_b64 v1, v[6:7], v[2:3] offset0:2 offset1:3
	ds_store_2addr_b64 v1, v[46:47], v[4:5] offset0:4 offset1:5
	;; [unrolled: 1-line block ×3, first 2 shown]
	ds_store_b64 v1, v[50:51] offset:64
	v_mad_u32_u24 v1, 0x48, v0, v8
	s_wait_dscnt 0x0
	s_barrier_signal -1
	s_barrier_wait -1
	ds_load_2addr_stride64_b32 v[2:3], v1 offset1:4
	ds_load_2addr_stride64_b32 v[4:5], v1 offset0:8 offset1:12
	ds_load_2addr_stride64_b32 v[6:7], v1 offset0:16 offset1:20
	;; [unrolled: 1-line block ×8, first 2 shown]
	s_or_b32 s2, s2, exec_lo
	s_wait_dscnt 0x8
	s_clause 0x1
	flat_store_b16 v0, v2, s[0:1] scale_offset
	flat_store_b16 v0, v3, s[0:1] offset:512 scale_offset
	s_wait_dscnt 0x9
	s_clause 0x1
	flat_store_b16 v0, v4, s[0:1] offset:1024 scale_offset
	flat_store_b16 v0, v5, s[0:1] offset:1536 scale_offset
	s_wait_dscnt 0xa
	s_clause 0x1
	flat_store_b16 v0, v6, s[0:1] offset:2048 scale_offset
	;; [unrolled: 4-line block ×7, first 2 shown]
	flat_store_b16 v0, v19, s[0:1] offset:7680 scale_offset
	s_wait_dscnt 0x10
	flat_store_b16 v0, v8, s[0:1] offset:8192 scale_offset
.LBB1072_236:
	s_wait_xcnt 0x0
	s_delay_alu instid0(VALU_DEP_1)
	s_and_saveexec_b32 s3, s2
	s_cbranch_execz .LBB1072_238
; %bb.237:
	s_wait_dscnt 0x0
	flat_store_b16 v0, v9, s[0:1] offset:8704 scale_offset
	s_sendmsg sendmsg(MSG_DEALLOC_VGPRS)
	s_endpgm
.LBB1072_238:
	s_sendmsg sendmsg(MSG_DEALLOC_VGPRS)
	s_endpgm
	.section	.rodata,"a",@progbits
	.p2align	6, 0x0
	.amdhsa_kernel _ZN7rocprim17ROCPRIM_400000_NS6detail17trampoline_kernelINS0_14default_configENS1_27scan_by_key_config_selectorIsiEEZZNS1_16scan_by_key_implILNS1_25lookback_scan_determinismE0ELb1ES3_N6thrust23THRUST_200600_302600_NS6detail15normal_iteratorINS9_10device_ptrIsEEEESE_SE_iNS9_4plusIvEENS9_8equal_toIvEEiEE10hipError_tPvRmT2_T3_T4_T5_mT6_T7_P12ihipStream_tbENKUlT_T0_E_clISt17integral_constantIbLb0EESY_IbLb1EEEEDaSU_SV_EUlSU_E_NS1_11comp_targetILNS1_3genE0ELNS1_11target_archE4294967295ELNS1_3gpuE0ELNS1_3repE0EEENS1_30default_config_static_selectorELNS0_4arch9wavefront6targetE0EEEvT1_
		.amdhsa_group_segment_fixed_size 18432
		.amdhsa_private_segment_fixed_size 0
		.amdhsa_kernarg_size 112
		.amdhsa_user_sgpr_count 2
		.amdhsa_user_sgpr_dispatch_ptr 0
		.amdhsa_user_sgpr_queue_ptr 0
		.amdhsa_user_sgpr_kernarg_segment_ptr 1
		.amdhsa_user_sgpr_dispatch_id 0
		.amdhsa_user_sgpr_kernarg_preload_length 0
		.amdhsa_user_sgpr_kernarg_preload_offset 0
		.amdhsa_user_sgpr_private_segment_size 0
		.amdhsa_wavefront_size32 1
		.amdhsa_uses_dynamic_stack 0
		.amdhsa_enable_private_segment 0
		.amdhsa_system_sgpr_workgroup_id_x 1
		.amdhsa_system_sgpr_workgroup_id_y 0
		.amdhsa_system_sgpr_workgroup_id_z 0
		.amdhsa_system_sgpr_workgroup_info 0
		.amdhsa_system_vgpr_workitem_id 0
		.amdhsa_next_free_vgpr 80
		.amdhsa_next_free_sgpr 44
		.amdhsa_named_barrier_count 0
		.amdhsa_reserve_vcc 1
		.amdhsa_float_round_mode_32 0
		.amdhsa_float_round_mode_16_64 0
		.amdhsa_float_denorm_mode_32 3
		.amdhsa_float_denorm_mode_16_64 3
		.amdhsa_fp16_overflow 0
		.amdhsa_memory_ordered 1
		.amdhsa_forward_progress 1
		.amdhsa_inst_pref_size 114
		.amdhsa_round_robin_scheduling 0
		.amdhsa_exception_fp_ieee_invalid_op 0
		.amdhsa_exception_fp_denorm_src 0
		.amdhsa_exception_fp_ieee_div_zero 0
		.amdhsa_exception_fp_ieee_overflow 0
		.amdhsa_exception_fp_ieee_underflow 0
		.amdhsa_exception_fp_ieee_inexact 0
		.amdhsa_exception_int_div_zero 0
	.end_amdhsa_kernel
	.section	.text._ZN7rocprim17ROCPRIM_400000_NS6detail17trampoline_kernelINS0_14default_configENS1_27scan_by_key_config_selectorIsiEEZZNS1_16scan_by_key_implILNS1_25lookback_scan_determinismE0ELb1ES3_N6thrust23THRUST_200600_302600_NS6detail15normal_iteratorINS9_10device_ptrIsEEEESE_SE_iNS9_4plusIvEENS9_8equal_toIvEEiEE10hipError_tPvRmT2_T3_T4_T5_mT6_T7_P12ihipStream_tbENKUlT_T0_E_clISt17integral_constantIbLb0EESY_IbLb1EEEEDaSU_SV_EUlSU_E_NS1_11comp_targetILNS1_3genE0ELNS1_11target_archE4294967295ELNS1_3gpuE0ELNS1_3repE0EEENS1_30default_config_static_selectorELNS0_4arch9wavefront6targetE0EEEvT1_,"axG",@progbits,_ZN7rocprim17ROCPRIM_400000_NS6detail17trampoline_kernelINS0_14default_configENS1_27scan_by_key_config_selectorIsiEEZZNS1_16scan_by_key_implILNS1_25lookback_scan_determinismE0ELb1ES3_N6thrust23THRUST_200600_302600_NS6detail15normal_iteratorINS9_10device_ptrIsEEEESE_SE_iNS9_4plusIvEENS9_8equal_toIvEEiEE10hipError_tPvRmT2_T3_T4_T5_mT6_T7_P12ihipStream_tbENKUlT_T0_E_clISt17integral_constantIbLb0EESY_IbLb1EEEEDaSU_SV_EUlSU_E_NS1_11comp_targetILNS1_3genE0ELNS1_11target_archE4294967295ELNS1_3gpuE0ELNS1_3repE0EEENS1_30default_config_static_selectorELNS0_4arch9wavefront6targetE0EEEvT1_,comdat
.Lfunc_end1072:
	.size	_ZN7rocprim17ROCPRIM_400000_NS6detail17trampoline_kernelINS0_14default_configENS1_27scan_by_key_config_selectorIsiEEZZNS1_16scan_by_key_implILNS1_25lookback_scan_determinismE0ELb1ES3_N6thrust23THRUST_200600_302600_NS6detail15normal_iteratorINS9_10device_ptrIsEEEESE_SE_iNS9_4plusIvEENS9_8equal_toIvEEiEE10hipError_tPvRmT2_T3_T4_T5_mT6_T7_P12ihipStream_tbENKUlT_T0_E_clISt17integral_constantIbLb0EESY_IbLb1EEEEDaSU_SV_EUlSU_E_NS1_11comp_targetILNS1_3genE0ELNS1_11target_archE4294967295ELNS1_3gpuE0ELNS1_3repE0EEENS1_30default_config_static_selectorELNS0_4arch9wavefront6targetE0EEEvT1_, .Lfunc_end1072-_ZN7rocprim17ROCPRIM_400000_NS6detail17trampoline_kernelINS0_14default_configENS1_27scan_by_key_config_selectorIsiEEZZNS1_16scan_by_key_implILNS1_25lookback_scan_determinismE0ELb1ES3_N6thrust23THRUST_200600_302600_NS6detail15normal_iteratorINS9_10device_ptrIsEEEESE_SE_iNS9_4plusIvEENS9_8equal_toIvEEiEE10hipError_tPvRmT2_T3_T4_T5_mT6_T7_P12ihipStream_tbENKUlT_T0_E_clISt17integral_constantIbLb0EESY_IbLb1EEEEDaSU_SV_EUlSU_E_NS1_11comp_targetILNS1_3genE0ELNS1_11target_archE4294967295ELNS1_3gpuE0ELNS1_3repE0EEENS1_30default_config_static_selectorELNS0_4arch9wavefront6targetE0EEEvT1_
                                        ; -- End function
	.set _ZN7rocprim17ROCPRIM_400000_NS6detail17trampoline_kernelINS0_14default_configENS1_27scan_by_key_config_selectorIsiEEZZNS1_16scan_by_key_implILNS1_25lookback_scan_determinismE0ELb1ES3_N6thrust23THRUST_200600_302600_NS6detail15normal_iteratorINS9_10device_ptrIsEEEESE_SE_iNS9_4plusIvEENS9_8equal_toIvEEiEE10hipError_tPvRmT2_T3_T4_T5_mT6_T7_P12ihipStream_tbENKUlT_T0_E_clISt17integral_constantIbLb0EESY_IbLb1EEEEDaSU_SV_EUlSU_E_NS1_11comp_targetILNS1_3genE0ELNS1_11target_archE4294967295ELNS1_3gpuE0ELNS1_3repE0EEENS1_30default_config_static_selectorELNS0_4arch9wavefront6targetE0EEEvT1_.num_vgpr, 80
	.set _ZN7rocprim17ROCPRIM_400000_NS6detail17trampoline_kernelINS0_14default_configENS1_27scan_by_key_config_selectorIsiEEZZNS1_16scan_by_key_implILNS1_25lookback_scan_determinismE0ELb1ES3_N6thrust23THRUST_200600_302600_NS6detail15normal_iteratorINS9_10device_ptrIsEEEESE_SE_iNS9_4plusIvEENS9_8equal_toIvEEiEE10hipError_tPvRmT2_T3_T4_T5_mT6_T7_P12ihipStream_tbENKUlT_T0_E_clISt17integral_constantIbLb0EESY_IbLb1EEEEDaSU_SV_EUlSU_E_NS1_11comp_targetILNS1_3genE0ELNS1_11target_archE4294967295ELNS1_3gpuE0ELNS1_3repE0EEENS1_30default_config_static_selectorELNS0_4arch9wavefront6targetE0EEEvT1_.num_agpr, 0
	.set _ZN7rocprim17ROCPRIM_400000_NS6detail17trampoline_kernelINS0_14default_configENS1_27scan_by_key_config_selectorIsiEEZZNS1_16scan_by_key_implILNS1_25lookback_scan_determinismE0ELb1ES3_N6thrust23THRUST_200600_302600_NS6detail15normal_iteratorINS9_10device_ptrIsEEEESE_SE_iNS9_4plusIvEENS9_8equal_toIvEEiEE10hipError_tPvRmT2_T3_T4_T5_mT6_T7_P12ihipStream_tbENKUlT_T0_E_clISt17integral_constantIbLb0EESY_IbLb1EEEEDaSU_SV_EUlSU_E_NS1_11comp_targetILNS1_3genE0ELNS1_11target_archE4294967295ELNS1_3gpuE0ELNS1_3repE0EEENS1_30default_config_static_selectorELNS0_4arch9wavefront6targetE0EEEvT1_.numbered_sgpr, 44
	.set _ZN7rocprim17ROCPRIM_400000_NS6detail17trampoline_kernelINS0_14default_configENS1_27scan_by_key_config_selectorIsiEEZZNS1_16scan_by_key_implILNS1_25lookback_scan_determinismE0ELb1ES3_N6thrust23THRUST_200600_302600_NS6detail15normal_iteratorINS9_10device_ptrIsEEEESE_SE_iNS9_4plusIvEENS9_8equal_toIvEEiEE10hipError_tPvRmT2_T3_T4_T5_mT6_T7_P12ihipStream_tbENKUlT_T0_E_clISt17integral_constantIbLb0EESY_IbLb1EEEEDaSU_SV_EUlSU_E_NS1_11comp_targetILNS1_3genE0ELNS1_11target_archE4294967295ELNS1_3gpuE0ELNS1_3repE0EEENS1_30default_config_static_selectorELNS0_4arch9wavefront6targetE0EEEvT1_.num_named_barrier, 0
	.set _ZN7rocprim17ROCPRIM_400000_NS6detail17trampoline_kernelINS0_14default_configENS1_27scan_by_key_config_selectorIsiEEZZNS1_16scan_by_key_implILNS1_25lookback_scan_determinismE0ELb1ES3_N6thrust23THRUST_200600_302600_NS6detail15normal_iteratorINS9_10device_ptrIsEEEESE_SE_iNS9_4plusIvEENS9_8equal_toIvEEiEE10hipError_tPvRmT2_T3_T4_T5_mT6_T7_P12ihipStream_tbENKUlT_T0_E_clISt17integral_constantIbLb0EESY_IbLb1EEEEDaSU_SV_EUlSU_E_NS1_11comp_targetILNS1_3genE0ELNS1_11target_archE4294967295ELNS1_3gpuE0ELNS1_3repE0EEENS1_30default_config_static_selectorELNS0_4arch9wavefront6targetE0EEEvT1_.private_seg_size, 0
	.set _ZN7rocprim17ROCPRIM_400000_NS6detail17trampoline_kernelINS0_14default_configENS1_27scan_by_key_config_selectorIsiEEZZNS1_16scan_by_key_implILNS1_25lookback_scan_determinismE0ELb1ES3_N6thrust23THRUST_200600_302600_NS6detail15normal_iteratorINS9_10device_ptrIsEEEESE_SE_iNS9_4plusIvEENS9_8equal_toIvEEiEE10hipError_tPvRmT2_T3_T4_T5_mT6_T7_P12ihipStream_tbENKUlT_T0_E_clISt17integral_constantIbLb0EESY_IbLb1EEEEDaSU_SV_EUlSU_E_NS1_11comp_targetILNS1_3genE0ELNS1_11target_archE4294967295ELNS1_3gpuE0ELNS1_3repE0EEENS1_30default_config_static_selectorELNS0_4arch9wavefront6targetE0EEEvT1_.uses_vcc, 1
	.set _ZN7rocprim17ROCPRIM_400000_NS6detail17trampoline_kernelINS0_14default_configENS1_27scan_by_key_config_selectorIsiEEZZNS1_16scan_by_key_implILNS1_25lookback_scan_determinismE0ELb1ES3_N6thrust23THRUST_200600_302600_NS6detail15normal_iteratorINS9_10device_ptrIsEEEESE_SE_iNS9_4plusIvEENS9_8equal_toIvEEiEE10hipError_tPvRmT2_T3_T4_T5_mT6_T7_P12ihipStream_tbENKUlT_T0_E_clISt17integral_constantIbLb0EESY_IbLb1EEEEDaSU_SV_EUlSU_E_NS1_11comp_targetILNS1_3genE0ELNS1_11target_archE4294967295ELNS1_3gpuE0ELNS1_3repE0EEENS1_30default_config_static_selectorELNS0_4arch9wavefront6targetE0EEEvT1_.uses_flat_scratch, 1
	.set _ZN7rocprim17ROCPRIM_400000_NS6detail17trampoline_kernelINS0_14default_configENS1_27scan_by_key_config_selectorIsiEEZZNS1_16scan_by_key_implILNS1_25lookback_scan_determinismE0ELb1ES3_N6thrust23THRUST_200600_302600_NS6detail15normal_iteratorINS9_10device_ptrIsEEEESE_SE_iNS9_4plusIvEENS9_8equal_toIvEEiEE10hipError_tPvRmT2_T3_T4_T5_mT6_T7_P12ihipStream_tbENKUlT_T0_E_clISt17integral_constantIbLb0EESY_IbLb1EEEEDaSU_SV_EUlSU_E_NS1_11comp_targetILNS1_3genE0ELNS1_11target_archE4294967295ELNS1_3gpuE0ELNS1_3repE0EEENS1_30default_config_static_selectorELNS0_4arch9wavefront6targetE0EEEvT1_.has_dyn_sized_stack, 0
	.set _ZN7rocprim17ROCPRIM_400000_NS6detail17trampoline_kernelINS0_14default_configENS1_27scan_by_key_config_selectorIsiEEZZNS1_16scan_by_key_implILNS1_25lookback_scan_determinismE0ELb1ES3_N6thrust23THRUST_200600_302600_NS6detail15normal_iteratorINS9_10device_ptrIsEEEESE_SE_iNS9_4plusIvEENS9_8equal_toIvEEiEE10hipError_tPvRmT2_T3_T4_T5_mT6_T7_P12ihipStream_tbENKUlT_T0_E_clISt17integral_constantIbLb0EESY_IbLb1EEEEDaSU_SV_EUlSU_E_NS1_11comp_targetILNS1_3genE0ELNS1_11target_archE4294967295ELNS1_3gpuE0ELNS1_3repE0EEENS1_30default_config_static_selectorELNS0_4arch9wavefront6targetE0EEEvT1_.has_recursion, 0
	.set _ZN7rocprim17ROCPRIM_400000_NS6detail17trampoline_kernelINS0_14default_configENS1_27scan_by_key_config_selectorIsiEEZZNS1_16scan_by_key_implILNS1_25lookback_scan_determinismE0ELb1ES3_N6thrust23THRUST_200600_302600_NS6detail15normal_iteratorINS9_10device_ptrIsEEEESE_SE_iNS9_4plusIvEENS9_8equal_toIvEEiEE10hipError_tPvRmT2_T3_T4_T5_mT6_T7_P12ihipStream_tbENKUlT_T0_E_clISt17integral_constantIbLb0EESY_IbLb1EEEEDaSU_SV_EUlSU_E_NS1_11comp_targetILNS1_3genE0ELNS1_11target_archE4294967295ELNS1_3gpuE0ELNS1_3repE0EEENS1_30default_config_static_selectorELNS0_4arch9wavefront6targetE0EEEvT1_.has_indirect_call, 0
	.section	.AMDGPU.csdata,"",@progbits
; Kernel info:
; codeLenInByte = 14568
; TotalNumSgprs: 46
; NumVgprs: 80
; ScratchSize: 0
; MemoryBound: 0
; FloatMode: 240
; IeeeMode: 1
; LDSByteSize: 18432 bytes/workgroup (compile time only)
; SGPRBlocks: 0
; VGPRBlocks: 4
; NumSGPRsForWavesPerEU: 46
; NumVGPRsForWavesPerEU: 80
; NamedBarCnt: 0
; Occupancy: 12
; WaveLimiterHint : 1
; COMPUTE_PGM_RSRC2:SCRATCH_EN: 0
; COMPUTE_PGM_RSRC2:USER_SGPR: 2
; COMPUTE_PGM_RSRC2:TRAP_HANDLER: 0
; COMPUTE_PGM_RSRC2:TGID_X_EN: 1
; COMPUTE_PGM_RSRC2:TGID_Y_EN: 0
; COMPUTE_PGM_RSRC2:TGID_Z_EN: 0
; COMPUTE_PGM_RSRC2:TIDIG_COMP_CNT: 0
	.section	.text._ZN7rocprim17ROCPRIM_400000_NS6detail17trampoline_kernelINS0_14default_configENS1_27scan_by_key_config_selectorIsiEEZZNS1_16scan_by_key_implILNS1_25lookback_scan_determinismE0ELb1ES3_N6thrust23THRUST_200600_302600_NS6detail15normal_iteratorINS9_10device_ptrIsEEEESE_SE_iNS9_4plusIvEENS9_8equal_toIvEEiEE10hipError_tPvRmT2_T3_T4_T5_mT6_T7_P12ihipStream_tbENKUlT_T0_E_clISt17integral_constantIbLb0EESY_IbLb1EEEEDaSU_SV_EUlSU_E_NS1_11comp_targetILNS1_3genE10ELNS1_11target_archE1201ELNS1_3gpuE5ELNS1_3repE0EEENS1_30default_config_static_selectorELNS0_4arch9wavefront6targetE0EEEvT1_,"axG",@progbits,_ZN7rocprim17ROCPRIM_400000_NS6detail17trampoline_kernelINS0_14default_configENS1_27scan_by_key_config_selectorIsiEEZZNS1_16scan_by_key_implILNS1_25lookback_scan_determinismE0ELb1ES3_N6thrust23THRUST_200600_302600_NS6detail15normal_iteratorINS9_10device_ptrIsEEEESE_SE_iNS9_4plusIvEENS9_8equal_toIvEEiEE10hipError_tPvRmT2_T3_T4_T5_mT6_T7_P12ihipStream_tbENKUlT_T0_E_clISt17integral_constantIbLb0EESY_IbLb1EEEEDaSU_SV_EUlSU_E_NS1_11comp_targetILNS1_3genE10ELNS1_11target_archE1201ELNS1_3gpuE5ELNS1_3repE0EEENS1_30default_config_static_selectorELNS0_4arch9wavefront6targetE0EEEvT1_,comdat
	.protected	_ZN7rocprim17ROCPRIM_400000_NS6detail17trampoline_kernelINS0_14default_configENS1_27scan_by_key_config_selectorIsiEEZZNS1_16scan_by_key_implILNS1_25lookback_scan_determinismE0ELb1ES3_N6thrust23THRUST_200600_302600_NS6detail15normal_iteratorINS9_10device_ptrIsEEEESE_SE_iNS9_4plusIvEENS9_8equal_toIvEEiEE10hipError_tPvRmT2_T3_T4_T5_mT6_T7_P12ihipStream_tbENKUlT_T0_E_clISt17integral_constantIbLb0EESY_IbLb1EEEEDaSU_SV_EUlSU_E_NS1_11comp_targetILNS1_3genE10ELNS1_11target_archE1201ELNS1_3gpuE5ELNS1_3repE0EEENS1_30default_config_static_selectorELNS0_4arch9wavefront6targetE0EEEvT1_ ; -- Begin function _ZN7rocprim17ROCPRIM_400000_NS6detail17trampoline_kernelINS0_14default_configENS1_27scan_by_key_config_selectorIsiEEZZNS1_16scan_by_key_implILNS1_25lookback_scan_determinismE0ELb1ES3_N6thrust23THRUST_200600_302600_NS6detail15normal_iteratorINS9_10device_ptrIsEEEESE_SE_iNS9_4plusIvEENS9_8equal_toIvEEiEE10hipError_tPvRmT2_T3_T4_T5_mT6_T7_P12ihipStream_tbENKUlT_T0_E_clISt17integral_constantIbLb0EESY_IbLb1EEEEDaSU_SV_EUlSU_E_NS1_11comp_targetILNS1_3genE10ELNS1_11target_archE1201ELNS1_3gpuE5ELNS1_3repE0EEENS1_30default_config_static_selectorELNS0_4arch9wavefront6targetE0EEEvT1_
	.globl	_ZN7rocprim17ROCPRIM_400000_NS6detail17trampoline_kernelINS0_14default_configENS1_27scan_by_key_config_selectorIsiEEZZNS1_16scan_by_key_implILNS1_25lookback_scan_determinismE0ELb1ES3_N6thrust23THRUST_200600_302600_NS6detail15normal_iteratorINS9_10device_ptrIsEEEESE_SE_iNS9_4plusIvEENS9_8equal_toIvEEiEE10hipError_tPvRmT2_T3_T4_T5_mT6_T7_P12ihipStream_tbENKUlT_T0_E_clISt17integral_constantIbLb0EESY_IbLb1EEEEDaSU_SV_EUlSU_E_NS1_11comp_targetILNS1_3genE10ELNS1_11target_archE1201ELNS1_3gpuE5ELNS1_3repE0EEENS1_30default_config_static_selectorELNS0_4arch9wavefront6targetE0EEEvT1_
	.p2align	8
	.type	_ZN7rocprim17ROCPRIM_400000_NS6detail17trampoline_kernelINS0_14default_configENS1_27scan_by_key_config_selectorIsiEEZZNS1_16scan_by_key_implILNS1_25lookback_scan_determinismE0ELb1ES3_N6thrust23THRUST_200600_302600_NS6detail15normal_iteratorINS9_10device_ptrIsEEEESE_SE_iNS9_4plusIvEENS9_8equal_toIvEEiEE10hipError_tPvRmT2_T3_T4_T5_mT6_T7_P12ihipStream_tbENKUlT_T0_E_clISt17integral_constantIbLb0EESY_IbLb1EEEEDaSU_SV_EUlSU_E_NS1_11comp_targetILNS1_3genE10ELNS1_11target_archE1201ELNS1_3gpuE5ELNS1_3repE0EEENS1_30default_config_static_selectorELNS0_4arch9wavefront6targetE0EEEvT1_,@function
_ZN7rocprim17ROCPRIM_400000_NS6detail17trampoline_kernelINS0_14default_configENS1_27scan_by_key_config_selectorIsiEEZZNS1_16scan_by_key_implILNS1_25lookback_scan_determinismE0ELb1ES3_N6thrust23THRUST_200600_302600_NS6detail15normal_iteratorINS9_10device_ptrIsEEEESE_SE_iNS9_4plusIvEENS9_8equal_toIvEEiEE10hipError_tPvRmT2_T3_T4_T5_mT6_T7_P12ihipStream_tbENKUlT_T0_E_clISt17integral_constantIbLb0EESY_IbLb1EEEEDaSU_SV_EUlSU_E_NS1_11comp_targetILNS1_3genE10ELNS1_11target_archE1201ELNS1_3gpuE5ELNS1_3repE0EEENS1_30default_config_static_selectorELNS0_4arch9wavefront6targetE0EEEvT1_: ; @_ZN7rocprim17ROCPRIM_400000_NS6detail17trampoline_kernelINS0_14default_configENS1_27scan_by_key_config_selectorIsiEEZZNS1_16scan_by_key_implILNS1_25lookback_scan_determinismE0ELb1ES3_N6thrust23THRUST_200600_302600_NS6detail15normal_iteratorINS9_10device_ptrIsEEEESE_SE_iNS9_4plusIvEENS9_8equal_toIvEEiEE10hipError_tPvRmT2_T3_T4_T5_mT6_T7_P12ihipStream_tbENKUlT_T0_E_clISt17integral_constantIbLb0EESY_IbLb1EEEEDaSU_SV_EUlSU_E_NS1_11comp_targetILNS1_3genE10ELNS1_11target_archE1201ELNS1_3gpuE5ELNS1_3repE0EEENS1_30default_config_static_selectorELNS0_4arch9wavefront6targetE0EEEvT1_
; %bb.0:
	.section	.rodata,"a",@progbits
	.p2align	6, 0x0
	.amdhsa_kernel _ZN7rocprim17ROCPRIM_400000_NS6detail17trampoline_kernelINS0_14default_configENS1_27scan_by_key_config_selectorIsiEEZZNS1_16scan_by_key_implILNS1_25lookback_scan_determinismE0ELb1ES3_N6thrust23THRUST_200600_302600_NS6detail15normal_iteratorINS9_10device_ptrIsEEEESE_SE_iNS9_4plusIvEENS9_8equal_toIvEEiEE10hipError_tPvRmT2_T3_T4_T5_mT6_T7_P12ihipStream_tbENKUlT_T0_E_clISt17integral_constantIbLb0EESY_IbLb1EEEEDaSU_SV_EUlSU_E_NS1_11comp_targetILNS1_3genE10ELNS1_11target_archE1201ELNS1_3gpuE5ELNS1_3repE0EEENS1_30default_config_static_selectorELNS0_4arch9wavefront6targetE0EEEvT1_
		.amdhsa_group_segment_fixed_size 0
		.amdhsa_private_segment_fixed_size 0
		.amdhsa_kernarg_size 112
		.amdhsa_user_sgpr_count 2
		.amdhsa_user_sgpr_dispatch_ptr 0
		.amdhsa_user_sgpr_queue_ptr 0
		.amdhsa_user_sgpr_kernarg_segment_ptr 1
		.amdhsa_user_sgpr_dispatch_id 0
		.amdhsa_user_sgpr_kernarg_preload_length 0
		.amdhsa_user_sgpr_kernarg_preload_offset 0
		.amdhsa_user_sgpr_private_segment_size 0
		.amdhsa_wavefront_size32 1
		.amdhsa_uses_dynamic_stack 0
		.amdhsa_enable_private_segment 0
		.amdhsa_system_sgpr_workgroup_id_x 1
		.amdhsa_system_sgpr_workgroup_id_y 0
		.amdhsa_system_sgpr_workgroup_id_z 0
		.amdhsa_system_sgpr_workgroup_info 0
		.amdhsa_system_vgpr_workitem_id 0
		.amdhsa_next_free_vgpr 1
		.amdhsa_next_free_sgpr 1
		.amdhsa_named_barrier_count 0
		.amdhsa_reserve_vcc 0
		.amdhsa_float_round_mode_32 0
		.amdhsa_float_round_mode_16_64 0
		.amdhsa_float_denorm_mode_32 3
		.amdhsa_float_denorm_mode_16_64 3
		.amdhsa_fp16_overflow 0
		.amdhsa_memory_ordered 1
		.amdhsa_forward_progress 1
		.amdhsa_inst_pref_size 0
		.amdhsa_round_robin_scheduling 0
		.amdhsa_exception_fp_ieee_invalid_op 0
		.amdhsa_exception_fp_denorm_src 0
		.amdhsa_exception_fp_ieee_div_zero 0
		.amdhsa_exception_fp_ieee_overflow 0
		.amdhsa_exception_fp_ieee_underflow 0
		.amdhsa_exception_fp_ieee_inexact 0
		.amdhsa_exception_int_div_zero 0
	.end_amdhsa_kernel
	.section	.text._ZN7rocprim17ROCPRIM_400000_NS6detail17trampoline_kernelINS0_14default_configENS1_27scan_by_key_config_selectorIsiEEZZNS1_16scan_by_key_implILNS1_25lookback_scan_determinismE0ELb1ES3_N6thrust23THRUST_200600_302600_NS6detail15normal_iteratorINS9_10device_ptrIsEEEESE_SE_iNS9_4plusIvEENS9_8equal_toIvEEiEE10hipError_tPvRmT2_T3_T4_T5_mT6_T7_P12ihipStream_tbENKUlT_T0_E_clISt17integral_constantIbLb0EESY_IbLb1EEEEDaSU_SV_EUlSU_E_NS1_11comp_targetILNS1_3genE10ELNS1_11target_archE1201ELNS1_3gpuE5ELNS1_3repE0EEENS1_30default_config_static_selectorELNS0_4arch9wavefront6targetE0EEEvT1_,"axG",@progbits,_ZN7rocprim17ROCPRIM_400000_NS6detail17trampoline_kernelINS0_14default_configENS1_27scan_by_key_config_selectorIsiEEZZNS1_16scan_by_key_implILNS1_25lookback_scan_determinismE0ELb1ES3_N6thrust23THRUST_200600_302600_NS6detail15normal_iteratorINS9_10device_ptrIsEEEESE_SE_iNS9_4plusIvEENS9_8equal_toIvEEiEE10hipError_tPvRmT2_T3_T4_T5_mT6_T7_P12ihipStream_tbENKUlT_T0_E_clISt17integral_constantIbLb0EESY_IbLb1EEEEDaSU_SV_EUlSU_E_NS1_11comp_targetILNS1_3genE10ELNS1_11target_archE1201ELNS1_3gpuE5ELNS1_3repE0EEENS1_30default_config_static_selectorELNS0_4arch9wavefront6targetE0EEEvT1_,comdat
.Lfunc_end1073:
	.size	_ZN7rocprim17ROCPRIM_400000_NS6detail17trampoline_kernelINS0_14default_configENS1_27scan_by_key_config_selectorIsiEEZZNS1_16scan_by_key_implILNS1_25lookback_scan_determinismE0ELb1ES3_N6thrust23THRUST_200600_302600_NS6detail15normal_iteratorINS9_10device_ptrIsEEEESE_SE_iNS9_4plusIvEENS9_8equal_toIvEEiEE10hipError_tPvRmT2_T3_T4_T5_mT6_T7_P12ihipStream_tbENKUlT_T0_E_clISt17integral_constantIbLb0EESY_IbLb1EEEEDaSU_SV_EUlSU_E_NS1_11comp_targetILNS1_3genE10ELNS1_11target_archE1201ELNS1_3gpuE5ELNS1_3repE0EEENS1_30default_config_static_selectorELNS0_4arch9wavefront6targetE0EEEvT1_, .Lfunc_end1073-_ZN7rocprim17ROCPRIM_400000_NS6detail17trampoline_kernelINS0_14default_configENS1_27scan_by_key_config_selectorIsiEEZZNS1_16scan_by_key_implILNS1_25lookback_scan_determinismE0ELb1ES3_N6thrust23THRUST_200600_302600_NS6detail15normal_iteratorINS9_10device_ptrIsEEEESE_SE_iNS9_4plusIvEENS9_8equal_toIvEEiEE10hipError_tPvRmT2_T3_T4_T5_mT6_T7_P12ihipStream_tbENKUlT_T0_E_clISt17integral_constantIbLb0EESY_IbLb1EEEEDaSU_SV_EUlSU_E_NS1_11comp_targetILNS1_3genE10ELNS1_11target_archE1201ELNS1_3gpuE5ELNS1_3repE0EEENS1_30default_config_static_selectorELNS0_4arch9wavefront6targetE0EEEvT1_
                                        ; -- End function
	.set _ZN7rocprim17ROCPRIM_400000_NS6detail17trampoline_kernelINS0_14default_configENS1_27scan_by_key_config_selectorIsiEEZZNS1_16scan_by_key_implILNS1_25lookback_scan_determinismE0ELb1ES3_N6thrust23THRUST_200600_302600_NS6detail15normal_iteratorINS9_10device_ptrIsEEEESE_SE_iNS9_4plusIvEENS9_8equal_toIvEEiEE10hipError_tPvRmT2_T3_T4_T5_mT6_T7_P12ihipStream_tbENKUlT_T0_E_clISt17integral_constantIbLb0EESY_IbLb1EEEEDaSU_SV_EUlSU_E_NS1_11comp_targetILNS1_3genE10ELNS1_11target_archE1201ELNS1_3gpuE5ELNS1_3repE0EEENS1_30default_config_static_selectorELNS0_4arch9wavefront6targetE0EEEvT1_.num_vgpr, 0
	.set _ZN7rocprim17ROCPRIM_400000_NS6detail17trampoline_kernelINS0_14default_configENS1_27scan_by_key_config_selectorIsiEEZZNS1_16scan_by_key_implILNS1_25lookback_scan_determinismE0ELb1ES3_N6thrust23THRUST_200600_302600_NS6detail15normal_iteratorINS9_10device_ptrIsEEEESE_SE_iNS9_4plusIvEENS9_8equal_toIvEEiEE10hipError_tPvRmT2_T3_T4_T5_mT6_T7_P12ihipStream_tbENKUlT_T0_E_clISt17integral_constantIbLb0EESY_IbLb1EEEEDaSU_SV_EUlSU_E_NS1_11comp_targetILNS1_3genE10ELNS1_11target_archE1201ELNS1_3gpuE5ELNS1_3repE0EEENS1_30default_config_static_selectorELNS0_4arch9wavefront6targetE0EEEvT1_.num_agpr, 0
	.set _ZN7rocprim17ROCPRIM_400000_NS6detail17trampoline_kernelINS0_14default_configENS1_27scan_by_key_config_selectorIsiEEZZNS1_16scan_by_key_implILNS1_25lookback_scan_determinismE0ELb1ES3_N6thrust23THRUST_200600_302600_NS6detail15normal_iteratorINS9_10device_ptrIsEEEESE_SE_iNS9_4plusIvEENS9_8equal_toIvEEiEE10hipError_tPvRmT2_T3_T4_T5_mT6_T7_P12ihipStream_tbENKUlT_T0_E_clISt17integral_constantIbLb0EESY_IbLb1EEEEDaSU_SV_EUlSU_E_NS1_11comp_targetILNS1_3genE10ELNS1_11target_archE1201ELNS1_3gpuE5ELNS1_3repE0EEENS1_30default_config_static_selectorELNS0_4arch9wavefront6targetE0EEEvT1_.numbered_sgpr, 0
	.set _ZN7rocprim17ROCPRIM_400000_NS6detail17trampoline_kernelINS0_14default_configENS1_27scan_by_key_config_selectorIsiEEZZNS1_16scan_by_key_implILNS1_25lookback_scan_determinismE0ELb1ES3_N6thrust23THRUST_200600_302600_NS6detail15normal_iteratorINS9_10device_ptrIsEEEESE_SE_iNS9_4plusIvEENS9_8equal_toIvEEiEE10hipError_tPvRmT2_T3_T4_T5_mT6_T7_P12ihipStream_tbENKUlT_T0_E_clISt17integral_constantIbLb0EESY_IbLb1EEEEDaSU_SV_EUlSU_E_NS1_11comp_targetILNS1_3genE10ELNS1_11target_archE1201ELNS1_3gpuE5ELNS1_3repE0EEENS1_30default_config_static_selectorELNS0_4arch9wavefront6targetE0EEEvT1_.num_named_barrier, 0
	.set _ZN7rocprim17ROCPRIM_400000_NS6detail17trampoline_kernelINS0_14default_configENS1_27scan_by_key_config_selectorIsiEEZZNS1_16scan_by_key_implILNS1_25lookback_scan_determinismE0ELb1ES3_N6thrust23THRUST_200600_302600_NS6detail15normal_iteratorINS9_10device_ptrIsEEEESE_SE_iNS9_4plusIvEENS9_8equal_toIvEEiEE10hipError_tPvRmT2_T3_T4_T5_mT6_T7_P12ihipStream_tbENKUlT_T0_E_clISt17integral_constantIbLb0EESY_IbLb1EEEEDaSU_SV_EUlSU_E_NS1_11comp_targetILNS1_3genE10ELNS1_11target_archE1201ELNS1_3gpuE5ELNS1_3repE0EEENS1_30default_config_static_selectorELNS0_4arch9wavefront6targetE0EEEvT1_.private_seg_size, 0
	.set _ZN7rocprim17ROCPRIM_400000_NS6detail17trampoline_kernelINS0_14default_configENS1_27scan_by_key_config_selectorIsiEEZZNS1_16scan_by_key_implILNS1_25lookback_scan_determinismE0ELb1ES3_N6thrust23THRUST_200600_302600_NS6detail15normal_iteratorINS9_10device_ptrIsEEEESE_SE_iNS9_4plusIvEENS9_8equal_toIvEEiEE10hipError_tPvRmT2_T3_T4_T5_mT6_T7_P12ihipStream_tbENKUlT_T0_E_clISt17integral_constantIbLb0EESY_IbLb1EEEEDaSU_SV_EUlSU_E_NS1_11comp_targetILNS1_3genE10ELNS1_11target_archE1201ELNS1_3gpuE5ELNS1_3repE0EEENS1_30default_config_static_selectorELNS0_4arch9wavefront6targetE0EEEvT1_.uses_vcc, 0
	.set _ZN7rocprim17ROCPRIM_400000_NS6detail17trampoline_kernelINS0_14default_configENS1_27scan_by_key_config_selectorIsiEEZZNS1_16scan_by_key_implILNS1_25lookback_scan_determinismE0ELb1ES3_N6thrust23THRUST_200600_302600_NS6detail15normal_iteratorINS9_10device_ptrIsEEEESE_SE_iNS9_4plusIvEENS9_8equal_toIvEEiEE10hipError_tPvRmT2_T3_T4_T5_mT6_T7_P12ihipStream_tbENKUlT_T0_E_clISt17integral_constantIbLb0EESY_IbLb1EEEEDaSU_SV_EUlSU_E_NS1_11comp_targetILNS1_3genE10ELNS1_11target_archE1201ELNS1_3gpuE5ELNS1_3repE0EEENS1_30default_config_static_selectorELNS0_4arch9wavefront6targetE0EEEvT1_.uses_flat_scratch, 0
	.set _ZN7rocprim17ROCPRIM_400000_NS6detail17trampoline_kernelINS0_14default_configENS1_27scan_by_key_config_selectorIsiEEZZNS1_16scan_by_key_implILNS1_25lookback_scan_determinismE0ELb1ES3_N6thrust23THRUST_200600_302600_NS6detail15normal_iteratorINS9_10device_ptrIsEEEESE_SE_iNS9_4plusIvEENS9_8equal_toIvEEiEE10hipError_tPvRmT2_T3_T4_T5_mT6_T7_P12ihipStream_tbENKUlT_T0_E_clISt17integral_constantIbLb0EESY_IbLb1EEEEDaSU_SV_EUlSU_E_NS1_11comp_targetILNS1_3genE10ELNS1_11target_archE1201ELNS1_3gpuE5ELNS1_3repE0EEENS1_30default_config_static_selectorELNS0_4arch9wavefront6targetE0EEEvT1_.has_dyn_sized_stack, 0
	.set _ZN7rocprim17ROCPRIM_400000_NS6detail17trampoline_kernelINS0_14default_configENS1_27scan_by_key_config_selectorIsiEEZZNS1_16scan_by_key_implILNS1_25lookback_scan_determinismE0ELb1ES3_N6thrust23THRUST_200600_302600_NS6detail15normal_iteratorINS9_10device_ptrIsEEEESE_SE_iNS9_4plusIvEENS9_8equal_toIvEEiEE10hipError_tPvRmT2_T3_T4_T5_mT6_T7_P12ihipStream_tbENKUlT_T0_E_clISt17integral_constantIbLb0EESY_IbLb1EEEEDaSU_SV_EUlSU_E_NS1_11comp_targetILNS1_3genE10ELNS1_11target_archE1201ELNS1_3gpuE5ELNS1_3repE0EEENS1_30default_config_static_selectorELNS0_4arch9wavefront6targetE0EEEvT1_.has_recursion, 0
	.set _ZN7rocprim17ROCPRIM_400000_NS6detail17trampoline_kernelINS0_14default_configENS1_27scan_by_key_config_selectorIsiEEZZNS1_16scan_by_key_implILNS1_25lookback_scan_determinismE0ELb1ES3_N6thrust23THRUST_200600_302600_NS6detail15normal_iteratorINS9_10device_ptrIsEEEESE_SE_iNS9_4plusIvEENS9_8equal_toIvEEiEE10hipError_tPvRmT2_T3_T4_T5_mT6_T7_P12ihipStream_tbENKUlT_T0_E_clISt17integral_constantIbLb0EESY_IbLb1EEEEDaSU_SV_EUlSU_E_NS1_11comp_targetILNS1_3genE10ELNS1_11target_archE1201ELNS1_3gpuE5ELNS1_3repE0EEENS1_30default_config_static_selectorELNS0_4arch9wavefront6targetE0EEEvT1_.has_indirect_call, 0
	.section	.AMDGPU.csdata,"",@progbits
; Kernel info:
; codeLenInByte = 0
; TotalNumSgprs: 0
; NumVgprs: 0
; ScratchSize: 0
; MemoryBound: 0
; FloatMode: 240
; IeeeMode: 1
; LDSByteSize: 0 bytes/workgroup (compile time only)
; SGPRBlocks: 0
; VGPRBlocks: 0
; NumSGPRsForWavesPerEU: 1
; NumVGPRsForWavesPerEU: 1
; NamedBarCnt: 0
; Occupancy: 16
; WaveLimiterHint : 0
; COMPUTE_PGM_RSRC2:SCRATCH_EN: 0
; COMPUTE_PGM_RSRC2:USER_SGPR: 2
; COMPUTE_PGM_RSRC2:TRAP_HANDLER: 0
; COMPUTE_PGM_RSRC2:TGID_X_EN: 1
; COMPUTE_PGM_RSRC2:TGID_Y_EN: 0
; COMPUTE_PGM_RSRC2:TGID_Z_EN: 0
; COMPUTE_PGM_RSRC2:TIDIG_COMP_CNT: 0
	.section	.text._ZN7rocprim17ROCPRIM_400000_NS6detail17trampoline_kernelINS0_14default_configENS1_27scan_by_key_config_selectorIsiEEZZNS1_16scan_by_key_implILNS1_25lookback_scan_determinismE0ELb1ES3_N6thrust23THRUST_200600_302600_NS6detail15normal_iteratorINS9_10device_ptrIsEEEESE_SE_iNS9_4plusIvEENS9_8equal_toIvEEiEE10hipError_tPvRmT2_T3_T4_T5_mT6_T7_P12ihipStream_tbENKUlT_T0_E_clISt17integral_constantIbLb0EESY_IbLb1EEEEDaSU_SV_EUlSU_E_NS1_11comp_targetILNS1_3genE5ELNS1_11target_archE942ELNS1_3gpuE9ELNS1_3repE0EEENS1_30default_config_static_selectorELNS0_4arch9wavefront6targetE0EEEvT1_,"axG",@progbits,_ZN7rocprim17ROCPRIM_400000_NS6detail17trampoline_kernelINS0_14default_configENS1_27scan_by_key_config_selectorIsiEEZZNS1_16scan_by_key_implILNS1_25lookback_scan_determinismE0ELb1ES3_N6thrust23THRUST_200600_302600_NS6detail15normal_iteratorINS9_10device_ptrIsEEEESE_SE_iNS9_4plusIvEENS9_8equal_toIvEEiEE10hipError_tPvRmT2_T3_T4_T5_mT6_T7_P12ihipStream_tbENKUlT_T0_E_clISt17integral_constantIbLb0EESY_IbLb1EEEEDaSU_SV_EUlSU_E_NS1_11comp_targetILNS1_3genE5ELNS1_11target_archE942ELNS1_3gpuE9ELNS1_3repE0EEENS1_30default_config_static_selectorELNS0_4arch9wavefront6targetE0EEEvT1_,comdat
	.protected	_ZN7rocprim17ROCPRIM_400000_NS6detail17trampoline_kernelINS0_14default_configENS1_27scan_by_key_config_selectorIsiEEZZNS1_16scan_by_key_implILNS1_25lookback_scan_determinismE0ELb1ES3_N6thrust23THRUST_200600_302600_NS6detail15normal_iteratorINS9_10device_ptrIsEEEESE_SE_iNS9_4plusIvEENS9_8equal_toIvEEiEE10hipError_tPvRmT2_T3_T4_T5_mT6_T7_P12ihipStream_tbENKUlT_T0_E_clISt17integral_constantIbLb0EESY_IbLb1EEEEDaSU_SV_EUlSU_E_NS1_11comp_targetILNS1_3genE5ELNS1_11target_archE942ELNS1_3gpuE9ELNS1_3repE0EEENS1_30default_config_static_selectorELNS0_4arch9wavefront6targetE0EEEvT1_ ; -- Begin function _ZN7rocprim17ROCPRIM_400000_NS6detail17trampoline_kernelINS0_14default_configENS1_27scan_by_key_config_selectorIsiEEZZNS1_16scan_by_key_implILNS1_25lookback_scan_determinismE0ELb1ES3_N6thrust23THRUST_200600_302600_NS6detail15normal_iteratorINS9_10device_ptrIsEEEESE_SE_iNS9_4plusIvEENS9_8equal_toIvEEiEE10hipError_tPvRmT2_T3_T4_T5_mT6_T7_P12ihipStream_tbENKUlT_T0_E_clISt17integral_constantIbLb0EESY_IbLb1EEEEDaSU_SV_EUlSU_E_NS1_11comp_targetILNS1_3genE5ELNS1_11target_archE942ELNS1_3gpuE9ELNS1_3repE0EEENS1_30default_config_static_selectorELNS0_4arch9wavefront6targetE0EEEvT1_
	.globl	_ZN7rocprim17ROCPRIM_400000_NS6detail17trampoline_kernelINS0_14default_configENS1_27scan_by_key_config_selectorIsiEEZZNS1_16scan_by_key_implILNS1_25lookback_scan_determinismE0ELb1ES3_N6thrust23THRUST_200600_302600_NS6detail15normal_iteratorINS9_10device_ptrIsEEEESE_SE_iNS9_4plusIvEENS9_8equal_toIvEEiEE10hipError_tPvRmT2_T3_T4_T5_mT6_T7_P12ihipStream_tbENKUlT_T0_E_clISt17integral_constantIbLb0EESY_IbLb1EEEEDaSU_SV_EUlSU_E_NS1_11comp_targetILNS1_3genE5ELNS1_11target_archE942ELNS1_3gpuE9ELNS1_3repE0EEENS1_30default_config_static_selectorELNS0_4arch9wavefront6targetE0EEEvT1_
	.p2align	8
	.type	_ZN7rocprim17ROCPRIM_400000_NS6detail17trampoline_kernelINS0_14default_configENS1_27scan_by_key_config_selectorIsiEEZZNS1_16scan_by_key_implILNS1_25lookback_scan_determinismE0ELb1ES3_N6thrust23THRUST_200600_302600_NS6detail15normal_iteratorINS9_10device_ptrIsEEEESE_SE_iNS9_4plusIvEENS9_8equal_toIvEEiEE10hipError_tPvRmT2_T3_T4_T5_mT6_T7_P12ihipStream_tbENKUlT_T0_E_clISt17integral_constantIbLb0EESY_IbLb1EEEEDaSU_SV_EUlSU_E_NS1_11comp_targetILNS1_3genE5ELNS1_11target_archE942ELNS1_3gpuE9ELNS1_3repE0EEENS1_30default_config_static_selectorELNS0_4arch9wavefront6targetE0EEEvT1_,@function
_ZN7rocprim17ROCPRIM_400000_NS6detail17trampoline_kernelINS0_14default_configENS1_27scan_by_key_config_selectorIsiEEZZNS1_16scan_by_key_implILNS1_25lookback_scan_determinismE0ELb1ES3_N6thrust23THRUST_200600_302600_NS6detail15normal_iteratorINS9_10device_ptrIsEEEESE_SE_iNS9_4plusIvEENS9_8equal_toIvEEiEE10hipError_tPvRmT2_T3_T4_T5_mT6_T7_P12ihipStream_tbENKUlT_T0_E_clISt17integral_constantIbLb0EESY_IbLb1EEEEDaSU_SV_EUlSU_E_NS1_11comp_targetILNS1_3genE5ELNS1_11target_archE942ELNS1_3gpuE9ELNS1_3repE0EEENS1_30default_config_static_selectorELNS0_4arch9wavefront6targetE0EEEvT1_: ; @_ZN7rocprim17ROCPRIM_400000_NS6detail17trampoline_kernelINS0_14default_configENS1_27scan_by_key_config_selectorIsiEEZZNS1_16scan_by_key_implILNS1_25lookback_scan_determinismE0ELb1ES3_N6thrust23THRUST_200600_302600_NS6detail15normal_iteratorINS9_10device_ptrIsEEEESE_SE_iNS9_4plusIvEENS9_8equal_toIvEEiEE10hipError_tPvRmT2_T3_T4_T5_mT6_T7_P12ihipStream_tbENKUlT_T0_E_clISt17integral_constantIbLb0EESY_IbLb1EEEEDaSU_SV_EUlSU_E_NS1_11comp_targetILNS1_3genE5ELNS1_11target_archE942ELNS1_3gpuE9ELNS1_3repE0EEENS1_30default_config_static_selectorELNS0_4arch9wavefront6targetE0EEEvT1_
; %bb.0:
	.section	.rodata,"a",@progbits
	.p2align	6, 0x0
	.amdhsa_kernel _ZN7rocprim17ROCPRIM_400000_NS6detail17trampoline_kernelINS0_14default_configENS1_27scan_by_key_config_selectorIsiEEZZNS1_16scan_by_key_implILNS1_25lookback_scan_determinismE0ELb1ES3_N6thrust23THRUST_200600_302600_NS6detail15normal_iteratorINS9_10device_ptrIsEEEESE_SE_iNS9_4plusIvEENS9_8equal_toIvEEiEE10hipError_tPvRmT2_T3_T4_T5_mT6_T7_P12ihipStream_tbENKUlT_T0_E_clISt17integral_constantIbLb0EESY_IbLb1EEEEDaSU_SV_EUlSU_E_NS1_11comp_targetILNS1_3genE5ELNS1_11target_archE942ELNS1_3gpuE9ELNS1_3repE0EEENS1_30default_config_static_selectorELNS0_4arch9wavefront6targetE0EEEvT1_
		.amdhsa_group_segment_fixed_size 0
		.amdhsa_private_segment_fixed_size 0
		.amdhsa_kernarg_size 112
		.amdhsa_user_sgpr_count 2
		.amdhsa_user_sgpr_dispatch_ptr 0
		.amdhsa_user_sgpr_queue_ptr 0
		.amdhsa_user_sgpr_kernarg_segment_ptr 1
		.amdhsa_user_sgpr_dispatch_id 0
		.amdhsa_user_sgpr_kernarg_preload_length 0
		.amdhsa_user_sgpr_kernarg_preload_offset 0
		.amdhsa_user_sgpr_private_segment_size 0
		.amdhsa_wavefront_size32 1
		.amdhsa_uses_dynamic_stack 0
		.amdhsa_enable_private_segment 0
		.amdhsa_system_sgpr_workgroup_id_x 1
		.amdhsa_system_sgpr_workgroup_id_y 0
		.amdhsa_system_sgpr_workgroup_id_z 0
		.amdhsa_system_sgpr_workgroup_info 0
		.amdhsa_system_vgpr_workitem_id 0
		.amdhsa_next_free_vgpr 1
		.amdhsa_next_free_sgpr 1
		.amdhsa_named_barrier_count 0
		.amdhsa_reserve_vcc 0
		.amdhsa_float_round_mode_32 0
		.amdhsa_float_round_mode_16_64 0
		.amdhsa_float_denorm_mode_32 3
		.amdhsa_float_denorm_mode_16_64 3
		.amdhsa_fp16_overflow 0
		.amdhsa_memory_ordered 1
		.amdhsa_forward_progress 1
		.amdhsa_inst_pref_size 0
		.amdhsa_round_robin_scheduling 0
		.amdhsa_exception_fp_ieee_invalid_op 0
		.amdhsa_exception_fp_denorm_src 0
		.amdhsa_exception_fp_ieee_div_zero 0
		.amdhsa_exception_fp_ieee_overflow 0
		.amdhsa_exception_fp_ieee_underflow 0
		.amdhsa_exception_fp_ieee_inexact 0
		.amdhsa_exception_int_div_zero 0
	.end_amdhsa_kernel
	.section	.text._ZN7rocprim17ROCPRIM_400000_NS6detail17trampoline_kernelINS0_14default_configENS1_27scan_by_key_config_selectorIsiEEZZNS1_16scan_by_key_implILNS1_25lookback_scan_determinismE0ELb1ES3_N6thrust23THRUST_200600_302600_NS6detail15normal_iteratorINS9_10device_ptrIsEEEESE_SE_iNS9_4plusIvEENS9_8equal_toIvEEiEE10hipError_tPvRmT2_T3_T4_T5_mT6_T7_P12ihipStream_tbENKUlT_T0_E_clISt17integral_constantIbLb0EESY_IbLb1EEEEDaSU_SV_EUlSU_E_NS1_11comp_targetILNS1_3genE5ELNS1_11target_archE942ELNS1_3gpuE9ELNS1_3repE0EEENS1_30default_config_static_selectorELNS0_4arch9wavefront6targetE0EEEvT1_,"axG",@progbits,_ZN7rocprim17ROCPRIM_400000_NS6detail17trampoline_kernelINS0_14default_configENS1_27scan_by_key_config_selectorIsiEEZZNS1_16scan_by_key_implILNS1_25lookback_scan_determinismE0ELb1ES3_N6thrust23THRUST_200600_302600_NS6detail15normal_iteratorINS9_10device_ptrIsEEEESE_SE_iNS9_4plusIvEENS9_8equal_toIvEEiEE10hipError_tPvRmT2_T3_T4_T5_mT6_T7_P12ihipStream_tbENKUlT_T0_E_clISt17integral_constantIbLb0EESY_IbLb1EEEEDaSU_SV_EUlSU_E_NS1_11comp_targetILNS1_3genE5ELNS1_11target_archE942ELNS1_3gpuE9ELNS1_3repE0EEENS1_30default_config_static_selectorELNS0_4arch9wavefront6targetE0EEEvT1_,comdat
.Lfunc_end1074:
	.size	_ZN7rocprim17ROCPRIM_400000_NS6detail17trampoline_kernelINS0_14default_configENS1_27scan_by_key_config_selectorIsiEEZZNS1_16scan_by_key_implILNS1_25lookback_scan_determinismE0ELb1ES3_N6thrust23THRUST_200600_302600_NS6detail15normal_iteratorINS9_10device_ptrIsEEEESE_SE_iNS9_4plusIvEENS9_8equal_toIvEEiEE10hipError_tPvRmT2_T3_T4_T5_mT6_T7_P12ihipStream_tbENKUlT_T0_E_clISt17integral_constantIbLb0EESY_IbLb1EEEEDaSU_SV_EUlSU_E_NS1_11comp_targetILNS1_3genE5ELNS1_11target_archE942ELNS1_3gpuE9ELNS1_3repE0EEENS1_30default_config_static_selectorELNS0_4arch9wavefront6targetE0EEEvT1_, .Lfunc_end1074-_ZN7rocprim17ROCPRIM_400000_NS6detail17trampoline_kernelINS0_14default_configENS1_27scan_by_key_config_selectorIsiEEZZNS1_16scan_by_key_implILNS1_25lookback_scan_determinismE0ELb1ES3_N6thrust23THRUST_200600_302600_NS6detail15normal_iteratorINS9_10device_ptrIsEEEESE_SE_iNS9_4plusIvEENS9_8equal_toIvEEiEE10hipError_tPvRmT2_T3_T4_T5_mT6_T7_P12ihipStream_tbENKUlT_T0_E_clISt17integral_constantIbLb0EESY_IbLb1EEEEDaSU_SV_EUlSU_E_NS1_11comp_targetILNS1_3genE5ELNS1_11target_archE942ELNS1_3gpuE9ELNS1_3repE0EEENS1_30default_config_static_selectorELNS0_4arch9wavefront6targetE0EEEvT1_
                                        ; -- End function
	.set _ZN7rocprim17ROCPRIM_400000_NS6detail17trampoline_kernelINS0_14default_configENS1_27scan_by_key_config_selectorIsiEEZZNS1_16scan_by_key_implILNS1_25lookback_scan_determinismE0ELb1ES3_N6thrust23THRUST_200600_302600_NS6detail15normal_iteratorINS9_10device_ptrIsEEEESE_SE_iNS9_4plusIvEENS9_8equal_toIvEEiEE10hipError_tPvRmT2_T3_T4_T5_mT6_T7_P12ihipStream_tbENKUlT_T0_E_clISt17integral_constantIbLb0EESY_IbLb1EEEEDaSU_SV_EUlSU_E_NS1_11comp_targetILNS1_3genE5ELNS1_11target_archE942ELNS1_3gpuE9ELNS1_3repE0EEENS1_30default_config_static_selectorELNS0_4arch9wavefront6targetE0EEEvT1_.num_vgpr, 0
	.set _ZN7rocprim17ROCPRIM_400000_NS6detail17trampoline_kernelINS0_14default_configENS1_27scan_by_key_config_selectorIsiEEZZNS1_16scan_by_key_implILNS1_25lookback_scan_determinismE0ELb1ES3_N6thrust23THRUST_200600_302600_NS6detail15normal_iteratorINS9_10device_ptrIsEEEESE_SE_iNS9_4plusIvEENS9_8equal_toIvEEiEE10hipError_tPvRmT2_T3_T4_T5_mT6_T7_P12ihipStream_tbENKUlT_T0_E_clISt17integral_constantIbLb0EESY_IbLb1EEEEDaSU_SV_EUlSU_E_NS1_11comp_targetILNS1_3genE5ELNS1_11target_archE942ELNS1_3gpuE9ELNS1_3repE0EEENS1_30default_config_static_selectorELNS0_4arch9wavefront6targetE0EEEvT1_.num_agpr, 0
	.set _ZN7rocprim17ROCPRIM_400000_NS6detail17trampoline_kernelINS0_14default_configENS1_27scan_by_key_config_selectorIsiEEZZNS1_16scan_by_key_implILNS1_25lookback_scan_determinismE0ELb1ES3_N6thrust23THRUST_200600_302600_NS6detail15normal_iteratorINS9_10device_ptrIsEEEESE_SE_iNS9_4plusIvEENS9_8equal_toIvEEiEE10hipError_tPvRmT2_T3_T4_T5_mT6_T7_P12ihipStream_tbENKUlT_T0_E_clISt17integral_constantIbLb0EESY_IbLb1EEEEDaSU_SV_EUlSU_E_NS1_11comp_targetILNS1_3genE5ELNS1_11target_archE942ELNS1_3gpuE9ELNS1_3repE0EEENS1_30default_config_static_selectorELNS0_4arch9wavefront6targetE0EEEvT1_.numbered_sgpr, 0
	.set _ZN7rocprim17ROCPRIM_400000_NS6detail17trampoline_kernelINS0_14default_configENS1_27scan_by_key_config_selectorIsiEEZZNS1_16scan_by_key_implILNS1_25lookback_scan_determinismE0ELb1ES3_N6thrust23THRUST_200600_302600_NS6detail15normal_iteratorINS9_10device_ptrIsEEEESE_SE_iNS9_4plusIvEENS9_8equal_toIvEEiEE10hipError_tPvRmT2_T3_T4_T5_mT6_T7_P12ihipStream_tbENKUlT_T0_E_clISt17integral_constantIbLb0EESY_IbLb1EEEEDaSU_SV_EUlSU_E_NS1_11comp_targetILNS1_3genE5ELNS1_11target_archE942ELNS1_3gpuE9ELNS1_3repE0EEENS1_30default_config_static_selectorELNS0_4arch9wavefront6targetE0EEEvT1_.num_named_barrier, 0
	.set _ZN7rocprim17ROCPRIM_400000_NS6detail17trampoline_kernelINS0_14default_configENS1_27scan_by_key_config_selectorIsiEEZZNS1_16scan_by_key_implILNS1_25lookback_scan_determinismE0ELb1ES3_N6thrust23THRUST_200600_302600_NS6detail15normal_iteratorINS9_10device_ptrIsEEEESE_SE_iNS9_4plusIvEENS9_8equal_toIvEEiEE10hipError_tPvRmT2_T3_T4_T5_mT6_T7_P12ihipStream_tbENKUlT_T0_E_clISt17integral_constantIbLb0EESY_IbLb1EEEEDaSU_SV_EUlSU_E_NS1_11comp_targetILNS1_3genE5ELNS1_11target_archE942ELNS1_3gpuE9ELNS1_3repE0EEENS1_30default_config_static_selectorELNS0_4arch9wavefront6targetE0EEEvT1_.private_seg_size, 0
	.set _ZN7rocprim17ROCPRIM_400000_NS6detail17trampoline_kernelINS0_14default_configENS1_27scan_by_key_config_selectorIsiEEZZNS1_16scan_by_key_implILNS1_25lookback_scan_determinismE0ELb1ES3_N6thrust23THRUST_200600_302600_NS6detail15normal_iteratorINS9_10device_ptrIsEEEESE_SE_iNS9_4plusIvEENS9_8equal_toIvEEiEE10hipError_tPvRmT2_T3_T4_T5_mT6_T7_P12ihipStream_tbENKUlT_T0_E_clISt17integral_constantIbLb0EESY_IbLb1EEEEDaSU_SV_EUlSU_E_NS1_11comp_targetILNS1_3genE5ELNS1_11target_archE942ELNS1_3gpuE9ELNS1_3repE0EEENS1_30default_config_static_selectorELNS0_4arch9wavefront6targetE0EEEvT1_.uses_vcc, 0
	.set _ZN7rocprim17ROCPRIM_400000_NS6detail17trampoline_kernelINS0_14default_configENS1_27scan_by_key_config_selectorIsiEEZZNS1_16scan_by_key_implILNS1_25lookback_scan_determinismE0ELb1ES3_N6thrust23THRUST_200600_302600_NS6detail15normal_iteratorINS9_10device_ptrIsEEEESE_SE_iNS9_4plusIvEENS9_8equal_toIvEEiEE10hipError_tPvRmT2_T3_T4_T5_mT6_T7_P12ihipStream_tbENKUlT_T0_E_clISt17integral_constantIbLb0EESY_IbLb1EEEEDaSU_SV_EUlSU_E_NS1_11comp_targetILNS1_3genE5ELNS1_11target_archE942ELNS1_3gpuE9ELNS1_3repE0EEENS1_30default_config_static_selectorELNS0_4arch9wavefront6targetE0EEEvT1_.uses_flat_scratch, 0
	.set _ZN7rocprim17ROCPRIM_400000_NS6detail17trampoline_kernelINS0_14default_configENS1_27scan_by_key_config_selectorIsiEEZZNS1_16scan_by_key_implILNS1_25lookback_scan_determinismE0ELb1ES3_N6thrust23THRUST_200600_302600_NS6detail15normal_iteratorINS9_10device_ptrIsEEEESE_SE_iNS9_4plusIvEENS9_8equal_toIvEEiEE10hipError_tPvRmT2_T3_T4_T5_mT6_T7_P12ihipStream_tbENKUlT_T0_E_clISt17integral_constantIbLb0EESY_IbLb1EEEEDaSU_SV_EUlSU_E_NS1_11comp_targetILNS1_3genE5ELNS1_11target_archE942ELNS1_3gpuE9ELNS1_3repE0EEENS1_30default_config_static_selectorELNS0_4arch9wavefront6targetE0EEEvT1_.has_dyn_sized_stack, 0
	.set _ZN7rocprim17ROCPRIM_400000_NS6detail17trampoline_kernelINS0_14default_configENS1_27scan_by_key_config_selectorIsiEEZZNS1_16scan_by_key_implILNS1_25lookback_scan_determinismE0ELb1ES3_N6thrust23THRUST_200600_302600_NS6detail15normal_iteratorINS9_10device_ptrIsEEEESE_SE_iNS9_4plusIvEENS9_8equal_toIvEEiEE10hipError_tPvRmT2_T3_T4_T5_mT6_T7_P12ihipStream_tbENKUlT_T0_E_clISt17integral_constantIbLb0EESY_IbLb1EEEEDaSU_SV_EUlSU_E_NS1_11comp_targetILNS1_3genE5ELNS1_11target_archE942ELNS1_3gpuE9ELNS1_3repE0EEENS1_30default_config_static_selectorELNS0_4arch9wavefront6targetE0EEEvT1_.has_recursion, 0
	.set _ZN7rocprim17ROCPRIM_400000_NS6detail17trampoline_kernelINS0_14default_configENS1_27scan_by_key_config_selectorIsiEEZZNS1_16scan_by_key_implILNS1_25lookback_scan_determinismE0ELb1ES3_N6thrust23THRUST_200600_302600_NS6detail15normal_iteratorINS9_10device_ptrIsEEEESE_SE_iNS9_4plusIvEENS9_8equal_toIvEEiEE10hipError_tPvRmT2_T3_T4_T5_mT6_T7_P12ihipStream_tbENKUlT_T0_E_clISt17integral_constantIbLb0EESY_IbLb1EEEEDaSU_SV_EUlSU_E_NS1_11comp_targetILNS1_3genE5ELNS1_11target_archE942ELNS1_3gpuE9ELNS1_3repE0EEENS1_30default_config_static_selectorELNS0_4arch9wavefront6targetE0EEEvT1_.has_indirect_call, 0
	.section	.AMDGPU.csdata,"",@progbits
; Kernel info:
; codeLenInByte = 0
; TotalNumSgprs: 0
; NumVgprs: 0
; ScratchSize: 0
; MemoryBound: 0
; FloatMode: 240
; IeeeMode: 1
; LDSByteSize: 0 bytes/workgroup (compile time only)
; SGPRBlocks: 0
; VGPRBlocks: 0
; NumSGPRsForWavesPerEU: 1
; NumVGPRsForWavesPerEU: 1
; NamedBarCnt: 0
; Occupancy: 16
; WaveLimiterHint : 0
; COMPUTE_PGM_RSRC2:SCRATCH_EN: 0
; COMPUTE_PGM_RSRC2:USER_SGPR: 2
; COMPUTE_PGM_RSRC2:TRAP_HANDLER: 0
; COMPUTE_PGM_RSRC2:TGID_X_EN: 1
; COMPUTE_PGM_RSRC2:TGID_Y_EN: 0
; COMPUTE_PGM_RSRC2:TGID_Z_EN: 0
; COMPUTE_PGM_RSRC2:TIDIG_COMP_CNT: 0
	.section	.text._ZN7rocprim17ROCPRIM_400000_NS6detail17trampoline_kernelINS0_14default_configENS1_27scan_by_key_config_selectorIsiEEZZNS1_16scan_by_key_implILNS1_25lookback_scan_determinismE0ELb1ES3_N6thrust23THRUST_200600_302600_NS6detail15normal_iteratorINS9_10device_ptrIsEEEESE_SE_iNS9_4plusIvEENS9_8equal_toIvEEiEE10hipError_tPvRmT2_T3_T4_T5_mT6_T7_P12ihipStream_tbENKUlT_T0_E_clISt17integral_constantIbLb0EESY_IbLb1EEEEDaSU_SV_EUlSU_E_NS1_11comp_targetILNS1_3genE4ELNS1_11target_archE910ELNS1_3gpuE8ELNS1_3repE0EEENS1_30default_config_static_selectorELNS0_4arch9wavefront6targetE0EEEvT1_,"axG",@progbits,_ZN7rocprim17ROCPRIM_400000_NS6detail17trampoline_kernelINS0_14default_configENS1_27scan_by_key_config_selectorIsiEEZZNS1_16scan_by_key_implILNS1_25lookback_scan_determinismE0ELb1ES3_N6thrust23THRUST_200600_302600_NS6detail15normal_iteratorINS9_10device_ptrIsEEEESE_SE_iNS9_4plusIvEENS9_8equal_toIvEEiEE10hipError_tPvRmT2_T3_T4_T5_mT6_T7_P12ihipStream_tbENKUlT_T0_E_clISt17integral_constantIbLb0EESY_IbLb1EEEEDaSU_SV_EUlSU_E_NS1_11comp_targetILNS1_3genE4ELNS1_11target_archE910ELNS1_3gpuE8ELNS1_3repE0EEENS1_30default_config_static_selectorELNS0_4arch9wavefront6targetE0EEEvT1_,comdat
	.protected	_ZN7rocprim17ROCPRIM_400000_NS6detail17trampoline_kernelINS0_14default_configENS1_27scan_by_key_config_selectorIsiEEZZNS1_16scan_by_key_implILNS1_25lookback_scan_determinismE0ELb1ES3_N6thrust23THRUST_200600_302600_NS6detail15normal_iteratorINS9_10device_ptrIsEEEESE_SE_iNS9_4plusIvEENS9_8equal_toIvEEiEE10hipError_tPvRmT2_T3_T4_T5_mT6_T7_P12ihipStream_tbENKUlT_T0_E_clISt17integral_constantIbLb0EESY_IbLb1EEEEDaSU_SV_EUlSU_E_NS1_11comp_targetILNS1_3genE4ELNS1_11target_archE910ELNS1_3gpuE8ELNS1_3repE0EEENS1_30default_config_static_selectorELNS0_4arch9wavefront6targetE0EEEvT1_ ; -- Begin function _ZN7rocprim17ROCPRIM_400000_NS6detail17trampoline_kernelINS0_14default_configENS1_27scan_by_key_config_selectorIsiEEZZNS1_16scan_by_key_implILNS1_25lookback_scan_determinismE0ELb1ES3_N6thrust23THRUST_200600_302600_NS6detail15normal_iteratorINS9_10device_ptrIsEEEESE_SE_iNS9_4plusIvEENS9_8equal_toIvEEiEE10hipError_tPvRmT2_T3_T4_T5_mT6_T7_P12ihipStream_tbENKUlT_T0_E_clISt17integral_constantIbLb0EESY_IbLb1EEEEDaSU_SV_EUlSU_E_NS1_11comp_targetILNS1_3genE4ELNS1_11target_archE910ELNS1_3gpuE8ELNS1_3repE0EEENS1_30default_config_static_selectorELNS0_4arch9wavefront6targetE0EEEvT1_
	.globl	_ZN7rocprim17ROCPRIM_400000_NS6detail17trampoline_kernelINS0_14default_configENS1_27scan_by_key_config_selectorIsiEEZZNS1_16scan_by_key_implILNS1_25lookback_scan_determinismE0ELb1ES3_N6thrust23THRUST_200600_302600_NS6detail15normal_iteratorINS9_10device_ptrIsEEEESE_SE_iNS9_4plusIvEENS9_8equal_toIvEEiEE10hipError_tPvRmT2_T3_T4_T5_mT6_T7_P12ihipStream_tbENKUlT_T0_E_clISt17integral_constantIbLb0EESY_IbLb1EEEEDaSU_SV_EUlSU_E_NS1_11comp_targetILNS1_3genE4ELNS1_11target_archE910ELNS1_3gpuE8ELNS1_3repE0EEENS1_30default_config_static_selectorELNS0_4arch9wavefront6targetE0EEEvT1_
	.p2align	8
	.type	_ZN7rocprim17ROCPRIM_400000_NS6detail17trampoline_kernelINS0_14default_configENS1_27scan_by_key_config_selectorIsiEEZZNS1_16scan_by_key_implILNS1_25lookback_scan_determinismE0ELb1ES3_N6thrust23THRUST_200600_302600_NS6detail15normal_iteratorINS9_10device_ptrIsEEEESE_SE_iNS9_4plusIvEENS9_8equal_toIvEEiEE10hipError_tPvRmT2_T3_T4_T5_mT6_T7_P12ihipStream_tbENKUlT_T0_E_clISt17integral_constantIbLb0EESY_IbLb1EEEEDaSU_SV_EUlSU_E_NS1_11comp_targetILNS1_3genE4ELNS1_11target_archE910ELNS1_3gpuE8ELNS1_3repE0EEENS1_30default_config_static_selectorELNS0_4arch9wavefront6targetE0EEEvT1_,@function
_ZN7rocprim17ROCPRIM_400000_NS6detail17trampoline_kernelINS0_14default_configENS1_27scan_by_key_config_selectorIsiEEZZNS1_16scan_by_key_implILNS1_25lookback_scan_determinismE0ELb1ES3_N6thrust23THRUST_200600_302600_NS6detail15normal_iteratorINS9_10device_ptrIsEEEESE_SE_iNS9_4plusIvEENS9_8equal_toIvEEiEE10hipError_tPvRmT2_T3_T4_T5_mT6_T7_P12ihipStream_tbENKUlT_T0_E_clISt17integral_constantIbLb0EESY_IbLb1EEEEDaSU_SV_EUlSU_E_NS1_11comp_targetILNS1_3genE4ELNS1_11target_archE910ELNS1_3gpuE8ELNS1_3repE0EEENS1_30default_config_static_selectorELNS0_4arch9wavefront6targetE0EEEvT1_: ; @_ZN7rocprim17ROCPRIM_400000_NS6detail17trampoline_kernelINS0_14default_configENS1_27scan_by_key_config_selectorIsiEEZZNS1_16scan_by_key_implILNS1_25lookback_scan_determinismE0ELb1ES3_N6thrust23THRUST_200600_302600_NS6detail15normal_iteratorINS9_10device_ptrIsEEEESE_SE_iNS9_4plusIvEENS9_8equal_toIvEEiEE10hipError_tPvRmT2_T3_T4_T5_mT6_T7_P12ihipStream_tbENKUlT_T0_E_clISt17integral_constantIbLb0EESY_IbLb1EEEEDaSU_SV_EUlSU_E_NS1_11comp_targetILNS1_3genE4ELNS1_11target_archE910ELNS1_3gpuE8ELNS1_3repE0EEENS1_30default_config_static_selectorELNS0_4arch9wavefront6targetE0EEEvT1_
; %bb.0:
	.section	.rodata,"a",@progbits
	.p2align	6, 0x0
	.amdhsa_kernel _ZN7rocprim17ROCPRIM_400000_NS6detail17trampoline_kernelINS0_14default_configENS1_27scan_by_key_config_selectorIsiEEZZNS1_16scan_by_key_implILNS1_25lookback_scan_determinismE0ELb1ES3_N6thrust23THRUST_200600_302600_NS6detail15normal_iteratorINS9_10device_ptrIsEEEESE_SE_iNS9_4plusIvEENS9_8equal_toIvEEiEE10hipError_tPvRmT2_T3_T4_T5_mT6_T7_P12ihipStream_tbENKUlT_T0_E_clISt17integral_constantIbLb0EESY_IbLb1EEEEDaSU_SV_EUlSU_E_NS1_11comp_targetILNS1_3genE4ELNS1_11target_archE910ELNS1_3gpuE8ELNS1_3repE0EEENS1_30default_config_static_selectorELNS0_4arch9wavefront6targetE0EEEvT1_
		.amdhsa_group_segment_fixed_size 0
		.amdhsa_private_segment_fixed_size 0
		.amdhsa_kernarg_size 112
		.amdhsa_user_sgpr_count 2
		.amdhsa_user_sgpr_dispatch_ptr 0
		.amdhsa_user_sgpr_queue_ptr 0
		.amdhsa_user_sgpr_kernarg_segment_ptr 1
		.amdhsa_user_sgpr_dispatch_id 0
		.amdhsa_user_sgpr_kernarg_preload_length 0
		.amdhsa_user_sgpr_kernarg_preload_offset 0
		.amdhsa_user_sgpr_private_segment_size 0
		.amdhsa_wavefront_size32 1
		.amdhsa_uses_dynamic_stack 0
		.amdhsa_enable_private_segment 0
		.amdhsa_system_sgpr_workgroup_id_x 1
		.amdhsa_system_sgpr_workgroup_id_y 0
		.amdhsa_system_sgpr_workgroup_id_z 0
		.amdhsa_system_sgpr_workgroup_info 0
		.amdhsa_system_vgpr_workitem_id 0
		.amdhsa_next_free_vgpr 1
		.amdhsa_next_free_sgpr 1
		.amdhsa_named_barrier_count 0
		.amdhsa_reserve_vcc 0
		.amdhsa_float_round_mode_32 0
		.amdhsa_float_round_mode_16_64 0
		.amdhsa_float_denorm_mode_32 3
		.amdhsa_float_denorm_mode_16_64 3
		.amdhsa_fp16_overflow 0
		.amdhsa_memory_ordered 1
		.amdhsa_forward_progress 1
		.amdhsa_inst_pref_size 0
		.amdhsa_round_robin_scheduling 0
		.amdhsa_exception_fp_ieee_invalid_op 0
		.amdhsa_exception_fp_denorm_src 0
		.amdhsa_exception_fp_ieee_div_zero 0
		.amdhsa_exception_fp_ieee_overflow 0
		.amdhsa_exception_fp_ieee_underflow 0
		.amdhsa_exception_fp_ieee_inexact 0
		.amdhsa_exception_int_div_zero 0
	.end_amdhsa_kernel
	.section	.text._ZN7rocprim17ROCPRIM_400000_NS6detail17trampoline_kernelINS0_14default_configENS1_27scan_by_key_config_selectorIsiEEZZNS1_16scan_by_key_implILNS1_25lookback_scan_determinismE0ELb1ES3_N6thrust23THRUST_200600_302600_NS6detail15normal_iteratorINS9_10device_ptrIsEEEESE_SE_iNS9_4plusIvEENS9_8equal_toIvEEiEE10hipError_tPvRmT2_T3_T4_T5_mT6_T7_P12ihipStream_tbENKUlT_T0_E_clISt17integral_constantIbLb0EESY_IbLb1EEEEDaSU_SV_EUlSU_E_NS1_11comp_targetILNS1_3genE4ELNS1_11target_archE910ELNS1_3gpuE8ELNS1_3repE0EEENS1_30default_config_static_selectorELNS0_4arch9wavefront6targetE0EEEvT1_,"axG",@progbits,_ZN7rocprim17ROCPRIM_400000_NS6detail17trampoline_kernelINS0_14default_configENS1_27scan_by_key_config_selectorIsiEEZZNS1_16scan_by_key_implILNS1_25lookback_scan_determinismE0ELb1ES3_N6thrust23THRUST_200600_302600_NS6detail15normal_iteratorINS9_10device_ptrIsEEEESE_SE_iNS9_4plusIvEENS9_8equal_toIvEEiEE10hipError_tPvRmT2_T3_T4_T5_mT6_T7_P12ihipStream_tbENKUlT_T0_E_clISt17integral_constantIbLb0EESY_IbLb1EEEEDaSU_SV_EUlSU_E_NS1_11comp_targetILNS1_3genE4ELNS1_11target_archE910ELNS1_3gpuE8ELNS1_3repE0EEENS1_30default_config_static_selectorELNS0_4arch9wavefront6targetE0EEEvT1_,comdat
.Lfunc_end1075:
	.size	_ZN7rocprim17ROCPRIM_400000_NS6detail17trampoline_kernelINS0_14default_configENS1_27scan_by_key_config_selectorIsiEEZZNS1_16scan_by_key_implILNS1_25lookback_scan_determinismE0ELb1ES3_N6thrust23THRUST_200600_302600_NS6detail15normal_iteratorINS9_10device_ptrIsEEEESE_SE_iNS9_4plusIvEENS9_8equal_toIvEEiEE10hipError_tPvRmT2_T3_T4_T5_mT6_T7_P12ihipStream_tbENKUlT_T0_E_clISt17integral_constantIbLb0EESY_IbLb1EEEEDaSU_SV_EUlSU_E_NS1_11comp_targetILNS1_3genE4ELNS1_11target_archE910ELNS1_3gpuE8ELNS1_3repE0EEENS1_30default_config_static_selectorELNS0_4arch9wavefront6targetE0EEEvT1_, .Lfunc_end1075-_ZN7rocprim17ROCPRIM_400000_NS6detail17trampoline_kernelINS0_14default_configENS1_27scan_by_key_config_selectorIsiEEZZNS1_16scan_by_key_implILNS1_25lookback_scan_determinismE0ELb1ES3_N6thrust23THRUST_200600_302600_NS6detail15normal_iteratorINS9_10device_ptrIsEEEESE_SE_iNS9_4plusIvEENS9_8equal_toIvEEiEE10hipError_tPvRmT2_T3_T4_T5_mT6_T7_P12ihipStream_tbENKUlT_T0_E_clISt17integral_constantIbLb0EESY_IbLb1EEEEDaSU_SV_EUlSU_E_NS1_11comp_targetILNS1_3genE4ELNS1_11target_archE910ELNS1_3gpuE8ELNS1_3repE0EEENS1_30default_config_static_selectorELNS0_4arch9wavefront6targetE0EEEvT1_
                                        ; -- End function
	.set _ZN7rocprim17ROCPRIM_400000_NS6detail17trampoline_kernelINS0_14default_configENS1_27scan_by_key_config_selectorIsiEEZZNS1_16scan_by_key_implILNS1_25lookback_scan_determinismE0ELb1ES3_N6thrust23THRUST_200600_302600_NS6detail15normal_iteratorINS9_10device_ptrIsEEEESE_SE_iNS9_4plusIvEENS9_8equal_toIvEEiEE10hipError_tPvRmT2_T3_T4_T5_mT6_T7_P12ihipStream_tbENKUlT_T0_E_clISt17integral_constantIbLb0EESY_IbLb1EEEEDaSU_SV_EUlSU_E_NS1_11comp_targetILNS1_3genE4ELNS1_11target_archE910ELNS1_3gpuE8ELNS1_3repE0EEENS1_30default_config_static_selectorELNS0_4arch9wavefront6targetE0EEEvT1_.num_vgpr, 0
	.set _ZN7rocprim17ROCPRIM_400000_NS6detail17trampoline_kernelINS0_14default_configENS1_27scan_by_key_config_selectorIsiEEZZNS1_16scan_by_key_implILNS1_25lookback_scan_determinismE0ELb1ES3_N6thrust23THRUST_200600_302600_NS6detail15normal_iteratorINS9_10device_ptrIsEEEESE_SE_iNS9_4plusIvEENS9_8equal_toIvEEiEE10hipError_tPvRmT2_T3_T4_T5_mT6_T7_P12ihipStream_tbENKUlT_T0_E_clISt17integral_constantIbLb0EESY_IbLb1EEEEDaSU_SV_EUlSU_E_NS1_11comp_targetILNS1_3genE4ELNS1_11target_archE910ELNS1_3gpuE8ELNS1_3repE0EEENS1_30default_config_static_selectorELNS0_4arch9wavefront6targetE0EEEvT1_.num_agpr, 0
	.set _ZN7rocprim17ROCPRIM_400000_NS6detail17trampoline_kernelINS0_14default_configENS1_27scan_by_key_config_selectorIsiEEZZNS1_16scan_by_key_implILNS1_25lookback_scan_determinismE0ELb1ES3_N6thrust23THRUST_200600_302600_NS6detail15normal_iteratorINS9_10device_ptrIsEEEESE_SE_iNS9_4plusIvEENS9_8equal_toIvEEiEE10hipError_tPvRmT2_T3_T4_T5_mT6_T7_P12ihipStream_tbENKUlT_T0_E_clISt17integral_constantIbLb0EESY_IbLb1EEEEDaSU_SV_EUlSU_E_NS1_11comp_targetILNS1_3genE4ELNS1_11target_archE910ELNS1_3gpuE8ELNS1_3repE0EEENS1_30default_config_static_selectorELNS0_4arch9wavefront6targetE0EEEvT1_.numbered_sgpr, 0
	.set _ZN7rocprim17ROCPRIM_400000_NS6detail17trampoline_kernelINS0_14default_configENS1_27scan_by_key_config_selectorIsiEEZZNS1_16scan_by_key_implILNS1_25lookback_scan_determinismE0ELb1ES3_N6thrust23THRUST_200600_302600_NS6detail15normal_iteratorINS9_10device_ptrIsEEEESE_SE_iNS9_4plusIvEENS9_8equal_toIvEEiEE10hipError_tPvRmT2_T3_T4_T5_mT6_T7_P12ihipStream_tbENKUlT_T0_E_clISt17integral_constantIbLb0EESY_IbLb1EEEEDaSU_SV_EUlSU_E_NS1_11comp_targetILNS1_3genE4ELNS1_11target_archE910ELNS1_3gpuE8ELNS1_3repE0EEENS1_30default_config_static_selectorELNS0_4arch9wavefront6targetE0EEEvT1_.num_named_barrier, 0
	.set _ZN7rocprim17ROCPRIM_400000_NS6detail17trampoline_kernelINS0_14default_configENS1_27scan_by_key_config_selectorIsiEEZZNS1_16scan_by_key_implILNS1_25lookback_scan_determinismE0ELb1ES3_N6thrust23THRUST_200600_302600_NS6detail15normal_iteratorINS9_10device_ptrIsEEEESE_SE_iNS9_4plusIvEENS9_8equal_toIvEEiEE10hipError_tPvRmT2_T3_T4_T5_mT6_T7_P12ihipStream_tbENKUlT_T0_E_clISt17integral_constantIbLb0EESY_IbLb1EEEEDaSU_SV_EUlSU_E_NS1_11comp_targetILNS1_3genE4ELNS1_11target_archE910ELNS1_3gpuE8ELNS1_3repE0EEENS1_30default_config_static_selectorELNS0_4arch9wavefront6targetE0EEEvT1_.private_seg_size, 0
	.set _ZN7rocprim17ROCPRIM_400000_NS6detail17trampoline_kernelINS0_14default_configENS1_27scan_by_key_config_selectorIsiEEZZNS1_16scan_by_key_implILNS1_25lookback_scan_determinismE0ELb1ES3_N6thrust23THRUST_200600_302600_NS6detail15normal_iteratorINS9_10device_ptrIsEEEESE_SE_iNS9_4plusIvEENS9_8equal_toIvEEiEE10hipError_tPvRmT2_T3_T4_T5_mT6_T7_P12ihipStream_tbENKUlT_T0_E_clISt17integral_constantIbLb0EESY_IbLb1EEEEDaSU_SV_EUlSU_E_NS1_11comp_targetILNS1_3genE4ELNS1_11target_archE910ELNS1_3gpuE8ELNS1_3repE0EEENS1_30default_config_static_selectorELNS0_4arch9wavefront6targetE0EEEvT1_.uses_vcc, 0
	.set _ZN7rocprim17ROCPRIM_400000_NS6detail17trampoline_kernelINS0_14default_configENS1_27scan_by_key_config_selectorIsiEEZZNS1_16scan_by_key_implILNS1_25lookback_scan_determinismE0ELb1ES3_N6thrust23THRUST_200600_302600_NS6detail15normal_iteratorINS9_10device_ptrIsEEEESE_SE_iNS9_4plusIvEENS9_8equal_toIvEEiEE10hipError_tPvRmT2_T3_T4_T5_mT6_T7_P12ihipStream_tbENKUlT_T0_E_clISt17integral_constantIbLb0EESY_IbLb1EEEEDaSU_SV_EUlSU_E_NS1_11comp_targetILNS1_3genE4ELNS1_11target_archE910ELNS1_3gpuE8ELNS1_3repE0EEENS1_30default_config_static_selectorELNS0_4arch9wavefront6targetE0EEEvT1_.uses_flat_scratch, 0
	.set _ZN7rocprim17ROCPRIM_400000_NS6detail17trampoline_kernelINS0_14default_configENS1_27scan_by_key_config_selectorIsiEEZZNS1_16scan_by_key_implILNS1_25lookback_scan_determinismE0ELb1ES3_N6thrust23THRUST_200600_302600_NS6detail15normal_iteratorINS9_10device_ptrIsEEEESE_SE_iNS9_4plusIvEENS9_8equal_toIvEEiEE10hipError_tPvRmT2_T3_T4_T5_mT6_T7_P12ihipStream_tbENKUlT_T0_E_clISt17integral_constantIbLb0EESY_IbLb1EEEEDaSU_SV_EUlSU_E_NS1_11comp_targetILNS1_3genE4ELNS1_11target_archE910ELNS1_3gpuE8ELNS1_3repE0EEENS1_30default_config_static_selectorELNS0_4arch9wavefront6targetE0EEEvT1_.has_dyn_sized_stack, 0
	.set _ZN7rocprim17ROCPRIM_400000_NS6detail17trampoline_kernelINS0_14default_configENS1_27scan_by_key_config_selectorIsiEEZZNS1_16scan_by_key_implILNS1_25lookback_scan_determinismE0ELb1ES3_N6thrust23THRUST_200600_302600_NS6detail15normal_iteratorINS9_10device_ptrIsEEEESE_SE_iNS9_4plusIvEENS9_8equal_toIvEEiEE10hipError_tPvRmT2_T3_T4_T5_mT6_T7_P12ihipStream_tbENKUlT_T0_E_clISt17integral_constantIbLb0EESY_IbLb1EEEEDaSU_SV_EUlSU_E_NS1_11comp_targetILNS1_3genE4ELNS1_11target_archE910ELNS1_3gpuE8ELNS1_3repE0EEENS1_30default_config_static_selectorELNS0_4arch9wavefront6targetE0EEEvT1_.has_recursion, 0
	.set _ZN7rocprim17ROCPRIM_400000_NS6detail17trampoline_kernelINS0_14default_configENS1_27scan_by_key_config_selectorIsiEEZZNS1_16scan_by_key_implILNS1_25lookback_scan_determinismE0ELb1ES3_N6thrust23THRUST_200600_302600_NS6detail15normal_iteratorINS9_10device_ptrIsEEEESE_SE_iNS9_4plusIvEENS9_8equal_toIvEEiEE10hipError_tPvRmT2_T3_T4_T5_mT6_T7_P12ihipStream_tbENKUlT_T0_E_clISt17integral_constantIbLb0EESY_IbLb1EEEEDaSU_SV_EUlSU_E_NS1_11comp_targetILNS1_3genE4ELNS1_11target_archE910ELNS1_3gpuE8ELNS1_3repE0EEENS1_30default_config_static_selectorELNS0_4arch9wavefront6targetE0EEEvT1_.has_indirect_call, 0
	.section	.AMDGPU.csdata,"",@progbits
; Kernel info:
; codeLenInByte = 0
; TotalNumSgprs: 0
; NumVgprs: 0
; ScratchSize: 0
; MemoryBound: 0
; FloatMode: 240
; IeeeMode: 1
; LDSByteSize: 0 bytes/workgroup (compile time only)
; SGPRBlocks: 0
; VGPRBlocks: 0
; NumSGPRsForWavesPerEU: 1
; NumVGPRsForWavesPerEU: 1
; NamedBarCnt: 0
; Occupancy: 16
; WaveLimiterHint : 0
; COMPUTE_PGM_RSRC2:SCRATCH_EN: 0
; COMPUTE_PGM_RSRC2:USER_SGPR: 2
; COMPUTE_PGM_RSRC2:TRAP_HANDLER: 0
; COMPUTE_PGM_RSRC2:TGID_X_EN: 1
; COMPUTE_PGM_RSRC2:TGID_Y_EN: 0
; COMPUTE_PGM_RSRC2:TGID_Z_EN: 0
; COMPUTE_PGM_RSRC2:TIDIG_COMP_CNT: 0
	.section	.text._ZN7rocprim17ROCPRIM_400000_NS6detail17trampoline_kernelINS0_14default_configENS1_27scan_by_key_config_selectorIsiEEZZNS1_16scan_by_key_implILNS1_25lookback_scan_determinismE0ELb1ES3_N6thrust23THRUST_200600_302600_NS6detail15normal_iteratorINS9_10device_ptrIsEEEESE_SE_iNS9_4plusIvEENS9_8equal_toIvEEiEE10hipError_tPvRmT2_T3_T4_T5_mT6_T7_P12ihipStream_tbENKUlT_T0_E_clISt17integral_constantIbLb0EESY_IbLb1EEEEDaSU_SV_EUlSU_E_NS1_11comp_targetILNS1_3genE3ELNS1_11target_archE908ELNS1_3gpuE7ELNS1_3repE0EEENS1_30default_config_static_selectorELNS0_4arch9wavefront6targetE0EEEvT1_,"axG",@progbits,_ZN7rocprim17ROCPRIM_400000_NS6detail17trampoline_kernelINS0_14default_configENS1_27scan_by_key_config_selectorIsiEEZZNS1_16scan_by_key_implILNS1_25lookback_scan_determinismE0ELb1ES3_N6thrust23THRUST_200600_302600_NS6detail15normal_iteratorINS9_10device_ptrIsEEEESE_SE_iNS9_4plusIvEENS9_8equal_toIvEEiEE10hipError_tPvRmT2_T3_T4_T5_mT6_T7_P12ihipStream_tbENKUlT_T0_E_clISt17integral_constantIbLb0EESY_IbLb1EEEEDaSU_SV_EUlSU_E_NS1_11comp_targetILNS1_3genE3ELNS1_11target_archE908ELNS1_3gpuE7ELNS1_3repE0EEENS1_30default_config_static_selectorELNS0_4arch9wavefront6targetE0EEEvT1_,comdat
	.protected	_ZN7rocprim17ROCPRIM_400000_NS6detail17trampoline_kernelINS0_14default_configENS1_27scan_by_key_config_selectorIsiEEZZNS1_16scan_by_key_implILNS1_25lookback_scan_determinismE0ELb1ES3_N6thrust23THRUST_200600_302600_NS6detail15normal_iteratorINS9_10device_ptrIsEEEESE_SE_iNS9_4plusIvEENS9_8equal_toIvEEiEE10hipError_tPvRmT2_T3_T4_T5_mT6_T7_P12ihipStream_tbENKUlT_T0_E_clISt17integral_constantIbLb0EESY_IbLb1EEEEDaSU_SV_EUlSU_E_NS1_11comp_targetILNS1_3genE3ELNS1_11target_archE908ELNS1_3gpuE7ELNS1_3repE0EEENS1_30default_config_static_selectorELNS0_4arch9wavefront6targetE0EEEvT1_ ; -- Begin function _ZN7rocprim17ROCPRIM_400000_NS6detail17trampoline_kernelINS0_14default_configENS1_27scan_by_key_config_selectorIsiEEZZNS1_16scan_by_key_implILNS1_25lookback_scan_determinismE0ELb1ES3_N6thrust23THRUST_200600_302600_NS6detail15normal_iteratorINS9_10device_ptrIsEEEESE_SE_iNS9_4plusIvEENS9_8equal_toIvEEiEE10hipError_tPvRmT2_T3_T4_T5_mT6_T7_P12ihipStream_tbENKUlT_T0_E_clISt17integral_constantIbLb0EESY_IbLb1EEEEDaSU_SV_EUlSU_E_NS1_11comp_targetILNS1_3genE3ELNS1_11target_archE908ELNS1_3gpuE7ELNS1_3repE0EEENS1_30default_config_static_selectorELNS0_4arch9wavefront6targetE0EEEvT1_
	.globl	_ZN7rocprim17ROCPRIM_400000_NS6detail17trampoline_kernelINS0_14default_configENS1_27scan_by_key_config_selectorIsiEEZZNS1_16scan_by_key_implILNS1_25lookback_scan_determinismE0ELb1ES3_N6thrust23THRUST_200600_302600_NS6detail15normal_iteratorINS9_10device_ptrIsEEEESE_SE_iNS9_4plusIvEENS9_8equal_toIvEEiEE10hipError_tPvRmT2_T3_T4_T5_mT6_T7_P12ihipStream_tbENKUlT_T0_E_clISt17integral_constantIbLb0EESY_IbLb1EEEEDaSU_SV_EUlSU_E_NS1_11comp_targetILNS1_3genE3ELNS1_11target_archE908ELNS1_3gpuE7ELNS1_3repE0EEENS1_30default_config_static_selectorELNS0_4arch9wavefront6targetE0EEEvT1_
	.p2align	8
	.type	_ZN7rocprim17ROCPRIM_400000_NS6detail17trampoline_kernelINS0_14default_configENS1_27scan_by_key_config_selectorIsiEEZZNS1_16scan_by_key_implILNS1_25lookback_scan_determinismE0ELb1ES3_N6thrust23THRUST_200600_302600_NS6detail15normal_iteratorINS9_10device_ptrIsEEEESE_SE_iNS9_4plusIvEENS9_8equal_toIvEEiEE10hipError_tPvRmT2_T3_T4_T5_mT6_T7_P12ihipStream_tbENKUlT_T0_E_clISt17integral_constantIbLb0EESY_IbLb1EEEEDaSU_SV_EUlSU_E_NS1_11comp_targetILNS1_3genE3ELNS1_11target_archE908ELNS1_3gpuE7ELNS1_3repE0EEENS1_30default_config_static_selectorELNS0_4arch9wavefront6targetE0EEEvT1_,@function
_ZN7rocprim17ROCPRIM_400000_NS6detail17trampoline_kernelINS0_14default_configENS1_27scan_by_key_config_selectorIsiEEZZNS1_16scan_by_key_implILNS1_25lookback_scan_determinismE0ELb1ES3_N6thrust23THRUST_200600_302600_NS6detail15normal_iteratorINS9_10device_ptrIsEEEESE_SE_iNS9_4plusIvEENS9_8equal_toIvEEiEE10hipError_tPvRmT2_T3_T4_T5_mT6_T7_P12ihipStream_tbENKUlT_T0_E_clISt17integral_constantIbLb0EESY_IbLb1EEEEDaSU_SV_EUlSU_E_NS1_11comp_targetILNS1_3genE3ELNS1_11target_archE908ELNS1_3gpuE7ELNS1_3repE0EEENS1_30default_config_static_selectorELNS0_4arch9wavefront6targetE0EEEvT1_: ; @_ZN7rocprim17ROCPRIM_400000_NS6detail17trampoline_kernelINS0_14default_configENS1_27scan_by_key_config_selectorIsiEEZZNS1_16scan_by_key_implILNS1_25lookback_scan_determinismE0ELb1ES3_N6thrust23THRUST_200600_302600_NS6detail15normal_iteratorINS9_10device_ptrIsEEEESE_SE_iNS9_4plusIvEENS9_8equal_toIvEEiEE10hipError_tPvRmT2_T3_T4_T5_mT6_T7_P12ihipStream_tbENKUlT_T0_E_clISt17integral_constantIbLb0EESY_IbLb1EEEEDaSU_SV_EUlSU_E_NS1_11comp_targetILNS1_3genE3ELNS1_11target_archE908ELNS1_3gpuE7ELNS1_3repE0EEENS1_30default_config_static_selectorELNS0_4arch9wavefront6targetE0EEEvT1_
; %bb.0:
	.section	.rodata,"a",@progbits
	.p2align	6, 0x0
	.amdhsa_kernel _ZN7rocprim17ROCPRIM_400000_NS6detail17trampoline_kernelINS0_14default_configENS1_27scan_by_key_config_selectorIsiEEZZNS1_16scan_by_key_implILNS1_25lookback_scan_determinismE0ELb1ES3_N6thrust23THRUST_200600_302600_NS6detail15normal_iteratorINS9_10device_ptrIsEEEESE_SE_iNS9_4plusIvEENS9_8equal_toIvEEiEE10hipError_tPvRmT2_T3_T4_T5_mT6_T7_P12ihipStream_tbENKUlT_T0_E_clISt17integral_constantIbLb0EESY_IbLb1EEEEDaSU_SV_EUlSU_E_NS1_11comp_targetILNS1_3genE3ELNS1_11target_archE908ELNS1_3gpuE7ELNS1_3repE0EEENS1_30default_config_static_selectorELNS0_4arch9wavefront6targetE0EEEvT1_
		.amdhsa_group_segment_fixed_size 0
		.amdhsa_private_segment_fixed_size 0
		.amdhsa_kernarg_size 112
		.amdhsa_user_sgpr_count 2
		.amdhsa_user_sgpr_dispatch_ptr 0
		.amdhsa_user_sgpr_queue_ptr 0
		.amdhsa_user_sgpr_kernarg_segment_ptr 1
		.amdhsa_user_sgpr_dispatch_id 0
		.amdhsa_user_sgpr_kernarg_preload_length 0
		.amdhsa_user_sgpr_kernarg_preload_offset 0
		.amdhsa_user_sgpr_private_segment_size 0
		.amdhsa_wavefront_size32 1
		.amdhsa_uses_dynamic_stack 0
		.amdhsa_enable_private_segment 0
		.amdhsa_system_sgpr_workgroup_id_x 1
		.amdhsa_system_sgpr_workgroup_id_y 0
		.amdhsa_system_sgpr_workgroup_id_z 0
		.amdhsa_system_sgpr_workgroup_info 0
		.amdhsa_system_vgpr_workitem_id 0
		.amdhsa_next_free_vgpr 1
		.amdhsa_next_free_sgpr 1
		.amdhsa_named_barrier_count 0
		.amdhsa_reserve_vcc 0
		.amdhsa_float_round_mode_32 0
		.amdhsa_float_round_mode_16_64 0
		.amdhsa_float_denorm_mode_32 3
		.amdhsa_float_denorm_mode_16_64 3
		.amdhsa_fp16_overflow 0
		.amdhsa_memory_ordered 1
		.amdhsa_forward_progress 1
		.amdhsa_inst_pref_size 0
		.amdhsa_round_robin_scheduling 0
		.amdhsa_exception_fp_ieee_invalid_op 0
		.amdhsa_exception_fp_denorm_src 0
		.amdhsa_exception_fp_ieee_div_zero 0
		.amdhsa_exception_fp_ieee_overflow 0
		.amdhsa_exception_fp_ieee_underflow 0
		.amdhsa_exception_fp_ieee_inexact 0
		.amdhsa_exception_int_div_zero 0
	.end_amdhsa_kernel
	.section	.text._ZN7rocprim17ROCPRIM_400000_NS6detail17trampoline_kernelINS0_14default_configENS1_27scan_by_key_config_selectorIsiEEZZNS1_16scan_by_key_implILNS1_25lookback_scan_determinismE0ELb1ES3_N6thrust23THRUST_200600_302600_NS6detail15normal_iteratorINS9_10device_ptrIsEEEESE_SE_iNS9_4plusIvEENS9_8equal_toIvEEiEE10hipError_tPvRmT2_T3_T4_T5_mT6_T7_P12ihipStream_tbENKUlT_T0_E_clISt17integral_constantIbLb0EESY_IbLb1EEEEDaSU_SV_EUlSU_E_NS1_11comp_targetILNS1_3genE3ELNS1_11target_archE908ELNS1_3gpuE7ELNS1_3repE0EEENS1_30default_config_static_selectorELNS0_4arch9wavefront6targetE0EEEvT1_,"axG",@progbits,_ZN7rocprim17ROCPRIM_400000_NS6detail17trampoline_kernelINS0_14default_configENS1_27scan_by_key_config_selectorIsiEEZZNS1_16scan_by_key_implILNS1_25lookback_scan_determinismE0ELb1ES3_N6thrust23THRUST_200600_302600_NS6detail15normal_iteratorINS9_10device_ptrIsEEEESE_SE_iNS9_4plusIvEENS9_8equal_toIvEEiEE10hipError_tPvRmT2_T3_T4_T5_mT6_T7_P12ihipStream_tbENKUlT_T0_E_clISt17integral_constantIbLb0EESY_IbLb1EEEEDaSU_SV_EUlSU_E_NS1_11comp_targetILNS1_3genE3ELNS1_11target_archE908ELNS1_3gpuE7ELNS1_3repE0EEENS1_30default_config_static_selectorELNS0_4arch9wavefront6targetE0EEEvT1_,comdat
.Lfunc_end1076:
	.size	_ZN7rocprim17ROCPRIM_400000_NS6detail17trampoline_kernelINS0_14default_configENS1_27scan_by_key_config_selectorIsiEEZZNS1_16scan_by_key_implILNS1_25lookback_scan_determinismE0ELb1ES3_N6thrust23THRUST_200600_302600_NS6detail15normal_iteratorINS9_10device_ptrIsEEEESE_SE_iNS9_4plusIvEENS9_8equal_toIvEEiEE10hipError_tPvRmT2_T3_T4_T5_mT6_T7_P12ihipStream_tbENKUlT_T0_E_clISt17integral_constantIbLb0EESY_IbLb1EEEEDaSU_SV_EUlSU_E_NS1_11comp_targetILNS1_3genE3ELNS1_11target_archE908ELNS1_3gpuE7ELNS1_3repE0EEENS1_30default_config_static_selectorELNS0_4arch9wavefront6targetE0EEEvT1_, .Lfunc_end1076-_ZN7rocprim17ROCPRIM_400000_NS6detail17trampoline_kernelINS0_14default_configENS1_27scan_by_key_config_selectorIsiEEZZNS1_16scan_by_key_implILNS1_25lookback_scan_determinismE0ELb1ES3_N6thrust23THRUST_200600_302600_NS6detail15normal_iteratorINS9_10device_ptrIsEEEESE_SE_iNS9_4plusIvEENS9_8equal_toIvEEiEE10hipError_tPvRmT2_T3_T4_T5_mT6_T7_P12ihipStream_tbENKUlT_T0_E_clISt17integral_constantIbLb0EESY_IbLb1EEEEDaSU_SV_EUlSU_E_NS1_11comp_targetILNS1_3genE3ELNS1_11target_archE908ELNS1_3gpuE7ELNS1_3repE0EEENS1_30default_config_static_selectorELNS0_4arch9wavefront6targetE0EEEvT1_
                                        ; -- End function
	.set _ZN7rocprim17ROCPRIM_400000_NS6detail17trampoline_kernelINS0_14default_configENS1_27scan_by_key_config_selectorIsiEEZZNS1_16scan_by_key_implILNS1_25lookback_scan_determinismE0ELb1ES3_N6thrust23THRUST_200600_302600_NS6detail15normal_iteratorINS9_10device_ptrIsEEEESE_SE_iNS9_4plusIvEENS9_8equal_toIvEEiEE10hipError_tPvRmT2_T3_T4_T5_mT6_T7_P12ihipStream_tbENKUlT_T0_E_clISt17integral_constantIbLb0EESY_IbLb1EEEEDaSU_SV_EUlSU_E_NS1_11comp_targetILNS1_3genE3ELNS1_11target_archE908ELNS1_3gpuE7ELNS1_3repE0EEENS1_30default_config_static_selectorELNS0_4arch9wavefront6targetE0EEEvT1_.num_vgpr, 0
	.set _ZN7rocprim17ROCPRIM_400000_NS6detail17trampoline_kernelINS0_14default_configENS1_27scan_by_key_config_selectorIsiEEZZNS1_16scan_by_key_implILNS1_25lookback_scan_determinismE0ELb1ES3_N6thrust23THRUST_200600_302600_NS6detail15normal_iteratorINS9_10device_ptrIsEEEESE_SE_iNS9_4plusIvEENS9_8equal_toIvEEiEE10hipError_tPvRmT2_T3_T4_T5_mT6_T7_P12ihipStream_tbENKUlT_T0_E_clISt17integral_constantIbLb0EESY_IbLb1EEEEDaSU_SV_EUlSU_E_NS1_11comp_targetILNS1_3genE3ELNS1_11target_archE908ELNS1_3gpuE7ELNS1_3repE0EEENS1_30default_config_static_selectorELNS0_4arch9wavefront6targetE0EEEvT1_.num_agpr, 0
	.set _ZN7rocprim17ROCPRIM_400000_NS6detail17trampoline_kernelINS0_14default_configENS1_27scan_by_key_config_selectorIsiEEZZNS1_16scan_by_key_implILNS1_25lookback_scan_determinismE0ELb1ES3_N6thrust23THRUST_200600_302600_NS6detail15normal_iteratorINS9_10device_ptrIsEEEESE_SE_iNS9_4plusIvEENS9_8equal_toIvEEiEE10hipError_tPvRmT2_T3_T4_T5_mT6_T7_P12ihipStream_tbENKUlT_T0_E_clISt17integral_constantIbLb0EESY_IbLb1EEEEDaSU_SV_EUlSU_E_NS1_11comp_targetILNS1_3genE3ELNS1_11target_archE908ELNS1_3gpuE7ELNS1_3repE0EEENS1_30default_config_static_selectorELNS0_4arch9wavefront6targetE0EEEvT1_.numbered_sgpr, 0
	.set _ZN7rocprim17ROCPRIM_400000_NS6detail17trampoline_kernelINS0_14default_configENS1_27scan_by_key_config_selectorIsiEEZZNS1_16scan_by_key_implILNS1_25lookback_scan_determinismE0ELb1ES3_N6thrust23THRUST_200600_302600_NS6detail15normal_iteratorINS9_10device_ptrIsEEEESE_SE_iNS9_4plusIvEENS9_8equal_toIvEEiEE10hipError_tPvRmT2_T3_T4_T5_mT6_T7_P12ihipStream_tbENKUlT_T0_E_clISt17integral_constantIbLb0EESY_IbLb1EEEEDaSU_SV_EUlSU_E_NS1_11comp_targetILNS1_3genE3ELNS1_11target_archE908ELNS1_3gpuE7ELNS1_3repE0EEENS1_30default_config_static_selectorELNS0_4arch9wavefront6targetE0EEEvT1_.num_named_barrier, 0
	.set _ZN7rocprim17ROCPRIM_400000_NS6detail17trampoline_kernelINS0_14default_configENS1_27scan_by_key_config_selectorIsiEEZZNS1_16scan_by_key_implILNS1_25lookback_scan_determinismE0ELb1ES3_N6thrust23THRUST_200600_302600_NS6detail15normal_iteratorINS9_10device_ptrIsEEEESE_SE_iNS9_4plusIvEENS9_8equal_toIvEEiEE10hipError_tPvRmT2_T3_T4_T5_mT6_T7_P12ihipStream_tbENKUlT_T0_E_clISt17integral_constantIbLb0EESY_IbLb1EEEEDaSU_SV_EUlSU_E_NS1_11comp_targetILNS1_3genE3ELNS1_11target_archE908ELNS1_3gpuE7ELNS1_3repE0EEENS1_30default_config_static_selectorELNS0_4arch9wavefront6targetE0EEEvT1_.private_seg_size, 0
	.set _ZN7rocprim17ROCPRIM_400000_NS6detail17trampoline_kernelINS0_14default_configENS1_27scan_by_key_config_selectorIsiEEZZNS1_16scan_by_key_implILNS1_25lookback_scan_determinismE0ELb1ES3_N6thrust23THRUST_200600_302600_NS6detail15normal_iteratorINS9_10device_ptrIsEEEESE_SE_iNS9_4plusIvEENS9_8equal_toIvEEiEE10hipError_tPvRmT2_T3_T4_T5_mT6_T7_P12ihipStream_tbENKUlT_T0_E_clISt17integral_constantIbLb0EESY_IbLb1EEEEDaSU_SV_EUlSU_E_NS1_11comp_targetILNS1_3genE3ELNS1_11target_archE908ELNS1_3gpuE7ELNS1_3repE0EEENS1_30default_config_static_selectorELNS0_4arch9wavefront6targetE0EEEvT1_.uses_vcc, 0
	.set _ZN7rocprim17ROCPRIM_400000_NS6detail17trampoline_kernelINS0_14default_configENS1_27scan_by_key_config_selectorIsiEEZZNS1_16scan_by_key_implILNS1_25lookback_scan_determinismE0ELb1ES3_N6thrust23THRUST_200600_302600_NS6detail15normal_iteratorINS9_10device_ptrIsEEEESE_SE_iNS9_4plusIvEENS9_8equal_toIvEEiEE10hipError_tPvRmT2_T3_T4_T5_mT6_T7_P12ihipStream_tbENKUlT_T0_E_clISt17integral_constantIbLb0EESY_IbLb1EEEEDaSU_SV_EUlSU_E_NS1_11comp_targetILNS1_3genE3ELNS1_11target_archE908ELNS1_3gpuE7ELNS1_3repE0EEENS1_30default_config_static_selectorELNS0_4arch9wavefront6targetE0EEEvT1_.uses_flat_scratch, 0
	.set _ZN7rocprim17ROCPRIM_400000_NS6detail17trampoline_kernelINS0_14default_configENS1_27scan_by_key_config_selectorIsiEEZZNS1_16scan_by_key_implILNS1_25lookback_scan_determinismE0ELb1ES3_N6thrust23THRUST_200600_302600_NS6detail15normal_iteratorINS9_10device_ptrIsEEEESE_SE_iNS9_4plusIvEENS9_8equal_toIvEEiEE10hipError_tPvRmT2_T3_T4_T5_mT6_T7_P12ihipStream_tbENKUlT_T0_E_clISt17integral_constantIbLb0EESY_IbLb1EEEEDaSU_SV_EUlSU_E_NS1_11comp_targetILNS1_3genE3ELNS1_11target_archE908ELNS1_3gpuE7ELNS1_3repE0EEENS1_30default_config_static_selectorELNS0_4arch9wavefront6targetE0EEEvT1_.has_dyn_sized_stack, 0
	.set _ZN7rocprim17ROCPRIM_400000_NS6detail17trampoline_kernelINS0_14default_configENS1_27scan_by_key_config_selectorIsiEEZZNS1_16scan_by_key_implILNS1_25lookback_scan_determinismE0ELb1ES3_N6thrust23THRUST_200600_302600_NS6detail15normal_iteratorINS9_10device_ptrIsEEEESE_SE_iNS9_4plusIvEENS9_8equal_toIvEEiEE10hipError_tPvRmT2_T3_T4_T5_mT6_T7_P12ihipStream_tbENKUlT_T0_E_clISt17integral_constantIbLb0EESY_IbLb1EEEEDaSU_SV_EUlSU_E_NS1_11comp_targetILNS1_3genE3ELNS1_11target_archE908ELNS1_3gpuE7ELNS1_3repE0EEENS1_30default_config_static_selectorELNS0_4arch9wavefront6targetE0EEEvT1_.has_recursion, 0
	.set _ZN7rocprim17ROCPRIM_400000_NS6detail17trampoline_kernelINS0_14default_configENS1_27scan_by_key_config_selectorIsiEEZZNS1_16scan_by_key_implILNS1_25lookback_scan_determinismE0ELb1ES3_N6thrust23THRUST_200600_302600_NS6detail15normal_iteratorINS9_10device_ptrIsEEEESE_SE_iNS9_4plusIvEENS9_8equal_toIvEEiEE10hipError_tPvRmT2_T3_T4_T5_mT6_T7_P12ihipStream_tbENKUlT_T0_E_clISt17integral_constantIbLb0EESY_IbLb1EEEEDaSU_SV_EUlSU_E_NS1_11comp_targetILNS1_3genE3ELNS1_11target_archE908ELNS1_3gpuE7ELNS1_3repE0EEENS1_30default_config_static_selectorELNS0_4arch9wavefront6targetE0EEEvT1_.has_indirect_call, 0
	.section	.AMDGPU.csdata,"",@progbits
; Kernel info:
; codeLenInByte = 0
; TotalNumSgprs: 0
; NumVgprs: 0
; ScratchSize: 0
; MemoryBound: 0
; FloatMode: 240
; IeeeMode: 1
; LDSByteSize: 0 bytes/workgroup (compile time only)
; SGPRBlocks: 0
; VGPRBlocks: 0
; NumSGPRsForWavesPerEU: 1
; NumVGPRsForWavesPerEU: 1
; NamedBarCnt: 0
; Occupancy: 16
; WaveLimiterHint : 0
; COMPUTE_PGM_RSRC2:SCRATCH_EN: 0
; COMPUTE_PGM_RSRC2:USER_SGPR: 2
; COMPUTE_PGM_RSRC2:TRAP_HANDLER: 0
; COMPUTE_PGM_RSRC2:TGID_X_EN: 1
; COMPUTE_PGM_RSRC2:TGID_Y_EN: 0
; COMPUTE_PGM_RSRC2:TGID_Z_EN: 0
; COMPUTE_PGM_RSRC2:TIDIG_COMP_CNT: 0
	.section	.text._ZN7rocprim17ROCPRIM_400000_NS6detail17trampoline_kernelINS0_14default_configENS1_27scan_by_key_config_selectorIsiEEZZNS1_16scan_by_key_implILNS1_25lookback_scan_determinismE0ELb1ES3_N6thrust23THRUST_200600_302600_NS6detail15normal_iteratorINS9_10device_ptrIsEEEESE_SE_iNS9_4plusIvEENS9_8equal_toIvEEiEE10hipError_tPvRmT2_T3_T4_T5_mT6_T7_P12ihipStream_tbENKUlT_T0_E_clISt17integral_constantIbLb0EESY_IbLb1EEEEDaSU_SV_EUlSU_E_NS1_11comp_targetILNS1_3genE2ELNS1_11target_archE906ELNS1_3gpuE6ELNS1_3repE0EEENS1_30default_config_static_selectorELNS0_4arch9wavefront6targetE0EEEvT1_,"axG",@progbits,_ZN7rocprim17ROCPRIM_400000_NS6detail17trampoline_kernelINS0_14default_configENS1_27scan_by_key_config_selectorIsiEEZZNS1_16scan_by_key_implILNS1_25lookback_scan_determinismE0ELb1ES3_N6thrust23THRUST_200600_302600_NS6detail15normal_iteratorINS9_10device_ptrIsEEEESE_SE_iNS9_4plusIvEENS9_8equal_toIvEEiEE10hipError_tPvRmT2_T3_T4_T5_mT6_T7_P12ihipStream_tbENKUlT_T0_E_clISt17integral_constantIbLb0EESY_IbLb1EEEEDaSU_SV_EUlSU_E_NS1_11comp_targetILNS1_3genE2ELNS1_11target_archE906ELNS1_3gpuE6ELNS1_3repE0EEENS1_30default_config_static_selectorELNS0_4arch9wavefront6targetE0EEEvT1_,comdat
	.protected	_ZN7rocprim17ROCPRIM_400000_NS6detail17trampoline_kernelINS0_14default_configENS1_27scan_by_key_config_selectorIsiEEZZNS1_16scan_by_key_implILNS1_25lookback_scan_determinismE0ELb1ES3_N6thrust23THRUST_200600_302600_NS6detail15normal_iteratorINS9_10device_ptrIsEEEESE_SE_iNS9_4plusIvEENS9_8equal_toIvEEiEE10hipError_tPvRmT2_T3_T4_T5_mT6_T7_P12ihipStream_tbENKUlT_T0_E_clISt17integral_constantIbLb0EESY_IbLb1EEEEDaSU_SV_EUlSU_E_NS1_11comp_targetILNS1_3genE2ELNS1_11target_archE906ELNS1_3gpuE6ELNS1_3repE0EEENS1_30default_config_static_selectorELNS0_4arch9wavefront6targetE0EEEvT1_ ; -- Begin function _ZN7rocprim17ROCPRIM_400000_NS6detail17trampoline_kernelINS0_14default_configENS1_27scan_by_key_config_selectorIsiEEZZNS1_16scan_by_key_implILNS1_25lookback_scan_determinismE0ELb1ES3_N6thrust23THRUST_200600_302600_NS6detail15normal_iteratorINS9_10device_ptrIsEEEESE_SE_iNS9_4plusIvEENS9_8equal_toIvEEiEE10hipError_tPvRmT2_T3_T4_T5_mT6_T7_P12ihipStream_tbENKUlT_T0_E_clISt17integral_constantIbLb0EESY_IbLb1EEEEDaSU_SV_EUlSU_E_NS1_11comp_targetILNS1_3genE2ELNS1_11target_archE906ELNS1_3gpuE6ELNS1_3repE0EEENS1_30default_config_static_selectorELNS0_4arch9wavefront6targetE0EEEvT1_
	.globl	_ZN7rocprim17ROCPRIM_400000_NS6detail17trampoline_kernelINS0_14default_configENS1_27scan_by_key_config_selectorIsiEEZZNS1_16scan_by_key_implILNS1_25lookback_scan_determinismE0ELb1ES3_N6thrust23THRUST_200600_302600_NS6detail15normal_iteratorINS9_10device_ptrIsEEEESE_SE_iNS9_4plusIvEENS9_8equal_toIvEEiEE10hipError_tPvRmT2_T3_T4_T5_mT6_T7_P12ihipStream_tbENKUlT_T0_E_clISt17integral_constantIbLb0EESY_IbLb1EEEEDaSU_SV_EUlSU_E_NS1_11comp_targetILNS1_3genE2ELNS1_11target_archE906ELNS1_3gpuE6ELNS1_3repE0EEENS1_30default_config_static_selectorELNS0_4arch9wavefront6targetE0EEEvT1_
	.p2align	8
	.type	_ZN7rocprim17ROCPRIM_400000_NS6detail17trampoline_kernelINS0_14default_configENS1_27scan_by_key_config_selectorIsiEEZZNS1_16scan_by_key_implILNS1_25lookback_scan_determinismE0ELb1ES3_N6thrust23THRUST_200600_302600_NS6detail15normal_iteratorINS9_10device_ptrIsEEEESE_SE_iNS9_4plusIvEENS9_8equal_toIvEEiEE10hipError_tPvRmT2_T3_T4_T5_mT6_T7_P12ihipStream_tbENKUlT_T0_E_clISt17integral_constantIbLb0EESY_IbLb1EEEEDaSU_SV_EUlSU_E_NS1_11comp_targetILNS1_3genE2ELNS1_11target_archE906ELNS1_3gpuE6ELNS1_3repE0EEENS1_30default_config_static_selectorELNS0_4arch9wavefront6targetE0EEEvT1_,@function
_ZN7rocprim17ROCPRIM_400000_NS6detail17trampoline_kernelINS0_14default_configENS1_27scan_by_key_config_selectorIsiEEZZNS1_16scan_by_key_implILNS1_25lookback_scan_determinismE0ELb1ES3_N6thrust23THRUST_200600_302600_NS6detail15normal_iteratorINS9_10device_ptrIsEEEESE_SE_iNS9_4plusIvEENS9_8equal_toIvEEiEE10hipError_tPvRmT2_T3_T4_T5_mT6_T7_P12ihipStream_tbENKUlT_T0_E_clISt17integral_constantIbLb0EESY_IbLb1EEEEDaSU_SV_EUlSU_E_NS1_11comp_targetILNS1_3genE2ELNS1_11target_archE906ELNS1_3gpuE6ELNS1_3repE0EEENS1_30default_config_static_selectorELNS0_4arch9wavefront6targetE0EEEvT1_: ; @_ZN7rocprim17ROCPRIM_400000_NS6detail17trampoline_kernelINS0_14default_configENS1_27scan_by_key_config_selectorIsiEEZZNS1_16scan_by_key_implILNS1_25lookback_scan_determinismE0ELb1ES3_N6thrust23THRUST_200600_302600_NS6detail15normal_iteratorINS9_10device_ptrIsEEEESE_SE_iNS9_4plusIvEENS9_8equal_toIvEEiEE10hipError_tPvRmT2_T3_T4_T5_mT6_T7_P12ihipStream_tbENKUlT_T0_E_clISt17integral_constantIbLb0EESY_IbLb1EEEEDaSU_SV_EUlSU_E_NS1_11comp_targetILNS1_3genE2ELNS1_11target_archE906ELNS1_3gpuE6ELNS1_3repE0EEENS1_30default_config_static_selectorELNS0_4arch9wavefront6targetE0EEEvT1_
; %bb.0:
	.section	.rodata,"a",@progbits
	.p2align	6, 0x0
	.amdhsa_kernel _ZN7rocprim17ROCPRIM_400000_NS6detail17trampoline_kernelINS0_14default_configENS1_27scan_by_key_config_selectorIsiEEZZNS1_16scan_by_key_implILNS1_25lookback_scan_determinismE0ELb1ES3_N6thrust23THRUST_200600_302600_NS6detail15normal_iteratorINS9_10device_ptrIsEEEESE_SE_iNS9_4plusIvEENS9_8equal_toIvEEiEE10hipError_tPvRmT2_T3_T4_T5_mT6_T7_P12ihipStream_tbENKUlT_T0_E_clISt17integral_constantIbLb0EESY_IbLb1EEEEDaSU_SV_EUlSU_E_NS1_11comp_targetILNS1_3genE2ELNS1_11target_archE906ELNS1_3gpuE6ELNS1_3repE0EEENS1_30default_config_static_selectorELNS0_4arch9wavefront6targetE0EEEvT1_
		.amdhsa_group_segment_fixed_size 0
		.amdhsa_private_segment_fixed_size 0
		.amdhsa_kernarg_size 112
		.amdhsa_user_sgpr_count 2
		.amdhsa_user_sgpr_dispatch_ptr 0
		.amdhsa_user_sgpr_queue_ptr 0
		.amdhsa_user_sgpr_kernarg_segment_ptr 1
		.amdhsa_user_sgpr_dispatch_id 0
		.amdhsa_user_sgpr_kernarg_preload_length 0
		.amdhsa_user_sgpr_kernarg_preload_offset 0
		.amdhsa_user_sgpr_private_segment_size 0
		.amdhsa_wavefront_size32 1
		.amdhsa_uses_dynamic_stack 0
		.amdhsa_enable_private_segment 0
		.amdhsa_system_sgpr_workgroup_id_x 1
		.amdhsa_system_sgpr_workgroup_id_y 0
		.amdhsa_system_sgpr_workgroup_id_z 0
		.amdhsa_system_sgpr_workgroup_info 0
		.amdhsa_system_vgpr_workitem_id 0
		.amdhsa_next_free_vgpr 1
		.amdhsa_next_free_sgpr 1
		.amdhsa_named_barrier_count 0
		.amdhsa_reserve_vcc 0
		.amdhsa_float_round_mode_32 0
		.amdhsa_float_round_mode_16_64 0
		.amdhsa_float_denorm_mode_32 3
		.amdhsa_float_denorm_mode_16_64 3
		.amdhsa_fp16_overflow 0
		.amdhsa_memory_ordered 1
		.amdhsa_forward_progress 1
		.amdhsa_inst_pref_size 0
		.amdhsa_round_robin_scheduling 0
		.amdhsa_exception_fp_ieee_invalid_op 0
		.amdhsa_exception_fp_denorm_src 0
		.amdhsa_exception_fp_ieee_div_zero 0
		.amdhsa_exception_fp_ieee_overflow 0
		.amdhsa_exception_fp_ieee_underflow 0
		.amdhsa_exception_fp_ieee_inexact 0
		.amdhsa_exception_int_div_zero 0
	.end_amdhsa_kernel
	.section	.text._ZN7rocprim17ROCPRIM_400000_NS6detail17trampoline_kernelINS0_14default_configENS1_27scan_by_key_config_selectorIsiEEZZNS1_16scan_by_key_implILNS1_25lookback_scan_determinismE0ELb1ES3_N6thrust23THRUST_200600_302600_NS6detail15normal_iteratorINS9_10device_ptrIsEEEESE_SE_iNS9_4plusIvEENS9_8equal_toIvEEiEE10hipError_tPvRmT2_T3_T4_T5_mT6_T7_P12ihipStream_tbENKUlT_T0_E_clISt17integral_constantIbLb0EESY_IbLb1EEEEDaSU_SV_EUlSU_E_NS1_11comp_targetILNS1_3genE2ELNS1_11target_archE906ELNS1_3gpuE6ELNS1_3repE0EEENS1_30default_config_static_selectorELNS0_4arch9wavefront6targetE0EEEvT1_,"axG",@progbits,_ZN7rocprim17ROCPRIM_400000_NS6detail17trampoline_kernelINS0_14default_configENS1_27scan_by_key_config_selectorIsiEEZZNS1_16scan_by_key_implILNS1_25lookback_scan_determinismE0ELb1ES3_N6thrust23THRUST_200600_302600_NS6detail15normal_iteratorINS9_10device_ptrIsEEEESE_SE_iNS9_4plusIvEENS9_8equal_toIvEEiEE10hipError_tPvRmT2_T3_T4_T5_mT6_T7_P12ihipStream_tbENKUlT_T0_E_clISt17integral_constantIbLb0EESY_IbLb1EEEEDaSU_SV_EUlSU_E_NS1_11comp_targetILNS1_3genE2ELNS1_11target_archE906ELNS1_3gpuE6ELNS1_3repE0EEENS1_30default_config_static_selectorELNS0_4arch9wavefront6targetE0EEEvT1_,comdat
.Lfunc_end1077:
	.size	_ZN7rocprim17ROCPRIM_400000_NS6detail17trampoline_kernelINS0_14default_configENS1_27scan_by_key_config_selectorIsiEEZZNS1_16scan_by_key_implILNS1_25lookback_scan_determinismE0ELb1ES3_N6thrust23THRUST_200600_302600_NS6detail15normal_iteratorINS9_10device_ptrIsEEEESE_SE_iNS9_4plusIvEENS9_8equal_toIvEEiEE10hipError_tPvRmT2_T3_T4_T5_mT6_T7_P12ihipStream_tbENKUlT_T0_E_clISt17integral_constantIbLb0EESY_IbLb1EEEEDaSU_SV_EUlSU_E_NS1_11comp_targetILNS1_3genE2ELNS1_11target_archE906ELNS1_3gpuE6ELNS1_3repE0EEENS1_30default_config_static_selectorELNS0_4arch9wavefront6targetE0EEEvT1_, .Lfunc_end1077-_ZN7rocprim17ROCPRIM_400000_NS6detail17trampoline_kernelINS0_14default_configENS1_27scan_by_key_config_selectorIsiEEZZNS1_16scan_by_key_implILNS1_25lookback_scan_determinismE0ELb1ES3_N6thrust23THRUST_200600_302600_NS6detail15normal_iteratorINS9_10device_ptrIsEEEESE_SE_iNS9_4plusIvEENS9_8equal_toIvEEiEE10hipError_tPvRmT2_T3_T4_T5_mT6_T7_P12ihipStream_tbENKUlT_T0_E_clISt17integral_constantIbLb0EESY_IbLb1EEEEDaSU_SV_EUlSU_E_NS1_11comp_targetILNS1_3genE2ELNS1_11target_archE906ELNS1_3gpuE6ELNS1_3repE0EEENS1_30default_config_static_selectorELNS0_4arch9wavefront6targetE0EEEvT1_
                                        ; -- End function
	.set _ZN7rocprim17ROCPRIM_400000_NS6detail17trampoline_kernelINS0_14default_configENS1_27scan_by_key_config_selectorIsiEEZZNS1_16scan_by_key_implILNS1_25lookback_scan_determinismE0ELb1ES3_N6thrust23THRUST_200600_302600_NS6detail15normal_iteratorINS9_10device_ptrIsEEEESE_SE_iNS9_4plusIvEENS9_8equal_toIvEEiEE10hipError_tPvRmT2_T3_T4_T5_mT6_T7_P12ihipStream_tbENKUlT_T0_E_clISt17integral_constantIbLb0EESY_IbLb1EEEEDaSU_SV_EUlSU_E_NS1_11comp_targetILNS1_3genE2ELNS1_11target_archE906ELNS1_3gpuE6ELNS1_3repE0EEENS1_30default_config_static_selectorELNS0_4arch9wavefront6targetE0EEEvT1_.num_vgpr, 0
	.set _ZN7rocprim17ROCPRIM_400000_NS6detail17trampoline_kernelINS0_14default_configENS1_27scan_by_key_config_selectorIsiEEZZNS1_16scan_by_key_implILNS1_25lookback_scan_determinismE0ELb1ES3_N6thrust23THRUST_200600_302600_NS6detail15normal_iteratorINS9_10device_ptrIsEEEESE_SE_iNS9_4plusIvEENS9_8equal_toIvEEiEE10hipError_tPvRmT2_T3_T4_T5_mT6_T7_P12ihipStream_tbENKUlT_T0_E_clISt17integral_constantIbLb0EESY_IbLb1EEEEDaSU_SV_EUlSU_E_NS1_11comp_targetILNS1_3genE2ELNS1_11target_archE906ELNS1_3gpuE6ELNS1_3repE0EEENS1_30default_config_static_selectorELNS0_4arch9wavefront6targetE0EEEvT1_.num_agpr, 0
	.set _ZN7rocprim17ROCPRIM_400000_NS6detail17trampoline_kernelINS0_14default_configENS1_27scan_by_key_config_selectorIsiEEZZNS1_16scan_by_key_implILNS1_25lookback_scan_determinismE0ELb1ES3_N6thrust23THRUST_200600_302600_NS6detail15normal_iteratorINS9_10device_ptrIsEEEESE_SE_iNS9_4plusIvEENS9_8equal_toIvEEiEE10hipError_tPvRmT2_T3_T4_T5_mT6_T7_P12ihipStream_tbENKUlT_T0_E_clISt17integral_constantIbLb0EESY_IbLb1EEEEDaSU_SV_EUlSU_E_NS1_11comp_targetILNS1_3genE2ELNS1_11target_archE906ELNS1_3gpuE6ELNS1_3repE0EEENS1_30default_config_static_selectorELNS0_4arch9wavefront6targetE0EEEvT1_.numbered_sgpr, 0
	.set _ZN7rocprim17ROCPRIM_400000_NS6detail17trampoline_kernelINS0_14default_configENS1_27scan_by_key_config_selectorIsiEEZZNS1_16scan_by_key_implILNS1_25lookback_scan_determinismE0ELb1ES3_N6thrust23THRUST_200600_302600_NS6detail15normal_iteratorINS9_10device_ptrIsEEEESE_SE_iNS9_4plusIvEENS9_8equal_toIvEEiEE10hipError_tPvRmT2_T3_T4_T5_mT6_T7_P12ihipStream_tbENKUlT_T0_E_clISt17integral_constantIbLb0EESY_IbLb1EEEEDaSU_SV_EUlSU_E_NS1_11comp_targetILNS1_3genE2ELNS1_11target_archE906ELNS1_3gpuE6ELNS1_3repE0EEENS1_30default_config_static_selectorELNS0_4arch9wavefront6targetE0EEEvT1_.num_named_barrier, 0
	.set _ZN7rocprim17ROCPRIM_400000_NS6detail17trampoline_kernelINS0_14default_configENS1_27scan_by_key_config_selectorIsiEEZZNS1_16scan_by_key_implILNS1_25lookback_scan_determinismE0ELb1ES3_N6thrust23THRUST_200600_302600_NS6detail15normal_iteratorINS9_10device_ptrIsEEEESE_SE_iNS9_4plusIvEENS9_8equal_toIvEEiEE10hipError_tPvRmT2_T3_T4_T5_mT6_T7_P12ihipStream_tbENKUlT_T0_E_clISt17integral_constantIbLb0EESY_IbLb1EEEEDaSU_SV_EUlSU_E_NS1_11comp_targetILNS1_3genE2ELNS1_11target_archE906ELNS1_3gpuE6ELNS1_3repE0EEENS1_30default_config_static_selectorELNS0_4arch9wavefront6targetE0EEEvT1_.private_seg_size, 0
	.set _ZN7rocprim17ROCPRIM_400000_NS6detail17trampoline_kernelINS0_14default_configENS1_27scan_by_key_config_selectorIsiEEZZNS1_16scan_by_key_implILNS1_25lookback_scan_determinismE0ELb1ES3_N6thrust23THRUST_200600_302600_NS6detail15normal_iteratorINS9_10device_ptrIsEEEESE_SE_iNS9_4plusIvEENS9_8equal_toIvEEiEE10hipError_tPvRmT2_T3_T4_T5_mT6_T7_P12ihipStream_tbENKUlT_T0_E_clISt17integral_constantIbLb0EESY_IbLb1EEEEDaSU_SV_EUlSU_E_NS1_11comp_targetILNS1_3genE2ELNS1_11target_archE906ELNS1_3gpuE6ELNS1_3repE0EEENS1_30default_config_static_selectorELNS0_4arch9wavefront6targetE0EEEvT1_.uses_vcc, 0
	.set _ZN7rocprim17ROCPRIM_400000_NS6detail17trampoline_kernelINS0_14default_configENS1_27scan_by_key_config_selectorIsiEEZZNS1_16scan_by_key_implILNS1_25lookback_scan_determinismE0ELb1ES3_N6thrust23THRUST_200600_302600_NS6detail15normal_iteratorINS9_10device_ptrIsEEEESE_SE_iNS9_4plusIvEENS9_8equal_toIvEEiEE10hipError_tPvRmT2_T3_T4_T5_mT6_T7_P12ihipStream_tbENKUlT_T0_E_clISt17integral_constantIbLb0EESY_IbLb1EEEEDaSU_SV_EUlSU_E_NS1_11comp_targetILNS1_3genE2ELNS1_11target_archE906ELNS1_3gpuE6ELNS1_3repE0EEENS1_30default_config_static_selectorELNS0_4arch9wavefront6targetE0EEEvT1_.uses_flat_scratch, 0
	.set _ZN7rocprim17ROCPRIM_400000_NS6detail17trampoline_kernelINS0_14default_configENS1_27scan_by_key_config_selectorIsiEEZZNS1_16scan_by_key_implILNS1_25lookback_scan_determinismE0ELb1ES3_N6thrust23THRUST_200600_302600_NS6detail15normal_iteratorINS9_10device_ptrIsEEEESE_SE_iNS9_4plusIvEENS9_8equal_toIvEEiEE10hipError_tPvRmT2_T3_T4_T5_mT6_T7_P12ihipStream_tbENKUlT_T0_E_clISt17integral_constantIbLb0EESY_IbLb1EEEEDaSU_SV_EUlSU_E_NS1_11comp_targetILNS1_3genE2ELNS1_11target_archE906ELNS1_3gpuE6ELNS1_3repE0EEENS1_30default_config_static_selectorELNS0_4arch9wavefront6targetE0EEEvT1_.has_dyn_sized_stack, 0
	.set _ZN7rocprim17ROCPRIM_400000_NS6detail17trampoline_kernelINS0_14default_configENS1_27scan_by_key_config_selectorIsiEEZZNS1_16scan_by_key_implILNS1_25lookback_scan_determinismE0ELb1ES3_N6thrust23THRUST_200600_302600_NS6detail15normal_iteratorINS9_10device_ptrIsEEEESE_SE_iNS9_4plusIvEENS9_8equal_toIvEEiEE10hipError_tPvRmT2_T3_T4_T5_mT6_T7_P12ihipStream_tbENKUlT_T0_E_clISt17integral_constantIbLb0EESY_IbLb1EEEEDaSU_SV_EUlSU_E_NS1_11comp_targetILNS1_3genE2ELNS1_11target_archE906ELNS1_3gpuE6ELNS1_3repE0EEENS1_30default_config_static_selectorELNS0_4arch9wavefront6targetE0EEEvT1_.has_recursion, 0
	.set _ZN7rocprim17ROCPRIM_400000_NS6detail17trampoline_kernelINS0_14default_configENS1_27scan_by_key_config_selectorIsiEEZZNS1_16scan_by_key_implILNS1_25lookback_scan_determinismE0ELb1ES3_N6thrust23THRUST_200600_302600_NS6detail15normal_iteratorINS9_10device_ptrIsEEEESE_SE_iNS9_4plusIvEENS9_8equal_toIvEEiEE10hipError_tPvRmT2_T3_T4_T5_mT6_T7_P12ihipStream_tbENKUlT_T0_E_clISt17integral_constantIbLb0EESY_IbLb1EEEEDaSU_SV_EUlSU_E_NS1_11comp_targetILNS1_3genE2ELNS1_11target_archE906ELNS1_3gpuE6ELNS1_3repE0EEENS1_30default_config_static_selectorELNS0_4arch9wavefront6targetE0EEEvT1_.has_indirect_call, 0
	.section	.AMDGPU.csdata,"",@progbits
; Kernel info:
; codeLenInByte = 0
; TotalNumSgprs: 0
; NumVgprs: 0
; ScratchSize: 0
; MemoryBound: 0
; FloatMode: 240
; IeeeMode: 1
; LDSByteSize: 0 bytes/workgroup (compile time only)
; SGPRBlocks: 0
; VGPRBlocks: 0
; NumSGPRsForWavesPerEU: 1
; NumVGPRsForWavesPerEU: 1
; NamedBarCnt: 0
; Occupancy: 16
; WaveLimiterHint : 0
; COMPUTE_PGM_RSRC2:SCRATCH_EN: 0
; COMPUTE_PGM_RSRC2:USER_SGPR: 2
; COMPUTE_PGM_RSRC2:TRAP_HANDLER: 0
; COMPUTE_PGM_RSRC2:TGID_X_EN: 1
; COMPUTE_PGM_RSRC2:TGID_Y_EN: 0
; COMPUTE_PGM_RSRC2:TGID_Z_EN: 0
; COMPUTE_PGM_RSRC2:TIDIG_COMP_CNT: 0
	.section	.text._ZN7rocprim17ROCPRIM_400000_NS6detail17trampoline_kernelINS0_14default_configENS1_27scan_by_key_config_selectorIsiEEZZNS1_16scan_by_key_implILNS1_25lookback_scan_determinismE0ELb1ES3_N6thrust23THRUST_200600_302600_NS6detail15normal_iteratorINS9_10device_ptrIsEEEESE_SE_iNS9_4plusIvEENS9_8equal_toIvEEiEE10hipError_tPvRmT2_T3_T4_T5_mT6_T7_P12ihipStream_tbENKUlT_T0_E_clISt17integral_constantIbLb0EESY_IbLb1EEEEDaSU_SV_EUlSU_E_NS1_11comp_targetILNS1_3genE10ELNS1_11target_archE1200ELNS1_3gpuE4ELNS1_3repE0EEENS1_30default_config_static_selectorELNS0_4arch9wavefront6targetE0EEEvT1_,"axG",@progbits,_ZN7rocprim17ROCPRIM_400000_NS6detail17trampoline_kernelINS0_14default_configENS1_27scan_by_key_config_selectorIsiEEZZNS1_16scan_by_key_implILNS1_25lookback_scan_determinismE0ELb1ES3_N6thrust23THRUST_200600_302600_NS6detail15normal_iteratorINS9_10device_ptrIsEEEESE_SE_iNS9_4plusIvEENS9_8equal_toIvEEiEE10hipError_tPvRmT2_T3_T4_T5_mT6_T7_P12ihipStream_tbENKUlT_T0_E_clISt17integral_constantIbLb0EESY_IbLb1EEEEDaSU_SV_EUlSU_E_NS1_11comp_targetILNS1_3genE10ELNS1_11target_archE1200ELNS1_3gpuE4ELNS1_3repE0EEENS1_30default_config_static_selectorELNS0_4arch9wavefront6targetE0EEEvT1_,comdat
	.protected	_ZN7rocprim17ROCPRIM_400000_NS6detail17trampoline_kernelINS0_14default_configENS1_27scan_by_key_config_selectorIsiEEZZNS1_16scan_by_key_implILNS1_25lookback_scan_determinismE0ELb1ES3_N6thrust23THRUST_200600_302600_NS6detail15normal_iteratorINS9_10device_ptrIsEEEESE_SE_iNS9_4plusIvEENS9_8equal_toIvEEiEE10hipError_tPvRmT2_T3_T4_T5_mT6_T7_P12ihipStream_tbENKUlT_T0_E_clISt17integral_constantIbLb0EESY_IbLb1EEEEDaSU_SV_EUlSU_E_NS1_11comp_targetILNS1_3genE10ELNS1_11target_archE1200ELNS1_3gpuE4ELNS1_3repE0EEENS1_30default_config_static_selectorELNS0_4arch9wavefront6targetE0EEEvT1_ ; -- Begin function _ZN7rocprim17ROCPRIM_400000_NS6detail17trampoline_kernelINS0_14default_configENS1_27scan_by_key_config_selectorIsiEEZZNS1_16scan_by_key_implILNS1_25lookback_scan_determinismE0ELb1ES3_N6thrust23THRUST_200600_302600_NS6detail15normal_iteratorINS9_10device_ptrIsEEEESE_SE_iNS9_4plusIvEENS9_8equal_toIvEEiEE10hipError_tPvRmT2_T3_T4_T5_mT6_T7_P12ihipStream_tbENKUlT_T0_E_clISt17integral_constantIbLb0EESY_IbLb1EEEEDaSU_SV_EUlSU_E_NS1_11comp_targetILNS1_3genE10ELNS1_11target_archE1200ELNS1_3gpuE4ELNS1_3repE0EEENS1_30default_config_static_selectorELNS0_4arch9wavefront6targetE0EEEvT1_
	.globl	_ZN7rocprim17ROCPRIM_400000_NS6detail17trampoline_kernelINS0_14default_configENS1_27scan_by_key_config_selectorIsiEEZZNS1_16scan_by_key_implILNS1_25lookback_scan_determinismE0ELb1ES3_N6thrust23THRUST_200600_302600_NS6detail15normal_iteratorINS9_10device_ptrIsEEEESE_SE_iNS9_4plusIvEENS9_8equal_toIvEEiEE10hipError_tPvRmT2_T3_T4_T5_mT6_T7_P12ihipStream_tbENKUlT_T0_E_clISt17integral_constantIbLb0EESY_IbLb1EEEEDaSU_SV_EUlSU_E_NS1_11comp_targetILNS1_3genE10ELNS1_11target_archE1200ELNS1_3gpuE4ELNS1_3repE0EEENS1_30default_config_static_selectorELNS0_4arch9wavefront6targetE0EEEvT1_
	.p2align	8
	.type	_ZN7rocprim17ROCPRIM_400000_NS6detail17trampoline_kernelINS0_14default_configENS1_27scan_by_key_config_selectorIsiEEZZNS1_16scan_by_key_implILNS1_25lookback_scan_determinismE0ELb1ES3_N6thrust23THRUST_200600_302600_NS6detail15normal_iteratorINS9_10device_ptrIsEEEESE_SE_iNS9_4plusIvEENS9_8equal_toIvEEiEE10hipError_tPvRmT2_T3_T4_T5_mT6_T7_P12ihipStream_tbENKUlT_T0_E_clISt17integral_constantIbLb0EESY_IbLb1EEEEDaSU_SV_EUlSU_E_NS1_11comp_targetILNS1_3genE10ELNS1_11target_archE1200ELNS1_3gpuE4ELNS1_3repE0EEENS1_30default_config_static_selectorELNS0_4arch9wavefront6targetE0EEEvT1_,@function
_ZN7rocprim17ROCPRIM_400000_NS6detail17trampoline_kernelINS0_14default_configENS1_27scan_by_key_config_selectorIsiEEZZNS1_16scan_by_key_implILNS1_25lookback_scan_determinismE0ELb1ES3_N6thrust23THRUST_200600_302600_NS6detail15normal_iteratorINS9_10device_ptrIsEEEESE_SE_iNS9_4plusIvEENS9_8equal_toIvEEiEE10hipError_tPvRmT2_T3_T4_T5_mT6_T7_P12ihipStream_tbENKUlT_T0_E_clISt17integral_constantIbLb0EESY_IbLb1EEEEDaSU_SV_EUlSU_E_NS1_11comp_targetILNS1_3genE10ELNS1_11target_archE1200ELNS1_3gpuE4ELNS1_3repE0EEENS1_30default_config_static_selectorELNS0_4arch9wavefront6targetE0EEEvT1_: ; @_ZN7rocprim17ROCPRIM_400000_NS6detail17trampoline_kernelINS0_14default_configENS1_27scan_by_key_config_selectorIsiEEZZNS1_16scan_by_key_implILNS1_25lookback_scan_determinismE0ELb1ES3_N6thrust23THRUST_200600_302600_NS6detail15normal_iteratorINS9_10device_ptrIsEEEESE_SE_iNS9_4plusIvEENS9_8equal_toIvEEiEE10hipError_tPvRmT2_T3_T4_T5_mT6_T7_P12ihipStream_tbENKUlT_T0_E_clISt17integral_constantIbLb0EESY_IbLb1EEEEDaSU_SV_EUlSU_E_NS1_11comp_targetILNS1_3genE10ELNS1_11target_archE1200ELNS1_3gpuE4ELNS1_3repE0EEENS1_30default_config_static_selectorELNS0_4arch9wavefront6targetE0EEEvT1_
; %bb.0:
	.section	.rodata,"a",@progbits
	.p2align	6, 0x0
	.amdhsa_kernel _ZN7rocprim17ROCPRIM_400000_NS6detail17trampoline_kernelINS0_14default_configENS1_27scan_by_key_config_selectorIsiEEZZNS1_16scan_by_key_implILNS1_25lookback_scan_determinismE0ELb1ES3_N6thrust23THRUST_200600_302600_NS6detail15normal_iteratorINS9_10device_ptrIsEEEESE_SE_iNS9_4plusIvEENS9_8equal_toIvEEiEE10hipError_tPvRmT2_T3_T4_T5_mT6_T7_P12ihipStream_tbENKUlT_T0_E_clISt17integral_constantIbLb0EESY_IbLb1EEEEDaSU_SV_EUlSU_E_NS1_11comp_targetILNS1_3genE10ELNS1_11target_archE1200ELNS1_3gpuE4ELNS1_3repE0EEENS1_30default_config_static_selectorELNS0_4arch9wavefront6targetE0EEEvT1_
		.amdhsa_group_segment_fixed_size 0
		.amdhsa_private_segment_fixed_size 0
		.amdhsa_kernarg_size 112
		.amdhsa_user_sgpr_count 2
		.amdhsa_user_sgpr_dispatch_ptr 0
		.amdhsa_user_sgpr_queue_ptr 0
		.amdhsa_user_sgpr_kernarg_segment_ptr 1
		.amdhsa_user_sgpr_dispatch_id 0
		.amdhsa_user_sgpr_kernarg_preload_length 0
		.amdhsa_user_sgpr_kernarg_preload_offset 0
		.amdhsa_user_sgpr_private_segment_size 0
		.amdhsa_wavefront_size32 1
		.amdhsa_uses_dynamic_stack 0
		.amdhsa_enable_private_segment 0
		.amdhsa_system_sgpr_workgroup_id_x 1
		.amdhsa_system_sgpr_workgroup_id_y 0
		.amdhsa_system_sgpr_workgroup_id_z 0
		.amdhsa_system_sgpr_workgroup_info 0
		.amdhsa_system_vgpr_workitem_id 0
		.amdhsa_next_free_vgpr 1
		.amdhsa_next_free_sgpr 1
		.amdhsa_named_barrier_count 0
		.amdhsa_reserve_vcc 0
		.amdhsa_float_round_mode_32 0
		.amdhsa_float_round_mode_16_64 0
		.amdhsa_float_denorm_mode_32 3
		.amdhsa_float_denorm_mode_16_64 3
		.amdhsa_fp16_overflow 0
		.amdhsa_memory_ordered 1
		.amdhsa_forward_progress 1
		.amdhsa_inst_pref_size 0
		.amdhsa_round_robin_scheduling 0
		.amdhsa_exception_fp_ieee_invalid_op 0
		.amdhsa_exception_fp_denorm_src 0
		.amdhsa_exception_fp_ieee_div_zero 0
		.amdhsa_exception_fp_ieee_overflow 0
		.amdhsa_exception_fp_ieee_underflow 0
		.amdhsa_exception_fp_ieee_inexact 0
		.amdhsa_exception_int_div_zero 0
	.end_amdhsa_kernel
	.section	.text._ZN7rocprim17ROCPRIM_400000_NS6detail17trampoline_kernelINS0_14default_configENS1_27scan_by_key_config_selectorIsiEEZZNS1_16scan_by_key_implILNS1_25lookback_scan_determinismE0ELb1ES3_N6thrust23THRUST_200600_302600_NS6detail15normal_iteratorINS9_10device_ptrIsEEEESE_SE_iNS9_4plusIvEENS9_8equal_toIvEEiEE10hipError_tPvRmT2_T3_T4_T5_mT6_T7_P12ihipStream_tbENKUlT_T0_E_clISt17integral_constantIbLb0EESY_IbLb1EEEEDaSU_SV_EUlSU_E_NS1_11comp_targetILNS1_3genE10ELNS1_11target_archE1200ELNS1_3gpuE4ELNS1_3repE0EEENS1_30default_config_static_selectorELNS0_4arch9wavefront6targetE0EEEvT1_,"axG",@progbits,_ZN7rocprim17ROCPRIM_400000_NS6detail17trampoline_kernelINS0_14default_configENS1_27scan_by_key_config_selectorIsiEEZZNS1_16scan_by_key_implILNS1_25lookback_scan_determinismE0ELb1ES3_N6thrust23THRUST_200600_302600_NS6detail15normal_iteratorINS9_10device_ptrIsEEEESE_SE_iNS9_4plusIvEENS9_8equal_toIvEEiEE10hipError_tPvRmT2_T3_T4_T5_mT6_T7_P12ihipStream_tbENKUlT_T0_E_clISt17integral_constantIbLb0EESY_IbLb1EEEEDaSU_SV_EUlSU_E_NS1_11comp_targetILNS1_3genE10ELNS1_11target_archE1200ELNS1_3gpuE4ELNS1_3repE0EEENS1_30default_config_static_selectorELNS0_4arch9wavefront6targetE0EEEvT1_,comdat
.Lfunc_end1078:
	.size	_ZN7rocprim17ROCPRIM_400000_NS6detail17trampoline_kernelINS0_14default_configENS1_27scan_by_key_config_selectorIsiEEZZNS1_16scan_by_key_implILNS1_25lookback_scan_determinismE0ELb1ES3_N6thrust23THRUST_200600_302600_NS6detail15normal_iteratorINS9_10device_ptrIsEEEESE_SE_iNS9_4plusIvEENS9_8equal_toIvEEiEE10hipError_tPvRmT2_T3_T4_T5_mT6_T7_P12ihipStream_tbENKUlT_T0_E_clISt17integral_constantIbLb0EESY_IbLb1EEEEDaSU_SV_EUlSU_E_NS1_11comp_targetILNS1_3genE10ELNS1_11target_archE1200ELNS1_3gpuE4ELNS1_3repE0EEENS1_30default_config_static_selectorELNS0_4arch9wavefront6targetE0EEEvT1_, .Lfunc_end1078-_ZN7rocprim17ROCPRIM_400000_NS6detail17trampoline_kernelINS0_14default_configENS1_27scan_by_key_config_selectorIsiEEZZNS1_16scan_by_key_implILNS1_25lookback_scan_determinismE0ELb1ES3_N6thrust23THRUST_200600_302600_NS6detail15normal_iteratorINS9_10device_ptrIsEEEESE_SE_iNS9_4plusIvEENS9_8equal_toIvEEiEE10hipError_tPvRmT2_T3_T4_T5_mT6_T7_P12ihipStream_tbENKUlT_T0_E_clISt17integral_constantIbLb0EESY_IbLb1EEEEDaSU_SV_EUlSU_E_NS1_11comp_targetILNS1_3genE10ELNS1_11target_archE1200ELNS1_3gpuE4ELNS1_3repE0EEENS1_30default_config_static_selectorELNS0_4arch9wavefront6targetE0EEEvT1_
                                        ; -- End function
	.set _ZN7rocprim17ROCPRIM_400000_NS6detail17trampoline_kernelINS0_14default_configENS1_27scan_by_key_config_selectorIsiEEZZNS1_16scan_by_key_implILNS1_25lookback_scan_determinismE0ELb1ES3_N6thrust23THRUST_200600_302600_NS6detail15normal_iteratorINS9_10device_ptrIsEEEESE_SE_iNS9_4plusIvEENS9_8equal_toIvEEiEE10hipError_tPvRmT2_T3_T4_T5_mT6_T7_P12ihipStream_tbENKUlT_T0_E_clISt17integral_constantIbLb0EESY_IbLb1EEEEDaSU_SV_EUlSU_E_NS1_11comp_targetILNS1_3genE10ELNS1_11target_archE1200ELNS1_3gpuE4ELNS1_3repE0EEENS1_30default_config_static_selectorELNS0_4arch9wavefront6targetE0EEEvT1_.num_vgpr, 0
	.set _ZN7rocprim17ROCPRIM_400000_NS6detail17trampoline_kernelINS0_14default_configENS1_27scan_by_key_config_selectorIsiEEZZNS1_16scan_by_key_implILNS1_25lookback_scan_determinismE0ELb1ES3_N6thrust23THRUST_200600_302600_NS6detail15normal_iteratorINS9_10device_ptrIsEEEESE_SE_iNS9_4plusIvEENS9_8equal_toIvEEiEE10hipError_tPvRmT2_T3_T4_T5_mT6_T7_P12ihipStream_tbENKUlT_T0_E_clISt17integral_constantIbLb0EESY_IbLb1EEEEDaSU_SV_EUlSU_E_NS1_11comp_targetILNS1_3genE10ELNS1_11target_archE1200ELNS1_3gpuE4ELNS1_3repE0EEENS1_30default_config_static_selectorELNS0_4arch9wavefront6targetE0EEEvT1_.num_agpr, 0
	.set _ZN7rocprim17ROCPRIM_400000_NS6detail17trampoline_kernelINS0_14default_configENS1_27scan_by_key_config_selectorIsiEEZZNS1_16scan_by_key_implILNS1_25lookback_scan_determinismE0ELb1ES3_N6thrust23THRUST_200600_302600_NS6detail15normal_iteratorINS9_10device_ptrIsEEEESE_SE_iNS9_4plusIvEENS9_8equal_toIvEEiEE10hipError_tPvRmT2_T3_T4_T5_mT6_T7_P12ihipStream_tbENKUlT_T0_E_clISt17integral_constantIbLb0EESY_IbLb1EEEEDaSU_SV_EUlSU_E_NS1_11comp_targetILNS1_3genE10ELNS1_11target_archE1200ELNS1_3gpuE4ELNS1_3repE0EEENS1_30default_config_static_selectorELNS0_4arch9wavefront6targetE0EEEvT1_.numbered_sgpr, 0
	.set _ZN7rocprim17ROCPRIM_400000_NS6detail17trampoline_kernelINS0_14default_configENS1_27scan_by_key_config_selectorIsiEEZZNS1_16scan_by_key_implILNS1_25lookback_scan_determinismE0ELb1ES3_N6thrust23THRUST_200600_302600_NS6detail15normal_iteratorINS9_10device_ptrIsEEEESE_SE_iNS9_4plusIvEENS9_8equal_toIvEEiEE10hipError_tPvRmT2_T3_T4_T5_mT6_T7_P12ihipStream_tbENKUlT_T0_E_clISt17integral_constantIbLb0EESY_IbLb1EEEEDaSU_SV_EUlSU_E_NS1_11comp_targetILNS1_3genE10ELNS1_11target_archE1200ELNS1_3gpuE4ELNS1_3repE0EEENS1_30default_config_static_selectorELNS0_4arch9wavefront6targetE0EEEvT1_.num_named_barrier, 0
	.set _ZN7rocprim17ROCPRIM_400000_NS6detail17trampoline_kernelINS0_14default_configENS1_27scan_by_key_config_selectorIsiEEZZNS1_16scan_by_key_implILNS1_25lookback_scan_determinismE0ELb1ES3_N6thrust23THRUST_200600_302600_NS6detail15normal_iteratorINS9_10device_ptrIsEEEESE_SE_iNS9_4plusIvEENS9_8equal_toIvEEiEE10hipError_tPvRmT2_T3_T4_T5_mT6_T7_P12ihipStream_tbENKUlT_T0_E_clISt17integral_constantIbLb0EESY_IbLb1EEEEDaSU_SV_EUlSU_E_NS1_11comp_targetILNS1_3genE10ELNS1_11target_archE1200ELNS1_3gpuE4ELNS1_3repE0EEENS1_30default_config_static_selectorELNS0_4arch9wavefront6targetE0EEEvT1_.private_seg_size, 0
	.set _ZN7rocprim17ROCPRIM_400000_NS6detail17trampoline_kernelINS0_14default_configENS1_27scan_by_key_config_selectorIsiEEZZNS1_16scan_by_key_implILNS1_25lookback_scan_determinismE0ELb1ES3_N6thrust23THRUST_200600_302600_NS6detail15normal_iteratorINS9_10device_ptrIsEEEESE_SE_iNS9_4plusIvEENS9_8equal_toIvEEiEE10hipError_tPvRmT2_T3_T4_T5_mT6_T7_P12ihipStream_tbENKUlT_T0_E_clISt17integral_constantIbLb0EESY_IbLb1EEEEDaSU_SV_EUlSU_E_NS1_11comp_targetILNS1_3genE10ELNS1_11target_archE1200ELNS1_3gpuE4ELNS1_3repE0EEENS1_30default_config_static_selectorELNS0_4arch9wavefront6targetE0EEEvT1_.uses_vcc, 0
	.set _ZN7rocprim17ROCPRIM_400000_NS6detail17trampoline_kernelINS0_14default_configENS1_27scan_by_key_config_selectorIsiEEZZNS1_16scan_by_key_implILNS1_25lookback_scan_determinismE0ELb1ES3_N6thrust23THRUST_200600_302600_NS6detail15normal_iteratorINS9_10device_ptrIsEEEESE_SE_iNS9_4plusIvEENS9_8equal_toIvEEiEE10hipError_tPvRmT2_T3_T4_T5_mT6_T7_P12ihipStream_tbENKUlT_T0_E_clISt17integral_constantIbLb0EESY_IbLb1EEEEDaSU_SV_EUlSU_E_NS1_11comp_targetILNS1_3genE10ELNS1_11target_archE1200ELNS1_3gpuE4ELNS1_3repE0EEENS1_30default_config_static_selectorELNS0_4arch9wavefront6targetE0EEEvT1_.uses_flat_scratch, 0
	.set _ZN7rocprim17ROCPRIM_400000_NS6detail17trampoline_kernelINS0_14default_configENS1_27scan_by_key_config_selectorIsiEEZZNS1_16scan_by_key_implILNS1_25lookback_scan_determinismE0ELb1ES3_N6thrust23THRUST_200600_302600_NS6detail15normal_iteratorINS9_10device_ptrIsEEEESE_SE_iNS9_4plusIvEENS9_8equal_toIvEEiEE10hipError_tPvRmT2_T3_T4_T5_mT6_T7_P12ihipStream_tbENKUlT_T0_E_clISt17integral_constantIbLb0EESY_IbLb1EEEEDaSU_SV_EUlSU_E_NS1_11comp_targetILNS1_3genE10ELNS1_11target_archE1200ELNS1_3gpuE4ELNS1_3repE0EEENS1_30default_config_static_selectorELNS0_4arch9wavefront6targetE0EEEvT1_.has_dyn_sized_stack, 0
	.set _ZN7rocprim17ROCPRIM_400000_NS6detail17trampoline_kernelINS0_14default_configENS1_27scan_by_key_config_selectorIsiEEZZNS1_16scan_by_key_implILNS1_25lookback_scan_determinismE0ELb1ES3_N6thrust23THRUST_200600_302600_NS6detail15normal_iteratorINS9_10device_ptrIsEEEESE_SE_iNS9_4plusIvEENS9_8equal_toIvEEiEE10hipError_tPvRmT2_T3_T4_T5_mT6_T7_P12ihipStream_tbENKUlT_T0_E_clISt17integral_constantIbLb0EESY_IbLb1EEEEDaSU_SV_EUlSU_E_NS1_11comp_targetILNS1_3genE10ELNS1_11target_archE1200ELNS1_3gpuE4ELNS1_3repE0EEENS1_30default_config_static_selectorELNS0_4arch9wavefront6targetE0EEEvT1_.has_recursion, 0
	.set _ZN7rocprim17ROCPRIM_400000_NS6detail17trampoline_kernelINS0_14default_configENS1_27scan_by_key_config_selectorIsiEEZZNS1_16scan_by_key_implILNS1_25lookback_scan_determinismE0ELb1ES3_N6thrust23THRUST_200600_302600_NS6detail15normal_iteratorINS9_10device_ptrIsEEEESE_SE_iNS9_4plusIvEENS9_8equal_toIvEEiEE10hipError_tPvRmT2_T3_T4_T5_mT6_T7_P12ihipStream_tbENKUlT_T0_E_clISt17integral_constantIbLb0EESY_IbLb1EEEEDaSU_SV_EUlSU_E_NS1_11comp_targetILNS1_3genE10ELNS1_11target_archE1200ELNS1_3gpuE4ELNS1_3repE0EEENS1_30default_config_static_selectorELNS0_4arch9wavefront6targetE0EEEvT1_.has_indirect_call, 0
	.section	.AMDGPU.csdata,"",@progbits
; Kernel info:
; codeLenInByte = 0
; TotalNumSgprs: 0
; NumVgprs: 0
; ScratchSize: 0
; MemoryBound: 0
; FloatMode: 240
; IeeeMode: 1
; LDSByteSize: 0 bytes/workgroup (compile time only)
; SGPRBlocks: 0
; VGPRBlocks: 0
; NumSGPRsForWavesPerEU: 1
; NumVGPRsForWavesPerEU: 1
; NamedBarCnt: 0
; Occupancy: 16
; WaveLimiterHint : 0
; COMPUTE_PGM_RSRC2:SCRATCH_EN: 0
; COMPUTE_PGM_RSRC2:USER_SGPR: 2
; COMPUTE_PGM_RSRC2:TRAP_HANDLER: 0
; COMPUTE_PGM_RSRC2:TGID_X_EN: 1
; COMPUTE_PGM_RSRC2:TGID_Y_EN: 0
; COMPUTE_PGM_RSRC2:TGID_Z_EN: 0
; COMPUTE_PGM_RSRC2:TIDIG_COMP_CNT: 0
	.section	.text._ZN7rocprim17ROCPRIM_400000_NS6detail17trampoline_kernelINS0_14default_configENS1_27scan_by_key_config_selectorIsiEEZZNS1_16scan_by_key_implILNS1_25lookback_scan_determinismE0ELb1ES3_N6thrust23THRUST_200600_302600_NS6detail15normal_iteratorINS9_10device_ptrIsEEEESE_SE_iNS9_4plusIvEENS9_8equal_toIvEEiEE10hipError_tPvRmT2_T3_T4_T5_mT6_T7_P12ihipStream_tbENKUlT_T0_E_clISt17integral_constantIbLb0EESY_IbLb1EEEEDaSU_SV_EUlSU_E_NS1_11comp_targetILNS1_3genE9ELNS1_11target_archE1100ELNS1_3gpuE3ELNS1_3repE0EEENS1_30default_config_static_selectorELNS0_4arch9wavefront6targetE0EEEvT1_,"axG",@progbits,_ZN7rocprim17ROCPRIM_400000_NS6detail17trampoline_kernelINS0_14default_configENS1_27scan_by_key_config_selectorIsiEEZZNS1_16scan_by_key_implILNS1_25lookback_scan_determinismE0ELb1ES3_N6thrust23THRUST_200600_302600_NS6detail15normal_iteratorINS9_10device_ptrIsEEEESE_SE_iNS9_4plusIvEENS9_8equal_toIvEEiEE10hipError_tPvRmT2_T3_T4_T5_mT6_T7_P12ihipStream_tbENKUlT_T0_E_clISt17integral_constantIbLb0EESY_IbLb1EEEEDaSU_SV_EUlSU_E_NS1_11comp_targetILNS1_3genE9ELNS1_11target_archE1100ELNS1_3gpuE3ELNS1_3repE0EEENS1_30default_config_static_selectorELNS0_4arch9wavefront6targetE0EEEvT1_,comdat
	.protected	_ZN7rocprim17ROCPRIM_400000_NS6detail17trampoline_kernelINS0_14default_configENS1_27scan_by_key_config_selectorIsiEEZZNS1_16scan_by_key_implILNS1_25lookback_scan_determinismE0ELb1ES3_N6thrust23THRUST_200600_302600_NS6detail15normal_iteratorINS9_10device_ptrIsEEEESE_SE_iNS9_4plusIvEENS9_8equal_toIvEEiEE10hipError_tPvRmT2_T3_T4_T5_mT6_T7_P12ihipStream_tbENKUlT_T0_E_clISt17integral_constantIbLb0EESY_IbLb1EEEEDaSU_SV_EUlSU_E_NS1_11comp_targetILNS1_3genE9ELNS1_11target_archE1100ELNS1_3gpuE3ELNS1_3repE0EEENS1_30default_config_static_selectorELNS0_4arch9wavefront6targetE0EEEvT1_ ; -- Begin function _ZN7rocprim17ROCPRIM_400000_NS6detail17trampoline_kernelINS0_14default_configENS1_27scan_by_key_config_selectorIsiEEZZNS1_16scan_by_key_implILNS1_25lookback_scan_determinismE0ELb1ES3_N6thrust23THRUST_200600_302600_NS6detail15normal_iteratorINS9_10device_ptrIsEEEESE_SE_iNS9_4plusIvEENS9_8equal_toIvEEiEE10hipError_tPvRmT2_T3_T4_T5_mT6_T7_P12ihipStream_tbENKUlT_T0_E_clISt17integral_constantIbLb0EESY_IbLb1EEEEDaSU_SV_EUlSU_E_NS1_11comp_targetILNS1_3genE9ELNS1_11target_archE1100ELNS1_3gpuE3ELNS1_3repE0EEENS1_30default_config_static_selectorELNS0_4arch9wavefront6targetE0EEEvT1_
	.globl	_ZN7rocprim17ROCPRIM_400000_NS6detail17trampoline_kernelINS0_14default_configENS1_27scan_by_key_config_selectorIsiEEZZNS1_16scan_by_key_implILNS1_25lookback_scan_determinismE0ELb1ES3_N6thrust23THRUST_200600_302600_NS6detail15normal_iteratorINS9_10device_ptrIsEEEESE_SE_iNS9_4plusIvEENS9_8equal_toIvEEiEE10hipError_tPvRmT2_T3_T4_T5_mT6_T7_P12ihipStream_tbENKUlT_T0_E_clISt17integral_constantIbLb0EESY_IbLb1EEEEDaSU_SV_EUlSU_E_NS1_11comp_targetILNS1_3genE9ELNS1_11target_archE1100ELNS1_3gpuE3ELNS1_3repE0EEENS1_30default_config_static_selectorELNS0_4arch9wavefront6targetE0EEEvT1_
	.p2align	8
	.type	_ZN7rocprim17ROCPRIM_400000_NS6detail17trampoline_kernelINS0_14default_configENS1_27scan_by_key_config_selectorIsiEEZZNS1_16scan_by_key_implILNS1_25lookback_scan_determinismE0ELb1ES3_N6thrust23THRUST_200600_302600_NS6detail15normal_iteratorINS9_10device_ptrIsEEEESE_SE_iNS9_4plusIvEENS9_8equal_toIvEEiEE10hipError_tPvRmT2_T3_T4_T5_mT6_T7_P12ihipStream_tbENKUlT_T0_E_clISt17integral_constantIbLb0EESY_IbLb1EEEEDaSU_SV_EUlSU_E_NS1_11comp_targetILNS1_3genE9ELNS1_11target_archE1100ELNS1_3gpuE3ELNS1_3repE0EEENS1_30default_config_static_selectorELNS0_4arch9wavefront6targetE0EEEvT1_,@function
_ZN7rocprim17ROCPRIM_400000_NS6detail17trampoline_kernelINS0_14default_configENS1_27scan_by_key_config_selectorIsiEEZZNS1_16scan_by_key_implILNS1_25lookback_scan_determinismE0ELb1ES3_N6thrust23THRUST_200600_302600_NS6detail15normal_iteratorINS9_10device_ptrIsEEEESE_SE_iNS9_4plusIvEENS9_8equal_toIvEEiEE10hipError_tPvRmT2_T3_T4_T5_mT6_T7_P12ihipStream_tbENKUlT_T0_E_clISt17integral_constantIbLb0EESY_IbLb1EEEEDaSU_SV_EUlSU_E_NS1_11comp_targetILNS1_3genE9ELNS1_11target_archE1100ELNS1_3gpuE3ELNS1_3repE0EEENS1_30default_config_static_selectorELNS0_4arch9wavefront6targetE0EEEvT1_: ; @_ZN7rocprim17ROCPRIM_400000_NS6detail17trampoline_kernelINS0_14default_configENS1_27scan_by_key_config_selectorIsiEEZZNS1_16scan_by_key_implILNS1_25lookback_scan_determinismE0ELb1ES3_N6thrust23THRUST_200600_302600_NS6detail15normal_iteratorINS9_10device_ptrIsEEEESE_SE_iNS9_4plusIvEENS9_8equal_toIvEEiEE10hipError_tPvRmT2_T3_T4_T5_mT6_T7_P12ihipStream_tbENKUlT_T0_E_clISt17integral_constantIbLb0EESY_IbLb1EEEEDaSU_SV_EUlSU_E_NS1_11comp_targetILNS1_3genE9ELNS1_11target_archE1100ELNS1_3gpuE3ELNS1_3repE0EEENS1_30default_config_static_selectorELNS0_4arch9wavefront6targetE0EEEvT1_
; %bb.0:
	.section	.rodata,"a",@progbits
	.p2align	6, 0x0
	.amdhsa_kernel _ZN7rocprim17ROCPRIM_400000_NS6detail17trampoline_kernelINS0_14default_configENS1_27scan_by_key_config_selectorIsiEEZZNS1_16scan_by_key_implILNS1_25lookback_scan_determinismE0ELb1ES3_N6thrust23THRUST_200600_302600_NS6detail15normal_iteratorINS9_10device_ptrIsEEEESE_SE_iNS9_4plusIvEENS9_8equal_toIvEEiEE10hipError_tPvRmT2_T3_T4_T5_mT6_T7_P12ihipStream_tbENKUlT_T0_E_clISt17integral_constantIbLb0EESY_IbLb1EEEEDaSU_SV_EUlSU_E_NS1_11comp_targetILNS1_3genE9ELNS1_11target_archE1100ELNS1_3gpuE3ELNS1_3repE0EEENS1_30default_config_static_selectorELNS0_4arch9wavefront6targetE0EEEvT1_
		.amdhsa_group_segment_fixed_size 0
		.amdhsa_private_segment_fixed_size 0
		.amdhsa_kernarg_size 112
		.amdhsa_user_sgpr_count 2
		.amdhsa_user_sgpr_dispatch_ptr 0
		.amdhsa_user_sgpr_queue_ptr 0
		.amdhsa_user_sgpr_kernarg_segment_ptr 1
		.amdhsa_user_sgpr_dispatch_id 0
		.amdhsa_user_sgpr_kernarg_preload_length 0
		.amdhsa_user_sgpr_kernarg_preload_offset 0
		.amdhsa_user_sgpr_private_segment_size 0
		.amdhsa_wavefront_size32 1
		.amdhsa_uses_dynamic_stack 0
		.amdhsa_enable_private_segment 0
		.amdhsa_system_sgpr_workgroup_id_x 1
		.amdhsa_system_sgpr_workgroup_id_y 0
		.amdhsa_system_sgpr_workgroup_id_z 0
		.amdhsa_system_sgpr_workgroup_info 0
		.amdhsa_system_vgpr_workitem_id 0
		.amdhsa_next_free_vgpr 1
		.amdhsa_next_free_sgpr 1
		.amdhsa_named_barrier_count 0
		.amdhsa_reserve_vcc 0
		.amdhsa_float_round_mode_32 0
		.amdhsa_float_round_mode_16_64 0
		.amdhsa_float_denorm_mode_32 3
		.amdhsa_float_denorm_mode_16_64 3
		.amdhsa_fp16_overflow 0
		.amdhsa_memory_ordered 1
		.amdhsa_forward_progress 1
		.amdhsa_inst_pref_size 0
		.amdhsa_round_robin_scheduling 0
		.amdhsa_exception_fp_ieee_invalid_op 0
		.amdhsa_exception_fp_denorm_src 0
		.amdhsa_exception_fp_ieee_div_zero 0
		.amdhsa_exception_fp_ieee_overflow 0
		.amdhsa_exception_fp_ieee_underflow 0
		.amdhsa_exception_fp_ieee_inexact 0
		.amdhsa_exception_int_div_zero 0
	.end_amdhsa_kernel
	.section	.text._ZN7rocprim17ROCPRIM_400000_NS6detail17trampoline_kernelINS0_14default_configENS1_27scan_by_key_config_selectorIsiEEZZNS1_16scan_by_key_implILNS1_25lookback_scan_determinismE0ELb1ES3_N6thrust23THRUST_200600_302600_NS6detail15normal_iteratorINS9_10device_ptrIsEEEESE_SE_iNS9_4plusIvEENS9_8equal_toIvEEiEE10hipError_tPvRmT2_T3_T4_T5_mT6_T7_P12ihipStream_tbENKUlT_T0_E_clISt17integral_constantIbLb0EESY_IbLb1EEEEDaSU_SV_EUlSU_E_NS1_11comp_targetILNS1_3genE9ELNS1_11target_archE1100ELNS1_3gpuE3ELNS1_3repE0EEENS1_30default_config_static_selectorELNS0_4arch9wavefront6targetE0EEEvT1_,"axG",@progbits,_ZN7rocprim17ROCPRIM_400000_NS6detail17trampoline_kernelINS0_14default_configENS1_27scan_by_key_config_selectorIsiEEZZNS1_16scan_by_key_implILNS1_25lookback_scan_determinismE0ELb1ES3_N6thrust23THRUST_200600_302600_NS6detail15normal_iteratorINS9_10device_ptrIsEEEESE_SE_iNS9_4plusIvEENS9_8equal_toIvEEiEE10hipError_tPvRmT2_T3_T4_T5_mT6_T7_P12ihipStream_tbENKUlT_T0_E_clISt17integral_constantIbLb0EESY_IbLb1EEEEDaSU_SV_EUlSU_E_NS1_11comp_targetILNS1_3genE9ELNS1_11target_archE1100ELNS1_3gpuE3ELNS1_3repE0EEENS1_30default_config_static_selectorELNS0_4arch9wavefront6targetE0EEEvT1_,comdat
.Lfunc_end1079:
	.size	_ZN7rocprim17ROCPRIM_400000_NS6detail17trampoline_kernelINS0_14default_configENS1_27scan_by_key_config_selectorIsiEEZZNS1_16scan_by_key_implILNS1_25lookback_scan_determinismE0ELb1ES3_N6thrust23THRUST_200600_302600_NS6detail15normal_iteratorINS9_10device_ptrIsEEEESE_SE_iNS9_4plusIvEENS9_8equal_toIvEEiEE10hipError_tPvRmT2_T3_T4_T5_mT6_T7_P12ihipStream_tbENKUlT_T0_E_clISt17integral_constantIbLb0EESY_IbLb1EEEEDaSU_SV_EUlSU_E_NS1_11comp_targetILNS1_3genE9ELNS1_11target_archE1100ELNS1_3gpuE3ELNS1_3repE0EEENS1_30default_config_static_selectorELNS0_4arch9wavefront6targetE0EEEvT1_, .Lfunc_end1079-_ZN7rocprim17ROCPRIM_400000_NS6detail17trampoline_kernelINS0_14default_configENS1_27scan_by_key_config_selectorIsiEEZZNS1_16scan_by_key_implILNS1_25lookback_scan_determinismE0ELb1ES3_N6thrust23THRUST_200600_302600_NS6detail15normal_iteratorINS9_10device_ptrIsEEEESE_SE_iNS9_4plusIvEENS9_8equal_toIvEEiEE10hipError_tPvRmT2_T3_T4_T5_mT6_T7_P12ihipStream_tbENKUlT_T0_E_clISt17integral_constantIbLb0EESY_IbLb1EEEEDaSU_SV_EUlSU_E_NS1_11comp_targetILNS1_3genE9ELNS1_11target_archE1100ELNS1_3gpuE3ELNS1_3repE0EEENS1_30default_config_static_selectorELNS0_4arch9wavefront6targetE0EEEvT1_
                                        ; -- End function
	.set _ZN7rocprim17ROCPRIM_400000_NS6detail17trampoline_kernelINS0_14default_configENS1_27scan_by_key_config_selectorIsiEEZZNS1_16scan_by_key_implILNS1_25lookback_scan_determinismE0ELb1ES3_N6thrust23THRUST_200600_302600_NS6detail15normal_iteratorINS9_10device_ptrIsEEEESE_SE_iNS9_4plusIvEENS9_8equal_toIvEEiEE10hipError_tPvRmT2_T3_T4_T5_mT6_T7_P12ihipStream_tbENKUlT_T0_E_clISt17integral_constantIbLb0EESY_IbLb1EEEEDaSU_SV_EUlSU_E_NS1_11comp_targetILNS1_3genE9ELNS1_11target_archE1100ELNS1_3gpuE3ELNS1_3repE0EEENS1_30default_config_static_selectorELNS0_4arch9wavefront6targetE0EEEvT1_.num_vgpr, 0
	.set _ZN7rocprim17ROCPRIM_400000_NS6detail17trampoline_kernelINS0_14default_configENS1_27scan_by_key_config_selectorIsiEEZZNS1_16scan_by_key_implILNS1_25lookback_scan_determinismE0ELb1ES3_N6thrust23THRUST_200600_302600_NS6detail15normal_iteratorINS9_10device_ptrIsEEEESE_SE_iNS9_4plusIvEENS9_8equal_toIvEEiEE10hipError_tPvRmT2_T3_T4_T5_mT6_T7_P12ihipStream_tbENKUlT_T0_E_clISt17integral_constantIbLb0EESY_IbLb1EEEEDaSU_SV_EUlSU_E_NS1_11comp_targetILNS1_3genE9ELNS1_11target_archE1100ELNS1_3gpuE3ELNS1_3repE0EEENS1_30default_config_static_selectorELNS0_4arch9wavefront6targetE0EEEvT1_.num_agpr, 0
	.set _ZN7rocprim17ROCPRIM_400000_NS6detail17trampoline_kernelINS0_14default_configENS1_27scan_by_key_config_selectorIsiEEZZNS1_16scan_by_key_implILNS1_25lookback_scan_determinismE0ELb1ES3_N6thrust23THRUST_200600_302600_NS6detail15normal_iteratorINS9_10device_ptrIsEEEESE_SE_iNS9_4plusIvEENS9_8equal_toIvEEiEE10hipError_tPvRmT2_T3_T4_T5_mT6_T7_P12ihipStream_tbENKUlT_T0_E_clISt17integral_constantIbLb0EESY_IbLb1EEEEDaSU_SV_EUlSU_E_NS1_11comp_targetILNS1_3genE9ELNS1_11target_archE1100ELNS1_3gpuE3ELNS1_3repE0EEENS1_30default_config_static_selectorELNS0_4arch9wavefront6targetE0EEEvT1_.numbered_sgpr, 0
	.set _ZN7rocprim17ROCPRIM_400000_NS6detail17trampoline_kernelINS0_14default_configENS1_27scan_by_key_config_selectorIsiEEZZNS1_16scan_by_key_implILNS1_25lookback_scan_determinismE0ELb1ES3_N6thrust23THRUST_200600_302600_NS6detail15normal_iteratorINS9_10device_ptrIsEEEESE_SE_iNS9_4plusIvEENS9_8equal_toIvEEiEE10hipError_tPvRmT2_T3_T4_T5_mT6_T7_P12ihipStream_tbENKUlT_T0_E_clISt17integral_constantIbLb0EESY_IbLb1EEEEDaSU_SV_EUlSU_E_NS1_11comp_targetILNS1_3genE9ELNS1_11target_archE1100ELNS1_3gpuE3ELNS1_3repE0EEENS1_30default_config_static_selectorELNS0_4arch9wavefront6targetE0EEEvT1_.num_named_barrier, 0
	.set _ZN7rocprim17ROCPRIM_400000_NS6detail17trampoline_kernelINS0_14default_configENS1_27scan_by_key_config_selectorIsiEEZZNS1_16scan_by_key_implILNS1_25lookback_scan_determinismE0ELb1ES3_N6thrust23THRUST_200600_302600_NS6detail15normal_iteratorINS9_10device_ptrIsEEEESE_SE_iNS9_4plusIvEENS9_8equal_toIvEEiEE10hipError_tPvRmT2_T3_T4_T5_mT6_T7_P12ihipStream_tbENKUlT_T0_E_clISt17integral_constantIbLb0EESY_IbLb1EEEEDaSU_SV_EUlSU_E_NS1_11comp_targetILNS1_3genE9ELNS1_11target_archE1100ELNS1_3gpuE3ELNS1_3repE0EEENS1_30default_config_static_selectorELNS0_4arch9wavefront6targetE0EEEvT1_.private_seg_size, 0
	.set _ZN7rocprim17ROCPRIM_400000_NS6detail17trampoline_kernelINS0_14default_configENS1_27scan_by_key_config_selectorIsiEEZZNS1_16scan_by_key_implILNS1_25lookback_scan_determinismE0ELb1ES3_N6thrust23THRUST_200600_302600_NS6detail15normal_iteratorINS9_10device_ptrIsEEEESE_SE_iNS9_4plusIvEENS9_8equal_toIvEEiEE10hipError_tPvRmT2_T3_T4_T5_mT6_T7_P12ihipStream_tbENKUlT_T0_E_clISt17integral_constantIbLb0EESY_IbLb1EEEEDaSU_SV_EUlSU_E_NS1_11comp_targetILNS1_3genE9ELNS1_11target_archE1100ELNS1_3gpuE3ELNS1_3repE0EEENS1_30default_config_static_selectorELNS0_4arch9wavefront6targetE0EEEvT1_.uses_vcc, 0
	.set _ZN7rocprim17ROCPRIM_400000_NS6detail17trampoline_kernelINS0_14default_configENS1_27scan_by_key_config_selectorIsiEEZZNS1_16scan_by_key_implILNS1_25lookback_scan_determinismE0ELb1ES3_N6thrust23THRUST_200600_302600_NS6detail15normal_iteratorINS9_10device_ptrIsEEEESE_SE_iNS9_4plusIvEENS9_8equal_toIvEEiEE10hipError_tPvRmT2_T3_T4_T5_mT6_T7_P12ihipStream_tbENKUlT_T0_E_clISt17integral_constantIbLb0EESY_IbLb1EEEEDaSU_SV_EUlSU_E_NS1_11comp_targetILNS1_3genE9ELNS1_11target_archE1100ELNS1_3gpuE3ELNS1_3repE0EEENS1_30default_config_static_selectorELNS0_4arch9wavefront6targetE0EEEvT1_.uses_flat_scratch, 0
	.set _ZN7rocprim17ROCPRIM_400000_NS6detail17trampoline_kernelINS0_14default_configENS1_27scan_by_key_config_selectorIsiEEZZNS1_16scan_by_key_implILNS1_25lookback_scan_determinismE0ELb1ES3_N6thrust23THRUST_200600_302600_NS6detail15normal_iteratorINS9_10device_ptrIsEEEESE_SE_iNS9_4plusIvEENS9_8equal_toIvEEiEE10hipError_tPvRmT2_T3_T4_T5_mT6_T7_P12ihipStream_tbENKUlT_T0_E_clISt17integral_constantIbLb0EESY_IbLb1EEEEDaSU_SV_EUlSU_E_NS1_11comp_targetILNS1_3genE9ELNS1_11target_archE1100ELNS1_3gpuE3ELNS1_3repE0EEENS1_30default_config_static_selectorELNS0_4arch9wavefront6targetE0EEEvT1_.has_dyn_sized_stack, 0
	.set _ZN7rocprim17ROCPRIM_400000_NS6detail17trampoline_kernelINS0_14default_configENS1_27scan_by_key_config_selectorIsiEEZZNS1_16scan_by_key_implILNS1_25lookback_scan_determinismE0ELb1ES3_N6thrust23THRUST_200600_302600_NS6detail15normal_iteratorINS9_10device_ptrIsEEEESE_SE_iNS9_4plusIvEENS9_8equal_toIvEEiEE10hipError_tPvRmT2_T3_T4_T5_mT6_T7_P12ihipStream_tbENKUlT_T0_E_clISt17integral_constantIbLb0EESY_IbLb1EEEEDaSU_SV_EUlSU_E_NS1_11comp_targetILNS1_3genE9ELNS1_11target_archE1100ELNS1_3gpuE3ELNS1_3repE0EEENS1_30default_config_static_selectorELNS0_4arch9wavefront6targetE0EEEvT1_.has_recursion, 0
	.set _ZN7rocprim17ROCPRIM_400000_NS6detail17trampoline_kernelINS0_14default_configENS1_27scan_by_key_config_selectorIsiEEZZNS1_16scan_by_key_implILNS1_25lookback_scan_determinismE0ELb1ES3_N6thrust23THRUST_200600_302600_NS6detail15normal_iteratorINS9_10device_ptrIsEEEESE_SE_iNS9_4plusIvEENS9_8equal_toIvEEiEE10hipError_tPvRmT2_T3_T4_T5_mT6_T7_P12ihipStream_tbENKUlT_T0_E_clISt17integral_constantIbLb0EESY_IbLb1EEEEDaSU_SV_EUlSU_E_NS1_11comp_targetILNS1_3genE9ELNS1_11target_archE1100ELNS1_3gpuE3ELNS1_3repE0EEENS1_30default_config_static_selectorELNS0_4arch9wavefront6targetE0EEEvT1_.has_indirect_call, 0
	.section	.AMDGPU.csdata,"",@progbits
; Kernel info:
; codeLenInByte = 0
; TotalNumSgprs: 0
; NumVgprs: 0
; ScratchSize: 0
; MemoryBound: 0
; FloatMode: 240
; IeeeMode: 1
; LDSByteSize: 0 bytes/workgroup (compile time only)
; SGPRBlocks: 0
; VGPRBlocks: 0
; NumSGPRsForWavesPerEU: 1
; NumVGPRsForWavesPerEU: 1
; NamedBarCnt: 0
; Occupancy: 16
; WaveLimiterHint : 0
; COMPUTE_PGM_RSRC2:SCRATCH_EN: 0
; COMPUTE_PGM_RSRC2:USER_SGPR: 2
; COMPUTE_PGM_RSRC2:TRAP_HANDLER: 0
; COMPUTE_PGM_RSRC2:TGID_X_EN: 1
; COMPUTE_PGM_RSRC2:TGID_Y_EN: 0
; COMPUTE_PGM_RSRC2:TGID_Z_EN: 0
; COMPUTE_PGM_RSRC2:TIDIG_COMP_CNT: 0
	.section	.text._ZN7rocprim17ROCPRIM_400000_NS6detail17trampoline_kernelINS0_14default_configENS1_27scan_by_key_config_selectorIsiEEZZNS1_16scan_by_key_implILNS1_25lookback_scan_determinismE0ELb1ES3_N6thrust23THRUST_200600_302600_NS6detail15normal_iteratorINS9_10device_ptrIsEEEESE_SE_iNS9_4plusIvEENS9_8equal_toIvEEiEE10hipError_tPvRmT2_T3_T4_T5_mT6_T7_P12ihipStream_tbENKUlT_T0_E_clISt17integral_constantIbLb0EESY_IbLb1EEEEDaSU_SV_EUlSU_E_NS1_11comp_targetILNS1_3genE8ELNS1_11target_archE1030ELNS1_3gpuE2ELNS1_3repE0EEENS1_30default_config_static_selectorELNS0_4arch9wavefront6targetE0EEEvT1_,"axG",@progbits,_ZN7rocprim17ROCPRIM_400000_NS6detail17trampoline_kernelINS0_14default_configENS1_27scan_by_key_config_selectorIsiEEZZNS1_16scan_by_key_implILNS1_25lookback_scan_determinismE0ELb1ES3_N6thrust23THRUST_200600_302600_NS6detail15normal_iteratorINS9_10device_ptrIsEEEESE_SE_iNS9_4plusIvEENS9_8equal_toIvEEiEE10hipError_tPvRmT2_T3_T4_T5_mT6_T7_P12ihipStream_tbENKUlT_T0_E_clISt17integral_constantIbLb0EESY_IbLb1EEEEDaSU_SV_EUlSU_E_NS1_11comp_targetILNS1_3genE8ELNS1_11target_archE1030ELNS1_3gpuE2ELNS1_3repE0EEENS1_30default_config_static_selectorELNS0_4arch9wavefront6targetE0EEEvT1_,comdat
	.protected	_ZN7rocprim17ROCPRIM_400000_NS6detail17trampoline_kernelINS0_14default_configENS1_27scan_by_key_config_selectorIsiEEZZNS1_16scan_by_key_implILNS1_25lookback_scan_determinismE0ELb1ES3_N6thrust23THRUST_200600_302600_NS6detail15normal_iteratorINS9_10device_ptrIsEEEESE_SE_iNS9_4plusIvEENS9_8equal_toIvEEiEE10hipError_tPvRmT2_T3_T4_T5_mT6_T7_P12ihipStream_tbENKUlT_T0_E_clISt17integral_constantIbLb0EESY_IbLb1EEEEDaSU_SV_EUlSU_E_NS1_11comp_targetILNS1_3genE8ELNS1_11target_archE1030ELNS1_3gpuE2ELNS1_3repE0EEENS1_30default_config_static_selectorELNS0_4arch9wavefront6targetE0EEEvT1_ ; -- Begin function _ZN7rocprim17ROCPRIM_400000_NS6detail17trampoline_kernelINS0_14default_configENS1_27scan_by_key_config_selectorIsiEEZZNS1_16scan_by_key_implILNS1_25lookback_scan_determinismE0ELb1ES3_N6thrust23THRUST_200600_302600_NS6detail15normal_iteratorINS9_10device_ptrIsEEEESE_SE_iNS9_4plusIvEENS9_8equal_toIvEEiEE10hipError_tPvRmT2_T3_T4_T5_mT6_T7_P12ihipStream_tbENKUlT_T0_E_clISt17integral_constantIbLb0EESY_IbLb1EEEEDaSU_SV_EUlSU_E_NS1_11comp_targetILNS1_3genE8ELNS1_11target_archE1030ELNS1_3gpuE2ELNS1_3repE0EEENS1_30default_config_static_selectorELNS0_4arch9wavefront6targetE0EEEvT1_
	.globl	_ZN7rocprim17ROCPRIM_400000_NS6detail17trampoline_kernelINS0_14default_configENS1_27scan_by_key_config_selectorIsiEEZZNS1_16scan_by_key_implILNS1_25lookback_scan_determinismE0ELb1ES3_N6thrust23THRUST_200600_302600_NS6detail15normal_iteratorINS9_10device_ptrIsEEEESE_SE_iNS9_4plusIvEENS9_8equal_toIvEEiEE10hipError_tPvRmT2_T3_T4_T5_mT6_T7_P12ihipStream_tbENKUlT_T0_E_clISt17integral_constantIbLb0EESY_IbLb1EEEEDaSU_SV_EUlSU_E_NS1_11comp_targetILNS1_3genE8ELNS1_11target_archE1030ELNS1_3gpuE2ELNS1_3repE0EEENS1_30default_config_static_selectorELNS0_4arch9wavefront6targetE0EEEvT1_
	.p2align	8
	.type	_ZN7rocprim17ROCPRIM_400000_NS6detail17trampoline_kernelINS0_14default_configENS1_27scan_by_key_config_selectorIsiEEZZNS1_16scan_by_key_implILNS1_25lookback_scan_determinismE0ELb1ES3_N6thrust23THRUST_200600_302600_NS6detail15normal_iteratorINS9_10device_ptrIsEEEESE_SE_iNS9_4plusIvEENS9_8equal_toIvEEiEE10hipError_tPvRmT2_T3_T4_T5_mT6_T7_P12ihipStream_tbENKUlT_T0_E_clISt17integral_constantIbLb0EESY_IbLb1EEEEDaSU_SV_EUlSU_E_NS1_11comp_targetILNS1_3genE8ELNS1_11target_archE1030ELNS1_3gpuE2ELNS1_3repE0EEENS1_30default_config_static_selectorELNS0_4arch9wavefront6targetE0EEEvT1_,@function
_ZN7rocprim17ROCPRIM_400000_NS6detail17trampoline_kernelINS0_14default_configENS1_27scan_by_key_config_selectorIsiEEZZNS1_16scan_by_key_implILNS1_25lookback_scan_determinismE0ELb1ES3_N6thrust23THRUST_200600_302600_NS6detail15normal_iteratorINS9_10device_ptrIsEEEESE_SE_iNS9_4plusIvEENS9_8equal_toIvEEiEE10hipError_tPvRmT2_T3_T4_T5_mT6_T7_P12ihipStream_tbENKUlT_T0_E_clISt17integral_constantIbLb0EESY_IbLb1EEEEDaSU_SV_EUlSU_E_NS1_11comp_targetILNS1_3genE8ELNS1_11target_archE1030ELNS1_3gpuE2ELNS1_3repE0EEENS1_30default_config_static_selectorELNS0_4arch9wavefront6targetE0EEEvT1_: ; @_ZN7rocprim17ROCPRIM_400000_NS6detail17trampoline_kernelINS0_14default_configENS1_27scan_by_key_config_selectorIsiEEZZNS1_16scan_by_key_implILNS1_25lookback_scan_determinismE0ELb1ES3_N6thrust23THRUST_200600_302600_NS6detail15normal_iteratorINS9_10device_ptrIsEEEESE_SE_iNS9_4plusIvEENS9_8equal_toIvEEiEE10hipError_tPvRmT2_T3_T4_T5_mT6_T7_P12ihipStream_tbENKUlT_T0_E_clISt17integral_constantIbLb0EESY_IbLb1EEEEDaSU_SV_EUlSU_E_NS1_11comp_targetILNS1_3genE8ELNS1_11target_archE1030ELNS1_3gpuE2ELNS1_3repE0EEENS1_30default_config_static_selectorELNS0_4arch9wavefront6targetE0EEEvT1_
; %bb.0:
	.section	.rodata,"a",@progbits
	.p2align	6, 0x0
	.amdhsa_kernel _ZN7rocprim17ROCPRIM_400000_NS6detail17trampoline_kernelINS0_14default_configENS1_27scan_by_key_config_selectorIsiEEZZNS1_16scan_by_key_implILNS1_25lookback_scan_determinismE0ELb1ES3_N6thrust23THRUST_200600_302600_NS6detail15normal_iteratorINS9_10device_ptrIsEEEESE_SE_iNS9_4plusIvEENS9_8equal_toIvEEiEE10hipError_tPvRmT2_T3_T4_T5_mT6_T7_P12ihipStream_tbENKUlT_T0_E_clISt17integral_constantIbLb0EESY_IbLb1EEEEDaSU_SV_EUlSU_E_NS1_11comp_targetILNS1_3genE8ELNS1_11target_archE1030ELNS1_3gpuE2ELNS1_3repE0EEENS1_30default_config_static_selectorELNS0_4arch9wavefront6targetE0EEEvT1_
		.amdhsa_group_segment_fixed_size 0
		.amdhsa_private_segment_fixed_size 0
		.amdhsa_kernarg_size 112
		.amdhsa_user_sgpr_count 2
		.amdhsa_user_sgpr_dispatch_ptr 0
		.amdhsa_user_sgpr_queue_ptr 0
		.amdhsa_user_sgpr_kernarg_segment_ptr 1
		.amdhsa_user_sgpr_dispatch_id 0
		.amdhsa_user_sgpr_kernarg_preload_length 0
		.amdhsa_user_sgpr_kernarg_preload_offset 0
		.amdhsa_user_sgpr_private_segment_size 0
		.amdhsa_wavefront_size32 1
		.amdhsa_uses_dynamic_stack 0
		.amdhsa_enable_private_segment 0
		.amdhsa_system_sgpr_workgroup_id_x 1
		.amdhsa_system_sgpr_workgroup_id_y 0
		.amdhsa_system_sgpr_workgroup_id_z 0
		.amdhsa_system_sgpr_workgroup_info 0
		.amdhsa_system_vgpr_workitem_id 0
		.amdhsa_next_free_vgpr 1
		.amdhsa_next_free_sgpr 1
		.amdhsa_named_barrier_count 0
		.amdhsa_reserve_vcc 0
		.amdhsa_float_round_mode_32 0
		.amdhsa_float_round_mode_16_64 0
		.amdhsa_float_denorm_mode_32 3
		.amdhsa_float_denorm_mode_16_64 3
		.amdhsa_fp16_overflow 0
		.amdhsa_memory_ordered 1
		.amdhsa_forward_progress 1
		.amdhsa_inst_pref_size 0
		.amdhsa_round_robin_scheduling 0
		.amdhsa_exception_fp_ieee_invalid_op 0
		.amdhsa_exception_fp_denorm_src 0
		.amdhsa_exception_fp_ieee_div_zero 0
		.amdhsa_exception_fp_ieee_overflow 0
		.amdhsa_exception_fp_ieee_underflow 0
		.amdhsa_exception_fp_ieee_inexact 0
		.amdhsa_exception_int_div_zero 0
	.end_amdhsa_kernel
	.section	.text._ZN7rocprim17ROCPRIM_400000_NS6detail17trampoline_kernelINS0_14default_configENS1_27scan_by_key_config_selectorIsiEEZZNS1_16scan_by_key_implILNS1_25lookback_scan_determinismE0ELb1ES3_N6thrust23THRUST_200600_302600_NS6detail15normal_iteratorINS9_10device_ptrIsEEEESE_SE_iNS9_4plusIvEENS9_8equal_toIvEEiEE10hipError_tPvRmT2_T3_T4_T5_mT6_T7_P12ihipStream_tbENKUlT_T0_E_clISt17integral_constantIbLb0EESY_IbLb1EEEEDaSU_SV_EUlSU_E_NS1_11comp_targetILNS1_3genE8ELNS1_11target_archE1030ELNS1_3gpuE2ELNS1_3repE0EEENS1_30default_config_static_selectorELNS0_4arch9wavefront6targetE0EEEvT1_,"axG",@progbits,_ZN7rocprim17ROCPRIM_400000_NS6detail17trampoline_kernelINS0_14default_configENS1_27scan_by_key_config_selectorIsiEEZZNS1_16scan_by_key_implILNS1_25lookback_scan_determinismE0ELb1ES3_N6thrust23THRUST_200600_302600_NS6detail15normal_iteratorINS9_10device_ptrIsEEEESE_SE_iNS9_4plusIvEENS9_8equal_toIvEEiEE10hipError_tPvRmT2_T3_T4_T5_mT6_T7_P12ihipStream_tbENKUlT_T0_E_clISt17integral_constantIbLb0EESY_IbLb1EEEEDaSU_SV_EUlSU_E_NS1_11comp_targetILNS1_3genE8ELNS1_11target_archE1030ELNS1_3gpuE2ELNS1_3repE0EEENS1_30default_config_static_selectorELNS0_4arch9wavefront6targetE0EEEvT1_,comdat
.Lfunc_end1080:
	.size	_ZN7rocprim17ROCPRIM_400000_NS6detail17trampoline_kernelINS0_14default_configENS1_27scan_by_key_config_selectorIsiEEZZNS1_16scan_by_key_implILNS1_25lookback_scan_determinismE0ELb1ES3_N6thrust23THRUST_200600_302600_NS6detail15normal_iteratorINS9_10device_ptrIsEEEESE_SE_iNS9_4plusIvEENS9_8equal_toIvEEiEE10hipError_tPvRmT2_T3_T4_T5_mT6_T7_P12ihipStream_tbENKUlT_T0_E_clISt17integral_constantIbLb0EESY_IbLb1EEEEDaSU_SV_EUlSU_E_NS1_11comp_targetILNS1_3genE8ELNS1_11target_archE1030ELNS1_3gpuE2ELNS1_3repE0EEENS1_30default_config_static_selectorELNS0_4arch9wavefront6targetE0EEEvT1_, .Lfunc_end1080-_ZN7rocprim17ROCPRIM_400000_NS6detail17trampoline_kernelINS0_14default_configENS1_27scan_by_key_config_selectorIsiEEZZNS1_16scan_by_key_implILNS1_25lookback_scan_determinismE0ELb1ES3_N6thrust23THRUST_200600_302600_NS6detail15normal_iteratorINS9_10device_ptrIsEEEESE_SE_iNS9_4plusIvEENS9_8equal_toIvEEiEE10hipError_tPvRmT2_T3_T4_T5_mT6_T7_P12ihipStream_tbENKUlT_T0_E_clISt17integral_constantIbLb0EESY_IbLb1EEEEDaSU_SV_EUlSU_E_NS1_11comp_targetILNS1_3genE8ELNS1_11target_archE1030ELNS1_3gpuE2ELNS1_3repE0EEENS1_30default_config_static_selectorELNS0_4arch9wavefront6targetE0EEEvT1_
                                        ; -- End function
	.set _ZN7rocprim17ROCPRIM_400000_NS6detail17trampoline_kernelINS0_14default_configENS1_27scan_by_key_config_selectorIsiEEZZNS1_16scan_by_key_implILNS1_25lookback_scan_determinismE0ELb1ES3_N6thrust23THRUST_200600_302600_NS6detail15normal_iteratorINS9_10device_ptrIsEEEESE_SE_iNS9_4plusIvEENS9_8equal_toIvEEiEE10hipError_tPvRmT2_T3_T4_T5_mT6_T7_P12ihipStream_tbENKUlT_T0_E_clISt17integral_constantIbLb0EESY_IbLb1EEEEDaSU_SV_EUlSU_E_NS1_11comp_targetILNS1_3genE8ELNS1_11target_archE1030ELNS1_3gpuE2ELNS1_3repE0EEENS1_30default_config_static_selectorELNS0_4arch9wavefront6targetE0EEEvT1_.num_vgpr, 0
	.set _ZN7rocprim17ROCPRIM_400000_NS6detail17trampoline_kernelINS0_14default_configENS1_27scan_by_key_config_selectorIsiEEZZNS1_16scan_by_key_implILNS1_25lookback_scan_determinismE0ELb1ES3_N6thrust23THRUST_200600_302600_NS6detail15normal_iteratorINS9_10device_ptrIsEEEESE_SE_iNS9_4plusIvEENS9_8equal_toIvEEiEE10hipError_tPvRmT2_T3_T4_T5_mT6_T7_P12ihipStream_tbENKUlT_T0_E_clISt17integral_constantIbLb0EESY_IbLb1EEEEDaSU_SV_EUlSU_E_NS1_11comp_targetILNS1_3genE8ELNS1_11target_archE1030ELNS1_3gpuE2ELNS1_3repE0EEENS1_30default_config_static_selectorELNS0_4arch9wavefront6targetE0EEEvT1_.num_agpr, 0
	.set _ZN7rocprim17ROCPRIM_400000_NS6detail17trampoline_kernelINS0_14default_configENS1_27scan_by_key_config_selectorIsiEEZZNS1_16scan_by_key_implILNS1_25lookback_scan_determinismE0ELb1ES3_N6thrust23THRUST_200600_302600_NS6detail15normal_iteratorINS9_10device_ptrIsEEEESE_SE_iNS9_4plusIvEENS9_8equal_toIvEEiEE10hipError_tPvRmT2_T3_T4_T5_mT6_T7_P12ihipStream_tbENKUlT_T0_E_clISt17integral_constantIbLb0EESY_IbLb1EEEEDaSU_SV_EUlSU_E_NS1_11comp_targetILNS1_3genE8ELNS1_11target_archE1030ELNS1_3gpuE2ELNS1_3repE0EEENS1_30default_config_static_selectorELNS0_4arch9wavefront6targetE0EEEvT1_.numbered_sgpr, 0
	.set _ZN7rocprim17ROCPRIM_400000_NS6detail17trampoline_kernelINS0_14default_configENS1_27scan_by_key_config_selectorIsiEEZZNS1_16scan_by_key_implILNS1_25lookback_scan_determinismE0ELb1ES3_N6thrust23THRUST_200600_302600_NS6detail15normal_iteratorINS9_10device_ptrIsEEEESE_SE_iNS9_4plusIvEENS9_8equal_toIvEEiEE10hipError_tPvRmT2_T3_T4_T5_mT6_T7_P12ihipStream_tbENKUlT_T0_E_clISt17integral_constantIbLb0EESY_IbLb1EEEEDaSU_SV_EUlSU_E_NS1_11comp_targetILNS1_3genE8ELNS1_11target_archE1030ELNS1_3gpuE2ELNS1_3repE0EEENS1_30default_config_static_selectorELNS0_4arch9wavefront6targetE0EEEvT1_.num_named_barrier, 0
	.set _ZN7rocprim17ROCPRIM_400000_NS6detail17trampoline_kernelINS0_14default_configENS1_27scan_by_key_config_selectorIsiEEZZNS1_16scan_by_key_implILNS1_25lookback_scan_determinismE0ELb1ES3_N6thrust23THRUST_200600_302600_NS6detail15normal_iteratorINS9_10device_ptrIsEEEESE_SE_iNS9_4plusIvEENS9_8equal_toIvEEiEE10hipError_tPvRmT2_T3_T4_T5_mT6_T7_P12ihipStream_tbENKUlT_T0_E_clISt17integral_constantIbLb0EESY_IbLb1EEEEDaSU_SV_EUlSU_E_NS1_11comp_targetILNS1_3genE8ELNS1_11target_archE1030ELNS1_3gpuE2ELNS1_3repE0EEENS1_30default_config_static_selectorELNS0_4arch9wavefront6targetE0EEEvT1_.private_seg_size, 0
	.set _ZN7rocprim17ROCPRIM_400000_NS6detail17trampoline_kernelINS0_14default_configENS1_27scan_by_key_config_selectorIsiEEZZNS1_16scan_by_key_implILNS1_25lookback_scan_determinismE0ELb1ES3_N6thrust23THRUST_200600_302600_NS6detail15normal_iteratorINS9_10device_ptrIsEEEESE_SE_iNS9_4plusIvEENS9_8equal_toIvEEiEE10hipError_tPvRmT2_T3_T4_T5_mT6_T7_P12ihipStream_tbENKUlT_T0_E_clISt17integral_constantIbLb0EESY_IbLb1EEEEDaSU_SV_EUlSU_E_NS1_11comp_targetILNS1_3genE8ELNS1_11target_archE1030ELNS1_3gpuE2ELNS1_3repE0EEENS1_30default_config_static_selectorELNS0_4arch9wavefront6targetE0EEEvT1_.uses_vcc, 0
	.set _ZN7rocprim17ROCPRIM_400000_NS6detail17trampoline_kernelINS0_14default_configENS1_27scan_by_key_config_selectorIsiEEZZNS1_16scan_by_key_implILNS1_25lookback_scan_determinismE0ELb1ES3_N6thrust23THRUST_200600_302600_NS6detail15normal_iteratorINS9_10device_ptrIsEEEESE_SE_iNS9_4plusIvEENS9_8equal_toIvEEiEE10hipError_tPvRmT2_T3_T4_T5_mT6_T7_P12ihipStream_tbENKUlT_T0_E_clISt17integral_constantIbLb0EESY_IbLb1EEEEDaSU_SV_EUlSU_E_NS1_11comp_targetILNS1_3genE8ELNS1_11target_archE1030ELNS1_3gpuE2ELNS1_3repE0EEENS1_30default_config_static_selectorELNS0_4arch9wavefront6targetE0EEEvT1_.uses_flat_scratch, 0
	.set _ZN7rocprim17ROCPRIM_400000_NS6detail17trampoline_kernelINS0_14default_configENS1_27scan_by_key_config_selectorIsiEEZZNS1_16scan_by_key_implILNS1_25lookback_scan_determinismE0ELb1ES3_N6thrust23THRUST_200600_302600_NS6detail15normal_iteratorINS9_10device_ptrIsEEEESE_SE_iNS9_4plusIvEENS9_8equal_toIvEEiEE10hipError_tPvRmT2_T3_T4_T5_mT6_T7_P12ihipStream_tbENKUlT_T0_E_clISt17integral_constantIbLb0EESY_IbLb1EEEEDaSU_SV_EUlSU_E_NS1_11comp_targetILNS1_3genE8ELNS1_11target_archE1030ELNS1_3gpuE2ELNS1_3repE0EEENS1_30default_config_static_selectorELNS0_4arch9wavefront6targetE0EEEvT1_.has_dyn_sized_stack, 0
	.set _ZN7rocprim17ROCPRIM_400000_NS6detail17trampoline_kernelINS0_14default_configENS1_27scan_by_key_config_selectorIsiEEZZNS1_16scan_by_key_implILNS1_25lookback_scan_determinismE0ELb1ES3_N6thrust23THRUST_200600_302600_NS6detail15normal_iteratorINS9_10device_ptrIsEEEESE_SE_iNS9_4plusIvEENS9_8equal_toIvEEiEE10hipError_tPvRmT2_T3_T4_T5_mT6_T7_P12ihipStream_tbENKUlT_T0_E_clISt17integral_constantIbLb0EESY_IbLb1EEEEDaSU_SV_EUlSU_E_NS1_11comp_targetILNS1_3genE8ELNS1_11target_archE1030ELNS1_3gpuE2ELNS1_3repE0EEENS1_30default_config_static_selectorELNS0_4arch9wavefront6targetE0EEEvT1_.has_recursion, 0
	.set _ZN7rocprim17ROCPRIM_400000_NS6detail17trampoline_kernelINS0_14default_configENS1_27scan_by_key_config_selectorIsiEEZZNS1_16scan_by_key_implILNS1_25lookback_scan_determinismE0ELb1ES3_N6thrust23THRUST_200600_302600_NS6detail15normal_iteratorINS9_10device_ptrIsEEEESE_SE_iNS9_4plusIvEENS9_8equal_toIvEEiEE10hipError_tPvRmT2_T3_T4_T5_mT6_T7_P12ihipStream_tbENKUlT_T0_E_clISt17integral_constantIbLb0EESY_IbLb1EEEEDaSU_SV_EUlSU_E_NS1_11comp_targetILNS1_3genE8ELNS1_11target_archE1030ELNS1_3gpuE2ELNS1_3repE0EEENS1_30default_config_static_selectorELNS0_4arch9wavefront6targetE0EEEvT1_.has_indirect_call, 0
	.section	.AMDGPU.csdata,"",@progbits
; Kernel info:
; codeLenInByte = 0
; TotalNumSgprs: 0
; NumVgprs: 0
; ScratchSize: 0
; MemoryBound: 0
; FloatMode: 240
; IeeeMode: 1
; LDSByteSize: 0 bytes/workgroup (compile time only)
; SGPRBlocks: 0
; VGPRBlocks: 0
; NumSGPRsForWavesPerEU: 1
; NumVGPRsForWavesPerEU: 1
; NamedBarCnt: 0
; Occupancy: 16
; WaveLimiterHint : 0
; COMPUTE_PGM_RSRC2:SCRATCH_EN: 0
; COMPUTE_PGM_RSRC2:USER_SGPR: 2
; COMPUTE_PGM_RSRC2:TRAP_HANDLER: 0
; COMPUTE_PGM_RSRC2:TGID_X_EN: 1
; COMPUTE_PGM_RSRC2:TGID_Y_EN: 0
; COMPUTE_PGM_RSRC2:TGID_Z_EN: 0
; COMPUTE_PGM_RSRC2:TIDIG_COMP_CNT: 0
	.section	.text._ZN6thrust23THRUST_200600_302600_NS11hip_rocprim14__parallel_for6kernelILj256ENS1_11__transform17unary_transform_fINS0_7pointerIiNS1_3tagENS0_11use_defaultES8_EENS0_10device_ptrIdEENS4_14no_stencil_tagENS0_8identityIiEENS4_21always_true_predicateEEElLj1EEEvT0_T1_SI_,"axG",@progbits,_ZN6thrust23THRUST_200600_302600_NS11hip_rocprim14__parallel_for6kernelILj256ENS1_11__transform17unary_transform_fINS0_7pointerIiNS1_3tagENS0_11use_defaultES8_EENS0_10device_ptrIdEENS4_14no_stencil_tagENS0_8identityIiEENS4_21always_true_predicateEEElLj1EEEvT0_T1_SI_,comdat
	.protected	_ZN6thrust23THRUST_200600_302600_NS11hip_rocprim14__parallel_for6kernelILj256ENS1_11__transform17unary_transform_fINS0_7pointerIiNS1_3tagENS0_11use_defaultES8_EENS0_10device_ptrIdEENS4_14no_stencil_tagENS0_8identityIiEENS4_21always_true_predicateEEElLj1EEEvT0_T1_SI_ ; -- Begin function _ZN6thrust23THRUST_200600_302600_NS11hip_rocprim14__parallel_for6kernelILj256ENS1_11__transform17unary_transform_fINS0_7pointerIiNS1_3tagENS0_11use_defaultES8_EENS0_10device_ptrIdEENS4_14no_stencil_tagENS0_8identityIiEENS4_21always_true_predicateEEElLj1EEEvT0_T1_SI_
	.globl	_ZN6thrust23THRUST_200600_302600_NS11hip_rocprim14__parallel_for6kernelILj256ENS1_11__transform17unary_transform_fINS0_7pointerIiNS1_3tagENS0_11use_defaultES8_EENS0_10device_ptrIdEENS4_14no_stencil_tagENS0_8identityIiEENS4_21always_true_predicateEEElLj1EEEvT0_T1_SI_
	.p2align	8
	.type	_ZN6thrust23THRUST_200600_302600_NS11hip_rocprim14__parallel_for6kernelILj256ENS1_11__transform17unary_transform_fINS0_7pointerIiNS1_3tagENS0_11use_defaultES8_EENS0_10device_ptrIdEENS4_14no_stencil_tagENS0_8identityIiEENS4_21always_true_predicateEEElLj1EEEvT0_T1_SI_,@function
_ZN6thrust23THRUST_200600_302600_NS11hip_rocprim14__parallel_for6kernelILj256ENS1_11__transform17unary_transform_fINS0_7pointerIiNS1_3tagENS0_11use_defaultES8_EENS0_10device_ptrIdEENS4_14no_stencil_tagENS0_8identityIiEENS4_21always_true_predicateEEElLj1EEEvT0_T1_SI_: ; @_ZN6thrust23THRUST_200600_302600_NS11hip_rocprim14__parallel_for6kernelILj256ENS1_11__transform17unary_transform_fINS0_7pointerIiNS1_3tagENS0_11use_defaultES8_EENS0_10device_ptrIdEENS4_14no_stencil_tagENS0_8identityIiEENS4_21always_true_predicateEEElLj1EEEvT0_T1_SI_
; %bb.0:
	s_load_b128 s[4:7], s[0:1], 0x18
	s_bfe_u32 s2, ttmp6, 0x4000c
	s_and_b32 s3, ttmp6, 15
	s_add_co_i32 s2, s2, 1
	s_getreg_b32 s8, hwreg(HW_REG_IB_STS2, 6, 4)
	s_mul_i32 s2, ttmp9, s2
	s_delay_alu instid0(SALU_CYCLE_1)
	s_add_co_i32 s3, s3, s2
	s_cmp_eq_u32 s8, 0
	s_cselect_b32 s2, ttmp9, s3
	s_mov_b32 s3, 0
	s_lshl_b32 s2, s2, 8
	s_wait_kmcnt 0x0
	s_add_nc_u64 s[2:3], s[6:7], s[2:3]
	s_delay_alu instid0(SALU_CYCLE_1) | instskip(NEXT) | instid1(SALU_CYCLE_1)
	s_sub_nc_u64 s[4:5], s[4:5], s[2:3]
	v_min_i64 v[2:3], 0x100, s[4:5]
	s_load_b128 s[4:7], s[0:1], 0x0
	s_wait_xcnt 0x0
	s_mov_b32 s0, -1
	s_delay_alu instid0(VALU_DEP_1)
	v_cmp_eq_u32_e32 vcc_lo, 0x100, v2
	s_cbranch_vccz .LBB1081_3
; %bb.1:
	s_and_not1_b32 vcc_lo, exec_lo, s0
	s_cbranch_vccz .LBB1081_6
.LBB1081_2:
	s_endpgm
.LBB1081_3:
	s_mov_b32 s0, exec_lo
	v_cmpx_lt_u32_e64 v0, v2
	s_cbranch_execz .LBB1081_5
; %bb.4:
	v_mov_b32_e32 v1, 0
	s_delay_alu instid0(VALU_DEP_1) | instskip(SKIP_1) | instid1(VALU_DEP_1)
	v_add_nc_u64_e32 v[2:3], s[2:3], v[0:1]
	s_wait_kmcnt 0x0
	v_lshl_add_u64 v[4:5], v[2:3], 2, s[4:5]
	v_lshl_add_u64 v[2:3], v[2:3], 3, s[6:7]
	flat_load_b32 v1, v[4:5]
	s_wait_loadcnt_dscnt 0x0
	v_cvt_f64_i32_e32 v[4:5], v1
	flat_store_b64 v[2:3], v[4:5]
.LBB1081_5:
	s_wait_xcnt 0x0
	s_or_b32 exec_lo, exec_lo, s0
	s_cbranch_execnz .LBB1081_2
.LBB1081_6:
	v_mov_b32_e32 v1, 0
	s_delay_alu instid0(VALU_DEP_1) | instskip(SKIP_1) | instid1(VALU_DEP_1)
	v_add_nc_u64_e32 v[0:1], s[2:3], v[0:1]
	s_wait_kmcnt 0x0
	v_lshl_add_u64 v[2:3], v[0:1], 2, s[4:5]
	v_lshl_add_u64 v[0:1], v[0:1], 3, s[6:7]
	flat_load_b32 v2, v[2:3]
	s_wait_loadcnt_dscnt 0x0
	v_cvt_f64_i32_e32 v[2:3], v2
	flat_store_b64 v[0:1], v[2:3]
	s_endpgm
	.section	.rodata,"a",@progbits
	.p2align	6, 0x0
	.amdhsa_kernel _ZN6thrust23THRUST_200600_302600_NS11hip_rocprim14__parallel_for6kernelILj256ENS1_11__transform17unary_transform_fINS0_7pointerIiNS1_3tagENS0_11use_defaultES8_EENS0_10device_ptrIdEENS4_14no_stencil_tagENS0_8identityIiEENS4_21always_true_predicateEEElLj1EEEvT0_T1_SI_
		.amdhsa_group_segment_fixed_size 0
		.amdhsa_private_segment_fixed_size 0
		.amdhsa_kernarg_size 40
		.amdhsa_user_sgpr_count 2
		.amdhsa_user_sgpr_dispatch_ptr 0
		.amdhsa_user_sgpr_queue_ptr 0
		.amdhsa_user_sgpr_kernarg_segment_ptr 1
		.amdhsa_user_sgpr_dispatch_id 0
		.amdhsa_user_sgpr_kernarg_preload_length 0
		.amdhsa_user_sgpr_kernarg_preload_offset 0
		.amdhsa_user_sgpr_private_segment_size 0
		.amdhsa_wavefront_size32 1
		.amdhsa_uses_dynamic_stack 0
		.amdhsa_enable_private_segment 0
		.amdhsa_system_sgpr_workgroup_id_x 1
		.amdhsa_system_sgpr_workgroup_id_y 0
		.amdhsa_system_sgpr_workgroup_id_z 0
		.amdhsa_system_sgpr_workgroup_info 0
		.amdhsa_system_vgpr_workitem_id 0
		.amdhsa_next_free_vgpr 6
		.amdhsa_next_free_sgpr 9
		.amdhsa_named_barrier_count 0
		.amdhsa_reserve_vcc 1
		.amdhsa_float_round_mode_32 0
		.amdhsa_float_round_mode_16_64 0
		.amdhsa_float_denorm_mode_32 3
		.amdhsa_float_denorm_mode_16_64 3
		.amdhsa_fp16_overflow 0
		.amdhsa_memory_ordered 1
		.amdhsa_forward_progress 1
		.amdhsa_inst_pref_size 3
		.amdhsa_round_robin_scheduling 0
		.amdhsa_exception_fp_ieee_invalid_op 0
		.amdhsa_exception_fp_denorm_src 0
		.amdhsa_exception_fp_ieee_div_zero 0
		.amdhsa_exception_fp_ieee_overflow 0
		.amdhsa_exception_fp_ieee_underflow 0
		.amdhsa_exception_fp_ieee_inexact 0
		.amdhsa_exception_int_div_zero 0
	.end_amdhsa_kernel
	.section	.text._ZN6thrust23THRUST_200600_302600_NS11hip_rocprim14__parallel_for6kernelILj256ENS1_11__transform17unary_transform_fINS0_7pointerIiNS1_3tagENS0_11use_defaultES8_EENS0_10device_ptrIdEENS4_14no_stencil_tagENS0_8identityIiEENS4_21always_true_predicateEEElLj1EEEvT0_T1_SI_,"axG",@progbits,_ZN6thrust23THRUST_200600_302600_NS11hip_rocprim14__parallel_for6kernelILj256ENS1_11__transform17unary_transform_fINS0_7pointerIiNS1_3tagENS0_11use_defaultES8_EENS0_10device_ptrIdEENS4_14no_stencil_tagENS0_8identityIiEENS4_21always_true_predicateEEElLj1EEEvT0_T1_SI_,comdat
.Lfunc_end1081:
	.size	_ZN6thrust23THRUST_200600_302600_NS11hip_rocprim14__parallel_for6kernelILj256ENS1_11__transform17unary_transform_fINS0_7pointerIiNS1_3tagENS0_11use_defaultES8_EENS0_10device_ptrIdEENS4_14no_stencil_tagENS0_8identityIiEENS4_21always_true_predicateEEElLj1EEEvT0_T1_SI_, .Lfunc_end1081-_ZN6thrust23THRUST_200600_302600_NS11hip_rocprim14__parallel_for6kernelILj256ENS1_11__transform17unary_transform_fINS0_7pointerIiNS1_3tagENS0_11use_defaultES8_EENS0_10device_ptrIdEENS4_14no_stencil_tagENS0_8identityIiEENS4_21always_true_predicateEEElLj1EEEvT0_T1_SI_
                                        ; -- End function
	.set _ZN6thrust23THRUST_200600_302600_NS11hip_rocprim14__parallel_for6kernelILj256ENS1_11__transform17unary_transform_fINS0_7pointerIiNS1_3tagENS0_11use_defaultES8_EENS0_10device_ptrIdEENS4_14no_stencil_tagENS0_8identityIiEENS4_21always_true_predicateEEElLj1EEEvT0_T1_SI_.num_vgpr, 6
	.set _ZN6thrust23THRUST_200600_302600_NS11hip_rocprim14__parallel_for6kernelILj256ENS1_11__transform17unary_transform_fINS0_7pointerIiNS1_3tagENS0_11use_defaultES8_EENS0_10device_ptrIdEENS4_14no_stencil_tagENS0_8identityIiEENS4_21always_true_predicateEEElLj1EEEvT0_T1_SI_.num_agpr, 0
	.set _ZN6thrust23THRUST_200600_302600_NS11hip_rocprim14__parallel_for6kernelILj256ENS1_11__transform17unary_transform_fINS0_7pointerIiNS1_3tagENS0_11use_defaultES8_EENS0_10device_ptrIdEENS4_14no_stencil_tagENS0_8identityIiEENS4_21always_true_predicateEEElLj1EEEvT0_T1_SI_.numbered_sgpr, 9
	.set _ZN6thrust23THRUST_200600_302600_NS11hip_rocprim14__parallel_for6kernelILj256ENS1_11__transform17unary_transform_fINS0_7pointerIiNS1_3tagENS0_11use_defaultES8_EENS0_10device_ptrIdEENS4_14no_stencil_tagENS0_8identityIiEENS4_21always_true_predicateEEElLj1EEEvT0_T1_SI_.num_named_barrier, 0
	.set _ZN6thrust23THRUST_200600_302600_NS11hip_rocprim14__parallel_for6kernelILj256ENS1_11__transform17unary_transform_fINS0_7pointerIiNS1_3tagENS0_11use_defaultES8_EENS0_10device_ptrIdEENS4_14no_stencil_tagENS0_8identityIiEENS4_21always_true_predicateEEElLj1EEEvT0_T1_SI_.private_seg_size, 0
	.set _ZN6thrust23THRUST_200600_302600_NS11hip_rocprim14__parallel_for6kernelILj256ENS1_11__transform17unary_transform_fINS0_7pointerIiNS1_3tagENS0_11use_defaultES8_EENS0_10device_ptrIdEENS4_14no_stencil_tagENS0_8identityIiEENS4_21always_true_predicateEEElLj1EEEvT0_T1_SI_.uses_vcc, 1
	.set _ZN6thrust23THRUST_200600_302600_NS11hip_rocprim14__parallel_for6kernelILj256ENS1_11__transform17unary_transform_fINS0_7pointerIiNS1_3tagENS0_11use_defaultES8_EENS0_10device_ptrIdEENS4_14no_stencil_tagENS0_8identityIiEENS4_21always_true_predicateEEElLj1EEEvT0_T1_SI_.uses_flat_scratch, 0
	.set _ZN6thrust23THRUST_200600_302600_NS11hip_rocprim14__parallel_for6kernelILj256ENS1_11__transform17unary_transform_fINS0_7pointerIiNS1_3tagENS0_11use_defaultES8_EENS0_10device_ptrIdEENS4_14no_stencil_tagENS0_8identityIiEENS4_21always_true_predicateEEElLj1EEEvT0_T1_SI_.has_dyn_sized_stack, 0
	.set _ZN6thrust23THRUST_200600_302600_NS11hip_rocprim14__parallel_for6kernelILj256ENS1_11__transform17unary_transform_fINS0_7pointerIiNS1_3tagENS0_11use_defaultES8_EENS0_10device_ptrIdEENS4_14no_stencil_tagENS0_8identityIiEENS4_21always_true_predicateEEElLj1EEEvT0_T1_SI_.has_recursion, 0
	.set _ZN6thrust23THRUST_200600_302600_NS11hip_rocprim14__parallel_for6kernelILj256ENS1_11__transform17unary_transform_fINS0_7pointerIiNS1_3tagENS0_11use_defaultES8_EENS0_10device_ptrIdEENS4_14no_stencil_tagENS0_8identityIiEENS4_21always_true_predicateEEElLj1EEEvT0_T1_SI_.has_indirect_call, 0
	.section	.AMDGPU.csdata,"",@progbits
; Kernel info:
; codeLenInByte = 288
; TotalNumSgprs: 11
; NumVgprs: 6
; ScratchSize: 0
; MemoryBound: 0
; FloatMode: 240
; IeeeMode: 1
; LDSByteSize: 0 bytes/workgroup (compile time only)
; SGPRBlocks: 0
; VGPRBlocks: 0
; NumSGPRsForWavesPerEU: 11
; NumVGPRsForWavesPerEU: 6
; NamedBarCnt: 0
; Occupancy: 16
; WaveLimiterHint : 0
; COMPUTE_PGM_RSRC2:SCRATCH_EN: 0
; COMPUTE_PGM_RSRC2:USER_SGPR: 2
; COMPUTE_PGM_RSRC2:TRAP_HANDLER: 0
; COMPUTE_PGM_RSRC2:TGID_X_EN: 1
; COMPUTE_PGM_RSRC2:TGID_Y_EN: 0
; COMPUTE_PGM_RSRC2:TGID_Z_EN: 0
; COMPUTE_PGM_RSRC2:TIDIG_COMP_CNT: 0
	.section	.text._ZN6thrust23THRUST_200600_302600_NS11hip_rocprim14__parallel_for6kernelILj256ENS1_20__uninitialized_fill7functorINS0_10device_ptrIdEEdEEmLj1EEEvT0_T1_SA_,"axG",@progbits,_ZN6thrust23THRUST_200600_302600_NS11hip_rocprim14__parallel_for6kernelILj256ENS1_20__uninitialized_fill7functorINS0_10device_ptrIdEEdEEmLj1EEEvT0_T1_SA_,comdat
	.protected	_ZN6thrust23THRUST_200600_302600_NS11hip_rocprim14__parallel_for6kernelILj256ENS1_20__uninitialized_fill7functorINS0_10device_ptrIdEEdEEmLj1EEEvT0_T1_SA_ ; -- Begin function _ZN6thrust23THRUST_200600_302600_NS11hip_rocprim14__parallel_for6kernelILj256ENS1_20__uninitialized_fill7functorINS0_10device_ptrIdEEdEEmLj1EEEvT0_T1_SA_
	.globl	_ZN6thrust23THRUST_200600_302600_NS11hip_rocprim14__parallel_for6kernelILj256ENS1_20__uninitialized_fill7functorINS0_10device_ptrIdEEdEEmLj1EEEvT0_T1_SA_
	.p2align	8
	.type	_ZN6thrust23THRUST_200600_302600_NS11hip_rocprim14__parallel_for6kernelILj256ENS1_20__uninitialized_fill7functorINS0_10device_ptrIdEEdEEmLj1EEEvT0_T1_SA_,@function
_ZN6thrust23THRUST_200600_302600_NS11hip_rocprim14__parallel_for6kernelILj256ENS1_20__uninitialized_fill7functorINS0_10device_ptrIdEEdEEmLj1EEEvT0_T1_SA_: ; @_ZN6thrust23THRUST_200600_302600_NS11hip_rocprim14__parallel_for6kernelILj256ENS1_20__uninitialized_fill7functorINS0_10device_ptrIdEEdEEmLj1EEEvT0_T1_SA_
; %bb.0:
	s_load_b256 s[4:11], s[0:1], 0x0
	s_wait_xcnt 0x0
	s_bfe_u32 s0, ttmp6, 0x4000c
	s_and_b32 s1, ttmp6, 15
	s_add_co_i32 s0, s0, 1
	s_getreg_b32 s2, hwreg(HW_REG_IB_STS2, 6, 4)
	s_mul_i32 s0, ttmp9, s0
	s_delay_alu instid0(SALU_CYCLE_1)
	s_add_co_i32 s1, s1, s0
	s_cmp_eq_u32 s2, 0
	s_cselect_b32 s0, ttmp9, s1
	s_mov_b32 s1, 0
	s_lshl_b32 s0, s0, 8
	s_wait_kmcnt 0x0
	s_add_nc_u64 s[0:1], s[10:11], s[0:1]
	s_delay_alu instid0(SALU_CYCLE_1) | instskip(NEXT) | instid1(SALU_CYCLE_1)
	s_sub_nc_u64 s[2:3], s[8:9], s[0:1]
	v_cmp_lt_u64_e64 s3, 0xff, s[2:3]
	s_and_b32 vcc_lo, exec_lo, s3
	s_mov_b32 s3, -1
	s_cbranch_vccz .LBB1082_3
; %bb.1:
	s_and_not1_b32 vcc_lo, exec_lo, s3
	s_cbranch_vccz .LBB1082_6
.LBB1082_2:
	s_endpgm
.LBB1082_3:
	v_cmp_gt_u32_e32 vcc_lo, s2, v0
	s_and_saveexec_b32 s2, vcc_lo
	s_cbranch_execz .LBB1082_5
; %bb.4:
	v_mov_b64_e32 v[2:3], s[6:7]
	s_lshl_b64 s[8:9], s[0:1], 3
	s_delay_alu instid0(SALU_CYCLE_1)
	s_add_nc_u64 s[8:9], s[4:5], s[8:9]
	flat_store_b64 v0, v[2:3], s[8:9] scale_offset
.LBB1082_5:
	s_wait_xcnt 0x0
	s_or_b32 exec_lo, exec_lo, s2
	s_cbranch_execnz .LBB1082_2
.LBB1082_6:
	v_mov_b64_e32 v[2:3], s[6:7]
	s_lshl_b64 s[0:1], s[0:1], 3
	s_delay_alu instid0(SALU_CYCLE_1)
	s_add_nc_u64 s[0:1], s[4:5], s[0:1]
	flat_store_b64 v0, v[2:3], s[0:1] scale_offset
	s_endpgm
	.section	.rodata,"a",@progbits
	.p2align	6, 0x0
	.amdhsa_kernel _ZN6thrust23THRUST_200600_302600_NS11hip_rocprim14__parallel_for6kernelILj256ENS1_20__uninitialized_fill7functorINS0_10device_ptrIdEEdEEmLj1EEEvT0_T1_SA_
		.amdhsa_group_segment_fixed_size 0
		.amdhsa_private_segment_fixed_size 0
		.amdhsa_kernarg_size 32
		.amdhsa_user_sgpr_count 2
		.amdhsa_user_sgpr_dispatch_ptr 0
		.amdhsa_user_sgpr_queue_ptr 0
		.amdhsa_user_sgpr_kernarg_segment_ptr 1
		.amdhsa_user_sgpr_dispatch_id 0
		.amdhsa_user_sgpr_kernarg_preload_length 0
		.amdhsa_user_sgpr_kernarg_preload_offset 0
		.amdhsa_user_sgpr_private_segment_size 0
		.amdhsa_wavefront_size32 1
		.amdhsa_uses_dynamic_stack 0
		.amdhsa_enable_private_segment 0
		.amdhsa_system_sgpr_workgroup_id_x 1
		.amdhsa_system_sgpr_workgroup_id_y 0
		.amdhsa_system_sgpr_workgroup_id_z 0
		.amdhsa_system_sgpr_workgroup_info 0
		.amdhsa_system_vgpr_workitem_id 0
		.amdhsa_next_free_vgpr 4
		.amdhsa_next_free_sgpr 12
		.amdhsa_named_barrier_count 0
		.amdhsa_reserve_vcc 1
		.amdhsa_float_round_mode_32 0
		.amdhsa_float_round_mode_16_64 0
		.amdhsa_float_denorm_mode_32 3
		.amdhsa_float_denorm_mode_16_64 3
		.amdhsa_fp16_overflow 0
		.amdhsa_memory_ordered 1
		.amdhsa_forward_progress 1
		.amdhsa_inst_pref_size 2
		.amdhsa_round_robin_scheduling 0
		.amdhsa_exception_fp_ieee_invalid_op 0
		.amdhsa_exception_fp_denorm_src 0
		.amdhsa_exception_fp_ieee_div_zero 0
		.amdhsa_exception_fp_ieee_overflow 0
		.amdhsa_exception_fp_ieee_underflow 0
		.amdhsa_exception_fp_ieee_inexact 0
		.amdhsa_exception_int_div_zero 0
	.end_amdhsa_kernel
	.section	.text._ZN6thrust23THRUST_200600_302600_NS11hip_rocprim14__parallel_for6kernelILj256ENS1_20__uninitialized_fill7functorINS0_10device_ptrIdEEdEEmLj1EEEvT0_T1_SA_,"axG",@progbits,_ZN6thrust23THRUST_200600_302600_NS11hip_rocprim14__parallel_for6kernelILj256ENS1_20__uninitialized_fill7functorINS0_10device_ptrIdEEdEEmLj1EEEvT0_T1_SA_,comdat
.Lfunc_end1082:
	.size	_ZN6thrust23THRUST_200600_302600_NS11hip_rocprim14__parallel_for6kernelILj256ENS1_20__uninitialized_fill7functorINS0_10device_ptrIdEEdEEmLj1EEEvT0_T1_SA_, .Lfunc_end1082-_ZN6thrust23THRUST_200600_302600_NS11hip_rocprim14__parallel_for6kernelILj256ENS1_20__uninitialized_fill7functorINS0_10device_ptrIdEEdEEmLj1EEEvT0_T1_SA_
                                        ; -- End function
	.set _ZN6thrust23THRUST_200600_302600_NS11hip_rocprim14__parallel_for6kernelILj256ENS1_20__uninitialized_fill7functorINS0_10device_ptrIdEEdEEmLj1EEEvT0_T1_SA_.num_vgpr, 4
	.set _ZN6thrust23THRUST_200600_302600_NS11hip_rocprim14__parallel_for6kernelILj256ENS1_20__uninitialized_fill7functorINS0_10device_ptrIdEEdEEmLj1EEEvT0_T1_SA_.num_agpr, 0
	.set _ZN6thrust23THRUST_200600_302600_NS11hip_rocprim14__parallel_for6kernelILj256ENS1_20__uninitialized_fill7functorINS0_10device_ptrIdEEdEEmLj1EEEvT0_T1_SA_.numbered_sgpr, 12
	.set _ZN6thrust23THRUST_200600_302600_NS11hip_rocprim14__parallel_for6kernelILj256ENS1_20__uninitialized_fill7functorINS0_10device_ptrIdEEdEEmLj1EEEvT0_T1_SA_.num_named_barrier, 0
	.set _ZN6thrust23THRUST_200600_302600_NS11hip_rocprim14__parallel_for6kernelILj256ENS1_20__uninitialized_fill7functorINS0_10device_ptrIdEEdEEmLj1EEEvT0_T1_SA_.private_seg_size, 0
	.set _ZN6thrust23THRUST_200600_302600_NS11hip_rocprim14__parallel_for6kernelILj256ENS1_20__uninitialized_fill7functorINS0_10device_ptrIdEEdEEmLj1EEEvT0_T1_SA_.uses_vcc, 1
	.set _ZN6thrust23THRUST_200600_302600_NS11hip_rocprim14__parallel_for6kernelILj256ENS1_20__uninitialized_fill7functorINS0_10device_ptrIdEEdEEmLj1EEEvT0_T1_SA_.uses_flat_scratch, 0
	.set _ZN6thrust23THRUST_200600_302600_NS11hip_rocprim14__parallel_for6kernelILj256ENS1_20__uninitialized_fill7functorINS0_10device_ptrIdEEdEEmLj1EEEvT0_T1_SA_.has_dyn_sized_stack, 0
	.set _ZN6thrust23THRUST_200600_302600_NS11hip_rocprim14__parallel_for6kernelILj256ENS1_20__uninitialized_fill7functorINS0_10device_ptrIdEEdEEmLj1EEEvT0_T1_SA_.has_recursion, 0
	.set _ZN6thrust23THRUST_200600_302600_NS11hip_rocprim14__parallel_for6kernelILj256ENS1_20__uninitialized_fill7functorINS0_10device_ptrIdEEdEEmLj1EEEvT0_T1_SA_.has_indirect_call, 0
	.section	.AMDGPU.csdata,"",@progbits
; Kernel info:
; codeLenInByte = 196
; TotalNumSgprs: 14
; NumVgprs: 4
; ScratchSize: 0
; MemoryBound: 0
; FloatMode: 240
; IeeeMode: 1
; LDSByteSize: 0 bytes/workgroup (compile time only)
; SGPRBlocks: 0
; VGPRBlocks: 0
; NumSGPRsForWavesPerEU: 14
; NumVGPRsForWavesPerEU: 4
; NamedBarCnt: 0
; Occupancy: 16
; WaveLimiterHint : 0
; COMPUTE_PGM_RSRC2:SCRATCH_EN: 0
; COMPUTE_PGM_RSRC2:USER_SGPR: 2
; COMPUTE_PGM_RSRC2:TRAP_HANDLER: 0
; COMPUTE_PGM_RSRC2:TGID_X_EN: 1
; COMPUTE_PGM_RSRC2:TGID_Y_EN: 0
; COMPUTE_PGM_RSRC2:TGID_Z_EN: 0
; COMPUTE_PGM_RSRC2:TIDIG_COMP_CNT: 0
	.section	.text._ZN7rocprim17ROCPRIM_400000_NS6detail30init_device_scan_by_key_kernelINS1_19lookback_scan_stateINS0_5tupleIJdbEEELb0ELb0EEEN6thrust23THRUST_200600_302600_NS6detail15normal_iteratorINS8_10device_ptrIiEEEEjNS1_16block_id_wrapperIjLb0EEEEEvT_jjPNSG_10value_typeET0_PNSt15iterator_traitsISJ_E10value_typeEmT1_T2_,"axG",@progbits,_ZN7rocprim17ROCPRIM_400000_NS6detail30init_device_scan_by_key_kernelINS1_19lookback_scan_stateINS0_5tupleIJdbEEELb0ELb0EEEN6thrust23THRUST_200600_302600_NS6detail15normal_iteratorINS8_10device_ptrIiEEEEjNS1_16block_id_wrapperIjLb0EEEEEvT_jjPNSG_10value_typeET0_PNSt15iterator_traitsISJ_E10value_typeEmT1_T2_,comdat
	.protected	_ZN7rocprim17ROCPRIM_400000_NS6detail30init_device_scan_by_key_kernelINS1_19lookback_scan_stateINS0_5tupleIJdbEEELb0ELb0EEEN6thrust23THRUST_200600_302600_NS6detail15normal_iteratorINS8_10device_ptrIiEEEEjNS1_16block_id_wrapperIjLb0EEEEEvT_jjPNSG_10value_typeET0_PNSt15iterator_traitsISJ_E10value_typeEmT1_T2_ ; -- Begin function _ZN7rocprim17ROCPRIM_400000_NS6detail30init_device_scan_by_key_kernelINS1_19lookback_scan_stateINS0_5tupleIJdbEEELb0ELb0EEEN6thrust23THRUST_200600_302600_NS6detail15normal_iteratorINS8_10device_ptrIiEEEEjNS1_16block_id_wrapperIjLb0EEEEEvT_jjPNSG_10value_typeET0_PNSt15iterator_traitsISJ_E10value_typeEmT1_T2_
	.globl	_ZN7rocprim17ROCPRIM_400000_NS6detail30init_device_scan_by_key_kernelINS1_19lookback_scan_stateINS0_5tupleIJdbEEELb0ELb0EEEN6thrust23THRUST_200600_302600_NS6detail15normal_iteratorINS8_10device_ptrIiEEEEjNS1_16block_id_wrapperIjLb0EEEEEvT_jjPNSG_10value_typeET0_PNSt15iterator_traitsISJ_E10value_typeEmT1_T2_
	.p2align	8
	.type	_ZN7rocprim17ROCPRIM_400000_NS6detail30init_device_scan_by_key_kernelINS1_19lookback_scan_stateINS0_5tupleIJdbEEELb0ELb0EEEN6thrust23THRUST_200600_302600_NS6detail15normal_iteratorINS8_10device_ptrIiEEEEjNS1_16block_id_wrapperIjLb0EEEEEvT_jjPNSG_10value_typeET0_PNSt15iterator_traitsISJ_E10value_typeEmT1_T2_,@function
_ZN7rocprim17ROCPRIM_400000_NS6detail30init_device_scan_by_key_kernelINS1_19lookback_scan_stateINS0_5tupleIJdbEEELb0ELb0EEEN6thrust23THRUST_200600_302600_NS6detail15normal_iteratorINS8_10device_ptrIiEEEEjNS1_16block_id_wrapperIjLb0EEEEEvT_jjPNSG_10value_typeET0_PNSt15iterator_traitsISJ_E10value_typeEmT1_T2_: ; @_ZN7rocprim17ROCPRIM_400000_NS6detail30init_device_scan_by_key_kernelINS1_19lookback_scan_stateINS0_5tupleIJdbEEELb0ELb0EEEN6thrust23THRUST_200600_302600_NS6detail15normal_iteratorINS8_10device_ptrIiEEEEjNS1_16block_id_wrapperIjLb0EEEEEvT_jjPNSG_10value_typeET0_PNSt15iterator_traitsISJ_E10value_typeEmT1_T2_
; %bb.0:
	s_clause 0x2
	s_load_b32 s2, s[0:1], 0x54
	s_load_b32 s18, s[0:1], 0x48
	s_load_b256 s[4:11], s[0:1], 0x10
	s_bfe_u32 s3, ttmp6, 0x4000c
	s_and_b32 s12, ttmp6, 15
	s_add_co_i32 s3, s3, 1
	s_getreg_b32 s13, hwreg(HW_REG_IB_STS2, 6, 4)
	s_mul_i32 s3, ttmp9, s3
	s_delay_alu instid0(SALU_CYCLE_1)
	s_add_co_i32 s12, s12, s3
	s_wait_kmcnt 0x0
	s_and_b32 s19, s2, 0xffff
	s_cmp_eq_u32 s13, 0
	s_cselect_b32 s2, ttmp9, s12
	s_cmp_eq_u64 s[8:9], 0
	v_mad_u32 v0, s2, s19, v0
	s_cbranch_scc1 .LBB1083_7
; %bb.1:
	s_cmp_lt_u32 s7, s6
	s_mov_b32 s20, exec_lo
	s_cselect_b32 s2, s7, 0
	s_delay_alu instid0(VALU_DEP_1) | instid1(SALU_CYCLE_1)
	v_cmpx_eq_u32_e64 s2, v0
	s_cbranch_execz .LBB1083_6
; %bb.2:
	s_add_co_i32 s2, s7, 32
	s_load_b128 s[12:15], s[0:1], 0x0
	v_mov_b32_e32 v1, s2
	s_mov_b32 s3, 0
	global_load_u8 v1, v1, s[4:5] scope:SCOPE_DEV
	s_wait_loadcnt 0x0
	v_and_b32_e32 v2, 0xffff, v1
	v_readfirstlane_b32 s7, v1
	s_delay_alu instid0(VALU_DEP_2)
	v_cmp_ne_u32_e32 vcc_lo, 0, v2
	s_cbranch_vccnz .LBB1083_5
; %bb.3:
	v_mov_b32_e32 v1, 0
	s_add_nc_u64 s[16:17], s[4:5], s[2:3]
.LBB1083_4:                             ; =>This Inner Loop Header: Depth=1
	global_load_u8 v2, v1, s[16:17] scope:SCOPE_DEV
	s_wait_loadcnt 0x0
	v_and_b32_e32 v3, 0xffff, v2
	v_readfirstlane_b32 s7, v2
	s_delay_alu instid0(VALU_DEP_2)
	v_cmp_eq_u32_e32 vcc_lo, 0, v3
	s_cbranch_vccnz .LBB1083_4
.LBB1083_5:
	s_and_b32 s7, 0xffff, s7
	v_mov_b32_e32 v1, 0
	s_cmp_eq_u32 s7, 1
	global_wb scope:SCOPE_DEV
	s_wait_storecnt 0x0
	global_inv scope:SCOPE_DEV
	s_wait_kmcnt 0x0
	s_cselect_b32 s13, s13, s15
	s_cselect_b32 s12, s12, s14
	s_lshl_b64 s[2:3], s[2:3], 4
	s_delay_alu instid0(SALU_CYCLE_1)
	s_add_nc_u64 s[2:3], s[12:13], s[2:3]
	s_clause 0x1
	global_load_b64 v[2:3], v1, s[2:3]
	global_load_u8 v4, v1, s[2:3] offset:8
	s_wait_loadcnt 0x1
	global_store_b64 v1, v[2:3], s[8:9]
	s_wait_loadcnt 0x0
	global_store_b8 v1, v4, s[8:9] offset:8
.LBB1083_6:
	s_wait_xcnt 0x0
	s_or_b32 exec_lo, exec_lo, s20
.LBB1083_7:
	s_delay_alu instid0(SALU_CYCLE_1) | instskip(NEXT) | instid1(VALU_DEP_1)
	s_mov_b32 s2, exec_lo
	v_cmpx_gt_u32_e64 s6, v0
	s_cbranch_execz .LBB1083_9
; %bb.8:
	v_dual_mov_b32 v2, 0 :: v_dual_add_nc_u32 v1, 32, v0
	global_store_b8 v1, v2, s[4:5]
.LBB1083_9:
	s_wait_xcnt 0x0
	s_or_b32 exec_lo, exec_lo, s2
	v_mov_b32_e32 v1, 0
	s_mov_b32 s2, exec_lo
	v_cmpx_gt_u32_e32 32, v0
	s_cbranch_execz .LBB1083_11
; %bb.10:
	s_delay_alu instid0(VALU_DEP_2)
	v_add_nc_u64_e32 v[2:3], s[4:5], v[0:1]
	v_mov_b32_e32 v4, 0xff
	global_store_b8 v[2:3], v4, off
.LBB1083_11:
	s_wait_xcnt 0x0
	s_or_b32 exec_lo, exec_lo, s2
	s_load_b64 s[2:3], s[0:1], 0x38
	s_mov_b32 s4, exec_lo
	s_wait_kmcnt 0x0
	v_cmpx_gt_u64_e64 s[2:3], v[0:1]
	s_cbranch_execz .LBB1083_14
; %bb.12:
	s_clause 0x1
	s_load_b32 s4, s[0:1], 0x40
	s_load_b64 s[6:7], s[0:1], 0x30
	s_mov_b32 s5, 0
	s_wait_xcnt 0x0
	s_mul_i32 s0, s18, s19
	s_mov_b32 s9, s5
	s_mov_b32 s1, s5
	s_wait_kmcnt 0x0
	v_mul_u64_e32 v[2:3], s[4:5], v[0:1]
	s_add_co_i32 s8, s4, -1
	v_lshl_add_u64 v[4:5], v[0:1], 2, s[6:7]
	s_lshl_b64 s[8:9], s[8:9], 2
	s_delay_alu instid0(SALU_CYCLE_1) | instskip(SKIP_1) | instid1(SALU_CYCLE_1)
	s_add_nc_u64 s[8:9], s[10:11], s[8:9]
	s_mul_u64 s[10:11], s[4:5], s[0:1]
	s_lshl_b64 s[6:7], s[10:11], 2
	s_delay_alu instid0(VALU_DEP_2)
	v_lshl_add_u64 v[2:3], v[2:3], 2, s[8:9]
	s_lshl_b64 s[8:9], s[0:1], 2
.LBB1083_13:                            ; =>This Inner Loop Header: Depth=1
	global_load_b32 v6, v[2:3], off
	v_add_nc_u64_e32 v[0:1], s[0:1], v[0:1]
	s_wait_xcnt 0x0
	v_add_nc_u64_e32 v[2:3], s[6:7], v[2:3]
	s_delay_alu instid0(VALU_DEP_2)
	v_cmp_le_u64_e32 vcc_lo, s[2:3], v[0:1]
	s_or_b32 s5, vcc_lo, s5
	s_wait_loadcnt 0x0
	global_store_b32 v[4:5], v6, off
	s_wait_xcnt 0x0
	v_add_nc_u64_e32 v[4:5], s[8:9], v[4:5]
	s_and_not1_b32 exec_lo, exec_lo, s5
	s_cbranch_execnz .LBB1083_13
.LBB1083_14:
	s_endpgm
	.section	.rodata,"a",@progbits
	.p2align	6, 0x0
	.amdhsa_kernel _ZN7rocprim17ROCPRIM_400000_NS6detail30init_device_scan_by_key_kernelINS1_19lookback_scan_stateINS0_5tupleIJdbEEELb0ELb0EEEN6thrust23THRUST_200600_302600_NS6detail15normal_iteratorINS8_10device_ptrIiEEEEjNS1_16block_id_wrapperIjLb0EEEEEvT_jjPNSG_10value_typeET0_PNSt15iterator_traitsISJ_E10value_typeEmT1_T2_
		.amdhsa_group_segment_fixed_size 0
		.amdhsa_private_segment_fixed_size 0
		.amdhsa_kernarg_size 328
		.amdhsa_user_sgpr_count 2
		.amdhsa_user_sgpr_dispatch_ptr 0
		.amdhsa_user_sgpr_queue_ptr 0
		.amdhsa_user_sgpr_kernarg_segment_ptr 1
		.amdhsa_user_sgpr_dispatch_id 0
		.amdhsa_user_sgpr_kernarg_preload_length 0
		.amdhsa_user_sgpr_kernarg_preload_offset 0
		.amdhsa_user_sgpr_private_segment_size 0
		.amdhsa_wavefront_size32 1
		.amdhsa_uses_dynamic_stack 0
		.amdhsa_enable_private_segment 0
		.amdhsa_system_sgpr_workgroup_id_x 1
		.amdhsa_system_sgpr_workgroup_id_y 0
		.amdhsa_system_sgpr_workgroup_id_z 0
		.amdhsa_system_sgpr_workgroup_info 0
		.amdhsa_system_vgpr_workitem_id 0
		.amdhsa_next_free_vgpr 7
		.amdhsa_next_free_sgpr 21
		.amdhsa_named_barrier_count 0
		.amdhsa_reserve_vcc 1
		.amdhsa_float_round_mode_32 0
		.amdhsa_float_round_mode_16_64 0
		.amdhsa_float_denorm_mode_32 3
		.amdhsa_float_denorm_mode_16_64 3
		.amdhsa_fp16_overflow 0
		.amdhsa_memory_ordered 1
		.amdhsa_forward_progress 1
		.amdhsa_inst_pref_size 6
		.amdhsa_round_robin_scheduling 0
		.amdhsa_exception_fp_ieee_invalid_op 0
		.amdhsa_exception_fp_denorm_src 0
		.amdhsa_exception_fp_ieee_div_zero 0
		.amdhsa_exception_fp_ieee_overflow 0
		.amdhsa_exception_fp_ieee_underflow 0
		.amdhsa_exception_fp_ieee_inexact 0
		.amdhsa_exception_int_div_zero 0
	.end_amdhsa_kernel
	.section	.text._ZN7rocprim17ROCPRIM_400000_NS6detail30init_device_scan_by_key_kernelINS1_19lookback_scan_stateINS0_5tupleIJdbEEELb0ELb0EEEN6thrust23THRUST_200600_302600_NS6detail15normal_iteratorINS8_10device_ptrIiEEEEjNS1_16block_id_wrapperIjLb0EEEEEvT_jjPNSG_10value_typeET0_PNSt15iterator_traitsISJ_E10value_typeEmT1_T2_,"axG",@progbits,_ZN7rocprim17ROCPRIM_400000_NS6detail30init_device_scan_by_key_kernelINS1_19lookback_scan_stateINS0_5tupleIJdbEEELb0ELb0EEEN6thrust23THRUST_200600_302600_NS6detail15normal_iteratorINS8_10device_ptrIiEEEEjNS1_16block_id_wrapperIjLb0EEEEEvT_jjPNSG_10value_typeET0_PNSt15iterator_traitsISJ_E10value_typeEmT1_T2_,comdat
.Lfunc_end1083:
	.size	_ZN7rocprim17ROCPRIM_400000_NS6detail30init_device_scan_by_key_kernelINS1_19lookback_scan_stateINS0_5tupleIJdbEEELb0ELb0EEEN6thrust23THRUST_200600_302600_NS6detail15normal_iteratorINS8_10device_ptrIiEEEEjNS1_16block_id_wrapperIjLb0EEEEEvT_jjPNSG_10value_typeET0_PNSt15iterator_traitsISJ_E10value_typeEmT1_T2_, .Lfunc_end1083-_ZN7rocprim17ROCPRIM_400000_NS6detail30init_device_scan_by_key_kernelINS1_19lookback_scan_stateINS0_5tupleIJdbEEELb0ELb0EEEN6thrust23THRUST_200600_302600_NS6detail15normal_iteratorINS8_10device_ptrIiEEEEjNS1_16block_id_wrapperIjLb0EEEEEvT_jjPNSG_10value_typeET0_PNSt15iterator_traitsISJ_E10value_typeEmT1_T2_
                                        ; -- End function
	.set _ZN7rocprim17ROCPRIM_400000_NS6detail30init_device_scan_by_key_kernelINS1_19lookback_scan_stateINS0_5tupleIJdbEEELb0ELb0EEEN6thrust23THRUST_200600_302600_NS6detail15normal_iteratorINS8_10device_ptrIiEEEEjNS1_16block_id_wrapperIjLb0EEEEEvT_jjPNSG_10value_typeET0_PNSt15iterator_traitsISJ_E10value_typeEmT1_T2_.num_vgpr, 7
	.set _ZN7rocprim17ROCPRIM_400000_NS6detail30init_device_scan_by_key_kernelINS1_19lookback_scan_stateINS0_5tupleIJdbEEELb0ELb0EEEN6thrust23THRUST_200600_302600_NS6detail15normal_iteratorINS8_10device_ptrIiEEEEjNS1_16block_id_wrapperIjLb0EEEEEvT_jjPNSG_10value_typeET0_PNSt15iterator_traitsISJ_E10value_typeEmT1_T2_.num_agpr, 0
	.set _ZN7rocprim17ROCPRIM_400000_NS6detail30init_device_scan_by_key_kernelINS1_19lookback_scan_stateINS0_5tupleIJdbEEELb0ELb0EEEN6thrust23THRUST_200600_302600_NS6detail15normal_iteratorINS8_10device_ptrIiEEEEjNS1_16block_id_wrapperIjLb0EEEEEvT_jjPNSG_10value_typeET0_PNSt15iterator_traitsISJ_E10value_typeEmT1_T2_.numbered_sgpr, 21
	.set _ZN7rocprim17ROCPRIM_400000_NS6detail30init_device_scan_by_key_kernelINS1_19lookback_scan_stateINS0_5tupleIJdbEEELb0ELb0EEEN6thrust23THRUST_200600_302600_NS6detail15normal_iteratorINS8_10device_ptrIiEEEEjNS1_16block_id_wrapperIjLb0EEEEEvT_jjPNSG_10value_typeET0_PNSt15iterator_traitsISJ_E10value_typeEmT1_T2_.num_named_barrier, 0
	.set _ZN7rocprim17ROCPRIM_400000_NS6detail30init_device_scan_by_key_kernelINS1_19lookback_scan_stateINS0_5tupleIJdbEEELb0ELb0EEEN6thrust23THRUST_200600_302600_NS6detail15normal_iteratorINS8_10device_ptrIiEEEEjNS1_16block_id_wrapperIjLb0EEEEEvT_jjPNSG_10value_typeET0_PNSt15iterator_traitsISJ_E10value_typeEmT1_T2_.private_seg_size, 0
	.set _ZN7rocprim17ROCPRIM_400000_NS6detail30init_device_scan_by_key_kernelINS1_19lookback_scan_stateINS0_5tupleIJdbEEELb0ELb0EEEN6thrust23THRUST_200600_302600_NS6detail15normal_iteratorINS8_10device_ptrIiEEEEjNS1_16block_id_wrapperIjLb0EEEEEvT_jjPNSG_10value_typeET0_PNSt15iterator_traitsISJ_E10value_typeEmT1_T2_.uses_vcc, 1
	.set _ZN7rocprim17ROCPRIM_400000_NS6detail30init_device_scan_by_key_kernelINS1_19lookback_scan_stateINS0_5tupleIJdbEEELb0ELb0EEEN6thrust23THRUST_200600_302600_NS6detail15normal_iteratorINS8_10device_ptrIiEEEEjNS1_16block_id_wrapperIjLb0EEEEEvT_jjPNSG_10value_typeET0_PNSt15iterator_traitsISJ_E10value_typeEmT1_T2_.uses_flat_scratch, 0
	.set _ZN7rocprim17ROCPRIM_400000_NS6detail30init_device_scan_by_key_kernelINS1_19lookback_scan_stateINS0_5tupleIJdbEEELb0ELb0EEEN6thrust23THRUST_200600_302600_NS6detail15normal_iteratorINS8_10device_ptrIiEEEEjNS1_16block_id_wrapperIjLb0EEEEEvT_jjPNSG_10value_typeET0_PNSt15iterator_traitsISJ_E10value_typeEmT1_T2_.has_dyn_sized_stack, 0
	.set _ZN7rocprim17ROCPRIM_400000_NS6detail30init_device_scan_by_key_kernelINS1_19lookback_scan_stateINS0_5tupleIJdbEEELb0ELb0EEEN6thrust23THRUST_200600_302600_NS6detail15normal_iteratorINS8_10device_ptrIiEEEEjNS1_16block_id_wrapperIjLb0EEEEEvT_jjPNSG_10value_typeET0_PNSt15iterator_traitsISJ_E10value_typeEmT1_T2_.has_recursion, 0
	.set _ZN7rocprim17ROCPRIM_400000_NS6detail30init_device_scan_by_key_kernelINS1_19lookback_scan_stateINS0_5tupleIJdbEEELb0ELb0EEEN6thrust23THRUST_200600_302600_NS6detail15normal_iteratorINS8_10device_ptrIiEEEEjNS1_16block_id_wrapperIjLb0EEEEEvT_jjPNSG_10value_typeET0_PNSt15iterator_traitsISJ_E10value_typeEmT1_T2_.has_indirect_call, 0
	.section	.AMDGPU.csdata,"",@progbits
; Kernel info:
; codeLenInByte = 664
; TotalNumSgprs: 23
; NumVgprs: 7
; ScratchSize: 0
; MemoryBound: 0
; FloatMode: 240
; IeeeMode: 1
; LDSByteSize: 0 bytes/workgroup (compile time only)
; SGPRBlocks: 0
; VGPRBlocks: 0
; NumSGPRsForWavesPerEU: 23
; NumVGPRsForWavesPerEU: 7
; NamedBarCnt: 0
; Occupancy: 16
; WaveLimiterHint : 0
; COMPUTE_PGM_RSRC2:SCRATCH_EN: 0
; COMPUTE_PGM_RSRC2:USER_SGPR: 2
; COMPUTE_PGM_RSRC2:TRAP_HANDLER: 0
; COMPUTE_PGM_RSRC2:TGID_X_EN: 1
; COMPUTE_PGM_RSRC2:TGID_Y_EN: 0
; COMPUTE_PGM_RSRC2:TGID_Z_EN: 0
; COMPUTE_PGM_RSRC2:TIDIG_COMP_CNT: 0
	.section	.text._ZN7rocprim17ROCPRIM_400000_NS6detail30init_device_scan_by_key_kernelINS1_19lookback_scan_stateINS0_5tupleIJdbEEELb0ELb0EEENS1_16block_id_wrapperIjLb0EEEEEvT_jjPNS9_10value_typeET0_,"axG",@progbits,_ZN7rocprim17ROCPRIM_400000_NS6detail30init_device_scan_by_key_kernelINS1_19lookback_scan_stateINS0_5tupleIJdbEEELb0ELb0EEENS1_16block_id_wrapperIjLb0EEEEEvT_jjPNS9_10value_typeET0_,comdat
	.protected	_ZN7rocprim17ROCPRIM_400000_NS6detail30init_device_scan_by_key_kernelINS1_19lookback_scan_stateINS0_5tupleIJdbEEELb0ELb0EEENS1_16block_id_wrapperIjLb0EEEEEvT_jjPNS9_10value_typeET0_ ; -- Begin function _ZN7rocprim17ROCPRIM_400000_NS6detail30init_device_scan_by_key_kernelINS1_19lookback_scan_stateINS0_5tupleIJdbEEELb0ELb0EEENS1_16block_id_wrapperIjLb0EEEEEvT_jjPNS9_10value_typeET0_
	.globl	_ZN7rocprim17ROCPRIM_400000_NS6detail30init_device_scan_by_key_kernelINS1_19lookback_scan_stateINS0_5tupleIJdbEEELb0ELb0EEENS1_16block_id_wrapperIjLb0EEEEEvT_jjPNS9_10value_typeET0_
	.p2align	8
	.type	_ZN7rocprim17ROCPRIM_400000_NS6detail30init_device_scan_by_key_kernelINS1_19lookback_scan_stateINS0_5tupleIJdbEEELb0ELb0EEENS1_16block_id_wrapperIjLb0EEEEEvT_jjPNS9_10value_typeET0_,@function
_ZN7rocprim17ROCPRIM_400000_NS6detail30init_device_scan_by_key_kernelINS1_19lookback_scan_stateINS0_5tupleIJdbEEELb0ELb0EEENS1_16block_id_wrapperIjLb0EEEEEvT_jjPNS9_10value_typeET0_: ; @_ZN7rocprim17ROCPRIM_400000_NS6detail30init_device_scan_by_key_kernelINS1_19lookback_scan_stateINS0_5tupleIJdbEEELb0ELb0EEENS1_16block_id_wrapperIjLb0EEEEEvT_jjPNS9_10value_typeET0_
; %bb.0:
	s_clause 0x2
	s_load_b32 s8, s[0:1], 0x3c
	s_load_b128 s[4:7], s[0:1], 0x10
	s_load_b64 s[2:3], s[0:1], 0x20
	s_bfe_u32 s9, ttmp6, 0x4000c
	s_and_b32 s10, ttmp6, 15
	s_add_co_i32 s9, s9, 1
	s_getreg_b32 s11, hwreg(HW_REG_IB_STS2, 6, 4)
	s_mul_i32 s9, ttmp9, s9
	s_delay_alu instid0(SALU_CYCLE_1)
	s_add_co_i32 s10, s10, s9
	s_wait_kmcnt 0x0
	s_and_b32 s8, s8, 0xffff
	s_cmp_eq_u32 s11, 0
	s_cselect_b32 s9, ttmp9, s10
	s_cmp_eq_u64 s[2:3], 0
	v_mad_u32 v0, s9, s8, v0
	s_cbranch_scc1 .LBB1084_7
; %bb.1:
	s_cmp_lt_u32 s7, s6
	s_mov_b32 s14, exec_lo
	s_cselect_b32 s8, s7, 0
	s_delay_alu instid0(VALU_DEP_1) | instid1(SALU_CYCLE_1)
	v_cmpx_eq_u32_e64 s8, v0
	s_cbranch_execz .LBB1084_6
; %bb.2:
	s_add_co_i32 s12, s7, 32
	s_load_b128 s[8:11], s[0:1], 0x0
	v_mov_b32_e32 v1, s12
	s_mov_b32 s13, 0
	global_load_u8 v1, v1, s[4:5] scope:SCOPE_DEV
	s_wait_loadcnt 0x0
	v_and_b32_e32 v2, 0xffff, v1
	v_readfirstlane_b32 s7, v1
	s_delay_alu instid0(VALU_DEP_2)
	v_cmp_ne_u32_e32 vcc_lo, 0, v2
	s_cbranch_vccnz .LBB1084_5
; %bb.3:
	v_mov_b32_e32 v1, 0
	s_add_nc_u64 s[0:1], s[4:5], s[12:13]
.LBB1084_4:                             ; =>This Inner Loop Header: Depth=1
	global_load_u8 v2, v1, s[0:1] scope:SCOPE_DEV
	s_wait_loadcnt 0x0
	v_and_b32_e32 v3, 0xffff, v2
	v_readfirstlane_b32 s7, v2
	s_delay_alu instid0(VALU_DEP_2)
	v_cmp_eq_u32_e32 vcc_lo, 0, v3
	s_cbranch_vccnz .LBB1084_4
.LBB1084_5:
	s_and_b32 s0, 0xffff, s7
	v_mov_b32_e32 v1, 0
	s_cmp_eq_u32 s0, 1
	global_wb scope:SCOPE_DEV
	s_wait_storecnt 0x0
	global_inv scope:SCOPE_DEV
	s_wait_kmcnt 0x0
	s_cselect_b32 s1, s9, s11
	s_cselect_b32 s0, s8, s10
	s_lshl_b64 s[8:9], s[12:13], 4
	s_delay_alu instid0(SALU_CYCLE_1)
	s_add_nc_u64 s[0:1], s[0:1], s[8:9]
	s_clause 0x1
	global_load_b64 v[2:3], v1, s[0:1]
	global_load_u8 v4, v1, s[0:1] offset:8
	s_wait_loadcnt 0x1
	global_store_b64 v1, v[2:3], s[2:3]
	s_wait_loadcnt 0x0
	global_store_b8 v1, v4, s[2:3] offset:8
.LBB1084_6:
	s_wait_xcnt 0x0
	s_or_b32 exec_lo, exec_lo, s14
.LBB1084_7:
	s_delay_alu instid0(SALU_CYCLE_1) | instskip(NEXT) | instid1(VALU_DEP_1)
	s_mov_b32 s0, exec_lo
	v_cmpx_gt_u32_e64 s6, v0
	s_cbranch_execz .LBB1084_9
; %bb.8:
	v_dual_mov_b32 v2, 0 :: v_dual_add_nc_u32 v1, 32, v0
	global_store_b8 v1, v2, s[4:5]
.LBB1084_9:
	s_wait_xcnt 0x0
	s_or_b32 exec_lo, exec_lo, s0
	s_delay_alu instid0(SALU_CYCLE_1)
	s_mov_b32 s0, exec_lo
	v_cmpx_gt_u32_e32 32, v0
	s_cbranch_execz .LBB1084_11
; %bb.10:
	v_mov_b32_e32 v1, 0xff
	global_store_b8 v0, v1, s[4:5]
.LBB1084_11:
	s_endpgm
	.section	.rodata,"a",@progbits
	.p2align	6, 0x0
	.amdhsa_kernel _ZN7rocprim17ROCPRIM_400000_NS6detail30init_device_scan_by_key_kernelINS1_19lookback_scan_stateINS0_5tupleIJdbEEELb0ELb0EEENS1_16block_id_wrapperIjLb0EEEEEvT_jjPNS9_10value_typeET0_
		.amdhsa_group_segment_fixed_size 0
		.amdhsa_private_segment_fixed_size 0
		.amdhsa_kernarg_size 304
		.amdhsa_user_sgpr_count 2
		.amdhsa_user_sgpr_dispatch_ptr 0
		.amdhsa_user_sgpr_queue_ptr 0
		.amdhsa_user_sgpr_kernarg_segment_ptr 1
		.amdhsa_user_sgpr_dispatch_id 0
		.amdhsa_user_sgpr_kernarg_preload_length 0
		.amdhsa_user_sgpr_kernarg_preload_offset 0
		.amdhsa_user_sgpr_private_segment_size 0
		.amdhsa_wavefront_size32 1
		.amdhsa_uses_dynamic_stack 0
		.amdhsa_enable_private_segment 0
		.amdhsa_system_sgpr_workgroup_id_x 1
		.amdhsa_system_sgpr_workgroup_id_y 0
		.amdhsa_system_sgpr_workgroup_id_z 0
		.amdhsa_system_sgpr_workgroup_info 0
		.amdhsa_system_vgpr_workitem_id 0
		.amdhsa_next_free_vgpr 5
		.amdhsa_next_free_sgpr 15
		.amdhsa_named_barrier_count 0
		.amdhsa_reserve_vcc 1
		.amdhsa_float_round_mode_32 0
		.amdhsa_float_round_mode_16_64 0
		.amdhsa_float_denorm_mode_32 3
		.amdhsa_float_denorm_mode_16_64 3
		.amdhsa_fp16_overflow 0
		.amdhsa_memory_ordered 1
		.amdhsa_forward_progress 1
		.amdhsa_inst_pref_size 4
		.amdhsa_round_robin_scheduling 0
		.amdhsa_exception_fp_ieee_invalid_op 0
		.amdhsa_exception_fp_denorm_src 0
		.amdhsa_exception_fp_ieee_div_zero 0
		.amdhsa_exception_fp_ieee_overflow 0
		.amdhsa_exception_fp_ieee_underflow 0
		.amdhsa_exception_fp_ieee_inexact 0
		.amdhsa_exception_int_div_zero 0
	.end_amdhsa_kernel
	.section	.text._ZN7rocprim17ROCPRIM_400000_NS6detail30init_device_scan_by_key_kernelINS1_19lookback_scan_stateINS0_5tupleIJdbEEELb0ELb0EEENS1_16block_id_wrapperIjLb0EEEEEvT_jjPNS9_10value_typeET0_,"axG",@progbits,_ZN7rocprim17ROCPRIM_400000_NS6detail30init_device_scan_by_key_kernelINS1_19lookback_scan_stateINS0_5tupleIJdbEEELb0ELb0EEENS1_16block_id_wrapperIjLb0EEEEEvT_jjPNS9_10value_typeET0_,comdat
.Lfunc_end1084:
	.size	_ZN7rocprim17ROCPRIM_400000_NS6detail30init_device_scan_by_key_kernelINS1_19lookback_scan_stateINS0_5tupleIJdbEEELb0ELb0EEENS1_16block_id_wrapperIjLb0EEEEEvT_jjPNS9_10value_typeET0_, .Lfunc_end1084-_ZN7rocprim17ROCPRIM_400000_NS6detail30init_device_scan_by_key_kernelINS1_19lookback_scan_stateINS0_5tupleIJdbEEELb0ELb0EEENS1_16block_id_wrapperIjLb0EEEEEvT_jjPNS9_10value_typeET0_
                                        ; -- End function
	.set _ZN7rocprim17ROCPRIM_400000_NS6detail30init_device_scan_by_key_kernelINS1_19lookback_scan_stateINS0_5tupleIJdbEEELb0ELb0EEENS1_16block_id_wrapperIjLb0EEEEEvT_jjPNS9_10value_typeET0_.num_vgpr, 5
	.set _ZN7rocprim17ROCPRIM_400000_NS6detail30init_device_scan_by_key_kernelINS1_19lookback_scan_stateINS0_5tupleIJdbEEELb0ELb0EEENS1_16block_id_wrapperIjLb0EEEEEvT_jjPNS9_10value_typeET0_.num_agpr, 0
	.set _ZN7rocprim17ROCPRIM_400000_NS6detail30init_device_scan_by_key_kernelINS1_19lookback_scan_stateINS0_5tupleIJdbEEELb0ELb0EEENS1_16block_id_wrapperIjLb0EEEEEvT_jjPNS9_10value_typeET0_.numbered_sgpr, 15
	.set _ZN7rocprim17ROCPRIM_400000_NS6detail30init_device_scan_by_key_kernelINS1_19lookback_scan_stateINS0_5tupleIJdbEEELb0ELb0EEENS1_16block_id_wrapperIjLb0EEEEEvT_jjPNS9_10value_typeET0_.num_named_barrier, 0
	.set _ZN7rocprim17ROCPRIM_400000_NS6detail30init_device_scan_by_key_kernelINS1_19lookback_scan_stateINS0_5tupleIJdbEEELb0ELb0EEENS1_16block_id_wrapperIjLb0EEEEEvT_jjPNS9_10value_typeET0_.private_seg_size, 0
	.set _ZN7rocprim17ROCPRIM_400000_NS6detail30init_device_scan_by_key_kernelINS1_19lookback_scan_stateINS0_5tupleIJdbEEELb0ELb0EEENS1_16block_id_wrapperIjLb0EEEEEvT_jjPNS9_10value_typeET0_.uses_vcc, 1
	.set _ZN7rocprim17ROCPRIM_400000_NS6detail30init_device_scan_by_key_kernelINS1_19lookback_scan_stateINS0_5tupleIJdbEEELb0ELb0EEENS1_16block_id_wrapperIjLb0EEEEEvT_jjPNS9_10value_typeET0_.uses_flat_scratch, 0
	.set _ZN7rocprim17ROCPRIM_400000_NS6detail30init_device_scan_by_key_kernelINS1_19lookback_scan_stateINS0_5tupleIJdbEEELb0ELb0EEENS1_16block_id_wrapperIjLb0EEEEEvT_jjPNS9_10value_typeET0_.has_dyn_sized_stack, 0
	.set _ZN7rocprim17ROCPRIM_400000_NS6detail30init_device_scan_by_key_kernelINS1_19lookback_scan_stateINS0_5tupleIJdbEEELb0ELb0EEENS1_16block_id_wrapperIjLb0EEEEEvT_jjPNS9_10value_typeET0_.has_recursion, 0
	.set _ZN7rocprim17ROCPRIM_400000_NS6detail30init_device_scan_by_key_kernelINS1_19lookback_scan_stateINS0_5tupleIJdbEEELb0ELb0EEENS1_16block_id_wrapperIjLb0EEEEEvT_jjPNS9_10value_typeET0_.has_indirect_call, 0
	.section	.AMDGPU.csdata,"",@progbits
; Kernel info:
; codeLenInByte = 456
; TotalNumSgprs: 17
; NumVgprs: 5
; ScratchSize: 0
; MemoryBound: 0
; FloatMode: 240
; IeeeMode: 1
; LDSByteSize: 0 bytes/workgroup (compile time only)
; SGPRBlocks: 0
; VGPRBlocks: 0
; NumSGPRsForWavesPerEU: 17
; NumVGPRsForWavesPerEU: 5
; NamedBarCnt: 0
; Occupancy: 16
; WaveLimiterHint : 0
; COMPUTE_PGM_RSRC2:SCRATCH_EN: 0
; COMPUTE_PGM_RSRC2:USER_SGPR: 2
; COMPUTE_PGM_RSRC2:TRAP_HANDLER: 0
; COMPUTE_PGM_RSRC2:TGID_X_EN: 1
; COMPUTE_PGM_RSRC2:TGID_Y_EN: 0
; COMPUTE_PGM_RSRC2:TGID_Z_EN: 0
; COMPUTE_PGM_RSRC2:TIDIG_COMP_CNT: 0
	.section	.text._ZN7rocprim17ROCPRIM_400000_NS6detail17trampoline_kernelINS0_14default_configENS1_27scan_by_key_config_selectorIidEEZZNS1_16scan_by_key_implILNS1_25lookback_scan_determinismE0ELb0ES3_N6thrust23THRUST_200600_302600_NS6detail15normal_iteratorINS9_10device_ptrIiEEEENSB_INSC_IdEEEESG_dNS9_4plusIvEENS9_8equal_toIvEEdEE10hipError_tPvRmT2_T3_T4_T5_mT6_T7_P12ihipStream_tbENKUlT_T0_E_clISt17integral_constantIbLb0EES11_EEDaSW_SX_EUlSW_E_NS1_11comp_targetILNS1_3genE0ELNS1_11target_archE4294967295ELNS1_3gpuE0ELNS1_3repE0EEENS1_30default_config_static_selectorELNS0_4arch9wavefront6targetE0EEEvT1_,"axG",@progbits,_ZN7rocprim17ROCPRIM_400000_NS6detail17trampoline_kernelINS0_14default_configENS1_27scan_by_key_config_selectorIidEEZZNS1_16scan_by_key_implILNS1_25lookback_scan_determinismE0ELb0ES3_N6thrust23THRUST_200600_302600_NS6detail15normal_iteratorINS9_10device_ptrIiEEEENSB_INSC_IdEEEESG_dNS9_4plusIvEENS9_8equal_toIvEEdEE10hipError_tPvRmT2_T3_T4_T5_mT6_T7_P12ihipStream_tbENKUlT_T0_E_clISt17integral_constantIbLb0EES11_EEDaSW_SX_EUlSW_E_NS1_11comp_targetILNS1_3genE0ELNS1_11target_archE4294967295ELNS1_3gpuE0ELNS1_3repE0EEENS1_30default_config_static_selectorELNS0_4arch9wavefront6targetE0EEEvT1_,comdat
	.protected	_ZN7rocprim17ROCPRIM_400000_NS6detail17trampoline_kernelINS0_14default_configENS1_27scan_by_key_config_selectorIidEEZZNS1_16scan_by_key_implILNS1_25lookback_scan_determinismE0ELb0ES3_N6thrust23THRUST_200600_302600_NS6detail15normal_iteratorINS9_10device_ptrIiEEEENSB_INSC_IdEEEESG_dNS9_4plusIvEENS9_8equal_toIvEEdEE10hipError_tPvRmT2_T3_T4_T5_mT6_T7_P12ihipStream_tbENKUlT_T0_E_clISt17integral_constantIbLb0EES11_EEDaSW_SX_EUlSW_E_NS1_11comp_targetILNS1_3genE0ELNS1_11target_archE4294967295ELNS1_3gpuE0ELNS1_3repE0EEENS1_30default_config_static_selectorELNS0_4arch9wavefront6targetE0EEEvT1_ ; -- Begin function _ZN7rocprim17ROCPRIM_400000_NS6detail17trampoline_kernelINS0_14default_configENS1_27scan_by_key_config_selectorIidEEZZNS1_16scan_by_key_implILNS1_25lookback_scan_determinismE0ELb0ES3_N6thrust23THRUST_200600_302600_NS6detail15normal_iteratorINS9_10device_ptrIiEEEENSB_INSC_IdEEEESG_dNS9_4plusIvEENS9_8equal_toIvEEdEE10hipError_tPvRmT2_T3_T4_T5_mT6_T7_P12ihipStream_tbENKUlT_T0_E_clISt17integral_constantIbLb0EES11_EEDaSW_SX_EUlSW_E_NS1_11comp_targetILNS1_3genE0ELNS1_11target_archE4294967295ELNS1_3gpuE0ELNS1_3repE0EEENS1_30default_config_static_selectorELNS0_4arch9wavefront6targetE0EEEvT1_
	.globl	_ZN7rocprim17ROCPRIM_400000_NS6detail17trampoline_kernelINS0_14default_configENS1_27scan_by_key_config_selectorIidEEZZNS1_16scan_by_key_implILNS1_25lookback_scan_determinismE0ELb0ES3_N6thrust23THRUST_200600_302600_NS6detail15normal_iteratorINS9_10device_ptrIiEEEENSB_INSC_IdEEEESG_dNS9_4plusIvEENS9_8equal_toIvEEdEE10hipError_tPvRmT2_T3_T4_T5_mT6_T7_P12ihipStream_tbENKUlT_T0_E_clISt17integral_constantIbLb0EES11_EEDaSW_SX_EUlSW_E_NS1_11comp_targetILNS1_3genE0ELNS1_11target_archE4294967295ELNS1_3gpuE0ELNS1_3repE0EEENS1_30default_config_static_selectorELNS0_4arch9wavefront6targetE0EEEvT1_
	.p2align	8
	.type	_ZN7rocprim17ROCPRIM_400000_NS6detail17trampoline_kernelINS0_14default_configENS1_27scan_by_key_config_selectorIidEEZZNS1_16scan_by_key_implILNS1_25lookback_scan_determinismE0ELb0ES3_N6thrust23THRUST_200600_302600_NS6detail15normal_iteratorINS9_10device_ptrIiEEEENSB_INSC_IdEEEESG_dNS9_4plusIvEENS9_8equal_toIvEEdEE10hipError_tPvRmT2_T3_T4_T5_mT6_T7_P12ihipStream_tbENKUlT_T0_E_clISt17integral_constantIbLb0EES11_EEDaSW_SX_EUlSW_E_NS1_11comp_targetILNS1_3genE0ELNS1_11target_archE4294967295ELNS1_3gpuE0ELNS1_3repE0EEENS1_30default_config_static_selectorELNS0_4arch9wavefront6targetE0EEEvT1_,@function
_ZN7rocprim17ROCPRIM_400000_NS6detail17trampoline_kernelINS0_14default_configENS1_27scan_by_key_config_selectorIidEEZZNS1_16scan_by_key_implILNS1_25lookback_scan_determinismE0ELb0ES3_N6thrust23THRUST_200600_302600_NS6detail15normal_iteratorINS9_10device_ptrIiEEEENSB_INSC_IdEEEESG_dNS9_4plusIvEENS9_8equal_toIvEEdEE10hipError_tPvRmT2_T3_T4_T5_mT6_T7_P12ihipStream_tbENKUlT_T0_E_clISt17integral_constantIbLb0EES11_EEDaSW_SX_EUlSW_E_NS1_11comp_targetILNS1_3genE0ELNS1_11target_archE4294967295ELNS1_3gpuE0ELNS1_3repE0EEENS1_30default_config_static_selectorELNS0_4arch9wavefront6targetE0EEEvT1_: ; @_ZN7rocprim17ROCPRIM_400000_NS6detail17trampoline_kernelINS0_14default_configENS1_27scan_by_key_config_selectorIidEEZZNS1_16scan_by_key_implILNS1_25lookback_scan_determinismE0ELb0ES3_N6thrust23THRUST_200600_302600_NS6detail15normal_iteratorINS9_10device_ptrIiEEEENSB_INSC_IdEEEESG_dNS9_4plusIvEENS9_8equal_toIvEEdEE10hipError_tPvRmT2_T3_T4_T5_mT6_T7_P12ihipStream_tbENKUlT_T0_E_clISt17integral_constantIbLb0EES11_EEDaSW_SX_EUlSW_E_NS1_11comp_targetILNS1_3genE0ELNS1_11target_archE4294967295ELNS1_3gpuE0ELNS1_3repE0EEENS1_30default_config_static_selectorELNS0_4arch9wavefront6targetE0EEEvT1_
; %bb.0:
	s_clause 0x3
	s_load_b256 s[12:19], s[0:1], 0x0
	s_load_b256 s[36:43], s[0:1], 0x60
	s_load_b96 s[28:30], s[0:1], 0x50
	s_load_b256 s[20:27], s[0:1], 0x30
	s_getreg_b32 s4, hwreg(HW_REG_IB_STS2, 6, 4)
	s_mov_b32 s3, 0
	s_delay_alu instid0(SALU_CYCLE_1)
	s_mov_b32 s31, s3
	s_barrier_signal -1
	s_barrier_wait -1
	s_wait_kmcnt 0x0
	s_lshl_b64 s[0:1], s[14:15], 2
	s_lshl_b64 s[34:35], s[14:15], 3
	s_cmp_lg_u64 s[40:41], 0
	s_mov_b32 s2, s30
	s_cselect_b32 s33, -1, 0
	s_bfe_u32 s5, ttmp6, 0x4000c
	s_and_b32 s6, ttmp6, 15
	s_add_co_i32 s5, s5, 1
	s_add_nc_u64 s[0:1], s[12:13], s[0:1]
	s_mul_i32 s5, ttmp9, s5
	s_delay_alu instid0(SALU_CYCLE_1)
	s_add_co_i32 s6, s6, s5
	s_cmp_eq_u32 s4, 0
	s_mul_u64 s[4:5], s[28:29], s[2:3]
	s_cselect_b32 s30, ttmp9, s6
	s_add_nc_u64 s[6:7], s[16:17], s[34:35]
	s_add_nc_u64 s[14:15], s[4:5], s[30:31]
	s_add_nc_u64 s[4:5], s[36:37], -1
	s_mul_i32 s2, s30, 0x500
	v_cmp_ge_u64_e64 s27, s[14:15], s[4:5]
	s_lshl_b64 s[8:9], s[2:3], 2
	s_lshl_b64 s[16:17], s[2:3], 3
	s_add_nc_u64 s[12:13], s[0:1], s[8:9]
	s_add_nc_u64 s[10:11], s[6:7], s[16:17]
	s_mul_i32 s31, s4, 0xfffffb00
	s_and_b32 vcc_lo, exec_lo, s27
	s_cbranch_vccz .LBB1085_24
; %bb.1:
	v_mov_b32_e32 v1, 0
	s_add_co_i32 s40, s31, s26
	s_delay_alu instid0(SALU_CYCLE_1)
	v_cmp_gt_u32_e64 s0, s40, v0
	flat_load_b32 v1, v1, s[12:13]
	s_wait_loadcnt_dscnt 0x0
	v_mov_b32_e32 v2, v1
	s_and_saveexec_b32 s1, s0
	s_cbranch_execz .LBB1085_3
; %bb.2:
	flat_load_b32 v2, v0, s[12:13] scale_offset
.LBB1085_3:
	s_wait_xcnt 0x0
	s_or_b32 exec_lo, exec_lo, s1
	v_or_b32_e32 v3, 0x80, v0
	s_delay_alu instid0(VALU_DEP_1)
	v_cmp_gt_u32_e64 s1, s40, v3
	v_mov_b32_e32 v3, v1
	s_and_saveexec_b32 s2, s1
	s_cbranch_execz .LBB1085_5
; %bb.4:
	flat_load_b32 v3, v0, s[12:13] offset:512 scale_offset
.LBB1085_5:
	s_wait_xcnt 0x0
	s_or_b32 exec_lo, exec_lo, s2
	v_or_b32_e32 v4, 0x100, v0
	s_delay_alu instid0(VALU_DEP_1)
	v_cmp_gt_u32_e64 s2, s40, v4
	v_mov_b32_e32 v4, v1
	s_and_saveexec_b32 s3, s2
	s_cbranch_execz .LBB1085_7
; %bb.6:
	flat_load_b32 v4, v0, s[12:13] offset:1024 scale_offset
.LBB1085_7:
	;; [unrolled: 11-line block ×8, first 2 shown]
	s_wait_xcnt 0x0
	s_or_b32 exec_lo, exec_lo, s9
	v_or_b32_e32 v11, 0x480, v0
	s_mov_b32 s36, exec_lo
	s_delay_alu instid0(VALU_DEP_1) | instskip(SKIP_2) | instid1(SALU_CYCLE_1)
	v_cmp_gt_u32_e64 s9, s40, v11
	v_cmpx_le_u32_e64 s40, v11
	s_xor_b32 s36, exec_lo, s36
	s_and_not1_saveexec_b32 s36, s36
	s_cbranch_execz .LBB1085_21
; %bb.20:
	flat_load_b32 v1, v0, s[12:13] offset:4608 scale_offset
.LBB1085_21:
	s_wait_xcnt 0x0
	s_or_b32 exec_lo, exec_lo, s36
	v_lshlrev_b32_e32 v11, 2, v0
	s_cmp_eq_u64 s[14:15], 0
	s_mov_b64 s[36:37], s[12:13]
	s_wait_loadcnt_dscnt 0x0
	ds_store_2addr_stride64_b32 v11, v2, v3 offset1:2
	ds_store_2addr_stride64_b32 v11, v4, v5 offset0:4 offset1:6
	ds_store_2addr_stride64_b32 v11, v6, v7 offset0:8 offset1:10
	;; [unrolled: 1-line block ×4, first 2 shown]
	v_mad_u32_u24 v1, v0, 36, v11
	s_wait_dscnt 0x0
	s_barrier_signal -1
	s_barrier_wait -1
	ds_load_2addr_b64 v[36:39], v1 offset1:1
	ds_load_2addr_b32 v[8:9], v1 offset0:1 offset1:2
	ds_load_2addr_b32 v[16:17], v1 offset0:3 offset1:4
	;; [unrolled: 1-line block ×3, first 2 shown]
	ds_load_b32 v48, v1 offset:36
	ds_load_2addr_b32 v[42:43], v1 offset0:5 offset1:6
	s_cbranch_scc1 .LBB1085_27
; %bb.22:
	s_and_not1_b32 vcc_lo, exec_lo, s33
	s_cbranch_vccnz .LBB1085_25
; %bb.23:
	s_lshl_b64 s[36:37], s[14:15], 2
	s_mov_b32 s41, 0
	s_add_nc_u64 s[36:37], s[42:43], s[36:37]
	s_delay_alu instid0(SALU_CYCLE_1)
	s_add_nc_u64 s[36:37], s[36:37], -4
	s_branch .LBB1085_26
.LBB1085_24:
                                        ; implicit-def: $sgpr5
                                        ; implicit-def: $vgpr51
                                        ; implicit-def: $vgpr46
                                        ; implicit-def: $vgpr49
                                        ; implicit-def: $vgpr50
                                        ; implicit-def: $vgpr16_vgpr17
                                        ; implicit-def: $vgpr26_vgpr27
                                        ; implicit-def: $vgpr30_vgpr31
                                        ; implicit-def: $vgpr34_vgpr35
                                        ; implicit-def: $vgpr4_vgpr5
                                        ; implicit-def: $vgpr58
                                        ; implicit-def: $vgpr59
                                        ; implicit-def: $vgpr63
                                        ; implicit-def: $vgpr54
                                        ; implicit-def: $vgpr55
                                        ; implicit-def: $vgpr47
                                        ; implicit-def: $vgpr56
                                        ; implicit-def: $vgpr57
                                        ; implicit-def: $vgpr53
                                        ; implicit-def: $vgpr22_vgpr23
                                        ; implicit-def: $vgpr44_vgpr45
                                        ; implicit-def: $vgpr18_vgpr19
                                        ; implicit-def: $vgpr20_vgpr21
                                        ; implicit-def: $vgpr10_vgpr11
                                        ; implicit-def: $vgpr12_vgpr13
                                        ; implicit-def: $vgpr6_vgpr7
                                        ; implicit-def: $vgpr1
	s_cbranch_execnz .LBB1085_59
	s_branch .LBB1085_76
.LBB1085_25:
	s_add_nc_u64 s[36:37], s[12:13], -4
	s_mov_b32 s41, -1
.LBB1085_26:
	s_delay_alu instid0(SALU_CYCLE_1)
	s_and_not1_b32 vcc_lo, exec_lo, s41
.LBB1085_27:
	v_mov_b32_e32 v2, 0
	v_mad_i32_i24 v1, 0xffffffdc, v0, v1
	flat_load_b32 v60, v2, s[36:37]
	s_wait_xcnt 0x0
	s_mov_b32 s36, exec_lo
	s_wait_dscnt 0x2
	ds_store_b32 v1, v48 offset:5120
	s_wait_loadcnt_dscnt 0x0
	s_barrier_signal -1
	s_barrier_wait -1
	v_cmpx_ne_u32_e32 0, v0
; %bb.28:
	ds_load_b32 v60, v1 offset:5116
; %bb.29:
	s_or_b32 exec_lo, exec_lo, s36
	s_wait_dscnt 0x0
	s_barrier_signal -1
	s_barrier_wait -1
                                        ; implicit-def: $vgpr2_vgpr3
	s_and_saveexec_b32 s36, s0
	s_cbranch_execnz .LBB1085_62
; %bb.30:
	s_or_b32 exec_lo, exec_lo, s36
                                        ; implicit-def: $vgpr4_vgpr5
	s_and_saveexec_b32 s0, s1
	s_cbranch_execnz .LBB1085_63
.LBB1085_31:
	s_or_b32 exec_lo, exec_lo, s0
                                        ; implicit-def: $vgpr6_vgpr7
	s_and_saveexec_b32 s0, s2
	s_cbranch_execnz .LBB1085_64
.LBB1085_32:
	s_or_b32 exec_lo, exec_lo, s0
                                        ; implicit-def: $vgpr10_vgpr11
	s_and_saveexec_b32 s0, s3
	s_cbranch_execnz .LBB1085_65
.LBB1085_33:
	s_or_b32 exec_lo, exec_lo, s0
                                        ; implicit-def: $vgpr12_vgpr13
	s_and_saveexec_b32 s0, s4
	s_cbranch_execnz .LBB1085_66
.LBB1085_34:
	s_or_b32 exec_lo, exec_lo, s0
                                        ; implicit-def: $vgpr14_vgpr15
	s_and_saveexec_b32 s0, s5
	s_cbranch_execnz .LBB1085_67
.LBB1085_35:
	s_or_b32 exec_lo, exec_lo, s0
                                        ; implicit-def: $vgpr18_vgpr19
	s_and_saveexec_b32 s0, s6
	s_cbranch_execnz .LBB1085_68
.LBB1085_36:
	s_or_b32 exec_lo, exec_lo, s0
                                        ; implicit-def: $vgpr20_vgpr21
	s_and_saveexec_b32 s0, s7
	s_cbranch_execnz .LBB1085_69
.LBB1085_37:
	s_or_b32 exec_lo, exec_lo, s0
                                        ; implicit-def: $vgpr22_vgpr23
	s_and_saveexec_b32 s0, s8
	s_cbranch_execnz .LBB1085_70
.LBB1085_38:
	s_or_b32 exec_lo, exec_lo, s0
                                        ; implicit-def: $vgpr24_vgpr25
	s_and_saveexec_b32 s0, s9
	s_cbranch_execz .LBB1085_40
.LBB1085_39:
	flat_load_b64 v[24:25], v0, s[10:11] offset:9216 scale_offset
.LBB1085_40:
	s_wait_xcnt 0x0
	s_or_b32 exec_lo, exec_lo, s0
	v_lshl_add_u32 v61, v0, 2, v1
	v_mul_u32_u24_e32 v52, 10, v0
	v_mov_b64_e32 v[26:27], 0
	v_mov_b64_e32 v[30:31], 0
	v_mov_b64_e32 v[28:29], 0
	s_wait_loadcnt_dscnt 0x0
	ds_store_2addr_stride64_b64 v61, v[2:3], v[4:5] offset1:2
	ds_store_2addr_stride64_b64 v61, v[6:7], v[10:11] offset0:4 offset1:6
	ds_store_2addr_stride64_b64 v61, v[12:13], v[14:15] offset0:8 offset1:10
	;; [unrolled: 1-line block ×4, first 2 shown]
	v_mov_b64_e32 v[24:25], 0
	v_mov_b64_e32 v[34:35], 0
	;; [unrolled: 1-line block ×13, first 2 shown]
	v_cmp_gt_u32_e32 vcc_lo, s40, v52
	v_dual_mov_b32 v51, 0 :: v_dual_mov_b32 v46, 0
	v_dual_mov_b32 v49, 0 :: v_dual_mov_b32 v50, 0
	;; [unrolled: 1-line block ×7, first 2 shown]
	s_mov_b32 s4, 0
	s_mov_b32 s3, 0
	s_wait_dscnt 0x0
	s_barrier_signal -1
	s_barrier_wait -1
                                        ; implicit-def: $sgpr5
	s_and_saveexec_b32 s6, vcc_lo
	s_cbranch_execz .LBB1085_58
; %bb.41:
	v_mad_u32_u24 v1, 0x48, v0, v61
	v_dual_mov_b32 v51, 0 :: v_dual_bitop2_b32 v4, 1, v52 bitop3:0x54
	v_mov_b64_e32 v[26:27], 0
	v_mov_b64_e32 v[24:25], 0
	ds_load_b64 v[2:3], v1
	v_cmp_gt_u32_e64 s0, s40, v4
	v_mov_b64_e32 v[30:31], 0
	v_mov_b64_e32 v[28:29], 0
	;; [unrolled: 1-line block ×13, first 2 shown]
	v_dual_mov_b32 v46, 0 :: v_dual_mov_b32 v49, 0
	v_dual_mov_b32 v50, 0 :: v_dual_mov_b32 v59, 0
	;; [unrolled: 1-line block ×5, first 2 shown]
	s_mov_b32 s1, 0
	v_cmp_ne_u32_e32 vcc_lo, v60, v36
                                        ; implicit-def: $sgpr5
	s_and_saveexec_b32 s3, s0
	s_cbranch_execz .LBB1085_57
; %bb.42:
	v_mul_u32_u24_e32 v1, 0x48, v0
	v_cmp_ne_u32_e64 s0, v38, v16
	v_cmp_ne_u32_e64 s2, v37, v9
	v_mov_b64_e32 v[26:27], 0
	v_mov_b64_e32 v[24:25], 0
	v_dual_add_nc_u32 v16, v61, v1 :: v_dual_add_nc_u32 v5, 2, v52
	s_delay_alu instid0(VALU_DEP_4)
	v_cndmask_b32_e64 v4, 0, 1, s2
	v_cmp_ne_u32_e64 s2, v36, v8
	v_mov_b64_e32 v[30:31], 0
	ds_load_2addr_b64 v[6:9], v16 offset0:1 offset1:2
	v_mov_b64_e32 v[28:29], 0
	v_mov_b64_e32 v[34:35], 0
	;; [unrolled: 1-line block ×10, first 2 shown]
	v_cmp_ne_u32_e64 s1, v39, v17
	v_cndmask_b32_e64 v1, 0, 1, s2
	v_lshlrev_b16 v4, 8, v4
	v_cmp_gt_u32_e64 s2, s40, v5
	v_dual_mov_b32 v46, 0 :: v_dual_mov_b32 v49, 0
	v_dual_mov_b32 v50, 0 :: v_dual_mov_b32 v59, 0
	;; [unrolled: 1-line block ×5, first 2 shown]
	s_mov_b32 s8, 0
                                        ; implicit-def: $sgpr5
	s_and_saveexec_b32 s7, s2
	s_cbranch_execz .LBB1085_56
; %bb.43:
	v_cndmask_b32_e64 v5, 0, 1, s1
	v_cndmask_b32_e64 v10, 0, 1, s0
	v_and_b32_e32 v11, 0xffff, v4
	v_mov_b64_e32 v[26:27], 0
	v_mov_b64_e32 v[24:25], 0
	v_lshlrev_b16 v5, 8, v5
	v_mov_b32_e32 v50, 0
	v_mov_b64_e32 v[30:31], 0
	v_mov_b64_e32 v[28:29], 0
	;; [unrolled: 1-line block ×3, first 2 shown]
	v_or_b32_e32 v5, v10, v5
	v_mov_b64_e32 v[14:15], 0
	v_mov_b64_e32 v[22:23], 0
	;; [unrolled: 1-line block ×4, first 2 shown]
	v_dual_lshlrev_b32 v32, 16, v5 :: v_dual_mov_b32 v54, 0
	v_mov_b64_e32 v[20:21], 0
	v_dual_mov_b32 v49, 0 :: v_dual_add_nc_u32 v12, 3, v52
	s_delay_alu instid0(VALU_DEP_3) | instskip(SKIP_2) | instid1(VALU_DEP_3)
	v_dual_mov_b32 v55, 0 :: v_dual_bitop2_b32 v13, v11, v32 bitop3:0x54
	v_mov_b64_e32 v[10:11], 0
	v_dual_mov_b32 v59, 0 :: v_dual_mov_b32 v63, 0
	v_dual_mov_b32 v53, 0 :: v_dual_lshrrev_b32 v46, 8, v13
	s_mov_b32 s1, 0
	s_mov_b32 s8, exec_lo
                                        ; implicit-def: $sgpr5
	v_cmpx_gt_u32_e64 s40, v12
	s_cbranch_execz .LBB1085_55
; %bb.44:
	ds_load_2addr_b64 v[10:13], v16 offset0:3 offset1:4
	v_dual_add_nc_u32 v14, 4, v52 :: v_dual_mov_b32 v50, 0
	v_mov_b64_e32 v[26:27], 0
	v_mov_b64_e32 v[24:25], 0
	;; [unrolled: 1-line block ×3, first 2 shown]
	s_delay_alu instid0(VALU_DEP_4)
	v_cmp_gt_u32_e64 s0, s40, v14
	v_mov_b64_e32 v[28:29], 0
	v_mov_b64_e32 v[14:15], 0
	v_mov_b64_e32 v[22:23], 0
	v_mov_b64_e32 v[44:45], 0
	v_mov_b64_e32 v[18:19], 0
	v_mov_b64_e32 v[20:21], 0
	v_dual_mov_b32 v59, 0 :: v_dual_mov_b32 v63, 0
	v_dual_mov_b32 v54, 0 :: v_dual_mov_b32 v55, 0
                                        ; implicit-def: $sgpr5
	s_and_saveexec_b32 s9, s0
	s_cbranch_execz .LBB1085_54
; %bb.45:
	v_dual_mov_b32 v59, 0 :: v_dual_add_nc_u32 v14, 5, v52
	v_mov_b64_e32 v[26:27], 0
	v_mov_b64_e32 v[24:25], 0
	;; [unrolled: 1-line block ×3, first 2 shown]
	s_delay_alu instid0(VALU_DEP_4)
	v_cmp_gt_u32_e64 s0, s40, v14
	v_mov_b64_e32 v[14:15], 0
	v_mov_b64_e32 v[22:23], 0
	v_mov_b64_e32 v[44:45], 0
	v_mov_b64_e32 v[18:19], 0
	v_dual_mov_b32 v63, 0 :: v_dual_mov_b32 v54, 0
	v_mov_b32_e32 v55, 0
                                        ; implicit-def: $sgpr5
	s_and_saveexec_b32 s36, s0
	s_cbranch_execz .LBB1085_53
; %bb.46:
	ds_load_2addr_b64 v[18:21], v16 offset0:5 offset1:6
	v_cmp_ne_u32_e64 s0, v42, v43
	v_dual_add_nc_u32 v15, 6, v52 :: v_dual_mov_b32 v63, 0
	v_cmp_ne_u32_e64 s2, v17, v42
	v_mov_b64_e32 v[26:27], 0
	s_delay_alu instid0(VALU_DEP_4)
	v_cndmask_b32_e64 v14, 0, 1, s0
	v_mov_b64_e32 v[24:25], 0
	v_mov_b64_e32 v[22:23], 0
	v_cndmask_b32_e64 v29, 0, 1, s2
	v_cmp_gt_u32_e64 s2, s40, v15
	v_lshlrev_b16 v28, 8, v14
	v_mov_b64_e32 v[14:15], 0
	v_mov_b64_e32 v[44:45], 0
	v_cmp_ne_u32_e64 s0, v43, v40
	v_cmp_ne_u32_e64 s1, v40, v41
	v_dual_mov_b32 v54, 0 :: v_dual_mov_b32 v55, 0
	s_mov_b32 s41, 0
                                        ; implicit-def: $sgpr5
	s_and_saveexec_b32 s37, s2
	s_cbranch_execz .LBB1085_52
; %bb.47:
	v_cndmask_b32_e64 v14, 0, 1, s1
	v_cndmask_b32_e64 v15, 0, 1, s0
	v_mov_b64_e32 v[22:23], 0
	s_mov_b32 s2, 0
	s_mov_b32 s1, exec_lo
	v_lshlrev_b16 v14, 8, v14
                                        ; implicit-def: $sgpr5
	v_dual_mov_b32 v54, 0 :: v_dual_add_nc_u32 v17, 7, v52
	s_delay_alu instid0(VALU_DEP_2) | instskip(SKIP_1) | instid1(VALU_DEP_2)
	v_dual_mov_b32 v55, 0 :: v_dual_bitop2_b32 v26, v15, v14 bitop3:0x54
	v_and_b32_e32 v14, 0xffff, v28
	v_lshlrev_b32_e32 v27, 16, v26
	s_delay_alu instid0(VALU_DEP_1) | instskip(SKIP_1) | instid1(VALU_DEP_2)
	v_or_b32_e32 v24, v14, v27
	v_mov_b64_e32 v[14:15], 0
	v_lshrrev_b32_e32 v63, 8, v24
	v_cmpx_gt_u32_e64 s40, v17
	s_cbranch_execz .LBB1085_51
; %bb.48:
	ds_load_2addr_b64 v[22:25], v16 offset0:7 offset1:8
	v_mov_b64_e32 v[14:15], 0
	v_dual_add_nc_u32 v17, 8, v52 :: v_dual_mov_b32 v55, 0
	s_mov_b32 s41, exec_lo
                                        ; implicit-def: $sgpr5
	s_delay_alu instid0(VALU_DEP_1)
	v_cmpx_gt_u32_e64 s40, v17
	s_xor_b32 s41, exec_lo, s41
	s_cbranch_execz .LBB1085_50
; %bb.49:
	ds_load_b64 v[16:17], v16 offset:72
	v_dual_add_nc_u32 v14, 9, v52 :: v_dual_lshrrev_b32 v55, 24, v27
	v_cmp_ne_u32_e64 s5, v41, v48
	s_delay_alu instid0(VALU_DEP_2)
	v_cmp_gt_u32_e64 s0, s40, v14
	s_wait_dscnt 0x1
	v_mov_b64_e32 v[14:15], v[24:25]
	s_and_b32 s2, s0, exec_lo
.LBB1085_50:
	s_or_b32 exec_lo, exec_lo, s41
	v_mov_b32_e32 v54, v26
	s_and_b32 s2, s2, exec_lo
.LBB1085_51:
	s_or_b32 exec_lo, exec_lo, s1
	s_wait_dscnt 0x0
	v_mov_b64_e32 v[26:27], v[22:23]
	v_mov_b64_e32 v[24:25], v[20:21]
	;; [unrolled: 1-line block ×3, first 2 shown]
	s_and_b32 s41, s2, exec_lo
.LBB1085_52:
	s_or_b32 exec_lo, exec_lo, s37
	s_wait_dscnt 0x0
	v_mov_b64_e32 v[30:31], v[18:19]
	v_or_b32_e32 v59, v29, v28
	s_and_b32 s1, s41, exec_lo
.LBB1085_53:
	s_or_b32 exec_lo, exec_lo, s36
	s_wait_dscnt 0x0
	v_mov_b64_e32 v[28:29], v[12:13]
	v_mov_b64_e32 v[20:21], v[12:13]
	v_lshrrev_b32_e32 v50, 24, v32
	s_and_b32 s1, s1, exec_lo
.LBB1085_54:
	s_or_b32 exec_lo, exec_lo, s9
	s_wait_dscnt 0x0
	v_mov_b64_e32 v[34:35], v[10:11]
	v_dual_mov_b32 v49, v5 :: v_dual_mov_b32 v53, v50
	s_and_b32 s1, s1, exec_lo
.LBB1085_55:
	s_or_b32 exec_lo, exec_lo, s8
	s_wait_dscnt 0x0
	v_mov_b64_e32 v[32:33], v[8:9]
	v_mov_b64_e32 v[12:13], v[8:9]
	v_dual_mov_b32 v56, v46 :: v_dual_mov_b32 v57, v49
	s_and_b32 s8, s1, exec_lo
.LBB1085_56:
	s_or_b32 exec_lo, exec_lo, s7
	v_or_b32_e32 v51, v1, v4
	s_wait_dscnt 0x0
	v_mov_b64_e32 v[4:5], v[6:7]
	s_and_b32 s1, s8, exec_lo
.LBB1085_57:
	s_or_b32 exec_lo, exec_lo, s3
	v_cndmask_b32_e64 v58, 0, 1, vcc_lo
	v_mov_b32_e32 v47, v51
	s_and_b32 s3, s1, exec_lo
	s_delay_alu instid0(VALU_DEP_2)
	v_mov_b32_e32 v1, v58
.LBB1085_58:
	s_or_b32 exec_lo, exec_lo, s6
	s_delay_alu instid0(SALU_CYCLE_1)
	s_and_b32 vcc_lo, exec_lo, s4
	s_cbranch_vccz .LBB1085_76
.LBB1085_59:
	flat_load_b32 v1, v0, s[12:13] scale_offset
	s_wait_dscnt 0x1
	s_clause 0x8
	flat_load_b32 v2, v0, s[12:13] offset:512 scale_offset
	flat_load_b32 v3, v0, s[12:13] offset:1024 scale_offset
	;; [unrolled: 1-line block ×9, first 2 shown]
	v_lshlrev_b32_e32 v11, 2, v0
	s_cmp_eq_u64 s[14:15], 0
	s_wait_loadcnt_dscnt 0x808
	ds_store_2addr_stride64_b32 v11, v1, v2 offset1:2
	s_wait_loadcnt_dscnt 0x607
	ds_store_2addr_stride64_b32 v11, v3, v4 offset0:4 offset1:6
	s_wait_loadcnt_dscnt 0x406
	ds_store_2addr_stride64_b32 v11, v5, v6 offset0:8 offset1:10
	;; [unrolled: 2-line block ×4, first 2 shown]
	v_mov_b32_e32 v1, 0
	v_mad_u32_u24 v15, v0, 36, v11
	s_wait_dscnt 0x0
	s_barrier_signal -1
	s_barrier_wait -1
	ds_load_2addr_b64 v[6:9], v15 offset1:1
	ds_load_2addr_b32 v[4:5], v15 offset0:1 offset1:2
	ds_load_2addr_b32 v[2:3], v15 offset0:3 offset1:4
	;; [unrolled: 1-line block ×3, first 2 shown]
	ds_load_b32 v14, v15 offset:36
	ds_load_2addr_b32 v[12:13], v15 offset0:5 offset1:6
	s_cbranch_scc1 .LBB1085_73
; %bb.60:
	s_and_not1_b32 vcc_lo, exec_lo, s33
	s_cbranch_vccnz .LBB1085_71
; %bb.61:
	s_lshl_b64 s[0:1], s[14:15], 2
	s_delay_alu instid0(SALU_CYCLE_1) | instskip(NEXT) | instid1(SALU_CYCLE_1)
	s_add_nc_u64 s[0:1], s[42:43], s[0:1]
	s_add_nc_u64 s[12:13], s[0:1], -4
	s_mov_b32 s0, 0
	s_branch .LBB1085_72
.LBB1085_62:
	flat_load_b64 v[2:3], v0, s[10:11] scale_offset
	s_wait_xcnt 0x0
	s_or_b32 exec_lo, exec_lo, s36
                                        ; implicit-def: $vgpr4_vgpr5
	s_and_saveexec_b32 s0, s1
	s_cbranch_execz .LBB1085_31
.LBB1085_63:
	flat_load_b64 v[4:5], v0, s[10:11] offset:1024 scale_offset
	s_wait_xcnt 0x0
	s_or_b32 exec_lo, exec_lo, s0
                                        ; implicit-def: $vgpr6_vgpr7
	s_and_saveexec_b32 s0, s2
	s_cbranch_execz .LBB1085_32
.LBB1085_64:
	flat_load_b64 v[6:7], v0, s[10:11] offset:2048 scale_offset
	s_wait_xcnt 0x0
	s_or_b32 exec_lo, exec_lo, s0
                                        ; implicit-def: $vgpr10_vgpr11
	s_and_saveexec_b32 s0, s3
	s_cbranch_execz .LBB1085_33
.LBB1085_65:
	flat_load_b64 v[10:11], v0, s[10:11] offset:3072 scale_offset
	s_wait_xcnt 0x0
	s_or_b32 exec_lo, exec_lo, s0
                                        ; implicit-def: $vgpr12_vgpr13
	s_and_saveexec_b32 s0, s4
	s_cbranch_execz .LBB1085_34
.LBB1085_66:
	flat_load_b64 v[12:13], v0, s[10:11] offset:4096 scale_offset
	s_wait_xcnt 0x0
	s_or_b32 exec_lo, exec_lo, s0
                                        ; implicit-def: $vgpr14_vgpr15
	s_and_saveexec_b32 s0, s5
	s_cbranch_execz .LBB1085_35
.LBB1085_67:
	flat_load_b64 v[14:15], v0, s[10:11] offset:5120 scale_offset
	s_wait_xcnt 0x0
	s_or_b32 exec_lo, exec_lo, s0
                                        ; implicit-def: $vgpr18_vgpr19
	s_and_saveexec_b32 s0, s6
	s_cbranch_execz .LBB1085_36
.LBB1085_68:
	flat_load_b64 v[18:19], v0, s[10:11] offset:6144 scale_offset
	s_wait_xcnt 0x0
	s_or_b32 exec_lo, exec_lo, s0
                                        ; implicit-def: $vgpr20_vgpr21
	s_and_saveexec_b32 s0, s7
	s_cbranch_execz .LBB1085_37
.LBB1085_69:
	flat_load_b64 v[20:21], v0, s[10:11] offset:7168 scale_offset
	s_wait_xcnt 0x0
	s_or_b32 exec_lo, exec_lo, s0
                                        ; implicit-def: $vgpr22_vgpr23
	s_and_saveexec_b32 s0, s8
	s_cbranch_execz .LBB1085_38
.LBB1085_70:
	flat_load_b64 v[22:23], v0, s[10:11] offset:8192 scale_offset
	s_wait_xcnt 0x0
	s_or_b32 exec_lo, exec_lo, s0
                                        ; implicit-def: $vgpr24_vgpr25
	s_and_saveexec_b32 s0, s9
	s_cbranch_execnz .LBB1085_39
	s_branch .LBB1085_40
.LBB1085_71:
	s_add_nc_u64 s[12:13], s[12:13], -4
	s_mov_b32 s0, -1
.LBB1085_72:
	s_delay_alu instid0(SALU_CYCLE_1)
	s_and_not1_b32 vcc_lo, exec_lo, s0
.LBB1085_73:
	flat_load_b32 v1, v1, s[12:13]
	v_mad_i32_i24 v15, 0xffffffdc, v0, v15
	s_mov_b32 s0, exec_lo
	s_wait_dscnt 0x2
	ds_store_b32 v15, v14 offset:5120
	s_wait_loadcnt_dscnt 0x0
	s_barrier_signal -1
	s_barrier_wait -1
	v_cmpx_ne_u32_e32 0, v0
; %bb.74:
	ds_load_b32 v1, v15 offset:5116
; %bb.75:
	s_or_b32 exec_lo, exec_lo, s0
	s_wait_dscnt 0x0
	s_barrier_signal -1
	s_barrier_wait -1
	s_clause 0x9
	flat_load_b64 v[16:17], v0, s[10:11] scale_offset
	flat_load_b64 v[18:19], v0, s[10:11] offset:1024 scale_offset
	flat_load_b64 v[20:21], v0, s[10:11] offset:2048 scale_offset
	;; [unrolled: 1-line block ×9, first 2 shown]
	v_cmp_ne_u32_e32 vcc_lo, v12, v13
	v_cmp_ne_u32_e64 s5, v11, v14
	s_mov_b32 s3, -1
	v_cndmask_b32_e64 v14, 0, 1, vcc_lo
	v_cmp_ne_u32_e32 vcc_lo, v3, v12
	v_cndmask_b32_e64 v12, 0, 1, vcc_lo
	v_cmp_ne_u32_e32 vcc_lo, v10, v11
	;; [unrolled: 2-line block ×4, first 2 shown]
	v_lshl_add_u32 v7, v0, 2, v15
	s_wait_loadcnt_dscnt 0x808
	ds_store_2addr_stride64_b64 v7, v[16:17], v[18:19] offset1:2
	s_wait_loadcnt_dscnt 0x607
	ds_store_2addr_stride64_b64 v7, v[20:21], v[22:23] offset0:4 offset1:6
	s_wait_loadcnt_dscnt 0x406
	ds_store_2addr_stride64_b64 v7, v[24:25], v[26:27] offset0:8 offset1:10
	;; [unrolled: 2-line block ×4, first 2 shown]
	v_cndmask_b32_e64 v5, 0, 1, vcc_lo
	v_cmp_ne_u32_e32 vcc_lo, v6, v4
	s_wait_dscnt 0x0
	s_barrier_signal -1
	s_barrier_wait -1
	v_lshlrev_b16 v5, 8, v5
	v_cndmask_b32_e64 v4, 0, 1, vcc_lo
	v_cmp_ne_u32_e32 vcc_lo, v9, v3
	v_lshlrev_b16 v9, 8, v14
	v_cndmask_b32_e64 v3, 0, 1, vcc_lo
	v_cmp_ne_u32_e32 vcc_lo, v8, v2
	v_lshlrev_b16 v8, 8, v11
	v_mad_u32_u24 v11, 0x48, v0, v7
	ds_load_b128 v[28:31], v11 offset:32
	ds_load_b128 v[24:27], v11 offset:48
	v_cndmask_b32_e64 v2, 0, 1, vcc_lo
	v_lshlrev_b16 v3, 8, v3
	v_and_b32_e32 v7, 0xffff, v5
	v_cmp_ne_u32_e32 vcc_lo, v1, v6
	s_delay_alu instid0(VALU_DEP_3) | instskip(SKIP_3) | instid1(VALU_DEP_4)
	v_or_b32_e32 v49, v2, v3
	v_or_b32_e32 v54, v10, v8
	v_and_b32_e32 v8, 0xffff, v9
	v_cndmask_b32_e64 v58, 0, 1, vcc_lo
	v_lshlrev_b32_e32 v10, 16, v49
	s_delay_alu instid0(VALU_DEP_4)
	v_dual_lshlrev_b32 v13, 16, v54 :: v_dual_bitop2_b32 v51, v4, v5 bitop3:0x54
	ds_load_b128 v[2:5], v11
	ds_load_b128 v[32:35], v11 offset:16
	ds_load_b128 v[14:17], v11 offset:64
	v_dual_lshrrev_b32 v50, 24, v10 :: v_dual_bitop2_b32 v59, v12, v9 bitop3:0x54
	v_mov_b32_e32 v47, v51
	v_dual_mov_b32 v57, v49 :: v_dual_bitop2_b32 v1, v7, v10 bitop3:0x54
	v_dual_lshrrev_b32 v55, 24, v13 :: v_dual_bitop2_b32 v6, v8, v13 bitop3:0x54
	s_wait_dscnt 0x3
	v_mov_b64_e32 v[22:23], v[26:27]
	s_delay_alu instid0(VALU_DEP_3)
	v_lshrrev_b32_e32 v46, 8, v1
	v_mov_b64_e32 v[44:45], v[24:25]
	v_lshrrev_b32_e32 v63, 8, v6
	v_mov_b64_e32 v[18:19], v[30:31]
	v_mov_b64_e32 v[20:21], v[28:29]
	v_dual_mov_b32 v53, v50 :: v_dual_mov_b32 v56, v46
	v_mov_b32_e32 v1, v58
	s_wait_dscnt 0x2
	v_mov_b64_e32 v[6:7], v[4:5]
	s_wait_dscnt 0x1
	v_mov_b64_e32 v[10:11], v[34:35]
	v_mov_b64_e32 v[12:13], v[32:33]
.LBB1085_76:
	v_mov_b64_e32 v[8:9], 0
	v_mov_b32_e32 v48, 0
	s_and_saveexec_b32 s0, s3
	s_cbranch_execz .LBB1085_78
; %bb.77:
	v_mov_b64_e32 v[6:7], v[4:5]
	v_mov_b64_e32 v[12:13], v[32:33]
	;; [unrolled: 1-line block ×7, first 2 shown]
	s_wait_dscnt 0x0
	v_mov_b64_e32 v[8:9], v[16:17]
	v_cndmask_b32_e64 v48, 0, 1, s5
	v_dual_mov_b32 v1, v58 :: v_dual_mov_b32 v47, v51
	v_dual_mov_b32 v56, v46 :: v_dual_mov_b32 v57, v49
	v_mov_b32_e32 v53, v50
.LBB1085_78:
	s_or_b32 exec_lo, exec_lo, s0
	v_and_b32_e32 v51, 1, v59
	v_and_b32_e32 v52, 1, v55
	;; [unrolled: 1-line block ×8, first 2 shown]
	v_bitop3_b16 v53, v53, 0xff, v57 bitop3:0xc8
	v_and_b32_e32 v55, 0xff, v55
	v_and_b32_e32 v56, 0xff, v54
	;; [unrolled: 1-line block ×4, first 2 shown]
	v_cmp_eq_u32_e64 s10, 1, v51
	v_bitop3_b16 v54, v54, 0xff, v63 bitop3:0xc8
	v_cmp_eq_u32_e64 s11, 1, v52
	v_cmp_eq_u16_e64 s0, 0, v48
	v_cmp_eq_u32_e64 s9, 1, v50
	v_mbcnt_lo_u32_b32 v46, -1, 0
	s_cmp_lg_u32 s30, 0
	s_wait_dscnt 0x0
	v_cmp_eq_u32_e32 vcc_lo, 1, v49
	s_barrier_signal -1
	s_barrier_wait -1
	s_cbranch_scc0 .LBB1085_134
; %bb.79:
	v_add_f64_e32 v[4:5], v[2:3], v[6:7]
	v_cmp_eq_u16_e64 s1, 0, v62
	v_cmp_eq_u16_e64 s2, 0, v61
	;; [unrolled: 1-line block ×8, first 2 shown]
	v_bitop3_b16 v16, v47, 0xff, v1 bitop3:0xc8
	v_cmp_ne_u16_e64 s12, 0, v54
	v_cmp_ne_u16_e64 s13, 0, v53
	v_and_b32_e32 v25, 15, v46
	s_delay_alu instid0(VALU_DEP_4) | instskip(SKIP_3) | instid1(SALU_CYCLE_1)
	v_cmp_ne_u16_e64 s14, 0, v16
	s_or_b32 s11, s12, s11
	s_or_b32 s10, s13, s10
	;; [unrolled: 1-line block ×4, first 2 shown]
	s_or_b32 s10, s14, vcc_lo
	s_delay_alu instid0(SALU_CYCLE_1) | instskip(SKIP_2) | instid1(VALU_DEP_1)
	s_or_b32 vcc_lo, s9, s10
	s_mov_b32 s10, exec_lo
	v_cndmask_b32_e64 v24, 0, 1, vcc_lo
	v_mov_b32_dpp v26, v24 row_shr:1 row_mask:0xf bank_mask:0xf
	v_dual_cndmask_b32 v5, v7, v5, s1 :: v_dual_cndmask_b32 v4, v6, v4, s1
	s_delay_alu instid0(VALU_DEP_1) | instskip(NEXT) | instid1(VALU_DEP_1)
	v_add_f64_e32 v[4:5], v[12:13], v[4:5]
	v_dual_cndmask_b32 v5, v13, v5, s2 :: v_dual_cndmask_b32 v4, v12, v4, s2
	s_delay_alu instid0(VALU_DEP_1) | instskip(NEXT) | instid1(VALU_DEP_1)
	v_add_f64_e32 v[4:5], v[10:11], v[4:5]
	;; [unrolled: 3-line block ×8, first 2 shown]
	v_dual_cndmask_b32 v16, v8, v4, s0 :: v_dual_cndmask_b32 v17, v9, v5, s0
	s_delay_alu instid0(VALU_DEP_1) | instskip(NEXT) | instid1(VALU_DEP_2)
	v_mov_b32_dpp v4, v16 row_shr:1 row_mask:0xf bank_mask:0xf
	v_mov_b32_dpp v5, v17 row_shr:1 row_mask:0xf bank_mask:0xf
	v_cmpx_ne_u32_e32 0, v25
	s_cbranch_execz .LBB1085_81
; %bb.80:
	s_delay_alu instid0(VALU_DEP_2) | instskip(SKIP_1) | instid1(VALU_DEP_2)
	v_add_f64_e32 v[4:5], v[16:17], v[4:5]
	v_and_or_b32 v24, v26, 1, v24
	v_dual_cndmask_b32 v17, v5, v17 :: v_dual_cndmask_b32 v16, v4, v16
.LBB1085_81:
	s_or_b32 exec_lo, exec_lo, s10
	s_delay_alu instid0(VALU_DEP_1) | instskip(NEXT) | instid1(VALU_DEP_2)
	v_mov_b32_dpp v4, v16 row_shr:2 row_mask:0xf bank_mask:0xf
	v_mov_b32_dpp v5, v17 row_shr:2 row_mask:0xf bank_mask:0xf
	v_mov_b32_dpp v26, v24 row_shr:2 row_mask:0xf bank_mask:0xf
	s_mov_b32 s9, exec_lo
	v_cmpx_lt_u32_e32 1, v25
	s_cbranch_execz .LBB1085_83
; %bb.82:
	v_add_f64_e32 v[4:5], v[16:17], v[4:5]
	v_cmp_eq_u16_e32 vcc_lo, 0, v24
	v_bitop3_b32 v24, v26, 1, v24 bitop3:0xc8
	s_delay_alu instid0(VALU_DEP_3)
	v_dual_cndmask_b32 v17, v17, v5 :: v_dual_cndmask_b32 v16, v16, v4
.LBB1085_83:
	s_or_b32 exec_lo, exec_lo, s9
	s_delay_alu instid0(VALU_DEP_1) | instskip(NEXT) | instid1(VALU_DEP_2)
	v_mov_b32_dpp v4, v16 row_shr:4 row_mask:0xf bank_mask:0xf
	v_mov_b32_dpp v5, v17 row_shr:4 row_mask:0xf bank_mask:0xf
	v_mov_b32_dpp v26, v24 row_shr:4 row_mask:0xf bank_mask:0xf
	s_mov_b32 s9, exec_lo
	v_cmpx_lt_u32_e32 3, v25
	s_cbranch_execz .LBB1085_85
; %bb.84:
	v_add_f64_e32 v[4:5], v[16:17], v[4:5]
	v_cmp_eq_u16_e32 vcc_lo, 0, v24
	v_bitop3_b32 v24, v26, 1, v24 bitop3:0xc8
	s_delay_alu instid0(VALU_DEP_3)
	v_dual_cndmask_b32 v17, v17, v5 :: v_dual_cndmask_b32 v16, v16, v4
.LBB1085_85:
	;; [unrolled: 15-line block ×3, first 2 shown]
	s_or_b32 exec_lo, exec_lo, s9
	ds_swizzle_b32 v4, v16 offset:swizzle(BROADCAST,32,15)
	ds_swizzle_b32 v5, v17 offset:swizzle(BROADCAST,32,15)
	;; [unrolled: 1-line block ×3, first 2 shown]
	v_and_b32_e32 v26, 16, v46
	s_delay_alu instid0(VALU_DEP_1)
	v_cmp_ne_u32_e32 vcc_lo, 0, v26
	v_mov_b32_e32 v26, v24
	s_and_saveexec_b32 s11, vcc_lo
	s_cbranch_execz .LBB1085_89
; %bb.88:
	s_wait_dscnt 0x1
	v_add_f64_e32 v[4:5], v[16:17], v[4:5]
	v_cmp_eq_u16_e64 s10, 0, v24
	v_and_b32_e32 v26, 1, v24
	s_wait_dscnt 0x0
	s_delay_alu instid0(VALU_DEP_2) | instskip(NEXT) | instid1(VALU_DEP_1)
	v_dual_cndmask_b32 v16, v16, v4, s10 :: v_dual_bitop2_b32 v25, 1, v25 bitop3:0x40
	v_cmp_eq_u32_e64 s9, 1, v25
	v_cndmask_b32_e64 v17, v17, v5, s10
	v_cmp_eq_u32_e32 vcc_lo, 1, v26
	s_or_b32 s9, vcc_lo, s9
	s_delay_alu instid0(SALU_CYCLE_1)
	v_cndmask_b32_e64 v24, 0, 1, s9
	v_cndmask_b32_e64 v26, 0, 1, s9
.LBB1085_89:
	s_or_b32 exec_lo, exec_lo, s11
	s_wait_dscnt 0x1
	v_dual_lshrrev_b32 v5, 5, v0 :: v_dual_bitop2_b32 v4, 31, v0 bitop3:0x54
	s_mov_b32 s9, exec_lo
	s_delay_alu instid0(VALU_DEP_1) | instskip(NEXT) | instid1(VALU_DEP_2)
	v_lshlrev_b32_e32 v27, 4, v5
	v_cmpx_eq_u32_e64 v0, v4
	s_cbranch_execz .LBB1085_91
; %bb.90:
	ds_store_b64 v27, v[16:17]
	ds_store_b8 v27, v24 offset:8
.LBB1085_91:
	s_or_b32 exec_lo, exec_lo, s9
	s_delay_alu instid0(SALU_CYCLE_1)
	s_mov_b32 s11, exec_lo
	s_wait_dscnt 0x0
	s_barrier_signal -1
	s_barrier_wait -1
	v_cmpx_gt_u32_e32 4, v0
	s_cbranch_execz .LBB1085_97
; %bb.92:
	v_dual_lshlrev_b32 v28, 4, v0 :: v_dual_bitop2_b32 v30, 3, v46 bitop3:0x40
	s_mov_b32 s9, exec_lo
	ds_load_b64 v[4:5], v28
	ds_load_b32 v29, v28 offset:8
	s_wait_dscnt 0x1
	v_mov_b32_dpp v24, v4 row_shr:1 row_mask:0xf bank_mask:0xf
	v_mov_b32_dpp v25, v5 row_shr:1 row_mask:0xf bank_mask:0xf
	s_wait_dscnt 0x0
	v_mov_b32_dpp v33, v29 row_shr:1 row_mask:0xf bank_mask:0xf
	v_dual_mov_b32 v32, v29 :: v_dual_mov_b32 v31, v29
	v_cmpx_ne_u32_e32 0, v30
	s_cbranch_execz .LBB1085_94
; %bb.93:
	v_add_f64_e32 v[24:25], v[4:5], v[24:25]
	v_and_b32_e32 v31, 0xff, v29
	s_delay_alu instid0(VALU_DEP_1) | instskip(SKIP_2) | instid1(VALU_DEP_1)
	v_cmp_eq_u16_e32 vcc_lo, 0, v31
	v_or_b32_e32 v32, v33, v29
	v_bitop3_b32 v31, v33, 1, v29 bitop3:0xc8
	v_and_or_b32 v29, 0xffffff00, v29, v31
	v_dual_cndmask_b32 v5, v5, v25 :: v_dual_cndmask_b32 v4, v4, v24
	s_delay_alu instid0(VALU_DEP_4)
	v_and_b32_e32 v32, 1, v32
.LBB1085_94:
	s_or_b32 exec_lo, exec_lo, s9
	s_delay_alu instid0(VALU_DEP_2) | instskip(NEXT) | instid1(VALU_DEP_3)
	v_mov_b32_dpp v24, v4 row_shr:2 row_mask:0xf bank_mask:0xf
	v_mov_b32_dpp v25, v5 row_shr:2 row_mask:0xf bank_mask:0xf
	;; [unrolled: 1-line block ×3, first 2 shown]
	s_mov_b32 s12, exec_lo
	v_cmpx_lt_u32_e32 1, v30
	s_cbranch_execz .LBB1085_96
; %bb.95:
	v_add_f64_e32 v[24:25], v[4:5], v[24:25]
	v_and_b32_e32 v30, 0xff, v31
	v_and_b32_e32 v31, 1, v31
	s_delay_alu instid0(VALU_DEP_2) | instskip(SKIP_1) | instid1(VALU_DEP_3)
	v_cmp_eq_u16_e32 vcc_lo, 0, v30
	v_and_b32_e32 v29, 1, v29
	v_cmp_eq_u32_e64 s9, 1, v31
	v_cndmask_b32_e32 v4, v4, v24, vcc_lo
	s_delay_alu instid0(VALU_DEP_3) | instskip(SKIP_2) | instid1(SALU_CYCLE_1)
	v_cmp_eq_u32_e64 s10, 1, v29
	v_cndmask_b32_e32 v5, v5, v25, vcc_lo
	s_or_b32 s9, s9, s10
	v_cndmask_b32_e64 v32, 0, 1, s9
.LBB1085_96:
	s_or_b32 exec_lo, exec_lo, s12
	ds_store_b64 v28, v[4:5]
	ds_store_b8 v28, v32 offset:8
.LBB1085_97:
	s_or_b32 exec_lo, exec_lo, s11
	v_mov_b64_e32 v[4:5], 0
	v_mov_b32_e32 v32, 0
	s_mov_b32 s10, exec_lo
	v_cmp_gt_u32_e32 vcc_lo, 32, v0
	s_wait_dscnt 0x0
	s_barrier_signal -1
	s_barrier_wait -1
	v_cmpx_lt_u32_e32 31, v0
	s_cbranch_execz .LBB1085_99
; %bb.98:
	v_dual_add_nc_u32 v4, -16, v27 :: v_dual_add_nc_u32 v24, -8, v27
	v_cmp_eq_u32_e64 s9, 0, v26
	ds_load_b64 v[4:5], v4
	ds_load_u8 v27, v24
	s_wait_dscnt 0x0
	v_dual_add_f64 v[24:25], v[16:17], v[4:5] :: v_dual_bitop2_b32 v28, v27, v26 bitop3:0x54
	v_and_b32_e32 v32, 1, v27
	s_delay_alu instid0(VALU_DEP_2) | instskip(NEXT) | instid1(VALU_DEP_3)
	v_dual_cndmask_b32 v17, v17, v25, s9 :: v_dual_bitop2_b32 v26, 1, v28 bitop3:0x40
	v_cndmask_b32_e64 v16, v16, v24, s9
.LBB1085_99:
	s_or_b32 exec_lo, exec_lo, s10
	v_sub_co_u32 v24, s9, v46, 1
	s_delay_alu instid0(VALU_DEP_1) | instskip(NEXT) | instid1(VALU_DEP_1)
	v_cmp_gt_i32_e64 s10, 0, v24
	v_cndmask_b32_e64 v24, v24, v46, s10
	s_delay_alu instid0(VALU_DEP_1)
	v_lshlrev_b32_e32 v24, 2, v24
	ds_bpermute_b32 v34, v24, v16
	ds_bpermute_b32 v35, v24, v17
	;; [unrolled: 1-line block ×3, first 2 shown]
	s_and_saveexec_b32 s12, vcc_lo
	s_cbranch_execz .LBB1085_171
; %bb.100:
	v_mov_b32_e32 v27, 0
	ds_load_b64 v[16:17], v27 offset:48
	ds_load_u8 v36, v27 offset:56
	s_and_saveexec_b32 s10, s9
	s_cbranch_execz .LBB1085_102
; %bb.101:
	s_add_co_i32 s14, s30, 32
	s_mov_b32 s15, 0
	v_dual_mov_b32 v24, 1 :: v_dual_mov_b32 v25, s14
	s_lshl_b64 s[36:37], s[14:15], 4
	s_delay_alu instid0(SALU_CYCLE_1)
	s_add_nc_u64 s[14:15], s[20:21], s[36:37]
	s_wait_dscnt 0x1
	global_store_b64 v27, v[16:17], s[14:15]
	s_wait_dscnt 0x0
	global_store_b8 v27, v36, s[14:15] offset:8
	global_wb scope:SCOPE_DEV
	s_wait_storecnt 0x0
	global_inv scope:SCOPE_DEV
	s_wait_xcnt 0x0
	global_store_b8 v25, v24, s[24:25] scope:SCOPE_DEV
.LBB1085_102:
	s_wait_xcnt 0x0
	s_or_b32 exec_lo, exec_lo, s10
	v_xad_u32 v24, v46, -1, s30
	s_mov_b32 s11, 0
	s_mov_b32 s10, exec_lo
	s_delay_alu instid0(VALU_DEP_1)
	v_add_nc_u32_e32 v26, 32, v24
	global_load_u8 v37, v26, s[24:25] scope:SCOPE_DEV
	s_wait_loadcnt 0x0
	v_cmpx_eq_u16_e32 0, v37
	s_cbranch_execz .LBB1085_106
; %bb.103:
	v_add_nc_u64_e32 v[28:29], s[24:25], v[26:27]
.LBB1085_104:                           ; =>This Inner Loop Header: Depth=1
	global_load_u8 v37, v[28:29], off scope:SCOPE_DEV
	s_wait_loadcnt 0x0
	v_cmp_ne_u16_e32 vcc_lo, 0, v37
	s_or_b32 s11, vcc_lo, s11
	s_wait_xcnt 0x0
	s_and_not1_b32 exec_lo, exec_lo, s11
	s_cbranch_execnz .LBB1085_104
; %bb.105:
	s_or_b32 exec_lo, exec_lo, s11
.LBB1085_106:
	s_delay_alu instid0(SALU_CYCLE_1)
	s_or_b32 exec_lo, exec_lo, s10
	v_dual_mov_b32 v25, s21 :: v_dual_mov_b32 v28, s20
	v_cmp_eq_u16_e32 vcc_lo, 1, v37
	global_wb scope:SCOPE_DEV
	s_wait_storecnt_dscnt 0x0
	global_inv scope:SCOPE_DEV
	v_lshlrev_b32_e64 v39, v46, -1
	s_mov_b32 s10, exec_lo
	v_cndmask_b32_e32 v29, s23, v25, vcc_lo
	v_cndmask_b32_e32 v28, s22, v28, vcc_lo
	v_cmp_ne_u32_e32 vcc_lo, 31, v46
	v_add_co_ci_u32_e64 v25, null, 0, v46, vcc_lo
	v_cmp_eq_u16_e32 vcc_lo, 2, v37
	s_delay_alu instid0(VALU_DEP_2)
	v_lshlrev_b32_e32 v38, 2, v25
	v_lshl_add_u64 v[26:27], v[26:27], 4, v[28:29]
	s_clause 0x1
	global_load_u8 v30, v[26:27], off offset:8
	global_load_b64 v[28:29], v[26:27], off
	v_and_or_b32 v25, vcc_lo, v39, 0x80000000
	s_delay_alu instid0(VALU_DEP_1)
	v_ctz_i32_b32_e32 v25, v25
	s_wait_loadcnt 0x1
	v_and_b32_e32 v31, 1, v30
	s_wait_loadcnt 0x0
	ds_bpermute_b32 v26, v38, v28
	ds_bpermute_b32 v27, v38, v29
	;; [unrolled: 1-line block ×3, first 2 shown]
	v_cmpx_lt_u32_e64 v46, v25
	s_cbranch_execz .LBB1085_108
; %bb.107:
	s_wait_dscnt 0x1
	v_add_f64_e32 v[26:27], v[28:29], v[26:27]
	v_and_b32_e32 v31, 0xff, v30
	s_wait_dscnt 0x0
	v_bitop3_b16 v30, v40, v30, 1 bitop3:0xec
	s_delay_alu instid0(VALU_DEP_2) | instskip(NEXT) | instid1(VALU_DEP_2)
	v_cmp_eq_u16_e32 vcc_lo, 0, v31
	v_and_b32_e32 v31, 0xff, v30
	v_dual_cndmask_b32 v29, v29, v27 :: v_dual_cndmask_b32 v28, v28, v26
.LBB1085_108:
	s_or_b32 exec_lo, exec_lo, s10
	v_cmp_gt_u32_e32 vcc_lo, 30, v46
	v_add_nc_u32_e32 v41, 2, v46
	s_mov_b32 s13, exec_lo
	s_wait_dscnt 0x2
	v_cndmask_b32_e64 v26, 0, 2, vcc_lo
	s_wait_dscnt 0x0
	s_delay_alu instid0(VALU_DEP_1)
	v_add_lshl_u32 v40, v26, v46, 2
	ds_bpermute_b32 v26, v40, v28
	ds_bpermute_b32 v27, v40, v29
	;; [unrolled: 1-line block ×3, first 2 shown]
	v_cmpx_le_u32_e64 v41, v25
	s_cbranch_execz .LBB1085_110
; %bb.109:
	s_wait_dscnt 0x1
	v_add_f64_e32 v[26:27], v[28:29], v[26:27]
	v_and_b32_e32 v31, 1, v30
	v_and_b32_e32 v30, 0xff, v30
	s_wait_dscnt 0x0
	v_and_b32_e32 v42, 1, v42
	s_delay_alu instid0(VALU_DEP_2) | instskip(NEXT) | instid1(VALU_DEP_2)
	v_cmp_eq_u16_e64 s11, 0, v30
	v_cmp_eq_u32_e64 s10, 1, v42
	s_delay_alu instid0(VALU_DEP_2) | instskip(SKIP_3) | instid1(SALU_CYCLE_1)
	v_cndmask_b32_e64 v29, v29, v27, s11
	v_cmp_eq_u32_e32 vcc_lo, 1, v31
	v_cndmask_b32_e64 v28, v28, v26, s11
	s_or_b32 s10, vcc_lo, s10
	v_cndmask_b32_e64 v30, 0, 1, s10
	v_cndmask_b32_e64 v31, 0, 1, s10
.LBB1085_110:
	s_or_b32 exec_lo, exec_lo, s13
	v_cmp_gt_u32_e32 vcc_lo, 28, v46
	v_add_nc_u32_e32 v43, 4, v46
	s_mov_b32 s13, exec_lo
	s_wait_dscnt 0x2
	v_cndmask_b32_e64 v26, 0, 4, vcc_lo
	s_wait_dscnt 0x0
	s_delay_alu instid0(VALU_DEP_1)
	v_add_lshl_u32 v42, v26, v46, 2
	ds_bpermute_b32 v26, v42, v28
	ds_bpermute_b32 v27, v42, v29
	;; [unrolled: 1-line block ×3, first 2 shown]
	v_cmpx_le_u32_e64 v43, v25
	s_cbranch_execz .LBB1085_112
; %bb.111:
	s_wait_dscnt 0x1
	v_add_f64_e32 v[26:27], v[28:29], v[26:27]
	v_and_b32_e32 v31, 1, v30
	v_and_b32_e32 v30, 0xff, v30
	s_delay_alu instid0(VALU_DEP_1) | instskip(SKIP_1) | instid1(VALU_DEP_1)
	v_cmp_eq_u16_e64 s11, 0, v30
	s_wait_dscnt 0x0
	v_dual_cndmask_b32 v28, v28, v26, s11 :: v_dual_bitop2_b32 v63, 1, v63 bitop3:0x40
	s_delay_alu instid0(VALU_DEP_1) | instskip(SKIP_3) | instid1(SALU_CYCLE_1)
	v_cmp_eq_u32_e64 s10, 1, v63
	v_cndmask_b32_e64 v29, v29, v27, s11
	v_cmp_eq_u32_e32 vcc_lo, 1, v31
	s_or_b32 s10, vcc_lo, s10
	v_cndmask_b32_e64 v30, 0, 1, s10
	v_cndmask_b32_e64 v31, 0, 1, s10
.LBB1085_112:
	s_or_b32 exec_lo, exec_lo, s13
	v_cmp_gt_u32_e32 vcc_lo, 24, v46
	v_add_nc_u32_e32 v64, 8, v46
	s_mov_b32 s13, exec_lo
	s_wait_dscnt 0x2
	v_cndmask_b32_e64 v26, 0, 8, vcc_lo
	s_wait_dscnt 0x0
	s_delay_alu instid0(VALU_DEP_1)
	v_add_lshl_u32 v63, v26, v46, 2
	ds_bpermute_b32 v26, v63, v28
	ds_bpermute_b32 v27, v63, v29
	;; [unrolled: 1-line block ×3, first 2 shown]
	v_cmpx_le_u32_e64 v64, v25
	s_cbranch_execz .LBB1085_114
; %bb.113:
	s_wait_dscnt 0x0
	v_dual_add_f64 v[26:27], v[28:29], v[26:27] :: v_dual_bitop2_b32 v65, 1, v65 bitop3:0x40
	v_and_b32_e32 v31, 1, v30
	v_and_b32_e32 v30, 0xff, v30
	s_delay_alu instid0(VALU_DEP_3) | instskip(NEXT) | instid1(VALU_DEP_2)
	v_cmp_eq_u32_e64 s10, 1, v65
	v_cmp_eq_u16_e64 s11, 0, v30
	s_delay_alu instid0(VALU_DEP_1) | instskip(SKIP_3) | instid1(SALU_CYCLE_1)
	v_cndmask_b32_e64 v29, v29, v27, s11
	v_cmp_eq_u32_e32 vcc_lo, 1, v31
	v_cndmask_b32_e64 v28, v28, v26, s11
	s_or_b32 s10, vcc_lo, s10
	v_cndmask_b32_e64 v30, 0, 1, s10
	v_cndmask_b32_e64 v31, 0, 1, s10
.LBB1085_114:
	s_or_b32 exec_lo, exec_lo, s13
	s_wait_dscnt 0x0
	v_lshl_or_b32 v65, v46, 2, 64
	v_add_nc_u32_e32 v67, 16, v46
	s_mov_b32 s13, exec_lo
	ds_bpermute_b32 v26, v65, v28
	ds_bpermute_b32 v27, v65, v29
	;; [unrolled: 1-line block ×3, first 2 shown]
	v_cmpx_le_u32_e64 v67, v25
	s_cbranch_execz .LBB1085_116
; %bb.115:
	s_wait_dscnt 0x1
	v_add_f64_e32 v[26:27], v[28:29], v[26:27]
	v_and_b32_e32 v25, 0xff, v30
	s_delay_alu instid0(VALU_DEP_1) | instskip(SKIP_2) | instid1(VALU_DEP_4)
	v_cmp_eq_u16_e32 vcc_lo, 0, v25
	v_and_b32_e32 v30, 1, v30
	s_wait_dscnt 0x0
	v_dual_cndmask_b32 v28, v28, v26, vcc_lo :: v_dual_bitop2_b32 v31, 1, v31 bitop3:0x40
	s_delay_alu instid0(VALU_DEP_1) | instskip(SKIP_3) | instid1(SALU_CYCLE_1)
	v_cmp_eq_u32_e64 s11, 1, v31
	v_cndmask_b32_e32 v29, v29, v27, vcc_lo
	v_cmp_eq_u32_e64 s10, 1, v30
	s_or_b32 s10, s10, s11
	v_cndmask_b32_e64 v30, 0, 1, s10
.LBB1085_116:
	s_or_b32 exec_lo, exec_lo, s13
	v_mov_b32_e32 v25, 0
	s_branch .LBB1085_119
.LBB1085_117:                           ;   in Loop: Header=BB1085_119 Depth=1
	s_or_b32 exec_lo, exec_lo, s14
	s_wait_dscnt 0x1
	v_dual_add_f64 v[28:29], v[26:27], v[28:29] :: v_dual_bitop2_b32 v31, 1, v66 bitop3:0x40
	v_and_b32_e32 v30, 0xff, v66
	v_subrev_nc_u32_e32 v24, 32, v24
	s_delay_alu instid0(VALU_DEP_3) | instskip(NEXT) | instid1(VALU_DEP_3)
	v_cmp_eq_u32_e64 s10, 1, v31
	v_cmp_eq_u16_e32 vcc_lo, 0, v30
	s_or_b32 s10, s10, s13
	s_delay_alu instid0(SALU_CYCLE_1)
	v_cndmask_b32_e64 v30, 0, 1, s10
	s_mov_b32 s10, 0
	v_dual_cndmask_b32 v29, v27, v29 :: v_dual_cndmask_b32 v28, v26, v28
.LBB1085_118:                           ;   in Loop: Header=BB1085_119 Depth=1
	s_and_b32 vcc_lo, exec_lo, s10
	s_cbranch_vccnz .LBB1085_167
.LBB1085_119:                           ; =>This Loop Header: Depth=1
                                        ;     Child Loop BB1085_122 Depth 2
	s_wait_dscnt 0x2
	v_and_b32_e32 v26, 0xff, v37
	v_mov_b32_e32 v66, v30
	s_mov_b32 s10, -1
                                        ; implicit-def: $vgpr30
                                        ; implicit-def: $vgpr37
	s_delay_alu instid0(VALU_DEP_2)
	v_cmp_ne_u16_e32 vcc_lo, 2, v26
	s_wait_dscnt 0x1
	v_mov_b64_e32 v[26:27], v[28:29]
                                        ; implicit-def: $vgpr28_vgpr29
	s_cmp_lg_u32 vcc_lo, exec_lo
	s_cbranch_scc1 .LBB1085_118
; %bb.120:                              ;   in Loop: Header=BB1085_119 Depth=1
	global_load_u8 v37, v24, s[24:25] scope:SCOPE_DEV
	s_mov_b32 s10, exec_lo
	s_wait_loadcnt 0x0
	s_wait_xcnt 0x0
	v_cmpx_eq_u16_e32 0, v37
	s_cbranch_execz .LBB1085_124
; %bb.121:                              ;   in Loop: Header=BB1085_119 Depth=1
	v_add_nc_u64_e32 v[28:29], s[24:25], v[24:25]
	s_mov_b32 s11, 0
.LBB1085_122:                           ;   Parent Loop BB1085_119 Depth=1
                                        ; =>  This Inner Loop Header: Depth=2
	global_load_u8 v37, v[28:29], off scope:SCOPE_DEV
	s_wait_loadcnt 0x0
	v_cmp_ne_u16_e32 vcc_lo, 0, v37
	s_or_b32 s11, vcc_lo, s11
	s_wait_xcnt 0x0
	s_and_not1_b32 exec_lo, exec_lo, s11
	s_cbranch_execnz .LBB1085_122
; %bb.123:                              ;   in Loop: Header=BB1085_119 Depth=1
	s_or_b32 exec_lo, exec_lo, s11
.LBB1085_124:                           ;   in Loop: Header=BB1085_119 Depth=1
	s_delay_alu instid0(SALU_CYCLE_1)
	s_or_b32 exec_lo, exec_lo, s10
	v_dual_mov_b32 v28, s21 :: v_dual_mov_b32 v30, s20
	v_cmp_eq_u16_e32 vcc_lo, 1, v37
	global_wb scope:SCOPE_DEV
	s_wait_storecnt_dscnt 0x0
	global_inv scope:SCOPE_DEV
	s_mov_b32 s10, exec_lo
	v_cndmask_b32_e32 v29, s23, v28, vcc_lo
	v_cndmask_b32_e32 v28, s22, v30, vcc_lo
	v_cmp_eq_u16_e32 vcc_lo, 2, v37
	s_delay_alu instid0(VALU_DEP_2)
	v_lshl_add_u64 v[30:31], v[24:25], 4, v[28:29]
	v_and_or_b32 v69, vcc_lo, v39, 0x80000000
	s_clause 0x1
	global_load_u8 v68, v[30:31], off offset:8
	global_load_b64 v[28:29], v[30:31], off
	v_ctz_i32_b32_e32 v69, v69
	s_wait_loadcnt 0x1
	v_and_b32_e32 v70, 1, v68
	s_wait_loadcnt 0x0
	s_wait_xcnt 0x0
	ds_bpermute_b32 v30, v38, v28
	ds_bpermute_b32 v31, v38, v29
	;; [unrolled: 1-line block ×3, first 2 shown]
	v_cmpx_lt_u32_e64 v46, v69
	s_cbranch_execz .LBB1085_126
; %bb.125:                              ;   in Loop: Header=BB1085_119 Depth=1
	s_wait_dscnt 0x1
	v_add_f64_e32 v[30:31], v[28:29], v[30:31]
	v_and_b32_e32 v70, 0xff, v68
	s_wait_dscnt 0x0
	v_bitop3_b16 v68, v71, v68, 1 bitop3:0xec
	s_delay_alu instid0(VALU_DEP_2) | instskip(NEXT) | instid1(VALU_DEP_2)
	v_cmp_eq_u16_e32 vcc_lo, 0, v70
	v_and_b32_e32 v70, 0xff, v68
	v_dual_cndmask_b32 v29, v29, v31 :: v_dual_cndmask_b32 v28, v28, v30
.LBB1085_126:                           ;   in Loop: Header=BB1085_119 Depth=1
	s_or_b32 exec_lo, exec_lo, s10
	s_wait_dscnt 0x2
	ds_bpermute_b32 v30, v40, v28
	s_wait_dscnt 0x2
	ds_bpermute_b32 v31, v40, v29
	;; [unrolled: 2-line block ×3, first 2 shown]
	v_and_b32_e32 v72, 1, v68
	s_mov_b32 s11, exec_lo
	s_delay_alu instid0(VALU_DEP_1)
	v_cmp_eq_u32_e64 s13, 1, v72
	v_cmpx_le_u32_e64 v41, v69
	s_cbranch_execz .LBB1085_128
; %bb.127:                              ;   in Loop: Header=BB1085_119 Depth=1
	s_wait_dscnt 0x1
	v_add_f64_e32 v[30:31], v[28:29], v[30:31]
	v_and_b32_e32 v68, 0xff, v68
	s_delay_alu instid0(VALU_DEP_1) | instskip(SKIP_1) | instid1(VALU_DEP_1)
	v_cmp_eq_u16_e64 s10, 0, v68
	s_wait_dscnt 0x0
	v_dual_cndmask_b32 v28, v28, v30, s10 :: v_dual_bitop2_b32 v70, 1, v71 bitop3:0x40
	s_delay_alu instid0(VALU_DEP_1) | instskip(SKIP_3) | instid1(SALU_CYCLE_1)
	v_cmp_eq_u32_e32 vcc_lo, 1, v70
	v_cndmask_b32_e64 v29, v29, v31, s10
	s_and_not1_b32 s10, s13, exec_lo
	s_or_b32 s14, s13, vcc_lo
	v_cndmask_b32_e64 v68, 0, 1, s14
	v_cndmask_b32_e64 v70, 0, 1, s14
	s_and_b32 s13, s14, exec_lo
	s_delay_alu instid0(SALU_CYCLE_1)
	s_or_b32 s13, s10, s13
.LBB1085_128:                           ;   in Loop: Header=BB1085_119 Depth=1
	s_or_b32 exec_lo, exec_lo, s11
	s_wait_dscnt 0x2
	ds_bpermute_b32 v30, v42, v28
	s_wait_dscnt 0x2
	ds_bpermute_b32 v31, v42, v29
	;; [unrolled: 2-line block ×3, first 2 shown]
	s_mov_b32 s14, exec_lo
	v_cmpx_le_u32_e64 v43, v69
	s_cbranch_execz .LBB1085_130
; %bb.129:                              ;   in Loop: Header=BB1085_119 Depth=1
	s_wait_dscnt 0x1
	v_dual_add_f64 v[30:31], v[28:29], v[30:31] :: v_dual_bitop2_b32 v70, 1, v68 bitop3:0x40
	v_and_b32_e32 v68, 0xff, v68
	s_delay_alu instid0(VALU_DEP_2) | instskip(NEXT) | instid1(VALU_DEP_2)
	v_cmp_eq_u32_e32 vcc_lo, 1, v70
	v_cmp_eq_u16_e64 s11, 0, v68
	s_wait_dscnt 0x0
	s_delay_alu instid0(VALU_DEP_1) | instskip(NEXT) | instid1(VALU_DEP_1)
	v_dual_cndmask_b32 v28, v28, v30, s11 :: v_dual_bitop2_b32 v71, 1, v71 bitop3:0x40
	v_cmp_eq_u32_e64 s10, 1, v71
	v_cndmask_b32_e64 v29, v29, v31, s11
	s_and_not1_b32 s11, s13, exec_lo
	s_or_b32 s10, vcc_lo, s10
	s_delay_alu instid0(SALU_CYCLE_1) | instskip(SKIP_2) | instid1(SALU_CYCLE_1)
	v_cndmask_b32_e64 v68, 0, 1, s10
	v_cndmask_b32_e64 v70, 0, 1, s10
	s_and_b32 s10, s10, exec_lo
	s_or_b32 s13, s11, s10
.LBB1085_130:                           ;   in Loop: Header=BB1085_119 Depth=1
	s_or_b32 exec_lo, exec_lo, s14
	s_wait_dscnt 0x2
	ds_bpermute_b32 v30, v63, v28
	s_wait_dscnt 0x2
	ds_bpermute_b32 v31, v63, v29
	;; [unrolled: 2-line block ×3, first 2 shown]
	s_mov_b32 s14, exec_lo
	v_cmpx_le_u32_e64 v64, v69
	s_cbranch_execz .LBB1085_132
; %bb.131:                              ;   in Loop: Header=BB1085_119 Depth=1
	s_wait_dscnt 0x1
	v_dual_add_f64 v[30:31], v[28:29], v[30:31] :: v_dual_bitop2_b32 v70, 1, v68 bitop3:0x40
	v_and_b32_e32 v68, 0xff, v68
	s_delay_alu instid0(VALU_DEP_2) | instskip(NEXT) | instid1(VALU_DEP_2)
	v_cmp_eq_u32_e32 vcc_lo, 1, v70
	v_cmp_eq_u16_e64 s11, 0, v68
	s_wait_dscnt 0x0
	s_delay_alu instid0(VALU_DEP_1) | instskip(NEXT) | instid1(VALU_DEP_1)
	v_dual_cndmask_b32 v28, v28, v30, s11 :: v_dual_bitop2_b32 v71, 1, v71 bitop3:0x40
	v_cmp_eq_u32_e64 s10, 1, v71
	v_cndmask_b32_e64 v29, v29, v31, s11
	s_and_not1_b32 s11, s13, exec_lo
	s_or_b32 s10, vcc_lo, s10
	s_delay_alu instid0(SALU_CYCLE_1) | instskip(SKIP_2) | instid1(SALU_CYCLE_1)
	v_cndmask_b32_e64 v68, 0, 1, s10
	v_cndmask_b32_e64 v70, 0, 1, s10
	s_and_b32 s10, s10, exec_lo
	s_or_b32 s13, s11, s10
.LBB1085_132:                           ;   in Loop: Header=BB1085_119 Depth=1
	s_or_b32 exec_lo, exec_lo, s14
	s_wait_dscnt 0x2
	ds_bpermute_b32 v30, v65, v28
	s_wait_dscnt 0x2
	ds_bpermute_b32 v31, v65, v29
	ds_bpermute_b32 v70, v65, v70
	s_mov_b32 s14, exec_lo
	v_cmpx_le_u32_e64 v67, v69
	s_cbranch_execz .LBB1085_117
; %bb.133:                              ;   in Loop: Header=BB1085_119 Depth=1
	s_wait_dscnt 0x1
	v_dual_add_f64 v[30:31], v[28:29], v[30:31] :: v_dual_bitop2_b32 v69, 1, v68 bitop3:0x40
	v_and_b32_e32 v68, 0xff, v68
	s_delay_alu instid0(VALU_DEP_2) | instskip(NEXT) | instid1(VALU_DEP_2)
	v_cmp_eq_u32_e32 vcc_lo, 1, v69
	v_cmp_eq_u16_e64 s11, 0, v68
	s_wait_dscnt 0x0
	s_delay_alu instid0(VALU_DEP_1) | instskip(NEXT) | instid1(VALU_DEP_1)
	v_dual_cndmask_b32 v29, v29, v31, s11 :: v_dual_bitop2_b32 v70, 1, v70 bitop3:0x40
	v_cmp_eq_u32_e64 s10, 1, v70
	v_cndmask_b32_e64 v28, v28, v30, s11
	s_and_not1_b32 s11, s13, exec_lo
	s_or_b32 s10, vcc_lo, s10
	s_delay_alu instid0(SALU_CYCLE_1) | instskip(NEXT) | instid1(SALU_CYCLE_1)
	s_and_b32 s10, s10, exec_lo
	s_or_b32 s13, s11, s10
	s_branch .LBB1085_117
.LBB1085_134:
                                        ; implicit-def: $vgpr42_vgpr43
                                        ; implicit-def: $vgpr38_vgpr39
                                        ; implicit-def: $vgpr34_vgpr35
                                        ; implicit-def: $vgpr30_vgpr31
                                        ; implicit-def: $vgpr26_vgpr27
	s_cbranch_execnz .LBB1085_174
.LBB1085_135:
	s_add_nc_u64 s[0:1], s[18:19], s[34:35]
	s_and_b32 vcc_lo, exec_lo, s27
	s_add_nc_u64 s[0:1], s[0:1], s[16:17]
	s_cbranch_vccz .LBB1085_201
.LBB1085_136:
	v_mul_u32_u24_e32 v1, 10, v0
	s_add_co_i32 s31, s31, s26
	s_mov_b32 s2, exec_lo
	s_delay_alu instid0(VALU_DEP_1)
	v_cmpx_gt_u32_e64 s31, v1
	s_cbranch_execz .LBB1085_148
; %bb.137:
	v_or_b32_e32 v2, 1, v1
	s_mov_b32 s3, exec_lo
	s_delay_alu instid0(VALU_DEP_1)
	v_cmpx_gt_u32_e64 s31, v2
	s_cbranch_execz .LBB1085_147
; %bb.138:
	v_add_nc_u32_e32 v2, 2, v1
	s_mov_b32 s4, exec_lo
	s_delay_alu instid0(VALU_DEP_1)
	v_cmpx_gt_u32_e64 s31, v2
	s_cbranch_execz .LBB1085_146
; %bb.139:
	v_add_nc_u32_e32 v2, 3, v1
	;; [unrolled: 6-line block ×4, first 2 shown]
	s_mov_b32 s7, exec_lo
	s_delay_alu instid0(VALU_DEP_1)
	v_cmpx_gt_u32_e64 s31, v2
; %bb.142:
	v_add_nc_u32_e32 v2, 6, v1
	s_mov_b32 s8, exec_lo
	s_delay_alu instid0(VALU_DEP_1)
	v_cmpx_gt_u32_e64 s31, v2
	s_or_b32 exec_lo, exec_lo, s8
; %bb.143:
	s_delay_alu instid0(SALU_CYCLE_1)
	s_or_b32 exec_lo, exec_lo, s7
.LBB1085_144:
	s_delay_alu instid0(SALU_CYCLE_1)
	s_or_b32 exec_lo, exec_lo, s6
.LBB1085_145:
	s_delay_alu instid0(SALU_CYCLE_1)
	s_or_b32 exec_lo, exec_lo, s5
.LBB1085_146:
	s_delay_alu instid0(SALU_CYCLE_1)
	s_or_b32 exec_lo, exec_lo, s4
.LBB1085_147:
	s_delay_alu instid0(SALU_CYCLE_1)
	s_or_b32 exec_lo, exec_lo, s3
.LBB1085_148:
	s_delay_alu instid0(SALU_CYCLE_1)
	s_or_b32 exec_lo, exec_lo, s2
	v_dual_lshlrev_b32 v1, 3, v1 :: v_dual_mov_b32 v3, 0
	s_wait_storecnt 0x0
	s_wait_loadcnt_dscnt 0x0
	s_barrier_signal -1
	s_barrier_wait -1
	v_mad_i32_i24 v2, 0xffffffb8, v0, v1
	ds_store_b128 v1, v[24:27]
	ds_store_b128 v1, v[28:31] offset:16
	ds_store_b128 v1, v[32:35] offset:32
	;; [unrolled: 1-line block ×4, first 2 shown]
	s_wait_dscnt 0x0
	s_barrier_signal -1
	s_barrier_wait -1
	ds_load_2addr_stride64_b64 v[18:21], v2 offset0:2 offset1:4
	ds_load_2addr_stride64_b64 v[14:17], v2 offset0:6 offset1:8
	;; [unrolled: 1-line block ×4, first 2 shown]
	ds_load_b64 v[4:5], v2 offset:9216
	v_lshlrev_b32_e32 v2, 3, v0
	s_mov_b32 s2, exec_lo
	s_delay_alu instid0(VALU_DEP_1)
	v_add_nc_u64_e32 v[2:3], s[0:1], v[2:3]
	v_cmpx_gt_u32_e64 s31, v0
	s_cbranch_execz .LBB1085_150
; %bb.149:
	v_mul_i32_i24_e32 v22, 0xffffffb8, v0
	s_delay_alu instid0(VALU_DEP_1)
	v_add_nc_u32_e32 v1, v1, v22
	ds_load_b64 v[22:23], v1
	s_wait_dscnt 0x0
	flat_store_b64 v[2:3], v[22:23]
.LBB1085_150:
	s_wait_xcnt 0x0
	s_or_b32 exec_lo, exec_lo, s2
	v_or_b32_e32 v1, 0x80, v0
	s_mov_b32 s2, exec_lo
	s_delay_alu instid0(VALU_DEP_1)
	v_cmpx_gt_u32_e64 s31, v1
	s_cbranch_execz .LBB1085_152
; %bb.151:
	s_wait_dscnt 0x4
	flat_store_b64 v[2:3], v[18:19] offset:1024
.LBB1085_152:
	s_wait_xcnt 0x0
	s_or_b32 exec_lo, exec_lo, s2
	v_or_b32_e32 v1, 0x100, v0
	s_mov_b32 s2, exec_lo
	s_delay_alu instid0(VALU_DEP_1)
	v_cmpx_gt_u32_e64 s31, v1
	s_cbranch_execz .LBB1085_154
; %bb.153:
	s_wait_dscnt 0x4
	flat_store_b64 v[2:3], v[20:21] offset:2048
.LBB1085_154:
	;; [unrolled: 11-line block ×8, first 2 shown]
	s_wait_xcnt 0x0
	s_or_b32 exec_lo, exec_lo, s2
	v_or_b32_e32 v1, 0x480, v0
	s_delay_alu instid0(VALU_DEP_1)
	v_cmp_gt_u32_e64 s2, s31, v1
	s_branch .LBB1085_203
.LBB1085_167:
	s_and_saveexec_b32 s10, s9
	s_cbranch_execz .LBB1085_169
; %bb.168:
	v_add_f64_e32 v[24:25], v[16:17], v[26:27]
	v_and_b32_e32 v28, 0xff, v36
	s_add_co_i32 s14, s30, 32
	s_mov_b32 s15, 0
	v_bitop3_b16 v29, v36, 1, v66 bitop3:0xc8
	s_lshl_b64 s[20:21], s[14:15], 4
	v_cmp_eq_u32_e32 vcc_lo, 0, v28
	v_dual_mov_b32 v28, 0 :: v_dual_mov_b32 v30, 2
	v_dual_cndmask_b32 v17, v17, v25 :: v_dual_cndmask_b32 v16, v16, v24
	v_mov_b32_e32 v24, s14
	s_add_nc_u64 s[14:15], s[22:23], s[20:21]
	s_clause 0x1
	global_store_b64 v28, v[16:17], s[14:15]
	global_store_b8 v28, v29, s[14:15] offset:8
	global_wb scope:SCOPE_DEV
	s_wait_storecnt_dscnt 0x0
	global_inv scope:SCOPE_DEV
	s_wait_xcnt 0x0
	global_store_b8 v24, v30, s[24:25] scope:SCOPE_DEV
.LBB1085_169:
	s_wait_xcnt 0x0
	s_or_b32 exec_lo, exec_lo, s10
	v_cmp_eq_u32_e32 vcc_lo, 0, v0
	s_and_b32 exec_lo, exec_lo, vcc_lo
	s_cbranch_execz .LBB1085_171
; %bb.170:
	v_mov_b32_e32 v16, 0
	ds_store_b64 v16, v[26:27] offset:48
	ds_store_b8 v16, v66 offset:56
.LBB1085_171:
	s_or_b32 exec_lo, exec_lo, s12
	v_dual_mov_b32 v16, 0 :: v_dual_mov_b32 v26, v1
	s_wait_storecnt 0x0
	s_wait_loadcnt_dscnt 0x0
	s_barrier_signal -1
	s_barrier_wait -1
	ds_load_b64 v[16:17], v16 offset:48
	v_mov_b64_e32 v[24:25], v[2:3]
	s_mov_b32 s11, 0
	s_mov_b32 s12, exec_lo
	v_cmpx_ne_u32_e32 0, v0
	s_cbranch_execz .LBB1085_173
; %bb.172:
	v_dual_cndmask_b32 v5, v35, v5, s9 :: v_dual_cndmask_b32 v4, v34, v4, s9
	v_dual_cndmask_b32 v24, v33, v32, s9 :: v_dual_bitop2_b32 v25, 1, v1 bitop3:0x40
	v_and_b32_e32 v26, 0xff, v1
	s_delay_alu instid0(VALU_DEP_3) | instskip(NEXT) | instid1(VALU_DEP_3)
	v_add_f64_e32 v[4:5], v[2:3], v[4:5]
	v_cmp_eq_u32_e32 vcc_lo, 1, v25
	s_delay_alu instid0(VALU_DEP_3) | instskip(NEXT) | instid1(VALU_DEP_1)
	v_cmp_eq_u16_e64 s10, 0, v26
	v_dual_cndmask_b32 v25, v3, v5, s10 :: v_dual_bitop2_b32 v24, 1, v24 bitop3:0x40
	s_delay_alu instid0(VALU_DEP_1) | instskip(SKIP_2) | instid1(SALU_CYCLE_1)
	v_cmp_eq_u32_e64 s9, 1, v24
	v_cndmask_b32_e64 v24, v2, v4, s10
	s_or_b32 s9, vcc_lo, s9
	v_cndmask_b32_e64 v26, 0, 1, s9
.LBB1085_173:
	s_or_b32 exec_lo, exec_lo, s12
	s_wait_dscnt 0x0
	v_add_f64_e32 v[4:5], v[16:17], v[24:25]
	s_delay_alu instid0(VALU_DEP_2) | instskip(NEXT) | instid1(VALU_DEP_1)
	v_and_b32_e32 v16, 0xff, v26
	v_cmp_eq_u16_e32 vcc_lo, 0, v16
	s_delay_alu instid0(VALU_DEP_3) | instskip(NEXT) | instid1(VALU_DEP_1)
	v_dual_cndmask_b32 v25, v25, v5 :: v_dual_cndmask_b32 v24, v24, v4
	v_add_f64_e32 v[4:5], v[6:7], v[24:25]
	s_delay_alu instid0(VALU_DEP_1) | instskip(NEXT) | instid1(VALU_DEP_1)
	v_dual_cndmask_b32 v27, v7, v5, s1 :: v_dual_cndmask_b32 v26, v6, v4, s1
	v_add_f64_e32 v[4:5], v[12:13], v[26:27]
	s_delay_alu instid0(VALU_DEP_1) | instskip(NEXT) | instid1(VALU_DEP_1)
	v_dual_cndmask_b32 v29, v13, v5, s2 :: v_dual_cndmask_b32 v28, v12, v4, s2
	;; [unrolled: 3-line block ×8, first 2 shown]
	v_add_f64_e32 v[4:5], v[8:9], v[40:41]
	s_delay_alu instid0(VALU_DEP_1)
	v_dual_cndmask_b32 v43, v9, v5, s0 :: v_dual_cndmask_b32 v42, v8, v4, s0
	s_and_b32 vcc_lo, exec_lo, s11
	s_cbranch_vccz .LBB1085_135
.LBB1085_174:
	s_cmp_lg_u64 s[28:29], 0
	v_cmp_eq_u32_e32 vcc_lo, 0, v0
	s_cselect_b32 s1, -1, 0
	s_cmp_lg_u64 s[38:39], 0
	v_cmp_ne_u32_e64 s0, 0, v0
	s_cselect_b32 s2, -1, 0
	s_delay_alu instid0(SALU_CYCLE_1) | instskip(NEXT) | instid1(SALU_CYCLE_1)
	s_and_b32 s1, s1, s2
	s_and_b32 s1, vcc_lo, s1
	s_delay_alu instid0(SALU_CYCLE_1)
	s_and_saveexec_b32 s2, s1
	s_cbranch_execz .LBB1085_176
; %bb.175:
	v_mov_b32_e32 v16, 0
	s_clause 0x1
	global_load_b64 v[4:5], v16, s[38:39]
	global_load_u8 v17, v16, s[38:39] offset:8
	s_wait_xcnt 0x0
	v_and_b32_e32 v16, 0xff, v1
	s_delay_alu instid0(VALU_DEP_1) | instskip(SKIP_4) | instid1(VALU_DEP_2)
	v_cmp_eq_u16_e64 s1, 0, v16
	s_wait_loadcnt 0x1
	v_add_f64_e32 v[4:5], v[2:3], v[4:5]
	s_wait_loadcnt 0x0
	v_bitop3_b16 v1, v1, 1, v17 bitop3:0xc8
	v_dual_cndmask_b32 v3, v3, v5, s1 :: v_dual_cndmask_b32 v2, v2, v4, s1
.LBB1085_176:
	s_or_b32 exec_lo, exec_lo, s2
	s_delay_alu instid0(VALU_DEP_1)
	v_add_f64_e32 v[4:5], v[6:7], v[2:3]
	v_cmp_eq_u16_e64 s1, 0, v62
	v_cmp_eq_u16_e64 s2, 0, v61
	v_cmp_ne_u16_e64 s10, 0, v54
	v_cmp_eq_u32_e64 s11, 1, v52
	v_cmp_ne_u16_e64 s9, 0, v53
	v_cmp_eq_u32_e64 s12, 1, v51
	v_cmp_eq_u32_e64 s13, 1, v50
	v_cmp_eq_u16_e64 s3, 0, v60
	s_or_b32 s10, s10, s11
	v_cmp_eq_u16_e64 s4, 0, v58
	s_or_b32 s9, s9, s12
	s_or_b32 s10, s13, s10
	v_cmp_eq_u16_e64 s5, 0, v59
	s_or_b32 s10, s10, s9
	v_cmp_eq_u16_e64 s9, 0, v48
	v_cmp_eq_u16_e64 s6, 0, v57
	v_cmp_eq_u16_e64 s7, 0, v56
	v_cmp_eq_u16_e64 s8, 0, v55
	v_bitop3_b16 v16, v1, 0xff, v47 bitop3:0xc8
	v_cmp_eq_u32_e64 s14, 1, v49
	s_mov_b32 s12, exec_lo
	v_and_b32_e32 v48, 15, v46
	v_cmp_ne_u16_e64 s15, 0, v16
	s_or_b32 s11, s15, s14
	s_delay_alu instid0(SALU_CYCLE_1) | instskip(SKIP_2) | instid1(VALU_DEP_2)
	s_or_b32 s10, s10, s11
	v_dual_cndmask_b32 v27, v7, v5, s1 :: v_dual_cndmask_b32 v26, v6, v4, s1
	v_cndmask_b32_e64 v47, 0, 1, s10
	v_add_f64_e32 v[4:5], v[12:13], v[26:27]
	s_delay_alu instid0(VALU_DEP_2) | instskip(NEXT) | instid1(VALU_DEP_2)
	v_mov_b32_dpp v49, v47 row_shr:1 row_mask:0xf bank_mask:0xf
	v_dual_cndmask_b32 v29, v13, v5, s2 :: v_dual_cndmask_b32 v28, v12, v4, s2
	s_delay_alu instid0(VALU_DEP_1) | instskip(NEXT) | instid1(VALU_DEP_1)
	v_add_f64_e32 v[4:5], v[10:11], v[28:29]
	v_dual_cndmask_b32 v31, v11, v5, s3 :: v_dual_cndmask_b32 v30, v10, v4, s3
	s_delay_alu instid0(VALU_DEP_1) | instskip(NEXT) | instid1(VALU_DEP_1)
	v_add_f64_e32 v[4:5], v[20:21], v[30:31]
	;; [unrolled: 3-line block ×7, first 2 shown]
	v_dual_cndmask_b32 v43, v9, v5, s9 :: v_dual_cndmask_b32 v42, v8, v4, s9
	s_delay_alu instid0(VALU_DEP_1) | instskip(NEXT) | instid1(VALU_DEP_2)
	v_mov_b32_dpp v25, v43 row_shr:1 row_mask:0xf bank_mask:0xf
	v_mov_b64_e32 v[4:5], v[42:43]
	v_mov_b32_dpp v24, v42 row_shr:1 row_mask:0xf bank_mask:0xf
	v_dual_mov_b32 v17, v43 :: v_dual_mov_b32 v16, v42
	v_cmpx_ne_u32_e32 0, v48
	s_cbranch_execz .LBB1085_178
; %bb.177:
	s_delay_alu instid0(VALU_DEP_3) | instskip(SKIP_1) | instid1(VALU_DEP_2)
	v_add_f64_e32 v[4:5], v[42:43], v[24:25]
	v_and_or_b32 v47, v49, 1, v47
	v_dual_cndmask_b32 v5, v5, v43, s10 :: v_dual_cndmask_b32 v4, v4, v42, s10
	s_delay_alu instid0(VALU_DEP_1)
	v_dual_mov_b32 v17, v5 :: v_dual_mov_b32 v16, v4
.LBB1085_178:
	s_or_b32 exec_lo, exec_lo, s12
	s_delay_alu instid0(VALU_DEP_1) | instskip(NEXT) | instid1(VALU_DEP_2)
	v_mov_b32_dpp v24, v16 row_shr:2 row_mask:0xf bank_mask:0xf
	v_mov_b32_dpp v25, v17 row_shr:2 row_mask:0xf bank_mask:0xf
	v_mov_b32_dpp v49, v47 row_shr:2 row_mask:0xf bank_mask:0xf
	s_mov_b32 s11, exec_lo
	v_cmpx_lt_u32_e32 1, v48
	s_cbranch_execz .LBB1085_180
; %bb.179:
	v_add_f64_e32 v[16:17], v[4:5], v[24:25]
	v_cmp_eq_u16_e64 s10, 0, v47
	v_bitop3_b32 v47, v49, 1, v47 bitop3:0xc8
	s_delay_alu instid0(VALU_DEP_2) | instskip(NEXT) | instid1(VALU_DEP_1)
	v_dual_cndmask_b32 v17, v5, v17, s10 :: v_dual_cndmask_b32 v16, v4, v16, s10
	v_mov_b64_e32 v[4:5], v[16:17]
.LBB1085_180:
	s_or_b32 exec_lo, exec_lo, s11
	v_mov_b32_dpp v24, v16 row_shr:4 row_mask:0xf bank_mask:0xf
	v_mov_b32_dpp v25, v17 row_shr:4 row_mask:0xf bank_mask:0xf
	;; [unrolled: 1-line block ×3, first 2 shown]
	s_mov_b32 s11, exec_lo
	v_cmpx_lt_u32_e32 3, v48
	s_cbranch_execz .LBB1085_182
; %bb.181:
	v_add_f64_e32 v[16:17], v[4:5], v[24:25]
	v_cmp_eq_u16_e64 s10, 0, v47
	v_bitop3_b32 v47, v49, 1, v47 bitop3:0xc8
	s_delay_alu instid0(VALU_DEP_2) | instskip(NEXT) | instid1(VALU_DEP_1)
	v_dual_cndmask_b32 v17, v5, v17, s10 :: v_dual_cndmask_b32 v16, v4, v16, s10
	v_mov_b64_e32 v[4:5], v[16:17]
.LBB1085_182:
	s_or_b32 exec_lo, exec_lo, s11
	v_mov_b32_dpp v24, v16 row_shr:8 row_mask:0xf bank_mask:0xf
	v_mov_b32_dpp v25, v17 row_shr:8 row_mask:0xf bank_mask:0xf
	;; [unrolled: 1-line block ×3, first 2 shown]
	s_mov_b32 s11, exec_lo
	v_cmpx_lt_u32_e32 7, v48
	s_cbranch_execz .LBB1085_184
; %bb.183:
	v_add_f64_e32 v[16:17], v[4:5], v[24:25]
	v_cmp_eq_u16_e64 s10, 0, v47
	v_bitop3_b32 v47, v49, 1, v47 bitop3:0xc8
	s_delay_alu instid0(VALU_DEP_2) | instskip(NEXT) | instid1(VALU_DEP_1)
	v_dual_cndmask_b32 v5, v5, v17, s10 :: v_dual_cndmask_b32 v4, v4, v16, s10
	v_dual_mov_b32 v17, v5 :: v_dual_mov_b32 v16, v4
.LBB1085_184:
	s_or_b32 exec_lo, exec_lo, s11
	ds_swizzle_b32 v16, v16 offset:swizzle(BROADCAST,32,15)
	ds_swizzle_b32 v17, v17 offset:swizzle(BROADCAST,32,15)
	;; [unrolled: 1-line block ×3, first 2 shown]
	v_dual_mov_b32 v48, v47 :: v_dual_bitop2_b32 v25, 16, v46 bitop3:0x40
	s_mov_b32 s13, exec_lo
	s_delay_alu instid0(VALU_DEP_1)
	v_cmpx_ne_u32_e32 0, v25
	s_cbranch_execz .LBB1085_186
; %bb.185:
	s_wait_dscnt 0x1
	v_dual_add_f64 v[16:17], v[4:5], v[16:17] :: v_dual_bitop2_b32 v25, 1, v47 bitop3:0x40
	v_cmp_eq_u16_e64 s12, 0, v47
	s_wait_dscnt 0x0
	v_and_b32_e32 v24, 1, v24
	s_delay_alu instid0(VALU_DEP_3) | instskip(NEXT) | instid1(VALU_DEP_3)
	v_cmp_eq_u32_e64 s10, 1, v25
	v_cndmask_b32_e64 v5, v5, v17, s12
	s_delay_alu instid0(VALU_DEP_3) | instskip(SKIP_2) | instid1(SALU_CYCLE_1)
	v_cmp_eq_u32_e64 s11, 1, v24
	v_cndmask_b32_e64 v4, v4, v16, s12
	s_or_b32 s10, s10, s11
	v_cndmask_b32_e64 v47, 0, 1, s10
	v_cndmask_b32_e64 v48, 0, 1, s10
.LBB1085_186:
	s_or_b32 exec_lo, exec_lo, s13
	s_wait_dscnt 0x2
	v_dual_lshrrev_b32 v49, 5, v0 :: v_dual_bitop2_b32 v16, 31, v0 bitop3:0x54
	s_mov_b32 s11, exec_lo
	s_delay_alu instid0(VALU_DEP_1)
	v_cmpx_eq_u32_e64 v0, v16
	s_cbranch_execz .LBB1085_188
; %bb.187:
	s_delay_alu instid0(VALU_DEP_2)
	v_lshlrev_b32_e32 v16, 4, v49
	ds_store_b64 v16, v[4:5]
	ds_store_b8 v16, v47 offset:8
.LBB1085_188:
	s_or_b32 exec_lo, exec_lo, s11
	s_delay_alu instid0(SALU_CYCLE_1)
	s_mov_b32 s13, exec_lo
	s_wait_dscnt 0x0
	s_barrier_signal -1
	s_barrier_wait -1
	v_cmpx_gt_u32_e32 4, v0
	s_cbranch_execz .LBB1085_194
; %bb.189:
	v_dual_lshlrev_b32 v47, 4, v0 :: v_dual_bitop2_b32 v51, 3, v46 bitop3:0x40
	s_mov_b32 s11, exec_lo
	ds_load_b64 v[16:17], v47
	ds_load_b32 v50, v47 offset:8
	s_wait_dscnt 0x1
	v_mov_b32_dpp v24, v16 row_shr:1 row_mask:0xf bank_mask:0xf
	v_mov_b32_dpp v25, v17 row_shr:1 row_mask:0xf bank_mask:0xf
	s_wait_dscnt 0x0
	v_mov_b32_dpp v54, v50 row_shr:1 row_mask:0xf bank_mask:0xf
	v_dual_mov_b32 v53, v50 :: v_dual_mov_b32 v52, v50
	v_cmpx_ne_u32_e32 0, v51
	s_cbranch_execz .LBB1085_191
; %bb.190:
	s_delay_alu instid0(VALU_DEP_3) | instskip(SKIP_1) | instid1(VALU_DEP_1)
	v_dual_add_f64 v[24:25], v[16:17], v[24:25] :: v_dual_bitop2_b32 v53, v54, v50 bitop3:0x54
	v_and_b32_e32 v52, 0xff, v50
	v_cmp_eq_u16_e64 s10, 0, v52
	v_bitop3_b32 v52, v54, 1, v50 bitop3:0xc8
	s_delay_alu instid0(VALU_DEP_4) | instskip(NEXT) | instid1(VALU_DEP_2)
	v_and_b32_e32 v53, 1, v53
	v_and_or_b32 v50, 0xffffff00, v50, v52
	s_delay_alu instid0(VALU_DEP_4)
	v_dual_cndmask_b32 v17, v17, v25, s10 :: v_dual_cndmask_b32 v16, v16, v24, s10
.LBB1085_191:
	s_or_b32 exec_lo, exec_lo, s11
	s_delay_alu instid0(VALU_DEP_1) | instskip(NEXT) | instid1(VALU_DEP_2)
	v_mov_b32_dpp v24, v16 row_shr:2 row_mask:0xf bank_mask:0xf
	v_mov_b32_dpp v25, v17 row_shr:2 row_mask:0xf bank_mask:0xf
	;; [unrolled: 1-line block ×3, first 2 shown]
	s_mov_b32 s14, exec_lo
	v_cmpx_lt_u32_e32 1, v51
	s_cbranch_execz .LBB1085_193
; %bb.192:
	s_delay_alu instid0(VALU_DEP_2) | instskip(SKIP_1) | instid1(VALU_DEP_2)
	v_dual_add_f64 v[24:25], v[16:17], v[24:25] :: v_dual_bitop2_b32 v50, 1, v50 bitop3:0x40
	v_and_b32_e32 v51, 0xff, v52
	v_cmp_eq_u32_e64 s12, 1, v50
	s_delay_alu instid0(VALU_DEP_2) | instskip(NEXT) | instid1(VALU_DEP_1)
	v_cmp_eq_u16_e64 s10, 0, v51
	v_dual_cndmask_b32 v17, v17, v25, s10 :: v_dual_bitop2_b32 v52, 1, v52 bitop3:0x40
	s_delay_alu instid0(VALU_DEP_1) | instskip(SKIP_2) | instid1(SALU_CYCLE_1)
	v_cmp_eq_u32_e64 s11, 1, v52
	v_cndmask_b32_e64 v16, v16, v24, s10
	s_or_b32 s10, s11, s12
	v_cndmask_b32_e64 v53, 0, 1, s10
.LBB1085_193:
	s_or_b32 exec_lo, exec_lo, s14
	ds_store_b64 v47, v[16:17]
	ds_store_b8 v47, v53 offset:8
.LBB1085_194:
	s_or_b32 exec_lo, exec_lo, s13
	v_mov_b64_e32 v[16:17], 0
	s_mov_b32 s11, exec_lo
	s_wait_dscnt 0x0
	s_barrier_signal -1
	s_barrier_wait -1
	v_cmpx_lt_u32_e32 31, v0
	s_cbranch_execz .LBB1085_196
; %bb.195:
	v_lshl_add_u32 v16, v49, 4, -16
	v_cmp_eq_u32_e64 s10, 0, v48
	ds_load_b64 v[16:17], v16
	s_wait_dscnt 0x0
	v_add_f64_e32 v[24:25], v[4:5], v[16:17]
	s_delay_alu instid0(VALU_DEP_1)
	v_dual_cndmask_b32 v5, v5, v25, s10 :: v_dual_cndmask_b32 v4, v4, v24, s10
.LBB1085_196:
	s_or_b32 exec_lo, exec_lo, s11
	v_add_nc_u32_e32 v24, -1, v46
	s_delay_alu instid0(VALU_DEP_1) | instskip(NEXT) | instid1(VALU_DEP_1)
	v_cmp_gt_i32_e64 s10, 0, v24
	v_cndmask_b32_e64 v24, v24, v46, s10
	s_delay_alu instid0(VALU_DEP_1)
	v_lshlrev_b32_e32 v24, 2, v24
	ds_bpermute_b32 v4, v24, v4
	ds_bpermute_b32 v5, v24, v5
	s_and_saveexec_b32 s10, s0
	s_cbranch_execz .LBB1085_198
; %bb.197:
	v_cmp_eq_u32_e64 s0, 0, v46
	v_and_b32_e32 v1, 0xff, v1
	;;#ASMSTART
	;;#ASMEND
	s_wait_dscnt 0x0
	s_delay_alu instid0(VALU_DEP_2) | instskip(NEXT) | instid1(VALU_DEP_2)
	v_dual_cndmask_b32 v5, v5, v17, s0 :: v_dual_cndmask_b32 v4, v4, v16, s0
	v_cmp_eq_u16_e64 s0, 0, v1
	s_delay_alu instid0(VALU_DEP_2) | instskip(NEXT) | instid1(VALU_DEP_1)
	v_add_f64_e32 v[4:5], v[2:3], v[4:5]
	v_dual_cndmask_b32 v3, v3, v5, s0 :: v_dual_cndmask_b32 v2, v2, v4, s0
	s_delay_alu instid0(VALU_DEP_1) | instskip(NEXT) | instid1(VALU_DEP_1)
	v_add_f64_e32 v[4:5], v[6:7], v[2:3]
	v_dual_cndmask_b32 v27, v7, v5, s1 :: v_dual_cndmask_b32 v26, v6, v4, s1
	s_delay_alu instid0(VALU_DEP_1) | instskip(NEXT) | instid1(VALU_DEP_1)
	;; [unrolled: 3-line block ×9, first 2 shown]
	v_add_f64_e32 v[4:5], v[8:9], v[40:41]
	v_dual_cndmask_b32 v43, v9, v5, s9 :: v_dual_cndmask_b32 v42, v8, v4, s9
.LBB1085_198:
	s_or_b32 exec_lo, exec_lo, s10
	s_and_saveexec_b32 s0, vcc_lo
	s_cbranch_execz .LBB1085_200
; %bb.199:
	v_dual_mov_b32 v1, 0 :: v_dual_mov_b32 v7, 2
	s_wait_dscnt 0x0
	ds_load_b64 v[4:5], v1 offset:48
	ds_load_u8 v6, v1 offset:56
	s_wait_dscnt 0x1
	global_store_b64 v1, v[4:5], s[22:23] offset:512
	s_wait_dscnt 0x0
	global_store_b8 v1, v6, s[22:23] offset:520
	global_wb scope:SCOPE_DEV
	s_wait_storecnt 0x0
	global_inv scope:SCOPE_DEV
	s_wait_xcnt 0x0
	global_store_b8 v1, v7, s[24:25] offset:32 scope:SCOPE_DEV
.LBB1085_200:
	s_wait_xcnt 0x0
	s_or_b32 exec_lo, exec_lo, s0
	v_mov_b64_e32 v[24:25], v[2:3]
	s_add_nc_u64 s[0:1], s[18:19], s[34:35]
	s_and_b32 vcc_lo, exec_lo, s27
	s_add_nc_u64 s[0:1], s[0:1], s[16:17]
	s_cbranch_vccnz .LBB1085_136
.LBB1085_201:
	s_mov_b32 s2, 0
                                        ; implicit-def: $vgpr4_vgpr5
	s_cbranch_execz .LBB1085_203
; %bb.202:
	v_mul_u32_u24_e32 v1, 0x50, v0
	v_mul_i32_i24_e32 v2, 0xffffffb8, v0
	s_wait_storecnt 0x0
	s_wait_loadcnt_dscnt 0x0
	s_barrier_signal -1
	s_barrier_wait -1
	ds_store_b128 v1, v[24:27]
	ds_store_b128 v1, v[28:31] offset:16
	ds_store_b128 v1, v[32:35] offset:32
	ds_store_b128 v1, v[36:39] offset:48
	ds_store_b128 v1, v[40:43] offset:64
	v_mad_u32_u24 v1, 0x50, v0, v2
	s_wait_dscnt 0x0
	s_barrier_signal -1
	s_barrier_wait -1
	ds_load_2addr_stride64_b64 v[6:9], v1 offset1:2
	ds_load_2addr_stride64_b64 v[10:13], v1 offset0:4 offset1:6
	ds_load_2addr_stride64_b64 v[14:17], v1 offset0:8 offset1:10
	;; [unrolled: 1-line block ×4, first 2 shown]
	s_or_b32 s2, s2, exec_lo
	s_wait_dscnt 0x4
	s_clause 0x1
	flat_store_b64 v0, v[6:7], s[0:1] scale_offset
	flat_store_b64 v0, v[8:9], s[0:1] offset:1024 scale_offset
	s_wait_dscnt 0x5
	s_clause 0x1
	flat_store_b64 v0, v[10:11], s[0:1] offset:2048 scale_offset
	flat_store_b64 v0, v[12:13], s[0:1] offset:3072 scale_offset
	s_wait_dscnt 0x6
	s_clause 0x1
	flat_store_b64 v0, v[14:15], s[0:1] offset:4096 scale_offset
	;; [unrolled: 4-line block ×3, first 2 shown]
	flat_store_b64 v0, v[20:21], s[0:1] offset:7168 scale_offset
	s_wait_dscnt 0x8
	flat_store_b64 v0, v[2:3], s[0:1] offset:8192 scale_offset
.LBB1085_203:
	s_wait_xcnt 0x0
	s_delay_alu instid0(VALU_DEP_1)
	s_and_saveexec_b32 s3, s2
	s_cbranch_execnz .LBB1085_205
; %bb.204:
	s_sendmsg sendmsg(MSG_DEALLOC_VGPRS)
	s_endpgm
.LBB1085_205:
	s_wait_dscnt 0x0
	flat_store_b64 v0, v[4:5], s[0:1] offset:9216 scale_offset
	s_sendmsg sendmsg(MSG_DEALLOC_VGPRS)
	s_endpgm
	.section	.rodata,"a",@progbits
	.p2align	6, 0x0
	.amdhsa_kernel _ZN7rocprim17ROCPRIM_400000_NS6detail17trampoline_kernelINS0_14default_configENS1_27scan_by_key_config_selectorIidEEZZNS1_16scan_by_key_implILNS1_25lookback_scan_determinismE0ELb0ES3_N6thrust23THRUST_200600_302600_NS6detail15normal_iteratorINS9_10device_ptrIiEEEENSB_INSC_IdEEEESG_dNS9_4plusIvEENS9_8equal_toIvEEdEE10hipError_tPvRmT2_T3_T4_T5_mT6_T7_P12ihipStream_tbENKUlT_T0_E_clISt17integral_constantIbLb0EES11_EEDaSW_SX_EUlSW_E_NS1_11comp_targetILNS1_3genE0ELNS1_11target_archE4294967295ELNS1_3gpuE0ELNS1_3repE0EEENS1_30default_config_static_selectorELNS0_4arch9wavefront6targetE0EEEvT1_
		.amdhsa_group_segment_fixed_size 10240
		.amdhsa_private_segment_fixed_size 0
		.amdhsa_kernarg_size 136
		.amdhsa_user_sgpr_count 2
		.amdhsa_user_sgpr_dispatch_ptr 0
		.amdhsa_user_sgpr_queue_ptr 0
		.amdhsa_user_sgpr_kernarg_segment_ptr 1
		.amdhsa_user_sgpr_dispatch_id 0
		.amdhsa_user_sgpr_kernarg_preload_length 0
		.amdhsa_user_sgpr_kernarg_preload_offset 0
		.amdhsa_user_sgpr_private_segment_size 0
		.amdhsa_wavefront_size32 1
		.amdhsa_uses_dynamic_stack 0
		.amdhsa_enable_private_segment 0
		.amdhsa_system_sgpr_workgroup_id_x 1
		.amdhsa_system_sgpr_workgroup_id_y 0
		.amdhsa_system_sgpr_workgroup_id_z 0
		.amdhsa_system_sgpr_workgroup_info 0
		.amdhsa_system_vgpr_workitem_id 0
		.amdhsa_next_free_vgpr 73
		.amdhsa_next_free_sgpr 44
		.amdhsa_named_barrier_count 0
		.amdhsa_reserve_vcc 1
		.amdhsa_float_round_mode_32 0
		.amdhsa_float_round_mode_16_64 0
		.amdhsa_float_denorm_mode_32 3
		.amdhsa_float_denorm_mode_16_64 3
		.amdhsa_fp16_overflow 0
		.amdhsa_memory_ordered 1
		.amdhsa_forward_progress 1
		.amdhsa_inst_pref_size 89
		.amdhsa_round_robin_scheduling 0
		.amdhsa_exception_fp_ieee_invalid_op 0
		.amdhsa_exception_fp_denorm_src 0
		.amdhsa_exception_fp_ieee_div_zero 0
		.amdhsa_exception_fp_ieee_overflow 0
		.amdhsa_exception_fp_ieee_underflow 0
		.amdhsa_exception_fp_ieee_inexact 0
		.amdhsa_exception_int_div_zero 0
	.end_amdhsa_kernel
	.section	.text._ZN7rocprim17ROCPRIM_400000_NS6detail17trampoline_kernelINS0_14default_configENS1_27scan_by_key_config_selectorIidEEZZNS1_16scan_by_key_implILNS1_25lookback_scan_determinismE0ELb0ES3_N6thrust23THRUST_200600_302600_NS6detail15normal_iteratorINS9_10device_ptrIiEEEENSB_INSC_IdEEEESG_dNS9_4plusIvEENS9_8equal_toIvEEdEE10hipError_tPvRmT2_T3_T4_T5_mT6_T7_P12ihipStream_tbENKUlT_T0_E_clISt17integral_constantIbLb0EES11_EEDaSW_SX_EUlSW_E_NS1_11comp_targetILNS1_3genE0ELNS1_11target_archE4294967295ELNS1_3gpuE0ELNS1_3repE0EEENS1_30default_config_static_selectorELNS0_4arch9wavefront6targetE0EEEvT1_,"axG",@progbits,_ZN7rocprim17ROCPRIM_400000_NS6detail17trampoline_kernelINS0_14default_configENS1_27scan_by_key_config_selectorIidEEZZNS1_16scan_by_key_implILNS1_25lookback_scan_determinismE0ELb0ES3_N6thrust23THRUST_200600_302600_NS6detail15normal_iteratorINS9_10device_ptrIiEEEENSB_INSC_IdEEEESG_dNS9_4plusIvEENS9_8equal_toIvEEdEE10hipError_tPvRmT2_T3_T4_T5_mT6_T7_P12ihipStream_tbENKUlT_T0_E_clISt17integral_constantIbLb0EES11_EEDaSW_SX_EUlSW_E_NS1_11comp_targetILNS1_3genE0ELNS1_11target_archE4294967295ELNS1_3gpuE0ELNS1_3repE0EEENS1_30default_config_static_selectorELNS0_4arch9wavefront6targetE0EEEvT1_,comdat
.Lfunc_end1085:
	.size	_ZN7rocprim17ROCPRIM_400000_NS6detail17trampoline_kernelINS0_14default_configENS1_27scan_by_key_config_selectorIidEEZZNS1_16scan_by_key_implILNS1_25lookback_scan_determinismE0ELb0ES3_N6thrust23THRUST_200600_302600_NS6detail15normal_iteratorINS9_10device_ptrIiEEEENSB_INSC_IdEEEESG_dNS9_4plusIvEENS9_8equal_toIvEEdEE10hipError_tPvRmT2_T3_T4_T5_mT6_T7_P12ihipStream_tbENKUlT_T0_E_clISt17integral_constantIbLb0EES11_EEDaSW_SX_EUlSW_E_NS1_11comp_targetILNS1_3genE0ELNS1_11target_archE4294967295ELNS1_3gpuE0ELNS1_3repE0EEENS1_30default_config_static_selectorELNS0_4arch9wavefront6targetE0EEEvT1_, .Lfunc_end1085-_ZN7rocprim17ROCPRIM_400000_NS6detail17trampoline_kernelINS0_14default_configENS1_27scan_by_key_config_selectorIidEEZZNS1_16scan_by_key_implILNS1_25lookback_scan_determinismE0ELb0ES3_N6thrust23THRUST_200600_302600_NS6detail15normal_iteratorINS9_10device_ptrIiEEEENSB_INSC_IdEEEESG_dNS9_4plusIvEENS9_8equal_toIvEEdEE10hipError_tPvRmT2_T3_T4_T5_mT6_T7_P12ihipStream_tbENKUlT_T0_E_clISt17integral_constantIbLb0EES11_EEDaSW_SX_EUlSW_E_NS1_11comp_targetILNS1_3genE0ELNS1_11target_archE4294967295ELNS1_3gpuE0ELNS1_3repE0EEENS1_30default_config_static_selectorELNS0_4arch9wavefront6targetE0EEEvT1_
                                        ; -- End function
	.set _ZN7rocprim17ROCPRIM_400000_NS6detail17trampoline_kernelINS0_14default_configENS1_27scan_by_key_config_selectorIidEEZZNS1_16scan_by_key_implILNS1_25lookback_scan_determinismE0ELb0ES3_N6thrust23THRUST_200600_302600_NS6detail15normal_iteratorINS9_10device_ptrIiEEEENSB_INSC_IdEEEESG_dNS9_4plusIvEENS9_8equal_toIvEEdEE10hipError_tPvRmT2_T3_T4_T5_mT6_T7_P12ihipStream_tbENKUlT_T0_E_clISt17integral_constantIbLb0EES11_EEDaSW_SX_EUlSW_E_NS1_11comp_targetILNS1_3genE0ELNS1_11target_archE4294967295ELNS1_3gpuE0ELNS1_3repE0EEENS1_30default_config_static_selectorELNS0_4arch9wavefront6targetE0EEEvT1_.num_vgpr, 73
	.set _ZN7rocprim17ROCPRIM_400000_NS6detail17trampoline_kernelINS0_14default_configENS1_27scan_by_key_config_selectorIidEEZZNS1_16scan_by_key_implILNS1_25lookback_scan_determinismE0ELb0ES3_N6thrust23THRUST_200600_302600_NS6detail15normal_iteratorINS9_10device_ptrIiEEEENSB_INSC_IdEEEESG_dNS9_4plusIvEENS9_8equal_toIvEEdEE10hipError_tPvRmT2_T3_T4_T5_mT6_T7_P12ihipStream_tbENKUlT_T0_E_clISt17integral_constantIbLb0EES11_EEDaSW_SX_EUlSW_E_NS1_11comp_targetILNS1_3genE0ELNS1_11target_archE4294967295ELNS1_3gpuE0ELNS1_3repE0EEENS1_30default_config_static_selectorELNS0_4arch9wavefront6targetE0EEEvT1_.num_agpr, 0
	.set _ZN7rocprim17ROCPRIM_400000_NS6detail17trampoline_kernelINS0_14default_configENS1_27scan_by_key_config_selectorIidEEZZNS1_16scan_by_key_implILNS1_25lookback_scan_determinismE0ELb0ES3_N6thrust23THRUST_200600_302600_NS6detail15normal_iteratorINS9_10device_ptrIiEEEENSB_INSC_IdEEEESG_dNS9_4plusIvEENS9_8equal_toIvEEdEE10hipError_tPvRmT2_T3_T4_T5_mT6_T7_P12ihipStream_tbENKUlT_T0_E_clISt17integral_constantIbLb0EES11_EEDaSW_SX_EUlSW_E_NS1_11comp_targetILNS1_3genE0ELNS1_11target_archE4294967295ELNS1_3gpuE0ELNS1_3repE0EEENS1_30default_config_static_selectorELNS0_4arch9wavefront6targetE0EEEvT1_.numbered_sgpr, 44
	.set _ZN7rocprim17ROCPRIM_400000_NS6detail17trampoline_kernelINS0_14default_configENS1_27scan_by_key_config_selectorIidEEZZNS1_16scan_by_key_implILNS1_25lookback_scan_determinismE0ELb0ES3_N6thrust23THRUST_200600_302600_NS6detail15normal_iteratorINS9_10device_ptrIiEEEENSB_INSC_IdEEEESG_dNS9_4plusIvEENS9_8equal_toIvEEdEE10hipError_tPvRmT2_T3_T4_T5_mT6_T7_P12ihipStream_tbENKUlT_T0_E_clISt17integral_constantIbLb0EES11_EEDaSW_SX_EUlSW_E_NS1_11comp_targetILNS1_3genE0ELNS1_11target_archE4294967295ELNS1_3gpuE0ELNS1_3repE0EEENS1_30default_config_static_selectorELNS0_4arch9wavefront6targetE0EEEvT1_.num_named_barrier, 0
	.set _ZN7rocprim17ROCPRIM_400000_NS6detail17trampoline_kernelINS0_14default_configENS1_27scan_by_key_config_selectorIidEEZZNS1_16scan_by_key_implILNS1_25lookback_scan_determinismE0ELb0ES3_N6thrust23THRUST_200600_302600_NS6detail15normal_iteratorINS9_10device_ptrIiEEEENSB_INSC_IdEEEESG_dNS9_4plusIvEENS9_8equal_toIvEEdEE10hipError_tPvRmT2_T3_T4_T5_mT6_T7_P12ihipStream_tbENKUlT_T0_E_clISt17integral_constantIbLb0EES11_EEDaSW_SX_EUlSW_E_NS1_11comp_targetILNS1_3genE0ELNS1_11target_archE4294967295ELNS1_3gpuE0ELNS1_3repE0EEENS1_30default_config_static_selectorELNS0_4arch9wavefront6targetE0EEEvT1_.private_seg_size, 0
	.set _ZN7rocprim17ROCPRIM_400000_NS6detail17trampoline_kernelINS0_14default_configENS1_27scan_by_key_config_selectorIidEEZZNS1_16scan_by_key_implILNS1_25lookback_scan_determinismE0ELb0ES3_N6thrust23THRUST_200600_302600_NS6detail15normal_iteratorINS9_10device_ptrIiEEEENSB_INSC_IdEEEESG_dNS9_4plusIvEENS9_8equal_toIvEEdEE10hipError_tPvRmT2_T3_T4_T5_mT6_T7_P12ihipStream_tbENKUlT_T0_E_clISt17integral_constantIbLb0EES11_EEDaSW_SX_EUlSW_E_NS1_11comp_targetILNS1_3genE0ELNS1_11target_archE4294967295ELNS1_3gpuE0ELNS1_3repE0EEENS1_30default_config_static_selectorELNS0_4arch9wavefront6targetE0EEEvT1_.uses_vcc, 1
	.set _ZN7rocprim17ROCPRIM_400000_NS6detail17trampoline_kernelINS0_14default_configENS1_27scan_by_key_config_selectorIidEEZZNS1_16scan_by_key_implILNS1_25lookback_scan_determinismE0ELb0ES3_N6thrust23THRUST_200600_302600_NS6detail15normal_iteratorINS9_10device_ptrIiEEEENSB_INSC_IdEEEESG_dNS9_4plusIvEENS9_8equal_toIvEEdEE10hipError_tPvRmT2_T3_T4_T5_mT6_T7_P12ihipStream_tbENKUlT_T0_E_clISt17integral_constantIbLb0EES11_EEDaSW_SX_EUlSW_E_NS1_11comp_targetILNS1_3genE0ELNS1_11target_archE4294967295ELNS1_3gpuE0ELNS1_3repE0EEENS1_30default_config_static_selectorELNS0_4arch9wavefront6targetE0EEEvT1_.uses_flat_scratch, 1
	.set _ZN7rocprim17ROCPRIM_400000_NS6detail17trampoline_kernelINS0_14default_configENS1_27scan_by_key_config_selectorIidEEZZNS1_16scan_by_key_implILNS1_25lookback_scan_determinismE0ELb0ES3_N6thrust23THRUST_200600_302600_NS6detail15normal_iteratorINS9_10device_ptrIiEEEENSB_INSC_IdEEEESG_dNS9_4plusIvEENS9_8equal_toIvEEdEE10hipError_tPvRmT2_T3_T4_T5_mT6_T7_P12ihipStream_tbENKUlT_T0_E_clISt17integral_constantIbLb0EES11_EEDaSW_SX_EUlSW_E_NS1_11comp_targetILNS1_3genE0ELNS1_11target_archE4294967295ELNS1_3gpuE0ELNS1_3repE0EEENS1_30default_config_static_selectorELNS0_4arch9wavefront6targetE0EEEvT1_.has_dyn_sized_stack, 0
	.set _ZN7rocprim17ROCPRIM_400000_NS6detail17trampoline_kernelINS0_14default_configENS1_27scan_by_key_config_selectorIidEEZZNS1_16scan_by_key_implILNS1_25lookback_scan_determinismE0ELb0ES3_N6thrust23THRUST_200600_302600_NS6detail15normal_iteratorINS9_10device_ptrIiEEEENSB_INSC_IdEEEESG_dNS9_4plusIvEENS9_8equal_toIvEEdEE10hipError_tPvRmT2_T3_T4_T5_mT6_T7_P12ihipStream_tbENKUlT_T0_E_clISt17integral_constantIbLb0EES11_EEDaSW_SX_EUlSW_E_NS1_11comp_targetILNS1_3genE0ELNS1_11target_archE4294967295ELNS1_3gpuE0ELNS1_3repE0EEENS1_30default_config_static_selectorELNS0_4arch9wavefront6targetE0EEEvT1_.has_recursion, 0
	.set _ZN7rocprim17ROCPRIM_400000_NS6detail17trampoline_kernelINS0_14default_configENS1_27scan_by_key_config_selectorIidEEZZNS1_16scan_by_key_implILNS1_25lookback_scan_determinismE0ELb0ES3_N6thrust23THRUST_200600_302600_NS6detail15normal_iteratorINS9_10device_ptrIiEEEENSB_INSC_IdEEEESG_dNS9_4plusIvEENS9_8equal_toIvEEdEE10hipError_tPvRmT2_T3_T4_T5_mT6_T7_P12ihipStream_tbENKUlT_T0_E_clISt17integral_constantIbLb0EES11_EEDaSW_SX_EUlSW_E_NS1_11comp_targetILNS1_3genE0ELNS1_11target_archE4294967295ELNS1_3gpuE0ELNS1_3repE0EEENS1_30default_config_static_selectorELNS0_4arch9wavefront6targetE0EEEvT1_.has_indirect_call, 0
	.section	.AMDGPU.csdata,"",@progbits
; Kernel info:
; codeLenInByte = 11304
; TotalNumSgprs: 46
; NumVgprs: 73
; ScratchSize: 0
; MemoryBound: 0
; FloatMode: 240
; IeeeMode: 1
; LDSByteSize: 10240 bytes/workgroup (compile time only)
; SGPRBlocks: 0
; VGPRBlocks: 4
; NumSGPRsForWavesPerEU: 46
; NumVGPRsForWavesPerEU: 73
; NamedBarCnt: 0
; Occupancy: 12
; WaveLimiterHint : 1
; COMPUTE_PGM_RSRC2:SCRATCH_EN: 0
; COMPUTE_PGM_RSRC2:USER_SGPR: 2
; COMPUTE_PGM_RSRC2:TRAP_HANDLER: 0
; COMPUTE_PGM_RSRC2:TGID_X_EN: 1
; COMPUTE_PGM_RSRC2:TGID_Y_EN: 0
; COMPUTE_PGM_RSRC2:TGID_Z_EN: 0
; COMPUTE_PGM_RSRC2:TIDIG_COMP_CNT: 0
	.section	.text._ZN7rocprim17ROCPRIM_400000_NS6detail17trampoline_kernelINS0_14default_configENS1_27scan_by_key_config_selectorIidEEZZNS1_16scan_by_key_implILNS1_25lookback_scan_determinismE0ELb0ES3_N6thrust23THRUST_200600_302600_NS6detail15normal_iteratorINS9_10device_ptrIiEEEENSB_INSC_IdEEEESG_dNS9_4plusIvEENS9_8equal_toIvEEdEE10hipError_tPvRmT2_T3_T4_T5_mT6_T7_P12ihipStream_tbENKUlT_T0_E_clISt17integral_constantIbLb0EES11_EEDaSW_SX_EUlSW_E_NS1_11comp_targetILNS1_3genE10ELNS1_11target_archE1201ELNS1_3gpuE5ELNS1_3repE0EEENS1_30default_config_static_selectorELNS0_4arch9wavefront6targetE0EEEvT1_,"axG",@progbits,_ZN7rocprim17ROCPRIM_400000_NS6detail17trampoline_kernelINS0_14default_configENS1_27scan_by_key_config_selectorIidEEZZNS1_16scan_by_key_implILNS1_25lookback_scan_determinismE0ELb0ES3_N6thrust23THRUST_200600_302600_NS6detail15normal_iteratorINS9_10device_ptrIiEEEENSB_INSC_IdEEEESG_dNS9_4plusIvEENS9_8equal_toIvEEdEE10hipError_tPvRmT2_T3_T4_T5_mT6_T7_P12ihipStream_tbENKUlT_T0_E_clISt17integral_constantIbLb0EES11_EEDaSW_SX_EUlSW_E_NS1_11comp_targetILNS1_3genE10ELNS1_11target_archE1201ELNS1_3gpuE5ELNS1_3repE0EEENS1_30default_config_static_selectorELNS0_4arch9wavefront6targetE0EEEvT1_,comdat
	.protected	_ZN7rocprim17ROCPRIM_400000_NS6detail17trampoline_kernelINS0_14default_configENS1_27scan_by_key_config_selectorIidEEZZNS1_16scan_by_key_implILNS1_25lookback_scan_determinismE0ELb0ES3_N6thrust23THRUST_200600_302600_NS6detail15normal_iteratorINS9_10device_ptrIiEEEENSB_INSC_IdEEEESG_dNS9_4plusIvEENS9_8equal_toIvEEdEE10hipError_tPvRmT2_T3_T4_T5_mT6_T7_P12ihipStream_tbENKUlT_T0_E_clISt17integral_constantIbLb0EES11_EEDaSW_SX_EUlSW_E_NS1_11comp_targetILNS1_3genE10ELNS1_11target_archE1201ELNS1_3gpuE5ELNS1_3repE0EEENS1_30default_config_static_selectorELNS0_4arch9wavefront6targetE0EEEvT1_ ; -- Begin function _ZN7rocprim17ROCPRIM_400000_NS6detail17trampoline_kernelINS0_14default_configENS1_27scan_by_key_config_selectorIidEEZZNS1_16scan_by_key_implILNS1_25lookback_scan_determinismE0ELb0ES3_N6thrust23THRUST_200600_302600_NS6detail15normal_iteratorINS9_10device_ptrIiEEEENSB_INSC_IdEEEESG_dNS9_4plusIvEENS9_8equal_toIvEEdEE10hipError_tPvRmT2_T3_T4_T5_mT6_T7_P12ihipStream_tbENKUlT_T0_E_clISt17integral_constantIbLb0EES11_EEDaSW_SX_EUlSW_E_NS1_11comp_targetILNS1_3genE10ELNS1_11target_archE1201ELNS1_3gpuE5ELNS1_3repE0EEENS1_30default_config_static_selectorELNS0_4arch9wavefront6targetE0EEEvT1_
	.globl	_ZN7rocprim17ROCPRIM_400000_NS6detail17trampoline_kernelINS0_14default_configENS1_27scan_by_key_config_selectorIidEEZZNS1_16scan_by_key_implILNS1_25lookback_scan_determinismE0ELb0ES3_N6thrust23THRUST_200600_302600_NS6detail15normal_iteratorINS9_10device_ptrIiEEEENSB_INSC_IdEEEESG_dNS9_4plusIvEENS9_8equal_toIvEEdEE10hipError_tPvRmT2_T3_T4_T5_mT6_T7_P12ihipStream_tbENKUlT_T0_E_clISt17integral_constantIbLb0EES11_EEDaSW_SX_EUlSW_E_NS1_11comp_targetILNS1_3genE10ELNS1_11target_archE1201ELNS1_3gpuE5ELNS1_3repE0EEENS1_30default_config_static_selectorELNS0_4arch9wavefront6targetE0EEEvT1_
	.p2align	8
	.type	_ZN7rocprim17ROCPRIM_400000_NS6detail17trampoline_kernelINS0_14default_configENS1_27scan_by_key_config_selectorIidEEZZNS1_16scan_by_key_implILNS1_25lookback_scan_determinismE0ELb0ES3_N6thrust23THRUST_200600_302600_NS6detail15normal_iteratorINS9_10device_ptrIiEEEENSB_INSC_IdEEEESG_dNS9_4plusIvEENS9_8equal_toIvEEdEE10hipError_tPvRmT2_T3_T4_T5_mT6_T7_P12ihipStream_tbENKUlT_T0_E_clISt17integral_constantIbLb0EES11_EEDaSW_SX_EUlSW_E_NS1_11comp_targetILNS1_3genE10ELNS1_11target_archE1201ELNS1_3gpuE5ELNS1_3repE0EEENS1_30default_config_static_selectorELNS0_4arch9wavefront6targetE0EEEvT1_,@function
_ZN7rocprim17ROCPRIM_400000_NS6detail17trampoline_kernelINS0_14default_configENS1_27scan_by_key_config_selectorIidEEZZNS1_16scan_by_key_implILNS1_25lookback_scan_determinismE0ELb0ES3_N6thrust23THRUST_200600_302600_NS6detail15normal_iteratorINS9_10device_ptrIiEEEENSB_INSC_IdEEEESG_dNS9_4plusIvEENS9_8equal_toIvEEdEE10hipError_tPvRmT2_T3_T4_T5_mT6_T7_P12ihipStream_tbENKUlT_T0_E_clISt17integral_constantIbLb0EES11_EEDaSW_SX_EUlSW_E_NS1_11comp_targetILNS1_3genE10ELNS1_11target_archE1201ELNS1_3gpuE5ELNS1_3repE0EEENS1_30default_config_static_selectorELNS0_4arch9wavefront6targetE0EEEvT1_: ; @_ZN7rocprim17ROCPRIM_400000_NS6detail17trampoline_kernelINS0_14default_configENS1_27scan_by_key_config_selectorIidEEZZNS1_16scan_by_key_implILNS1_25lookback_scan_determinismE0ELb0ES3_N6thrust23THRUST_200600_302600_NS6detail15normal_iteratorINS9_10device_ptrIiEEEENSB_INSC_IdEEEESG_dNS9_4plusIvEENS9_8equal_toIvEEdEE10hipError_tPvRmT2_T3_T4_T5_mT6_T7_P12ihipStream_tbENKUlT_T0_E_clISt17integral_constantIbLb0EES11_EEDaSW_SX_EUlSW_E_NS1_11comp_targetILNS1_3genE10ELNS1_11target_archE1201ELNS1_3gpuE5ELNS1_3repE0EEENS1_30default_config_static_selectorELNS0_4arch9wavefront6targetE0EEEvT1_
; %bb.0:
	.section	.rodata,"a",@progbits
	.p2align	6, 0x0
	.amdhsa_kernel _ZN7rocprim17ROCPRIM_400000_NS6detail17trampoline_kernelINS0_14default_configENS1_27scan_by_key_config_selectorIidEEZZNS1_16scan_by_key_implILNS1_25lookback_scan_determinismE0ELb0ES3_N6thrust23THRUST_200600_302600_NS6detail15normal_iteratorINS9_10device_ptrIiEEEENSB_INSC_IdEEEESG_dNS9_4plusIvEENS9_8equal_toIvEEdEE10hipError_tPvRmT2_T3_T4_T5_mT6_T7_P12ihipStream_tbENKUlT_T0_E_clISt17integral_constantIbLb0EES11_EEDaSW_SX_EUlSW_E_NS1_11comp_targetILNS1_3genE10ELNS1_11target_archE1201ELNS1_3gpuE5ELNS1_3repE0EEENS1_30default_config_static_selectorELNS0_4arch9wavefront6targetE0EEEvT1_
		.amdhsa_group_segment_fixed_size 0
		.amdhsa_private_segment_fixed_size 0
		.amdhsa_kernarg_size 136
		.amdhsa_user_sgpr_count 2
		.amdhsa_user_sgpr_dispatch_ptr 0
		.amdhsa_user_sgpr_queue_ptr 0
		.amdhsa_user_sgpr_kernarg_segment_ptr 1
		.amdhsa_user_sgpr_dispatch_id 0
		.amdhsa_user_sgpr_kernarg_preload_length 0
		.amdhsa_user_sgpr_kernarg_preload_offset 0
		.amdhsa_user_sgpr_private_segment_size 0
		.amdhsa_wavefront_size32 1
		.amdhsa_uses_dynamic_stack 0
		.amdhsa_enable_private_segment 0
		.amdhsa_system_sgpr_workgroup_id_x 1
		.amdhsa_system_sgpr_workgroup_id_y 0
		.amdhsa_system_sgpr_workgroup_id_z 0
		.amdhsa_system_sgpr_workgroup_info 0
		.amdhsa_system_vgpr_workitem_id 0
		.amdhsa_next_free_vgpr 1
		.amdhsa_next_free_sgpr 1
		.amdhsa_named_barrier_count 0
		.amdhsa_reserve_vcc 0
		.amdhsa_float_round_mode_32 0
		.amdhsa_float_round_mode_16_64 0
		.amdhsa_float_denorm_mode_32 3
		.amdhsa_float_denorm_mode_16_64 3
		.amdhsa_fp16_overflow 0
		.amdhsa_memory_ordered 1
		.amdhsa_forward_progress 1
		.amdhsa_inst_pref_size 0
		.amdhsa_round_robin_scheduling 0
		.amdhsa_exception_fp_ieee_invalid_op 0
		.amdhsa_exception_fp_denorm_src 0
		.amdhsa_exception_fp_ieee_div_zero 0
		.amdhsa_exception_fp_ieee_overflow 0
		.amdhsa_exception_fp_ieee_underflow 0
		.amdhsa_exception_fp_ieee_inexact 0
		.amdhsa_exception_int_div_zero 0
	.end_amdhsa_kernel
	.section	.text._ZN7rocprim17ROCPRIM_400000_NS6detail17trampoline_kernelINS0_14default_configENS1_27scan_by_key_config_selectorIidEEZZNS1_16scan_by_key_implILNS1_25lookback_scan_determinismE0ELb0ES3_N6thrust23THRUST_200600_302600_NS6detail15normal_iteratorINS9_10device_ptrIiEEEENSB_INSC_IdEEEESG_dNS9_4plusIvEENS9_8equal_toIvEEdEE10hipError_tPvRmT2_T3_T4_T5_mT6_T7_P12ihipStream_tbENKUlT_T0_E_clISt17integral_constantIbLb0EES11_EEDaSW_SX_EUlSW_E_NS1_11comp_targetILNS1_3genE10ELNS1_11target_archE1201ELNS1_3gpuE5ELNS1_3repE0EEENS1_30default_config_static_selectorELNS0_4arch9wavefront6targetE0EEEvT1_,"axG",@progbits,_ZN7rocprim17ROCPRIM_400000_NS6detail17trampoline_kernelINS0_14default_configENS1_27scan_by_key_config_selectorIidEEZZNS1_16scan_by_key_implILNS1_25lookback_scan_determinismE0ELb0ES3_N6thrust23THRUST_200600_302600_NS6detail15normal_iteratorINS9_10device_ptrIiEEEENSB_INSC_IdEEEESG_dNS9_4plusIvEENS9_8equal_toIvEEdEE10hipError_tPvRmT2_T3_T4_T5_mT6_T7_P12ihipStream_tbENKUlT_T0_E_clISt17integral_constantIbLb0EES11_EEDaSW_SX_EUlSW_E_NS1_11comp_targetILNS1_3genE10ELNS1_11target_archE1201ELNS1_3gpuE5ELNS1_3repE0EEENS1_30default_config_static_selectorELNS0_4arch9wavefront6targetE0EEEvT1_,comdat
.Lfunc_end1086:
	.size	_ZN7rocprim17ROCPRIM_400000_NS6detail17trampoline_kernelINS0_14default_configENS1_27scan_by_key_config_selectorIidEEZZNS1_16scan_by_key_implILNS1_25lookback_scan_determinismE0ELb0ES3_N6thrust23THRUST_200600_302600_NS6detail15normal_iteratorINS9_10device_ptrIiEEEENSB_INSC_IdEEEESG_dNS9_4plusIvEENS9_8equal_toIvEEdEE10hipError_tPvRmT2_T3_T4_T5_mT6_T7_P12ihipStream_tbENKUlT_T0_E_clISt17integral_constantIbLb0EES11_EEDaSW_SX_EUlSW_E_NS1_11comp_targetILNS1_3genE10ELNS1_11target_archE1201ELNS1_3gpuE5ELNS1_3repE0EEENS1_30default_config_static_selectorELNS0_4arch9wavefront6targetE0EEEvT1_, .Lfunc_end1086-_ZN7rocprim17ROCPRIM_400000_NS6detail17trampoline_kernelINS0_14default_configENS1_27scan_by_key_config_selectorIidEEZZNS1_16scan_by_key_implILNS1_25lookback_scan_determinismE0ELb0ES3_N6thrust23THRUST_200600_302600_NS6detail15normal_iteratorINS9_10device_ptrIiEEEENSB_INSC_IdEEEESG_dNS9_4plusIvEENS9_8equal_toIvEEdEE10hipError_tPvRmT2_T3_T4_T5_mT6_T7_P12ihipStream_tbENKUlT_T0_E_clISt17integral_constantIbLb0EES11_EEDaSW_SX_EUlSW_E_NS1_11comp_targetILNS1_3genE10ELNS1_11target_archE1201ELNS1_3gpuE5ELNS1_3repE0EEENS1_30default_config_static_selectorELNS0_4arch9wavefront6targetE0EEEvT1_
                                        ; -- End function
	.set _ZN7rocprim17ROCPRIM_400000_NS6detail17trampoline_kernelINS0_14default_configENS1_27scan_by_key_config_selectorIidEEZZNS1_16scan_by_key_implILNS1_25lookback_scan_determinismE0ELb0ES3_N6thrust23THRUST_200600_302600_NS6detail15normal_iteratorINS9_10device_ptrIiEEEENSB_INSC_IdEEEESG_dNS9_4plusIvEENS9_8equal_toIvEEdEE10hipError_tPvRmT2_T3_T4_T5_mT6_T7_P12ihipStream_tbENKUlT_T0_E_clISt17integral_constantIbLb0EES11_EEDaSW_SX_EUlSW_E_NS1_11comp_targetILNS1_3genE10ELNS1_11target_archE1201ELNS1_3gpuE5ELNS1_3repE0EEENS1_30default_config_static_selectorELNS0_4arch9wavefront6targetE0EEEvT1_.num_vgpr, 0
	.set _ZN7rocprim17ROCPRIM_400000_NS6detail17trampoline_kernelINS0_14default_configENS1_27scan_by_key_config_selectorIidEEZZNS1_16scan_by_key_implILNS1_25lookback_scan_determinismE0ELb0ES3_N6thrust23THRUST_200600_302600_NS6detail15normal_iteratorINS9_10device_ptrIiEEEENSB_INSC_IdEEEESG_dNS9_4plusIvEENS9_8equal_toIvEEdEE10hipError_tPvRmT2_T3_T4_T5_mT6_T7_P12ihipStream_tbENKUlT_T0_E_clISt17integral_constantIbLb0EES11_EEDaSW_SX_EUlSW_E_NS1_11comp_targetILNS1_3genE10ELNS1_11target_archE1201ELNS1_3gpuE5ELNS1_3repE0EEENS1_30default_config_static_selectorELNS0_4arch9wavefront6targetE0EEEvT1_.num_agpr, 0
	.set _ZN7rocprim17ROCPRIM_400000_NS6detail17trampoline_kernelINS0_14default_configENS1_27scan_by_key_config_selectorIidEEZZNS1_16scan_by_key_implILNS1_25lookback_scan_determinismE0ELb0ES3_N6thrust23THRUST_200600_302600_NS6detail15normal_iteratorINS9_10device_ptrIiEEEENSB_INSC_IdEEEESG_dNS9_4plusIvEENS9_8equal_toIvEEdEE10hipError_tPvRmT2_T3_T4_T5_mT6_T7_P12ihipStream_tbENKUlT_T0_E_clISt17integral_constantIbLb0EES11_EEDaSW_SX_EUlSW_E_NS1_11comp_targetILNS1_3genE10ELNS1_11target_archE1201ELNS1_3gpuE5ELNS1_3repE0EEENS1_30default_config_static_selectorELNS0_4arch9wavefront6targetE0EEEvT1_.numbered_sgpr, 0
	.set _ZN7rocprim17ROCPRIM_400000_NS6detail17trampoline_kernelINS0_14default_configENS1_27scan_by_key_config_selectorIidEEZZNS1_16scan_by_key_implILNS1_25lookback_scan_determinismE0ELb0ES3_N6thrust23THRUST_200600_302600_NS6detail15normal_iteratorINS9_10device_ptrIiEEEENSB_INSC_IdEEEESG_dNS9_4plusIvEENS9_8equal_toIvEEdEE10hipError_tPvRmT2_T3_T4_T5_mT6_T7_P12ihipStream_tbENKUlT_T0_E_clISt17integral_constantIbLb0EES11_EEDaSW_SX_EUlSW_E_NS1_11comp_targetILNS1_3genE10ELNS1_11target_archE1201ELNS1_3gpuE5ELNS1_3repE0EEENS1_30default_config_static_selectorELNS0_4arch9wavefront6targetE0EEEvT1_.num_named_barrier, 0
	.set _ZN7rocprim17ROCPRIM_400000_NS6detail17trampoline_kernelINS0_14default_configENS1_27scan_by_key_config_selectorIidEEZZNS1_16scan_by_key_implILNS1_25lookback_scan_determinismE0ELb0ES3_N6thrust23THRUST_200600_302600_NS6detail15normal_iteratorINS9_10device_ptrIiEEEENSB_INSC_IdEEEESG_dNS9_4plusIvEENS9_8equal_toIvEEdEE10hipError_tPvRmT2_T3_T4_T5_mT6_T7_P12ihipStream_tbENKUlT_T0_E_clISt17integral_constantIbLb0EES11_EEDaSW_SX_EUlSW_E_NS1_11comp_targetILNS1_3genE10ELNS1_11target_archE1201ELNS1_3gpuE5ELNS1_3repE0EEENS1_30default_config_static_selectorELNS0_4arch9wavefront6targetE0EEEvT1_.private_seg_size, 0
	.set _ZN7rocprim17ROCPRIM_400000_NS6detail17trampoline_kernelINS0_14default_configENS1_27scan_by_key_config_selectorIidEEZZNS1_16scan_by_key_implILNS1_25lookback_scan_determinismE0ELb0ES3_N6thrust23THRUST_200600_302600_NS6detail15normal_iteratorINS9_10device_ptrIiEEEENSB_INSC_IdEEEESG_dNS9_4plusIvEENS9_8equal_toIvEEdEE10hipError_tPvRmT2_T3_T4_T5_mT6_T7_P12ihipStream_tbENKUlT_T0_E_clISt17integral_constantIbLb0EES11_EEDaSW_SX_EUlSW_E_NS1_11comp_targetILNS1_3genE10ELNS1_11target_archE1201ELNS1_3gpuE5ELNS1_3repE0EEENS1_30default_config_static_selectorELNS0_4arch9wavefront6targetE0EEEvT1_.uses_vcc, 0
	.set _ZN7rocprim17ROCPRIM_400000_NS6detail17trampoline_kernelINS0_14default_configENS1_27scan_by_key_config_selectorIidEEZZNS1_16scan_by_key_implILNS1_25lookback_scan_determinismE0ELb0ES3_N6thrust23THRUST_200600_302600_NS6detail15normal_iteratorINS9_10device_ptrIiEEEENSB_INSC_IdEEEESG_dNS9_4plusIvEENS9_8equal_toIvEEdEE10hipError_tPvRmT2_T3_T4_T5_mT6_T7_P12ihipStream_tbENKUlT_T0_E_clISt17integral_constantIbLb0EES11_EEDaSW_SX_EUlSW_E_NS1_11comp_targetILNS1_3genE10ELNS1_11target_archE1201ELNS1_3gpuE5ELNS1_3repE0EEENS1_30default_config_static_selectorELNS0_4arch9wavefront6targetE0EEEvT1_.uses_flat_scratch, 0
	.set _ZN7rocprim17ROCPRIM_400000_NS6detail17trampoline_kernelINS0_14default_configENS1_27scan_by_key_config_selectorIidEEZZNS1_16scan_by_key_implILNS1_25lookback_scan_determinismE0ELb0ES3_N6thrust23THRUST_200600_302600_NS6detail15normal_iteratorINS9_10device_ptrIiEEEENSB_INSC_IdEEEESG_dNS9_4plusIvEENS9_8equal_toIvEEdEE10hipError_tPvRmT2_T3_T4_T5_mT6_T7_P12ihipStream_tbENKUlT_T0_E_clISt17integral_constantIbLb0EES11_EEDaSW_SX_EUlSW_E_NS1_11comp_targetILNS1_3genE10ELNS1_11target_archE1201ELNS1_3gpuE5ELNS1_3repE0EEENS1_30default_config_static_selectorELNS0_4arch9wavefront6targetE0EEEvT1_.has_dyn_sized_stack, 0
	.set _ZN7rocprim17ROCPRIM_400000_NS6detail17trampoline_kernelINS0_14default_configENS1_27scan_by_key_config_selectorIidEEZZNS1_16scan_by_key_implILNS1_25lookback_scan_determinismE0ELb0ES3_N6thrust23THRUST_200600_302600_NS6detail15normal_iteratorINS9_10device_ptrIiEEEENSB_INSC_IdEEEESG_dNS9_4plusIvEENS9_8equal_toIvEEdEE10hipError_tPvRmT2_T3_T4_T5_mT6_T7_P12ihipStream_tbENKUlT_T0_E_clISt17integral_constantIbLb0EES11_EEDaSW_SX_EUlSW_E_NS1_11comp_targetILNS1_3genE10ELNS1_11target_archE1201ELNS1_3gpuE5ELNS1_3repE0EEENS1_30default_config_static_selectorELNS0_4arch9wavefront6targetE0EEEvT1_.has_recursion, 0
	.set _ZN7rocprim17ROCPRIM_400000_NS6detail17trampoline_kernelINS0_14default_configENS1_27scan_by_key_config_selectorIidEEZZNS1_16scan_by_key_implILNS1_25lookback_scan_determinismE0ELb0ES3_N6thrust23THRUST_200600_302600_NS6detail15normal_iteratorINS9_10device_ptrIiEEEENSB_INSC_IdEEEESG_dNS9_4plusIvEENS9_8equal_toIvEEdEE10hipError_tPvRmT2_T3_T4_T5_mT6_T7_P12ihipStream_tbENKUlT_T0_E_clISt17integral_constantIbLb0EES11_EEDaSW_SX_EUlSW_E_NS1_11comp_targetILNS1_3genE10ELNS1_11target_archE1201ELNS1_3gpuE5ELNS1_3repE0EEENS1_30default_config_static_selectorELNS0_4arch9wavefront6targetE0EEEvT1_.has_indirect_call, 0
	.section	.AMDGPU.csdata,"",@progbits
; Kernel info:
; codeLenInByte = 0
; TotalNumSgprs: 0
; NumVgprs: 0
; ScratchSize: 0
; MemoryBound: 0
; FloatMode: 240
; IeeeMode: 1
; LDSByteSize: 0 bytes/workgroup (compile time only)
; SGPRBlocks: 0
; VGPRBlocks: 0
; NumSGPRsForWavesPerEU: 1
; NumVGPRsForWavesPerEU: 1
; NamedBarCnt: 0
; Occupancy: 16
; WaveLimiterHint : 0
; COMPUTE_PGM_RSRC2:SCRATCH_EN: 0
; COMPUTE_PGM_RSRC2:USER_SGPR: 2
; COMPUTE_PGM_RSRC2:TRAP_HANDLER: 0
; COMPUTE_PGM_RSRC2:TGID_X_EN: 1
; COMPUTE_PGM_RSRC2:TGID_Y_EN: 0
; COMPUTE_PGM_RSRC2:TGID_Z_EN: 0
; COMPUTE_PGM_RSRC2:TIDIG_COMP_CNT: 0
	.section	.text._ZN7rocprim17ROCPRIM_400000_NS6detail17trampoline_kernelINS0_14default_configENS1_27scan_by_key_config_selectorIidEEZZNS1_16scan_by_key_implILNS1_25lookback_scan_determinismE0ELb0ES3_N6thrust23THRUST_200600_302600_NS6detail15normal_iteratorINS9_10device_ptrIiEEEENSB_INSC_IdEEEESG_dNS9_4plusIvEENS9_8equal_toIvEEdEE10hipError_tPvRmT2_T3_T4_T5_mT6_T7_P12ihipStream_tbENKUlT_T0_E_clISt17integral_constantIbLb0EES11_EEDaSW_SX_EUlSW_E_NS1_11comp_targetILNS1_3genE5ELNS1_11target_archE942ELNS1_3gpuE9ELNS1_3repE0EEENS1_30default_config_static_selectorELNS0_4arch9wavefront6targetE0EEEvT1_,"axG",@progbits,_ZN7rocprim17ROCPRIM_400000_NS6detail17trampoline_kernelINS0_14default_configENS1_27scan_by_key_config_selectorIidEEZZNS1_16scan_by_key_implILNS1_25lookback_scan_determinismE0ELb0ES3_N6thrust23THRUST_200600_302600_NS6detail15normal_iteratorINS9_10device_ptrIiEEEENSB_INSC_IdEEEESG_dNS9_4plusIvEENS9_8equal_toIvEEdEE10hipError_tPvRmT2_T3_T4_T5_mT6_T7_P12ihipStream_tbENKUlT_T0_E_clISt17integral_constantIbLb0EES11_EEDaSW_SX_EUlSW_E_NS1_11comp_targetILNS1_3genE5ELNS1_11target_archE942ELNS1_3gpuE9ELNS1_3repE0EEENS1_30default_config_static_selectorELNS0_4arch9wavefront6targetE0EEEvT1_,comdat
	.protected	_ZN7rocprim17ROCPRIM_400000_NS6detail17trampoline_kernelINS0_14default_configENS1_27scan_by_key_config_selectorIidEEZZNS1_16scan_by_key_implILNS1_25lookback_scan_determinismE0ELb0ES3_N6thrust23THRUST_200600_302600_NS6detail15normal_iteratorINS9_10device_ptrIiEEEENSB_INSC_IdEEEESG_dNS9_4plusIvEENS9_8equal_toIvEEdEE10hipError_tPvRmT2_T3_T4_T5_mT6_T7_P12ihipStream_tbENKUlT_T0_E_clISt17integral_constantIbLb0EES11_EEDaSW_SX_EUlSW_E_NS1_11comp_targetILNS1_3genE5ELNS1_11target_archE942ELNS1_3gpuE9ELNS1_3repE0EEENS1_30default_config_static_selectorELNS0_4arch9wavefront6targetE0EEEvT1_ ; -- Begin function _ZN7rocprim17ROCPRIM_400000_NS6detail17trampoline_kernelINS0_14default_configENS1_27scan_by_key_config_selectorIidEEZZNS1_16scan_by_key_implILNS1_25lookback_scan_determinismE0ELb0ES3_N6thrust23THRUST_200600_302600_NS6detail15normal_iteratorINS9_10device_ptrIiEEEENSB_INSC_IdEEEESG_dNS9_4plusIvEENS9_8equal_toIvEEdEE10hipError_tPvRmT2_T3_T4_T5_mT6_T7_P12ihipStream_tbENKUlT_T0_E_clISt17integral_constantIbLb0EES11_EEDaSW_SX_EUlSW_E_NS1_11comp_targetILNS1_3genE5ELNS1_11target_archE942ELNS1_3gpuE9ELNS1_3repE0EEENS1_30default_config_static_selectorELNS0_4arch9wavefront6targetE0EEEvT1_
	.globl	_ZN7rocprim17ROCPRIM_400000_NS6detail17trampoline_kernelINS0_14default_configENS1_27scan_by_key_config_selectorIidEEZZNS1_16scan_by_key_implILNS1_25lookback_scan_determinismE0ELb0ES3_N6thrust23THRUST_200600_302600_NS6detail15normal_iteratorINS9_10device_ptrIiEEEENSB_INSC_IdEEEESG_dNS9_4plusIvEENS9_8equal_toIvEEdEE10hipError_tPvRmT2_T3_T4_T5_mT6_T7_P12ihipStream_tbENKUlT_T0_E_clISt17integral_constantIbLb0EES11_EEDaSW_SX_EUlSW_E_NS1_11comp_targetILNS1_3genE5ELNS1_11target_archE942ELNS1_3gpuE9ELNS1_3repE0EEENS1_30default_config_static_selectorELNS0_4arch9wavefront6targetE0EEEvT1_
	.p2align	8
	.type	_ZN7rocprim17ROCPRIM_400000_NS6detail17trampoline_kernelINS0_14default_configENS1_27scan_by_key_config_selectorIidEEZZNS1_16scan_by_key_implILNS1_25lookback_scan_determinismE0ELb0ES3_N6thrust23THRUST_200600_302600_NS6detail15normal_iteratorINS9_10device_ptrIiEEEENSB_INSC_IdEEEESG_dNS9_4plusIvEENS9_8equal_toIvEEdEE10hipError_tPvRmT2_T3_T4_T5_mT6_T7_P12ihipStream_tbENKUlT_T0_E_clISt17integral_constantIbLb0EES11_EEDaSW_SX_EUlSW_E_NS1_11comp_targetILNS1_3genE5ELNS1_11target_archE942ELNS1_3gpuE9ELNS1_3repE0EEENS1_30default_config_static_selectorELNS0_4arch9wavefront6targetE0EEEvT1_,@function
_ZN7rocprim17ROCPRIM_400000_NS6detail17trampoline_kernelINS0_14default_configENS1_27scan_by_key_config_selectorIidEEZZNS1_16scan_by_key_implILNS1_25lookback_scan_determinismE0ELb0ES3_N6thrust23THRUST_200600_302600_NS6detail15normal_iteratorINS9_10device_ptrIiEEEENSB_INSC_IdEEEESG_dNS9_4plusIvEENS9_8equal_toIvEEdEE10hipError_tPvRmT2_T3_T4_T5_mT6_T7_P12ihipStream_tbENKUlT_T0_E_clISt17integral_constantIbLb0EES11_EEDaSW_SX_EUlSW_E_NS1_11comp_targetILNS1_3genE5ELNS1_11target_archE942ELNS1_3gpuE9ELNS1_3repE0EEENS1_30default_config_static_selectorELNS0_4arch9wavefront6targetE0EEEvT1_: ; @_ZN7rocprim17ROCPRIM_400000_NS6detail17trampoline_kernelINS0_14default_configENS1_27scan_by_key_config_selectorIidEEZZNS1_16scan_by_key_implILNS1_25lookback_scan_determinismE0ELb0ES3_N6thrust23THRUST_200600_302600_NS6detail15normal_iteratorINS9_10device_ptrIiEEEENSB_INSC_IdEEEESG_dNS9_4plusIvEENS9_8equal_toIvEEdEE10hipError_tPvRmT2_T3_T4_T5_mT6_T7_P12ihipStream_tbENKUlT_T0_E_clISt17integral_constantIbLb0EES11_EEDaSW_SX_EUlSW_E_NS1_11comp_targetILNS1_3genE5ELNS1_11target_archE942ELNS1_3gpuE9ELNS1_3repE0EEENS1_30default_config_static_selectorELNS0_4arch9wavefront6targetE0EEEvT1_
; %bb.0:
	.section	.rodata,"a",@progbits
	.p2align	6, 0x0
	.amdhsa_kernel _ZN7rocprim17ROCPRIM_400000_NS6detail17trampoline_kernelINS0_14default_configENS1_27scan_by_key_config_selectorIidEEZZNS1_16scan_by_key_implILNS1_25lookback_scan_determinismE0ELb0ES3_N6thrust23THRUST_200600_302600_NS6detail15normal_iteratorINS9_10device_ptrIiEEEENSB_INSC_IdEEEESG_dNS9_4plusIvEENS9_8equal_toIvEEdEE10hipError_tPvRmT2_T3_T4_T5_mT6_T7_P12ihipStream_tbENKUlT_T0_E_clISt17integral_constantIbLb0EES11_EEDaSW_SX_EUlSW_E_NS1_11comp_targetILNS1_3genE5ELNS1_11target_archE942ELNS1_3gpuE9ELNS1_3repE0EEENS1_30default_config_static_selectorELNS0_4arch9wavefront6targetE0EEEvT1_
		.amdhsa_group_segment_fixed_size 0
		.amdhsa_private_segment_fixed_size 0
		.amdhsa_kernarg_size 136
		.amdhsa_user_sgpr_count 2
		.amdhsa_user_sgpr_dispatch_ptr 0
		.amdhsa_user_sgpr_queue_ptr 0
		.amdhsa_user_sgpr_kernarg_segment_ptr 1
		.amdhsa_user_sgpr_dispatch_id 0
		.amdhsa_user_sgpr_kernarg_preload_length 0
		.amdhsa_user_sgpr_kernarg_preload_offset 0
		.amdhsa_user_sgpr_private_segment_size 0
		.amdhsa_wavefront_size32 1
		.amdhsa_uses_dynamic_stack 0
		.amdhsa_enable_private_segment 0
		.amdhsa_system_sgpr_workgroup_id_x 1
		.amdhsa_system_sgpr_workgroup_id_y 0
		.amdhsa_system_sgpr_workgroup_id_z 0
		.amdhsa_system_sgpr_workgroup_info 0
		.amdhsa_system_vgpr_workitem_id 0
		.amdhsa_next_free_vgpr 1
		.amdhsa_next_free_sgpr 1
		.amdhsa_named_barrier_count 0
		.amdhsa_reserve_vcc 0
		.amdhsa_float_round_mode_32 0
		.amdhsa_float_round_mode_16_64 0
		.amdhsa_float_denorm_mode_32 3
		.amdhsa_float_denorm_mode_16_64 3
		.amdhsa_fp16_overflow 0
		.amdhsa_memory_ordered 1
		.amdhsa_forward_progress 1
		.amdhsa_inst_pref_size 0
		.amdhsa_round_robin_scheduling 0
		.amdhsa_exception_fp_ieee_invalid_op 0
		.amdhsa_exception_fp_denorm_src 0
		.amdhsa_exception_fp_ieee_div_zero 0
		.amdhsa_exception_fp_ieee_overflow 0
		.amdhsa_exception_fp_ieee_underflow 0
		.amdhsa_exception_fp_ieee_inexact 0
		.amdhsa_exception_int_div_zero 0
	.end_amdhsa_kernel
	.section	.text._ZN7rocprim17ROCPRIM_400000_NS6detail17trampoline_kernelINS0_14default_configENS1_27scan_by_key_config_selectorIidEEZZNS1_16scan_by_key_implILNS1_25lookback_scan_determinismE0ELb0ES3_N6thrust23THRUST_200600_302600_NS6detail15normal_iteratorINS9_10device_ptrIiEEEENSB_INSC_IdEEEESG_dNS9_4plusIvEENS9_8equal_toIvEEdEE10hipError_tPvRmT2_T3_T4_T5_mT6_T7_P12ihipStream_tbENKUlT_T0_E_clISt17integral_constantIbLb0EES11_EEDaSW_SX_EUlSW_E_NS1_11comp_targetILNS1_3genE5ELNS1_11target_archE942ELNS1_3gpuE9ELNS1_3repE0EEENS1_30default_config_static_selectorELNS0_4arch9wavefront6targetE0EEEvT1_,"axG",@progbits,_ZN7rocprim17ROCPRIM_400000_NS6detail17trampoline_kernelINS0_14default_configENS1_27scan_by_key_config_selectorIidEEZZNS1_16scan_by_key_implILNS1_25lookback_scan_determinismE0ELb0ES3_N6thrust23THRUST_200600_302600_NS6detail15normal_iteratorINS9_10device_ptrIiEEEENSB_INSC_IdEEEESG_dNS9_4plusIvEENS9_8equal_toIvEEdEE10hipError_tPvRmT2_T3_T4_T5_mT6_T7_P12ihipStream_tbENKUlT_T0_E_clISt17integral_constantIbLb0EES11_EEDaSW_SX_EUlSW_E_NS1_11comp_targetILNS1_3genE5ELNS1_11target_archE942ELNS1_3gpuE9ELNS1_3repE0EEENS1_30default_config_static_selectorELNS0_4arch9wavefront6targetE0EEEvT1_,comdat
.Lfunc_end1087:
	.size	_ZN7rocprim17ROCPRIM_400000_NS6detail17trampoline_kernelINS0_14default_configENS1_27scan_by_key_config_selectorIidEEZZNS1_16scan_by_key_implILNS1_25lookback_scan_determinismE0ELb0ES3_N6thrust23THRUST_200600_302600_NS6detail15normal_iteratorINS9_10device_ptrIiEEEENSB_INSC_IdEEEESG_dNS9_4plusIvEENS9_8equal_toIvEEdEE10hipError_tPvRmT2_T3_T4_T5_mT6_T7_P12ihipStream_tbENKUlT_T0_E_clISt17integral_constantIbLb0EES11_EEDaSW_SX_EUlSW_E_NS1_11comp_targetILNS1_3genE5ELNS1_11target_archE942ELNS1_3gpuE9ELNS1_3repE0EEENS1_30default_config_static_selectorELNS0_4arch9wavefront6targetE0EEEvT1_, .Lfunc_end1087-_ZN7rocprim17ROCPRIM_400000_NS6detail17trampoline_kernelINS0_14default_configENS1_27scan_by_key_config_selectorIidEEZZNS1_16scan_by_key_implILNS1_25lookback_scan_determinismE0ELb0ES3_N6thrust23THRUST_200600_302600_NS6detail15normal_iteratorINS9_10device_ptrIiEEEENSB_INSC_IdEEEESG_dNS9_4plusIvEENS9_8equal_toIvEEdEE10hipError_tPvRmT2_T3_T4_T5_mT6_T7_P12ihipStream_tbENKUlT_T0_E_clISt17integral_constantIbLb0EES11_EEDaSW_SX_EUlSW_E_NS1_11comp_targetILNS1_3genE5ELNS1_11target_archE942ELNS1_3gpuE9ELNS1_3repE0EEENS1_30default_config_static_selectorELNS0_4arch9wavefront6targetE0EEEvT1_
                                        ; -- End function
	.set _ZN7rocprim17ROCPRIM_400000_NS6detail17trampoline_kernelINS0_14default_configENS1_27scan_by_key_config_selectorIidEEZZNS1_16scan_by_key_implILNS1_25lookback_scan_determinismE0ELb0ES3_N6thrust23THRUST_200600_302600_NS6detail15normal_iteratorINS9_10device_ptrIiEEEENSB_INSC_IdEEEESG_dNS9_4plusIvEENS9_8equal_toIvEEdEE10hipError_tPvRmT2_T3_T4_T5_mT6_T7_P12ihipStream_tbENKUlT_T0_E_clISt17integral_constantIbLb0EES11_EEDaSW_SX_EUlSW_E_NS1_11comp_targetILNS1_3genE5ELNS1_11target_archE942ELNS1_3gpuE9ELNS1_3repE0EEENS1_30default_config_static_selectorELNS0_4arch9wavefront6targetE0EEEvT1_.num_vgpr, 0
	.set _ZN7rocprim17ROCPRIM_400000_NS6detail17trampoline_kernelINS0_14default_configENS1_27scan_by_key_config_selectorIidEEZZNS1_16scan_by_key_implILNS1_25lookback_scan_determinismE0ELb0ES3_N6thrust23THRUST_200600_302600_NS6detail15normal_iteratorINS9_10device_ptrIiEEEENSB_INSC_IdEEEESG_dNS9_4plusIvEENS9_8equal_toIvEEdEE10hipError_tPvRmT2_T3_T4_T5_mT6_T7_P12ihipStream_tbENKUlT_T0_E_clISt17integral_constantIbLb0EES11_EEDaSW_SX_EUlSW_E_NS1_11comp_targetILNS1_3genE5ELNS1_11target_archE942ELNS1_3gpuE9ELNS1_3repE0EEENS1_30default_config_static_selectorELNS0_4arch9wavefront6targetE0EEEvT1_.num_agpr, 0
	.set _ZN7rocprim17ROCPRIM_400000_NS6detail17trampoline_kernelINS0_14default_configENS1_27scan_by_key_config_selectorIidEEZZNS1_16scan_by_key_implILNS1_25lookback_scan_determinismE0ELb0ES3_N6thrust23THRUST_200600_302600_NS6detail15normal_iteratorINS9_10device_ptrIiEEEENSB_INSC_IdEEEESG_dNS9_4plusIvEENS9_8equal_toIvEEdEE10hipError_tPvRmT2_T3_T4_T5_mT6_T7_P12ihipStream_tbENKUlT_T0_E_clISt17integral_constantIbLb0EES11_EEDaSW_SX_EUlSW_E_NS1_11comp_targetILNS1_3genE5ELNS1_11target_archE942ELNS1_3gpuE9ELNS1_3repE0EEENS1_30default_config_static_selectorELNS0_4arch9wavefront6targetE0EEEvT1_.numbered_sgpr, 0
	.set _ZN7rocprim17ROCPRIM_400000_NS6detail17trampoline_kernelINS0_14default_configENS1_27scan_by_key_config_selectorIidEEZZNS1_16scan_by_key_implILNS1_25lookback_scan_determinismE0ELb0ES3_N6thrust23THRUST_200600_302600_NS6detail15normal_iteratorINS9_10device_ptrIiEEEENSB_INSC_IdEEEESG_dNS9_4plusIvEENS9_8equal_toIvEEdEE10hipError_tPvRmT2_T3_T4_T5_mT6_T7_P12ihipStream_tbENKUlT_T0_E_clISt17integral_constantIbLb0EES11_EEDaSW_SX_EUlSW_E_NS1_11comp_targetILNS1_3genE5ELNS1_11target_archE942ELNS1_3gpuE9ELNS1_3repE0EEENS1_30default_config_static_selectorELNS0_4arch9wavefront6targetE0EEEvT1_.num_named_barrier, 0
	.set _ZN7rocprim17ROCPRIM_400000_NS6detail17trampoline_kernelINS0_14default_configENS1_27scan_by_key_config_selectorIidEEZZNS1_16scan_by_key_implILNS1_25lookback_scan_determinismE0ELb0ES3_N6thrust23THRUST_200600_302600_NS6detail15normal_iteratorINS9_10device_ptrIiEEEENSB_INSC_IdEEEESG_dNS9_4plusIvEENS9_8equal_toIvEEdEE10hipError_tPvRmT2_T3_T4_T5_mT6_T7_P12ihipStream_tbENKUlT_T0_E_clISt17integral_constantIbLb0EES11_EEDaSW_SX_EUlSW_E_NS1_11comp_targetILNS1_3genE5ELNS1_11target_archE942ELNS1_3gpuE9ELNS1_3repE0EEENS1_30default_config_static_selectorELNS0_4arch9wavefront6targetE0EEEvT1_.private_seg_size, 0
	.set _ZN7rocprim17ROCPRIM_400000_NS6detail17trampoline_kernelINS0_14default_configENS1_27scan_by_key_config_selectorIidEEZZNS1_16scan_by_key_implILNS1_25lookback_scan_determinismE0ELb0ES3_N6thrust23THRUST_200600_302600_NS6detail15normal_iteratorINS9_10device_ptrIiEEEENSB_INSC_IdEEEESG_dNS9_4plusIvEENS9_8equal_toIvEEdEE10hipError_tPvRmT2_T3_T4_T5_mT6_T7_P12ihipStream_tbENKUlT_T0_E_clISt17integral_constantIbLb0EES11_EEDaSW_SX_EUlSW_E_NS1_11comp_targetILNS1_3genE5ELNS1_11target_archE942ELNS1_3gpuE9ELNS1_3repE0EEENS1_30default_config_static_selectorELNS0_4arch9wavefront6targetE0EEEvT1_.uses_vcc, 0
	.set _ZN7rocprim17ROCPRIM_400000_NS6detail17trampoline_kernelINS0_14default_configENS1_27scan_by_key_config_selectorIidEEZZNS1_16scan_by_key_implILNS1_25lookback_scan_determinismE0ELb0ES3_N6thrust23THRUST_200600_302600_NS6detail15normal_iteratorINS9_10device_ptrIiEEEENSB_INSC_IdEEEESG_dNS9_4plusIvEENS9_8equal_toIvEEdEE10hipError_tPvRmT2_T3_T4_T5_mT6_T7_P12ihipStream_tbENKUlT_T0_E_clISt17integral_constantIbLb0EES11_EEDaSW_SX_EUlSW_E_NS1_11comp_targetILNS1_3genE5ELNS1_11target_archE942ELNS1_3gpuE9ELNS1_3repE0EEENS1_30default_config_static_selectorELNS0_4arch9wavefront6targetE0EEEvT1_.uses_flat_scratch, 0
	.set _ZN7rocprim17ROCPRIM_400000_NS6detail17trampoline_kernelINS0_14default_configENS1_27scan_by_key_config_selectorIidEEZZNS1_16scan_by_key_implILNS1_25lookback_scan_determinismE0ELb0ES3_N6thrust23THRUST_200600_302600_NS6detail15normal_iteratorINS9_10device_ptrIiEEEENSB_INSC_IdEEEESG_dNS9_4plusIvEENS9_8equal_toIvEEdEE10hipError_tPvRmT2_T3_T4_T5_mT6_T7_P12ihipStream_tbENKUlT_T0_E_clISt17integral_constantIbLb0EES11_EEDaSW_SX_EUlSW_E_NS1_11comp_targetILNS1_3genE5ELNS1_11target_archE942ELNS1_3gpuE9ELNS1_3repE0EEENS1_30default_config_static_selectorELNS0_4arch9wavefront6targetE0EEEvT1_.has_dyn_sized_stack, 0
	.set _ZN7rocprim17ROCPRIM_400000_NS6detail17trampoline_kernelINS0_14default_configENS1_27scan_by_key_config_selectorIidEEZZNS1_16scan_by_key_implILNS1_25lookback_scan_determinismE0ELb0ES3_N6thrust23THRUST_200600_302600_NS6detail15normal_iteratorINS9_10device_ptrIiEEEENSB_INSC_IdEEEESG_dNS9_4plusIvEENS9_8equal_toIvEEdEE10hipError_tPvRmT2_T3_T4_T5_mT6_T7_P12ihipStream_tbENKUlT_T0_E_clISt17integral_constantIbLb0EES11_EEDaSW_SX_EUlSW_E_NS1_11comp_targetILNS1_3genE5ELNS1_11target_archE942ELNS1_3gpuE9ELNS1_3repE0EEENS1_30default_config_static_selectorELNS0_4arch9wavefront6targetE0EEEvT1_.has_recursion, 0
	.set _ZN7rocprim17ROCPRIM_400000_NS6detail17trampoline_kernelINS0_14default_configENS1_27scan_by_key_config_selectorIidEEZZNS1_16scan_by_key_implILNS1_25lookback_scan_determinismE0ELb0ES3_N6thrust23THRUST_200600_302600_NS6detail15normal_iteratorINS9_10device_ptrIiEEEENSB_INSC_IdEEEESG_dNS9_4plusIvEENS9_8equal_toIvEEdEE10hipError_tPvRmT2_T3_T4_T5_mT6_T7_P12ihipStream_tbENKUlT_T0_E_clISt17integral_constantIbLb0EES11_EEDaSW_SX_EUlSW_E_NS1_11comp_targetILNS1_3genE5ELNS1_11target_archE942ELNS1_3gpuE9ELNS1_3repE0EEENS1_30default_config_static_selectorELNS0_4arch9wavefront6targetE0EEEvT1_.has_indirect_call, 0
	.section	.AMDGPU.csdata,"",@progbits
; Kernel info:
; codeLenInByte = 0
; TotalNumSgprs: 0
; NumVgprs: 0
; ScratchSize: 0
; MemoryBound: 0
; FloatMode: 240
; IeeeMode: 1
; LDSByteSize: 0 bytes/workgroup (compile time only)
; SGPRBlocks: 0
; VGPRBlocks: 0
; NumSGPRsForWavesPerEU: 1
; NumVGPRsForWavesPerEU: 1
; NamedBarCnt: 0
; Occupancy: 16
; WaveLimiterHint : 0
; COMPUTE_PGM_RSRC2:SCRATCH_EN: 0
; COMPUTE_PGM_RSRC2:USER_SGPR: 2
; COMPUTE_PGM_RSRC2:TRAP_HANDLER: 0
; COMPUTE_PGM_RSRC2:TGID_X_EN: 1
; COMPUTE_PGM_RSRC2:TGID_Y_EN: 0
; COMPUTE_PGM_RSRC2:TGID_Z_EN: 0
; COMPUTE_PGM_RSRC2:TIDIG_COMP_CNT: 0
	.section	.text._ZN7rocprim17ROCPRIM_400000_NS6detail17trampoline_kernelINS0_14default_configENS1_27scan_by_key_config_selectorIidEEZZNS1_16scan_by_key_implILNS1_25lookback_scan_determinismE0ELb0ES3_N6thrust23THRUST_200600_302600_NS6detail15normal_iteratorINS9_10device_ptrIiEEEENSB_INSC_IdEEEESG_dNS9_4plusIvEENS9_8equal_toIvEEdEE10hipError_tPvRmT2_T3_T4_T5_mT6_T7_P12ihipStream_tbENKUlT_T0_E_clISt17integral_constantIbLb0EES11_EEDaSW_SX_EUlSW_E_NS1_11comp_targetILNS1_3genE4ELNS1_11target_archE910ELNS1_3gpuE8ELNS1_3repE0EEENS1_30default_config_static_selectorELNS0_4arch9wavefront6targetE0EEEvT1_,"axG",@progbits,_ZN7rocprim17ROCPRIM_400000_NS6detail17trampoline_kernelINS0_14default_configENS1_27scan_by_key_config_selectorIidEEZZNS1_16scan_by_key_implILNS1_25lookback_scan_determinismE0ELb0ES3_N6thrust23THRUST_200600_302600_NS6detail15normal_iteratorINS9_10device_ptrIiEEEENSB_INSC_IdEEEESG_dNS9_4plusIvEENS9_8equal_toIvEEdEE10hipError_tPvRmT2_T3_T4_T5_mT6_T7_P12ihipStream_tbENKUlT_T0_E_clISt17integral_constantIbLb0EES11_EEDaSW_SX_EUlSW_E_NS1_11comp_targetILNS1_3genE4ELNS1_11target_archE910ELNS1_3gpuE8ELNS1_3repE0EEENS1_30default_config_static_selectorELNS0_4arch9wavefront6targetE0EEEvT1_,comdat
	.protected	_ZN7rocprim17ROCPRIM_400000_NS6detail17trampoline_kernelINS0_14default_configENS1_27scan_by_key_config_selectorIidEEZZNS1_16scan_by_key_implILNS1_25lookback_scan_determinismE0ELb0ES3_N6thrust23THRUST_200600_302600_NS6detail15normal_iteratorINS9_10device_ptrIiEEEENSB_INSC_IdEEEESG_dNS9_4plusIvEENS9_8equal_toIvEEdEE10hipError_tPvRmT2_T3_T4_T5_mT6_T7_P12ihipStream_tbENKUlT_T0_E_clISt17integral_constantIbLb0EES11_EEDaSW_SX_EUlSW_E_NS1_11comp_targetILNS1_3genE4ELNS1_11target_archE910ELNS1_3gpuE8ELNS1_3repE0EEENS1_30default_config_static_selectorELNS0_4arch9wavefront6targetE0EEEvT1_ ; -- Begin function _ZN7rocprim17ROCPRIM_400000_NS6detail17trampoline_kernelINS0_14default_configENS1_27scan_by_key_config_selectorIidEEZZNS1_16scan_by_key_implILNS1_25lookback_scan_determinismE0ELb0ES3_N6thrust23THRUST_200600_302600_NS6detail15normal_iteratorINS9_10device_ptrIiEEEENSB_INSC_IdEEEESG_dNS9_4plusIvEENS9_8equal_toIvEEdEE10hipError_tPvRmT2_T3_T4_T5_mT6_T7_P12ihipStream_tbENKUlT_T0_E_clISt17integral_constantIbLb0EES11_EEDaSW_SX_EUlSW_E_NS1_11comp_targetILNS1_3genE4ELNS1_11target_archE910ELNS1_3gpuE8ELNS1_3repE0EEENS1_30default_config_static_selectorELNS0_4arch9wavefront6targetE0EEEvT1_
	.globl	_ZN7rocprim17ROCPRIM_400000_NS6detail17trampoline_kernelINS0_14default_configENS1_27scan_by_key_config_selectorIidEEZZNS1_16scan_by_key_implILNS1_25lookback_scan_determinismE0ELb0ES3_N6thrust23THRUST_200600_302600_NS6detail15normal_iteratorINS9_10device_ptrIiEEEENSB_INSC_IdEEEESG_dNS9_4plusIvEENS9_8equal_toIvEEdEE10hipError_tPvRmT2_T3_T4_T5_mT6_T7_P12ihipStream_tbENKUlT_T0_E_clISt17integral_constantIbLb0EES11_EEDaSW_SX_EUlSW_E_NS1_11comp_targetILNS1_3genE4ELNS1_11target_archE910ELNS1_3gpuE8ELNS1_3repE0EEENS1_30default_config_static_selectorELNS0_4arch9wavefront6targetE0EEEvT1_
	.p2align	8
	.type	_ZN7rocprim17ROCPRIM_400000_NS6detail17trampoline_kernelINS0_14default_configENS1_27scan_by_key_config_selectorIidEEZZNS1_16scan_by_key_implILNS1_25lookback_scan_determinismE0ELb0ES3_N6thrust23THRUST_200600_302600_NS6detail15normal_iteratorINS9_10device_ptrIiEEEENSB_INSC_IdEEEESG_dNS9_4plusIvEENS9_8equal_toIvEEdEE10hipError_tPvRmT2_T3_T4_T5_mT6_T7_P12ihipStream_tbENKUlT_T0_E_clISt17integral_constantIbLb0EES11_EEDaSW_SX_EUlSW_E_NS1_11comp_targetILNS1_3genE4ELNS1_11target_archE910ELNS1_3gpuE8ELNS1_3repE0EEENS1_30default_config_static_selectorELNS0_4arch9wavefront6targetE0EEEvT1_,@function
_ZN7rocprim17ROCPRIM_400000_NS6detail17trampoline_kernelINS0_14default_configENS1_27scan_by_key_config_selectorIidEEZZNS1_16scan_by_key_implILNS1_25lookback_scan_determinismE0ELb0ES3_N6thrust23THRUST_200600_302600_NS6detail15normal_iteratorINS9_10device_ptrIiEEEENSB_INSC_IdEEEESG_dNS9_4plusIvEENS9_8equal_toIvEEdEE10hipError_tPvRmT2_T3_T4_T5_mT6_T7_P12ihipStream_tbENKUlT_T0_E_clISt17integral_constantIbLb0EES11_EEDaSW_SX_EUlSW_E_NS1_11comp_targetILNS1_3genE4ELNS1_11target_archE910ELNS1_3gpuE8ELNS1_3repE0EEENS1_30default_config_static_selectorELNS0_4arch9wavefront6targetE0EEEvT1_: ; @_ZN7rocprim17ROCPRIM_400000_NS6detail17trampoline_kernelINS0_14default_configENS1_27scan_by_key_config_selectorIidEEZZNS1_16scan_by_key_implILNS1_25lookback_scan_determinismE0ELb0ES3_N6thrust23THRUST_200600_302600_NS6detail15normal_iteratorINS9_10device_ptrIiEEEENSB_INSC_IdEEEESG_dNS9_4plusIvEENS9_8equal_toIvEEdEE10hipError_tPvRmT2_T3_T4_T5_mT6_T7_P12ihipStream_tbENKUlT_T0_E_clISt17integral_constantIbLb0EES11_EEDaSW_SX_EUlSW_E_NS1_11comp_targetILNS1_3genE4ELNS1_11target_archE910ELNS1_3gpuE8ELNS1_3repE0EEENS1_30default_config_static_selectorELNS0_4arch9wavefront6targetE0EEEvT1_
; %bb.0:
	.section	.rodata,"a",@progbits
	.p2align	6, 0x0
	.amdhsa_kernel _ZN7rocprim17ROCPRIM_400000_NS6detail17trampoline_kernelINS0_14default_configENS1_27scan_by_key_config_selectorIidEEZZNS1_16scan_by_key_implILNS1_25lookback_scan_determinismE0ELb0ES3_N6thrust23THRUST_200600_302600_NS6detail15normal_iteratorINS9_10device_ptrIiEEEENSB_INSC_IdEEEESG_dNS9_4plusIvEENS9_8equal_toIvEEdEE10hipError_tPvRmT2_T3_T4_T5_mT6_T7_P12ihipStream_tbENKUlT_T0_E_clISt17integral_constantIbLb0EES11_EEDaSW_SX_EUlSW_E_NS1_11comp_targetILNS1_3genE4ELNS1_11target_archE910ELNS1_3gpuE8ELNS1_3repE0EEENS1_30default_config_static_selectorELNS0_4arch9wavefront6targetE0EEEvT1_
		.amdhsa_group_segment_fixed_size 0
		.amdhsa_private_segment_fixed_size 0
		.amdhsa_kernarg_size 136
		.amdhsa_user_sgpr_count 2
		.amdhsa_user_sgpr_dispatch_ptr 0
		.amdhsa_user_sgpr_queue_ptr 0
		.amdhsa_user_sgpr_kernarg_segment_ptr 1
		.amdhsa_user_sgpr_dispatch_id 0
		.amdhsa_user_sgpr_kernarg_preload_length 0
		.amdhsa_user_sgpr_kernarg_preload_offset 0
		.amdhsa_user_sgpr_private_segment_size 0
		.amdhsa_wavefront_size32 1
		.amdhsa_uses_dynamic_stack 0
		.amdhsa_enable_private_segment 0
		.amdhsa_system_sgpr_workgroup_id_x 1
		.amdhsa_system_sgpr_workgroup_id_y 0
		.amdhsa_system_sgpr_workgroup_id_z 0
		.amdhsa_system_sgpr_workgroup_info 0
		.amdhsa_system_vgpr_workitem_id 0
		.amdhsa_next_free_vgpr 1
		.amdhsa_next_free_sgpr 1
		.amdhsa_named_barrier_count 0
		.amdhsa_reserve_vcc 0
		.amdhsa_float_round_mode_32 0
		.amdhsa_float_round_mode_16_64 0
		.amdhsa_float_denorm_mode_32 3
		.amdhsa_float_denorm_mode_16_64 3
		.amdhsa_fp16_overflow 0
		.amdhsa_memory_ordered 1
		.amdhsa_forward_progress 1
		.amdhsa_inst_pref_size 0
		.amdhsa_round_robin_scheduling 0
		.amdhsa_exception_fp_ieee_invalid_op 0
		.amdhsa_exception_fp_denorm_src 0
		.amdhsa_exception_fp_ieee_div_zero 0
		.amdhsa_exception_fp_ieee_overflow 0
		.amdhsa_exception_fp_ieee_underflow 0
		.amdhsa_exception_fp_ieee_inexact 0
		.amdhsa_exception_int_div_zero 0
	.end_amdhsa_kernel
	.section	.text._ZN7rocprim17ROCPRIM_400000_NS6detail17trampoline_kernelINS0_14default_configENS1_27scan_by_key_config_selectorIidEEZZNS1_16scan_by_key_implILNS1_25lookback_scan_determinismE0ELb0ES3_N6thrust23THRUST_200600_302600_NS6detail15normal_iteratorINS9_10device_ptrIiEEEENSB_INSC_IdEEEESG_dNS9_4plusIvEENS9_8equal_toIvEEdEE10hipError_tPvRmT2_T3_T4_T5_mT6_T7_P12ihipStream_tbENKUlT_T0_E_clISt17integral_constantIbLb0EES11_EEDaSW_SX_EUlSW_E_NS1_11comp_targetILNS1_3genE4ELNS1_11target_archE910ELNS1_3gpuE8ELNS1_3repE0EEENS1_30default_config_static_selectorELNS0_4arch9wavefront6targetE0EEEvT1_,"axG",@progbits,_ZN7rocprim17ROCPRIM_400000_NS6detail17trampoline_kernelINS0_14default_configENS1_27scan_by_key_config_selectorIidEEZZNS1_16scan_by_key_implILNS1_25lookback_scan_determinismE0ELb0ES3_N6thrust23THRUST_200600_302600_NS6detail15normal_iteratorINS9_10device_ptrIiEEEENSB_INSC_IdEEEESG_dNS9_4plusIvEENS9_8equal_toIvEEdEE10hipError_tPvRmT2_T3_T4_T5_mT6_T7_P12ihipStream_tbENKUlT_T0_E_clISt17integral_constantIbLb0EES11_EEDaSW_SX_EUlSW_E_NS1_11comp_targetILNS1_3genE4ELNS1_11target_archE910ELNS1_3gpuE8ELNS1_3repE0EEENS1_30default_config_static_selectorELNS0_4arch9wavefront6targetE0EEEvT1_,comdat
.Lfunc_end1088:
	.size	_ZN7rocprim17ROCPRIM_400000_NS6detail17trampoline_kernelINS0_14default_configENS1_27scan_by_key_config_selectorIidEEZZNS1_16scan_by_key_implILNS1_25lookback_scan_determinismE0ELb0ES3_N6thrust23THRUST_200600_302600_NS6detail15normal_iteratorINS9_10device_ptrIiEEEENSB_INSC_IdEEEESG_dNS9_4plusIvEENS9_8equal_toIvEEdEE10hipError_tPvRmT2_T3_T4_T5_mT6_T7_P12ihipStream_tbENKUlT_T0_E_clISt17integral_constantIbLb0EES11_EEDaSW_SX_EUlSW_E_NS1_11comp_targetILNS1_3genE4ELNS1_11target_archE910ELNS1_3gpuE8ELNS1_3repE0EEENS1_30default_config_static_selectorELNS0_4arch9wavefront6targetE0EEEvT1_, .Lfunc_end1088-_ZN7rocprim17ROCPRIM_400000_NS6detail17trampoline_kernelINS0_14default_configENS1_27scan_by_key_config_selectorIidEEZZNS1_16scan_by_key_implILNS1_25lookback_scan_determinismE0ELb0ES3_N6thrust23THRUST_200600_302600_NS6detail15normal_iteratorINS9_10device_ptrIiEEEENSB_INSC_IdEEEESG_dNS9_4plusIvEENS9_8equal_toIvEEdEE10hipError_tPvRmT2_T3_T4_T5_mT6_T7_P12ihipStream_tbENKUlT_T0_E_clISt17integral_constantIbLb0EES11_EEDaSW_SX_EUlSW_E_NS1_11comp_targetILNS1_3genE4ELNS1_11target_archE910ELNS1_3gpuE8ELNS1_3repE0EEENS1_30default_config_static_selectorELNS0_4arch9wavefront6targetE0EEEvT1_
                                        ; -- End function
	.set _ZN7rocprim17ROCPRIM_400000_NS6detail17trampoline_kernelINS0_14default_configENS1_27scan_by_key_config_selectorIidEEZZNS1_16scan_by_key_implILNS1_25lookback_scan_determinismE0ELb0ES3_N6thrust23THRUST_200600_302600_NS6detail15normal_iteratorINS9_10device_ptrIiEEEENSB_INSC_IdEEEESG_dNS9_4plusIvEENS9_8equal_toIvEEdEE10hipError_tPvRmT2_T3_T4_T5_mT6_T7_P12ihipStream_tbENKUlT_T0_E_clISt17integral_constantIbLb0EES11_EEDaSW_SX_EUlSW_E_NS1_11comp_targetILNS1_3genE4ELNS1_11target_archE910ELNS1_3gpuE8ELNS1_3repE0EEENS1_30default_config_static_selectorELNS0_4arch9wavefront6targetE0EEEvT1_.num_vgpr, 0
	.set _ZN7rocprim17ROCPRIM_400000_NS6detail17trampoline_kernelINS0_14default_configENS1_27scan_by_key_config_selectorIidEEZZNS1_16scan_by_key_implILNS1_25lookback_scan_determinismE0ELb0ES3_N6thrust23THRUST_200600_302600_NS6detail15normal_iteratorINS9_10device_ptrIiEEEENSB_INSC_IdEEEESG_dNS9_4plusIvEENS9_8equal_toIvEEdEE10hipError_tPvRmT2_T3_T4_T5_mT6_T7_P12ihipStream_tbENKUlT_T0_E_clISt17integral_constantIbLb0EES11_EEDaSW_SX_EUlSW_E_NS1_11comp_targetILNS1_3genE4ELNS1_11target_archE910ELNS1_3gpuE8ELNS1_3repE0EEENS1_30default_config_static_selectorELNS0_4arch9wavefront6targetE0EEEvT1_.num_agpr, 0
	.set _ZN7rocprim17ROCPRIM_400000_NS6detail17trampoline_kernelINS0_14default_configENS1_27scan_by_key_config_selectorIidEEZZNS1_16scan_by_key_implILNS1_25lookback_scan_determinismE0ELb0ES3_N6thrust23THRUST_200600_302600_NS6detail15normal_iteratorINS9_10device_ptrIiEEEENSB_INSC_IdEEEESG_dNS9_4plusIvEENS9_8equal_toIvEEdEE10hipError_tPvRmT2_T3_T4_T5_mT6_T7_P12ihipStream_tbENKUlT_T0_E_clISt17integral_constantIbLb0EES11_EEDaSW_SX_EUlSW_E_NS1_11comp_targetILNS1_3genE4ELNS1_11target_archE910ELNS1_3gpuE8ELNS1_3repE0EEENS1_30default_config_static_selectorELNS0_4arch9wavefront6targetE0EEEvT1_.numbered_sgpr, 0
	.set _ZN7rocprim17ROCPRIM_400000_NS6detail17trampoline_kernelINS0_14default_configENS1_27scan_by_key_config_selectorIidEEZZNS1_16scan_by_key_implILNS1_25lookback_scan_determinismE0ELb0ES3_N6thrust23THRUST_200600_302600_NS6detail15normal_iteratorINS9_10device_ptrIiEEEENSB_INSC_IdEEEESG_dNS9_4plusIvEENS9_8equal_toIvEEdEE10hipError_tPvRmT2_T3_T4_T5_mT6_T7_P12ihipStream_tbENKUlT_T0_E_clISt17integral_constantIbLb0EES11_EEDaSW_SX_EUlSW_E_NS1_11comp_targetILNS1_3genE4ELNS1_11target_archE910ELNS1_3gpuE8ELNS1_3repE0EEENS1_30default_config_static_selectorELNS0_4arch9wavefront6targetE0EEEvT1_.num_named_barrier, 0
	.set _ZN7rocprim17ROCPRIM_400000_NS6detail17trampoline_kernelINS0_14default_configENS1_27scan_by_key_config_selectorIidEEZZNS1_16scan_by_key_implILNS1_25lookback_scan_determinismE0ELb0ES3_N6thrust23THRUST_200600_302600_NS6detail15normal_iteratorINS9_10device_ptrIiEEEENSB_INSC_IdEEEESG_dNS9_4plusIvEENS9_8equal_toIvEEdEE10hipError_tPvRmT2_T3_T4_T5_mT6_T7_P12ihipStream_tbENKUlT_T0_E_clISt17integral_constantIbLb0EES11_EEDaSW_SX_EUlSW_E_NS1_11comp_targetILNS1_3genE4ELNS1_11target_archE910ELNS1_3gpuE8ELNS1_3repE0EEENS1_30default_config_static_selectorELNS0_4arch9wavefront6targetE0EEEvT1_.private_seg_size, 0
	.set _ZN7rocprim17ROCPRIM_400000_NS6detail17trampoline_kernelINS0_14default_configENS1_27scan_by_key_config_selectorIidEEZZNS1_16scan_by_key_implILNS1_25lookback_scan_determinismE0ELb0ES3_N6thrust23THRUST_200600_302600_NS6detail15normal_iteratorINS9_10device_ptrIiEEEENSB_INSC_IdEEEESG_dNS9_4plusIvEENS9_8equal_toIvEEdEE10hipError_tPvRmT2_T3_T4_T5_mT6_T7_P12ihipStream_tbENKUlT_T0_E_clISt17integral_constantIbLb0EES11_EEDaSW_SX_EUlSW_E_NS1_11comp_targetILNS1_3genE4ELNS1_11target_archE910ELNS1_3gpuE8ELNS1_3repE0EEENS1_30default_config_static_selectorELNS0_4arch9wavefront6targetE0EEEvT1_.uses_vcc, 0
	.set _ZN7rocprim17ROCPRIM_400000_NS6detail17trampoline_kernelINS0_14default_configENS1_27scan_by_key_config_selectorIidEEZZNS1_16scan_by_key_implILNS1_25lookback_scan_determinismE0ELb0ES3_N6thrust23THRUST_200600_302600_NS6detail15normal_iteratorINS9_10device_ptrIiEEEENSB_INSC_IdEEEESG_dNS9_4plusIvEENS9_8equal_toIvEEdEE10hipError_tPvRmT2_T3_T4_T5_mT6_T7_P12ihipStream_tbENKUlT_T0_E_clISt17integral_constantIbLb0EES11_EEDaSW_SX_EUlSW_E_NS1_11comp_targetILNS1_3genE4ELNS1_11target_archE910ELNS1_3gpuE8ELNS1_3repE0EEENS1_30default_config_static_selectorELNS0_4arch9wavefront6targetE0EEEvT1_.uses_flat_scratch, 0
	.set _ZN7rocprim17ROCPRIM_400000_NS6detail17trampoline_kernelINS0_14default_configENS1_27scan_by_key_config_selectorIidEEZZNS1_16scan_by_key_implILNS1_25lookback_scan_determinismE0ELb0ES3_N6thrust23THRUST_200600_302600_NS6detail15normal_iteratorINS9_10device_ptrIiEEEENSB_INSC_IdEEEESG_dNS9_4plusIvEENS9_8equal_toIvEEdEE10hipError_tPvRmT2_T3_T4_T5_mT6_T7_P12ihipStream_tbENKUlT_T0_E_clISt17integral_constantIbLb0EES11_EEDaSW_SX_EUlSW_E_NS1_11comp_targetILNS1_3genE4ELNS1_11target_archE910ELNS1_3gpuE8ELNS1_3repE0EEENS1_30default_config_static_selectorELNS0_4arch9wavefront6targetE0EEEvT1_.has_dyn_sized_stack, 0
	.set _ZN7rocprim17ROCPRIM_400000_NS6detail17trampoline_kernelINS0_14default_configENS1_27scan_by_key_config_selectorIidEEZZNS1_16scan_by_key_implILNS1_25lookback_scan_determinismE0ELb0ES3_N6thrust23THRUST_200600_302600_NS6detail15normal_iteratorINS9_10device_ptrIiEEEENSB_INSC_IdEEEESG_dNS9_4plusIvEENS9_8equal_toIvEEdEE10hipError_tPvRmT2_T3_T4_T5_mT6_T7_P12ihipStream_tbENKUlT_T0_E_clISt17integral_constantIbLb0EES11_EEDaSW_SX_EUlSW_E_NS1_11comp_targetILNS1_3genE4ELNS1_11target_archE910ELNS1_3gpuE8ELNS1_3repE0EEENS1_30default_config_static_selectorELNS0_4arch9wavefront6targetE0EEEvT1_.has_recursion, 0
	.set _ZN7rocprim17ROCPRIM_400000_NS6detail17trampoline_kernelINS0_14default_configENS1_27scan_by_key_config_selectorIidEEZZNS1_16scan_by_key_implILNS1_25lookback_scan_determinismE0ELb0ES3_N6thrust23THRUST_200600_302600_NS6detail15normal_iteratorINS9_10device_ptrIiEEEENSB_INSC_IdEEEESG_dNS9_4plusIvEENS9_8equal_toIvEEdEE10hipError_tPvRmT2_T3_T4_T5_mT6_T7_P12ihipStream_tbENKUlT_T0_E_clISt17integral_constantIbLb0EES11_EEDaSW_SX_EUlSW_E_NS1_11comp_targetILNS1_3genE4ELNS1_11target_archE910ELNS1_3gpuE8ELNS1_3repE0EEENS1_30default_config_static_selectorELNS0_4arch9wavefront6targetE0EEEvT1_.has_indirect_call, 0
	.section	.AMDGPU.csdata,"",@progbits
; Kernel info:
; codeLenInByte = 0
; TotalNumSgprs: 0
; NumVgprs: 0
; ScratchSize: 0
; MemoryBound: 0
; FloatMode: 240
; IeeeMode: 1
; LDSByteSize: 0 bytes/workgroup (compile time only)
; SGPRBlocks: 0
; VGPRBlocks: 0
; NumSGPRsForWavesPerEU: 1
; NumVGPRsForWavesPerEU: 1
; NamedBarCnt: 0
; Occupancy: 16
; WaveLimiterHint : 0
; COMPUTE_PGM_RSRC2:SCRATCH_EN: 0
; COMPUTE_PGM_RSRC2:USER_SGPR: 2
; COMPUTE_PGM_RSRC2:TRAP_HANDLER: 0
; COMPUTE_PGM_RSRC2:TGID_X_EN: 1
; COMPUTE_PGM_RSRC2:TGID_Y_EN: 0
; COMPUTE_PGM_RSRC2:TGID_Z_EN: 0
; COMPUTE_PGM_RSRC2:TIDIG_COMP_CNT: 0
	.section	.text._ZN7rocprim17ROCPRIM_400000_NS6detail17trampoline_kernelINS0_14default_configENS1_27scan_by_key_config_selectorIidEEZZNS1_16scan_by_key_implILNS1_25lookback_scan_determinismE0ELb0ES3_N6thrust23THRUST_200600_302600_NS6detail15normal_iteratorINS9_10device_ptrIiEEEENSB_INSC_IdEEEESG_dNS9_4plusIvEENS9_8equal_toIvEEdEE10hipError_tPvRmT2_T3_T4_T5_mT6_T7_P12ihipStream_tbENKUlT_T0_E_clISt17integral_constantIbLb0EES11_EEDaSW_SX_EUlSW_E_NS1_11comp_targetILNS1_3genE3ELNS1_11target_archE908ELNS1_3gpuE7ELNS1_3repE0EEENS1_30default_config_static_selectorELNS0_4arch9wavefront6targetE0EEEvT1_,"axG",@progbits,_ZN7rocprim17ROCPRIM_400000_NS6detail17trampoline_kernelINS0_14default_configENS1_27scan_by_key_config_selectorIidEEZZNS1_16scan_by_key_implILNS1_25lookback_scan_determinismE0ELb0ES3_N6thrust23THRUST_200600_302600_NS6detail15normal_iteratorINS9_10device_ptrIiEEEENSB_INSC_IdEEEESG_dNS9_4plusIvEENS9_8equal_toIvEEdEE10hipError_tPvRmT2_T3_T4_T5_mT6_T7_P12ihipStream_tbENKUlT_T0_E_clISt17integral_constantIbLb0EES11_EEDaSW_SX_EUlSW_E_NS1_11comp_targetILNS1_3genE3ELNS1_11target_archE908ELNS1_3gpuE7ELNS1_3repE0EEENS1_30default_config_static_selectorELNS0_4arch9wavefront6targetE0EEEvT1_,comdat
	.protected	_ZN7rocprim17ROCPRIM_400000_NS6detail17trampoline_kernelINS0_14default_configENS1_27scan_by_key_config_selectorIidEEZZNS1_16scan_by_key_implILNS1_25lookback_scan_determinismE0ELb0ES3_N6thrust23THRUST_200600_302600_NS6detail15normal_iteratorINS9_10device_ptrIiEEEENSB_INSC_IdEEEESG_dNS9_4plusIvEENS9_8equal_toIvEEdEE10hipError_tPvRmT2_T3_T4_T5_mT6_T7_P12ihipStream_tbENKUlT_T0_E_clISt17integral_constantIbLb0EES11_EEDaSW_SX_EUlSW_E_NS1_11comp_targetILNS1_3genE3ELNS1_11target_archE908ELNS1_3gpuE7ELNS1_3repE0EEENS1_30default_config_static_selectorELNS0_4arch9wavefront6targetE0EEEvT1_ ; -- Begin function _ZN7rocprim17ROCPRIM_400000_NS6detail17trampoline_kernelINS0_14default_configENS1_27scan_by_key_config_selectorIidEEZZNS1_16scan_by_key_implILNS1_25lookback_scan_determinismE0ELb0ES3_N6thrust23THRUST_200600_302600_NS6detail15normal_iteratorINS9_10device_ptrIiEEEENSB_INSC_IdEEEESG_dNS9_4plusIvEENS9_8equal_toIvEEdEE10hipError_tPvRmT2_T3_T4_T5_mT6_T7_P12ihipStream_tbENKUlT_T0_E_clISt17integral_constantIbLb0EES11_EEDaSW_SX_EUlSW_E_NS1_11comp_targetILNS1_3genE3ELNS1_11target_archE908ELNS1_3gpuE7ELNS1_3repE0EEENS1_30default_config_static_selectorELNS0_4arch9wavefront6targetE0EEEvT1_
	.globl	_ZN7rocprim17ROCPRIM_400000_NS6detail17trampoline_kernelINS0_14default_configENS1_27scan_by_key_config_selectorIidEEZZNS1_16scan_by_key_implILNS1_25lookback_scan_determinismE0ELb0ES3_N6thrust23THRUST_200600_302600_NS6detail15normal_iteratorINS9_10device_ptrIiEEEENSB_INSC_IdEEEESG_dNS9_4plusIvEENS9_8equal_toIvEEdEE10hipError_tPvRmT2_T3_T4_T5_mT6_T7_P12ihipStream_tbENKUlT_T0_E_clISt17integral_constantIbLb0EES11_EEDaSW_SX_EUlSW_E_NS1_11comp_targetILNS1_3genE3ELNS1_11target_archE908ELNS1_3gpuE7ELNS1_3repE0EEENS1_30default_config_static_selectorELNS0_4arch9wavefront6targetE0EEEvT1_
	.p2align	8
	.type	_ZN7rocprim17ROCPRIM_400000_NS6detail17trampoline_kernelINS0_14default_configENS1_27scan_by_key_config_selectorIidEEZZNS1_16scan_by_key_implILNS1_25lookback_scan_determinismE0ELb0ES3_N6thrust23THRUST_200600_302600_NS6detail15normal_iteratorINS9_10device_ptrIiEEEENSB_INSC_IdEEEESG_dNS9_4plusIvEENS9_8equal_toIvEEdEE10hipError_tPvRmT2_T3_T4_T5_mT6_T7_P12ihipStream_tbENKUlT_T0_E_clISt17integral_constantIbLb0EES11_EEDaSW_SX_EUlSW_E_NS1_11comp_targetILNS1_3genE3ELNS1_11target_archE908ELNS1_3gpuE7ELNS1_3repE0EEENS1_30default_config_static_selectorELNS0_4arch9wavefront6targetE0EEEvT1_,@function
_ZN7rocprim17ROCPRIM_400000_NS6detail17trampoline_kernelINS0_14default_configENS1_27scan_by_key_config_selectorIidEEZZNS1_16scan_by_key_implILNS1_25lookback_scan_determinismE0ELb0ES3_N6thrust23THRUST_200600_302600_NS6detail15normal_iteratorINS9_10device_ptrIiEEEENSB_INSC_IdEEEESG_dNS9_4plusIvEENS9_8equal_toIvEEdEE10hipError_tPvRmT2_T3_T4_T5_mT6_T7_P12ihipStream_tbENKUlT_T0_E_clISt17integral_constantIbLb0EES11_EEDaSW_SX_EUlSW_E_NS1_11comp_targetILNS1_3genE3ELNS1_11target_archE908ELNS1_3gpuE7ELNS1_3repE0EEENS1_30default_config_static_selectorELNS0_4arch9wavefront6targetE0EEEvT1_: ; @_ZN7rocprim17ROCPRIM_400000_NS6detail17trampoline_kernelINS0_14default_configENS1_27scan_by_key_config_selectorIidEEZZNS1_16scan_by_key_implILNS1_25lookback_scan_determinismE0ELb0ES3_N6thrust23THRUST_200600_302600_NS6detail15normal_iteratorINS9_10device_ptrIiEEEENSB_INSC_IdEEEESG_dNS9_4plusIvEENS9_8equal_toIvEEdEE10hipError_tPvRmT2_T3_T4_T5_mT6_T7_P12ihipStream_tbENKUlT_T0_E_clISt17integral_constantIbLb0EES11_EEDaSW_SX_EUlSW_E_NS1_11comp_targetILNS1_3genE3ELNS1_11target_archE908ELNS1_3gpuE7ELNS1_3repE0EEENS1_30default_config_static_selectorELNS0_4arch9wavefront6targetE0EEEvT1_
; %bb.0:
	.section	.rodata,"a",@progbits
	.p2align	6, 0x0
	.amdhsa_kernel _ZN7rocprim17ROCPRIM_400000_NS6detail17trampoline_kernelINS0_14default_configENS1_27scan_by_key_config_selectorIidEEZZNS1_16scan_by_key_implILNS1_25lookback_scan_determinismE0ELb0ES3_N6thrust23THRUST_200600_302600_NS6detail15normal_iteratorINS9_10device_ptrIiEEEENSB_INSC_IdEEEESG_dNS9_4plusIvEENS9_8equal_toIvEEdEE10hipError_tPvRmT2_T3_T4_T5_mT6_T7_P12ihipStream_tbENKUlT_T0_E_clISt17integral_constantIbLb0EES11_EEDaSW_SX_EUlSW_E_NS1_11comp_targetILNS1_3genE3ELNS1_11target_archE908ELNS1_3gpuE7ELNS1_3repE0EEENS1_30default_config_static_selectorELNS0_4arch9wavefront6targetE0EEEvT1_
		.amdhsa_group_segment_fixed_size 0
		.amdhsa_private_segment_fixed_size 0
		.amdhsa_kernarg_size 136
		.amdhsa_user_sgpr_count 2
		.amdhsa_user_sgpr_dispatch_ptr 0
		.amdhsa_user_sgpr_queue_ptr 0
		.amdhsa_user_sgpr_kernarg_segment_ptr 1
		.amdhsa_user_sgpr_dispatch_id 0
		.amdhsa_user_sgpr_kernarg_preload_length 0
		.amdhsa_user_sgpr_kernarg_preload_offset 0
		.amdhsa_user_sgpr_private_segment_size 0
		.amdhsa_wavefront_size32 1
		.amdhsa_uses_dynamic_stack 0
		.amdhsa_enable_private_segment 0
		.amdhsa_system_sgpr_workgroup_id_x 1
		.amdhsa_system_sgpr_workgroup_id_y 0
		.amdhsa_system_sgpr_workgroup_id_z 0
		.amdhsa_system_sgpr_workgroup_info 0
		.amdhsa_system_vgpr_workitem_id 0
		.amdhsa_next_free_vgpr 1
		.amdhsa_next_free_sgpr 1
		.amdhsa_named_barrier_count 0
		.amdhsa_reserve_vcc 0
		.amdhsa_float_round_mode_32 0
		.amdhsa_float_round_mode_16_64 0
		.amdhsa_float_denorm_mode_32 3
		.amdhsa_float_denorm_mode_16_64 3
		.amdhsa_fp16_overflow 0
		.amdhsa_memory_ordered 1
		.amdhsa_forward_progress 1
		.amdhsa_inst_pref_size 0
		.amdhsa_round_robin_scheduling 0
		.amdhsa_exception_fp_ieee_invalid_op 0
		.amdhsa_exception_fp_denorm_src 0
		.amdhsa_exception_fp_ieee_div_zero 0
		.amdhsa_exception_fp_ieee_overflow 0
		.amdhsa_exception_fp_ieee_underflow 0
		.amdhsa_exception_fp_ieee_inexact 0
		.amdhsa_exception_int_div_zero 0
	.end_amdhsa_kernel
	.section	.text._ZN7rocprim17ROCPRIM_400000_NS6detail17trampoline_kernelINS0_14default_configENS1_27scan_by_key_config_selectorIidEEZZNS1_16scan_by_key_implILNS1_25lookback_scan_determinismE0ELb0ES3_N6thrust23THRUST_200600_302600_NS6detail15normal_iteratorINS9_10device_ptrIiEEEENSB_INSC_IdEEEESG_dNS9_4plusIvEENS9_8equal_toIvEEdEE10hipError_tPvRmT2_T3_T4_T5_mT6_T7_P12ihipStream_tbENKUlT_T0_E_clISt17integral_constantIbLb0EES11_EEDaSW_SX_EUlSW_E_NS1_11comp_targetILNS1_3genE3ELNS1_11target_archE908ELNS1_3gpuE7ELNS1_3repE0EEENS1_30default_config_static_selectorELNS0_4arch9wavefront6targetE0EEEvT1_,"axG",@progbits,_ZN7rocprim17ROCPRIM_400000_NS6detail17trampoline_kernelINS0_14default_configENS1_27scan_by_key_config_selectorIidEEZZNS1_16scan_by_key_implILNS1_25lookback_scan_determinismE0ELb0ES3_N6thrust23THRUST_200600_302600_NS6detail15normal_iteratorINS9_10device_ptrIiEEEENSB_INSC_IdEEEESG_dNS9_4plusIvEENS9_8equal_toIvEEdEE10hipError_tPvRmT2_T3_T4_T5_mT6_T7_P12ihipStream_tbENKUlT_T0_E_clISt17integral_constantIbLb0EES11_EEDaSW_SX_EUlSW_E_NS1_11comp_targetILNS1_3genE3ELNS1_11target_archE908ELNS1_3gpuE7ELNS1_3repE0EEENS1_30default_config_static_selectorELNS0_4arch9wavefront6targetE0EEEvT1_,comdat
.Lfunc_end1089:
	.size	_ZN7rocprim17ROCPRIM_400000_NS6detail17trampoline_kernelINS0_14default_configENS1_27scan_by_key_config_selectorIidEEZZNS1_16scan_by_key_implILNS1_25lookback_scan_determinismE0ELb0ES3_N6thrust23THRUST_200600_302600_NS6detail15normal_iteratorINS9_10device_ptrIiEEEENSB_INSC_IdEEEESG_dNS9_4plusIvEENS9_8equal_toIvEEdEE10hipError_tPvRmT2_T3_T4_T5_mT6_T7_P12ihipStream_tbENKUlT_T0_E_clISt17integral_constantIbLb0EES11_EEDaSW_SX_EUlSW_E_NS1_11comp_targetILNS1_3genE3ELNS1_11target_archE908ELNS1_3gpuE7ELNS1_3repE0EEENS1_30default_config_static_selectorELNS0_4arch9wavefront6targetE0EEEvT1_, .Lfunc_end1089-_ZN7rocprim17ROCPRIM_400000_NS6detail17trampoline_kernelINS0_14default_configENS1_27scan_by_key_config_selectorIidEEZZNS1_16scan_by_key_implILNS1_25lookback_scan_determinismE0ELb0ES3_N6thrust23THRUST_200600_302600_NS6detail15normal_iteratorINS9_10device_ptrIiEEEENSB_INSC_IdEEEESG_dNS9_4plusIvEENS9_8equal_toIvEEdEE10hipError_tPvRmT2_T3_T4_T5_mT6_T7_P12ihipStream_tbENKUlT_T0_E_clISt17integral_constantIbLb0EES11_EEDaSW_SX_EUlSW_E_NS1_11comp_targetILNS1_3genE3ELNS1_11target_archE908ELNS1_3gpuE7ELNS1_3repE0EEENS1_30default_config_static_selectorELNS0_4arch9wavefront6targetE0EEEvT1_
                                        ; -- End function
	.set _ZN7rocprim17ROCPRIM_400000_NS6detail17trampoline_kernelINS0_14default_configENS1_27scan_by_key_config_selectorIidEEZZNS1_16scan_by_key_implILNS1_25lookback_scan_determinismE0ELb0ES3_N6thrust23THRUST_200600_302600_NS6detail15normal_iteratorINS9_10device_ptrIiEEEENSB_INSC_IdEEEESG_dNS9_4plusIvEENS9_8equal_toIvEEdEE10hipError_tPvRmT2_T3_T4_T5_mT6_T7_P12ihipStream_tbENKUlT_T0_E_clISt17integral_constantIbLb0EES11_EEDaSW_SX_EUlSW_E_NS1_11comp_targetILNS1_3genE3ELNS1_11target_archE908ELNS1_3gpuE7ELNS1_3repE0EEENS1_30default_config_static_selectorELNS0_4arch9wavefront6targetE0EEEvT1_.num_vgpr, 0
	.set _ZN7rocprim17ROCPRIM_400000_NS6detail17trampoline_kernelINS0_14default_configENS1_27scan_by_key_config_selectorIidEEZZNS1_16scan_by_key_implILNS1_25lookback_scan_determinismE0ELb0ES3_N6thrust23THRUST_200600_302600_NS6detail15normal_iteratorINS9_10device_ptrIiEEEENSB_INSC_IdEEEESG_dNS9_4plusIvEENS9_8equal_toIvEEdEE10hipError_tPvRmT2_T3_T4_T5_mT6_T7_P12ihipStream_tbENKUlT_T0_E_clISt17integral_constantIbLb0EES11_EEDaSW_SX_EUlSW_E_NS1_11comp_targetILNS1_3genE3ELNS1_11target_archE908ELNS1_3gpuE7ELNS1_3repE0EEENS1_30default_config_static_selectorELNS0_4arch9wavefront6targetE0EEEvT1_.num_agpr, 0
	.set _ZN7rocprim17ROCPRIM_400000_NS6detail17trampoline_kernelINS0_14default_configENS1_27scan_by_key_config_selectorIidEEZZNS1_16scan_by_key_implILNS1_25lookback_scan_determinismE0ELb0ES3_N6thrust23THRUST_200600_302600_NS6detail15normal_iteratorINS9_10device_ptrIiEEEENSB_INSC_IdEEEESG_dNS9_4plusIvEENS9_8equal_toIvEEdEE10hipError_tPvRmT2_T3_T4_T5_mT6_T7_P12ihipStream_tbENKUlT_T0_E_clISt17integral_constantIbLb0EES11_EEDaSW_SX_EUlSW_E_NS1_11comp_targetILNS1_3genE3ELNS1_11target_archE908ELNS1_3gpuE7ELNS1_3repE0EEENS1_30default_config_static_selectorELNS0_4arch9wavefront6targetE0EEEvT1_.numbered_sgpr, 0
	.set _ZN7rocprim17ROCPRIM_400000_NS6detail17trampoline_kernelINS0_14default_configENS1_27scan_by_key_config_selectorIidEEZZNS1_16scan_by_key_implILNS1_25lookback_scan_determinismE0ELb0ES3_N6thrust23THRUST_200600_302600_NS6detail15normal_iteratorINS9_10device_ptrIiEEEENSB_INSC_IdEEEESG_dNS9_4plusIvEENS9_8equal_toIvEEdEE10hipError_tPvRmT2_T3_T4_T5_mT6_T7_P12ihipStream_tbENKUlT_T0_E_clISt17integral_constantIbLb0EES11_EEDaSW_SX_EUlSW_E_NS1_11comp_targetILNS1_3genE3ELNS1_11target_archE908ELNS1_3gpuE7ELNS1_3repE0EEENS1_30default_config_static_selectorELNS0_4arch9wavefront6targetE0EEEvT1_.num_named_barrier, 0
	.set _ZN7rocprim17ROCPRIM_400000_NS6detail17trampoline_kernelINS0_14default_configENS1_27scan_by_key_config_selectorIidEEZZNS1_16scan_by_key_implILNS1_25lookback_scan_determinismE0ELb0ES3_N6thrust23THRUST_200600_302600_NS6detail15normal_iteratorINS9_10device_ptrIiEEEENSB_INSC_IdEEEESG_dNS9_4plusIvEENS9_8equal_toIvEEdEE10hipError_tPvRmT2_T3_T4_T5_mT6_T7_P12ihipStream_tbENKUlT_T0_E_clISt17integral_constantIbLb0EES11_EEDaSW_SX_EUlSW_E_NS1_11comp_targetILNS1_3genE3ELNS1_11target_archE908ELNS1_3gpuE7ELNS1_3repE0EEENS1_30default_config_static_selectorELNS0_4arch9wavefront6targetE0EEEvT1_.private_seg_size, 0
	.set _ZN7rocprim17ROCPRIM_400000_NS6detail17trampoline_kernelINS0_14default_configENS1_27scan_by_key_config_selectorIidEEZZNS1_16scan_by_key_implILNS1_25lookback_scan_determinismE0ELb0ES3_N6thrust23THRUST_200600_302600_NS6detail15normal_iteratorINS9_10device_ptrIiEEEENSB_INSC_IdEEEESG_dNS9_4plusIvEENS9_8equal_toIvEEdEE10hipError_tPvRmT2_T3_T4_T5_mT6_T7_P12ihipStream_tbENKUlT_T0_E_clISt17integral_constantIbLb0EES11_EEDaSW_SX_EUlSW_E_NS1_11comp_targetILNS1_3genE3ELNS1_11target_archE908ELNS1_3gpuE7ELNS1_3repE0EEENS1_30default_config_static_selectorELNS0_4arch9wavefront6targetE0EEEvT1_.uses_vcc, 0
	.set _ZN7rocprim17ROCPRIM_400000_NS6detail17trampoline_kernelINS0_14default_configENS1_27scan_by_key_config_selectorIidEEZZNS1_16scan_by_key_implILNS1_25lookback_scan_determinismE0ELb0ES3_N6thrust23THRUST_200600_302600_NS6detail15normal_iteratorINS9_10device_ptrIiEEEENSB_INSC_IdEEEESG_dNS9_4plusIvEENS9_8equal_toIvEEdEE10hipError_tPvRmT2_T3_T4_T5_mT6_T7_P12ihipStream_tbENKUlT_T0_E_clISt17integral_constantIbLb0EES11_EEDaSW_SX_EUlSW_E_NS1_11comp_targetILNS1_3genE3ELNS1_11target_archE908ELNS1_3gpuE7ELNS1_3repE0EEENS1_30default_config_static_selectorELNS0_4arch9wavefront6targetE0EEEvT1_.uses_flat_scratch, 0
	.set _ZN7rocprim17ROCPRIM_400000_NS6detail17trampoline_kernelINS0_14default_configENS1_27scan_by_key_config_selectorIidEEZZNS1_16scan_by_key_implILNS1_25lookback_scan_determinismE0ELb0ES3_N6thrust23THRUST_200600_302600_NS6detail15normal_iteratorINS9_10device_ptrIiEEEENSB_INSC_IdEEEESG_dNS9_4plusIvEENS9_8equal_toIvEEdEE10hipError_tPvRmT2_T3_T4_T5_mT6_T7_P12ihipStream_tbENKUlT_T0_E_clISt17integral_constantIbLb0EES11_EEDaSW_SX_EUlSW_E_NS1_11comp_targetILNS1_3genE3ELNS1_11target_archE908ELNS1_3gpuE7ELNS1_3repE0EEENS1_30default_config_static_selectorELNS0_4arch9wavefront6targetE0EEEvT1_.has_dyn_sized_stack, 0
	.set _ZN7rocprim17ROCPRIM_400000_NS6detail17trampoline_kernelINS0_14default_configENS1_27scan_by_key_config_selectorIidEEZZNS1_16scan_by_key_implILNS1_25lookback_scan_determinismE0ELb0ES3_N6thrust23THRUST_200600_302600_NS6detail15normal_iteratorINS9_10device_ptrIiEEEENSB_INSC_IdEEEESG_dNS9_4plusIvEENS9_8equal_toIvEEdEE10hipError_tPvRmT2_T3_T4_T5_mT6_T7_P12ihipStream_tbENKUlT_T0_E_clISt17integral_constantIbLb0EES11_EEDaSW_SX_EUlSW_E_NS1_11comp_targetILNS1_3genE3ELNS1_11target_archE908ELNS1_3gpuE7ELNS1_3repE0EEENS1_30default_config_static_selectorELNS0_4arch9wavefront6targetE0EEEvT1_.has_recursion, 0
	.set _ZN7rocprim17ROCPRIM_400000_NS6detail17trampoline_kernelINS0_14default_configENS1_27scan_by_key_config_selectorIidEEZZNS1_16scan_by_key_implILNS1_25lookback_scan_determinismE0ELb0ES3_N6thrust23THRUST_200600_302600_NS6detail15normal_iteratorINS9_10device_ptrIiEEEENSB_INSC_IdEEEESG_dNS9_4plusIvEENS9_8equal_toIvEEdEE10hipError_tPvRmT2_T3_T4_T5_mT6_T7_P12ihipStream_tbENKUlT_T0_E_clISt17integral_constantIbLb0EES11_EEDaSW_SX_EUlSW_E_NS1_11comp_targetILNS1_3genE3ELNS1_11target_archE908ELNS1_3gpuE7ELNS1_3repE0EEENS1_30default_config_static_selectorELNS0_4arch9wavefront6targetE0EEEvT1_.has_indirect_call, 0
	.section	.AMDGPU.csdata,"",@progbits
; Kernel info:
; codeLenInByte = 0
; TotalNumSgprs: 0
; NumVgprs: 0
; ScratchSize: 0
; MemoryBound: 0
; FloatMode: 240
; IeeeMode: 1
; LDSByteSize: 0 bytes/workgroup (compile time only)
; SGPRBlocks: 0
; VGPRBlocks: 0
; NumSGPRsForWavesPerEU: 1
; NumVGPRsForWavesPerEU: 1
; NamedBarCnt: 0
; Occupancy: 16
; WaveLimiterHint : 0
; COMPUTE_PGM_RSRC2:SCRATCH_EN: 0
; COMPUTE_PGM_RSRC2:USER_SGPR: 2
; COMPUTE_PGM_RSRC2:TRAP_HANDLER: 0
; COMPUTE_PGM_RSRC2:TGID_X_EN: 1
; COMPUTE_PGM_RSRC2:TGID_Y_EN: 0
; COMPUTE_PGM_RSRC2:TGID_Z_EN: 0
; COMPUTE_PGM_RSRC2:TIDIG_COMP_CNT: 0
	.section	.text._ZN7rocprim17ROCPRIM_400000_NS6detail17trampoline_kernelINS0_14default_configENS1_27scan_by_key_config_selectorIidEEZZNS1_16scan_by_key_implILNS1_25lookback_scan_determinismE0ELb0ES3_N6thrust23THRUST_200600_302600_NS6detail15normal_iteratorINS9_10device_ptrIiEEEENSB_INSC_IdEEEESG_dNS9_4plusIvEENS9_8equal_toIvEEdEE10hipError_tPvRmT2_T3_T4_T5_mT6_T7_P12ihipStream_tbENKUlT_T0_E_clISt17integral_constantIbLb0EES11_EEDaSW_SX_EUlSW_E_NS1_11comp_targetILNS1_3genE2ELNS1_11target_archE906ELNS1_3gpuE6ELNS1_3repE0EEENS1_30default_config_static_selectorELNS0_4arch9wavefront6targetE0EEEvT1_,"axG",@progbits,_ZN7rocprim17ROCPRIM_400000_NS6detail17trampoline_kernelINS0_14default_configENS1_27scan_by_key_config_selectorIidEEZZNS1_16scan_by_key_implILNS1_25lookback_scan_determinismE0ELb0ES3_N6thrust23THRUST_200600_302600_NS6detail15normal_iteratorINS9_10device_ptrIiEEEENSB_INSC_IdEEEESG_dNS9_4plusIvEENS9_8equal_toIvEEdEE10hipError_tPvRmT2_T3_T4_T5_mT6_T7_P12ihipStream_tbENKUlT_T0_E_clISt17integral_constantIbLb0EES11_EEDaSW_SX_EUlSW_E_NS1_11comp_targetILNS1_3genE2ELNS1_11target_archE906ELNS1_3gpuE6ELNS1_3repE0EEENS1_30default_config_static_selectorELNS0_4arch9wavefront6targetE0EEEvT1_,comdat
	.protected	_ZN7rocprim17ROCPRIM_400000_NS6detail17trampoline_kernelINS0_14default_configENS1_27scan_by_key_config_selectorIidEEZZNS1_16scan_by_key_implILNS1_25lookback_scan_determinismE0ELb0ES3_N6thrust23THRUST_200600_302600_NS6detail15normal_iteratorINS9_10device_ptrIiEEEENSB_INSC_IdEEEESG_dNS9_4plusIvEENS9_8equal_toIvEEdEE10hipError_tPvRmT2_T3_T4_T5_mT6_T7_P12ihipStream_tbENKUlT_T0_E_clISt17integral_constantIbLb0EES11_EEDaSW_SX_EUlSW_E_NS1_11comp_targetILNS1_3genE2ELNS1_11target_archE906ELNS1_3gpuE6ELNS1_3repE0EEENS1_30default_config_static_selectorELNS0_4arch9wavefront6targetE0EEEvT1_ ; -- Begin function _ZN7rocprim17ROCPRIM_400000_NS6detail17trampoline_kernelINS0_14default_configENS1_27scan_by_key_config_selectorIidEEZZNS1_16scan_by_key_implILNS1_25lookback_scan_determinismE0ELb0ES3_N6thrust23THRUST_200600_302600_NS6detail15normal_iteratorINS9_10device_ptrIiEEEENSB_INSC_IdEEEESG_dNS9_4plusIvEENS9_8equal_toIvEEdEE10hipError_tPvRmT2_T3_T4_T5_mT6_T7_P12ihipStream_tbENKUlT_T0_E_clISt17integral_constantIbLb0EES11_EEDaSW_SX_EUlSW_E_NS1_11comp_targetILNS1_3genE2ELNS1_11target_archE906ELNS1_3gpuE6ELNS1_3repE0EEENS1_30default_config_static_selectorELNS0_4arch9wavefront6targetE0EEEvT1_
	.globl	_ZN7rocprim17ROCPRIM_400000_NS6detail17trampoline_kernelINS0_14default_configENS1_27scan_by_key_config_selectorIidEEZZNS1_16scan_by_key_implILNS1_25lookback_scan_determinismE0ELb0ES3_N6thrust23THRUST_200600_302600_NS6detail15normal_iteratorINS9_10device_ptrIiEEEENSB_INSC_IdEEEESG_dNS9_4plusIvEENS9_8equal_toIvEEdEE10hipError_tPvRmT2_T3_T4_T5_mT6_T7_P12ihipStream_tbENKUlT_T0_E_clISt17integral_constantIbLb0EES11_EEDaSW_SX_EUlSW_E_NS1_11comp_targetILNS1_3genE2ELNS1_11target_archE906ELNS1_3gpuE6ELNS1_3repE0EEENS1_30default_config_static_selectorELNS0_4arch9wavefront6targetE0EEEvT1_
	.p2align	8
	.type	_ZN7rocprim17ROCPRIM_400000_NS6detail17trampoline_kernelINS0_14default_configENS1_27scan_by_key_config_selectorIidEEZZNS1_16scan_by_key_implILNS1_25lookback_scan_determinismE0ELb0ES3_N6thrust23THRUST_200600_302600_NS6detail15normal_iteratorINS9_10device_ptrIiEEEENSB_INSC_IdEEEESG_dNS9_4plusIvEENS9_8equal_toIvEEdEE10hipError_tPvRmT2_T3_T4_T5_mT6_T7_P12ihipStream_tbENKUlT_T0_E_clISt17integral_constantIbLb0EES11_EEDaSW_SX_EUlSW_E_NS1_11comp_targetILNS1_3genE2ELNS1_11target_archE906ELNS1_3gpuE6ELNS1_3repE0EEENS1_30default_config_static_selectorELNS0_4arch9wavefront6targetE0EEEvT1_,@function
_ZN7rocprim17ROCPRIM_400000_NS6detail17trampoline_kernelINS0_14default_configENS1_27scan_by_key_config_selectorIidEEZZNS1_16scan_by_key_implILNS1_25lookback_scan_determinismE0ELb0ES3_N6thrust23THRUST_200600_302600_NS6detail15normal_iteratorINS9_10device_ptrIiEEEENSB_INSC_IdEEEESG_dNS9_4plusIvEENS9_8equal_toIvEEdEE10hipError_tPvRmT2_T3_T4_T5_mT6_T7_P12ihipStream_tbENKUlT_T0_E_clISt17integral_constantIbLb0EES11_EEDaSW_SX_EUlSW_E_NS1_11comp_targetILNS1_3genE2ELNS1_11target_archE906ELNS1_3gpuE6ELNS1_3repE0EEENS1_30default_config_static_selectorELNS0_4arch9wavefront6targetE0EEEvT1_: ; @_ZN7rocprim17ROCPRIM_400000_NS6detail17trampoline_kernelINS0_14default_configENS1_27scan_by_key_config_selectorIidEEZZNS1_16scan_by_key_implILNS1_25lookback_scan_determinismE0ELb0ES3_N6thrust23THRUST_200600_302600_NS6detail15normal_iteratorINS9_10device_ptrIiEEEENSB_INSC_IdEEEESG_dNS9_4plusIvEENS9_8equal_toIvEEdEE10hipError_tPvRmT2_T3_T4_T5_mT6_T7_P12ihipStream_tbENKUlT_T0_E_clISt17integral_constantIbLb0EES11_EEDaSW_SX_EUlSW_E_NS1_11comp_targetILNS1_3genE2ELNS1_11target_archE906ELNS1_3gpuE6ELNS1_3repE0EEENS1_30default_config_static_selectorELNS0_4arch9wavefront6targetE0EEEvT1_
; %bb.0:
	.section	.rodata,"a",@progbits
	.p2align	6, 0x0
	.amdhsa_kernel _ZN7rocprim17ROCPRIM_400000_NS6detail17trampoline_kernelINS0_14default_configENS1_27scan_by_key_config_selectorIidEEZZNS1_16scan_by_key_implILNS1_25lookback_scan_determinismE0ELb0ES3_N6thrust23THRUST_200600_302600_NS6detail15normal_iteratorINS9_10device_ptrIiEEEENSB_INSC_IdEEEESG_dNS9_4plusIvEENS9_8equal_toIvEEdEE10hipError_tPvRmT2_T3_T4_T5_mT6_T7_P12ihipStream_tbENKUlT_T0_E_clISt17integral_constantIbLb0EES11_EEDaSW_SX_EUlSW_E_NS1_11comp_targetILNS1_3genE2ELNS1_11target_archE906ELNS1_3gpuE6ELNS1_3repE0EEENS1_30default_config_static_selectorELNS0_4arch9wavefront6targetE0EEEvT1_
		.amdhsa_group_segment_fixed_size 0
		.amdhsa_private_segment_fixed_size 0
		.amdhsa_kernarg_size 136
		.amdhsa_user_sgpr_count 2
		.amdhsa_user_sgpr_dispatch_ptr 0
		.amdhsa_user_sgpr_queue_ptr 0
		.amdhsa_user_sgpr_kernarg_segment_ptr 1
		.amdhsa_user_sgpr_dispatch_id 0
		.amdhsa_user_sgpr_kernarg_preload_length 0
		.amdhsa_user_sgpr_kernarg_preload_offset 0
		.amdhsa_user_sgpr_private_segment_size 0
		.amdhsa_wavefront_size32 1
		.amdhsa_uses_dynamic_stack 0
		.amdhsa_enable_private_segment 0
		.amdhsa_system_sgpr_workgroup_id_x 1
		.amdhsa_system_sgpr_workgroup_id_y 0
		.amdhsa_system_sgpr_workgroup_id_z 0
		.amdhsa_system_sgpr_workgroup_info 0
		.amdhsa_system_vgpr_workitem_id 0
		.amdhsa_next_free_vgpr 1
		.amdhsa_next_free_sgpr 1
		.amdhsa_named_barrier_count 0
		.amdhsa_reserve_vcc 0
		.amdhsa_float_round_mode_32 0
		.amdhsa_float_round_mode_16_64 0
		.amdhsa_float_denorm_mode_32 3
		.amdhsa_float_denorm_mode_16_64 3
		.amdhsa_fp16_overflow 0
		.amdhsa_memory_ordered 1
		.amdhsa_forward_progress 1
		.amdhsa_inst_pref_size 0
		.amdhsa_round_robin_scheduling 0
		.amdhsa_exception_fp_ieee_invalid_op 0
		.amdhsa_exception_fp_denorm_src 0
		.amdhsa_exception_fp_ieee_div_zero 0
		.amdhsa_exception_fp_ieee_overflow 0
		.amdhsa_exception_fp_ieee_underflow 0
		.amdhsa_exception_fp_ieee_inexact 0
		.amdhsa_exception_int_div_zero 0
	.end_amdhsa_kernel
	.section	.text._ZN7rocprim17ROCPRIM_400000_NS6detail17trampoline_kernelINS0_14default_configENS1_27scan_by_key_config_selectorIidEEZZNS1_16scan_by_key_implILNS1_25lookback_scan_determinismE0ELb0ES3_N6thrust23THRUST_200600_302600_NS6detail15normal_iteratorINS9_10device_ptrIiEEEENSB_INSC_IdEEEESG_dNS9_4plusIvEENS9_8equal_toIvEEdEE10hipError_tPvRmT2_T3_T4_T5_mT6_T7_P12ihipStream_tbENKUlT_T0_E_clISt17integral_constantIbLb0EES11_EEDaSW_SX_EUlSW_E_NS1_11comp_targetILNS1_3genE2ELNS1_11target_archE906ELNS1_3gpuE6ELNS1_3repE0EEENS1_30default_config_static_selectorELNS0_4arch9wavefront6targetE0EEEvT1_,"axG",@progbits,_ZN7rocprim17ROCPRIM_400000_NS6detail17trampoline_kernelINS0_14default_configENS1_27scan_by_key_config_selectorIidEEZZNS1_16scan_by_key_implILNS1_25lookback_scan_determinismE0ELb0ES3_N6thrust23THRUST_200600_302600_NS6detail15normal_iteratorINS9_10device_ptrIiEEEENSB_INSC_IdEEEESG_dNS9_4plusIvEENS9_8equal_toIvEEdEE10hipError_tPvRmT2_T3_T4_T5_mT6_T7_P12ihipStream_tbENKUlT_T0_E_clISt17integral_constantIbLb0EES11_EEDaSW_SX_EUlSW_E_NS1_11comp_targetILNS1_3genE2ELNS1_11target_archE906ELNS1_3gpuE6ELNS1_3repE0EEENS1_30default_config_static_selectorELNS0_4arch9wavefront6targetE0EEEvT1_,comdat
.Lfunc_end1090:
	.size	_ZN7rocprim17ROCPRIM_400000_NS6detail17trampoline_kernelINS0_14default_configENS1_27scan_by_key_config_selectorIidEEZZNS1_16scan_by_key_implILNS1_25lookback_scan_determinismE0ELb0ES3_N6thrust23THRUST_200600_302600_NS6detail15normal_iteratorINS9_10device_ptrIiEEEENSB_INSC_IdEEEESG_dNS9_4plusIvEENS9_8equal_toIvEEdEE10hipError_tPvRmT2_T3_T4_T5_mT6_T7_P12ihipStream_tbENKUlT_T0_E_clISt17integral_constantIbLb0EES11_EEDaSW_SX_EUlSW_E_NS1_11comp_targetILNS1_3genE2ELNS1_11target_archE906ELNS1_3gpuE6ELNS1_3repE0EEENS1_30default_config_static_selectorELNS0_4arch9wavefront6targetE0EEEvT1_, .Lfunc_end1090-_ZN7rocprim17ROCPRIM_400000_NS6detail17trampoline_kernelINS0_14default_configENS1_27scan_by_key_config_selectorIidEEZZNS1_16scan_by_key_implILNS1_25lookback_scan_determinismE0ELb0ES3_N6thrust23THRUST_200600_302600_NS6detail15normal_iteratorINS9_10device_ptrIiEEEENSB_INSC_IdEEEESG_dNS9_4plusIvEENS9_8equal_toIvEEdEE10hipError_tPvRmT2_T3_T4_T5_mT6_T7_P12ihipStream_tbENKUlT_T0_E_clISt17integral_constantIbLb0EES11_EEDaSW_SX_EUlSW_E_NS1_11comp_targetILNS1_3genE2ELNS1_11target_archE906ELNS1_3gpuE6ELNS1_3repE0EEENS1_30default_config_static_selectorELNS0_4arch9wavefront6targetE0EEEvT1_
                                        ; -- End function
	.set _ZN7rocprim17ROCPRIM_400000_NS6detail17trampoline_kernelINS0_14default_configENS1_27scan_by_key_config_selectorIidEEZZNS1_16scan_by_key_implILNS1_25lookback_scan_determinismE0ELb0ES3_N6thrust23THRUST_200600_302600_NS6detail15normal_iteratorINS9_10device_ptrIiEEEENSB_INSC_IdEEEESG_dNS9_4plusIvEENS9_8equal_toIvEEdEE10hipError_tPvRmT2_T3_T4_T5_mT6_T7_P12ihipStream_tbENKUlT_T0_E_clISt17integral_constantIbLb0EES11_EEDaSW_SX_EUlSW_E_NS1_11comp_targetILNS1_3genE2ELNS1_11target_archE906ELNS1_3gpuE6ELNS1_3repE0EEENS1_30default_config_static_selectorELNS0_4arch9wavefront6targetE0EEEvT1_.num_vgpr, 0
	.set _ZN7rocprim17ROCPRIM_400000_NS6detail17trampoline_kernelINS0_14default_configENS1_27scan_by_key_config_selectorIidEEZZNS1_16scan_by_key_implILNS1_25lookback_scan_determinismE0ELb0ES3_N6thrust23THRUST_200600_302600_NS6detail15normal_iteratorINS9_10device_ptrIiEEEENSB_INSC_IdEEEESG_dNS9_4plusIvEENS9_8equal_toIvEEdEE10hipError_tPvRmT2_T3_T4_T5_mT6_T7_P12ihipStream_tbENKUlT_T0_E_clISt17integral_constantIbLb0EES11_EEDaSW_SX_EUlSW_E_NS1_11comp_targetILNS1_3genE2ELNS1_11target_archE906ELNS1_3gpuE6ELNS1_3repE0EEENS1_30default_config_static_selectorELNS0_4arch9wavefront6targetE0EEEvT1_.num_agpr, 0
	.set _ZN7rocprim17ROCPRIM_400000_NS6detail17trampoline_kernelINS0_14default_configENS1_27scan_by_key_config_selectorIidEEZZNS1_16scan_by_key_implILNS1_25lookback_scan_determinismE0ELb0ES3_N6thrust23THRUST_200600_302600_NS6detail15normal_iteratorINS9_10device_ptrIiEEEENSB_INSC_IdEEEESG_dNS9_4plusIvEENS9_8equal_toIvEEdEE10hipError_tPvRmT2_T3_T4_T5_mT6_T7_P12ihipStream_tbENKUlT_T0_E_clISt17integral_constantIbLb0EES11_EEDaSW_SX_EUlSW_E_NS1_11comp_targetILNS1_3genE2ELNS1_11target_archE906ELNS1_3gpuE6ELNS1_3repE0EEENS1_30default_config_static_selectorELNS0_4arch9wavefront6targetE0EEEvT1_.numbered_sgpr, 0
	.set _ZN7rocprim17ROCPRIM_400000_NS6detail17trampoline_kernelINS0_14default_configENS1_27scan_by_key_config_selectorIidEEZZNS1_16scan_by_key_implILNS1_25lookback_scan_determinismE0ELb0ES3_N6thrust23THRUST_200600_302600_NS6detail15normal_iteratorINS9_10device_ptrIiEEEENSB_INSC_IdEEEESG_dNS9_4plusIvEENS9_8equal_toIvEEdEE10hipError_tPvRmT2_T3_T4_T5_mT6_T7_P12ihipStream_tbENKUlT_T0_E_clISt17integral_constantIbLb0EES11_EEDaSW_SX_EUlSW_E_NS1_11comp_targetILNS1_3genE2ELNS1_11target_archE906ELNS1_3gpuE6ELNS1_3repE0EEENS1_30default_config_static_selectorELNS0_4arch9wavefront6targetE0EEEvT1_.num_named_barrier, 0
	.set _ZN7rocprim17ROCPRIM_400000_NS6detail17trampoline_kernelINS0_14default_configENS1_27scan_by_key_config_selectorIidEEZZNS1_16scan_by_key_implILNS1_25lookback_scan_determinismE0ELb0ES3_N6thrust23THRUST_200600_302600_NS6detail15normal_iteratorINS9_10device_ptrIiEEEENSB_INSC_IdEEEESG_dNS9_4plusIvEENS9_8equal_toIvEEdEE10hipError_tPvRmT2_T3_T4_T5_mT6_T7_P12ihipStream_tbENKUlT_T0_E_clISt17integral_constantIbLb0EES11_EEDaSW_SX_EUlSW_E_NS1_11comp_targetILNS1_3genE2ELNS1_11target_archE906ELNS1_3gpuE6ELNS1_3repE0EEENS1_30default_config_static_selectorELNS0_4arch9wavefront6targetE0EEEvT1_.private_seg_size, 0
	.set _ZN7rocprim17ROCPRIM_400000_NS6detail17trampoline_kernelINS0_14default_configENS1_27scan_by_key_config_selectorIidEEZZNS1_16scan_by_key_implILNS1_25lookback_scan_determinismE0ELb0ES3_N6thrust23THRUST_200600_302600_NS6detail15normal_iteratorINS9_10device_ptrIiEEEENSB_INSC_IdEEEESG_dNS9_4plusIvEENS9_8equal_toIvEEdEE10hipError_tPvRmT2_T3_T4_T5_mT6_T7_P12ihipStream_tbENKUlT_T0_E_clISt17integral_constantIbLb0EES11_EEDaSW_SX_EUlSW_E_NS1_11comp_targetILNS1_3genE2ELNS1_11target_archE906ELNS1_3gpuE6ELNS1_3repE0EEENS1_30default_config_static_selectorELNS0_4arch9wavefront6targetE0EEEvT1_.uses_vcc, 0
	.set _ZN7rocprim17ROCPRIM_400000_NS6detail17trampoline_kernelINS0_14default_configENS1_27scan_by_key_config_selectorIidEEZZNS1_16scan_by_key_implILNS1_25lookback_scan_determinismE0ELb0ES3_N6thrust23THRUST_200600_302600_NS6detail15normal_iteratorINS9_10device_ptrIiEEEENSB_INSC_IdEEEESG_dNS9_4plusIvEENS9_8equal_toIvEEdEE10hipError_tPvRmT2_T3_T4_T5_mT6_T7_P12ihipStream_tbENKUlT_T0_E_clISt17integral_constantIbLb0EES11_EEDaSW_SX_EUlSW_E_NS1_11comp_targetILNS1_3genE2ELNS1_11target_archE906ELNS1_3gpuE6ELNS1_3repE0EEENS1_30default_config_static_selectorELNS0_4arch9wavefront6targetE0EEEvT1_.uses_flat_scratch, 0
	.set _ZN7rocprim17ROCPRIM_400000_NS6detail17trampoline_kernelINS0_14default_configENS1_27scan_by_key_config_selectorIidEEZZNS1_16scan_by_key_implILNS1_25lookback_scan_determinismE0ELb0ES3_N6thrust23THRUST_200600_302600_NS6detail15normal_iteratorINS9_10device_ptrIiEEEENSB_INSC_IdEEEESG_dNS9_4plusIvEENS9_8equal_toIvEEdEE10hipError_tPvRmT2_T3_T4_T5_mT6_T7_P12ihipStream_tbENKUlT_T0_E_clISt17integral_constantIbLb0EES11_EEDaSW_SX_EUlSW_E_NS1_11comp_targetILNS1_3genE2ELNS1_11target_archE906ELNS1_3gpuE6ELNS1_3repE0EEENS1_30default_config_static_selectorELNS0_4arch9wavefront6targetE0EEEvT1_.has_dyn_sized_stack, 0
	.set _ZN7rocprim17ROCPRIM_400000_NS6detail17trampoline_kernelINS0_14default_configENS1_27scan_by_key_config_selectorIidEEZZNS1_16scan_by_key_implILNS1_25lookback_scan_determinismE0ELb0ES3_N6thrust23THRUST_200600_302600_NS6detail15normal_iteratorINS9_10device_ptrIiEEEENSB_INSC_IdEEEESG_dNS9_4plusIvEENS9_8equal_toIvEEdEE10hipError_tPvRmT2_T3_T4_T5_mT6_T7_P12ihipStream_tbENKUlT_T0_E_clISt17integral_constantIbLb0EES11_EEDaSW_SX_EUlSW_E_NS1_11comp_targetILNS1_3genE2ELNS1_11target_archE906ELNS1_3gpuE6ELNS1_3repE0EEENS1_30default_config_static_selectorELNS0_4arch9wavefront6targetE0EEEvT1_.has_recursion, 0
	.set _ZN7rocprim17ROCPRIM_400000_NS6detail17trampoline_kernelINS0_14default_configENS1_27scan_by_key_config_selectorIidEEZZNS1_16scan_by_key_implILNS1_25lookback_scan_determinismE0ELb0ES3_N6thrust23THRUST_200600_302600_NS6detail15normal_iteratorINS9_10device_ptrIiEEEENSB_INSC_IdEEEESG_dNS9_4plusIvEENS9_8equal_toIvEEdEE10hipError_tPvRmT2_T3_T4_T5_mT6_T7_P12ihipStream_tbENKUlT_T0_E_clISt17integral_constantIbLb0EES11_EEDaSW_SX_EUlSW_E_NS1_11comp_targetILNS1_3genE2ELNS1_11target_archE906ELNS1_3gpuE6ELNS1_3repE0EEENS1_30default_config_static_selectorELNS0_4arch9wavefront6targetE0EEEvT1_.has_indirect_call, 0
	.section	.AMDGPU.csdata,"",@progbits
; Kernel info:
; codeLenInByte = 0
; TotalNumSgprs: 0
; NumVgprs: 0
; ScratchSize: 0
; MemoryBound: 0
; FloatMode: 240
; IeeeMode: 1
; LDSByteSize: 0 bytes/workgroup (compile time only)
; SGPRBlocks: 0
; VGPRBlocks: 0
; NumSGPRsForWavesPerEU: 1
; NumVGPRsForWavesPerEU: 1
; NamedBarCnt: 0
; Occupancy: 16
; WaveLimiterHint : 0
; COMPUTE_PGM_RSRC2:SCRATCH_EN: 0
; COMPUTE_PGM_RSRC2:USER_SGPR: 2
; COMPUTE_PGM_RSRC2:TRAP_HANDLER: 0
; COMPUTE_PGM_RSRC2:TGID_X_EN: 1
; COMPUTE_PGM_RSRC2:TGID_Y_EN: 0
; COMPUTE_PGM_RSRC2:TGID_Z_EN: 0
; COMPUTE_PGM_RSRC2:TIDIG_COMP_CNT: 0
	.section	.text._ZN7rocprim17ROCPRIM_400000_NS6detail17trampoline_kernelINS0_14default_configENS1_27scan_by_key_config_selectorIidEEZZNS1_16scan_by_key_implILNS1_25lookback_scan_determinismE0ELb0ES3_N6thrust23THRUST_200600_302600_NS6detail15normal_iteratorINS9_10device_ptrIiEEEENSB_INSC_IdEEEESG_dNS9_4plusIvEENS9_8equal_toIvEEdEE10hipError_tPvRmT2_T3_T4_T5_mT6_T7_P12ihipStream_tbENKUlT_T0_E_clISt17integral_constantIbLb0EES11_EEDaSW_SX_EUlSW_E_NS1_11comp_targetILNS1_3genE10ELNS1_11target_archE1200ELNS1_3gpuE4ELNS1_3repE0EEENS1_30default_config_static_selectorELNS0_4arch9wavefront6targetE0EEEvT1_,"axG",@progbits,_ZN7rocprim17ROCPRIM_400000_NS6detail17trampoline_kernelINS0_14default_configENS1_27scan_by_key_config_selectorIidEEZZNS1_16scan_by_key_implILNS1_25lookback_scan_determinismE0ELb0ES3_N6thrust23THRUST_200600_302600_NS6detail15normal_iteratorINS9_10device_ptrIiEEEENSB_INSC_IdEEEESG_dNS9_4plusIvEENS9_8equal_toIvEEdEE10hipError_tPvRmT2_T3_T4_T5_mT6_T7_P12ihipStream_tbENKUlT_T0_E_clISt17integral_constantIbLb0EES11_EEDaSW_SX_EUlSW_E_NS1_11comp_targetILNS1_3genE10ELNS1_11target_archE1200ELNS1_3gpuE4ELNS1_3repE0EEENS1_30default_config_static_selectorELNS0_4arch9wavefront6targetE0EEEvT1_,comdat
	.protected	_ZN7rocprim17ROCPRIM_400000_NS6detail17trampoline_kernelINS0_14default_configENS1_27scan_by_key_config_selectorIidEEZZNS1_16scan_by_key_implILNS1_25lookback_scan_determinismE0ELb0ES3_N6thrust23THRUST_200600_302600_NS6detail15normal_iteratorINS9_10device_ptrIiEEEENSB_INSC_IdEEEESG_dNS9_4plusIvEENS9_8equal_toIvEEdEE10hipError_tPvRmT2_T3_T4_T5_mT6_T7_P12ihipStream_tbENKUlT_T0_E_clISt17integral_constantIbLb0EES11_EEDaSW_SX_EUlSW_E_NS1_11comp_targetILNS1_3genE10ELNS1_11target_archE1200ELNS1_3gpuE4ELNS1_3repE0EEENS1_30default_config_static_selectorELNS0_4arch9wavefront6targetE0EEEvT1_ ; -- Begin function _ZN7rocprim17ROCPRIM_400000_NS6detail17trampoline_kernelINS0_14default_configENS1_27scan_by_key_config_selectorIidEEZZNS1_16scan_by_key_implILNS1_25lookback_scan_determinismE0ELb0ES3_N6thrust23THRUST_200600_302600_NS6detail15normal_iteratorINS9_10device_ptrIiEEEENSB_INSC_IdEEEESG_dNS9_4plusIvEENS9_8equal_toIvEEdEE10hipError_tPvRmT2_T3_T4_T5_mT6_T7_P12ihipStream_tbENKUlT_T0_E_clISt17integral_constantIbLb0EES11_EEDaSW_SX_EUlSW_E_NS1_11comp_targetILNS1_3genE10ELNS1_11target_archE1200ELNS1_3gpuE4ELNS1_3repE0EEENS1_30default_config_static_selectorELNS0_4arch9wavefront6targetE0EEEvT1_
	.globl	_ZN7rocprim17ROCPRIM_400000_NS6detail17trampoline_kernelINS0_14default_configENS1_27scan_by_key_config_selectorIidEEZZNS1_16scan_by_key_implILNS1_25lookback_scan_determinismE0ELb0ES3_N6thrust23THRUST_200600_302600_NS6detail15normal_iteratorINS9_10device_ptrIiEEEENSB_INSC_IdEEEESG_dNS9_4plusIvEENS9_8equal_toIvEEdEE10hipError_tPvRmT2_T3_T4_T5_mT6_T7_P12ihipStream_tbENKUlT_T0_E_clISt17integral_constantIbLb0EES11_EEDaSW_SX_EUlSW_E_NS1_11comp_targetILNS1_3genE10ELNS1_11target_archE1200ELNS1_3gpuE4ELNS1_3repE0EEENS1_30default_config_static_selectorELNS0_4arch9wavefront6targetE0EEEvT1_
	.p2align	8
	.type	_ZN7rocprim17ROCPRIM_400000_NS6detail17trampoline_kernelINS0_14default_configENS1_27scan_by_key_config_selectorIidEEZZNS1_16scan_by_key_implILNS1_25lookback_scan_determinismE0ELb0ES3_N6thrust23THRUST_200600_302600_NS6detail15normal_iteratorINS9_10device_ptrIiEEEENSB_INSC_IdEEEESG_dNS9_4plusIvEENS9_8equal_toIvEEdEE10hipError_tPvRmT2_T3_T4_T5_mT6_T7_P12ihipStream_tbENKUlT_T0_E_clISt17integral_constantIbLb0EES11_EEDaSW_SX_EUlSW_E_NS1_11comp_targetILNS1_3genE10ELNS1_11target_archE1200ELNS1_3gpuE4ELNS1_3repE0EEENS1_30default_config_static_selectorELNS0_4arch9wavefront6targetE0EEEvT1_,@function
_ZN7rocprim17ROCPRIM_400000_NS6detail17trampoline_kernelINS0_14default_configENS1_27scan_by_key_config_selectorIidEEZZNS1_16scan_by_key_implILNS1_25lookback_scan_determinismE0ELb0ES3_N6thrust23THRUST_200600_302600_NS6detail15normal_iteratorINS9_10device_ptrIiEEEENSB_INSC_IdEEEESG_dNS9_4plusIvEENS9_8equal_toIvEEdEE10hipError_tPvRmT2_T3_T4_T5_mT6_T7_P12ihipStream_tbENKUlT_T0_E_clISt17integral_constantIbLb0EES11_EEDaSW_SX_EUlSW_E_NS1_11comp_targetILNS1_3genE10ELNS1_11target_archE1200ELNS1_3gpuE4ELNS1_3repE0EEENS1_30default_config_static_selectorELNS0_4arch9wavefront6targetE0EEEvT1_: ; @_ZN7rocprim17ROCPRIM_400000_NS6detail17trampoline_kernelINS0_14default_configENS1_27scan_by_key_config_selectorIidEEZZNS1_16scan_by_key_implILNS1_25lookback_scan_determinismE0ELb0ES3_N6thrust23THRUST_200600_302600_NS6detail15normal_iteratorINS9_10device_ptrIiEEEENSB_INSC_IdEEEESG_dNS9_4plusIvEENS9_8equal_toIvEEdEE10hipError_tPvRmT2_T3_T4_T5_mT6_T7_P12ihipStream_tbENKUlT_T0_E_clISt17integral_constantIbLb0EES11_EEDaSW_SX_EUlSW_E_NS1_11comp_targetILNS1_3genE10ELNS1_11target_archE1200ELNS1_3gpuE4ELNS1_3repE0EEENS1_30default_config_static_selectorELNS0_4arch9wavefront6targetE0EEEvT1_
; %bb.0:
	.section	.rodata,"a",@progbits
	.p2align	6, 0x0
	.amdhsa_kernel _ZN7rocprim17ROCPRIM_400000_NS6detail17trampoline_kernelINS0_14default_configENS1_27scan_by_key_config_selectorIidEEZZNS1_16scan_by_key_implILNS1_25lookback_scan_determinismE0ELb0ES3_N6thrust23THRUST_200600_302600_NS6detail15normal_iteratorINS9_10device_ptrIiEEEENSB_INSC_IdEEEESG_dNS9_4plusIvEENS9_8equal_toIvEEdEE10hipError_tPvRmT2_T3_T4_T5_mT6_T7_P12ihipStream_tbENKUlT_T0_E_clISt17integral_constantIbLb0EES11_EEDaSW_SX_EUlSW_E_NS1_11comp_targetILNS1_3genE10ELNS1_11target_archE1200ELNS1_3gpuE4ELNS1_3repE0EEENS1_30default_config_static_selectorELNS0_4arch9wavefront6targetE0EEEvT1_
		.amdhsa_group_segment_fixed_size 0
		.amdhsa_private_segment_fixed_size 0
		.amdhsa_kernarg_size 136
		.amdhsa_user_sgpr_count 2
		.amdhsa_user_sgpr_dispatch_ptr 0
		.amdhsa_user_sgpr_queue_ptr 0
		.amdhsa_user_sgpr_kernarg_segment_ptr 1
		.amdhsa_user_sgpr_dispatch_id 0
		.amdhsa_user_sgpr_kernarg_preload_length 0
		.amdhsa_user_sgpr_kernarg_preload_offset 0
		.amdhsa_user_sgpr_private_segment_size 0
		.amdhsa_wavefront_size32 1
		.amdhsa_uses_dynamic_stack 0
		.amdhsa_enable_private_segment 0
		.amdhsa_system_sgpr_workgroup_id_x 1
		.amdhsa_system_sgpr_workgroup_id_y 0
		.amdhsa_system_sgpr_workgroup_id_z 0
		.amdhsa_system_sgpr_workgroup_info 0
		.amdhsa_system_vgpr_workitem_id 0
		.amdhsa_next_free_vgpr 1
		.amdhsa_next_free_sgpr 1
		.amdhsa_named_barrier_count 0
		.amdhsa_reserve_vcc 0
		.amdhsa_float_round_mode_32 0
		.amdhsa_float_round_mode_16_64 0
		.amdhsa_float_denorm_mode_32 3
		.amdhsa_float_denorm_mode_16_64 3
		.amdhsa_fp16_overflow 0
		.amdhsa_memory_ordered 1
		.amdhsa_forward_progress 1
		.amdhsa_inst_pref_size 0
		.amdhsa_round_robin_scheduling 0
		.amdhsa_exception_fp_ieee_invalid_op 0
		.amdhsa_exception_fp_denorm_src 0
		.amdhsa_exception_fp_ieee_div_zero 0
		.amdhsa_exception_fp_ieee_overflow 0
		.amdhsa_exception_fp_ieee_underflow 0
		.amdhsa_exception_fp_ieee_inexact 0
		.amdhsa_exception_int_div_zero 0
	.end_amdhsa_kernel
	.section	.text._ZN7rocprim17ROCPRIM_400000_NS6detail17trampoline_kernelINS0_14default_configENS1_27scan_by_key_config_selectorIidEEZZNS1_16scan_by_key_implILNS1_25lookback_scan_determinismE0ELb0ES3_N6thrust23THRUST_200600_302600_NS6detail15normal_iteratorINS9_10device_ptrIiEEEENSB_INSC_IdEEEESG_dNS9_4plusIvEENS9_8equal_toIvEEdEE10hipError_tPvRmT2_T3_T4_T5_mT6_T7_P12ihipStream_tbENKUlT_T0_E_clISt17integral_constantIbLb0EES11_EEDaSW_SX_EUlSW_E_NS1_11comp_targetILNS1_3genE10ELNS1_11target_archE1200ELNS1_3gpuE4ELNS1_3repE0EEENS1_30default_config_static_selectorELNS0_4arch9wavefront6targetE0EEEvT1_,"axG",@progbits,_ZN7rocprim17ROCPRIM_400000_NS6detail17trampoline_kernelINS0_14default_configENS1_27scan_by_key_config_selectorIidEEZZNS1_16scan_by_key_implILNS1_25lookback_scan_determinismE0ELb0ES3_N6thrust23THRUST_200600_302600_NS6detail15normal_iteratorINS9_10device_ptrIiEEEENSB_INSC_IdEEEESG_dNS9_4plusIvEENS9_8equal_toIvEEdEE10hipError_tPvRmT2_T3_T4_T5_mT6_T7_P12ihipStream_tbENKUlT_T0_E_clISt17integral_constantIbLb0EES11_EEDaSW_SX_EUlSW_E_NS1_11comp_targetILNS1_3genE10ELNS1_11target_archE1200ELNS1_3gpuE4ELNS1_3repE0EEENS1_30default_config_static_selectorELNS0_4arch9wavefront6targetE0EEEvT1_,comdat
.Lfunc_end1091:
	.size	_ZN7rocprim17ROCPRIM_400000_NS6detail17trampoline_kernelINS0_14default_configENS1_27scan_by_key_config_selectorIidEEZZNS1_16scan_by_key_implILNS1_25lookback_scan_determinismE0ELb0ES3_N6thrust23THRUST_200600_302600_NS6detail15normal_iteratorINS9_10device_ptrIiEEEENSB_INSC_IdEEEESG_dNS9_4plusIvEENS9_8equal_toIvEEdEE10hipError_tPvRmT2_T3_T4_T5_mT6_T7_P12ihipStream_tbENKUlT_T0_E_clISt17integral_constantIbLb0EES11_EEDaSW_SX_EUlSW_E_NS1_11comp_targetILNS1_3genE10ELNS1_11target_archE1200ELNS1_3gpuE4ELNS1_3repE0EEENS1_30default_config_static_selectorELNS0_4arch9wavefront6targetE0EEEvT1_, .Lfunc_end1091-_ZN7rocprim17ROCPRIM_400000_NS6detail17trampoline_kernelINS0_14default_configENS1_27scan_by_key_config_selectorIidEEZZNS1_16scan_by_key_implILNS1_25lookback_scan_determinismE0ELb0ES3_N6thrust23THRUST_200600_302600_NS6detail15normal_iteratorINS9_10device_ptrIiEEEENSB_INSC_IdEEEESG_dNS9_4plusIvEENS9_8equal_toIvEEdEE10hipError_tPvRmT2_T3_T4_T5_mT6_T7_P12ihipStream_tbENKUlT_T0_E_clISt17integral_constantIbLb0EES11_EEDaSW_SX_EUlSW_E_NS1_11comp_targetILNS1_3genE10ELNS1_11target_archE1200ELNS1_3gpuE4ELNS1_3repE0EEENS1_30default_config_static_selectorELNS0_4arch9wavefront6targetE0EEEvT1_
                                        ; -- End function
	.set _ZN7rocprim17ROCPRIM_400000_NS6detail17trampoline_kernelINS0_14default_configENS1_27scan_by_key_config_selectorIidEEZZNS1_16scan_by_key_implILNS1_25lookback_scan_determinismE0ELb0ES3_N6thrust23THRUST_200600_302600_NS6detail15normal_iteratorINS9_10device_ptrIiEEEENSB_INSC_IdEEEESG_dNS9_4plusIvEENS9_8equal_toIvEEdEE10hipError_tPvRmT2_T3_T4_T5_mT6_T7_P12ihipStream_tbENKUlT_T0_E_clISt17integral_constantIbLb0EES11_EEDaSW_SX_EUlSW_E_NS1_11comp_targetILNS1_3genE10ELNS1_11target_archE1200ELNS1_3gpuE4ELNS1_3repE0EEENS1_30default_config_static_selectorELNS0_4arch9wavefront6targetE0EEEvT1_.num_vgpr, 0
	.set _ZN7rocprim17ROCPRIM_400000_NS6detail17trampoline_kernelINS0_14default_configENS1_27scan_by_key_config_selectorIidEEZZNS1_16scan_by_key_implILNS1_25lookback_scan_determinismE0ELb0ES3_N6thrust23THRUST_200600_302600_NS6detail15normal_iteratorINS9_10device_ptrIiEEEENSB_INSC_IdEEEESG_dNS9_4plusIvEENS9_8equal_toIvEEdEE10hipError_tPvRmT2_T3_T4_T5_mT6_T7_P12ihipStream_tbENKUlT_T0_E_clISt17integral_constantIbLb0EES11_EEDaSW_SX_EUlSW_E_NS1_11comp_targetILNS1_3genE10ELNS1_11target_archE1200ELNS1_3gpuE4ELNS1_3repE0EEENS1_30default_config_static_selectorELNS0_4arch9wavefront6targetE0EEEvT1_.num_agpr, 0
	.set _ZN7rocprim17ROCPRIM_400000_NS6detail17trampoline_kernelINS0_14default_configENS1_27scan_by_key_config_selectorIidEEZZNS1_16scan_by_key_implILNS1_25lookback_scan_determinismE0ELb0ES3_N6thrust23THRUST_200600_302600_NS6detail15normal_iteratorINS9_10device_ptrIiEEEENSB_INSC_IdEEEESG_dNS9_4plusIvEENS9_8equal_toIvEEdEE10hipError_tPvRmT2_T3_T4_T5_mT6_T7_P12ihipStream_tbENKUlT_T0_E_clISt17integral_constantIbLb0EES11_EEDaSW_SX_EUlSW_E_NS1_11comp_targetILNS1_3genE10ELNS1_11target_archE1200ELNS1_3gpuE4ELNS1_3repE0EEENS1_30default_config_static_selectorELNS0_4arch9wavefront6targetE0EEEvT1_.numbered_sgpr, 0
	.set _ZN7rocprim17ROCPRIM_400000_NS6detail17trampoline_kernelINS0_14default_configENS1_27scan_by_key_config_selectorIidEEZZNS1_16scan_by_key_implILNS1_25lookback_scan_determinismE0ELb0ES3_N6thrust23THRUST_200600_302600_NS6detail15normal_iteratorINS9_10device_ptrIiEEEENSB_INSC_IdEEEESG_dNS9_4plusIvEENS9_8equal_toIvEEdEE10hipError_tPvRmT2_T3_T4_T5_mT6_T7_P12ihipStream_tbENKUlT_T0_E_clISt17integral_constantIbLb0EES11_EEDaSW_SX_EUlSW_E_NS1_11comp_targetILNS1_3genE10ELNS1_11target_archE1200ELNS1_3gpuE4ELNS1_3repE0EEENS1_30default_config_static_selectorELNS0_4arch9wavefront6targetE0EEEvT1_.num_named_barrier, 0
	.set _ZN7rocprim17ROCPRIM_400000_NS6detail17trampoline_kernelINS0_14default_configENS1_27scan_by_key_config_selectorIidEEZZNS1_16scan_by_key_implILNS1_25lookback_scan_determinismE0ELb0ES3_N6thrust23THRUST_200600_302600_NS6detail15normal_iteratorINS9_10device_ptrIiEEEENSB_INSC_IdEEEESG_dNS9_4plusIvEENS9_8equal_toIvEEdEE10hipError_tPvRmT2_T3_T4_T5_mT6_T7_P12ihipStream_tbENKUlT_T0_E_clISt17integral_constantIbLb0EES11_EEDaSW_SX_EUlSW_E_NS1_11comp_targetILNS1_3genE10ELNS1_11target_archE1200ELNS1_3gpuE4ELNS1_3repE0EEENS1_30default_config_static_selectorELNS0_4arch9wavefront6targetE0EEEvT1_.private_seg_size, 0
	.set _ZN7rocprim17ROCPRIM_400000_NS6detail17trampoline_kernelINS0_14default_configENS1_27scan_by_key_config_selectorIidEEZZNS1_16scan_by_key_implILNS1_25lookback_scan_determinismE0ELb0ES3_N6thrust23THRUST_200600_302600_NS6detail15normal_iteratorINS9_10device_ptrIiEEEENSB_INSC_IdEEEESG_dNS9_4plusIvEENS9_8equal_toIvEEdEE10hipError_tPvRmT2_T3_T4_T5_mT6_T7_P12ihipStream_tbENKUlT_T0_E_clISt17integral_constantIbLb0EES11_EEDaSW_SX_EUlSW_E_NS1_11comp_targetILNS1_3genE10ELNS1_11target_archE1200ELNS1_3gpuE4ELNS1_3repE0EEENS1_30default_config_static_selectorELNS0_4arch9wavefront6targetE0EEEvT1_.uses_vcc, 0
	.set _ZN7rocprim17ROCPRIM_400000_NS6detail17trampoline_kernelINS0_14default_configENS1_27scan_by_key_config_selectorIidEEZZNS1_16scan_by_key_implILNS1_25lookback_scan_determinismE0ELb0ES3_N6thrust23THRUST_200600_302600_NS6detail15normal_iteratorINS9_10device_ptrIiEEEENSB_INSC_IdEEEESG_dNS9_4plusIvEENS9_8equal_toIvEEdEE10hipError_tPvRmT2_T3_T4_T5_mT6_T7_P12ihipStream_tbENKUlT_T0_E_clISt17integral_constantIbLb0EES11_EEDaSW_SX_EUlSW_E_NS1_11comp_targetILNS1_3genE10ELNS1_11target_archE1200ELNS1_3gpuE4ELNS1_3repE0EEENS1_30default_config_static_selectorELNS0_4arch9wavefront6targetE0EEEvT1_.uses_flat_scratch, 0
	.set _ZN7rocprim17ROCPRIM_400000_NS6detail17trampoline_kernelINS0_14default_configENS1_27scan_by_key_config_selectorIidEEZZNS1_16scan_by_key_implILNS1_25lookback_scan_determinismE0ELb0ES3_N6thrust23THRUST_200600_302600_NS6detail15normal_iteratorINS9_10device_ptrIiEEEENSB_INSC_IdEEEESG_dNS9_4plusIvEENS9_8equal_toIvEEdEE10hipError_tPvRmT2_T3_T4_T5_mT6_T7_P12ihipStream_tbENKUlT_T0_E_clISt17integral_constantIbLb0EES11_EEDaSW_SX_EUlSW_E_NS1_11comp_targetILNS1_3genE10ELNS1_11target_archE1200ELNS1_3gpuE4ELNS1_3repE0EEENS1_30default_config_static_selectorELNS0_4arch9wavefront6targetE0EEEvT1_.has_dyn_sized_stack, 0
	.set _ZN7rocprim17ROCPRIM_400000_NS6detail17trampoline_kernelINS0_14default_configENS1_27scan_by_key_config_selectorIidEEZZNS1_16scan_by_key_implILNS1_25lookback_scan_determinismE0ELb0ES3_N6thrust23THRUST_200600_302600_NS6detail15normal_iteratorINS9_10device_ptrIiEEEENSB_INSC_IdEEEESG_dNS9_4plusIvEENS9_8equal_toIvEEdEE10hipError_tPvRmT2_T3_T4_T5_mT6_T7_P12ihipStream_tbENKUlT_T0_E_clISt17integral_constantIbLb0EES11_EEDaSW_SX_EUlSW_E_NS1_11comp_targetILNS1_3genE10ELNS1_11target_archE1200ELNS1_3gpuE4ELNS1_3repE0EEENS1_30default_config_static_selectorELNS0_4arch9wavefront6targetE0EEEvT1_.has_recursion, 0
	.set _ZN7rocprim17ROCPRIM_400000_NS6detail17trampoline_kernelINS0_14default_configENS1_27scan_by_key_config_selectorIidEEZZNS1_16scan_by_key_implILNS1_25lookback_scan_determinismE0ELb0ES3_N6thrust23THRUST_200600_302600_NS6detail15normal_iteratorINS9_10device_ptrIiEEEENSB_INSC_IdEEEESG_dNS9_4plusIvEENS9_8equal_toIvEEdEE10hipError_tPvRmT2_T3_T4_T5_mT6_T7_P12ihipStream_tbENKUlT_T0_E_clISt17integral_constantIbLb0EES11_EEDaSW_SX_EUlSW_E_NS1_11comp_targetILNS1_3genE10ELNS1_11target_archE1200ELNS1_3gpuE4ELNS1_3repE0EEENS1_30default_config_static_selectorELNS0_4arch9wavefront6targetE0EEEvT1_.has_indirect_call, 0
	.section	.AMDGPU.csdata,"",@progbits
; Kernel info:
; codeLenInByte = 0
; TotalNumSgprs: 0
; NumVgprs: 0
; ScratchSize: 0
; MemoryBound: 0
; FloatMode: 240
; IeeeMode: 1
; LDSByteSize: 0 bytes/workgroup (compile time only)
; SGPRBlocks: 0
; VGPRBlocks: 0
; NumSGPRsForWavesPerEU: 1
; NumVGPRsForWavesPerEU: 1
; NamedBarCnt: 0
; Occupancy: 16
; WaveLimiterHint : 0
; COMPUTE_PGM_RSRC2:SCRATCH_EN: 0
; COMPUTE_PGM_RSRC2:USER_SGPR: 2
; COMPUTE_PGM_RSRC2:TRAP_HANDLER: 0
; COMPUTE_PGM_RSRC2:TGID_X_EN: 1
; COMPUTE_PGM_RSRC2:TGID_Y_EN: 0
; COMPUTE_PGM_RSRC2:TGID_Z_EN: 0
; COMPUTE_PGM_RSRC2:TIDIG_COMP_CNT: 0
	.section	.text._ZN7rocprim17ROCPRIM_400000_NS6detail17trampoline_kernelINS0_14default_configENS1_27scan_by_key_config_selectorIidEEZZNS1_16scan_by_key_implILNS1_25lookback_scan_determinismE0ELb0ES3_N6thrust23THRUST_200600_302600_NS6detail15normal_iteratorINS9_10device_ptrIiEEEENSB_INSC_IdEEEESG_dNS9_4plusIvEENS9_8equal_toIvEEdEE10hipError_tPvRmT2_T3_T4_T5_mT6_T7_P12ihipStream_tbENKUlT_T0_E_clISt17integral_constantIbLb0EES11_EEDaSW_SX_EUlSW_E_NS1_11comp_targetILNS1_3genE9ELNS1_11target_archE1100ELNS1_3gpuE3ELNS1_3repE0EEENS1_30default_config_static_selectorELNS0_4arch9wavefront6targetE0EEEvT1_,"axG",@progbits,_ZN7rocprim17ROCPRIM_400000_NS6detail17trampoline_kernelINS0_14default_configENS1_27scan_by_key_config_selectorIidEEZZNS1_16scan_by_key_implILNS1_25lookback_scan_determinismE0ELb0ES3_N6thrust23THRUST_200600_302600_NS6detail15normal_iteratorINS9_10device_ptrIiEEEENSB_INSC_IdEEEESG_dNS9_4plusIvEENS9_8equal_toIvEEdEE10hipError_tPvRmT2_T3_T4_T5_mT6_T7_P12ihipStream_tbENKUlT_T0_E_clISt17integral_constantIbLb0EES11_EEDaSW_SX_EUlSW_E_NS1_11comp_targetILNS1_3genE9ELNS1_11target_archE1100ELNS1_3gpuE3ELNS1_3repE0EEENS1_30default_config_static_selectorELNS0_4arch9wavefront6targetE0EEEvT1_,comdat
	.protected	_ZN7rocprim17ROCPRIM_400000_NS6detail17trampoline_kernelINS0_14default_configENS1_27scan_by_key_config_selectorIidEEZZNS1_16scan_by_key_implILNS1_25lookback_scan_determinismE0ELb0ES3_N6thrust23THRUST_200600_302600_NS6detail15normal_iteratorINS9_10device_ptrIiEEEENSB_INSC_IdEEEESG_dNS9_4plusIvEENS9_8equal_toIvEEdEE10hipError_tPvRmT2_T3_T4_T5_mT6_T7_P12ihipStream_tbENKUlT_T0_E_clISt17integral_constantIbLb0EES11_EEDaSW_SX_EUlSW_E_NS1_11comp_targetILNS1_3genE9ELNS1_11target_archE1100ELNS1_3gpuE3ELNS1_3repE0EEENS1_30default_config_static_selectorELNS0_4arch9wavefront6targetE0EEEvT1_ ; -- Begin function _ZN7rocprim17ROCPRIM_400000_NS6detail17trampoline_kernelINS0_14default_configENS1_27scan_by_key_config_selectorIidEEZZNS1_16scan_by_key_implILNS1_25lookback_scan_determinismE0ELb0ES3_N6thrust23THRUST_200600_302600_NS6detail15normal_iteratorINS9_10device_ptrIiEEEENSB_INSC_IdEEEESG_dNS9_4plusIvEENS9_8equal_toIvEEdEE10hipError_tPvRmT2_T3_T4_T5_mT6_T7_P12ihipStream_tbENKUlT_T0_E_clISt17integral_constantIbLb0EES11_EEDaSW_SX_EUlSW_E_NS1_11comp_targetILNS1_3genE9ELNS1_11target_archE1100ELNS1_3gpuE3ELNS1_3repE0EEENS1_30default_config_static_selectorELNS0_4arch9wavefront6targetE0EEEvT1_
	.globl	_ZN7rocprim17ROCPRIM_400000_NS6detail17trampoline_kernelINS0_14default_configENS1_27scan_by_key_config_selectorIidEEZZNS1_16scan_by_key_implILNS1_25lookback_scan_determinismE0ELb0ES3_N6thrust23THRUST_200600_302600_NS6detail15normal_iteratorINS9_10device_ptrIiEEEENSB_INSC_IdEEEESG_dNS9_4plusIvEENS9_8equal_toIvEEdEE10hipError_tPvRmT2_T3_T4_T5_mT6_T7_P12ihipStream_tbENKUlT_T0_E_clISt17integral_constantIbLb0EES11_EEDaSW_SX_EUlSW_E_NS1_11comp_targetILNS1_3genE9ELNS1_11target_archE1100ELNS1_3gpuE3ELNS1_3repE0EEENS1_30default_config_static_selectorELNS0_4arch9wavefront6targetE0EEEvT1_
	.p2align	8
	.type	_ZN7rocprim17ROCPRIM_400000_NS6detail17trampoline_kernelINS0_14default_configENS1_27scan_by_key_config_selectorIidEEZZNS1_16scan_by_key_implILNS1_25lookback_scan_determinismE0ELb0ES3_N6thrust23THRUST_200600_302600_NS6detail15normal_iteratorINS9_10device_ptrIiEEEENSB_INSC_IdEEEESG_dNS9_4plusIvEENS9_8equal_toIvEEdEE10hipError_tPvRmT2_T3_T4_T5_mT6_T7_P12ihipStream_tbENKUlT_T0_E_clISt17integral_constantIbLb0EES11_EEDaSW_SX_EUlSW_E_NS1_11comp_targetILNS1_3genE9ELNS1_11target_archE1100ELNS1_3gpuE3ELNS1_3repE0EEENS1_30default_config_static_selectorELNS0_4arch9wavefront6targetE0EEEvT1_,@function
_ZN7rocprim17ROCPRIM_400000_NS6detail17trampoline_kernelINS0_14default_configENS1_27scan_by_key_config_selectorIidEEZZNS1_16scan_by_key_implILNS1_25lookback_scan_determinismE0ELb0ES3_N6thrust23THRUST_200600_302600_NS6detail15normal_iteratorINS9_10device_ptrIiEEEENSB_INSC_IdEEEESG_dNS9_4plusIvEENS9_8equal_toIvEEdEE10hipError_tPvRmT2_T3_T4_T5_mT6_T7_P12ihipStream_tbENKUlT_T0_E_clISt17integral_constantIbLb0EES11_EEDaSW_SX_EUlSW_E_NS1_11comp_targetILNS1_3genE9ELNS1_11target_archE1100ELNS1_3gpuE3ELNS1_3repE0EEENS1_30default_config_static_selectorELNS0_4arch9wavefront6targetE0EEEvT1_: ; @_ZN7rocprim17ROCPRIM_400000_NS6detail17trampoline_kernelINS0_14default_configENS1_27scan_by_key_config_selectorIidEEZZNS1_16scan_by_key_implILNS1_25lookback_scan_determinismE0ELb0ES3_N6thrust23THRUST_200600_302600_NS6detail15normal_iteratorINS9_10device_ptrIiEEEENSB_INSC_IdEEEESG_dNS9_4plusIvEENS9_8equal_toIvEEdEE10hipError_tPvRmT2_T3_T4_T5_mT6_T7_P12ihipStream_tbENKUlT_T0_E_clISt17integral_constantIbLb0EES11_EEDaSW_SX_EUlSW_E_NS1_11comp_targetILNS1_3genE9ELNS1_11target_archE1100ELNS1_3gpuE3ELNS1_3repE0EEENS1_30default_config_static_selectorELNS0_4arch9wavefront6targetE0EEEvT1_
; %bb.0:
	.section	.rodata,"a",@progbits
	.p2align	6, 0x0
	.amdhsa_kernel _ZN7rocprim17ROCPRIM_400000_NS6detail17trampoline_kernelINS0_14default_configENS1_27scan_by_key_config_selectorIidEEZZNS1_16scan_by_key_implILNS1_25lookback_scan_determinismE0ELb0ES3_N6thrust23THRUST_200600_302600_NS6detail15normal_iteratorINS9_10device_ptrIiEEEENSB_INSC_IdEEEESG_dNS9_4plusIvEENS9_8equal_toIvEEdEE10hipError_tPvRmT2_T3_T4_T5_mT6_T7_P12ihipStream_tbENKUlT_T0_E_clISt17integral_constantIbLb0EES11_EEDaSW_SX_EUlSW_E_NS1_11comp_targetILNS1_3genE9ELNS1_11target_archE1100ELNS1_3gpuE3ELNS1_3repE0EEENS1_30default_config_static_selectorELNS0_4arch9wavefront6targetE0EEEvT1_
		.amdhsa_group_segment_fixed_size 0
		.amdhsa_private_segment_fixed_size 0
		.amdhsa_kernarg_size 136
		.amdhsa_user_sgpr_count 2
		.amdhsa_user_sgpr_dispatch_ptr 0
		.amdhsa_user_sgpr_queue_ptr 0
		.amdhsa_user_sgpr_kernarg_segment_ptr 1
		.amdhsa_user_sgpr_dispatch_id 0
		.amdhsa_user_sgpr_kernarg_preload_length 0
		.amdhsa_user_sgpr_kernarg_preload_offset 0
		.amdhsa_user_sgpr_private_segment_size 0
		.amdhsa_wavefront_size32 1
		.amdhsa_uses_dynamic_stack 0
		.amdhsa_enable_private_segment 0
		.amdhsa_system_sgpr_workgroup_id_x 1
		.amdhsa_system_sgpr_workgroup_id_y 0
		.amdhsa_system_sgpr_workgroup_id_z 0
		.amdhsa_system_sgpr_workgroup_info 0
		.amdhsa_system_vgpr_workitem_id 0
		.amdhsa_next_free_vgpr 1
		.amdhsa_next_free_sgpr 1
		.amdhsa_named_barrier_count 0
		.amdhsa_reserve_vcc 0
		.amdhsa_float_round_mode_32 0
		.amdhsa_float_round_mode_16_64 0
		.amdhsa_float_denorm_mode_32 3
		.amdhsa_float_denorm_mode_16_64 3
		.amdhsa_fp16_overflow 0
		.amdhsa_memory_ordered 1
		.amdhsa_forward_progress 1
		.amdhsa_inst_pref_size 0
		.amdhsa_round_robin_scheduling 0
		.amdhsa_exception_fp_ieee_invalid_op 0
		.amdhsa_exception_fp_denorm_src 0
		.amdhsa_exception_fp_ieee_div_zero 0
		.amdhsa_exception_fp_ieee_overflow 0
		.amdhsa_exception_fp_ieee_underflow 0
		.amdhsa_exception_fp_ieee_inexact 0
		.amdhsa_exception_int_div_zero 0
	.end_amdhsa_kernel
	.section	.text._ZN7rocprim17ROCPRIM_400000_NS6detail17trampoline_kernelINS0_14default_configENS1_27scan_by_key_config_selectorIidEEZZNS1_16scan_by_key_implILNS1_25lookback_scan_determinismE0ELb0ES3_N6thrust23THRUST_200600_302600_NS6detail15normal_iteratorINS9_10device_ptrIiEEEENSB_INSC_IdEEEESG_dNS9_4plusIvEENS9_8equal_toIvEEdEE10hipError_tPvRmT2_T3_T4_T5_mT6_T7_P12ihipStream_tbENKUlT_T0_E_clISt17integral_constantIbLb0EES11_EEDaSW_SX_EUlSW_E_NS1_11comp_targetILNS1_3genE9ELNS1_11target_archE1100ELNS1_3gpuE3ELNS1_3repE0EEENS1_30default_config_static_selectorELNS0_4arch9wavefront6targetE0EEEvT1_,"axG",@progbits,_ZN7rocprim17ROCPRIM_400000_NS6detail17trampoline_kernelINS0_14default_configENS1_27scan_by_key_config_selectorIidEEZZNS1_16scan_by_key_implILNS1_25lookback_scan_determinismE0ELb0ES3_N6thrust23THRUST_200600_302600_NS6detail15normal_iteratorINS9_10device_ptrIiEEEENSB_INSC_IdEEEESG_dNS9_4plusIvEENS9_8equal_toIvEEdEE10hipError_tPvRmT2_T3_T4_T5_mT6_T7_P12ihipStream_tbENKUlT_T0_E_clISt17integral_constantIbLb0EES11_EEDaSW_SX_EUlSW_E_NS1_11comp_targetILNS1_3genE9ELNS1_11target_archE1100ELNS1_3gpuE3ELNS1_3repE0EEENS1_30default_config_static_selectorELNS0_4arch9wavefront6targetE0EEEvT1_,comdat
.Lfunc_end1092:
	.size	_ZN7rocprim17ROCPRIM_400000_NS6detail17trampoline_kernelINS0_14default_configENS1_27scan_by_key_config_selectorIidEEZZNS1_16scan_by_key_implILNS1_25lookback_scan_determinismE0ELb0ES3_N6thrust23THRUST_200600_302600_NS6detail15normal_iteratorINS9_10device_ptrIiEEEENSB_INSC_IdEEEESG_dNS9_4plusIvEENS9_8equal_toIvEEdEE10hipError_tPvRmT2_T3_T4_T5_mT6_T7_P12ihipStream_tbENKUlT_T0_E_clISt17integral_constantIbLb0EES11_EEDaSW_SX_EUlSW_E_NS1_11comp_targetILNS1_3genE9ELNS1_11target_archE1100ELNS1_3gpuE3ELNS1_3repE0EEENS1_30default_config_static_selectorELNS0_4arch9wavefront6targetE0EEEvT1_, .Lfunc_end1092-_ZN7rocprim17ROCPRIM_400000_NS6detail17trampoline_kernelINS0_14default_configENS1_27scan_by_key_config_selectorIidEEZZNS1_16scan_by_key_implILNS1_25lookback_scan_determinismE0ELb0ES3_N6thrust23THRUST_200600_302600_NS6detail15normal_iteratorINS9_10device_ptrIiEEEENSB_INSC_IdEEEESG_dNS9_4plusIvEENS9_8equal_toIvEEdEE10hipError_tPvRmT2_T3_T4_T5_mT6_T7_P12ihipStream_tbENKUlT_T0_E_clISt17integral_constantIbLb0EES11_EEDaSW_SX_EUlSW_E_NS1_11comp_targetILNS1_3genE9ELNS1_11target_archE1100ELNS1_3gpuE3ELNS1_3repE0EEENS1_30default_config_static_selectorELNS0_4arch9wavefront6targetE0EEEvT1_
                                        ; -- End function
	.set _ZN7rocprim17ROCPRIM_400000_NS6detail17trampoline_kernelINS0_14default_configENS1_27scan_by_key_config_selectorIidEEZZNS1_16scan_by_key_implILNS1_25lookback_scan_determinismE0ELb0ES3_N6thrust23THRUST_200600_302600_NS6detail15normal_iteratorINS9_10device_ptrIiEEEENSB_INSC_IdEEEESG_dNS9_4plusIvEENS9_8equal_toIvEEdEE10hipError_tPvRmT2_T3_T4_T5_mT6_T7_P12ihipStream_tbENKUlT_T0_E_clISt17integral_constantIbLb0EES11_EEDaSW_SX_EUlSW_E_NS1_11comp_targetILNS1_3genE9ELNS1_11target_archE1100ELNS1_3gpuE3ELNS1_3repE0EEENS1_30default_config_static_selectorELNS0_4arch9wavefront6targetE0EEEvT1_.num_vgpr, 0
	.set _ZN7rocprim17ROCPRIM_400000_NS6detail17trampoline_kernelINS0_14default_configENS1_27scan_by_key_config_selectorIidEEZZNS1_16scan_by_key_implILNS1_25lookback_scan_determinismE0ELb0ES3_N6thrust23THRUST_200600_302600_NS6detail15normal_iteratorINS9_10device_ptrIiEEEENSB_INSC_IdEEEESG_dNS9_4plusIvEENS9_8equal_toIvEEdEE10hipError_tPvRmT2_T3_T4_T5_mT6_T7_P12ihipStream_tbENKUlT_T0_E_clISt17integral_constantIbLb0EES11_EEDaSW_SX_EUlSW_E_NS1_11comp_targetILNS1_3genE9ELNS1_11target_archE1100ELNS1_3gpuE3ELNS1_3repE0EEENS1_30default_config_static_selectorELNS0_4arch9wavefront6targetE0EEEvT1_.num_agpr, 0
	.set _ZN7rocprim17ROCPRIM_400000_NS6detail17trampoline_kernelINS0_14default_configENS1_27scan_by_key_config_selectorIidEEZZNS1_16scan_by_key_implILNS1_25lookback_scan_determinismE0ELb0ES3_N6thrust23THRUST_200600_302600_NS6detail15normal_iteratorINS9_10device_ptrIiEEEENSB_INSC_IdEEEESG_dNS9_4plusIvEENS9_8equal_toIvEEdEE10hipError_tPvRmT2_T3_T4_T5_mT6_T7_P12ihipStream_tbENKUlT_T0_E_clISt17integral_constantIbLb0EES11_EEDaSW_SX_EUlSW_E_NS1_11comp_targetILNS1_3genE9ELNS1_11target_archE1100ELNS1_3gpuE3ELNS1_3repE0EEENS1_30default_config_static_selectorELNS0_4arch9wavefront6targetE0EEEvT1_.numbered_sgpr, 0
	.set _ZN7rocprim17ROCPRIM_400000_NS6detail17trampoline_kernelINS0_14default_configENS1_27scan_by_key_config_selectorIidEEZZNS1_16scan_by_key_implILNS1_25lookback_scan_determinismE0ELb0ES3_N6thrust23THRUST_200600_302600_NS6detail15normal_iteratorINS9_10device_ptrIiEEEENSB_INSC_IdEEEESG_dNS9_4plusIvEENS9_8equal_toIvEEdEE10hipError_tPvRmT2_T3_T4_T5_mT6_T7_P12ihipStream_tbENKUlT_T0_E_clISt17integral_constantIbLb0EES11_EEDaSW_SX_EUlSW_E_NS1_11comp_targetILNS1_3genE9ELNS1_11target_archE1100ELNS1_3gpuE3ELNS1_3repE0EEENS1_30default_config_static_selectorELNS0_4arch9wavefront6targetE0EEEvT1_.num_named_barrier, 0
	.set _ZN7rocprim17ROCPRIM_400000_NS6detail17trampoline_kernelINS0_14default_configENS1_27scan_by_key_config_selectorIidEEZZNS1_16scan_by_key_implILNS1_25lookback_scan_determinismE0ELb0ES3_N6thrust23THRUST_200600_302600_NS6detail15normal_iteratorINS9_10device_ptrIiEEEENSB_INSC_IdEEEESG_dNS9_4plusIvEENS9_8equal_toIvEEdEE10hipError_tPvRmT2_T3_T4_T5_mT6_T7_P12ihipStream_tbENKUlT_T0_E_clISt17integral_constantIbLb0EES11_EEDaSW_SX_EUlSW_E_NS1_11comp_targetILNS1_3genE9ELNS1_11target_archE1100ELNS1_3gpuE3ELNS1_3repE0EEENS1_30default_config_static_selectorELNS0_4arch9wavefront6targetE0EEEvT1_.private_seg_size, 0
	.set _ZN7rocprim17ROCPRIM_400000_NS6detail17trampoline_kernelINS0_14default_configENS1_27scan_by_key_config_selectorIidEEZZNS1_16scan_by_key_implILNS1_25lookback_scan_determinismE0ELb0ES3_N6thrust23THRUST_200600_302600_NS6detail15normal_iteratorINS9_10device_ptrIiEEEENSB_INSC_IdEEEESG_dNS9_4plusIvEENS9_8equal_toIvEEdEE10hipError_tPvRmT2_T3_T4_T5_mT6_T7_P12ihipStream_tbENKUlT_T0_E_clISt17integral_constantIbLb0EES11_EEDaSW_SX_EUlSW_E_NS1_11comp_targetILNS1_3genE9ELNS1_11target_archE1100ELNS1_3gpuE3ELNS1_3repE0EEENS1_30default_config_static_selectorELNS0_4arch9wavefront6targetE0EEEvT1_.uses_vcc, 0
	.set _ZN7rocprim17ROCPRIM_400000_NS6detail17trampoline_kernelINS0_14default_configENS1_27scan_by_key_config_selectorIidEEZZNS1_16scan_by_key_implILNS1_25lookback_scan_determinismE0ELb0ES3_N6thrust23THRUST_200600_302600_NS6detail15normal_iteratorINS9_10device_ptrIiEEEENSB_INSC_IdEEEESG_dNS9_4plusIvEENS9_8equal_toIvEEdEE10hipError_tPvRmT2_T3_T4_T5_mT6_T7_P12ihipStream_tbENKUlT_T0_E_clISt17integral_constantIbLb0EES11_EEDaSW_SX_EUlSW_E_NS1_11comp_targetILNS1_3genE9ELNS1_11target_archE1100ELNS1_3gpuE3ELNS1_3repE0EEENS1_30default_config_static_selectorELNS0_4arch9wavefront6targetE0EEEvT1_.uses_flat_scratch, 0
	.set _ZN7rocprim17ROCPRIM_400000_NS6detail17trampoline_kernelINS0_14default_configENS1_27scan_by_key_config_selectorIidEEZZNS1_16scan_by_key_implILNS1_25lookback_scan_determinismE0ELb0ES3_N6thrust23THRUST_200600_302600_NS6detail15normal_iteratorINS9_10device_ptrIiEEEENSB_INSC_IdEEEESG_dNS9_4plusIvEENS9_8equal_toIvEEdEE10hipError_tPvRmT2_T3_T4_T5_mT6_T7_P12ihipStream_tbENKUlT_T0_E_clISt17integral_constantIbLb0EES11_EEDaSW_SX_EUlSW_E_NS1_11comp_targetILNS1_3genE9ELNS1_11target_archE1100ELNS1_3gpuE3ELNS1_3repE0EEENS1_30default_config_static_selectorELNS0_4arch9wavefront6targetE0EEEvT1_.has_dyn_sized_stack, 0
	.set _ZN7rocprim17ROCPRIM_400000_NS6detail17trampoline_kernelINS0_14default_configENS1_27scan_by_key_config_selectorIidEEZZNS1_16scan_by_key_implILNS1_25lookback_scan_determinismE0ELb0ES3_N6thrust23THRUST_200600_302600_NS6detail15normal_iteratorINS9_10device_ptrIiEEEENSB_INSC_IdEEEESG_dNS9_4plusIvEENS9_8equal_toIvEEdEE10hipError_tPvRmT2_T3_T4_T5_mT6_T7_P12ihipStream_tbENKUlT_T0_E_clISt17integral_constantIbLb0EES11_EEDaSW_SX_EUlSW_E_NS1_11comp_targetILNS1_3genE9ELNS1_11target_archE1100ELNS1_3gpuE3ELNS1_3repE0EEENS1_30default_config_static_selectorELNS0_4arch9wavefront6targetE0EEEvT1_.has_recursion, 0
	.set _ZN7rocprim17ROCPRIM_400000_NS6detail17trampoline_kernelINS0_14default_configENS1_27scan_by_key_config_selectorIidEEZZNS1_16scan_by_key_implILNS1_25lookback_scan_determinismE0ELb0ES3_N6thrust23THRUST_200600_302600_NS6detail15normal_iteratorINS9_10device_ptrIiEEEENSB_INSC_IdEEEESG_dNS9_4plusIvEENS9_8equal_toIvEEdEE10hipError_tPvRmT2_T3_T4_T5_mT6_T7_P12ihipStream_tbENKUlT_T0_E_clISt17integral_constantIbLb0EES11_EEDaSW_SX_EUlSW_E_NS1_11comp_targetILNS1_3genE9ELNS1_11target_archE1100ELNS1_3gpuE3ELNS1_3repE0EEENS1_30default_config_static_selectorELNS0_4arch9wavefront6targetE0EEEvT1_.has_indirect_call, 0
	.section	.AMDGPU.csdata,"",@progbits
; Kernel info:
; codeLenInByte = 0
; TotalNumSgprs: 0
; NumVgprs: 0
; ScratchSize: 0
; MemoryBound: 0
; FloatMode: 240
; IeeeMode: 1
; LDSByteSize: 0 bytes/workgroup (compile time only)
; SGPRBlocks: 0
; VGPRBlocks: 0
; NumSGPRsForWavesPerEU: 1
; NumVGPRsForWavesPerEU: 1
; NamedBarCnt: 0
; Occupancy: 16
; WaveLimiterHint : 0
; COMPUTE_PGM_RSRC2:SCRATCH_EN: 0
; COMPUTE_PGM_RSRC2:USER_SGPR: 2
; COMPUTE_PGM_RSRC2:TRAP_HANDLER: 0
; COMPUTE_PGM_RSRC2:TGID_X_EN: 1
; COMPUTE_PGM_RSRC2:TGID_Y_EN: 0
; COMPUTE_PGM_RSRC2:TGID_Z_EN: 0
; COMPUTE_PGM_RSRC2:TIDIG_COMP_CNT: 0
	.section	.text._ZN7rocprim17ROCPRIM_400000_NS6detail17trampoline_kernelINS0_14default_configENS1_27scan_by_key_config_selectorIidEEZZNS1_16scan_by_key_implILNS1_25lookback_scan_determinismE0ELb0ES3_N6thrust23THRUST_200600_302600_NS6detail15normal_iteratorINS9_10device_ptrIiEEEENSB_INSC_IdEEEESG_dNS9_4plusIvEENS9_8equal_toIvEEdEE10hipError_tPvRmT2_T3_T4_T5_mT6_T7_P12ihipStream_tbENKUlT_T0_E_clISt17integral_constantIbLb0EES11_EEDaSW_SX_EUlSW_E_NS1_11comp_targetILNS1_3genE8ELNS1_11target_archE1030ELNS1_3gpuE2ELNS1_3repE0EEENS1_30default_config_static_selectorELNS0_4arch9wavefront6targetE0EEEvT1_,"axG",@progbits,_ZN7rocprim17ROCPRIM_400000_NS6detail17trampoline_kernelINS0_14default_configENS1_27scan_by_key_config_selectorIidEEZZNS1_16scan_by_key_implILNS1_25lookback_scan_determinismE0ELb0ES3_N6thrust23THRUST_200600_302600_NS6detail15normal_iteratorINS9_10device_ptrIiEEEENSB_INSC_IdEEEESG_dNS9_4plusIvEENS9_8equal_toIvEEdEE10hipError_tPvRmT2_T3_T4_T5_mT6_T7_P12ihipStream_tbENKUlT_T0_E_clISt17integral_constantIbLb0EES11_EEDaSW_SX_EUlSW_E_NS1_11comp_targetILNS1_3genE8ELNS1_11target_archE1030ELNS1_3gpuE2ELNS1_3repE0EEENS1_30default_config_static_selectorELNS0_4arch9wavefront6targetE0EEEvT1_,comdat
	.protected	_ZN7rocprim17ROCPRIM_400000_NS6detail17trampoline_kernelINS0_14default_configENS1_27scan_by_key_config_selectorIidEEZZNS1_16scan_by_key_implILNS1_25lookback_scan_determinismE0ELb0ES3_N6thrust23THRUST_200600_302600_NS6detail15normal_iteratorINS9_10device_ptrIiEEEENSB_INSC_IdEEEESG_dNS9_4plusIvEENS9_8equal_toIvEEdEE10hipError_tPvRmT2_T3_T4_T5_mT6_T7_P12ihipStream_tbENKUlT_T0_E_clISt17integral_constantIbLb0EES11_EEDaSW_SX_EUlSW_E_NS1_11comp_targetILNS1_3genE8ELNS1_11target_archE1030ELNS1_3gpuE2ELNS1_3repE0EEENS1_30default_config_static_selectorELNS0_4arch9wavefront6targetE0EEEvT1_ ; -- Begin function _ZN7rocprim17ROCPRIM_400000_NS6detail17trampoline_kernelINS0_14default_configENS1_27scan_by_key_config_selectorIidEEZZNS1_16scan_by_key_implILNS1_25lookback_scan_determinismE0ELb0ES3_N6thrust23THRUST_200600_302600_NS6detail15normal_iteratorINS9_10device_ptrIiEEEENSB_INSC_IdEEEESG_dNS9_4plusIvEENS9_8equal_toIvEEdEE10hipError_tPvRmT2_T3_T4_T5_mT6_T7_P12ihipStream_tbENKUlT_T0_E_clISt17integral_constantIbLb0EES11_EEDaSW_SX_EUlSW_E_NS1_11comp_targetILNS1_3genE8ELNS1_11target_archE1030ELNS1_3gpuE2ELNS1_3repE0EEENS1_30default_config_static_selectorELNS0_4arch9wavefront6targetE0EEEvT1_
	.globl	_ZN7rocprim17ROCPRIM_400000_NS6detail17trampoline_kernelINS0_14default_configENS1_27scan_by_key_config_selectorIidEEZZNS1_16scan_by_key_implILNS1_25lookback_scan_determinismE0ELb0ES3_N6thrust23THRUST_200600_302600_NS6detail15normal_iteratorINS9_10device_ptrIiEEEENSB_INSC_IdEEEESG_dNS9_4plusIvEENS9_8equal_toIvEEdEE10hipError_tPvRmT2_T3_T4_T5_mT6_T7_P12ihipStream_tbENKUlT_T0_E_clISt17integral_constantIbLb0EES11_EEDaSW_SX_EUlSW_E_NS1_11comp_targetILNS1_3genE8ELNS1_11target_archE1030ELNS1_3gpuE2ELNS1_3repE0EEENS1_30default_config_static_selectorELNS0_4arch9wavefront6targetE0EEEvT1_
	.p2align	8
	.type	_ZN7rocprim17ROCPRIM_400000_NS6detail17trampoline_kernelINS0_14default_configENS1_27scan_by_key_config_selectorIidEEZZNS1_16scan_by_key_implILNS1_25lookback_scan_determinismE0ELb0ES3_N6thrust23THRUST_200600_302600_NS6detail15normal_iteratorINS9_10device_ptrIiEEEENSB_INSC_IdEEEESG_dNS9_4plusIvEENS9_8equal_toIvEEdEE10hipError_tPvRmT2_T3_T4_T5_mT6_T7_P12ihipStream_tbENKUlT_T0_E_clISt17integral_constantIbLb0EES11_EEDaSW_SX_EUlSW_E_NS1_11comp_targetILNS1_3genE8ELNS1_11target_archE1030ELNS1_3gpuE2ELNS1_3repE0EEENS1_30default_config_static_selectorELNS0_4arch9wavefront6targetE0EEEvT1_,@function
_ZN7rocprim17ROCPRIM_400000_NS6detail17trampoline_kernelINS0_14default_configENS1_27scan_by_key_config_selectorIidEEZZNS1_16scan_by_key_implILNS1_25lookback_scan_determinismE0ELb0ES3_N6thrust23THRUST_200600_302600_NS6detail15normal_iteratorINS9_10device_ptrIiEEEENSB_INSC_IdEEEESG_dNS9_4plusIvEENS9_8equal_toIvEEdEE10hipError_tPvRmT2_T3_T4_T5_mT6_T7_P12ihipStream_tbENKUlT_T0_E_clISt17integral_constantIbLb0EES11_EEDaSW_SX_EUlSW_E_NS1_11comp_targetILNS1_3genE8ELNS1_11target_archE1030ELNS1_3gpuE2ELNS1_3repE0EEENS1_30default_config_static_selectorELNS0_4arch9wavefront6targetE0EEEvT1_: ; @_ZN7rocprim17ROCPRIM_400000_NS6detail17trampoline_kernelINS0_14default_configENS1_27scan_by_key_config_selectorIidEEZZNS1_16scan_by_key_implILNS1_25lookback_scan_determinismE0ELb0ES3_N6thrust23THRUST_200600_302600_NS6detail15normal_iteratorINS9_10device_ptrIiEEEENSB_INSC_IdEEEESG_dNS9_4plusIvEENS9_8equal_toIvEEdEE10hipError_tPvRmT2_T3_T4_T5_mT6_T7_P12ihipStream_tbENKUlT_T0_E_clISt17integral_constantIbLb0EES11_EEDaSW_SX_EUlSW_E_NS1_11comp_targetILNS1_3genE8ELNS1_11target_archE1030ELNS1_3gpuE2ELNS1_3repE0EEENS1_30default_config_static_selectorELNS0_4arch9wavefront6targetE0EEEvT1_
; %bb.0:
	.section	.rodata,"a",@progbits
	.p2align	6, 0x0
	.amdhsa_kernel _ZN7rocprim17ROCPRIM_400000_NS6detail17trampoline_kernelINS0_14default_configENS1_27scan_by_key_config_selectorIidEEZZNS1_16scan_by_key_implILNS1_25lookback_scan_determinismE0ELb0ES3_N6thrust23THRUST_200600_302600_NS6detail15normal_iteratorINS9_10device_ptrIiEEEENSB_INSC_IdEEEESG_dNS9_4plusIvEENS9_8equal_toIvEEdEE10hipError_tPvRmT2_T3_T4_T5_mT6_T7_P12ihipStream_tbENKUlT_T0_E_clISt17integral_constantIbLb0EES11_EEDaSW_SX_EUlSW_E_NS1_11comp_targetILNS1_3genE8ELNS1_11target_archE1030ELNS1_3gpuE2ELNS1_3repE0EEENS1_30default_config_static_selectorELNS0_4arch9wavefront6targetE0EEEvT1_
		.amdhsa_group_segment_fixed_size 0
		.amdhsa_private_segment_fixed_size 0
		.amdhsa_kernarg_size 136
		.amdhsa_user_sgpr_count 2
		.amdhsa_user_sgpr_dispatch_ptr 0
		.amdhsa_user_sgpr_queue_ptr 0
		.amdhsa_user_sgpr_kernarg_segment_ptr 1
		.amdhsa_user_sgpr_dispatch_id 0
		.amdhsa_user_sgpr_kernarg_preload_length 0
		.amdhsa_user_sgpr_kernarg_preload_offset 0
		.amdhsa_user_sgpr_private_segment_size 0
		.amdhsa_wavefront_size32 1
		.amdhsa_uses_dynamic_stack 0
		.amdhsa_enable_private_segment 0
		.amdhsa_system_sgpr_workgroup_id_x 1
		.amdhsa_system_sgpr_workgroup_id_y 0
		.amdhsa_system_sgpr_workgroup_id_z 0
		.amdhsa_system_sgpr_workgroup_info 0
		.amdhsa_system_vgpr_workitem_id 0
		.amdhsa_next_free_vgpr 1
		.amdhsa_next_free_sgpr 1
		.amdhsa_named_barrier_count 0
		.amdhsa_reserve_vcc 0
		.amdhsa_float_round_mode_32 0
		.amdhsa_float_round_mode_16_64 0
		.amdhsa_float_denorm_mode_32 3
		.amdhsa_float_denorm_mode_16_64 3
		.amdhsa_fp16_overflow 0
		.amdhsa_memory_ordered 1
		.amdhsa_forward_progress 1
		.amdhsa_inst_pref_size 0
		.amdhsa_round_robin_scheduling 0
		.amdhsa_exception_fp_ieee_invalid_op 0
		.amdhsa_exception_fp_denorm_src 0
		.amdhsa_exception_fp_ieee_div_zero 0
		.amdhsa_exception_fp_ieee_overflow 0
		.amdhsa_exception_fp_ieee_underflow 0
		.amdhsa_exception_fp_ieee_inexact 0
		.amdhsa_exception_int_div_zero 0
	.end_amdhsa_kernel
	.section	.text._ZN7rocprim17ROCPRIM_400000_NS6detail17trampoline_kernelINS0_14default_configENS1_27scan_by_key_config_selectorIidEEZZNS1_16scan_by_key_implILNS1_25lookback_scan_determinismE0ELb0ES3_N6thrust23THRUST_200600_302600_NS6detail15normal_iteratorINS9_10device_ptrIiEEEENSB_INSC_IdEEEESG_dNS9_4plusIvEENS9_8equal_toIvEEdEE10hipError_tPvRmT2_T3_T4_T5_mT6_T7_P12ihipStream_tbENKUlT_T0_E_clISt17integral_constantIbLb0EES11_EEDaSW_SX_EUlSW_E_NS1_11comp_targetILNS1_3genE8ELNS1_11target_archE1030ELNS1_3gpuE2ELNS1_3repE0EEENS1_30default_config_static_selectorELNS0_4arch9wavefront6targetE0EEEvT1_,"axG",@progbits,_ZN7rocprim17ROCPRIM_400000_NS6detail17trampoline_kernelINS0_14default_configENS1_27scan_by_key_config_selectorIidEEZZNS1_16scan_by_key_implILNS1_25lookback_scan_determinismE0ELb0ES3_N6thrust23THRUST_200600_302600_NS6detail15normal_iteratorINS9_10device_ptrIiEEEENSB_INSC_IdEEEESG_dNS9_4plusIvEENS9_8equal_toIvEEdEE10hipError_tPvRmT2_T3_T4_T5_mT6_T7_P12ihipStream_tbENKUlT_T0_E_clISt17integral_constantIbLb0EES11_EEDaSW_SX_EUlSW_E_NS1_11comp_targetILNS1_3genE8ELNS1_11target_archE1030ELNS1_3gpuE2ELNS1_3repE0EEENS1_30default_config_static_selectorELNS0_4arch9wavefront6targetE0EEEvT1_,comdat
.Lfunc_end1093:
	.size	_ZN7rocprim17ROCPRIM_400000_NS6detail17trampoline_kernelINS0_14default_configENS1_27scan_by_key_config_selectorIidEEZZNS1_16scan_by_key_implILNS1_25lookback_scan_determinismE0ELb0ES3_N6thrust23THRUST_200600_302600_NS6detail15normal_iteratorINS9_10device_ptrIiEEEENSB_INSC_IdEEEESG_dNS9_4plusIvEENS9_8equal_toIvEEdEE10hipError_tPvRmT2_T3_T4_T5_mT6_T7_P12ihipStream_tbENKUlT_T0_E_clISt17integral_constantIbLb0EES11_EEDaSW_SX_EUlSW_E_NS1_11comp_targetILNS1_3genE8ELNS1_11target_archE1030ELNS1_3gpuE2ELNS1_3repE0EEENS1_30default_config_static_selectorELNS0_4arch9wavefront6targetE0EEEvT1_, .Lfunc_end1093-_ZN7rocprim17ROCPRIM_400000_NS6detail17trampoline_kernelINS0_14default_configENS1_27scan_by_key_config_selectorIidEEZZNS1_16scan_by_key_implILNS1_25lookback_scan_determinismE0ELb0ES3_N6thrust23THRUST_200600_302600_NS6detail15normal_iteratorINS9_10device_ptrIiEEEENSB_INSC_IdEEEESG_dNS9_4plusIvEENS9_8equal_toIvEEdEE10hipError_tPvRmT2_T3_T4_T5_mT6_T7_P12ihipStream_tbENKUlT_T0_E_clISt17integral_constantIbLb0EES11_EEDaSW_SX_EUlSW_E_NS1_11comp_targetILNS1_3genE8ELNS1_11target_archE1030ELNS1_3gpuE2ELNS1_3repE0EEENS1_30default_config_static_selectorELNS0_4arch9wavefront6targetE0EEEvT1_
                                        ; -- End function
	.set _ZN7rocprim17ROCPRIM_400000_NS6detail17trampoline_kernelINS0_14default_configENS1_27scan_by_key_config_selectorIidEEZZNS1_16scan_by_key_implILNS1_25lookback_scan_determinismE0ELb0ES3_N6thrust23THRUST_200600_302600_NS6detail15normal_iteratorINS9_10device_ptrIiEEEENSB_INSC_IdEEEESG_dNS9_4plusIvEENS9_8equal_toIvEEdEE10hipError_tPvRmT2_T3_T4_T5_mT6_T7_P12ihipStream_tbENKUlT_T0_E_clISt17integral_constantIbLb0EES11_EEDaSW_SX_EUlSW_E_NS1_11comp_targetILNS1_3genE8ELNS1_11target_archE1030ELNS1_3gpuE2ELNS1_3repE0EEENS1_30default_config_static_selectorELNS0_4arch9wavefront6targetE0EEEvT1_.num_vgpr, 0
	.set _ZN7rocprim17ROCPRIM_400000_NS6detail17trampoline_kernelINS0_14default_configENS1_27scan_by_key_config_selectorIidEEZZNS1_16scan_by_key_implILNS1_25lookback_scan_determinismE0ELb0ES3_N6thrust23THRUST_200600_302600_NS6detail15normal_iteratorINS9_10device_ptrIiEEEENSB_INSC_IdEEEESG_dNS9_4plusIvEENS9_8equal_toIvEEdEE10hipError_tPvRmT2_T3_T4_T5_mT6_T7_P12ihipStream_tbENKUlT_T0_E_clISt17integral_constantIbLb0EES11_EEDaSW_SX_EUlSW_E_NS1_11comp_targetILNS1_3genE8ELNS1_11target_archE1030ELNS1_3gpuE2ELNS1_3repE0EEENS1_30default_config_static_selectorELNS0_4arch9wavefront6targetE0EEEvT1_.num_agpr, 0
	.set _ZN7rocprim17ROCPRIM_400000_NS6detail17trampoline_kernelINS0_14default_configENS1_27scan_by_key_config_selectorIidEEZZNS1_16scan_by_key_implILNS1_25lookback_scan_determinismE0ELb0ES3_N6thrust23THRUST_200600_302600_NS6detail15normal_iteratorINS9_10device_ptrIiEEEENSB_INSC_IdEEEESG_dNS9_4plusIvEENS9_8equal_toIvEEdEE10hipError_tPvRmT2_T3_T4_T5_mT6_T7_P12ihipStream_tbENKUlT_T0_E_clISt17integral_constantIbLb0EES11_EEDaSW_SX_EUlSW_E_NS1_11comp_targetILNS1_3genE8ELNS1_11target_archE1030ELNS1_3gpuE2ELNS1_3repE0EEENS1_30default_config_static_selectorELNS0_4arch9wavefront6targetE0EEEvT1_.numbered_sgpr, 0
	.set _ZN7rocprim17ROCPRIM_400000_NS6detail17trampoline_kernelINS0_14default_configENS1_27scan_by_key_config_selectorIidEEZZNS1_16scan_by_key_implILNS1_25lookback_scan_determinismE0ELb0ES3_N6thrust23THRUST_200600_302600_NS6detail15normal_iteratorINS9_10device_ptrIiEEEENSB_INSC_IdEEEESG_dNS9_4plusIvEENS9_8equal_toIvEEdEE10hipError_tPvRmT2_T3_T4_T5_mT6_T7_P12ihipStream_tbENKUlT_T0_E_clISt17integral_constantIbLb0EES11_EEDaSW_SX_EUlSW_E_NS1_11comp_targetILNS1_3genE8ELNS1_11target_archE1030ELNS1_3gpuE2ELNS1_3repE0EEENS1_30default_config_static_selectorELNS0_4arch9wavefront6targetE0EEEvT1_.num_named_barrier, 0
	.set _ZN7rocprim17ROCPRIM_400000_NS6detail17trampoline_kernelINS0_14default_configENS1_27scan_by_key_config_selectorIidEEZZNS1_16scan_by_key_implILNS1_25lookback_scan_determinismE0ELb0ES3_N6thrust23THRUST_200600_302600_NS6detail15normal_iteratorINS9_10device_ptrIiEEEENSB_INSC_IdEEEESG_dNS9_4plusIvEENS9_8equal_toIvEEdEE10hipError_tPvRmT2_T3_T4_T5_mT6_T7_P12ihipStream_tbENKUlT_T0_E_clISt17integral_constantIbLb0EES11_EEDaSW_SX_EUlSW_E_NS1_11comp_targetILNS1_3genE8ELNS1_11target_archE1030ELNS1_3gpuE2ELNS1_3repE0EEENS1_30default_config_static_selectorELNS0_4arch9wavefront6targetE0EEEvT1_.private_seg_size, 0
	.set _ZN7rocprim17ROCPRIM_400000_NS6detail17trampoline_kernelINS0_14default_configENS1_27scan_by_key_config_selectorIidEEZZNS1_16scan_by_key_implILNS1_25lookback_scan_determinismE0ELb0ES3_N6thrust23THRUST_200600_302600_NS6detail15normal_iteratorINS9_10device_ptrIiEEEENSB_INSC_IdEEEESG_dNS9_4plusIvEENS9_8equal_toIvEEdEE10hipError_tPvRmT2_T3_T4_T5_mT6_T7_P12ihipStream_tbENKUlT_T0_E_clISt17integral_constantIbLb0EES11_EEDaSW_SX_EUlSW_E_NS1_11comp_targetILNS1_3genE8ELNS1_11target_archE1030ELNS1_3gpuE2ELNS1_3repE0EEENS1_30default_config_static_selectorELNS0_4arch9wavefront6targetE0EEEvT1_.uses_vcc, 0
	.set _ZN7rocprim17ROCPRIM_400000_NS6detail17trampoline_kernelINS0_14default_configENS1_27scan_by_key_config_selectorIidEEZZNS1_16scan_by_key_implILNS1_25lookback_scan_determinismE0ELb0ES3_N6thrust23THRUST_200600_302600_NS6detail15normal_iteratorINS9_10device_ptrIiEEEENSB_INSC_IdEEEESG_dNS9_4plusIvEENS9_8equal_toIvEEdEE10hipError_tPvRmT2_T3_T4_T5_mT6_T7_P12ihipStream_tbENKUlT_T0_E_clISt17integral_constantIbLb0EES11_EEDaSW_SX_EUlSW_E_NS1_11comp_targetILNS1_3genE8ELNS1_11target_archE1030ELNS1_3gpuE2ELNS1_3repE0EEENS1_30default_config_static_selectorELNS0_4arch9wavefront6targetE0EEEvT1_.uses_flat_scratch, 0
	.set _ZN7rocprim17ROCPRIM_400000_NS6detail17trampoline_kernelINS0_14default_configENS1_27scan_by_key_config_selectorIidEEZZNS1_16scan_by_key_implILNS1_25lookback_scan_determinismE0ELb0ES3_N6thrust23THRUST_200600_302600_NS6detail15normal_iteratorINS9_10device_ptrIiEEEENSB_INSC_IdEEEESG_dNS9_4plusIvEENS9_8equal_toIvEEdEE10hipError_tPvRmT2_T3_T4_T5_mT6_T7_P12ihipStream_tbENKUlT_T0_E_clISt17integral_constantIbLb0EES11_EEDaSW_SX_EUlSW_E_NS1_11comp_targetILNS1_3genE8ELNS1_11target_archE1030ELNS1_3gpuE2ELNS1_3repE0EEENS1_30default_config_static_selectorELNS0_4arch9wavefront6targetE0EEEvT1_.has_dyn_sized_stack, 0
	.set _ZN7rocprim17ROCPRIM_400000_NS6detail17trampoline_kernelINS0_14default_configENS1_27scan_by_key_config_selectorIidEEZZNS1_16scan_by_key_implILNS1_25lookback_scan_determinismE0ELb0ES3_N6thrust23THRUST_200600_302600_NS6detail15normal_iteratorINS9_10device_ptrIiEEEENSB_INSC_IdEEEESG_dNS9_4plusIvEENS9_8equal_toIvEEdEE10hipError_tPvRmT2_T3_T4_T5_mT6_T7_P12ihipStream_tbENKUlT_T0_E_clISt17integral_constantIbLb0EES11_EEDaSW_SX_EUlSW_E_NS1_11comp_targetILNS1_3genE8ELNS1_11target_archE1030ELNS1_3gpuE2ELNS1_3repE0EEENS1_30default_config_static_selectorELNS0_4arch9wavefront6targetE0EEEvT1_.has_recursion, 0
	.set _ZN7rocprim17ROCPRIM_400000_NS6detail17trampoline_kernelINS0_14default_configENS1_27scan_by_key_config_selectorIidEEZZNS1_16scan_by_key_implILNS1_25lookback_scan_determinismE0ELb0ES3_N6thrust23THRUST_200600_302600_NS6detail15normal_iteratorINS9_10device_ptrIiEEEENSB_INSC_IdEEEESG_dNS9_4plusIvEENS9_8equal_toIvEEdEE10hipError_tPvRmT2_T3_T4_T5_mT6_T7_P12ihipStream_tbENKUlT_T0_E_clISt17integral_constantIbLb0EES11_EEDaSW_SX_EUlSW_E_NS1_11comp_targetILNS1_3genE8ELNS1_11target_archE1030ELNS1_3gpuE2ELNS1_3repE0EEENS1_30default_config_static_selectorELNS0_4arch9wavefront6targetE0EEEvT1_.has_indirect_call, 0
	.section	.AMDGPU.csdata,"",@progbits
; Kernel info:
; codeLenInByte = 0
; TotalNumSgprs: 0
; NumVgprs: 0
; ScratchSize: 0
; MemoryBound: 0
; FloatMode: 240
; IeeeMode: 1
; LDSByteSize: 0 bytes/workgroup (compile time only)
; SGPRBlocks: 0
; VGPRBlocks: 0
; NumSGPRsForWavesPerEU: 1
; NumVGPRsForWavesPerEU: 1
; NamedBarCnt: 0
; Occupancy: 16
; WaveLimiterHint : 0
; COMPUTE_PGM_RSRC2:SCRATCH_EN: 0
; COMPUTE_PGM_RSRC2:USER_SGPR: 2
; COMPUTE_PGM_RSRC2:TRAP_HANDLER: 0
; COMPUTE_PGM_RSRC2:TGID_X_EN: 1
; COMPUTE_PGM_RSRC2:TGID_Y_EN: 0
; COMPUTE_PGM_RSRC2:TGID_Z_EN: 0
; COMPUTE_PGM_RSRC2:TIDIG_COMP_CNT: 0
	.section	.text._ZN7rocprim17ROCPRIM_400000_NS6detail30init_device_scan_by_key_kernelINS1_19lookback_scan_stateINS0_5tupleIJdbEEELb1ELb0EEEN6thrust23THRUST_200600_302600_NS6detail15normal_iteratorINS8_10device_ptrIiEEEEjNS1_16block_id_wrapperIjLb1EEEEEvT_jjPNSG_10value_typeET0_PNSt15iterator_traitsISJ_E10value_typeEmT1_T2_,"axG",@progbits,_ZN7rocprim17ROCPRIM_400000_NS6detail30init_device_scan_by_key_kernelINS1_19lookback_scan_stateINS0_5tupleIJdbEEELb1ELb0EEEN6thrust23THRUST_200600_302600_NS6detail15normal_iteratorINS8_10device_ptrIiEEEEjNS1_16block_id_wrapperIjLb1EEEEEvT_jjPNSG_10value_typeET0_PNSt15iterator_traitsISJ_E10value_typeEmT1_T2_,comdat
	.protected	_ZN7rocprim17ROCPRIM_400000_NS6detail30init_device_scan_by_key_kernelINS1_19lookback_scan_stateINS0_5tupleIJdbEEELb1ELb0EEEN6thrust23THRUST_200600_302600_NS6detail15normal_iteratorINS8_10device_ptrIiEEEEjNS1_16block_id_wrapperIjLb1EEEEEvT_jjPNSG_10value_typeET0_PNSt15iterator_traitsISJ_E10value_typeEmT1_T2_ ; -- Begin function _ZN7rocprim17ROCPRIM_400000_NS6detail30init_device_scan_by_key_kernelINS1_19lookback_scan_stateINS0_5tupleIJdbEEELb1ELb0EEEN6thrust23THRUST_200600_302600_NS6detail15normal_iteratorINS8_10device_ptrIiEEEEjNS1_16block_id_wrapperIjLb1EEEEEvT_jjPNSG_10value_typeET0_PNSt15iterator_traitsISJ_E10value_typeEmT1_T2_
	.globl	_ZN7rocprim17ROCPRIM_400000_NS6detail30init_device_scan_by_key_kernelINS1_19lookback_scan_stateINS0_5tupleIJdbEEELb1ELb0EEEN6thrust23THRUST_200600_302600_NS6detail15normal_iteratorINS8_10device_ptrIiEEEEjNS1_16block_id_wrapperIjLb1EEEEEvT_jjPNSG_10value_typeET0_PNSt15iterator_traitsISJ_E10value_typeEmT1_T2_
	.p2align	8
	.type	_ZN7rocprim17ROCPRIM_400000_NS6detail30init_device_scan_by_key_kernelINS1_19lookback_scan_stateINS0_5tupleIJdbEEELb1ELb0EEEN6thrust23THRUST_200600_302600_NS6detail15normal_iteratorINS8_10device_ptrIiEEEEjNS1_16block_id_wrapperIjLb1EEEEEvT_jjPNSG_10value_typeET0_PNSt15iterator_traitsISJ_E10value_typeEmT1_T2_,@function
_ZN7rocprim17ROCPRIM_400000_NS6detail30init_device_scan_by_key_kernelINS1_19lookback_scan_stateINS0_5tupleIJdbEEELb1ELb0EEEN6thrust23THRUST_200600_302600_NS6detail15normal_iteratorINS8_10device_ptrIiEEEEjNS1_16block_id_wrapperIjLb1EEEEEvT_jjPNSG_10value_typeET0_PNSt15iterator_traitsISJ_E10value_typeEmT1_T2_: ; @_ZN7rocprim17ROCPRIM_400000_NS6detail30init_device_scan_by_key_kernelINS1_19lookback_scan_stateINS0_5tupleIJdbEEELb1ELb0EEEN6thrust23THRUST_200600_302600_NS6detail15normal_iteratorINS8_10device_ptrIiEEEEjNS1_16block_id_wrapperIjLb1EEEEEvT_jjPNSG_10value_typeET0_PNSt15iterator_traitsISJ_E10value_typeEmT1_T2_
; %bb.0:
	s_clause 0x2
	s_load_b32 s2, s[0:1], 0x5c
	s_load_b32 s18, s[0:1], 0x50
	s_load_b256 s[4:11], s[0:1], 0x10
	s_bfe_u32 s3, ttmp6, 0x4000c
	s_and_b32 s12, ttmp6, 15
	s_add_co_i32 s3, s3, 1
	s_getreg_b32 s13, hwreg(HW_REG_IB_STS2, 6, 4)
	s_mul_i32 s3, ttmp9, s3
	s_delay_alu instid0(SALU_CYCLE_1)
	s_add_co_i32 s12, s12, s3
	s_wait_kmcnt 0x0
	s_and_b32 s19, s2, 0xffff
	s_cmp_eq_u32 s13, 0
	s_cselect_b32 s2, ttmp9, s12
	s_cmp_eq_u64 s[8:9], 0
	v_mad_u32 v0, s2, s19, v0
	s_cbranch_scc1 .LBB1094_9
; %bb.1:
	s_cmp_lt_u32 s7, s6
	s_mov_b32 s20, exec_lo
	s_cselect_b32 s2, s7, 0
	s_delay_alu instid0(VALU_DEP_1) | instid1(SALU_CYCLE_1)
	v_cmpx_eq_u32_e64 s2, v0
	s_cbranch_execz .LBB1094_8
; %bb.2:
	s_add_co_i32 s2, s7, 32
	s_load_b128 s[12:15], s[0:1], 0x0
	v_mov_b32_e32 v1, s2
	s_mov_b32 s3, 0
	global_load_u8 v1, v1, s[4:5] scope:SCOPE_DEV
	s_wait_loadcnt 0x0
	v_and_b32_e32 v2, 0xffff, v1
	v_readfirstlane_b32 s21, v1
	s_delay_alu instid0(VALU_DEP_2)
	v_cmp_ne_u32_e32 vcc_lo, 0, v2
	s_cbranch_vccnz .LBB1094_7
; %bb.3:
	v_mov_b32_e32 v1, 0
	s_add_nc_u64 s[16:17], s[4:5], s[2:3]
	s_mov_b32 s7, 1
.LBB1094_4:                             ; =>This Loop Header: Depth=1
                                        ;     Child Loop BB1094_5 Depth 2
	s_delay_alu instid0(SALU_CYCLE_1)
	s_mov_b32 s21, s7
.LBB1094_5:                             ;   Parent Loop BB1094_4 Depth=1
                                        ; =>  This Inner Loop Header: Depth=2
	s_delay_alu instid0(SALU_CYCLE_1)
	s_add_co_i32 s21, s21, -1
	s_sleep 1
	s_cmp_eq_u32 s21, 0
	s_cbranch_scc0 .LBB1094_5
; %bb.6:                                ;   in Loop: Header=BB1094_4 Depth=1
	global_load_u8 v2, v1, s[16:17] scope:SCOPE_DEV
	s_cmp_lt_u32 s7, 32
	s_cselect_b32 s21, -1, 0
	s_delay_alu instid0(SALU_CYCLE_1) | instskip(SKIP_4) | instid1(VALU_DEP_2)
	s_cmp_lg_u32 s21, 0
	s_add_co_ci_u32 s7, s7, 0
	s_wait_loadcnt 0x0
	v_and_b32_e32 v3, 0xffff, v2
	v_readfirstlane_b32 s21, v2
	v_cmp_ne_u32_e32 vcc_lo, 0, v3
	s_cbranch_vccz .LBB1094_4
.LBB1094_7:
	s_and_b32 s7, 0xffff, s21
	v_mov_b32_e32 v1, 0
	s_cmp_eq_u32 s7, 1
	global_wb scope:SCOPE_DEV
	s_wait_storecnt 0x0
	global_inv scope:SCOPE_DEV
	s_wait_kmcnt 0x0
	s_cselect_b32 s13, s13, s15
	s_cselect_b32 s12, s12, s14
	s_lshl_b64 s[2:3], s[2:3], 4
	s_delay_alu instid0(SALU_CYCLE_1)
	s_add_nc_u64 s[2:3], s[12:13], s[2:3]
	s_clause 0x1
	global_load_b64 v[2:3], v1, s[2:3]
	global_load_u8 v4, v1, s[2:3] offset:8
	s_wait_loadcnt 0x1
	global_store_b64 v1, v[2:3], s[8:9]
	s_wait_loadcnt 0x0
	global_store_b8 v1, v4, s[8:9] offset:8
.LBB1094_8:
	s_wait_xcnt 0x0
	s_or_b32 exec_lo, exec_lo, s20
.LBB1094_9:
	s_delay_alu instid0(SALU_CYCLE_1) | instskip(NEXT) | instid1(VALU_DEP_1)
	s_mov_b32 s2, exec_lo
	v_cmpx_eq_u32_e32 0, v0
	s_cbranch_execz .LBB1094_11
; %bb.10:
	s_load_b64 s[8:9], s[0:1], 0x48
	v_mov_b32_e32 v1, 0
	s_wait_kmcnt 0x0
	global_store_b32 v1, v1, s[8:9]
.LBB1094_11:
	s_wait_xcnt 0x0
	s_or_b32 exec_lo, exec_lo, s2
	s_delay_alu instid0(SALU_CYCLE_1)
	s_mov_b32 s2, exec_lo
	v_cmpx_gt_u32_e64 s6, v0
	s_cbranch_execz .LBB1094_13
; %bb.12:
	v_dual_mov_b32 v2, 0 :: v_dual_add_nc_u32 v1, 32, v0
	global_store_b8 v1, v2, s[4:5]
.LBB1094_13:
	s_wait_xcnt 0x0
	s_or_b32 exec_lo, exec_lo, s2
	v_mov_b32_e32 v1, 0
	s_mov_b32 s2, exec_lo
	v_cmpx_gt_u32_e32 32, v0
	s_cbranch_execz .LBB1094_15
; %bb.14:
	s_delay_alu instid0(VALU_DEP_2)
	v_add_nc_u64_e32 v[2:3], s[4:5], v[0:1]
	v_mov_b32_e32 v4, 0xff
	global_store_b8 v[2:3], v4, off
.LBB1094_15:
	s_wait_xcnt 0x0
	s_or_b32 exec_lo, exec_lo, s2
	s_load_b64 s[2:3], s[0:1], 0x38
	s_mov_b32 s4, exec_lo
	s_wait_kmcnt 0x0
	v_cmpx_gt_u64_e64 s[2:3], v[0:1]
	s_cbranch_execz .LBB1094_18
; %bb.16:
	s_clause 0x1
	s_load_b32 s4, s[0:1], 0x40
	s_load_b64 s[6:7], s[0:1], 0x30
	s_mov_b32 s5, 0
	s_wait_xcnt 0x0
	s_mul_i32 s0, s18, s19
	s_mov_b32 s9, s5
	s_mov_b32 s1, s5
	s_wait_kmcnt 0x0
	v_mul_u64_e32 v[2:3], s[4:5], v[0:1]
	s_add_co_i32 s8, s4, -1
	v_lshl_add_u64 v[4:5], v[0:1], 2, s[6:7]
	s_lshl_b64 s[8:9], s[8:9], 2
	s_delay_alu instid0(SALU_CYCLE_1) | instskip(SKIP_1) | instid1(SALU_CYCLE_1)
	s_add_nc_u64 s[8:9], s[10:11], s[8:9]
	s_mul_u64 s[10:11], s[4:5], s[0:1]
	s_lshl_b64 s[6:7], s[10:11], 2
	s_delay_alu instid0(VALU_DEP_2)
	v_lshl_add_u64 v[2:3], v[2:3], 2, s[8:9]
	s_lshl_b64 s[8:9], s[0:1], 2
.LBB1094_17:                            ; =>This Inner Loop Header: Depth=1
	global_load_b32 v6, v[2:3], off
	v_add_nc_u64_e32 v[0:1], s[0:1], v[0:1]
	s_wait_xcnt 0x0
	v_add_nc_u64_e32 v[2:3], s[6:7], v[2:3]
	s_delay_alu instid0(VALU_DEP_2)
	v_cmp_le_u64_e32 vcc_lo, s[2:3], v[0:1]
	s_or_b32 s5, vcc_lo, s5
	s_wait_loadcnt 0x0
	global_store_b32 v[4:5], v6, off
	s_wait_xcnt 0x0
	v_add_nc_u64_e32 v[4:5], s[8:9], v[4:5]
	s_and_not1_b32 exec_lo, exec_lo, s5
	s_cbranch_execnz .LBB1094_17
.LBB1094_18:
	s_endpgm
	.section	.rodata,"a",@progbits
	.p2align	6, 0x0
	.amdhsa_kernel _ZN7rocprim17ROCPRIM_400000_NS6detail30init_device_scan_by_key_kernelINS1_19lookback_scan_stateINS0_5tupleIJdbEEELb1ELb0EEEN6thrust23THRUST_200600_302600_NS6detail15normal_iteratorINS8_10device_ptrIiEEEEjNS1_16block_id_wrapperIjLb1EEEEEvT_jjPNSG_10value_typeET0_PNSt15iterator_traitsISJ_E10value_typeEmT1_T2_
		.amdhsa_group_segment_fixed_size 0
		.amdhsa_private_segment_fixed_size 0
		.amdhsa_kernarg_size 336
		.amdhsa_user_sgpr_count 2
		.amdhsa_user_sgpr_dispatch_ptr 0
		.amdhsa_user_sgpr_queue_ptr 0
		.amdhsa_user_sgpr_kernarg_segment_ptr 1
		.amdhsa_user_sgpr_dispatch_id 0
		.amdhsa_user_sgpr_kernarg_preload_length 0
		.amdhsa_user_sgpr_kernarg_preload_offset 0
		.amdhsa_user_sgpr_private_segment_size 0
		.amdhsa_wavefront_size32 1
		.amdhsa_uses_dynamic_stack 0
		.amdhsa_enable_private_segment 0
		.amdhsa_system_sgpr_workgroup_id_x 1
		.amdhsa_system_sgpr_workgroup_id_y 0
		.amdhsa_system_sgpr_workgroup_id_z 0
		.amdhsa_system_sgpr_workgroup_info 0
		.amdhsa_system_vgpr_workitem_id 0
		.amdhsa_next_free_vgpr 7
		.amdhsa_next_free_sgpr 22
		.amdhsa_named_barrier_count 0
		.amdhsa_reserve_vcc 1
		.amdhsa_float_round_mode_32 0
		.amdhsa_float_round_mode_16_64 0
		.amdhsa_float_denorm_mode_32 3
		.amdhsa_float_denorm_mode_16_64 3
		.amdhsa_fp16_overflow 0
		.amdhsa_memory_ordered 1
		.amdhsa_forward_progress 1
		.amdhsa_inst_pref_size 6
		.amdhsa_round_robin_scheduling 0
		.amdhsa_exception_fp_ieee_invalid_op 0
		.amdhsa_exception_fp_denorm_src 0
		.amdhsa_exception_fp_ieee_div_zero 0
		.amdhsa_exception_fp_ieee_overflow 0
		.amdhsa_exception_fp_ieee_underflow 0
		.amdhsa_exception_fp_ieee_inexact 0
		.amdhsa_exception_int_div_zero 0
	.end_amdhsa_kernel
	.section	.text._ZN7rocprim17ROCPRIM_400000_NS6detail30init_device_scan_by_key_kernelINS1_19lookback_scan_stateINS0_5tupleIJdbEEELb1ELb0EEEN6thrust23THRUST_200600_302600_NS6detail15normal_iteratorINS8_10device_ptrIiEEEEjNS1_16block_id_wrapperIjLb1EEEEEvT_jjPNSG_10value_typeET0_PNSt15iterator_traitsISJ_E10value_typeEmT1_T2_,"axG",@progbits,_ZN7rocprim17ROCPRIM_400000_NS6detail30init_device_scan_by_key_kernelINS1_19lookback_scan_stateINS0_5tupleIJdbEEELb1ELb0EEEN6thrust23THRUST_200600_302600_NS6detail15normal_iteratorINS8_10device_ptrIiEEEEjNS1_16block_id_wrapperIjLb1EEEEEvT_jjPNSG_10value_typeET0_PNSt15iterator_traitsISJ_E10value_typeEmT1_T2_,comdat
.Lfunc_end1094:
	.size	_ZN7rocprim17ROCPRIM_400000_NS6detail30init_device_scan_by_key_kernelINS1_19lookback_scan_stateINS0_5tupleIJdbEEELb1ELb0EEEN6thrust23THRUST_200600_302600_NS6detail15normal_iteratorINS8_10device_ptrIiEEEEjNS1_16block_id_wrapperIjLb1EEEEEvT_jjPNSG_10value_typeET0_PNSt15iterator_traitsISJ_E10value_typeEmT1_T2_, .Lfunc_end1094-_ZN7rocprim17ROCPRIM_400000_NS6detail30init_device_scan_by_key_kernelINS1_19lookback_scan_stateINS0_5tupleIJdbEEELb1ELb0EEEN6thrust23THRUST_200600_302600_NS6detail15normal_iteratorINS8_10device_ptrIiEEEEjNS1_16block_id_wrapperIjLb1EEEEEvT_jjPNSG_10value_typeET0_PNSt15iterator_traitsISJ_E10value_typeEmT1_T2_
                                        ; -- End function
	.set _ZN7rocprim17ROCPRIM_400000_NS6detail30init_device_scan_by_key_kernelINS1_19lookback_scan_stateINS0_5tupleIJdbEEELb1ELb0EEEN6thrust23THRUST_200600_302600_NS6detail15normal_iteratorINS8_10device_ptrIiEEEEjNS1_16block_id_wrapperIjLb1EEEEEvT_jjPNSG_10value_typeET0_PNSt15iterator_traitsISJ_E10value_typeEmT1_T2_.num_vgpr, 7
	.set _ZN7rocprim17ROCPRIM_400000_NS6detail30init_device_scan_by_key_kernelINS1_19lookback_scan_stateINS0_5tupleIJdbEEELb1ELb0EEEN6thrust23THRUST_200600_302600_NS6detail15normal_iteratorINS8_10device_ptrIiEEEEjNS1_16block_id_wrapperIjLb1EEEEEvT_jjPNSG_10value_typeET0_PNSt15iterator_traitsISJ_E10value_typeEmT1_T2_.num_agpr, 0
	.set _ZN7rocprim17ROCPRIM_400000_NS6detail30init_device_scan_by_key_kernelINS1_19lookback_scan_stateINS0_5tupleIJdbEEELb1ELb0EEEN6thrust23THRUST_200600_302600_NS6detail15normal_iteratorINS8_10device_ptrIiEEEEjNS1_16block_id_wrapperIjLb1EEEEEvT_jjPNSG_10value_typeET0_PNSt15iterator_traitsISJ_E10value_typeEmT1_T2_.numbered_sgpr, 22
	.set _ZN7rocprim17ROCPRIM_400000_NS6detail30init_device_scan_by_key_kernelINS1_19lookback_scan_stateINS0_5tupleIJdbEEELb1ELb0EEEN6thrust23THRUST_200600_302600_NS6detail15normal_iteratorINS8_10device_ptrIiEEEEjNS1_16block_id_wrapperIjLb1EEEEEvT_jjPNSG_10value_typeET0_PNSt15iterator_traitsISJ_E10value_typeEmT1_T2_.num_named_barrier, 0
	.set _ZN7rocprim17ROCPRIM_400000_NS6detail30init_device_scan_by_key_kernelINS1_19lookback_scan_stateINS0_5tupleIJdbEEELb1ELb0EEEN6thrust23THRUST_200600_302600_NS6detail15normal_iteratorINS8_10device_ptrIiEEEEjNS1_16block_id_wrapperIjLb1EEEEEvT_jjPNSG_10value_typeET0_PNSt15iterator_traitsISJ_E10value_typeEmT1_T2_.private_seg_size, 0
	.set _ZN7rocprim17ROCPRIM_400000_NS6detail30init_device_scan_by_key_kernelINS1_19lookback_scan_stateINS0_5tupleIJdbEEELb1ELb0EEEN6thrust23THRUST_200600_302600_NS6detail15normal_iteratorINS8_10device_ptrIiEEEEjNS1_16block_id_wrapperIjLb1EEEEEvT_jjPNSG_10value_typeET0_PNSt15iterator_traitsISJ_E10value_typeEmT1_T2_.uses_vcc, 1
	.set _ZN7rocprim17ROCPRIM_400000_NS6detail30init_device_scan_by_key_kernelINS1_19lookback_scan_stateINS0_5tupleIJdbEEELb1ELb0EEEN6thrust23THRUST_200600_302600_NS6detail15normal_iteratorINS8_10device_ptrIiEEEEjNS1_16block_id_wrapperIjLb1EEEEEvT_jjPNSG_10value_typeET0_PNSt15iterator_traitsISJ_E10value_typeEmT1_T2_.uses_flat_scratch, 0
	.set _ZN7rocprim17ROCPRIM_400000_NS6detail30init_device_scan_by_key_kernelINS1_19lookback_scan_stateINS0_5tupleIJdbEEELb1ELb0EEEN6thrust23THRUST_200600_302600_NS6detail15normal_iteratorINS8_10device_ptrIiEEEEjNS1_16block_id_wrapperIjLb1EEEEEvT_jjPNSG_10value_typeET0_PNSt15iterator_traitsISJ_E10value_typeEmT1_T2_.has_dyn_sized_stack, 0
	.set _ZN7rocprim17ROCPRIM_400000_NS6detail30init_device_scan_by_key_kernelINS1_19lookback_scan_stateINS0_5tupleIJdbEEELb1ELb0EEEN6thrust23THRUST_200600_302600_NS6detail15normal_iteratorINS8_10device_ptrIiEEEEjNS1_16block_id_wrapperIjLb1EEEEEvT_jjPNSG_10value_typeET0_PNSt15iterator_traitsISJ_E10value_typeEmT1_T2_.has_recursion, 0
	.set _ZN7rocprim17ROCPRIM_400000_NS6detail30init_device_scan_by_key_kernelINS1_19lookback_scan_stateINS0_5tupleIJdbEEELb1ELb0EEEN6thrust23THRUST_200600_302600_NS6detail15normal_iteratorINS8_10device_ptrIiEEEEjNS1_16block_id_wrapperIjLb1EEEEEvT_jjPNSG_10value_typeET0_PNSt15iterator_traitsISJ_E10value_typeEmT1_T2_.has_indirect_call, 0
	.section	.AMDGPU.csdata,"",@progbits
; Kernel info:
; codeLenInByte = 764
; TotalNumSgprs: 24
; NumVgprs: 7
; ScratchSize: 0
; MemoryBound: 0
; FloatMode: 240
; IeeeMode: 1
; LDSByteSize: 0 bytes/workgroup (compile time only)
; SGPRBlocks: 0
; VGPRBlocks: 0
; NumSGPRsForWavesPerEU: 24
; NumVGPRsForWavesPerEU: 7
; NamedBarCnt: 0
; Occupancy: 16
; WaveLimiterHint : 0
; COMPUTE_PGM_RSRC2:SCRATCH_EN: 0
; COMPUTE_PGM_RSRC2:USER_SGPR: 2
; COMPUTE_PGM_RSRC2:TRAP_HANDLER: 0
; COMPUTE_PGM_RSRC2:TGID_X_EN: 1
; COMPUTE_PGM_RSRC2:TGID_Y_EN: 0
; COMPUTE_PGM_RSRC2:TGID_Z_EN: 0
; COMPUTE_PGM_RSRC2:TIDIG_COMP_CNT: 0
	.section	.text._ZN7rocprim17ROCPRIM_400000_NS6detail30init_device_scan_by_key_kernelINS1_19lookback_scan_stateINS0_5tupleIJdbEEELb1ELb0EEENS1_16block_id_wrapperIjLb1EEEEEvT_jjPNS9_10value_typeET0_,"axG",@progbits,_ZN7rocprim17ROCPRIM_400000_NS6detail30init_device_scan_by_key_kernelINS1_19lookback_scan_stateINS0_5tupleIJdbEEELb1ELb0EEENS1_16block_id_wrapperIjLb1EEEEEvT_jjPNS9_10value_typeET0_,comdat
	.protected	_ZN7rocprim17ROCPRIM_400000_NS6detail30init_device_scan_by_key_kernelINS1_19lookback_scan_stateINS0_5tupleIJdbEEELb1ELb0EEENS1_16block_id_wrapperIjLb1EEEEEvT_jjPNS9_10value_typeET0_ ; -- Begin function _ZN7rocprim17ROCPRIM_400000_NS6detail30init_device_scan_by_key_kernelINS1_19lookback_scan_stateINS0_5tupleIJdbEEELb1ELb0EEENS1_16block_id_wrapperIjLb1EEEEEvT_jjPNS9_10value_typeET0_
	.globl	_ZN7rocprim17ROCPRIM_400000_NS6detail30init_device_scan_by_key_kernelINS1_19lookback_scan_stateINS0_5tupleIJdbEEELb1ELb0EEENS1_16block_id_wrapperIjLb1EEEEEvT_jjPNS9_10value_typeET0_
	.p2align	8
	.type	_ZN7rocprim17ROCPRIM_400000_NS6detail30init_device_scan_by_key_kernelINS1_19lookback_scan_stateINS0_5tupleIJdbEEELb1ELb0EEENS1_16block_id_wrapperIjLb1EEEEEvT_jjPNS9_10value_typeET0_,@function
_ZN7rocprim17ROCPRIM_400000_NS6detail30init_device_scan_by_key_kernelINS1_19lookback_scan_stateINS0_5tupleIJdbEEELb1ELb0EEENS1_16block_id_wrapperIjLb1EEEEEvT_jjPNS9_10value_typeET0_: ; @_ZN7rocprim17ROCPRIM_400000_NS6detail30init_device_scan_by_key_kernelINS1_19lookback_scan_stateINS0_5tupleIJdbEEELb1ELb0EEENS1_16block_id_wrapperIjLb1EEEEEvT_jjPNS9_10value_typeET0_
; %bb.0:
	s_clause 0x1
	s_load_b32 s2, s[0:1], 0x3c
	s_load_b256 s[4:11], s[0:1], 0x10
	s_bfe_u32 s3, ttmp6, 0x4000c
	s_and_b32 s12, ttmp6, 15
	s_add_co_i32 s3, s3, 1
	s_getreg_b32 s13, hwreg(HW_REG_IB_STS2, 6, 4)
	s_mul_i32 s3, ttmp9, s3
	s_delay_alu instid0(SALU_CYCLE_1)
	s_add_co_i32 s12, s12, s3
	s_wait_kmcnt 0x0
	s_and_b32 s2, s2, 0xffff
	s_cmp_eq_u32 s13, 0
	s_cselect_b32 s3, ttmp9, s12
	s_cmp_eq_u64 s[8:9], 0
	v_mad_u32 v0, s3, s2, v0
	s_cbranch_scc1 .LBB1095_9
; %bb.1:
	s_cmp_lt_u32 s7, s6
	s_mov_b32 s16, exec_lo
	s_cselect_b32 s2, s7, 0
	s_delay_alu instid0(VALU_DEP_1) | instid1(SALU_CYCLE_1)
	v_cmpx_eq_u32_e64 s2, v0
	s_cbranch_execz .LBB1095_8
; %bb.2:
	s_add_co_i32 s2, s7, 32
	s_load_b128 s[12:15], s[0:1], 0x0
	v_mov_b32_e32 v1, s2
	s_mov_b32 s3, 0
	global_load_u8 v1, v1, s[4:5] scope:SCOPE_DEV
	s_wait_loadcnt 0x0
	v_and_b32_e32 v2, 0xffff, v1
	v_readfirstlane_b32 s17, v1
	s_delay_alu instid0(VALU_DEP_2)
	v_cmp_ne_u32_e32 vcc_lo, 0, v2
	s_cbranch_vccnz .LBB1095_7
; %bb.3:
	v_mov_b32_e32 v1, 0
	s_add_nc_u64 s[0:1], s[4:5], s[2:3]
	s_mov_b32 s7, 1
.LBB1095_4:                             ; =>This Loop Header: Depth=1
                                        ;     Child Loop BB1095_5 Depth 2
	s_delay_alu instid0(SALU_CYCLE_1)
	s_mov_b32 s17, s7
.LBB1095_5:                             ;   Parent Loop BB1095_4 Depth=1
                                        ; =>  This Inner Loop Header: Depth=2
	s_delay_alu instid0(SALU_CYCLE_1)
	s_add_co_i32 s17, s17, -1
	s_sleep 1
	s_cmp_eq_u32 s17, 0
	s_cbranch_scc0 .LBB1095_5
; %bb.6:                                ;   in Loop: Header=BB1095_4 Depth=1
	global_load_u8 v2, v1, s[0:1] scope:SCOPE_DEV
	s_cmp_lt_u32 s7, 32
	s_cselect_b32 s17, -1, 0
	s_delay_alu instid0(SALU_CYCLE_1) | instskip(SKIP_4) | instid1(VALU_DEP_2)
	s_cmp_lg_u32 s17, 0
	s_add_co_ci_u32 s7, s7, 0
	s_wait_loadcnt 0x0
	v_and_b32_e32 v3, 0xffff, v2
	v_readfirstlane_b32 s17, v2
	v_cmp_ne_u32_e32 vcc_lo, 0, v3
	s_cbranch_vccz .LBB1095_4
.LBB1095_7:
	s_and_b32 s0, 0xffff, s17
	v_mov_b32_e32 v1, 0
	s_cmp_eq_u32 s0, 1
	global_wb scope:SCOPE_DEV
	s_wait_storecnt 0x0
	global_inv scope:SCOPE_DEV
	s_wait_kmcnt 0x0
	s_cselect_b32 s1, s13, s15
	s_cselect_b32 s0, s12, s14
	s_lshl_b64 s[2:3], s[2:3], 4
	s_delay_alu instid0(SALU_CYCLE_1)
	s_add_nc_u64 s[0:1], s[0:1], s[2:3]
	s_clause 0x1
	global_load_b64 v[2:3], v1, s[0:1]
	global_load_u8 v4, v1, s[0:1] offset:8
	s_wait_loadcnt 0x1
	global_store_b64 v1, v[2:3], s[8:9]
	s_wait_loadcnt 0x0
	global_store_b8 v1, v4, s[8:9] offset:8
.LBB1095_8:
	s_wait_xcnt 0x0
	s_or_b32 exec_lo, exec_lo, s16
.LBB1095_9:
	s_delay_alu instid0(SALU_CYCLE_1) | instskip(NEXT) | instid1(VALU_DEP_1)
	s_mov_b32 s0, exec_lo
	v_cmpx_eq_u32_e32 0, v0
	s_cbranch_execz .LBB1095_11
; %bb.10:
	v_mov_b32_e32 v1, 0
	global_store_b32 v1, v1, s[10:11]
.LBB1095_11:
	s_wait_xcnt 0x0
	s_or_b32 exec_lo, exec_lo, s0
	s_delay_alu instid0(SALU_CYCLE_1)
	s_mov_b32 s0, exec_lo
	v_cmpx_gt_u32_e64 s6, v0
	s_cbranch_execz .LBB1095_13
; %bb.12:
	v_dual_mov_b32 v2, 0 :: v_dual_add_nc_u32 v1, 32, v0
	global_store_b8 v1, v2, s[4:5]
.LBB1095_13:
	s_wait_xcnt 0x0
	s_or_b32 exec_lo, exec_lo, s0
	s_delay_alu instid0(SALU_CYCLE_1)
	s_mov_b32 s0, exec_lo
	v_cmpx_gt_u32_e32 32, v0
	s_cbranch_execz .LBB1095_15
; %bb.14:
	v_mov_b32_e32 v1, 0xff
	global_store_b8 v0, v1, s[4:5]
.LBB1095_15:
	s_endpgm
	.section	.rodata,"a",@progbits
	.p2align	6, 0x0
	.amdhsa_kernel _ZN7rocprim17ROCPRIM_400000_NS6detail30init_device_scan_by_key_kernelINS1_19lookback_scan_stateINS0_5tupleIJdbEEELb1ELb0EEENS1_16block_id_wrapperIjLb1EEEEEvT_jjPNS9_10value_typeET0_
		.amdhsa_group_segment_fixed_size 0
		.amdhsa_private_segment_fixed_size 0
		.amdhsa_kernarg_size 304
		.amdhsa_user_sgpr_count 2
		.amdhsa_user_sgpr_dispatch_ptr 0
		.amdhsa_user_sgpr_queue_ptr 0
		.amdhsa_user_sgpr_kernarg_segment_ptr 1
		.amdhsa_user_sgpr_dispatch_id 0
		.amdhsa_user_sgpr_kernarg_preload_length 0
		.amdhsa_user_sgpr_kernarg_preload_offset 0
		.amdhsa_user_sgpr_private_segment_size 0
		.amdhsa_wavefront_size32 1
		.amdhsa_uses_dynamic_stack 0
		.amdhsa_enable_private_segment 0
		.amdhsa_system_sgpr_workgroup_id_x 1
		.amdhsa_system_sgpr_workgroup_id_y 0
		.amdhsa_system_sgpr_workgroup_id_z 0
		.amdhsa_system_sgpr_workgroup_info 0
		.amdhsa_system_vgpr_workitem_id 0
		.amdhsa_next_free_vgpr 5
		.amdhsa_next_free_sgpr 18
		.amdhsa_named_barrier_count 0
		.amdhsa_reserve_vcc 1
		.amdhsa_float_round_mode_32 0
		.amdhsa_float_round_mode_16_64 0
		.amdhsa_float_denorm_mode_32 3
		.amdhsa_float_denorm_mode_16_64 3
		.amdhsa_fp16_overflow 0
		.amdhsa_memory_ordered 1
		.amdhsa_forward_progress 1
		.amdhsa_inst_pref_size 5
		.amdhsa_round_robin_scheduling 0
		.amdhsa_exception_fp_ieee_invalid_op 0
		.amdhsa_exception_fp_denorm_src 0
		.amdhsa_exception_fp_ieee_div_zero 0
		.amdhsa_exception_fp_ieee_overflow 0
		.amdhsa_exception_fp_ieee_underflow 0
		.amdhsa_exception_fp_ieee_inexact 0
		.amdhsa_exception_int_div_zero 0
	.end_amdhsa_kernel
	.section	.text._ZN7rocprim17ROCPRIM_400000_NS6detail30init_device_scan_by_key_kernelINS1_19lookback_scan_stateINS0_5tupleIJdbEEELb1ELb0EEENS1_16block_id_wrapperIjLb1EEEEEvT_jjPNS9_10value_typeET0_,"axG",@progbits,_ZN7rocprim17ROCPRIM_400000_NS6detail30init_device_scan_by_key_kernelINS1_19lookback_scan_stateINS0_5tupleIJdbEEELb1ELb0EEENS1_16block_id_wrapperIjLb1EEEEEvT_jjPNS9_10value_typeET0_,comdat
.Lfunc_end1095:
	.size	_ZN7rocprim17ROCPRIM_400000_NS6detail30init_device_scan_by_key_kernelINS1_19lookback_scan_stateINS0_5tupleIJdbEEELb1ELb0EEENS1_16block_id_wrapperIjLb1EEEEEvT_jjPNS9_10value_typeET0_, .Lfunc_end1095-_ZN7rocprim17ROCPRIM_400000_NS6detail30init_device_scan_by_key_kernelINS1_19lookback_scan_stateINS0_5tupleIJdbEEELb1ELb0EEENS1_16block_id_wrapperIjLb1EEEEEvT_jjPNS9_10value_typeET0_
                                        ; -- End function
	.set _ZN7rocprim17ROCPRIM_400000_NS6detail30init_device_scan_by_key_kernelINS1_19lookback_scan_stateINS0_5tupleIJdbEEELb1ELb0EEENS1_16block_id_wrapperIjLb1EEEEEvT_jjPNS9_10value_typeET0_.num_vgpr, 5
	.set _ZN7rocprim17ROCPRIM_400000_NS6detail30init_device_scan_by_key_kernelINS1_19lookback_scan_stateINS0_5tupleIJdbEEELb1ELb0EEENS1_16block_id_wrapperIjLb1EEEEEvT_jjPNS9_10value_typeET0_.num_agpr, 0
	.set _ZN7rocprim17ROCPRIM_400000_NS6detail30init_device_scan_by_key_kernelINS1_19lookback_scan_stateINS0_5tupleIJdbEEELb1ELb0EEENS1_16block_id_wrapperIjLb1EEEEEvT_jjPNS9_10value_typeET0_.numbered_sgpr, 18
	.set _ZN7rocprim17ROCPRIM_400000_NS6detail30init_device_scan_by_key_kernelINS1_19lookback_scan_stateINS0_5tupleIJdbEEELb1ELb0EEENS1_16block_id_wrapperIjLb1EEEEEvT_jjPNS9_10value_typeET0_.num_named_barrier, 0
	.set _ZN7rocprim17ROCPRIM_400000_NS6detail30init_device_scan_by_key_kernelINS1_19lookback_scan_stateINS0_5tupleIJdbEEELb1ELb0EEENS1_16block_id_wrapperIjLb1EEEEEvT_jjPNS9_10value_typeET0_.private_seg_size, 0
	.set _ZN7rocprim17ROCPRIM_400000_NS6detail30init_device_scan_by_key_kernelINS1_19lookback_scan_stateINS0_5tupleIJdbEEELb1ELb0EEENS1_16block_id_wrapperIjLb1EEEEEvT_jjPNS9_10value_typeET0_.uses_vcc, 1
	.set _ZN7rocprim17ROCPRIM_400000_NS6detail30init_device_scan_by_key_kernelINS1_19lookback_scan_stateINS0_5tupleIJdbEEELb1ELb0EEENS1_16block_id_wrapperIjLb1EEEEEvT_jjPNS9_10value_typeET0_.uses_flat_scratch, 0
	.set _ZN7rocprim17ROCPRIM_400000_NS6detail30init_device_scan_by_key_kernelINS1_19lookback_scan_stateINS0_5tupleIJdbEEELb1ELb0EEENS1_16block_id_wrapperIjLb1EEEEEvT_jjPNS9_10value_typeET0_.has_dyn_sized_stack, 0
	.set _ZN7rocprim17ROCPRIM_400000_NS6detail30init_device_scan_by_key_kernelINS1_19lookback_scan_stateINS0_5tupleIJdbEEELb1ELb0EEENS1_16block_id_wrapperIjLb1EEEEEvT_jjPNS9_10value_typeET0_.has_recursion, 0
	.set _ZN7rocprim17ROCPRIM_400000_NS6detail30init_device_scan_by_key_kernelINS1_19lookback_scan_stateINS0_5tupleIJdbEEELb1ELb0EEENS1_16block_id_wrapperIjLb1EEEEEvT_jjPNS9_10value_typeET0_.has_indirect_call, 0
	.section	.AMDGPU.csdata,"",@progbits
; Kernel info:
; codeLenInByte = 536
; TotalNumSgprs: 20
; NumVgprs: 5
; ScratchSize: 0
; MemoryBound: 0
; FloatMode: 240
; IeeeMode: 1
; LDSByteSize: 0 bytes/workgroup (compile time only)
; SGPRBlocks: 0
; VGPRBlocks: 0
; NumSGPRsForWavesPerEU: 20
; NumVGPRsForWavesPerEU: 5
; NamedBarCnt: 0
; Occupancy: 16
; WaveLimiterHint : 0
; COMPUTE_PGM_RSRC2:SCRATCH_EN: 0
; COMPUTE_PGM_RSRC2:USER_SGPR: 2
; COMPUTE_PGM_RSRC2:TRAP_HANDLER: 0
; COMPUTE_PGM_RSRC2:TGID_X_EN: 1
; COMPUTE_PGM_RSRC2:TGID_Y_EN: 0
; COMPUTE_PGM_RSRC2:TGID_Z_EN: 0
; COMPUTE_PGM_RSRC2:TIDIG_COMP_CNT: 0
	.section	.text._ZN7rocprim17ROCPRIM_400000_NS6detail17trampoline_kernelINS0_14default_configENS1_27scan_by_key_config_selectorIidEEZZNS1_16scan_by_key_implILNS1_25lookback_scan_determinismE0ELb0ES3_N6thrust23THRUST_200600_302600_NS6detail15normal_iteratorINS9_10device_ptrIiEEEENSB_INSC_IdEEEESG_dNS9_4plusIvEENS9_8equal_toIvEEdEE10hipError_tPvRmT2_T3_T4_T5_mT6_T7_P12ihipStream_tbENKUlT_T0_E_clISt17integral_constantIbLb1EES11_EEDaSW_SX_EUlSW_E_NS1_11comp_targetILNS1_3genE0ELNS1_11target_archE4294967295ELNS1_3gpuE0ELNS1_3repE0EEENS1_30default_config_static_selectorELNS0_4arch9wavefront6targetE0EEEvT1_,"axG",@progbits,_ZN7rocprim17ROCPRIM_400000_NS6detail17trampoline_kernelINS0_14default_configENS1_27scan_by_key_config_selectorIidEEZZNS1_16scan_by_key_implILNS1_25lookback_scan_determinismE0ELb0ES3_N6thrust23THRUST_200600_302600_NS6detail15normal_iteratorINS9_10device_ptrIiEEEENSB_INSC_IdEEEESG_dNS9_4plusIvEENS9_8equal_toIvEEdEE10hipError_tPvRmT2_T3_T4_T5_mT6_T7_P12ihipStream_tbENKUlT_T0_E_clISt17integral_constantIbLb1EES11_EEDaSW_SX_EUlSW_E_NS1_11comp_targetILNS1_3genE0ELNS1_11target_archE4294967295ELNS1_3gpuE0ELNS1_3repE0EEENS1_30default_config_static_selectorELNS0_4arch9wavefront6targetE0EEEvT1_,comdat
	.protected	_ZN7rocprim17ROCPRIM_400000_NS6detail17trampoline_kernelINS0_14default_configENS1_27scan_by_key_config_selectorIidEEZZNS1_16scan_by_key_implILNS1_25lookback_scan_determinismE0ELb0ES3_N6thrust23THRUST_200600_302600_NS6detail15normal_iteratorINS9_10device_ptrIiEEEENSB_INSC_IdEEEESG_dNS9_4plusIvEENS9_8equal_toIvEEdEE10hipError_tPvRmT2_T3_T4_T5_mT6_T7_P12ihipStream_tbENKUlT_T0_E_clISt17integral_constantIbLb1EES11_EEDaSW_SX_EUlSW_E_NS1_11comp_targetILNS1_3genE0ELNS1_11target_archE4294967295ELNS1_3gpuE0ELNS1_3repE0EEENS1_30default_config_static_selectorELNS0_4arch9wavefront6targetE0EEEvT1_ ; -- Begin function _ZN7rocprim17ROCPRIM_400000_NS6detail17trampoline_kernelINS0_14default_configENS1_27scan_by_key_config_selectorIidEEZZNS1_16scan_by_key_implILNS1_25lookback_scan_determinismE0ELb0ES3_N6thrust23THRUST_200600_302600_NS6detail15normal_iteratorINS9_10device_ptrIiEEEENSB_INSC_IdEEEESG_dNS9_4plusIvEENS9_8equal_toIvEEdEE10hipError_tPvRmT2_T3_T4_T5_mT6_T7_P12ihipStream_tbENKUlT_T0_E_clISt17integral_constantIbLb1EES11_EEDaSW_SX_EUlSW_E_NS1_11comp_targetILNS1_3genE0ELNS1_11target_archE4294967295ELNS1_3gpuE0ELNS1_3repE0EEENS1_30default_config_static_selectorELNS0_4arch9wavefront6targetE0EEEvT1_
	.globl	_ZN7rocprim17ROCPRIM_400000_NS6detail17trampoline_kernelINS0_14default_configENS1_27scan_by_key_config_selectorIidEEZZNS1_16scan_by_key_implILNS1_25lookback_scan_determinismE0ELb0ES3_N6thrust23THRUST_200600_302600_NS6detail15normal_iteratorINS9_10device_ptrIiEEEENSB_INSC_IdEEEESG_dNS9_4plusIvEENS9_8equal_toIvEEdEE10hipError_tPvRmT2_T3_T4_T5_mT6_T7_P12ihipStream_tbENKUlT_T0_E_clISt17integral_constantIbLb1EES11_EEDaSW_SX_EUlSW_E_NS1_11comp_targetILNS1_3genE0ELNS1_11target_archE4294967295ELNS1_3gpuE0ELNS1_3repE0EEENS1_30default_config_static_selectorELNS0_4arch9wavefront6targetE0EEEvT1_
	.p2align	8
	.type	_ZN7rocprim17ROCPRIM_400000_NS6detail17trampoline_kernelINS0_14default_configENS1_27scan_by_key_config_selectorIidEEZZNS1_16scan_by_key_implILNS1_25lookback_scan_determinismE0ELb0ES3_N6thrust23THRUST_200600_302600_NS6detail15normal_iteratorINS9_10device_ptrIiEEEENSB_INSC_IdEEEESG_dNS9_4plusIvEENS9_8equal_toIvEEdEE10hipError_tPvRmT2_T3_T4_T5_mT6_T7_P12ihipStream_tbENKUlT_T0_E_clISt17integral_constantIbLb1EES11_EEDaSW_SX_EUlSW_E_NS1_11comp_targetILNS1_3genE0ELNS1_11target_archE4294967295ELNS1_3gpuE0ELNS1_3repE0EEENS1_30default_config_static_selectorELNS0_4arch9wavefront6targetE0EEEvT1_,@function
_ZN7rocprim17ROCPRIM_400000_NS6detail17trampoline_kernelINS0_14default_configENS1_27scan_by_key_config_selectorIidEEZZNS1_16scan_by_key_implILNS1_25lookback_scan_determinismE0ELb0ES3_N6thrust23THRUST_200600_302600_NS6detail15normal_iteratorINS9_10device_ptrIiEEEENSB_INSC_IdEEEESG_dNS9_4plusIvEENS9_8equal_toIvEEdEE10hipError_tPvRmT2_T3_T4_T5_mT6_T7_P12ihipStream_tbENKUlT_T0_E_clISt17integral_constantIbLb1EES11_EEDaSW_SX_EUlSW_E_NS1_11comp_targetILNS1_3genE0ELNS1_11target_archE4294967295ELNS1_3gpuE0ELNS1_3repE0EEENS1_30default_config_static_selectorELNS0_4arch9wavefront6targetE0EEEvT1_: ; @_ZN7rocprim17ROCPRIM_400000_NS6detail17trampoline_kernelINS0_14default_configENS1_27scan_by_key_config_selectorIidEEZZNS1_16scan_by_key_implILNS1_25lookback_scan_determinismE0ELb0ES3_N6thrust23THRUST_200600_302600_NS6detail15normal_iteratorINS9_10device_ptrIiEEEENSB_INSC_IdEEEESG_dNS9_4plusIvEENS9_8equal_toIvEEdEE10hipError_tPvRmT2_T3_T4_T5_mT6_T7_P12ihipStream_tbENKUlT_T0_E_clISt17integral_constantIbLb1EES11_EEDaSW_SX_EUlSW_E_NS1_11comp_targetILNS1_3genE0ELNS1_11target_archE4294967295ELNS1_3gpuE0ELNS1_3repE0EEENS1_30default_config_static_selectorELNS0_4arch9wavefront6targetE0EEEvT1_
; %bb.0:
	s_endpgm
	.section	.rodata,"a",@progbits
	.p2align	6, 0x0
	.amdhsa_kernel _ZN7rocprim17ROCPRIM_400000_NS6detail17trampoline_kernelINS0_14default_configENS1_27scan_by_key_config_selectorIidEEZZNS1_16scan_by_key_implILNS1_25lookback_scan_determinismE0ELb0ES3_N6thrust23THRUST_200600_302600_NS6detail15normal_iteratorINS9_10device_ptrIiEEEENSB_INSC_IdEEEESG_dNS9_4plusIvEENS9_8equal_toIvEEdEE10hipError_tPvRmT2_T3_T4_T5_mT6_T7_P12ihipStream_tbENKUlT_T0_E_clISt17integral_constantIbLb1EES11_EEDaSW_SX_EUlSW_E_NS1_11comp_targetILNS1_3genE0ELNS1_11target_archE4294967295ELNS1_3gpuE0ELNS1_3repE0EEENS1_30default_config_static_selectorELNS0_4arch9wavefront6targetE0EEEvT1_
		.amdhsa_group_segment_fixed_size 0
		.amdhsa_private_segment_fixed_size 0
		.amdhsa_kernarg_size 136
		.amdhsa_user_sgpr_count 2
		.amdhsa_user_sgpr_dispatch_ptr 0
		.amdhsa_user_sgpr_queue_ptr 0
		.amdhsa_user_sgpr_kernarg_segment_ptr 1
		.amdhsa_user_sgpr_dispatch_id 0
		.amdhsa_user_sgpr_kernarg_preload_length 0
		.amdhsa_user_sgpr_kernarg_preload_offset 0
		.amdhsa_user_sgpr_private_segment_size 0
		.amdhsa_wavefront_size32 1
		.amdhsa_uses_dynamic_stack 0
		.amdhsa_enable_private_segment 0
		.amdhsa_system_sgpr_workgroup_id_x 1
		.amdhsa_system_sgpr_workgroup_id_y 0
		.amdhsa_system_sgpr_workgroup_id_z 0
		.amdhsa_system_sgpr_workgroup_info 0
		.amdhsa_system_vgpr_workitem_id 0
		.amdhsa_next_free_vgpr 1
		.amdhsa_next_free_sgpr 1
		.amdhsa_named_barrier_count 0
		.amdhsa_reserve_vcc 0
		.amdhsa_float_round_mode_32 0
		.amdhsa_float_round_mode_16_64 0
		.amdhsa_float_denorm_mode_32 3
		.amdhsa_float_denorm_mode_16_64 3
		.amdhsa_fp16_overflow 0
		.amdhsa_memory_ordered 1
		.amdhsa_forward_progress 1
		.amdhsa_inst_pref_size 1
		.amdhsa_round_robin_scheduling 0
		.amdhsa_exception_fp_ieee_invalid_op 0
		.amdhsa_exception_fp_denorm_src 0
		.amdhsa_exception_fp_ieee_div_zero 0
		.amdhsa_exception_fp_ieee_overflow 0
		.amdhsa_exception_fp_ieee_underflow 0
		.amdhsa_exception_fp_ieee_inexact 0
		.amdhsa_exception_int_div_zero 0
	.end_amdhsa_kernel
	.section	.text._ZN7rocprim17ROCPRIM_400000_NS6detail17trampoline_kernelINS0_14default_configENS1_27scan_by_key_config_selectorIidEEZZNS1_16scan_by_key_implILNS1_25lookback_scan_determinismE0ELb0ES3_N6thrust23THRUST_200600_302600_NS6detail15normal_iteratorINS9_10device_ptrIiEEEENSB_INSC_IdEEEESG_dNS9_4plusIvEENS9_8equal_toIvEEdEE10hipError_tPvRmT2_T3_T4_T5_mT6_T7_P12ihipStream_tbENKUlT_T0_E_clISt17integral_constantIbLb1EES11_EEDaSW_SX_EUlSW_E_NS1_11comp_targetILNS1_3genE0ELNS1_11target_archE4294967295ELNS1_3gpuE0ELNS1_3repE0EEENS1_30default_config_static_selectorELNS0_4arch9wavefront6targetE0EEEvT1_,"axG",@progbits,_ZN7rocprim17ROCPRIM_400000_NS6detail17trampoline_kernelINS0_14default_configENS1_27scan_by_key_config_selectorIidEEZZNS1_16scan_by_key_implILNS1_25lookback_scan_determinismE0ELb0ES3_N6thrust23THRUST_200600_302600_NS6detail15normal_iteratorINS9_10device_ptrIiEEEENSB_INSC_IdEEEESG_dNS9_4plusIvEENS9_8equal_toIvEEdEE10hipError_tPvRmT2_T3_T4_T5_mT6_T7_P12ihipStream_tbENKUlT_T0_E_clISt17integral_constantIbLb1EES11_EEDaSW_SX_EUlSW_E_NS1_11comp_targetILNS1_3genE0ELNS1_11target_archE4294967295ELNS1_3gpuE0ELNS1_3repE0EEENS1_30default_config_static_selectorELNS0_4arch9wavefront6targetE0EEEvT1_,comdat
.Lfunc_end1096:
	.size	_ZN7rocprim17ROCPRIM_400000_NS6detail17trampoline_kernelINS0_14default_configENS1_27scan_by_key_config_selectorIidEEZZNS1_16scan_by_key_implILNS1_25lookback_scan_determinismE0ELb0ES3_N6thrust23THRUST_200600_302600_NS6detail15normal_iteratorINS9_10device_ptrIiEEEENSB_INSC_IdEEEESG_dNS9_4plusIvEENS9_8equal_toIvEEdEE10hipError_tPvRmT2_T3_T4_T5_mT6_T7_P12ihipStream_tbENKUlT_T0_E_clISt17integral_constantIbLb1EES11_EEDaSW_SX_EUlSW_E_NS1_11comp_targetILNS1_3genE0ELNS1_11target_archE4294967295ELNS1_3gpuE0ELNS1_3repE0EEENS1_30default_config_static_selectorELNS0_4arch9wavefront6targetE0EEEvT1_, .Lfunc_end1096-_ZN7rocprim17ROCPRIM_400000_NS6detail17trampoline_kernelINS0_14default_configENS1_27scan_by_key_config_selectorIidEEZZNS1_16scan_by_key_implILNS1_25lookback_scan_determinismE0ELb0ES3_N6thrust23THRUST_200600_302600_NS6detail15normal_iteratorINS9_10device_ptrIiEEEENSB_INSC_IdEEEESG_dNS9_4plusIvEENS9_8equal_toIvEEdEE10hipError_tPvRmT2_T3_T4_T5_mT6_T7_P12ihipStream_tbENKUlT_T0_E_clISt17integral_constantIbLb1EES11_EEDaSW_SX_EUlSW_E_NS1_11comp_targetILNS1_3genE0ELNS1_11target_archE4294967295ELNS1_3gpuE0ELNS1_3repE0EEENS1_30default_config_static_selectorELNS0_4arch9wavefront6targetE0EEEvT1_
                                        ; -- End function
	.set _ZN7rocprim17ROCPRIM_400000_NS6detail17trampoline_kernelINS0_14default_configENS1_27scan_by_key_config_selectorIidEEZZNS1_16scan_by_key_implILNS1_25lookback_scan_determinismE0ELb0ES3_N6thrust23THRUST_200600_302600_NS6detail15normal_iteratorINS9_10device_ptrIiEEEENSB_INSC_IdEEEESG_dNS9_4plusIvEENS9_8equal_toIvEEdEE10hipError_tPvRmT2_T3_T4_T5_mT6_T7_P12ihipStream_tbENKUlT_T0_E_clISt17integral_constantIbLb1EES11_EEDaSW_SX_EUlSW_E_NS1_11comp_targetILNS1_3genE0ELNS1_11target_archE4294967295ELNS1_3gpuE0ELNS1_3repE0EEENS1_30default_config_static_selectorELNS0_4arch9wavefront6targetE0EEEvT1_.num_vgpr, 0
	.set _ZN7rocprim17ROCPRIM_400000_NS6detail17trampoline_kernelINS0_14default_configENS1_27scan_by_key_config_selectorIidEEZZNS1_16scan_by_key_implILNS1_25lookback_scan_determinismE0ELb0ES3_N6thrust23THRUST_200600_302600_NS6detail15normal_iteratorINS9_10device_ptrIiEEEENSB_INSC_IdEEEESG_dNS9_4plusIvEENS9_8equal_toIvEEdEE10hipError_tPvRmT2_T3_T4_T5_mT6_T7_P12ihipStream_tbENKUlT_T0_E_clISt17integral_constantIbLb1EES11_EEDaSW_SX_EUlSW_E_NS1_11comp_targetILNS1_3genE0ELNS1_11target_archE4294967295ELNS1_3gpuE0ELNS1_3repE0EEENS1_30default_config_static_selectorELNS0_4arch9wavefront6targetE0EEEvT1_.num_agpr, 0
	.set _ZN7rocprim17ROCPRIM_400000_NS6detail17trampoline_kernelINS0_14default_configENS1_27scan_by_key_config_selectorIidEEZZNS1_16scan_by_key_implILNS1_25lookback_scan_determinismE0ELb0ES3_N6thrust23THRUST_200600_302600_NS6detail15normal_iteratorINS9_10device_ptrIiEEEENSB_INSC_IdEEEESG_dNS9_4plusIvEENS9_8equal_toIvEEdEE10hipError_tPvRmT2_T3_T4_T5_mT6_T7_P12ihipStream_tbENKUlT_T0_E_clISt17integral_constantIbLb1EES11_EEDaSW_SX_EUlSW_E_NS1_11comp_targetILNS1_3genE0ELNS1_11target_archE4294967295ELNS1_3gpuE0ELNS1_3repE0EEENS1_30default_config_static_selectorELNS0_4arch9wavefront6targetE0EEEvT1_.numbered_sgpr, 0
	.set _ZN7rocprim17ROCPRIM_400000_NS6detail17trampoline_kernelINS0_14default_configENS1_27scan_by_key_config_selectorIidEEZZNS1_16scan_by_key_implILNS1_25lookback_scan_determinismE0ELb0ES3_N6thrust23THRUST_200600_302600_NS6detail15normal_iteratorINS9_10device_ptrIiEEEENSB_INSC_IdEEEESG_dNS9_4plusIvEENS9_8equal_toIvEEdEE10hipError_tPvRmT2_T3_T4_T5_mT6_T7_P12ihipStream_tbENKUlT_T0_E_clISt17integral_constantIbLb1EES11_EEDaSW_SX_EUlSW_E_NS1_11comp_targetILNS1_3genE0ELNS1_11target_archE4294967295ELNS1_3gpuE0ELNS1_3repE0EEENS1_30default_config_static_selectorELNS0_4arch9wavefront6targetE0EEEvT1_.num_named_barrier, 0
	.set _ZN7rocprim17ROCPRIM_400000_NS6detail17trampoline_kernelINS0_14default_configENS1_27scan_by_key_config_selectorIidEEZZNS1_16scan_by_key_implILNS1_25lookback_scan_determinismE0ELb0ES3_N6thrust23THRUST_200600_302600_NS6detail15normal_iteratorINS9_10device_ptrIiEEEENSB_INSC_IdEEEESG_dNS9_4plusIvEENS9_8equal_toIvEEdEE10hipError_tPvRmT2_T3_T4_T5_mT6_T7_P12ihipStream_tbENKUlT_T0_E_clISt17integral_constantIbLb1EES11_EEDaSW_SX_EUlSW_E_NS1_11comp_targetILNS1_3genE0ELNS1_11target_archE4294967295ELNS1_3gpuE0ELNS1_3repE0EEENS1_30default_config_static_selectorELNS0_4arch9wavefront6targetE0EEEvT1_.private_seg_size, 0
	.set _ZN7rocprim17ROCPRIM_400000_NS6detail17trampoline_kernelINS0_14default_configENS1_27scan_by_key_config_selectorIidEEZZNS1_16scan_by_key_implILNS1_25lookback_scan_determinismE0ELb0ES3_N6thrust23THRUST_200600_302600_NS6detail15normal_iteratorINS9_10device_ptrIiEEEENSB_INSC_IdEEEESG_dNS9_4plusIvEENS9_8equal_toIvEEdEE10hipError_tPvRmT2_T3_T4_T5_mT6_T7_P12ihipStream_tbENKUlT_T0_E_clISt17integral_constantIbLb1EES11_EEDaSW_SX_EUlSW_E_NS1_11comp_targetILNS1_3genE0ELNS1_11target_archE4294967295ELNS1_3gpuE0ELNS1_3repE0EEENS1_30default_config_static_selectorELNS0_4arch9wavefront6targetE0EEEvT1_.uses_vcc, 0
	.set _ZN7rocprim17ROCPRIM_400000_NS6detail17trampoline_kernelINS0_14default_configENS1_27scan_by_key_config_selectorIidEEZZNS1_16scan_by_key_implILNS1_25lookback_scan_determinismE0ELb0ES3_N6thrust23THRUST_200600_302600_NS6detail15normal_iteratorINS9_10device_ptrIiEEEENSB_INSC_IdEEEESG_dNS9_4plusIvEENS9_8equal_toIvEEdEE10hipError_tPvRmT2_T3_T4_T5_mT6_T7_P12ihipStream_tbENKUlT_T0_E_clISt17integral_constantIbLb1EES11_EEDaSW_SX_EUlSW_E_NS1_11comp_targetILNS1_3genE0ELNS1_11target_archE4294967295ELNS1_3gpuE0ELNS1_3repE0EEENS1_30default_config_static_selectorELNS0_4arch9wavefront6targetE0EEEvT1_.uses_flat_scratch, 0
	.set _ZN7rocprim17ROCPRIM_400000_NS6detail17trampoline_kernelINS0_14default_configENS1_27scan_by_key_config_selectorIidEEZZNS1_16scan_by_key_implILNS1_25lookback_scan_determinismE0ELb0ES3_N6thrust23THRUST_200600_302600_NS6detail15normal_iteratorINS9_10device_ptrIiEEEENSB_INSC_IdEEEESG_dNS9_4plusIvEENS9_8equal_toIvEEdEE10hipError_tPvRmT2_T3_T4_T5_mT6_T7_P12ihipStream_tbENKUlT_T0_E_clISt17integral_constantIbLb1EES11_EEDaSW_SX_EUlSW_E_NS1_11comp_targetILNS1_3genE0ELNS1_11target_archE4294967295ELNS1_3gpuE0ELNS1_3repE0EEENS1_30default_config_static_selectorELNS0_4arch9wavefront6targetE0EEEvT1_.has_dyn_sized_stack, 0
	.set _ZN7rocprim17ROCPRIM_400000_NS6detail17trampoline_kernelINS0_14default_configENS1_27scan_by_key_config_selectorIidEEZZNS1_16scan_by_key_implILNS1_25lookback_scan_determinismE0ELb0ES3_N6thrust23THRUST_200600_302600_NS6detail15normal_iteratorINS9_10device_ptrIiEEEENSB_INSC_IdEEEESG_dNS9_4plusIvEENS9_8equal_toIvEEdEE10hipError_tPvRmT2_T3_T4_T5_mT6_T7_P12ihipStream_tbENKUlT_T0_E_clISt17integral_constantIbLb1EES11_EEDaSW_SX_EUlSW_E_NS1_11comp_targetILNS1_3genE0ELNS1_11target_archE4294967295ELNS1_3gpuE0ELNS1_3repE0EEENS1_30default_config_static_selectorELNS0_4arch9wavefront6targetE0EEEvT1_.has_recursion, 0
	.set _ZN7rocprim17ROCPRIM_400000_NS6detail17trampoline_kernelINS0_14default_configENS1_27scan_by_key_config_selectorIidEEZZNS1_16scan_by_key_implILNS1_25lookback_scan_determinismE0ELb0ES3_N6thrust23THRUST_200600_302600_NS6detail15normal_iteratorINS9_10device_ptrIiEEEENSB_INSC_IdEEEESG_dNS9_4plusIvEENS9_8equal_toIvEEdEE10hipError_tPvRmT2_T3_T4_T5_mT6_T7_P12ihipStream_tbENKUlT_T0_E_clISt17integral_constantIbLb1EES11_EEDaSW_SX_EUlSW_E_NS1_11comp_targetILNS1_3genE0ELNS1_11target_archE4294967295ELNS1_3gpuE0ELNS1_3repE0EEENS1_30default_config_static_selectorELNS0_4arch9wavefront6targetE0EEEvT1_.has_indirect_call, 0
	.section	.AMDGPU.csdata,"",@progbits
; Kernel info:
; codeLenInByte = 4
; TotalNumSgprs: 0
; NumVgprs: 0
; ScratchSize: 0
; MemoryBound: 0
; FloatMode: 240
; IeeeMode: 1
; LDSByteSize: 0 bytes/workgroup (compile time only)
; SGPRBlocks: 0
; VGPRBlocks: 0
; NumSGPRsForWavesPerEU: 1
; NumVGPRsForWavesPerEU: 1
; NamedBarCnt: 0
; Occupancy: 16
; WaveLimiterHint : 0
; COMPUTE_PGM_RSRC2:SCRATCH_EN: 0
; COMPUTE_PGM_RSRC2:USER_SGPR: 2
; COMPUTE_PGM_RSRC2:TRAP_HANDLER: 0
; COMPUTE_PGM_RSRC2:TGID_X_EN: 1
; COMPUTE_PGM_RSRC2:TGID_Y_EN: 0
; COMPUTE_PGM_RSRC2:TGID_Z_EN: 0
; COMPUTE_PGM_RSRC2:TIDIG_COMP_CNT: 0
	.section	.text._ZN7rocprim17ROCPRIM_400000_NS6detail17trampoline_kernelINS0_14default_configENS1_27scan_by_key_config_selectorIidEEZZNS1_16scan_by_key_implILNS1_25lookback_scan_determinismE0ELb0ES3_N6thrust23THRUST_200600_302600_NS6detail15normal_iteratorINS9_10device_ptrIiEEEENSB_INSC_IdEEEESG_dNS9_4plusIvEENS9_8equal_toIvEEdEE10hipError_tPvRmT2_T3_T4_T5_mT6_T7_P12ihipStream_tbENKUlT_T0_E_clISt17integral_constantIbLb1EES11_EEDaSW_SX_EUlSW_E_NS1_11comp_targetILNS1_3genE10ELNS1_11target_archE1201ELNS1_3gpuE5ELNS1_3repE0EEENS1_30default_config_static_selectorELNS0_4arch9wavefront6targetE0EEEvT1_,"axG",@progbits,_ZN7rocprim17ROCPRIM_400000_NS6detail17trampoline_kernelINS0_14default_configENS1_27scan_by_key_config_selectorIidEEZZNS1_16scan_by_key_implILNS1_25lookback_scan_determinismE0ELb0ES3_N6thrust23THRUST_200600_302600_NS6detail15normal_iteratorINS9_10device_ptrIiEEEENSB_INSC_IdEEEESG_dNS9_4plusIvEENS9_8equal_toIvEEdEE10hipError_tPvRmT2_T3_T4_T5_mT6_T7_P12ihipStream_tbENKUlT_T0_E_clISt17integral_constantIbLb1EES11_EEDaSW_SX_EUlSW_E_NS1_11comp_targetILNS1_3genE10ELNS1_11target_archE1201ELNS1_3gpuE5ELNS1_3repE0EEENS1_30default_config_static_selectorELNS0_4arch9wavefront6targetE0EEEvT1_,comdat
	.protected	_ZN7rocprim17ROCPRIM_400000_NS6detail17trampoline_kernelINS0_14default_configENS1_27scan_by_key_config_selectorIidEEZZNS1_16scan_by_key_implILNS1_25lookback_scan_determinismE0ELb0ES3_N6thrust23THRUST_200600_302600_NS6detail15normal_iteratorINS9_10device_ptrIiEEEENSB_INSC_IdEEEESG_dNS9_4plusIvEENS9_8equal_toIvEEdEE10hipError_tPvRmT2_T3_T4_T5_mT6_T7_P12ihipStream_tbENKUlT_T0_E_clISt17integral_constantIbLb1EES11_EEDaSW_SX_EUlSW_E_NS1_11comp_targetILNS1_3genE10ELNS1_11target_archE1201ELNS1_3gpuE5ELNS1_3repE0EEENS1_30default_config_static_selectorELNS0_4arch9wavefront6targetE0EEEvT1_ ; -- Begin function _ZN7rocprim17ROCPRIM_400000_NS6detail17trampoline_kernelINS0_14default_configENS1_27scan_by_key_config_selectorIidEEZZNS1_16scan_by_key_implILNS1_25lookback_scan_determinismE0ELb0ES3_N6thrust23THRUST_200600_302600_NS6detail15normal_iteratorINS9_10device_ptrIiEEEENSB_INSC_IdEEEESG_dNS9_4plusIvEENS9_8equal_toIvEEdEE10hipError_tPvRmT2_T3_T4_T5_mT6_T7_P12ihipStream_tbENKUlT_T0_E_clISt17integral_constantIbLb1EES11_EEDaSW_SX_EUlSW_E_NS1_11comp_targetILNS1_3genE10ELNS1_11target_archE1201ELNS1_3gpuE5ELNS1_3repE0EEENS1_30default_config_static_selectorELNS0_4arch9wavefront6targetE0EEEvT1_
	.globl	_ZN7rocprim17ROCPRIM_400000_NS6detail17trampoline_kernelINS0_14default_configENS1_27scan_by_key_config_selectorIidEEZZNS1_16scan_by_key_implILNS1_25lookback_scan_determinismE0ELb0ES3_N6thrust23THRUST_200600_302600_NS6detail15normal_iteratorINS9_10device_ptrIiEEEENSB_INSC_IdEEEESG_dNS9_4plusIvEENS9_8equal_toIvEEdEE10hipError_tPvRmT2_T3_T4_T5_mT6_T7_P12ihipStream_tbENKUlT_T0_E_clISt17integral_constantIbLb1EES11_EEDaSW_SX_EUlSW_E_NS1_11comp_targetILNS1_3genE10ELNS1_11target_archE1201ELNS1_3gpuE5ELNS1_3repE0EEENS1_30default_config_static_selectorELNS0_4arch9wavefront6targetE0EEEvT1_
	.p2align	8
	.type	_ZN7rocprim17ROCPRIM_400000_NS6detail17trampoline_kernelINS0_14default_configENS1_27scan_by_key_config_selectorIidEEZZNS1_16scan_by_key_implILNS1_25lookback_scan_determinismE0ELb0ES3_N6thrust23THRUST_200600_302600_NS6detail15normal_iteratorINS9_10device_ptrIiEEEENSB_INSC_IdEEEESG_dNS9_4plusIvEENS9_8equal_toIvEEdEE10hipError_tPvRmT2_T3_T4_T5_mT6_T7_P12ihipStream_tbENKUlT_T0_E_clISt17integral_constantIbLb1EES11_EEDaSW_SX_EUlSW_E_NS1_11comp_targetILNS1_3genE10ELNS1_11target_archE1201ELNS1_3gpuE5ELNS1_3repE0EEENS1_30default_config_static_selectorELNS0_4arch9wavefront6targetE0EEEvT1_,@function
_ZN7rocprim17ROCPRIM_400000_NS6detail17trampoline_kernelINS0_14default_configENS1_27scan_by_key_config_selectorIidEEZZNS1_16scan_by_key_implILNS1_25lookback_scan_determinismE0ELb0ES3_N6thrust23THRUST_200600_302600_NS6detail15normal_iteratorINS9_10device_ptrIiEEEENSB_INSC_IdEEEESG_dNS9_4plusIvEENS9_8equal_toIvEEdEE10hipError_tPvRmT2_T3_T4_T5_mT6_T7_P12ihipStream_tbENKUlT_T0_E_clISt17integral_constantIbLb1EES11_EEDaSW_SX_EUlSW_E_NS1_11comp_targetILNS1_3genE10ELNS1_11target_archE1201ELNS1_3gpuE5ELNS1_3repE0EEENS1_30default_config_static_selectorELNS0_4arch9wavefront6targetE0EEEvT1_: ; @_ZN7rocprim17ROCPRIM_400000_NS6detail17trampoline_kernelINS0_14default_configENS1_27scan_by_key_config_selectorIidEEZZNS1_16scan_by_key_implILNS1_25lookback_scan_determinismE0ELb0ES3_N6thrust23THRUST_200600_302600_NS6detail15normal_iteratorINS9_10device_ptrIiEEEENSB_INSC_IdEEEESG_dNS9_4plusIvEENS9_8equal_toIvEEdEE10hipError_tPvRmT2_T3_T4_T5_mT6_T7_P12ihipStream_tbENKUlT_T0_E_clISt17integral_constantIbLb1EES11_EEDaSW_SX_EUlSW_E_NS1_11comp_targetILNS1_3genE10ELNS1_11target_archE1201ELNS1_3gpuE5ELNS1_3repE0EEENS1_30default_config_static_selectorELNS0_4arch9wavefront6targetE0EEEvT1_
; %bb.0:
	.section	.rodata,"a",@progbits
	.p2align	6, 0x0
	.amdhsa_kernel _ZN7rocprim17ROCPRIM_400000_NS6detail17trampoline_kernelINS0_14default_configENS1_27scan_by_key_config_selectorIidEEZZNS1_16scan_by_key_implILNS1_25lookback_scan_determinismE0ELb0ES3_N6thrust23THRUST_200600_302600_NS6detail15normal_iteratorINS9_10device_ptrIiEEEENSB_INSC_IdEEEESG_dNS9_4plusIvEENS9_8equal_toIvEEdEE10hipError_tPvRmT2_T3_T4_T5_mT6_T7_P12ihipStream_tbENKUlT_T0_E_clISt17integral_constantIbLb1EES11_EEDaSW_SX_EUlSW_E_NS1_11comp_targetILNS1_3genE10ELNS1_11target_archE1201ELNS1_3gpuE5ELNS1_3repE0EEENS1_30default_config_static_selectorELNS0_4arch9wavefront6targetE0EEEvT1_
		.amdhsa_group_segment_fixed_size 0
		.amdhsa_private_segment_fixed_size 0
		.amdhsa_kernarg_size 136
		.amdhsa_user_sgpr_count 2
		.amdhsa_user_sgpr_dispatch_ptr 0
		.amdhsa_user_sgpr_queue_ptr 0
		.amdhsa_user_sgpr_kernarg_segment_ptr 1
		.amdhsa_user_sgpr_dispatch_id 0
		.amdhsa_user_sgpr_kernarg_preload_length 0
		.amdhsa_user_sgpr_kernarg_preload_offset 0
		.amdhsa_user_sgpr_private_segment_size 0
		.amdhsa_wavefront_size32 1
		.amdhsa_uses_dynamic_stack 0
		.amdhsa_enable_private_segment 0
		.amdhsa_system_sgpr_workgroup_id_x 1
		.amdhsa_system_sgpr_workgroup_id_y 0
		.amdhsa_system_sgpr_workgroup_id_z 0
		.amdhsa_system_sgpr_workgroup_info 0
		.amdhsa_system_vgpr_workitem_id 0
		.amdhsa_next_free_vgpr 1
		.amdhsa_next_free_sgpr 1
		.amdhsa_named_barrier_count 0
		.amdhsa_reserve_vcc 0
		.amdhsa_float_round_mode_32 0
		.amdhsa_float_round_mode_16_64 0
		.amdhsa_float_denorm_mode_32 3
		.amdhsa_float_denorm_mode_16_64 3
		.amdhsa_fp16_overflow 0
		.amdhsa_memory_ordered 1
		.amdhsa_forward_progress 1
		.amdhsa_inst_pref_size 0
		.amdhsa_round_robin_scheduling 0
		.amdhsa_exception_fp_ieee_invalid_op 0
		.amdhsa_exception_fp_denorm_src 0
		.amdhsa_exception_fp_ieee_div_zero 0
		.amdhsa_exception_fp_ieee_overflow 0
		.amdhsa_exception_fp_ieee_underflow 0
		.amdhsa_exception_fp_ieee_inexact 0
		.amdhsa_exception_int_div_zero 0
	.end_amdhsa_kernel
	.section	.text._ZN7rocprim17ROCPRIM_400000_NS6detail17trampoline_kernelINS0_14default_configENS1_27scan_by_key_config_selectorIidEEZZNS1_16scan_by_key_implILNS1_25lookback_scan_determinismE0ELb0ES3_N6thrust23THRUST_200600_302600_NS6detail15normal_iteratorINS9_10device_ptrIiEEEENSB_INSC_IdEEEESG_dNS9_4plusIvEENS9_8equal_toIvEEdEE10hipError_tPvRmT2_T3_T4_T5_mT6_T7_P12ihipStream_tbENKUlT_T0_E_clISt17integral_constantIbLb1EES11_EEDaSW_SX_EUlSW_E_NS1_11comp_targetILNS1_3genE10ELNS1_11target_archE1201ELNS1_3gpuE5ELNS1_3repE0EEENS1_30default_config_static_selectorELNS0_4arch9wavefront6targetE0EEEvT1_,"axG",@progbits,_ZN7rocprim17ROCPRIM_400000_NS6detail17trampoline_kernelINS0_14default_configENS1_27scan_by_key_config_selectorIidEEZZNS1_16scan_by_key_implILNS1_25lookback_scan_determinismE0ELb0ES3_N6thrust23THRUST_200600_302600_NS6detail15normal_iteratorINS9_10device_ptrIiEEEENSB_INSC_IdEEEESG_dNS9_4plusIvEENS9_8equal_toIvEEdEE10hipError_tPvRmT2_T3_T4_T5_mT6_T7_P12ihipStream_tbENKUlT_T0_E_clISt17integral_constantIbLb1EES11_EEDaSW_SX_EUlSW_E_NS1_11comp_targetILNS1_3genE10ELNS1_11target_archE1201ELNS1_3gpuE5ELNS1_3repE0EEENS1_30default_config_static_selectorELNS0_4arch9wavefront6targetE0EEEvT1_,comdat
.Lfunc_end1097:
	.size	_ZN7rocprim17ROCPRIM_400000_NS6detail17trampoline_kernelINS0_14default_configENS1_27scan_by_key_config_selectorIidEEZZNS1_16scan_by_key_implILNS1_25lookback_scan_determinismE0ELb0ES3_N6thrust23THRUST_200600_302600_NS6detail15normal_iteratorINS9_10device_ptrIiEEEENSB_INSC_IdEEEESG_dNS9_4plusIvEENS9_8equal_toIvEEdEE10hipError_tPvRmT2_T3_T4_T5_mT6_T7_P12ihipStream_tbENKUlT_T0_E_clISt17integral_constantIbLb1EES11_EEDaSW_SX_EUlSW_E_NS1_11comp_targetILNS1_3genE10ELNS1_11target_archE1201ELNS1_3gpuE5ELNS1_3repE0EEENS1_30default_config_static_selectorELNS0_4arch9wavefront6targetE0EEEvT1_, .Lfunc_end1097-_ZN7rocprim17ROCPRIM_400000_NS6detail17trampoline_kernelINS0_14default_configENS1_27scan_by_key_config_selectorIidEEZZNS1_16scan_by_key_implILNS1_25lookback_scan_determinismE0ELb0ES3_N6thrust23THRUST_200600_302600_NS6detail15normal_iteratorINS9_10device_ptrIiEEEENSB_INSC_IdEEEESG_dNS9_4plusIvEENS9_8equal_toIvEEdEE10hipError_tPvRmT2_T3_T4_T5_mT6_T7_P12ihipStream_tbENKUlT_T0_E_clISt17integral_constantIbLb1EES11_EEDaSW_SX_EUlSW_E_NS1_11comp_targetILNS1_3genE10ELNS1_11target_archE1201ELNS1_3gpuE5ELNS1_3repE0EEENS1_30default_config_static_selectorELNS0_4arch9wavefront6targetE0EEEvT1_
                                        ; -- End function
	.set _ZN7rocprim17ROCPRIM_400000_NS6detail17trampoline_kernelINS0_14default_configENS1_27scan_by_key_config_selectorIidEEZZNS1_16scan_by_key_implILNS1_25lookback_scan_determinismE0ELb0ES3_N6thrust23THRUST_200600_302600_NS6detail15normal_iteratorINS9_10device_ptrIiEEEENSB_INSC_IdEEEESG_dNS9_4plusIvEENS9_8equal_toIvEEdEE10hipError_tPvRmT2_T3_T4_T5_mT6_T7_P12ihipStream_tbENKUlT_T0_E_clISt17integral_constantIbLb1EES11_EEDaSW_SX_EUlSW_E_NS1_11comp_targetILNS1_3genE10ELNS1_11target_archE1201ELNS1_3gpuE5ELNS1_3repE0EEENS1_30default_config_static_selectorELNS0_4arch9wavefront6targetE0EEEvT1_.num_vgpr, 0
	.set _ZN7rocprim17ROCPRIM_400000_NS6detail17trampoline_kernelINS0_14default_configENS1_27scan_by_key_config_selectorIidEEZZNS1_16scan_by_key_implILNS1_25lookback_scan_determinismE0ELb0ES3_N6thrust23THRUST_200600_302600_NS6detail15normal_iteratorINS9_10device_ptrIiEEEENSB_INSC_IdEEEESG_dNS9_4plusIvEENS9_8equal_toIvEEdEE10hipError_tPvRmT2_T3_T4_T5_mT6_T7_P12ihipStream_tbENKUlT_T0_E_clISt17integral_constantIbLb1EES11_EEDaSW_SX_EUlSW_E_NS1_11comp_targetILNS1_3genE10ELNS1_11target_archE1201ELNS1_3gpuE5ELNS1_3repE0EEENS1_30default_config_static_selectorELNS0_4arch9wavefront6targetE0EEEvT1_.num_agpr, 0
	.set _ZN7rocprim17ROCPRIM_400000_NS6detail17trampoline_kernelINS0_14default_configENS1_27scan_by_key_config_selectorIidEEZZNS1_16scan_by_key_implILNS1_25lookback_scan_determinismE0ELb0ES3_N6thrust23THRUST_200600_302600_NS6detail15normal_iteratorINS9_10device_ptrIiEEEENSB_INSC_IdEEEESG_dNS9_4plusIvEENS9_8equal_toIvEEdEE10hipError_tPvRmT2_T3_T4_T5_mT6_T7_P12ihipStream_tbENKUlT_T0_E_clISt17integral_constantIbLb1EES11_EEDaSW_SX_EUlSW_E_NS1_11comp_targetILNS1_3genE10ELNS1_11target_archE1201ELNS1_3gpuE5ELNS1_3repE0EEENS1_30default_config_static_selectorELNS0_4arch9wavefront6targetE0EEEvT1_.numbered_sgpr, 0
	.set _ZN7rocprim17ROCPRIM_400000_NS6detail17trampoline_kernelINS0_14default_configENS1_27scan_by_key_config_selectorIidEEZZNS1_16scan_by_key_implILNS1_25lookback_scan_determinismE0ELb0ES3_N6thrust23THRUST_200600_302600_NS6detail15normal_iteratorINS9_10device_ptrIiEEEENSB_INSC_IdEEEESG_dNS9_4plusIvEENS9_8equal_toIvEEdEE10hipError_tPvRmT2_T3_T4_T5_mT6_T7_P12ihipStream_tbENKUlT_T0_E_clISt17integral_constantIbLb1EES11_EEDaSW_SX_EUlSW_E_NS1_11comp_targetILNS1_3genE10ELNS1_11target_archE1201ELNS1_3gpuE5ELNS1_3repE0EEENS1_30default_config_static_selectorELNS0_4arch9wavefront6targetE0EEEvT1_.num_named_barrier, 0
	.set _ZN7rocprim17ROCPRIM_400000_NS6detail17trampoline_kernelINS0_14default_configENS1_27scan_by_key_config_selectorIidEEZZNS1_16scan_by_key_implILNS1_25lookback_scan_determinismE0ELb0ES3_N6thrust23THRUST_200600_302600_NS6detail15normal_iteratorINS9_10device_ptrIiEEEENSB_INSC_IdEEEESG_dNS9_4plusIvEENS9_8equal_toIvEEdEE10hipError_tPvRmT2_T3_T4_T5_mT6_T7_P12ihipStream_tbENKUlT_T0_E_clISt17integral_constantIbLb1EES11_EEDaSW_SX_EUlSW_E_NS1_11comp_targetILNS1_3genE10ELNS1_11target_archE1201ELNS1_3gpuE5ELNS1_3repE0EEENS1_30default_config_static_selectorELNS0_4arch9wavefront6targetE0EEEvT1_.private_seg_size, 0
	.set _ZN7rocprim17ROCPRIM_400000_NS6detail17trampoline_kernelINS0_14default_configENS1_27scan_by_key_config_selectorIidEEZZNS1_16scan_by_key_implILNS1_25lookback_scan_determinismE0ELb0ES3_N6thrust23THRUST_200600_302600_NS6detail15normal_iteratorINS9_10device_ptrIiEEEENSB_INSC_IdEEEESG_dNS9_4plusIvEENS9_8equal_toIvEEdEE10hipError_tPvRmT2_T3_T4_T5_mT6_T7_P12ihipStream_tbENKUlT_T0_E_clISt17integral_constantIbLb1EES11_EEDaSW_SX_EUlSW_E_NS1_11comp_targetILNS1_3genE10ELNS1_11target_archE1201ELNS1_3gpuE5ELNS1_3repE0EEENS1_30default_config_static_selectorELNS0_4arch9wavefront6targetE0EEEvT1_.uses_vcc, 0
	.set _ZN7rocprim17ROCPRIM_400000_NS6detail17trampoline_kernelINS0_14default_configENS1_27scan_by_key_config_selectorIidEEZZNS1_16scan_by_key_implILNS1_25lookback_scan_determinismE0ELb0ES3_N6thrust23THRUST_200600_302600_NS6detail15normal_iteratorINS9_10device_ptrIiEEEENSB_INSC_IdEEEESG_dNS9_4plusIvEENS9_8equal_toIvEEdEE10hipError_tPvRmT2_T3_T4_T5_mT6_T7_P12ihipStream_tbENKUlT_T0_E_clISt17integral_constantIbLb1EES11_EEDaSW_SX_EUlSW_E_NS1_11comp_targetILNS1_3genE10ELNS1_11target_archE1201ELNS1_3gpuE5ELNS1_3repE0EEENS1_30default_config_static_selectorELNS0_4arch9wavefront6targetE0EEEvT1_.uses_flat_scratch, 0
	.set _ZN7rocprim17ROCPRIM_400000_NS6detail17trampoline_kernelINS0_14default_configENS1_27scan_by_key_config_selectorIidEEZZNS1_16scan_by_key_implILNS1_25lookback_scan_determinismE0ELb0ES3_N6thrust23THRUST_200600_302600_NS6detail15normal_iteratorINS9_10device_ptrIiEEEENSB_INSC_IdEEEESG_dNS9_4plusIvEENS9_8equal_toIvEEdEE10hipError_tPvRmT2_T3_T4_T5_mT6_T7_P12ihipStream_tbENKUlT_T0_E_clISt17integral_constantIbLb1EES11_EEDaSW_SX_EUlSW_E_NS1_11comp_targetILNS1_3genE10ELNS1_11target_archE1201ELNS1_3gpuE5ELNS1_3repE0EEENS1_30default_config_static_selectorELNS0_4arch9wavefront6targetE0EEEvT1_.has_dyn_sized_stack, 0
	.set _ZN7rocprim17ROCPRIM_400000_NS6detail17trampoline_kernelINS0_14default_configENS1_27scan_by_key_config_selectorIidEEZZNS1_16scan_by_key_implILNS1_25lookback_scan_determinismE0ELb0ES3_N6thrust23THRUST_200600_302600_NS6detail15normal_iteratorINS9_10device_ptrIiEEEENSB_INSC_IdEEEESG_dNS9_4plusIvEENS9_8equal_toIvEEdEE10hipError_tPvRmT2_T3_T4_T5_mT6_T7_P12ihipStream_tbENKUlT_T0_E_clISt17integral_constantIbLb1EES11_EEDaSW_SX_EUlSW_E_NS1_11comp_targetILNS1_3genE10ELNS1_11target_archE1201ELNS1_3gpuE5ELNS1_3repE0EEENS1_30default_config_static_selectorELNS0_4arch9wavefront6targetE0EEEvT1_.has_recursion, 0
	.set _ZN7rocprim17ROCPRIM_400000_NS6detail17trampoline_kernelINS0_14default_configENS1_27scan_by_key_config_selectorIidEEZZNS1_16scan_by_key_implILNS1_25lookback_scan_determinismE0ELb0ES3_N6thrust23THRUST_200600_302600_NS6detail15normal_iteratorINS9_10device_ptrIiEEEENSB_INSC_IdEEEESG_dNS9_4plusIvEENS9_8equal_toIvEEdEE10hipError_tPvRmT2_T3_T4_T5_mT6_T7_P12ihipStream_tbENKUlT_T0_E_clISt17integral_constantIbLb1EES11_EEDaSW_SX_EUlSW_E_NS1_11comp_targetILNS1_3genE10ELNS1_11target_archE1201ELNS1_3gpuE5ELNS1_3repE0EEENS1_30default_config_static_selectorELNS0_4arch9wavefront6targetE0EEEvT1_.has_indirect_call, 0
	.section	.AMDGPU.csdata,"",@progbits
; Kernel info:
; codeLenInByte = 0
; TotalNumSgprs: 0
; NumVgprs: 0
; ScratchSize: 0
; MemoryBound: 0
; FloatMode: 240
; IeeeMode: 1
; LDSByteSize: 0 bytes/workgroup (compile time only)
; SGPRBlocks: 0
; VGPRBlocks: 0
; NumSGPRsForWavesPerEU: 1
; NumVGPRsForWavesPerEU: 1
; NamedBarCnt: 0
; Occupancy: 16
; WaveLimiterHint : 0
; COMPUTE_PGM_RSRC2:SCRATCH_EN: 0
; COMPUTE_PGM_RSRC2:USER_SGPR: 2
; COMPUTE_PGM_RSRC2:TRAP_HANDLER: 0
; COMPUTE_PGM_RSRC2:TGID_X_EN: 1
; COMPUTE_PGM_RSRC2:TGID_Y_EN: 0
; COMPUTE_PGM_RSRC2:TGID_Z_EN: 0
; COMPUTE_PGM_RSRC2:TIDIG_COMP_CNT: 0
	.section	.text._ZN7rocprim17ROCPRIM_400000_NS6detail17trampoline_kernelINS0_14default_configENS1_27scan_by_key_config_selectorIidEEZZNS1_16scan_by_key_implILNS1_25lookback_scan_determinismE0ELb0ES3_N6thrust23THRUST_200600_302600_NS6detail15normal_iteratorINS9_10device_ptrIiEEEENSB_INSC_IdEEEESG_dNS9_4plusIvEENS9_8equal_toIvEEdEE10hipError_tPvRmT2_T3_T4_T5_mT6_T7_P12ihipStream_tbENKUlT_T0_E_clISt17integral_constantIbLb1EES11_EEDaSW_SX_EUlSW_E_NS1_11comp_targetILNS1_3genE5ELNS1_11target_archE942ELNS1_3gpuE9ELNS1_3repE0EEENS1_30default_config_static_selectorELNS0_4arch9wavefront6targetE0EEEvT1_,"axG",@progbits,_ZN7rocprim17ROCPRIM_400000_NS6detail17trampoline_kernelINS0_14default_configENS1_27scan_by_key_config_selectorIidEEZZNS1_16scan_by_key_implILNS1_25lookback_scan_determinismE0ELb0ES3_N6thrust23THRUST_200600_302600_NS6detail15normal_iteratorINS9_10device_ptrIiEEEENSB_INSC_IdEEEESG_dNS9_4plusIvEENS9_8equal_toIvEEdEE10hipError_tPvRmT2_T3_T4_T5_mT6_T7_P12ihipStream_tbENKUlT_T0_E_clISt17integral_constantIbLb1EES11_EEDaSW_SX_EUlSW_E_NS1_11comp_targetILNS1_3genE5ELNS1_11target_archE942ELNS1_3gpuE9ELNS1_3repE0EEENS1_30default_config_static_selectorELNS0_4arch9wavefront6targetE0EEEvT1_,comdat
	.protected	_ZN7rocprim17ROCPRIM_400000_NS6detail17trampoline_kernelINS0_14default_configENS1_27scan_by_key_config_selectorIidEEZZNS1_16scan_by_key_implILNS1_25lookback_scan_determinismE0ELb0ES3_N6thrust23THRUST_200600_302600_NS6detail15normal_iteratorINS9_10device_ptrIiEEEENSB_INSC_IdEEEESG_dNS9_4plusIvEENS9_8equal_toIvEEdEE10hipError_tPvRmT2_T3_T4_T5_mT6_T7_P12ihipStream_tbENKUlT_T0_E_clISt17integral_constantIbLb1EES11_EEDaSW_SX_EUlSW_E_NS1_11comp_targetILNS1_3genE5ELNS1_11target_archE942ELNS1_3gpuE9ELNS1_3repE0EEENS1_30default_config_static_selectorELNS0_4arch9wavefront6targetE0EEEvT1_ ; -- Begin function _ZN7rocprim17ROCPRIM_400000_NS6detail17trampoline_kernelINS0_14default_configENS1_27scan_by_key_config_selectorIidEEZZNS1_16scan_by_key_implILNS1_25lookback_scan_determinismE0ELb0ES3_N6thrust23THRUST_200600_302600_NS6detail15normal_iteratorINS9_10device_ptrIiEEEENSB_INSC_IdEEEESG_dNS9_4plusIvEENS9_8equal_toIvEEdEE10hipError_tPvRmT2_T3_T4_T5_mT6_T7_P12ihipStream_tbENKUlT_T0_E_clISt17integral_constantIbLb1EES11_EEDaSW_SX_EUlSW_E_NS1_11comp_targetILNS1_3genE5ELNS1_11target_archE942ELNS1_3gpuE9ELNS1_3repE0EEENS1_30default_config_static_selectorELNS0_4arch9wavefront6targetE0EEEvT1_
	.globl	_ZN7rocprim17ROCPRIM_400000_NS6detail17trampoline_kernelINS0_14default_configENS1_27scan_by_key_config_selectorIidEEZZNS1_16scan_by_key_implILNS1_25lookback_scan_determinismE0ELb0ES3_N6thrust23THRUST_200600_302600_NS6detail15normal_iteratorINS9_10device_ptrIiEEEENSB_INSC_IdEEEESG_dNS9_4plusIvEENS9_8equal_toIvEEdEE10hipError_tPvRmT2_T3_T4_T5_mT6_T7_P12ihipStream_tbENKUlT_T0_E_clISt17integral_constantIbLb1EES11_EEDaSW_SX_EUlSW_E_NS1_11comp_targetILNS1_3genE5ELNS1_11target_archE942ELNS1_3gpuE9ELNS1_3repE0EEENS1_30default_config_static_selectorELNS0_4arch9wavefront6targetE0EEEvT1_
	.p2align	8
	.type	_ZN7rocprim17ROCPRIM_400000_NS6detail17trampoline_kernelINS0_14default_configENS1_27scan_by_key_config_selectorIidEEZZNS1_16scan_by_key_implILNS1_25lookback_scan_determinismE0ELb0ES3_N6thrust23THRUST_200600_302600_NS6detail15normal_iteratorINS9_10device_ptrIiEEEENSB_INSC_IdEEEESG_dNS9_4plusIvEENS9_8equal_toIvEEdEE10hipError_tPvRmT2_T3_T4_T5_mT6_T7_P12ihipStream_tbENKUlT_T0_E_clISt17integral_constantIbLb1EES11_EEDaSW_SX_EUlSW_E_NS1_11comp_targetILNS1_3genE5ELNS1_11target_archE942ELNS1_3gpuE9ELNS1_3repE0EEENS1_30default_config_static_selectorELNS0_4arch9wavefront6targetE0EEEvT1_,@function
_ZN7rocprim17ROCPRIM_400000_NS6detail17trampoline_kernelINS0_14default_configENS1_27scan_by_key_config_selectorIidEEZZNS1_16scan_by_key_implILNS1_25lookback_scan_determinismE0ELb0ES3_N6thrust23THRUST_200600_302600_NS6detail15normal_iteratorINS9_10device_ptrIiEEEENSB_INSC_IdEEEESG_dNS9_4plusIvEENS9_8equal_toIvEEdEE10hipError_tPvRmT2_T3_T4_T5_mT6_T7_P12ihipStream_tbENKUlT_T0_E_clISt17integral_constantIbLb1EES11_EEDaSW_SX_EUlSW_E_NS1_11comp_targetILNS1_3genE5ELNS1_11target_archE942ELNS1_3gpuE9ELNS1_3repE0EEENS1_30default_config_static_selectorELNS0_4arch9wavefront6targetE0EEEvT1_: ; @_ZN7rocprim17ROCPRIM_400000_NS6detail17trampoline_kernelINS0_14default_configENS1_27scan_by_key_config_selectorIidEEZZNS1_16scan_by_key_implILNS1_25lookback_scan_determinismE0ELb0ES3_N6thrust23THRUST_200600_302600_NS6detail15normal_iteratorINS9_10device_ptrIiEEEENSB_INSC_IdEEEESG_dNS9_4plusIvEENS9_8equal_toIvEEdEE10hipError_tPvRmT2_T3_T4_T5_mT6_T7_P12ihipStream_tbENKUlT_T0_E_clISt17integral_constantIbLb1EES11_EEDaSW_SX_EUlSW_E_NS1_11comp_targetILNS1_3genE5ELNS1_11target_archE942ELNS1_3gpuE9ELNS1_3repE0EEENS1_30default_config_static_selectorELNS0_4arch9wavefront6targetE0EEEvT1_
; %bb.0:
	.section	.rodata,"a",@progbits
	.p2align	6, 0x0
	.amdhsa_kernel _ZN7rocprim17ROCPRIM_400000_NS6detail17trampoline_kernelINS0_14default_configENS1_27scan_by_key_config_selectorIidEEZZNS1_16scan_by_key_implILNS1_25lookback_scan_determinismE0ELb0ES3_N6thrust23THRUST_200600_302600_NS6detail15normal_iteratorINS9_10device_ptrIiEEEENSB_INSC_IdEEEESG_dNS9_4plusIvEENS9_8equal_toIvEEdEE10hipError_tPvRmT2_T3_T4_T5_mT6_T7_P12ihipStream_tbENKUlT_T0_E_clISt17integral_constantIbLb1EES11_EEDaSW_SX_EUlSW_E_NS1_11comp_targetILNS1_3genE5ELNS1_11target_archE942ELNS1_3gpuE9ELNS1_3repE0EEENS1_30default_config_static_selectorELNS0_4arch9wavefront6targetE0EEEvT1_
		.amdhsa_group_segment_fixed_size 0
		.amdhsa_private_segment_fixed_size 0
		.amdhsa_kernarg_size 136
		.amdhsa_user_sgpr_count 2
		.amdhsa_user_sgpr_dispatch_ptr 0
		.amdhsa_user_sgpr_queue_ptr 0
		.amdhsa_user_sgpr_kernarg_segment_ptr 1
		.amdhsa_user_sgpr_dispatch_id 0
		.amdhsa_user_sgpr_kernarg_preload_length 0
		.amdhsa_user_sgpr_kernarg_preload_offset 0
		.amdhsa_user_sgpr_private_segment_size 0
		.amdhsa_wavefront_size32 1
		.amdhsa_uses_dynamic_stack 0
		.amdhsa_enable_private_segment 0
		.amdhsa_system_sgpr_workgroup_id_x 1
		.amdhsa_system_sgpr_workgroup_id_y 0
		.amdhsa_system_sgpr_workgroup_id_z 0
		.amdhsa_system_sgpr_workgroup_info 0
		.amdhsa_system_vgpr_workitem_id 0
		.amdhsa_next_free_vgpr 1
		.amdhsa_next_free_sgpr 1
		.amdhsa_named_barrier_count 0
		.amdhsa_reserve_vcc 0
		.amdhsa_float_round_mode_32 0
		.amdhsa_float_round_mode_16_64 0
		.amdhsa_float_denorm_mode_32 3
		.amdhsa_float_denorm_mode_16_64 3
		.amdhsa_fp16_overflow 0
		.amdhsa_memory_ordered 1
		.amdhsa_forward_progress 1
		.amdhsa_inst_pref_size 0
		.amdhsa_round_robin_scheduling 0
		.amdhsa_exception_fp_ieee_invalid_op 0
		.amdhsa_exception_fp_denorm_src 0
		.amdhsa_exception_fp_ieee_div_zero 0
		.amdhsa_exception_fp_ieee_overflow 0
		.amdhsa_exception_fp_ieee_underflow 0
		.amdhsa_exception_fp_ieee_inexact 0
		.amdhsa_exception_int_div_zero 0
	.end_amdhsa_kernel
	.section	.text._ZN7rocprim17ROCPRIM_400000_NS6detail17trampoline_kernelINS0_14default_configENS1_27scan_by_key_config_selectorIidEEZZNS1_16scan_by_key_implILNS1_25lookback_scan_determinismE0ELb0ES3_N6thrust23THRUST_200600_302600_NS6detail15normal_iteratorINS9_10device_ptrIiEEEENSB_INSC_IdEEEESG_dNS9_4plusIvEENS9_8equal_toIvEEdEE10hipError_tPvRmT2_T3_T4_T5_mT6_T7_P12ihipStream_tbENKUlT_T0_E_clISt17integral_constantIbLb1EES11_EEDaSW_SX_EUlSW_E_NS1_11comp_targetILNS1_3genE5ELNS1_11target_archE942ELNS1_3gpuE9ELNS1_3repE0EEENS1_30default_config_static_selectorELNS0_4arch9wavefront6targetE0EEEvT1_,"axG",@progbits,_ZN7rocprim17ROCPRIM_400000_NS6detail17trampoline_kernelINS0_14default_configENS1_27scan_by_key_config_selectorIidEEZZNS1_16scan_by_key_implILNS1_25lookback_scan_determinismE0ELb0ES3_N6thrust23THRUST_200600_302600_NS6detail15normal_iteratorINS9_10device_ptrIiEEEENSB_INSC_IdEEEESG_dNS9_4plusIvEENS9_8equal_toIvEEdEE10hipError_tPvRmT2_T3_T4_T5_mT6_T7_P12ihipStream_tbENKUlT_T0_E_clISt17integral_constantIbLb1EES11_EEDaSW_SX_EUlSW_E_NS1_11comp_targetILNS1_3genE5ELNS1_11target_archE942ELNS1_3gpuE9ELNS1_3repE0EEENS1_30default_config_static_selectorELNS0_4arch9wavefront6targetE0EEEvT1_,comdat
.Lfunc_end1098:
	.size	_ZN7rocprim17ROCPRIM_400000_NS6detail17trampoline_kernelINS0_14default_configENS1_27scan_by_key_config_selectorIidEEZZNS1_16scan_by_key_implILNS1_25lookback_scan_determinismE0ELb0ES3_N6thrust23THRUST_200600_302600_NS6detail15normal_iteratorINS9_10device_ptrIiEEEENSB_INSC_IdEEEESG_dNS9_4plusIvEENS9_8equal_toIvEEdEE10hipError_tPvRmT2_T3_T4_T5_mT6_T7_P12ihipStream_tbENKUlT_T0_E_clISt17integral_constantIbLb1EES11_EEDaSW_SX_EUlSW_E_NS1_11comp_targetILNS1_3genE5ELNS1_11target_archE942ELNS1_3gpuE9ELNS1_3repE0EEENS1_30default_config_static_selectorELNS0_4arch9wavefront6targetE0EEEvT1_, .Lfunc_end1098-_ZN7rocprim17ROCPRIM_400000_NS6detail17trampoline_kernelINS0_14default_configENS1_27scan_by_key_config_selectorIidEEZZNS1_16scan_by_key_implILNS1_25lookback_scan_determinismE0ELb0ES3_N6thrust23THRUST_200600_302600_NS6detail15normal_iteratorINS9_10device_ptrIiEEEENSB_INSC_IdEEEESG_dNS9_4plusIvEENS9_8equal_toIvEEdEE10hipError_tPvRmT2_T3_T4_T5_mT6_T7_P12ihipStream_tbENKUlT_T0_E_clISt17integral_constantIbLb1EES11_EEDaSW_SX_EUlSW_E_NS1_11comp_targetILNS1_3genE5ELNS1_11target_archE942ELNS1_3gpuE9ELNS1_3repE0EEENS1_30default_config_static_selectorELNS0_4arch9wavefront6targetE0EEEvT1_
                                        ; -- End function
	.set _ZN7rocprim17ROCPRIM_400000_NS6detail17trampoline_kernelINS0_14default_configENS1_27scan_by_key_config_selectorIidEEZZNS1_16scan_by_key_implILNS1_25lookback_scan_determinismE0ELb0ES3_N6thrust23THRUST_200600_302600_NS6detail15normal_iteratorINS9_10device_ptrIiEEEENSB_INSC_IdEEEESG_dNS9_4plusIvEENS9_8equal_toIvEEdEE10hipError_tPvRmT2_T3_T4_T5_mT6_T7_P12ihipStream_tbENKUlT_T0_E_clISt17integral_constantIbLb1EES11_EEDaSW_SX_EUlSW_E_NS1_11comp_targetILNS1_3genE5ELNS1_11target_archE942ELNS1_3gpuE9ELNS1_3repE0EEENS1_30default_config_static_selectorELNS0_4arch9wavefront6targetE0EEEvT1_.num_vgpr, 0
	.set _ZN7rocprim17ROCPRIM_400000_NS6detail17trampoline_kernelINS0_14default_configENS1_27scan_by_key_config_selectorIidEEZZNS1_16scan_by_key_implILNS1_25lookback_scan_determinismE0ELb0ES3_N6thrust23THRUST_200600_302600_NS6detail15normal_iteratorINS9_10device_ptrIiEEEENSB_INSC_IdEEEESG_dNS9_4plusIvEENS9_8equal_toIvEEdEE10hipError_tPvRmT2_T3_T4_T5_mT6_T7_P12ihipStream_tbENKUlT_T0_E_clISt17integral_constantIbLb1EES11_EEDaSW_SX_EUlSW_E_NS1_11comp_targetILNS1_3genE5ELNS1_11target_archE942ELNS1_3gpuE9ELNS1_3repE0EEENS1_30default_config_static_selectorELNS0_4arch9wavefront6targetE0EEEvT1_.num_agpr, 0
	.set _ZN7rocprim17ROCPRIM_400000_NS6detail17trampoline_kernelINS0_14default_configENS1_27scan_by_key_config_selectorIidEEZZNS1_16scan_by_key_implILNS1_25lookback_scan_determinismE0ELb0ES3_N6thrust23THRUST_200600_302600_NS6detail15normal_iteratorINS9_10device_ptrIiEEEENSB_INSC_IdEEEESG_dNS9_4plusIvEENS9_8equal_toIvEEdEE10hipError_tPvRmT2_T3_T4_T5_mT6_T7_P12ihipStream_tbENKUlT_T0_E_clISt17integral_constantIbLb1EES11_EEDaSW_SX_EUlSW_E_NS1_11comp_targetILNS1_3genE5ELNS1_11target_archE942ELNS1_3gpuE9ELNS1_3repE0EEENS1_30default_config_static_selectorELNS0_4arch9wavefront6targetE0EEEvT1_.numbered_sgpr, 0
	.set _ZN7rocprim17ROCPRIM_400000_NS6detail17trampoline_kernelINS0_14default_configENS1_27scan_by_key_config_selectorIidEEZZNS1_16scan_by_key_implILNS1_25lookback_scan_determinismE0ELb0ES3_N6thrust23THRUST_200600_302600_NS6detail15normal_iteratorINS9_10device_ptrIiEEEENSB_INSC_IdEEEESG_dNS9_4plusIvEENS9_8equal_toIvEEdEE10hipError_tPvRmT2_T3_T4_T5_mT6_T7_P12ihipStream_tbENKUlT_T0_E_clISt17integral_constantIbLb1EES11_EEDaSW_SX_EUlSW_E_NS1_11comp_targetILNS1_3genE5ELNS1_11target_archE942ELNS1_3gpuE9ELNS1_3repE0EEENS1_30default_config_static_selectorELNS0_4arch9wavefront6targetE0EEEvT1_.num_named_barrier, 0
	.set _ZN7rocprim17ROCPRIM_400000_NS6detail17trampoline_kernelINS0_14default_configENS1_27scan_by_key_config_selectorIidEEZZNS1_16scan_by_key_implILNS1_25lookback_scan_determinismE0ELb0ES3_N6thrust23THRUST_200600_302600_NS6detail15normal_iteratorINS9_10device_ptrIiEEEENSB_INSC_IdEEEESG_dNS9_4plusIvEENS9_8equal_toIvEEdEE10hipError_tPvRmT2_T3_T4_T5_mT6_T7_P12ihipStream_tbENKUlT_T0_E_clISt17integral_constantIbLb1EES11_EEDaSW_SX_EUlSW_E_NS1_11comp_targetILNS1_3genE5ELNS1_11target_archE942ELNS1_3gpuE9ELNS1_3repE0EEENS1_30default_config_static_selectorELNS0_4arch9wavefront6targetE0EEEvT1_.private_seg_size, 0
	.set _ZN7rocprim17ROCPRIM_400000_NS6detail17trampoline_kernelINS0_14default_configENS1_27scan_by_key_config_selectorIidEEZZNS1_16scan_by_key_implILNS1_25lookback_scan_determinismE0ELb0ES3_N6thrust23THRUST_200600_302600_NS6detail15normal_iteratorINS9_10device_ptrIiEEEENSB_INSC_IdEEEESG_dNS9_4plusIvEENS9_8equal_toIvEEdEE10hipError_tPvRmT2_T3_T4_T5_mT6_T7_P12ihipStream_tbENKUlT_T0_E_clISt17integral_constantIbLb1EES11_EEDaSW_SX_EUlSW_E_NS1_11comp_targetILNS1_3genE5ELNS1_11target_archE942ELNS1_3gpuE9ELNS1_3repE0EEENS1_30default_config_static_selectorELNS0_4arch9wavefront6targetE0EEEvT1_.uses_vcc, 0
	.set _ZN7rocprim17ROCPRIM_400000_NS6detail17trampoline_kernelINS0_14default_configENS1_27scan_by_key_config_selectorIidEEZZNS1_16scan_by_key_implILNS1_25lookback_scan_determinismE0ELb0ES3_N6thrust23THRUST_200600_302600_NS6detail15normal_iteratorINS9_10device_ptrIiEEEENSB_INSC_IdEEEESG_dNS9_4plusIvEENS9_8equal_toIvEEdEE10hipError_tPvRmT2_T3_T4_T5_mT6_T7_P12ihipStream_tbENKUlT_T0_E_clISt17integral_constantIbLb1EES11_EEDaSW_SX_EUlSW_E_NS1_11comp_targetILNS1_3genE5ELNS1_11target_archE942ELNS1_3gpuE9ELNS1_3repE0EEENS1_30default_config_static_selectorELNS0_4arch9wavefront6targetE0EEEvT1_.uses_flat_scratch, 0
	.set _ZN7rocprim17ROCPRIM_400000_NS6detail17trampoline_kernelINS0_14default_configENS1_27scan_by_key_config_selectorIidEEZZNS1_16scan_by_key_implILNS1_25lookback_scan_determinismE0ELb0ES3_N6thrust23THRUST_200600_302600_NS6detail15normal_iteratorINS9_10device_ptrIiEEEENSB_INSC_IdEEEESG_dNS9_4plusIvEENS9_8equal_toIvEEdEE10hipError_tPvRmT2_T3_T4_T5_mT6_T7_P12ihipStream_tbENKUlT_T0_E_clISt17integral_constantIbLb1EES11_EEDaSW_SX_EUlSW_E_NS1_11comp_targetILNS1_3genE5ELNS1_11target_archE942ELNS1_3gpuE9ELNS1_3repE0EEENS1_30default_config_static_selectorELNS0_4arch9wavefront6targetE0EEEvT1_.has_dyn_sized_stack, 0
	.set _ZN7rocprim17ROCPRIM_400000_NS6detail17trampoline_kernelINS0_14default_configENS1_27scan_by_key_config_selectorIidEEZZNS1_16scan_by_key_implILNS1_25lookback_scan_determinismE0ELb0ES3_N6thrust23THRUST_200600_302600_NS6detail15normal_iteratorINS9_10device_ptrIiEEEENSB_INSC_IdEEEESG_dNS9_4plusIvEENS9_8equal_toIvEEdEE10hipError_tPvRmT2_T3_T4_T5_mT6_T7_P12ihipStream_tbENKUlT_T0_E_clISt17integral_constantIbLb1EES11_EEDaSW_SX_EUlSW_E_NS1_11comp_targetILNS1_3genE5ELNS1_11target_archE942ELNS1_3gpuE9ELNS1_3repE0EEENS1_30default_config_static_selectorELNS0_4arch9wavefront6targetE0EEEvT1_.has_recursion, 0
	.set _ZN7rocprim17ROCPRIM_400000_NS6detail17trampoline_kernelINS0_14default_configENS1_27scan_by_key_config_selectorIidEEZZNS1_16scan_by_key_implILNS1_25lookback_scan_determinismE0ELb0ES3_N6thrust23THRUST_200600_302600_NS6detail15normal_iteratorINS9_10device_ptrIiEEEENSB_INSC_IdEEEESG_dNS9_4plusIvEENS9_8equal_toIvEEdEE10hipError_tPvRmT2_T3_T4_T5_mT6_T7_P12ihipStream_tbENKUlT_T0_E_clISt17integral_constantIbLb1EES11_EEDaSW_SX_EUlSW_E_NS1_11comp_targetILNS1_3genE5ELNS1_11target_archE942ELNS1_3gpuE9ELNS1_3repE0EEENS1_30default_config_static_selectorELNS0_4arch9wavefront6targetE0EEEvT1_.has_indirect_call, 0
	.section	.AMDGPU.csdata,"",@progbits
; Kernel info:
; codeLenInByte = 0
; TotalNumSgprs: 0
; NumVgprs: 0
; ScratchSize: 0
; MemoryBound: 0
; FloatMode: 240
; IeeeMode: 1
; LDSByteSize: 0 bytes/workgroup (compile time only)
; SGPRBlocks: 0
; VGPRBlocks: 0
; NumSGPRsForWavesPerEU: 1
; NumVGPRsForWavesPerEU: 1
; NamedBarCnt: 0
; Occupancy: 16
; WaveLimiterHint : 0
; COMPUTE_PGM_RSRC2:SCRATCH_EN: 0
; COMPUTE_PGM_RSRC2:USER_SGPR: 2
; COMPUTE_PGM_RSRC2:TRAP_HANDLER: 0
; COMPUTE_PGM_RSRC2:TGID_X_EN: 1
; COMPUTE_PGM_RSRC2:TGID_Y_EN: 0
; COMPUTE_PGM_RSRC2:TGID_Z_EN: 0
; COMPUTE_PGM_RSRC2:TIDIG_COMP_CNT: 0
	.section	.text._ZN7rocprim17ROCPRIM_400000_NS6detail17trampoline_kernelINS0_14default_configENS1_27scan_by_key_config_selectorIidEEZZNS1_16scan_by_key_implILNS1_25lookback_scan_determinismE0ELb0ES3_N6thrust23THRUST_200600_302600_NS6detail15normal_iteratorINS9_10device_ptrIiEEEENSB_INSC_IdEEEESG_dNS9_4plusIvEENS9_8equal_toIvEEdEE10hipError_tPvRmT2_T3_T4_T5_mT6_T7_P12ihipStream_tbENKUlT_T0_E_clISt17integral_constantIbLb1EES11_EEDaSW_SX_EUlSW_E_NS1_11comp_targetILNS1_3genE4ELNS1_11target_archE910ELNS1_3gpuE8ELNS1_3repE0EEENS1_30default_config_static_selectorELNS0_4arch9wavefront6targetE0EEEvT1_,"axG",@progbits,_ZN7rocprim17ROCPRIM_400000_NS6detail17trampoline_kernelINS0_14default_configENS1_27scan_by_key_config_selectorIidEEZZNS1_16scan_by_key_implILNS1_25lookback_scan_determinismE0ELb0ES3_N6thrust23THRUST_200600_302600_NS6detail15normal_iteratorINS9_10device_ptrIiEEEENSB_INSC_IdEEEESG_dNS9_4plusIvEENS9_8equal_toIvEEdEE10hipError_tPvRmT2_T3_T4_T5_mT6_T7_P12ihipStream_tbENKUlT_T0_E_clISt17integral_constantIbLb1EES11_EEDaSW_SX_EUlSW_E_NS1_11comp_targetILNS1_3genE4ELNS1_11target_archE910ELNS1_3gpuE8ELNS1_3repE0EEENS1_30default_config_static_selectorELNS0_4arch9wavefront6targetE0EEEvT1_,comdat
	.protected	_ZN7rocprim17ROCPRIM_400000_NS6detail17trampoline_kernelINS0_14default_configENS1_27scan_by_key_config_selectorIidEEZZNS1_16scan_by_key_implILNS1_25lookback_scan_determinismE0ELb0ES3_N6thrust23THRUST_200600_302600_NS6detail15normal_iteratorINS9_10device_ptrIiEEEENSB_INSC_IdEEEESG_dNS9_4plusIvEENS9_8equal_toIvEEdEE10hipError_tPvRmT2_T3_T4_T5_mT6_T7_P12ihipStream_tbENKUlT_T0_E_clISt17integral_constantIbLb1EES11_EEDaSW_SX_EUlSW_E_NS1_11comp_targetILNS1_3genE4ELNS1_11target_archE910ELNS1_3gpuE8ELNS1_3repE0EEENS1_30default_config_static_selectorELNS0_4arch9wavefront6targetE0EEEvT1_ ; -- Begin function _ZN7rocprim17ROCPRIM_400000_NS6detail17trampoline_kernelINS0_14default_configENS1_27scan_by_key_config_selectorIidEEZZNS1_16scan_by_key_implILNS1_25lookback_scan_determinismE0ELb0ES3_N6thrust23THRUST_200600_302600_NS6detail15normal_iteratorINS9_10device_ptrIiEEEENSB_INSC_IdEEEESG_dNS9_4plusIvEENS9_8equal_toIvEEdEE10hipError_tPvRmT2_T3_T4_T5_mT6_T7_P12ihipStream_tbENKUlT_T0_E_clISt17integral_constantIbLb1EES11_EEDaSW_SX_EUlSW_E_NS1_11comp_targetILNS1_3genE4ELNS1_11target_archE910ELNS1_3gpuE8ELNS1_3repE0EEENS1_30default_config_static_selectorELNS0_4arch9wavefront6targetE0EEEvT1_
	.globl	_ZN7rocprim17ROCPRIM_400000_NS6detail17trampoline_kernelINS0_14default_configENS1_27scan_by_key_config_selectorIidEEZZNS1_16scan_by_key_implILNS1_25lookback_scan_determinismE0ELb0ES3_N6thrust23THRUST_200600_302600_NS6detail15normal_iteratorINS9_10device_ptrIiEEEENSB_INSC_IdEEEESG_dNS9_4plusIvEENS9_8equal_toIvEEdEE10hipError_tPvRmT2_T3_T4_T5_mT6_T7_P12ihipStream_tbENKUlT_T0_E_clISt17integral_constantIbLb1EES11_EEDaSW_SX_EUlSW_E_NS1_11comp_targetILNS1_3genE4ELNS1_11target_archE910ELNS1_3gpuE8ELNS1_3repE0EEENS1_30default_config_static_selectorELNS0_4arch9wavefront6targetE0EEEvT1_
	.p2align	8
	.type	_ZN7rocprim17ROCPRIM_400000_NS6detail17trampoline_kernelINS0_14default_configENS1_27scan_by_key_config_selectorIidEEZZNS1_16scan_by_key_implILNS1_25lookback_scan_determinismE0ELb0ES3_N6thrust23THRUST_200600_302600_NS6detail15normal_iteratorINS9_10device_ptrIiEEEENSB_INSC_IdEEEESG_dNS9_4plusIvEENS9_8equal_toIvEEdEE10hipError_tPvRmT2_T3_T4_T5_mT6_T7_P12ihipStream_tbENKUlT_T0_E_clISt17integral_constantIbLb1EES11_EEDaSW_SX_EUlSW_E_NS1_11comp_targetILNS1_3genE4ELNS1_11target_archE910ELNS1_3gpuE8ELNS1_3repE0EEENS1_30default_config_static_selectorELNS0_4arch9wavefront6targetE0EEEvT1_,@function
_ZN7rocprim17ROCPRIM_400000_NS6detail17trampoline_kernelINS0_14default_configENS1_27scan_by_key_config_selectorIidEEZZNS1_16scan_by_key_implILNS1_25lookback_scan_determinismE0ELb0ES3_N6thrust23THRUST_200600_302600_NS6detail15normal_iteratorINS9_10device_ptrIiEEEENSB_INSC_IdEEEESG_dNS9_4plusIvEENS9_8equal_toIvEEdEE10hipError_tPvRmT2_T3_T4_T5_mT6_T7_P12ihipStream_tbENKUlT_T0_E_clISt17integral_constantIbLb1EES11_EEDaSW_SX_EUlSW_E_NS1_11comp_targetILNS1_3genE4ELNS1_11target_archE910ELNS1_3gpuE8ELNS1_3repE0EEENS1_30default_config_static_selectorELNS0_4arch9wavefront6targetE0EEEvT1_: ; @_ZN7rocprim17ROCPRIM_400000_NS6detail17trampoline_kernelINS0_14default_configENS1_27scan_by_key_config_selectorIidEEZZNS1_16scan_by_key_implILNS1_25lookback_scan_determinismE0ELb0ES3_N6thrust23THRUST_200600_302600_NS6detail15normal_iteratorINS9_10device_ptrIiEEEENSB_INSC_IdEEEESG_dNS9_4plusIvEENS9_8equal_toIvEEdEE10hipError_tPvRmT2_T3_T4_T5_mT6_T7_P12ihipStream_tbENKUlT_T0_E_clISt17integral_constantIbLb1EES11_EEDaSW_SX_EUlSW_E_NS1_11comp_targetILNS1_3genE4ELNS1_11target_archE910ELNS1_3gpuE8ELNS1_3repE0EEENS1_30default_config_static_selectorELNS0_4arch9wavefront6targetE0EEEvT1_
; %bb.0:
	.section	.rodata,"a",@progbits
	.p2align	6, 0x0
	.amdhsa_kernel _ZN7rocprim17ROCPRIM_400000_NS6detail17trampoline_kernelINS0_14default_configENS1_27scan_by_key_config_selectorIidEEZZNS1_16scan_by_key_implILNS1_25lookback_scan_determinismE0ELb0ES3_N6thrust23THRUST_200600_302600_NS6detail15normal_iteratorINS9_10device_ptrIiEEEENSB_INSC_IdEEEESG_dNS9_4plusIvEENS9_8equal_toIvEEdEE10hipError_tPvRmT2_T3_T4_T5_mT6_T7_P12ihipStream_tbENKUlT_T0_E_clISt17integral_constantIbLb1EES11_EEDaSW_SX_EUlSW_E_NS1_11comp_targetILNS1_3genE4ELNS1_11target_archE910ELNS1_3gpuE8ELNS1_3repE0EEENS1_30default_config_static_selectorELNS0_4arch9wavefront6targetE0EEEvT1_
		.amdhsa_group_segment_fixed_size 0
		.amdhsa_private_segment_fixed_size 0
		.amdhsa_kernarg_size 136
		.amdhsa_user_sgpr_count 2
		.amdhsa_user_sgpr_dispatch_ptr 0
		.amdhsa_user_sgpr_queue_ptr 0
		.amdhsa_user_sgpr_kernarg_segment_ptr 1
		.amdhsa_user_sgpr_dispatch_id 0
		.amdhsa_user_sgpr_kernarg_preload_length 0
		.amdhsa_user_sgpr_kernarg_preload_offset 0
		.amdhsa_user_sgpr_private_segment_size 0
		.amdhsa_wavefront_size32 1
		.amdhsa_uses_dynamic_stack 0
		.amdhsa_enable_private_segment 0
		.amdhsa_system_sgpr_workgroup_id_x 1
		.amdhsa_system_sgpr_workgroup_id_y 0
		.amdhsa_system_sgpr_workgroup_id_z 0
		.amdhsa_system_sgpr_workgroup_info 0
		.amdhsa_system_vgpr_workitem_id 0
		.amdhsa_next_free_vgpr 1
		.amdhsa_next_free_sgpr 1
		.amdhsa_named_barrier_count 0
		.amdhsa_reserve_vcc 0
		.amdhsa_float_round_mode_32 0
		.amdhsa_float_round_mode_16_64 0
		.amdhsa_float_denorm_mode_32 3
		.amdhsa_float_denorm_mode_16_64 3
		.amdhsa_fp16_overflow 0
		.amdhsa_memory_ordered 1
		.amdhsa_forward_progress 1
		.amdhsa_inst_pref_size 0
		.amdhsa_round_robin_scheduling 0
		.amdhsa_exception_fp_ieee_invalid_op 0
		.amdhsa_exception_fp_denorm_src 0
		.amdhsa_exception_fp_ieee_div_zero 0
		.amdhsa_exception_fp_ieee_overflow 0
		.amdhsa_exception_fp_ieee_underflow 0
		.amdhsa_exception_fp_ieee_inexact 0
		.amdhsa_exception_int_div_zero 0
	.end_amdhsa_kernel
	.section	.text._ZN7rocprim17ROCPRIM_400000_NS6detail17trampoline_kernelINS0_14default_configENS1_27scan_by_key_config_selectorIidEEZZNS1_16scan_by_key_implILNS1_25lookback_scan_determinismE0ELb0ES3_N6thrust23THRUST_200600_302600_NS6detail15normal_iteratorINS9_10device_ptrIiEEEENSB_INSC_IdEEEESG_dNS9_4plusIvEENS9_8equal_toIvEEdEE10hipError_tPvRmT2_T3_T4_T5_mT6_T7_P12ihipStream_tbENKUlT_T0_E_clISt17integral_constantIbLb1EES11_EEDaSW_SX_EUlSW_E_NS1_11comp_targetILNS1_3genE4ELNS1_11target_archE910ELNS1_3gpuE8ELNS1_3repE0EEENS1_30default_config_static_selectorELNS0_4arch9wavefront6targetE0EEEvT1_,"axG",@progbits,_ZN7rocprim17ROCPRIM_400000_NS6detail17trampoline_kernelINS0_14default_configENS1_27scan_by_key_config_selectorIidEEZZNS1_16scan_by_key_implILNS1_25lookback_scan_determinismE0ELb0ES3_N6thrust23THRUST_200600_302600_NS6detail15normal_iteratorINS9_10device_ptrIiEEEENSB_INSC_IdEEEESG_dNS9_4plusIvEENS9_8equal_toIvEEdEE10hipError_tPvRmT2_T3_T4_T5_mT6_T7_P12ihipStream_tbENKUlT_T0_E_clISt17integral_constantIbLb1EES11_EEDaSW_SX_EUlSW_E_NS1_11comp_targetILNS1_3genE4ELNS1_11target_archE910ELNS1_3gpuE8ELNS1_3repE0EEENS1_30default_config_static_selectorELNS0_4arch9wavefront6targetE0EEEvT1_,comdat
.Lfunc_end1099:
	.size	_ZN7rocprim17ROCPRIM_400000_NS6detail17trampoline_kernelINS0_14default_configENS1_27scan_by_key_config_selectorIidEEZZNS1_16scan_by_key_implILNS1_25lookback_scan_determinismE0ELb0ES3_N6thrust23THRUST_200600_302600_NS6detail15normal_iteratorINS9_10device_ptrIiEEEENSB_INSC_IdEEEESG_dNS9_4plusIvEENS9_8equal_toIvEEdEE10hipError_tPvRmT2_T3_T4_T5_mT6_T7_P12ihipStream_tbENKUlT_T0_E_clISt17integral_constantIbLb1EES11_EEDaSW_SX_EUlSW_E_NS1_11comp_targetILNS1_3genE4ELNS1_11target_archE910ELNS1_3gpuE8ELNS1_3repE0EEENS1_30default_config_static_selectorELNS0_4arch9wavefront6targetE0EEEvT1_, .Lfunc_end1099-_ZN7rocprim17ROCPRIM_400000_NS6detail17trampoline_kernelINS0_14default_configENS1_27scan_by_key_config_selectorIidEEZZNS1_16scan_by_key_implILNS1_25lookback_scan_determinismE0ELb0ES3_N6thrust23THRUST_200600_302600_NS6detail15normal_iteratorINS9_10device_ptrIiEEEENSB_INSC_IdEEEESG_dNS9_4plusIvEENS9_8equal_toIvEEdEE10hipError_tPvRmT2_T3_T4_T5_mT6_T7_P12ihipStream_tbENKUlT_T0_E_clISt17integral_constantIbLb1EES11_EEDaSW_SX_EUlSW_E_NS1_11comp_targetILNS1_3genE4ELNS1_11target_archE910ELNS1_3gpuE8ELNS1_3repE0EEENS1_30default_config_static_selectorELNS0_4arch9wavefront6targetE0EEEvT1_
                                        ; -- End function
	.set _ZN7rocprim17ROCPRIM_400000_NS6detail17trampoline_kernelINS0_14default_configENS1_27scan_by_key_config_selectorIidEEZZNS1_16scan_by_key_implILNS1_25lookback_scan_determinismE0ELb0ES3_N6thrust23THRUST_200600_302600_NS6detail15normal_iteratorINS9_10device_ptrIiEEEENSB_INSC_IdEEEESG_dNS9_4plusIvEENS9_8equal_toIvEEdEE10hipError_tPvRmT2_T3_T4_T5_mT6_T7_P12ihipStream_tbENKUlT_T0_E_clISt17integral_constantIbLb1EES11_EEDaSW_SX_EUlSW_E_NS1_11comp_targetILNS1_3genE4ELNS1_11target_archE910ELNS1_3gpuE8ELNS1_3repE0EEENS1_30default_config_static_selectorELNS0_4arch9wavefront6targetE0EEEvT1_.num_vgpr, 0
	.set _ZN7rocprim17ROCPRIM_400000_NS6detail17trampoline_kernelINS0_14default_configENS1_27scan_by_key_config_selectorIidEEZZNS1_16scan_by_key_implILNS1_25lookback_scan_determinismE0ELb0ES3_N6thrust23THRUST_200600_302600_NS6detail15normal_iteratorINS9_10device_ptrIiEEEENSB_INSC_IdEEEESG_dNS9_4plusIvEENS9_8equal_toIvEEdEE10hipError_tPvRmT2_T3_T4_T5_mT6_T7_P12ihipStream_tbENKUlT_T0_E_clISt17integral_constantIbLb1EES11_EEDaSW_SX_EUlSW_E_NS1_11comp_targetILNS1_3genE4ELNS1_11target_archE910ELNS1_3gpuE8ELNS1_3repE0EEENS1_30default_config_static_selectorELNS0_4arch9wavefront6targetE0EEEvT1_.num_agpr, 0
	.set _ZN7rocprim17ROCPRIM_400000_NS6detail17trampoline_kernelINS0_14default_configENS1_27scan_by_key_config_selectorIidEEZZNS1_16scan_by_key_implILNS1_25lookback_scan_determinismE0ELb0ES3_N6thrust23THRUST_200600_302600_NS6detail15normal_iteratorINS9_10device_ptrIiEEEENSB_INSC_IdEEEESG_dNS9_4plusIvEENS9_8equal_toIvEEdEE10hipError_tPvRmT2_T3_T4_T5_mT6_T7_P12ihipStream_tbENKUlT_T0_E_clISt17integral_constantIbLb1EES11_EEDaSW_SX_EUlSW_E_NS1_11comp_targetILNS1_3genE4ELNS1_11target_archE910ELNS1_3gpuE8ELNS1_3repE0EEENS1_30default_config_static_selectorELNS0_4arch9wavefront6targetE0EEEvT1_.numbered_sgpr, 0
	.set _ZN7rocprim17ROCPRIM_400000_NS6detail17trampoline_kernelINS0_14default_configENS1_27scan_by_key_config_selectorIidEEZZNS1_16scan_by_key_implILNS1_25lookback_scan_determinismE0ELb0ES3_N6thrust23THRUST_200600_302600_NS6detail15normal_iteratorINS9_10device_ptrIiEEEENSB_INSC_IdEEEESG_dNS9_4plusIvEENS9_8equal_toIvEEdEE10hipError_tPvRmT2_T3_T4_T5_mT6_T7_P12ihipStream_tbENKUlT_T0_E_clISt17integral_constantIbLb1EES11_EEDaSW_SX_EUlSW_E_NS1_11comp_targetILNS1_3genE4ELNS1_11target_archE910ELNS1_3gpuE8ELNS1_3repE0EEENS1_30default_config_static_selectorELNS0_4arch9wavefront6targetE0EEEvT1_.num_named_barrier, 0
	.set _ZN7rocprim17ROCPRIM_400000_NS6detail17trampoline_kernelINS0_14default_configENS1_27scan_by_key_config_selectorIidEEZZNS1_16scan_by_key_implILNS1_25lookback_scan_determinismE0ELb0ES3_N6thrust23THRUST_200600_302600_NS6detail15normal_iteratorINS9_10device_ptrIiEEEENSB_INSC_IdEEEESG_dNS9_4plusIvEENS9_8equal_toIvEEdEE10hipError_tPvRmT2_T3_T4_T5_mT6_T7_P12ihipStream_tbENKUlT_T0_E_clISt17integral_constantIbLb1EES11_EEDaSW_SX_EUlSW_E_NS1_11comp_targetILNS1_3genE4ELNS1_11target_archE910ELNS1_3gpuE8ELNS1_3repE0EEENS1_30default_config_static_selectorELNS0_4arch9wavefront6targetE0EEEvT1_.private_seg_size, 0
	.set _ZN7rocprim17ROCPRIM_400000_NS6detail17trampoline_kernelINS0_14default_configENS1_27scan_by_key_config_selectorIidEEZZNS1_16scan_by_key_implILNS1_25lookback_scan_determinismE0ELb0ES3_N6thrust23THRUST_200600_302600_NS6detail15normal_iteratorINS9_10device_ptrIiEEEENSB_INSC_IdEEEESG_dNS9_4plusIvEENS9_8equal_toIvEEdEE10hipError_tPvRmT2_T3_T4_T5_mT6_T7_P12ihipStream_tbENKUlT_T0_E_clISt17integral_constantIbLb1EES11_EEDaSW_SX_EUlSW_E_NS1_11comp_targetILNS1_3genE4ELNS1_11target_archE910ELNS1_3gpuE8ELNS1_3repE0EEENS1_30default_config_static_selectorELNS0_4arch9wavefront6targetE0EEEvT1_.uses_vcc, 0
	.set _ZN7rocprim17ROCPRIM_400000_NS6detail17trampoline_kernelINS0_14default_configENS1_27scan_by_key_config_selectorIidEEZZNS1_16scan_by_key_implILNS1_25lookback_scan_determinismE0ELb0ES3_N6thrust23THRUST_200600_302600_NS6detail15normal_iteratorINS9_10device_ptrIiEEEENSB_INSC_IdEEEESG_dNS9_4plusIvEENS9_8equal_toIvEEdEE10hipError_tPvRmT2_T3_T4_T5_mT6_T7_P12ihipStream_tbENKUlT_T0_E_clISt17integral_constantIbLb1EES11_EEDaSW_SX_EUlSW_E_NS1_11comp_targetILNS1_3genE4ELNS1_11target_archE910ELNS1_3gpuE8ELNS1_3repE0EEENS1_30default_config_static_selectorELNS0_4arch9wavefront6targetE0EEEvT1_.uses_flat_scratch, 0
	.set _ZN7rocprim17ROCPRIM_400000_NS6detail17trampoline_kernelINS0_14default_configENS1_27scan_by_key_config_selectorIidEEZZNS1_16scan_by_key_implILNS1_25lookback_scan_determinismE0ELb0ES3_N6thrust23THRUST_200600_302600_NS6detail15normal_iteratorINS9_10device_ptrIiEEEENSB_INSC_IdEEEESG_dNS9_4plusIvEENS9_8equal_toIvEEdEE10hipError_tPvRmT2_T3_T4_T5_mT6_T7_P12ihipStream_tbENKUlT_T0_E_clISt17integral_constantIbLb1EES11_EEDaSW_SX_EUlSW_E_NS1_11comp_targetILNS1_3genE4ELNS1_11target_archE910ELNS1_3gpuE8ELNS1_3repE0EEENS1_30default_config_static_selectorELNS0_4arch9wavefront6targetE0EEEvT1_.has_dyn_sized_stack, 0
	.set _ZN7rocprim17ROCPRIM_400000_NS6detail17trampoline_kernelINS0_14default_configENS1_27scan_by_key_config_selectorIidEEZZNS1_16scan_by_key_implILNS1_25lookback_scan_determinismE0ELb0ES3_N6thrust23THRUST_200600_302600_NS6detail15normal_iteratorINS9_10device_ptrIiEEEENSB_INSC_IdEEEESG_dNS9_4plusIvEENS9_8equal_toIvEEdEE10hipError_tPvRmT2_T3_T4_T5_mT6_T7_P12ihipStream_tbENKUlT_T0_E_clISt17integral_constantIbLb1EES11_EEDaSW_SX_EUlSW_E_NS1_11comp_targetILNS1_3genE4ELNS1_11target_archE910ELNS1_3gpuE8ELNS1_3repE0EEENS1_30default_config_static_selectorELNS0_4arch9wavefront6targetE0EEEvT1_.has_recursion, 0
	.set _ZN7rocprim17ROCPRIM_400000_NS6detail17trampoline_kernelINS0_14default_configENS1_27scan_by_key_config_selectorIidEEZZNS1_16scan_by_key_implILNS1_25lookback_scan_determinismE0ELb0ES3_N6thrust23THRUST_200600_302600_NS6detail15normal_iteratorINS9_10device_ptrIiEEEENSB_INSC_IdEEEESG_dNS9_4plusIvEENS9_8equal_toIvEEdEE10hipError_tPvRmT2_T3_T4_T5_mT6_T7_P12ihipStream_tbENKUlT_T0_E_clISt17integral_constantIbLb1EES11_EEDaSW_SX_EUlSW_E_NS1_11comp_targetILNS1_3genE4ELNS1_11target_archE910ELNS1_3gpuE8ELNS1_3repE0EEENS1_30default_config_static_selectorELNS0_4arch9wavefront6targetE0EEEvT1_.has_indirect_call, 0
	.section	.AMDGPU.csdata,"",@progbits
; Kernel info:
; codeLenInByte = 0
; TotalNumSgprs: 0
; NumVgprs: 0
; ScratchSize: 0
; MemoryBound: 0
; FloatMode: 240
; IeeeMode: 1
; LDSByteSize: 0 bytes/workgroup (compile time only)
; SGPRBlocks: 0
; VGPRBlocks: 0
; NumSGPRsForWavesPerEU: 1
; NumVGPRsForWavesPerEU: 1
; NamedBarCnt: 0
; Occupancy: 16
; WaveLimiterHint : 0
; COMPUTE_PGM_RSRC2:SCRATCH_EN: 0
; COMPUTE_PGM_RSRC2:USER_SGPR: 2
; COMPUTE_PGM_RSRC2:TRAP_HANDLER: 0
; COMPUTE_PGM_RSRC2:TGID_X_EN: 1
; COMPUTE_PGM_RSRC2:TGID_Y_EN: 0
; COMPUTE_PGM_RSRC2:TGID_Z_EN: 0
; COMPUTE_PGM_RSRC2:TIDIG_COMP_CNT: 0
	.section	.text._ZN7rocprim17ROCPRIM_400000_NS6detail17trampoline_kernelINS0_14default_configENS1_27scan_by_key_config_selectorIidEEZZNS1_16scan_by_key_implILNS1_25lookback_scan_determinismE0ELb0ES3_N6thrust23THRUST_200600_302600_NS6detail15normal_iteratorINS9_10device_ptrIiEEEENSB_INSC_IdEEEESG_dNS9_4plusIvEENS9_8equal_toIvEEdEE10hipError_tPvRmT2_T3_T4_T5_mT6_T7_P12ihipStream_tbENKUlT_T0_E_clISt17integral_constantIbLb1EES11_EEDaSW_SX_EUlSW_E_NS1_11comp_targetILNS1_3genE3ELNS1_11target_archE908ELNS1_3gpuE7ELNS1_3repE0EEENS1_30default_config_static_selectorELNS0_4arch9wavefront6targetE0EEEvT1_,"axG",@progbits,_ZN7rocprim17ROCPRIM_400000_NS6detail17trampoline_kernelINS0_14default_configENS1_27scan_by_key_config_selectorIidEEZZNS1_16scan_by_key_implILNS1_25lookback_scan_determinismE0ELb0ES3_N6thrust23THRUST_200600_302600_NS6detail15normal_iteratorINS9_10device_ptrIiEEEENSB_INSC_IdEEEESG_dNS9_4plusIvEENS9_8equal_toIvEEdEE10hipError_tPvRmT2_T3_T4_T5_mT6_T7_P12ihipStream_tbENKUlT_T0_E_clISt17integral_constantIbLb1EES11_EEDaSW_SX_EUlSW_E_NS1_11comp_targetILNS1_3genE3ELNS1_11target_archE908ELNS1_3gpuE7ELNS1_3repE0EEENS1_30default_config_static_selectorELNS0_4arch9wavefront6targetE0EEEvT1_,comdat
	.protected	_ZN7rocprim17ROCPRIM_400000_NS6detail17trampoline_kernelINS0_14default_configENS1_27scan_by_key_config_selectorIidEEZZNS1_16scan_by_key_implILNS1_25lookback_scan_determinismE0ELb0ES3_N6thrust23THRUST_200600_302600_NS6detail15normal_iteratorINS9_10device_ptrIiEEEENSB_INSC_IdEEEESG_dNS9_4plusIvEENS9_8equal_toIvEEdEE10hipError_tPvRmT2_T3_T4_T5_mT6_T7_P12ihipStream_tbENKUlT_T0_E_clISt17integral_constantIbLb1EES11_EEDaSW_SX_EUlSW_E_NS1_11comp_targetILNS1_3genE3ELNS1_11target_archE908ELNS1_3gpuE7ELNS1_3repE0EEENS1_30default_config_static_selectorELNS0_4arch9wavefront6targetE0EEEvT1_ ; -- Begin function _ZN7rocprim17ROCPRIM_400000_NS6detail17trampoline_kernelINS0_14default_configENS1_27scan_by_key_config_selectorIidEEZZNS1_16scan_by_key_implILNS1_25lookback_scan_determinismE0ELb0ES3_N6thrust23THRUST_200600_302600_NS6detail15normal_iteratorINS9_10device_ptrIiEEEENSB_INSC_IdEEEESG_dNS9_4plusIvEENS9_8equal_toIvEEdEE10hipError_tPvRmT2_T3_T4_T5_mT6_T7_P12ihipStream_tbENKUlT_T0_E_clISt17integral_constantIbLb1EES11_EEDaSW_SX_EUlSW_E_NS1_11comp_targetILNS1_3genE3ELNS1_11target_archE908ELNS1_3gpuE7ELNS1_3repE0EEENS1_30default_config_static_selectorELNS0_4arch9wavefront6targetE0EEEvT1_
	.globl	_ZN7rocprim17ROCPRIM_400000_NS6detail17trampoline_kernelINS0_14default_configENS1_27scan_by_key_config_selectorIidEEZZNS1_16scan_by_key_implILNS1_25lookback_scan_determinismE0ELb0ES3_N6thrust23THRUST_200600_302600_NS6detail15normal_iteratorINS9_10device_ptrIiEEEENSB_INSC_IdEEEESG_dNS9_4plusIvEENS9_8equal_toIvEEdEE10hipError_tPvRmT2_T3_T4_T5_mT6_T7_P12ihipStream_tbENKUlT_T0_E_clISt17integral_constantIbLb1EES11_EEDaSW_SX_EUlSW_E_NS1_11comp_targetILNS1_3genE3ELNS1_11target_archE908ELNS1_3gpuE7ELNS1_3repE0EEENS1_30default_config_static_selectorELNS0_4arch9wavefront6targetE0EEEvT1_
	.p2align	8
	.type	_ZN7rocprim17ROCPRIM_400000_NS6detail17trampoline_kernelINS0_14default_configENS1_27scan_by_key_config_selectorIidEEZZNS1_16scan_by_key_implILNS1_25lookback_scan_determinismE0ELb0ES3_N6thrust23THRUST_200600_302600_NS6detail15normal_iteratorINS9_10device_ptrIiEEEENSB_INSC_IdEEEESG_dNS9_4plusIvEENS9_8equal_toIvEEdEE10hipError_tPvRmT2_T3_T4_T5_mT6_T7_P12ihipStream_tbENKUlT_T0_E_clISt17integral_constantIbLb1EES11_EEDaSW_SX_EUlSW_E_NS1_11comp_targetILNS1_3genE3ELNS1_11target_archE908ELNS1_3gpuE7ELNS1_3repE0EEENS1_30default_config_static_selectorELNS0_4arch9wavefront6targetE0EEEvT1_,@function
_ZN7rocprim17ROCPRIM_400000_NS6detail17trampoline_kernelINS0_14default_configENS1_27scan_by_key_config_selectorIidEEZZNS1_16scan_by_key_implILNS1_25lookback_scan_determinismE0ELb0ES3_N6thrust23THRUST_200600_302600_NS6detail15normal_iteratorINS9_10device_ptrIiEEEENSB_INSC_IdEEEESG_dNS9_4plusIvEENS9_8equal_toIvEEdEE10hipError_tPvRmT2_T3_T4_T5_mT6_T7_P12ihipStream_tbENKUlT_T0_E_clISt17integral_constantIbLb1EES11_EEDaSW_SX_EUlSW_E_NS1_11comp_targetILNS1_3genE3ELNS1_11target_archE908ELNS1_3gpuE7ELNS1_3repE0EEENS1_30default_config_static_selectorELNS0_4arch9wavefront6targetE0EEEvT1_: ; @_ZN7rocprim17ROCPRIM_400000_NS6detail17trampoline_kernelINS0_14default_configENS1_27scan_by_key_config_selectorIidEEZZNS1_16scan_by_key_implILNS1_25lookback_scan_determinismE0ELb0ES3_N6thrust23THRUST_200600_302600_NS6detail15normal_iteratorINS9_10device_ptrIiEEEENSB_INSC_IdEEEESG_dNS9_4plusIvEENS9_8equal_toIvEEdEE10hipError_tPvRmT2_T3_T4_T5_mT6_T7_P12ihipStream_tbENKUlT_T0_E_clISt17integral_constantIbLb1EES11_EEDaSW_SX_EUlSW_E_NS1_11comp_targetILNS1_3genE3ELNS1_11target_archE908ELNS1_3gpuE7ELNS1_3repE0EEENS1_30default_config_static_selectorELNS0_4arch9wavefront6targetE0EEEvT1_
; %bb.0:
	.section	.rodata,"a",@progbits
	.p2align	6, 0x0
	.amdhsa_kernel _ZN7rocprim17ROCPRIM_400000_NS6detail17trampoline_kernelINS0_14default_configENS1_27scan_by_key_config_selectorIidEEZZNS1_16scan_by_key_implILNS1_25lookback_scan_determinismE0ELb0ES3_N6thrust23THRUST_200600_302600_NS6detail15normal_iteratorINS9_10device_ptrIiEEEENSB_INSC_IdEEEESG_dNS9_4plusIvEENS9_8equal_toIvEEdEE10hipError_tPvRmT2_T3_T4_T5_mT6_T7_P12ihipStream_tbENKUlT_T0_E_clISt17integral_constantIbLb1EES11_EEDaSW_SX_EUlSW_E_NS1_11comp_targetILNS1_3genE3ELNS1_11target_archE908ELNS1_3gpuE7ELNS1_3repE0EEENS1_30default_config_static_selectorELNS0_4arch9wavefront6targetE0EEEvT1_
		.amdhsa_group_segment_fixed_size 0
		.amdhsa_private_segment_fixed_size 0
		.amdhsa_kernarg_size 136
		.amdhsa_user_sgpr_count 2
		.amdhsa_user_sgpr_dispatch_ptr 0
		.amdhsa_user_sgpr_queue_ptr 0
		.amdhsa_user_sgpr_kernarg_segment_ptr 1
		.amdhsa_user_sgpr_dispatch_id 0
		.amdhsa_user_sgpr_kernarg_preload_length 0
		.amdhsa_user_sgpr_kernarg_preload_offset 0
		.amdhsa_user_sgpr_private_segment_size 0
		.amdhsa_wavefront_size32 1
		.amdhsa_uses_dynamic_stack 0
		.amdhsa_enable_private_segment 0
		.amdhsa_system_sgpr_workgroup_id_x 1
		.amdhsa_system_sgpr_workgroup_id_y 0
		.amdhsa_system_sgpr_workgroup_id_z 0
		.amdhsa_system_sgpr_workgroup_info 0
		.amdhsa_system_vgpr_workitem_id 0
		.amdhsa_next_free_vgpr 1
		.amdhsa_next_free_sgpr 1
		.amdhsa_named_barrier_count 0
		.amdhsa_reserve_vcc 0
		.amdhsa_float_round_mode_32 0
		.amdhsa_float_round_mode_16_64 0
		.amdhsa_float_denorm_mode_32 3
		.amdhsa_float_denorm_mode_16_64 3
		.amdhsa_fp16_overflow 0
		.amdhsa_memory_ordered 1
		.amdhsa_forward_progress 1
		.amdhsa_inst_pref_size 0
		.amdhsa_round_robin_scheduling 0
		.amdhsa_exception_fp_ieee_invalid_op 0
		.amdhsa_exception_fp_denorm_src 0
		.amdhsa_exception_fp_ieee_div_zero 0
		.amdhsa_exception_fp_ieee_overflow 0
		.amdhsa_exception_fp_ieee_underflow 0
		.amdhsa_exception_fp_ieee_inexact 0
		.amdhsa_exception_int_div_zero 0
	.end_amdhsa_kernel
	.section	.text._ZN7rocprim17ROCPRIM_400000_NS6detail17trampoline_kernelINS0_14default_configENS1_27scan_by_key_config_selectorIidEEZZNS1_16scan_by_key_implILNS1_25lookback_scan_determinismE0ELb0ES3_N6thrust23THRUST_200600_302600_NS6detail15normal_iteratorINS9_10device_ptrIiEEEENSB_INSC_IdEEEESG_dNS9_4plusIvEENS9_8equal_toIvEEdEE10hipError_tPvRmT2_T3_T4_T5_mT6_T7_P12ihipStream_tbENKUlT_T0_E_clISt17integral_constantIbLb1EES11_EEDaSW_SX_EUlSW_E_NS1_11comp_targetILNS1_3genE3ELNS1_11target_archE908ELNS1_3gpuE7ELNS1_3repE0EEENS1_30default_config_static_selectorELNS0_4arch9wavefront6targetE0EEEvT1_,"axG",@progbits,_ZN7rocprim17ROCPRIM_400000_NS6detail17trampoline_kernelINS0_14default_configENS1_27scan_by_key_config_selectorIidEEZZNS1_16scan_by_key_implILNS1_25lookback_scan_determinismE0ELb0ES3_N6thrust23THRUST_200600_302600_NS6detail15normal_iteratorINS9_10device_ptrIiEEEENSB_INSC_IdEEEESG_dNS9_4plusIvEENS9_8equal_toIvEEdEE10hipError_tPvRmT2_T3_T4_T5_mT6_T7_P12ihipStream_tbENKUlT_T0_E_clISt17integral_constantIbLb1EES11_EEDaSW_SX_EUlSW_E_NS1_11comp_targetILNS1_3genE3ELNS1_11target_archE908ELNS1_3gpuE7ELNS1_3repE0EEENS1_30default_config_static_selectorELNS0_4arch9wavefront6targetE0EEEvT1_,comdat
.Lfunc_end1100:
	.size	_ZN7rocprim17ROCPRIM_400000_NS6detail17trampoline_kernelINS0_14default_configENS1_27scan_by_key_config_selectorIidEEZZNS1_16scan_by_key_implILNS1_25lookback_scan_determinismE0ELb0ES3_N6thrust23THRUST_200600_302600_NS6detail15normal_iteratorINS9_10device_ptrIiEEEENSB_INSC_IdEEEESG_dNS9_4plusIvEENS9_8equal_toIvEEdEE10hipError_tPvRmT2_T3_T4_T5_mT6_T7_P12ihipStream_tbENKUlT_T0_E_clISt17integral_constantIbLb1EES11_EEDaSW_SX_EUlSW_E_NS1_11comp_targetILNS1_3genE3ELNS1_11target_archE908ELNS1_3gpuE7ELNS1_3repE0EEENS1_30default_config_static_selectorELNS0_4arch9wavefront6targetE0EEEvT1_, .Lfunc_end1100-_ZN7rocprim17ROCPRIM_400000_NS6detail17trampoline_kernelINS0_14default_configENS1_27scan_by_key_config_selectorIidEEZZNS1_16scan_by_key_implILNS1_25lookback_scan_determinismE0ELb0ES3_N6thrust23THRUST_200600_302600_NS6detail15normal_iteratorINS9_10device_ptrIiEEEENSB_INSC_IdEEEESG_dNS9_4plusIvEENS9_8equal_toIvEEdEE10hipError_tPvRmT2_T3_T4_T5_mT6_T7_P12ihipStream_tbENKUlT_T0_E_clISt17integral_constantIbLb1EES11_EEDaSW_SX_EUlSW_E_NS1_11comp_targetILNS1_3genE3ELNS1_11target_archE908ELNS1_3gpuE7ELNS1_3repE0EEENS1_30default_config_static_selectorELNS0_4arch9wavefront6targetE0EEEvT1_
                                        ; -- End function
	.set _ZN7rocprim17ROCPRIM_400000_NS6detail17trampoline_kernelINS0_14default_configENS1_27scan_by_key_config_selectorIidEEZZNS1_16scan_by_key_implILNS1_25lookback_scan_determinismE0ELb0ES3_N6thrust23THRUST_200600_302600_NS6detail15normal_iteratorINS9_10device_ptrIiEEEENSB_INSC_IdEEEESG_dNS9_4plusIvEENS9_8equal_toIvEEdEE10hipError_tPvRmT2_T3_T4_T5_mT6_T7_P12ihipStream_tbENKUlT_T0_E_clISt17integral_constantIbLb1EES11_EEDaSW_SX_EUlSW_E_NS1_11comp_targetILNS1_3genE3ELNS1_11target_archE908ELNS1_3gpuE7ELNS1_3repE0EEENS1_30default_config_static_selectorELNS0_4arch9wavefront6targetE0EEEvT1_.num_vgpr, 0
	.set _ZN7rocprim17ROCPRIM_400000_NS6detail17trampoline_kernelINS0_14default_configENS1_27scan_by_key_config_selectorIidEEZZNS1_16scan_by_key_implILNS1_25lookback_scan_determinismE0ELb0ES3_N6thrust23THRUST_200600_302600_NS6detail15normal_iteratorINS9_10device_ptrIiEEEENSB_INSC_IdEEEESG_dNS9_4plusIvEENS9_8equal_toIvEEdEE10hipError_tPvRmT2_T3_T4_T5_mT6_T7_P12ihipStream_tbENKUlT_T0_E_clISt17integral_constantIbLb1EES11_EEDaSW_SX_EUlSW_E_NS1_11comp_targetILNS1_3genE3ELNS1_11target_archE908ELNS1_3gpuE7ELNS1_3repE0EEENS1_30default_config_static_selectorELNS0_4arch9wavefront6targetE0EEEvT1_.num_agpr, 0
	.set _ZN7rocprim17ROCPRIM_400000_NS6detail17trampoline_kernelINS0_14default_configENS1_27scan_by_key_config_selectorIidEEZZNS1_16scan_by_key_implILNS1_25lookback_scan_determinismE0ELb0ES3_N6thrust23THRUST_200600_302600_NS6detail15normal_iteratorINS9_10device_ptrIiEEEENSB_INSC_IdEEEESG_dNS9_4plusIvEENS9_8equal_toIvEEdEE10hipError_tPvRmT2_T3_T4_T5_mT6_T7_P12ihipStream_tbENKUlT_T0_E_clISt17integral_constantIbLb1EES11_EEDaSW_SX_EUlSW_E_NS1_11comp_targetILNS1_3genE3ELNS1_11target_archE908ELNS1_3gpuE7ELNS1_3repE0EEENS1_30default_config_static_selectorELNS0_4arch9wavefront6targetE0EEEvT1_.numbered_sgpr, 0
	.set _ZN7rocprim17ROCPRIM_400000_NS6detail17trampoline_kernelINS0_14default_configENS1_27scan_by_key_config_selectorIidEEZZNS1_16scan_by_key_implILNS1_25lookback_scan_determinismE0ELb0ES3_N6thrust23THRUST_200600_302600_NS6detail15normal_iteratorINS9_10device_ptrIiEEEENSB_INSC_IdEEEESG_dNS9_4plusIvEENS9_8equal_toIvEEdEE10hipError_tPvRmT2_T3_T4_T5_mT6_T7_P12ihipStream_tbENKUlT_T0_E_clISt17integral_constantIbLb1EES11_EEDaSW_SX_EUlSW_E_NS1_11comp_targetILNS1_3genE3ELNS1_11target_archE908ELNS1_3gpuE7ELNS1_3repE0EEENS1_30default_config_static_selectorELNS0_4arch9wavefront6targetE0EEEvT1_.num_named_barrier, 0
	.set _ZN7rocprim17ROCPRIM_400000_NS6detail17trampoline_kernelINS0_14default_configENS1_27scan_by_key_config_selectorIidEEZZNS1_16scan_by_key_implILNS1_25lookback_scan_determinismE0ELb0ES3_N6thrust23THRUST_200600_302600_NS6detail15normal_iteratorINS9_10device_ptrIiEEEENSB_INSC_IdEEEESG_dNS9_4plusIvEENS9_8equal_toIvEEdEE10hipError_tPvRmT2_T3_T4_T5_mT6_T7_P12ihipStream_tbENKUlT_T0_E_clISt17integral_constantIbLb1EES11_EEDaSW_SX_EUlSW_E_NS1_11comp_targetILNS1_3genE3ELNS1_11target_archE908ELNS1_3gpuE7ELNS1_3repE0EEENS1_30default_config_static_selectorELNS0_4arch9wavefront6targetE0EEEvT1_.private_seg_size, 0
	.set _ZN7rocprim17ROCPRIM_400000_NS6detail17trampoline_kernelINS0_14default_configENS1_27scan_by_key_config_selectorIidEEZZNS1_16scan_by_key_implILNS1_25lookback_scan_determinismE0ELb0ES3_N6thrust23THRUST_200600_302600_NS6detail15normal_iteratorINS9_10device_ptrIiEEEENSB_INSC_IdEEEESG_dNS9_4plusIvEENS9_8equal_toIvEEdEE10hipError_tPvRmT2_T3_T4_T5_mT6_T7_P12ihipStream_tbENKUlT_T0_E_clISt17integral_constantIbLb1EES11_EEDaSW_SX_EUlSW_E_NS1_11comp_targetILNS1_3genE3ELNS1_11target_archE908ELNS1_3gpuE7ELNS1_3repE0EEENS1_30default_config_static_selectorELNS0_4arch9wavefront6targetE0EEEvT1_.uses_vcc, 0
	.set _ZN7rocprim17ROCPRIM_400000_NS6detail17trampoline_kernelINS0_14default_configENS1_27scan_by_key_config_selectorIidEEZZNS1_16scan_by_key_implILNS1_25lookback_scan_determinismE0ELb0ES3_N6thrust23THRUST_200600_302600_NS6detail15normal_iteratorINS9_10device_ptrIiEEEENSB_INSC_IdEEEESG_dNS9_4plusIvEENS9_8equal_toIvEEdEE10hipError_tPvRmT2_T3_T4_T5_mT6_T7_P12ihipStream_tbENKUlT_T0_E_clISt17integral_constantIbLb1EES11_EEDaSW_SX_EUlSW_E_NS1_11comp_targetILNS1_3genE3ELNS1_11target_archE908ELNS1_3gpuE7ELNS1_3repE0EEENS1_30default_config_static_selectorELNS0_4arch9wavefront6targetE0EEEvT1_.uses_flat_scratch, 0
	.set _ZN7rocprim17ROCPRIM_400000_NS6detail17trampoline_kernelINS0_14default_configENS1_27scan_by_key_config_selectorIidEEZZNS1_16scan_by_key_implILNS1_25lookback_scan_determinismE0ELb0ES3_N6thrust23THRUST_200600_302600_NS6detail15normal_iteratorINS9_10device_ptrIiEEEENSB_INSC_IdEEEESG_dNS9_4plusIvEENS9_8equal_toIvEEdEE10hipError_tPvRmT2_T3_T4_T5_mT6_T7_P12ihipStream_tbENKUlT_T0_E_clISt17integral_constantIbLb1EES11_EEDaSW_SX_EUlSW_E_NS1_11comp_targetILNS1_3genE3ELNS1_11target_archE908ELNS1_3gpuE7ELNS1_3repE0EEENS1_30default_config_static_selectorELNS0_4arch9wavefront6targetE0EEEvT1_.has_dyn_sized_stack, 0
	.set _ZN7rocprim17ROCPRIM_400000_NS6detail17trampoline_kernelINS0_14default_configENS1_27scan_by_key_config_selectorIidEEZZNS1_16scan_by_key_implILNS1_25lookback_scan_determinismE0ELb0ES3_N6thrust23THRUST_200600_302600_NS6detail15normal_iteratorINS9_10device_ptrIiEEEENSB_INSC_IdEEEESG_dNS9_4plusIvEENS9_8equal_toIvEEdEE10hipError_tPvRmT2_T3_T4_T5_mT6_T7_P12ihipStream_tbENKUlT_T0_E_clISt17integral_constantIbLb1EES11_EEDaSW_SX_EUlSW_E_NS1_11comp_targetILNS1_3genE3ELNS1_11target_archE908ELNS1_3gpuE7ELNS1_3repE0EEENS1_30default_config_static_selectorELNS0_4arch9wavefront6targetE0EEEvT1_.has_recursion, 0
	.set _ZN7rocprim17ROCPRIM_400000_NS6detail17trampoline_kernelINS0_14default_configENS1_27scan_by_key_config_selectorIidEEZZNS1_16scan_by_key_implILNS1_25lookback_scan_determinismE0ELb0ES3_N6thrust23THRUST_200600_302600_NS6detail15normal_iteratorINS9_10device_ptrIiEEEENSB_INSC_IdEEEESG_dNS9_4plusIvEENS9_8equal_toIvEEdEE10hipError_tPvRmT2_T3_T4_T5_mT6_T7_P12ihipStream_tbENKUlT_T0_E_clISt17integral_constantIbLb1EES11_EEDaSW_SX_EUlSW_E_NS1_11comp_targetILNS1_3genE3ELNS1_11target_archE908ELNS1_3gpuE7ELNS1_3repE0EEENS1_30default_config_static_selectorELNS0_4arch9wavefront6targetE0EEEvT1_.has_indirect_call, 0
	.section	.AMDGPU.csdata,"",@progbits
; Kernel info:
; codeLenInByte = 0
; TotalNumSgprs: 0
; NumVgprs: 0
; ScratchSize: 0
; MemoryBound: 0
; FloatMode: 240
; IeeeMode: 1
; LDSByteSize: 0 bytes/workgroup (compile time only)
; SGPRBlocks: 0
; VGPRBlocks: 0
; NumSGPRsForWavesPerEU: 1
; NumVGPRsForWavesPerEU: 1
; NamedBarCnt: 0
; Occupancy: 16
; WaveLimiterHint : 0
; COMPUTE_PGM_RSRC2:SCRATCH_EN: 0
; COMPUTE_PGM_RSRC2:USER_SGPR: 2
; COMPUTE_PGM_RSRC2:TRAP_HANDLER: 0
; COMPUTE_PGM_RSRC2:TGID_X_EN: 1
; COMPUTE_PGM_RSRC2:TGID_Y_EN: 0
; COMPUTE_PGM_RSRC2:TGID_Z_EN: 0
; COMPUTE_PGM_RSRC2:TIDIG_COMP_CNT: 0
	.section	.text._ZN7rocprim17ROCPRIM_400000_NS6detail17trampoline_kernelINS0_14default_configENS1_27scan_by_key_config_selectorIidEEZZNS1_16scan_by_key_implILNS1_25lookback_scan_determinismE0ELb0ES3_N6thrust23THRUST_200600_302600_NS6detail15normal_iteratorINS9_10device_ptrIiEEEENSB_INSC_IdEEEESG_dNS9_4plusIvEENS9_8equal_toIvEEdEE10hipError_tPvRmT2_T3_T4_T5_mT6_T7_P12ihipStream_tbENKUlT_T0_E_clISt17integral_constantIbLb1EES11_EEDaSW_SX_EUlSW_E_NS1_11comp_targetILNS1_3genE2ELNS1_11target_archE906ELNS1_3gpuE6ELNS1_3repE0EEENS1_30default_config_static_selectorELNS0_4arch9wavefront6targetE0EEEvT1_,"axG",@progbits,_ZN7rocprim17ROCPRIM_400000_NS6detail17trampoline_kernelINS0_14default_configENS1_27scan_by_key_config_selectorIidEEZZNS1_16scan_by_key_implILNS1_25lookback_scan_determinismE0ELb0ES3_N6thrust23THRUST_200600_302600_NS6detail15normal_iteratorINS9_10device_ptrIiEEEENSB_INSC_IdEEEESG_dNS9_4plusIvEENS9_8equal_toIvEEdEE10hipError_tPvRmT2_T3_T4_T5_mT6_T7_P12ihipStream_tbENKUlT_T0_E_clISt17integral_constantIbLb1EES11_EEDaSW_SX_EUlSW_E_NS1_11comp_targetILNS1_3genE2ELNS1_11target_archE906ELNS1_3gpuE6ELNS1_3repE0EEENS1_30default_config_static_selectorELNS0_4arch9wavefront6targetE0EEEvT1_,comdat
	.protected	_ZN7rocprim17ROCPRIM_400000_NS6detail17trampoline_kernelINS0_14default_configENS1_27scan_by_key_config_selectorIidEEZZNS1_16scan_by_key_implILNS1_25lookback_scan_determinismE0ELb0ES3_N6thrust23THRUST_200600_302600_NS6detail15normal_iteratorINS9_10device_ptrIiEEEENSB_INSC_IdEEEESG_dNS9_4plusIvEENS9_8equal_toIvEEdEE10hipError_tPvRmT2_T3_T4_T5_mT6_T7_P12ihipStream_tbENKUlT_T0_E_clISt17integral_constantIbLb1EES11_EEDaSW_SX_EUlSW_E_NS1_11comp_targetILNS1_3genE2ELNS1_11target_archE906ELNS1_3gpuE6ELNS1_3repE0EEENS1_30default_config_static_selectorELNS0_4arch9wavefront6targetE0EEEvT1_ ; -- Begin function _ZN7rocprim17ROCPRIM_400000_NS6detail17trampoline_kernelINS0_14default_configENS1_27scan_by_key_config_selectorIidEEZZNS1_16scan_by_key_implILNS1_25lookback_scan_determinismE0ELb0ES3_N6thrust23THRUST_200600_302600_NS6detail15normal_iteratorINS9_10device_ptrIiEEEENSB_INSC_IdEEEESG_dNS9_4plusIvEENS9_8equal_toIvEEdEE10hipError_tPvRmT2_T3_T4_T5_mT6_T7_P12ihipStream_tbENKUlT_T0_E_clISt17integral_constantIbLb1EES11_EEDaSW_SX_EUlSW_E_NS1_11comp_targetILNS1_3genE2ELNS1_11target_archE906ELNS1_3gpuE6ELNS1_3repE0EEENS1_30default_config_static_selectorELNS0_4arch9wavefront6targetE0EEEvT1_
	.globl	_ZN7rocprim17ROCPRIM_400000_NS6detail17trampoline_kernelINS0_14default_configENS1_27scan_by_key_config_selectorIidEEZZNS1_16scan_by_key_implILNS1_25lookback_scan_determinismE0ELb0ES3_N6thrust23THRUST_200600_302600_NS6detail15normal_iteratorINS9_10device_ptrIiEEEENSB_INSC_IdEEEESG_dNS9_4plusIvEENS9_8equal_toIvEEdEE10hipError_tPvRmT2_T3_T4_T5_mT6_T7_P12ihipStream_tbENKUlT_T0_E_clISt17integral_constantIbLb1EES11_EEDaSW_SX_EUlSW_E_NS1_11comp_targetILNS1_3genE2ELNS1_11target_archE906ELNS1_3gpuE6ELNS1_3repE0EEENS1_30default_config_static_selectorELNS0_4arch9wavefront6targetE0EEEvT1_
	.p2align	8
	.type	_ZN7rocprim17ROCPRIM_400000_NS6detail17trampoline_kernelINS0_14default_configENS1_27scan_by_key_config_selectorIidEEZZNS1_16scan_by_key_implILNS1_25lookback_scan_determinismE0ELb0ES3_N6thrust23THRUST_200600_302600_NS6detail15normal_iteratorINS9_10device_ptrIiEEEENSB_INSC_IdEEEESG_dNS9_4plusIvEENS9_8equal_toIvEEdEE10hipError_tPvRmT2_T3_T4_T5_mT6_T7_P12ihipStream_tbENKUlT_T0_E_clISt17integral_constantIbLb1EES11_EEDaSW_SX_EUlSW_E_NS1_11comp_targetILNS1_3genE2ELNS1_11target_archE906ELNS1_3gpuE6ELNS1_3repE0EEENS1_30default_config_static_selectorELNS0_4arch9wavefront6targetE0EEEvT1_,@function
_ZN7rocprim17ROCPRIM_400000_NS6detail17trampoline_kernelINS0_14default_configENS1_27scan_by_key_config_selectorIidEEZZNS1_16scan_by_key_implILNS1_25lookback_scan_determinismE0ELb0ES3_N6thrust23THRUST_200600_302600_NS6detail15normal_iteratorINS9_10device_ptrIiEEEENSB_INSC_IdEEEESG_dNS9_4plusIvEENS9_8equal_toIvEEdEE10hipError_tPvRmT2_T3_T4_T5_mT6_T7_P12ihipStream_tbENKUlT_T0_E_clISt17integral_constantIbLb1EES11_EEDaSW_SX_EUlSW_E_NS1_11comp_targetILNS1_3genE2ELNS1_11target_archE906ELNS1_3gpuE6ELNS1_3repE0EEENS1_30default_config_static_selectorELNS0_4arch9wavefront6targetE0EEEvT1_: ; @_ZN7rocprim17ROCPRIM_400000_NS6detail17trampoline_kernelINS0_14default_configENS1_27scan_by_key_config_selectorIidEEZZNS1_16scan_by_key_implILNS1_25lookback_scan_determinismE0ELb0ES3_N6thrust23THRUST_200600_302600_NS6detail15normal_iteratorINS9_10device_ptrIiEEEENSB_INSC_IdEEEESG_dNS9_4plusIvEENS9_8equal_toIvEEdEE10hipError_tPvRmT2_T3_T4_T5_mT6_T7_P12ihipStream_tbENKUlT_T0_E_clISt17integral_constantIbLb1EES11_EEDaSW_SX_EUlSW_E_NS1_11comp_targetILNS1_3genE2ELNS1_11target_archE906ELNS1_3gpuE6ELNS1_3repE0EEENS1_30default_config_static_selectorELNS0_4arch9wavefront6targetE0EEEvT1_
; %bb.0:
	.section	.rodata,"a",@progbits
	.p2align	6, 0x0
	.amdhsa_kernel _ZN7rocprim17ROCPRIM_400000_NS6detail17trampoline_kernelINS0_14default_configENS1_27scan_by_key_config_selectorIidEEZZNS1_16scan_by_key_implILNS1_25lookback_scan_determinismE0ELb0ES3_N6thrust23THRUST_200600_302600_NS6detail15normal_iteratorINS9_10device_ptrIiEEEENSB_INSC_IdEEEESG_dNS9_4plusIvEENS9_8equal_toIvEEdEE10hipError_tPvRmT2_T3_T4_T5_mT6_T7_P12ihipStream_tbENKUlT_T0_E_clISt17integral_constantIbLb1EES11_EEDaSW_SX_EUlSW_E_NS1_11comp_targetILNS1_3genE2ELNS1_11target_archE906ELNS1_3gpuE6ELNS1_3repE0EEENS1_30default_config_static_selectorELNS0_4arch9wavefront6targetE0EEEvT1_
		.amdhsa_group_segment_fixed_size 0
		.amdhsa_private_segment_fixed_size 0
		.amdhsa_kernarg_size 136
		.amdhsa_user_sgpr_count 2
		.amdhsa_user_sgpr_dispatch_ptr 0
		.amdhsa_user_sgpr_queue_ptr 0
		.amdhsa_user_sgpr_kernarg_segment_ptr 1
		.amdhsa_user_sgpr_dispatch_id 0
		.amdhsa_user_sgpr_kernarg_preload_length 0
		.amdhsa_user_sgpr_kernarg_preload_offset 0
		.amdhsa_user_sgpr_private_segment_size 0
		.amdhsa_wavefront_size32 1
		.amdhsa_uses_dynamic_stack 0
		.amdhsa_enable_private_segment 0
		.amdhsa_system_sgpr_workgroup_id_x 1
		.amdhsa_system_sgpr_workgroup_id_y 0
		.amdhsa_system_sgpr_workgroup_id_z 0
		.amdhsa_system_sgpr_workgroup_info 0
		.amdhsa_system_vgpr_workitem_id 0
		.amdhsa_next_free_vgpr 1
		.amdhsa_next_free_sgpr 1
		.amdhsa_named_barrier_count 0
		.amdhsa_reserve_vcc 0
		.amdhsa_float_round_mode_32 0
		.amdhsa_float_round_mode_16_64 0
		.amdhsa_float_denorm_mode_32 3
		.amdhsa_float_denorm_mode_16_64 3
		.amdhsa_fp16_overflow 0
		.amdhsa_memory_ordered 1
		.amdhsa_forward_progress 1
		.amdhsa_inst_pref_size 0
		.amdhsa_round_robin_scheduling 0
		.amdhsa_exception_fp_ieee_invalid_op 0
		.amdhsa_exception_fp_denorm_src 0
		.amdhsa_exception_fp_ieee_div_zero 0
		.amdhsa_exception_fp_ieee_overflow 0
		.amdhsa_exception_fp_ieee_underflow 0
		.amdhsa_exception_fp_ieee_inexact 0
		.amdhsa_exception_int_div_zero 0
	.end_amdhsa_kernel
	.section	.text._ZN7rocprim17ROCPRIM_400000_NS6detail17trampoline_kernelINS0_14default_configENS1_27scan_by_key_config_selectorIidEEZZNS1_16scan_by_key_implILNS1_25lookback_scan_determinismE0ELb0ES3_N6thrust23THRUST_200600_302600_NS6detail15normal_iteratorINS9_10device_ptrIiEEEENSB_INSC_IdEEEESG_dNS9_4plusIvEENS9_8equal_toIvEEdEE10hipError_tPvRmT2_T3_T4_T5_mT6_T7_P12ihipStream_tbENKUlT_T0_E_clISt17integral_constantIbLb1EES11_EEDaSW_SX_EUlSW_E_NS1_11comp_targetILNS1_3genE2ELNS1_11target_archE906ELNS1_3gpuE6ELNS1_3repE0EEENS1_30default_config_static_selectorELNS0_4arch9wavefront6targetE0EEEvT1_,"axG",@progbits,_ZN7rocprim17ROCPRIM_400000_NS6detail17trampoline_kernelINS0_14default_configENS1_27scan_by_key_config_selectorIidEEZZNS1_16scan_by_key_implILNS1_25lookback_scan_determinismE0ELb0ES3_N6thrust23THRUST_200600_302600_NS6detail15normal_iteratorINS9_10device_ptrIiEEEENSB_INSC_IdEEEESG_dNS9_4plusIvEENS9_8equal_toIvEEdEE10hipError_tPvRmT2_T3_T4_T5_mT6_T7_P12ihipStream_tbENKUlT_T0_E_clISt17integral_constantIbLb1EES11_EEDaSW_SX_EUlSW_E_NS1_11comp_targetILNS1_3genE2ELNS1_11target_archE906ELNS1_3gpuE6ELNS1_3repE0EEENS1_30default_config_static_selectorELNS0_4arch9wavefront6targetE0EEEvT1_,comdat
.Lfunc_end1101:
	.size	_ZN7rocprim17ROCPRIM_400000_NS6detail17trampoline_kernelINS0_14default_configENS1_27scan_by_key_config_selectorIidEEZZNS1_16scan_by_key_implILNS1_25lookback_scan_determinismE0ELb0ES3_N6thrust23THRUST_200600_302600_NS6detail15normal_iteratorINS9_10device_ptrIiEEEENSB_INSC_IdEEEESG_dNS9_4plusIvEENS9_8equal_toIvEEdEE10hipError_tPvRmT2_T3_T4_T5_mT6_T7_P12ihipStream_tbENKUlT_T0_E_clISt17integral_constantIbLb1EES11_EEDaSW_SX_EUlSW_E_NS1_11comp_targetILNS1_3genE2ELNS1_11target_archE906ELNS1_3gpuE6ELNS1_3repE0EEENS1_30default_config_static_selectorELNS0_4arch9wavefront6targetE0EEEvT1_, .Lfunc_end1101-_ZN7rocprim17ROCPRIM_400000_NS6detail17trampoline_kernelINS0_14default_configENS1_27scan_by_key_config_selectorIidEEZZNS1_16scan_by_key_implILNS1_25lookback_scan_determinismE0ELb0ES3_N6thrust23THRUST_200600_302600_NS6detail15normal_iteratorINS9_10device_ptrIiEEEENSB_INSC_IdEEEESG_dNS9_4plusIvEENS9_8equal_toIvEEdEE10hipError_tPvRmT2_T3_T4_T5_mT6_T7_P12ihipStream_tbENKUlT_T0_E_clISt17integral_constantIbLb1EES11_EEDaSW_SX_EUlSW_E_NS1_11comp_targetILNS1_3genE2ELNS1_11target_archE906ELNS1_3gpuE6ELNS1_3repE0EEENS1_30default_config_static_selectorELNS0_4arch9wavefront6targetE0EEEvT1_
                                        ; -- End function
	.set _ZN7rocprim17ROCPRIM_400000_NS6detail17trampoline_kernelINS0_14default_configENS1_27scan_by_key_config_selectorIidEEZZNS1_16scan_by_key_implILNS1_25lookback_scan_determinismE0ELb0ES3_N6thrust23THRUST_200600_302600_NS6detail15normal_iteratorINS9_10device_ptrIiEEEENSB_INSC_IdEEEESG_dNS9_4plusIvEENS9_8equal_toIvEEdEE10hipError_tPvRmT2_T3_T4_T5_mT6_T7_P12ihipStream_tbENKUlT_T0_E_clISt17integral_constantIbLb1EES11_EEDaSW_SX_EUlSW_E_NS1_11comp_targetILNS1_3genE2ELNS1_11target_archE906ELNS1_3gpuE6ELNS1_3repE0EEENS1_30default_config_static_selectorELNS0_4arch9wavefront6targetE0EEEvT1_.num_vgpr, 0
	.set _ZN7rocprim17ROCPRIM_400000_NS6detail17trampoline_kernelINS0_14default_configENS1_27scan_by_key_config_selectorIidEEZZNS1_16scan_by_key_implILNS1_25lookback_scan_determinismE0ELb0ES3_N6thrust23THRUST_200600_302600_NS6detail15normal_iteratorINS9_10device_ptrIiEEEENSB_INSC_IdEEEESG_dNS9_4plusIvEENS9_8equal_toIvEEdEE10hipError_tPvRmT2_T3_T4_T5_mT6_T7_P12ihipStream_tbENKUlT_T0_E_clISt17integral_constantIbLb1EES11_EEDaSW_SX_EUlSW_E_NS1_11comp_targetILNS1_3genE2ELNS1_11target_archE906ELNS1_3gpuE6ELNS1_3repE0EEENS1_30default_config_static_selectorELNS0_4arch9wavefront6targetE0EEEvT1_.num_agpr, 0
	.set _ZN7rocprim17ROCPRIM_400000_NS6detail17trampoline_kernelINS0_14default_configENS1_27scan_by_key_config_selectorIidEEZZNS1_16scan_by_key_implILNS1_25lookback_scan_determinismE0ELb0ES3_N6thrust23THRUST_200600_302600_NS6detail15normal_iteratorINS9_10device_ptrIiEEEENSB_INSC_IdEEEESG_dNS9_4plusIvEENS9_8equal_toIvEEdEE10hipError_tPvRmT2_T3_T4_T5_mT6_T7_P12ihipStream_tbENKUlT_T0_E_clISt17integral_constantIbLb1EES11_EEDaSW_SX_EUlSW_E_NS1_11comp_targetILNS1_3genE2ELNS1_11target_archE906ELNS1_3gpuE6ELNS1_3repE0EEENS1_30default_config_static_selectorELNS0_4arch9wavefront6targetE0EEEvT1_.numbered_sgpr, 0
	.set _ZN7rocprim17ROCPRIM_400000_NS6detail17trampoline_kernelINS0_14default_configENS1_27scan_by_key_config_selectorIidEEZZNS1_16scan_by_key_implILNS1_25lookback_scan_determinismE0ELb0ES3_N6thrust23THRUST_200600_302600_NS6detail15normal_iteratorINS9_10device_ptrIiEEEENSB_INSC_IdEEEESG_dNS9_4plusIvEENS9_8equal_toIvEEdEE10hipError_tPvRmT2_T3_T4_T5_mT6_T7_P12ihipStream_tbENKUlT_T0_E_clISt17integral_constantIbLb1EES11_EEDaSW_SX_EUlSW_E_NS1_11comp_targetILNS1_3genE2ELNS1_11target_archE906ELNS1_3gpuE6ELNS1_3repE0EEENS1_30default_config_static_selectorELNS0_4arch9wavefront6targetE0EEEvT1_.num_named_barrier, 0
	.set _ZN7rocprim17ROCPRIM_400000_NS6detail17trampoline_kernelINS0_14default_configENS1_27scan_by_key_config_selectorIidEEZZNS1_16scan_by_key_implILNS1_25lookback_scan_determinismE0ELb0ES3_N6thrust23THRUST_200600_302600_NS6detail15normal_iteratorINS9_10device_ptrIiEEEENSB_INSC_IdEEEESG_dNS9_4plusIvEENS9_8equal_toIvEEdEE10hipError_tPvRmT2_T3_T4_T5_mT6_T7_P12ihipStream_tbENKUlT_T0_E_clISt17integral_constantIbLb1EES11_EEDaSW_SX_EUlSW_E_NS1_11comp_targetILNS1_3genE2ELNS1_11target_archE906ELNS1_3gpuE6ELNS1_3repE0EEENS1_30default_config_static_selectorELNS0_4arch9wavefront6targetE0EEEvT1_.private_seg_size, 0
	.set _ZN7rocprim17ROCPRIM_400000_NS6detail17trampoline_kernelINS0_14default_configENS1_27scan_by_key_config_selectorIidEEZZNS1_16scan_by_key_implILNS1_25lookback_scan_determinismE0ELb0ES3_N6thrust23THRUST_200600_302600_NS6detail15normal_iteratorINS9_10device_ptrIiEEEENSB_INSC_IdEEEESG_dNS9_4plusIvEENS9_8equal_toIvEEdEE10hipError_tPvRmT2_T3_T4_T5_mT6_T7_P12ihipStream_tbENKUlT_T0_E_clISt17integral_constantIbLb1EES11_EEDaSW_SX_EUlSW_E_NS1_11comp_targetILNS1_3genE2ELNS1_11target_archE906ELNS1_3gpuE6ELNS1_3repE0EEENS1_30default_config_static_selectorELNS0_4arch9wavefront6targetE0EEEvT1_.uses_vcc, 0
	.set _ZN7rocprim17ROCPRIM_400000_NS6detail17trampoline_kernelINS0_14default_configENS1_27scan_by_key_config_selectorIidEEZZNS1_16scan_by_key_implILNS1_25lookback_scan_determinismE0ELb0ES3_N6thrust23THRUST_200600_302600_NS6detail15normal_iteratorINS9_10device_ptrIiEEEENSB_INSC_IdEEEESG_dNS9_4plusIvEENS9_8equal_toIvEEdEE10hipError_tPvRmT2_T3_T4_T5_mT6_T7_P12ihipStream_tbENKUlT_T0_E_clISt17integral_constantIbLb1EES11_EEDaSW_SX_EUlSW_E_NS1_11comp_targetILNS1_3genE2ELNS1_11target_archE906ELNS1_3gpuE6ELNS1_3repE0EEENS1_30default_config_static_selectorELNS0_4arch9wavefront6targetE0EEEvT1_.uses_flat_scratch, 0
	.set _ZN7rocprim17ROCPRIM_400000_NS6detail17trampoline_kernelINS0_14default_configENS1_27scan_by_key_config_selectorIidEEZZNS1_16scan_by_key_implILNS1_25lookback_scan_determinismE0ELb0ES3_N6thrust23THRUST_200600_302600_NS6detail15normal_iteratorINS9_10device_ptrIiEEEENSB_INSC_IdEEEESG_dNS9_4plusIvEENS9_8equal_toIvEEdEE10hipError_tPvRmT2_T3_T4_T5_mT6_T7_P12ihipStream_tbENKUlT_T0_E_clISt17integral_constantIbLb1EES11_EEDaSW_SX_EUlSW_E_NS1_11comp_targetILNS1_3genE2ELNS1_11target_archE906ELNS1_3gpuE6ELNS1_3repE0EEENS1_30default_config_static_selectorELNS0_4arch9wavefront6targetE0EEEvT1_.has_dyn_sized_stack, 0
	.set _ZN7rocprim17ROCPRIM_400000_NS6detail17trampoline_kernelINS0_14default_configENS1_27scan_by_key_config_selectorIidEEZZNS1_16scan_by_key_implILNS1_25lookback_scan_determinismE0ELb0ES3_N6thrust23THRUST_200600_302600_NS6detail15normal_iteratorINS9_10device_ptrIiEEEENSB_INSC_IdEEEESG_dNS9_4plusIvEENS9_8equal_toIvEEdEE10hipError_tPvRmT2_T3_T4_T5_mT6_T7_P12ihipStream_tbENKUlT_T0_E_clISt17integral_constantIbLb1EES11_EEDaSW_SX_EUlSW_E_NS1_11comp_targetILNS1_3genE2ELNS1_11target_archE906ELNS1_3gpuE6ELNS1_3repE0EEENS1_30default_config_static_selectorELNS0_4arch9wavefront6targetE0EEEvT1_.has_recursion, 0
	.set _ZN7rocprim17ROCPRIM_400000_NS6detail17trampoline_kernelINS0_14default_configENS1_27scan_by_key_config_selectorIidEEZZNS1_16scan_by_key_implILNS1_25lookback_scan_determinismE0ELb0ES3_N6thrust23THRUST_200600_302600_NS6detail15normal_iteratorINS9_10device_ptrIiEEEENSB_INSC_IdEEEESG_dNS9_4plusIvEENS9_8equal_toIvEEdEE10hipError_tPvRmT2_T3_T4_T5_mT6_T7_P12ihipStream_tbENKUlT_T0_E_clISt17integral_constantIbLb1EES11_EEDaSW_SX_EUlSW_E_NS1_11comp_targetILNS1_3genE2ELNS1_11target_archE906ELNS1_3gpuE6ELNS1_3repE0EEENS1_30default_config_static_selectorELNS0_4arch9wavefront6targetE0EEEvT1_.has_indirect_call, 0
	.section	.AMDGPU.csdata,"",@progbits
; Kernel info:
; codeLenInByte = 0
; TotalNumSgprs: 0
; NumVgprs: 0
; ScratchSize: 0
; MemoryBound: 0
; FloatMode: 240
; IeeeMode: 1
; LDSByteSize: 0 bytes/workgroup (compile time only)
; SGPRBlocks: 0
; VGPRBlocks: 0
; NumSGPRsForWavesPerEU: 1
; NumVGPRsForWavesPerEU: 1
; NamedBarCnt: 0
; Occupancy: 16
; WaveLimiterHint : 0
; COMPUTE_PGM_RSRC2:SCRATCH_EN: 0
; COMPUTE_PGM_RSRC2:USER_SGPR: 2
; COMPUTE_PGM_RSRC2:TRAP_HANDLER: 0
; COMPUTE_PGM_RSRC2:TGID_X_EN: 1
; COMPUTE_PGM_RSRC2:TGID_Y_EN: 0
; COMPUTE_PGM_RSRC2:TGID_Z_EN: 0
; COMPUTE_PGM_RSRC2:TIDIG_COMP_CNT: 0
	.section	.text._ZN7rocprim17ROCPRIM_400000_NS6detail17trampoline_kernelINS0_14default_configENS1_27scan_by_key_config_selectorIidEEZZNS1_16scan_by_key_implILNS1_25lookback_scan_determinismE0ELb0ES3_N6thrust23THRUST_200600_302600_NS6detail15normal_iteratorINS9_10device_ptrIiEEEENSB_INSC_IdEEEESG_dNS9_4plusIvEENS9_8equal_toIvEEdEE10hipError_tPvRmT2_T3_T4_T5_mT6_T7_P12ihipStream_tbENKUlT_T0_E_clISt17integral_constantIbLb1EES11_EEDaSW_SX_EUlSW_E_NS1_11comp_targetILNS1_3genE10ELNS1_11target_archE1200ELNS1_3gpuE4ELNS1_3repE0EEENS1_30default_config_static_selectorELNS0_4arch9wavefront6targetE0EEEvT1_,"axG",@progbits,_ZN7rocprim17ROCPRIM_400000_NS6detail17trampoline_kernelINS0_14default_configENS1_27scan_by_key_config_selectorIidEEZZNS1_16scan_by_key_implILNS1_25lookback_scan_determinismE0ELb0ES3_N6thrust23THRUST_200600_302600_NS6detail15normal_iteratorINS9_10device_ptrIiEEEENSB_INSC_IdEEEESG_dNS9_4plusIvEENS9_8equal_toIvEEdEE10hipError_tPvRmT2_T3_T4_T5_mT6_T7_P12ihipStream_tbENKUlT_T0_E_clISt17integral_constantIbLb1EES11_EEDaSW_SX_EUlSW_E_NS1_11comp_targetILNS1_3genE10ELNS1_11target_archE1200ELNS1_3gpuE4ELNS1_3repE0EEENS1_30default_config_static_selectorELNS0_4arch9wavefront6targetE0EEEvT1_,comdat
	.protected	_ZN7rocprim17ROCPRIM_400000_NS6detail17trampoline_kernelINS0_14default_configENS1_27scan_by_key_config_selectorIidEEZZNS1_16scan_by_key_implILNS1_25lookback_scan_determinismE0ELb0ES3_N6thrust23THRUST_200600_302600_NS6detail15normal_iteratorINS9_10device_ptrIiEEEENSB_INSC_IdEEEESG_dNS9_4plusIvEENS9_8equal_toIvEEdEE10hipError_tPvRmT2_T3_T4_T5_mT6_T7_P12ihipStream_tbENKUlT_T0_E_clISt17integral_constantIbLb1EES11_EEDaSW_SX_EUlSW_E_NS1_11comp_targetILNS1_3genE10ELNS1_11target_archE1200ELNS1_3gpuE4ELNS1_3repE0EEENS1_30default_config_static_selectorELNS0_4arch9wavefront6targetE0EEEvT1_ ; -- Begin function _ZN7rocprim17ROCPRIM_400000_NS6detail17trampoline_kernelINS0_14default_configENS1_27scan_by_key_config_selectorIidEEZZNS1_16scan_by_key_implILNS1_25lookback_scan_determinismE0ELb0ES3_N6thrust23THRUST_200600_302600_NS6detail15normal_iteratorINS9_10device_ptrIiEEEENSB_INSC_IdEEEESG_dNS9_4plusIvEENS9_8equal_toIvEEdEE10hipError_tPvRmT2_T3_T4_T5_mT6_T7_P12ihipStream_tbENKUlT_T0_E_clISt17integral_constantIbLb1EES11_EEDaSW_SX_EUlSW_E_NS1_11comp_targetILNS1_3genE10ELNS1_11target_archE1200ELNS1_3gpuE4ELNS1_3repE0EEENS1_30default_config_static_selectorELNS0_4arch9wavefront6targetE0EEEvT1_
	.globl	_ZN7rocprim17ROCPRIM_400000_NS6detail17trampoline_kernelINS0_14default_configENS1_27scan_by_key_config_selectorIidEEZZNS1_16scan_by_key_implILNS1_25lookback_scan_determinismE0ELb0ES3_N6thrust23THRUST_200600_302600_NS6detail15normal_iteratorINS9_10device_ptrIiEEEENSB_INSC_IdEEEESG_dNS9_4plusIvEENS9_8equal_toIvEEdEE10hipError_tPvRmT2_T3_T4_T5_mT6_T7_P12ihipStream_tbENKUlT_T0_E_clISt17integral_constantIbLb1EES11_EEDaSW_SX_EUlSW_E_NS1_11comp_targetILNS1_3genE10ELNS1_11target_archE1200ELNS1_3gpuE4ELNS1_3repE0EEENS1_30default_config_static_selectorELNS0_4arch9wavefront6targetE0EEEvT1_
	.p2align	8
	.type	_ZN7rocprim17ROCPRIM_400000_NS6detail17trampoline_kernelINS0_14default_configENS1_27scan_by_key_config_selectorIidEEZZNS1_16scan_by_key_implILNS1_25lookback_scan_determinismE0ELb0ES3_N6thrust23THRUST_200600_302600_NS6detail15normal_iteratorINS9_10device_ptrIiEEEENSB_INSC_IdEEEESG_dNS9_4plusIvEENS9_8equal_toIvEEdEE10hipError_tPvRmT2_T3_T4_T5_mT6_T7_P12ihipStream_tbENKUlT_T0_E_clISt17integral_constantIbLb1EES11_EEDaSW_SX_EUlSW_E_NS1_11comp_targetILNS1_3genE10ELNS1_11target_archE1200ELNS1_3gpuE4ELNS1_3repE0EEENS1_30default_config_static_selectorELNS0_4arch9wavefront6targetE0EEEvT1_,@function
_ZN7rocprim17ROCPRIM_400000_NS6detail17trampoline_kernelINS0_14default_configENS1_27scan_by_key_config_selectorIidEEZZNS1_16scan_by_key_implILNS1_25lookback_scan_determinismE0ELb0ES3_N6thrust23THRUST_200600_302600_NS6detail15normal_iteratorINS9_10device_ptrIiEEEENSB_INSC_IdEEEESG_dNS9_4plusIvEENS9_8equal_toIvEEdEE10hipError_tPvRmT2_T3_T4_T5_mT6_T7_P12ihipStream_tbENKUlT_T0_E_clISt17integral_constantIbLb1EES11_EEDaSW_SX_EUlSW_E_NS1_11comp_targetILNS1_3genE10ELNS1_11target_archE1200ELNS1_3gpuE4ELNS1_3repE0EEENS1_30default_config_static_selectorELNS0_4arch9wavefront6targetE0EEEvT1_: ; @_ZN7rocprim17ROCPRIM_400000_NS6detail17trampoline_kernelINS0_14default_configENS1_27scan_by_key_config_selectorIidEEZZNS1_16scan_by_key_implILNS1_25lookback_scan_determinismE0ELb0ES3_N6thrust23THRUST_200600_302600_NS6detail15normal_iteratorINS9_10device_ptrIiEEEENSB_INSC_IdEEEESG_dNS9_4plusIvEENS9_8equal_toIvEEdEE10hipError_tPvRmT2_T3_T4_T5_mT6_T7_P12ihipStream_tbENKUlT_T0_E_clISt17integral_constantIbLb1EES11_EEDaSW_SX_EUlSW_E_NS1_11comp_targetILNS1_3genE10ELNS1_11target_archE1200ELNS1_3gpuE4ELNS1_3repE0EEENS1_30default_config_static_selectorELNS0_4arch9wavefront6targetE0EEEvT1_
; %bb.0:
	.section	.rodata,"a",@progbits
	.p2align	6, 0x0
	.amdhsa_kernel _ZN7rocprim17ROCPRIM_400000_NS6detail17trampoline_kernelINS0_14default_configENS1_27scan_by_key_config_selectorIidEEZZNS1_16scan_by_key_implILNS1_25lookback_scan_determinismE0ELb0ES3_N6thrust23THRUST_200600_302600_NS6detail15normal_iteratorINS9_10device_ptrIiEEEENSB_INSC_IdEEEESG_dNS9_4plusIvEENS9_8equal_toIvEEdEE10hipError_tPvRmT2_T3_T4_T5_mT6_T7_P12ihipStream_tbENKUlT_T0_E_clISt17integral_constantIbLb1EES11_EEDaSW_SX_EUlSW_E_NS1_11comp_targetILNS1_3genE10ELNS1_11target_archE1200ELNS1_3gpuE4ELNS1_3repE0EEENS1_30default_config_static_selectorELNS0_4arch9wavefront6targetE0EEEvT1_
		.amdhsa_group_segment_fixed_size 0
		.amdhsa_private_segment_fixed_size 0
		.amdhsa_kernarg_size 136
		.amdhsa_user_sgpr_count 2
		.amdhsa_user_sgpr_dispatch_ptr 0
		.amdhsa_user_sgpr_queue_ptr 0
		.amdhsa_user_sgpr_kernarg_segment_ptr 1
		.amdhsa_user_sgpr_dispatch_id 0
		.amdhsa_user_sgpr_kernarg_preload_length 0
		.amdhsa_user_sgpr_kernarg_preload_offset 0
		.amdhsa_user_sgpr_private_segment_size 0
		.amdhsa_wavefront_size32 1
		.amdhsa_uses_dynamic_stack 0
		.amdhsa_enable_private_segment 0
		.amdhsa_system_sgpr_workgroup_id_x 1
		.amdhsa_system_sgpr_workgroup_id_y 0
		.amdhsa_system_sgpr_workgroup_id_z 0
		.amdhsa_system_sgpr_workgroup_info 0
		.amdhsa_system_vgpr_workitem_id 0
		.amdhsa_next_free_vgpr 1
		.amdhsa_next_free_sgpr 1
		.amdhsa_named_barrier_count 0
		.amdhsa_reserve_vcc 0
		.amdhsa_float_round_mode_32 0
		.amdhsa_float_round_mode_16_64 0
		.amdhsa_float_denorm_mode_32 3
		.amdhsa_float_denorm_mode_16_64 3
		.amdhsa_fp16_overflow 0
		.amdhsa_memory_ordered 1
		.amdhsa_forward_progress 1
		.amdhsa_inst_pref_size 0
		.amdhsa_round_robin_scheduling 0
		.amdhsa_exception_fp_ieee_invalid_op 0
		.amdhsa_exception_fp_denorm_src 0
		.amdhsa_exception_fp_ieee_div_zero 0
		.amdhsa_exception_fp_ieee_overflow 0
		.amdhsa_exception_fp_ieee_underflow 0
		.amdhsa_exception_fp_ieee_inexact 0
		.amdhsa_exception_int_div_zero 0
	.end_amdhsa_kernel
	.section	.text._ZN7rocprim17ROCPRIM_400000_NS6detail17trampoline_kernelINS0_14default_configENS1_27scan_by_key_config_selectorIidEEZZNS1_16scan_by_key_implILNS1_25lookback_scan_determinismE0ELb0ES3_N6thrust23THRUST_200600_302600_NS6detail15normal_iteratorINS9_10device_ptrIiEEEENSB_INSC_IdEEEESG_dNS9_4plusIvEENS9_8equal_toIvEEdEE10hipError_tPvRmT2_T3_T4_T5_mT6_T7_P12ihipStream_tbENKUlT_T0_E_clISt17integral_constantIbLb1EES11_EEDaSW_SX_EUlSW_E_NS1_11comp_targetILNS1_3genE10ELNS1_11target_archE1200ELNS1_3gpuE4ELNS1_3repE0EEENS1_30default_config_static_selectorELNS0_4arch9wavefront6targetE0EEEvT1_,"axG",@progbits,_ZN7rocprim17ROCPRIM_400000_NS6detail17trampoline_kernelINS0_14default_configENS1_27scan_by_key_config_selectorIidEEZZNS1_16scan_by_key_implILNS1_25lookback_scan_determinismE0ELb0ES3_N6thrust23THRUST_200600_302600_NS6detail15normal_iteratorINS9_10device_ptrIiEEEENSB_INSC_IdEEEESG_dNS9_4plusIvEENS9_8equal_toIvEEdEE10hipError_tPvRmT2_T3_T4_T5_mT6_T7_P12ihipStream_tbENKUlT_T0_E_clISt17integral_constantIbLb1EES11_EEDaSW_SX_EUlSW_E_NS1_11comp_targetILNS1_3genE10ELNS1_11target_archE1200ELNS1_3gpuE4ELNS1_3repE0EEENS1_30default_config_static_selectorELNS0_4arch9wavefront6targetE0EEEvT1_,comdat
.Lfunc_end1102:
	.size	_ZN7rocprim17ROCPRIM_400000_NS6detail17trampoline_kernelINS0_14default_configENS1_27scan_by_key_config_selectorIidEEZZNS1_16scan_by_key_implILNS1_25lookback_scan_determinismE0ELb0ES3_N6thrust23THRUST_200600_302600_NS6detail15normal_iteratorINS9_10device_ptrIiEEEENSB_INSC_IdEEEESG_dNS9_4plusIvEENS9_8equal_toIvEEdEE10hipError_tPvRmT2_T3_T4_T5_mT6_T7_P12ihipStream_tbENKUlT_T0_E_clISt17integral_constantIbLb1EES11_EEDaSW_SX_EUlSW_E_NS1_11comp_targetILNS1_3genE10ELNS1_11target_archE1200ELNS1_3gpuE4ELNS1_3repE0EEENS1_30default_config_static_selectorELNS0_4arch9wavefront6targetE0EEEvT1_, .Lfunc_end1102-_ZN7rocprim17ROCPRIM_400000_NS6detail17trampoline_kernelINS0_14default_configENS1_27scan_by_key_config_selectorIidEEZZNS1_16scan_by_key_implILNS1_25lookback_scan_determinismE0ELb0ES3_N6thrust23THRUST_200600_302600_NS6detail15normal_iteratorINS9_10device_ptrIiEEEENSB_INSC_IdEEEESG_dNS9_4plusIvEENS9_8equal_toIvEEdEE10hipError_tPvRmT2_T3_T4_T5_mT6_T7_P12ihipStream_tbENKUlT_T0_E_clISt17integral_constantIbLb1EES11_EEDaSW_SX_EUlSW_E_NS1_11comp_targetILNS1_3genE10ELNS1_11target_archE1200ELNS1_3gpuE4ELNS1_3repE0EEENS1_30default_config_static_selectorELNS0_4arch9wavefront6targetE0EEEvT1_
                                        ; -- End function
	.set _ZN7rocprim17ROCPRIM_400000_NS6detail17trampoline_kernelINS0_14default_configENS1_27scan_by_key_config_selectorIidEEZZNS1_16scan_by_key_implILNS1_25lookback_scan_determinismE0ELb0ES3_N6thrust23THRUST_200600_302600_NS6detail15normal_iteratorINS9_10device_ptrIiEEEENSB_INSC_IdEEEESG_dNS9_4plusIvEENS9_8equal_toIvEEdEE10hipError_tPvRmT2_T3_T4_T5_mT6_T7_P12ihipStream_tbENKUlT_T0_E_clISt17integral_constantIbLb1EES11_EEDaSW_SX_EUlSW_E_NS1_11comp_targetILNS1_3genE10ELNS1_11target_archE1200ELNS1_3gpuE4ELNS1_3repE0EEENS1_30default_config_static_selectorELNS0_4arch9wavefront6targetE0EEEvT1_.num_vgpr, 0
	.set _ZN7rocprim17ROCPRIM_400000_NS6detail17trampoline_kernelINS0_14default_configENS1_27scan_by_key_config_selectorIidEEZZNS1_16scan_by_key_implILNS1_25lookback_scan_determinismE0ELb0ES3_N6thrust23THRUST_200600_302600_NS6detail15normal_iteratorINS9_10device_ptrIiEEEENSB_INSC_IdEEEESG_dNS9_4plusIvEENS9_8equal_toIvEEdEE10hipError_tPvRmT2_T3_T4_T5_mT6_T7_P12ihipStream_tbENKUlT_T0_E_clISt17integral_constantIbLb1EES11_EEDaSW_SX_EUlSW_E_NS1_11comp_targetILNS1_3genE10ELNS1_11target_archE1200ELNS1_3gpuE4ELNS1_3repE0EEENS1_30default_config_static_selectorELNS0_4arch9wavefront6targetE0EEEvT1_.num_agpr, 0
	.set _ZN7rocprim17ROCPRIM_400000_NS6detail17trampoline_kernelINS0_14default_configENS1_27scan_by_key_config_selectorIidEEZZNS1_16scan_by_key_implILNS1_25lookback_scan_determinismE0ELb0ES3_N6thrust23THRUST_200600_302600_NS6detail15normal_iteratorINS9_10device_ptrIiEEEENSB_INSC_IdEEEESG_dNS9_4plusIvEENS9_8equal_toIvEEdEE10hipError_tPvRmT2_T3_T4_T5_mT6_T7_P12ihipStream_tbENKUlT_T0_E_clISt17integral_constantIbLb1EES11_EEDaSW_SX_EUlSW_E_NS1_11comp_targetILNS1_3genE10ELNS1_11target_archE1200ELNS1_3gpuE4ELNS1_3repE0EEENS1_30default_config_static_selectorELNS0_4arch9wavefront6targetE0EEEvT1_.numbered_sgpr, 0
	.set _ZN7rocprim17ROCPRIM_400000_NS6detail17trampoline_kernelINS0_14default_configENS1_27scan_by_key_config_selectorIidEEZZNS1_16scan_by_key_implILNS1_25lookback_scan_determinismE0ELb0ES3_N6thrust23THRUST_200600_302600_NS6detail15normal_iteratorINS9_10device_ptrIiEEEENSB_INSC_IdEEEESG_dNS9_4plusIvEENS9_8equal_toIvEEdEE10hipError_tPvRmT2_T3_T4_T5_mT6_T7_P12ihipStream_tbENKUlT_T0_E_clISt17integral_constantIbLb1EES11_EEDaSW_SX_EUlSW_E_NS1_11comp_targetILNS1_3genE10ELNS1_11target_archE1200ELNS1_3gpuE4ELNS1_3repE0EEENS1_30default_config_static_selectorELNS0_4arch9wavefront6targetE0EEEvT1_.num_named_barrier, 0
	.set _ZN7rocprim17ROCPRIM_400000_NS6detail17trampoline_kernelINS0_14default_configENS1_27scan_by_key_config_selectorIidEEZZNS1_16scan_by_key_implILNS1_25lookback_scan_determinismE0ELb0ES3_N6thrust23THRUST_200600_302600_NS6detail15normal_iteratorINS9_10device_ptrIiEEEENSB_INSC_IdEEEESG_dNS9_4plusIvEENS9_8equal_toIvEEdEE10hipError_tPvRmT2_T3_T4_T5_mT6_T7_P12ihipStream_tbENKUlT_T0_E_clISt17integral_constantIbLb1EES11_EEDaSW_SX_EUlSW_E_NS1_11comp_targetILNS1_3genE10ELNS1_11target_archE1200ELNS1_3gpuE4ELNS1_3repE0EEENS1_30default_config_static_selectorELNS0_4arch9wavefront6targetE0EEEvT1_.private_seg_size, 0
	.set _ZN7rocprim17ROCPRIM_400000_NS6detail17trampoline_kernelINS0_14default_configENS1_27scan_by_key_config_selectorIidEEZZNS1_16scan_by_key_implILNS1_25lookback_scan_determinismE0ELb0ES3_N6thrust23THRUST_200600_302600_NS6detail15normal_iteratorINS9_10device_ptrIiEEEENSB_INSC_IdEEEESG_dNS9_4plusIvEENS9_8equal_toIvEEdEE10hipError_tPvRmT2_T3_T4_T5_mT6_T7_P12ihipStream_tbENKUlT_T0_E_clISt17integral_constantIbLb1EES11_EEDaSW_SX_EUlSW_E_NS1_11comp_targetILNS1_3genE10ELNS1_11target_archE1200ELNS1_3gpuE4ELNS1_3repE0EEENS1_30default_config_static_selectorELNS0_4arch9wavefront6targetE0EEEvT1_.uses_vcc, 0
	.set _ZN7rocprim17ROCPRIM_400000_NS6detail17trampoline_kernelINS0_14default_configENS1_27scan_by_key_config_selectorIidEEZZNS1_16scan_by_key_implILNS1_25lookback_scan_determinismE0ELb0ES3_N6thrust23THRUST_200600_302600_NS6detail15normal_iteratorINS9_10device_ptrIiEEEENSB_INSC_IdEEEESG_dNS9_4plusIvEENS9_8equal_toIvEEdEE10hipError_tPvRmT2_T3_T4_T5_mT6_T7_P12ihipStream_tbENKUlT_T0_E_clISt17integral_constantIbLb1EES11_EEDaSW_SX_EUlSW_E_NS1_11comp_targetILNS1_3genE10ELNS1_11target_archE1200ELNS1_3gpuE4ELNS1_3repE0EEENS1_30default_config_static_selectorELNS0_4arch9wavefront6targetE0EEEvT1_.uses_flat_scratch, 0
	.set _ZN7rocprim17ROCPRIM_400000_NS6detail17trampoline_kernelINS0_14default_configENS1_27scan_by_key_config_selectorIidEEZZNS1_16scan_by_key_implILNS1_25lookback_scan_determinismE0ELb0ES3_N6thrust23THRUST_200600_302600_NS6detail15normal_iteratorINS9_10device_ptrIiEEEENSB_INSC_IdEEEESG_dNS9_4plusIvEENS9_8equal_toIvEEdEE10hipError_tPvRmT2_T3_T4_T5_mT6_T7_P12ihipStream_tbENKUlT_T0_E_clISt17integral_constantIbLb1EES11_EEDaSW_SX_EUlSW_E_NS1_11comp_targetILNS1_3genE10ELNS1_11target_archE1200ELNS1_3gpuE4ELNS1_3repE0EEENS1_30default_config_static_selectorELNS0_4arch9wavefront6targetE0EEEvT1_.has_dyn_sized_stack, 0
	.set _ZN7rocprim17ROCPRIM_400000_NS6detail17trampoline_kernelINS0_14default_configENS1_27scan_by_key_config_selectorIidEEZZNS1_16scan_by_key_implILNS1_25lookback_scan_determinismE0ELb0ES3_N6thrust23THRUST_200600_302600_NS6detail15normal_iteratorINS9_10device_ptrIiEEEENSB_INSC_IdEEEESG_dNS9_4plusIvEENS9_8equal_toIvEEdEE10hipError_tPvRmT2_T3_T4_T5_mT6_T7_P12ihipStream_tbENKUlT_T0_E_clISt17integral_constantIbLb1EES11_EEDaSW_SX_EUlSW_E_NS1_11comp_targetILNS1_3genE10ELNS1_11target_archE1200ELNS1_3gpuE4ELNS1_3repE0EEENS1_30default_config_static_selectorELNS0_4arch9wavefront6targetE0EEEvT1_.has_recursion, 0
	.set _ZN7rocprim17ROCPRIM_400000_NS6detail17trampoline_kernelINS0_14default_configENS1_27scan_by_key_config_selectorIidEEZZNS1_16scan_by_key_implILNS1_25lookback_scan_determinismE0ELb0ES3_N6thrust23THRUST_200600_302600_NS6detail15normal_iteratorINS9_10device_ptrIiEEEENSB_INSC_IdEEEESG_dNS9_4plusIvEENS9_8equal_toIvEEdEE10hipError_tPvRmT2_T3_T4_T5_mT6_T7_P12ihipStream_tbENKUlT_T0_E_clISt17integral_constantIbLb1EES11_EEDaSW_SX_EUlSW_E_NS1_11comp_targetILNS1_3genE10ELNS1_11target_archE1200ELNS1_3gpuE4ELNS1_3repE0EEENS1_30default_config_static_selectorELNS0_4arch9wavefront6targetE0EEEvT1_.has_indirect_call, 0
	.section	.AMDGPU.csdata,"",@progbits
; Kernel info:
; codeLenInByte = 0
; TotalNumSgprs: 0
; NumVgprs: 0
; ScratchSize: 0
; MemoryBound: 0
; FloatMode: 240
; IeeeMode: 1
; LDSByteSize: 0 bytes/workgroup (compile time only)
; SGPRBlocks: 0
; VGPRBlocks: 0
; NumSGPRsForWavesPerEU: 1
; NumVGPRsForWavesPerEU: 1
; NamedBarCnt: 0
; Occupancy: 16
; WaveLimiterHint : 0
; COMPUTE_PGM_RSRC2:SCRATCH_EN: 0
; COMPUTE_PGM_RSRC2:USER_SGPR: 2
; COMPUTE_PGM_RSRC2:TRAP_HANDLER: 0
; COMPUTE_PGM_RSRC2:TGID_X_EN: 1
; COMPUTE_PGM_RSRC2:TGID_Y_EN: 0
; COMPUTE_PGM_RSRC2:TGID_Z_EN: 0
; COMPUTE_PGM_RSRC2:TIDIG_COMP_CNT: 0
	.section	.text._ZN7rocprim17ROCPRIM_400000_NS6detail17trampoline_kernelINS0_14default_configENS1_27scan_by_key_config_selectorIidEEZZNS1_16scan_by_key_implILNS1_25lookback_scan_determinismE0ELb0ES3_N6thrust23THRUST_200600_302600_NS6detail15normal_iteratorINS9_10device_ptrIiEEEENSB_INSC_IdEEEESG_dNS9_4plusIvEENS9_8equal_toIvEEdEE10hipError_tPvRmT2_T3_T4_T5_mT6_T7_P12ihipStream_tbENKUlT_T0_E_clISt17integral_constantIbLb1EES11_EEDaSW_SX_EUlSW_E_NS1_11comp_targetILNS1_3genE9ELNS1_11target_archE1100ELNS1_3gpuE3ELNS1_3repE0EEENS1_30default_config_static_selectorELNS0_4arch9wavefront6targetE0EEEvT1_,"axG",@progbits,_ZN7rocprim17ROCPRIM_400000_NS6detail17trampoline_kernelINS0_14default_configENS1_27scan_by_key_config_selectorIidEEZZNS1_16scan_by_key_implILNS1_25lookback_scan_determinismE0ELb0ES3_N6thrust23THRUST_200600_302600_NS6detail15normal_iteratorINS9_10device_ptrIiEEEENSB_INSC_IdEEEESG_dNS9_4plusIvEENS9_8equal_toIvEEdEE10hipError_tPvRmT2_T3_T4_T5_mT6_T7_P12ihipStream_tbENKUlT_T0_E_clISt17integral_constantIbLb1EES11_EEDaSW_SX_EUlSW_E_NS1_11comp_targetILNS1_3genE9ELNS1_11target_archE1100ELNS1_3gpuE3ELNS1_3repE0EEENS1_30default_config_static_selectorELNS0_4arch9wavefront6targetE0EEEvT1_,comdat
	.protected	_ZN7rocprim17ROCPRIM_400000_NS6detail17trampoline_kernelINS0_14default_configENS1_27scan_by_key_config_selectorIidEEZZNS1_16scan_by_key_implILNS1_25lookback_scan_determinismE0ELb0ES3_N6thrust23THRUST_200600_302600_NS6detail15normal_iteratorINS9_10device_ptrIiEEEENSB_INSC_IdEEEESG_dNS9_4plusIvEENS9_8equal_toIvEEdEE10hipError_tPvRmT2_T3_T4_T5_mT6_T7_P12ihipStream_tbENKUlT_T0_E_clISt17integral_constantIbLb1EES11_EEDaSW_SX_EUlSW_E_NS1_11comp_targetILNS1_3genE9ELNS1_11target_archE1100ELNS1_3gpuE3ELNS1_3repE0EEENS1_30default_config_static_selectorELNS0_4arch9wavefront6targetE0EEEvT1_ ; -- Begin function _ZN7rocprim17ROCPRIM_400000_NS6detail17trampoline_kernelINS0_14default_configENS1_27scan_by_key_config_selectorIidEEZZNS1_16scan_by_key_implILNS1_25lookback_scan_determinismE0ELb0ES3_N6thrust23THRUST_200600_302600_NS6detail15normal_iteratorINS9_10device_ptrIiEEEENSB_INSC_IdEEEESG_dNS9_4plusIvEENS9_8equal_toIvEEdEE10hipError_tPvRmT2_T3_T4_T5_mT6_T7_P12ihipStream_tbENKUlT_T0_E_clISt17integral_constantIbLb1EES11_EEDaSW_SX_EUlSW_E_NS1_11comp_targetILNS1_3genE9ELNS1_11target_archE1100ELNS1_3gpuE3ELNS1_3repE0EEENS1_30default_config_static_selectorELNS0_4arch9wavefront6targetE0EEEvT1_
	.globl	_ZN7rocprim17ROCPRIM_400000_NS6detail17trampoline_kernelINS0_14default_configENS1_27scan_by_key_config_selectorIidEEZZNS1_16scan_by_key_implILNS1_25lookback_scan_determinismE0ELb0ES3_N6thrust23THRUST_200600_302600_NS6detail15normal_iteratorINS9_10device_ptrIiEEEENSB_INSC_IdEEEESG_dNS9_4plusIvEENS9_8equal_toIvEEdEE10hipError_tPvRmT2_T3_T4_T5_mT6_T7_P12ihipStream_tbENKUlT_T0_E_clISt17integral_constantIbLb1EES11_EEDaSW_SX_EUlSW_E_NS1_11comp_targetILNS1_3genE9ELNS1_11target_archE1100ELNS1_3gpuE3ELNS1_3repE0EEENS1_30default_config_static_selectorELNS0_4arch9wavefront6targetE0EEEvT1_
	.p2align	8
	.type	_ZN7rocprim17ROCPRIM_400000_NS6detail17trampoline_kernelINS0_14default_configENS1_27scan_by_key_config_selectorIidEEZZNS1_16scan_by_key_implILNS1_25lookback_scan_determinismE0ELb0ES3_N6thrust23THRUST_200600_302600_NS6detail15normal_iteratorINS9_10device_ptrIiEEEENSB_INSC_IdEEEESG_dNS9_4plusIvEENS9_8equal_toIvEEdEE10hipError_tPvRmT2_T3_T4_T5_mT6_T7_P12ihipStream_tbENKUlT_T0_E_clISt17integral_constantIbLb1EES11_EEDaSW_SX_EUlSW_E_NS1_11comp_targetILNS1_3genE9ELNS1_11target_archE1100ELNS1_3gpuE3ELNS1_3repE0EEENS1_30default_config_static_selectorELNS0_4arch9wavefront6targetE0EEEvT1_,@function
_ZN7rocprim17ROCPRIM_400000_NS6detail17trampoline_kernelINS0_14default_configENS1_27scan_by_key_config_selectorIidEEZZNS1_16scan_by_key_implILNS1_25lookback_scan_determinismE0ELb0ES3_N6thrust23THRUST_200600_302600_NS6detail15normal_iteratorINS9_10device_ptrIiEEEENSB_INSC_IdEEEESG_dNS9_4plusIvEENS9_8equal_toIvEEdEE10hipError_tPvRmT2_T3_T4_T5_mT6_T7_P12ihipStream_tbENKUlT_T0_E_clISt17integral_constantIbLb1EES11_EEDaSW_SX_EUlSW_E_NS1_11comp_targetILNS1_3genE9ELNS1_11target_archE1100ELNS1_3gpuE3ELNS1_3repE0EEENS1_30default_config_static_selectorELNS0_4arch9wavefront6targetE0EEEvT1_: ; @_ZN7rocprim17ROCPRIM_400000_NS6detail17trampoline_kernelINS0_14default_configENS1_27scan_by_key_config_selectorIidEEZZNS1_16scan_by_key_implILNS1_25lookback_scan_determinismE0ELb0ES3_N6thrust23THRUST_200600_302600_NS6detail15normal_iteratorINS9_10device_ptrIiEEEENSB_INSC_IdEEEESG_dNS9_4plusIvEENS9_8equal_toIvEEdEE10hipError_tPvRmT2_T3_T4_T5_mT6_T7_P12ihipStream_tbENKUlT_T0_E_clISt17integral_constantIbLb1EES11_EEDaSW_SX_EUlSW_E_NS1_11comp_targetILNS1_3genE9ELNS1_11target_archE1100ELNS1_3gpuE3ELNS1_3repE0EEENS1_30default_config_static_selectorELNS0_4arch9wavefront6targetE0EEEvT1_
; %bb.0:
	.section	.rodata,"a",@progbits
	.p2align	6, 0x0
	.amdhsa_kernel _ZN7rocprim17ROCPRIM_400000_NS6detail17trampoline_kernelINS0_14default_configENS1_27scan_by_key_config_selectorIidEEZZNS1_16scan_by_key_implILNS1_25lookback_scan_determinismE0ELb0ES3_N6thrust23THRUST_200600_302600_NS6detail15normal_iteratorINS9_10device_ptrIiEEEENSB_INSC_IdEEEESG_dNS9_4plusIvEENS9_8equal_toIvEEdEE10hipError_tPvRmT2_T3_T4_T5_mT6_T7_P12ihipStream_tbENKUlT_T0_E_clISt17integral_constantIbLb1EES11_EEDaSW_SX_EUlSW_E_NS1_11comp_targetILNS1_3genE9ELNS1_11target_archE1100ELNS1_3gpuE3ELNS1_3repE0EEENS1_30default_config_static_selectorELNS0_4arch9wavefront6targetE0EEEvT1_
		.amdhsa_group_segment_fixed_size 0
		.amdhsa_private_segment_fixed_size 0
		.amdhsa_kernarg_size 136
		.amdhsa_user_sgpr_count 2
		.amdhsa_user_sgpr_dispatch_ptr 0
		.amdhsa_user_sgpr_queue_ptr 0
		.amdhsa_user_sgpr_kernarg_segment_ptr 1
		.amdhsa_user_sgpr_dispatch_id 0
		.amdhsa_user_sgpr_kernarg_preload_length 0
		.amdhsa_user_sgpr_kernarg_preload_offset 0
		.amdhsa_user_sgpr_private_segment_size 0
		.amdhsa_wavefront_size32 1
		.amdhsa_uses_dynamic_stack 0
		.amdhsa_enable_private_segment 0
		.amdhsa_system_sgpr_workgroup_id_x 1
		.amdhsa_system_sgpr_workgroup_id_y 0
		.amdhsa_system_sgpr_workgroup_id_z 0
		.amdhsa_system_sgpr_workgroup_info 0
		.amdhsa_system_vgpr_workitem_id 0
		.amdhsa_next_free_vgpr 1
		.amdhsa_next_free_sgpr 1
		.amdhsa_named_barrier_count 0
		.amdhsa_reserve_vcc 0
		.amdhsa_float_round_mode_32 0
		.amdhsa_float_round_mode_16_64 0
		.amdhsa_float_denorm_mode_32 3
		.amdhsa_float_denorm_mode_16_64 3
		.amdhsa_fp16_overflow 0
		.amdhsa_memory_ordered 1
		.amdhsa_forward_progress 1
		.amdhsa_inst_pref_size 0
		.amdhsa_round_robin_scheduling 0
		.amdhsa_exception_fp_ieee_invalid_op 0
		.amdhsa_exception_fp_denorm_src 0
		.amdhsa_exception_fp_ieee_div_zero 0
		.amdhsa_exception_fp_ieee_overflow 0
		.amdhsa_exception_fp_ieee_underflow 0
		.amdhsa_exception_fp_ieee_inexact 0
		.amdhsa_exception_int_div_zero 0
	.end_amdhsa_kernel
	.section	.text._ZN7rocprim17ROCPRIM_400000_NS6detail17trampoline_kernelINS0_14default_configENS1_27scan_by_key_config_selectorIidEEZZNS1_16scan_by_key_implILNS1_25lookback_scan_determinismE0ELb0ES3_N6thrust23THRUST_200600_302600_NS6detail15normal_iteratorINS9_10device_ptrIiEEEENSB_INSC_IdEEEESG_dNS9_4plusIvEENS9_8equal_toIvEEdEE10hipError_tPvRmT2_T3_T4_T5_mT6_T7_P12ihipStream_tbENKUlT_T0_E_clISt17integral_constantIbLb1EES11_EEDaSW_SX_EUlSW_E_NS1_11comp_targetILNS1_3genE9ELNS1_11target_archE1100ELNS1_3gpuE3ELNS1_3repE0EEENS1_30default_config_static_selectorELNS0_4arch9wavefront6targetE0EEEvT1_,"axG",@progbits,_ZN7rocprim17ROCPRIM_400000_NS6detail17trampoline_kernelINS0_14default_configENS1_27scan_by_key_config_selectorIidEEZZNS1_16scan_by_key_implILNS1_25lookback_scan_determinismE0ELb0ES3_N6thrust23THRUST_200600_302600_NS6detail15normal_iteratorINS9_10device_ptrIiEEEENSB_INSC_IdEEEESG_dNS9_4plusIvEENS9_8equal_toIvEEdEE10hipError_tPvRmT2_T3_T4_T5_mT6_T7_P12ihipStream_tbENKUlT_T0_E_clISt17integral_constantIbLb1EES11_EEDaSW_SX_EUlSW_E_NS1_11comp_targetILNS1_3genE9ELNS1_11target_archE1100ELNS1_3gpuE3ELNS1_3repE0EEENS1_30default_config_static_selectorELNS0_4arch9wavefront6targetE0EEEvT1_,comdat
.Lfunc_end1103:
	.size	_ZN7rocprim17ROCPRIM_400000_NS6detail17trampoline_kernelINS0_14default_configENS1_27scan_by_key_config_selectorIidEEZZNS1_16scan_by_key_implILNS1_25lookback_scan_determinismE0ELb0ES3_N6thrust23THRUST_200600_302600_NS6detail15normal_iteratorINS9_10device_ptrIiEEEENSB_INSC_IdEEEESG_dNS9_4plusIvEENS9_8equal_toIvEEdEE10hipError_tPvRmT2_T3_T4_T5_mT6_T7_P12ihipStream_tbENKUlT_T0_E_clISt17integral_constantIbLb1EES11_EEDaSW_SX_EUlSW_E_NS1_11comp_targetILNS1_3genE9ELNS1_11target_archE1100ELNS1_3gpuE3ELNS1_3repE0EEENS1_30default_config_static_selectorELNS0_4arch9wavefront6targetE0EEEvT1_, .Lfunc_end1103-_ZN7rocprim17ROCPRIM_400000_NS6detail17trampoline_kernelINS0_14default_configENS1_27scan_by_key_config_selectorIidEEZZNS1_16scan_by_key_implILNS1_25lookback_scan_determinismE0ELb0ES3_N6thrust23THRUST_200600_302600_NS6detail15normal_iteratorINS9_10device_ptrIiEEEENSB_INSC_IdEEEESG_dNS9_4plusIvEENS9_8equal_toIvEEdEE10hipError_tPvRmT2_T3_T4_T5_mT6_T7_P12ihipStream_tbENKUlT_T0_E_clISt17integral_constantIbLb1EES11_EEDaSW_SX_EUlSW_E_NS1_11comp_targetILNS1_3genE9ELNS1_11target_archE1100ELNS1_3gpuE3ELNS1_3repE0EEENS1_30default_config_static_selectorELNS0_4arch9wavefront6targetE0EEEvT1_
                                        ; -- End function
	.set _ZN7rocprim17ROCPRIM_400000_NS6detail17trampoline_kernelINS0_14default_configENS1_27scan_by_key_config_selectorIidEEZZNS1_16scan_by_key_implILNS1_25lookback_scan_determinismE0ELb0ES3_N6thrust23THRUST_200600_302600_NS6detail15normal_iteratorINS9_10device_ptrIiEEEENSB_INSC_IdEEEESG_dNS9_4plusIvEENS9_8equal_toIvEEdEE10hipError_tPvRmT2_T3_T4_T5_mT6_T7_P12ihipStream_tbENKUlT_T0_E_clISt17integral_constantIbLb1EES11_EEDaSW_SX_EUlSW_E_NS1_11comp_targetILNS1_3genE9ELNS1_11target_archE1100ELNS1_3gpuE3ELNS1_3repE0EEENS1_30default_config_static_selectorELNS0_4arch9wavefront6targetE0EEEvT1_.num_vgpr, 0
	.set _ZN7rocprim17ROCPRIM_400000_NS6detail17trampoline_kernelINS0_14default_configENS1_27scan_by_key_config_selectorIidEEZZNS1_16scan_by_key_implILNS1_25lookback_scan_determinismE0ELb0ES3_N6thrust23THRUST_200600_302600_NS6detail15normal_iteratorINS9_10device_ptrIiEEEENSB_INSC_IdEEEESG_dNS9_4plusIvEENS9_8equal_toIvEEdEE10hipError_tPvRmT2_T3_T4_T5_mT6_T7_P12ihipStream_tbENKUlT_T0_E_clISt17integral_constantIbLb1EES11_EEDaSW_SX_EUlSW_E_NS1_11comp_targetILNS1_3genE9ELNS1_11target_archE1100ELNS1_3gpuE3ELNS1_3repE0EEENS1_30default_config_static_selectorELNS0_4arch9wavefront6targetE0EEEvT1_.num_agpr, 0
	.set _ZN7rocprim17ROCPRIM_400000_NS6detail17trampoline_kernelINS0_14default_configENS1_27scan_by_key_config_selectorIidEEZZNS1_16scan_by_key_implILNS1_25lookback_scan_determinismE0ELb0ES3_N6thrust23THRUST_200600_302600_NS6detail15normal_iteratorINS9_10device_ptrIiEEEENSB_INSC_IdEEEESG_dNS9_4plusIvEENS9_8equal_toIvEEdEE10hipError_tPvRmT2_T3_T4_T5_mT6_T7_P12ihipStream_tbENKUlT_T0_E_clISt17integral_constantIbLb1EES11_EEDaSW_SX_EUlSW_E_NS1_11comp_targetILNS1_3genE9ELNS1_11target_archE1100ELNS1_3gpuE3ELNS1_3repE0EEENS1_30default_config_static_selectorELNS0_4arch9wavefront6targetE0EEEvT1_.numbered_sgpr, 0
	.set _ZN7rocprim17ROCPRIM_400000_NS6detail17trampoline_kernelINS0_14default_configENS1_27scan_by_key_config_selectorIidEEZZNS1_16scan_by_key_implILNS1_25lookback_scan_determinismE0ELb0ES3_N6thrust23THRUST_200600_302600_NS6detail15normal_iteratorINS9_10device_ptrIiEEEENSB_INSC_IdEEEESG_dNS9_4plusIvEENS9_8equal_toIvEEdEE10hipError_tPvRmT2_T3_T4_T5_mT6_T7_P12ihipStream_tbENKUlT_T0_E_clISt17integral_constantIbLb1EES11_EEDaSW_SX_EUlSW_E_NS1_11comp_targetILNS1_3genE9ELNS1_11target_archE1100ELNS1_3gpuE3ELNS1_3repE0EEENS1_30default_config_static_selectorELNS0_4arch9wavefront6targetE0EEEvT1_.num_named_barrier, 0
	.set _ZN7rocprim17ROCPRIM_400000_NS6detail17trampoline_kernelINS0_14default_configENS1_27scan_by_key_config_selectorIidEEZZNS1_16scan_by_key_implILNS1_25lookback_scan_determinismE0ELb0ES3_N6thrust23THRUST_200600_302600_NS6detail15normal_iteratorINS9_10device_ptrIiEEEENSB_INSC_IdEEEESG_dNS9_4plusIvEENS9_8equal_toIvEEdEE10hipError_tPvRmT2_T3_T4_T5_mT6_T7_P12ihipStream_tbENKUlT_T0_E_clISt17integral_constantIbLb1EES11_EEDaSW_SX_EUlSW_E_NS1_11comp_targetILNS1_3genE9ELNS1_11target_archE1100ELNS1_3gpuE3ELNS1_3repE0EEENS1_30default_config_static_selectorELNS0_4arch9wavefront6targetE0EEEvT1_.private_seg_size, 0
	.set _ZN7rocprim17ROCPRIM_400000_NS6detail17trampoline_kernelINS0_14default_configENS1_27scan_by_key_config_selectorIidEEZZNS1_16scan_by_key_implILNS1_25lookback_scan_determinismE0ELb0ES3_N6thrust23THRUST_200600_302600_NS6detail15normal_iteratorINS9_10device_ptrIiEEEENSB_INSC_IdEEEESG_dNS9_4plusIvEENS9_8equal_toIvEEdEE10hipError_tPvRmT2_T3_T4_T5_mT6_T7_P12ihipStream_tbENKUlT_T0_E_clISt17integral_constantIbLb1EES11_EEDaSW_SX_EUlSW_E_NS1_11comp_targetILNS1_3genE9ELNS1_11target_archE1100ELNS1_3gpuE3ELNS1_3repE0EEENS1_30default_config_static_selectorELNS0_4arch9wavefront6targetE0EEEvT1_.uses_vcc, 0
	.set _ZN7rocprim17ROCPRIM_400000_NS6detail17trampoline_kernelINS0_14default_configENS1_27scan_by_key_config_selectorIidEEZZNS1_16scan_by_key_implILNS1_25lookback_scan_determinismE0ELb0ES3_N6thrust23THRUST_200600_302600_NS6detail15normal_iteratorINS9_10device_ptrIiEEEENSB_INSC_IdEEEESG_dNS9_4plusIvEENS9_8equal_toIvEEdEE10hipError_tPvRmT2_T3_T4_T5_mT6_T7_P12ihipStream_tbENKUlT_T0_E_clISt17integral_constantIbLb1EES11_EEDaSW_SX_EUlSW_E_NS1_11comp_targetILNS1_3genE9ELNS1_11target_archE1100ELNS1_3gpuE3ELNS1_3repE0EEENS1_30default_config_static_selectorELNS0_4arch9wavefront6targetE0EEEvT1_.uses_flat_scratch, 0
	.set _ZN7rocprim17ROCPRIM_400000_NS6detail17trampoline_kernelINS0_14default_configENS1_27scan_by_key_config_selectorIidEEZZNS1_16scan_by_key_implILNS1_25lookback_scan_determinismE0ELb0ES3_N6thrust23THRUST_200600_302600_NS6detail15normal_iteratorINS9_10device_ptrIiEEEENSB_INSC_IdEEEESG_dNS9_4plusIvEENS9_8equal_toIvEEdEE10hipError_tPvRmT2_T3_T4_T5_mT6_T7_P12ihipStream_tbENKUlT_T0_E_clISt17integral_constantIbLb1EES11_EEDaSW_SX_EUlSW_E_NS1_11comp_targetILNS1_3genE9ELNS1_11target_archE1100ELNS1_3gpuE3ELNS1_3repE0EEENS1_30default_config_static_selectorELNS0_4arch9wavefront6targetE0EEEvT1_.has_dyn_sized_stack, 0
	.set _ZN7rocprim17ROCPRIM_400000_NS6detail17trampoline_kernelINS0_14default_configENS1_27scan_by_key_config_selectorIidEEZZNS1_16scan_by_key_implILNS1_25lookback_scan_determinismE0ELb0ES3_N6thrust23THRUST_200600_302600_NS6detail15normal_iteratorINS9_10device_ptrIiEEEENSB_INSC_IdEEEESG_dNS9_4plusIvEENS9_8equal_toIvEEdEE10hipError_tPvRmT2_T3_T4_T5_mT6_T7_P12ihipStream_tbENKUlT_T0_E_clISt17integral_constantIbLb1EES11_EEDaSW_SX_EUlSW_E_NS1_11comp_targetILNS1_3genE9ELNS1_11target_archE1100ELNS1_3gpuE3ELNS1_3repE0EEENS1_30default_config_static_selectorELNS0_4arch9wavefront6targetE0EEEvT1_.has_recursion, 0
	.set _ZN7rocprim17ROCPRIM_400000_NS6detail17trampoline_kernelINS0_14default_configENS1_27scan_by_key_config_selectorIidEEZZNS1_16scan_by_key_implILNS1_25lookback_scan_determinismE0ELb0ES3_N6thrust23THRUST_200600_302600_NS6detail15normal_iteratorINS9_10device_ptrIiEEEENSB_INSC_IdEEEESG_dNS9_4plusIvEENS9_8equal_toIvEEdEE10hipError_tPvRmT2_T3_T4_T5_mT6_T7_P12ihipStream_tbENKUlT_T0_E_clISt17integral_constantIbLb1EES11_EEDaSW_SX_EUlSW_E_NS1_11comp_targetILNS1_3genE9ELNS1_11target_archE1100ELNS1_3gpuE3ELNS1_3repE0EEENS1_30default_config_static_selectorELNS0_4arch9wavefront6targetE0EEEvT1_.has_indirect_call, 0
	.section	.AMDGPU.csdata,"",@progbits
; Kernel info:
; codeLenInByte = 0
; TotalNumSgprs: 0
; NumVgprs: 0
; ScratchSize: 0
; MemoryBound: 0
; FloatMode: 240
; IeeeMode: 1
; LDSByteSize: 0 bytes/workgroup (compile time only)
; SGPRBlocks: 0
; VGPRBlocks: 0
; NumSGPRsForWavesPerEU: 1
; NumVGPRsForWavesPerEU: 1
; NamedBarCnt: 0
; Occupancy: 16
; WaveLimiterHint : 0
; COMPUTE_PGM_RSRC2:SCRATCH_EN: 0
; COMPUTE_PGM_RSRC2:USER_SGPR: 2
; COMPUTE_PGM_RSRC2:TRAP_HANDLER: 0
; COMPUTE_PGM_RSRC2:TGID_X_EN: 1
; COMPUTE_PGM_RSRC2:TGID_Y_EN: 0
; COMPUTE_PGM_RSRC2:TGID_Z_EN: 0
; COMPUTE_PGM_RSRC2:TIDIG_COMP_CNT: 0
	.section	.text._ZN7rocprim17ROCPRIM_400000_NS6detail17trampoline_kernelINS0_14default_configENS1_27scan_by_key_config_selectorIidEEZZNS1_16scan_by_key_implILNS1_25lookback_scan_determinismE0ELb0ES3_N6thrust23THRUST_200600_302600_NS6detail15normal_iteratorINS9_10device_ptrIiEEEENSB_INSC_IdEEEESG_dNS9_4plusIvEENS9_8equal_toIvEEdEE10hipError_tPvRmT2_T3_T4_T5_mT6_T7_P12ihipStream_tbENKUlT_T0_E_clISt17integral_constantIbLb1EES11_EEDaSW_SX_EUlSW_E_NS1_11comp_targetILNS1_3genE8ELNS1_11target_archE1030ELNS1_3gpuE2ELNS1_3repE0EEENS1_30default_config_static_selectorELNS0_4arch9wavefront6targetE0EEEvT1_,"axG",@progbits,_ZN7rocprim17ROCPRIM_400000_NS6detail17trampoline_kernelINS0_14default_configENS1_27scan_by_key_config_selectorIidEEZZNS1_16scan_by_key_implILNS1_25lookback_scan_determinismE0ELb0ES3_N6thrust23THRUST_200600_302600_NS6detail15normal_iteratorINS9_10device_ptrIiEEEENSB_INSC_IdEEEESG_dNS9_4plusIvEENS9_8equal_toIvEEdEE10hipError_tPvRmT2_T3_T4_T5_mT6_T7_P12ihipStream_tbENKUlT_T0_E_clISt17integral_constantIbLb1EES11_EEDaSW_SX_EUlSW_E_NS1_11comp_targetILNS1_3genE8ELNS1_11target_archE1030ELNS1_3gpuE2ELNS1_3repE0EEENS1_30default_config_static_selectorELNS0_4arch9wavefront6targetE0EEEvT1_,comdat
	.protected	_ZN7rocprim17ROCPRIM_400000_NS6detail17trampoline_kernelINS0_14default_configENS1_27scan_by_key_config_selectorIidEEZZNS1_16scan_by_key_implILNS1_25lookback_scan_determinismE0ELb0ES3_N6thrust23THRUST_200600_302600_NS6detail15normal_iteratorINS9_10device_ptrIiEEEENSB_INSC_IdEEEESG_dNS9_4plusIvEENS9_8equal_toIvEEdEE10hipError_tPvRmT2_T3_T4_T5_mT6_T7_P12ihipStream_tbENKUlT_T0_E_clISt17integral_constantIbLb1EES11_EEDaSW_SX_EUlSW_E_NS1_11comp_targetILNS1_3genE8ELNS1_11target_archE1030ELNS1_3gpuE2ELNS1_3repE0EEENS1_30default_config_static_selectorELNS0_4arch9wavefront6targetE0EEEvT1_ ; -- Begin function _ZN7rocprim17ROCPRIM_400000_NS6detail17trampoline_kernelINS0_14default_configENS1_27scan_by_key_config_selectorIidEEZZNS1_16scan_by_key_implILNS1_25lookback_scan_determinismE0ELb0ES3_N6thrust23THRUST_200600_302600_NS6detail15normal_iteratorINS9_10device_ptrIiEEEENSB_INSC_IdEEEESG_dNS9_4plusIvEENS9_8equal_toIvEEdEE10hipError_tPvRmT2_T3_T4_T5_mT6_T7_P12ihipStream_tbENKUlT_T0_E_clISt17integral_constantIbLb1EES11_EEDaSW_SX_EUlSW_E_NS1_11comp_targetILNS1_3genE8ELNS1_11target_archE1030ELNS1_3gpuE2ELNS1_3repE0EEENS1_30default_config_static_selectorELNS0_4arch9wavefront6targetE0EEEvT1_
	.globl	_ZN7rocprim17ROCPRIM_400000_NS6detail17trampoline_kernelINS0_14default_configENS1_27scan_by_key_config_selectorIidEEZZNS1_16scan_by_key_implILNS1_25lookback_scan_determinismE0ELb0ES3_N6thrust23THRUST_200600_302600_NS6detail15normal_iteratorINS9_10device_ptrIiEEEENSB_INSC_IdEEEESG_dNS9_4plusIvEENS9_8equal_toIvEEdEE10hipError_tPvRmT2_T3_T4_T5_mT6_T7_P12ihipStream_tbENKUlT_T0_E_clISt17integral_constantIbLb1EES11_EEDaSW_SX_EUlSW_E_NS1_11comp_targetILNS1_3genE8ELNS1_11target_archE1030ELNS1_3gpuE2ELNS1_3repE0EEENS1_30default_config_static_selectorELNS0_4arch9wavefront6targetE0EEEvT1_
	.p2align	8
	.type	_ZN7rocprim17ROCPRIM_400000_NS6detail17trampoline_kernelINS0_14default_configENS1_27scan_by_key_config_selectorIidEEZZNS1_16scan_by_key_implILNS1_25lookback_scan_determinismE0ELb0ES3_N6thrust23THRUST_200600_302600_NS6detail15normal_iteratorINS9_10device_ptrIiEEEENSB_INSC_IdEEEESG_dNS9_4plusIvEENS9_8equal_toIvEEdEE10hipError_tPvRmT2_T3_T4_T5_mT6_T7_P12ihipStream_tbENKUlT_T0_E_clISt17integral_constantIbLb1EES11_EEDaSW_SX_EUlSW_E_NS1_11comp_targetILNS1_3genE8ELNS1_11target_archE1030ELNS1_3gpuE2ELNS1_3repE0EEENS1_30default_config_static_selectorELNS0_4arch9wavefront6targetE0EEEvT1_,@function
_ZN7rocprim17ROCPRIM_400000_NS6detail17trampoline_kernelINS0_14default_configENS1_27scan_by_key_config_selectorIidEEZZNS1_16scan_by_key_implILNS1_25lookback_scan_determinismE0ELb0ES3_N6thrust23THRUST_200600_302600_NS6detail15normal_iteratorINS9_10device_ptrIiEEEENSB_INSC_IdEEEESG_dNS9_4plusIvEENS9_8equal_toIvEEdEE10hipError_tPvRmT2_T3_T4_T5_mT6_T7_P12ihipStream_tbENKUlT_T0_E_clISt17integral_constantIbLb1EES11_EEDaSW_SX_EUlSW_E_NS1_11comp_targetILNS1_3genE8ELNS1_11target_archE1030ELNS1_3gpuE2ELNS1_3repE0EEENS1_30default_config_static_selectorELNS0_4arch9wavefront6targetE0EEEvT1_: ; @_ZN7rocprim17ROCPRIM_400000_NS6detail17trampoline_kernelINS0_14default_configENS1_27scan_by_key_config_selectorIidEEZZNS1_16scan_by_key_implILNS1_25lookback_scan_determinismE0ELb0ES3_N6thrust23THRUST_200600_302600_NS6detail15normal_iteratorINS9_10device_ptrIiEEEENSB_INSC_IdEEEESG_dNS9_4plusIvEENS9_8equal_toIvEEdEE10hipError_tPvRmT2_T3_T4_T5_mT6_T7_P12ihipStream_tbENKUlT_T0_E_clISt17integral_constantIbLb1EES11_EEDaSW_SX_EUlSW_E_NS1_11comp_targetILNS1_3genE8ELNS1_11target_archE1030ELNS1_3gpuE2ELNS1_3repE0EEENS1_30default_config_static_selectorELNS0_4arch9wavefront6targetE0EEEvT1_
; %bb.0:
	.section	.rodata,"a",@progbits
	.p2align	6, 0x0
	.amdhsa_kernel _ZN7rocprim17ROCPRIM_400000_NS6detail17trampoline_kernelINS0_14default_configENS1_27scan_by_key_config_selectorIidEEZZNS1_16scan_by_key_implILNS1_25lookback_scan_determinismE0ELb0ES3_N6thrust23THRUST_200600_302600_NS6detail15normal_iteratorINS9_10device_ptrIiEEEENSB_INSC_IdEEEESG_dNS9_4plusIvEENS9_8equal_toIvEEdEE10hipError_tPvRmT2_T3_T4_T5_mT6_T7_P12ihipStream_tbENKUlT_T0_E_clISt17integral_constantIbLb1EES11_EEDaSW_SX_EUlSW_E_NS1_11comp_targetILNS1_3genE8ELNS1_11target_archE1030ELNS1_3gpuE2ELNS1_3repE0EEENS1_30default_config_static_selectorELNS0_4arch9wavefront6targetE0EEEvT1_
		.amdhsa_group_segment_fixed_size 0
		.amdhsa_private_segment_fixed_size 0
		.amdhsa_kernarg_size 136
		.amdhsa_user_sgpr_count 2
		.amdhsa_user_sgpr_dispatch_ptr 0
		.amdhsa_user_sgpr_queue_ptr 0
		.amdhsa_user_sgpr_kernarg_segment_ptr 1
		.amdhsa_user_sgpr_dispatch_id 0
		.amdhsa_user_sgpr_kernarg_preload_length 0
		.amdhsa_user_sgpr_kernarg_preload_offset 0
		.amdhsa_user_sgpr_private_segment_size 0
		.amdhsa_wavefront_size32 1
		.amdhsa_uses_dynamic_stack 0
		.amdhsa_enable_private_segment 0
		.amdhsa_system_sgpr_workgroup_id_x 1
		.amdhsa_system_sgpr_workgroup_id_y 0
		.amdhsa_system_sgpr_workgroup_id_z 0
		.amdhsa_system_sgpr_workgroup_info 0
		.amdhsa_system_vgpr_workitem_id 0
		.amdhsa_next_free_vgpr 1
		.amdhsa_next_free_sgpr 1
		.amdhsa_named_barrier_count 0
		.amdhsa_reserve_vcc 0
		.amdhsa_float_round_mode_32 0
		.amdhsa_float_round_mode_16_64 0
		.amdhsa_float_denorm_mode_32 3
		.amdhsa_float_denorm_mode_16_64 3
		.amdhsa_fp16_overflow 0
		.amdhsa_memory_ordered 1
		.amdhsa_forward_progress 1
		.amdhsa_inst_pref_size 0
		.amdhsa_round_robin_scheduling 0
		.amdhsa_exception_fp_ieee_invalid_op 0
		.amdhsa_exception_fp_denorm_src 0
		.amdhsa_exception_fp_ieee_div_zero 0
		.amdhsa_exception_fp_ieee_overflow 0
		.amdhsa_exception_fp_ieee_underflow 0
		.amdhsa_exception_fp_ieee_inexact 0
		.amdhsa_exception_int_div_zero 0
	.end_amdhsa_kernel
	.section	.text._ZN7rocprim17ROCPRIM_400000_NS6detail17trampoline_kernelINS0_14default_configENS1_27scan_by_key_config_selectorIidEEZZNS1_16scan_by_key_implILNS1_25lookback_scan_determinismE0ELb0ES3_N6thrust23THRUST_200600_302600_NS6detail15normal_iteratorINS9_10device_ptrIiEEEENSB_INSC_IdEEEESG_dNS9_4plusIvEENS9_8equal_toIvEEdEE10hipError_tPvRmT2_T3_T4_T5_mT6_T7_P12ihipStream_tbENKUlT_T0_E_clISt17integral_constantIbLb1EES11_EEDaSW_SX_EUlSW_E_NS1_11comp_targetILNS1_3genE8ELNS1_11target_archE1030ELNS1_3gpuE2ELNS1_3repE0EEENS1_30default_config_static_selectorELNS0_4arch9wavefront6targetE0EEEvT1_,"axG",@progbits,_ZN7rocprim17ROCPRIM_400000_NS6detail17trampoline_kernelINS0_14default_configENS1_27scan_by_key_config_selectorIidEEZZNS1_16scan_by_key_implILNS1_25lookback_scan_determinismE0ELb0ES3_N6thrust23THRUST_200600_302600_NS6detail15normal_iteratorINS9_10device_ptrIiEEEENSB_INSC_IdEEEESG_dNS9_4plusIvEENS9_8equal_toIvEEdEE10hipError_tPvRmT2_T3_T4_T5_mT6_T7_P12ihipStream_tbENKUlT_T0_E_clISt17integral_constantIbLb1EES11_EEDaSW_SX_EUlSW_E_NS1_11comp_targetILNS1_3genE8ELNS1_11target_archE1030ELNS1_3gpuE2ELNS1_3repE0EEENS1_30default_config_static_selectorELNS0_4arch9wavefront6targetE0EEEvT1_,comdat
.Lfunc_end1104:
	.size	_ZN7rocprim17ROCPRIM_400000_NS6detail17trampoline_kernelINS0_14default_configENS1_27scan_by_key_config_selectorIidEEZZNS1_16scan_by_key_implILNS1_25lookback_scan_determinismE0ELb0ES3_N6thrust23THRUST_200600_302600_NS6detail15normal_iteratorINS9_10device_ptrIiEEEENSB_INSC_IdEEEESG_dNS9_4plusIvEENS9_8equal_toIvEEdEE10hipError_tPvRmT2_T3_T4_T5_mT6_T7_P12ihipStream_tbENKUlT_T0_E_clISt17integral_constantIbLb1EES11_EEDaSW_SX_EUlSW_E_NS1_11comp_targetILNS1_3genE8ELNS1_11target_archE1030ELNS1_3gpuE2ELNS1_3repE0EEENS1_30default_config_static_selectorELNS0_4arch9wavefront6targetE0EEEvT1_, .Lfunc_end1104-_ZN7rocprim17ROCPRIM_400000_NS6detail17trampoline_kernelINS0_14default_configENS1_27scan_by_key_config_selectorIidEEZZNS1_16scan_by_key_implILNS1_25lookback_scan_determinismE0ELb0ES3_N6thrust23THRUST_200600_302600_NS6detail15normal_iteratorINS9_10device_ptrIiEEEENSB_INSC_IdEEEESG_dNS9_4plusIvEENS9_8equal_toIvEEdEE10hipError_tPvRmT2_T3_T4_T5_mT6_T7_P12ihipStream_tbENKUlT_T0_E_clISt17integral_constantIbLb1EES11_EEDaSW_SX_EUlSW_E_NS1_11comp_targetILNS1_3genE8ELNS1_11target_archE1030ELNS1_3gpuE2ELNS1_3repE0EEENS1_30default_config_static_selectorELNS0_4arch9wavefront6targetE0EEEvT1_
                                        ; -- End function
	.set _ZN7rocprim17ROCPRIM_400000_NS6detail17trampoline_kernelINS0_14default_configENS1_27scan_by_key_config_selectorIidEEZZNS1_16scan_by_key_implILNS1_25lookback_scan_determinismE0ELb0ES3_N6thrust23THRUST_200600_302600_NS6detail15normal_iteratorINS9_10device_ptrIiEEEENSB_INSC_IdEEEESG_dNS9_4plusIvEENS9_8equal_toIvEEdEE10hipError_tPvRmT2_T3_T4_T5_mT6_T7_P12ihipStream_tbENKUlT_T0_E_clISt17integral_constantIbLb1EES11_EEDaSW_SX_EUlSW_E_NS1_11comp_targetILNS1_3genE8ELNS1_11target_archE1030ELNS1_3gpuE2ELNS1_3repE0EEENS1_30default_config_static_selectorELNS0_4arch9wavefront6targetE0EEEvT1_.num_vgpr, 0
	.set _ZN7rocprim17ROCPRIM_400000_NS6detail17trampoline_kernelINS0_14default_configENS1_27scan_by_key_config_selectorIidEEZZNS1_16scan_by_key_implILNS1_25lookback_scan_determinismE0ELb0ES3_N6thrust23THRUST_200600_302600_NS6detail15normal_iteratorINS9_10device_ptrIiEEEENSB_INSC_IdEEEESG_dNS9_4plusIvEENS9_8equal_toIvEEdEE10hipError_tPvRmT2_T3_T4_T5_mT6_T7_P12ihipStream_tbENKUlT_T0_E_clISt17integral_constantIbLb1EES11_EEDaSW_SX_EUlSW_E_NS1_11comp_targetILNS1_3genE8ELNS1_11target_archE1030ELNS1_3gpuE2ELNS1_3repE0EEENS1_30default_config_static_selectorELNS0_4arch9wavefront6targetE0EEEvT1_.num_agpr, 0
	.set _ZN7rocprim17ROCPRIM_400000_NS6detail17trampoline_kernelINS0_14default_configENS1_27scan_by_key_config_selectorIidEEZZNS1_16scan_by_key_implILNS1_25lookback_scan_determinismE0ELb0ES3_N6thrust23THRUST_200600_302600_NS6detail15normal_iteratorINS9_10device_ptrIiEEEENSB_INSC_IdEEEESG_dNS9_4plusIvEENS9_8equal_toIvEEdEE10hipError_tPvRmT2_T3_T4_T5_mT6_T7_P12ihipStream_tbENKUlT_T0_E_clISt17integral_constantIbLb1EES11_EEDaSW_SX_EUlSW_E_NS1_11comp_targetILNS1_3genE8ELNS1_11target_archE1030ELNS1_3gpuE2ELNS1_3repE0EEENS1_30default_config_static_selectorELNS0_4arch9wavefront6targetE0EEEvT1_.numbered_sgpr, 0
	.set _ZN7rocprim17ROCPRIM_400000_NS6detail17trampoline_kernelINS0_14default_configENS1_27scan_by_key_config_selectorIidEEZZNS1_16scan_by_key_implILNS1_25lookback_scan_determinismE0ELb0ES3_N6thrust23THRUST_200600_302600_NS6detail15normal_iteratorINS9_10device_ptrIiEEEENSB_INSC_IdEEEESG_dNS9_4plusIvEENS9_8equal_toIvEEdEE10hipError_tPvRmT2_T3_T4_T5_mT6_T7_P12ihipStream_tbENKUlT_T0_E_clISt17integral_constantIbLb1EES11_EEDaSW_SX_EUlSW_E_NS1_11comp_targetILNS1_3genE8ELNS1_11target_archE1030ELNS1_3gpuE2ELNS1_3repE0EEENS1_30default_config_static_selectorELNS0_4arch9wavefront6targetE0EEEvT1_.num_named_barrier, 0
	.set _ZN7rocprim17ROCPRIM_400000_NS6detail17trampoline_kernelINS0_14default_configENS1_27scan_by_key_config_selectorIidEEZZNS1_16scan_by_key_implILNS1_25lookback_scan_determinismE0ELb0ES3_N6thrust23THRUST_200600_302600_NS6detail15normal_iteratorINS9_10device_ptrIiEEEENSB_INSC_IdEEEESG_dNS9_4plusIvEENS9_8equal_toIvEEdEE10hipError_tPvRmT2_T3_T4_T5_mT6_T7_P12ihipStream_tbENKUlT_T0_E_clISt17integral_constantIbLb1EES11_EEDaSW_SX_EUlSW_E_NS1_11comp_targetILNS1_3genE8ELNS1_11target_archE1030ELNS1_3gpuE2ELNS1_3repE0EEENS1_30default_config_static_selectorELNS0_4arch9wavefront6targetE0EEEvT1_.private_seg_size, 0
	.set _ZN7rocprim17ROCPRIM_400000_NS6detail17trampoline_kernelINS0_14default_configENS1_27scan_by_key_config_selectorIidEEZZNS1_16scan_by_key_implILNS1_25lookback_scan_determinismE0ELb0ES3_N6thrust23THRUST_200600_302600_NS6detail15normal_iteratorINS9_10device_ptrIiEEEENSB_INSC_IdEEEESG_dNS9_4plusIvEENS9_8equal_toIvEEdEE10hipError_tPvRmT2_T3_T4_T5_mT6_T7_P12ihipStream_tbENKUlT_T0_E_clISt17integral_constantIbLb1EES11_EEDaSW_SX_EUlSW_E_NS1_11comp_targetILNS1_3genE8ELNS1_11target_archE1030ELNS1_3gpuE2ELNS1_3repE0EEENS1_30default_config_static_selectorELNS0_4arch9wavefront6targetE0EEEvT1_.uses_vcc, 0
	.set _ZN7rocprim17ROCPRIM_400000_NS6detail17trampoline_kernelINS0_14default_configENS1_27scan_by_key_config_selectorIidEEZZNS1_16scan_by_key_implILNS1_25lookback_scan_determinismE0ELb0ES3_N6thrust23THRUST_200600_302600_NS6detail15normal_iteratorINS9_10device_ptrIiEEEENSB_INSC_IdEEEESG_dNS9_4plusIvEENS9_8equal_toIvEEdEE10hipError_tPvRmT2_T3_T4_T5_mT6_T7_P12ihipStream_tbENKUlT_T0_E_clISt17integral_constantIbLb1EES11_EEDaSW_SX_EUlSW_E_NS1_11comp_targetILNS1_3genE8ELNS1_11target_archE1030ELNS1_3gpuE2ELNS1_3repE0EEENS1_30default_config_static_selectorELNS0_4arch9wavefront6targetE0EEEvT1_.uses_flat_scratch, 0
	.set _ZN7rocprim17ROCPRIM_400000_NS6detail17trampoline_kernelINS0_14default_configENS1_27scan_by_key_config_selectorIidEEZZNS1_16scan_by_key_implILNS1_25lookback_scan_determinismE0ELb0ES3_N6thrust23THRUST_200600_302600_NS6detail15normal_iteratorINS9_10device_ptrIiEEEENSB_INSC_IdEEEESG_dNS9_4plusIvEENS9_8equal_toIvEEdEE10hipError_tPvRmT2_T3_T4_T5_mT6_T7_P12ihipStream_tbENKUlT_T0_E_clISt17integral_constantIbLb1EES11_EEDaSW_SX_EUlSW_E_NS1_11comp_targetILNS1_3genE8ELNS1_11target_archE1030ELNS1_3gpuE2ELNS1_3repE0EEENS1_30default_config_static_selectorELNS0_4arch9wavefront6targetE0EEEvT1_.has_dyn_sized_stack, 0
	.set _ZN7rocprim17ROCPRIM_400000_NS6detail17trampoline_kernelINS0_14default_configENS1_27scan_by_key_config_selectorIidEEZZNS1_16scan_by_key_implILNS1_25lookback_scan_determinismE0ELb0ES3_N6thrust23THRUST_200600_302600_NS6detail15normal_iteratorINS9_10device_ptrIiEEEENSB_INSC_IdEEEESG_dNS9_4plusIvEENS9_8equal_toIvEEdEE10hipError_tPvRmT2_T3_T4_T5_mT6_T7_P12ihipStream_tbENKUlT_T0_E_clISt17integral_constantIbLb1EES11_EEDaSW_SX_EUlSW_E_NS1_11comp_targetILNS1_3genE8ELNS1_11target_archE1030ELNS1_3gpuE2ELNS1_3repE0EEENS1_30default_config_static_selectorELNS0_4arch9wavefront6targetE0EEEvT1_.has_recursion, 0
	.set _ZN7rocprim17ROCPRIM_400000_NS6detail17trampoline_kernelINS0_14default_configENS1_27scan_by_key_config_selectorIidEEZZNS1_16scan_by_key_implILNS1_25lookback_scan_determinismE0ELb0ES3_N6thrust23THRUST_200600_302600_NS6detail15normal_iteratorINS9_10device_ptrIiEEEENSB_INSC_IdEEEESG_dNS9_4plusIvEENS9_8equal_toIvEEdEE10hipError_tPvRmT2_T3_T4_T5_mT6_T7_P12ihipStream_tbENKUlT_T0_E_clISt17integral_constantIbLb1EES11_EEDaSW_SX_EUlSW_E_NS1_11comp_targetILNS1_3genE8ELNS1_11target_archE1030ELNS1_3gpuE2ELNS1_3repE0EEENS1_30default_config_static_selectorELNS0_4arch9wavefront6targetE0EEEvT1_.has_indirect_call, 0
	.section	.AMDGPU.csdata,"",@progbits
; Kernel info:
; codeLenInByte = 0
; TotalNumSgprs: 0
; NumVgprs: 0
; ScratchSize: 0
; MemoryBound: 0
; FloatMode: 240
; IeeeMode: 1
; LDSByteSize: 0 bytes/workgroup (compile time only)
; SGPRBlocks: 0
; VGPRBlocks: 0
; NumSGPRsForWavesPerEU: 1
; NumVGPRsForWavesPerEU: 1
; NamedBarCnt: 0
; Occupancy: 16
; WaveLimiterHint : 0
; COMPUTE_PGM_RSRC2:SCRATCH_EN: 0
; COMPUTE_PGM_RSRC2:USER_SGPR: 2
; COMPUTE_PGM_RSRC2:TRAP_HANDLER: 0
; COMPUTE_PGM_RSRC2:TGID_X_EN: 1
; COMPUTE_PGM_RSRC2:TGID_Y_EN: 0
; COMPUTE_PGM_RSRC2:TGID_Z_EN: 0
; COMPUTE_PGM_RSRC2:TIDIG_COMP_CNT: 0
	.section	.text._ZN7rocprim17ROCPRIM_400000_NS6detail30init_device_scan_by_key_kernelINS1_19lookback_scan_stateINS0_5tupleIJdbEEELb1ELb0EEEN6thrust23THRUST_200600_302600_NS6detail15normal_iteratorINS8_10device_ptrIiEEEEjNS1_16block_id_wrapperIjLb0EEEEEvT_jjPNSG_10value_typeET0_PNSt15iterator_traitsISJ_E10value_typeEmT1_T2_,"axG",@progbits,_ZN7rocprim17ROCPRIM_400000_NS6detail30init_device_scan_by_key_kernelINS1_19lookback_scan_stateINS0_5tupleIJdbEEELb1ELb0EEEN6thrust23THRUST_200600_302600_NS6detail15normal_iteratorINS8_10device_ptrIiEEEEjNS1_16block_id_wrapperIjLb0EEEEEvT_jjPNSG_10value_typeET0_PNSt15iterator_traitsISJ_E10value_typeEmT1_T2_,comdat
	.protected	_ZN7rocprim17ROCPRIM_400000_NS6detail30init_device_scan_by_key_kernelINS1_19lookback_scan_stateINS0_5tupleIJdbEEELb1ELb0EEEN6thrust23THRUST_200600_302600_NS6detail15normal_iteratorINS8_10device_ptrIiEEEEjNS1_16block_id_wrapperIjLb0EEEEEvT_jjPNSG_10value_typeET0_PNSt15iterator_traitsISJ_E10value_typeEmT1_T2_ ; -- Begin function _ZN7rocprim17ROCPRIM_400000_NS6detail30init_device_scan_by_key_kernelINS1_19lookback_scan_stateINS0_5tupleIJdbEEELb1ELb0EEEN6thrust23THRUST_200600_302600_NS6detail15normal_iteratorINS8_10device_ptrIiEEEEjNS1_16block_id_wrapperIjLb0EEEEEvT_jjPNSG_10value_typeET0_PNSt15iterator_traitsISJ_E10value_typeEmT1_T2_
	.globl	_ZN7rocprim17ROCPRIM_400000_NS6detail30init_device_scan_by_key_kernelINS1_19lookback_scan_stateINS0_5tupleIJdbEEELb1ELb0EEEN6thrust23THRUST_200600_302600_NS6detail15normal_iteratorINS8_10device_ptrIiEEEEjNS1_16block_id_wrapperIjLb0EEEEEvT_jjPNSG_10value_typeET0_PNSt15iterator_traitsISJ_E10value_typeEmT1_T2_
	.p2align	8
	.type	_ZN7rocprim17ROCPRIM_400000_NS6detail30init_device_scan_by_key_kernelINS1_19lookback_scan_stateINS0_5tupleIJdbEEELb1ELb0EEEN6thrust23THRUST_200600_302600_NS6detail15normal_iteratorINS8_10device_ptrIiEEEEjNS1_16block_id_wrapperIjLb0EEEEEvT_jjPNSG_10value_typeET0_PNSt15iterator_traitsISJ_E10value_typeEmT1_T2_,@function
_ZN7rocprim17ROCPRIM_400000_NS6detail30init_device_scan_by_key_kernelINS1_19lookback_scan_stateINS0_5tupleIJdbEEELb1ELb0EEEN6thrust23THRUST_200600_302600_NS6detail15normal_iteratorINS8_10device_ptrIiEEEEjNS1_16block_id_wrapperIjLb0EEEEEvT_jjPNSG_10value_typeET0_PNSt15iterator_traitsISJ_E10value_typeEmT1_T2_: ; @_ZN7rocprim17ROCPRIM_400000_NS6detail30init_device_scan_by_key_kernelINS1_19lookback_scan_stateINS0_5tupleIJdbEEELb1ELb0EEEN6thrust23THRUST_200600_302600_NS6detail15normal_iteratorINS8_10device_ptrIiEEEEjNS1_16block_id_wrapperIjLb0EEEEEvT_jjPNSG_10value_typeET0_PNSt15iterator_traitsISJ_E10value_typeEmT1_T2_
; %bb.0:
	s_clause 0x2
	s_load_b32 s2, s[0:1], 0x54
	s_load_b32 s18, s[0:1], 0x48
	s_load_b256 s[4:11], s[0:1], 0x10
	s_bfe_u32 s3, ttmp6, 0x4000c
	s_and_b32 s12, ttmp6, 15
	s_add_co_i32 s3, s3, 1
	s_getreg_b32 s13, hwreg(HW_REG_IB_STS2, 6, 4)
	s_mul_i32 s3, ttmp9, s3
	s_delay_alu instid0(SALU_CYCLE_1)
	s_add_co_i32 s12, s12, s3
	s_wait_kmcnt 0x0
	s_and_b32 s19, s2, 0xffff
	s_cmp_eq_u32 s13, 0
	s_cselect_b32 s2, ttmp9, s12
	s_cmp_eq_u64 s[8:9], 0
	v_mad_u32 v0, s2, s19, v0
	s_cbranch_scc1 .LBB1105_9
; %bb.1:
	s_cmp_lt_u32 s7, s6
	s_mov_b32 s20, exec_lo
	s_cselect_b32 s2, s7, 0
	s_delay_alu instid0(VALU_DEP_1) | instid1(SALU_CYCLE_1)
	v_cmpx_eq_u32_e64 s2, v0
	s_cbranch_execz .LBB1105_8
; %bb.2:
	s_add_co_i32 s2, s7, 32
	s_load_b128 s[12:15], s[0:1], 0x0
	v_mov_b32_e32 v1, s2
	s_mov_b32 s3, 0
	global_load_u8 v1, v1, s[4:5] scope:SCOPE_DEV
	s_wait_loadcnt 0x0
	v_and_b32_e32 v2, 0xffff, v1
	v_readfirstlane_b32 s21, v1
	s_delay_alu instid0(VALU_DEP_2)
	v_cmp_ne_u32_e32 vcc_lo, 0, v2
	s_cbranch_vccnz .LBB1105_7
; %bb.3:
	v_mov_b32_e32 v1, 0
	s_add_nc_u64 s[16:17], s[4:5], s[2:3]
	s_mov_b32 s7, 1
.LBB1105_4:                             ; =>This Loop Header: Depth=1
                                        ;     Child Loop BB1105_5 Depth 2
	s_delay_alu instid0(SALU_CYCLE_1)
	s_mov_b32 s21, s7
.LBB1105_5:                             ;   Parent Loop BB1105_4 Depth=1
                                        ; =>  This Inner Loop Header: Depth=2
	s_delay_alu instid0(SALU_CYCLE_1)
	s_add_co_i32 s21, s21, -1
	s_sleep 1
	s_cmp_eq_u32 s21, 0
	s_cbranch_scc0 .LBB1105_5
; %bb.6:                                ;   in Loop: Header=BB1105_4 Depth=1
	global_load_u8 v2, v1, s[16:17] scope:SCOPE_DEV
	s_cmp_lt_u32 s7, 32
	s_cselect_b32 s21, -1, 0
	s_delay_alu instid0(SALU_CYCLE_1) | instskip(SKIP_4) | instid1(VALU_DEP_2)
	s_cmp_lg_u32 s21, 0
	s_add_co_ci_u32 s7, s7, 0
	s_wait_loadcnt 0x0
	v_and_b32_e32 v3, 0xffff, v2
	v_readfirstlane_b32 s21, v2
	v_cmp_ne_u32_e32 vcc_lo, 0, v3
	s_cbranch_vccz .LBB1105_4
.LBB1105_7:
	s_and_b32 s7, 0xffff, s21
	v_mov_b32_e32 v1, 0
	s_cmp_eq_u32 s7, 1
	global_wb scope:SCOPE_DEV
	s_wait_storecnt 0x0
	global_inv scope:SCOPE_DEV
	s_wait_kmcnt 0x0
	s_cselect_b32 s13, s13, s15
	s_cselect_b32 s12, s12, s14
	s_lshl_b64 s[2:3], s[2:3], 4
	s_delay_alu instid0(SALU_CYCLE_1)
	s_add_nc_u64 s[2:3], s[12:13], s[2:3]
	s_clause 0x1
	global_load_b64 v[2:3], v1, s[2:3]
	global_load_u8 v4, v1, s[2:3] offset:8
	s_wait_loadcnt 0x1
	global_store_b64 v1, v[2:3], s[8:9]
	s_wait_loadcnt 0x0
	global_store_b8 v1, v4, s[8:9] offset:8
.LBB1105_8:
	s_wait_xcnt 0x0
	s_or_b32 exec_lo, exec_lo, s20
.LBB1105_9:
	s_delay_alu instid0(SALU_CYCLE_1) | instskip(NEXT) | instid1(VALU_DEP_1)
	s_mov_b32 s2, exec_lo
	v_cmpx_gt_u32_e64 s6, v0
	s_cbranch_execz .LBB1105_11
; %bb.10:
	v_dual_mov_b32 v2, 0 :: v_dual_add_nc_u32 v1, 32, v0
	global_store_b8 v1, v2, s[4:5]
.LBB1105_11:
	s_wait_xcnt 0x0
	s_or_b32 exec_lo, exec_lo, s2
	v_mov_b32_e32 v1, 0
	s_mov_b32 s2, exec_lo
	v_cmpx_gt_u32_e32 32, v0
	s_cbranch_execz .LBB1105_13
; %bb.12:
	s_delay_alu instid0(VALU_DEP_2)
	v_add_nc_u64_e32 v[2:3], s[4:5], v[0:1]
	v_mov_b32_e32 v4, 0xff
	global_store_b8 v[2:3], v4, off
.LBB1105_13:
	s_wait_xcnt 0x0
	s_or_b32 exec_lo, exec_lo, s2
	s_load_b64 s[2:3], s[0:1], 0x38
	s_mov_b32 s4, exec_lo
	s_wait_kmcnt 0x0
	v_cmpx_gt_u64_e64 s[2:3], v[0:1]
	s_cbranch_execz .LBB1105_16
; %bb.14:
	s_clause 0x1
	s_load_b32 s4, s[0:1], 0x40
	s_load_b64 s[6:7], s[0:1], 0x30
	s_mov_b32 s5, 0
	s_wait_xcnt 0x0
	s_mul_i32 s0, s18, s19
	s_mov_b32 s9, s5
	s_mov_b32 s1, s5
	s_wait_kmcnt 0x0
	v_mul_u64_e32 v[2:3], s[4:5], v[0:1]
	s_add_co_i32 s8, s4, -1
	v_lshl_add_u64 v[4:5], v[0:1], 2, s[6:7]
	s_lshl_b64 s[8:9], s[8:9], 2
	s_delay_alu instid0(SALU_CYCLE_1) | instskip(SKIP_1) | instid1(SALU_CYCLE_1)
	s_add_nc_u64 s[8:9], s[10:11], s[8:9]
	s_mul_u64 s[10:11], s[4:5], s[0:1]
	s_lshl_b64 s[6:7], s[10:11], 2
	s_delay_alu instid0(VALU_DEP_2)
	v_lshl_add_u64 v[2:3], v[2:3], 2, s[8:9]
	s_lshl_b64 s[8:9], s[0:1], 2
.LBB1105_15:                            ; =>This Inner Loop Header: Depth=1
	global_load_b32 v6, v[2:3], off
	v_add_nc_u64_e32 v[0:1], s[0:1], v[0:1]
	s_wait_xcnt 0x0
	v_add_nc_u64_e32 v[2:3], s[6:7], v[2:3]
	s_delay_alu instid0(VALU_DEP_2)
	v_cmp_le_u64_e32 vcc_lo, s[2:3], v[0:1]
	s_or_b32 s5, vcc_lo, s5
	s_wait_loadcnt 0x0
	global_store_b32 v[4:5], v6, off
	s_wait_xcnt 0x0
	v_add_nc_u64_e32 v[4:5], s[8:9], v[4:5]
	s_and_not1_b32 exec_lo, exec_lo, s5
	s_cbranch_execnz .LBB1105_15
.LBB1105_16:
	s_endpgm
	.section	.rodata,"a",@progbits
	.p2align	6, 0x0
	.amdhsa_kernel _ZN7rocprim17ROCPRIM_400000_NS6detail30init_device_scan_by_key_kernelINS1_19lookback_scan_stateINS0_5tupleIJdbEEELb1ELb0EEEN6thrust23THRUST_200600_302600_NS6detail15normal_iteratorINS8_10device_ptrIiEEEEjNS1_16block_id_wrapperIjLb0EEEEEvT_jjPNSG_10value_typeET0_PNSt15iterator_traitsISJ_E10value_typeEmT1_T2_
		.amdhsa_group_segment_fixed_size 0
		.amdhsa_private_segment_fixed_size 0
		.amdhsa_kernarg_size 328
		.amdhsa_user_sgpr_count 2
		.amdhsa_user_sgpr_dispatch_ptr 0
		.amdhsa_user_sgpr_queue_ptr 0
		.amdhsa_user_sgpr_kernarg_segment_ptr 1
		.amdhsa_user_sgpr_dispatch_id 0
		.amdhsa_user_sgpr_kernarg_preload_length 0
		.amdhsa_user_sgpr_kernarg_preload_offset 0
		.amdhsa_user_sgpr_private_segment_size 0
		.amdhsa_wavefront_size32 1
		.amdhsa_uses_dynamic_stack 0
		.amdhsa_enable_private_segment 0
		.amdhsa_system_sgpr_workgroup_id_x 1
		.amdhsa_system_sgpr_workgroup_id_y 0
		.amdhsa_system_sgpr_workgroup_id_z 0
		.amdhsa_system_sgpr_workgroup_info 0
		.amdhsa_system_vgpr_workitem_id 0
		.amdhsa_next_free_vgpr 7
		.amdhsa_next_free_sgpr 22
		.amdhsa_named_barrier_count 0
		.amdhsa_reserve_vcc 1
		.amdhsa_float_round_mode_32 0
		.amdhsa_float_round_mode_16_64 0
		.amdhsa_float_denorm_mode_32 3
		.amdhsa_float_denorm_mode_16_64 3
		.amdhsa_fp16_overflow 0
		.amdhsa_memory_ordered 1
		.amdhsa_forward_progress 1
		.amdhsa_inst_pref_size 6
		.amdhsa_round_robin_scheduling 0
		.amdhsa_exception_fp_ieee_invalid_op 0
		.amdhsa_exception_fp_denorm_src 0
		.amdhsa_exception_fp_ieee_div_zero 0
		.amdhsa_exception_fp_ieee_overflow 0
		.amdhsa_exception_fp_ieee_underflow 0
		.amdhsa_exception_fp_ieee_inexact 0
		.amdhsa_exception_int_div_zero 0
	.end_amdhsa_kernel
	.section	.text._ZN7rocprim17ROCPRIM_400000_NS6detail30init_device_scan_by_key_kernelINS1_19lookback_scan_stateINS0_5tupleIJdbEEELb1ELb0EEEN6thrust23THRUST_200600_302600_NS6detail15normal_iteratorINS8_10device_ptrIiEEEEjNS1_16block_id_wrapperIjLb0EEEEEvT_jjPNSG_10value_typeET0_PNSt15iterator_traitsISJ_E10value_typeEmT1_T2_,"axG",@progbits,_ZN7rocprim17ROCPRIM_400000_NS6detail30init_device_scan_by_key_kernelINS1_19lookback_scan_stateINS0_5tupleIJdbEEELb1ELb0EEEN6thrust23THRUST_200600_302600_NS6detail15normal_iteratorINS8_10device_ptrIiEEEEjNS1_16block_id_wrapperIjLb0EEEEEvT_jjPNSG_10value_typeET0_PNSt15iterator_traitsISJ_E10value_typeEmT1_T2_,comdat
.Lfunc_end1105:
	.size	_ZN7rocprim17ROCPRIM_400000_NS6detail30init_device_scan_by_key_kernelINS1_19lookback_scan_stateINS0_5tupleIJdbEEELb1ELb0EEEN6thrust23THRUST_200600_302600_NS6detail15normal_iteratorINS8_10device_ptrIiEEEEjNS1_16block_id_wrapperIjLb0EEEEEvT_jjPNSG_10value_typeET0_PNSt15iterator_traitsISJ_E10value_typeEmT1_T2_, .Lfunc_end1105-_ZN7rocprim17ROCPRIM_400000_NS6detail30init_device_scan_by_key_kernelINS1_19lookback_scan_stateINS0_5tupleIJdbEEELb1ELb0EEEN6thrust23THRUST_200600_302600_NS6detail15normal_iteratorINS8_10device_ptrIiEEEEjNS1_16block_id_wrapperIjLb0EEEEEvT_jjPNSG_10value_typeET0_PNSt15iterator_traitsISJ_E10value_typeEmT1_T2_
                                        ; -- End function
	.set _ZN7rocprim17ROCPRIM_400000_NS6detail30init_device_scan_by_key_kernelINS1_19lookback_scan_stateINS0_5tupleIJdbEEELb1ELb0EEEN6thrust23THRUST_200600_302600_NS6detail15normal_iteratorINS8_10device_ptrIiEEEEjNS1_16block_id_wrapperIjLb0EEEEEvT_jjPNSG_10value_typeET0_PNSt15iterator_traitsISJ_E10value_typeEmT1_T2_.num_vgpr, 7
	.set _ZN7rocprim17ROCPRIM_400000_NS6detail30init_device_scan_by_key_kernelINS1_19lookback_scan_stateINS0_5tupleIJdbEEELb1ELb0EEEN6thrust23THRUST_200600_302600_NS6detail15normal_iteratorINS8_10device_ptrIiEEEEjNS1_16block_id_wrapperIjLb0EEEEEvT_jjPNSG_10value_typeET0_PNSt15iterator_traitsISJ_E10value_typeEmT1_T2_.num_agpr, 0
	.set _ZN7rocprim17ROCPRIM_400000_NS6detail30init_device_scan_by_key_kernelINS1_19lookback_scan_stateINS0_5tupleIJdbEEELb1ELb0EEEN6thrust23THRUST_200600_302600_NS6detail15normal_iteratorINS8_10device_ptrIiEEEEjNS1_16block_id_wrapperIjLb0EEEEEvT_jjPNSG_10value_typeET0_PNSt15iterator_traitsISJ_E10value_typeEmT1_T2_.numbered_sgpr, 22
	.set _ZN7rocprim17ROCPRIM_400000_NS6detail30init_device_scan_by_key_kernelINS1_19lookback_scan_stateINS0_5tupleIJdbEEELb1ELb0EEEN6thrust23THRUST_200600_302600_NS6detail15normal_iteratorINS8_10device_ptrIiEEEEjNS1_16block_id_wrapperIjLb0EEEEEvT_jjPNSG_10value_typeET0_PNSt15iterator_traitsISJ_E10value_typeEmT1_T2_.num_named_barrier, 0
	.set _ZN7rocprim17ROCPRIM_400000_NS6detail30init_device_scan_by_key_kernelINS1_19lookback_scan_stateINS0_5tupleIJdbEEELb1ELb0EEEN6thrust23THRUST_200600_302600_NS6detail15normal_iteratorINS8_10device_ptrIiEEEEjNS1_16block_id_wrapperIjLb0EEEEEvT_jjPNSG_10value_typeET0_PNSt15iterator_traitsISJ_E10value_typeEmT1_T2_.private_seg_size, 0
	.set _ZN7rocprim17ROCPRIM_400000_NS6detail30init_device_scan_by_key_kernelINS1_19lookback_scan_stateINS0_5tupleIJdbEEELb1ELb0EEEN6thrust23THRUST_200600_302600_NS6detail15normal_iteratorINS8_10device_ptrIiEEEEjNS1_16block_id_wrapperIjLb0EEEEEvT_jjPNSG_10value_typeET0_PNSt15iterator_traitsISJ_E10value_typeEmT1_T2_.uses_vcc, 1
	.set _ZN7rocprim17ROCPRIM_400000_NS6detail30init_device_scan_by_key_kernelINS1_19lookback_scan_stateINS0_5tupleIJdbEEELb1ELb0EEEN6thrust23THRUST_200600_302600_NS6detail15normal_iteratorINS8_10device_ptrIiEEEEjNS1_16block_id_wrapperIjLb0EEEEEvT_jjPNSG_10value_typeET0_PNSt15iterator_traitsISJ_E10value_typeEmT1_T2_.uses_flat_scratch, 0
	.set _ZN7rocprim17ROCPRIM_400000_NS6detail30init_device_scan_by_key_kernelINS1_19lookback_scan_stateINS0_5tupleIJdbEEELb1ELb0EEEN6thrust23THRUST_200600_302600_NS6detail15normal_iteratorINS8_10device_ptrIiEEEEjNS1_16block_id_wrapperIjLb0EEEEEvT_jjPNSG_10value_typeET0_PNSt15iterator_traitsISJ_E10value_typeEmT1_T2_.has_dyn_sized_stack, 0
	.set _ZN7rocprim17ROCPRIM_400000_NS6detail30init_device_scan_by_key_kernelINS1_19lookback_scan_stateINS0_5tupleIJdbEEELb1ELb0EEEN6thrust23THRUST_200600_302600_NS6detail15normal_iteratorINS8_10device_ptrIiEEEEjNS1_16block_id_wrapperIjLb0EEEEEvT_jjPNSG_10value_typeET0_PNSt15iterator_traitsISJ_E10value_typeEmT1_T2_.has_recursion, 0
	.set _ZN7rocprim17ROCPRIM_400000_NS6detail30init_device_scan_by_key_kernelINS1_19lookback_scan_stateINS0_5tupleIJdbEEELb1ELb0EEEN6thrust23THRUST_200600_302600_NS6detail15normal_iteratorINS8_10device_ptrIiEEEEjNS1_16block_id_wrapperIjLb0EEEEEvT_jjPNSG_10value_typeET0_PNSt15iterator_traitsISJ_E10value_typeEmT1_T2_.has_indirect_call, 0
	.section	.AMDGPU.csdata,"",@progbits
; Kernel info:
; codeLenInByte = 712
; TotalNumSgprs: 24
; NumVgprs: 7
; ScratchSize: 0
; MemoryBound: 0
; FloatMode: 240
; IeeeMode: 1
; LDSByteSize: 0 bytes/workgroup (compile time only)
; SGPRBlocks: 0
; VGPRBlocks: 0
; NumSGPRsForWavesPerEU: 24
; NumVGPRsForWavesPerEU: 7
; NamedBarCnt: 0
; Occupancy: 16
; WaveLimiterHint : 0
; COMPUTE_PGM_RSRC2:SCRATCH_EN: 0
; COMPUTE_PGM_RSRC2:USER_SGPR: 2
; COMPUTE_PGM_RSRC2:TRAP_HANDLER: 0
; COMPUTE_PGM_RSRC2:TGID_X_EN: 1
; COMPUTE_PGM_RSRC2:TGID_Y_EN: 0
; COMPUTE_PGM_RSRC2:TGID_Z_EN: 0
; COMPUTE_PGM_RSRC2:TIDIG_COMP_CNT: 0
	.section	.text._ZN7rocprim17ROCPRIM_400000_NS6detail30init_device_scan_by_key_kernelINS1_19lookback_scan_stateINS0_5tupleIJdbEEELb1ELb0EEENS1_16block_id_wrapperIjLb0EEEEEvT_jjPNS9_10value_typeET0_,"axG",@progbits,_ZN7rocprim17ROCPRIM_400000_NS6detail30init_device_scan_by_key_kernelINS1_19lookback_scan_stateINS0_5tupleIJdbEEELb1ELb0EEENS1_16block_id_wrapperIjLb0EEEEEvT_jjPNS9_10value_typeET0_,comdat
	.protected	_ZN7rocprim17ROCPRIM_400000_NS6detail30init_device_scan_by_key_kernelINS1_19lookback_scan_stateINS0_5tupleIJdbEEELb1ELb0EEENS1_16block_id_wrapperIjLb0EEEEEvT_jjPNS9_10value_typeET0_ ; -- Begin function _ZN7rocprim17ROCPRIM_400000_NS6detail30init_device_scan_by_key_kernelINS1_19lookback_scan_stateINS0_5tupleIJdbEEELb1ELb0EEENS1_16block_id_wrapperIjLb0EEEEEvT_jjPNS9_10value_typeET0_
	.globl	_ZN7rocprim17ROCPRIM_400000_NS6detail30init_device_scan_by_key_kernelINS1_19lookback_scan_stateINS0_5tupleIJdbEEELb1ELb0EEENS1_16block_id_wrapperIjLb0EEEEEvT_jjPNS9_10value_typeET0_
	.p2align	8
	.type	_ZN7rocprim17ROCPRIM_400000_NS6detail30init_device_scan_by_key_kernelINS1_19lookback_scan_stateINS0_5tupleIJdbEEELb1ELb0EEENS1_16block_id_wrapperIjLb0EEEEEvT_jjPNS9_10value_typeET0_,@function
_ZN7rocprim17ROCPRIM_400000_NS6detail30init_device_scan_by_key_kernelINS1_19lookback_scan_stateINS0_5tupleIJdbEEELb1ELb0EEENS1_16block_id_wrapperIjLb0EEEEEvT_jjPNS9_10value_typeET0_: ; @_ZN7rocprim17ROCPRIM_400000_NS6detail30init_device_scan_by_key_kernelINS1_19lookback_scan_stateINS0_5tupleIJdbEEELb1ELb0EEENS1_16block_id_wrapperIjLb0EEEEEvT_jjPNS9_10value_typeET0_
; %bb.0:
	s_clause 0x2
	s_load_b32 s8, s[0:1], 0x3c
	s_load_b128 s[4:7], s[0:1], 0x10
	s_load_b64 s[2:3], s[0:1], 0x20
	s_bfe_u32 s9, ttmp6, 0x4000c
	s_and_b32 s10, ttmp6, 15
	s_add_co_i32 s9, s9, 1
	s_getreg_b32 s11, hwreg(HW_REG_IB_STS2, 6, 4)
	s_mul_i32 s9, ttmp9, s9
	s_delay_alu instid0(SALU_CYCLE_1)
	s_add_co_i32 s10, s10, s9
	s_wait_kmcnt 0x0
	s_and_b32 s8, s8, 0xffff
	s_cmp_eq_u32 s11, 0
	s_cselect_b32 s9, ttmp9, s10
	s_cmp_eq_u64 s[2:3], 0
	v_mad_u32 v0, s9, s8, v0
	s_cbranch_scc1 .LBB1106_9
; %bb.1:
	s_cmp_lt_u32 s7, s6
	s_mov_b32 s14, exec_lo
	s_cselect_b32 s8, s7, 0
	s_delay_alu instid0(VALU_DEP_1) | instid1(SALU_CYCLE_1)
	v_cmpx_eq_u32_e64 s8, v0
	s_cbranch_execz .LBB1106_8
; %bb.2:
	s_add_co_i32 s12, s7, 32
	s_load_b128 s[8:11], s[0:1], 0x0
	v_mov_b32_e32 v1, s12
	s_mov_b32 s13, 0
	global_load_u8 v1, v1, s[4:5] scope:SCOPE_DEV
	s_wait_loadcnt 0x0
	v_and_b32_e32 v2, 0xffff, v1
	v_readfirstlane_b32 s15, v1
	s_delay_alu instid0(VALU_DEP_2)
	v_cmp_ne_u32_e32 vcc_lo, 0, v2
	s_cbranch_vccnz .LBB1106_7
; %bb.3:
	v_mov_b32_e32 v1, 0
	s_add_nc_u64 s[0:1], s[4:5], s[12:13]
	s_mov_b32 s7, 1
.LBB1106_4:                             ; =>This Loop Header: Depth=1
                                        ;     Child Loop BB1106_5 Depth 2
	s_delay_alu instid0(SALU_CYCLE_1)
	s_mov_b32 s15, s7
.LBB1106_5:                             ;   Parent Loop BB1106_4 Depth=1
                                        ; =>  This Inner Loop Header: Depth=2
	s_delay_alu instid0(SALU_CYCLE_1)
	s_add_co_i32 s15, s15, -1
	s_sleep 1
	s_cmp_eq_u32 s15, 0
	s_cbranch_scc0 .LBB1106_5
; %bb.6:                                ;   in Loop: Header=BB1106_4 Depth=1
	global_load_u8 v2, v1, s[0:1] scope:SCOPE_DEV
	s_cmp_lt_u32 s7, 32
	s_cselect_b32 s15, -1, 0
	s_delay_alu instid0(SALU_CYCLE_1) | instskip(SKIP_4) | instid1(VALU_DEP_2)
	s_cmp_lg_u32 s15, 0
	s_add_co_ci_u32 s7, s7, 0
	s_wait_loadcnt 0x0
	v_and_b32_e32 v3, 0xffff, v2
	v_readfirstlane_b32 s15, v2
	v_cmp_ne_u32_e32 vcc_lo, 0, v3
	s_cbranch_vccz .LBB1106_4
.LBB1106_7:
	s_and_b32 s0, 0xffff, s15
	v_mov_b32_e32 v1, 0
	s_cmp_eq_u32 s0, 1
	global_wb scope:SCOPE_DEV
	s_wait_storecnt 0x0
	global_inv scope:SCOPE_DEV
	s_wait_kmcnt 0x0
	s_cselect_b32 s1, s9, s11
	s_cselect_b32 s0, s8, s10
	s_lshl_b64 s[8:9], s[12:13], 4
	s_delay_alu instid0(SALU_CYCLE_1)
	s_add_nc_u64 s[0:1], s[0:1], s[8:9]
	s_clause 0x1
	global_load_b64 v[2:3], v1, s[0:1]
	global_load_u8 v4, v1, s[0:1] offset:8
	s_wait_loadcnt 0x1
	global_store_b64 v1, v[2:3], s[2:3]
	s_wait_loadcnt 0x0
	global_store_b8 v1, v4, s[2:3] offset:8
.LBB1106_8:
	s_wait_xcnt 0x0
	s_or_b32 exec_lo, exec_lo, s14
.LBB1106_9:
	s_delay_alu instid0(SALU_CYCLE_1) | instskip(NEXT) | instid1(VALU_DEP_1)
	s_mov_b32 s0, exec_lo
	v_cmpx_gt_u32_e64 s6, v0
	s_cbranch_execz .LBB1106_11
; %bb.10:
	v_dual_mov_b32 v2, 0 :: v_dual_add_nc_u32 v1, 32, v0
	global_store_b8 v1, v2, s[4:5]
.LBB1106_11:
	s_wait_xcnt 0x0
	s_or_b32 exec_lo, exec_lo, s0
	s_delay_alu instid0(SALU_CYCLE_1)
	s_mov_b32 s0, exec_lo
	v_cmpx_gt_u32_e32 32, v0
	s_cbranch_execz .LBB1106_13
; %bb.12:
	v_mov_b32_e32 v1, 0xff
	global_store_b8 v0, v1, s[4:5]
.LBB1106_13:
	s_endpgm
	.section	.rodata,"a",@progbits
	.p2align	6, 0x0
	.amdhsa_kernel _ZN7rocprim17ROCPRIM_400000_NS6detail30init_device_scan_by_key_kernelINS1_19lookback_scan_stateINS0_5tupleIJdbEEELb1ELb0EEENS1_16block_id_wrapperIjLb0EEEEEvT_jjPNS9_10value_typeET0_
		.amdhsa_group_segment_fixed_size 0
		.amdhsa_private_segment_fixed_size 0
		.amdhsa_kernarg_size 304
		.amdhsa_user_sgpr_count 2
		.amdhsa_user_sgpr_dispatch_ptr 0
		.amdhsa_user_sgpr_queue_ptr 0
		.amdhsa_user_sgpr_kernarg_segment_ptr 1
		.amdhsa_user_sgpr_dispatch_id 0
		.amdhsa_user_sgpr_kernarg_preload_length 0
		.amdhsa_user_sgpr_kernarg_preload_offset 0
		.amdhsa_user_sgpr_private_segment_size 0
		.amdhsa_wavefront_size32 1
		.amdhsa_uses_dynamic_stack 0
		.amdhsa_enable_private_segment 0
		.amdhsa_system_sgpr_workgroup_id_x 1
		.amdhsa_system_sgpr_workgroup_id_y 0
		.amdhsa_system_sgpr_workgroup_id_z 0
		.amdhsa_system_sgpr_workgroup_info 0
		.amdhsa_system_vgpr_workitem_id 0
		.amdhsa_next_free_vgpr 5
		.amdhsa_next_free_sgpr 16
		.amdhsa_named_barrier_count 0
		.amdhsa_reserve_vcc 1
		.amdhsa_float_round_mode_32 0
		.amdhsa_float_round_mode_16_64 0
		.amdhsa_float_denorm_mode_32 3
		.amdhsa_float_denorm_mode_16_64 3
		.amdhsa_fp16_overflow 0
		.amdhsa_memory_ordered 1
		.amdhsa_forward_progress 1
		.amdhsa_inst_pref_size 4
		.amdhsa_round_robin_scheduling 0
		.amdhsa_exception_fp_ieee_invalid_op 0
		.amdhsa_exception_fp_denorm_src 0
		.amdhsa_exception_fp_ieee_div_zero 0
		.amdhsa_exception_fp_ieee_overflow 0
		.amdhsa_exception_fp_ieee_underflow 0
		.amdhsa_exception_fp_ieee_inexact 0
		.amdhsa_exception_int_div_zero 0
	.end_amdhsa_kernel
	.section	.text._ZN7rocprim17ROCPRIM_400000_NS6detail30init_device_scan_by_key_kernelINS1_19lookback_scan_stateINS0_5tupleIJdbEEELb1ELb0EEENS1_16block_id_wrapperIjLb0EEEEEvT_jjPNS9_10value_typeET0_,"axG",@progbits,_ZN7rocprim17ROCPRIM_400000_NS6detail30init_device_scan_by_key_kernelINS1_19lookback_scan_stateINS0_5tupleIJdbEEELb1ELb0EEENS1_16block_id_wrapperIjLb0EEEEEvT_jjPNS9_10value_typeET0_,comdat
.Lfunc_end1106:
	.size	_ZN7rocprim17ROCPRIM_400000_NS6detail30init_device_scan_by_key_kernelINS1_19lookback_scan_stateINS0_5tupleIJdbEEELb1ELb0EEENS1_16block_id_wrapperIjLb0EEEEEvT_jjPNS9_10value_typeET0_, .Lfunc_end1106-_ZN7rocprim17ROCPRIM_400000_NS6detail30init_device_scan_by_key_kernelINS1_19lookback_scan_stateINS0_5tupleIJdbEEELb1ELb0EEENS1_16block_id_wrapperIjLb0EEEEEvT_jjPNS9_10value_typeET0_
                                        ; -- End function
	.set _ZN7rocprim17ROCPRIM_400000_NS6detail30init_device_scan_by_key_kernelINS1_19lookback_scan_stateINS0_5tupleIJdbEEELb1ELb0EEENS1_16block_id_wrapperIjLb0EEEEEvT_jjPNS9_10value_typeET0_.num_vgpr, 5
	.set _ZN7rocprim17ROCPRIM_400000_NS6detail30init_device_scan_by_key_kernelINS1_19lookback_scan_stateINS0_5tupleIJdbEEELb1ELb0EEENS1_16block_id_wrapperIjLb0EEEEEvT_jjPNS9_10value_typeET0_.num_agpr, 0
	.set _ZN7rocprim17ROCPRIM_400000_NS6detail30init_device_scan_by_key_kernelINS1_19lookback_scan_stateINS0_5tupleIJdbEEELb1ELb0EEENS1_16block_id_wrapperIjLb0EEEEEvT_jjPNS9_10value_typeET0_.numbered_sgpr, 16
	.set _ZN7rocprim17ROCPRIM_400000_NS6detail30init_device_scan_by_key_kernelINS1_19lookback_scan_stateINS0_5tupleIJdbEEELb1ELb0EEENS1_16block_id_wrapperIjLb0EEEEEvT_jjPNS9_10value_typeET0_.num_named_barrier, 0
	.set _ZN7rocprim17ROCPRIM_400000_NS6detail30init_device_scan_by_key_kernelINS1_19lookback_scan_stateINS0_5tupleIJdbEEELb1ELb0EEENS1_16block_id_wrapperIjLb0EEEEEvT_jjPNS9_10value_typeET0_.private_seg_size, 0
	.set _ZN7rocprim17ROCPRIM_400000_NS6detail30init_device_scan_by_key_kernelINS1_19lookback_scan_stateINS0_5tupleIJdbEEELb1ELb0EEENS1_16block_id_wrapperIjLb0EEEEEvT_jjPNS9_10value_typeET0_.uses_vcc, 1
	.set _ZN7rocprim17ROCPRIM_400000_NS6detail30init_device_scan_by_key_kernelINS1_19lookback_scan_stateINS0_5tupleIJdbEEELb1ELb0EEENS1_16block_id_wrapperIjLb0EEEEEvT_jjPNS9_10value_typeET0_.uses_flat_scratch, 0
	.set _ZN7rocprim17ROCPRIM_400000_NS6detail30init_device_scan_by_key_kernelINS1_19lookback_scan_stateINS0_5tupleIJdbEEELb1ELb0EEENS1_16block_id_wrapperIjLb0EEEEEvT_jjPNS9_10value_typeET0_.has_dyn_sized_stack, 0
	.set _ZN7rocprim17ROCPRIM_400000_NS6detail30init_device_scan_by_key_kernelINS1_19lookback_scan_stateINS0_5tupleIJdbEEELb1ELb0EEENS1_16block_id_wrapperIjLb0EEEEEvT_jjPNS9_10value_typeET0_.has_recursion, 0
	.set _ZN7rocprim17ROCPRIM_400000_NS6detail30init_device_scan_by_key_kernelINS1_19lookback_scan_stateINS0_5tupleIJdbEEELb1ELb0EEENS1_16block_id_wrapperIjLb0EEEEEvT_jjPNS9_10value_typeET0_.has_indirect_call, 0
	.section	.AMDGPU.csdata,"",@progbits
; Kernel info:
; codeLenInByte = 504
; TotalNumSgprs: 18
; NumVgprs: 5
; ScratchSize: 0
; MemoryBound: 0
; FloatMode: 240
; IeeeMode: 1
; LDSByteSize: 0 bytes/workgroup (compile time only)
; SGPRBlocks: 0
; VGPRBlocks: 0
; NumSGPRsForWavesPerEU: 18
; NumVGPRsForWavesPerEU: 5
; NamedBarCnt: 0
; Occupancy: 16
; WaveLimiterHint : 0
; COMPUTE_PGM_RSRC2:SCRATCH_EN: 0
; COMPUTE_PGM_RSRC2:USER_SGPR: 2
; COMPUTE_PGM_RSRC2:TRAP_HANDLER: 0
; COMPUTE_PGM_RSRC2:TGID_X_EN: 1
; COMPUTE_PGM_RSRC2:TGID_Y_EN: 0
; COMPUTE_PGM_RSRC2:TGID_Z_EN: 0
; COMPUTE_PGM_RSRC2:TIDIG_COMP_CNT: 0
	.section	.text._ZN7rocprim17ROCPRIM_400000_NS6detail17trampoline_kernelINS0_14default_configENS1_27scan_by_key_config_selectorIidEEZZNS1_16scan_by_key_implILNS1_25lookback_scan_determinismE0ELb0ES3_N6thrust23THRUST_200600_302600_NS6detail15normal_iteratorINS9_10device_ptrIiEEEENSB_INSC_IdEEEESG_dNS9_4plusIvEENS9_8equal_toIvEEdEE10hipError_tPvRmT2_T3_T4_T5_mT6_T7_P12ihipStream_tbENKUlT_T0_E_clISt17integral_constantIbLb1EES10_IbLb0EEEEDaSW_SX_EUlSW_E_NS1_11comp_targetILNS1_3genE0ELNS1_11target_archE4294967295ELNS1_3gpuE0ELNS1_3repE0EEENS1_30default_config_static_selectorELNS0_4arch9wavefront6targetE0EEEvT1_,"axG",@progbits,_ZN7rocprim17ROCPRIM_400000_NS6detail17trampoline_kernelINS0_14default_configENS1_27scan_by_key_config_selectorIidEEZZNS1_16scan_by_key_implILNS1_25lookback_scan_determinismE0ELb0ES3_N6thrust23THRUST_200600_302600_NS6detail15normal_iteratorINS9_10device_ptrIiEEEENSB_INSC_IdEEEESG_dNS9_4plusIvEENS9_8equal_toIvEEdEE10hipError_tPvRmT2_T3_T4_T5_mT6_T7_P12ihipStream_tbENKUlT_T0_E_clISt17integral_constantIbLb1EES10_IbLb0EEEEDaSW_SX_EUlSW_E_NS1_11comp_targetILNS1_3genE0ELNS1_11target_archE4294967295ELNS1_3gpuE0ELNS1_3repE0EEENS1_30default_config_static_selectorELNS0_4arch9wavefront6targetE0EEEvT1_,comdat
	.protected	_ZN7rocprim17ROCPRIM_400000_NS6detail17trampoline_kernelINS0_14default_configENS1_27scan_by_key_config_selectorIidEEZZNS1_16scan_by_key_implILNS1_25lookback_scan_determinismE0ELb0ES3_N6thrust23THRUST_200600_302600_NS6detail15normal_iteratorINS9_10device_ptrIiEEEENSB_INSC_IdEEEESG_dNS9_4plusIvEENS9_8equal_toIvEEdEE10hipError_tPvRmT2_T3_T4_T5_mT6_T7_P12ihipStream_tbENKUlT_T0_E_clISt17integral_constantIbLb1EES10_IbLb0EEEEDaSW_SX_EUlSW_E_NS1_11comp_targetILNS1_3genE0ELNS1_11target_archE4294967295ELNS1_3gpuE0ELNS1_3repE0EEENS1_30default_config_static_selectorELNS0_4arch9wavefront6targetE0EEEvT1_ ; -- Begin function _ZN7rocprim17ROCPRIM_400000_NS6detail17trampoline_kernelINS0_14default_configENS1_27scan_by_key_config_selectorIidEEZZNS1_16scan_by_key_implILNS1_25lookback_scan_determinismE0ELb0ES3_N6thrust23THRUST_200600_302600_NS6detail15normal_iteratorINS9_10device_ptrIiEEEENSB_INSC_IdEEEESG_dNS9_4plusIvEENS9_8equal_toIvEEdEE10hipError_tPvRmT2_T3_T4_T5_mT6_T7_P12ihipStream_tbENKUlT_T0_E_clISt17integral_constantIbLb1EES10_IbLb0EEEEDaSW_SX_EUlSW_E_NS1_11comp_targetILNS1_3genE0ELNS1_11target_archE4294967295ELNS1_3gpuE0ELNS1_3repE0EEENS1_30default_config_static_selectorELNS0_4arch9wavefront6targetE0EEEvT1_
	.globl	_ZN7rocprim17ROCPRIM_400000_NS6detail17trampoline_kernelINS0_14default_configENS1_27scan_by_key_config_selectorIidEEZZNS1_16scan_by_key_implILNS1_25lookback_scan_determinismE0ELb0ES3_N6thrust23THRUST_200600_302600_NS6detail15normal_iteratorINS9_10device_ptrIiEEEENSB_INSC_IdEEEESG_dNS9_4plusIvEENS9_8equal_toIvEEdEE10hipError_tPvRmT2_T3_T4_T5_mT6_T7_P12ihipStream_tbENKUlT_T0_E_clISt17integral_constantIbLb1EES10_IbLb0EEEEDaSW_SX_EUlSW_E_NS1_11comp_targetILNS1_3genE0ELNS1_11target_archE4294967295ELNS1_3gpuE0ELNS1_3repE0EEENS1_30default_config_static_selectorELNS0_4arch9wavefront6targetE0EEEvT1_
	.p2align	8
	.type	_ZN7rocprim17ROCPRIM_400000_NS6detail17trampoline_kernelINS0_14default_configENS1_27scan_by_key_config_selectorIidEEZZNS1_16scan_by_key_implILNS1_25lookback_scan_determinismE0ELb0ES3_N6thrust23THRUST_200600_302600_NS6detail15normal_iteratorINS9_10device_ptrIiEEEENSB_INSC_IdEEEESG_dNS9_4plusIvEENS9_8equal_toIvEEdEE10hipError_tPvRmT2_T3_T4_T5_mT6_T7_P12ihipStream_tbENKUlT_T0_E_clISt17integral_constantIbLb1EES10_IbLb0EEEEDaSW_SX_EUlSW_E_NS1_11comp_targetILNS1_3genE0ELNS1_11target_archE4294967295ELNS1_3gpuE0ELNS1_3repE0EEENS1_30default_config_static_selectorELNS0_4arch9wavefront6targetE0EEEvT1_,@function
_ZN7rocprim17ROCPRIM_400000_NS6detail17trampoline_kernelINS0_14default_configENS1_27scan_by_key_config_selectorIidEEZZNS1_16scan_by_key_implILNS1_25lookback_scan_determinismE0ELb0ES3_N6thrust23THRUST_200600_302600_NS6detail15normal_iteratorINS9_10device_ptrIiEEEENSB_INSC_IdEEEESG_dNS9_4plusIvEENS9_8equal_toIvEEdEE10hipError_tPvRmT2_T3_T4_T5_mT6_T7_P12ihipStream_tbENKUlT_T0_E_clISt17integral_constantIbLb1EES10_IbLb0EEEEDaSW_SX_EUlSW_E_NS1_11comp_targetILNS1_3genE0ELNS1_11target_archE4294967295ELNS1_3gpuE0ELNS1_3repE0EEENS1_30default_config_static_selectorELNS0_4arch9wavefront6targetE0EEEvT1_: ; @_ZN7rocprim17ROCPRIM_400000_NS6detail17trampoline_kernelINS0_14default_configENS1_27scan_by_key_config_selectorIidEEZZNS1_16scan_by_key_implILNS1_25lookback_scan_determinismE0ELb0ES3_N6thrust23THRUST_200600_302600_NS6detail15normal_iteratorINS9_10device_ptrIiEEEENSB_INSC_IdEEEESG_dNS9_4plusIvEENS9_8equal_toIvEEdEE10hipError_tPvRmT2_T3_T4_T5_mT6_T7_P12ihipStream_tbENKUlT_T0_E_clISt17integral_constantIbLb1EES10_IbLb0EEEEDaSW_SX_EUlSW_E_NS1_11comp_targetILNS1_3genE0ELNS1_11target_archE4294967295ELNS1_3gpuE0ELNS1_3repE0EEENS1_30default_config_static_selectorELNS0_4arch9wavefront6targetE0EEEvT1_
; %bb.0:
	s_endpgm
	.section	.rodata,"a",@progbits
	.p2align	6, 0x0
	.amdhsa_kernel _ZN7rocprim17ROCPRIM_400000_NS6detail17trampoline_kernelINS0_14default_configENS1_27scan_by_key_config_selectorIidEEZZNS1_16scan_by_key_implILNS1_25lookback_scan_determinismE0ELb0ES3_N6thrust23THRUST_200600_302600_NS6detail15normal_iteratorINS9_10device_ptrIiEEEENSB_INSC_IdEEEESG_dNS9_4plusIvEENS9_8equal_toIvEEdEE10hipError_tPvRmT2_T3_T4_T5_mT6_T7_P12ihipStream_tbENKUlT_T0_E_clISt17integral_constantIbLb1EES10_IbLb0EEEEDaSW_SX_EUlSW_E_NS1_11comp_targetILNS1_3genE0ELNS1_11target_archE4294967295ELNS1_3gpuE0ELNS1_3repE0EEENS1_30default_config_static_selectorELNS0_4arch9wavefront6targetE0EEEvT1_
		.amdhsa_group_segment_fixed_size 0
		.amdhsa_private_segment_fixed_size 0
		.amdhsa_kernarg_size 136
		.amdhsa_user_sgpr_count 2
		.amdhsa_user_sgpr_dispatch_ptr 0
		.amdhsa_user_sgpr_queue_ptr 0
		.amdhsa_user_sgpr_kernarg_segment_ptr 1
		.amdhsa_user_sgpr_dispatch_id 0
		.amdhsa_user_sgpr_kernarg_preload_length 0
		.amdhsa_user_sgpr_kernarg_preload_offset 0
		.amdhsa_user_sgpr_private_segment_size 0
		.amdhsa_wavefront_size32 1
		.amdhsa_uses_dynamic_stack 0
		.amdhsa_enable_private_segment 0
		.amdhsa_system_sgpr_workgroup_id_x 1
		.amdhsa_system_sgpr_workgroup_id_y 0
		.amdhsa_system_sgpr_workgroup_id_z 0
		.amdhsa_system_sgpr_workgroup_info 0
		.amdhsa_system_vgpr_workitem_id 0
		.amdhsa_next_free_vgpr 1
		.amdhsa_next_free_sgpr 1
		.amdhsa_named_barrier_count 0
		.amdhsa_reserve_vcc 0
		.amdhsa_float_round_mode_32 0
		.amdhsa_float_round_mode_16_64 0
		.amdhsa_float_denorm_mode_32 3
		.amdhsa_float_denorm_mode_16_64 3
		.amdhsa_fp16_overflow 0
		.amdhsa_memory_ordered 1
		.amdhsa_forward_progress 1
		.amdhsa_inst_pref_size 1
		.amdhsa_round_robin_scheduling 0
		.amdhsa_exception_fp_ieee_invalid_op 0
		.amdhsa_exception_fp_denorm_src 0
		.amdhsa_exception_fp_ieee_div_zero 0
		.amdhsa_exception_fp_ieee_overflow 0
		.amdhsa_exception_fp_ieee_underflow 0
		.amdhsa_exception_fp_ieee_inexact 0
		.amdhsa_exception_int_div_zero 0
	.end_amdhsa_kernel
	.section	.text._ZN7rocprim17ROCPRIM_400000_NS6detail17trampoline_kernelINS0_14default_configENS1_27scan_by_key_config_selectorIidEEZZNS1_16scan_by_key_implILNS1_25lookback_scan_determinismE0ELb0ES3_N6thrust23THRUST_200600_302600_NS6detail15normal_iteratorINS9_10device_ptrIiEEEENSB_INSC_IdEEEESG_dNS9_4plusIvEENS9_8equal_toIvEEdEE10hipError_tPvRmT2_T3_T4_T5_mT6_T7_P12ihipStream_tbENKUlT_T0_E_clISt17integral_constantIbLb1EES10_IbLb0EEEEDaSW_SX_EUlSW_E_NS1_11comp_targetILNS1_3genE0ELNS1_11target_archE4294967295ELNS1_3gpuE0ELNS1_3repE0EEENS1_30default_config_static_selectorELNS0_4arch9wavefront6targetE0EEEvT1_,"axG",@progbits,_ZN7rocprim17ROCPRIM_400000_NS6detail17trampoline_kernelINS0_14default_configENS1_27scan_by_key_config_selectorIidEEZZNS1_16scan_by_key_implILNS1_25lookback_scan_determinismE0ELb0ES3_N6thrust23THRUST_200600_302600_NS6detail15normal_iteratorINS9_10device_ptrIiEEEENSB_INSC_IdEEEESG_dNS9_4plusIvEENS9_8equal_toIvEEdEE10hipError_tPvRmT2_T3_T4_T5_mT6_T7_P12ihipStream_tbENKUlT_T0_E_clISt17integral_constantIbLb1EES10_IbLb0EEEEDaSW_SX_EUlSW_E_NS1_11comp_targetILNS1_3genE0ELNS1_11target_archE4294967295ELNS1_3gpuE0ELNS1_3repE0EEENS1_30default_config_static_selectorELNS0_4arch9wavefront6targetE0EEEvT1_,comdat
.Lfunc_end1107:
	.size	_ZN7rocprim17ROCPRIM_400000_NS6detail17trampoline_kernelINS0_14default_configENS1_27scan_by_key_config_selectorIidEEZZNS1_16scan_by_key_implILNS1_25lookback_scan_determinismE0ELb0ES3_N6thrust23THRUST_200600_302600_NS6detail15normal_iteratorINS9_10device_ptrIiEEEENSB_INSC_IdEEEESG_dNS9_4plusIvEENS9_8equal_toIvEEdEE10hipError_tPvRmT2_T3_T4_T5_mT6_T7_P12ihipStream_tbENKUlT_T0_E_clISt17integral_constantIbLb1EES10_IbLb0EEEEDaSW_SX_EUlSW_E_NS1_11comp_targetILNS1_3genE0ELNS1_11target_archE4294967295ELNS1_3gpuE0ELNS1_3repE0EEENS1_30default_config_static_selectorELNS0_4arch9wavefront6targetE0EEEvT1_, .Lfunc_end1107-_ZN7rocprim17ROCPRIM_400000_NS6detail17trampoline_kernelINS0_14default_configENS1_27scan_by_key_config_selectorIidEEZZNS1_16scan_by_key_implILNS1_25lookback_scan_determinismE0ELb0ES3_N6thrust23THRUST_200600_302600_NS6detail15normal_iteratorINS9_10device_ptrIiEEEENSB_INSC_IdEEEESG_dNS9_4plusIvEENS9_8equal_toIvEEdEE10hipError_tPvRmT2_T3_T4_T5_mT6_T7_P12ihipStream_tbENKUlT_T0_E_clISt17integral_constantIbLb1EES10_IbLb0EEEEDaSW_SX_EUlSW_E_NS1_11comp_targetILNS1_3genE0ELNS1_11target_archE4294967295ELNS1_3gpuE0ELNS1_3repE0EEENS1_30default_config_static_selectorELNS0_4arch9wavefront6targetE0EEEvT1_
                                        ; -- End function
	.set _ZN7rocprim17ROCPRIM_400000_NS6detail17trampoline_kernelINS0_14default_configENS1_27scan_by_key_config_selectorIidEEZZNS1_16scan_by_key_implILNS1_25lookback_scan_determinismE0ELb0ES3_N6thrust23THRUST_200600_302600_NS6detail15normal_iteratorINS9_10device_ptrIiEEEENSB_INSC_IdEEEESG_dNS9_4plusIvEENS9_8equal_toIvEEdEE10hipError_tPvRmT2_T3_T4_T5_mT6_T7_P12ihipStream_tbENKUlT_T0_E_clISt17integral_constantIbLb1EES10_IbLb0EEEEDaSW_SX_EUlSW_E_NS1_11comp_targetILNS1_3genE0ELNS1_11target_archE4294967295ELNS1_3gpuE0ELNS1_3repE0EEENS1_30default_config_static_selectorELNS0_4arch9wavefront6targetE0EEEvT1_.num_vgpr, 0
	.set _ZN7rocprim17ROCPRIM_400000_NS6detail17trampoline_kernelINS0_14default_configENS1_27scan_by_key_config_selectorIidEEZZNS1_16scan_by_key_implILNS1_25lookback_scan_determinismE0ELb0ES3_N6thrust23THRUST_200600_302600_NS6detail15normal_iteratorINS9_10device_ptrIiEEEENSB_INSC_IdEEEESG_dNS9_4plusIvEENS9_8equal_toIvEEdEE10hipError_tPvRmT2_T3_T4_T5_mT6_T7_P12ihipStream_tbENKUlT_T0_E_clISt17integral_constantIbLb1EES10_IbLb0EEEEDaSW_SX_EUlSW_E_NS1_11comp_targetILNS1_3genE0ELNS1_11target_archE4294967295ELNS1_3gpuE0ELNS1_3repE0EEENS1_30default_config_static_selectorELNS0_4arch9wavefront6targetE0EEEvT1_.num_agpr, 0
	.set _ZN7rocprim17ROCPRIM_400000_NS6detail17trampoline_kernelINS0_14default_configENS1_27scan_by_key_config_selectorIidEEZZNS1_16scan_by_key_implILNS1_25lookback_scan_determinismE0ELb0ES3_N6thrust23THRUST_200600_302600_NS6detail15normal_iteratorINS9_10device_ptrIiEEEENSB_INSC_IdEEEESG_dNS9_4plusIvEENS9_8equal_toIvEEdEE10hipError_tPvRmT2_T3_T4_T5_mT6_T7_P12ihipStream_tbENKUlT_T0_E_clISt17integral_constantIbLb1EES10_IbLb0EEEEDaSW_SX_EUlSW_E_NS1_11comp_targetILNS1_3genE0ELNS1_11target_archE4294967295ELNS1_3gpuE0ELNS1_3repE0EEENS1_30default_config_static_selectorELNS0_4arch9wavefront6targetE0EEEvT1_.numbered_sgpr, 0
	.set _ZN7rocprim17ROCPRIM_400000_NS6detail17trampoline_kernelINS0_14default_configENS1_27scan_by_key_config_selectorIidEEZZNS1_16scan_by_key_implILNS1_25lookback_scan_determinismE0ELb0ES3_N6thrust23THRUST_200600_302600_NS6detail15normal_iteratorINS9_10device_ptrIiEEEENSB_INSC_IdEEEESG_dNS9_4plusIvEENS9_8equal_toIvEEdEE10hipError_tPvRmT2_T3_T4_T5_mT6_T7_P12ihipStream_tbENKUlT_T0_E_clISt17integral_constantIbLb1EES10_IbLb0EEEEDaSW_SX_EUlSW_E_NS1_11comp_targetILNS1_3genE0ELNS1_11target_archE4294967295ELNS1_3gpuE0ELNS1_3repE0EEENS1_30default_config_static_selectorELNS0_4arch9wavefront6targetE0EEEvT1_.num_named_barrier, 0
	.set _ZN7rocprim17ROCPRIM_400000_NS6detail17trampoline_kernelINS0_14default_configENS1_27scan_by_key_config_selectorIidEEZZNS1_16scan_by_key_implILNS1_25lookback_scan_determinismE0ELb0ES3_N6thrust23THRUST_200600_302600_NS6detail15normal_iteratorINS9_10device_ptrIiEEEENSB_INSC_IdEEEESG_dNS9_4plusIvEENS9_8equal_toIvEEdEE10hipError_tPvRmT2_T3_T4_T5_mT6_T7_P12ihipStream_tbENKUlT_T0_E_clISt17integral_constantIbLb1EES10_IbLb0EEEEDaSW_SX_EUlSW_E_NS1_11comp_targetILNS1_3genE0ELNS1_11target_archE4294967295ELNS1_3gpuE0ELNS1_3repE0EEENS1_30default_config_static_selectorELNS0_4arch9wavefront6targetE0EEEvT1_.private_seg_size, 0
	.set _ZN7rocprim17ROCPRIM_400000_NS6detail17trampoline_kernelINS0_14default_configENS1_27scan_by_key_config_selectorIidEEZZNS1_16scan_by_key_implILNS1_25lookback_scan_determinismE0ELb0ES3_N6thrust23THRUST_200600_302600_NS6detail15normal_iteratorINS9_10device_ptrIiEEEENSB_INSC_IdEEEESG_dNS9_4plusIvEENS9_8equal_toIvEEdEE10hipError_tPvRmT2_T3_T4_T5_mT6_T7_P12ihipStream_tbENKUlT_T0_E_clISt17integral_constantIbLb1EES10_IbLb0EEEEDaSW_SX_EUlSW_E_NS1_11comp_targetILNS1_3genE0ELNS1_11target_archE4294967295ELNS1_3gpuE0ELNS1_3repE0EEENS1_30default_config_static_selectorELNS0_4arch9wavefront6targetE0EEEvT1_.uses_vcc, 0
	.set _ZN7rocprim17ROCPRIM_400000_NS6detail17trampoline_kernelINS0_14default_configENS1_27scan_by_key_config_selectorIidEEZZNS1_16scan_by_key_implILNS1_25lookback_scan_determinismE0ELb0ES3_N6thrust23THRUST_200600_302600_NS6detail15normal_iteratorINS9_10device_ptrIiEEEENSB_INSC_IdEEEESG_dNS9_4plusIvEENS9_8equal_toIvEEdEE10hipError_tPvRmT2_T3_T4_T5_mT6_T7_P12ihipStream_tbENKUlT_T0_E_clISt17integral_constantIbLb1EES10_IbLb0EEEEDaSW_SX_EUlSW_E_NS1_11comp_targetILNS1_3genE0ELNS1_11target_archE4294967295ELNS1_3gpuE0ELNS1_3repE0EEENS1_30default_config_static_selectorELNS0_4arch9wavefront6targetE0EEEvT1_.uses_flat_scratch, 0
	.set _ZN7rocprim17ROCPRIM_400000_NS6detail17trampoline_kernelINS0_14default_configENS1_27scan_by_key_config_selectorIidEEZZNS1_16scan_by_key_implILNS1_25lookback_scan_determinismE0ELb0ES3_N6thrust23THRUST_200600_302600_NS6detail15normal_iteratorINS9_10device_ptrIiEEEENSB_INSC_IdEEEESG_dNS9_4plusIvEENS9_8equal_toIvEEdEE10hipError_tPvRmT2_T3_T4_T5_mT6_T7_P12ihipStream_tbENKUlT_T0_E_clISt17integral_constantIbLb1EES10_IbLb0EEEEDaSW_SX_EUlSW_E_NS1_11comp_targetILNS1_3genE0ELNS1_11target_archE4294967295ELNS1_3gpuE0ELNS1_3repE0EEENS1_30default_config_static_selectorELNS0_4arch9wavefront6targetE0EEEvT1_.has_dyn_sized_stack, 0
	.set _ZN7rocprim17ROCPRIM_400000_NS6detail17trampoline_kernelINS0_14default_configENS1_27scan_by_key_config_selectorIidEEZZNS1_16scan_by_key_implILNS1_25lookback_scan_determinismE0ELb0ES3_N6thrust23THRUST_200600_302600_NS6detail15normal_iteratorINS9_10device_ptrIiEEEENSB_INSC_IdEEEESG_dNS9_4plusIvEENS9_8equal_toIvEEdEE10hipError_tPvRmT2_T3_T4_T5_mT6_T7_P12ihipStream_tbENKUlT_T0_E_clISt17integral_constantIbLb1EES10_IbLb0EEEEDaSW_SX_EUlSW_E_NS1_11comp_targetILNS1_3genE0ELNS1_11target_archE4294967295ELNS1_3gpuE0ELNS1_3repE0EEENS1_30default_config_static_selectorELNS0_4arch9wavefront6targetE0EEEvT1_.has_recursion, 0
	.set _ZN7rocprim17ROCPRIM_400000_NS6detail17trampoline_kernelINS0_14default_configENS1_27scan_by_key_config_selectorIidEEZZNS1_16scan_by_key_implILNS1_25lookback_scan_determinismE0ELb0ES3_N6thrust23THRUST_200600_302600_NS6detail15normal_iteratorINS9_10device_ptrIiEEEENSB_INSC_IdEEEESG_dNS9_4plusIvEENS9_8equal_toIvEEdEE10hipError_tPvRmT2_T3_T4_T5_mT6_T7_P12ihipStream_tbENKUlT_T0_E_clISt17integral_constantIbLb1EES10_IbLb0EEEEDaSW_SX_EUlSW_E_NS1_11comp_targetILNS1_3genE0ELNS1_11target_archE4294967295ELNS1_3gpuE0ELNS1_3repE0EEENS1_30default_config_static_selectorELNS0_4arch9wavefront6targetE0EEEvT1_.has_indirect_call, 0
	.section	.AMDGPU.csdata,"",@progbits
; Kernel info:
; codeLenInByte = 4
; TotalNumSgprs: 0
; NumVgprs: 0
; ScratchSize: 0
; MemoryBound: 0
; FloatMode: 240
; IeeeMode: 1
; LDSByteSize: 0 bytes/workgroup (compile time only)
; SGPRBlocks: 0
; VGPRBlocks: 0
; NumSGPRsForWavesPerEU: 1
; NumVGPRsForWavesPerEU: 1
; NamedBarCnt: 0
; Occupancy: 16
; WaveLimiterHint : 0
; COMPUTE_PGM_RSRC2:SCRATCH_EN: 0
; COMPUTE_PGM_RSRC2:USER_SGPR: 2
; COMPUTE_PGM_RSRC2:TRAP_HANDLER: 0
; COMPUTE_PGM_RSRC2:TGID_X_EN: 1
; COMPUTE_PGM_RSRC2:TGID_Y_EN: 0
; COMPUTE_PGM_RSRC2:TGID_Z_EN: 0
; COMPUTE_PGM_RSRC2:TIDIG_COMP_CNT: 0
	.section	.text._ZN7rocprim17ROCPRIM_400000_NS6detail17trampoline_kernelINS0_14default_configENS1_27scan_by_key_config_selectorIidEEZZNS1_16scan_by_key_implILNS1_25lookback_scan_determinismE0ELb0ES3_N6thrust23THRUST_200600_302600_NS6detail15normal_iteratorINS9_10device_ptrIiEEEENSB_INSC_IdEEEESG_dNS9_4plusIvEENS9_8equal_toIvEEdEE10hipError_tPvRmT2_T3_T4_T5_mT6_T7_P12ihipStream_tbENKUlT_T0_E_clISt17integral_constantIbLb1EES10_IbLb0EEEEDaSW_SX_EUlSW_E_NS1_11comp_targetILNS1_3genE10ELNS1_11target_archE1201ELNS1_3gpuE5ELNS1_3repE0EEENS1_30default_config_static_selectorELNS0_4arch9wavefront6targetE0EEEvT1_,"axG",@progbits,_ZN7rocprim17ROCPRIM_400000_NS6detail17trampoline_kernelINS0_14default_configENS1_27scan_by_key_config_selectorIidEEZZNS1_16scan_by_key_implILNS1_25lookback_scan_determinismE0ELb0ES3_N6thrust23THRUST_200600_302600_NS6detail15normal_iteratorINS9_10device_ptrIiEEEENSB_INSC_IdEEEESG_dNS9_4plusIvEENS9_8equal_toIvEEdEE10hipError_tPvRmT2_T3_T4_T5_mT6_T7_P12ihipStream_tbENKUlT_T0_E_clISt17integral_constantIbLb1EES10_IbLb0EEEEDaSW_SX_EUlSW_E_NS1_11comp_targetILNS1_3genE10ELNS1_11target_archE1201ELNS1_3gpuE5ELNS1_3repE0EEENS1_30default_config_static_selectorELNS0_4arch9wavefront6targetE0EEEvT1_,comdat
	.protected	_ZN7rocprim17ROCPRIM_400000_NS6detail17trampoline_kernelINS0_14default_configENS1_27scan_by_key_config_selectorIidEEZZNS1_16scan_by_key_implILNS1_25lookback_scan_determinismE0ELb0ES3_N6thrust23THRUST_200600_302600_NS6detail15normal_iteratorINS9_10device_ptrIiEEEENSB_INSC_IdEEEESG_dNS9_4plusIvEENS9_8equal_toIvEEdEE10hipError_tPvRmT2_T3_T4_T5_mT6_T7_P12ihipStream_tbENKUlT_T0_E_clISt17integral_constantIbLb1EES10_IbLb0EEEEDaSW_SX_EUlSW_E_NS1_11comp_targetILNS1_3genE10ELNS1_11target_archE1201ELNS1_3gpuE5ELNS1_3repE0EEENS1_30default_config_static_selectorELNS0_4arch9wavefront6targetE0EEEvT1_ ; -- Begin function _ZN7rocprim17ROCPRIM_400000_NS6detail17trampoline_kernelINS0_14default_configENS1_27scan_by_key_config_selectorIidEEZZNS1_16scan_by_key_implILNS1_25lookback_scan_determinismE0ELb0ES3_N6thrust23THRUST_200600_302600_NS6detail15normal_iteratorINS9_10device_ptrIiEEEENSB_INSC_IdEEEESG_dNS9_4plusIvEENS9_8equal_toIvEEdEE10hipError_tPvRmT2_T3_T4_T5_mT6_T7_P12ihipStream_tbENKUlT_T0_E_clISt17integral_constantIbLb1EES10_IbLb0EEEEDaSW_SX_EUlSW_E_NS1_11comp_targetILNS1_3genE10ELNS1_11target_archE1201ELNS1_3gpuE5ELNS1_3repE0EEENS1_30default_config_static_selectorELNS0_4arch9wavefront6targetE0EEEvT1_
	.globl	_ZN7rocprim17ROCPRIM_400000_NS6detail17trampoline_kernelINS0_14default_configENS1_27scan_by_key_config_selectorIidEEZZNS1_16scan_by_key_implILNS1_25lookback_scan_determinismE0ELb0ES3_N6thrust23THRUST_200600_302600_NS6detail15normal_iteratorINS9_10device_ptrIiEEEENSB_INSC_IdEEEESG_dNS9_4plusIvEENS9_8equal_toIvEEdEE10hipError_tPvRmT2_T3_T4_T5_mT6_T7_P12ihipStream_tbENKUlT_T0_E_clISt17integral_constantIbLb1EES10_IbLb0EEEEDaSW_SX_EUlSW_E_NS1_11comp_targetILNS1_3genE10ELNS1_11target_archE1201ELNS1_3gpuE5ELNS1_3repE0EEENS1_30default_config_static_selectorELNS0_4arch9wavefront6targetE0EEEvT1_
	.p2align	8
	.type	_ZN7rocprim17ROCPRIM_400000_NS6detail17trampoline_kernelINS0_14default_configENS1_27scan_by_key_config_selectorIidEEZZNS1_16scan_by_key_implILNS1_25lookback_scan_determinismE0ELb0ES3_N6thrust23THRUST_200600_302600_NS6detail15normal_iteratorINS9_10device_ptrIiEEEENSB_INSC_IdEEEESG_dNS9_4plusIvEENS9_8equal_toIvEEdEE10hipError_tPvRmT2_T3_T4_T5_mT6_T7_P12ihipStream_tbENKUlT_T0_E_clISt17integral_constantIbLb1EES10_IbLb0EEEEDaSW_SX_EUlSW_E_NS1_11comp_targetILNS1_3genE10ELNS1_11target_archE1201ELNS1_3gpuE5ELNS1_3repE0EEENS1_30default_config_static_selectorELNS0_4arch9wavefront6targetE0EEEvT1_,@function
_ZN7rocprim17ROCPRIM_400000_NS6detail17trampoline_kernelINS0_14default_configENS1_27scan_by_key_config_selectorIidEEZZNS1_16scan_by_key_implILNS1_25lookback_scan_determinismE0ELb0ES3_N6thrust23THRUST_200600_302600_NS6detail15normal_iteratorINS9_10device_ptrIiEEEENSB_INSC_IdEEEESG_dNS9_4plusIvEENS9_8equal_toIvEEdEE10hipError_tPvRmT2_T3_T4_T5_mT6_T7_P12ihipStream_tbENKUlT_T0_E_clISt17integral_constantIbLb1EES10_IbLb0EEEEDaSW_SX_EUlSW_E_NS1_11comp_targetILNS1_3genE10ELNS1_11target_archE1201ELNS1_3gpuE5ELNS1_3repE0EEENS1_30default_config_static_selectorELNS0_4arch9wavefront6targetE0EEEvT1_: ; @_ZN7rocprim17ROCPRIM_400000_NS6detail17trampoline_kernelINS0_14default_configENS1_27scan_by_key_config_selectorIidEEZZNS1_16scan_by_key_implILNS1_25lookback_scan_determinismE0ELb0ES3_N6thrust23THRUST_200600_302600_NS6detail15normal_iteratorINS9_10device_ptrIiEEEENSB_INSC_IdEEEESG_dNS9_4plusIvEENS9_8equal_toIvEEdEE10hipError_tPvRmT2_T3_T4_T5_mT6_T7_P12ihipStream_tbENKUlT_T0_E_clISt17integral_constantIbLb1EES10_IbLb0EEEEDaSW_SX_EUlSW_E_NS1_11comp_targetILNS1_3genE10ELNS1_11target_archE1201ELNS1_3gpuE5ELNS1_3repE0EEENS1_30default_config_static_selectorELNS0_4arch9wavefront6targetE0EEEvT1_
; %bb.0:
	.section	.rodata,"a",@progbits
	.p2align	6, 0x0
	.amdhsa_kernel _ZN7rocprim17ROCPRIM_400000_NS6detail17trampoline_kernelINS0_14default_configENS1_27scan_by_key_config_selectorIidEEZZNS1_16scan_by_key_implILNS1_25lookback_scan_determinismE0ELb0ES3_N6thrust23THRUST_200600_302600_NS6detail15normal_iteratorINS9_10device_ptrIiEEEENSB_INSC_IdEEEESG_dNS9_4plusIvEENS9_8equal_toIvEEdEE10hipError_tPvRmT2_T3_T4_T5_mT6_T7_P12ihipStream_tbENKUlT_T0_E_clISt17integral_constantIbLb1EES10_IbLb0EEEEDaSW_SX_EUlSW_E_NS1_11comp_targetILNS1_3genE10ELNS1_11target_archE1201ELNS1_3gpuE5ELNS1_3repE0EEENS1_30default_config_static_selectorELNS0_4arch9wavefront6targetE0EEEvT1_
		.amdhsa_group_segment_fixed_size 0
		.amdhsa_private_segment_fixed_size 0
		.amdhsa_kernarg_size 136
		.amdhsa_user_sgpr_count 2
		.amdhsa_user_sgpr_dispatch_ptr 0
		.amdhsa_user_sgpr_queue_ptr 0
		.amdhsa_user_sgpr_kernarg_segment_ptr 1
		.amdhsa_user_sgpr_dispatch_id 0
		.amdhsa_user_sgpr_kernarg_preload_length 0
		.amdhsa_user_sgpr_kernarg_preload_offset 0
		.amdhsa_user_sgpr_private_segment_size 0
		.amdhsa_wavefront_size32 1
		.amdhsa_uses_dynamic_stack 0
		.amdhsa_enable_private_segment 0
		.amdhsa_system_sgpr_workgroup_id_x 1
		.amdhsa_system_sgpr_workgroup_id_y 0
		.amdhsa_system_sgpr_workgroup_id_z 0
		.amdhsa_system_sgpr_workgroup_info 0
		.amdhsa_system_vgpr_workitem_id 0
		.amdhsa_next_free_vgpr 1
		.amdhsa_next_free_sgpr 1
		.amdhsa_named_barrier_count 0
		.amdhsa_reserve_vcc 0
		.amdhsa_float_round_mode_32 0
		.amdhsa_float_round_mode_16_64 0
		.amdhsa_float_denorm_mode_32 3
		.amdhsa_float_denorm_mode_16_64 3
		.amdhsa_fp16_overflow 0
		.amdhsa_memory_ordered 1
		.amdhsa_forward_progress 1
		.amdhsa_inst_pref_size 0
		.amdhsa_round_robin_scheduling 0
		.amdhsa_exception_fp_ieee_invalid_op 0
		.amdhsa_exception_fp_denorm_src 0
		.amdhsa_exception_fp_ieee_div_zero 0
		.amdhsa_exception_fp_ieee_overflow 0
		.amdhsa_exception_fp_ieee_underflow 0
		.amdhsa_exception_fp_ieee_inexact 0
		.amdhsa_exception_int_div_zero 0
	.end_amdhsa_kernel
	.section	.text._ZN7rocprim17ROCPRIM_400000_NS6detail17trampoline_kernelINS0_14default_configENS1_27scan_by_key_config_selectorIidEEZZNS1_16scan_by_key_implILNS1_25lookback_scan_determinismE0ELb0ES3_N6thrust23THRUST_200600_302600_NS6detail15normal_iteratorINS9_10device_ptrIiEEEENSB_INSC_IdEEEESG_dNS9_4plusIvEENS9_8equal_toIvEEdEE10hipError_tPvRmT2_T3_T4_T5_mT6_T7_P12ihipStream_tbENKUlT_T0_E_clISt17integral_constantIbLb1EES10_IbLb0EEEEDaSW_SX_EUlSW_E_NS1_11comp_targetILNS1_3genE10ELNS1_11target_archE1201ELNS1_3gpuE5ELNS1_3repE0EEENS1_30default_config_static_selectorELNS0_4arch9wavefront6targetE0EEEvT1_,"axG",@progbits,_ZN7rocprim17ROCPRIM_400000_NS6detail17trampoline_kernelINS0_14default_configENS1_27scan_by_key_config_selectorIidEEZZNS1_16scan_by_key_implILNS1_25lookback_scan_determinismE0ELb0ES3_N6thrust23THRUST_200600_302600_NS6detail15normal_iteratorINS9_10device_ptrIiEEEENSB_INSC_IdEEEESG_dNS9_4plusIvEENS9_8equal_toIvEEdEE10hipError_tPvRmT2_T3_T4_T5_mT6_T7_P12ihipStream_tbENKUlT_T0_E_clISt17integral_constantIbLb1EES10_IbLb0EEEEDaSW_SX_EUlSW_E_NS1_11comp_targetILNS1_3genE10ELNS1_11target_archE1201ELNS1_3gpuE5ELNS1_3repE0EEENS1_30default_config_static_selectorELNS0_4arch9wavefront6targetE0EEEvT1_,comdat
.Lfunc_end1108:
	.size	_ZN7rocprim17ROCPRIM_400000_NS6detail17trampoline_kernelINS0_14default_configENS1_27scan_by_key_config_selectorIidEEZZNS1_16scan_by_key_implILNS1_25lookback_scan_determinismE0ELb0ES3_N6thrust23THRUST_200600_302600_NS6detail15normal_iteratorINS9_10device_ptrIiEEEENSB_INSC_IdEEEESG_dNS9_4plusIvEENS9_8equal_toIvEEdEE10hipError_tPvRmT2_T3_T4_T5_mT6_T7_P12ihipStream_tbENKUlT_T0_E_clISt17integral_constantIbLb1EES10_IbLb0EEEEDaSW_SX_EUlSW_E_NS1_11comp_targetILNS1_3genE10ELNS1_11target_archE1201ELNS1_3gpuE5ELNS1_3repE0EEENS1_30default_config_static_selectorELNS0_4arch9wavefront6targetE0EEEvT1_, .Lfunc_end1108-_ZN7rocprim17ROCPRIM_400000_NS6detail17trampoline_kernelINS0_14default_configENS1_27scan_by_key_config_selectorIidEEZZNS1_16scan_by_key_implILNS1_25lookback_scan_determinismE0ELb0ES3_N6thrust23THRUST_200600_302600_NS6detail15normal_iteratorINS9_10device_ptrIiEEEENSB_INSC_IdEEEESG_dNS9_4plusIvEENS9_8equal_toIvEEdEE10hipError_tPvRmT2_T3_T4_T5_mT6_T7_P12ihipStream_tbENKUlT_T0_E_clISt17integral_constantIbLb1EES10_IbLb0EEEEDaSW_SX_EUlSW_E_NS1_11comp_targetILNS1_3genE10ELNS1_11target_archE1201ELNS1_3gpuE5ELNS1_3repE0EEENS1_30default_config_static_selectorELNS0_4arch9wavefront6targetE0EEEvT1_
                                        ; -- End function
	.set _ZN7rocprim17ROCPRIM_400000_NS6detail17trampoline_kernelINS0_14default_configENS1_27scan_by_key_config_selectorIidEEZZNS1_16scan_by_key_implILNS1_25lookback_scan_determinismE0ELb0ES3_N6thrust23THRUST_200600_302600_NS6detail15normal_iteratorINS9_10device_ptrIiEEEENSB_INSC_IdEEEESG_dNS9_4plusIvEENS9_8equal_toIvEEdEE10hipError_tPvRmT2_T3_T4_T5_mT6_T7_P12ihipStream_tbENKUlT_T0_E_clISt17integral_constantIbLb1EES10_IbLb0EEEEDaSW_SX_EUlSW_E_NS1_11comp_targetILNS1_3genE10ELNS1_11target_archE1201ELNS1_3gpuE5ELNS1_3repE0EEENS1_30default_config_static_selectorELNS0_4arch9wavefront6targetE0EEEvT1_.num_vgpr, 0
	.set _ZN7rocprim17ROCPRIM_400000_NS6detail17trampoline_kernelINS0_14default_configENS1_27scan_by_key_config_selectorIidEEZZNS1_16scan_by_key_implILNS1_25lookback_scan_determinismE0ELb0ES3_N6thrust23THRUST_200600_302600_NS6detail15normal_iteratorINS9_10device_ptrIiEEEENSB_INSC_IdEEEESG_dNS9_4plusIvEENS9_8equal_toIvEEdEE10hipError_tPvRmT2_T3_T4_T5_mT6_T7_P12ihipStream_tbENKUlT_T0_E_clISt17integral_constantIbLb1EES10_IbLb0EEEEDaSW_SX_EUlSW_E_NS1_11comp_targetILNS1_3genE10ELNS1_11target_archE1201ELNS1_3gpuE5ELNS1_3repE0EEENS1_30default_config_static_selectorELNS0_4arch9wavefront6targetE0EEEvT1_.num_agpr, 0
	.set _ZN7rocprim17ROCPRIM_400000_NS6detail17trampoline_kernelINS0_14default_configENS1_27scan_by_key_config_selectorIidEEZZNS1_16scan_by_key_implILNS1_25lookback_scan_determinismE0ELb0ES3_N6thrust23THRUST_200600_302600_NS6detail15normal_iteratorINS9_10device_ptrIiEEEENSB_INSC_IdEEEESG_dNS9_4plusIvEENS9_8equal_toIvEEdEE10hipError_tPvRmT2_T3_T4_T5_mT6_T7_P12ihipStream_tbENKUlT_T0_E_clISt17integral_constantIbLb1EES10_IbLb0EEEEDaSW_SX_EUlSW_E_NS1_11comp_targetILNS1_3genE10ELNS1_11target_archE1201ELNS1_3gpuE5ELNS1_3repE0EEENS1_30default_config_static_selectorELNS0_4arch9wavefront6targetE0EEEvT1_.numbered_sgpr, 0
	.set _ZN7rocprim17ROCPRIM_400000_NS6detail17trampoline_kernelINS0_14default_configENS1_27scan_by_key_config_selectorIidEEZZNS1_16scan_by_key_implILNS1_25lookback_scan_determinismE0ELb0ES3_N6thrust23THRUST_200600_302600_NS6detail15normal_iteratorINS9_10device_ptrIiEEEENSB_INSC_IdEEEESG_dNS9_4plusIvEENS9_8equal_toIvEEdEE10hipError_tPvRmT2_T3_T4_T5_mT6_T7_P12ihipStream_tbENKUlT_T0_E_clISt17integral_constantIbLb1EES10_IbLb0EEEEDaSW_SX_EUlSW_E_NS1_11comp_targetILNS1_3genE10ELNS1_11target_archE1201ELNS1_3gpuE5ELNS1_3repE0EEENS1_30default_config_static_selectorELNS0_4arch9wavefront6targetE0EEEvT1_.num_named_barrier, 0
	.set _ZN7rocprim17ROCPRIM_400000_NS6detail17trampoline_kernelINS0_14default_configENS1_27scan_by_key_config_selectorIidEEZZNS1_16scan_by_key_implILNS1_25lookback_scan_determinismE0ELb0ES3_N6thrust23THRUST_200600_302600_NS6detail15normal_iteratorINS9_10device_ptrIiEEEENSB_INSC_IdEEEESG_dNS9_4plusIvEENS9_8equal_toIvEEdEE10hipError_tPvRmT2_T3_T4_T5_mT6_T7_P12ihipStream_tbENKUlT_T0_E_clISt17integral_constantIbLb1EES10_IbLb0EEEEDaSW_SX_EUlSW_E_NS1_11comp_targetILNS1_3genE10ELNS1_11target_archE1201ELNS1_3gpuE5ELNS1_3repE0EEENS1_30default_config_static_selectorELNS0_4arch9wavefront6targetE0EEEvT1_.private_seg_size, 0
	.set _ZN7rocprim17ROCPRIM_400000_NS6detail17trampoline_kernelINS0_14default_configENS1_27scan_by_key_config_selectorIidEEZZNS1_16scan_by_key_implILNS1_25lookback_scan_determinismE0ELb0ES3_N6thrust23THRUST_200600_302600_NS6detail15normal_iteratorINS9_10device_ptrIiEEEENSB_INSC_IdEEEESG_dNS9_4plusIvEENS9_8equal_toIvEEdEE10hipError_tPvRmT2_T3_T4_T5_mT6_T7_P12ihipStream_tbENKUlT_T0_E_clISt17integral_constantIbLb1EES10_IbLb0EEEEDaSW_SX_EUlSW_E_NS1_11comp_targetILNS1_3genE10ELNS1_11target_archE1201ELNS1_3gpuE5ELNS1_3repE0EEENS1_30default_config_static_selectorELNS0_4arch9wavefront6targetE0EEEvT1_.uses_vcc, 0
	.set _ZN7rocprim17ROCPRIM_400000_NS6detail17trampoline_kernelINS0_14default_configENS1_27scan_by_key_config_selectorIidEEZZNS1_16scan_by_key_implILNS1_25lookback_scan_determinismE0ELb0ES3_N6thrust23THRUST_200600_302600_NS6detail15normal_iteratorINS9_10device_ptrIiEEEENSB_INSC_IdEEEESG_dNS9_4plusIvEENS9_8equal_toIvEEdEE10hipError_tPvRmT2_T3_T4_T5_mT6_T7_P12ihipStream_tbENKUlT_T0_E_clISt17integral_constantIbLb1EES10_IbLb0EEEEDaSW_SX_EUlSW_E_NS1_11comp_targetILNS1_3genE10ELNS1_11target_archE1201ELNS1_3gpuE5ELNS1_3repE0EEENS1_30default_config_static_selectorELNS0_4arch9wavefront6targetE0EEEvT1_.uses_flat_scratch, 0
	.set _ZN7rocprim17ROCPRIM_400000_NS6detail17trampoline_kernelINS0_14default_configENS1_27scan_by_key_config_selectorIidEEZZNS1_16scan_by_key_implILNS1_25lookback_scan_determinismE0ELb0ES3_N6thrust23THRUST_200600_302600_NS6detail15normal_iteratorINS9_10device_ptrIiEEEENSB_INSC_IdEEEESG_dNS9_4plusIvEENS9_8equal_toIvEEdEE10hipError_tPvRmT2_T3_T4_T5_mT6_T7_P12ihipStream_tbENKUlT_T0_E_clISt17integral_constantIbLb1EES10_IbLb0EEEEDaSW_SX_EUlSW_E_NS1_11comp_targetILNS1_3genE10ELNS1_11target_archE1201ELNS1_3gpuE5ELNS1_3repE0EEENS1_30default_config_static_selectorELNS0_4arch9wavefront6targetE0EEEvT1_.has_dyn_sized_stack, 0
	.set _ZN7rocprim17ROCPRIM_400000_NS6detail17trampoline_kernelINS0_14default_configENS1_27scan_by_key_config_selectorIidEEZZNS1_16scan_by_key_implILNS1_25lookback_scan_determinismE0ELb0ES3_N6thrust23THRUST_200600_302600_NS6detail15normal_iteratorINS9_10device_ptrIiEEEENSB_INSC_IdEEEESG_dNS9_4plusIvEENS9_8equal_toIvEEdEE10hipError_tPvRmT2_T3_T4_T5_mT6_T7_P12ihipStream_tbENKUlT_T0_E_clISt17integral_constantIbLb1EES10_IbLb0EEEEDaSW_SX_EUlSW_E_NS1_11comp_targetILNS1_3genE10ELNS1_11target_archE1201ELNS1_3gpuE5ELNS1_3repE0EEENS1_30default_config_static_selectorELNS0_4arch9wavefront6targetE0EEEvT1_.has_recursion, 0
	.set _ZN7rocprim17ROCPRIM_400000_NS6detail17trampoline_kernelINS0_14default_configENS1_27scan_by_key_config_selectorIidEEZZNS1_16scan_by_key_implILNS1_25lookback_scan_determinismE0ELb0ES3_N6thrust23THRUST_200600_302600_NS6detail15normal_iteratorINS9_10device_ptrIiEEEENSB_INSC_IdEEEESG_dNS9_4plusIvEENS9_8equal_toIvEEdEE10hipError_tPvRmT2_T3_T4_T5_mT6_T7_P12ihipStream_tbENKUlT_T0_E_clISt17integral_constantIbLb1EES10_IbLb0EEEEDaSW_SX_EUlSW_E_NS1_11comp_targetILNS1_3genE10ELNS1_11target_archE1201ELNS1_3gpuE5ELNS1_3repE0EEENS1_30default_config_static_selectorELNS0_4arch9wavefront6targetE0EEEvT1_.has_indirect_call, 0
	.section	.AMDGPU.csdata,"",@progbits
; Kernel info:
; codeLenInByte = 0
; TotalNumSgprs: 0
; NumVgprs: 0
; ScratchSize: 0
; MemoryBound: 0
; FloatMode: 240
; IeeeMode: 1
; LDSByteSize: 0 bytes/workgroup (compile time only)
; SGPRBlocks: 0
; VGPRBlocks: 0
; NumSGPRsForWavesPerEU: 1
; NumVGPRsForWavesPerEU: 1
; NamedBarCnt: 0
; Occupancy: 16
; WaveLimiterHint : 0
; COMPUTE_PGM_RSRC2:SCRATCH_EN: 0
; COMPUTE_PGM_RSRC2:USER_SGPR: 2
; COMPUTE_PGM_RSRC2:TRAP_HANDLER: 0
; COMPUTE_PGM_RSRC2:TGID_X_EN: 1
; COMPUTE_PGM_RSRC2:TGID_Y_EN: 0
; COMPUTE_PGM_RSRC2:TGID_Z_EN: 0
; COMPUTE_PGM_RSRC2:TIDIG_COMP_CNT: 0
	.section	.text._ZN7rocprim17ROCPRIM_400000_NS6detail17trampoline_kernelINS0_14default_configENS1_27scan_by_key_config_selectorIidEEZZNS1_16scan_by_key_implILNS1_25lookback_scan_determinismE0ELb0ES3_N6thrust23THRUST_200600_302600_NS6detail15normal_iteratorINS9_10device_ptrIiEEEENSB_INSC_IdEEEESG_dNS9_4plusIvEENS9_8equal_toIvEEdEE10hipError_tPvRmT2_T3_T4_T5_mT6_T7_P12ihipStream_tbENKUlT_T0_E_clISt17integral_constantIbLb1EES10_IbLb0EEEEDaSW_SX_EUlSW_E_NS1_11comp_targetILNS1_3genE5ELNS1_11target_archE942ELNS1_3gpuE9ELNS1_3repE0EEENS1_30default_config_static_selectorELNS0_4arch9wavefront6targetE0EEEvT1_,"axG",@progbits,_ZN7rocprim17ROCPRIM_400000_NS6detail17trampoline_kernelINS0_14default_configENS1_27scan_by_key_config_selectorIidEEZZNS1_16scan_by_key_implILNS1_25lookback_scan_determinismE0ELb0ES3_N6thrust23THRUST_200600_302600_NS6detail15normal_iteratorINS9_10device_ptrIiEEEENSB_INSC_IdEEEESG_dNS9_4plusIvEENS9_8equal_toIvEEdEE10hipError_tPvRmT2_T3_T4_T5_mT6_T7_P12ihipStream_tbENKUlT_T0_E_clISt17integral_constantIbLb1EES10_IbLb0EEEEDaSW_SX_EUlSW_E_NS1_11comp_targetILNS1_3genE5ELNS1_11target_archE942ELNS1_3gpuE9ELNS1_3repE0EEENS1_30default_config_static_selectorELNS0_4arch9wavefront6targetE0EEEvT1_,comdat
	.protected	_ZN7rocprim17ROCPRIM_400000_NS6detail17trampoline_kernelINS0_14default_configENS1_27scan_by_key_config_selectorIidEEZZNS1_16scan_by_key_implILNS1_25lookback_scan_determinismE0ELb0ES3_N6thrust23THRUST_200600_302600_NS6detail15normal_iteratorINS9_10device_ptrIiEEEENSB_INSC_IdEEEESG_dNS9_4plusIvEENS9_8equal_toIvEEdEE10hipError_tPvRmT2_T3_T4_T5_mT6_T7_P12ihipStream_tbENKUlT_T0_E_clISt17integral_constantIbLb1EES10_IbLb0EEEEDaSW_SX_EUlSW_E_NS1_11comp_targetILNS1_3genE5ELNS1_11target_archE942ELNS1_3gpuE9ELNS1_3repE0EEENS1_30default_config_static_selectorELNS0_4arch9wavefront6targetE0EEEvT1_ ; -- Begin function _ZN7rocprim17ROCPRIM_400000_NS6detail17trampoline_kernelINS0_14default_configENS1_27scan_by_key_config_selectorIidEEZZNS1_16scan_by_key_implILNS1_25lookback_scan_determinismE0ELb0ES3_N6thrust23THRUST_200600_302600_NS6detail15normal_iteratorINS9_10device_ptrIiEEEENSB_INSC_IdEEEESG_dNS9_4plusIvEENS9_8equal_toIvEEdEE10hipError_tPvRmT2_T3_T4_T5_mT6_T7_P12ihipStream_tbENKUlT_T0_E_clISt17integral_constantIbLb1EES10_IbLb0EEEEDaSW_SX_EUlSW_E_NS1_11comp_targetILNS1_3genE5ELNS1_11target_archE942ELNS1_3gpuE9ELNS1_3repE0EEENS1_30default_config_static_selectorELNS0_4arch9wavefront6targetE0EEEvT1_
	.globl	_ZN7rocprim17ROCPRIM_400000_NS6detail17trampoline_kernelINS0_14default_configENS1_27scan_by_key_config_selectorIidEEZZNS1_16scan_by_key_implILNS1_25lookback_scan_determinismE0ELb0ES3_N6thrust23THRUST_200600_302600_NS6detail15normal_iteratorINS9_10device_ptrIiEEEENSB_INSC_IdEEEESG_dNS9_4plusIvEENS9_8equal_toIvEEdEE10hipError_tPvRmT2_T3_T4_T5_mT6_T7_P12ihipStream_tbENKUlT_T0_E_clISt17integral_constantIbLb1EES10_IbLb0EEEEDaSW_SX_EUlSW_E_NS1_11comp_targetILNS1_3genE5ELNS1_11target_archE942ELNS1_3gpuE9ELNS1_3repE0EEENS1_30default_config_static_selectorELNS0_4arch9wavefront6targetE0EEEvT1_
	.p2align	8
	.type	_ZN7rocprim17ROCPRIM_400000_NS6detail17trampoline_kernelINS0_14default_configENS1_27scan_by_key_config_selectorIidEEZZNS1_16scan_by_key_implILNS1_25lookback_scan_determinismE0ELb0ES3_N6thrust23THRUST_200600_302600_NS6detail15normal_iteratorINS9_10device_ptrIiEEEENSB_INSC_IdEEEESG_dNS9_4plusIvEENS9_8equal_toIvEEdEE10hipError_tPvRmT2_T3_T4_T5_mT6_T7_P12ihipStream_tbENKUlT_T0_E_clISt17integral_constantIbLb1EES10_IbLb0EEEEDaSW_SX_EUlSW_E_NS1_11comp_targetILNS1_3genE5ELNS1_11target_archE942ELNS1_3gpuE9ELNS1_3repE0EEENS1_30default_config_static_selectorELNS0_4arch9wavefront6targetE0EEEvT1_,@function
_ZN7rocprim17ROCPRIM_400000_NS6detail17trampoline_kernelINS0_14default_configENS1_27scan_by_key_config_selectorIidEEZZNS1_16scan_by_key_implILNS1_25lookback_scan_determinismE0ELb0ES3_N6thrust23THRUST_200600_302600_NS6detail15normal_iteratorINS9_10device_ptrIiEEEENSB_INSC_IdEEEESG_dNS9_4plusIvEENS9_8equal_toIvEEdEE10hipError_tPvRmT2_T3_T4_T5_mT6_T7_P12ihipStream_tbENKUlT_T0_E_clISt17integral_constantIbLb1EES10_IbLb0EEEEDaSW_SX_EUlSW_E_NS1_11comp_targetILNS1_3genE5ELNS1_11target_archE942ELNS1_3gpuE9ELNS1_3repE0EEENS1_30default_config_static_selectorELNS0_4arch9wavefront6targetE0EEEvT1_: ; @_ZN7rocprim17ROCPRIM_400000_NS6detail17trampoline_kernelINS0_14default_configENS1_27scan_by_key_config_selectorIidEEZZNS1_16scan_by_key_implILNS1_25lookback_scan_determinismE0ELb0ES3_N6thrust23THRUST_200600_302600_NS6detail15normal_iteratorINS9_10device_ptrIiEEEENSB_INSC_IdEEEESG_dNS9_4plusIvEENS9_8equal_toIvEEdEE10hipError_tPvRmT2_T3_T4_T5_mT6_T7_P12ihipStream_tbENKUlT_T0_E_clISt17integral_constantIbLb1EES10_IbLb0EEEEDaSW_SX_EUlSW_E_NS1_11comp_targetILNS1_3genE5ELNS1_11target_archE942ELNS1_3gpuE9ELNS1_3repE0EEENS1_30default_config_static_selectorELNS0_4arch9wavefront6targetE0EEEvT1_
; %bb.0:
	.section	.rodata,"a",@progbits
	.p2align	6, 0x0
	.amdhsa_kernel _ZN7rocprim17ROCPRIM_400000_NS6detail17trampoline_kernelINS0_14default_configENS1_27scan_by_key_config_selectorIidEEZZNS1_16scan_by_key_implILNS1_25lookback_scan_determinismE0ELb0ES3_N6thrust23THRUST_200600_302600_NS6detail15normal_iteratorINS9_10device_ptrIiEEEENSB_INSC_IdEEEESG_dNS9_4plusIvEENS9_8equal_toIvEEdEE10hipError_tPvRmT2_T3_T4_T5_mT6_T7_P12ihipStream_tbENKUlT_T0_E_clISt17integral_constantIbLb1EES10_IbLb0EEEEDaSW_SX_EUlSW_E_NS1_11comp_targetILNS1_3genE5ELNS1_11target_archE942ELNS1_3gpuE9ELNS1_3repE0EEENS1_30default_config_static_selectorELNS0_4arch9wavefront6targetE0EEEvT1_
		.amdhsa_group_segment_fixed_size 0
		.amdhsa_private_segment_fixed_size 0
		.amdhsa_kernarg_size 136
		.amdhsa_user_sgpr_count 2
		.amdhsa_user_sgpr_dispatch_ptr 0
		.amdhsa_user_sgpr_queue_ptr 0
		.amdhsa_user_sgpr_kernarg_segment_ptr 1
		.amdhsa_user_sgpr_dispatch_id 0
		.amdhsa_user_sgpr_kernarg_preload_length 0
		.amdhsa_user_sgpr_kernarg_preload_offset 0
		.amdhsa_user_sgpr_private_segment_size 0
		.amdhsa_wavefront_size32 1
		.amdhsa_uses_dynamic_stack 0
		.amdhsa_enable_private_segment 0
		.amdhsa_system_sgpr_workgroup_id_x 1
		.amdhsa_system_sgpr_workgroup_id_y 0
		.amdhsa_system_sgpr_workgroup_id_z 0
		.amdhsa_system_sgpr_workgroup_info 0
		.amdhsa_system_vgpr_workitem_id 0
		.amdhsa_next_free_vgpr 1
		.amdhsa_next_free_sgpr 1
		.amdhsa_named_barrier_count 0
		.amdhsa_reserve_vcc 0
		.amdhsa_float_round_mode_32 0
		.amdhsa_float_round_mode_16_64 0
		.amdhsa_float_denorm_mode_32 3
		.amdhsa_float_denorm_mode_16_64 3
		.amdhsa_fp16_overflow 0
		.amdhsa_memory_ordered 1
		.amdhsa_forward_progress 1
		.amdhsa_inst_pref_size 0
		.amdhsa_round_robin_scheduling 0
		.amdhsa_exception_fp_ieee_invalid_op 0
		.amdhsa_exception_fp_denorm_src 0
		.amdhsa_exception_fp_ieee_div_zero 0
		.amdhsa_exception_fp_ieee_overflow 0
		.amdhsa_exception_fp_ieee_underflow 0
		.amdhsa_exception_fp_ieee_inexact 0
		.amdhsa_exception_int_div_zero 0
	.end_amdhsa_kernel
	.section	.text._ZN7rocprim17ROCPRIM_400000_NS6detail17trampoline_kernelINS0_14default_configENS1_27scan_by_key_config_selectorIidEEZZNS1_16scan_by_key_implILNS1_25lookback_scan_determinismE0ELb0ES3_N6thrust23THRUST_200600_302600_NS6detail15normal_iteratorINS9_10device_ptrIiEEEENSB_INSC_IdEEEESG_dNS9_4plusIvEENS9_8equal_toIvEEdEE10hipError_tPvRmT2_T3_T4_T5_mT6_T7_P12ihipStream_tbENKUlT_T0_E_clISt17integral_constantIbLb1EES10_IbLb0EEEEDaSW_SX_EUlSW_E_NS1_11comp_targetILNS1_3genE5ELNS1_11target_archE942ELNS1_3gpuE9ELNS1_3repE0EEENS1_30default_config_static_selectorELNS0_4arch9wavefront6targetE0EEEvT1_,"axG",@progbits,_ZN7rocprim17ROCPRIM_400000_NS6detail17trampoline_kernelINS0_14default_configENS1_27scan_by_key_config_selectorIidEEZZNS1_16scan_by_key_implILNS1_25lookback_scan_determinismE0ELb0ES3_N6thrust23THRUST_200600_302600_NS6detail15normal_iteratorINS9_10device_ptrIiEEEENSB_INSC_IdEEEESG_dNS9_4plusIvEENS9_8equal_toIvEEdEE10hipError_tPvRmT2_T3_T4_T5_mT6_T7_P12ihipStream_tbENKUlT_T0_E_clISt17integral_constantIbLb1EES10_IbLb0EEEEDaSW_SX_EUlSW_E_NS1_11comp_targetILNS1_3genE5ELNS1_11target_archE942ELNS1_3gpuE9ELNS1_3repE0EEENS1_30default_config_static_selectorELNS0_4arch9wavefront6targetE0EEEvT1_,comdat
.Lfunc_end1109:
	.size	_ZN7rocprim17ROCPRIM_400000_NS6detail17trampoline_kernelINS0_14default_configENS1_27scan_by_key_config_selectorIidEEZZNS1_16scan_by_key_implILNS1_25lookback_scan_determinismE0ELb0ES3_N6thrust23THRUST_200600_302600_NS6detail15normal_iteratorINS9_10device_ptrIiEEEENSB_INSC_IdEEEESG_dNS9_4plusIvEENS9_8equal_toIvEEdEE10hipError_tPvRmT2_T3_T4_T5_mT6_T7_P12ihipStream_tbENKUlT_T0_E_clISt17integral_constantIbLb1EES10_IbLb0EEEEDaSW_SX_EUlSW_E_NS1_11comp_targetILNS1_3genE5ELNS1_11target_archE942ELNS1_3gpuE9ELNS1_3repE0EEENS1_30default_config_static_selectorELNS0_4arch9wavefront6targetE0EEEvT1_, .Lfunc_end1109-_ZN7rocprim17ROCPRIM_400000_NS6detail17trampoline_kernelINS0_14default_configENS1_27scan_by_key_config_selectorIidEEZZNS1_16scan_by_key_implILNS1_25lookback_scan_determinismE0ELb0ES3_N6thrust23THRUST_200600_302600_NS6detail15normal_iteratorINS9_10device_ptrIiEEEENSB_INSC_IdEEEESG_dNS9_4plusIvEENS9_8equal_toIvEEdEE10hipError_tPvRmT2_T3_T4_T5_mT6_T7_P12ihipStream_tbENKUlT_T0_E_clISt17integral_constantIbLb1EES10_IbLb0EEEEDaSW_SX_EUlSW_E_NS1_11comp_targetILNS1_3genE5ELNS1_11target_archE942ELNS1_3gpuE9ELNS1_3repE0EEENS1_30default_config_static_selectorELNS0_4arch9wavefront6targetE0EEEvT1_
                                        ; -- End function
	.set _ZN7rocprim17ROCPRIM_400000_NS6detail17trampoline_kernelINS0_14default_configENS1_27scan_by_key_config_selectorIidEEZZNS1_16scan_by_key_implILNS1_25lookback_scan_determinismE0ELb0ES3_N6thrust23THRUST_200600_302600_NS6detail15normal_iteratorINS9_10device_ptrIiEEEENSB_INSC_IdEEEESG_dNS9_4plusIvEENS9_8equal_toIvEEdEE10hipError_tPvRmT2_T3_T4_T5_mT6_T7_P12ihipStream_tbENKUlT_T0_E_clISt17integral_constantIbLb1EES10_IbLb0EEEEDaSW_SX_EUlSW_E_NS1_11comp_targetILNS1_3genE5ELNS1_11target_archE942ELNS1_3gpuE9ELNS1_3repE0EEENS1_30default_config_static_selectorELNS0_4arch9wavefront6targetE0EEEvT1_.num_vgpr, 0
	.set _ZN7rocprim17ROCPRIM_400000_NS6detail17trampoline_kernelINS0_14default_configENS1_27scan_by_key_config_selectorIidEEZZNS1_16scan_by_key_implILNS1_25lookback_scan_determinismE0ELb0ES3_N6thrust23THRUST_200600_302600_NS6detail15normal_iteratorINS9_10device_ptrIiEEEENSB_INSC_IdEEEESG_dNS9_4plusIvEENS9_8equal_toIvEEdEE10hipError_tPvRmT2_T3_T4_T5_mT6_T7_P12ihipStream_tbENKUlT_T0_E_clISt17integral_constantIbLb1EES10_IbLb0EEEEDaSW_SX_EUlSW_E_NS1_11comp_targetILNS1_3genE5ELNS1_11target_archE942ELNS1_3gpuE9ELNS1_3repE0EEENS1_30default_config_static_selectorELNS0_4arch9wavefront6targetE0EEEvT1_.num_agpr, 0
	.set _ZN7rocprim17ROCPRIM_400000_NS6detail17trampoline_kernelINS0_14default_configENS1_27scan_by_key_config_selectorIidEEZZNS1_16scan_by_key_implILNS1_25lookback_scan_determinismE0ELb0ES3_N6thrust23THRUST_200600_302600_NS6detail15normal_iteratorINS9_10device_ptrIiEEEENSB_INSC_IdEEEESG_dNS9_4plusIvEENS9_8equal_toIvEEdEE10hipError_tPvRmT2_T3_T4_T5_mT6_T7_P12ihipStream_tbENKUlT_T0_E_clISt17integral_constantIbLb1EES10_IbLb0EEEEDaSW_SX_EUlSW_E_NS1_11comp_targetILNS1_3genE5ELNS1_11target_archE942ELNS1_3gpuE9ELNS1_3repE0EEENS1_30default_config_static_selectorELNS0_4arch9wavefront6targetE0EEEvT1_.numbered_sgpr, 0
	.set _ZN7rocprim17ROCPRIM_400000_NS6detail17trampoline_kernelINS0_14default_configENS1_27scan_by_key_config_selectorIidEEZZNS1_16scan_by_key_implILNS1_25lookback_scan_determinismE0ELb0ES3_N6thrust23THRUST_200600_302600_NS6detail15normal_iteratorINS9_10device_ptrIiEEEENSB_INSC_IdEEEESG_dNS9_4plusIvEENS9_8equal_toIvEEdEE10hipError_tPvRmT2_T3_T4_T5_mT6_T7_P12ihipStream_tbENKUlT_T0_E_clISt17integral_constantIbLb1EES10_IbLb0EEEEDaSW_SX_EUlSW_E_NS1_11comp_targetILNS1_3genE5ELNS1_11target_archE942ELNS1_3gpuE9ELNS1_3repE0EEENS1_30default_config_static_selectorELNS0_4arch9wavefront6targetE0EEEvT1_.num_named_barrier, 0
	.set _ZN7rocprim17ROCPRIM_400000_NS6detail17trampoline_kernelINS0_14default_configENS1_27scan_by_key_config_selectorIidEEZZNS1_16scan_by_key_implILNS1_25lookback_scan_determinismE0ELb0ES3_N6thrust23THRUST_200600_302600_NS6detail15normal_iteratorINS9_10device_ptrIiEEEENSB_INSC_IdEEEESG_dNS9_4plusIvEENS9_8equal_toIvEEdEE10hipError_tPvRmT2_T3_T4_T5_mT6_T7_P12ihipStream_tbENKUlT_T0_E_clISt17integral_constantIbLb1EES10_IbLb0EEEEDaSW_SX_EUlSW_E_NS1_11comp_targetILNS1_3genE5ELNS1_11target_archE942ELNS1_3gpuE9ELNS1_3repE0EEENS1_30default_config_static_selectorELNS0_4arch9wavefront6targetE0EEEvT1_.private_seg_size, 0
	.set _ZN7rocprim17ROCPRIM_400000_NS6detail17trampoline_kernelINS0_14default_configENS1_27scan_by_key_config_selectorIidEEZZNS1_16scan_by_key_implILNS1_25lookback_scan_determinismE0ELb0ES3_N6thrust23THRUST_200600_302600_NS6detail15normal_iteratorINS9_10device_ptrIiEEEENSB_INSC_IdEEEESG_dNS9_4plusIvEENS9_8equal_toIvEEdEE10hipError_tPvRmT2_T3_T4_T5_mT6_T7_P12ihipStream_tbENKUlT_T0_E_clISt17integral_constantIbLb1EES10_IbLb0EEEEDaSW_SX_EUlSW_E_NS1_11comp_targetILNS1_3genE5ELNS1_11target_archE942ELNS1_3gpuE9ELNS1_3repE0EEENS1_30default_config_static_selectorELNS0_4arch9wavefront6targetE0EEEvT1_.uses_vcc, 0
	.set _ZN7rocprim17ROCPRIM_400000_NS6detail17trampoline_kernelINS0_14default_configENS1_27scan_by_key_config_selectorIidEEZZNS1_16scan_by_key_implILNS1_25lookback_scan_determinismE0ELb0ES3_N6thrust23THRUST_200600_302600_NS6detail15normal_iteratorINS9_10device_ptrIiEEEENSB_INSC_IdEEEESG_dNS9_4plusIvEENS9_8equal_toIvEEdEE10hipError_tPvRmT2_T3_T4_T5_mT6_T7_P12ihipStream_tbENKUlT_T0_E_clISt17integral_constantIbLb1EES10_IbLb0EEEEDaSW_SX_EUlSW_E_NS1_11comp_targetILNS1_3genE5ELNS1_11target_archE942ELNS1_3gpuE9ELNS1_3repE0EEENS1_30default_config_static_selectorELNS0_4arch9wavefront6targetE0EEEvT1_.uses_flat_scratch, 0
	.set _ZN7rocprim17ROCPRIM_400000_NS6detail17trampoline_kernelINS0_14default_configENS1_27scan_by_key_config_selectorIidEEZZNS1_16scan_by_key_implILNS1_25lookback_scan_determinismE0ELb0ES3_N6thrust23THRUST_200600_302600_NS6detail15normal_iteratorINS9_10device_ptrIiEEEENSB_INSC_IdEEEESG_dNS9_4plusIvEENS9_8equal_toIvEEdEE10hipError_tPvRmT2_T3_T4_T5_mT6_T7_P12ihipStream_tbENKUlT_T0_E_clISt17integral_constantIbLb1EES10_IbLb0EEEEDaSW_SX_EUlSW_E_NS1_11comp_targetILNS1_3genE5ELNS1_11target_archE942ELNS1_3gpuE9ELNS1_3repE0EEENS1_30default_config_static_selectorELNS0_4arch9wavefront6targetE0EEEvT1_.has_dyn_sized_stack, 0
	.set _ZN7rocprim17ROCPRIM_400000_NS6detail17trampoline_kernelINS0_14default_configENS1_27scan_by_key_config_selectorIidEEZZNS1_16scan_by_key_implILNS1_25lookback_scan_determinismE0ELb0ES3_N6thrust23THRUST_200600_302600_NS6detail15normal_iteratorINS9_10device_ptrIiEEEENSB_INSC_IdEEEESG_dNS9_4plusIvEENS9_8equal_toIvEEdEE10hipError_tPvRmT2_T3_T4_T5_mT6_T7_P12ihipStream_tbENKUlT_T0_E_clISt17integral_constantIbLb1EES10_IbLb0EEEEDaSW_SX_EUlSW_E_NS1_11comp_targetILNS1_3genE5ELNS1_11target_archE942ELNS1_3gpuE9ELNS1_3repE0EEENS1_30default_config_static_selectorELNS0_4arch9wavefront6targetE0EEEvT1_.has_recursion, 0
	.set _ZN7rocprim17ROCPRIM_400000_NS6detail17trampoline_kernelINS0_14default_configENS1_27scan_by_key_config_selectorIidEEZZNS1_16scan_by_key_implILNS1_25lookback_scan_determinismE0ELb0ES3_N6thrust23THRUST_200600_302600_NS6detail15normal_iteratorINS9_10device_ptrIiEEEENSB_INSC_IdEEEESG_dNS9_4plusIvEENS9_8equal_toIvEEdEE10hipError_tPvRmT2_T3_T4_T5_mT6_T7_P12ihipStream_tbENKUlT_T0_E_clISt17integral_constantIbLb1EES10_IbLb0EEEEDaSW_SX_EUlSW_E_NS1_11comp_targetILNS1_3genE5ELNS1_11target_archE942ELNS1_3gpuE9ELNS1_3repE0EEENS1_30default_config_static_selectorELNS0_4arch9wavefront6targetE0EEEvT1_.has_indirect_call, 0
	.section	.AMDGPU.csdata,"",@progbits
; Kernel info:
; codeLenInByte = 0
; TotalNumSgprs: 0
; NumVgprs: 0
; ScratchSize: 0
; MemoryBound: 0
; FloatMode: 240
; IeeeMode: 1
; LDSByteSize: 0 bytes/workgroup (compile time only)
; SGPRBlocks: 0
; VGPRBlocks: 0
; NumSGPRsForWavesPerEU: 1
; NumVGPRsForWavesPerEU: 1
; NamedBarCnt: 0
; Occupancy: 16
; WaveLimiterHint : 0
; COMPUTE_PGM_RSRC2:SCRATCH_EN: 0
; COMPUTE_PGM_RSRC2:USER_SGPR: 2
; COMPUTE_PGM_RSRC2:TRAP_HANDLER: 0
; COMPUTE_PGM_RSRC2:TGID_X_EN: 1
; COMPUTE_PGM_RSRC2:TGID_Y_EN: 0
; COMPUTE_PGM_RSRC2:TGID_Z_EN: 0
; COMPUTE_PGM_RSRC2:TIDIG_COMP_CNT: 0
	.section	.text._ZN7rocprim17ROCPRIM_400000_NS6detail17trampoline_kernelINS0_14default_configENS1_27scan_by_key_config_selectorIidEEZZNS1_16scan_by_key_implILNS1_25lookback_scan_determinismE0ELb0ES3_N6thrust23THRUST_200600_302600_NS6detail15normal_iteratorINS9_10device_ptrIiEEEENSB_INSC_IdEEEESG_dNS9_4plusIvEENS9_8equal_toIvEEdEE10hipError_tPvRmT2_T3_T4_T5_mT6_T7_P12ihipStream_tbENKUlT_T0_E_clISt17integral_constantIbLb1EES10_IbLb0EEEEDaSW_SX_EUlSW_E_NS1_11comp_targetILNS1_3genE4ELNS1_11target_archE910ELNS1_3gpuE8ELNS1_3repE0EEENS1_30default_config_static_selectorELNS0_4arch9wavefront6targetE0EEEvT1_,"axG",@progbits,_ZN7rocprim17ROCPRIM_400000_NS6detail17trampoline_kernelINS0_14default_configENS1_27scan_by_key_config_selectorIidEEZZNS1_16scan_by_key_implILNS1_25lookback_scan_determinismE0ELb0ES3_N6thrust23THRUST_200600_302600_NS6detail15normal_iteratorINS9_10device_ptrIiEEEENSB_INSC_IdEEEESG_dNS9_4plusIvEENS9_8equal_toIvEEdEE10hipError_tPvRmT2_T3_T4_T5_mT6_T7_P12ihipStream_tbENKUlT_T0_E_clISt17integral_constantIbLb1EES10_IbLb0EEEEDaSW_SX_EUlSW_E_NS1_11comp_targetILNS1_3genE4ELNS1_11target_archE910ELNS1_3gpuE8ELNS1_3repE0EEENS1_30default_config_static_selectorELNS0_4arch9wavefront6targetE0EEEvT1_,comdat
	.protected	_ZN7rocprim17ROCPRIM_400000_NS6detail17trampoline_kernelINS0_14default_configENS1_27scan_by_key_config_selectorIidEEZZNS1_16scan_by_key_implILNS1_25lookback_scan_determinismE0ELb0ES3_N6thrust23THRUST_200600_302600_NS6detail15normal_iteratorINS9_10device_ptrIiEEEENSB_INSC_IdEEEESG_dNS9_4plusIvEENS9_8equal_toIvEEdEE10hipError_tPvRmT2_T3_T4_T5_mT6_T7_P12ihipStream_tbENKUlT_T0_E_clISt17integral_constantIbLb1EES10_IbLb0EEEEDaSW_SX_EUlSW_E_NS1_11comp_targetILNS1_3genE4ELNS1_11target_archE910ELNS1_3gpuE8ELNS1_3repE0EEENS1_30default_config_static_selectorELNS0_4arch9wavefront6targetE0EEEvT1_ ; -- Begin function _ZN7rocprim17ROCPRIM_400000_NS6detail17trampoline_kernelINS0_14default_configENS1_27scan_by_key_config_selectorIidEEZZNS1_16scan_by_key_implILNS1_25lookback_scan_determinismE0ELb0ES3_N6thrust23THRUST_200600_302600_NS6detail15normal_iteratorINS9_10device_ptrIiEEEENSB_INSC_IdEEEESG_dNS9_4plusIvEENS9_8equal_toIvEEdEE10hipError_tPvRmT2_T3_T4_T5_mT6_T7_P12ihipStream_tbENKUlT_T0_E_clISt17integral_constantIbLb1EES10_IbLb0EEEEDaSW_SX_EUlSW_E_NS1_11comp_targetILNS1_3genE4ELNS1_11target_archE910ELNS1_3gpuE8ELNS1_3repE0EEENS1_30default_config_static_selectorELNS0_4arch9wavefront6targetE0EEEvT1_
	.globl	_ZN7rocprim17ROCPRIM_400000_NS6detail17trampoline_kernelINS0_14default_configENS1_27scan_by_key_config_selectorIidEEZZNS1_16scan_by_key_implILNS1_25lookback_scan_determinismE0ELb0ES3_N6thrust23THRUST_200600_302600_NS6detail15normal_iteratorINS9_10device_ptrIiEEEENSB_INSC_IdEEEESG_dNS9_4plusIvEENS9_8equal_toIvEEdEE10hipError_tPvRmT2_T3_T4_T5_mT6_T7_P12ihipStream_tbENKUlT_T0_E_clISt17integral_constantIbLb1EES10_IbLb0EEEEDaSW_SX_EUlSW_E_NS1_11comp_targetILNS1_3genE4ELNS1_11target_archE910ELNS1_3gpuE8ELNS1_3repE0EEENS1_30default_config_static_selectorELNS0_4arch9wavefront6targetE0EEEvT1_
	.p2align	8
	.type	_ZN7rocprim17ROCPRIM_400000_NS6detail17trampoline_kernelINS0_14default_configENS1_27scan_by_key_config_selectorIidEEZZNS1_16scan_by_key_implILNS1_25lookback_scan_determinismE0ELb0ES3_N6thrust23THRUST_200600_302600_NS6detail15normal_iteratorINS9_10device_ptrIiEEEENSB_INSC_IdEEEESG_dNS9_4plusIvEENS9_8equal_toIvEEdEE10hipError_tPvRmT2_T3_T4_T5_mT6_T7_P12ihipStream_tbENKUlT_T0_E_clISt17integral_constantIbLb1EES10_IbLb0EEEEDaSW_SX_EUlSW_E_NS1_11comp_targetILNS1_3genE4ELNS1_11target_archE910ELNS1_3gpuE8ELNS1_3repE0EEENS1_30default_config_static_selectorELNS0_4arch9wavefront6targetE0EEEvT1_,@function
_ZN7rocprim17ROCPRIM_400000_NS6detail17trampoline_kernelINS0_14default_configENS1_27scan_by_key_config_selectorIidEEZZNS1_16scan_by_key_implILNS1_25lookback_scan_determinismE0ELb0ES3_N6thrust23THRUST_200600_302600_NS6detail15normal_iteratorINS9_10device_ptrIiEEEENSB_INSC_IdEEEESG_dNS9_4plusIvEENS9_8equal_toIvEEdEE10hipError_tPvRmT2_T3_T4_T5_mT6_T7_P12ihipStream_tbENKUlT_T0_E_clISt17integral_constantIbLb1EES10_IbLb0EEEEDaSW_SX_EUlSW_E_NS1_11comp_targetILNS1_3genE4ELNS1_11target_archE910ELNS1_3gpuE8ELNS1_3repE0EEENS1_30default_config_static_selectorELNS0_4arch9wavefront6targetE0EEEvT1_: ; @_ZN7rocprim17ROCPRIM_400000_NS6detail17trampoline_kernelINS0_14default_configENS1_27scan_by_key_config_selectorIidEEZZNS1_16scan_by_key_implILNS1_25lookback_scan_determinismE0ELb0ES3_N6thrust23THRUST_200600_302600_NS6detail15normal_iteratorINS9_10device_ptrIiEEEENSB_INSC_IdEEEESG_dNS9_4plusIvEENS9_8equal_toIvEEdEE10hipError_tPvRmT2_T3_T4_T5_mT6_T7_P12ihipStream_tbENKUlT_T0_E_clISt17integral_constantIbLb1EES10_IbLb0EEEEDaSW_SX_EUlSW_E_NS1_11comp_targetILNS1_3genE4ELNS1_11target_archE910ELNS1_3gpuE8ELNS1_3repE0EEENS1_30default_config_static_selectorELNS0_4arch9wavefront6targetE0EEEvT1_
; %bb.0:
	.section	.rodata,"a",@progbits
	.p2align	6, 0x0
	.amdhsa_kernel _ZN7rocprim17ROCPRIM_400000_NS6detail17trampoline_kernelINS0_14default_configENS1_27scan_by_key_config_selectorIidEEZZNS1_16scan_by_key_implILNS1_25lookback_scan_determinismE0ELb0ES3_N6thrust23THRUST_200600_302600_NS6detail15normal_iteratorINS9_10device_ptrIiEEEENSB_INSC_IdEEEESG_dNS9_4plusIvEENS9_8equal_toIvEEdEE10hipError_tPvRmT2_T3_T4_T5_mT6_T7_P12ihipStream_tbENKUlT_T0_E_clISt17integral_constantIbLb1EES10_IbLb0EEEEDaSW_SX_EUlSW_E_NS1_11comp_targetILNS1_3genE4ELNS1_11target_archE910ELNS1_3gpuE8ELNS1_3repE0EEENS1_30default_config_static_selectorELNS0_4arch9wavefront6targetE0EEEvT1_
		.amdhsa_group_segment_fixed_size 0
		.amdhsa_private_segment_fixed_size 0
		.amdhsa_kernarg_size 136
		.amdhsa_user_sgpr_count 2
		.amdhsa_user_sgpr_dispatch_ptr 0
		.amdhsa_user_sgpr_queue_ptr 0
		.amdhsa_user_sgpr_kernarg_segment_ptr 1
		.amdhsa_user_sgpr_dispatch_id 0
		.amdhsa_user_sgpr_kernarg_preload_length 0
		.amdhsa_user_sgpr_kernarg_preload_offset 0
		.amdhsa_user_sgpr_private_segment_size 0
		.amdhsa_wavefront_size32 1
		.amdhsa_uses_dynamic_stack 0
		.amdhsa_enable_private_segment 0
		.amdhsa_system_sgpr_workgroup_id_x 1
		.amdhsa_system_sgpr_workgroup_id_y 0
		.amdhsa_system_sgpr_workgroup_id_z 0
		.amdhsa_system_sgpr_workgroup_info 0
		.amdhsa_system_vgpr_workitem_id 0
		.amdhsa_next_free_vgpr 1
		.amdhsa_next_free_sgpr 1
		.amdhsa_named_barrier_count 0
		.amdhsa_reserve_vcc 0
		.amdhsa_float_round_mode_32 0
		.amdhsa_float_round_mode_16_64 0
		.amdhsa_float_denorm_mode_32 3
		.amdhsa_float_denorm_mode_16_64 3
		.amdhsa_fp16_overflow 0
		.amdhsa_memory_ordered 1
		.amdhsa_forward_progress 1
		.amdhsa_inst_pref_size 0
		.amdhsa_round_robin_scheduling 0
		.amdhsa_exception_fp_ieee_invalid_op 0
		.amdhsa_exception_fp_denorm_src 0
		.amdhsa_exception_fp_ieee_div_zero 0
		.amdhsa_exception_fp_ieee_overflow 0
		.amdhsa_exception_fp_ieee_underflow 0
		.amdhsa_exception_fp_ieee_inexact 0
		.amdhsa_exception_int_div_zero 0
	.end_amdhsa_kernel
	.section	.text._ZN7rocprim17ROCPRIM_400000_NS6detail17trampoline_kernelINS0_14default_configENS1_27scan_by_key_config_selectorIidEEZZNS1_16scan_by_key_implILNS1_25lookback_scan_determinismE0ELb0ES3_N6thrust23THRUST_200600_302600_NS6detail15normal_iteratorINS9_10device_ptrIiEEEENSB_INSC_IdEEEESG_dNS9_4plusIvEENS9_8equal_toIvEEdEE10hipError_tPvRmT2_T3_T4_T5_mT6_T7_P12ihipStream_tbENKUlT_T0_E_clISt17integral_constantIbLb1EES10_IbLb0EEEEDaSW_SX_EUlSW_E_NS1_11comp_targetILNS1_3genE4ELNS1_11target_archE910ELNS1_3gpuE8ELNS1_3repE0EEENS1_30default_config_static_selectorELNS0_4arch9wavefront6targetE0EEEvT1_,"axG",@progbits,_ZN7rocprim17ROCPRIM_400000_NS6detail17trampoline_kernelINS0_14default_configENS1_27scan_by_key_config_selectorIidEEZZNS1_16scan_by_key_implILNS1_25lookback_scan_determinismE0ELb0ES3_N6thrust23THRUST_200600_302600_NS6detail15normal_iteratorINS9_10device_ptrIiEEEENSB_INSC_IdEEEESG_dNS9_4plusIvEENS9_8equal_toIvEEdEE10hipError_tPvRmT2_T3_T4_T5_mT6_T7_P12ihipStream_tbENKUlT_T0_E_clISt17integral_constantIbLb1EES10_IbLb0EEEEDaSW_SX_EUlSW_E_NS1_11comp_targetILNS1_3genE4ELNS1_11target_archE910ELNS1_3gpuE8ELNS1_3repE0EEENS1_30default_config_static_selectorELNS0_4arch9wavefront6targetE0EEEvT1_,comdat
.Lfunc_end1110:
	.size	_ZN7rocprim17ROCPRIM_400000_NS6detail17trampoline_kernelINS0_14default_configENS1_27scan_by_key_config_selectorIidEEZZNS1_16scan_by_key_implILNS1_25lookback_scan_determinismE0ELb0ES3_N6thrust23THRUST_200600_302600_NS6detail15normal_iteratorINS9_10device_ptrIiEEEENSB_INSC_IdEEEESG_dNS9_4plusIvEENS9_8equal_toIvEEdEE10hipError_tPvRmT2_T3_T4_T5_mT6_T7_P12ihipStream_tbENKUlT_T0_E_clISt17integral_constantIbLb1EES10_IbLb0EEEEDaSW_SX_EUlSW_E_NS1_11comp_targetILNS1_3genE4ELNS1_11target_archE910ELNS1_3gpuE8ELNS1_3repE0EEENS1_30default_config_static_selectorELNS0_4arch9wavefront6targetE0EEEvT1_, .Lfunc_end1110-_ZN7rocprim17ROCPRIM_400000_NS6detail17trampoline_kernelINS0_14default_configENS1_27scan_by_key_config_selectorIidEEZZNS1_16scan_by_key_implILNS1_25lookback_scan_determinismE0ELb0ES3_N6thrust23THRUST_200600_302600_NS6detail15normal_iteratorINS9_10device_ptrIiEEEENSB_INSC_IdEEEESG_dNS9_4plusIvEENS9_8equal_toIvEEdEE10hipError_tPvRmT2_T3_T4_T5_mT6_T7_P12ihipStream_tbENKUlT_T0_E_clISt17integral_constantIbLb1EES10_IbLb0EEEEDaSW_SX_EUlSW_E_NS1_11comp_targetILNS1_3genE4ELNS1_11target_archE910ELNS1_3gpuE8ELNS1_3repE0EEENS1_30default_config_static_selectorELNS0_4arch9wavefront6targetE0EEEvT1_
                                        ; -- End function
	.set _ZN7rocprim17ROCPRIM_400000_NS6detail17trampoline_kernelINS0_14default_configENS1_27scan_by_key_config_selectorIidEEZZNS1_16scan_by_key_implILNS1_25lookback_scan_determinismE0ELb0ES3_N6thrust23THRUST_200600_302600_NS6detail15normal_iteratorINS9_10device_ptrIiEEEENSB_INSC_IdEEEESG_dNS9_4plusIvEENS9_8equal_toIvEEdEE10hipError_tPvRmT2_T3_T4_T5_mT6_T7_P12ihipStream_tbENKUlT_T0_E_clISt17integral_constantIbLb1EES10_IbLb0EEEEDaSW_SX_EUlSW_E_NS1_11comp_targetILNS1_3genE4ELNS1_11target_archE910ELNS1_3gpuE8ELNS1_3repE0EEENS1_30default_config_static_selectorELNS0_4arch9wavefront6targetE0EEEvT1_.num_vgpr, 0
	.set _ZN7rocprim17ROCPRIM_400000_NS6detail17trampoline_kernelINS0_14default_configENS1_27scan_by_key_config_selectorIidEEZZNS1_16scan_by_key_implILNS1_25lookback_scan_determinismE0ELb0ES3_N6thrust23THRUST_200600_302600_NS6detail15normal_iteratorINS9_10device_ptrIiEEEENSB_INSC_IdEEEESG_dNS9_4plusIvEENS9_8equal_toIvEEdEE10hipError_tPvRmT2_T3_T4_T5_mT6_T7_P12ihipStream_tbENKUlT_T0_E_clISt17integral_constantIbLb1EES10_IbLb0EEEEDaSW_SX_EUlSW_E_NS1_11comp_targetILNS1_3genE4ELNS1_11target_archE910ELNS1_3gpuE8ELNS1_3repE0EEENS1_30default_config_static_selectorELNS0_4arch9wavefront6targetE0EEEvT1_.num_agpr, 0
	.set _ZN7rocprim17ROCPRIM_400000_NS6detail17trampoline_kernelINS0_14default_configENS1_27scan_by_key_config_selectorIidEEZZNS1_16scan_by_key_implILNS1_25lookback_scan_determinismE0ELb0ES3_N6thrust23THRUST_200600_302600_NS6detail15normal_iteratorINS9_10device_ptrIiEEEENSB_INSC_IdEEEESG_dNS9_4plusIvEENS9_8equal_toIvEEdEE10hipError_tPvRmT2_T3_T4_T5_mT6_T7_P12ihipStream_tbENKUlT_T0_E_clISt17integral_constantIbLb1EES10_IbLb0EEEEDaSW_SX_EUlSW_E_NS1_11comp_targetILNS1_3genE4ELNS1_11target_archE910ELNS1_3gpuE8ELNS1_3repE0EEENS1_30default_config_static_selectorELNS0_4arch9wavefront6targetE0EEEvT1_.numbered_sgpr, 0
	.set _ZN7rocprim17ROCPRIM_400000_NS6detail17trampoline_kernelINS0_14default_configENS1_27scan_by_key_config_selectorIidEEZZNS1_16scan_by_key_implILNS1_25lookback_scan_determinismE0ELb0ES3_N6thrust23THRUST_200600_302600_NS6detail15normal_iteratorINS9_10device_ptrIiEEEENSB_INSC_IdEEEESG_dNS9_4plusIvEENS9_8equal_toIvEEdEE10hipError_tPvRmT2_T3_T4_T5_mT6_T7_P12ihipStream_tbENKUlT_T0_E_clISt17integral_constantIbLb1EES10_IbLb0EEEEDaSW_SX_EUlSW_E_NS1_11comp_targetILNS1_3genE4ELNS1_11target_archE910ELNS1_3gpuE8ELNS1_3repE0EEENS1_30default_config_static_selectorELNS0_4arch9wavefront6targetE0EEEvT1_.num_named_barrier, 0
	.set _ZN7rocprim17ROCPRIM_400000_NS6detail17trampoline_kernelINS0_14default_configENS1_27scan_by_key_config_selectorIidEEZZNS1_16scan_by_key_implILNS1_25lookback_scan_determinismE0ELb0ES3_N6thrust23THRUST_200600_302600_NS6detail15normal_iteratorINS9_10device_ptrIiEEEENSB_INSC_IdEEEESG_dNS9_4plusIvEENS9_8equal_toIvEEdEE10hipError_tPvRmT2_T3_T4_T5_mT6_T7_P12ihipStream_tbENKUlT_T0_E_clISt17integral_constantIbLb1EES10_IbLb0EEEEDaSW_SX_EUlSW_E_NS1_11comp_targetILNS1_3genE4ELNS1_11target_archE910ELNS1_3gpuE8ELNS1_3repE0EEENS1_30default_config_static_selectorELNS0_4arch9wavefront6targetE0EEEvT1_.private_seg_size, 0
	.set _ZN7rocprim17ROCPRIM_400000_NS6detail17trampoline_kernelINS0_14default_configENS1_27scan_by_key_config_selectorIidEEZZNS1_16scan_by_key_implILNS1_25lookback_scan_determinismE0ELb0ES3_N6thrust23THRUST_200600_302600_NS6detail15normal_iteratorINS9_10device_ptrIiEEEENSB_INSC_IdEEEESG_dNS9_4plusIvEENS9_8equal_toIvEEdEE10hipError_tPvRmT2_T3_T4_T5_mT6_T7_P12ihipStream_tbENKUlT_T0_E_clISt17integral_constantIbLb1EES10_IbLb0EEEEDaSW_SX_EUlSW_E_NS1_11comp_targetILNS1_3genE4ELNS1_11target_archE910ELNS1_3gpuE8ELNS1_3repE0EEENS1_30default_config_static_selectorELNS0_4arch9wavefront6targetE0EEEvT1_.uses_vcc, 0
	.set _ZN7rocprim17ROCPRIM_400000_NS6detail17trampoline_kernelINS0_14default_configENS1_27scan_by_key_config_selectorIidEEZZNS1_16scan_by_key_implILNS1_25lookback_scan_determinismE0ELb0ES3_N6thrust23THRUST_200600_302600_NS6detail15normal_iteratorINS9_10device_ptrIiEEEENSB_INSC_IdEEEESG_dNS9_4plusIvEENS9_8equal_toIvEEdEE10hipError_tPvRmT2_T3_T4_T5_mT6_T7_P12ihipStream_tbENKUlT_T0_E_clISt17integral_constantIbLb1EES10_IbLb0EEEEDaSW_SX_EUlSW_E_NS1_11comp_targetILNS1_3genE4ELNS1_11target_archE910ELNS1_3gpuE8ELNS1_3repE0EEENS1_30default_config_static_selectorELNS0_4arch9wavefront6targetE0EEEvT1_.uses_flat_scratch, 0
	.set _ZN7rocprim17ROCPRIM_400000_NS6detail17trampoline_kernelINS0_14default_configENS1_27scan_by_key_config_selectorIidEEZZNS1_16scan_by_key_implILNS1_25lookback_scan_determinismE0ELb0ES3_N6thrust23THRUST_200600_302600_NS6detail15normal_iteratorINS9_10device_ptrIiEEEENSB_INSC_IdEEEESG_dNS9_4plusIvEENS9_8equal_toIvEEdEE10hipError_tPvRmT2_T3_T4_T5_mT6_T7_P12ihipStream_tbENKUlT_T0_E_clISt17integral_constantIbLb1EES10_IbLb0EEEEDaSW_SX_EUlSW_E_NS1_11comp_targetILNS1_3genE4ELNS1_11target_archE910ELNS1_3gpuE8ELNS1_3repE0EEENS1_30default_config_static_selectorELNS0_4arch9wavefront6targetE0EEEvT1_.has_dyn_sized_stack, 0
	.set _ZN7rocprim17ROCPRIM_400000_NS6detail17trampoline_kernelINS0_14default_configENS1_27scan_by_key_config_selectorIidEEZZNS1_16scan_by_key_implILNS1_25lookback_scan_determinismE0ELb0ES3_N6thrust23THRUST_200600_302600_NS6detail15normal_iteratorINS9_10device_ptrIiEEEENSB_INSC_IdEEEESG_dNS9_4plusIvEENS9_8equal_toIvEEdEE10hipError_tPvRmT2_T3_T4_T5_mT6_T7_P12ihipStream_tbENKUlT_T0_E_clISt17integral_constantIbLb1EES10_IbLb0EEEEDaSW_SX_EUlSW_E_NS1_11comp_targetILNS1_3genE4ELNS1_11target_archE910ELNS1_3gpuE8ELNS1_3repE0EEENS1_30default_config_static_selectorELNS0_4arch9wavefront6targetE0EEEvT1_.has_recursion, 0
	.set _ZN7rocprim17ROCPRIM_400000_NS6detail17trampoline_kernelINS0_14default_configENS1_27scan_by_key_config_selectorIidEEZZNS1_16scan_by_key_implILNS1_25lookback_scan_determinismE0ELb0ES3_N6thrust23THRUST_200600_302600_NS6detail15normal_iteratorINS9_10device_ptrIiEEEENSB_INSC_IdEEEESG_dNS9_4plusIvEENS9_8equal_toIvEEdEE10hipError_tPvRmT2_T3_T4_T5_mT6_T7_P12ihipStream_tbENKUlT_T0_E_clISt17integral_constantIbLb1EES10_IbLb0EEEEDaSW_SX_EUlSW_E_NS1_11comp_targetILNS1_3genE4ELNS1_11target_archE910ELNS1_3gpuE8ELNS1_3repE0EEENS1_30default_config_static_selectorELNS0_4arch9wavefront6targetE0EEEvT1_.has_indirect_call, 0
	.section	.AMDGPU.csdata,"",@progbits
; Kernel info:
; codeLenInByte = 0
; TotalNumSgprs: 0
; NumVgprs: 0
; ScratchSize: 0
; MemoryBound: 0
; FloatMode: 240
; IeeeMode: 1
; LDSByteSize: 0 bytes/workgroup (compile time only)
; SGPRBlocks: 0
; VGPRBlocks: 0
; NumSGPRsForWavesPerEU: 1
; NumVGPRsForWavesPerEU: 1
; NamedBarCnt: 0
; Occupancy: 16
; WaveLimiterHint : 0
; COMPUTE_PGM_RSRC2:SCRATCH_EN: 0
; COMPUTE_PGM_RSRC2:USER_SGPR: 2
; COMPUTE_PGM_RSRC2:TRAP_HANDLER: 0
; COMPUTE_PGM_RSRC2:TGID_X_EN: 1
; COMPUTE_PGM_RSRC2:TGID_Y_EN: 0
; COMPUTE_PGM_RSRC2:TGID_Z_EN: 0
; COMPUTE_PGM_RSRC2:TIDIG_COMP_CNT: 0
	.section	.text._ZN7rocprim17ROCPRIM_400000_NS6detail17trampoline_kernelINS0_14default_configENS1_27scan_by_key_config_selectorIidEEZZNS1_16scan_by_key_implILNS1_25lookback_scan_determinismE0ELb0ES3_N6thrust23THRUST_200600_302600_NS6detail15normal_iteratorINS9_10device_ptrIiEEEENSB_INSC_IdEEEESG_dNS9_4plusIvEENS9_8equal_toIvEEdEE10hipError_tPvRmT2_T3_T4_T5_mT6_T7_P12ihipStream_tbENKUlT_T0_E_clISt17integral_constantIbLb1EES10_IbLb0EEEEDaSW_SX_EUlSW_E_NS1_11comp_targetILNS1_3genE3ELNS1_11target_archE908ELNS1_3gpuE7ELNS1_3repE0EEENS1_30default_config_static_selectorELNS0_4arch9wavefront6targetE0EEEvT1_,"axG",@progbits,_ZN7rocprim17ROCPRIM_400000_NS6detail17trampoline_kernelINS0_14default_configENS1_27scan_by_key_config_selectorIidEEZZNS1_16scan_by_key_implILNS1_25lookback_scan_determinismE0ELb0ES3_N6thrust23THRUST_200600_302600_NS6detail15normal_iteratorINS9_10device_ptrIiEEEENSB_INSC_IdEEEESG_dNS9_4plusIvEENS9_8equal_toIvEEdEE10hipError_tPvRmT2_T3_T4_T5_mT6_T7_P12ihipStream_tbENKUlT_T0_E_clISt17integral_constantIbLb1EES10_IbLb0EEEEDaSW_SX_EUlSW_E_NS1_11comp_targetILNS1_3genE3ELNS1_11target_archE908ELNS1_3gpuE7ELNS1_3repE0EEENS1_30default_config_static_selectorELNS0_4arch9wavefront6targetE0EEEvT1_,comdat
	.protected	_ZN7rocprim17ROCPRIM_400000_NS6detail17trampoline_kernelINS0_14default_configENS1_27scan_by_key_config_selectorIidEEZZNS1_16scan_by_key_implILNS1_25lookback_scan_determinismE0ELb0ES3_N6thrust23THRUST_200600_302600_NS6detail15normal_iteratorINS9_10device_ptrIiEEEENSB_INSC_IdEEEESG_dNS9_4plusIvEENS9_8equal_toIvEEdEE10hipError_tPvRmT2_T3_T4_T5_mT6_T7_P12ihipStream_tbENKUlT_T0_E_clISt17integral_constantIbLb1EES10_IbLb0EEEEDaSW_SX_EUlSW_E_NS1_11comp_targetILNS1_3genE3ELNS1_11target_archE908ELNS1_3gpuE7ELNS1_3repE0EEENS1_30default_config_static_selectorELNS0_4arch9wavefront6targetE0EEEvT1_ ; -- Begin function _ZN7rocprim17ROCPRIM_400000_NS6detail17trampoline_kernelINS0_14default_configENS1_27scan_by_key_config_selectorIidEEZZNS1_16scan_by_key_implILNS1_25lookback_scan_determinismE0ELb0ES3_N6thrust23THRUST_200600_302600_NS6detail15normal_iteratorINS9_10device_ptrIiEEEENSB_INSC_IdEEEESG_dNS9_4plusIvEENS9_8equal_toIvEEdEE10hipError_tPvRmT2_T3_T4_T5_mT6_T7_P12ihipStream_tbENKUlT_T0_E_clISt17integral_constantIbLb1EES10_IbLb0EEEEDaSW_SX_EUlSW_E_NS1_11comp_targetILNS1_3genE3ELNS1_11target_archE908ELNS1_3gpuE7ELNS1_3repE0EEENS1_30default_config_static_selectorELNS0_4arch9wavefront6targetE0EEEvT1_
	.globl	_ZN7rocprim17ROCPRIM_400000_NS6detail17trampoline_kernelINS0_14default_configENS1_27scan_by_key_config_selectorIidEEZZNS1_16scan_by_key_implILNS1_25lookback_scan_determinismE0ELb0ES3_N6thrust23THRUST_200600_302600_NS6detail15normal_iteratorINS9_10device_ptrIiEEEENSB_INSC_IdEEEESG_dNS9_4plusIvEENS9_8equal_toIvEEdEE10hipError_tPvRmT2_T3_T4_T5_mT6_T7_P12ihipStream_tbENKUlT_T0_E_clISt17integral_constantIbLb1EES10_IbLb0EEEEDaSW_SX_EUlSW_E_NS1_11comp_targetILNS1_3genE3ELNS1_11target_archE908ELNS1_3gpuE7ELNS1_3repE0EEENS1_30default_config_static_selectorELNS0_4arch9wavefront6targetE0EEEvT1_
	.p2align	8
	.type	_ZN7rocprim17ROCPRIM_400000_NS6detail17trampoline_kernelINS0_14default_configENS1_27scan_by_key_config_selectorIidEEZZNS1_16scan_by_key_implILNS1_25lookback_scan_determinismE0ELb0ES3_N6thrust23THRUST_200600_302600_NS6detail15normal_iteratorINS9_10device_ptrIiEEEENSB_INSC_IdEEEESG_dNS9_4plusIvEENS9_8equal_toIvEEdEE10hipError_tPvRmT2_T3_T4_T5_mT6_T7_P12ihipStream_tbENKUlT_T0_E_clISt17integral_constantIbLb1EES10_IbLb0EEEEDaSW_SX_EUlSW_E_NS1_11comp_targetILNS1_3genE3ELNS1_11target_archE908ELNS1_3gpuE7ELNS1_3repE0EEENS1_30default_config_static_selectorELNS0_4arch9wavefront6targetE0EEEvT1_,@function
_ZN7rocprim17ROCPRIM_400000_NS6detail17trampoline_kernelINS0_14default_configENS1_27scan_by_key_config_selectorIidEEZZNS1_16scan_by_key_implILNS1_25lookback_scan_determinismE0ELb0ES3_N6thrust23THRUST_200600_302600_NS6detail15normal_iteratorINS9_10device_ptrIiEEEENSB_INSC_IdEEEESG_dNS9_4plusIvEENS9_8equal_toIvEEdEE10hipError_tPvRmT2_T3_T4_T5_mT6_T7_P12ihipStream_tbENKUlT_T0_E_clISt17integral_constantIbLb1EES10_IbLb0EEEEDaSW_SX_EUlSW_E_NS1_11comp_targetILNS1_3genE3ELNS1_11target_archE908ELNS1_3gpuE7ELNS1_3repE0EEENS1_30default_config_static_selectorELNS0_4arch9wavefront6targetE0EEEvT1_: ; @_ZN7rocprim17ROCPRIM_400000_NS6detail17trampoline_kernelINS0_14default_configENS1_27scan_by_key_config_selectorIidEEZZNS1_16scan_by_key_implILNS1_25lookback_scan_determinismE0ELb0ES3_N6thrust23THRUST_200600_302600_NS6detail15normal_iteratorINS9_10device_ptrIiEEEENSB_INSC_IdEEEESG_dNS9_4plusIvEENS9_8equal_toIvEEdEE10hipError_tPvRmT2_T3_T4_T5_mT6_T7_P12ihipStream_tbENKUlT_T0_E_clISt17integral_constantIbLb1EES10_IbLb0EEEEDaSW_SX_EUlSW_E_NS1_11comp_targetILNS1_3genE3ELNS1_11target_archE908ELNS1_3gpuE7ELNS1_3repE0EEENS1_30default_config_static_selectorELNS0_4arch9wavefront6targetE0EEEvT1_
; %bb.0:
	.section	.rodata,"a",@progbits
	.p2align	6, 0x0
	.amdhsa_kernel _ZN7rocprim17ROCPRIM_400000_NS6detail17trampoline_kernelINS0_14default_configENS1_27scan_by_key_config_selectorIidEEZZNS1_16scan_by_key_implILNS1_25lookback_scan_determinismE0ELb0ES3_N6thrust23THRUST_200600_302600_NS6detail15normal_iteratorINS9_10device_ptrIiEEEENSB_INSC_IdEEEESG_dNS9_4plusIvEENS9_8equal_toIvEEdEE10hipError_tPvRmT2_T3_T4_T5_mT6_T7_P12ihipStream_tbENKUlT_T0_E_clISt17integral_constantIbLb1EES10_IbLb0EEEEDaSW_SX_EUlSW_E_NS1_11comp_targetILNS1_3genE3ELNS1_11target_archE908ELNS1_3gpuE7ELNS1_3repE0EEENS1_30default_config_static_selectorELNS0_4arch9wavefront6targetE0EEEvT1_
		.amdhsa_group_segment_fixed_size 0
		.amdhsa_private_segment_fixed_size 0
		.amdhsa_kernarg_size 136
		.amdhsa_user_sgpr_count 2
		.amdhsa_user_sgpr_dispatch_ptr 0
		.amdhsa_user_sgpr_queue_ptr 0
		.amdhsa_user_sgpr_kernarg_segment_ptr 1
		.amdhsa_user_sgpr_dispatch_id 0
		.amdhsa_user_sgpr_kernarg_preload_length 0
		.amdhsa_user_sgpr_kernarg_preload_offset 0
		.amdhsa_user_sgpr_private_segment_size 0
		.amdhsa_wavefront_size32 1
		.amdhsa_uses_dynamic_stack 0
		.amdhsa_enable_private_segment 0
		.amdhsa_system_sgpr_workgroup_id_x 1
		.amdhsa_system_sgpr_workgroup_id_y 0
		.amdhsa_system_sgpr_workgroup_id_z 0
		.amdhsa_system_sgpr_workgroup_info 0
		.amdhsa_system_vgpr_workitem_id 0
		.amdhsa_next_free_vgpr 1
		.amdhsa_next_free_sgpr 1
		.amdhsa_named_barrier_count 0
		.amdhsa_reserve_vcc 0
		.amdhsa_float_round_mode_32 0
		.amdhsa_float_round_mode_16_64 0
		.amdhsa_float_denorm_mode_32 3
		.amdhsa_float_denorm_mode_16_64 3
		.amdhsa_fp16_overflow 0
		.amdhsa_memory_ordered 1
		.amdhsa_forward_progress 1
		.amdhsa_inst_pref_size 0
		.amdhsa_round_robin_scheduling 0
		.amdhsa_exception_fp_ieee_invalid_op 0
		.amdhsa_exception_fp_denorm_src 0
		.amdhsa_exception_fp_ieee_div_zero 0
		.amdhsa_exception_fp_ieee_overflow 0
		.amdhsa_exception_fp_ieee_underflow 0
		.amdhsa_exception_fp_ieee_inexact 0
		.amdhsa_exception_int_div_zero 0
	.end_amdhsa_kernel
	.section	.text._ZN7rocprim17ROCPRIM_400000_NS6detail17trampoline_kernelINS0_14default_configENS1_27scan_by_key_config_selectorIidEEZZNS1_16scan_by_key_implILNS1_25lookback_scan_determinismE0ELb0ES3_N6thrust23THRUST_200600_302600_NS6detail15normal_iteratorINS9_10device_ptrIiEEEENSB_INSC_IdEEEESG_dNS9_4plusIvEENS9_8equal_toIvEEdEE10hipError_tPvRmT2_T3_T4_T5_mT6_T7_P12ihipStream_tbENKUlT_T0_E_clISt17integral_constantIbLb1EES10_IbLb0EEEEDaSW_SX_EUlSW_E_NS1_11comp_targetILNS1_3genE3ELNS1_11target_archE908ELNS1_3gpuE7ELNS1_3repE0EEENS1_30default_config_static_selectorELNS0_4arch9wavefront6targetE0EEEvT1_,"axG",@progbits,_ZN7rocprim17ROCPRIM_400000_NS6detail17trampoline_kernelINS0_14default_configENS1_27scan_by_key_config_selectorIidEEZZNS1_16scan_by_key_implILNS1_25lookback_scan_determinismE0ELb0ES3_N6thrust23THRUST_200600_302600_NS6detail15normal_iteratorINS9_10device_ptrIiEEEENSB_INSC_IdEEEESG_dNS9_4plusIvEENS9_8equal_toIvEEdEE10hipError_tPvRmT2_T3_T4_T5_mT6_T7_P12ihipStream_tbENKUlT_T0_E_clISt17integral_constantIbLb1EES10_IbLb0EEEEDaSW_SX_EUlSW_E_NS1_11comp_targetILNS1_3genE3ELNS1_11target_archE908ELNS1_3gpuE7ELNS1_3repE0EEENS1_30default_config_static_selectorELNS0_4arch9wavefront6targetE0EEEvT1_,comdat
.Lfunc_end1111:
	.size	_ZN7rocprim17ROCPRIM_400000_NS6detail17trampoline_kernelINS0_14default_configENS1_27scan_by_key_config_selectorIidEEZZNS1_16scan_by_key_implILNS1_25lookback_scan_determinismE0ELb0ES3_N6thrust23THRUST_200600_302600_NS6detail15normal_iteratorINS9_10device_ptrIiEEEENSB_INSC_IdEEEESG_dNS9_4plusIvEENS9_8equal_toIvEEdEE10hipError_tPvRmT2_T3_T4_T5_mT6_T7_P12ihipStream_tbENKUlT_T0_E_clISt17integral_constantIbLb1EES10_IbLb0EEEEDaSW_SX_EUlSW_E_NS1_11comp_targetILNS1_3genE3ELNS1_11target_archE908ELNS1_3gpuE7ELNS1_3repE0EEENS1_30default_config_static_selectorELNS0_4arch9wavefront6targetE0EEEvT1_, .Lfunc_end1111-_ZN7rocprim17ROCPRIM_400000_NS6detail17trampoline_kernelINS0_14default_configENS1_27scan_by_key_config_selectorIidEEZZNS1_16scan_by_key_implILNS1_25lookback_scan_determinismE0ELb0ES3_N6thrust23THRUST_200600_302600_NS6detail15normal_iteratorINS9_10device_ptrIiEEEENSB_INSC_IdEEEESG_dNS9_4plusIvEENS9_8equal_toIvEEdEE10hipError_tPvRmT2_T3_T4_T5_mT6_T7_P12ihipStream_tbENKUlT_T0_E_clISt17integral_constantIbLb1EES10_IbLb0EEEEDaSW_SX_EUlSW_E_NS1_11comp_targetILNS1_3genE3ELNS1_11target_archE908ELNS1_3gpuE7ELNS1_3repE0EEENS1_30default_config_static_selectorELNS0_4arch9wavefront6targetE0EEEvT1_
                                        ; -- End function
	.set _ZN7rocprim17ROCPRIM_400000_NS6detail17trampoline_kernelINS0_14default_configENS1_27scan_by_key_config_selectorIidEEZZNS1_16scan_by_key_implILNS1_25lookback_scan_determinismE0ELb0ES3_N6thrust23THRUST_200600_302600_NS6detail15normal_iteratorINS9_10device_ptrIiEEEENSB_INSC_IdEEEESG_dNS9_4plusIvEENS9_8equal_toIvEEdEE10hipError_tPvRmT2_T3_T4_T5_mT6_T7_P12ihipStream_tbENKUlT_T0_E_clISt17integral_constantIbLb1EES10_IbLb0EEEEDaSW_SX_EUlSW_E_NS1_11comp_targetILNS1_3genE3ELNS1_11target_archE908ELNS1_3gpuE7ELNS1_3repE0EEENS1_30default_config_static_selectorELNS0_4arch9wavefront6targetE0EEEvT1_.num_vgpr, 0
	.set _ZN7rocprim17ROCPRIM_400000_NS6detail17trampoline_kernelINS0_14default_configENS1_27scan_by_key_config_selectorIidEEZZNS1_16scan_by_key_implILNS1_25lookback_scan_determinismE0ELb0ES3_N6thrust23THRUST_200600_302600_NS6detail15normal_iteratorINS9_10device_ptrIiEEEENSB_INSC_IdEEEESG_dNS9_4plusIvEENS9_8equal_toIvEEdEE10hipError_tPvRmT2_T3_T4_T5_mT6_T7_P12ihipStream_tbENKUlT_T0_E_clISt17integral_constantIbLb1EES10_IbLb0EEEEDaSW_SX_EUlSW_E_NS1_11comp_targetILNS1_3genE3ELNS1_11target_archE908ELNS1_3gpuE7ELNS1_3repE0EEENS1_30default_config_static_selectorELNS0_4arch9wavefront6targetE0EEEvT1_.num_agpr, 0
	.set _ZN7rocprim17ROCPRIM_400000_NS6detail17trampoline_kernelINS0_14default_configENS1_27scan_by_key_config_selectorIidEEZZNS1_16scan_by_key_implILNS1_25lookback_scan_determinismE0ELb0ES3_N6thrust23THRUST_200600_302600_NS6detail15normal_iteratorINS9_10device_ptrIiEEEENSB_INSC_IdEEEESG_dNS9_4plusIvEENS9_8equal_toIvEEdEE10hipError_tPvRmT2_T3_T4_T5_mT6_T7_P12ihipStream_tbENKUlT_T0_E_clISt17integral_constantIbLb1EES10_IbLb0EEEEDaSW_SX_EUlSW_E_NS1_11comp_targetILNS1_3genE3ELNS1_11target_archE908ELNS1_3gpuE7ELNS1_3repE0EEENS1_30default_config_static_selectorELNS0_4arch9wavefront6targetE0EEEvT1_.numbered_sgpr, 0
	.set _ZN7rocprim17ROCPRIM_400000_NS6detail17trampoline_kernelINS0_14default_configENS1_27scan_by_key_config_selectorIidEEZZNS1_16scan_by_key_implILNS1_25lookback_scan_determinismE0ELb0ES3_N6thrust23THRUST_200600_302600_NS6detail15normal_iteratorINS9_10device_ptrIiEEEENSB_INSC_IdEEEESG_dNS9_4plusIvEENS9_8equal_toIvEEdEE10hipError_tPvRmT2_T3_T4_T5_mT6_T7_P12ihipStream_tbENKUlT_T0_E_clISt17integral_constantIbLb1EES10_IbLb0EEEEDaSW_SX_EUlSW_E_NS1_11comp_targetILNS1_3genE3ELNS1_11target_archE908ELNS1_3gpuE7ELNS1_3repE0EEENS1_30default_config_static_selectorELNS0_4arch9wavefront6targetE0EEEvT1_.num_named_barrier, 0
	.set _ZN7rocprim17ROCPRIM_400000_NS6detail17trampoline_kernelINS0_14default_configENS1_27scan_by_key_config_selectorIidEEZZNS1_16scan_by_key_implILNS1_25lookback_scan_determinismE0ELb0ES3_N6thrust23THRUST_200600_302600_NS6detail15normal_iteratorINS9_10device_ptrIiEEEENSB_INSC_IdEEEESG_dNS9_4plusIvEENS9_8equal_toIvEEdEE10hipError_tPvRmT2_T3_T4_T5_mT6_T7_P12ihipStream_tbENKUlT_T0_E_clISt17integral_constantIbLb1EES10_IbLb0EEEEDaSW_SX_EUlSW_E_NS1_11comp_targetILNS1_3genE3ELNS1_11target_archE908ELNS1_3gpuE7ELNS1_3repE0EEENS1_30default_config_static_selectorELNS0_4arch9wavefront6targetE0EEEvT1_.private_seg_size, 0
	.set _ZN7rocprim17ROCPRIM_400000_NS6detail17trampoline_kernelINS0_14default_configENS1_27scan_by_key_config_selectorIidEEZZNS1_16scan_by_key_implILNS1_25lookback_scan_determinismE0ELb0ES3_N6thrust23THRUST_200600_302600_NS6detail15normal_iteratorINS9_10device_ptrIiEEEENSB_INSC_IdEEEESG_dNS9_4plusIvEENS9_8equal_toIvEEdEE10hipError_tPvRmT2_T3_T4_T5_mT6_T7_P12ihipStream_tbENKUlT_T0_E_clISt17integral_constantIbLb1EES10_IbLb0EEEEDaSW_SX_EUlSW_E_NS1_11comp_targetILNS1_3genE3ELNS1_11target_archE908ELNS1_3gpuE7ELNS1_3repE0EEENS1_30default_config_static_selectorELNS0_4arch9wavefront6targetE0EEEvT1_.uses_vcc, 0
	.set _ZN7rocprim17ROCPRIM_400000_NS6detail17trampoline_kernelINS0_14default_configENS1_27scan_by_key_config_selectorIidEEZZNS1_16scan_by_key_implILNS1_25lookback_scan_determinismE0ELb0ES3_N6thrust23THRUST_200600_302600_NS6detail15normal_iteratorINS9_10device_ptrIiEEEENSB_INSC_IdEEEESG_dNS9_4plusIvEENS9_8equal_toIvEEdEE10hipError_tPvRmT2_T3_T4_T5_mT6_T7_P12ihipStream_tbENKUlT_T0_E_clISt17integral_constantIbLb1EES10_IbLb0EEEEDaSW_SX_EUlSW_E_NS1_11comp_targetILNS1_3genE3ELNS1_11target_archE908ELNS1_3gpuE7ELNS1_3repE0EEENS1_30default_config_static_selectorELNS0_4arch9wavefront6targetE0EEEvT1_.uses_flat_scratch, 0
	.set _ZN7rocprim17ROCPRIM_400000_NS6detail17trampoline_kernelINS0_14default_configENS1_27scan_by_key_config_selectorIidEEZZNS1_16scan_by_key_implILNS1_25lookback_scan_determinismE0ELb0ES3_N6thrust23THRUST_200600_302600_NS6detail15normal_iteratorINS9_10device_ptrIiEEEENSB_INSC_IdEEEESG_dNS9_4plusIvEENS9_8equal_toIvEEdEE10hipError_tPvRmT2_T3_T4_T5_mT6_T7_P12ihipStream_tbENKUlT_T0_E_clISt17integral_constantIbLb1EES10_IbLb0EEEEDaSW_SX_EUlSW_E_NS1_11comp_targetILNS1_3genE3ELNS1_11target_archE908ELNS1_3gpuE7ELNS1_3repE0EEENS1_30default_config_static_selectorELNS0_4arch9wavefront6targetE0EEEvT1_.has_dyn_sized_stack, 0
	.set _ZN7rocprim17ROCPRIM_400000_NS6detail17trampoline_kernelINS0_14default_configENS1_27scan_by_key_config_selectorIidEEZZNS1_16scan_by_key_implILNS1_25lookback_scan_determinismE0ELb0ES3_N6thrust23THRUST_200600_302600_NS6detail15normal_iteratorINS9_10device_ptrIiEEEENSB_INSC_IdEEEESG_dNS9_4plusIvEENS9_8equal_toIvEEdEE10hipError_tPvRmT2_T3_T4_T5_mT6_T7_P12ihipStream_tbENKUlT_T0_E_clISt17integral_constantIbLb1EES10_IbLb0EEEEDaSW_SX_EUlSW_E_NS1_11comp_targetILNS1_3genE3ELNS1_11target_archE908ELNS1_3gpuE7ELNS1_3repE0EEENS1_30default_config_static_selectorELNS0_4arch9wavefront6targetE0EEEvT1_.has_recursion, 0
	.set _ZN7rocprim17ROCPRIM_400000_NS6detail17trampoline_kernelINS0_14default_configENS1_27scan_by_key_config_selectorIidEEZZNS1_16scan_by_key_implILNS1_25lookback_scan_determinismE0ELb0ES3_N6thrust23THRUST_200600_302600_NS6detail15normal_iteratorINS9_10device_ptrIiEEEENSB_INSC_IdEEEESG_dNS9_4plusIvEENS9_8equal_toIvEEdEE10hipError_tPvRmT2_T3_T4_T5_mT6_T7_P12ihipStream_tbENKUlT_T0_E_clISt17integral_constantIbLb1EES10_IbLb0EEEEDaSW_SX_EUlSW_E_NS1_11comp_targetILNS1_3genE3ELNS1_11target_archE908ELNS1_3gpuE7ELNS1_3repE0EEENS1_30default_config_static_selectorELNS0_4arch9wavefront6targetE0EEEvT1_.has_indirect_call, 0
	.section	.AMDGPU.csdata,"",@progbits
; Kernel info:
; codeLenInByte = 0
; TotalNumSgprs: 0
; NumVgprs: 0
; ScratchSize: 0
; MemoryBound: 0
; FloatMode: 240
; IeeeMode: 1
; LDSByteSize: 0 bytes/workgroup (compile time only)
; SGPRBlocks: 0
; VGPRBlocks: 0
; NumSGPRsForWavesPerEU: 1
; NumVGPRsForWavesPerEU: 1
; NamedBarCnt: 0
; Occupancy: 16
; WaveLimiterHint : 0
; COMPUTE_PGM_RSRC2:SCRATCH_EN: 0
; COMPUTE_PGM_RSRC2:USER_SGPR: 2
; COMPUTE_PGM_RSRC2:TRAP_HANDLER: 0
; COMPUTE_PGM_RSRC2:TGID_X_EN: 1
; COMPUTE_PGM_RSRC2:TGID_Y_EN: 0
; COMPUTE_PGM_RSRC2:TGID_Z_EN: 0
; COMPUTE_PGM_RSRC2:TIDIG_COMP_CNT: 0
	.section	.text._ZN7rocprim17ROCPRIM_400000_NS6detail17trampoline_kernelINS0_14default_configENS1_27scan_by_key_config_selectorIidEEZZNS1_16scan_by_key_implILNS1_25lookback_scan_determinismE0ELb0ES3_N6thrust23THRUST_200600_302600_NS6detail15normal_iteratorINS9_10device_ptrIiEEEENSB_INSC_IdEEEESG_dNS9_4plusIvEENS9_8equal_toIvEEdEE10hipError_tPvRmT2_T3_T4_T5_mT6_T7_P12ihipStream_tbENKUlT_T0_E_clISt17integral_constantIbLb1EES10_IbLb0EEEEDaSW_SX_EUlSW_E_NS1_11comp_targetILNS1_3genE2ELNS1_11target_archE906ELNS1_3gpuE6ELNS1_3repE0EEENS1_30default_config_static_selectorELNS0_4arch9wavefront6targetE0EEEvT1_,"axG",@progbits,_ZN7rocprim17ROCPRIM_400000_NS6detail17trampoline_kernelINS0_14default_configENS1_27scan_by_key_config_selectorIidEEZZNS1_16scan_by_key_implILNS1_25lookback_scan_determinismE0ELb0ES3_N6thrust23THRUST_200600_302600_NS6detail15normal_iteratorINS9_10device_ptrIiEEEENSB_INSC_IdEEEESG_dNS9_4plusIvEENS9_8equal_toIvEEdEE10hipError_tPvRmT2_T3_T4_T5_mT6_T7_P12ihipStream_tbENKUlT_T0_E_clISt17integral_constantIbLb1EES10_IbLb0EEEEDaSW_SX_EUlSW_E_NS1_11comp_targetILNS1_3genE2ELNS1_11target_archE906ELNS1_3gpuE6ELNS1_3repE0EEENS1_30default_config_static_selectorELNS0_4arch9wavefront6targetE0EEEvT1_,comdat
	.protected	_ZN7rocprim17ROCPRIM_400000_NS6detail17trampoline_kernelINS0_14default_configENS1_27scan_by_key_config_selectorIidEEZZNS1_16scan_by_key_implILNS1_25lookback_scan_determinismE0ELb0ES3_N6thrust23THRUST_200600_302600_NS6detail15normal_iteratorINS9_10device_ptrIiEEEENSB_INSC_IdEEEESG_dNS9_4plusIvEENS9_8equal_toIvEEdEE10hipError_tPvRmT2_T3_T4_T5_mT6_T7_P12ihipStream_tbENKUlT_T0_E_clISt17integral_constantIbLb1EES10_IbLb0EEEEDaSW_SX_EUlSW_E_NS1_11comp_targetILNS1_3genE2ELNS1_11target_archE906ELNS1_3gpuE6ELNS1_3repE0EEENS1_30default_config_static_selectorELNS0_4arch9wavefront6targetE0EEEvT1_ ; -- Begin function _ZN7rocprim17ROCPRIM_400000_NS6detail17trampoline_kernelINS0_14default_configENS1_27scan_by_key_config_selectorIidEEZZNS1_16scan_by_key_implILNS1_25lookback_scan_determinismE0ELb0ES3_N6thrust23THRUST_200600_302600_NS6detail15normal_iteratorINS9_10device_ptrIiEEEENSB_INSC_IdEEEESG_dNS9_4plusIvEENS9_8equal_toIvEEdEE10hipError_tPvRmT2_T3_T4_T5_mT6_T7_P12ihipStream_tbENKUlT_T0_E_clISt17integral_constantIbLb1EES10_IbLb0EEEEDaSW_SX_EUlSW_E_NS1_11comp_targetILNS1_3genE2ELNS1_11target_archE906ELNS1_3gpuE6ELNS1_3repE0EEENS1_30default_config_static_selectorELNS0_4arch9wavefront6targetE0EEEvT1_
	.globl	_ZN7rocprim17ROCPRIM_400000_NS6detail17trampoline_kernelINS0_14default_configENS1_27scan_by_key_config_selectorIidEEZZNS1_16scan_by_key_implILNS1_25lookback_scan_determinismE0ELb0ES3_N6thrust23THRUST_200600_302600_NS6detail15normal_iteratorINS9_10device_ptrIiEEEENSB_INSC_IdEEEESG_dNS9_4plusIvEENS9_8equal_toIvEEdEE10hipError_tPvRmT2_T3_T4_T5_mT6_T7_P12ihipStream_tbENKUlT_T0_E_clISt17integral_constantIbLb1EES10_IbLb0EEEEDaSW_SX_EUlSW_E_NS1_11comp_targetILNS1_3genE2ELNS1_11target_archE906ELNS1_3gpuE6ELNS1_3repE0EEENS1_30default_config_static_selectorELNS0_4arch9wavefront6targetE0EEEvT1_
	.p2align	8
	.type	_ZN7rocprim17ROCPRIM_400000_NS6detail17trampoline_kernelINS0_14default_configENS1_27scan_by_key_config_selectorIidEEZZNS1_16scan_by_key_implILNS1_25lookback_scan_determinismE0ELb0ES3_N6thrust23THRUST_200600_302600_NS6detail15normal_iteratorINS9_10device_ptrIiEEEENSB_INSC_IdEEEESG_dNS9_4plusIvEENS9_8equal_toIvEEdEE10hipError_tPvRmT2_T3_T4_T5_mT6_T7_P12ihipStream_tbENKUlT_T0_E_clISt17integral_constantIbLb1EES10_IbLb0EEEEDaSW_SX_EUlSW_E_NS1_11comp_targetILNS1_3genE2ELNS1_11target_archE906ELNS1_3gpuE6ELNS1_3repE0EEENS1_30default_config_static_selectorELNS0_4arch9wavefront6targetE0EEEvT1_,@function
_ZN7rocprim17ROCPRIM_400000_NS6detail17trampoline_kernelINS0_14default_configENS1_27scan_by_key_config_selectorIidEEZZNS1_16scan_by_key_implILNS1_25lookback_scan_determinismE0ELb0ES3_N6thrust23THRUST_200600_302600_NS6detail15normal_iteratorINS9_10device_ptrIiEEEENSB_INSC_IdEEEESG_dNS9_4plusIvEENS9_8equal_toIvEEdEE10hipError_tPvRmT2_T3_T4_T5_mT6_T7_P12ihipStream_tbENKUlT_T0_E_clISt17integral_constantIbLb1EES10_IbLb0EEEEDaSW_SX_EUlSW_E_NS1_11comp_targetILNS1_3genE2ELNS1_11target_archE906ELNS1_3gpuE6ELNS1_3repE0EEENS1_30default_config_static_selectorELNS0_4arch9wavefront6targetE0EEEvT1_: ; @_ZN7rocprim17ROCPRIM_400000_NS6detail17trampoline_kernelINS0_14default_configENS1_27scan_by_key_config_selectorIidEEZZNS1_16scan_by_key_implILNS1_25lookback_scan_determinismE0ELb0ES3_N6thrust23THRUST_200600_302600_NS6detail15normal_iteratorINS9_10device_ptrIiEEEENSB_INSC_IdEEEESG_dNS9_4plusIvEENS9_8equal_toIvEEdEE10hipError_tPvRmT2_T3_T4_T5_mT6_T7_P12ihipStream_tbENKUlT_T0_E_clISt17integral_constantIbLb1EES10_IbLb0EEEEDaSW_SX_EUlSW_E_NS1_11comp_targetILNS1_3genE2ELNS1_11target_archE906ELNS1_3gpuE6ELNS1_3repE0EEENS1_30default_config_static_selectorELNS0_4arch9wavefront6targetE0EEEvT1_
; %bb.0:
	.section	.rodata,"a",@progbits
	.p2align	6, 0x0
	.amdhsa_kernel _ZN7rocprim17ROCPRIM_400000_NS6detail17trampoline_kernelINS0_14default_configENS1_27scan_by_key_config_selectorIidEEZZNS1_16scan_by_key_implILNS1_25lookback_scan_determinismE0ELb0ES3_N6thrust23THRUST_200600_302600_NS6detail15normal_iteratorINS9_10device_ptrIiEEEENSB_INSC_IdEEEESG_dNS9_4plusIvEENS9_8equal_toIvEEdEE10hipError_tPvRmT2_T3_T4_T5_mT6_T7_P12ihipStream_tbENKUlT_T0_E_clISt17integral_constantIbLb1EES10_IbLb0EEEEDaSW_SX_EUlSW_E_NS1_11comp_targetILNS1_3genE2ELNS1_11target_archE906ELNS1_3gpuE6ELNS1_3repE0EEENS1_30default_config_static_selectorELNS0_4arch9wavefront6targetE0EEEvT1_
		.amdhsa_group_segment_fixed_size 0
		.amdhsa_private_segment_fixed_size 0
		.amdhsa_kernarg_size 136
		.amdhsa_user_sgpr_count 2
		.amdhsa_user_sgpr_dispatch_ptr 0
		.amdhsa_user_sgpr_queue_ptr 0
		.amdhsa_user_sgpr_kernarg_segment_ptr 1
		.amdhsa_user_sgpr_dispatch_id 0
		.amdhsa_user_sgpr_kernarg_preload_length 0
		.amdhsa_user_sgpr_kernarg_preload_offset 0
		.amdhsa_user_sgpr_private_segment_size 0
		.amdhsa_wavefront_size32 1
		.amdhsa_uses_dynamic_stack 0
		.amdhsa_enable_private_segment 0
		.amdhsa_system_sgpr_workgroup_id_x 1
		.amdhsa_system_sgpr_workgroup_id_y 0
		.amdhsa_system_sgpr_workgroup_id_z 0
		.amdhsa_system_sgpr_workgroup_info 0
		.amdhsa_system_vgpr_workitem_id 0
		.amdhsa_next_free_vgpr 1
		.amdhsa_next_free_sgpr 1
		.amdhsa_named_barrier_count 0
		.amdhsa_reserve_vcc 0
		.amdhsa_float_round_mode_32 0
		.amdhsa_float_round_mode_16_64 0
		.amdhsa_float_denorm_mode_32 3
		.amdhsa_float_denorm_mode_16_64 3
		.amdhsa_fp16_overflow 0
		.amdhsa_memory_ordered 1
		.amdhsa_forward_progress 1
		.amdhsa_inst_pref_size 0
		.amdhsa_round_robin_scheduling 0
		.amdhsa_exception_fp_ieee_invalid_op 0
		.amdhsa_exception_fp_denorm_src 0
		.amdhsa_exception_fp_ieee_div_zero 0
		.amdhsa_exception_fp_ieee_overflow 0
		.amdhsa_exception_fp_ieee_underflow 0
		.amdhsa_exception_fp_ieee_inexact 0
		.amdhsa_exception_int_div_zero 0
	.end_amdhsa_kernel
	.section	.text._ZN7rocprim17ROCPRIM_400000_NS6detail17trampoline_kernelINS0_14default_configENS1_27scan_by_key_config_selectorIidEEZZNS1_16scan_by_key_implILNS1_25lookback_scan_determinismE0ELb0ES3_N6thrust23THRUST_200600_302600_NS6detail15normal_iteratorINS9_10device_ptrIiEEEENSB_INSC_IdEEEESG_dNS9_4plusIvEENS9_8equal_toIvEEdEE10hipError_tPvRmT2_T3_T4_T5_mT6_T7_P12ihipStream_tbENKUlT_T0_E_clISt17integral_constantIbLb1EES10_IbLb0EEEEDaSW_SX_EUlSW_E_NS1_11comp_targetILNS1_3genE2ELNS1_11target_archE906ELNS1_3gpuE6ELNS1_3repE0EEENS1_30default_config_static_selectorELNS0_4arch9wavefront6targetE0EEEvT1_,"axG",@progbits,_ZN7rocprim17ROCPRIM_400000_NS6detail17trampoline_kernelINS0_14default_configENS1_27scan_by_key_config_selectorIidEEZZNS1_16scan_by_key_implILNS1_25lookback_scan_determinismE0ELb0ES3_N6thrust23THRUST_200600_302600_NS6detail15normal_iteratorINS9_10device_ptrIiEEEENSB_INSC_IdEEEESG_dNS9_4plusIvEENS9_8equal_toIvEEdEE10hipError_tPvRmT2_T3_T4_T5_mT6_T7_P12ihipStream_tbENKUlT_T0_E_clISt17integral_constantIbLb1EES10_IbLb0EEEEDaSW_SX_EUlSW_E_NS1_11comp_targetILNS1_3genE2ELNS1_11target_archE906ELNS1_3gpuE6ELNS1_3repE0EEENS1_30default_config_static_selectorELNS0_4arch9wavefront6targetE0EEEvT1_,comdat
.Lfunc_end1112:
	.size	_ZN7rocprim17ROCPRIM_400000_NS6detail17trampoline_kernelINS0_14default_configENS1_27scan_by_key_config_selectorIidEEZZNS1_16scan_by_key_implILNS1_25lookback_scan_determinismE0ELb0ES3_N6thrust23THRUST_200600_302600_NS6detail15normal_iteratorINS9_10device_ptrIiEEEENSB_INSC_IdEEEESG_dNS9_4plusIvEENS9_8equal_toIvEEdEE10hipError_tPvRmT2_T3_T4_T5_mT6_T7_P12ihipStream_tbENKUlT_T0_E_clISt17integral_constantIbLb1EES10_IbLb0EEEEDaSW_SX_EUlSW_E_NS1_11comp_targetILNS1_3genE2ELNS1_11target_archE906ELNS1_3gpuE6ELNS1_3repE0EEENS1_30default_config_static_selectorELNS0_4arch9wavefront6targetE0EEEvT1_, .Lfunc_end1112-_ZN7rocprim17ROCPRIM_400000_NS6detail17trampoline_kernelINS0_14default_configENS1_27scan_by_key_config_selectorIidEEZZNS1_16scan_by_key_implILNS1_25lookback_scan_determinismE0ELb0ES3_N6thrust23THRUST_200600_302600_NS6detail15normal_iteratorINS9_10device_ptrIiEEEENSB_INSC_IdEEEESG_dNS9_4plusIvEENS9_8equal_toIvEEdEE10hipError_tPvRmT2_T3_T4_T5_mT6_T7_P12ihipStream_tbENKUlT_T0_E_clISt17integral_constantIbLb1EES10_IbLb0EEEEDaSW_SX_EUlSW_E_NS1_11comp_targetILNS1_3genE2ELNS1_11target_archE906ELNS1_3gpuE6ELNS1_3repE0EEENS1_30default_config_static_selectorELNS0_4arch9wavefront6targetE0EEEvT1_
                                        ; -- End function
	.set _ZN7rocprim17ROCPRIM_400000_NS6detail17trampoline_kernelINS0_14default_configENS1_27scan_by_key_config_selectorIidEEZZNS1_16scan_by_key_implILNS1_25lookback_scan_determinismE0ELb0ES3_N6thrust23THRUST_200600_302600_NS6detail15normal_iteratorINS9_10device_ptrIiEEEENSB_INSC_IdEEEESG_dNS9_4plusIvEENS9_8equal_toIvEEdEE10hipError_tPvRmT2_T3_T4_T5_mT6_T7_P12ihipStream_tbENKUlT_T0_E_clISt17integral_constantIbLb1EES10_IbLb0EEEEDaSW_SX_EUlSW_E_NS1_11comp_targetILNS1_3genE2ELNS1_11target_archE906ELNS1_3gpuE6ELNS1_3repE0EEENS1_30default_config_static_selectorELNS0_4arch9wavefront6targetE0EEEvT1_.num_vgpr, 0
	.set _ZN7rocprim17ROCPRIM_400000_NS6detail17trampoline_kernelINS0_14default_configENS1_27scan_by_key_config_selectorIidEEZZNS1_16scan_by_key_implILNS1_25lookback_scan_determinismE0ELb0ES3_N6thrust23THRUST_200600_302600_NS6detail15normal_iteratorINS9_10device_ptrIiEEEENSB_INSC_IdEEEESG_dNS9_4plusIvEENS9_8equal_toIvEEdEE10hipError_tPvRmT2_T3_T4_T5_mT6_T7_P12ihipStream_tbENKUlT_T0_E_clISt17integral_constantIbLb1EES10_IbLb0EEEEDaSW_SX_EUlSW_E_NS1_11comp_targetILNS1_3genE2ELNS1_11target_archE906ELNS1_3gpuE6ELNS1_3repE0EEENS1_30default_config_static_selectorELNS0_4arch9wavefront6targetE0EEEvT1_.num_agpr, 0
	.set _ZN7rocprim17ROCPRIM_400000_NS6detail17trampoline_kernelINS0_14default_configENS1_27scan_by_key_config_selectorIidEEZZNS1_16scan_by_key_implILNS1_25lookback_scan_determinismE0ELb0ES3_N6thrust23THRUST_200600_302600_NS6detail15normal_iteratorINS9_10device_ptrIiEEEENSB_INSC_IdEEEESG_dNS9_4plusIvEENS9_8equal_toIvEEdEE10hipError_tPvRmT2_T3_T4_T5_mT6_T7_P12ihipStream_tbENKUlT_T0_E_clISt17integral_constantIbLb1EES10_IbLb0EEEEDaSW_SX_EUlSW_E_NS1_11comp_targetILNS1_3genE2ELNS1_11target_archE906ELNS1_3gpuE6ELNS1_3repE0EEENS1_30default_config_static_selectorELNS0_4arch9wavefront6targetE0EEEvT1_.numbered_sgpr, 0
	.set _ZN7rocprim17ROCPRIM_400000_NS6detail17trampoline_kernelINS0_14default_configENS1_27scan_by_key_config_selectorIidEEZZNS1_16scan_by_key_implILNS1_25lookback_scan_determinismE0ELb0ES3_N6thrust23THRUST_200600_302600_NS6detail15normal_iteratorINS9_10device_ptrIiEEEENSB_INSC_IdEEEESG_dNS9_4plusIvEENS9_8equal_toIvEEdEE10hipError_tPvRmT2_T3_T4_T5_mT6_T7_P12ihipStream_tbENKUlT_T0_E_clISt17integral_constantIbLb1EES10_IbLb0EEEEDaSW_SX_EUlSW_E_NS1_11comp_targetILNS1_3genE2ELNS1_11target_archE906ELNS1_3gpuE6ELNS1_3repE0EEENS1_30default_config_static_selectorELNS0_4arch9wavefront6targetE0EEEvT1_.num_named_barrier, 0
	.set _ZN7rocprim17ROCPRIM_400000_NS6detail17trampoline_kernelINS0_14default_configENS1_27scan_by_key_config_selectorIidEEZZNS1_16scan_by_key_implILNS1_25lookback_scan_determinismE0ELb0ES3_N6thrust23THRUST_200600_302600_NS6detail15normal_iteratorINS9_10device_ptrIiEEEENSB_INSC_IdEEEESG_dNS9_4plusIvEENS9_8equal_toIvEEdEE10hipError_tPvRmT2_T3_T4_T5_mT6_T7_P12ihipStream_tbENKUlT_T0_E_clISt17integral_constantIbLb1EES10_IbLb0EEEEDaSW_SX_EUlSW_E_NS1_11comp_targetILNS1_3genE2ELNS1_11target_archE906ELNS1_3gpuE6ELNS1_3repE0EEENS1_30default_config_static_selectorELNS0_4arch9wavefront6targetE0EEEvT1_.private_seg_size, 0
	.set _ZN7rocprim17ROCPRIM_400000_NS6detail17trampoline_kernelINS0_14default_configENS1_27scan_by_key_config_selectorIidEEZZNS1_16scan_by_key_implILNS1_25lookback_scan_determinismE0ELb0ES3_N6thrust23THRUST_200600_302600_NS6detail15normal_iteratorINS9_10device_ptrIiEEEENSB_INSC_IdEEEESG_dNS9_4plusIvEENS9_8equal_toIvEEdEE10hipError_tPvRmT2_T3_T4_T5_mT6_T7_P12ihipStream_tbENKUlT_T0_E_clISt17integral_constantIbLb1EES10_IbLb0EEEEDaSW_SX_EUlSW_E_NS1_11comp_targetILNS1_3genE2ELNS1_11target_archE906ELNS1_3gpuE6ELNS1_3repE0EEENS1_30default_config_static_selectorELNS0_4arch9wavefront6targetE0EEEvT1_.uses_vcc, 0
	.set _ZN7rocprim17ROCPRIM_400000_NS6detail17trampoline_kernelINS0_14default_configENS1_27scan_by_key_config_selectorIidEEZZNS1_16scan_by_key_implILNS1_25lookback_scan_determinismE0ELb0ES3_N6thrust23THRUST_200600_302600_NS6detail15normal_iteratorINS9_10device_ptrIiEEEENSB_INSC_IdEEEESG_dNS9_4plusIvEENS9_8equal_toIvEEdEE10hipError_tPvRmT2_T3_T4_T5_mT6_T7_P12ihipStream_tbENKUlT_T0_E_clISt17integral_constantIbLb1EES10_IbLb0EEEEDaSW_SX_EUlSW_E_NS1_11comp_targetILNS1_3genE2ELNS1_11target_archE906ELNS1_3gpuE6ELNS1_3repE0EEENS1_30default_config_static_selectorELNS0_4arch9wavefront6targetE0EEEvT1_.uses_flat_scratch, 0
	.set _ZN7rocprim17ROCPRIM_400000_NS6detail17trampoline_kernelINS0_14default_configENS1_27scan_by_key_config_selectorIidEEZZNS1_16scan_by_key_implILNS1_25lookback_scan_determinismE0ELb0ES3_N6thrust23THRUST_200600_302600_NS6detail15normal_iteratorINS9_10device_ptrIiEEEENSB_INSC_IdEEEESG_dNS9_4plusIvEENS9_8equal_toIvEEdEE10hipError_tPvRmT2_T3_T4_T5_mT6_T7_P12ihipStream_tbENKUlT_T0_E_clISt17integral_constantIbLb1EES10_IbLb0EEEEDaSW_SX_EUlSW_E_NS1_11comp_targetILNS1_3genE2ELNS1_11target_archE906ELNS1_3gpuE6ELNS1_3repE0EEENS1_30default_config_static_selectorELNS0_4arch9wavefront6targetE0EEEvT1_.has_dyn_sized_stack, 0
	.set _ZN7rocprim17ROCPRIM_400000_NS6detail17trampoline_kernelINS0_14default_configENS1_27scan_by_key_config_selectorIidEEZZNS1_16scan_by_key_implILNS1_25lookback_scan_determinismE0ELb0ES3_N6thrust23THRUST_200600_302600_NS6detail15normal_iteratorINS9_10device_ptrIiEEEENSB_INSC_IdEEEESG_dNS9_4plusIvEENS9_8equal_toIvEEdEE10hipError_tPvRmT2_T3_T4_T5_mT6_T7_P12ihipStream_tbENKUlT_T0_E_clISt17integral_constantIbLb1EES10_IbLb0EEEEDaSW_SX_EUlSW_E_NS1_11comp_targetILNS1_3genE2ELNS1_11target_archE906ELNS1_3gpuE6ELNS1_3repE0EEENS1_30default_config_static_selectorELNS0_4arch9wavefront6targetE0EEEvT1_.has_recursion, 0
	.set _ZN7rocprim17ROCPRIM_400000_NS6detail17trampoline_kernelINS0_14default_configENS1_27scan_by_key_config_selectorIidEEZZNS1_16scan_by_key_implILNS1_25lookback_scan_determinismE0ELb0ES3_N6thrust23THRUST_200600_302600_NS6detail15normal_iteratorINS9_10device_ptrIiEEEENSB_INSC_IdEEEESG_dNS9_4plusIvEENS9_8equal_toIvEEdEE10hipError_tPvRmT2_T3_T4_T5_mT6_T7_P12ihipStream_tbENKUlT_T0_E_clISt17integral_constantIbLb1EES10_IbLb0EEEEDaSW_SX_EUlSW_E_NS1_11comp_targetILNS1_3genE2ELNS1_11target_archE906ELNS1_3gpuE6ELNS1_3repE0EEENS1_30default_config_static_selectorELNS0_4arch9wavefront6targetE0EEEvT1_.has_indirect_call, 0
	.section	.AMDGPU.csdata,"",@progbits
; Kernel info:
; codeLenInByte = 0
; TotalNumSgprs: 0
; NumVgprs: 0
; ScratchSize: 0
; MemoryBound: 0
; FloatMode: 240
; IeeeMode: 1
; LDSByteSize: 0 bytes/workgroup (compile time only)
; SGPRBlocks: 0
; VGPRBlocks: 0
; NumSGPRsForWavesPerEU: 1
; NumVGPRsForWavesPerEU: 1
; NamedBarCnt: 0
; Occupancy: 16
; WaveLimiterHint : 0
; COMPUTE_PGM_RSRC2:SCRATCH_EN: 0
; COMPUTE_PGM_RSRC2:USER_SGPR: 2
; COMPUTE_PGM_RSRC2:TRAP_HANDLER: 0
; COMPUTE_PGM_RSRC2:TGID_X_EN: 1
; COMPUTE_PGM_RSRC2:TGID_Y_EN: 0
; COMPUTE_PGM_RSRC2:TGID_Z_EN: 0
; COMPUTE_PGM_RSRC2:TIDIG_COMP_CNT: 0
	.section	.text._ZN7rocprim17ROCPRIM_400000_NS6detail17trampoline_kernelINS0_14default_configENS1_27scan_by_key_config_selectorIidEEZZNS1_16scan_by_key_implILNS1_25lookback_scan_determinismE0ELb0ES3_N6thrust23THRUST_200600_302600_NS6detail15normal_iteratorINS9_10device_ptrIiEEEENSB_INSC_IdEEEESG_dNS9_4plusIvEENS9_8equal_toIvEEdEE10hipError_tPvRmT2_T3_T4_T5_mT6_T7_P12ihipStream_tbENKUlT_T0_E_clISt17integral_constantIbLb1EES10_IbLb0EEEEDaSW_SX_EUlSW_E_NS1_11comp_targetILNS1_3genE10ELNS1_11target_archE1200ELNS1_3gpuE4ELNS1_3repE0EEENS1_30default_config_static_selectorELNS0_4arch9wavefront6targetE0EEEvT1_,"axG",@progbits,_ZN7rocprim17ROCPRIM_400000_NS6detail17trampoline_kernelINS0_14default_configENS1_27scan_by_key_config_selectorIidEEZZNS1_16scan_by_key_implILNS1_25lookback_scan_determinismE0ELb0ES3_N6thrust23THRUST_200600_302600_NS6detail15normal_iteratorINS9_10device_ptrIiEEEENSB_INSC_IdEEEESG_dNS9_4plusIvEENS9_8equal_toIvEEdEE10hipError_tPvRmT2_T3_T4_T5_mT6_T7_P12ihipStream_tbENKUlT_T0_E_clISt17integral_constantIbLb1EES10_IbLb0EEEEDaSW_SX_EUlSW_E_NS1_11comp_targetILNS1_3genE10ELNS1_11target_archE1200ELNS1_3gpuE4ELNS1_3repE0EEENS1_30default_config_static_selectorELNS0_4arch9wavefront6targetE0EEEvT1_,comdat
	.protected	_ZN7rocprim17ROCPRIM_400000_NS6detail17trampoline_kernelINS0_14default_configENS1_27scan_by_key_config_selectorIidEEZZNS1_16scan_by_key_implILNS1_25lookback_scan_determinismE0ELb0ES3_N6thrust23THRUST_200600_302600_NS6detail15normal_iteratorINS9_10device_ptrIiEEEENSB_INSC_IdEEEESG_dNS9_4plusIvEENS9_8equal_toIvEEdEE10hipError_tPvRmT2_T3_T4_T5_mT6_T7_P12ihipStream_tbENKUlT_T0_E_clISt17integral_constantIbLb1EES10_IbLb0EEEEDaSW_SX_EUlSW_E_NS1_11comp_targetILNS1_3genE10ELNS1_11target_archE1200ELNS1_3gpuE4ELNS1_3repE0EEENS1_30default_config_static_selectorELNS0_4arch9wavefront6targetE0EEEvT1_ ; -- Begin function _ZN7rocprim17ROCPRIM_400000_NS6detail17trampoline_kernelINS0_14default_configENS1_27scan_by_key_config_selectorIidEEZZNS1_16scan_by_key_implILNS1_25lookback_scan_determinismE0ELb0ES3_N6thrust23THRUST_200600_302600_NS6detail15normal_iteratorINS9_10device_ptrIiEEEENSB_INSC_IdEEEESG_dNS9_4plusIvEENS9_8equal_toIvEEdEE10hipError_tPvRmT2_T3_T4_T5_mT6_T7_P12ihipStream_tbENKUlT_T0_E_clISt17integral_constantIbLb1EES10_IbLb0EEEEDaSW_SX_EUlSW_E_NS1_11comp_targetILNS1_3genE10ELNS1_11target_archE1200ELNS1_3gpuE4ELNS1_3repE0EEENS1_30default_config_static_selectorELNS0_4arch9wavefront6targetE0EEEvT1_
	.globl	_ZN7rocprim17ROCPRIM_400000_NS6detail17trampoline_kernelINS0_14default_configENS1_27scan_by_key_config_selectorIidEEZZNS1_16scan_by_key_implILNS1_25lookback_scan_determinismE0ELb0ES3_N6thrust23THRUST_200600_302600_NS6detail15normal_iteratorINS9_10device_ptrIiEEEENSB_INSC_IdEEEESG_dNS9_4plusIvEENS9_8equal_toIvEEdEE10hipError_tPvRmT2_T3_T4_T5_mT6_T7_P12ihipStream_tbENKUlT_T0_E_clISt17integral_constantIbLb1EES10_IbLb0EEEEDaSW_SX_EUlSW_E_NS1_11comp_targetILNS1_3genE10ELNS1_11target_archE1200ELNS1_3gpuE4ELNS1_3repE0EEENS1_30default_config_static_selectorELNS0_4arch9wavefront6targetE0EEEvT1_
	.p2align	8
	.type	_ZN7rocprim17ROCPRIM_400000_NS6detail17trampoline_kernelINS0_14default_configENS1_27scan_by_key_config_selectorIidEEZZNS1_16scan_by_key_implILNS1_25lookback_scan_determinismE0ELb0ES3_N6thrust23THRUST_200600_302600_NS6detail15normal_iteratorINS9_10device_ptrIiEEEENSB_INSC_IdEEEESG_dNS9_4plusIvEENS9_8equal_toIvEEdEE10hipError_tPvRmT2_T3_T4_T5_mT6_T7_P12ihipStream_tbENKUlT_T0_E_clISt17integral_constantIbLb1EES10_IbLb0EEEEDaSW_SX_EUlSW_E_NS1_11comp_targetILNS1_3genE10ELNS1_11target_archE1200ELNS1_3gpuE4ELNS1_3repE0EEENS1_30default_config_static_selectorELNS0_4arch9wavefront6targetE0EEEvT1_,@function
_ZN7rocprim17ROCPRIM_400000_NS6detail17trampoline_kernelINS0_14default_configENS1_27scan_by_key_config_selectorIidEEZZNS1_16scan_by_key_implILNS1_25lookback_scan_determinismE0ELb0ES3_N6thrust23THRUST_200600_302600_NS6detail15normal_iteratorINS9_10device_ptrIiEEEENSB_INSC_IdEEEESG_dNS9_4plusIvEENS9_8equal_toIvEEdEE10hipError_tPvRmT2_T3_T4_T5_mT6_T7_P12ihipStream_tbENKUlT_T0_E_clISt17integral_constantIbLb1EES10_IbLb0EEEEDaSW_SX_EUlSW_E_NS1_11comp_targetILNS1_3genE10ELNS1_11target_archE1200ELNS1_3gpuE4ELNS1_3repE0EEENS1_30default_config_static_selectorELNS0_4arch9wavefront6targetE0EEEvT1_: ; @_ZN7rocprim17ROCPRIM_400000_NS6detail17trampoline_kernelINS0_14default_configENS1_27scan_by_key_config_selectorIidEEZZNS1_16scan_by_key_implILNS1_25lookback_scan_determinismE0ELb0ES3_N6thrust23THRUST_200600_302600_NS6detail15normal_iteratorINS9_10device_ptrIiEEEENSB_INSC_IdEEEESG_dNS9_4plusIvEENS9_8equal_toIvEEdEE10hipError_tPvRmT2_T3_T4_T5_mT6_T7_P12ihipStream_tbENKUlT_T0_E_clISt17integral_constantIbLb1EES10_IbLb0EEEEDaSW_SX_EUlSW_E_NS1_11comp_targetILNS1_3genE10ELNS1_11target_archE1200ELNS1_3gpuE4ELNS1_3repE0EEENS1_30default_config_static_selectorELNS0_4arch9wavefront6targetE0EEEvT1_
; %bb.0:
	.section	.rodata,"a",@progbits
	.p2align	6, 0x0
	.amdhsa_kernel _ZN7rocprim17ROCPRIM_400000_NS6detail17trampoline_kernelINS0_14default_configENS1_27scan_by_key_config_selectorIidEEZZNS1_16scan_by_key_implILNS1_25lookback_scan_determinismE0ELb0ES3_N6thrust23THRUST_200600_302600_NS6detail15normal_iteratorINS9_10device_ptrIiEEEENSB_INSC_IdEEEESG_dNS9_4plusIvEENS9_8equal_toIvEEdEE10hipError_tPvRmT2_T3_T4_T5_mT6_T7_P12ihipStream_tbENKUlT_T0_E_clISt17integral_constantIbLb1EES10_IbLb0EEEEDaSW_SX_EUlSW_E_NS1_11comp_targetILNS1_3genE10ELNS1_11target_archE1200ELNS1_3gpuE4ELNS1_3repE0EEENS1_30default_config_static_selectorELNS0_4arch9wavefront6targetE0EEEvT1_
		.amdhsa_group_segment_fixed_size 0
		.amdhsa_private_segment_fixed_size 0
		.amdhsa_kernarg_size 136
		.amdhsa_user_sgpr_count 2
		.amdhsa_user_sgpr_dispatch_ptr 0
		.amdhsa_user_sgpr_queue_ptr 0
		.amdhsa_user_sgpr_kernarg_segment_ptr 1
		.amdhsa_user_sgpr_dispatch_id 0
		.amdhsa_user_sgpr_kernarg_preload_length 0
		.amdhsa_user_sgpr_kernarg_preload_offset 0
		.amdhsa_user_sgpr_private_segment_size 0
		.amdhsa_wavefront_size32 1
		.amdhsa_uses_dynamic_stack 0
		.amdhsa_enable_private_segment 0
		.amdhsa_system_sgpr_workgroup_id_x 1
		.amdhsa_system_sgpr_workgroup_id_y 0
		.amdhsa_system_sgpr_workgroup_id_z 0
		.amdhsa_system_sgpr_workgroup_info 0
		.amdhsa_system_vgpr_workitem_id 0
		.amdhsa_next_free_vgpr 1
		.amdhsa_next_free_sgpr 1
		.amdhsa_named_barrier_count 0
		.amdhsa_reserve_vcc 0
		.amdhsa_float_round_mode_32 0
		.amdhsa_float_round_mode_16_64 0
		.amdhsa_float_denorm_mode_32 3
		.amdhsa_float_denorm_mode_16_64 3
		.amdhsa_fp16_overflow 0
		.amdhsa_memory_ordered 1
		.amdhsa_forward_progress 1
		.amdhsa_inst_pref_size 0
		.amdhsa_round_robin_scheduling 0
		.amdhsa_exception_fp_ieee_invalid_op 0
		.amdhsa_exception_fp_denorm_src 0
		.amdhsa_exception_fp_ieee_div_zero 0
		.amdhsa_exception_fp_ieee_overflow 0
		.amdhsa_exception_fp_ieee_underflow 0
		.amdhsa_exception_fp_ieee_inexact 0
		.amdhsa_exception_int_div_zero 0
	.end_amdhsa_kernel
	.section	.text._ZN7rocprim17ROCPRIM_400000_NS6detail17trampoline_kernelINS0_14default_configENS1_27scan_by_key_config_selectorIidEEZZNS1_16scan_by_key_implILNS1_25lookback_scan_determinismE0ELb0ES3_N6thrust23THRUST_200600_302600_NS6detail15normal_iteratorINS9_10device_ptrIiEEEENSB_INSC_IdEEEESG_dNS9_4plusIvEENS9_8equal_toIvEEdEE10hipError_tPvRmT2_T3_T4_T5_mT6_T7_P12ihipStream_tbENKUlT_T0_E_clISt17integral_constantIbLb1EES10_IbLb0EEEEDaSW_SX_EUlSW_E_NS1_11comp_targetILNS1_3genE10ELNS1_11target_archE1200ELNS1_3gpuE4ELNS1_3repE0EEENS1_30default_config_static_selectorELNS0_4arch9wavefront6targetE0EEEvT1_,"axG",@progbits,_ZN7rocprim17ROCPRIM_400000_NS6detail17trampoline_kernelINS0_14default_configENS1_27scan_by_key_config_selectorIidEEZZNS1_16scan_by_key_implILNS1_25lookback_scan_determinismE0ELb0ES3_N6thrust23THRUST_200600_302600_NS6detail15normal_iteratorINS9_10device_ptrIiEEEENSB_INSC_IdEEEESG_dNS9_4plusIvEENS9_8equal_toIvEEdEE10hipError_tPvRmT2_T3_T4_T5_mT6_T7_P12ihipStream_tbENKUlT_T0_E_clISt17integral_constantIbLb1EES10_IbLb0EEEEDaSW_SX_EUlSW_E_NS1_11comp_targetILNS1_3genE10ELNS1_11target_archE1200ELNS1_3gpuE4ELNS1_3repE0EEENS1_30default_config_static_selectorELNS0_4arch9wavefront6targetE0EEEvT1_,comdat
.Lfunc_end1113:
	.size	_ZN7rocprim17ROCPRIM_400000_NS6detail17trampoline_kernelINS0_14default_configENS1_27scan_by_key_config_selectorIidEEZZNS1_16scan_by_key_implILNS1_25lookback_scan_determinismE0ELb0ES3_N6thrust23THRUST_200600_302600_NS6detail15normal_iteratorINS9_10device_ptrIiEEEENSB_INSC_IdEEEESG_dNS9_4plusIvEENS9_8equal_toIvEEdEE10hipError_tPvRmT2_T3_T4_T5_mT6_T7_P12ihipStream_tbENKUlT_T0_E_clISt17integral_constantIbLb1EES10_IbLb0EEEEDaSW_SX_EUlSW_E_NS1_11comp_targetILNS1_3genE10ELNS1_11target_archE1200ELNS1_3gpuE4ELNS1_3repE0EEENS1_30default_config_static_selectorELNS0_4arch9wavefront6targetE0EEEvT1_, .Lfunc_end1113-_ZN7rocprim17ROCPRIM_400000_NS6detail17trampoline_kernelINS0_14default_configENS1_27scan_by_key_config_selectorIidEEZZNS1_16scan_by_key_implILNS1_25lookback_scan_determinismE0ELb0ES3_N6thrust23THRUST_200600_302600_NS6detail15normal_iteratorINS9_10device_ptrIiEEEENSB_INSC_IdEEEESG_dNS9_4plusIvEENS9_8equal_toIvEEdEE10hipError_tPvRmT2_T3_T4_T5_mT6_T7_P12ihipStream_tbENKUlT_T0_E_clISt17integral_constantIbLb1EES10_IbLb0EEEEDaSW_SX_EUlSW_E_NS1_11comp_targetILNS1_3genE10ELNS1_11target_archE1200ELNS1_3gpuE4ELNS1_3repE0EEENS1_30default_config_static_selectorELNS0_4arch9wavefront6targetE0EEEvT1_
                                        ; -- End function
	.set _ZN7rocprim17ROCPRIM_400000_NS6detail17trampoline_kernelINS0_14default_configENS1_27scan_by_key_config_selectorIidEEZZNS1_16scan_by_key_implILNS1_25lookback_scan_determinismE0ELb0ES3_N6thrust23THRUST_200600_302600_NS6detail15normal_iteratorINS9_10device_ptrIiEEEENSB_INSC_IdEEEESG_dNS9_4plusIvEENS9_8equal_toIvEEdEE10hipError_tPvRmT2_T3_T4_T5_mT6_T7_P12ihipStream_tbENKUlT_T0_E_clISt17integral_constantIbLb1EES10_IbLb0EEEEDaSW_SX_EUlSW_E_NS1_11comp_targetILNS1_3genE10ELNS1_11target_archE1200ELNS1_3gpuE4ELNS1_3repE0EEENS1_30default_config_static_selectorELNS0_4arch9wavefront6targetE0EEEvT1_.num_vgpr, 0
	.set _ZN7rocprim17ROCPRIM_400000_NS6detail17trampoline_kernelINS0_14default_configENS1_27scan_by_key_config_selectorIidEEZZNS1_16scan_by_key_implILNS1_25lookback_scan_determinismE0ELb0ES3_N6thrust23THRUST_200600_302600_NS6detail15normal_iteratorINS9_10device_ptrIiEEEENSB_INSC_IdEEEESG_dNS9_4plusIvEENS9_8equal_toIvEEdEE10hipError_tPvRmT2_T3_T4_T5_mT6_T7_P12ihipStream_tbENKUlT_T0_E_clISt17integral_constantIbLb1EES10_IbLb0EEEEDaSW_SX_EUlSW_E_NS1_11comp_targetILNS1_3genE10ELNS1_11target_archE1200ELNS1_3gpuE4ELNS1_3repE0EEENS1_30default_config_static_selectorELNS0_4arch9wavefront6targetE0EEEvT1_.num_agpr, 0
	.set _ZN7rocprim17ROCPRIM_400000_NS6detail17trampoline_kernelINS0_14default_configENS1_27scan_by_key_config_selectorIidEEZZNS1_16scan_by_key_implILNS1_25lookback_scan_determinismE0ELb0ES3_N6thrust23THRUST_200600_302600_NS6detail15normal_iteratorINS9_10device_ptrIiEEEENSB_INSC_IdEEEESG_dNS9_4plusIvEENS9_8equal_toIvEEdEE10hipError_tPvRmT2_T3_T4_T5_mT6_T7_P12ihipStream_tbENKUlT_T0_E_clISt17integral_constantIbLb1EES10_IbLb0EEEEDaSW_SX_EUlSW_E_NS1_11comp_targetILNS1_3genE10ELNS1_11target_archE1200ELNS1_3gpuE4ELNS1_3repE0EEENS1_30default_config_static_selectorELNS0_4arch9wavefront6targetE0EEEvT1_.numbered_sgpr, 0
	.set _ZN7rocprim17ROCPRIM_400000_NS6detail17trampoline_kernelINS0_14default_configENS1_27scan_by_key_config_selectorIidEEZZNS1_16scan_by_key_implILNS1_25lookback_scan_determinismE0ELb0ES3_N6thrust23THRUST_200600_302600_NS6detail15normal_iteratorINS9_10device_ptrIiEEEENSB_INSC_IdEEEESG_dNS9_4plusIvEENS9_8equal_toIvEEdEE10hipError_tPvRmT2_T3_T4_T5_mT6_T7_P12ihipStream_tbENKUlT_T0_E_clISt17integral_constantIbLb1EES10_IbLb0EEEEDaSW_SX_EUlSW_E_NS1_11comp_targetILNS1_3genE10ELNS1_11target_archE1200ELNS1_3gpuE4ELNS1_3repE0EEENS1_30default_config_static_selectorELNS0_4arch9wavefront6targetE0EEEvT1_.num_named_barrier, 0
	.set _ZN7rocprim17ROCPRIM_400000_NS6detail17trampoline_kernelINS0_14default_configENS1_27scan_by_key_config_selectorIidEEZZNS1_16scan_by_key_implILNS1_25lookback_scan_determinismE0ELb0ES3_N6thrust23THRUST_200600_302600_NS6detail15normal_iteratorINS9_10device_ptrIiEEEENSB_INSC_IdEEEESG_dNS9_4plusIvEENS9_8equal_toIvEEdEE10hipError_tPvRmT2_T3_T4_T5_mT6_T7_P12ihipStream_tbENKUlT_T0_E_clISt17integral_constantIbLb1EES10_IbLb0EEEEDaSW_SX_EUlSW_E_NS1_11comp_targetILNS1_3genE10ELNS1_11target_archE1200ELNS1_3gpuE4ELNS1_3repE0EEENS1_30default_config_static_selectorELNS0_4arch9wavefront6targetE0EEEvT1_.private_seg_size, 0
	.set _ZN7rocprim17ROCPRIM_400000_NS6detail17trampoline_kernelINS0_14default_configENS1_27scan_by_key_config_selectorIidEEZZNS1_16scan_by_key_implILNS1_25lookback_scan_determinismE0ELb0ES3_N6thrust23THRUST_200600_302600_NS6detail15normal_iteratorINS9_10device_ptrIiEEEENSB_INSC_IdEEEESG_dNS9_4plusIvEENS9_8equal_toIvEEdEE10hipError_tPvRmT2_T3_T4_T5_mT6_T7_P12ihipStream_tbENKUlT_T0_E_clISt17integral_constantIbLb1EES10_IbLb0EEEEDaSW_SX_EUlSW_E_NS1_11comp_targetILNS1_3genE10ELNS1_11target_archE1200ELNS1_3gpuE4ELNS1_3repE0EEENS1_30default_config_static_selectorELNS0_4arch9wavefront6targetE0EEEvT1_.uses_vcc, 0
	.set _ZN7rocprim17ROCPRIM_400000_NS6detail17trampoline_kernelINS0_14default_configENS1_27scan_by_key_config_selectorIidEEZZNS1_16scan_by_key_implILNS1_25lookback_scan_determinismE0ELb0ES3_N6thrust23THRUST_200600_302600_NS6detail15normal_iteratorINS9_10device_ptrIiEEEENSB_INSC_IdEEEESG_dNS9_4plusIvEENS9_8equal_toIvEEdEE10hipError_tPvRmT2_T3_T4_T5_mT6_T7_P12ihipStream_tbENKUlT_T0_E_clISt17integral_constantIbLb1EES10_IbLb0EEEEDaSW_SX_EUlSW_E_NS1_11comp_targetILNS1_3genE10ELNS1_11target_archE1200ELNS1_3gpuE4ELNS1_3repE0EEENS1_30default_config_static_selectorELNS0_4arch9wavefront6targetE0EEEvT1_.uses_flat_scratch, 0
	.set _ZN7rocprim17ROCPRIM_400000_NS6detail17trampoline_kernelINS0_14default_configENS1_27scan_by_key_config_selectorIidEEZZNS1_16scan_by_key_implILNS1_25lookback_scan_determinismE0ELb0ES3_N6thrust23THRUST_200600_302600_NS6detail15normal_iteratorINS9_10device_ptrIiEEEENSB_INSC_IdEEEESG_dNS9_4plusIvEENS9_8equal_toIvEEdEE10hipError_tPvRmT2_T3_T4_T5_mT6_T7_P12ihipStream_tbENKUlT_T0_E_clISt17integral_constantIbLb1EES10_IbLb0EEEEDaSW_SX_EUlSW_E_NS1_11comp_targetILNS1_3genE10ELNS1_11target_archE1200ELNS1_3gpuE4ELNS1_3repE0EEENS1_30default_config_static_selectorELNS0_4arch9wavefront6targetE0EEEvT1_.has_dyn_sized_stack, 0
	.set _ZN7rocprim17ROCPRIM_400000_NS6detail17trampoline_kernelINS0_14default_configENS1_27scan_by_key_config_selectorIidEEZZNS1_16scan_by_key_implILNS1_25lookback_scan_determinismE0ELb0ES3_N6thrust23THRUST_200600_302600_NS6detail15normal_iteratorINS9_10device_ptrIiEEEENSB_INSC_IdEEEESG_dNS9_4plusIvEENS9_8equal_toIvEEdEE10hipError_tPvRmT2_T3_T4_T5_mT6_T7_P12ihipStream_tbENKUlT_T0_E_clISt17integral_constantIbLb1EES10_IbLb0EEEEDaSW_SX_EUlSW_E_NS1_11comp_targetILNS1_3genE10ELNS1_11target_archE1200ELNS1_3gpuE4ELNS1_3repE0EEENS1_30default_config_static_selectorELNS0_4arch9wavefront6targetE0EEEvT1_.has_recursion, 0
	.set _ZN7rocprim17ROCPRIM_400000_NS6detail17trampoline_kernelINS0_14default_configENS1_27scan_by_key_config_selectorIidEEZZNS1_16scan_by_key_implILNS1_25lookback_scan_determinismE0ELb0ES3_N6thrust23THRUST_200600_302600_NS6detail15normal_iteratorINS9_10device_ptrIiEEEENSB_INSC_IdEEEESG_dNS9_4plusIvEENS9_8equal_toIvEEdEE10hipError_tPvRmT2_T3_T4_T5_mT6_T7_P12ihipStream_tbENKUlT_T0_E_clISt17integral_constantIbLb1EES10_IbLb0EEEEDaSW_SX_EUlSW_E_NS1_11comp_targetILNS1_3genE10ELNS1_11target_archE1200ELNS1_3gpuE4ELNS1_3repE0EEENS1_30default_config_static_selectorELNS0_4arch9wavefront6targetE0EEEvT1_.has_indirect_call, 0
	.section	.AMDGPU.csdata,"",@progbits
; Kernel info:
; codeLenInByte = 0
; TotalNumSgprs: 0
; NumVgprs: 0
; ScratchSize: 0
; MemoryBound: 0
; FloatMode: 240
; IeeeMode: 1
; LDSByteSize: 0 bytes/workgroup (compile time only)
; SGPRBlocks: 0
; VGPRBlocks: 0
; NumSGPRsForWavesPerEU: 1
; NumVGPRsForWavesPerEU: 1
; NamedBarCnt: 0
; Occupancy: 16
; WaveLimiterHint : 0
; COMPUTE_PGM_RSRC2:SCRATCH_EN: 0
; COMPUTE_PGM_RSRC2:USER_SGPR: 2
; COMPUTE_PGM_RSRC2:TRAP_HANDLER: 0
; COMPUTE_PGM_RSRC2:TGID_X_EN: 1
; COMPUTE_PGM_RSRC2:TGID_Y_EN: 0
; COMPUTE_PGM_RSRC2:TGID_Z_EN: 0
; COMPUTE_PGM_RSRC2:TIDIG_COMP_CNT: 0
	.section	.text._ZN7rocprim17ROCPRIM_400000_NS6detail17trampoline_kernelINS0_14default_configENS1_27scan_by_key_config_selectorIidEEZZNS1_16scan_by_key_implILNS1_25lookback_scan_determinismE0ELb0ES3_N6thrust23THRUST_200600_302600_NS6detail15normal_iteratorINS9_10device_ptrIiEEEENSB_INSC_IdEEEESG_dNS9_4plusIvEENS9_8equal_toIvEEdEE10hipError_tPvRmT2_T3_T4_T5_mT6_T7_P12ihipStream_tbENKUlT_T0_E_clISt17integral_constantIbLb1EES10_IbLb0EEEEDaSW_SX_EUlSW_E_NS1_11comp_targetILNS1_3genE9ELNS1_11target_archE1100ELNS1_3gpuE3ELNS1_3repE0EEENS1_30default_config_static_selectorELNS0_4arch9wavefront6targetE0EEEvT1_,"axG",@progbits,_ZN7rocprim17ROCPRIM_400000_NS6detail17trampoline_kernelINS0_14default_configENS1_27scan_by_key_config_selectorIidEEZZNS1_16scan_by_key_implILNS1_25lookback_scan_determinismE0ELb0ES3_N6thrust23THRUST_200600_302600_NS6detail15normal_iteratorINS9_10device_ptrIiEEEENSB_INSC_IdEEEESG_dNS9_4plusIvEENS9_8equal_toIvEEdEE10hipError_tPvRmT2_T3_T4_T5_mT6_T7_P12ihipStream_tbENKUlT_T0_E_clISt17integral_constantIbLb1EES10_IbLb0EEEEDaSW_SX_EUlSW_E_NS1_11comp_targetILNS1_3genE9ELNS1_11target_archE1100ELNS1_3gpuE3ELNS1_3repE0EEENS1_30default_config_static_selectorELNS0_4arch9wavefront6targetE0EEEvT1_,comdat
	.protected	_ZN7rocprim17ROCPRIM_400000_NS6detail17trampoline_kernelINS0_14default_configENS1_27scan_by_key_config_selectorIidEEZZNS1_16scan_by_key_implILNS1_25lookback_scan_determinismE0ELb0ES3_N6thrust23THRUST_200600_302600_NS6detail15normal_iteratorINS9_10device_ptrIiEEEENSB_INSC_IdEEEESG_dNS9_4plusIvEENS9_8equal_toIvEEdEE10hipError_tPvRmT2_T3_T4_T5_mT6_T7_P12ihipStream_tbENKUlT_T0_E_clISt17integral_constantIbLb1EES10_IbLb0EEEEDaSW_SX_EUlSW_E_NS1_11comp_targetILNS1_3genE9ELNS1_11target_archE1100ELNS1_3gpuE3ELNS1_3repE0EEENS1_30default_config_static_selectorELNS0_4arch9wavefront6targetE0EEEvT1_ ; -- Begin function _ZN7rocprim17ROCPRIM_400000_NS6detail17trampoline_kernelINS0_14default_configENS1_27scan_by_key_config_selectorIidEEZZNS1_16scan_by_key_implILNS1_25lookback_scan_determinismE0ELb0ES3_N6thrust23THRUST_200600_302600_NS6detail15normal_iteratorINS9_10device_ptrIiEEEENSB_INSC_IdEEEESG_dNS9_4plusIvEENS9_8equal_toIvEEdEE10hipError_tPvRmT2_T3_T4_T5_mT6_T7_P12ihipStream_tbENKUlT_T0_E_clISt17integral_constantIbLb1EES10_IbLb0EEEEDaSW_SX_EUlSW_E_NS1_11comp_targetILNS1_3genE9ELNS1_11target_archE1100ELNS1_3gpuE3ELNS1_3repE0EEENS1_30default_config_static_selectorELNS0_4arch9wavefront6targetE0EEEvT1_
	.globl	_ZN7rocprim17ROCPRIM_400000_NS6detail17trampoline_kernelINS0_14default_configENS1_27scan_by_key_config_selectorIidEEZZNS1_16scan_by_key_implILNS1_25lookback_scan_determinismE0ELb0ES3_N6thrust23THRUST_200600_302600_NS6detail15normal_iteratorINS9_10device_ptrIiEEEENSB_INSC_IdEEEESG_dNS9_4plusIvEENS9_8equal_toIvEEdEE10hipError_tPvRmT2_T3_T4_T5_mT6_T7_P12ihipStream_tbENKUlT_T0_E_clISt17integral_constantIbLb1EES10_IbLb0EEEEDaSW_SX_EUlSW_E_NS1_11comp_targetILNS1_3genE9ELNS1_11target_archE1100ELNS1_3gpuE3ELNS1_3repE0EEENS1_30default_config_static_selectorELNS0_4arch9wavefront6targetE0EEEvT1_
	.p2align	8
	.type	_ZN7rocprim17ROCPRIM_400000_NS6detail17trampoline_kernelINS0_14default_configENS1_27scan_by_key_config_selectorIidEEZZNS1_16scan_by_key_implILNS1_25lookback_scan_determinismE0ELb0ES3_N6thrust23THRUST_200600_302600_NS6detail15normal_iteratorINS9_10device_ptrIiEEEENSB_INSC_IdEEEESG_dNS9_4plusIvEENS9_8equal_toIvEEdEE10hipError_tPvRmT2_T3_T4_T5_mT6_T7_P12ihipStream_tbENKUlT_T0_E_clISt17integral_constantIbLb1EES10_IbLb0EEEEDaSW_SX_EUlSW_E_NS1_11comp_targetILNS1_3genE9ELNS1_11target_archE1100ELNS1_3gpuE3ELNS1_3repE0EEENS1_30default_config_static_selectorELNS0_4arch9wavefront6targetE0EEEvT1_,@function
_ZN7rocprim17ROCPRIM_400000_NS6detail17trampoline_kernelINS0_14default_configENS1_27scan_by_key_config_selectorIidEEZZNS1_16scan_by_key_implILNS1_25lookback_scan_determinismE0ELb0ES3_N6thrust23THRUST_200600_302600_NS6detail15normal_iteratorINS9_10device_ptrIiEEEENSB_INSC_IdEEEESG_dNS9_4plusIvEENS9_8equal_toIvEEdEE10hipError_tPvRmT2_T3_T4_T5_mT6_T7_P12ihipStream_tbENKUlT_T0_E_clISt17integral_constantIbLb1EES10_IbLb0EEEEDaSW_SX_EUlSW_E_NS1_11comp_targetILNS1_3genE9ELNS1_11target_archE1100ELNS1_3gpuE3ELNS1_3repE0EEENS1_30default_config_static_selectorELNS0_4arch9wavefront6targetE0EEEvT1_: ; @_ZN7rocprim17ROCPRIM_400000_NS6detail17trampoline_kernelINS0_14default_configENS1_27scan_by_key_config_selectorIidEEZZNS1_16scan_by_key_implILNS1_25lookback_scan_determinismE0ELb0ES3_N6thrust23THRUST_200600_302600_NS6detail15normal_iteratorINS9_10device_ptrIiEEEENSB_INSC_IdEEEESG_dNS9_4plusIvEENS9_8equal_toIvEEdEE10hipError_tPvRmT2_T3_T4_T5_mT6_T7_P12ihipStream_tbENKUlT_T0_E_clISt17integral_constantIbLb1EES10_IbLb0EEEEDaSW_SX_EUlSW_E_NS1_11comp_targetILNS1_3genE9ELNS1_11target_archE1100ELNS1_3gpuE3ELNS1_3repE0EEENS1_30default_config_static_selectorELNS0_4arch9wavefront6targetE0EEEvT1_
; %bb.0:
	.section	.rodata,"a",@progbits
	.p2align	6, 0x0
	.amdhsa_kernel _ZN7rocprim17ROCPRIM_400000_NS6detail17trampoline_kernelINS0_14default_configENS1_27scan_by_key_config_selectorIidEEZZNS1_16scan_by_key_implILNS1_25lookback_scan_determinismE0ELb0ES3_N6thrust23THRUST_200600_302600_NS6detail15normal_iteratorINS9_10device_ptrIiEEEENSB_INSC_IdEEEESG_dNS9_4plusIvEENS9_8equal_toIvEEdEE10hipError_tPvRmT2_T3_T4_T5_mT6_T7_P12ihipStream_tbENKUlT_T0_E_clISt17integral_constantIbLb1EES10_IbLb0EEEEDaSW_SX_EUlSW_E_NS1_11comp_targetILNS1_3genE9ELNS1_11target_archE1100ELNS1_3gpuE3ELNS1_3repE0EEENS1_30default_config_static_selectorELNS0_4arch9wavefront6targetE0EEEvT1_
		.amdhsa_group_segment_fixed_size 0
		.amdhsa_private_segment_fixed_size 0
		.amdhsa_kernarg_size 136
		.amdhsa_user_sgpr_count 2
		.amdhsa_user_sgpr_dispatch_ptr 0
		.amdhsa_user_sgpr_queue_ptr 0
		.amdhsa_user_sgpr_kernarg_segment_ptr 1
		.amdhsa_user_sgpr_dispatch_id 0
		.amdhsa_user_sgpr_kernarg_preload_length 0
		.amdhsa_user_sgpr_kernarg_preload_offset 0
		.amdhsa_user_sgpr_private_segment_size 0
		.amdhsa_wavefront_size32 1
		.amdhsa_uses_dynamic_stack 0
		.amdhsa_enable_private_segment 0
		.amdhsa_system_sgpr_workgroup_id_x 1
		.amdhsa_system_sgpr_workgroup_id_y 0
		.amdhsa_system_sgpr_workgroup_id_z 0
		.amdhsa_system_sgpr_workgroup_info 0
		.amdhsa_system_vgpr_workitem_id 0
		.amdhsa_next_free_vgpr 1
		.amdhsa_next_free_sgpr 1
		.amdhsa_named_barrier_count 0
		.amdhsa_reserve_vcc 0
		.amdhsa_float_round_mode_32 0
		.amdhsa_float_round_mode_16_64 0
		.amdhsa_float_denorm_mode_32 3
		.amdhsa_float_denorm_mode_16_64 3
		.amdhsa_fp16_overflow 0
		.amdhsa_memory_ordered 1
		.amdhsa_forward_progress 1
		.amdhsa_inst_pref_size 0
		.amdhsa_round_robin_scheduling 0
		.amdhsa_exception_fp_ieee_invalid_op 0
		.amdhsa_exception_fp_denorm_src 0
		.amdhsa_exception_fp_ieee_div_zero 0
		.amdhsa_exception_fp_ieee_overflow 0
		.amdhsa_exception_fp_ieee_underflow 0
		.amdhsa_exception_fp_ieee_inexact 0
		.amdhsa_exception_int_div_zero 0
	.end_amdhsa_kernel
	.section	.text._ZN7rocprim17ROCPRIM_400000_NS6detail17trampoline_kernelINS0_14default_configENS1_27scan_by_key_config_selectorIidEEZZNS1_16scan_by_key_implILNS1_25lookback_scan_determinismE0ELb0ES3_N6thrust23THRUST_200600_302600_NS6detail15normal_iteratorINS9_10device_ptrIiEEEENSB_INSC_IdEEEESG_dNS9_4plusIvEENS9_8equal_toIvEEdEE10hipError_tPvRmT2_T3_T4_T5_mT6_T7_P12ihipStream_tbENKUlT_T0_E_clISt17integral_constantIbLb1EES10_IbLb0EEEEDaSW_SX_EUlSW_E_NS1_11comp_targetILNS1_3genE9ELNS1_11target_archE1100ELNS1_3gpuE3ELNS1_3repE0EEENS1_30default_config_static_selectorELNS0_4arch9wavefront6targetE0EEEvT1_,"axG",@progbits,_ZN7rocprim17ROCPRIM_400000_NS6detail17trampoline_kernelINS0_14default_configENS1_27scan_by_key_config_selectorIidEEZZNS1_16scan_by_key_implILNS1_25lookback_scan_determinismE0ELb0ES3_N6thrust23THRUST_200600_302600_NS6detail15normal_iteratorINS9_10device_ptrIiEEEENSB_INSC_IdEEEESG_dNS9_4plusIvEENS9_8equal_toIvEEdEE10hipError_tPvRmT2_T3_T4_T5_mT6_T7_P12ihipStream_tbENKUlT_T0_E_clISt17integral_constantIbLb1EES10_IbLb0EEEEDaSW_SX_EUlSW_E_NS1_11comp_targetILNS1_3genE9ELNS1_11target_archE1100ELNS1_3gpuE3ELNS1_3repE0EEENS1_30default_config_static_selectorELNS0_4arch9wavefront6targetE0EEEvT1_,comdat
.Lfunc_end1114:
	.size	_ZN7rocprim17ROCPRIM_400000_NS6detail17trampoline_kernelINS0_14default_configENS1_27scan_by_key_config_selectorIidEEZZNS1_16scan_by_key_implILNS1_25lookback_scan_determinismE0ELb0ES3_N6thrust23THRUST_200600_302600_NS6detail15normal_iteratorINS9_10device_ptrIiEEEENSB_INSC_IdEEEESG_dNS9_4plusIvEENS9_8equal_toIvEEdEE10hipError_tPvRmT2_T3_T4_T5_mT6_T7_P12ihipStream_tbENKUlT_T0_E_clISt17integral_constantIbLb1EES10_IbLb0EEEEDaSW_SX_EUlSW_E_NS1_11comp_targetILNS1_3genE9ELNS1_11target_archE1100ELNS1_3gpuE3ELNS1_3repE0EEENS1_30default_config_static_selectorELNS0_4arch9wavefront6targetE0EEEvT1_, .Lfunc_end1114-_ZN7rocprim17ROCPRIM_400000_NS6detail17trampoline_kernelINS0_14default_configENS1_27scan_by_key_config_selectorIidEEZZNS1_16scan_by_key_implILNS1_25lookback_scan_determinismE0ELb0ES3_N6thrust23THRUST_200600_302600_NS6detail15normal_iteratorINS9_10device_ptrIiEEEENSB_INSC_IdEEEESG_dNS9_4plusIvEENS9_8equal_toIvEEdEE10hipError_tPvRmT2_T3_T4_T5_mT6_T7_P12ihipStream_tbENKUlT_T0_E_clISt17integral_constantIbLb1EES10_IbLb0EEEEDaSW_SX_EUlSW_E_NS1_11comp_targetILNS1_3genE9ELNS1_11target_archE1100ELNS1_3gpuE3ELNS1_3repE0EEENS1_30default_config_static_selectorELNS0_4arch9wavefront6targetE0EEEvT1_
                                        ; -- End function
	.set _ZN7rocprim17ROCPRIM_400000_NS6detail17trampoline_kernelINS0_14default_configENS1_27scan_by_key_config_selectorIidEEZZNS1_16scan_by_key_implILNS1_25lookback_scan_determinismE0ELb0ES3_N6thrust23THRUST_200600_302600_NS6detail15normal_iteratorINS9_10device_ptrIiEEEENSB_INSC_IdEEEESG_dNS9_4plusIvEENS9_8equal_toIvEEdEE10hipError_tPvRmT2_T3_T4_T5_mT6_T7_P12ihipStream_tbENKUlT_T0_E_clISt17integral_constantIbLb1EES10_IbLb0EEEEDaSW_SX_EUlSW_E_NS1_11comp_targetILNS1_3genE9ELNS1_11target_archE1100ELNS1_3gpuE3ELNS1_3repE0EEENS1_30default_config_static_selectorELNS0_4arch9wavefront6targetE0EEEvT1_.num_vgpr, 0
	.set _ZN7rocprim17ROCPRIM_400000_NS6detail17trampoline_kernelINS0_14default_configENS1_27scan_by_key_config_selectorIidEEZZNS1_16scan_by_key_implILNS1_25lookback_scan_determinismE0ELb0ES3_N6thrust23THRUST_200600_302600_NS6detail15normal_iteratorINS9_10device_ptrIiEEEENSB_INSC_IdEEEESG_dNS9_4plusIvEENS9_8equal_toIvEEdEE10hipError_tPvRmT2_T3_T4_T5_mT6_T7_P12ihipStream_tbENKUlT_T0_E_clISt17integral_constantIbLb1EES10_IbLb0EEEEDaSW_SX_EUlSW_E_NS1_11comp_targetILNS1_3genE9ELNS1_11target_archE1100ELNS1_3gpuE3ELNS1_3repE0EEENS1_30default_config_static_selectorELNS0_4arch9wavefront6targetE0EEEvT1_.num_agpr, 0
	.set _ZN7rocprim17ROCPRIM_400000_NS6detail17trampoline_kernelINS0_14default_configENS1_27scan_by_key_config_selectorIidEEZZNS1_16scan_by_key_implILNS1_25lookback_scan_determinismE0ELb0ES3_N6thrust23THRUST_200600_302600_NS6detail15normal_iteratorINS9_10device_ptrIiEEEENSB_INSC_IdEEEESG_dNS9_4plusIvEENS9_8equal_toIvEEdEE10hipError_tPvRmT2_T3_T4_T5_mT6_T7_P12ihipStream_tbENKUlT_T0_E_clISt17integral_constantIbLb1EES10_IbLb0EEEEDaSW_SX_EUlSW_E_NS1_11comp_targetILNS1_3genE9ELNS1_11target_archE1100ELNS1_3gpuE3ELNS1_3repE0EEENS1_30default_config_static_selectorELNS0_4arch9wavefront6targetE0EEEvT1_.numbered_sgpr, 0
	.set _ZN7rocprim17ROCPRIM_400000_NS6detail17trampoline_kernelINS0_14default_configENS1_27scan_by_key_config_selectorIidEEZZNS1_16scan_by_key_implILNS1_25lookback_scan_determinismE0ELb0ES3_N6thrust23THRUST_200600_302600_NS6detail15normal_iteratorINS9_10device_ptrIiEEEENSB_INSC_IdEEEESG_dNS9_4plusIvEENS9_8equal_toIvEEdEE10hipError_tPvRmT2_T3_T4_T5_mT6_T7_P12ihipStream_tbENKUlT_T0_E_clISt17integral_constantIbLb1EES10_IbLb0EEEEDaSW_SX_EUlSW_E_NS1_11comp_targetILNS1_3genE9ELNS1_11target_archE1100ELNS1_3gpuE3ELNS1_3repE0EEENS1_30default_config_static_selectorELNS0_4arch9wavefront6targetE0EEEvT1_.num_named_barrier, 0
	.set _ZN7rocprim17ROCPRIM_400000_NS6detail17trampoline_kernelINS0_14default_configENS1_27scan_by_key_config_selectorIidEEZZNS1_16scan_by_key_implILNS1_25lookback_scan_determinismE0ELb0ES3_N6thrust23THRUST_200600_302600_NS6detail15normal_iteratorINS9_10device_ptrIiEEEENSB_INSC_IdEEEESG_dNS9_4plusIvEENS9_8equal_toIvEEdEE10hipError_tPvRmT2_T3_T4_T5_mT6_T7_P12ihipStream_tbENKUlT_T0_E_clISt17integral_constantIbLb1EES10_IbLb0EEEEDaSW_SX_EUlSW_E_NS1_11comp_targetILNS1_3genE9ELNS1_11target_archE1100ELNS1_3gpuE3ELNS1_3repE0EEENS1_30default_config_static_selectorELNS0_4arch9wavefront6targetE0EEEvT1_.private_seg_size, 0
	.set _ZN7rocprim17ROCPRIM_400000_NS6detail17trampoline_kernelINS0_14default_configENS1_27scan_by_key_config_selectorIidEEZZNS1_16scan_by_key_implILNS1_25lookback_scan_determinismE0ELb0ES3_N6thrust23THRUST_200600_302600_NS6detail15normal_iteratorINS9_10device_ptrIiEEEENSB_INSC_IdEEEESG_dNS9_4plusIvEENS9_8equal_toIvEEdEE10hipError_tPvRmT2_T3_T4_T5_mT6_T7_P12ihipStream_tbENKUlT_T0_E_clISt17integral_constantIbLb1EES10_IbLb0EEEEDaSW_SX_EUlSW_E_NS1_11comp_targetILNS1_3genE9ELNS1_11target_archE1100ELNS1_3gpuE3ELNS1_3repE0EEENS1_30default_config_static_selectorELNS0_4arch9wavefront6targetE0EEEvT1_.uses_vcc, 0
	.set _ZN7rocprim17ROCPRIM_400000_NS6detail17trampoline_kernelINS0_14default_configENS1_27scan_by_key_config_selectorIidEEZZNS1_16scan_by_key_implILNS1_25lookback_scan_determinismE0ELb0ES3_N6thrust23THRUST_200600_302600_NS6detail15normal_iteratorINS9_10device_ptrIiEEEENSB_INSC_IdEEEESG_dNS9_4plusIvEENS9_8equal_toIvEEdEE10hipError_tPvRmT2_T3_T4_T5_mT6_T7_P12ihipStream_tbENKUlT_T0_E_clISt17integral_constantIbLb1EES10_IbLb0EEEEDaSW_SX_EUlSW_E_NS1_11comp_targetILNS1_3genE9ELNS1_11target_archE1100ELNS1_3gpuE3ELNS1_3repE0EEENS1_30default_config_static_selectorELNS0_4arch9wavefront6targetE0EEEvT1_.uses_flat_scratch, 0
	.set _ZN7rocprim17ROCPRIM_400000_NS6detail17trampoline_kernelINS0_14default_configENS1_27scan_by_key_config_selectorIidEEZZNS1_16scan_by_key_implILNS1_25lookback_scan_determinismE0ELb0ES3_N6thrust23THRUST_200600_302600_NS6detail15normal_iteratorINS9_10device_ptrIiEEEENSB_INSC_IdEEEESG_dNS9_4plusIvEENS9_8equal_toIvEEdEE10hipError_tPvRmT2_T3_T4_T5_mT6_T7_P12ihipStream_tbENKUlT_T0_E_clISt17integral_constantIbLb1EES10_IbLb0EEEEDaSW_SX_EUlSW_E_NS1_11comp_targetILNS1_3genE9ELNS1_11target_archE1100ELNS1_3gpuE3ELNS1_3repE0EEENS1_30default_config_static_selectorELNS0_4arch9wavefront6targetE0EEEvT1_.has_dyn_sized_stack, 0
	.set _ZN7rocprim17ROCPRIM_400000_NS6detail17trampoline_kernelINS0_14default_configENS1_27scan_by_key_config_selectorIidEEZZNS1_16scan_by_key_implILNS1_25lookback_scan_determinismE0ELb0ES3_N6thrust23THRUST_200600_302600_NS6detail15normal_iteratorINS9_10device_ptrIiEEEENSB_INSC_IdEEEESG_dNS9_4plusIvEENS9_8equal_toIvEEdEE10hipError_tPvRmT2_T3_T4_T5_mT6_T7_P12ihipStream_tbENKUlT_T0_E_clISt17integral_constantIbLb1EES10_IbLb0EEEEDaSW_SX_EUlSW_E_NS1_11comp_targetILNS1_3genE9ELNS1_11target_archE1100ELNS1_3gpuE3ELNS1_3repE0EEENS1_30default_config_static_selectorELNS0_4arch9wavefront6targetE0EEEvT1_.has_recursion, 0
	.set _ZN7rocprim17ROCPRIM_400000_NS6detail17trampoline_kernelINS0_14default_configENS1_27scan_by_key_config_selectorIidEEZZNS1_16scan_by_key_implILNS1_25lookback_scan_determinismE0ELb0ES3_N6thrust23THRUST_200600_302600_NS6detail15normal_iteratorINS9_10device_ptrIiEEEENSB_INSC_IdEEEESG_dNS9_4plusIvEENS9_8equal_toIvEEdEE10hipError_tPvRmT2_T3_T4_T5_mT6_T7_P12ihipStream_tbENKUlT_T0_E_clISt17integral_constantIbLb1EES10_IbLb0EEEEDaSW_SX_EUlSW_E_NS1_11comp_targetILNS1_3genE9ELNS1_11target_archE1100ELNS1_3gpuE3ELNS1_3repE0EEENS1_30default_config_static_selectorELNS0_4arch9wavefront6targetE0EEEvT1_.has_indirect_call, 0
	.section	.AMDGPU.csdata,"",@progbits
; Kernel info:
; codeLenInByte = 0
; TotalNumSgprs: 0
; NumVgprs: 0
; ScratchSize: 0
; MemoryBound: 0
; FloatMode: 240
; IeeeMode: 1
; LDSByteSize: 0 bytes/workgroup (compile time only)
; SGPRBlocks: 0
; VGPRBlocks: 0
; NumSGPRsForWavesPerEU: 1
; NumVGPRsForWavesPerEU: 1
; NamedBarCnt: 0
; Occupancy: 16
; WaveLimiterHint : 0
; COMPUTE_PGM_RSRC2:SCRATCH_EN: 0
; COMPUTE_PGM_RSRC2:USER_SGPR: 2
; COMPUTE_PGM_RSRC2:TRAP_HANDLER: 0
; COMPUTE_PGM_RSRC2:TGID_X_EN: 1
; COMPUTE_PGM_RSRC2:TGID_Y_EN: 0
; COMPUTE_PGM_RSRC2:TGID_Z_EN: 0
; COMPUTE_PGM_RSRC2:TIDIG_COMP_CNT: 0
	.section	.text._ZN7rocprim17ROCPRIM_400000_NS6detail17trampoline_kernelINS0_14default_configENS1_27scan_by_key_config_selectorIidEEZZNS1_16scan_by_key_implILNS1_25lookback_scan_determinismE0ELb0ES3_N6thrust23THRUST_200600_302600_NS6detail15normal_iteratorINS9_10device_ptrIiEEEENSB_INSC_IdEEEESG_dNS9_4plusIvEENS9_8equal_toIvEEdEE10hipError_tPvRmT2_T3_T4_T5_mT6_T7_P12ihipStream_tbENKUlT_T0_E_clISt17integral_constantIbLb1EES10_IbLb0EEEEDaSW_SX_EUlSW_E_NS1_11comp_targetILNS1_3genE8ELNS1_11target_archE1030ELNS1_3gpuE2ELNS1_3repE0EEENS1_30default_config_static_selectorELNS0_4arch9wavefront6targetE0EEEvT1_,"axG",@progbits,_ZN7rocprim17ROCPRIM_400000_NS6detail17trampoline_kernelINS0_14default_configENS1_27scan_by_key_config_selectorIidEEZZNS1_16scan_by_key_implILNS1_25lookback_scan_determinismE0ELb0ES3_N6thrust23THRUST_200600_302600_NS6detail15normal_iteratorINS9_10device_ptrIiEEEENSB_INSC_IdEEEESG_dNS9_4plusIvEENS9_8equal_toIvEEdEE10hipError_tPvRmT2_T3_T4_T5_mT6_T7_P12ihipStream_tbENKUlT_T0_E_clISt17integral_constantIbLb1EES10_IbLb0EEEEDaSW_SX_EUlSW_E_NS1_11comp_targetILNS1_3genE8ELNS1_11target_archE1030ELNS1_3gpuE2ELNS1_3repE0EEENS1_30default_config_static_selectorELNS0_4arch9wavefront6targetE0EEEvT1_,comdat
	.protected	_ZN7rocprim17ROCPRIM_400000_NS6detail17trampoline_kernelINS0_14default_configENS1_27scan_by_key_config_selectorIidEEZZNS1_16scan_by_key_implILNS1_25lookback_scan_determinismE0ELb0ES3_N6thrust23THRUST_200600_302600_NS6detail15normal_iteratorINS9_10device_ptrIiEEEENSB_INSC_IdEEEESG_dNS9_4plusIvEENS9_8equal_toIvEEdEE10hipError_tPvRmT2_T3_T4_T5_mT6_T7_P12ihipStream_tbENKUlT_T0_E_clISt17integral_constantIbLb1EES10_IbLb0EEEEDaSW_SX_EUlSW_E_NS1_11comp_targetILNS1_3genE8ELNS1_11target_archE1030ELNS1_3gpuE2ELNS1_3repE0EEENS1_30default_config_static_selectorELNS0_4arch9wavefront6targetE0EEEvT1_ ; -- Begin function _ZN7rocprim17ROCPRIM_400000_NS6detail17trampoline_kernelINS0_14default_configENS1_27scan_by_key_config_selectorIidEEZZNS1_16scan_by_key_implILNS1_25lookback_scan_determinismE0ELb0ES3_N6thrust23THRUST_200600_302600_NS6detail15normal_iteratorINS9_10device_ptrIiEEEENSB_INSC_IdEEEESG_dNS9_4plusIvEENS9_8equal_toIvEEdEE10hipError_tPvRmT2_T3_T4_T5_mT6_T7_P12ihipStream_tbENKUlT_T0_E_clISt17integral_constantIbLb1EES10_IbLb0EEEEDaSW_SX_EUlSW_E_NS1_11comp_targetILNS1_3genE8ELNS1_11target_archE1030ELNS1_3gpuE2ELNS1_3repE0EEENS1_30default_config_static_selectorELNS0_4arch9wavefront6targetE0EEEvT1_
	.globl	_ZN7rocprim17ROCPRIM_400000_NS6detail17trampoline_kernelINS0_14default_configENS1_27scan_by_key_config_selectorIidEEZZNS1_16scan_by_key_implILNS1_25lookback_scan_determinismE0ELb0ES3_N6thrust23THRUST_200600_302600_NS6detail15normal_iteratorINS9_10device_ptrIiEEEENSB_INSC_IdEEEESG_dNS9_4plusIvEENS9_8equal_toIvEEdEE10hipError_tPvRmT2_T3_T4_T5_mT6_T7_P12ihipStream_tbENKUlT_T0_E_clISt17integral_constantIbLb1EES10_IbLb0EEEEDaSW_SX_EUlSW_E_NS1_11comp_targetILNS1_3genE8ELNS1_11target_archE1030ELNS1_3gpuE2ELNS1_3repE0EEENS1_30default_config_static_selectorELNS0_4arch9wavefront6targetE0EEEvT1_
	.p2align	8
	.type	_ZN7rocprim17ROCPRIM_400000_NS6detail17trampoline_kernelINS0_14default_configENS1_27scan_by_key_config_selectorIidEEZZNS1_16scan_by_key_implILNS1_25lookback_scan_determinismE0ELb0ES3_N6thrust23THRUST_200600_302600_NS6detail15normal_iteratorINS9_10device_ptrIiEEEENSB_INSC_IdEEEESG_dNS9_4plusIvEENS9_8equal_toIvEEdEE10hipError_tPvRmT2_T3_T4_T5_mT6_T7_P12ihipStream_tbENKUlT_T0_E_clISt17integral_constantIbLb1EES10_IbLb0EEEEDaSW_SX_EUlSW_E_NS1_11comp_targetILNS1_3genE8ELNS1_11target_archE1030ELNS1_3gpuE2ELNS1_3repE0EEENS1_30default_config_static_selectorELNS0_4arch9wavefront6targetE0EEEvT1_,@function
_ZN7rocprim17ROCPRIM_400000_NS6detail17trampoline_kernelINS0_14default_configENS1_27scan_by_key_config_selectorIidEEZZNS1_16scan_by_key_implILNS1_25lookback_scan_determinismE0ELb0ES3_N6thrust23THRUST_200600_302600_NS6detail15normal_iteratorINS9_10device_ptrIiEEEENSB_INSC_IdEEEESG_dNS9_4plusIvEENS9_8equal_toIvEEdEE10hipError_tPvRmT2_T3_T4_T5_mT6_T7_P12ihipStream_tbENKUlT_T0_E_clISt17integral_constantIbLb1EES10_IbLb0EEEEDaSW_SX_EUlSW_E_NS1_11comp_targetILNS1_3genE8ELNS1_11target_archE1030ELNS1_3gpuE2ELNS1_3repE0EEENS1_30default_config_static_selectorELNS0_4arch9wavefront6targetE0EEEvT1_: ; @_ZN7rocprim17ROCPRIM_400000_NS6detail17trampoline_kernelINS0_14default_configENS1_27scan_by_key_config_selectorIidEEZZNS1_16scan_by_key_implILNS1_25lookback_scan_determinismE0ELb0ES3_N6thrust23THRUST_200600_302600_NS6detail15normal_iteratorINS9_10device_ptrIiEEEENSB_INSC_IdEEEESG_dNS9_4plusIvEENS9_8equal_toIvEEdEE10hipError_tPvRmT2_T3_T4_T5_mT6_T7_P12ihipStream_tbENKUlT_T0_E_clISt17integral_constantIbLb1EES10_IbLb0EEEEDaSW_SX_EUlSW_E_NS1_11comp_targetILNS1_3genE8ELNS1_11target_archE1030ELNS1_3gpuE2ELNS1_3repE0EEENS1_30default_config_static_selectorELNS0_4arch9wavefront6targetE0EEEvT1_
; %bb.0:
	.section	.rodata,"a",@progbits
	.p2align	6, 0x0
	.amdhsa_kernel _ZN7rocprim17ROCPRIM_400000_NS6detail17trampoline_kernelINS0_14default_configENS1_27scan_by_key_config_selectorIidEEZZNS1_16scan_by_key_implILNS1_25lookback_scan_determinismE0ELb0ES3_N6thrust23THRUST_200600_302600_NS6detail15normal_iteratorINS9_10device_ptrIiEEEENSB_INSC_IdEEEESG_dNS9_4plusIvEENS9_8equal_toIvEEdEE10hipError_tPvRmT2_T3_T4_T5_mT6_T7_P12ihipStream_tbENKUlT_T0_E_clISt17integral_constantIbLb1EES10_IbLb0EEEEDaSW_SX_EUlSW_E_NS1_11comp_targetILNS1_3genE8ELNS1_11target_archE1030ELNS1_3gpuE2ELNS1_3repE0EEENS1_30default_config_static_selectorELNS0_4arch9wavefront6targetE0EEEvT1_
		.amdhsa_group_segment_fixed_size 0
		.amdhsa_private_segment_fixed_size 0
		.amdhsa_kernarg_size 136
		.amdhsa_user_sgpr_count 2
		.amdhsa_user_sgpr_dispatch_ptr 0
		.amdhsa_user_sgpr_queue_ptr 0
		.amdhsa_user_sgpr_kernarg_segment_ptr 1
		.amdhsa_user_sgpr_dispatch_id 0
		.amdhsa_user_sgpr_kernarg_preload_length 0
		.amdhsa_user_sgpr_kernarg_preload_offset 0
		.amdhsa_user_sgpr_private_segment_size 0
		.amdhsa_wavefront_size32 1
		.amdhsa_uses_dynamic_stack 0
		.amdhsa_enable_private_segment 0
		.amdhsa_system_sgpr_workgroup_id_x 1
		.amdhsa_system_sgpr_workgroup_id_y 0
		.amdhsa_system_sgpr_workgroup_id_z 0
		.amdhsa_system_sgpr_workgroup_info 0
		.amdhsa_system_vgpr_workitem_id 0
		.amdhsa_next_free_vgpr 1
		.amdhsa_next_free_sgpr 1
		.amdhsa_named_barrier_count 0
		.amdhsa_reserve_vcc 0
		.amdhsa_float_round_mode_32 0
		.amdhsa_float_round_mode_16_64 0
		.amdhsa_float_denorm_mode_32 3
		.amdhsa_float_denorm_mode_16_64 3
		.amdhsa_fp16_overflow 0
		.amdhsa_memory_ordered 1
		.amdhsa_forward_progress 1
		.amdhsa_inst_pref_size 0
		.amdhsa_round_robin_scheduling 0
		.amdhsa_exception_fp_ieee_invalid_op 0
		.amdhsa_exception_fp_denorm_src 0
		.amdhsa_exception_fp_ieee_div_zero 0
		.amdhsa_exception_fp_ieee_overflow 0
		.amdhsa_exception_fp_ieee_underflow 0
		.amdhsa_exception_fp_ieee_inexact 0
		.amdhsa_exception_int_div_zero 0
	.end_amdhsa_kernel
	.section	.text._ZN7rocprim17ROCPRIM_400000_NS6detail17trampoline_kernelINS0_14default_configENS1_27scan_by_key_config_selectorIidEEZZNS1_16scan_by_key_implILNS1_25lookback_scan_determinismE0ELb0ES3_N6thrust23THRUST_200600_302600_NS6detail15normal_iteratorINS9_10device_ptrIiEEEENSB_INSC_IdEEEESG_dNS9_4plusIvEENS9_8equal_toIvEEdEE10hipError_tPvRmT2_T3_T4_T5_mT6_T7_P12ihipStream_tbENKUlT_T0_E_clISt17integral_constantIbLb1EES10_IbLb0EEEEDaSW_SX_EUlSW_E_NS1_11comp_targetILNS1_3genE8ELNS1_11target_archE1030ELNS1_3gpuE2ELNS1_3repE0EEENS1_30default_config_static_selectorELNS0_4arch9wavefront6targetE0EEEvT1_,"axG",@progbits,_ZN7rocprim17ROCPRIM_400000_NS6detail17trampoline_kernelINS0_14default_configENS1_27scan_by_key_config_selectorIidEEZZNS1_16scan_by_key_implILNS1_25lookback_scan_determinismE0ELb0ES3_N6thrust23THRUST_200600_302600_NS6detail15normal_iteratorINS9_10device_ptrIiEEEENSB_INSC_IdEEEESG_dNS9_4plusIvEENS9_8equal_toIvEEdEE10hipError_tPvRmT2_T3_T4_T5_mT6_T7_P12ihipStream_tbENKUlT_T0_E_clISt17integral_constantIbLb1EES10_IbLb0EEEEDaSW_SX_EUlSW_E_NS1_11comp_targetILNS1_3genE8ELNS1_11target_archE1030ELNS1_3gpuE2ELNS1_3repE0EEENS1_30default_config_static_selectorELNS0_4arch9wavefront6targetE0EEEvT1_,comdat
.Lfunc_end1115:
	.size	_ZN7rocprim17ROCPRIM_400000_NS6detail17trampoline_kernelINS0_14default_configENS1_27scan_by_key_config_selectorIidEEZZNS1_16scan_by_key_implILNS1_25lookback_scan_determinismE0ELb0ES3_N6thrust23THRUST_200600_302600_NS6detail15normal_iteratorINS9_10device_ptrIiEEEENSB_INSC_IdEEEESG_dNS9_4plusIvEENS9_8equal_toIvEEdEE10hipError_tPvRmT2_T3_T4_T5_mT6_T7_P12ihipStream_tbENKUlT_T0_E_clISt17integral_constantIbLb1EES10_IbLb0EEEEDaSW_SX_EUlSW_E_NS1_11comp_targetILNS1_3genE8ELNS1_11target_archE1030ELNS1_3gpuE2ELNS1_3repE0EEENS1_30default_config_static_selectorELNS0_4arch9wavefront6targetE0EEEvT1_, .Lfunc_end1115-_ZN7rocprim17ROCPRIM_400000_NS6detail17trampoline_kernelINS0_14default_configENS1_27scan_by_key_config_selectorIidEEZZNS1_16scan_by_key_implILNS1_25lookback_scan_determinismE0ELb0ES3_N6thrust23THRUST_200600_302600_NS6detail15normal_iteratorINS9_10device_ptrIiEEEENSB_INSC_IdEEEESG_dNS9_4plusIvEENS9_8equal_toIvEEdEE10hipError_tPvRmT2_T3_T4_T5_mT6_T7_P12ihipStream_tbENKUlT_T0_E_clISt17integral_constantIbLb1EES10_IbLb0EEEEDaSW_SX_EUlSW_E_NS1_11comp_targetILNS1_3genE8ELNS1_11target_archE1030ELNS1_3gpuE2ELNS1_3repE0EEENS1_30default_config_static_selectorELNS0_4arch9wavefront6targetE0EEEvT1_
                                        ; -- End function
	.set _ZN7rocprim17ROCPRIM_400000_NS6detail17trampoline_kernelINS0_14default_configENS1_27scan_by_key_config_selectorIidEEZZNS1_16scan_by_key_implILNS1_25lookback_scan_determinismE0ELb0ES3_N6thrust23THRUST_200600_302600_NS6detail15normal_iteratorINS9_10device_ptrIiEEEENSB_INSC_IdEEEESG_dNS9_4plusIvEENS9_8equal_toIvEEdEE10hipError_tPvRmT2_T3_T4_T5_mT6_T7_P12ihipStream_tbENKUlT_T0_E_clISt17integral_constantIbLb1EES10_IbLb0EEEEDaSW_SX_EUlSW_E_NS1_11comp_targetILNS1_3genE8ELNS1_11target_archE1030ELNS1_3gpuE2ELNS1_3repE0EEENS1_30default_config_static_selectorELNS0_4arch9wavefront6targetE0EEEvT1_.num_vgpr, 0
	.set _ZN7rocprim17ROCPRIM_400000_NS6detail17trampoline_kernelINS0_14default_configENS1_27scan_by_key_config_selectorIidEEZZNS1_16scan_by_key_implILNS1_25lookback_scan_determinismE0ELb0ES3_N6thrust23THRUST_200600_302600_NS6detail15normal_iteratorINS9_10device_ptrIiEEEENSB_INSC_IdEEEESG_dNS9_4plusIvEENS9_8equal_toIvEEdEE10hipError_tPvRmT2_T3_T4_T5_mT6_T7_P12ihipStream_tbENKUlT_T0_E_clISt17integral_constantIbLb1EES10_IbLb0EEEEDaSW_SX_EUlSW_E_NS1_11comp_targetILNS1_3genE8ELNS1_11target_archE1030ELNS1_3gpuE2ELNS1_3repE0EEENS1_30default_config_static_selectorELNS0_4arch9wavefront6targetE0EEEvT1_.num_agpr, 0
	.set _ZN7rocprim17ROCPRIM_400000_NS6detail17trampoline_kernelINS0_14default_configENS1_27scan_by_key_config_selectorIidEEZZNS1_16scan_by_key_implILNS1_25lookback_scan_determinismE0ELb0ES3_N6thrust23THRUST_200600_302600_NS6detail15normal_iteratorINS9_10device_ptrIiEEEENSB_INSC_IdEEEESG_dNS9_4plusIvEENS9_8equal_toIvEEdEE10hipError_tPvRmT2_T3_T4_T5_mT6_T7_P12ihipStream_tbENKUlT_T0_E_clISt17integral_constantIbLb1EES10_IbLb0EEEEDaSW_SX_EUlSW_E_NS1_11comp_targetILNS1_3genE8ELNS1_11target_archE1030ELNS1_3gpuE2ELNS1_3repE0EEENS1_30default_config_static_selectorELNS0_4arch9wavefront6targetE0EEEvT1_.numbered_sgpr, 0
	.set _ZN7rocprim17ROCPRIM_400000_NS6detail17trampoline_kernelINS0_14default_configENS1_27scan_by_key_config_selectorIidEEZZNS1_16scan_by_key_implILNS1_25lookback_scan_determinismE0ELb0ES3_N6thrust23THRUST_200600_302600_NS6detail15normal_iteratorINS9_10device_ptrIiEEEENSB_INSC_IdEEEESG_dNS9_4plusIvEENS9_8equal_toIvEEdEE10hipError_tPvRmT2_T3_T4_T5_mT6_T7_P12ihipStream_tbENKUlT_T0_E_clISt17integral_constantIbLb1EES10_IbLb0EEEEDaSW_SX_EUlSW_E_NS1_11comp_targetILNS1_3genE8ELNS1_11target_archE1030ELNS1_3gpuE2ELNS1_3repE0EEENS1_30default_config_static_selectorELNS0_4arch9wavefront6targetE0EEEvT1_.num_named_barrier, 0
	.set _ZN7rocprim17ROCPRIM_400000_NS6detail17trampoline_kernelINS0_14default_configENS1_27scan_by_key_config_selectorIidEEZZNS1_16scan_by_key_implILNS1_25lookback_scan_determinismE0ELb0ES3_N6thrust23THRUST_200600_302600_NS6detail15normal_iteratorINS9_10device_ptrIiEEEENSB_INSC_IdEEEESG_dNS9_4plusIvEENS9_8equal_toIvEEdEE10hipError_tPvRmT2_T3_T4_T5_mT6_T7_P12ihipStream_tbENKUlT_T0_E_clISt17integral_constantIbLb1EES10_IbLb0EEEEDaSW_SX_EUlSW_E_NS1_11comp_targetILNS1_3genE8ELNS1_11target_archE1030ELNS1_3gpuE2ELNS1_3repE0EEENS1_30default_config_static_selectorELNS0_4arch9wavefront6targetE0EEEvT1_.private_seg_size, 0
	.set _ZN7rocprim17ROCPRIM_400000_NS6detail17trampoline_kernelINS0_14default_configENS1_27scan_by_key_config_selectorIidEEZZNS1_16scan_by_key_implILNS1_25lookback_scan_determinismE0ELb0ES3_N6thrust23THRUST_200600_302600_NS6detail15normal_iteratorINS9_10device_ptrIiEEEENSB_INSC_IdEEEESG_dNS9_4plusIvEENS9_8equal_toIvEEdEE10hipError_tPvRmT2_T3_T4_T5_mT6_T7_P12ihipStream_tbENKUlT_T0_E_clISt17integral_constantIbLb1EES10_IbLb0EEEEDaSW_SX_EUlSW_E_NS1_11comp_targetILNS1_3genE8ELNS1_11target_archE1030ELNS1_3gpuE2ELNS1_3repE0EEENS1_30default_config_static_selectorELNS0_4arch9wavefront6targetE0EEEvT1_.uses_vcc, 0
	.set _ZN7rocprim17ROCPRIM_400000_NS6detail17trampoline_kernelINS0_14default_configENS1_27scan_by_key_config_selectorIidEEZZNS1_16scan_by_key_implILNS1_25lookback_scan_determinismE0ELb0ES3_N6thrust23THRUST_200600_302600_NS6detail15normal_iteratorINS9_10device_ptrIiEEEENSB_INSC_IdEEEESG_dNS9_4plusIvEENS9_8equal_toIvEEdEE10hipError_tPvRmT2_T3_T4_T5_mT6_T7_P12ihipStream_tbENKUlT_T0_E_clISt17integral_constantIbLb1EES10_IbLb0EEEEDaSW_SX_EUlSW_E_NS1_11comp_targetILNS1_3genE8ELNS1_11target_archE1030ELNS1_3gpuE2ELNS1_3repE0EEENS1_30default_config_static_selectorELNS0_4arch9wavefront6targetE0EEEvT1_.uses_flat_scratch, 0
	.set _ZN7rocprim17ROCPRIM_400000_NS6detail17trampoline_kernelINS0_14default_configENS1_27scan_by_key_config_selectorIidEEZZNS1_16scan_by_key_implILNS1_25lookback_scan_determinismE0ELb0ES3_N6thrust23THRUST_200600_302600_NS6detail15normal_iteratorINS9_10device_ptrIiEEEENSB_INSC_IdEEEESG_dNS9_4plusIvEENS9_8equal_toIvEEdEE10hipError_tPvRmT2_T3_T4_T5_mT6_T7_P12ihipStream_tbENKUlT_T0_E_clISt17integral_constantIbLb1EES10_IbLb0EEEEDaSW_SX_EUlSW_E_NS1_11comp_targetILNS1_3genE8ELNS1_11target_archE1030ELNS1_3gpuE2ELNS1_3repE0EEENS1_30default_config_static_selectorELNS0_4arch9wavefront6targetE0EEEvT1_.has_dyn_sized_stack, 0
	.set _ZN7rocprim17ROCPRIM_400000_NS6detail17trampoline_kernelINS0_14default_configENS1_27scan_by_key_config_selectorIidEEZZNS1_16scan_by_key_implILNS1_25lookback_scan_determinismE0ELb0ES3_N6thrust23THRUST_200600_302600_NS6detail15normal_iteratorINS9_10device_ptrIiEEEENSB_INSC_IdEEEESG_dNS9_4plusIvEENS9_8equal_toIvEEdEE10hipError_tPvRmT2_T3_T4_T5_mT6_T7_P12ihipStream_tbENKUlT_T0_E_clISt17integral_constantIbLb1EES10_IbLb0EEEEDaSW_SX_EUlSW_E_NS1_11comp_targetILNS1_3genE8ELNS1_11target_archE1030ELNS1_3gpuE2ELNS1_3repE0EEENS1_30default_config_static_selectorELNS0_4arch9wavefront6targetE0EEEvT1_.has_recursion, 0
	.set _ZN7rocprim17ROCPRIM_400000_NS6detail17trampoline_kernelINS0_14default_configENS1_27scan_by_key_config_selectorIidEEZZNS1_16scan_by_key_implILNS1_25lookback_scan_determinismE0ELb0ES3_N6thrust23THRUST_200600_302600_NS6detail15normal_iteratorINS9_10device_ptrIiEEEENSB_INSC_IdEEEESG_dNS9_4plusIvEENS9_8equal_toIvEEdEE10hipError_tPvRmT2_T3_T4_T5_mT6_T7_P12ihipStream_tbENKUlT_T0_E_clISt17integral_constantIbLb1EES10_IbLb0EEEEDaSW_SX_EUlSW_E_NS1_11comp_targetILNS1_3genE8ELNS1_11target_archE1030ELNS1_3gpuE2ELNS1_3repE0EEENS1_30default_config_static_selectorELNS0_4arch9wavefront6targetE0EEEvT1_.has_indirect_call, 0
	.section	.AMDGPU.csdata,"",@progbits
; Kernel info:
; codeLenInByte = 0
; TotalNumSgprs: 0
; NumVgprs: 0
; ScratchSize: 0
; MemoryBound: 0
; FloatMode: 240
; IeeeMode: 1
; LDSByteSize: 0 bytes/workgroup (compile time only)
; SGPRBlocks: 0
; VGPRBlocks: 0
; NumSGPRsForWavesPerEU: 1
; NumVGPRsForWavesPerEU: 1
; NamedBarCnt: 0
; Occupancy: 16
; WaveLimiterHint : 0
; COMPUTE_PGM_RSRC2:SCRATCH_EN: 0
; COMPUTE_PGM_RSRC2:USER_SGPR: 2
; COMPUTE_PGM_RSRC2:TRAP_HANDLER: 0
; COMPUTE_PGM_RSRC2:TGID_X_EN: 1
; COMPUTE_PGM_RSRC2:TGID_Y_EN: 0
; COMPUTE_PGM_RSRC2:TGID_Z_EN: 0
; COMPUTE_PGM_RSRC2:TIDIG_COMP_CNT: 0
	.section	.text._ZN7rocprim17ROCPRIM_400000_NS6detail30init_device_scan_by_key_kernelINS1_19lookback_scan_stateINS0_5tupleIJdbEEELb0ELb0EEEN6thrust23THRUST_200600_302600_NS6detail15normal_iteratorINS8_10device_ptrIiEEEEjNS1_16block_id_wrapperIjLb1EEEEEvT_jjPNSG_10value_typeET0_PNSt15iterator_traitsISJ_E10value_typeEmT1_T2_,"axG",@progbits,_ZN7rocprim17ROCPRIM_400000_NS6detail30init_device_scan_by_key_kernelINS1_19lookback_scan_stateINS0_5tupleIJdbEEELb0ELb0EEEN6thrust23THRUST_200600_302600_NS6detail15normal_iteratorINS8_10device_ptrIiEEEEjNS1_16block_id_wrapperIjLb1EEEEEvT_jjPNSG_10value_typeET0_PNSt15iterator_traitsISJ_E10value_typeEmT1_T2_,comdat
	.protected	_ZN7rocprim17ROCPRIM_400000_NS6detail30init_device_scan_by_key_kernelINS1_19lookback_scan_stateINS0_5tupleIJdbEEELb0ELb0EEEN6thrust23THRUST_200600_302600_NS6detail15normal_iteratorINS8_10device_ptrIiEEEEjNS1_16block_id_wrapperIjLb1EEEEEvT_jjPNSG_10value_typeET0_PNSt15iterator_traitsISJ_E10value_typeEmT1_T2_ ; -- Begin function _ZN7rocprim17ROCPRIM_400000_NS6detail30init_device_scan_by_key_kernelINS1_19lookback_scan_stateINS0_5tupleIJdbEEELb0ELb0EEEN6thrust23THRUST_200600_302600_NS6detail15normal_iteratorINS8_10device_ptrIiEEEEjNS1_16block_id_wrapperIjLb1EEEEEvT_jjPNSG_10value_typeET0_PNSt15iterator_traitsISJ_E10value_typeEmT1_T2_
	.globl	_ZN7rocprim17ROCPRIM_400000_NS6detail30init_device_scan_by_key_kernelINS1_19lookback_scan_stateINS0_5tupleIJdbEEELb0ELb0EEEN6thrust23THRUST_200600_302600_NS6detail15normal_iteratorINS8_10device_ptrIiEEEEjNS1_16block_id_wrapperIjLb1EEEEEvT_jjPNSG_10value_typeET0_PNSt15iterator_traitsISJ_E10value_typeEmT1_T2_
	.p2align	8
	.type	_ZN7rocprim17ROCPRIM_400000_NS6detail30init_device_scan_by_key_kernelINS1_19lookback_scan_stateINS0_5tupleIJdbEEELb0ELb0EEEN6thrust23THRUST_200600_302600_NS6detail15normal_iteratorINS8_10device_ptrIiEEEEjNS1_16block_id_wrapperIjLb1EEEEEvT_jjPNSG_10value_typeET0_PNSt15iterator_traitsISJ_E10value_typeEmT1_T2_,@function
_ZN7rocprim17ROCPRIM_400000_NS6detail30init_device_scan_by_key_kernelINS1_19lookback_scan_stateINS0_5tupleIJdbEEELb0ELb0EEEN6thrust23THRUST_200600_302600_NS6detail15normal_iteratorINS8_10device_ptrIiEEEEjNS1_16block_id_wrapperIjLb1EEEEEvT_jjPNSG_10value_typeET0_PNSt15iterator_traitsISJ_E10value_typeEmT1_T2_: ; @_ZN7rocprim17ROCPRIM_400000_NS6detail30init_device_scan_by_key_kernelINS1_19lookback_scan_stateINS0_5tupleIJdbEEELb0ELb0EEEN6thrust23THRUST_200600_302600_NS6detail15normal_iteratorINS8_10device_ptrIiEEEEjNS1_16block_id_wrapperIjLb1EEEEEvT_jjPNSG_10value_typeET0_PNSt15iterator_traitsISJ_E10value_typeEmT1_T2_
; %bb.0:
	s_clause 0x2
	s_load_b32 s2, s[0:1], 0x5c
	s_load_b32 s18, s[0:1], 0x50
	s_load_b256 s[4:11], s[0:1], 0x10
	s_bfe_u32 s3, ttmp6, 0x4000c
	s_and_b32 s12, ttmp6, 15
	s_add_co_i32 s3, s3, 1
	s_getreg_b32 s13, hwreg(HW_REG_IB_STS2, 6, 4)
	s_mul_i32 s3, ttmp9, s3
	s_delay_alu instid0(SALU_CYCLE_1)
	s_add_co_i32 s12, s12, s3
	s_wait_kmcnt 0x0
	s_and_b32 s19, s2, 0xffff
	s_cmp_eq_u32 s13, 0
	s_cselect_b32 s2, ttmp9, s12
	s_cmp_eq_u64 s[8:9], 0
	v_mad_u32 v0, s2, s19, v0
	s_cbranch_scc1 .LBB1116_7
; %bb.1:
	s_cmp_lt_u32 s7, s6
	s_mov_b32 s20, exec_lo
	s_cselect_b32 s2, s7, 0
	s_delay_alu instid0(VALU_DEP_1) | instid1(SALU_CYCLE_1)
	v_cmpx_eq_u32_e64 s2, v0
	s_cbranch_execz .LBB1116_6
; %bb.2:
	s_add_co_i32 s2, s7, 32
	s_load_b128 s[12:15], s[0:1], 0x0
	v_mov_b32_e32 v1, s2
	s_mov_b32 s3, 0
	global_load_u8 v1, v1, s[4:5] scope:SCOPE_DEV
	s_wait_loadcnt 0x0
	v_and_b32_e32 v2, 0xffff, v1
	v_readfirstlane_b32 s7, v1
	s_delay_alu instid0(VALU_DEP_2)
	v_cmp_ne_u32_e32 vcc_lo, 0, v2
	s_cbranch_vccnz .LBB1116_5
; %bb.3:
	v_mov_b32_e32 v1, 0
	s_add_nc_u64 s[16:17], s[4:5], s[2:3]
.LBB1116_4:                             ; =>This Inner Loop Header: Depth=1
	global_load_u8 v2, v1, s[16:17] scope:SCOPE_DEV
	s_wait_loadcnt 0x0
	v_and_b32_e32 v3, 0xffff, v2
	v_readfirstlane_b32 s7, v2
	s_delay_alu instid0(VALU_DEP_2)
	v_cmp_eq_u32_e32 vcc_lo, 0, v3
	s_cbranch_vccnz .LBB1116_4
.LBB1116_5:
	s_and_b32 s7, 0xffff, s7
	v_mov_b32_e32 v1, 0
	s_cmp_eq_u32 s7, 1
	global_wb scope:SCOPE_DEV
	s_wait_storecnt 0x0
	global_inv scope:SCOPE_DEV
	s_wait_kmcnt 0x0
	s_cselect_b32 s13, s13, s15
	s_cselect_b32 s12, s12, s14
	s_lshl_b64 s[2:3], s[2:3], 4
	s_delay_alu instid0(SALU_CYCLE_1)
	s_add_nc_u64 s[2:3], s[12:13], s[2:3]
	s_clause 0x1
	global_load_b64 v[2:3], v1, s[2:3]
	global_load_u8 v4, v1, s[2:3] offset:8
	s_wait_loadcnt 0x1
	global_store_b64 v1, v[2:3], s[8:9]
	s_wait_loadcnt 0x0
	global_store_b8 v1, v4, s[8:9] offset:8
.LBB1116_6:
	s_wait_xcnt 0x0
	s_or_b32 exec_lo, exec_lo, s20
.LBB1116_7:
	s_delay_alu instid0(SALU_CYCLE_1) | instskip(NEXT) | instid1(VALU_DEP_1)
	s_mov_b32 s2, exec_lo
	v_cmpx_eq_u32_e32 0, v0
	s_cbranch_execz .LBB1116_9
; %bb.8:
	s_load_b64 s[8:9], s[0:1], 0x48
	v_mov_b32_e32 v1, 0
	s_wait_kmcnt 0x0
	global_store_b32 v1, v1, s[8:9]
.LBB1116_9:
	s_wait_xcnt 0x0
	s_or_b32 exec_lo, exec_lo, s2
	s_delay_alu instid0(SALU_CYCLE_1)
	s_mov_b32 s2, exec_lo
	v_cmpx_gt_u32_e64 s6, v0
	s_cbranch_execz .LBB1116_11
; %bb.10:
	v_dual_mov_b32 v2, 0 :: v_dual_add_nc_u32 v1, 32, v0
	global_store_b8 v1, v2, s[4:5]
.LBB1116_11:
	s_wait_xcnt 0x0
	s_or_b32 exec_lo, exec_lo, s2
	v_mov_b32_e32 v1, 0
	s_mov_b32 s2, exec_lo
	v_cmpx_gt_u32_e32 32, v0
	s_cbranch_execz .LBB1116_13
; %bb.12:
	s_delay_alu instid0(VALU_DEP_2)
	v_add_nc_u64_e32 v[2:3], s[4:5], v[0:1]
	v_mov_b32_e32 v4, 0xff
	global_store_b8 v[2:3], v4, off
.LBB1116_13:
	s_wait_xcnt 0x0
	s_or_b32 exec_lo, exec_lo, s2
	s_load_b64 s[2:3], s[0:1], 0x38
	s_mov_b32 s4, exec_lo
	s_wait_kmcnt 0x0
	v_cmpx_gt_u64_e64 s[2:3], v[0:1]
	s_cbranch_execz .LBB1116_16
; %bb.14:
	s_clause 0x1
	s_load_b32 s4, s[0:1], 0x40
	s_load_b64 s[6:7], s[0:1], 0x30
	s_mov_b32 s5, 0
	s_wait_xcnt 0x0
	s_mul_i32 s0, s18, s19
	s_mov_b32 s9, s5
	s_mov_b32 s1, s5
	s_wait_kmcnt 0x0
	v_mul_u64_e32 v[2:3], s[4:5], v[0:1]
	s_add_co_i32 s8, s4, -1
	v_lshl_add_u64 v[4:5], v[0:1], 2, s[6:7]
	s_lshl_b64 s[8:9], s[8:9], 2
	s_delay_alu instid0(SALU_CYCLE_1) | instskip(SKIP_1) | instid1(SALU_CYCLE_1)
	s_add_nc_u64 s[8:9], s[10:11], s[8:9]
	s_mul_u64 s[10:11], s[4:5], s[0:1]
	s_lshl_b64 s[6:7], s[10:11], 2
	s_delay_alu instid0(VALU_DEP_2)
	v_lshl_add_u64 v[2:3], v[2:3], 2, s[8:9]
	s_lshl_b64 s[8:9], s[0:1], 2
.LBB1116_15:                            ; =>This Inner Loop Header: Depth=1
	global_load_b32 v6, v[2:3], off
	v_add_nc_u64_e32 v[0:1], s[0:1], v[0:1]
	s_wait_xcnt 0x0
	v_add_nc_u64_e32 v[2:3], s[6:7], v[2:3]
	s_delay_alu instid0(VALU_DEP_2)
	v_cmp_le_u64_e32 vcc_lo, s[2:3], v[0:1]
	s_or_b32 s5, vcc_lo, s5
	s_wait_loadcnt 0x0
	global_store_b32 v[4:5], v6, off
	s_wait_xcnt 0x0
	v_add_nc_u64_e32 v[4:5], s[8:9], v[4:5]
	s_and_not1_b32 exec_lo, exec_lo, s5
	s_cbranch_execnz .LBB1116_15
.LBB1116_16:
	s_endpgm
	.section	.rodata,"a",@progbits
	.p2align	6, 0x0
	.amdhsa_kernel _ZN7rocprim17ROCPRIM_400000_NS6detail30init_device_scan_by_key_kernelINS1_19lookback_scan_stateINS0_5tupleIJdbEEELb0ELb0EEEN6thrust23THRUST_200600_302600_NS6detail15normal_iteratorINS8_10device_ptrIiEEEEjNS1_16block_id_wrapperIjLb1EEEEEvT_jjPNSG_10value_typeET0_PNSt15iterator_traitsISJ_E10value_typeEmT1_T2_
		.amdhsa_group_segment_fixed_size 0
		.amdhsa_private_segment_fixed_size 0
		.amdhsa_kernarg_size 336
		.amdhsa_user_sgpr_count 2
		.amdhsa_user_sgpr_dispatch_ptr 0
		.amdhsa_user_sgpr_queue_ptr 0
		.amdhsa_user_sgpr_kernarg_segment_ptr 1
		.amdhsa_user_sgpr_dispatch_id 0
		.amdhsa_user_sgpr_kernarg_preload_length 0
		.amdhsa_user_sgpr_kernarg_preload_offset 0
		.amdhsa_user_sgpr_private_segment_size 0
		.amdhsa_wavefront_size32 1
		.amdhsa_uses_dynamic_stack 0
		.amdhsa_enable_private_segment 0
		.amdhsa_system_sgpr_workgroup_id_x 1
		.amdhsa_system_sgpr_workgroup_id_y 0
		.amdhsa_system_sgpr_workgroup_id_z 0
		.amdhsa_system_sgpr_workgroup_info 0
		.amdhsa_system_vgpr_workitem_id 0
		.amdhsa_next_free_vgpr 7
		.amdhsa_next_free_sgpr 21
		.amdhsa_named_barrier_count 0
		.amdhsa_reserve_vcc 1
		.amdhsa_float_round_mode_32 0
		.amdhsa_float_round_mode_16_64 0
		.amdhsa_float_denorm_mode_32 3
		.amdhsa_float_denorm_mode_16_64 3
		.amdhsa_fp16_overflow 0
		.amdhsa_memory_ordered 1
		.amdhsa_forward_progress 1
		.amdhsa_inst_pref_size 6
		.amdhsa_round_robin_scheduling 0
		.amdhsa_exception_fp_ieee_invalid_op 0
		.amdhsa_exception_fp_denorm_src 0
		.amdhsa_exception_fp_ieee_div_zero 0
		.amdhsa_exception_fp_ieee_overflow 0
		.amdhsa_exception_fp_ieee_underflow 0
		.amdhsa_exception_fp_ieee_inexact 0
		.amdhsa_exception_int_div_zero 0
	.end_amdhsa_kernel
	.section	.text._ZN7rocprim17ROCPRIM_400000_NS6detail30init_device_scan_by_key_kernelINS1_19lookback_scan_stateINS0_5tupleIJdbEEELb0ELb0EEEN6thrust23THRUST_200600_302600_NS6detail15normal_iteratorINS8_10device_ptrIiEEEEjNS1_16block_id_wrapperIjLb1EEEEEvT_jjPNSG_10value_typeET0_PNSt15iterator_traitsISJ_E10value_typeEmT1_T2_,"axG",@progbits,_ZN7rocprim17ROCPRIM_400000_NS6detail30init_device_scan_by_key_kernelINS1_19lookback_scan_stateINS0_5tupleIJdbEEELb0ELb0EEEN6thrust23THRUST_200600_302600_NS6detail15normal_iteratorINS8_10device_ptrIiEEEEjNS1_16block_id_wrapperIjLb1EEEEEvT_jjPNSG_10value_typeET0_PNSt15iterator_traitsISJ_E10value_typeEmT1_T2_,comdat
.Lfunc_end1116:
	.size	_ZN7rocprim17ROCPRIM_400000_NS6detail30init_device_scan_by_key_kernelINS1_19lookback_scan_stateINS0_5tupleIJdbEEELb0ELb0EEEN6thrust23THRUST_200600_302600_NS6detail15normal_iteratorINS8_10device_ptrIiEEEEjNS1_16block_id_wrapperIjLb1EEEEEvT_jjPNSG_10value_typeET0_PNSt15iterator_traitsISJ_E10value_typeEmT1_T2_, .Lfunc_end1116-_ZN7rocprim17ROCPRIM_400000_NS6detail30init_device_scan_by_key_kernelINS1_19lookback_scan_stateINS0_5tupleIJdbEEELb0ELb0EEEN6thrust23THRUST_200600_302600_NS6detail15normal_iteratorINS8_10device_ptrIiEEEEjNS1_16block_id_wrapperIjLb1EEEEEvT_jjPNSG_10value_typeET0_PNSt15iterator_traitsISJ_E10value_typeEmT1_T2_
                                        ; -- End function
	.set _ZN7rocprim17ROCPRIM_400000_NS6detail30init_device_scan_by_key_kernelINS1_19lookback_scan_stateINS0_5tupleIJdbEEELb0ELb0EEEN6thrust23THRUST_200600_302600_NS6detail15normal_iteratorINS8_10device_ptrIiEEEEjNS1_16block_id_wrapperIjLb1EEEEEvT_jjPNSG_10value_typeET0_PNSt15iterator_traitsISJ_E10value_typeEmT1_T2_.num_vgpr, 7
	.set _ZN7rocprim17ROCPRIM_400000_NS6detail30init_device_scan_by_key_kernelINS1_19lookback_scan_stateINS0_5tupleIJdbEEELb0ELb0EEEN6thrust23THRUST_200600_302600_NS6detail15normal_iteratorINS8_10device_ptrIiEEEEjNS1_16block_id_wrapperIjLb1EEEEEvT_jjPNSG_10value_typeET0_PNSt15iterator_traitsISJ_E10value_typeEmT1_T2_.num_agpr, 0
	.set _ZN7rocprim17ROCPRIM_400000_NS6detail30init_device_scan_by_key_kernelINS1_19lookback_scan_stateINS0_5tupleIJdbEEELb0ELb0EEEN6thrust23THRUST_200600_302600_NS6detail15normal_iteratorINS8_10device_ptrIiEEEEjNS1_16block_id_wrapperIjLb1EEEEEvT_jjPNSG_10value_typeET0_PNSt15iterator_traitsISJ_E10value_typeEmT1_T2_.numbered_sgpr, 21
	.set _ZN7rocprim17ROCPRIM_400000_NS6detail30init_device_scan_by_key_kernelINS1_19lookback_scan_stateINS0_5tupleIJdbEEELb0ELb0EEEN6thrust23THRUST_200600_302600_NS6detail15normal_iteratorINS8_10device_ptrIiEEEEjNS1_16block_id_wrapperIjLb1EEEEEvT_jjPNSG_10value_typeET0_PNSt15iterator_traitsISJ_E10value_typeEmT1_T2_.num_named_barrier, 0
	.set _ZN7rocprim17ROCPRIM_400000_NS6detail30init_device_scan_by_key_kernelINS1_19lookback_scan_stateINS0_5tupleIJdbEEELb0ELb0EEEN6thrust23THRUST_200600_302600_NS6detail15normal_iteratorINS8_10device_ptrIiEEEEjNS1_16block_id_wrapperIjLb1EEEEEvT_jjPNSG_10value_typeET0_PNSt15iterator_traitsISJ_E10value_typeEmT1_T2_.private_seg_size, 0
	.set _ZN7rocprim17ROCPRIM_400000_NS6detail30init_device_scan_by_key_kernelINS1_19lookback_scan_stateINS0_5tupleIJdbEEELb0ELb0EEEN6thrust23THRUST_200600_302600_NS6detail15normal_iteratorINS8_10device_ptrIiEEEEjNS1_16block_id_wrapperIjLb1EEEEEvT_jjPNSG_10value_typeET0_PNSt15iterator_traitsISJ_E10value_typeEmT1_T2_.uses_vcc, 1
	.set _ZN7rocprim17ROCPRIM_400000_NS6detail30init_device_scan_by_key_kernelINS1_19lookback_scan_stateINS0_5tupleIJdbEEELb0ELb0EEEN6thrust23THRUST_200600_302600_NS6detail15normal_iteratorINS8_10device_ptrIiEEEEjNS1_16block_id_wrapperIjLb1EEEEEvT_jjPNSG_10value_typeET0_PNSt15iterator_traitsISJ_E10value_typeEmT1_T2_.uses_flat_scratch, 0
	.set _ZN7rocprim17ROCPRIM_400000_NS6detail30init_device_scan_by_key_kernelINS1_19lookback_scan_stateINS0_5tupleIJdbEEELb0ELb0EEEN6thrust23THRUST_200600_302600_NS6detail15normal_iteratorINS8_10device_ptrIiEEEEjNS1_16block_id_wrapperIjLb1EEEEEvT_jjPNSG_10value_typeET0_PNSt15iterator_traitsISJ_E10value_typeEmT1_T2_.has_dyn_sized_stack, 0
	.set _ZN7rocprim17ROCPRIM_400000_NS6detail30init_device_scan_by_key_kernelINS1_19lookback_scan_stateINS0_5tupleIJdbEEELb0ELb0EEEN6thrust23THRUST_200600_302600_NS6detail15normal_iteratorINS8_10device_ptrIiEEEEjNS1_16block_id_wrapperIjLb1EEEEEvT_jjPNSG_10value_typeET0_PNSt15iterator_traitsISJ_E10value_typeEmT1_T2_.has_recursion, 0
	.set _ZN7rocprim17ROCPRIM_400000_NS6detail30init_device_scan_by_key_kernelINS1_19lookback_scan_stateINS0_5tupleIJdbEEELb0ELb0EEEN6thrust23THRUST_200600_302600_NS6detail15normal_iteratorINS8_10device_ptrIiEEEEjNS1_16block_id_wrapperIjLb1EEEEEvT_jjPNSG_10value_typeET0_PNSt15iterator_traitsISJ_E10value_typeEmT1_T2_.has_indirect_call, 0
	.section	.AMDGPU.csdata,"",@progbits
; Kernel info:
; codeLenInByte = 716
; TotalNumSgprs: 23
; NumVgprs: 7
; ScratchSize: 0
; MemoryBound: 0
; FloatMode: 240
; IeeeMode: 1
; LDSByteSize: 0 bytes/workgroup (compile time only)
; SGPRBlocks: 0
; VGPRBlocks: 0
; NumSGPRsForWavesPerEU: 23
; NumVGPRsForWavesPerEU: 7
; NamedBarCnt: 0
; Occupancy: 16
; WaveLimiterHint : 0
; COMPUTE_PGM_RSRC2:SCRATCH_EN: 0
; COMPUTE_PGM_RSRC2:USER_SGPR: 2
; COMPUTE_PGM_RSRC2:TRAP_HANDLER: 0
; COMPUTE_PGM_RSRC2:TGID_X_EN: 1
; COMPUTE_PGM_RSRC2:TGID_Y_EN: 0
; COMPUTE_PGM_RSRC2:TGID_Z_EN: 0
; COMPUTE_PGM_RSRC2:TIDIG_COMP_CNT: 0
	.section	.text._ZN7rocprim17ROCPRIM_400000_NS6detail30init_device_scan_by_key_kernelINS1_19lookback_scan_stateINS0_5tupleIJdbEEELb0ELb0EEENS1_16block_id_wrapperIjLb1EEEEEvT_jjPNS9_10value_typeET0_,"axG",@progbits,_ZN7rocprim17ROCPRIM_400000_NS6detail30init_device_scan_by_key_kernelINS1_19lookback_scan_stateINS0_5tupleIJdbEEELb0ELb0EEENS1_16block_id_wrapperIjLb1EEEEEvT_jjPNS9_10value_typeET0_,comdat
	.protected	_ZN7rocprim17ROCPRIM_400000_NS6detail30init_device_scan_by_key_kernelINS1_19lookback_scan_stateINS0_5tupleIJdbEEELb0ELb0EEENS1_16block_id_wrapperIjLb1EEEEEvT_jjPNS9_10value_typeET0_ ; -- Begin function _ZN7rocprim17ROCPRIM_400000_NS6detail30init_device_scan_by_key_kernelINS1_19lookback_scan_stateINS0_5tupleIJdbEEELb0ELb0EEENS1_16block_id_wrapperIjLb1EEEEEvT_jjPNS9_10value_typeET0_
	.globl	_ZN7rocprim17ROCPRIM_400000_NS6detail30init_device_scan_by_key_kernelINS1_19lookback_scan_stateINS0_5tupleIJdbEEELb0ELb0EEENS1_16block_id_wrapperIjLb1EEEEEvT_jjPNS9_10value_typeET0_
	.p2align	8
	.type	_ZN7rocprim17ROCPRIM_400000_NS6detail30init_device_scan_by_key_kernelINS1_19lookback_scan_stateINS0_5tupleIJdbEEELb0ELb0EEENS1_16block_id_wrapperIjLb1EEEEEvT_jjPNS9_10value_typeET0_,@function
_ZN7rocprim17ROCPRIM_400000_NS6detail30init_device_scan_by_key_kernelINS1_19lookback_scan_stateINS0_5tupleIJdbEEELb0ELb0EEENS1_16block_id_wrapperIjLb1EEEEEvT_jjPNS9_10value_typeET0_: ; @_ZN7rocprim17ROCPRIM_400000_NS6detail30init_device_scan_by_key_kernelINS1_19lookback_scan_stateINS0_5tupleIJdbEEELb0ELb0EEENS1_16block_id_wrapperIjLb1EEEEEvT_jjPNS9_10value_typeET0_
; %bb.0:
	s_clause 0x1
	s_load_b32 s2, s[0:1], 0x3c
	s_load_b256 s[4:11], s[0:1], 0x10
	s_bfe_u32 s3, ttmp6, 0x4000c
	s_and_b32 s12, ttmp6, 15
	s_add_co_i32 s3, s3, 1
	s_getreg_b32 s13, hwreg(HW_REG_IB_STS2, 6, 4)
	s_mul_i32 s3, ttmp9, s3
	s_delay_alu instid0(SALU_CYCLE_1)
	s_add_co_i32 s12, s12, s3
	s_wait_kmcnt 0x0
	s_and_b32 s2, s2, 0xffff
	s_cmp_eq_u32 s13, 0
	s_cselect_b32 s3, ttmp9, s12
	s_cmp_eq_u64 s[8:9], 0
	v_mad_u32 v0, s3, s2, v0
	s_cbranch_scc1 .LBB1117_7
; %bb.1:
	s_cmp_lt_u32 s7, s6
	s_mov_b32 s16, exec_lo
	s_cselect_b32 s2, s7, 0
	s_delay_alu instid0(VALU_DEP_1) | instid1(SALU_CYCLE_1)
	v_cmpx_eq_u32_e64 s2, v0
	s_cbranch_execz .LBB1117_6
; %bb.2:
	s_add_co_i32 s2, s7, 32
	s_load_b128 s[12:15], s[0:1], 0x0
	v_mov_b32_e32 v1, s2
	s_mov_b32 s3, 0
	global_load_u8 v1, v1, s[4:5] scope:SCOPE_DEV
	s_wait_loadcnt 0x0
	v_and_b32_e32 v2, 0xffff, v1
	v_readfirstlane_b32 s7, v1
	s_delay_alu instid0(VALU_DEP_2)
	v_cmp_ne_u32_e32 vcc_lo, 0, v2
	s_cbranch_vccnz .LBB1117_5
; %bb.3:
	v_mov_b32_e32 v1, 0
	s_add_nc_u64 s[0:1], s[4:5], s[2:3]
.LBB1117_4:                             ; =>This Inner Loop Header: Depth=1
	global_load_u8 v2, v1, s[0:1] scope:SCOPE_DEV
	s_wait_loadcnt 0x0
	v_and_b32_e32 v3, 0xffff, v2
	v_readfirstlane_b32 s7, v2
	s_delay_alu instid0(VALU_DEP_2)
	v_cmp_eq_u32_e32 vcc_lo, 0, v3
	s_cbranch_vccnz .LBB1117_4
.LBB1117_5:
	s_and_b32 s0, 0xffff, s7
	v_mov_b32_e32 v1, 0
	s_cmp_eq_u32 s0, 1
	global_wb scope:SCOPE_DEV
	s_wait_storecnt 0x0
	global_inv scope:SCOPE_DEV
	s_wait_kmcnt 0x0
	s_cselect_b32 s1, s13, s15
	s_cselect_b32 s0, s12, s14
	s_lshl_b64 s[2:3], s[2:3], 4
	s_delay_alu instid0(SALU_CYCLE_1)
	s_add_nc_u64 s[0:1], s[0:1], s[2:3]
	s_clause 0x1
	global_load_b64 v[2:3], v1, s[0:1]
	global_load_u8 v4, v1, s[0:1] offset:8
	s_wait_loadcnt 0x1
	global_store_b64 v1, v[2:3], s[8:9]
	s_wait_loadcnt 0x0
	global_store_b8 v1, v4, s[8:9] offset:8
.LBB1117_6:
	s_wait_xcnt 0x0
	s_or_b32 exec_lo, exec_lo, s16
.LBB1117_7:
	s_delay_alu instid0(SALU_CYCLE_1) | instskip(NEXT) | instid1(VALU_DEP_1)
	s_mov_b32 s0, exec_lo
	v_cmpx_eq_u32_e32 0, v0
	s_cbranch_execz .LBB1117_9
; %bb.8:
	v_mov_b32_e32 v1, 0
	global_store_b32 v1, v1, s[10:11]
.LBB1117_9:
	s_wait_xcnt 0x0
	s_or_b32 exec_lo, exec_lo, s0
	s_delay_alu instid0(SALU_CYCLE_1)
	s_mov_b32 s0, exec_lo
	v_cmpx_gt_u32_e64 s6, v0
	s_cbranch_execz .LBB1117_11
; %bb.10:
	v_dual_mov_b32 v2, 0 :: v_dual_add_nc_u32 v1, 32, v0
	global_store_b8 v1, v2, s[4:5]
.LBB1117_11:
	s_wait_xcnt 0x0
	s_or_b32 exec_lo, exec_lo, s0
	s_delay_alu instid0(SALU_CYCLE_1)
	s_mov_b32 s0, exec_lo
	v_cmpx_gt_u32_e32 32, v0
	s_cbranch_execz .LBB1117_13
; %bb.12:
	v_mov_b32_e32 v1, 0xff
	global_store_b8 v0, v1, s[4:5]
.LBB1117_13:
	s_endpgm
	.section	.rodata,"a",@progbits
	.p2align	6, 0x0
	.amdhsa_kernel _ZN7rocprim17ROCPRIM_400000_NS6detail30init_device_scan_by_key_kernelINS1_19lookback_scan_stateINS0_5tupleIJdbEEELb0ELb0EEENS1_16block_id_wrapperIjLb1EEEEEvT_jjPNS9_10value_typeET0_
		.amdhsa_group_segment_fixed_size 0
		.amdhsa_private_segment_fixed_size 0
		.amdhsa_kernarg_size 304
		.amdhsa_user_sgpr_count 2
		.amdhsa_user_sgpr_dispatch_ptr 0
		.amdhsa_user_sgpr_queue_ptr 0
		.amdhsa_user_sgpr_kernarg_segment_ptr 1
		.amdhsa_user_sgpr_dispatch_id 0
		.amdhsa_user_sgpr_kernarg_preload_length 0
		.amdhsa_user_sgpr_kernarg_preload_offset 0
		.amdhsa_user_sgpr_private_segment_size 0
		.amdhsa_wavefront_size32 1
		.amdhsa_uses_dynamic_stack 0
		.amdhsa_enable_private_segment 0
		.amdhsa_system_sgpr_workgroup_id_x 1
		.amdhsa_system_sgpr_workgroup_id_y 0
		.amdhsa_system_sgpr_workgroup_id_z 0
		.amdhsa_system_sgpr_workgroup_info 0
		.amdhsa_system_vgpr_workitem_id 0
		.amdhsa_next_free_vgpr 5
		.amdhsa_next_free_sgpr 17
		.amdhsa_named_barrier_count 0
		.amdhsa_reserve_vcc 1
		.amdhsa_float_round_mode_32 0
		.amdhsa_float_round_mode_16_64 0
		.amdhsa_float_denorm_mode_32 3
		.amdhsa_float_denorm_mode_16_64 3
		.amdhsa_fp16_overflow 0
		.amdhsa_memory_ordered 1
		.amdhsa_forward_progress 1
		.amdhsa_inst_pref_size 4
		.amdhsa_round_robin_scheduling 0
		.amdhsa_exception_fp_ieee_invalid_op 0
		.amdhsa_exception_fp_denorm_src 0
		.amdhsa_exception_fp_ieee_div_zero 0
		.amdhsa_exception_fp_ieee_overflow 0
		.amdhsa_exception_fp_ieee_underflow 0
		.amdhsa_exception_fp_ieee_inexact 0
		.amdhsa_exception_int_div_zero 0
	.end_amdhsa_kernel
	.section	.text._ZN7rocprim17ROCPRIM_400000_NS6detail30init_device_scan_by_key_kernelINS1_19lookback_scan_stateINS0_5tupleIJdbEEELb0ELb0EEENS1_16block_id_wrapperIjLb1EEEEEvT_jjPNS9_10value_typeET0_,"axG",@progbits,_ZN7rocprim17ROCPRIM_400000_NS6detail30init_device_scan_by_key_kernelINS1_19lookback_scan_stateINS0_5tupleIJdbEEELb0ELb0EEENS1_16block_id_wrapperIjLb1EEEEEvT_jjPNS9_10value_typeET0_,comdat
.Lfunc_end1117:
	.size	_ZN7rocprim17ROCPRIM_400000_NS6detail30init_device_scan_by_key_kernelINS1_19lookback_scan_stateINS0_5tupleIJdbEEELb0ELb0EEENS1_16block_id_wrapperIjLb1EEEEEvT_jjPNS9_10value_typeET0_, .Lfunc_end1117-_ZN7rocprim17ROCPRIM_400000_NS6detail30init_device_scan_by_key_kernelINS1_19lookback_scan_stateINS0_5tupleIJdbEEELb0ELb0EEENS1_16block_id_wrapperIjLb1EEEEEvT_jjPNS9_10value_typeET0_
                                        ; -- End function
	.set _ZN7rocprim17ROCPRIM_400000_NS6detail30init_device_scan_by_key_kernelINS1_19lookback_scan_stateINS0_5tupleIJdbEEELb0ELb0EEENS1_16block_id_wrapperIjLb1EEEEEvT_jjPNS9_10value_typeET0_.num_vgpr, 5
	.set _ZN7rocprim17ROCPRIM_400000_NS6detail30init_device_scan_by_key_kernelINS1_19lookback_scan_stateINS0_5tupleIJdbEEELb0ELb0EEENS1_16block_id_wrapperIjLb1EEEEEvT_jjPNS9_10value_typeET0_.num_agpr, 0
	.set _ZN7rocprim17ROCPRIM_400000_NS6detail30init_device_scan_by_key_kernelINS1_19lookback_scan_stateINS0_5tupleIJdbEEELb0ELb0EEENS1_16block_id_wrapperIjLb1EEEEEvT_jjPNS9_10value_typeET0_.numbered_sgpr, 17
	.set _ZN7rocprim17ROCPRIM_400000_NS6detail30init_device_scan_by_key_kernelINS1_19lookback_scan_stateINS0_5tupleIJdbEEELb0ELb0EEENS1_16block_id_wrapperIjLb1EEEEEvT_jjPNS9_10value_typeET0_.num_named_barrier, 0
	.set _ZN7rocprim17ROCPRIM_400000_NS6detail30init_device_scan_by_key_kernelINS1_19lookback_scan_stateINS0_5tupleIJdbEEELb0ELb0EEENS1_16block_id_wrapperIjLb1EEEEEvT_jjPNS9_10value_typeET0_.private_seg_size, 0
	.set _ZN7rocprim17ROCPRIM_400000_NS6detail30init_device_scan_by_key_kernelINS1_19lookback_scan_stateINS0_5tupleIJdbEEELb0ELb0EEENS1_16block_id_wrapperIjLb1EEEEEvT_jjPNS9_10value_typeET0_.uses_vcc, 1
	.set _ZN7rocprim17ROCPRIM_400000_NS6detail30init_device_scan_by_key_kernelINS1_19lookback_scan_stateINS0_5tupleIJdbEEELb0ELb0EEENS1_16block_id_wrapperIjLb1EEEEEvT_jjPNS9_10value_typeET0_.uses_flat_scratch, 0
	.set _ZN7rocprim17ROCPRIM_400000_NS6detail30init_device_scan_by_key_kernelINS1_19lookback_scan_stateINS0_5tupleIJdbEEELb0ELb0EEENS1_16block_id_wrapperIjLb1EEEEEvT_jjPNS9_10value_typeET0_.has_dyn_sized_stack, 0
	.set _ZN7rocprim17ROCPRIM_400000_NS6detail30init_device_scan_by_key_kernelINS1_19lookback_scan_stateINS0_5tupleIJdbEEELb0ELb0EEENS1_16block_id_wrapperIjLb1EEEEEvT_jjPNS9_10value_typeET0_.has_recursion, 0
	.set _ZN7rocprim17ROCPRIM_400000_NS6detail30init_device_scan_by_key_kernelINS1_19lookback_scan_stateINS0_5tupleIJdbEEELb0ELb0EEENS1_16block_id_wrapperIjLb1EEEEEvT_jjPNS9_10value_typeET0_.has_indirect_call, 0
	.section	.AMDGPU.csdata,"",@progbits
; Kernel info:
; codeLenInByte = 488
; TotalNumSgprs: 19
; NumVgprs: 5
; ScratchSize: 0
; MemoryBound: 0
; FloatMode: 240
; IeeeMode: 1
; LDSByteSize: 0 bytes/workgroup (compile time only)
; SGPRBlocks: 0
; VGPRBlocks: 0
; NumSGPRsForWavesPerEU: 19
; NumVGPRsForWavesPerEU: 5
; NamedBarCnt: 0
; Occupancy: 16
; WaveLimiterHint : 0
; COMPUTE_PGM_RSRC2:SCRATCH_EN: 0
; COMPUTE_PGM_RSRC2:USER_SGPR: 2
; COMPUTE_PGM_RSRC2:TRAP_HANDLER: 0
; COMPUTE_PGM_RSRC2:TGID_X_EN: 1
; COMPUTE_PGM_RSRC2:TGID_Y_EN: 0
; COMPUTE_PGM_RSRC2:TGID_Z_EN: 0
; COMPUTE_PGM_RSRC2:TIDIG_COMP_CNT: 0
	.section	.text._ZN7rocprim17ROCPRIM_400000_NS6detail17trampoline_kernelINS0_14default_configENS1_27scan_by_key_config_selectorIidEEZZNS1_16scan_by_key_implILNS1_25lookback_scan_determinismE0ELb0ES3_N6thrust23THRUST_200600_302600_NS6detail15normal_iteratorINS9_10device_ptrIiEEEENSB_INSC_IdEEEESG_dNS9_4plusIvEENS9_8equal_toIvEEdEE10hipError_tPvRmT2_T3_T4_T5_mT6_T7_P12ihipStream_tbENKUlT_T0_E_clISt17integral_constantIbLb0EES10_IbLb1EEEEDaSW_SX_EUlSW_E_NS1_11comp_targetILNS1_3genE0ELNS1_11target_archE4294967295ELNS1_3gpuE0ELNS1_3repE0EEENS1_30default_config_static_selectorELNS0_4arch9wavefront6targetE0EEEvT1_,"axG",@progbits,_ZN7rocprim17ROCPRIM_400000_NS6detail17trampoline_kernelINS0_14default_configENS1_27scan_by_key_config_selectorIidEEZZNS1_16scan_by_key_implILNS1_25lookback_scan_determinismE0ELb0ES3_N6thrust23THRUST_200600_302600_NS6detail15normal_iteratorINS9_10device_ptrIiEEEENSB_INSC_IdEEEESG_dNS9_4plusIvEENS9_8equal_toIvEEdEE10hipError_tPvRmT2_T3_T4_T5_mT6_T7_P12ihipStream_tbENKUlT_T0_E_clISt17integral_constantIbLb0EES10_IbLb1EEEEDaSW_SX_EUlSW_E_NS1_11comp_targetILNS1_3genE0ELNS1_11target_archE4294967295ELNS1_3gpuE0ELNS1_3repE0EEENS1_30default_config_static_selectorELNS0_4arch9wavefront6targetE0EEEvT1_,comdat
	.protected	_ZN7rocprim17ROCPRIM_400000_NS6detail17trampoline_kernelINS0_14default_configENS1_27scan_by_key_config_selectorIidEEZZNS1_16scan_by_key_implILNS1_25lookback_scan_determinismE0ELb0ES3_N6thrust23THRUST_200600_302600_NS6detail15normal_iteratorINS9_10device_ptrIiEEEENSB_INSC_IdEEEESG_dNS9_4plusIvEENS9_8equal_toIvEEdEE10hipError_tPvRmT2_T3_T4_T5_mT6_T7_P12ihipStream_tbENKUlT_T0_E_clISt17integral_constantIbLb0EES10_IbLb1EEEEDaSW_SX_EUlSW_E_NS1_11comp_targetILNS1_3genE0ELNS1_11target_archE4294967295ELNS1_3gpuE0ELNS1_3repE0EEENS1_30default_config_static_selectorELNS0_4arch9wavefront6targetE0EEEvT1_ ; -- Begin function _ZN7rocprim17ROCPRIM_400000_NS6detail17trampoline_kernelINS0_14default_configENS1_27scan_by_key_config_selectorIidEEZZNS1_16scan_by_key_implILNS1_25lookback_scan_determinismE0ELb0ES3_N6thrust23THRUST_200600_302600_NS6detail15normal_iteratorINS9_10device_ptrIiEEEENSB_INSC_IdEEEESG_dNS9_4plusIvEENS9_8equal_toIvEEdEE10hipError_tPvRmT2_T3_T4_T5_mT6_T7_P12ihipStream_tbENKUlT_T0_E_clISt17integral_constantIbLb0EES10_IbLb1EEEEDaSW_SX_EUlSW_E_NS1_11comp_targetILNS1_3genE0ELNS1_11target_archE4294967295ELNS1_3gpuE0ELNS1_3repE0EEENS1_30default_config_static_selectorELNS0_4arch9wavefront6targetE0EEEvT1_
	.globl	_ZN7rocprim17ROCPRIM_400000_NS6detail17trampoline_kernelINS0_14default_configENS1_27scan_by_key_config_selectorIidEEZZNS1_16scan_by_key_implILNS1_25lookback_scan_determinismE0ELb0ES3_N6thrust23THRUST_200600_302600_NS6detail15normal_iteratorINS9_10device_ptrIiEEEENSB_INSC_IdEEEESG_dNS9_4plusIvEENS9_8equal_toIvEEdEE10hipError_tPvRmT2_T3_T4_T5_mT6_T7_P12ihipStream_tbENKUlT_T0_E_clISt17integral_constantIbLb0EES10_IbLb1EEEEDaSW_SX_EUlSW_E_NS1_11comp_targetILNS1_3genE0ELNS1_11target_archE4294967295ELNS1_3gpuE0ELNS1_3repE0EEENS1_30default_config_static_selectorELNS0_4arch9wavefront6targetE0EEEvT1_
	.p2align	8
	.type	_ZN7rocprim17ROCPRIM_400000_NS6detail17trampoline_kernelINS0_14default_configENS1_27scan_by_key_config_selectorIidEEZZNS1_16scan_by_key_implILNS1_25lookback_scan_determinismE0ELb0ES3_N6thrust23THRUST_200600_302600_NS6detail15normal_iteratorINS9_10device_ptrIiEEEENSB_INSC_IdEEEESG_dNS9_4plusIvEENS9_8equal_toIvEEdEE10hipError_tPvRmT2_T3_T4_T5_mT6_T7_P12ihipStream_tbENKUlT_T0_E_clISt17integral_constantIbLb0EES10_IbLb1EEEEDaSW_SX_EUlSW_E_NS1_11comp_targetILNS1_3genE0ELNS1_11target_archE4294967295ELNS1_3gpuE0ELNS1_3repE0EEENS1_30default_config_static_selectorELNS0_4arch9wavefront6targetE0EEEvT1_,@function
_ZN7rocprim17ROCPRIM_400000_NS6detail17trampoline_kernelINS0_14default_configENS1_27scan_by_key_config_selectorIidEEZZNS1_16scan_by_key_implILNS1_25lookback_scan_determinismE0ELb0ES3_N6thrust23THRUST_200600_302600_NS6detail15normal_iteratorINS9_10device_ptrIiEEEENSB_INSC_IdEEEESG_dNS9_4plusIvEENS9_8equal_toIvEEdEE10hipError_tPvRmT2_T3_T4_T5_mT6_T7_P12ihipStream_tbENKUlT_T0_E_clISt17integral_constantIbLb0EES10_IbLb1EEEEDaSW_SX_EUlSW_E_NS1_11comp_targetILNS1_3genE0ELNS1_11target_archE4294967295ELNS1_3gpuE0ELNS1_3repE0EEENS1_30default_config_static_selectorELNS0_4arch9wavefront6targetE0EEEvT1_: ; @_ZN7rocprim17ROCPRIM_400000_NS6detail17trampoline_kernelINS0_14default_configENS1_27scan_by_key_config_selectorIidEEZZNS1_16scan_by_key_implILNS1_25lookback_scan_determinismE0ELb0ES3_N6thrust23THRUST_200600_302600_NS6detail15normal_iteratorINS9_10device_ptrIiEEEENSB_INSC_IdEEEESG_dNS9_4plusIvEENS9_8equal_toIvEEdEE10hipError_tPvRmT2_T3_T4_T5_mT6_T7_P12ihipStream_tbENKUlT_T0_E_clISt17integral_constantIbLb0EES10_IbLb1EEEEDaSW_SX_EUlSW_E_NS1_11comp_targetILNS1_3genE0ELNS1_11target_archE4294967295ELNS1_3gpuE0ELNS1_3repE0EEENS1_30default_config_static_selectorELNS0_4arch9wavefront6targetE0EEEvT1_
; %bb.0:
	s_clause 0x1
	s_load_b256 s[20:27], s[0:1], 0x30
	s_load_b64 s[34:35], s[0:1], 0x50
	v_cmp_ne_u32_e64 s3, 0, v0
	v_cmp_eq_u32_e64 s2, 0, v0
	s_and_saveexec_b32 s4, s2
	s_cbranch_execz .LBB1118_4
; %bb.1:
	s_mov_b32 s6, exec_lo
	s_mov_b32 s5, exec_lo
	v_mbcnt_lo_u32_b32 v1, s6, 0
                                        ; implicit-def: $vgpr2
	s_delay_alu instid0(VALU_DEP_1)
	v_cmpx_eq_u32_e32 0, v1
	s_cbranch_execz .LBB1118_3
; %bb.2:
	s_load_b64 s[8:9], s[0:1], 0x80
	s_bcnt1_i32_b32 s6, s6
	s_delay_alu instid0(SALU_CYCLE_1)
	v_dual_mov_b32 v2, 0 :: v_dual_mov_b32 v3, s6
	s_wait_xcnt 0x0
	s_wait_kmcnt 0x0
	global_atomic_add_u32 v2, v2, v3, s[8:9] th:TH_ATOMIC_RETURN scope:SCOPE_DEV
.LBB1118_3:
	s_wait_xcnt 0x0
	s_or_b32 exec_lo, exec_lo, s5
	s_wait_loadcnt 0x0
	v_readfirstlane_b32 s5, v2
	s_delay_alu instid0(VALU_DEP_1)
	v_dual_mov_b32 v2, 0 :: v_dual_add_nc_u32 v1, s5, v1
	ds_store_b32 v2, v1
.LBB1118_4:
	s_or_b32 exec_lo, exec_lo, s4
	v_mov_b32_e32 v1, 0
	s_clause 0x2
	s_load_b256 s[12:19], s[0:1], 0x0
	s_load_b32 s44, s[0:1], 0x58
	s_load_b256 s[36:43], s[0:1], 0x60
	s_wait_dscnt 0x0
	s_barrier_signal -1
	s_barrier_wait -1
	ds_load_b32 v2, v1
	s_mov_b32 s45, 0
	s_wait_dscnt 0x0
	s_mov_b32 s9, s45
	s_barrier_signal -1
	s_barrier_wait -1
	s_barrier_signal -1
	s_barrier_wait -1
	s_wait_kmcnt 0x0
	s_lshl_b64 s[28:29], s[14:15], 3
	s_mul_u64 s[6:7], s[34:35], s[44:45]
	s_add_nc_u64 s[4:5], s[16:17], s[28:29]
	s_lshl_b64 s[0:1], s[14:15], 2
	s_cmp_lg_u64 s[40:41], 0
	s_add_nc_u64 s[0:1], s[12:13], s[0:1]
	s_cselect_b32 s40, -1, 0
	v_readfirstlane_b32 s44, v2
	s_add_nc_u64 s[16:17], s[6:7], s[44:45]
	s_add_nc_u64 s[6:7], s[36:37], -1
	s_mul_i32 s8, s44, 0x500
	v_cmp_ge_u64_e64 s27, s[16:17], s[6:7]
	s_lshl_b64 s[10:11], s[8:9], 2
	s_lshl_b64 s[30:31], s[8:9], 3
	s_add_nc_u64 s[14:15], s[0:1], s[10:11]
	s_add_nc_u64 s[12:13], s[4:5], s[30:31]
	s_mul_i32 s33, s6, 0xfffffb00
	s_and_b32 vcc_lo, exec_lo, s27
	s_cbranch_vccz .LBB1118_28
; %bb.5:
	flat_load_b32 v1, v1, s[14:15]
	s_add_co_i32 s41, s33, s26
	s_delay_alu instid0(SALU_CYCLE_1)
	v_cmp_gt_u32_e64 s0, s41, v0
	s_wait_loadcnt_dscnt 0x0
	v_mov_b32_e32 v2, v1
	s_and_saveexec_b32 s1, s0
	s_cbranch_execz .LBB1118_7
; %bb.6:
	flat_load_b32 v2, v0, s[14:15] scale_offset
.LBB1118_7:
	s_wait_xcnt 0x0
	s_or_b32 exec_lo, exec_lo, s1
	v_or_b32_e32 v3, 0x80, v0
	s_delay_alu instid0(VALU_DEP_1)
	v_cmp_gt_u32_e64 s1, s41, v3
	v_mov_b32_e32 v3, v1
	s_and_saveexec_b32 s4, s1
	s_cbranch_execz .LBB1118_9
; %bb.8:
	flat_load_b32 v3, v0, s[14:15] offset:512 scale_offset
.LBB1118_9:
	s_wait_xcnt 0x0
	s_or_b32 exec_lo, exec_lo, s4
	v_or_b32_e32 v4, 0x100, v0
	s_delay_alu instid0(VALU_DEP_1)
	v_cmp_gt_u32_e64 s4, s41, v4
	v_mov_b32_e32 v4, v1
	s_and_saveexec_b32 s5, s4
	s_cbranch_execz .LBB1118_11
; %bb.10:
	flat_load_b32 v4, v0, s[14:15] offset:1024 scale_offset
.LBB1118_11:
	;; [unrolled: 11-line block ×8, first 2 shown]
	s_wait_xcnt 0x0
	s_or_b32 exec_lo, exec_lo, s11
	v_or_b32_e32 v11, 0x480, v0
	s_mov_b32 s36, exec_lo
	s_delay_alu instid0(VALU_DEP_1) | instskip(SKIP_2) | instid1(SALU_CYCLE_1)
	v_cmp_gt_u32_e64 s11, s41, v11
	v_cmpx_le_u32_e64 s41, v11
	s_xor_b32 s36, exec_lo, s36
	s_and_not1_saveexec_b32 s36, s36
	s_cbranch_execz .LBB1118_25
; %bb.24:
	flat_load_b32 v1, v0, s[14:15] offset:4608 scale_offset
.LBB1118_25:
	s_wait_xcnt 0x0
	s_or_b32 exec_lo, exec_lo, s36
	v_lshlrev_b32_e32 v11, 2, v0
	s_cmp_eq_u64 s[16:17], 0
	s_mov_b64 s[36:37], s[14:15]
	s_wait_loadcnt_dscnt 0x0
	ds_store_2addr_stride64_b32 v11, v2, v3 offset1:2
	ds_store_2addr_stride64_b32 v11, v4, v5 offset0:4 offset1:6
	ds_store_2addr_stride64_b32 v11, v6, v7 offset0:8 offset1:10
	;; [unrolled: 1-line block ×4, first 2 shown]
	v_mad_u32_u24 v1, v0, 36, v11
	s_wait_dscnt 0x0
	s_barrier_signal -1
	s_barrier_wait -1
	ds_load_2addr_b64 v[36:39], v1 offset1:1
	ds_load_2addr_b32 v[8:9], v1 offset0:1 offset1:2
	ds_load_2addr_b32 v[16:17], v1 offset0:3 offset1:4
	;; [unrolled: 1-line block ×3, first 2 shown]
	ds_load_b32 v48, v1 offset:36
	ds_load_2addr_b32 v[42:43], v1 offset0:5 offset1:6
	s_cbranch_scc1 .LBB1118_31
; %bb.26:
	s_and_not1_b32 vcc_lo, exec_lo, s40
	s_cbranch_vccnz .LBB1118_29
; %bb.27:
	s_lshl_b64 s[36:37], s[16:17], 2
	s_delay_alu instid0(SALU_CYCLE_1) | instskip(NEXT) | instid1(SALU_CYCLE_1)
	s_add_nc_u64 s[36:37], s[42:43], s[36:37]
	s_add_nc_u64 s[36:37], s[36:37], -4
	s_branch .LBB1118_30
.LBB1118_28:
                                        ; implicit-def: $sgpr6
                                        ; implicit-def: $vgpr51
                                        ; implicit-def: $vgpr46
                                        ; implicit-def: $vgpr49
                                        ; implicit-def: $vgpr50
                                        ; implicit-def: $vgpr16_vgpr17
                                        ; implicit-def: $vgpr26_vgpr27
                                        ; implicit-def: $vgpr30_vgpr31
                                        ; implicit-def: $vgpr34_vgpr35
                                        ; implicit-def: $vgpr4_vgpr5
                                        ; implicit-def: $vgpr58
                                        ; implicit-def: $vgpr59
                                        ; implicit-def: $vgpr63
                                        ; implicit-def: $vgpr54
                                        ; implicit-def: $vgpr55
                                        ; implicit-def: $vgpr47
                                        ; implicit-def: $vgpr56
                                        ; implicit-def: $vgpr57
                                        ; implicit-def: $vgpr53
                                        ; implicit-def: $vgpr22_vgpr23
                                        ; implicit-def: $vgpr44_vgpr45
                                        ; implicit-def: $vgpr18_vgpr19
                                        ; implicit-def: $vgpr20_vgpr21
                                        ; implicit-def: $vgpr10_vgpr11
                                        ; implicit-def: $vgpr12_vgpr13
                                        ; implicit-def: $vgpr6_vgpr7
                                        ; implicit-def: $vgpr1
	s_cbranch_execnz .LBB1118_63
	s_branch .LBB1118_80
.LBB1118_29:
	s_add_nc_u64 s[36:37], s[14:15], -4
	s_mov_b32 s45, -1
.LBB1118_30:
	s_delay_alu instid0(SALU_CYCLE_1)
	s_and_not1_b32 vcc_lo, exec_lo, s45
.LBB1118_31:
	v_mov_b32_e32 v2, 0
	v_mad_i32_i24 v1, 0xffffffdc, v0, v1
	flat_load_b32 v60, v2, s[36:37]
	s_wait_dscnt 0x2
	ds_store_b32 v1, v48 offset:5120
	s_wait_loadcnt_dscnt 0x0
	s_barrier_signal -1
	s_barrier_wait -1
	s_and_saveexec_b32 s36, s3
; %bb.32:
	ds_load_b32 v60, v1 offset:5116
; %bb.33:
	s_or_b32 exec_lo, exec_lo, s36
	s_wait_dscnt 0x0
	s_barrier_signal -1
	s_barrier_wait -1
                                        ; implicit-def: $vgpr2_vgpr3
	s_and_saveexec_b32 s36, s0
	s_cbranch_execnz .LBB1118_66
; %bb.34:
	s_or_b32 exec_lo, exec_lo, s36
                                        ; implicit-def: $vgpr4_vgpr5
	s_and_saveexec_b32 s0, s1
	s_cbranch_execnz .LBB1118_67
.LBB1118_35:
	s_or_b32 exec_lo, exec_lo, s0
                                        ; implicit-def: $vgpr6_vgpr7
	s_and_saveexec_b32 s0, s4
	s_cbranch_execnz .LBB1118_68
.LBB1118_36:
	s_or_b32 exec_lo, exec_lo, s0
                                        ; implicit-def: $vgpr10_vgpr11
	s_and_saveexec_b32 s0, s5
	s_cbranch_execnz .LBB1118_69
.LBB1118_37:
	s_or_b32 exec_lo, exec_lo, s0
                                        ; implicit-def: $vgpr12_vgpr13
	s_and_saveexec_b32 s0, s6
	s_cbranch_execnz .LBB1118_70
.LBB1118_38:
	s_or_b32 exec_lo, exec_lo, s0
                                        ; implicit-def: $vgpr14_vgpr15
	s_and_saveexec_b32 s0, s7
	s_cbranch_execnz .LBB1118_71
.LBB1118_39:
	s_or_b32 exec_lo, exec_lo, s0
                                        ; implicit-def: $vgpr18_vgpr19
	s_and_saveexec_b32 s0, s8
	s_cbranch_execnz .LBB1118_72
.LBB1118_40:
	s_or_b32 exec_lo, exec_lo, s0
                                        ; implicit-def: $vgpr20_vgpr21
	s_and_saveexec_b32 s0, s9
	s_cbranch_execnz .LBB1118_73
.LBB1118_41:
	s_or_b32 exec_lo, exec_lo, s0
                                        ; implicit-def: $vgpr22_vgpr23
	s_and_saveexec_b32 s0, s10
	s_cbranch_execnz .LBB1118_74
.LBB1118_42:
	s_or_b32 exec_lo, exec_lo, s0
                                        ; implicit-def: $vgpr24_vgpr25
	s_and_saveexec_b32 s0, s11
	s_cbranch_execz .LBB1118_44
.LBB1118_43:
	flat_load_b64 v[24:25], v0, s[12:13] offset:9216 scale_offset
.LBB1118_44:
	s_wait_xcnt 0x0
	s_or_b32 exec_lo, exec_lo, s0
	v_lshl_add_u32 v61, v0, 2, v1
	v_mul_u32_u24_e32 v52, 10, v0
	v_mov_b64_e32 v[26:27], 0
	v_mov_b64_e32 v[30:31], 0
	;; [unrolled: 1-line block ×3, first 2 shown]
	s_wait_loadcnt_dscnt 0x0
	ds_store_2addr_stride64_b64 v61, v[2:3], v[4:5] offset1:2
	ds_store_2addr_stride64_b64 v61, v[6:7], v[10:11] offset0:4 offset1:6
	ds_store_2addr_stride64_b64 v61, v[12:13], v[14:15] offset0:8 offset1:10
	;; [unrolled: 1-line block ×4, first 2 shown]
	v_mov_b64_e32 v[24:25], 0
	v_mov_b64_e32 v[34:35], 0
	;; [unrolled: 1-line block ×13, first 2 shown]
	v_cmp_gt_u32_e32 vcc_lo, s41, v52
	v_dual_mov_b32 v51, 0 :: v_dual_mov_b32 v46, 0
	v_dual_mov_b32 v49, 0 :: v_dual_mov_b32 v50, 0
	;; [unrolled: 1-line block ×7, first 2 shown]
	s_mov_b32 s5, 0
	s_mov_b32 s45, 0
	s_wait_dscnt 0x0
	s_barrier_signal -1
	s_barrier_wait -1
                                        ; implicit-def: $sgpr6
	s_and_saveexec_b32 s7, vcc_lo
	s_cbranch_execz .LBB1118_62
; %bb.45:
	v_mad_u32_u24 v1, 0x48, v0, v61
	v_dual_mov_b32 v51, 0 :: v_dual_bitop2_b32 v4, 1, v52 bitop3:0x54
	v_mov_b64_e32 v[26:27], 0
	v_mov_b64_e32 v[24:25], 0
	ds_load_b64 v[2:3], v1
	v_cmp_gt_u32_e64 s0, s41, v4
	v_mov_b64_e32 v[30:31], 0
	v_mov_b64_e32 v[28:29], 0
	;; [unrolled: 1-line block ×13, first 2 shown]
	v_dual_mov_b32 v46, 0 :: v_dual_mov_b32 v49, 0
	v_dual_mov_b32 v50, 0 :: v_dual_mov_b32 v59, 0
	;; [unrolled: 1-line block ×5, first 2 shown]
	s_mov_b32 s1, 0
	v_cmp_ne_u32_e32 vcc_lo, v60, v36
                                        ; implicit-def: $sgpr6
	s_and_saveexec_b32 s8, s0
	s_cbranch_execz .LBB1118_61
; %bb.46:
	v_mul_u32_u24_e32 v1, 0x48, v0
	v_cmp_ne_u32_e64 s0, v38, v16
	v_cmp_ne_u32_e64 s4, v37, v9
	v_mov_b64_e32 v[26:27], 0
	v_mov_b64_e32 v[24:25], 0
	v_dual_add_nc_u32 v16, v61, v1 :: v_dual_add_nc_u32 v5, 2, v52
	s_delay_alu instid0(VALU_DEP_4)
	v_cndmask_b32_e64 v4, 0, 1, s4
	v_cmp_ne_u32_e64 s4, v36, v8
	v_mov_b64_e32 v[30:31], 0
	ds_load_2addr_b64 v[6:9], v16 offset0:1 offset1:2
	v_mov_b64_e32 v[28:29], 0
	v_mov_b64_e32 v[34:35], 0
	;; [unrolled: 1-line block ×10, first 2 shown]
	v_cmp_ne_u32_e64 s1, v39, v17
	v_cndmask_b32_e64 v1, 0, 1, s4
	v_lshlrev_b16 v4, 8, v4
	v_cmp_gt_u32_e64 s4, s41, v5
	v_dual_mov_b32 v46, 0 :: v_dual_mov_b32 v49, 0
	v_dual_mov_b32 v50, 0 :: v_dual_mov_b32 v59, 0
	;; [unrolled: 1-line block ×5, first 2 shown]
	s_mov_b32 s10, 0
                                        ; implicit-def: $sgpr6
	s_and_saveexec_b32 s9, s4
	s_cbranch_execz .LBB1118_60
; %bb.47:
	v_cndmask_b32_e64 v5, 0, 1, s1
	v_cndmask_b32_e64 v10, 0, 1, s0
	v_and_b32_e32 v11, 0xffff, v4
	v_mov_b64_e32 v[26:27], 0
	v_mov_b64_e32 v[24:25], 0
	v_lshlrev_b16 v5, 8, v5
	v_mov_b32_e32 v50, 0
	v_mov_b64_e32 v[30:31], 0
	v_mov_b64_e32 v[28:29], 0
	;; [unrolled: 1-line block ×3, first 2 shown]
	v_or_b32_e32 v5, v10, v5
	v_mov_b64_e32 v[14:15], 0
	v_mov_b64_e32 v[22:23], 0
	;; [unrolled: 1-line block ×4, first 2 shown]
	v_dual_lshlrev_b32 v32, 16, v5 :: v_dual_mov_b32 v54, 0
	v_mov_b64_e32 v[20:21], 0
	v_dual_mov_b32 v49, 0 :: v_dual_add_nc_u32 v12, 3, v52
	s_delay_alu instid0(VALU_DEP_3) | instskip(SKIP_2) | instid1(VALU_DEP_3)
	v_dual_mov_b32 v55, 0 :: v_dual_bitop2_b32 v13, v11, v32 bitop3:0x54
	v_mov_b64_e32 v[10:11], 0
	v_dual_mov_b32 v59, 0 :: v_dual_mov_b32 v63, 0
	v_dual_mov_b32 v53, 0 :: v_dual_lshrrev_b32 v46, 8, v13
	s_mov_b32 s1, 0
	s_mov_b32 s10, exec_lo
                                        ; implicit-def: $sgpr6
	v_cmpx_gt_u32_e64 s41, v12
	s_cbranch_execz .LBB1118_59
; %bb.48:
	ds_load_2addr_b64 v[10:13], v16 offset0:3 offset1:4
	v_dual_add_nc_u32 v14, 4, v52 :: v_dual_mov_b32 v50, 0
	v_mov_b64_e32 v[26:27], 0
	v_mov_b64_e32 v[24:25], 0
	;; [unrolled: 1-line block ×3, first 2 shown]
	s_delay_alu instid0(VALU_DEP_4)
	v_cmp_gt_u32_e64 s0, s41, v14
	v_mov_b64_e32 v[28:29], 0
	v_mov_b64_e32 v[14:15], 0
	;; [unrolled: 1-line block ×6, first 2 shown]
	v_dual_mov_b32 v59, 0 :: v_dual_mov_b32 v63, 0
	v_dual_mov_b32 v54, 0 :: v_dual_mov_b32 v55, 0
                                        ; implicit-def: $sgpr6
	s_and_saveexec_b32 s11, s0
	s_cbranch_execz .LBB1118_58
; %bb.49:
	v_dual_mov_b32 v59, 0 :: v_dual_add_nc_u32 v14, 5, v52
	v_mov_b64_e32 v[26:27], 0
	v_mov_b64_e32 v[24:25], 0
	;; [unrolled: 1-line block ×3, first 2 shown]
	s_delay_alu instid0(VALU_DEP_4)
	v_cmp_gt_u32_e64 s0, s41, v14
	v_mov_b64_e32 v[14:15], 0
	v_mov_b64_e32 v[22:23], 0
	;; [unrolled: 1-line block ×4, first 2 shown]
	v_dual_mov_b32 v63, 0 :: v_dual_mov_b32 v54, 0
	v_mov_b32_e32 v55, 0
                                        ; implicit-def: $sgpr6
	s_and_saveexec_b32 s36, s0
	s_cbranch_execz .LBB1118_57
; %bb.50:
	ds_load_2addr_b64 v[18:21], v16 offset0:5 offset1:6
	v_cmp_ne_u32_e64 s0, v42, v43
	v_dual_add_nc_u32 v15, 6, v52 :: v_dual_mov_b32 v63, 0
	v_cmp_ne_u32_e64 s4, v17, v42
	v_mov_b64_e32 v[26:27], 0
	s_delay_alu instid0(VALU_DEP_4)
	v_cndmask_b32_e64 v14, 0, 1, s0
	v_mov_b64_e32 v[24:25], 0
	v_mov_b64_e32 v[22:23], 0
	v_cndmask_b32_e64 v29, 0, 1, s4
	v_cmp_gt_u32_e64 s4, s41, v15
	v_lshlrev_b16 v28, 8, v14
	v_mov_b64_e32 v[14:15], 0
	v_mov_b64_e32 v[44:45], 0
	v_cmp_ne_u32_e64 s0, v43, v40
	v_cmp_ne_u32_e64 s1, v40, v41
	v_dual_mov_b32 v54, 0 :: v_dual_mov_b32 v55, 0
                                        ; implicit-def: $sgpr6
	s_and_saveexec_b32 s37, s4
	s_cbranch_execz .LBB1118_56
; %bb.51:
	v_cndmask_b32_e64 v14, 0, 1, s1
	v_cndmask_b32_e64 v15, 0, 1, s0
	v_mov_b64_e32 v[22:23], 0
	s_mov_b32 s4, 0
	s_mov_b32 s1, exec_lo
	v_lshlrev_b16 v14, 8, v14
                                        ; implicit-def: $sgpr6
	v_dual_mov_b32 v54, 0 :: v_dual_add_nc_u32 v17, 7, v52
	s_delay_alu instid0(VALU_DEP_2) | instskip(SKIP_1) | instid1(VALU_DEP_2)
	v_dual_mov_b32 v55, 0 :: v_dual_bitop2_b32 v26, v15, v14 bitop3:0x54
	v_and_b32_e32 v14, 0xffff, v28
	v_lshlrev_b32_e32 v27, 16, v26
	s_delay_alu instid0(VALU_DEP_1) | instskip(SKIP_1) | instid1(VALU_DEP_2)
	v_or_b32_e32 v24, v14, v27
	v_mov_b64_e32 v[14:15], 0
	v_lshrrev_b32_e32 v63, 8, v24
	v_cmpx_gt_u32_e64 s41, v17
	s_cbranch_execz .LBB1118_55
; %bb.52:
	ds_load_2addr_b64 v[22:25], v16 offset0:7 offset1:8
	v_mov_b64_e32 v[14:15], 0
	v_dual_add_nc_u32 v17, 8, v52 :: v_dual_mov_b32 v55, 0
	s_mov_b32 s45, exec_lo
                                        ; implicit-def: $sgpr6
	s_delay_alu instid0(VALU_DEP_1)
	v_cmpx_gt_u32_e64 s41, v17
	s_xor_b32 s45, exec_lo, s45
	s_cbranch_execz .LBB1118_54
; %bb.53:
	ds_load_b64 v[16:17], v16 offset:72
	v_dual_add_nc_u32 v14, 9, v52 :: v_dual_lshrrev_b32 v55, 24, v27
	v_cmp_ne_u32_e64 s6, v41, v48
	s_delay_alu instid0(VALU_DEP_2)
	v_cmp_gt_u32_e64 s0, s41, v14
	s_wait_dscnt 0x1
	v_mov_b64_e32 v[14:15], v[24:25]
	s_and_b32 s4, s0, exec_lo
.LBB1118_54:
	s_or_b32 exec_lo, exec_lo, s45
	v_mov_b32_e32 v54, v26
	s_and_b32 s4, s4, exec_lo
.LBB1118_55:
	s_or_b32 exec_lo, exec_lo, s1
	s_wait_dscnt 0x0
	v_mov_b64_e32 v[26:27], v[22:23]
	v_mov_b64_e32 v[24:25], v[20:21]
	;; [unrolled: 1-line block ×3, first 2 shown]
	s_and_b32 s45, s4, exec_lo
.LBB1118_56:
	s_or_b32 exec_lo, exec_lo, s37
	s_wait_dscnt 0x0
	v_mov_b64_e32 v[30:31], v[18:19]
	v_or_b32_e32 v59, v29, v28
	s_and_b32 s1, s45, exec_lo
.LBB1118_57:
	s_or_b32 exec_lo, exec_lo, s36
	s_wait_dscnt 0x0
	v_mov_b64_e32 v[28:29], v[12:13]
	v_mov_b64_e32 v[20:21], v[12:13]
	v_lshrrev_b32_e32 v50, 24, v32
	s_and_b32 s1, s1, exec_lo
.LBB1118_58:
	s_or_b32 exec_lo, exec_lo, s11
	s_wait_dscnt 0x0
	v_mov_b64_e32 v[34:35], v[10:11]
	v_dual_mov_b32 v49, v5 :: v_dual_mov_b32 v53, v50
	s_and_b32 s1, s1, exec_lo
.LBB1118_59:
	s_or_b32 exec_lo, exec_lo, s10
	s_wait_dscnt 0x0
	v_mov_b64_e32 v[32:33], v[8:9]
	v_mov_b64_e32 v[12:13], v[8:9]
	v_dual_mov_b32 v56, v46 :: v_dual_mov_b32 v57, v49
	s_and_b32 s10, s1, exec_lo
.LBB1118_60:
	s_or_b32 exec_lo, exec_lo, s9
	v_or_b32_e32 v51, v1, v4
	s_wait_dscnt 0x0
	v_mov_b64_e32 v[4:5], v[6:7]
	s_and_b32 s1, s10, exec_lo
.LBB1118_61:
	s_or_b32 exec_lo, exec_lo, s8
	v_cndmask_b32_e64 v58, 0, 1, vcc_lo
	v_mov_b32_e32 v47, v51
	s_and_b32 s45, s1, exec_lo
	s_delay_alu instid0(VALU_DEP_2)
	v_mov_b32_e32 v1, v58
.LBB1118_62:
	s_or_b32 exec_lo, exec_lo, s7
	s_delay_alu instid0(SALU_CYCLE_1)
	s_and_b32 vcc_lo, exec_lo, s5
	s_cbranch_vccz .LBB1118_80
.LBB1118_63:
	flat_load_b32 v1, v0, s[14:15] scale_offset
	s_wait_dscnt 0x1
	s_clause 0x8
	flat_load_b32 v2, v0, s[14:15] offset:512 scale_offset
	flat_load_b32 v3, v0, s[14:15] offset:1024 scale_offset
	;; [unrolled: 1-line block ×9, first 2 shown]
	v_lshlrev_b32_e32 v11, 2, v0
	s_cmp_eq_u64 s[16:17], 0
	s_wait_loadcnt_dscnt 0x808
	ds_store_2addr_stride64_b32 v11, v1, v2 offset1:2
	s_wait_loadcnt_dscnt 0x607
	ds_store_2addr_stride64_b32 v11, v3, v4 offset0:4 offset1:6
	s_wait_loadcnt_dscnt 0x406
	ds_store_2addr_stride64_b32 v11, v5, v6 offset0:8 offset1:10
	;; [unrolled: 2-line block ×4, first 2 shown]
	v_mov_b32_e32 v1, 0
	v_mad_u32_u24 v15, v0, 36, v11
	s_wait_dscnt 0x0
	s_barrier_signal -1
	s_barrier_wait -1
	ds_load_2addr_b64 v[6:9], v15 offset1:1
	ds_load_2addr_b32 v[4:5], v15 offset0:1 offset1:2
	ds_load_2addr_b32 v[2:3], v15 offset0:3 offset1:4
	;; [unrolled: 1-line block ×3, first 2 shown]
	ds_load_b32 v14, v15 offset:36
	ds_load_2addr_b32 v[12:13], v15 offset0:5 offset1:6
	s_cbranch_scc1 .LBB1118_77
; %bb.64:
	s_and_not1_b32 vcc_lo, exec_lo, s40
	s_cbranch_vccnz .LBB1118_75
; %bb.65:
	s_lshl_b64 s[0:1], s[16:17], 2
	s_delay_alu instid0(SALU_CYCLE_1) | instskip(NEXT) | instid1(SALU_CYCLE_1)
	s_add_nc_u64 s[0:1], s[42:43], s[0:1]
	s_add_nc_u64 s[14:15], s[0:1], -4
	s_mov_b32 s0, 0
	s_branch .LBB1118_76
.LBB1118_66:
	flat_load_b64 v[2:3], v0, s[12:13] scale_offset
	s_wait_xcnt 0x0
	s_or_b32 exec_lo, exec_lo, s36
                                        ; implicit-def: $vgpr4_vgpr5
	s_and_saveexec_b32 s0, s1
	s_cbranch_execz .LBB1118_35
.LBB1118_67:
	flat_load_b64 v[4:5], v0, s[12:13] offset:1024 scale_offset
	s_wait_xcnt 0x0
	s_or_b32 exec_lo, exec_lo, s0
                                        ; implicit-def: $vgpr6_vgpr7
	s_and_saveexec_b32 s0, s4
	s_cbranch_execz .LBB1118_36
.LBB1118_68:
	flat_load_b64 v[6:7], v0, s[12:13] offset:2048 scale_offset
	s_wait_xcnt 0x0
	s_or_b32 exec_lo, exec_lo, s0
                                        ; implicit-def: $vgpr10_vgpr11
	s_and_saveexec_b32 s0, s5
	s_cbranch_execz .LBB1118_37
.LBB1118_69:
	flat_load_b64 v[10:11], v0, s[12:13] offset:3072 scale_offset
	s_wait_xcnt 0x0
	s_or_b32 exec_lo, exec_lo, s0
                                        ; implicit-def: $vgpr12_vgpr13
	s_and_saveexec_b32 s0, s6
	s_cbranch_execz .LBB1118_38
.LBB1118_70:
	flat_load_b64 v[12:13], v0, s[12:13] offset:4096 scale_offset
	s_wait_xcnt 0x0
	s_or_b32 exec_lo, exec_lo, s0
                                        ; implicit-def: $vgpr14_vgpr15
	s_and_saveexec_b32 s0, s7
	s_cbranch_execz .LBB1118_39
.LBB1118_71:
	flat_load_b64 v[14:15], v0, s[12:13] offset:5120 scale_offset
	s_wait_xcnt 0x0
	s_or_b32 exec_lo, exec_lo, s0
                                        ; implicit-def: $vgpr18_vgpr19
	s_and_saveexec_b32 s0, s8
	s_cbranch_execz .LBB1118_40
.LBB1118_72:
	flat_load_b64 v[18:19], v0, s[12:13] offset:6144 scale_offset
	s_wait_xcnt 0x0
	s_or_b32 exec_lo, exec_lo, s0
                                        ; implicit-def: $vgpr20_vgpr21
	s_and_saveexec_b32 s0, s9
	s_cbranch_execz .LBB1118_41
.LBB1118_73:
	flat_load_b64 v[20:21], v0, s[12:13] offset:7168 scale_offset
	s_wait_xcnt 0x0
	s_or_b32 exec_lo, exec_lo, s0
                                        ; implicit-def: $vgpr22_vgpr23
	s_and_saveexec_b32 s0, s10
	s_cbranch_execz .LBB1118_42
.LBB1118_74:
	flat_load_b64 v[22:23], v0, s[12:13] offset:8192 scale_offset
	s_wait_xcnt 0x0
	s_or_b32 exec_lo, exec_lo, s0
                                        ; implicit-def: $vgpr24_vgpr25
	s_and_saveexec_b32 s0, s11
	s_cbranch_execnz .LBB1118_43
	s_branch .LBB1118_44
.LBB1118_75:
	s_add_nc_u64 s[14:15], s[14:15], -4
	s_mov_b32 s0, -1
.LBB1118_76:
	s_delay_alu instid0(SALU_CYCLE_1)
	s_and_not1_b32 vcc_lo, exec_lo, s0
.LBB1118_77:
	flat_load_b32 v1, v1, s[14:15]
	v_mad_i32_i24 v15, 0xffffffdc, v0, v15
	s_wait_dscnt 0x2
	ds_store_b32 v15, v14 offset:5120
	s_wait_loadcnt_dscnt 0x0
	s_barrier_signal -1
	s_barrier_wait -1
	s_and_saveexec_b32 s0, s3
; %bb.78:
	ds_load_b32 v1, v15 offset:5116
; %bb.79:
	s_or_b32 exec_lo, exec_lo, s0
	s_wait_dscnt 0x0
	s_barrier_signal -1
	s_barrier_wait -1
	s_clause 0x9
	flat_load_b64 v[16:17], v0, s[12:13] scale_offset
	flat_load_b64 v[18:19], v0, s[12:13] offset:1024 scale_offset
	flat_load_b64 v[20:21], v0, s[12:13] offset:2048 scale_offset
	;; [unrolled: 1-line block ×9, first 2 shown]
	v_cmp_ne_u32_e32 vcc_lo, v12, v13
	v_cmp_ne_u32_e64 s6, v11, v14
	s_mov_b32 s45, -1
	v_cndmask_b32_e64 v14, 0, 1, vcc_lo
	v_cmp_ne_u32_e32 vcc_lo, v3, v12
	v_cndmask_b32_e64 v12, 0, 1, vcc_lo
	v_cmp_ne_u32_e32 vcc_lo, v10, v11
	v_cndmask_b32_e64 v11, 0, 1, vcc_lo
	v_cmp_ne_u32_e32 vcc_lo, v13, v10
	v_cndmask_b32_e64 v10, 0, 1, vcc_lo
	v_cmp_ne_u32_e32 vcc_lo, v7, v5
	v_lshl_add_u32 v7, v0, 2, v15
	s_wait_loadcnt_dscnt 0x808
	ds_store_2addr_stride64_b64 v7, v[16:17], v[18:19] offset1:2
	s_wait_loadcnt_dscnt 0x607
	ds_store_2addr_stride64_b64 v7, v[20:21], v[22:23] offset0:4 offset1:6
	s_wait_loadcnt_dscnt 0x406
	ds_store_2addr_stride64_b64 v7, v[24:25], v[26:27] offset0:8 offset1:10
	;; [unrolled: 2-line block ×4, first 2 shown]
	v_cndmask_b32_e64 v5, 0, 1, vcc_lo
	v_cmp_ne_u32_e32 vcc_lo, v6, v4
	s_wait_dscnt 0x0
	s_barrier_signal -1
	s_barrier_wait -1
	v_lshlrev_b16 v5, 8, v5
	v_cndmask_b32_e64 v4, 0, 1, vcc_lo
	v_cmp_ne_u32_e32 vcc_lo, v9, v3
	v_lshlrev_b16 v9, 8, v14
	v_cndmask_b32_e64 v3, 0, 1, vcc_lo
	v_cmp_ne_u32_e32 vcc_lo, v8, v2
	v_lshlrev_b16 v8, 8, v11
	v_mad_u32_u24 v11, 0x48, v0, v7
	ds_load_b128 v[28:31], v11 offset:32
	ds_load_b128 v[24:27], v11 offset:48
	v_cndmask_b32_e64 v2, 0, 1, vcc_lo
	v_lshlrev_b16 v3, 8, v3
	v_and_b32_e32 v7, 0xffff, v5
	v_cmp_ne_u32_e32 vcc_lo, v1, v6
	s_delay_alu instid0(VALU_DEP_3) | instskip(SKIP_3) | instid1(VALU_DEP_4)
	v_or_b32_e32 v49, v2, v3
	v_or_b32_e32 v54, v10, v8
	v_and_b32_e32 v8, 0xffff, v9
	v_cndmask_b32_e64 v58, 0, 1, vcc_lo
	v_lshlrev_b32_e32 v10, 16, v49
	s_delay_alu instid0(VALU_DEP_4)
	v_dual_lshlrev_b32 v13, 16, v54 :: v_dual_bitop2_b32 v51, v4, v5 bitop3:0x54
	ds_load_b128 v[2:5], v11
	ds_load_b128 v[32:35], v11 offset:16
	ds_load_b128 v[14:17], v11 offset:64
	v_dual_lshrrev_b32 v50, 24, v10 :: v_dual_bitop2_b32 v59, v12, v9 bitop3:0x54
	v_mov_b32_e32 v47, v51
	v_dual_mov_b32 v57, v49 :: v_dual_bitop2_b32 v1, v7, v10 bitop3:0x54
	v_dual_lshrrev_b32 v55, 24, v13 :: v_dual_bitop2_b32 v6, v8, v13 bitop3:0x54
	s_wait_dscnt 0x3
	v_mov_b64_e32 v[22:23], v[26:27]
	s_delay_alu instid0(VALU_DEP_3)
	v_lshrrev_b32_e32 v46, 8, v1
	v_mov_b64_e32 v[44:45], v[24:25]
	v_lshrrev_b32_e32 v63, 8, v6
	v_mov_b64_e32 v[18:19], v[30:31]
	v_mov_b64_e32 v[20:21], v[28:29]
	v_dual_mov_b32 v53, v50 :: v_dual_mov_b32 v56, v46
	v_mov_b32_e32 v1, v58
	s_wait_dscnt 0x2
	v_mov_b64_e32 v[6:7], v[4:5]
	s_wait_dscnt 0x1
	v_mov_b64_e32 v[10:11], v[34:35]
	v_mov_b64_e32 v[12:13], v[32:33]
.LBB1118_80:
	v_mov_b64_e32 v[8:9], 0
	v_mov_b32_e32 v48, 0
	s_and_saveexec_b32 s0, s45
	s_cbranch_execz .LBB1118_82
; %bb.81:
	v_mov_b64_e32 v[6:7], v[4:5]
	v_mov_b64_e32 v[12:13], v[32:33]
	;; [unrolled: 1-line block ×7, first 2 shown]
	s_wait_dscnt 0x0
	v_mov_b64_e32 v[8:9], v[16:17]
	v_cndmask_b32_e64 v48, 0, 1, s6
	v_dual_mov_b32 v1, v58 :: v_dual_mov_b32 v47, v51
	v_dual_mov_b32 v56, v46 :: v_dual_mov_b32 v57, v49
	v_mov_b32_e32 v53, v50
.LBB1118_82:
	s_or_b32 exec_lo, exec_lo, s0
	v_and_b32_e32 v51, 1, v59
	v_and_b32_e32 v52, 1, v55
	;; [unrolled: 1-line block ×8, first 2 shown]
	v_bitop3_b16 v53, v53, 0xff, v57 bitop3:0xc8
	v_and_b32_e32 v55, 0xff, v55
	v_and_b32_e32 v56, 0xff, v54
	;; [unrolled: 1-line block ×4, first 2 shown]
	v_cmp_eq_u32_e64 s12, 1, v51
	v_bitop3_b16 v54, v54, 0xff, v63 bitop3:0xc8
	v_cmp_eq_u32_e64 s13, 1, v52
	v_cmp_eq_u16_e64 s0, 0, v48
	v_cmp_eq_u32_e64 s11, 1, v50
	v_mbcnt_lo_u32_b32 v46, -1, 0
	s_cmp_lg_u32 s44, 0
	s_wait_dscnt 0x0
	v_cmp_eq_u32_e32 vcc_lo, 1, v49
	s_barrier_signal -1
	s_barrier_wait -1
	s_cbranch_scc0 .LBB1118_138
; %bb.83:
	v_add_f64_e32 v[4:5], v[2:3], v[6:7]
	v_cmp_eq_u16_e64 s1, 0, v62
	v_cmp_eq_u16_e64 s4, 0, v61
	;; [unrolled: 1-line block ×8, first 2 shown]
	v_bitop3_b16 v16, v47, 0xff, v1 bitop3:0xc8
	v_cmp_ne_u16_e64 s14, 0, v54
	v_cmp_ne_u16_e64 s15, 0, v53
	v_and_b32_e32 v25, 15, v46
	s_delay_alu instid0(VALU_DEP_4) | instskip(SKIP_3) | instid1(SALU_CYCLE_1)
	v_cmp_ne_u16_e64 s16, 0, v16
	s_or_b32 s13, s14, s13
	s_or_b32 s12, s15, s12
	;; [unrolled: 1-line block ×4, first 2 shown]
	s_or_b32 s12, s16, vcc_lo
	s_delay_alu instid0(SALU_CYCLE_1) | instskip(SKIP_2) | instid1(VALU_DEP_1)
	s_or_b32 vcc_lo, s11, s12
	s_mov_b32 s12, exec_lo
	v_cndmask_b32_e64 v24, 0, 1, vcc_lo
	v_mov_b32_dpp v26, v24 row_shr:1 row_mask:0xf bank_mask:0xf
	v_dual_cndmask_b32 v5, v7, v5, s1 :: v_dual_cndmask_b32 v4, v6, v4, s1
	s_delay_alu instid0(VALU_DEP_1) | instskip(NEXT) | instid1(VALU_DEP_1)
	v_add_f64_e32 v[4:5], v[12:13], v[4:5]
	v_dual_cndmask_b32 v5, v13, v5, s4 :: v_dual_cndmask_b32 v4, v12, v4, s4
	s_delay_alu instid0(VALU_DEP_1) | instskip(NEXT) | instid1(VALU_DEP_1)
	v_add_f64_e32 v[4:5], v[10:11], v[4:5]
	;; [unrolled: 3-line block ×8, first 2 shown]
	v_dual_cndmask_b32 v16, v8, v4, s0 :: v_dual_cndmask_b32 v17, v9, v5, s0
	s_delay_alu instid0(VALU_DEP_1) | instskip(NEXT) | instid1(VALU_DEP_2)
	v_mov_b32_dpp v4, v16 row_shr:1 row_mask:0xf bank_mask:0xf
	v_mov_b32_dpp v5, v17 row_shr:1 row_mask:0xf bank_mask:0xf
	v_cmpx_ne_u32_e32 0, v25
	s_cbranch_execz .LBB1118_85
; %bb.84:
	s_delay_alu instid0(VALU_DEP_2) | instskip(SKIP_1) | instid1(VALU_DEP_2)
	v_add_f64_e32 v[4:5], v[16:17], v[4:5]
	v_and_or_b32 v24, v26, 1, v24
	v_dual_cndmask_b32 v17, v5, v17 :: v_dual_cndmask_b32 v16, v4, v16
.LBB1118_85:
	s_or_b32 exec_lo, exec_lo, s12
	s_delay_alu instid0(VALU_DEP_1) | instskip(NEXT) | instid1(VALU_DEP_2)
	v_mov_b32_dpp v4, v16 row_shr:2 row_mask:0xf bank_mask:0xf
	v_mov_b32_dpp v5, v17 row_shr:2 row_mask:0xf bank_mask:0xf
	v_mov_b32_dpp v26, v24 row_shr:2 row_mask:0xf bank_mask:0xf
	s_mov_b32 s11, exec_lo
	v_cmpx_lt_u32_e32 1, v25
	s_cbranch_execz .LBB1118_87
; %bb.86:
	v_add_f64_e32 v[4:5], v[16:17], v[4:5]
	v_cmp_eq_u16_e32 vcc_lo, 0, v24
	v_bitop3_b32 v24, v26, 1, v24 bitop3:0xc8
	s_delay_alu instid0(VALU_DEP_3)
	v_dual_cndmask_b32 v17, v17, v5 :: v_dual_cndmask_b32 v16, v16, v4
.LBB1118_87:
	s_or_b32 exec_lo, exec_lo, s11
	s_delay_alu instid0(VALU_DEP_1) | instskip(NEXT) | instid1(VALU_DEP_2)
	v_mov_b32_dpp v4, v16 row_shr:4 row_mask:0xf bank_mask:0xf
	v_mov_b32_dpp v5, v17 row_shr:4 row_mask:0xf bank_mask:0xf
	v_mov_b32_dpp v26, v24 row_shr:4 row_mask:0xf bank_mask:0xf
	s_mov_b32 s11, exec_lo
	v_cmpx_lt_u32_e32 3, v25
	s_cbranch_execz .LBB1118_89
; %bb.88:
	v_add_f64_e32 v[4:5], v[16:17], v[4:5]
	v_cmp_eq_u16_e32 vcc_lo, 0, v24
	v_bitop3_b32 v24, v26, 1, v24 bitop3:0xc8
	s_delay_alu instid0(VALU_DEP_3)
	v_dual_cndmask_b32 v17, v17, v5 :: v_dual_cndmask_b32 v16, v16, v4
.LBB1118_89:
	;; [unrolled: 15-line block ×3, first 2 shown]
	s_or_b32 exec_lo, exec_lo, s11
	ds_swizzle_b32 v4, v16 offset:swizzle(BROADCAST,32,15)
	ds_swizzle_b32 v5, v17 offset:swizzle(BROADCAST,32,15)
	;; [unrolled: 1-line block ×3, first 2 shown]
	v_and_b32_e32 v26, 16, v46
	s_delay_alu instid0(VALU_DEP_1)
	v_cmp_ne_u32_e32 vcc_lo, 0, v26
	v_mov_b32_e32 v26, v24
	s_and_saveexec_b32 s13, vcc_lo
	s_cbranch_execz .LBB1118_93
; %bb.92:
	s_wait_dscnt 0x1
	v_add_f64_e32 v[4:5], v[16:17], v[4:5]
	v_cmp_eq_u16_e64 s12, 0, v24
	v_and_b32_e32 v26, 1, v24
	s_wait_dscnt 0x0
	s_delay_alu instid0(VALU_DEP_2) | instskip(NEXT) | instid1(VALU_DEP_1)
	v_dual_cndmask_b32 v16, v16, v4, s12 :: v_dual_bitop2_b32 v25, 1, v25 bitop3:0x40
	v_cmp_eq_u32_e64 s11, 1, v25
	v_cndmask_b32_e64 v17, v17, v5, s12
	v_cmp_eq_u32_e32 vcc_lo, 1, v26
	s_or_b32 s11, vcc_lo, s11
	s_delay_alu instid0(SALU_CYCLE_1)
	v_cndmask_b32_e64 v24, 0, 1, s11
	v_cndmask_b32_e64 v26, 0, 1, s11
.LBB1118_93:
	s_or_b32 exec_lo, exec_lo, s13
	s_wait_dscnt 0x1
	v_dual_lshrrev_b32 v5, 5, v0 :: v_dual_bitop2_b32 v4, 31, v0 bitop3:0x54
	s_mov_b32 s11, exec_lo
	s_delay_alu instid0(VALU_DEP_1) | instskip(NEXT) | instid1(VALU_DEP_2)
	v_lshlrev_b32_e32 v27, 4, v5
	v_cmpx_eq_u32_e64 v0, v4
	s_cbranch_execz .LBB1118_95
; %bb.94:
	ds_store_b64 v27, v[16:17]
	ds_store_b8 v27, v24 offset:8
.LBB1118_95:
	s_or_b32 exec_lo, exec_lo, s11
	s_delay_alu instid0(SALU_CYCLE_1)
	s_mov_b32 s13, exec_lo
	s_wait_dscnt 0x0
	s_barrier_signal -1
	s_barrier_wait -1
	v_cmpx_gt_u32_e32 4, v0
	s_cbranch_execz .LBB1118_101
; %bb.96:
	v_dual_lshlrev_b32 v28, 4, v0 :: v_dual_bitop2_b32 v30, 3, v46 bitop3:0x40
	s_mov_b32 s11, exec_lo
	ds_load_b64 v[4:5], v28
	ds_load_b32 v29, v28 offset:8
	s_wait_dscnt 0x1
	v_mov_b32_dpp v24, v4 row_shr:1 row_mask:0xf bank_mask:0xf
	v_mov_b32_dpp v25, v5 row_shr:1 row_mask:0xf bank_mask:0xf
	s_wait_dscnt 0x0
	v_mov_b32_dpp v33, v29 row_shr:1 row_mask:0xf bank_mask:0xf
	v_dual_mov_b32 v32, v29 :: v_dual_mov_b32 v31, v29
	v_cmpx_ne_u32_e32 0, v30
	s_cbranch_execz .LBB1118_98
; %bb.97:
	v_add_f64_e32 v[24:25], v[4:5], v[24:25]
	v_and_b32_e32 v31, 0xff, v29
	s_delay_alu instid0(VALU_DEP_1) | instskip(SKIP_2) | instid1(VALU_DEP_1)
	v_cmp_eq_u16_e32 vcc_lo, 0, v31
	v_or_b32_e32 v32, v33, v29
	v_bitop3_b32 v31, v33, 1, v29 bitop3:0xc8
	v_and_or_b32 v29, 0xffffff00, v29, v31
	v_dual_cndmask_b32 v5, v5, v25 :: v_dual_cndmask_b32 v4, v4, v24
	s_delay_alu instid0(VALU_DEP_4)
	v_and_b32_e32 v32, 1, v32
.LBB1118_98:
	s_or_b32 exec_lo, exec_lo, s11
	s_delay_alu instid0(VALU_DEP_2) | instskip(NEXT) | instid1(VALU_DEP_3)
	v_mov_b32_dpp v24, v4 row_shr:2 row_mask:0xf bank_mask:0xf
	v_mov_b32_dpp v25, v5 row_shr:2 row_mask:0xf bank_mask:0xf
	;; [unrolled: 1-line block ×3, first 2 shown]
	s_mov_b32 s14, exec_lo
	v_cmpx_lt_u32_e32 1, v30
	s_cbranch_execz .LBB1118_100
; %bb.99:
	v_add_f64_e32 v[24:25], v[4:5], v[24:25]
	v_and_b32_e32 v30, 0xff, v31
	v_and_b32_e32 v31, 1, v31
	s_delay_alu instid0(VALU_DEP_2) | instskip(SKIP_1) | instid1(VALU_DEP_3)
	v_cmp_eq_u16_e32 vcc_lo, 0, v30
	v_and_b32_e32 v29, 1, v29
	v_cmp_eq_u32_e64 s11, 1, v31
	v_cndmask_b32_e32 v4, v4, v24, vcc_lo
	s_delay_alu instid0(VALU_DEP_3) | instskip(SKIP_2) | instid1(SALU_CYCLE_1)
	v_cmp_eq_u32_e64 s12, 1, v29
	v_cndmask_b32_e32 v5, v5, v25, vcc_lo
	s_or_b32 s11, s11, s12
	v_cndmask_b32_e64 v32, 0, 1, s11
.LBB1118_100:
	s_or_b32 exec_lo, exec_lo, s14
	ds_store_b64 v28, v[4:5]
	ds_store_b8 v28, v32 offset:8
.LBB1118_101:
	s_or_b32 exec_lo, exec_lo, s13
	v_mov_b64_e32 v[4:5], 0
	v_mov_b32_e32 v32, 0
	s_mov_b32 s12, exec_lo
	v_cmp_gt_u32_e32 vcc_lo, 32, v0
	s_wait_dscnt 0x0
	s_barrier_signal -1
	s_barrier_wait -1
	v_cmpx_lt_u32_e32 31, v0
	s_cbranch_execz .LBB1118_103
; %bb.102:
	v_dual_add_nc_u32 v4, -16, v27 :: v_dual_add_nc_u32 v24, -8, v27
	v_cmp_eq_u32_e64 s11, 0, v26
	ds_load_b64 v[4:5], v4
	ds_load_u8 v27, v24
	s_wait_dscnt 0x0
	v_dual_add_f64 v[24:25], v[16:17], v[4:5] :: v_dual_bitop2_b32 v28, v27, v26 bitop3:0x54
	v_and_b32_e32 v32, 1, v27
	s_delay_alu instid0(VALU_DEP_2) | instskip(NEXT) | instid1(VALU_DEP_3)
	v_dual_cndmask_b32 v17, v17, v25, s11 :: v_dual_bitop2_b32 v26, 1, v28 bitop3:0x40
	v_cndmask_b32_e64 v16, v16, v24, s11
.LBB1118_103:
	s_or_b32 exec_lo, exec_lo, s12
	v_sub_co_u32 v24, s11, v46, 1
	s_delay_alu instid0(VALU_DEP_1) | instskip(NEXT) | instid1(VALU_DEP_1)
	v_cmp_gt_i32_e64 s12, 0, v24
	v_cndmask_b32_e64 v24, v24, v46, s12
	s_delay_alu instid0(VALU_DEP_1)
	v_lshlrev_b32_e32 v24, 2, v24
	ds_bpermute_b32 v34, v24, v16
	ds_bpermute_b32 v35, v24, v17
	;; [unrolled: 1-line block ×3, first 2 shown]
	s_and_saveexec_b32 s14, vcc_lo
	s_cbranch_execz .LBB1118_175
; %bb.104:
	v_mov_b32_e32 v27, 0
	ds_load_b64 v[16:17], v27 offset:48
	ds_load_u8 v36, v27 offset:56
	s_and_saveexec_b32 s12, s11
	s_cbranch_execz .LBB1118_106
; %bb.105:
	s_add_co_i32 s16, s44, 32
	s_mov_b32 s17, 0
	v_dual_mov_b32 v24, 1 :: v_dual_mov_b32 v25, s16
	s_lshl_b64 s[36:37], s[16:17], 4
	s_delay_alu instid0(SALU_CYCLE_1)
	s_add_nc_u64 s[16:17], s[20:21], s[36:37]
	s_wait_dscnt 0x1
	global_store_b64 v27, v[16:17], s[16:17]
	s_wait_dscnt 0x0
	global_store_b8 v27, v36, s[16:17] offset:8
	global_wb scope:SCOPE_DEV
	s_wait_storecnt 0x0
	global_inv scope:SCOPE_DEV
	s_wait_xcnt 0x0
	global_store_b8 v25, v24, s[24:25] scope:SCOPE_DEV
.LBB1118_106:
	s_wait_xcnt 0x0
	s_or_b32 exec_lo, exec_lo, s12
	v_xad_u32 v24, v46, -1, s44
	s_mov_b32 s13, 0
	s_mov_b32 s12, exec_lo
	s_delay_alu instid0(VALU_DEP_1)
	v_add_nc_u32_e32 v26, 32, v24
	global_load_u8 v37, v26, s[24:25] scope:SCOPE_DEV
	s_wait_loadcnt 0x0
	v_cmpx_eq_u16_e32 0, v37
	s_cbranch_execz .LBB1118_110
; %bb.107:
	v_add_nc_u64_e32 v[28:29], s[24:25], v[26:27]
.LBB1118_108:                           ; =>This Inner Loop Header: Depth=1
	global_load_u8 v37, v[28:29], off scope:SCOPE_DEV
	s_wait_loadcnt 0x0
	v_cmp_ne_u16_e32 vcc_lo, 0, v37
	s_or_b32 s13, vcc_lo, s13
	s_wait_xcnt 0x0
	s_and_not1_b32 exec_lo, exec_lo, s13
	s_cbranch_execnz .LBB1118_108
; %bb.109:
	s_or_b32 exec_lo, exec_lo, s13
.LBB1118_110:
	s_delay_alu instid0(SALU_CYCLE_1)
	s_or_b32 exec_lo, exec_lo, s12
	v_dual_mov_b32 v25, s21 :: v_dual_mov_b32 v28, s20
	v_cmp_eq_u16_e32 vcc_lo, 1, v37
	global_wb scope:SCOPE_DEV
	s_wait_storecnt_dscnt 0x0
	global_inv scope:SCOPE_DEV
	v_lshlrev_b32_e64 v39, v46, -1
	s_mov_b32 s12, exec_lo
	v_cndmask_b32_e32 v29, s23, v25, vcc_lo
	v_cndmask_b32_e32 v28, s22, v28, vcc_lo
	v_cmp_ne_u32_e32 vcc_lo, 31, v46
	v_add_co_ci_u32_e64 v25, null, 0, v46, vcc_lo
	v_cmp_eq_u16_e32 vcc_lo, 2, v37
	s_delay_alu instid0(VALU_DEP_2)
	v_lshlrev_b32_e32 v38, 2, v25
	v_lshl_add_u64 v[26:27], v[26:27], 4, v[28:29]
	s_clause 0x1
	global_load_u8 v30, v[26:27], off offset:8
	global_load_b64 v[28:29], v[26:27], off
	v_and_or_b32 v25, vcc_lo, v39, 0x80000000
	s_delay_alu instid0(VALU_DEP_1)
	v_ctz_i32_b32_e32 v25, v25
	s_wait_loadcnt 0x1
	v_and_b32_e32 v31, 1, v30
	s_wait_loadcnt 0x0
	ds_bpermute_b32 v26, v38, v28
	ds_bpermute_b32 v27, v38, v29
	;; [unrolled: 1-line block ×3, first 2 shown]
	v_cmpx_lt_u32_e64 v46, v25
	s_cbranch_execz .LBB1118_112
; %bb.111:
	s_wait_dscnt 0x1
	v_add_f64_e32 v[26:27], v[28:29], v[26:27]
	v_and_b32_e32 v31, 0xff, v30
	s_wait_dscnt 0x0
	v_bitop3_b16 v30, v40, v30, 1 bitop3:0xec
	s_delay_alu instid0(VALU_DEP_2) | instskip(NEXT) | instid1(VALU_DEP_2)
	v_cmp_eq_u16_e32 vcc_lo, 0, v31
	v_and_b32_e32 v31, 0xff, v30
	v_dual_cndmask_b32 v29, v29, v27 :: v_dual_cndmask_b32 v28, v28, v26
.LBB1118_112:
	s_or_b32 exec_lo, exec_lo, s12
	v_cmp_gt_u32_e32 vcc_lo, 30, v46
	v_add_nc_u32_e32 v41, 2, v46
	s_mov_b32 s15, exec_lo
	s_wait_dscnt 0x2
	v_cndmask_b32_e64 v26, 0, 2, vcc_lo
	s_wait_dscnt 0x0
	s_delay_alu instid0(VALU_DEP_1)
	v_add_lshl_u32 v40, v26, v46, 2
	ds_bpermute_b32 v26, v40, v28
	ds_bpermute_b32 v27, v40, v29
	;; [unrolled: 1-line block ×3, first 2 shown]
	v_cmpx_le_u32_e64 v41, v25
	s_cbranch_execz .LBB1118_114
; %bb.113:
	s_wait_dscnt 0x1
	v_add_f64_e32 v[26:27], v[28:29], v[26:27]
	v_and_b32_e32 v31, 1, v30
	v_and_b32_e32 v30, 0xff, v30
	s_wait_dscnt 0x0
	v_and_b32_e32 v42, 1, v42
	s_delay_alu instid0(VALU_DEP_2) | instskip(NEXT) | instid1(VALU_DEP_2)
	v_cmp_eq_u16_e64 s13, 0, v30
	v_cmp_eq_u32_e64 s12, 1, v42
	s_delay_alu instid0(VALU_DEP_2) | instskip(SKIP_3) | instid1(SALU_CYCLE_1)
	v_cndmask_b32_e64 v29, v29, v27, s13
	v_cmp_eq_u32_e32 vcc_lo, 1, v31
	v_cndmask_b32_e64 v28, v28, v26, s13
	s_or_b32 s12, vcc_lo, s12
	v_cndmask_b32_e64 v30, 0, 1, s12
	v_cndmask_b32_e64 v31, 0, 1, s12
.LBB1118_114:
	s_or_b32 exec_lo, exec_lo, s15
	v_cmp_gt_u32_e32 vcc_lo, 28, v46
	v_add_nc_u32_e32 v43, 4, v46
	s_mov_b32 s15, exec_lo
	s_wait_dscnt 0x2
	v_cndmask_b32_e64 v26, 0, 4, vcc_lo
	s_wait_dscnt 0x0
	s_delay_alu instid0(VALU_DEP_1)
	v_add_lshl_u32 v42, v26, v46, 2
	ds_bpermute_b32 v26, v42, v28
	ds_bpermute_b32 v27, v42, v29
	;; [unrolled: 1-line block ×3, first 2 shown]
	v_cmpx_le_u32_e64 v43, v25
	s_cbranch_execz .LBB1118_116
; %bb.115:
	s_wait_dscnt 0x1
	v_add_f64_e32 v[26:27], v[28:29], v[26:27]
	v_and_b32_e32 v31, 1, v30
	v_and_b32_e32 v30, 0xff, v30
	s_delay_alu instid0(VALU_DEP_1) | instskip(SKIP_1) | instid1(VALU_DEP_1)
	v_cmp_eq_u16_e64 s13, 0, v30
	s_wait_dscnt 0x0
	v_dual_cndmask_b32 v28, v28, v26, s13 :: v_dual_bitop2_b32 v63, 1, v63 bitop3:0x40
	s_delay_alu instid0(VALU_DEP_1) | instskip(SKIP_3) | instid1(SALU_CYCLE_1)
	v_cmp_eq_u32_e64 s12, 1, v63
	v_cndmask_b32_e64 v29, v29, v27, s13
	v_cmp_eq_u32_e32 vcc_lo, 1, v31
	s_or_b32 s12, vcc_lo, s12
	v_cndmask_b32_e64 v30, 0, 1, s12
	v_cndmask_b32_e64 v31, 0, 1, s12
.LBB1118_116:
	s_or_b32 exec_lo, exec_lo, s15
	v_cmp_gt_u32_e32 vcc_lo, 24, v46
	v_add_nc_u32_e32 v64, 8, v46
	s_mov_b32 s15, exec_lo
	s_wait_dscnt 0x2
	v_cndmask_b32_e64 v26, 0, 8, vcc_lo
	s_wait_dscnt 0x0
	s_delay_alu instid0(VALU_DEP_1)
	v_add_lshl_u32 v63, v26, v46, 2
	ds_bpermute_b32 v26, v63, v28
	ds_bpermute_b32 v27, v63, v29
	;; [unrolled: 1-line block ×3, first 2 shown]
	v_cmpx_le_u32_e64 v64, v25
	s_cbranch_execz .LBB1118_118
; %bb.117:
	s_wait_dscnt 0x0
	v_dual_add_f64 v[26:27], v[28:29], v[26:27] :: v_dual_bitop2_b32 v65, 1, v65 bitop3:0x40
	v_and_b32_e32 v31, 1, v30
	v_and_b32_e32 v30, 0xff, v30
	s_delay_alu instid0(VALU_DEP_3) | instskip(NEXT) | instid1(VALU_DEP_2)
	v_cmp_eq_u32_e64 s12, 1, v65
	v_cmp_eq_u16_e64 s13, 0, v30
	s_delay_alu instid0(VALU_DEP_1) | instskip(SKIP_3) | instid1(SALU_CYCLE_1)
	v_cndmask_b32_e64 v29, v29, v27, s13
	v_cmp_eq_u32_e32 vcc_lo, 1, v31
	v_cndmask_b32_e64 v28, v28, v26, s13
	s_or_b32 s12, vcc_lo, s12
	v_cndmask_b32_e64 v30, 0, 1, s12
	v_cndmask_b32_e64 v31, 0, 1, s12
.LBB1118_118:
	s_or_b32 exec_lo, exec_lo, s15
	s_wait_dscnt 0x0
	v_lshl_or_b32 v65, v46, 2, 64
	v_add_nc_u32_e32 v66, 16, v46
	s_mov_b32 s15, exec_lo
	ds_bpermute_b32 v26, v65, v28
	ds_bpermute_b32 v27, v65, v29
	;; [unrolled: 1-line block ×3, first 2 shown]
	v_cmpx_le_u32_e64 v66, v25
	s_cbranch_execz .LBB1118_120
; %bb.119:
	s_wait_dscnt 0x1
	v_add_f64_e32 v[26:27], v[28:29], v[26:27]
	v_and_b32_e32 v25, 0xff, v30
	s_delay_alu instid0(VALU_DEP_1) | instskip(SKIP_2) | instid1(VALU_DEP_4)
	v_cmp_eq_u16_e32 vcc_lo, 0, v25
	v_and_b32_e32 v30, 1, v30
	s_wait_dscnt 0x0
	v_dual_cndmask_b32 v28, v28, v26, vcc_lo :: v_dual_bitop2_b32 v31, 1, v31 bitop3:0x40
	s_delay_alu instid0(VALU_DEP_1) | instskip(SKIP_3) | instid1(SALU_CYCLE_1)
	v_cmp_eq_u32_e64 s13, 1, v31
	v_cndmask_b32_e32 v29, v29, v27, vcc_lo
	v_cmp_eq_u32_e64 s12, 1, v30
	s_or_b32 s12, s12, s13
	v_cndmask_b32_e64 v30, 0, 1, s12
.LBB1118_120:
	s_or_b32 exec_lo, exec_lo, s15
	v_mov_b32_e32 v25, 0
	s_branch .LBB1118_123
.LBB1118_121:                           ;   in Loop: Header=BB1118_123 Depth=1
	s_or_b32 exec_lo, exec_lo, s16
	s_wait_dscnt 0x1
	v_dual_add_f64 v[28:29], v[26:27], v[28:29] :: v_dual_bitop2_b32 v31, 1, v67 bitop3:0x40
	v_and_b32_e32 v30, 0xff, v67
	v_subrev_nc_u32_e32 v24, 32, v24
	s_delay_alu instid0(VALU_DEP_3) | instskip(NEXT) | instid1(VALU_DEP_3)
	v_cmp_eq_u32_e64 s12, 1, v31
	v_cmp_eq_u16_e32 vcc_lo, 0, v30
	s_or_b32 s12, s12, s15
	s_delay_alu instid0(SALU_CYCLE_1)
	v_cndmask_b32_e64 v30, 0, 1, s12
	s_mov_b32 s12, 0
	v_dual_cndmask_b32 v29, v27, v29 :: v_dual_cndmask_b32 v28, v26, v28
.LBB1118_122:                           ;   in Loop: Header=BB1118_123 Depth=1
	s_and_b32 vcc_lo, exec_lo, s12
	s_cbranch_vccnz .LBB1118_171
.LBB1118_123:                           ; =>This Loop Header: Depth=1
                                        ;     Child Loop BB1118_126 Depth 2
	s_wait_dscnt 0x2
	v_and_b32_e32 v26, 0xff, v37
	v_mov_b32_e32 v67, v30
	s_mov_b32 s12, -1
                                        ; implicit-def: $vgpr30
                                        ; implicit-def: $vgpr37
	s_delay_alu instid0(VALU_DEP_2)
	v_cmp_ne_u16_e32 vcc_lo, 2, v26
	s_wait_dscnt 0x1
	v_mov_b64_e32 v[26:27], v[28:29]
                                        ; implicit-def: $vgpr28_vgpr29
	s_cmp_lg_u32 vcc_lo, exec_lo
	s_cbranch_scc1 .LBB1118_122
; %bb.124:                              ;   in Loop: Header=BB1118_123 Depth=1
	global_load_u8 v37, v24, s[24:25] scope:SCOPE_DEV
	s_mov_b32 s12, exec_lo
	s_wait_loadcnt 0x0
	s_wait_xcnt 0x0
	v_cmpx_eq_u16_e32 0, v37
	s_cbranch_execz .LBB1118_128
; %bb.125:                              ;   in Loop: Header=BB1118_123 Depth=1
	v_add_nc_u64_e32 v[28:29], s[24:25], v[24:25]
	s_mov_b32 s13, 0
.LBB1118_126:                           ;   Parent Loop BB1118_123 Depth=1
                                        ; =>  This Inner Loop Header: Depth=2
	global_load_u8 v37, v[28:29], off scope:SCOPE_DEV
	s_wait_loadcnt 0x0
	v_cmp_ne_u16_e32 vcc_lo, 0, v37
	s_or_b32 s13, vcc_lo, s13
	s_wait_xcnt 0x0
	s_and_not1_b32 exec_lo, exec_lo, s13
	s_cbranch_execnz .LBB1118_126
; %bb.127:                              ;   in Loop: Header=BB1118_123 Depth=1
	s_or_b32 exec_lo, exec_lo, s13
.LBB1118_128:                           ;   in Loop: Header=BB1118_123 Depth=1
	s_delay_alu instid0(SALU_CYCLE_1)
	s_or_b32 exec_lo, exec_lo, s12
	v_dual_mov_b32 v28, s21 :: v_dual_mov_b32 v30, s20
	v_cmp_eq_u16_e32 vcc_lo, 1, v37
	global_wb scope:SCOPE_DEV
	s_wait_storecnt_dscnt 0x0
	global_inv scope:SCOPE_DEV
	s_mov_b32 s12, exec_lo
	v_cndmask_b32_e32 v29, s23, v28, vcc_lo
	v_cndmask_b32_e32 v28, s22, v30, vcc_lo
	v_cmp_eq_u16_e32 vcc_lo, 2, v37
	s_delay_alu instid0(VALU_DEP_2)
	v_lshl_add_u64 v[30:31], v[24:25], 4, v[28:29]
	v_and_or_b32 v69, vcc_lo, v39, 0x80000000
	s_clause 0x1
	global_load_u8 v68, v[30:31], off offset:8
	global_load_b64 v[28:29], v[30:31], off
	v_ctz_i32_b32_e32 v69, v69
	s_wait_loadcnt 0x1
	v_and_b32_e32 v70, 1, v68
	s_wait_loadcnt 0x0
	s_wait_xcnt 0x0
	ds_bpermute_b32 v30, v38, v28
	ds_bpermute_b32 v31, v38, v29
	;; [unrolled: 1-line block ×3, first 2 shown]
	v_cmpx_lt_u32_e64 v46, v69
	s_cbranch_execz .LBB1118_130
; %bb.129:                              ;   in Loop: Header=BB1118_123 Depth=1
	s_wait_dscnt 0x1
	v_add_f64_e32 v[30:31], v[28:29], v[30:31]
	v_and_b32_e32 v70, 0xff, v68
	s_wait_dscnt 0x0
	v_bitop3_b16 v68, v71, v68, 1 bitop3:0xec
	s_delay_alu instid0(VALU_DEP_2) | instskip(NEXT) | instid1(VALU_DEP_2)
	v_cmp_eq_u16_e32 vcc_lo, 0, v70
	v_and_b32_e32 v70, 0xff, v68
	v_dual_cndmask_b32 v29, v29, v31 :: v_dual_cndmask_b32 v28, v28, v30
.LBB1118_130:                           ;   in Loop: Header=BB1118_123 Depth=1
	s_or_b32 exec_lo, exec_lo, s12
	s_wait_dscnt 0x2
	ds_bpermute_b32 v30, v40, v28
	s_wait_dscnt 0x2
	ds_bpermute_b32 v31, v40, v29
	;; [unrolled: 2-line block ×3, first 2 shown]
	v_and_b32_e32 v72, 1, v68
	s_mov_b32 s13, exec_lo
	s_delay_alu instid0(VALU_DEP_1)
	v_cmp_eq_u32_e64 s15, 1, v72
	v_cmpx_le_u32_e64 v41, v69
	s_cbranch_execz .LBB1118_132
; %bb.131:                              ;   in Loop: Header=BB1118_123 Depth=1
	s_wait_dscnt 0x1
	v_add_f64_e32 v[30:31], v[28:29], v[30:31]
	v_and_b32_e32 v68, 0xff, v68
	s_delay_alu instid0(VALU_DEP_1) | instskip(SKIP_1) | instid1(VALU_DEP_1)
	v_cmp_eq_u16_e64 s12, 0, v68
	s_wait_dscnt 0x0
	v_dual_cndmask_b32 v28, v28, v30, s12 :: v_dual_bitop2_b32 v70, 1, v71 bitop3:0x40
	s_delay_alu instid0(VALU_DEP_1) | instskip(SKIP_3) | instid1(SALU_CYCLE_1)
	v_cmp_eq_u32_e32 vcc_lo, 1, v70
	v_cndmask_b32_e64 v29, v29, v31, s12
	s_and_not1_b32 s12, s15, exec_lo
	s_or_b32 s16, s15, vcc_lo
	v_cndmask_b32_e64 v68, 0, 1, s16
	v_cndmask_b32_e64 v70, 0, 1, s16
	s_and_b32 s15, s16, exec_lo
	s_delay_alu instid0(SALU_CYCLE_1)
	s_or_b32 s15, s12, s15
.LBB1118_132:                           ;   in Loop: Header=BB1118_123 Depth=1
	s_or_b32 exec_lo, exec_lo, s13
	s_wait_dscnt 0x2
	ds_bpermute_b32 v30, v42, v28
	s_wait_dscnt 0x2
	ds_bpermute_b32 v31, v42, v29
	s_wait_dscnt 0x2
	ds_bpermute_b32 v71, v42, v70
	s_mov_b32 s16, exec_lo
	v_cmpx_le_u32_e64 v43, v69
	s_cbranch_execz .LBB1118_134
; %bb.133:                              ;   in Loop: Header=BB1118_123 Depth=1
	s_wait_dscnt 0x1
	v_dual_add_f64 v[30:31], v[28:29], v[30:31] :: v_dual_bitop2_b32 v70, 1, v68 bitop3:0x40
	v_and_b32_e32 v68, 0xff, v68
	s_delay_alu instid0(VALU_DEP_2) | instskip(NEXT) | instid1(VALU_DEP_2)
	v_cmp_eq_u32_e32 vcc_lo, 1, v70
	v_cmp_eq_u16_e64 s13, 0, v68
	s_wait_dscnt 0x0
	s_delay_alu instid0(VALU_DEP_1) | instskip(NEXT) | instid1(VALU_DEP_1)
	v_dual_cndmask_b32 v28, v28, v30, s13 :: v_dual_bitop2_b32 v71, 1, v71 bitop3:0x40
	v_cmp_eq_u32_e64 s12, 1, v71
	v_cndmask_b32_e64 v29, v29, v31, s13
	s_and_not1_b32 s13, s15, exec_lo
	s_or_b32 s12, vcc_lo, s12
	s_delay_alu instid0(SALU_CYCLE_1) | instskip(SKIP_2) | instid1(SALU_CYCLE_1)
	v_cndmask_b32_e64 v68, 0, 1, s12
	v_cndmask_b32_e64 v70, 0, 1, s12
	s_and_b32 s12, s12, exec_lo
	s_or_b32 s15, s13, s12
.LBB1118_134:                           ;   in Loop: Header=BB1118_123 Depth=1
	s_or_b32 exec_lo, exec_lo, s16
	s_wait_dscnt 0x2
	ds_bpermute_b32 v30, v63, v28
	s_wait_dscnt 0x2
	ds_bpermute_b32 v31, v63, v29
	;; [unrolled: 2-line block ×3, first 2 shown]
	s_mov_b32 s16, exec_lo
	v_cmpx_le_u32_e64 v64, v69
	s_cbranch_execz .LBB1118_136
; %bb.135:                              ;   in Loop: Header=BB1118_123 Depth=1
	s_wait_dscnt 0x1
	v_dual_add_f64 v[30:31], v[28:29], v[30:31] :: v_dual_bitop2_b32 v70, 1, v68 bitop3:0x40
	v_and_b32_e32 v68, 0xff, v68
	s_delay_alu instid0(VALU_DEP_2) | instskip(NEXT) | instid1(VALU_DEP_2)
	v_cmp_eq_u32_e32 vcc_lo, 1, v70
	v_cmp_eq_u16_e64 s13, 0, v68
	s_wait_dscnt 0x0
	s_delay_alu instid0(VALU_DEP_1) | instskip(NEXT) | instid1(VALU_DEP_1)
	v_dual_cndmask_b32 v28, v28, v30, s13 :: v_dual_bitop2_b32 v71, 1, v71 bitop3:0x40
	v_cmp_eq_u32_e64 s12, 1, v71
	v_cndmask_b32_e64 v29, v29, v31, s13
	s_and_not1_b32 s13, s15, exec_lo
	s_or_b32 s12, vcc_lo, s12
	s_delay_alu instid0(SALU_CYCLE_1) | instskip(SKIP_2) | instid1(SALU_CYCLE_1)
	v_cndmask_b32_e64 v68, 0, 1, s12
	v_cndmask_b32_e64 v70, 0, 1, s12
	s_and_b32 s12, s12, exec_lo
	s_or_b32 s15, s13, s12
.LBB1118_136:                           ;   in Loop: Header=BB1118_123 Depth=1
	s_or_b32 exec_lo, exec_lo, s16
	s_wait_dscnt 0x2
	ds_bpermute_b32 v30, v65, v28
	s_wait_dscnt 0x2
	ds_bpermute_b32 v31, v65, v29
	ds_bpermute_b32 v70, v65, v70
	s_mov_b32 s16, exec_lo
	v_cmpx_le_u32_e64 v66, v69
	s_cbranch_execz .LBB1118_121
; %bb.137:                              ;   in Loop: Header=BB1118_123 Depth=1
	s_wait_dscnt 0x1
	v_dual_add_f64 v[30:31], v[28:29], v[30:31] :: v_dual_bitop2_b32 v69, 1, v68 bitop3:0x40
	v_and_b32_e32 v68, 0xff, v68
	s_delay_alu instid0(VALU_DEP_2) | instskip(NEXT) | instid1(VALU_DEP_2)
	v_cmp_eq_u32_e32 vcc_lo, 1, v69
	v_cmp_eq_u16_e64 s13, 0, v68
	s_wait_dscnt 0x0
	s_delay_alu instid0(VALU_DEP_1) | instskip(NEXT) | instid1(VALU_DEP_1)
	v_dual_cndmask_b32 v29, v29, v31, s13 :: v_dual_bitop2_b32 v70, 1, v70 bitop3:0x40
	v_cmp_eq_u32_e64 s12, 1, v70
	v_cndmask_b32_e64 v28, v28, v30, s13
	s_and_not1_b32 s13, s15, exec_lo
	s_or_b32 s12, vcc_lo, s12
	s_delay_alu instid0(SALU_CYCLE_1) | instskip(NEXT) | instid1(SALU_CYCLE_1)
	s_and_b32 s12, s12, exec_lo
	s_or_b32 s15, s13, s12
	s_branch .LBB1118_121
.LBB1118_138:
                                        ; implicit-def: $vgpr42_vgpr43
                                        ; implicit-def: $vgpr38_vgpr39
                                        ; implicit-def: $vgpr34_vgpr35
                                        ; implicit-def: $vgpr30_vgpr31
                                        ; implicit-def: $vgpr26_vgpr27
	s_cbranch_execnz .LBB1118_178
.LBB1118_139:
	s_add_nc_u64 s[0:1], s[18:19], s[28:29]
	s_and_b32 vcc_lo, exec_lo, s27
	s_add_nc_u64 s[0:1], s[0:1], s[30:31]
	s_cbranch_vccz .LBB1118_205
.LBB1118_140:
	v_mul_u32_u24_e32 v1, 10, v0
	s_add_co_i32 s33, s33, s26
	s_mov_b32 s2, exec_lo
	s_delay_alu instid0(VALU_DEP_1)
	v_cmpx_gt_u32_e64 s33, v1
	s_cbranch_execz .LBB1118_152
; %bb.141:
	v_or_b32_e32 v2, 1, v1
	s_mov_b32 s3, exec_lo
	s_delay_alu instid0(VALU_DEP_1)
	v_cmpx_gt_u32_e64 s33, v2
	s_cbranch_execz .LBB1118_151
; %bb.142:
	v_add_nc_u32_e32 v2, 2, v1
	s_mov_b32 s4, exec_lo
	s_delay_alu instid0(VALU_DEP_1)
	v_cmpx_gt_u32_e64 s33, v2
	s_cbranch_execz .LBB1118_150
; %bb.143:
	v_add_nc_u32_e32 v2, 3, v1
	;; [unrolled: 6-line block ×4, first 2 shown]
	s_mov_b32 s7, exec_lo
	s_delay_alu instid0(VALU_DEP_1)
	v_cmpx_gt_u32_e64 s33, v2
; %bb.146:
	v_add_nc_u32_e32 v2, 6, v1
	s_mov_b32 s8, exec_lo
	s_delay_alu instid0(VALU_DEP_1)
	v_cmpx_gt_u32_e64 s33, v2
	s_or_b32 exec_lo, exec_lo, s8
; %bb.147:
	s_delay_alu instid0(SALU_CYCLE_1)
	s_or_b32 exec_lo, exec_lo, s7
.LBB1118_148:
	s_delay_alu instid0(SALU_CYCLE_1)
	s_or_b32 exec_lo, exec_lo, s6
.LBB1118_149:
	s_delay_alu instid0(SALU_CYCLE_1)
	s_or_b32 exec_lo, exec_lo, s5
.LBB1118_150:
	s_delay_alu instid0(SALU_CYCLE_1)
	s_or_b32 exec_lo, exec_lo, s4
.LBB1118_151:
	s_delay_alu instid0(SALU_CYCLE_1)
	s_or_b32 exec_lo, exec_lo, s3
.LBB1118_152:
	s_delay_alu instid0(SALU_CYCLE_1)
	s_or_b32 exec_lo, exec_lo, s2
	v_dual_lshlrev_b32 v1, 3, v1 :: v_dual_mov_b32 v3, 0
	s_wait_storecnt 0x0
	s_wait_loadcnt_dscnt 0x0
	s_barrier_signal -1
	s_barrier_wait -1
	v_mad_i32_i24 v2, 0xffffffb8, v0, v1
	ds_store_b128 v1, v[24:27]
	ds_store_b128 v1, v[28:31] offset:16
	ds_store_b128 v1, v[32:35] offset:32
	;; [unrolled: 1-line block ×4, first 2 shown]
	s_wait_dscnt 0x0
	s_barrier_signal -1
	s_barrier_wait -1
	ds_load_2addr_stride64_b64 v[18:21], v2 offset0:2 offset1:4
	ds_load_2addr_stride64_b64 v[14:17], v2 offset0:6 offset1:8
	;; [unrolled: 1-line block ×4, first 2 shown]
	ds_load_b64 v[4:5], v2 offset:9216
	v_lshlrev_b32_e32 v2, 3, v0
	s_mov_b32 s2, exec_lo
	s_delay_alu instid0(VALU_DEP_1)
	v_add_nc_u64_e32 v[2:3], s[0:1], v[2:3]
	v_cmpx_gt_u32_e64 s33, v0
	s_cbranch_execz .LBB1118_154
; %bb.153:
	v_mul_i32_i24_e32 v22, 0xffffffb8, v0
	s_delay_alu instid0(VALU_DEP_1)
	v_add_nc_u32_e32 v1, v1, v22
	ds_load_b64 v[22:23], v1
	s_wait_dscnt 0x0
	flat_store_b64 v[2:3], v[22:23]
.LBB1118_154:
	s_wait_xcnt 0x0
	s_or_b32 exec_lo, exec_lo, s2
	v_or_b32_e32 v1, 0x80, v0
	s_mov_b32 s2, exec_lo
	s_delay_alu instid0(VALU_DEP_1)
	v_cmpx_gt_u32_e64 s33, v1
	s_cbranch_execz .LBB1118_156
; %bb.155:
	s_wait_dscnt 0x4
	flat_store_b64 v[2:3], v[18:19] offset:1024
.LBB1118_156:
	s_wait_xcnt 0x0
	s_or_b32 exec_lo, exec_lo, s2
	v_or_b32_e32 v1, 0x100, v0
	s_mov_b32 s2, exec_lo
	s_delay_alu instid0(VALU_DEP_1)
	v_cmpx_gt_u32_e64 s33, v1
	s_cbranch_execz .LBB1118_158
; %bb.157:
	s_wait_dscnt 0x4
	flat_store_b64 v[2:3], v[20:21] offset:2048
.LBB1118_158:
	;; [unrolled: 11-line block ×8, first 2 shown]
	s_wait_xcnt 0x0
	s_or_b32 exec_lo, exec_lo, s2
	v_or_b32_e32 v1, 0x480, v0
	s_delay_alu instid0(VALU_DEP_1)
	v_cmp_gt_u32_e64 s2, s33, v1
	s_branch .LBB1118_207
.LBB1118_171:
	s_and_saveexec_b32 s12, s11
	s_cbranch_execz .LBB1118_173
; %bb.172:
	v_add_f64_e32 v[24:25], v[16:17], v[26:27]
	v_and_b32_e32 v28, 0xff, v36
	s_add_co_i32 s16, s44, 32
	s_mov_b32 s17, 0
	v_bitop3_b16 v29, v36, 1, v67 bitop3:0xc8
	s_lshl_b64 s[20:21], s[16:17], 4
	v_cmp_eq_u32_e32 vcc_lo, 0, v28
	v_dual_mov_b32 v28, 0 :: v_dual_mov_b32 v30, 2
	v_dual_cndmask_b32 v17, v17, v25 :: v_dual_cndmask_b32 v16, v16, v24
	v_mov_b32_e32 v24, s16
	s_add_nc_u64 s[16:17], s[22:23], s[20:21]
	s_clause 0x1
	global_store_b64 v28, v[16:17], s[16:17]
	global_store_b8 v28, v29, s[16:17] offset:8
	global_wb scope:SCOPE_DEV
	s_wait_storecnt_dscnt 0x0
	global_inv scope:SCOPE_DEV
	s_wait_xcnt 0x0
	global_store_b8 v24, v30, s[24:25] scope:SCOPE_DEV
.LBB1118_173:
	s_wait_xcnt 0x0
	s_or_b32 exec_lo, exec_lo, s12
	s_delay_alu instid0(SALU_CYCLE_1)
	s_and_b32 exec_lo, exec_lo, s2
	s_cbranch_execz .LBB1118_175
; %bb.174:
	v_mov_b32_e32 v16, 0
	ds_store_b64 v16, v[26:27] offset:48
	ds_store_b8 v16, v67 offset:56
.LBB1118_175:
	s_or_b32 exec_lo, exec_lo, s14
	v_dual_mov_b32 v16, 0 :: v_dual_mov_b32 v26, v1
	s_wait_storecnt 0x0
	s_wait_loadcnt_dscnt 0x0
	s_barrier_signal -1
	s_barrier_wait -1
	ds_load_b64 v[16:17], v16 offset:48
	v_mov_b64_e32 v[24:25], v[2:3]
	s_and_saveexec_b32 s13, s3
	s_cbranch_execz .LBB1118_177
; %bb.176:
	v_dual_cndmask_b32 v5, v35, v5, s11 :: v_dual_cndmask_b32 v4, v34, v4, s11
	v_dual_cndmask_b32 v24, v33, v32, s11 :: v_dual_bitop2_b32 v25, 1, v1 bitop3:0x40
	v_and_b32_e32 v26, 0xff, v1
	s_delay_alu instid0(VALU_DEP_3) | instskip(NEXT) | instid1(VALU_DEP_3)
	v_add_f64_e32 v[4:5], v[2:3], v[4:5]
	v_cmp_eq_u32_e32 vcc_lo, 1, v25
	s_delay_alu instid0(VALU_DEP_3) | instskip(NEXT) | instid1(VALU_DEP_1)
	v_cmp_eq_u16_e64 s12, 0, v26
	v_dual_cndmask_b32 v25, v3, v5, s12 :: v_dual_bitop2_b32 v24, 1, v24 bitop3:0x40
	s_delay_alu instid0(VALU_DEP_1) | instskip(SKIP_2) | instid1(SALU_CYCLE_1)
	v_cmp_eq_u32_e64 s11, 1, v24
	v_cndmask_b32_e64 v24, v2, v4, s12
	s_or_b32 s11, vcc_lo, s11
	v_cndmask_b32_e64 v26, 0, 1, s11
.LBB1118_177:
	s_or_b32 exec_lo, exec_lo, s13
	s_wait_dscnt 0x0
	s_delay_alu instid0(VALU_DEP_1) | instskip(NEXT) | instid1(VALU_DEP_2)
	v_add_f64_e32 v[4:5], v[16:17], v[24:25]
	v_and_b32_e32 v16, 0xff, v26
	s_delay_alu instid0(VALU_DEP_1) | instskip(NEXT) | instid1(VALU_DEP_3)
	v_cmp_eq_u16_e32 vcc_lo, 0, v16
	v_dual_cndmask_b32 v25, v25, v5 :: v_dual_cndmask_b32 v24, v24, v4
	s_delay_alu instid0(VALU_DEP_1) | instskip(NEXT) | instid1(VALU_DEP_1)
	v_add_f64_e32 v[4:5], v[6:7], v[24:25]
	v_dual_cndmask_b32 v27, v7, v5, s1 :: v_dual_cndmask_b32 v26, v6, v4, s1
	s_delay_alu instid0(VALU_DEP_1) | instskip(NEXT) | instid1(VALU_DEP_1)
	v_add_f64_e32 v[4:5], v[12:13], v[26:27]
	v_dual_cndmask_b32 v29, v13, v5, s4 :: v_dual_cndmask_b32 v28, v12, v4, s4
	;; [unrolled: 3-line block ×9, first 2 shown]
	s_branch .LBB1118_139
.LBB1118_178:
	s_cmp_lg_u64 s[34:35], 0
	s_cselect_b32 s0, -1, 0
	s_cmp_lg_u64 s[38:39], 0
	s_cselect_b32 s1, -1, 0
	s_delay_alu instid0(SALU_CYCLE_1) | instskip(NEXT) | instid1(SALU_CYCLE_1)
	s_and_b32 s0, s0, s1
	s_and_b32 s1, s2, s0
	s_delay_alu instid0(SALU_CYCLE_1)
	s_and_saveexec_b32 s0, s1
	s_cbranch_execz .LBB1118_180
; %bb.179:
	v_mov_b32_e32 v16, 0
	s_clause 0x1
	global_load_b64 v[4:5], v16, s[38:39]
	global_load_u8 v17, v16, s[38:39] offset:8
	s_wait_xcnt 0x0
	v_and_b32_e32 v16, 0xff, v1
	s_delay_alu instid0(VALU_DEP_1) | instskip(SKIP_4) | instid1(VALU_DEP_2)
	v_cmp_eq_u16_e32 vcc_lo, 0, v16
	s_wait_loadcnt 0x1
	v_add_f64_e32 v[4:5], v[2:3], v[4:5]
	s_wait_loadcnt 0x0
	v_bitop3_b16 v1, v1, 1, v17 bitop3:0xc8
	v_dual_cndmask_b32 v3, v3, v5 :: v_dual_cndmask_b32 v2, v2, v4
.LBB1118_180:
	s_or_b32 exec_lo, exec_lo, s0
	s_delay_alu instid0(VALU_DEP_1)
	v_add_f64_e32 v[4:5], v[6:7], v[2:3]
	v_cmp_eq_u16_e32 vcc_lo, 0, v62
	v_cmp_eq_u16_e64 s0, 0, v61
	v_cmp_ne_u16_e64 s10, 0, v54
	v_cmp_eq_u32_e64 s11, 1, v52
	v_cmp_ne_u16_e64 s9, 0, v53
	v_cmp_eq_u32_e64 s12, 1, v51
	v_cmp_eq_u32_e64 s13, 1, v50
	v_cmp_eq_u16_e64 s1, 0, v60
	s_or_b32 s10, s10, s11
	v_cmp_eq_u16_e64 s4, 0, v58
	s_or_b32 s9, s9, s12
	s_or_b32 s10, s13, s10
	v_cmp_eq_u16_e64 s5, 0, v59
	s_or_b32 s10, s10, s9
	v_cmp_eq_u16_e64 s9, 0, v48
	v_cmp_eq_u16_e64 s6, 0, v57
	;; [unrolled: 1-line block ×4, first 2 shown]
	v_bitop3_b16 v16, v1, 0xff, v47 bitop3:0xc8
	v_cmp_eq_u32_e64 s14, 1, v49
	s_mov_b32 s12, exec_lo
	v_and_b32_e32 v48, 15, v46
	v_cmp_ne_u16_e64 s15, 0, v16
	s_or_b32 s11, s15, s14
	s_delay_alu instid0(SALU_CYCLE_1) | instskip(SKIP_2) | instid1(VALU_DEP_2)
	s_or_b32 s10, s10, s11
	v_dual_cndmask_b32 v27, v7, v5 :: v_dual_cndmask_b32 v26, v6, v4
	v_cndmask_b32_e64 v47, 0, 1, s10
	v_add_f64_e32 v[4:5], v[12:13], v[26:27]
	s_delay_alu instid0(VALU_DEP_2) | instskip(NEXT) | instid1(VALU_DEP_2)
	v_mov_b32_dpp v49, v47 row_shr:1 row_mask:0xf bank_mask:0xf
	v_dual_cndmask_b32 v29, v13, v5, s0 :: v_dual_cndmask_b32 v28, v12, v4, s0
	s_delay_alu instid0(VALU_DEP_1) | instskip(NEXT) | instid1(VALU_DEP_1)
	v_add_f64_e32 v[4:5], v[10:11], v[28:29]
	v_dual_cndmask_b32 v31, v11, v5, s1 :: v_dual_cndmask_b32 v30, v10, v4, s1
	s_delay_alu instid0(VALU_DEP_1) | instskip(NEXT) | instid1(VALU_DEP_1)
	v_add_f64_e32 v[4:5], v[20:21], v[30:31]
	;; [unrolled: 3-line block ×7, first 2 shown]
	v_dual_cndmask_b32 v43, v9, v5, s9 :: v_dual_cndmask_b32 v42, v8, v4, s9
	s_delay_alu instid0(VALU_DEP_1) | instskip(NEXT) | instid1(VALU_DEP_2)
	v_mov_b32_dpp v25, v43 row_shr:1 row_mask:0xf bank_mask:0xf
	v_mov_b64_e32 v[4:5], v[42:43]
	v_mov_b32_dpp v24, v42 row_shr:1 row_mask:0xf bank_mask:0xf
	v_dual_mov_b32 v17, v43 :: v_dual_mov_b32 v16, v42
	v_cmpx_ne_u32_e32 0, v48
	s_cbranch_execz .LBB1118_182
; %bb.181:
	s_delay_alu instid0(VALU_DEP_3) | instskip(SKIP_1) | instid1(VALU_DEP_2)
	v_add_f64_e32 v[4:5], v[42:43], v[24:25]
	v_and_or_b32 v47, v49, 1, v47
	v_dual_cndmask_b32 v5, v5, v43, s10 :: v_dual_cndmask_b32 v4, v4, v42, s10
	s_delay_alu instid0(VALU_DEP_1)
	v_dual_mov_b32 v17, v5 :: v_dual_mov_b32 v16, v4
.LBB1118_182:
	s_or_b32 exec_lo, exec_lo, s12
	s_delay_alu instid0(VALU_DEP_1) | instskip(NEXT) | instid1(VALU_DEP_2)
	v_mov_b32_dpp v24, v16 row_shr:2 row_mask:0xf bank_mask:0xf
	v_mov_b32_dpp v25, v17 row_shr:2 row_mask:0xf bank_mask:0xf
	;; [unrolled: 1-line block ×3, first 2 shown]
	s_mov_b32 s11, exec_lo
	v_cmpx_lt_u32_e32 1, v48
	s_cbranch_execz .LBB1118_184
; %bb.183:
	v_add_f64_e32 v[16:17], v[4:5], v[24:25]
	v_cmp_eq_u16_e64 s10, 0, v47
	v_bitop3_b32 v47, v49, 1, v47 bitop3:0xc8
	s_delay_alu instid0(VALU_DEP_2) | instskip(NEXT) | instid1(VALU_DEP_1)
	v_dual_cndmask_b32 v17, v5, v17, s10 :: v_dual_cndmask_b32 v16, v4, v16, s10
	v_mov_b64_e32 v[4:5], v[16:17]
.LBB1118_184:
	s_or_b32 exec_lo, exec_lo, s11
	v_mov_b32_dpp v24, v16 row_shr:4 row_mask:0xf bank_mask:0xf
	v_mov_b32_dpp v25, v17 row_shr:4 row_mask:0xf bank_mask:0xf
	;; [unrolled: 1-line block ×3, first 2 shown]
	s_mov_b32 s11, exec_lo
	v_cmpx_lt_u32_e32 3, v48
	s_cbranch_execz .LBB1118_186
; %bb.185:
	v_add_f64_e32 v[16:17], v[4:5], v[24:25]
	v_cmp_eq_u16_e64 s10, 0, v47
	v_bitop3_b32 v47, v49, 1, v47 bitop3:0xc8
	s_delay_alu instid0(VALU_DEP_2) | instskip(NEXT) | instid1(VALU_DEP_1)
	v_dual_cndmask_b32 v17, v5, v17, s10 :: v_dual_cndmask_b32 v16, v4, v16, s10
	v_mov_b64_e32 v[4:5], v[16:17]
.LBB1118_186:
	s_or_b32 exec_lo, exec_lo, s11
	v_mov_b32_dpp v24, v16 row_shr:8 row_mask:0xf bank_mask:0xf
	v_mov_b32_dpp v25, v17 row_shr:8 row_mask:0xf bank_mask:0xf
	;; [unrolled: 1-line block ×3, first 2 shown]
	s_mov_b32 s11, exec_lo
	v_cmpx_lt_u32_e32 7, v48
	s_cbranch_execz .LBB1118_188
; %bb.187:
	v_add_f64_e32 v[16:17], v[4:5], v[24:25]
	v_cmp_eq_u16_e64 s10, 0, v47
	v_bitop3_b32 v47, v49, 1, v47 bitop3:0xc8
	s_delay_alu instid0(VALU_DEP_2) | instskip(NEXT) | instid1(VALU_DEP_1)
	v_dual_cndmask_b32 v5, v5, v17, s10 :: v_dual_cndmask_b32 v4, v4, v16, s10
	v_dual_mov_b32 v17, v5 :: v_dual_mov_b32 v16, v4
.LBB1118_188:
	s_or_b32 exec_lo, exec_lo, s11
	ds_swizzle_b32 v16, v16 offset:swizzle(BROADCAST,32,15)
	ds_swizzle_b32 v17, v17 offset:swizzle(BROADCAST,32,15)
	ds_swizzle_b32 v24, v47 offset:swizzle(BROADCAST,32,15)
	v_dual_mov_b32 v48, v47 :: v_dual_bitop2_b32 v25, 16, v46 bitop3:0x40
	s_mov_b32 s13, exec_lo
	s_delay_alu instid0(VALU_DEP_1)
	v_cmpx_ne_u32_e32 0, v25
	s_cbranch_execz .LBB1118_190
; %bb.189:
	s_wait_dscnt 0x1
	v_dual_add_f64 v[16:17], v[4:5], v[16:17] :: v_dual_bitop2_b32 v25, 1, v47 bitop3:0x40
	v_cmp_eq_u16_e64 s12, 0, v47
	s_wait_dscnt 0x0
	v_and_b32_e32 v24, 1, v24
	s_delay_alu instid0(VALU_DEP_3) | instskip(NEXT) | instid1(VALU_DEP_3)
	v_cmp_eq_u32_e64 s10, 1, v25
	v_cndmask_b32_e64 v5, v5, v17, s12
	s_delay_alu instid0(VALU_DEP_3) | instskip(SKIP_2) | instid1(SALU_CYCLE_1)
	v_cmp_eq_u32_e64 s11, 1, v24
	v_cndmask_b32_e64 v4, v4, v16, s12
	s_or_b32 s10, s10, s11
	v_cndmask_b32_e64 v47, 0, 1, s10
	v_cndmask_b32_e64 v48, 0, 1, s10
.LBB1118_190:
	s_or_b32 exec_lo, exec_lo, s13
	s_wait_dscnt 0x2
	v_dual_lshrrev_b32 v49, 5, v0 :: v_dual_bitop2_b32 v16, 31, v0 bitop3:0x54
	s_mov_b32 s11, exec_lo
	s_delay_alu instid0(VALU_DEP_1)
	v_cmpx_eq_u32_e64 v0, v16
	s_cbranch_execz .LBB1118_192
; %bb.191:
	s_delay_alu instid0(VALU_DEP_2)
	v_lshlrev_b32_e32 v16, 4, v49
	ds_store_b64 v16, v[4:5]
	ds_store_b8 v16, v47 offset:8
.LBB1118_192:
	s_or_b32 exec_lo, exec_lo, s11
	s_delay_alu instid0(SALU_CYCLE_1)
	s_mov_b32 s13, exec_lo
	s_wait_dscnt 0x0
	s_barrier_signal -1
	s_barrier_wait -1
	v_cmpx_gt_u32_e32 4, v0
	s_cbranch_execz .LBB1118_198
; %bb.193:
	v_dual_lshlrev_b32 v47, 4, v0 :: v_dual_bitop2_b32 v51, 3, v46 bitop3:0x40
	s_mov_b32 s11, exec_lo
	ds_load_b64 v[16:17], v47
	ds_load_b32 v50, v47 offset:8
	s_wait_dscnt 0x1
	v_mov_b32_dpp v24, v16 row_shr:1 row_mask:0xf bank_mask:0xf
	v_mov_b32_dpp v25, v17 row_shr:1 row_mask:0xf bank_mask:0xf
	s_wait_dscnt 0x0
	v_mov_b32_dpp v54, v50 row_shr:1 row_mask:0xf bank_mask:0xf
	v_dual_mov_b32 v53, v50 :: v_dual_mov_b32 v52, v50
	v_cmpx_ne_u32_e32 0, v51
	s_cbranch_execz .LBB1118_195
; %bb.194:
	s_delay_alu instid0(VALU_DEP_3) | instskip(SKIP_1) | instid1(VALU_DEP_1)
	v_dual_add_f64 v[24:25], v[16:17], v[24:25] :: v_dual_bitop2_b32 v53, v54, v50 bitop3:0x54
	v_and_b32_e32 v52, 0xff, v50
	v_cmp_eq_u16_e64 s10, 0, v52
	v_bitop3_b32 v52, v54, 1, v50 bitop3:0xc8
	s_delay_alu instid0(VALU_DEP_4) | instskip(NEXT) | instid1(VALU_DEP_2)
	v_and_b32_e32 v53, 1, v53
	v_and_or_b32 v50, 0xffffff00, v50, v52
	s_delay_alu instid0(VALU_DEP_4)
	v_dual_cndmask_b32 v17, v17, v25, s10 :: v_dual_cndmask_b32 v16, v16, v24, s10
.LBB1118_195:
	s_or_b32 exec_lo, exec_lo, s11
	s_delay_alu instid0(VALU_DEP_1) | instskip(NEXT) | instid1(VALU_DEP_2)
	v_mov_b32_dpp v24, v16 row_shr:2 row_mask:0xf bank_mask:0xf
	v_mov_b32_dpp v25, v17 row_shr:2 row_mask:0xf bank_mask:0xf
	;; [unrolled: 1-line block ×3, first 2 shown]
	s_mov_b32 s14, exec_lo
	v_cmpx_lt_u32_e32 1, v51
	s_cbranch_execz .LBB1118_197
; %bb.196:
	s_delay_alu instid0(VALU_DEP_2) | instskip(SKIP_1) | instid1(VALU_DEP_2)
	v_dual_add_f64 v[24:25], v[16:17], v[24:25] :: v_dual_bitop2_b32 v50, 1, v50 bitop3:0x40
	v_and_b32_e32 v51, 0xff, v52
	v_cmp_eq_u32_e64 s12, 1, v50
	s_delay_alu instid0(VALU_DEP_2) | instskip(NEXT) | instid1(VALU_DEP_1)
	v_cmp_eq_u16_e64 s10, 0, v51
	v_dual_cndmask_b32 v17, v17, v25, s10 :: v_dual_bitop2_b32 v52, 1, v52 bitop3:0x40
	s_delay_alu instid0(VALU_DEP_1) | instskip(SKIP_2) | instid1(SALU_CYCLE_1)
	v_cmp_eq_u32_e64 s11, 1, v52
	v_cndmask_b32_e64 v16, v16, v24, s10
	s_or_b32 s10, s11, s12
	v_cndmask_b32_e64 v53, 0, 1, s10
.LBB1118_197:
	s_or_b32 exec_lo, exec_lo, s14
	ds_store_b64 v47, v[16:17]
	ds_store_b8 v47, v53 offset:8
.LBB1118_198:
	s_or_b32 exec_lo, exec_lo, s13
	v_mov_b64_e32 v[16:17], 0
	s_mov_b32 s11, exec_lo
	s_wait_dscnt 0x0
	s_barrier_signal -1
	s_barrier_wait -1
	v_cmpx_lt_u32_e32 31, v0
	s_cbranch_execz .LBB1118_200
; %bb.199:
	v_lshl_add_u32 v16, v49, 4, -16
	v_cmp_eq_u32_e64 s10, 0, v48
	ds_load_b64 v[16:17], v16
	s_wait_dscnt 0x0
	v_add_f64_e32 v[24:25], v[4:5], v[16:17]
	s_delay_alu instid0(VALU_DEP_1)
	v_dual_cndmask_b32 v5, v5, v25, s10 :: v_dual_cndmask_b32 v4, v4, v24, s10
.LBB1118_200:
	s_or_b32 exec_lo, exec_lo, s11
	v_add_nc_u32_e32 v24, -1, v46
	s_delay_alu instid0(VALU_DEP_1) | instskip(NEXT) | instid1(VALU_DEP_1)
	v_cmp_gt_i32_e64 s10, 0, v24
	v_cndmask_b32_e64 v24, v24, v46, s10
	s_delay_alu instid0(VALU_DEP_1)
	v_lshlrev_b32_e32 v24, 2, v24
	ds_bpermute_b32 v4, v24, v4
	ds_bpermute_b32 v5, v24, v5
	s_and_saveexec_b32 s10, s3
	s_cbranch_execz .LBB1118_202
; %bb.201:
	v_cmp_eq_u32_e64 s3, 0, v46
	v_and_b32_e32 v1, 0xff, v1
	;;#ASMSTART
	;;#ASMEND
	s_wait_dscnt 0x0
	s_delay_alu instid0(VALU_DEP_2) | instskip(NEXT) | instid1(VALU_DEP_2)
	v_dual_cndmask_b32 v5, v5, v17, s3 :: v_dual_cndmask_b32 v4, v4, v16, s3
	v_cmp_eq_u16_e64 s3, 0, v1
	s_delay_alu instid0(VALU_DEP_2) | instskip(NEXT) | instid1(VALU_DEP_1)
	v_add_f64_e32 v[4:5], v[2:3], v[4:5]
	v_dual_cndmask_b32 v3, v3, v5, s3 :: v_dual_cndmask_b32 v2, v2, v4, s3
	s_delay_alu instid0(VALU_DEP_1) | instskip(NEXT) | instid1(VALU_DEP_1)
	v_add_f64_e32 v[4:5], v[6:7], v[2:3]
	v_dual_cndmask_b32 v27, v7, v5 :: v_dual_cndmask_b32 v26, v6, v4
	s_delay_alu instid0(VALU_DEP_1) | instskip(NEXT) | instid1(VALU_DEP_1)
	v_add_f64_e32 v[4:5], v[12:13], v[26:27]
	v_dual_cndmask_b32 v29, v13, v5, s0 :: v_dual_cndmask_b32 v28, v12, v4, s0
	s_delay_alu instid0(VALU_DEP_1) | instskip(NEXT) | instid1(VALU_DEP_1)
	v_add_f64_e32 v[4:5], v[10:11], v[28:29]
	v_dual_cndmask_b32 v31, v11, v5, s1 :: v_dual_cndmask_b32 v30, v10, v4, s1
	;; [unrolled: 3-line block ×8, first 2 shown]
.LBB1118_202:
	s_or_b32 exec_lo, exec_lo, s10
	s_and_saveexec_b32 s0, s2
	s_cbranch_execz .LBB1118_204
; %bb.203:
	v_dual_mov_b32 v1, 0 :: v_dual_mov_b32 v7, 2
	s_wait_dscnt 0x0
	ds_load_b64 v[4:5], v1 offset:48
	ds_load_u8 v6, v1 offset:56
	s_wait_dscnt 0x1
	global_store_b64 v1, v[4:5], s[22:23] offset:512
	s_wait_dscnt 0x0
	global_store_b8 v1, v6, s[22:23] offset:520
	global_wb scope:SCOPE_DEV
	s_wait_storecnt 0x0
	global_inv scope:SCOPE_DEV
	s_wait_xcnt 0x0
	global_store_b8 v1, v7, s[24:25] offset:32 scope:SCOPE_DEV
.LBB1118_204:
	s_wait_xcnt 0x0
	s_or_b32 exec_lo, exec_lo, s0
	v_mov_b64_e32 v[24:25], v[2:3]
	s_add_nc_u64 s[0:1], s[18:19], s[28:29]
	s_and_b32 vcc_lo, exec_lo, s27
	s_add_nc_u64 s[0:1], s[0:1], s[30:31]
	s_cbranch_vccnz .LBB1118_140
.LBB1118_205:
	s_mov_b32 s2, 0
                                        ; implicit-def: $vgpr4_vgpr5
	s_cbranch_execz .LBB1118_207
; %bb.206:
	v_mul_u32_u24_e32 v1, 0x50, v0
	v_mul_i32_i24_e32 v2, 0xffffffb8, v0
	s_wait_storecnt 0x0
	s_wait_loadcnt_dscnt 0x0
	s_barrier_signal -1
	s_barrier_wait -1
	ds_store_b128 v1, v[24:27]
	ds_store_b128 v1, v[28:31] offset:16
	ds_store_b128 v1, v[32:35] offset:32
	;; [unrolled: 1-line block ×4, first 2 shown]
	v_mad_u32_u24 v1, 0x50, v0, v2
	s_wait_dscnt 0x0
	s_barrier_signal -1
	s_barrier_wait -1
	ds_load_2addr_stride64_b64 v[6:9], v1 offset1:2
	ds_load_2addr_stride64_b64 v[10:13], v1 offset0:4 offset1:6
	ds_load_2addr_stride64_b64 v[14:17], v1 offset0:8 offset1:10
	;; [unrolled: 1-line block ×4, first 2 shown]
	s_or_b32 s2, s2, exec_lo
	s_wait_dscnt 0x4
	s_clause 0x1
	flat_store_b64 v0, v[6:7], s[0:1] scale_offset
	flat_store_b64 v0, v[8:9], s[0:1] offset:1024 scale_offset
	s_wait_dscnt 0x5
	s_clause 0x1
	flat_store_b64 v0, v[10:11], s[0:1] offset:2048 scale_offset
	flat_store_b64 v0, v[12:13], s[0:1] offset:3072 scale_offset
	s_wait_dscnt 0x6
	s_clause 0x1
	flat_store_b64 v0, v[14:15], s[0:1] offset:4096 scale_offset
	;; [unrolled: 4-line block ×3, first 2 shown]
	flat_store_b64 v0, v[20:21], s[0:1] offset:7168 scale_offset
	s_wait_dscnt 0x8
	flat_store_b64 v0, v[2:3], s[0:1] offset:8192 scale_offset
.LBB1118_207:
	s_wait_xcnt 0x0
	s_delay_alu instid0(VALU_DEP_1)
	s_and_saveexec_b32 s3, s2
	s_cbranch_execnz .LBB1118_209
; %bb.208:
	s_sendmsg sendmsg(MSG_DEALLOC_VGPRS)
	s_endpgm
.LBB1118_209:
	s_wait_dscnt 0x0
	flat_store_b64 v0, v[4:5], s[0:1] offset:9216 scale_offset
	s_sendmsg sendmsg(MSG_DEALLOC_VGPRS)
	s_endpgm
	.section	.rodata,"a",@progbits
	.p2align	6, 0x0
	.amdhsa_kernel _ZN7rocprim17ROCPRIM_400000_NS6detail17trampoline_kernelINS0_14default_configENS1_27scan_by_key_config_selectorIidEEZZNS1_16scan_by_key_implILNS1_25lookback_scan_determinismE0ELb0ES3_N6thrust23THRUST_200600_302600_NS6detail15normal_iteratorINS9_10device_ptrIiEEEENSB_INSC_IdEEEESG_dNS9_4plusIvEENS9_8equal_toIvEEdEE10hipError_tPvRmT2_T3_T4_T5_mT6_T7_P12ihipStream_tbENKUlT_T0_E_clISt17integral_constantIbLb0EES10_IbLb1EEEEDaSW_SX_EUlSW_E_NS1_11comp_targetILNS1_3genE0ELNS1_11target_archE4294967295ELNS1_3gpuE0ELNS1_3repE0EEENS1_30default_config_static_selectorELNS0_4arch9wavefront6targetE0EEEvT1_
		.amdhsa_group_segment_fixed_size 10240
		.amdhsa_private_segment_fixed_size 0
		.amdhsa_kernarg_size 136
		.amdhsa_user_sgpr_count 2
		.amdhsa_user_sgpr_dispatch_ptr 0
		.amdhsa_user_sgpr_queue_ptr 0
		.amdhsa_user_sgpr_kernarg_segment_ptr 1
		.amdhsa_user_sgpr_dispatch_id 0
		.amdhsa_user_sgpr_kernarg_preload_length 0
		.amdhsa_user_sgpr_kernarg_preload_offset 0
		.amdhsa_user_sgpr_private_segment_size 0
		.amdhsa_wavefront_size32 1
		.amdhsa_uses_dynamic_stack 0
		.amdhsa_enable_private_segment 0
		.amdhsa_system_sgpr_workgroup_id_x 1
		.amdhsa_system_sgpr_workgroup_id_y 0
		.amdhsa_system_sgpr_workgroup_id_z 0
		.amdhsa_system_sgpr_workgroup_info 0
		.amdhsa_system_vgpr_workitem_id 0
		.amdhsa_next_free_vgpr 73
		.amdhsa_next_free_sgpr 46
		.amdhsa_named_barrier_count 0
		.amdhsa_reserve_vcc 1
		.amdhsa_float_round_mode_32 0
		.amdhsa_float_round_mode_16_64 0
		.amdhsa_float_denorm_mode_32 3
		.amdhsa_float_denorm_mode_16_64 3
		.amdhsa_fp16_overflow 0
		.amdhsa_memory_ordered 1
		.amdhsa_forward_progress 1
		.amdhsa_inst_pref_size 89
		.amdhsa_round_robin_scheduling 0
		.amdhsa_exception_fp_ieee_invalid_op 0
		.amdhsa_exception_fp_denorm_src 0
		.amdhsa_exception_fp_ieee_div_zero 0
		.amdhsa_exception_fp_ieee_overflow 0
		.amdhsa_exception_fp_ieee_underflow 0
		.amdhsa_exception_fp_ieee_inexact 0
		.amdhsa_exception_int_div_zero 0
	.end_amdhsa_kernel
	.section	.text._ZN7rocprim17ROCPRIM_400000_NS6detail17trampoline_kernelINS0_14default_configENS1_27scan_by_key_config_selectorIidEEZZNS1_16scan_by_key_implILNS1_25lookback_scan_determinismE0ELb0ES3_N6thrust23THRUST_200600_302600_NS6detail15normal_iteratorINS9_10device_ptrIiEEEENSB_INSC_IdEEEESG_dNS9_4plusIvEENS9_8equal_toIvEEdEE10hipError_tPvRmT2_T3_T4_T5_mT6_T7_P12ihipStream_tbENKUlT_T0_E_clISt17integral_constantIbLb0EES10_IbLb1EEEEDaSW_SX_EUlSW_E_NS1_11comp_targetILNS1_3genE0ELNS1_11target_archE4294967295ELNS1_3gpuE0ELNS1_3repE0EEENS1_30default_config_static_selectorELNS0_4arch9wavefront6targetE0EEEvT1_,"axG",@progbits,_ZN7rocprim17ROCPRIM_400000_NS6detail17trampoline_kernelINS0_14default_configENS1_27scan_by_key_config_selectorIidEEZZNS1_16scan_by_key_implILNS1_25lookback_scan_determinismE0ELb0ES3_N6thrust23THRUST_200600_302600_NS6detail15normal_iteratorINS9_10device_ptrIiEEEENSB_INSC_IdEEEESG_dNS9_4plusIvEENS9_8equal_toIvEEdEE10hipError_tPvRmT2_T3_T4_T5_mT6_T7_P12ihipStream_tbENKUlT_T0_E_clISt17integral_constantIbLb0EES10_IbLb1EEEEDaSW_SX_EUlSW_E_NS1_11comp_targetILNS1_3genE0ELNS1_11target_archE4294967295ELNS1_3gpuE0ELNS1_3repE0EEENS1_30default_config_static_selectorELNS0_4arch9wavefront6targetE0EEEvT1_,comdat
.Lfunc_end1118:
	.size	_ZN7rocprim17ROCPRIM_400000_NS6detail17trampoline_kernelINS0_14default_configENS1_27scan_by_key_config_selectorIidEEZZNS1_16scan_by_key_implILNS1_25lookback_scan_determinismE0ELb0ES3_N6thrust23THRUST_200600_302600_NS6detail15normal_iteratorINS9_10device_ptrIiEEEENSB_INSC_IdEEEESG_dNS9_4plusIvEENS9_8equal_toIvEEdEE10hipError_tPvRmT2_T3_T4_T5_mT6_T7_P12ihipStream_tbENKUlT_T0_E_clISt17integral_constantIbLb0EES10_IbLb1EEEEDaSW_SX_EUlSW_E_NS1_11comp_targetILNS1_3genE0ELNS1_11target_archE4294967295ELNS1_3gpuE0ELNS1_3repE0EEENS1_30default_config_static_selectorELNS0_4arch9wavefront6targetE0EEEvT1_, .Lfunc_end1118-_ZN7rocprim17ROCPRIM_400000_NS6detail17trampoline_kernelINS0_14default_configENS1_27scan_by_key_config_selectorIidEEZZNS1_16scan_by_key_implILNS1_25lookback_scan_determinismE0ELb0ES3_N6thrust23THRUST_200600_302600_NS6detail15normal_iteratorINS9_10device_ptrIiEEEENSB_INSC_IdEEEESG_dNS9_4plusIvEENS9_8equal_toIvEEdEE10hipError_tPvRmT2_T3_T4_T5_mT6_T7_P12ihipStream_tbENKUlT_T0_E_clISt17integral_constantIbLb0EES10_IbLb1EEEEDaSW_SX_EUlSW_E_NS1_11comp_targetILNS1_3genE0ELNS1_11target_archE4294967295ELNS1_3gpuE0ELNS1_3repE0EEENS1_30default_config_static_selectorELNS0_4arch9wavefront6targetE0EEEvT1_
                                        ; -- End function
	.set _ZN7rocprim17ROCPRIM_400000_NS6detail17trampoline_kernelINS0_14default_configENS1_27scan_by_key_config_selectorIidEEZZNS1_16scan_by_key_implILNS1_25lookback_scan_determinismE0ELb0ES3_N6thrust23THRUST_200600_302600_NS6detail15normal_iteratorINS9_10device_ptrIiEEEENSB_INSC_IdEEEESG_dNS9_4plusIvEENS9_8equal_toIvEEdEE10hipError_tPvRmT2_T3_T4_T5_mT6_T7_P12ihipStream_tbENKUlT_T0_E_clISt17integral_constantIbLb0EES10_IbLb1EEEEDaSW_SX_EUlSW_E_NS1_11comp_targetILNS1_3genE0ELNS1_11target_archE4294967295ELNS1_3gpuE0ELNS1_3repE0EEENS1_30default_config_static_selectorELNS0_4arch9wavefront6targetE0EEEvT1_.num_vgpr, 73
	.set _ZN7rocprim17ROCPRIM_400000_NS6detail17trampoline_kernelINS0_14default_configENS1_27scan_by_key_config_selectorIidEEZZNS1_16scan_by_key_implILNS1_25lookback_scan_determinismE0ELb0ES3_N6thrust23THRUST_200600_302600_NS6detail15normal_iteratorINS9_10device_ptrIiEEEENSB_INSC_IdEEEESG_dNS9_4plusIvEENS9_8equal_toIvEEdEE10hipError_tPvRmT2_T3_T4_T5_mT6_T7_P12ihipStream_tbENKUlT_T0_E_clISt17integral_constantIbLb0EES10_IbLb1EEEEDaSW_SX_EUlSW_E_NS1_11comp_targetILNS1_3genE0ELNS1_11target_archE4294967295ELNS1_3gpuE0ELNS1_3repE0EEENS1_30default_config_static_selectorELNS0_4arch9wavefront6targetE0EEEvT1_.num_agpr, 0
	.set _ZN7rocprim17ROCPRIM_400000_NS6detail17trampoline_kernelINS0_14default_configENS1_27scan_by_key_config_selectorIidEEZZNS1_16scan_by_key_implILNS1_25lookback_scan_determinismE0ELb0ES3_N6thrust23THRUST_200600_302600_NS6detail15normal_iteratorINS9_10device_ptrIiEEEENSB_INSC_IdEEEESG_dNS9_4plusIvEENS9_8equal_toIvEEdEE10hipError_tPvRmT2_T3_T4_T5_mT6_T7_P12ihipStream_tbENKUlT_T0_E_clISt17integral_constantIbLb0EES10_IbLb1EEEEDaSW_SX_EUlSW_E_NS1_11comp_targetILNS1_3genE0ELNS1_11target_archE4294967295ELNS1_3gpuE0ELNS1_3repE0EEENS1_30default_config_static_selectorELNS0_4arch9wavefront6targetE0EEEvT1_.numbered_sgpr, 46
	.set _ZN7rocprim17ROCPRIM_400000_NS6detail17trampoline_kernelINS0_14default_configENS1_27scan_by_key_config_selectorIidEEZZNS1_16scan_by_key_implILNS1_25lookback_scan_determinismE0ELb0ES3_N6thrust23THRUST_200600_302600_NS6detail15normal_iteratorINS9_10device_ptrIiEEEENSB_INSC_IdEEEESG_dNS9_4plusIvEENS9_8equal_toIvEEdEE10hipError_tPvRmT2_T3_T4_T5_mT6_T7_P12ihipStream_tbENKUlT_T0_E_clISt17integral_constantIbLb0EES10_IbLb1EEEEDaSW_SX_EUlSW_E_NS1_11comp_targetILNS1_3genE0ELNS1_11target_archE4294967295ELNS1_3gpuE0ELNS1_3repE0EEENS1_30default_config_static_selectorELNS0_4arch9wavefront6targetE0EEEvT1_.num_named_barrier, 0
	.set _ZN7rocprim17ROCPRIM_400000_NS6detail17trampoline_kernelINS0_14default_configENS1_27scan_by_key_config_selectorIidEEZZNS1_16scan_by_key_implILNS1_25lookback_scan_determinismE0ELb0ES3_N6thrust23THRUST_200600_302600_NS6detail15normal_iteratorINS9_10device_ptrIiEEEENSB_INSC_IdEEEESG_dNS9_4plusIvEENS9_8equal_toIvEEdEE10hipError_tPvRmT2_T3_T4_T5_mT6_T7_P12ihipStream_tbENKUlT_T0_E_clISt17integral_constantIbLb0EES10_IbLb1EEEEDaSW_SX_EUlSW_E_NS1_11comp_targetILNS1_3genE0ELNS1_11target_archE4294967295ELNS1_3gpuE0ELNS1_3repE0EEENS1_30default_config_static_selectorELNS0_4arch9wavefront6targetE0EEEvT1_.private_seg_size, 0
	.set _ZN7rocprim17ROCPRIM_400000_NS6detail17trampoline_kernelINS0_14default_configENS1_27scan_by_key_config_selectorIidEEZZNS1_16scan_by_key_implILNS1_25lookback_scan_determinismE0ELb0ES3_N6thrust23THRUST_200600_302600_NS6detail15normal_iteratorINS9_10device_ptrIiEEEENSB_INSC_IdEEEESG_dNS9_4plusIvEENS9_8equal_toIvEEdEE10hipError_tPvRmT2_T3_T4_T5_mT6_T7_P12ihipStream_tbENKUlT_T0_E_clISt17integral_constantIbLb0EES10_IbLb1EEEEDaSW_SX_EUlSW_E_NS1_11comp_targetILNS1_3genE0ELNS1_11target_archE4294967295ELNS1_3gpuE0ELNS1_3repE0EEENS1_30default_config_static_selectorELNS0_4arch9wavefront6targetE0EEEvT1_.uses_vcc, 1
	.set _ZN7rocprim17ROCPRIM_400000_NS6detail17trampoline_kernelINS0_14default_configENS1_27scan_by_key_config_selectorIidEEZZNS1_16scan_by_key_implILNS1_25lookback_scan_determinismE0ELb0ES3_N6thrust23THRUST_200600_302600_NS6detail15normal_iteratorINS9_10device_ptrIiEEEENSB_INSC_IdEEEESG_dNS9_4plusIvEENS9_8equal_toIvEEdEE10hipError_tPvRmT2_T3_T4_T5_mT6_T7_P12ihipStream_tbENKUlT_T0_E_clISt17integral_constantIbLb0EES10_IbLb1EEEEDaSW_SX_EUlSW_E_NS1_11comp_targetILNS1_3genE0ELNS1_11target_archE4294967295ELNS1_3gpuE0ELNS1_3repE0EEENS1_30default_config_static_selectorELNS0_4arch9wavefront6targetE0EEEvT1_.uses_flat_scratch, 1
	.set _ZN7rocprim17ROCPRIM_400000_NS6detail17trampoline_kernelINS0_14default_configENS1_27scan_by_key_config_selectorIidEEZZNS1_16scan_by_key_implILNS1_25lookback_scan_determinismE0ELb0ES3_N6thrust23THRUST_200600_302600_NS6detail15normal_iteratorINS9_10device_ptrIiEEEENSB_INSC_IdEEEESG_dNS9_4plusIvEENS9_8equal_toIvEEdEE10hipError_tPvRmT2_T3_T4_T5_mT6_T7_P12ihipStream_tbENKUlT_T0_E_clISt17integral_constantIbLb0EES10_IbLb1EEEEDaSW_SX_EUlSW_E_NS1_11comp_targetILNS1_3genE0ELNS1_11target_archE4294967295ELNS1_3gpuE0ELNS1_3repE0EEENS1_30default_config_static_selectorELNS0_4arch9wavefront6targetE0EEEvT1_.has_dyn_sized_stack, 0
	.set _ZN7rocprim17ROCPRIM_400000_NS6detail17trampoline_kernelINS0_14default_configENS1_27scan_by_key_config_selectorIidEEZZNS1_16scan_by_key_implILNS1_25lookback_scan_determinismE0ELb0ES3_N6thrust23THRUST_200600_302600_NS6detail15normal_iteratorINS9_10device_ptrIiEEEENSB_INSC_IdEEEESG_dNS9_4plusIvEENS9_8equal_toIvEEdEE10hipError_tPvRmT2_T3_T4_T5_mT6_T7_P12ihipStream_tbENKUlT_T0_E_clISt17integral_constantIbLb0EES10_IbLb1EEEEDaSW_SX_EUlSW_E_NS1_11comp_targetILNS1_3genE0ELNS1_11target_archE4294967295ELNS1_3gpuE0ELNS1_3repE0EEENS1_30default_config_static_selectorELNS0_4arch9wavefront6targetE0EEEvT1_.has_recursion, 0
	.set _ZN7rocprim17ROCPRIM_400000_NS6detail17trampoline_kernelINS0_14default_configENS1_27scan_by_key_config_selectorIidEEZZNS1_16scan_by_key_implILNS1_25lookback_scan_determinismE0ELb0ES3_N6thrust23THRUST_200600_302600_NS6detail15normal_iteratorINS9_10device_ptrIiEEEENSB_INSC_IdEEEESG_dNS9_4plusIvEENS9_8equal_toIvEEdEE10hipError_tPvRmT2_T3_T4_T5_mT6_T7_P12ihipStream_tbENKUlT_T0_E_clISt17integral_constantIbLb0EES10_IbLb1EEEEDaSW_SX_EUlSW_E_NS1_11comp_targetILNS1_3genE0ELNS1_11target_archE4294967295ELNS1_3gpuE0ELNS1_3repE0EEENS1_30default_config_static_selectorELNS0_4arch9wavefront6targetE0EEEvT1_.has_indirect_call, 0
	.section	.AMDGPU.csdata,"",@progbits
; Kernel info:
; codeLenInByte = 11376
; TotalNumSgprs: 48
; NumVgprs: 73
; ScratchSize: 0
; MemoryBound: 0
; FloatMode: 240
; IeeeMode: 1
; LDSByteSize: 10240 bytes/workgroup (compile time only)
; SGPRBlocks: 0
; VGPRBlocks: 4
; NumSGPRsForWavesPerEU: 48
; NumVGPRsForWavesPerEU: 73
; NamedBarCnt: 0
; Occupancy: 12
; WaveLimiterHint : 1
; COMPUTE_PGM_RSRC2:SCRATCH_EN: 0
; COMPUTE_PGM_RSRC2:USER_SGPR: 2
; COMPUTE_PGM_RSRC2:TRAP_HANDLER: 0
; COMPUTE_PGM_RSRC2:TGID_X_EN: 1
; COMPUTE_PGM_RSRC2:TGID_Y_EN: 0
; COMPUTE_PGM_RSRC2:TGID_Z_EN: 0
; COMPUTE_PGM_RSRC2:TIDIG_COMP_CNT: 0
	.section	.text._ZN7rocprim17ROCPRIM_400000_NS6detail17trampoline_kernelINS0_14default_configENS1_27scan_by_key_config_selectorIidEEZZNS1_16scan_by_key_implILNS1_25lookback_scan_determinismE0ELb0ES3_N6thrust23THRUST_200600_302600_NS6detail15normal_iteratorINS9_10device_ptrIiEEEENSB_INSC_IdEEEESG_dNS9_4plusIvEENS9_8equal_toIvEEdEE10hipError_tPvRmT2_T3_T4_T5_mT6_T7_P12ihipStream_tbENKUlT_T0_E_clISt17integral_constantIbLb0EES10_IbLb1EEEEDaSW_SX_EUlSW_E_NS1_11comp_targetILNS1_3genE10ELNS1_11target_archE1201ELNS1_3gpuE5ELNS1_3repE0EEENS1_30default_config_static_selectorELNS0_4arch9wavefront6targetE0EEEvT1_,"axG",@progbits,_ZN7rocprim17ROCPRIM_400000_NS6detail17trampoline_kernelINS0_14default_configENS1_27scan_by_key_config_selectorIidEEZZNS1_16scan_by_key_implILNS1_25lookback_scan_determinismE0ELb0ES3_N6thrust23THRUST_200600_302600_NS6detail15normal_iteratorINS9_10device_ptrIiEEEENSB_INSC_IdEEEESG_dNS9_4plusIvEENS9_8equal_toIvEEdEE10hipError_tPvRmT2_T3_T4_T5_mT6_T7_P12ihipStream_tbENKUlT_T0_E_clISt17integral_constantIbLb0EES10_IbLb1EEEEDaSW_SX_EUlSW_E_NS1_11comp_targetILNS1_3genE10ELNS1_11target_archE1201ELNS1_3gpuE5ELNS1_3repE0EEENS1_30default_config_static_selectorELNS0_4arch9wavefront6targetE0EEEvT1_,comdat
	.protected	_ZN7rocprim17ROCPRIM_400000_NS6detail17trampoline_kernelINS0_14default_configENS1_27scan_by_key_config_selectorIidEEZZNS1_16scan_by_key_implILNS1_25lookback_scan_determinismE0ELb0ES3_N6thrust23THRUST_200600_302600_NS6detail15normal_iteratorINS9_10device_ptrIiEEEENSB_INSC_IdEEEESG_dNS9_4plusIvEENS9_8equal_toIvEEdEE10hipError_tPvRmT2_T3_T4_T5_mT6_T7_P12ihipStream_tbENKUlT_T0_E_clISt17integral_constantIbLb0EES10_IbLb1EEEEDaSW_SX_EUlSW_E_NS1_11comp_targetILNS1_3genE10ELNS1_11target_archE1201ELNS1_3gpuE5ELNS1_3repE0EEENS1_30default_config_static_selectorELNS0_4arch9wavefront6targetE0EEEvT1_ ; -- Begin function _ZN7rocprim17ROCPRIM_400000_NS6detail17trampoline_kernelINS0_14default_configENS1_27scan_by_key_config_selectorIidEEZZNS1_16scan_by_key_implILNS1_25lookback_scan_determinismE0ELb0ES3_N6thrust23THRUST_200600_302600_NS6detail15normal_iteratorINS9_10device_ptrIiEEEENSB_INSC_IdEEEESG_dNS9_4plusIvEENS9_8equal_toIvEEdEE10hipError_tPvRmT2_T3_T4_T5_mT6_T7_P12ihipStream_tbENKUlT_T0_E_clISt17integral_constantIbLb0EES10_IbLb1EEEEDaSW_SX_EUlSW_E_NS1_11comp_targetILNS1_3genE10ELNS1_11target_archE1201ELNS1_3gpuE5ELNS1_3repE0EEENS1_30default_config_static_selectorELNS0_4arch9wavefront6targetE0EEEvT1_
	.globl	_ZN7rocprim17ROCPRIM_400000_NS6detail17trampoline_kernelINS0_14default_configENS1_27scan_by_key_config_selectorIidEEZZNS1_16scan_by_key_implILNS1_25lookback_scan_determinismE0ELb0ES3_N6thrust23THRUST_200600_302600_NS6detail15normal_iteratorINS9_10device_ptrIiEEEENSB_INSC_IdEEEESG_dNS9_4plusIvEENS9_8equal_toIvEEdEE10hipError_tPvRmT2_T3_T4_T5_mT6_T7_P12ihipStream_tbENKUlT_T0_E_clISt17integral_constantIbLb0EES10_IbLb1EEEEDaSW_SX_EUlSW_E_NS1_11comp_targetILNS1_3genE10ELNS1_11target_archE1201ELNS1_3gpuE5ELNS1_3repE0EEENS1_30default_config_static_selectorELNS0_4arch9wavefront6targetE0EEEvT1_
	.p2align	8
	.type	_ZN7rocprim17ROCPRIM_400000_NS6detail17trampoline_kernelINS0_14default_configENS1_27scan_by_key_config_selectorIidEEZZNS1_16scan_by_key_implILNS1_25lookback_scan_determinismE0ELb0ES3_N6thrust23THRUST_200600_302600_NS6detail15normal_iteratorINS9_10device_ptrIiEEEENSB_INSC_IdEEEESG_dNS9_4plusIvEENS9_8equal_toIvEEdEE10hipError_tPvRmT2_T3_T4_T5_mT6_T7_P12ihipStream_tbENKUlT_T0_E_clISt17integral_constantIbLb0EES10_IbLb1EEEEDaSW_SX_EUlSW_E_NS1_11comp_targetILNS1_3genE10ELNS1_11target_archE1201ELNS1_3gpuE5ELNS1_3repE0EEENS1_30default_config_static_selectorELNS0_4arch9wavefront6targetE0EEEvT1_,@function
_ZN7rocprim17ROCPRIM_400000_NS6detail17trampoline_kernelINS0_14default_configENS1_27scan_by_key_config_selectorIidEEZZNS1_16scan_by_key_implILNS1_25lookback_scan_determinismE0ELb0ES3_N6thrust23THRUST_200600_302600_NS6detail15normal_iteratorINS9_10device_ptrIiEEEENSB_INSC_IdEEEESG_dNS9_4plusIvEENS9_8equal_toIvEEdEE10hipError_tPvRmT2_T3_T4_T5_mT6_T7_P12ihipStream_tbENKUlT_T0_E_clISt17integral_constantIbLb0EES10_IbLb1EEEEDaSW_SX_EUlSW_E_NS1_11comp_targetILNS1_3genE10ELNS1_11target_archE1201ELNS1_3gpuE5ELNS1_3repE0EEENS1_30default_config_static_selectorELNS0_4arch9wavefront6targetE0EEEvT1_: ; @_ZN7rocprim17ROCPRIM_400000_NS6detail17trampoline_kernelINS0_14default_configENS1_27scan_by_key_config_selectorIidEEZZNS1_16scan_by_key_implILNS1_25lookback_scan_determinismE0ELb0ES3_N6thrust23THRUST_200600_302600_NS6detail15normal_iteratorINS9_10device_ptrIiEEEENSB_INSC_IdEEEESG_dNS9_4plusIvEENS9_8equal_toIvEEdEE10hipError_tPvRmT2_T3_T4_T5_mT6_T7_P12ihipStream_tbENKUlT_T0_E_clISt17integral_constantIbLb0EES10_IbLb1EEEEDaSW_SX_EUlSW_E_NS1_11comp_targetILNS1_3genE10ELNS1_11target_archE1201ELNS1_3gpuE5ELNS1_3repE0EEENS1_30default_config_static_selectorELNS0_4arch9wavefront6targetE0EEEvT1_
; %bb.0:
	.section	.rodata,"a",@progbits
	.p2align	6, 0x0
	.amdhsa_kernel _ZN7rocprim17ROCPRIM_400000_NS6detail17trampoline_kernelINS0_14default_configENS1_27scan_by_key_config_selectorIidEEZZNS1_16scan_by_key_implILNS1_25lookback_scan_determinismE0ELb0ES3_N6thrust23THRUST_200600_302600_NS6detail15normal_iteratorINS9_10device_ptrIiEEEENSB_INSC_IdEEEESG_dNS9_4plusIvEENS9_8equal_toIvEEdEE10hipError_tPvRmT2_T3_T4_T5_mT6_T7_P12ihipStream_tbENKUlT_T0_E_clISt17integral_constantIbLb0EES10_IbLb1EEEEDaSW_SX_EUlSW_E_NS1_11comp_targetILNS1_3genE10ELNS1_11target_archE1201ELNS1_3gpuE5ELNS1_3repE0EEENS1_30default_config_static_selectorELNS0_4arch9wavefront6targetE0EEEvT1_
		.amdhsa_group_segment_fixed_size 0
		.amdhsa_private_segment_fixed_size 0
		.amdhsa_kernarg_size 136
		.amdhsa_user_sgpr_count 2
		.amdhsa_user_sgpr_dispatch_ptr 0
		.amdhsa_user_sgpr_queue_ptr 0
		.amdhsa_user_sgpr_kernarg_segment_ptr 1
		.amdhsa_user_sgpr_dispatch_id 0
		.amdhsa_user_sgpr_kernarg_preload_length 0
		.amdhsa_user_sgpr_kernarg_preload_offset 0
		.amdhsa_user_sgpr_private_segment_size 0
		.amdhsa_wavefront_size32 1
		.amdhsa_uses_dynamic_stack 0
		.amdhsa_enable_private_segment 0
		.amdhsa_system_sgpr_workgroup_id_x 1
		.amdhsa_system_sgpr_workgroup_id_y 0
		.amdhsa_system_sgpr_workgroup_id_z 0
		.amdhsa_system_sgpr_workgroup_info 0
		.amdhsa_system_vgpr_workitem_id 0
		.amdhsa_next_free_vgpr 1
		.amdhsa_next_free_sgpr 1
		.amdhsa_named_barrier_count 0
		.amdhsa_reserve_vcc 0
		.amdhsa_float_round_mode_32 0
		.amdhsa_float_round_mode_16_64 0
		.amdhsa_float_denorm_mode_32 3
		.amdhsa_float_denorm_mode_16_64 3
		.amdhsa_fp16_overflow 0
		.amdhsa_memory_ordered 1
		.amdhsa_forward_progress 1
		.amdhsa_inst_pref_size 0
		.amdhsa_round_robin_scheduling 0
		.amdhsa_exception_fp_ieee_invalid_op 0
		.amdhsa_exception_fp_denorm_src 0
		.amdhsa_exception_fp_ieee_div_zero 0
		.amdhsa_exception_fp_ieee_overflow 0
		.amdhsa_exception_fp_ieee_underflow 0
		.amdhsa_exception_fp_ieee_inexact 0
		.amdhsa_exception_int_div_zero 0
	.end_amdhsa_kernel
	.section	.text._ZN7rocprim17ROCPRIM_400000_NS6detail17trampoline_kernelINS0_14default_configENS1_27scan_by_key_config_selectorIidEEZZNS1_16scan_by_key_implILNS1_25lookback_scan_determinismE0ELb0ES3_N6thrust23THRUST_200600_302600_NS6detail15normal_iteratorINS9_10device_ptrIiEEEENSB_INSC_IdEEEESG_dNS9_4plusIvEENS9_8equal_toIvEEdEE10hipError_tPvRmT2_T3_T4_T5_mT6_T7_P12ihipStream_tbENKUlT_T0_E_clISt17integral_constantIbLb0EES10_IbLb1EEEEDaSW_SX_EUlSW_E_NS1_11comp_targetILNS1_3genE10ELNS1_11target_archE1201ELNS1_3gpuE5ELNS1_3repE0EEENS1_30default_config_static_selectorELNS0_4arch9wavefront6targetE0EEEvT1_,"axG",@progbits,_ZN7rocprim17ROCPRIM_400000_NS6detail17trampoline_kernelINS0_14default_configENS1_27scan_by_key_config_selectorIidEEZZNS1_16scan_by_key_implILNS1_25lookback_scan_determinismE0ELb0ES3_N6thrust23THRUST_200600_302600_NS6detail15normal_iteratorINS9_10device_ptrIiEEEENSB_INSC_IdEEEESG_dNS9_4plusIvEENS9_8equal_toIvEEdEE10hipError_tPvRmT2_T3_T4_T5_mT6_T7_P12ihipStream_tbENKUlT_T0_E_clISt17integral_constantIbLb0EES10_IbLb1EEEEDaSW_SX_EUlSW_E_NS1_11comp_targetILNS1_3genE10ELNS1_11target_archE1201ELNS1_3gpuE5ELNS1_3repE0EEENS1_30default_config_static_selectorELNS0_4arch9wavefront6targetE0EEEvT1_,comdat
.Lfunc_end1119:
	.size	_ZN7rocprim17ROCPRIM_400000_NS6detail17trampoline_kernelINS0_14default_configENS1_27scan_by_key_config_selectorIidEEZZNS1_16scan_by_key_implILNS1_25lookback_scan_determinismE0ELb0ES3_N6thrust23THRUST_200600_302600_NS6detail15normal_iteratorINS9_10device_ptrIiEEEENSB_INSC_IdEEEESG_dNS9_4plusIvEENS9_8equal_toIvEEdEE10hipError_tPvRmT2_T3_T4_T5_mT6_T7_P12ihipStream_tbENKUlT_T0_E_clISt17integral_constantIbLb0EES10_IbLb1EEEEDaSW_SX_EUlSW_E_NS1_11comp_targetILNS1_3genE10ELNS1_11target_archE1201ELNS1_3gpuE5ELNS1_3repE0EEENS1_30default_config_static_selectorELNS0_4arch9wavefront6targetE0EEEvT1_, .Lfunc_end1119-_ZN7rocprim17ROCPRIM_400000_NS6detail17trampoline_kernelINS0_14default_configENS1_27scan_by_key_config_selectorIidEEZZNS1_16scan_by_key_implILNS1_25lookback_scan_determinismE0ELb0ES3_N6thrust23THRUST_200600_302600_NS6detail15normal_iteratorINS9_10device_ptrIiEEEENSB_INSC_IdEEEESG_dNS9_4plusIvEENS9_8equal_toIvEEdEE10hipError_tPvRmT2_T3_T4_T5_mT6_T7_P12ihipStream_tbENKUlT_T0_E_clISt17integral_constantIbLb0EES10_IbLb1EEEEDaSW_SX_EUlSW_E_NS1_11comp_targetILNS1_3genE10ELNS1_11target_archE1201ELNS1_3gpuE5ELNS1_3repE0EEENS1_30default_config_static_selectorELNS0_4arch9wavefront6targetE0EEEvT1_
                                        ; -- End function
	.set _ZN7rocprim17ROCPRIM_400000_NS6detail17trampoline_kernelINS0_14default_configENS1_27scan_by_key_config_selectorIidEEZZNS1_16scan_by_key_implILNS1_25lookback_scan_determinismE0ELb0ES3_N6thrust23THRUST_200600_302600_NS6detail15normal_iteratorINS9_10device_ptrIiEEEENSB_INSC_IdEEEESG_dNS9_4plusIvEENS9_8equal_toIvEEdEE10hipError_tPvRmT2_T3_T4_T5_mT6_T7_P12ihipStream_tbENKUlT_T0_E_clISt17integral_constantIbLb0EES10_IbLb1EEEEDaSW_SX_EUlSW_E_NS1_11comp_targetILNS1_3genE10ELNS1_11target_archE1201ELNS1_3gpuE5ELNS1_3repE0EEENS1_30default_config_static_selectorELNS0_4arch9wavefront6targetE0EEEvT1_.num_vgpr, 0
	.set _ZN7rocprim17ROCPRIM_400000_NS6detail17trampoline_kernelINS0_14default_configENS1_27scan_by_key_config_selectorIidEEZZNS1_16scan_by_key_implILNS1_25lookback_scan_determinismE0ELb0ES3_N6thrust23THRUST_200600_302600_NS6detail15normal_iteratorINS9_10device_ptrIiEEEENSB_INSC_IdEEEESG_dNS9_4plusIvEENS9_8equal_toIvEEdEE10hipError_tPvRmT2_T3_T4_T5_mT6_T7_P12ihipStream_tbENKUlT_T0_E_clISt17integral_constantIbLb0EES10_IbLb1EEEEDaSW_SX_EUlSW_E_NS1_11comp_targetILNS1_3genE10ELNS1_11target_archE1201ELNS1_3gpuE5ELNS1_3repE0EEENS1_30default_config_static_selectorELNS0_4arch9wavefront6targetE0EEEvT1_.num_agpr, 0
	.set _ZN7rocprim17ROCPRIM_400000_NS6detail17trampoline_kernelINS0_14default_configENS1_27scan_by_key_config_selectorIidEEZZNS1_16scan_by_key_implILNS1_25lookback_scan_determinismE0ELb0ES3_N6thrust23THRUST_200600_302600_NS6detail15normal_iteratorINS9_10device_ptrIiEEEENSB_INSC_IdEEEESG_dNS9_4plusIvEENS9_8equal_toIvEEdEE10hipError_tPvRmT2_T3_T4_T5_mT6_T7_P12ihipStream_tbENKUlT_T0_E_clISt17integral_constantIbLb0EES10_IbLb1EEEEDaSW_SX_EUlSW_E_NS1_11comp_targetILNS1_3genE10ELNS1_11target_archE1201ELNS1_3gpuE5ELNS1_3repE0EEENS1_30default_config_static_selectorELNS0_4arch9wavefront6targetE0EEEvT1_.numbered_sgpr, 0
	.set _ZN7rocprim17ROCPRIM_400000_NS6detail17trampoline_kernelINS0_14default_configENS1_27scan_by_key_config_selectorIidEEZZNS1_16scan_by_key_implILNS1_25lookback_scan_determinismE0ELb0ES3_N6thrust23THRUST_200600_302600_NS6detail15normal_iteratorINS9_10device_ptrIiEEEENSB_INSC_IdEEEESG_dNS9_4plusIvEENS9_8equal_toIvEEdEE10hipError_tPvRmT2_T3_T4_T5_mT6_T7_P12ihipStream_tbENKUlT_T0_E_clISt17integral_constantIbLb0EES10_IbLb1EEEEDaSW_SX_EUlSW_E_NS1_11comp_targetILNS1_3genE10ELNS1_11target_archE1201ELNS1_3gpuE5ELNS1_3repE0EEENS1_30default_config_static_selectorELNS0_4arch9wavefront6targetE0EEEvT1_.num_named_barrier, 0
	.set _ZN7rocprim17ROCPRIM_400000_NS6detail17trampoline_kernelINS0_14default_configENS1_27scan_by_key_config_selectorIidEEZZNS1_16scan_by_key_implILNS1_25lookback_scan_determinismE0ELb0ES3_N6thrust23THRUST_200600_302600_NS6detail15normal_iteratorINS9_10device_ptrIiEEEENSB_INSC_IdEEEESG_dNS9_4plusIvEENS9_8equal_toIvEEdEE10hipError_tPvRmT2_T3_T4_T5_mT6_T7_P12ihipStream_tbENKUlT_T0_E_clISt17integral_constantIbLb0EES10_IbLb1EEEEDaSW_SX_EUlSW_E_NS1_11comp_targetILNS1_3genE10ELNS1_11target_archE1201ELNS1_3gpuE5ELNS1_3repE0EEENS1_30default_config_static_selectorELNS0_4arch9wavefront6targetE0EEEvT1_.private_seg_size, 0
	.set _ZN7rocprim17ROCPRIM_400000_NS6detail17trampoline_kernelINS0_14default_configENS1_27scan_by_key_config_selectorIidEEZZNS1_16scan_by_key_implILNS1_25lookback_scan_determinismE0ELb0ES3_N6thrust23THRUST_200600_302600_NS6detail15normal_iteratorINS9_10device_ptrIiEEEENSB_INSC_IdEEEESG_dNS9_4plusIvEENS9_8equal_toIvEEdEE10hipError_tPvRmT2_T3_T4_T5_mT6_T7_P12ihipStream_tbENKUlT_T0_E_clISt17integral_constantIbLb0EES10_IbLb1EEEEDaSW_SX_EUlSW_E_NS1_11comp_targetILNS1_3genE10ELNS1_11target_archE1201ELNS1_3gpuE5ELNS1_3repE0EEENS1_30default_config_static_selectorELNS0_4arch9wavefront6targetE0EEEvT1_.uses_vcc, 0
	.set _ZN7rocprim17ROCPRIM_400000_NS6detail17trampoline_kernelINS0_14default_configENS1_27scan_by_key_config_selectorIidEEZZNS1_16scan_by_key_implILNS1_25lookback_scan_determinismE0ELb0ES3_N6thrust23THRUST_200600_302600_NS6detail15normal_iteratorINS9_10device_ptrIiEEEENSB_INSC_IdEEEESG_dNS9_4plusIvEENS9_8equal_toIvEEdEE10hipError_tPvRmT2_T3_T4_T5_mT6_T7_P12ihipStream_tbENKUlT_T0_E_clISt17integral_constantIbLb0EES10_IbLb1EEEEDaSW_SX_EUlSW_E_NS1_11comp_targetILNS1_3genE10ELNS1_11target_archE1201ELNS1_3gpuE5ELNS1_3repE0EEENS1_30default_config_static_selectorELNS0_4arch9wavefront6targetE0EEEvT1_.uses_flat_scratch, 0
	.set _ZN7rocprim17ROCPRIM_400000_NS6detail17trampoline_kernelINS0_14default_configENS1_27scan_by_key_config_selectorIidEEZZNS1_16scan_by_key_implILNS1_25lookback_scan_determinismE0ELb0ES3_N6thrust23THRUST_200600_302600_NS6detail15normal_iteratorINS9_10device_ptrIiEEEENSB_INSC_IdEEEESG_dNS9_4plusIvEENS9_8equal_toIvEEdEE10hipError_tPvRmT2_T3_T4_T5_mT6_T7_P12ihipStream_tbENKUlT_T0_E_clISt17integral_constantIbLb0EES10_IbLb1EEEEDaSW_SX_EUlSW_E_NS1_11comp_targetILNS1_3genE10ELNS1_11target_archE1201ELNS1_3gpuE5ELNS1_3repE0EEENS1_30default_config_static_selectorELNS0_4arch9wavefront6targetE0EEEvT1_.has_dyn_sized_stack, 0
	.set _ZN7rocprim17ROCPRIM_400000_NS6detail17trampoline_kernelINS0_14default_configENS1_27scan_by_key_config_selectorIidEEZZNS1_16scan_by_key_implILNS1_25lookback_scan_determinismE0ELb0ES3_N6thrust23THRUST_200600_302600_NS6detail15normal_iteratorINS9_10device_ptrIiEEEENSB_INSC_IdEEEESG_dNS9_4plusIvEENS9_8equal_toIvEEdEE10hipError_tPvRmT2_T3_T4_T5_mT6_T7_P12ihipStream_tbENKUlT_T0_E_clISt17integral_constantIbLb0EES10_IbLb1EEEEDaSW_SX_EUlSW_E_NS1_11comp_targetILNS1_3genE10ELNS1_11target_archE1201ELNS1_3gpuE5ELNS1_3repE0EEENS1_30default_config_static_selectorELNS0_4arch9wavefront6targetE0EEEvT1_.has_recursion, 0
	.set _ZN7rocprim17ROCPRIM_400000_NS6detail17trampoline_kernelINS0_14default_configENS1_27scan_by_key_config_selectorIidEEZZNS1_16scan_by_key_implILNS1_25lookback_scan_determinismE0ELb0ES3_N6thrust23THRUST_200600_302600_NS6detail15normal_iteratorINS9_10device_ptrIiEEEENSB_INSC_IdEEEESG_dNS9_4plusIvEENS9_8equal_toIvEEdEE10hipError_tPvRmT2_T3_T4_T5_mT6_T7_P12ihipStream_tbENKUlT_T0_E_clISt17integral_constantIbLb0EES10_IbLb1EEEEDaSW_SX_EUlSW_E_NS1_11comp_targetILNS1_3genE10ELNS1_11target_archE1201ELNS1_3gpuE5ELNS1_3repE0EEENS1_30default_config_static_selectorELNS0_4arch9wavefront6targetE0EEEvT1_.has_indirect_call, 0
	.section	.AMDGPU.csdata,"",@progbits
; Kernel info:
; codeLenInByte = 0
; TotalNumSgprs: 0
; NumVgprs: 0
; ScratchSize: 0
; MemoryBound: 0
; FloatMode: 240
; IeeeMode: 1
; LDSByteSize: 0 bytes/workgroup (compile time only)
; SGPRBlocks: 0
; VGPRBlocks: 0
; NumSGPRsForWavesPerEU: 1
; NumVGPRsForWavesPerEU: 1
; NamedBarCnt: 0
; Occupancy: 16
; WaveLimiterHint : 0
; COMPUTE_PGM_RSRC2:SCRATCH_EN: 0
; COMPUTE_PGM_RSRC2:USER_SGPR: 2
; COMPUTE_PGM_RSRC2:TRAP_HANDLER: 0
; COMPUTE_PGM_RSRC2:TGID_X_EN: 1
; COMPUTE_PGM_RSRC2:TGID_Y_EN: 0
; COMPUTE_PGM_RSRC2:TGID_Z_EN: 0
; COMPUTE_PGM_RSRC2:TIDIG_COMP_CNT: 0
	.section	.text._ZN7rocprim17ROCPRIM_400000_NS6detail17trampoline_kernelINS0_14default_configENS1_27scan_by_key_config_selectorIidEEZZNS1_16scan_by_key_implILNS1_25lookback_scan_determinismE0ELb0ES3_N6thrust23THRUST_200600_302600_NS6detail15normal_iteratorINS9_10device_ptrIiEEEENSB_INSC_IdEEEESG_dNS9_4plusIvEENS9_8equal_toIvEEdEE10hipError_tPvRmT2_T3_T4_T5_mT6_T7_P12ihipStream_tbENKUlT_T0_E_clISt17integral_constantIbLb0EES10_IbLb1EEEEDaSW_SX_EUlSW_E_NS1_11comp_targetILNS1_3genE5ELNS1_11target_archE942ELNS1_3gpuE9ELNS1_3repE0EEENS1_30default_config_static_selectorELNS0_4arch9wavefront6targetE0EEEvT1_,"axG",@progbits,_ZN7rocprim17ROCPRIM_400000_NS6detail17trampoline_kernelINS0_14default_configENS1_27scan_by_key_config_selectorIidEEZZNS1_16scan_by_key_implILNS1_25lookback_scan_determinismE0ELb0ES3_N6thrust23THRUST_200600_302600_NS6detail15normal_iteratorINS9_10device_ptrIiEEEENSB_INSC_IdEEEESG_dNS9_4plusIvEENS9_8equal_toIvEEdEE10hipError_tPvRmT2_T3_T4_T5_mT6_T7_P12ihipStream_tbENKUlT_T0_E_clISt17integral_constantIbLb0EES10_IbLb1EEEEDaSW_SX_EUlSW_E_NS1_11comp_targetILNS1_3genE5ELNS1_11target_archE942ELNS1_3gpuE9ELNS1_3repE0EEENS1_30default_config_static_selectorELNS0_4arch9wavefront6targetE0EEEvT1_,comdat
	.protected	_ZN7rocprim17ROCPRIM_400000_NS6detail17trampoline_kernelINS0_14default_configENS1_27scan_by_key_config_selectorIidEEZZNS1_16scan_by_key_implILNS1_25lookback_scan_determinismE0ELb0ES3_N6thrust23THRUST_200600_302600_NS6detail15normal_iteratorINS9_10device_ptrIiEEEENSB_INSC_IdEEEESG_dNS9_4plusIvEENS9_8equal_toIvEEdEE10hipError_tPvRmT2_T3_T4_T5_mT6_T7_P12ihipStream_tbENKUlT_T0_E_clISt17integral_constantIbLb0EES10_IbLb1EEEEDaSW_SX_EUlSW_E_NS1_11comp_targetILNS1_3genE5ELNS1_11target_archE942ELNS1_3gpuE9ELNS1_3repE0EEENS1_30default_config_static_selectorELNS0_4arch9wavefront6targetE0EEEvT1_ ; -- Begin function _ZN7rocprim17ROCPRIM_400000_NS6detail17trampoline_kernelINS0_14default_configENS1_27scan_by_key_config_selectorIidEEZZNS1_16scan_by_key_implILNS1_25lookback_scan_determinismE0ELb0ES3_N6thrust23THRUST_200600_302600_NS6detail15normal_iteratorINS9_10device_ptrIiEEEENSB_INSC_IdEEEESG_dNS9_4plusIvEENS9_8equal_toIvEEdEE10hipError_tPvRmT2_T3_T4_T5_mT6_T7_P12ihipStream_tbENKUlT_T0_E_clISt17integral_constantIbLb0EES10_IbLb1EEEEDaSW_SX_EUlSW_E_NS1_11comp_targetILNS1_3genE5ELNS1_11target_archE942ELNS1_3gpuE9ELNS1_3repE0EEENS1_30default_config_static_selectorELNS0_4arch9wavefront6targetE0EEEvT1_
	.globl	_ZN7rocprim17ROCPRIM_400000_NS6detail17trampoline_kernelINS0_14default_configENS1_27scan_by_key_config_selectorIidEEZZNS1_16scan_by_key_implILNS1_25lookback_scan_determinismE0ELb0ES3_N6thrust23THRUST_200600_302600_NS6detail15normal_iteratorINS9_10device_ptrIiEEEENSB_INSC_IdEEEESG_dNS9_4plusIvEENS9_8equal_toIvEEdEE10hipError_tPvRmT2_T3_T4_T5_mT6_T7_P12ihipStream_tbENKUlT_T0_E_clISt17integral_constantIbLb0EES10_IbLb1EEEEDaSW_SX_EUlSW_E_NS1_11comp_targetILNS1_3genE5ELNS1_11target_archE942ELNS1_3gpuE9ELNS1_3repE0EEENS1_30default_config_static_selectorELNS0_4arch9wavefront6targetE0EEEvT1_
	.p2align	8
	.type	_ZN7rocprim17ROCPRIM_400000_NS6detail17trampoline_kernelINS0_14default_configENS1_27scan_by_key_config_selectorIidEEZZNS1_16scan_by_key_implILNS1_25lookback_scan_determinismE0ELb0ES3_N6thrust23THRUST_200600_302600_NS6detail15normal_iteratorINS9_10device_ptrIiEEEENSB_INSC_IdEEEESG_dNS9_4plusIvEENS9_8equal_toIvEEdEE10hipError_tPvRmT2_T3_T4_T5_mT6_T7_P12ihipStream_tbENKUlT_T0_E_clISt17integral_constantIbLb0EES10_IbLb1EEEEDaSW_SX_EUlSW_E_NS1_11comp_targetILNS1_3genE5ELNS1_11target_archE942ELNS1_3gpuE9ELNS1_3repE0EEENS1_30default_config_static_selectorELNS0_4arch9wavefront6targetE0EEEvT1_,@function
_ZN7rocprim17ROCPRIM_400000_NS6detail17trampoline_kernelINS0_14default_configENS1_27scan_by_key_config_selectorIidEEZZNS1_16scan_by_key_implILNS1_25lookback_scan_determinismE0ELb0ES3_N6thrust23THRUST_200600_302600_NS6detail15normal_iteratorINS9_10device_ptrIiEEEENSB_INSC_IdEEEESG_dNS9_4plusIvEENS9_8equal_toIvEEdEE10hipError_tPvRmT2_T3_T4_T5_mT6_T7_P12ihipStream_tbENKUlT_T0_E_clISt17integral_constantIbLb0EES10_IbLb1EEEEDaSW_SX_EUlSW_E_NS1_11comp_targetILNS1_3genE5ELNS1_11target_archE942ELNS1_3gpuE9ELNS1_3repE0EEENS1_30default_config_static_selectorELNS0_4arch9wavefront6targetE0EEEvT1_: ; @_ZN7rocprim17ROCPRIM_400000_NS6detail17trampoline_kernelINS0_14default_configENS1_27scan_by_key_config_selectorIidEEZZNS1_16scan_by_key_implILNS1_25lookback_scan_determinismE0ELb0ES3_N6thrust23THRUST_200600_302600_NS6detail15normal_iteratorINS9_10device_ptrIiEEEENSB_INSC_IdEEEESG_dNS9_4plusIvEENS9_8equal_toIvEEdEE10hipError_tPvRmT2_T3_T4_T5_mT6_T7_P12ihipStream_tbENKUlT_T0_E_clISt17integral_constantIbLb0EES10_IbLb1EEEEDaSW_SX_EUlSW_E_NS1_11comp_targetILNS1_3genE5ELNS1_11target_archE942ELNS1_3gpuE9ELNS1_3repE0EEENS1_30default_config_static_selectorELNS0_4arch9wavefront6targetE0EEEvT1_
; %bb.0:
	.section	.rodata,"a",@progbits
	.p2align	6, 0x0
	.amdhsa_kernel _ZN7rocprim17ROCPRIM_400000_NS6detail17trampoline_kernelINS0_14default_configENS1_27scan_by_key_config_selectorIidEEZZNS1_16scan_by_key_implILNS1_25lookback_scan_determinismE0ELb0ES3_N6thrust23THRUST_200600_302600_NS6detail15normal_iteratorINS9_10device_ptrIiEEEENSB_INSC_IdEEEESG_dNS9_4plusIvEENS9_8equal_toIvEEdEE10hipError_tPvRmT2_T3_T4_T5_mT6_T7_P12ihipStream_tbENKUlT_T0_E_clISt17integral_constantIbLb0EES10_IbLb1EEEEDaSW_SX_EUlSW_E_NS1_11comp_targetILNS1_3genE5ELNS1_11target_archE942ELNS1_3gpuE9ELNS1_3repE0EEENS1_30default_config_static_selectorELNS0_4arch9wavefront6targetE0EEEvT1_
		.amdhsa_group_segment_fixed_size 0
		.amdhsa_private_segment_fixed_size 0
		.amdhsa_kernarg_size 136
		.amdhsa_user_sgpr_count 2
		.amdhsa_user_sgpr_dispatch_ptr 0
		.amdhsa_user_sgpr_queue_ptr 0
		.amdhsa_user_sgpr_kernarg_segment_ptr 1
		.amdhsa_user_sgpr_dispatch_id 0
		.amdhsa_user_sgpr_kernarg_preload_length 0
		.amdhsa_user_sgpr_kernarg_preload_offset 0
		.amdhsa_user_sgpr_private_segment_size 0
		.amdhsa_wavefront_size32 1
		.amdhsa_uses_dynamic_stack 0
		.amdhsa_enable_private_segment 0
		.amdhsa_system_sgpr_workgroup_id_x 1
		.amdhsa_system_sgpr_workgroup_id_y 0
		.amdhsa_system_sgpr_workgroup_id_z 0
		.amdhsa_system_sgpr_workgroup_info 0
		.amdhsa_system_vgpr_workitem_id 0
		.amdhsa_next_free_vgpr 1
		.amdhsa_next_free_sgpr 1
		.amdhsa_named_barrier_count 0
		.amdhsa_reserve_vcc 0
		.amdhsa_float_round_mode_32 0
		.amdhsa_float_round_mode_16_64 0
		.amdhsa_float_denorm_mode_32 3
		.amdhsa_float_denorm_mode_16_64 3
		.amdhsa_fp16_overflow 0
		.amdhsa_memory_ordered 1
		.amdhsa_forward_progress 1
		.amdhsa_inst_pref_size 0
		.amdhsa_round_robin_scheduling 0
		.amdhsa_exception_fp_ieee_invalid_op 0
		.amdhsa_exception_fp_denorm_src 0
		.amdhsa_exception_fp_ieee_div_zero 0
		.amdhsa_exception_fp_ieee_overflow 0
		.amdhsa_exception_fp_ieee_underflow 0
		.amdhsa_exception_fp_ieee_inexact 0
		.amdhsa_exception_int_div_zero 0
	.end_amdhsa_kernel
	.section	.text._ZN7rocprim17ROCPRIM_400000_NS6detail17trampoline_kernelINS0_14default_configENS1_27scan_by_key_config_selectorIidEEZZNS1_16scan_by_key_implILNS1_25lookback_scan_determinismE0ELb0ES3_N6thrust23THRUST_200600_302600_NS6detail15normal_iteratorINS9_10device_ptrIiEEEENSB_INSC_IdEEEESG_dNS9_4plusIvEENS9_8equal_toIvEEdEE10hipError_tPvRmT2_T3_T4_T5_mT6_T7_P12ihipStream_tbENKUlT_T0_E_clISt17integral_constantIbLb0EES10_IbLb1EEEEDaSW_SX_EUlSW_E_NS1_11comp_targetILNS1_3genE5ELNS1_11target_archE942ELNS1_3gpuE9ELNS1_3repE0EEENS1_30default_config_static_selectorELNS0_4arch9wavefront6targetE0EEEvT1_,"axG",@progbits,_ZN7rocprim17ROCPRIM_400000_NS6detail17trampoline_kernelINS0_14default_configENS1_27scan_by_key_config_selectorIidEEZZNS1_16scan_by_key_implILNS1_25lookback_scan_determinismE0ELb0ES3_N6thrust23THRUST_200600_302600_NS6detail15normal_iteratorINS9_10device_ptrIiEEEENSB_INSC_IdEEEESG_dNS9_4plusIvEENS9_8equal_toIvEEdEE10hipError_tPvRmT2_T3_T4_T5_mT6_T7_P12ihipStream_tbENKUlT_T0_E_clISt17integral_constantIbLb0EES10_IbLb1EEEEDaSW_SX_EUlSW_E_NS1_11comp_targetILNS1_3genE5ELNS1_11target_archE942ELNS1_3gpuE9ELNS1_3repE0EEENS1_30default_config_static_selectorELNS0_4arch9wavefront6targetE0EEEvT1_,comdat
.Lfunc_end1120:
	.size	_ZN7rocprim17ROCPRIM_400000_NS6detail17trampoline_kernelINS0_14default_configENS1_27scan_by_key_config_selectorIidEEZZNS1_16scan_by_key_implILNS1_25lookback_scan_determinismE0ELb0ES3_N6thrust23THRUST_200600_302600_NS6detail15normal_iteratorINS9_10device_ptrIiEEEENSB_INSC_IdEEEESG_dNS9_4plusIvEENS9_8equal_toIvEEdEE10hipError_tPvRmT2_T3_T4_T5_mT6_T7_P12ihipStream_tbENKUlT_T0_E_clISt17integral_constantIbLb0EES10_IbLb1EEEEDaSW_SX_EUlSW_E_NS1_11comp_targetILNS1_3genE5ELNS1_11target_archE942ELNS1_3gpuE9ELNS1_3repE0EEENS1_30default_config_static_selectorELNS0_4arch9wavefront6targetE0EEEvT1_, .Lfunc_end1120-_ZN7rocprim17ROCPRIM_400000_NS6detail17trampoline_kernelINS0_14default_configENS1_27scan_by_key_config_selectorIidEEZZNS1_16scan_by_key_implILNS1_25lookback_scan_determinismE0ELb0ES3_N6thrust23THRUST_200600_302600_NS6detail15normal_iteratorINS9_10device_ptrIiEEEENSB_INSC_IdEEEESG_dNS9_4plusIvEENS9_8equal_toIvEEdEE10hipError_tPvRmT2_T3_T4_T5_mT6_T7_P12ihipStream_tbENKUlT_T0_E_clISt17integral_constantIbLb0EES10_IbLb1EEEEDaSW_SX_EUlSW_E_NS1_11comp_targetILNS1_3genE5ELNS1_11target_archE942ELNS1_3gpuE9ELNS1_3repE0EEENS1_30default_config_static_selectorELNS0_4arch9wavefront6targetE0EEEvT1_
                                        ; -- End function
	.set _ZN7rocprim17ROCPRIM_400000_NS6detail17trampoline_kernelINS0_14default_configENS1_27scan_by_key_config_selectorIidEEZZNS1_16scan_by_key_implILNS1_25lookback_scan_determinismE0ELb0ES3_N6thrust23THRUST_200600_302600_NS6detail15normal_iteratorINS9_10device_ptrIiEEEENSB_INSC_IdEEEESG_dNS9_4plusIvEENS9_8equal_toIvEEdEE10hipError_tPvRmT2_T3_T4_T5_mT6_T7_P12ihipStream_tbENKUlT_T0_E_clISt17integral_constantIbLb0EES10_IbLb1EEEEDaSW_SX_EUlSW_E_NS1_11comp_targetILNS1_3genE5ELNS1_11target_archE942ELNS1_3gpuE9ELNS1_3repE0EEENS1_30default_config_static_selectorELNS0_4arch9wavefront6targetE0EEEvT1_.num_vgpr, 0
	.set _ZN7rocprim17ROCPRIM_400000_NS6detail17trampoline_kernelINS0_14default_configENS1_27scan_by_key_config_selectorIidEEZZNS1_16scan_by_key_implILNS1_25lookback_scan_determinismE0ELb0ES3_N6thrust23THRUST_200600_302600_NS6detail15normal_iteratorINS9_10device_ptrIiEEEENSB_INSC_IdEEEESG_dNS9_4plusIvEENS9_8equal_toIvEEdEE10hipError_tPvRmT2_T3_T4_T5_mT6_T7_P12ihipStream_tbENKUlT_T0_E_clISt17integral_constantIbLb0EES10_IbLb1EEEEDaSW_SX_EUlSW_E_NS1_11comp_targetILNS1_3genE5ELNS1_11target_archE942ELNS1_3gpuE9ELNS1_3repE0EEENS1_30default_config_static_selectorELNS0_4arch9wavefront6targetE0EEEvT1_.num_agpr, 0
	.set _ZN7rocprim17ROCPRIM_400000_NS6detail17trampoline_kernelINS0_14default_configENS1_27scan_by_key_config_selectorIidEEZZNS1_16scan_by_key_implILNS1_25lookback_scan_determinismE0ELb0ES3_N6thrust23THRUST_200600_302600_NS6detail15normal_iteratorINS9_10device_ptrIiEEEENSB_INSC_IdEEEESG_dNS9_4plusIvEENS9_8equal_toIvEEdEE10hipError_tPvRmT2_T3_T4_T5_mT6_T7_P12ihipStream_tbENKUlT_T0_E_clISt17integral_constantIbLb0EES10_IbLb1EEEEDaSW_SX_EUlSW_E_NS1_11comp_targetILNS1_3genE5ELNS1_11target_archE942ELNS1_3gpuE9ELNS1_3repE0EEENS1_30default_config_static_selectorELNS0_4arch9wavefront6targetE0EEEvT1_.numbered_sgpr, 0
	.set _ZN7rocprim17ROCPRIM_400000_NS6detail17trampoline_kernelINS0_14default_configENS1_27scan_by_key_config_selectorIidEEZZNS1_16scan_by_key_implILNS1_25lookback_scan_determinismE0ELb0ES3_N6thrust23THRUST_200600_302600_NS6detail15normal_iteratorINS9_10device_ptrIiEEEENSB_INSC_IdEEEESG_dNS9_4plusIvEENS9_8equal_toIvEEdEE10hipError_tPvRmT2_T3_T4_T5_mT6_T7_P12ihipStream_tbENKUlT_T0_E_clISt17integral_constantIbLb0EES10_IbLb1EEEEDaSW_SX_EUlSW_E_NS1_11comp_targetILNS1_3genE5ELNS1_11target_archE942ELNS1_3gpuE9ELNS1_3repE0EEENS1_30default_config_static_selectorELNS0_4arch9wavefront6targetE0EEEvT1_.num_named_barrier, 0
	.set _ZN7rocprim17ROCPRIM_400000_NS6detail17trampoline_kernelINS0_14default_configENS1_27scan_by_key_config_selectorIidEEZZNS1_16scan_by_key_implILNS1_25lookback_scan_determinismE0ELb0ES3_N6thrust23THRUST_200600_302600_NS6detail15normal_iteratorINS9_10device_ptrIiEEEENSB_INSC_IdEEEESG_dNS9_4plusIvEENS9_8equal_toIvEEdEE10hipError_tPvRmT2_T3_T4_T5_mT6_T7_P12ihipStream_tbENKUlT_T0_E_clISt17integral_constantIbLb0EES10_IbLb1EEEEDaSW_SX_EUlSW_E_NS1_11comp_targetILNS1_3genE5ELNS1_11target_archE942ELNS1_3gpuE9ELNS1_3repE0EEENS1_30default_config_static_selectorELNS0_4arch9wavefront6targetE0EEEvT1_.private_seg_size, 0
	.set _ZN7rocprim17ROCPRIM_400000_NS6detail17trampoline_kernelINS0_14default_configENS1_27scan_by_key_config_selectorIidEEZZNS1_16scan_by_key_implILNS1_25lookback_scan_determinismE0ELb0ES3_N6thrust23THRUST_200600_302600_NS6detail15normal_iteratorINS9_10device_ptrIiEEEENSB_INSC_IdEEEESG_dNS9_4plusIvEENS9_8equal_toIvEEdEE10hipError_tPvRmT2_T3_T4_T5_mT6_T7_P12ihipStream_tbENKUlT_T0_E_clISt17integral_constantIbLb0EES10_IbLb1EEEEDaSW_SX_EUlSW_E_NS1_11comp_targetILNS1_3genE5ELNS1_11target_archE942ELNS1_3gpuE9ELNS1_3repE0EEENS1_30default_config_static_selectorELNS0_4arch9wavefront6targetE0EEEvT1_.uses_vcc, 0
	.set _ZN7rocprim17ROCPRIM_400000_NS6detail17trampoline_kernelINS0_14default_configENS1_27scan_by_key_config_selectorIidEEZZNS1_16scan_by_key_implILNS1_25lookback_scan_determinismE0ELb0ES3_N6thrust23THRUST_200600_302600_NS6detail15normal_iteratorINS9_10device_ptrIiEEEENSB_INSC_IdEEEESG_dNS9_4plusIvEENS9_8equal_toIvEEdEE10hipError_tPvRmT2_T3_T4_T5_mT6_T7_P12ihipStream_tbENKUlT_T0_E_clISt17integral_constantIbLb0EES10_IbLb1EEEEDaSW_SX_EUlSW_E_NS1_11comp_targetILNS1_3genE5ELNS1_11target_archE942ELNS1_3gpuE9ELNS1_3repE0EEENS1_30default_config_static_selectorELNS0_4arch9wavefront6targetE0EEEvT1_.uses_flat_scratch, 0
	.set _ZN7rocprim17ROCPRIM_400000_NS6detail17trampoline_kernelINS0_14default_configENS1_27scan_by_key_config_selectorIidEEZZNS1_16scan_by_key_implILNS1_25lookback_scan_determinismE0ELb0ES3_N6thrust23THRUST_200600_302600_NS6detail15normal_iteratorINS9_10device_ptrIiEEEENSB_INSC_IdEEEESG_dNS9_4plusIvEENS9_8equal_toIvEEdEE10hipError_tPvRmT2_T3_T4_T5_mT6_T7_P12ihipStream_tbENKUlT_T0_E_clISt17integral_constantIbLb0EES10_IbLb1EEEEDaSW_SX_EUlSW_E_NS1_11comp_targetILNS1_3genE5ELNS1_11target_archE942ELNS1_3gpuE9ELNS1_3repE0EEENS1_30default_config_static_selectorELNS0_4arch9wavefront6targetE0EEEvT1_.has_dyn_sized_stack, 0
	.set _ZN7rocprim17ROCPRIM_400000_NS6detail17trampoline_kernelINS0_14default_configENS1_27scan_by_key_config_selectorIidEEZZNS1_16scan_by_key_implILNS1_25lookback_scan_determinismE0ELb0ES3_N6thrust23THRUST_200600_302600_NS6detail15normal_iteratorINS9_10device_ptrIiEEEENSB_INSC_IdEEEESG_dNS9_4plusIvEENS9_8equal_toIvEEdEE10hipError_tPvRmT2_T3_T4_T5_mT6_T7_P12ihipStream_tbENKUlT_T0_E_clISt17integral_constantIbLb0EES10_IbLb1EEEEDaSW_SX_EUlSW_E_NS1_11comp_targetILNS1_3genE5ELNS1_11target_archE942ELNS1_3gpuE9ELNS1_3repE0EEENS1_30default_config_static_selectorELNS0_4arch9wavefront6targetE0EEEvT1_.has_recursion, 0
	.set _ZN7rocprim17ROCPRIM_400000_NS6detail17trampoline_kernelINS0_14default_configENS1_27scan_by_key_config_selectorIidEEZZNS1_16scan_by_key_implILNS1_25lookback_scan_determinismE0ELb0ES3_N6thrust23THRUST_200600_302600_NS6detail15normal_iteratorINS9_10device_ptrIiEEEENSB_INSC_IdEEEESG_dNS9_4plusIvEENS9_8equal_toIvEEdEE10hipError_tPvRmT2_T3_T4_T5_mT6_T7_P12ihipStream_tbENKUlT_T0_E_clISt17integral_constantIbLb0EES10_IbLb1EEEEDaSW_SX_EUlSW_E_NS1_11comp_targetILNS1_3genE5ELNS1_11target_archE942ELNS1_3gpuE9ELNS1_3repE0EEENS1_30default_config_static_selectorELNS0_4arch9wavefront6targetE0EEEvT1_.has_indirect_call, 0
	.section	.AMDGPU.csdata,"",@progbits
; Kernel info:
; codeLenInByte = 0
; TotalNumSgprs: 0
; NumVgprs: 0
; ScratchSize: 0
; MemoryBound: 0
; FloatMode: 240
; IeeeMode: 1
; LDSByteSize: 0 bytes/workgroup (compile time only)
; SGPRBlocks: 0
; VGPRBlocks: 0
; NumSGPRsForWavesPerEU: 1
; NumVGPRsForWavesPerEU: 1
; NamedBarCnt: 0
; Occupancy: 16
; WaveLimiterHint : 0
; COMPUTE_PGM_RSRC2:SCRATCH_EN: 0
; COMPUTE_PGM_RSRC2:USER_SGPR: 2
; COMPUTE_PGM_RSRC2:TRAP_HANDLER: 0
; COMPUTE_PGM_RSRC2:TGID_X_EN: 1
; COMPUTE_PGM_RSRC2:TGID_Y_EN: 0
; COMPUTE_PGM_RSRC2:TGID_Z_EN: 0
; COMPUTE_PGM_RSRC2:TIDIG_COMP_CNT: 0
	.section	.text._ZN7rocprim17ROCPRIM_400000_NS6detail17trampoline_kernelINS0_14default_configENS1_27scan_by_key_config_selectorIidEEZZNS1_16scan_by_key_implILNS1_25lookback_scan_determinismE0ELb0ES3_N6thrust23THRUST_200600_302600_NS6detail15normal_iteratorINS9_10device_ptrIiEEEENSB_INSC_IdEEEESG_dNS9_4plusIvEENS9_8equal_toIvEEdEE10hipError_tPvRmT2_T3_T4_T5_mT6_T7_P12ihipStream_tbENKUlT_T0_E_clISt17integral_constantIbLb0EES10_IbLb1EEEEDaSW_SX_EUlSW_E_NS1_11comp_targetILNS1_3genE4ELNS1_11target_archE910ELNS1_3gpuE8ELNS1_3repE0EEENS1_30default_config_static_selectorELNS0_4arch9wavefront6targetE0EEEvT1_,"axG",@progbits,_ZN7rocprim17ROCPRIM_400000_NS6detail17trampoline_kernelINS0_14default_configENS1_27scan_by_key_config_selectorIidEEZZNS1_16scan_by_key_implILNS1_25lookback_scan_determinismE0ELb0ES3_N6thrust23THRUST_200600_302600_NS6detail15normal_iteratorINS9_10device_ptrIiEEEENSB_INSC_IdEEEESG_dNS9_4plusIvEENS9_8equal_toIvEEdEE10hipError_tPvRmT2_T3_T4_T5_mT6_T7_P12ihipStream_tbENKUlT_T0_E_clISt17integral_constantIbLb0EES10_IbLb1EEEEDaSW_SX_EUlSW_E_NS1_11comp_targetILNS1_3genE4ELNS1_11target_archE910ELNS1_3gpuE8ELNS1_3repE0EEENS1_30default_config_static_selectorELNS0_4arch9wavefront6targetE0EEEvT1_,comdat
	.protected	_ZN7rocprim17ROCPRIM_400000_NS6detail17trampoline_kernelINS0_14default_configENS1_27scan_by_key_config_selectorIidEEZZNS1_16scan_by_key_implILNS1_25lookback_scan_determinismE0ELb0ES3_N6thrust23THRUST_200600_302600_NS6detail15normal_iteratorINS9_10device_ptrIiEEEENSB_INSC_IdEEEESG_dNS9_4plusIvEENS9_8equal_toIvEEdEE10hipError_tPvRmT2_T3_T4_T5_mT6_T7_P12ihipStream_tbENKUlT_T0_E_clISt17integral_constantIbLb0EES10_IbLb1EEEEDaSW_SX_EUlSW_E_NS1_11comp_targetILNS1_3genE4ELNS1_11target_archE910ELNS1_3gpuE8ELNS1_3repE0EEENS1_30default_config_static_selectorELNS0_4arch9wavefront6targetE0EEEvT1_ ; -- Begin function _ZN7rocprim17ROCPRIM_400000_NS6detail17trampoline_kernelINS0_14default_configENS1_27scan_by_key_config_selectorIidEEZZNS1_16scan_by_key_implILNS1_25lookback_scan_determinismE0ELb0ES3_N6thrust23THRUST_200600_302600_NS6detail15normal_iteratorINS9_10device_ptrIiEEEENSB_INSC_IdEEEESG_dNS9_4plusIvEENS9_8equal_toIvEEdEE10hipError_tPvRmT2_T3_T4_T5_mT6_T7_P12ihipStream_tbENKUlT_T0_E_clISt17integral_constantIbLb0EES10_IbLb1EEEEDaSW_SX_EUlSW_E_NS1_11comp_targetILNS1_3genE4ELNS1_11target_archE910ELNS1_3gpuE8ELNS1_3repE0EEENS1_30default_config_static_selectorELNS0_4arch9wavefront6targetE0EEEvT1_
	.globl	_ZN7rocprim17ROCPRIM_400000_NS6detail17trampoline_kernelINS0_14default_configENS1_27scan_by_key_config_selectorIidEEZZNS1_16scan_by_key_implILNS1_25lookback_scan_determinismE0ELb0ES3_N6thrust23THRUST_200600_302600_NS6detail15normal_iteratorINS9_10device_ptrIiEEEENSB_INSC_IdEEEESG_dNS9_4plusIvEENS9_8equal_toIvEEdEE10hipError_tPvRmT2_T3_T4_T5_mT6_T7_P12ihipStream_tbENKUlT_T0_E_clISt17integral_constantIbLb0EES10_IbLb1EEEEDaSW_SX_EUlSW_E_NS1_11comp_targetILNS1_3genE4ELNS1_11target_archE910ELNS1_3gpuE8ELNS1_3repE0EEENS1_30default_config_static_selectorELNS0_4arch9wavefront6targetE0EEEvT1_
	.p2align	8
	.type	_ZN7rocprim17ROCPRIM_400000_NS6detail17trampoline_kernelINS0_14default_configENS1_27scan_by_key_config_selectorIidEEZZNS1_16scan_by_key_implILNS1_25lookback_scan_determinismE0ELb0ES3_N6thrust23THRUST_200600_302600_NS6detail15normal_iteratorINS9_10device_ptrIiEEEENSB_INSC_IdEEEESG_dNS9_4plusIvEENS9_8equal_toIvEEdEE10hipError_tPvRmT2_T3_T4_T5_mT6_T7_P12ihipStream_tbENKUlT_T0_E_clISt17integral_constantIbLb0EES10_IbLb1EEEEDaSW_SX_EUlSW_E_NS1_11comp_targetILNS1_3genE4ELNS1_11target_archE910ELNS1_3gpuE8ELNS1_3repE0EEENS1_30default_config_static_selectorELNS0_4arch9wavefront6targetE0EEEvT1_,@function
_ZN7rocprim17ROCPRIM_400000_NS6detail17trampoline_kernelINS0_14default_configENS1_27scan_by_key_config_selectorIidEEZZNS1_16scan_by_key_implILNS1_25lookback_scan_determinismE0ELb0ES3_N6thrust23THRUST_200600_302600_NS6detail15normal_iteratorINS9_10device_ptrIiEEEENSB_INSC_IdEEEESG_dNS9_4plusIvEENS9_8equal_toIvEEdEE10hipError_tPvRmT2_T3_T4_T5_mT6_T7_P12ihipStream_tbENKUlT_T0_E_clISt17integral_constantIbLb0EES10_IbLb1EEEEDaSW_SX_EUlSW_E_NS1_11comp_targetILNS1_3genE4ELNS1_11target_archE910ELNS1_3gpuE8ELNS1_3repE0EEENS1_30default_config_static_selectorELNS0_4arch9wavefront6targetE0EEEvT1_: ; @_ZN7rocprim17ROCPRIM_400000_NS6detail17trampoline_kernelINS0_14default_configENS1_27scan_by_key_config_selectorIidEEZZNS1_16scan_by_key_implILNS1_25lookback_scan_determinismE0ELb0ES3_N6thrust23THRUST_200600_302600_NS6detail15normal_iteratorINS9_10device_ptrIiEEEENSB_INSC_IdEEEESG_dNS9_4plusIvEENS9_8equal_toIvEEdEE10hipError_tPvRmT2_T3_T4_T5_mT6_T7_P12ihipStream_tbENKUlT_T0_E_clISt17integral_constantIbLb0EES10_IbLb1EEEEDaSW_SX_EUlSW_E_NS1_11comp_targetILNS1_3genE4ELNS1_11target_archE910ELNS1_3gpuE8ELNS1_3repE0EEENS1_30default_config_static_selectorELNS0_4arch9wavefront6targetE0EEEvT1_
; %bb.0:
	.section	.rodata,"a",@progbits
	.p2align	6, 0x0
	.amdhsa_kernel _ZN7rocprim17ROCPRIM_400000_NS6detail17trampoline_kernelINS0_14default_configENS1_27scan_by_key_config_selectorIidEEZZNS1_16scan_by_key_implILNS1_25lookback_scan_determinismE0ELb0ES3_N6thrust23THRUST_200600_302600_NS6detail15normal_iteratorINS9_10device_ptrIiEEEENSB_INSC_IdEEEESG_dNS9_4plusIvEENS9_8equal_toIvEEdEE10hipError_tPvRmT2_T3_T4_T5_mT6_T7_P12ihipStream_tbENKUlT_T0_E_clISt17integral_constantIbLb0EES10_IbLb1EEEEDaSW_SX_EUlSW_E_NS1_11comp_targetILNS1_3genE4ELNS1_11target_archE910ELNS1_3gpuE8ELNS1_3repE0EEENS1_30default_config_static_selectorELNS0_4arch9wavefront6targetE0EEEvT1_
		.amdhsa_group_segment_fixed_size 0
		.amdhsa_private_segment_fixed_size 0
		.amdhsa_kernarg_size 136
		.amdhsa_user_sgpr_count 2
		.amdhsa_user_sgpr_dispatch_ptr 0
		.amdhsa_user_sgpr_queue_ptr 0
		.amdhsa_user_sgpr_kernarg_segment_ptr 1
		.amdhsa_user_sgpr_dispatch_id 0
		.amdhsa_user_sgpr_kernarg_preload_length 0
		.amdhsa_user_sgpr_kernarg_preload_offset 0
		.amdhsa_user_sgpr_private_segment_size 0
		.amdhsa_wavefront_size32 1
		.amdhsa_uses_dynamic_stack 0
		.amdhsa_enable_private_segment 0
		.amdhsa_system_sgpr_workgroup_id_x 1
		.amdhsa_system_sgpr_workgroup_id_y 0
		.amdhsa_system_sgpr_workgroup_id_z 0
		.amdhsa_system_sgpr_workgroup_info 0
		.amdhsa_system_vgpr_workitem_id 0
		.amdhsa_next_free_vgpr 1
		.amdhsa_next_free_sgpr 1
		.amdhsa_named_barrier_count 0
		.amdhsa_reserve_vcc 0
		.amdhsa_float_round_mode_32 0
		.amdhsa_float_round_mode_16_64 0
		.amdhsa_float_denorm_mode_32 3
		.amdhsa_float_denorm_mode_16_64 3
		.amdhsa_fp16_overflow 0
		.amdhsa_memory_ordered 1
		.amdhsa_forward_progress 1
		.amdhsa_inst_pref_size 0
		.amdhsa_round_robin_scheduling 0
		.amdhsa_exception_fp_ieee_invalid_op 0
		.amdhsa_exception_fp_denorm_src 0
		.amdhsa_exception_fp_ieee_div_zero 0
		.amdhsa_exception_fp_ieee_overflow 0
		.amdhsa_exception_fp_ieee_underflow 0
		.amdhsa_exception_fp_ieee_inexact 0
		.amdhsa_exception_int_div_zero 0
	.end_amdhsa_kernel
	.section	.text._ZN7rocprim17ROCPRIM_400000_NS6detail17trampoline_kernelINS0_14default_configENS1_27scan_by_key_config_selectorIidEEZZNS1_16scan_by_key_implILNS1_25lookback_scan_determinismE0ELb0ES3_N6thrust23THRUST_200600_302600_NS6detail15normal_iteratorINS9_10device_ptrIiEEEENSB_INSC_IdEEEESG_dNS9_4plusIvEENS9_8equal_toIvEEdEE10hipError_tPvRmT2_T3_T4_T5_mT6_T7_P12ihipStream_tbENKUlT_T0_E_clISt17integral_constantIbLb0EES10_IbLb1EEEEDaSW_SX_EUlSW_E_NS1_11comp_targetILNS1_3genE4ELNS1_11target_archE910ELNS1_3gpuE8ELNS1_3repE0EEENS1_30default_config_static_selectorELNS0_4arch9wavefront6targetE0EEEvT1_,"axG",@progbits,_ZN7rocprim17ROCPRIM_400000_NS6detail17trampoline_kernelINS0_14default_configENS1_27scan_by_key_config_selectorIidEEZZNS1_16scan_by_key_implILNS1_25lookback_scan_determinismE0ELb0ES3_N6thrust23THRUST_200600_302600_NS6detail15normal_iteratorINS9_10device_ptrIiEEEENSB_INSC_IdEEEESG_dNS9_4plusIvEENS9_8equal_toIvEEdEE10hipError_tPvRmT2_T3_T4_T5_mT6_T7_P12ihipStream_tbENKUlT_T0_E_clISt17integral_constantIbLb0EES10_IbLb1EEEEDaSW_SX_EUlSW_E_NS1_11comp_targetILNS1_3genE4ELNS1_11target_archE910ELNS1_3gpuE8ELNS1_3repE0EEENS1_30default_config_static_selectorELNS0_4arch9wavefront6targetE0EEEvT1_,comdat
.Lfunc_end1121:
	.size	_ZN7rocprim17ROCPRIM_400000_NS6detail17trampoline_kernelINS0_14default_configENS1_27scan_by_key_config_selectorIidEEZZNS1_16scan_by_key_implILNS1_25lookback_scan_determinismE0ELb0ES3_N6thrust23THRUST_200600_302600_NS6detail15normal_iteratorINS9_10device_ptrIiEEEENSB_INSC_IdEEEESG_dNS9_4plusIvEENS9_8equal_toIvEEdEE10hipError_tPvRmT2_T3_T4_T5_mT6_T7_P12ihipStream_tbENKUlT_T0_E_clISt17integral_constantIbLb0EES10_IbLb1EEEEDaSW_SX_EUlSW_E_NS1_11comp_targetILNS1_3genE4ELNS1_11target_archE910ELNS1_3gpuE8ELNS1_3repE0EEENS1_30default_config_static_selectorELNS0_4arch9wavefront6targetE0EEEvT1_, .Lfunc_end1121-_ZN7rocprim17ROCPRIM_400000_NS6detail17trampoline_kernelINS0_14default_configENS1_27scan_by_key_config_selectorIidEEZZNS1_16scan_by_key_implILNS1_25lookback_scan_determinismE0ELb0ES3_N6thrust23THRUST_200600_302600_NS6detail15normal_iteratorINS9_10device_ptrIiEEEENSB_INSC_IdEEEESG_dNS9_4plusIvEENS9_8equal_toIvEEdEE10hipError_tPvRmT2_T3_T4_T5_mT6_T7_P12ihipStream_tbENKUlT_T0_E_clISt17integral_constantIbLb0EES10_IbLb1EEEEDaSW_SX_EUlSW_E_NS1_11comp_targetILNS1_3genE4ELNS1_11target_archE910ELNS1_3gpuE8ELNS1_3repE0EEENS1_30default_config_static_selectorELNS0_4arch9wavefront6targetE0EEEvT1_
                                        ; -- End function
	.set _ZN7rocprim17ROCPRIM_400000_NS6detail17trampoline_kernelINS0_14default_configENS1_27scan_by_key_config_selectorIidEEZZNS1_16scan_by_key_implILNS1_25lookback_scan_determinismE0ELb0ES3_N6thrust23THRUST_200600_302600_NS6detail15normal_iteratorINS9_10device_ptrIiEEEENSB_INSC_IdEEEESG_dNS9_4plusIvEENS9_8equal_toIvEEdEE10hipError_tPvRmT2_T3_T4_T5_mT6_T7_P12ihipStream_tbENKUlT_T0_E_clISt17integral_constantIbLb0EES10_IbLb1EEEEDaSW_SX_EUlSW_E_NS1_11comp_targetILNS1_3genE4ELNS1_11target_archE910ELNS1_3gpuE8ELNS1_3repE0EEENS1_30default_config_static_selectorELNS0_4arch9wavefront6targetE0EEEvT1_.num_vgpr, 0
	.set _ZN7rocprim17ROCPRIM_400000_NS6detail17trampoline_kernelINS0_14default_configENS1_27scan_by_key_config_selectorIidEEZZNS1_16scan_by_key_implILNS1_25lookback_scan_determinismE0ELb0ES3_N6thrust23THRUST_200600_302600_NS6detail15normal_iteratorINS9_10device_ptrIiEEEENSB_INSC_IdEEEESG_dNS9_4plusIvEENS9_8equal_toIvEEdEE10hipError_tPvRmT2_T3_T4_T5_mT6_T7_P12ihipStream_tbENKUlT_T0_E_clISt17integral_constantIbLb0EES10_IbLb1EEEEDaSW_SX_EUlSW_E_NS1_11comp_targetILNS1_3genE4ELNS1_11target_archE910ELNS1_3gpuE8ELNS1_3repE0EEENS1_30default_config_static_selectorELNS0_4arch9wavefront6targetE0EEEvT1_.num_agpr, 0
	.set _ZN7rocprim17ROCPRIM_400000_NS6detail17trampoline_kernelINS0_14default_configENS1_27scan_by_key_config_selectorIidEEZZNS1_16scan_by_key_implILNS1_25lookback_scan_determinismE0ELb0ES3_N6thrust23THRUST_200600_302600_NS6detail15normal_iteratorINS9_10device_ptrIiEEEENSB_INSC_IdEEEESG_dNS9_4plusIvEENS9_8equal_toIvEEdEE10hipError_tPvRmT2_T3_T4_T5_mT6_T7_P12ihipStream_tbENKUlT_T0_E_clISt17integral_constantIbLb0EES10_IbLb1EEEEDaSW_SX_EUlSW_E_NS1_11comp_targetILNS1_3genE4ELNS1_11target_archE910ELNS1_3gpuE8ELNS1_3repE0EEENS1_30default_config_static_selectorELNS0_4arch9wavefront6targetE0EEEvT1_.numbered_sgpr, 0
	.set _ZN7rocprim17ROCPRIM_400000_NS6detail17trampoline_kernelINS0_14default_configENS1_27scan_by_key_config_selectorIidEEZZNS1_16scan_by_key_implILNS1_25lookback_scan_determinismE0ELb0ES3_N6thrust23THRUST_200600_302600_NS6detail15normal_iteratorINS9_10device_ptrIiEEEENSB_INSC_IdEEEESG_dNS9_4plusIvEENS9_8equal_toIvEEdEE10hipError_tPvRmT2_T3_T4_T5_mT6_T7_P12ihipStream_tbENKUlT_T0_E_clISt17integral_constantIbLb0EES10_IbLb1EEEEDaSW_SX_EUlSW_E_NS1_11comp_targetILNS1_3genE4ELNS1_11target_archE910ELNS1_3gpuE8ELNS1_3repE0EEENS1_30default_config_static_selectorELNS0_4arch9wavefront6targetE0EEEvT1_.num_named_barrier, 0
	.set _ZN7rocprim17ROCPRIM_400000_NS6detail17trampoline_kernelINS0_14default_configENS1_27scan_by_key_config_selectorIidEEZZNS1_16scan_by_key_implILNS1_25lookback_scan_determinismE0ELb0ES3_N6thrust23THRUST_200600_302600_NS6detail15normal_iteratorINS9_10device_ptrIiEEEENSB_INSC_IdEEEESG_dNS9_4plusIvEENS9_8equal_toIvEEdEE10hipError_tPvRmT2_T3_T4_T5_mT6_T7_P12ihipStream_tbENKUlT_T0_E_clISt17integral_constantIbLb0EES10_IbLb1EEEEDaSW_SX_EUlSW_E_NS1_11comp_targetILNS1_3genE4ELNS1_11target_archE910ELNS1_3gpuE8ELNS1_3repE0EEENS1_30default_config_static_selectorELNS0_4arch9wavefront6targetE0EEEvT1_.private_seg_size, 0
	.set _ZN7rocprim17ROCPRIM_400000_NS6detail17trampoline_kernelINS0_14default_configENS1_27scan_by_key_config_selectorIidEEZZNS1_16scan_by_key_implILNS1_25lookback_scan_determinismE0ELb0ES3_N6thrust23THRUST_200600_302600_NS6detail15normal_iteratorINS9_10device_ptrIiEEEENSB_INSC_IdEEEESG_dNS9_4plusIvEENS9_8equal_toIvEEdEE10hipError_tPvRmT2_T3_T4_T5_mT6_T7_P12ihipStream_tbENKUlT_T0_E_clISt17integral_constantIbLb0EES10_IbLb1EEEEDaSW_SX_EUlSW_E_NS1_11comp_targetILNS1_3genE4ELNS1_11target_archE910ELNS1_3gpuE8ELNS1_3repE0EEENS1_30default_config_static_selectorELNS0_4arch9wavefront6targetE0EEEvT1_.uses_vcc, 0
	.set _ZN7rocprim17ROCPRIM_400000_NS6detail17trampoline_kernelINS0_14default_configENS1_27scan_by_key_config_selectorIidEEZZNS1_16scan_by_key_implILNS1_25lookback_scan_determinismE0ELb0ES3_N6thrust23THRUST_200600_302600_NS6detail15normal_iteratorINS9_10device_ptrIiEEEENSB_INSC_IdEEEESG_dNS9_4plusIvEENS9_8equal_toIvEEdEE10hipError_tPvRmT2_T3_T4_T5_mT6_T7_P12ihipStream_tbENKUlT_T0_E_clISt17integral_constantIbLb0EES10_IbLb1EEEEDaSW_SX_EUlSW_E_NS1_11comp_targetILNS1_3genE4ELNS1_11target_archE910ELNS1_3gpuE8ELNS1_3repE0EEENS1_30default_config_static_selectorELNS0_4arch9wavefront6targetE0EEEvT1_.uses_flat_scratch, 0
	.set _ZN7rocprim17ROCPRIM_400000_NS6detail17trampoline_kernelINS0_14default_configENS1_27scan_by_key_config_selectorIidEEZZNS1_16scan_by_key_implILNS1_25lookback_scan_determinismE0ELb0ES3_N6thrust23THRUST_200600_302600_NS6detail15normal_iteratorINS9_10device_ptrIiEEEENSB_INSC_IdEEEESG_dNS9_4plusIvEENS9_8equal_toIvEEdEE10hipError_tPvRmT2_T3_T4_T5_mT6_T7_P12ihipStream_tbENKUlT_T0_E_clISt17integral_constantIbLb0EES10_IbLb1EEEEDaSW_SX_EUlSW_E_NS1_11comp_targetILNS1_3genE4ELNS1_11target_archE910ELNS1_3gpuE8ELNS1_3repE0EEENS1_30default_config_static_selectorELNS0_4arch9wavefront6targetE0EEEvT1_.has_dyn_sized_stack, 0
	.set _ZN7rocprim17ROCPRIM_400000_NS6detail17trampoline_kernelINS0_14default_configENS1_27scan_by_key_config_selectorIidEEZZNS1_16scan_by_key_implILNS1_25lookback_scan_determinismE0ELb0ES3_N6thrust23THRUST_200600_302600_NS6detail15normal_iteratorINS9_10device_ptrIiEEEENSB_INSC_IdEEEESG_dNS9_4plusIvEENS9_8equal_toIvEEdEE10hipError_tPvRmT2_T3_T4_T5_mT6_T7_P12ihipStream_tbENKUlT_T0_E_clISt17integral_constantIbLb0EES10_IbLb1EEEEDaSW_SX_EUlSW_E_NS1_11comp_targetILNS1_3genE4ELNS1_11target_archE910ELNS1_3gpuE8ELNS1_3repE0EEENS1_30default_config_static_selectorELNS0_4arch9wavefront6targetE0EEEvT1_.has_recursion, 0
	.set _ZN7rocprim17ROCPRIM_400000_NS6detail17trampoline_kernelINS0_14default_configENS1_27scan_by_key_config_selectorIidEEZZNS1_16scan_by_key_implILNS1_25lookback_scan_determinismE0ELb0ES3_N6thrust23THRUST_200600_302600_NS6detail15normal_iteratorINS9_10device_ptrIiEEEENSB_INSC_IdEEEESG_dNS9_4plusIvEENS9_8equal_toIvEEdEE10hipError_tPvRmT2_T3_T4_T5_mT6_T7_P12ihipStream_tbENKUlT_T0_E_clISt17integral_constantIbLb0EES10_IbLb1EEEEDaSW_SX_EUlSW_E_NS1_11comp_targetILNS1_3genE4ELNS1_11target_archE910ELNS1_3gpuE8ELNS1_3repE0EEENS1_30default_config_static_selectorELNS0_4arch9wavefront6targetE0EEEvT1_.has_indirect_call, 0
	.section	.AMDGPU.csdata,"",@progbits
; Kernel info:
; codeLenInByte = 0
; TotalNumSgprs: 0
; NumVgprs: 0
; ScratchSize: 0
; MemoryBound: 0
; FloatMode: 240
; IeeeMode: 1
; LDSByteSize: 0 bytes/workgroup (compile time only)
; SGPRBlocks: 0
; VGPRBlocks: 0
; NumSGPRsForWavesPerEU: 1
; NumVGPRsForWavesPerEU: 1
; NamedBarCnt: 0
; Occupancy: 16
; WaveLimiterHint : 0
; COMPUTE_PGM_RSRC2:SCRATCH_EN: 0
; COMPUTE_PGM_RSRC2:USER_SGPR: 2
; COMPUTE_PGM_RSRC2:TRAP_HANDLER: 0
; COMPUTE_PGM_RSRC2:TGID_X_EN: 1
; COMPUTE_PGM_RSRC2:TGID_Y_EN: 0
; COMPUTE_PGM_RSRC2:TGID_Z_EN: 0
; COMPUTE_PGM_RSRC2:TIDIG_COMP_CNT: 0
	.section	.text._ZN7rocprim17ROCPRIM_400000_NS6detail17trampoline_kernelINS0_14default_configENS1_27scan_by_key_config_selectorIidEEZZNS1_16scan_by_key_implILNS1_25lookback_scan_determinismE0ELb0ES3_N6thrust23THRUST_200600_302600_NS6detail15normal_iteratorINS9_10device_ptrIiEEEENSB_INSC_IdEEEESG_dNS9_4plusIvEENS9_8equal_toIvEEdEE10hipError_tPvRmT2_T3_T4_T5_mT6_T7_P12ihipStream_tbENKUlT_T0_E_clISt17integral_constantIbLb0EES10_IbLb1EEEEDaSW_SX_EUlSW_E_NS1_11comp_targetILNS1_3genE3ELNS1_11target_archE908ELNS1_3gpuE7ELNS1_3repE0EEENS1_30default_config_static_selectorELNS0_4arch9wavefront6targetE0EEEvT1_,"axG",@progbits,_ZN7rocprim17ROCPRIM_400000_NS6detail17trampoline_kernelINS0_14default_configENS1_27scan_by_key_config_selectorIidEEZZNS1_16scan_by_key_implILNS1_25lookback_scan_determinismE0ELb0ES3_N6thrust23THRUST_200600_302600_NS6detail15normal_iteratorINS9_10device_ptrIiEEEENSB_INSC_IdEEEESG_dNS9_4plusIvEENS9_8equal_toIvEEdEE10hipError_tPvRmT2_T3_T4_T5_mT6_T7_P12ihipStream_tbENKUlT_T0_E_clISt17integral_constantIbLb0EES10_IbLb1EEEEDaSW_SX_EUlSW_E_NS1_11comp_targetILNS1_3genE3ELNS1_11target_archE908ELNS1_3gpuE7ELNS1_3repE0EEENS1_30default_config_static_selectorELNS0_4arch9wavefront6targetE0EEEvT1_,comdat
	.protected	_ZN7rocprim17ROCPRIM_400000_NS6detail17trampoline_kernelINS0_14default_configENS1_27scan_by_key_config_selectorIidEEZZNS1_16scan_by_key_implILNS1_25lookback_scan_determinismE0ELb0ES3_N6thrust23THRUST_200600_302600_NS6detail15normal_iteratorINS9_10device_ptrIiEEEENSB_INSC_IdEEEESG_dNS9_4plusIvEENS9_8equal_toIvEEdEE10hipError_tPvRmT2_T3_T4_T5_mT6_T7_P12ihipStream_tbENKUlT_T0_E_clISt17integral_constantIbLb0EES10_IbLb1EEEEDaSW_SX_EUlSW_E_NS1_11comp_targetILNS1_3genE3ELNS1_11target_archE908ELNS1_3gpuE7ELNS1_3repE0EEENS1_30default_config_static_selectorELNS0_4arch9wavefront6targetE0EEEvT1_ ; -- Begin function _ZN7rocprim17ROCPRIM_400000_NS6detail17trampoline_kernelINS0_14default_configENS1_27scan_by_key_config_selectorIidEEZZNS1_16scan_by_key_implILNS1_25lookback_scan_determinismE0ELb0ES3_N6thrust23THRUST_200600_302600_NS6detail15normal_iteratorINS9_10device_ptrIiEEEENSB_INSC_IdEEEESG_dNS9_4plusIvEENS9_8equal_toIvEEdEE10hipError_tPvRmT2_T3_T4_T5_mT6_T7_P12ihipStream_tbENKUlT_T0_E_clISt17integral_constantIbLb0EES10_IbLb1EEEEDaSW_SX_EUlSW_E_NS1_11comp_targetILNS1_3genE3ELNS1_11target_archE908ELNS1_3gpuE7ELNS1_3repE0EEENS1_30default_config_static_selectorELNS0_4arch9wavefront6targetE0EEEvT1_
	.globl	_ZN7rocprim17ROCPRIM_400000_NS6detail17trampoline_kernelINS0_14default_configENS1_27scan_by_key_config_selectorIidEEZZNS1_16scan_by_key_implILNS1_25lookback_scan_determinismE0ELb0ES3_N6thrust23THRUST_200600_302600_NS6detail15normal_iteratorINS9_10device_ptrIiEEEENSB_INSC_IdEEEESG_dNS9_4plusIvEENS9_8equal_toIvEEdEE10hipError_tPvRmT2_T3_T4_T5_mT6_T7_P12ihipStream_tbENKUlT_T0_E_clISt17integral_constantIbLb0EES10_IbLb1EEEEDaSW_SX_EUlSW_E_NS1_11comp_targetILNS1_3genE3ELNS1_11target_archE908ELNS1_3gpuE7ELNS1_3repE0EEENS1_30default_config_static_selectorELNS0_4arch9wavefront6targetE0EEEvT1_
	.p2align	8
	.type	_ZN7rocprim17ROCPRIM_400000_NS6detail17trampoline_kernelINS0_14default_configENS1_27scan_by_key_config_selectorIidEEZZNS1_16scan_by_key_implILNS1_25lookback_scan_determinismE0ELb0ES3_N6thrust23THRUST_200600_302600_NS6detail15normal_iteratorINS9_10device_ptrIiEEEENSB_INSC_IdEEEESG_dNS9_4plusIvEENS9_8equal_toIvEEdEE10hipError_tPvRmT2_T3_T4_T5_mT6_T7_P12ihipStream_tbENKUlT_T0_E_clISt17integral_constantIbLb0EES10_IbLb1EEEEDaSW_SX_EUlSW_E_NS1_11comp_targetILNS1_3genE3ELNS1_11target_archE908ELNS1_3gpuE7ELNS1_3repE0EEENS1_30default_config_static_selectorELNS0_4arch9wavefront6targetE0EEEvT1_,@function
_ZN7rocprim17ROCPRIM_400000_NS6detail17trampoline_kernelINS0_14default_configENS1_27scan_by_key_config_selectorIidEEZZNS1_16scan_by_key_implILNS1_25lookback_scan_determinismE0ELb0ES3_N6thrust23THRUST_200600_302600_NS6detail15normal_iteratorINS9_10device_ptrIiEEEENSB_INSC_IdEEEESG_dNS9_4plusIvEENS9_8equal_toIvEEdEE10hipError_tPvRmT2_T3_T4_T5_mT6_T7_P12ihipStream_tbENKUlT_T0_E_clISt17integral_constantIbLb0EES10_IbLb1EEEEDaSW_SX_EUlSW_E_NS1_11comp_targetILNS1_3genE3ELNS1_11target_archE908ELNS1_3gpuE7ELNS1_3repE0EEENS1_30default_config_static_selectorELNS0_4arch9wavefront6targetE0EEEvT1_: ; @_ZN7rocprim17ROCPRIM_400000_NS6detail17trampoline_kernelINS0_14default_configENS1_27scan_by_key_config_selectorIidEEZZNS1_16scan_by_key_implILNS1_25lookback_scan_determinismE0ELb0ES3_N6thrust23THRUST_200600_302600_NS6detail15normal_iteratorINS9_10device_ptrIiEEEENSB_INSC_IdEEEESG_dNS9_4plusIvEENS9_8equal_toIvEEdEE10hipError_tPvRmT2_T3_T4_T5_mT6_T7_P12ihipStream_tbENKUlT_T0_E_clISt17integral_constantIbLb0EES10_IbLb1EEEEDaSW_SX_EUlSW_E_NS1_11comp_targetILNS1_3genE3ELNS1_11target_archE908ELNS1_3gpuE7ELNS1_3repE0EEENS1_30default_config_static_selectorELNS0_4arch9wavefront6targetE0EEEvT1_
; %bb.0:
	.section	.rodata,"a",@progbits
	.p2align	6, 0x0
	.amdhsa_kernel _ZN7rocprim17ROCPRIM_400000_NS6detail17trampoline_kernelINS0_14default_configENS1_27scan_by_key_config_selectorIidEEZZNS1_16scan_by_key_implILNS1_25lookback_scan_determinismE0ELb0ES3_N6thrust23THRUST_200600_302600_NS6detail15normal_iteratorINS9_10device_ptrIiEEEENSB_INSC_IdEEEESG_dNS9_4plusIvEENS9_8equal_toIvEEdEE10hipError_tPvRmT2_T3_T4_T5_mT6_T7_P12ihipStream_tbENKUlT_T0_E_clISt17integral_constantIbLb0EES10_IbLb1EEEEDaSW_SX_EUlSW_E_NS1_11comp_targetILNS1_3genE3ELNS1_11target_archE908ELNS1_3gpuE7ELNS1_3repE0EEENS1_30default_config_static_selectorELNS0_4arch9wavefront6targetE0EEEvT1_
		.amdhsa_group_segment_fixed_size 0
		.amdhsa_private_segment_fixed_size 0
		.amdhsa_kernarg_size 136
		.amdhsa_user_sgpr_count 2
		.amdhsa_user_sgpr_dispatch_ptr 0
		.amdhsa_user_sgpr_queue_ptr 0
		.amdhsa_user_sgpr_kernarg_segment_ptr 1
		.amdhsa_user_sgpr_dispatch_id 0
		.amdhsa_user_sgpr_kernarg_preload_length 0
		.amdhsa_user_sgpr_kernarg_preload_offset 0
		.amdhsa_user_sgpr_private_segment_size 0
		.amdhsa_wavefront_size32 1
		.amdhsa_uses_dynamic_stack 0
		.amdhsa_enable_private_segment 0
		.amdhsa_system_sgpr_workgroup_id_x 1
		.amdhsa_system_sgpr_workgroup_id_y 0
		.amdhsa_system_sgpr_workgroup_id_z 0
		.amdhsa_system_sgpr_workgroup_info 0
		.amdhsa_system_vgpr_workitem_id 0
		.amdhsa_next_free_vgpr 1
		.amdhsa_next_free_sgpr 1
		.amdhsa_named_barrier_count 0
		.amdhsa_reserve_vcc 0
		.amdhsa_float_round_mode_32 0
		.amdhsa_float_round_mode_16_64 0
		.amdhsa_float_denorm_mode_32 3
		.amdhsa_float_denorm_mode_16_64 3
		.amdhsa_fp16_overflow 0
		.amdhsa_memory_ordered 1
		.amdhsa_forward_progress 1
		.amdhsa_inst_pref_size 0
		.amdhsa_round_robin_scheduling 0
		.amdhsa_exception_fp_ieee_invalid_op 0
		.amdhsa_exception_fp_denorm_src 0
		.amdhsa_exception_fp_ieee_div_zero 0
		.amdhsa_exception_fp_ieee_overflow 0
		.amdhsa_exception_fp_ieee_underflow 0
		.amdhsa_exception_fp_ieee_inexact 0
		.amdhsa_exception_int_div_zero 0
	.end_amdhsa_kernel
	.section	.text._ZN7rocprim17ROCPRIM_400000_NS6detail17trampoline_kernelINS0_14default_configENS1_27scan_by_key_config_selectorIidEEZZNS1_16scan_by_key_implILNS1_25lookback_scan_determinismE0ELb0ES3_N6thrust23THRUST_200600_302600_NS6detail15normal_iteratorINS9_10device_ptrIiEEEENSB_INSC_IdEEEESG_dNS9_4plusIvEENS9_8equal_toIvEEdEE10hipError_tPvRmT2_T3_T4_T5_mT6_T7_P12ihipStream_tbENKUlT_T0_E_clISt17integral_constantIbLb0EES10_IbLb1EEEEDaSW_SX_EUlSW_E_NS1_11comp_targetILNS1_3genE3ELNS1_11target_archE908ELNS1_3gpuE7ELNS1_3repE0EEENS1_30default_config_static_selectorELNS0_4arch9wavefront6targetE0EEEvT1_,"axG",@progbits,_ZN7rocprim17ROCPRIM_400000_NS6detail17trampoline_kernelINS0_14default_configENS1_27scan_by_key_config_selectorIidEEZZNS1_16scan_by_key_implILNS1_25lookback_scan_determinismE0ELb0ES3_N6thrust23THRUST_200600_302600_NS6detail15normal_iteratorINS9_10device_ptrIiEEEENSB_INSC_IdEEEESG_dNS9_4plusIvEENS9_8equal_toIvEEdEE10hipError_tPvRmT2_T3_T4_T5_mT6_T7_P12ihipStream_tbENKUlT_T0_E_clISt17integral_constantIbLb0EES10_IbLb1EEEEDaSW_SX_EUlSW_E_NS1_11comp_targetILNS1_3genE3ELNS1_11target_archE908ELNS1_3gpuE7ELNS1_3repE0EEENS1_30default_config_static_selectorELNS0_4arch9wavefront6targetE0EEEvT1_,comdat
.Lfunc_end1122:
	.size	_ZN7rocprim17ROCPRIM_400000_NS6detail17trampoline_kernelINS0_14default_configENS1_27scan_by_key_config_selectorIidEEZZNS1_16scan_by_key_implILNS1_25lookback_scan_determinismE0ELb0ES3_N6thrust23THRUST_200600_302600_NS6detail15normal_iteratorINS9_10device_ptrIiEEEENSB_INSC_IdEEEESG_dNS9_4plusIvEENS9_8equal_toIvEEdEE10hipError_tPvRmT2_T3_T4_T5_mT6_T7_P12ihipStream_tbENKUlT_T0_E_clISt17integral_constantIbLb0EES10_IbLb1EEEEDaSW_SX_EUlSW_E_NS1_11comp_targetILNS1_3genE3ELNS1_11target_archE908ELNS1_3gpuE7ELNS1_3repE0EEENS1_30default_config_static_selectorELNS0_4arch9wavefront6targetE0EEEvT1_, .Lfunc_end1122-_ZN7rocprim17ROCPRIM_400000_NS6detail17trampoline_kernelINS0_14default_configENS1_27scan_by_key_config_selectorIidEEZZNS1_16scan_by_key_implILNS1_25lookback_scan_determinismE0ELb0ES3_N6thrust23THRUST_200600_302600_NS6detail15normal_iteratorINS9_10device_ptrIiEEEENSB_INSC_IdEEEESG_dNS9_4plusIvEENS9_8equal_toIvEEdEE10hipError_tPvRmT2_T3_T4_T5_mT6_T7_P12ihipStream_tbENKUlT_T0_E_clISt17integral_constantIbLb0EES10_IbLb1EEEEDaSW_SX_EUlSW_E_NS1_11comp_targetILNS1_3genE3ELNS1_11target_archE908ELNS1_3gpuE7ELNS1_3repE0EEENS1_30default_config_static_selectorELNS0_4arch9wavefront6targetE0EEEvT1_
                                        ; -- End function
	.set _ZN7rocprim17ROCPRIM_400000_NS6detail17trampoline_kernelINS0_14default_configENS1_27scan_by_key_config_selectorIidEEZZNS1_16scan_by_key_implILNS1_25lookback_scan_determinismE0ELb0ES3_N6thrust23THRUST_200600_302600_NS6detail15normal_iteratorINS9_10device_ptrIiEEEENSB_INSC_IdEEEESG_dNS9_4plusIvEENS9_8equal_toIvEEdEE10hipError_tPvRmT2_T3_T4_T5_mT6_T7_P12ihipStream_tbENKUlT_T0_E_clISt17integral_constantIbLb0EES10_IbLb1EEEEDaSW_SX_EUlSW_E_NS1_11comp_targetILNS1_3genE3ELNS1_11target_archE908ELNS1_3gpuE7ELNS1_3repE0EEENS1_30default_config_static_selectorELNS0_4arch9wavefront6targetE0EEEvT1_.num_vgpr, 0
	.set _ZN7rocprim17ROCPRIM_400000_NS6detail17trampoline_kernelINS0_14default_configENS1_27scan_by_key_config_selectorIidEEZZNS1_16scan_by_key_implILNS1_25lookback_scan_determinismE0ELb0ES3_N6thrust23THRUST_200600_302600_NS6detail15normal_iteratorINS9_10device_ptrIiEEEENSB_INSC_IdEEEESG_dNS9_4plusIvEENS9_8equal_toIvEEdEE10hipError_tPvRmT2_T3_T4_T5_mT6_T7_P12ihipStream_tbENKUlT_T0_E_clISt17integral_constantIbLb0EES10_IbLb1EEEEDaSW_SX_EUlSW_E_NS1_11comp_targetILNS1_3genE3ELNS1_11target_archE908ELNS1_3gpuE7ELNS1_3repE0EEENS1_30default_config_static_selectorELNS0_4arch9wavefront6targetE0EEEvT1_.num_agpr, 0
	.set _ZN7rocprim17ROCPRIM_400000_NS6detail17trampoline_kernelINS0_14default_configENS1_27scan_by_key_config_selectorIidEEZZNS1_16scan_by_key_implILNS1_25lookback_scan_determinismE0ELb0ES3_N6thrust23THRUST_200600_302600_NS6detail15normal_iteratorINS9_10device_ptrIiEEEENSB_INSC_IdEEEESG_dNS9_4plusIvEENS9_8equal_toIvEEdEE10hipError_tPvRmT2_T3_T4_T5_mT6_T7_P12ihipStream_tbENKUlT_T0_E_clISt17integral_constantIbLb0EES10_IbLb1EEEEDaSW_SX_EUlSW_E_NS1_11comp_targetILNS1_3genE3ELNS1_11target_archE908ELNS1_3gpuE7ELNS1_3repE0EEENS1_30default_config_static_selectorELNS0_4arch9wavefront6targetE0EEEvT1_.numbered_sgpr, 0
	.set _ZN7rocprim17ROCPRIM_400000_NS6detail17trampoline_kernelINS0_14default_configENS1_27scan_by_key_config_selectorIidEEZZNS1_16scan_by_key_implILNS1_25lookback_scan_determinismE0ELb0ES3_N6thrust23THRUST_200600_302600_NS6detail15normal_iteratorINS9_10device_ptrIiEEEENSB_INSC_IdEEEESG_dNS9_4plusIvEENS9_8equal_toIvEEdEE10hipError_tPvRmT2_T3_T4_T5_mT6_T7_P12ihipStream_tbENKUlT_T0_E_clISt17integral_constantIbLb0EES10_IbLb1EEEEDaSW_SX_EUlSW_E_NS1_11comp_targetILNS1_3genE3ELNS1_11target_archE908ELNS1_3gpuE7ELNS1_3repE0EEENS1_30default_config_static_selectorELNS0_4arch9wavefront6targetE0EEEvT1_.num_named_barrier, 0
	.set _ZN7rocprim17ROCPRIM_400000_NS6detail17trampoline_kernelINS0_14default_configENS1_27scan_by_key_config_selectorIidEEZZNS1_16scan_by_key_implILNS1_25lookback_scan_determinismE0ELb0ES3_N6thrust23THRUST_200600_302600_NS6detail15normal_iteratorINS9_10device_ptrIiEEEENSB_INSC_IdEEEESG_dNS9_4plusIvEENS9_8equal_toIvEEdEE10hipError_tPvRmT2_T3_T4_T5_mT6_T7_P12ihipStream_tbENKUlT_T0_E_clISt17integral_constantIbLb0EES10_IbLb1EEEEDaSW_SX_EUlSW_E_NS1_11comp_targetILNS1_3genE3ELNS1_11target_archE908ELNS1_3gpuE7ELNS1_3repE0EEENS1_30default_config_static_selectorELNS0_4arch9wavefront6targetE0EEEvT1_.private_seg_size, 0
	.set _ZN7rocprim17ROCPRIM_400000_NS6detail17trampoline_kernelINS0_14default_configENS1_27scan_by_key_config_selectorIidEEZZNS1_16scan_by_key_implILNS1_25lookback_scan_determinismE0ELb0ES3_N6thrust23THRUST_200600_302600_NS6detail15normal_iteratorINS9_10device_ptrIiEEEENSB_INSC_IdEEEESG_dNS9_4plusIvEENS9_8equal_toIvEEdEE10hipError_tPvRmT2_T3_T4_T5_mT6_T7_P12ihipStream_tbENKUlT_T0_E_clISt17integral_constantIbLb0EES10_IbLb1EEEEDaSW_SX_EUlSW_E_NS1_11comp_targetILNS1_3genE3ELNS1_11target_archE908ELNS1_3gpuE7ELNS1_3repE0EEENS1_30default_config_static_selectorELNS0_4arch9wavefront6targetE0EEEvT1_.uses_vcc, 0
	.set _ZN7rocprim17ROCPRIM_400000_NS6detail17trampoline_kernelINS0_14default_configENS1_27scan_by_key_config_selectorIidEEZZNS1_16scan_by_key_implILNS1_25lookback_scan_determinismE0ELb0ES3_N6thrust23THRUST_200600_302600_NS6detail15normal_iteratorINS9_10device_ptrIiEEEENSB_INSC_IdEEEESG_dNS9_4plusIvEENS9_8equal_toIvEEdEE10hipError_tPvRmT2_T3_T4_T5_mT6_T7_P12ihipStream_tbENKUlT_T0_E_clISt17integral_constantIbLb0EES10_IbLb1EEEEDaSW_SX_EUlSW_E_NS1_11comp_targetILNS1_3genE3ELNS1_11target_archE908ELNS1_3gpuE7ELNS1_3repE0EEENS1_30default_config_static_selectorELNS0_4arch9wavefront6targetE0EEEvT1_.uses_flat_scratch, 0
	.set _ZN7rocprim17ROCPRIM_400000_NS6detail17trampoline_kernelINS0_14default_configENS1_27scan_by_key_config_selectorIidEEZZNS1_16scan_by_key_implILNS1_25lookback_scan_determinismE0ELb0ES3_N6thrust23THRUST_200600_302600_NS6detail15normal_iteratorINS9_10device_ptrIiEEEENSB_INSC_IdEEEESG_dNS9_4plusIvEENS9_8equal_toIvEEdEE10hipError_tPvRmT2_T3_T4_T5_mT6_T7_P12ihipStream_tbENKUlT_T0_E_clISt17integral_constantIbLb0EES10_IbLb1EEEEDaSW_SX_EUlSW_E_NS1_11comp_targetILNS1_3genE3ELNS1_11target_archE908ELNS1_3gpuE7ELNS1_3repE0EEENS1_30default_config_static_selectorELNS0_4arch9wavefront6targetE0EEEvT1_.has_dyn_sized_stack, 0
	.set _ZN7rocprim17ROCPRIM_400000_NS6detail17trampoline_kernelINS0_14default_configENS1_27scan_by_key_config_selectorIidEEZZNS1_16scan_by_key_implILNS1_25lookback_scan_determinismE0ELb0ES3_N6thrust23THRUST_200600_302600_NS6detail15normal_iteratorINS9_10device_ptrIiEEEENSB_INSC_IdEEEESG_dNS9_4plusIvEENS9_8equal_toIvEEdEE10hipError_tPvRmT2_T3_T4_T5_mT6_T7_P12ihipStream_tbENKUlT_T0_E_clISt17integral_constantIbLb0EES10_IbLb1EEEEDaSW_SX_EUlSW_E_NS1_11comp_targetILNS1_3genE3ELNS1_11target_archE908ELNS1_3gpuE7ELNS1_3repE0EEENS1_30default_config_static_selectorELNS0_4arch9wavefront6targetE0EEEvT1_.has_recursion, 0
	.set _ZN7rocprim17ROCPRIM_400000_NS6detail17trampoline_kernelINS0_14default_configENS1_27scan_by_key_config_selectorIidEEZZNS1_16scan_by_key_implILNS1_25lookback_scan_determinismE0ELb0ES3_N6thrust23THRUST_200600_302600_NS6detail15normal_iteratorINS9_10device_ptrIiEEEENSB_INSC_IdEEEESG_dNS9_4plusIvEENS9_8equal_toIvEEdEE10hipError_tPvRmT2_T3_T4_T5_mT6_T7_P12ihipStream_tbENKUlT_T0_E_clISt17integral_constantIbLb0EES10_IbLb1EEEEDaSW_SX_EUlSW_E_NS1_11comp_targetILNS1_3genE3ELNS1_11target_archE908ELNS1_3gpuE7ELNS1_3repE0EEENS1_30default_config_static_selectorELNS0_4arch9wavefront6targetE0EEEvT1_.has_indirect_call, 0
	.section	.AMDGPU.csdata,"",@progbits
; Kernel info:
; codeLenInByte = 0
; TotalNumSgprs: 0
; NumVgprs: 0
; ScratchSize: 0
; MemoryBound: 0
; FloatMode: 240
; IeeeMode: 1
; LDSByteSize: 0 bytes/workgroup (compile time only)
; SGPRBlocks: 0
; VGPRBlocks: 0
; NumSGPRsForWavesPerEU: 1
; NumVGPRsForWavesPerEU: 1
; NamedBarCnt: 0
; Occupancy: 16
; WaveLimiterHint : 0
; COMPUTE_PGM_RSRC2:SCRATCH_EN: 0
; COMPUTE_PGM_RSRC2:USER_SGPR: 2
; COMPUTE_PGM_RSRC2:TRAP_HANDLER: 0
; COMPUTE_PGM_RSRC2:TGID_X_EN: 1
; COMPUTE_PGM_RSRC2:TGID_Y_EN: 0
; COMPUTE_PGM_RSRC2:TGID_Z_EN: 0
; COMPUTE_PGM_RSRC2:TIDIG_COMP_CNT: 0
	.section	.text._ZN7rocprim17ROCPRIM_400000_NS6detail17trampoline_kernelINS0_14default_configENS1_27scan_by_key_config_selectorIidEEZZNS1_16scan_by_key_implILNS1_25lookback_scan_determinismE0ELb0ES3_N6thrust23THRUST_200600_302600_NS6detail15normal_iteratorINS9_10device_ptrIiEEEENSB_INSC_IdEEEESG_dNS9_4plusIvEENS9_8equal_toIvEEdEE10hipError_tPvRmT2_T3_T4_T5_mT6_T7_P12ihipStream_tbENKUlT_T0_E_clISt17integral_constantIbLb0EES10_IbLb1EEEEDaSW_SX_EUlSW_E_NS1_11comp_targetILNS1_3genE2ELNS1_11target_archE906ELNS1_3gpuE6ELNS1_3repE0EEENS1_30default_config_static_selectorELNS0_4arch9wavefront6targetE0EEEvT1_,"axG",@progbits,_ZN7rocprim17ROCPRIM_400000_NS6detail17trampoline_kernelINS0_14default_configENS1_27scan_by_key_config_selectorIidEEZZNS1_16scan_by_key_implILNS1_25lookback_scan_determinismE0ELb0ES3_N6thrust23THRUST_200600_302600_NS6detail15normal_iteratorINS9_10device_ptrIiEEEENSB_INSC_IdEEEESG_dNS9_4plusIvEENS9_8equal_toIvEEdEE10hipError_tPvRmT2_T3_T4_T5_mT6_T7_P12ihipStream_tbENKUlT_T0_E_clISt17integral_constantIbLb0EES10_IbLb1EEEEDaSW_SX_EUlSW_E_NS1_11comp_targetILNS1_3genE2ELNS1_11target_archE906ELNS1_3gpuE6ELNS1_3repE0EEENS1_30default_config_static_selectorELNS0_4arch9wavefront6targetE0EEEvT1_,comdat
	.protected	_ZN7rocprim17ROCPRIM_400000_NS6detail17trampoline_kernelINS0_14default_configENS1_27scan_by_key_config_selectorIidEEZZNS1_16scan_by_key_implILNS1_25lookback_scan_determinismE0ELb0ES3_N6thrust23THRUST_200600_302600_NS6detail15normal_iteratorINS9_10device_ptrIiEEEENSB_INSC_IdEEEESG_dNS9_4plusIvEENS9_8equal_toIvEEdEE10hipError_tPvRmT2_T3_T4_T5_mT6_T7_P12ihipStream_tbENKUlT_T0_E_clISt17integral_constantIbLb0EES10_IbLb1EEEEDaSW_SX_EUlSW_E_NS1_11comp_targetILNS1_3genE2ELNS1_11target_archE906ELNS1_3gpuE6ELNS1_3repE0EEENS1_30default_config_static_selectorELNS0_4arch9wavefront6targetE0EEEvT1_ ; -- Begin function _ZN7rocprim17ROCPRIM_400000_NS6detail17trampoline_kernelINS0_14default_configENS1_27scan_by_key_config_selectorIidEEZZNS1_16scan_by_key_implILNS1_25lookback_scan_determinismE0ELb0ES3_N6thrust23THRUST_200600_302600_NS6detail15normal_iteratorINS9_10device_ptrIiEEEENSB_INSC_IdEEEESG_dNS9_4plusIvEENS9_8equal_toIvEEdEE10hipError_tPvRmT2_T3_T4_T5_mT6_T7_P12ihipStream_tbENKUlT_T0_E_clISt17integral_constantIbLb0EES10_IbLb1EEEEDaSW_SX_EUlSW_E_NS1_11comp_targetILNS1_3genE2ELNS1_11target_archE906ELNS1_3gpuE6ELNS1_3repE0EEENS1_30default_config_static_selectorELNS0_4arch9wavefront6targetE0EEEvT1_
	.globl	_ZN7rocprim17ROCPRIM_400000_NS6detail17trampoline_kernelINS0_14default_configENS1_27scan_by_key_config_selectorIidEEZZNS1_16scan_by_key_implILNS1_25lookback_scan_determinismE0ELb0ES3_N6thrust23THRUST_200600_302600_NS6detail15normal_iteratorINS9_10device_ptrIiEEEENSB_INSC_IdEEEESG_dNS9_4plusIvEENS9_8equal_toIvEEdEE10hipError_tPvRmT2_T3_T4_T5_mT6_T7_P12ihipStream_tbENKUlT_T0_E_clISt17integral_constantIbLb0EES10_IbLb1EEEEDaSW_SX_EUlSW_E_NS1_11comp_targetILNS1_3genE2ELNS1_11target_archE906ELNS1_3gpuE6ELNS1_3repE0EEENS1_30default_config_static_selectorELNS0_4arch9wavefront6targetE0EEEvT1_
	.p2align	8
	.type	_ZN7rocprim17ROCPRIM_400000_NS6detail17trampoline_kernelINS0_14default_configENS1_27scan_by_key_config_selectorIidEEZZNS1_16scan_by_key_implILNS1_25lookback_scan_determinismE0ELb0ES3_N6thrust23THRUST_200600_302600_NS6detail15normal_iteratorINS9_10device_ptrIiEEEENSB_INSC_IdEEEESG_dNS9_4plusIvEENS9_8equal_toIvEEdEE10hipError_tPvRmT2_T3_T4_T5_mT6_T7_P12ihipStream_tbENKUlT_T0_E_clISt17integral_constantIbLb0EES10_IbLb1EEEEDaSW_SX_EUlSW_E_NS1_11comp_targetILNS1_3genE2ELNS1_11target_archE906ELNS1_3gpuE6ELNS1_3repE0EEENS1_30default_config_static_selectorELNS0_4arch9wavefront6targetE0EEEvT1_,@function
_ZN7rocprim17ROCPRIM_400000_NS6detail17trampoline_kernelINS0_14default_configENS1_27scan_by_key_config_selectorIidEEZZNS1_16scan_by_key_implILNS1_25lookback_scan_determinismE0ELb0ES3_N6thrust23THRUST_200600_302600_NS6detail15normal_iteratorINS9_10device_ptrIiEEEENSB_INSC_IdEEEESG_dNS9_4plusIvEENS9_8equal_toIvEEdEE10hipError_tPvRmT2_T3_T4_T5_mT6_T7_P12ihipStream_tbENKUlT_T0_E_clISt17integral_constantIbLb0EES10_IbLb1EEEEDaSW_SX_EUlSW_E_NS1_11comp_targetILNS1_3genE2ELNS1_11target_archE906ELNS1_3gpuE6ELNS1_3repE0EEENS1_30default_config_static_selectorELNS0_4arch9wavefront6targetE0EEEvT1_: ; @_ZN7rocprim17ROCPRIM_400000_NS6detail17trampoline_kernelINS0_14default_configENS1_27scan_by_key_config_selectorIidEEZZNS1_16scan_by_key_implILNS1_25lookback_scan_determinismE0ELb0ES3_N6thrust23THRUST_200600_302600_NS6detail15normal_iteratorINS9_10device_ptrIiEEEENSB_INSC_IdEEEESG_dNS9_4plusIvEENS9_8equal_toIvEEdEE10hipError_tPvRmT2_T3_T4_T5_mT6_T7_P12ihipStream_tbENKUlT_T0_E_clISt17integral_constantIbLb0EES10_IbLb1EEEEDaSW_SX_EUlSW_E_NS1_11comp_targetILNS1_3genE2ELNS1_11target_archE906ELNS1_3gpuE6ELNS1_3repE0EEENS1_30default_config_static_selectorELNS0_4arch9wavefront6targetE0EEEvT1_
; %bb.0:
	.section	.rodata,"a",@progbits
	.p2align	6, 0x0
	.amdhsa_kernel _ZN7rocprim17ROCPRIM_400000_NS6detail17trampoline_kernelINS0_14default_configENS1_27scan_by_key_config_selectorIidEEZZNS1_16scan_by_key_implILNS1_25lookback_scan_determinismE0ELb0ES3_N6thrust23THRUST_200600_302600_NS6detail15normal_iteratorINS9_10device_ptrIiEEEENSB_INSC_IdEEEESG_dNS9_4plusIvEENS9_8equal_toIvEEdEE10hipError_tPvRmT2_T3_T4_T5_mT6_T7_P12ihipStream_tbENKUlT_T0_E_clISt17integral_constantIbLb0EES10_IbLb1EEEEDaSW_SX_EUlSW_E_NS1_11comp_targetILNS1_3genE2ELNS1_11target_archE906ELNS1_3gpuE6ELNS1_3repE0EEENS1_30default_config_static_selectorELNS0_4arch9wavefront6targetE0EEEvT1_
		.amdhsa_group_segment_fixed_size 0
		.amdhsa_private_segment_fixed_size 0
		.amdhsa_kernarg_size 136
		.amdhsa_user_sgpr_count 2
		.amdhsa_user_sgpr_dispatch_ptr 0
		.amdhsa_user_sgpr_queue_ptr 0
		.amdhsa_user_sgpr_kernarg_segment_ptr 1
		.amdhsa_user_sgpr_dispatch_id 0
		.amdhsa_user_sgpr_kernarg_preload_length 0
		.amdhsa_user_sgpr_kernarg_preload_offset 0
		.amdhsa_user_sgpr_private_segment_size 0
		.amdhsa_wavefront_size32 1
		.amdhsa_uses_dynamic_stack 0
		.amdhsa_enable_private_segment 0
		.amdhsa_system_sgpr_workgroup_id_x 1
		.amdhsa_system_sgpr_workgroup_id_y 0
		.amdhsa_system_sgpr_workgroup_id_z 0
		.amdhsa_system_sgpr_workgroup_info 0
		.amdhsa_system_vgpr_workitem_id 0
		.amdhsa_next_free_vgpr 1
		.amdhsa_next_free_sgpr 1
		.amdhsa_named_barrier_count 0
		.amdhsa_reserve_vcc 0
		.amdhsa_float_round_mode_32 0
		.amdhsa_float_round_mode_16_64 0
		.amdhsa_float_denorm_mode_32 3
		.amdhsa_float_denorm_mode_16_64 3
		.amdhsa_fp16_overflow 0
		.amdhsa_memory_ordered 1
		.amdhsa_forward_progress 1
		.amdhsa_inst_pref_size 0
		.amdhsa_round_robin_scheduling 0
		.amdhsa_exception_fp_ieee_invalid_op 0
		.amdhsa_exception_fp_denorm_src 0
		.amdhsa_exception_fp_ieee_div_zero 0
		.amdhsa_exception_fp_ieee_overflow 0
		.amdhsa_exception_fp_ieee_underflow 0
		.amdhsa_exception_fp_ieee_inexact 0
		.amdhsa_exception_int_div_zero 0
	.end_amdhsa_kernel
	.section	.text._ZN7rocprim17ROCPRIM_400000_NS6detail17trampoline_kernelINS0_14default_configENS1_27scan_by_key_config_selectorIidEEZZNS1_16scan_by_key_implILNS1_25lookback_scan_determinismE0ELb0ES3_N6thrust23THRUST_200600_302600_NS6detail15normal_iteratorINS9_10device_ptrIiEEEENSB_INSC_IdEEEESG_dNS9_4plusIvEENS9_8equal_toIvEEdEE10hipError_tPvRmT2_T3_T4_T5_mT6_T7_P12ihipStream_tbENKUlT_T0_E_clISt17integral_constantIbLb0EES10_IbLb1EEEEDaSW_SX_EUlSW_E_NS1_11comp_targetILNS1_3genE2ELNS1_11target_archE906ELNS1_3gpuE6ELNS1_3repE0EEENS1_30default_config_static_selectorELNS0_4arch9wavefront6targetE0EEEvT1_,"axG",@progbits,_ZN7rocprim17ROCPRIM_400000_NS6detail17trampoline_kernelINS0_14default_configENS1_27scan_by_key_config_selectorIidEEZZNS1_16scan_by_key_implILNS1_25lookback_scan_determinismE0ELb0ES3_N6thrust23THRUST_200600_302600_NS6detail15normal_iteratorINS9_10device_ptrIiEEEENSB_INSC_IdEEEESG_dNS9_4plusIvEENS9_8equal_toIvEEdEE10hipError_tPvRmT2_T3_T4_T5_mT6_T7_P12ihipStream_tbENKUlT_T0_E_clISt17integral_constantIbLb0EES10_IbLb1EEEEDaSW_SX_EUlSW_E_NS1_11comp_targetILNS1_3genE2ELNS1_11target_archE906ELNS1_3gpuE6ELNS1_3repE0EEENS1_30default_config_static_selectorELNS0_4arch9wavefront6targetE0EEEvT1_,comdat
.Lfunc_end1123:
	.size	_ZN7rocprim17ROCPRIM_400000_NS6detail17trampoline_kernelINS0_14default_configENS1_27scan_by_key_config_selectorIidEEZZNS1_16scan_by_key_implILNS1_25lookback_scan_determinismE0ELb0ES3_N6thrust23THRUST_200600_302600_NS6detail15normal_iteratorINS9_10device_ptrIiEEEENSB_INSC_IdEEEESG_dNS9_4plusIvEENS9_8equal_toIvEEdEE10hipError_tPvRmT2_T3_T4_T5_mT6_T7_P12ihipStream_tbENKUlT_T0_E_clISt17integral_constantIbLb0EES10_IbLb1EEEEDaSW_SX_EUlSW_E_NS1_11comp_targetILNS1_3genE2ELNS1_11target_archE906ELNS1_3gpuE6ELNS1_3repE0EEENS1_30default_config_static_selectorELNS0_4arch9wavefront6targetE0EEEvT1_, .Lfunc_end1123-_ZN7rocprim17ROCPRIM_400000_NS6detail17trampoline_kernelINS0_14default_configENS1_27scan_by_key_config_selectorIidEEZZNS1_16scan_by_key_implILNS1_25lookback_scan_determinismE0ELb0ES3_N6thrust23THRUST_200600_302600_NS6detail15normal_iteratorINS9_10device_ptrIiEEEENSB_INSC_IdEEEESG_dNS9_4plusIvEENS9_8equal_toIvEEdEE10hipError_tPvRmT2_T3_T4_T5_mT6_T7_P12ihipStream_tbENKUlT_T0_E_clISt17integral_constantIbLb0EES10_IbLb1EEEEDaSW_SX_EUlSW_E_NS1_11comp_targetILNS1_3genE2ELNS1_11target_archE906ELNS1_3gpuE6ELNS1_3repE0EEENS1_30default_config_static_selectorELNS0_4arch9wavefront6targetE0EEEvT1_
                                        ; -- End function
	.set _ZN7rocprim17ROCPRIM_400000_NS6detail17trampoline_kernelINS0_14default_configENS1_27scan_by_key_config_selectorIidEEZZNS1_16scan_by_key_implILNS1_25lookback_scan_determinismE0ELb0ES3_N6thrust23THRUST_200600_302600_NS6detail15normal_iteratorINS9_10device_ptrIiEEEENSB_INSC_IdEEEESG_dNS9_4plusIvEENS9_8equal_toIvEEdEE10hipError_tPvRmT2_T3_T4_T5_mT6_T7_P12ihipStream_tbENKUlT_T0_E_clISt17integral_constantIbLb0EES10_IbLb1EEEEDaSW_SX_EUlSW_E_NS1_11comp_targetILNS1_3genE2ELNS1_11target_archE906ELNS1_3gpuE6ELNS1_3repE0EEENS1_30default_config_static_selectorELNS0_4arch9wavefront6targetE0EEEvT1_.num_vgpr, 0
	.set _ZN7rocprim17ROCPRIM_400000_NS6detail17trampoline_kernelINS0_14default_configENS1_27scan_by_key_config_selectorIidEEZZNS1_16scan_by_key_implILNS1_25lookback_scan_determinismE0ELb0ES3_N6thrust23THRUST_200600_302600_NS6detail15normal_iteratorINS9_10device_ptrIiEEEENSB_INSC_IdEEEESG_dNS9_4plusIvEENS9_8equal_toIvEEdEE10hipError_tPvRmT2_T3_T4_T5_mT6_T7_P12ihipStream_tbENKUlT_T0_E_clISt17integral_constantIbLb0EES10_IbLb1EEEEDaSW_SX_EUlSW_E_NS1_11comp_targetILNS1_3genE2ELNS1_11target_archE906ELNS1_3gpuE6ELNS1_3repE0EEENS1_30default_config_static_selectorELNS0_4arch9wavefront6targetE0EEEvT1_.num_agpr, 0
	.set _ZN7rocprim17ROCPRIM_400000_NS6detail17trampoline_kernelINS0_14default_configENS1_27scan_by_key_config_selectorIidEEZZNS1_16scan_by_key_implILNS1_25lookback_scan_determinismE0ELb0ES3_N6thrust23THRUST_200600_302600_NS6detail15normal_iteratorINS9_10device_ptrIiEEEENSB_INSC_IdEEEESG_dNS9_4plusIvEENS9_8equal_toIvEEdEE10hipError_tPvRmT2_T3_T4_T5_mT6_T7_P12ihipStream_tbENKUlT_T0_E_clISt17integral_constantIbLb0EES10_IbLb1EEEEDaSW_SX_EUlSW_E_NS1_11comp_targetILNS1_3genE2ELNS1_11target_archE906ELNS1_3gpuE6ELNS1_3repE0EEENS1_30default_config_static_selectorELNS0_4arch9wavefront6targetE0EEEvT1_.numbered_sgpr, 0
	.set _ZN7rocprim17ROCPRIM_400000_NS6detail17trampoline_kernelINS0_14default_configENS1_27scan_by_key_config_selectorIidEEZZNS1_16scan_by_key_implILNS1_25lookback_scan_determinismE0ELb0ES3_N6thrust23THRUST_200600_302600_NS6detail15normal_iteratorINS9_10device_ptrIiEEEENSB_INSC_IdEEEESG_dNS9_4plusIvEENS9_8equal_toIvEEdEE10hipError_tPvRmT2_T3_T4_T5_mT6_T7_P12ihipStream_tbENKUlT_T0_E_clISt17integral_constantIbLb0EES10_IbLb1EEEEDaSW_SX_EUlSW_E_NS1_11comp_targetILNS1_3genE2ELNS1_11target_archE906ELNS1_3gpuE6ELNS1_3repE0EEENS1_30default_config_static_selectorELNS0_4arch9wavefront6targetE0EEEvT1_.num_named_barrier, 0
	.set _ZN7rocprim17ROCPRIM_400000_NS6detail17trampoline_kernelINS0_14default_configENS1_27scan_by_key_config_selectorIidEEZZNS1_16scan_by_key_implILNS1_25lookback_scan_determinismE0ELb0ES3_N6thrust23THRUST_200600_302600_NS6detail15normal_iteratorINS9_10device_ptrIiEEEENSB_INSC_IdEEEESG_dNS9_4plusIvEENS9_8equal_toIvEEdEE10hipError_tPvRmT2_T3_T4_T5_mT6_T7_P12ihipStream_tbENKUlT_T0_E_clISt17integral_constantIbLb0EES10_IbLb1EEEEDaSW_SX_EUlSW_E_NS1_11comp_targetILNS1_3genE2ELNS1_11target_archE906ELNS1_3gpuE6ELNS1_3repE0EEENS1_30default_config_static_selectorELNS0_4arch9wavefront6targetE0EEEvT1_.private_seg_size, 0
	.set _ZN7rocprim17ROCPRIM_400000_NS6detail17trampoline_kernelINS0_14default_configENS1_27scan_by_key_config_selectorIidEEZZNS1_16scan_by_key_implILNS1_25lookback_scan_determinismE0ELb0ES3_N6thrust23THRUST_200600_302600_NS6detail15normal_iteratorINS9_10device_ptrIiEEEENSB_INSC_IdEEEESG_dNS9_4plusIvEENS9_8equal_toIvEEdEE10hipError_tPvRmT2_T3_T4_T5_mT6_T7_P12ihipStream_tbENKUlT_T0_E_clISt17integral_constantIbLb0EES10_IbLb1EEEEDaSW_SX_EUlSW_E_NS1_11comp_targetILNS1_3genE2ELNS1_11target_archE906ELNS1_3gpuE6ELNS1_3repE0EEENS1_30default_config_static_selectorELNS0_4arch9wavefront6targetE0EEEvT1_.uses_vcc, 0
	.set _ZN7rocprim17ROCPRIM_400000_NS6detail17trampoline_kernelINS0_14default_configENS1_27scan_by_key_config_selectorIidEEZZNS1_16scan_by_key_implILNS1_25lookback_scan_determinismE0ELb0ES3_N6thrust23THRUST_200600_302600_NS6detail15normal_iteratorINS9_10device_ptrIiEEEENSB_INSC_IdEEEESG_dNS9_4plusIvEENS9_8equal_toIvEEdEE10hipError_tPvRmT2_T3_T4_T5_mT6_T7_P12ihipStream_tbENKUlT_T0_E_clISt17integral_constantIbLb0EES10_IbLb1EEEEDaSW_SX_EUlSW_E_NS1_11comp_targetILNS1_3genE2ELNS1_11target_archE906ELNS1_3gpuE6ELNS1_3repE0EEENS1_30default_config_static_selectorELNS0_4arch9wavefront6targetE0EEEvT1_.uses_flat_scratch, 0
	.set _ZN7rocprim17ROCPRIM_400000_NS6detail17trampoline_kernelINS0_14default_configENS1_27scan_by_key_config_selectorIidEEZZNS1_16scan_by_key_implILNS1_25lookback_scan_determinismE0ELb0ES3_N6thrust23THRUST_200600_302600_NS6detail15normal_iteratorINS9_10device_ptrIiEEEENSB_INSC_IdEEEESG_dNS9_4plusIvEENS9_8equal_toIvEEdEE10hipError_tPvRmT2_T3_T4_T5_mT6_T7_P12ihipStream_tbENKUlT_T0_E_clISt17integral_constantIbLb0EES10_IbLb1EEEEDaSW_SX_EUlSW_E_NS1_11comp_targetILNS1_3genE2ELNS1_11target_archE906ELNS1_3gpuE6ELNS1_3repE0EEENS1_30default_config_static_selectorELNS0_4arch9wavefront6targetE0EEEvT1_.has_dyn_sized_stack, 0
	.set _ZN7rocprim17ROCPRIM_400000_NS6detail17trampoline_kernelINS0_14default_configENS1_27scan_by_key_config_selectorIidEEZZNS1_16scan_by_key_implILNS1_25lookback_scan_determinismE0ELb0ES3_N6thrust23THRUST_200600_302600_NS6detail15normal_iteratorINS9_10device_ptrIiEEEENSB_INSC_IdEEEESG_dNS9_4plusIvEENS9_8equal_toIvEEdEE10hipError_tPvRmT2_T3_T4_T5_mT6_T7_P12ihipStream_tbENKUlT_T0_E_clISt17integral_constantIbLb0EES10_IbLb1EEEEDaSW_SX_EUlSW_E_NS1_11comp_targetILNS1_3genE2ELNS1_11target_archE906ELNS1_3gpuE6ELNS1_3repE0EEENS1_30default_config_static_selectorELNS0_4arch9wavefront6targetE0EEEvT1_.has_recursion, 0
	.set _ZN7rocprim17ROCPRIM_400000_NS6detail17trampoline_kernelINS0_14default_configENS1_27scan_by_key_config_selectorIidEEZZNS1_16scan_by_key_implILNS1_25lookback_scan_determinismE0ELb0ES3_N6thrust23THRUST_200600_302600_NS6detail15normal_iteratorINS9_10device_ptrIiEEEENSB_INSC_IdEEEESG_dNS9_4plusIvEENS9_8equal_toIvEEdEE10hipError_tPvRmT2_T3_T4_T5_mT6_T7_P12ihipStream_tbENKUlT_T0_E_clISt17integral_constantIbLb0EES10_IbLb1EEEEDaSW_SX_EUlSW_E_NS1_11comp_targetILNS1_3genE2ELNS1_11target_archE906ELNS1_3gpuE6ELNS1_3repE0EEENS1_30default_config_static_selectorELNS0_4arch9wavefront6targetE0EEEvT1_.has_indirect_call, 0
	.section	.AMDGPU.csdata,"",@progbits
; Kernel info:
; codeLenInByte = 0
; TotalNumSgprs: 0
; NumVgprs: 0
; ScratchSize: 0
; MemoryBound: 0
; FloatMode: 240
; IeeeMode: 1
; LDSByteSize: 0 bytes/workgroup (compile time only)
; SGPRBlocks: 0
; VGPRBlocks: 0
; NumSGPRsForWavesPerEU: 1
; NumVGPRsForWavesPerEU: 1
; NamedBarCnt: 0
; Occupancy: 16
; WaveLimiterHint : 0
; COMPUTE_PGM_RSRC2:SCRATCH_EN: 0
; COMPUTE_PGM_RSRC2:USER_SGPR: 2
; COMPUTE_PGM_RSRC2:TRAP_HANDLER: 0
; COMPUTE_PGM_RSRC2:TGID_X_EN: 1
; COMPUTE_PGM_RSRC2:TGID_Y_EN: 0
; COMPUTE_PGM_RSRC2:TGID_Z_EN: 0
; COMPUTE_PGM_RSRC2:TIDIG_COMP_CNT: 0
	.section	.text._ZN7rocprim17ROCPRIM_400000_NS6detail17trampoline_kernelINS0_14default_configENS1_27scan_by_key_config_selectorIidEEZZNS1_16scan_by_key_implILNS1_25lookback_scan_determinismE0ELb0ES3_N6thrust23THRUST_200600_302600_NS6detail15normal_iteratorINS9_10device_ptrIiEEEENSB_INSC_IdEEEESG_dNS9_4plusIvEENS9_8equal_toIvEEdEE10hipError_tPvRmT2_T3_T4_T5_mT6_T7_P12ihipStream_tbENKUlT_T0_E_clISt17integral_constantIbLb0EES10_IbLb1EEEEDaSW_SX_EUlSW_E_NS1_11comp_targetILNS1_3genE10ELNS1_11target_archE1200ELNS1_3gpuE4ELNS1_3repE0EEENS1_30default_config_static_selectorELNS0_4arch9wavefront6targetE0EEEvT1_,"axG",@progbits,_ZN7rocprim17ROCPRIM_400000_NS6detail17trampoline_kernelINS0_14default_configENS1_27scan_by_key_config_selectorIidEEZZNS1_16scan_by_key_implILNS1_25lookback_scan_determinismE0ELb0ES3_N6thrust23THRUST_200600_302600_NS6detail15normal_iteratorINS9_10device_ptrIiEEEENSB_INSC_IdEEEESG_dNS9_4plusIvEENS9_8equal_toIvEEdEE10hipError_tPvRmT2_T3_T4_T5_mT6_T7_P12ihipStream_tbENKUlT_T0_E_clISt17integral_constantIbLb0EES10_IbLb1EEEEDaSW_SX_EUlSW_E_NS1_11comp_targetILNS1_3genE10ELNS1_11target_archE1200ELNS1_3gpuE4ELNS1_3repE0EEENS1_30default_config_static_selectorELNS0_4arch9wavefront6targetE0EEEvT1_,comdat
	.protected	_ZN7rocprim17ROCPRIM_400000_NS6detail17trampoline_kernelINS0_14default_configENS1_27scan_by_key_config_selectorIidEEZZNS1_16scan_by_key_implILNS1_25lookback_scan_determinismE0ELb0ES3_N6thrust23THRUST_200600_302600_NS6detail15normal_iteratorINS9_10device_ptrIiEEEENSB_INSC_IdEEEESG_dNS9_4plusIvEENS9_8equal_toIvEEdEE10hipError_tPvRmT2_T3_T4_T5_mT6_T7_P12ihipStream_tbENKUlT_T0_E_clISt17integral_constantIbLb0EES10_IbLb1EEEEDaSW_SX_EUlSW_E_NS1_11comp_targetILNS1_3genE10ELNS1_11target_archE1200ELNS1_3gpuE4ELNS1_3repE0EEENS1_30default_config_static_selectorELNS0_4arch9wavefront6targetE0EEEvT1_ ; -- Begin function _ZN7rocprim17ROCPRIM_400000_NS6detail17trampoline_kernelINS0_14default_configENS1_27scan_by_key_config_selectorIidEEZZNS1_16scan_by_key_implILNS1_25lookback_scan_determinismE0ELb0ES3_N6thrust23THRUST_200600_302600_NS6detail15normal_iteratorINS9_10device_ptrIiEEEENSB_INSC_IdEEEESG_dNS9_4plusIvEENS9_8equal_toIvEEdEE10hipError_tPvRmT2_T3_T4_T5_mT6_T7_P12ihipStream_tbENKUlT_T0_E_clISt17integral_constantIbLb0EES10_IbLb1EEEEDaSW_SX_EUlSW_E_NS1_11comp_targetILNS1_3genE10ELNS1_11target_archE1200ELNS1_3gpuE4ELNS1_3repE0EEENS1_30default_config_static_selectorELNS0_4arch9wavefront6targetE0EEEvT1_
	.globl	_ZN7rocprim17ROCPRIM_400000_NS6detail17trampoline_kernelINS0_14default_configENS1_27scan_by_key_config_selectorIidEEZZNS1_16scan_by_key_implILNS1_25lookback_scan_determinismE0ELb0ES3_N6thrust23THRUST_200600_302600_NS6detail15normal_iteratorINS9_10device_ptrIiEEEENSB_INSC_IdEEEESG_dNS9_4plusIvEENS9_8equal_toIvEEdEE10hipError_tPvRmT2_T3_T4_T5_mT6_T7_P12ihipStream_tbENKUlT_T0_E_clISt17integral_constantIbLb0EES10_IbLb1EEEEDaSW_SX_EUlSW_E_NS1_11comp_targetILNS1_3genE10ELNS1_11target_archE1200ELNS1_3gpuE4ELNS1_3repE0EEENS1_30default_config_static_selectorELNS0_4arch9wavefront6targetE0EEEvT1_
	.p2align	8
	.type	_ZN7rocprim17ROCPRIM_400000_NS6detail17trampoline_kernelINS0_14default_configENS1_27scan_by_key_config_selectorIidEEZZNS1_16scan_by_key_implILNS1_25lookback_scan_determinismE0ELb0ES3_N6thrust23THRUST_200600_302600_NS6detail15normal_iteratorINS9_10device_ptrIiEEEENSB_INSC_IdEEEESG_dNS9_4plusIvEENS9_8equal_toIvEEdEE10hipError_tPvRmT2_T3_T4_T5_mT6_T7_P12ihipStream_tbENKUlT_T0_E_clISt17integral_constantIbLb0EES10_IbLb1EEEEDaSW_SX_EUlSW_E_NS1_11comp_targetILNS1_3genE10ELNS1_11target_archE1200ELNS1_3gpuE4ELNS1_3repE0EEENS1_30default_config_static_selectorELNS0_4arch9wavefront6targetE0EEEvT1_,@function
_ZN7rocprim17ROCPRIM_400000_NS6detail17trampoline_kernelINS0_14default_configENS1_27scan_by_key_config_selectorIidEEZZNS1_16scan_by_key_implILNS1_25lookback_scan_determinismE0ELb0ES3_N6thrust23THRUST_200600_302600_NS6detail15normal_iteratorINS9_10device_ptrIiEEEENSB_INSC_IdEEEESG_dNS9_4plusIvEENS9_8equal_toIvEEdEE10hipError_tPvRmT2_T3_T4_T5_mT6_T7_P12ihipStream_tbENKUlT_T0_E_clISt17integral_constantIbLb0EES10_IbLb1EEEEDaSW_SX_EUlSW_E_NS1_11comp_targetILNS1_3genE10ELNS1_11target_archE1200ELNS1_3gpuE4ELNS1_3repE0EEENS1_30default_config_static_selectorELNS0_4arch9wavefront6targetE0EEEvT1_: ; @_ZN7rocprim17ROCPRIM_400000_NS6detail17trampoline_kernelINS0_14default_configENS1_27scan_by_key_config_selectorIidEEZZNS1_16scan_by_key_implILNS1_25lookback_scan_determinismE0ELb0ES3_N6thrust23THRUST_200600_302600_NS6detail15normal_iteratorINS9_10device_ptrIiEEEENSB_INSC_IdEEEESG_dNS9_4plusIvEENS9_8equal_toIvEEdEE10hipError_tPvRmT2_T3_T4_T5_mT6_T7_P12ihipStream_tbENKUlT_T0_E_clISt17integral_constantIbLb0EES10_IbLb1EEEEDaSW_SX_EUlSW_E_NS1_11comp_targetILNS1_3genE10ELNS1_11target_archE1200ELNS1_3gpuE4ELNS1_3repE0EEENS1_30default_config_static_selectorELNS0_4arch9wavefront6targetE0EEEvT1_
; %bb.0:
	.section	.rodata,"a",@progbits
	.p2align	6, 0x0
	.amdhsa_kernel _ZN7rocprim17ROCPRIM_400000_NS6detail17trampoline_kernelINS0_14default_configENS1_27scan_by_key_config_selectorIidEEZZNS1_16scan_by_key_implILNS1_25lookback_scan_determinismE0ELb0ES3_N6thrust23THRUST_200600_302600_NS6detail15normal_iteratorINS9_10device_ptrIiEEEENSB_INSC_IdEEEESG_dNS9_4plusIvEENS9_8equal_toIvEEdEE10hipError_tPvRmT2_T3_T4_T5_mT6_T7_P12ihipStream_tbENKUlT_T0_E_clISt17integral_constantIbLb0EES10_IbLb1EEEEDaSW_SX_EUlSW_E_NS1_11comp_targetILNS1_3genE10ELNS1_11target_archE1200ELNS1_3gpuE4ELNS1_3repE0EEENS1_30default_config_static_selectorELNS0_4arch9wavefront6targetE0EEEvT1_
		.amdhsa_group_segment_fixed_size 0
		.amdhsa_private_segment_fixed_size 0
		.amdhsa_kernarg_size 136
		.amdhsa_user_sgpr_count 2
		.amdhsa_user_sgpr_dispatch_ptr 0
		.amdhsa_user_sgpr_queue_ptr 0
		.amdhsa_user_sgpr_kernarg_segment_ptr 1
		.amdhsa_user_sgpr_dispatch_id 0
		.amdhsa_user_sgpr_kernarg_preload_length 0
		.amdhsa_user_sgpr_kernarg_preload_offset 0
		.amdhsa_user_sgpr_private_segment_size 0
		.amdhsa_wavefront_size32 1
		.amdhsa_uses_dynamic_stack 0
		.amdhsa_enable_private_segment 0
		.amdhsa_system_sgpr_workgroup_id_x 1
		.amdhsa_system_sgpr_workgroup_id_y 0
		.amdhsa_system_sgpr_workgroup_id_z 0
		.amdhsa_system_sgpr_workgroup_info 0
		.amdhsa_system_vgpr_workitem_id 0
		.amdhsa_next_free_vgpr 1
		.amdhsa_next_free_sgpr 1
		.amdhsa_named_barrier_count 0
		.amdhsa_reserve_vcc 0
		.amdhsa_float_round_mode_32 0
		.amdhsa_float_round_mode_16_64 0
		.amdhsa_float_denorm_mode_32 3
		.amdhsa_float_denorm_mode_16_64 3
		.amdhsa_fp16_overflow 0
		.amdhsa_memory_ordered 1
		.amdhsa_forward_progress 1
		.amdhsa_inst_pref_size 0
		.amdhsa_round_robin_scheduling 0
		.amdhsa_exception_fp_ieee_invalid_op 0
		.amdhsa_exception_fp_denorm_src 0
		.amdhsa_exception_fp_ieee_div_zero 0
		.amdhsa_exception_fp_ieee_overflow 0
		.amdhsa_exception_fp_ieee_underflow 0
		.amdhsa_exception_fp_ieee_inexact 0
		.amdhsa_exception_int_div_zero 0
	.end_amdhsa_kernel
	.section	.text._ZN7rocprim17ROCPRIM_400000_NS6detail17trampoline_kernelINS0_14default_configENS1_27scan_by_key_config_selectorIidEEZZNS1_16scan_by_key_implILNS1_25lookback_scan_determinismE0ELb0ES3_N6thrust23THRUST_200600_302600_NS6detail15normal_iteratorINS9_10device_ptrIiEEEENSB_INSC_IdEEEESG_dNS9_4plusIvEENS9_8equal_toIvEEdEE10hipError_tPvRmT2_T3_T4_T5_mT6_T7_P12ihipStream_tbENKUlT_T0_E_clISt17integral_constantIbLb0EES10_IbLb1EEEEDaSW_SX_EUlSW_E_NS1_11comp_targetILNS1_3genE10ELNS1_11target_archE1200ELNS1_3gpuE4ELNS1_3repE0EEENS1_30default_config_static_selectorELNS0_4arch9wavefront6targetE0EEEvT1_,"axG",@progbits,_ZN7rocprim17ROCPRIM_400000_NS6detail17trampoline_kernelINS0_14default_configENS1_27scan_by_key_config_selectorIidEEZZNS1_16scan_by_key_implILNS1_25lookback_scan_determinismE0ELb0ES3_N6thrust23THRUST_200600_302600_NS6detail15normal_iteratorINS9_10device_ptrIiEEEENSB_INSC_IdEEEESG_dNS9_4plusIvEENS9_8equal_toIvEEdEE10hipError_tPvRmT2_T3_T4_T5_mT6_T7_P12ihipStream_tbENKUlT_T0_E_clISt17integral_constantIbLb0EES10_IbLb1EEEEDaSW_SX_EUlSW_E_NS1_11comp_targetILNS1_3genE10ELNS1_11target_archE1200ELNS1_3gpuE4ELNS1_3repE0EEENS1_30default_config_static_selectorELNS0_4arch9wavefront6targetE0EEEvT1_,comdat
.Lfunc_end1124:
	.size	_ZN7rocprim17ROCPRIM_400000_NS6detail17trampoline_kernelINS0_14default_configENS1_27scan_by_key_config_selectorIidEEZZNS1_16scan_by_key_implILNS1_25lookback_scan_determinismE0ELb0ES3_N6thrust23THRUST_200600_302600_NS6detail15normal_iteratorINS9_10device_ptrIiEEEENSB_INSC_IdEEEESG_dNS9_4plusIvEENS9_8equal_toIvEEdEE10hipError_tPvRmT2_T3_T4_T5_mT6_T7_P12ihipStream_tbENKUlT_T0_E_clISt17integral_constantIbLb0EES10_IbLb1EEEEDaSW_SX_EUlSW_E_NS1_11comp_targetILNS1_3genE10ELNS1_11target_archE1200ELNS1_3gpuE4ELNS1_3repE0EEENS1_30default_config_static_selectorELNS0_4arch9wavefront6targetE0EEEvT1_, .Lfunc_end1124-_ZN7rocprim17ROCPRIM_400000_NS6detail17trampoline_kernelINS0_14default_configENS1_27scan_by_key_config_selectorIidEEZZNS1_16scan_by_key_implILNS1_25lookback_scan_determinismE0ELb0ES3_N6thrust23THRUST_200600_302600_NS6detail15normal_iteratorINS9_10device_ptrIiEEEENSB_INSC_IdEEEESG_dNS9_4plusIvEENS9_8equal_toIvEEdEE10hipError_tPvRmT2_T3_T4_T5_mT6_T7_P12ihipStream_tbENKUlT_T0_E_clISt17integral_constantIbLb0EES10_IbLb1EEEEDaSW_SX_EUlSW_E_NS1_11comp_targetILNS1_3genE10ELNS1_11target_archE1200ELNS1_3gpuE4ELNS1_3repE0EEENS1_30default_config_static_selectorELNS0_4arch9wavefront6targetE0EEEvT1_
                                        ; -- End function
	.set _ZN7rocprim17ROCPRIM_400000_NS6detail17trampoline_kernelINS0_14default_configENS1_27scan_by_key_config_selectorIidEEZZNS1_16scan_by_key_implILNS1_25lookback_scan_determinismE0ELb0ES3_N6thrust23THRUST_200600_302600_NS6detail15normal_iteratorINS9_10device_ptrIiEEEENSB_INSC_IdEEEESG_dNS9_4plusIvEENS9_8equal_toIvEEdEE10hipError_tPvRmT2_T3_T4_T5_mT6_T7_P12ihipStream_tbENKUlT_T0_E_clISt17integral_constantIbLb0EES10_IbLb1EEEEDaSW_SX_EUlSW_E_NS1_11comp_targetILNS1_3genE10ELNS1_11target_archE1200ELNS1_3gpuE4ELNS1_3repE0EEENS1_30default_config_static_selectorELNS0_4arch9wavefront6targetE0EEEvT1_.num_vgpr, 0
	.set _ZN7rocprim17ROCPRIM_400000_NS6detail17trampoline_kernelINS0_14default_configENS1_27scan_by_key_config_selectorIidEEZZNS1_16scan_by_key_implILNS1_25lookback_scan_determinismE0ELb0ES3_N6thrust23THRUST_200600_302600_NS6detail15normal_iteratorINS9_10device_ptrIiEEEENSB_INSC_IdEEEESG_dNS9_4plusIvEENS9_8equal_toIvEEdEE10hipError_tPvRmT2_T3_T4_T5_mT6_T7_P12ihipStream_tbENKUlT_T0_E_clISt17integral_constantIbLb0EES10_IbLb1EEEEDaSW_SX_EUlSW_E_NS1_11comp_targetILNS1_3genE10ELNS1_11target_archE1200ELNS1_3gpuE4ELNS1_3repE0EEENS1_30default_config_static_selectorELNS0_4arch9wavefront6targetE0EEEvT1_.num_agpr, 0
	.set _ZN7rocprim17ROCPRIM_400000_NS6detail17trampoline_kernelINS0_14default_configENS1_27scan_by_key_config_selectorIidEEZZNS1_16scan_by_key_implILNS1_25lookback_scan_determinismE0ELb0ES3_N6thrust23THRUST_200600_302600_NS6detail15normal_iteratorINS9_10device_ptrIiEEEENSB_INSC_IdEEEESG_dNS9_4plusIvEENS9_8equal_toIvEEdEE10hipError_tPvRmT2_T3_T4_T5_mT6_T7_P12ihipStream_tbENKUlT_T0_E_clISt17integral_constantIbLb0EES10_IbLb1EEEEDaSW_SX_EUlSW_E_NS1_11comp_targetILNS1_3genE10ELNS1_11target_archE1200ELNS1_3gpuE4ELNS1_3repE0EEENS1_30default_config_static_selectorELNS0_4arch9wavefront6targetE0EEEvT1_.numbered_sgpr, 0
	.set _ZN7rocprim17ROCPRIM_400000_NS6detail17trampoline_kernelINS0_14default_configENS1_27scan_by_key_config_selectorIidEEZZNS1_16scan_by_key_implILNS1_25lookback_scan_determinismE0ELb0ES3_N6thrust23THRUST_200600_302600_NS6detail15normal_iteratorINS9_10device_ptrIiEEEENSB_INSC_IdEEEESG_dNS9_4plusIvEENS9_8equal_toIvEEdEE10hipError_tPvRmT2_T3_T4_T5_mT6_T7_P12ihipStream_tbENKUlT_T0_E_clISt17integral_constantIbLb0EES10_IbLb1EEEEDaSW_SX_EUlSW_E_NS1_11comp_targetILNS1_3genE10ELNS1_11target_archE1200ELNS1_3gpuE4ELNS1_3repE0EEENS1_30default_config_static_selectorELNS0_4arch9wavefront6targetE0EEEvT1_.num_named_barrier, 0
	.set _ZN7rocprim17ROCPRIM_400000_NS6detail17trampoline_kernelINS0_14default_configENS1_27scan_by_key_config_selectorIidEEZZNS1_16scan_by_key_implILNS1_25lookback_scan_determinismE0ELb0ES3_N6thrust23THRUST_200600_302600_NS6detail15normal_iteratorINS9_10device_ptrIiEEEENSB_INSC_IdEEEESG_dNS9_4plusIvEENS9_8equal_toIvEEdEE10hipError_tPvRmT2_T3_T4_T5_mT6_T7_P12ihipStream_tbENKUlT_T0_E_clISt17integral_constantIbLb0EES10_IbLb1EEEEDaSW_SX_EUlSW_E_NS1_11comp_targetILNS1_3genE10ELNS1_11target_archE1200ELNS1_3gpuE4ELNS1_3repE0EEENS1_30default_config_static_selectorELNS0_4arch9wavefront6targetE0EEEvT1_.private_seg_size, 0
	.set _ZN7rocprim17ROCPRIM_400000_NS6detail17trampoline_kernelINS0_14default_configENS1_27scan_by_key_config_selectorIidEEZZNS1_16scan_by_key_implILNS1_25lookback_scan_determinismE0ELb0ES3_N6thrust23THRUST_200600_302600_NS6detail15normal_iteratorINS9_10device_ptrIiEEEENSB_INSC_IdEEEESG_dNS9_4plusIvEENS9_8equal_toIvEEdEE10hipError_tPvRmT2_T3_T4_T5_mT6_T7_P12ihipStream_tbENKUlT_T0_E_clISt17integral_constantIbLb0EES10_IbLb1EEEEDaSW_SX_EUlSW_E_NS1_11comp_targetILNS1_3genE10ELNS1_11target_archE1200ELNS1_3gpuE4ELNS1_3repE0EEENS1_30default_config_static_selectorELNS0_4arch9wavefront6targetE0EEEvT1_.uses_vcc, 0
	.set _ZN7rocprim17ROCPRIM_400000_NS6detail17trampoline_kernelINS0_14default_configENS1_27scan_by_key_config_selectorIidEEZZNS1_16scan_by_key_implILNS1_25lookback_scan_determinismE0ELb0ES3_N6thrust23THRUST_200600_302600_NS6detail15normal_iteratorINS9_10device_ptrIiEEEENSB_INSC_IdEEEESG_dNS9_4plusIvEENS9_8equal_toIvEEdEE10hipError_tPvRmT2_T3_T4_T5_mT6_T7_P12ihipStream_tbENKUlT_T0_E_clISt17integral_constantIbLb0EES10_IbLb1EEEEDaSW_SX_EUlSW_E_NS1_11comp_targetILNS1_3genE10ELNS1_11target_archE1200ELNS1_3gpuE4ELNS1_3repE0EEENS1_30default_config_static_selectorELNS0_4arch9wavefront6targetE0EEEvT1_.uses_flat_scratch, 0
	.set _ZN7rocprim17ROCPRIM_400000_NS6detail17trampoline_kernelINS0_14default_configENS1_27scan_by_key_config_selectorIidEEZZNS1_16scan_by_key_implILNS1_25lookback_scan_determinismE0ELb0ES3_N6thrust23THRUST_200600_302600_NS6detail15normal_iteratorINS9_10device_ptrIiEEEENSB_INSC_IdEEEESG_dNS9_4plusIvEENS9_8equal_toIvEEdEE10hipError_tPvRmT2_T3_T4_T5_mT6_T7_P12ihipStream_tbENKUlT_T0_E_clISt17integral_constantIbLb0EES10_IbLb1EEEEDaSW_SX_EUlSW_E_NS1_11comp_targetILNS1_3genE10ELNS1_11target_archE1200ELNS1_3gpuE4ELNS1_3repE0EEENS1_30default_config_static_selectorELNS0_4arch9wavefront6targetE0EEEvT1_.has_dyn_sized_stack, 0
	.set _ZN7rocprim17ROCPRIM_400000_NS6detail17trampoline_kernelINS0_14default_configENS1_27scan_by_key_config_selectorIidEEZZNS1_16scan_by_key_implILNS1_25lookback_scan_determinismE0ELb0ES3_N6thrust23THRUST_200600_302600_NS6detail15normal_iteratorINS9_10device_ptrIiEEEENSB_INSC_IdEEEESG_dNS9_4plusIvEENS9_8equal_toIvEEdEE10hipError_tPvRmT2_T3_T4_T5_mT6_T7_P12ihipStream_tbENKUlT_T0_E_clISt17integral_constantIbLb0EES10_IbLb1EEEEDaSW_SX_EUlSW_E_NS1_11comp_targetILNS1_3genE10ELNS1_11target_archE1200ELNS1_3gpuE4ELNS1_3repE0EEENS1_30default_config_static_selectorELNS0_4arch9wavefront6targetE0EEEvT1_.has_recursion, 0
	.set _ZN7rocprim17ROCPRIM_400000_NS6detail17trampoline_kernelINS0_14default_configENS1_27scan_by_key_config_selectorIidEEZZNS1_16scan_by_key_implILNS1_25lookback_scan_determinismE0ELb0ES3_N6thrust23THRUST_200600_302600_NS6detail15normal_iteratorINS9_10device_ptrIiEEEENSB_INSC_IdEEEESG_dNS9_4plusIvEENS9_8equal_toIvEEdEE10hipError_tPvRmT2_T3_T4_T5_mT6_T7_P12ihipStream_tbENKUlT_T0_E_clISt17integral_constantIbLb0EES10_IbLb1EEEEDaSW_SX_EUlSW_E_NS1_11comp_targetILNS1_3genE10ELNS1_11target_archE1200ELNS1_3gpuE4ELNS1_3repE0EEENS1_30default_config_static_selectorELNS0_4arch9wavefront6targetE0EEEvT1_.has_indirect_call, 0
	.section	.AMDGPU.csdata,"",@progbits
; Kernel info:
; codeLenInByte = 0
; TotalNumSgprs: 0
; NumVgprs: 0
; ScratchSize: 0
; MemoryBound: 0
; FloatMode: 240
; IeeeMode: 1
; LDSByteSize: 0 bytes/workgroup (compile time only)
; SGPRBlocks: 0
; VGPRBlocks: 0
; NumSGPRsForWavesPerEU: 1
; NumVGPRsForWavesPerEU: 1
; NamedBarCnt: 0
; Occupancy: 16
; WaveLimiterHint : 0
; COMPUTE_PGM_RSRC2:SCRATCH_EN: 0
; COMPUTE_PGM_RSRC2:USER_SGPR: 2
; COMPUTE_PGM_RSRC2:TRAP_HANDLER: 0
; COMPUTE_PGM_RSRC2:TGID_X_EN: 1
; COMPUTE_PGM_RSRC2:TGID_Y_EN: 0
; COMPUTE_PGM_RSRC2:TGID_Z_EN: 0
; COMPUTE_PGM_RSRC2:TIDIG_COMP_CNT: 0
	.section	.text._ZN7rocprim17ROCPRIM_400000_NS6detail17trampoline_kernelINS0_14default_configENS1_27scan_by_key_config_selectorIidEEZZNS1_16scan_by_key_implILNS1_25lookback_scan_determinismE0ELb0ES3_N6thrust23THRUST_200600_302600_NS6detail15normal_iteratorINS9_10device_ptrIiEEEENSB_INSC_IdEEEESG_dNS9_4plusIvEENS9_8equal_toIvEEdEE10hipError_tPvRmT2_T3_T4_T5_mT6_T7_P12ihipStream_tbENKUlT_T0_E_clISt17integral_constantIbLb0EES10_IbLb1EEEEDaSW_SX_EUlSW_E_NS1_11comp_targetILNS1_3genE9ELNS1_11target_archE1100ELNS1_3gpuE3ELNS1_3repE0EEENS1_30default_config_static_selectorELNS0_4arch9wavefront6targetE0EEEvT1_,"axG",@progbits,_ZN7rocprim17ROCPRIM_400000_NS6detail17trampoline_kernelINS0_14default_configENS1_27scan_by_key_config_selectorIidEEZZNS1_16scan_by_key_implILNS1_25lookback_scan_determinismE0ELb0ES3_N6thrust23THRUST_200600_302600_NS6detail15normal_iteratorINS9_10device_ptrIiEEEENSB_INSC_IdEEEESG_dNS9_4plusIvEENS9_8equal_toIvEEdEE10hipError_tPvRmT2_T3_T4_T5_mT6_T7_P12ihipStream_tbENKUlT_T0_E_clISt17integral_constantIbLb0EES10_IbLb1EEEEDaSW_SX_EUlSW_E_NS1_11comp_targetILNS1_3genE9ELNS1_11target_archE1100ELNS1_3gpuE3ELNS1_3repE0EEENS1_30default_config_static_selectorELNS0_4arch9wavefront6targetE0EEEvT1_,comdat
	.protected	_ZN7rocprim17ROCPRIM_400000_NS6detail17trampoline_kernelINS0_14default_configENS1_27scan_by_key_config_selectorIidEEZZNS1_16scan_by_key_implILNS1_25lookback_scan_determinismE0ELb0ES3_N6thrust23THRUST_200600_302600_NS6detail15normal_iteratorINS9_10device_ptrIiEEEENSB_INSC_IdEEEESG_dNS9_4plusIvEENS9_8equal_toIvEEdEE10hipError_tPvRmT2_T3_T4_T5_mT6_T7_P12ihipStream_tbENKUlT_T0_E_clISt17integral_constantIbLb0EES10_IbLb1EEEEDaSW_SX_EUlSW_E_NS1_11comp_targetILNS1_3genE9ELNS1_11target_archE1100ELNS1_3gpuE3ELNS1_3repE0EEENS1_30default_config_static_selectorELNS0_4arch9wavefront6targetE0EEEvT1_ ; -- Begin function _ZN7rocprim17ROCPRIM_400000_NS6detail17trampoline_kernelINS0_14default_configENS1_27scan_by_key_config_selectorIidEEZZNS1_16scan_by_key_implILNS1_25lookback_scan_determinismE0ELb0ES3_N6thrust23THRUST_200600_302600_NS6detail15normal_iteratorINS9_10device_ptrIiEEEENSB_INSC_IdEEEESG_dNS9_4plusIvEENS9_8equal_toIvEEdEE10hipError_tPvRmT2_T3_T4_T5_mT6_T7_P12ihipStream_tbENKUlT_T0_E_clISt17integral_constantIbLb0EES10_IbLb1EEEEDaSW_SX_EUlSW_E_NS1_11comp_targetILNS1_3genE9ELNS1_11target_archE1100ELNS1_3gpuE3ELNS1_3repE0EEENS1_30default_config_static_selectorELNS0_4arch9wavefront6targetE0EEEvT1_
	.globl	_ZN7rocprim17ROCPRIM_400000_NS6detail17trampoline_kernelINS0_14default_configENS1_27scan_by_key_config_selectorIidEEZZNS1_16scan_by_key_implILNS1_25lookback_scan_determinismE0ELb0ES3_N6thrust23THRUST_200600_302600_NS6detail15normal_iteratorINS9_10device_ptrIiEEEENSB_INSC_IdEEEESG_dNS9_4plusIvEENS9_8equal_toIvEEdEE10hipError_tPvRmT2_T3_T4_T5_mT6_T7_P12ihipStream_tbENKUlT_T0_E_clISt17integral_constantIbLb0EES10_IbLb1EEEEDaSW_SX_EUlSW_E_NS1_11comp_targetILNS1_3genE9ELNS1_11target_archE1100ELNS1_3gpuE3ELNS1_3repE0EEENS1_30default_config_static_selectorELNS0_4arch9wavefront6targetE0EEEvT1_
	.p2align	8
	.type	_ZN7rocprim17ROCPRIM_400000_NS6detail17trampoline_kernelINS0_14default_configENS1_27scan_by_key_config_selectorIidEEZZNS1_16scan_by_key_implILNS1_25lookback_scan_determinismE0ELb0ES3_N6thrust23THRUST_200600_302600_NS6detail15normal_iteratorINS9_10device_ptrIiEEEENSB_INSC_IdEEEESG_dNS9_4plusIvEENS9_8equal_toIvEEdEE10hipError_tPvRmT2_T3_T4_T5_mT6_T7_P12ihipStream_tbENKUlT_T0_E_clISt17integral_constantIbLb0EES10_IbLb1EEEEDaSW_SX_EUlSW_E_NS1_11comp_targetILNS1_3genE9ELNS1_11target_archE1100ELNS1_3gpuE3ELNS1_3repE0EEENS1_30default_config_static_selectorELNS0_4arch9wavefront6targetE0EEEvT1_,@function
_ZN7rocprim17ROCPRIM_400000_NS6detail17trampoline_kernelINS0_14default_configENS1_27scan_by_key_config_selectorIidEEZZNS1_16scan_by_key_implILNS1_25lookback_scan_determinismE0ELb0ES3_N6thrust23THRUST_200600_302600_NS6detail15normal_iteratorINS9_10device_ptrIiEEEENSB_INSC_IdEEEESG_dNS9_4plusIvEENS9_8equal_toIvEEdEE10hipError_tPvRmT2_T3_T4_T5_mT6_T7_P12ihipStream_tbENKUlT_T0_E_clISt17integral_constantIbLb0EES10_IbLb1EEEEDaSW_SX_EUlSW_E_NS1_11comp_targetILNS1_3genE9ELNS1_11target_archE1100ELNS1_3gpuE3ELNS1_3repE0EEENS1_30default_config_static_selectorELNS0_4arch9wavefront6targetE0EEEvT1_: ; @_ZN7rocprim17ROCPRIM_400000_NS6detail17trampoline_kernelINS0_14default_configENS1_27scan_by_key_config_selectorIidEEZZNS1_16scan_by_key_implILNS1_25lookback_scan_determinismE0ELb0ES3_N6thrust23THRUST_200600_302600_NS6detail15normal_iteratorINS9_10device_ptrIiEEEENSB_INSC_IdEEEESG_dNS9_4plusIvEENS9_8equal_toIvEEdEE10hipError_tPvRmT2_T3_T4_T5_mT6_T7_P12ihipStream_tbENKUlT_T0_E_clISt17integral_constantIbLb0EES10_IbLb1EEEEDaSW_SX_EUlSW_E_NS1_11comp_targetILNS1_3genE9ELNS1_11target_archE1100ELNS1_3gpuE3ELNS1_3repE0EEENS1_30default_config_static_selectorELNS0_4arch9wavefront6targetE0EEEvT1_
; %bb.0:
	.section	.rodata,"a",@progbits
	.p2align	6, 0x0
	.amdhsa_kernel _ZN7rocprim17ROCPRIM_400000_NS6detail17trampoline_kernelINS0_14default_configENS1_27scan_by_key_config_selectorIidEEZZNS1_16scan_by_key_implILNS1_25lookback_scan_determinismE0ELb0ES3_N6thrust23THRUST_200600_302600_NS6detail15normal_iteratorINS9_10device_ptrIiEEEENSB_INSC_IdEEEESG_dNS9_4plusIvEENS9_8equal_toIvEEdEE10hipError_tPvRmT2_T3_T4_T5_mT6_T7_P12ihipStream_tbENKUlT_T0_E_clISt17integral_constantIbLb0EES10_IbLb1EEEEDaSW_SX_EUlSW_E_NS1_11comp_targetILNS1_3genE9ELNS1_11target_archE1100ELNS1_3gpuE3ELNS1_3repE0EEENS1_30default_config_static_selectorELNS0_4arch9wavefront6targetE0EEEvT1_
		.amdhsa_group_segment_fixed_size 0
		.amdhsa_private_segment_fixed_size 0
		.amdhsa_kernarg_size 136
		.amdhsa_user_sgpr_count 2
		.amdhsa_user_sgpr_dispatch_ptr 0
		.amdhsa_user_sgpr_queue_ptr 0
		.amdhsa_user_sgpr_kernarg_segment_ptr 1
		.amdhsa_user_sgpr_dispatch_id 0
		.amdhsa_user_sgpr_kernarg_preload_length 0
		.amdhsa_user_sgpr_kernarg_preload_offset 0
		.amdhsa_user_sgpr_private_segment_size 0
		.amdhsa_wavefront_size32 1
		.amdhsa_uses_dynamic_stack 0
		.amdhsa_enable_private_segment 0
		.amdhsa_system_sgpr_workgroup_id_x 1
		.amdhsa_system_sgpr_workgroup_id_y 0
		.amdhsa_system_sgpr_workgroup_id_z 0
		.amdhsa_system_sgpr_workgroup_info 0
		.amdhsa_system_vgpr_workitem_id 0
		.amdhsa_next_free_vgpr 1
		.amdhsa_next_free_sgpr 1
		.amdhsa_named_barrier_count 0
		.amdhsa_reserve_vcc 0
		.amdhsa_float_round_mode_32 0
		.amdhsa_float_round_mode_16_64 0
		.amdhsa_float_denorm_mode_32 3
		.amdhsa_float_denorm_mode_16_64 3
		.amdhsa_fp16_overflow 0
		.amdhsa_memory_ordered 1
		.amdhsa_forward_progress 1
		.amdhsa_inst_pref_size 0
		.amdhsa_round_robin_scheduling 0
		.amdhsa_exception_fp_ieee_invalid_op 0
		.amdhsa_exception_fp_denorm_src 0
		.amdhsa_exception_fp_ieee_div_zero 0
		.amdhsa_exception_fp_ieee_overflow 0
		.amdhsa_exception_fp_ieee_underflow 0
		.amdhsa_exception_fp_ieee_inexact 0
		.amdhsa_exception_int_div_zero 0
	.end_amdhsa_kernel
	.section	.text._ZN7rocprim17ROCPRIM_400000_NS6detail17trampoline_kernelINS0_14default_configENS1_27scan_by_key_config_selectorIidEEZZNS1_16scan_by_key_implILNS1_25lookback_scan_determinismE0ELb0ES3_N6thrust23THRUST_200600_302600_NS6detail15normal_iteratorINS9_10device_ptrIiEEEENSB_INSC_IdEEEESG_dNS9_4plusIvEENS9_8equal_toIvEEdEE10hipError_tPvRmT2_T3_T4_T5_mT6_T7_P12ihipStream_tbENKUlT_T0_E_clISt17integral_constantIbLb0EES10_IbLb1EEEEDaSW_SX_EUlSW_E_NS1_11comp_targetILNS1_3genE9ELNS1_11target_archE1100ELNS1_3gpuE3ELNS1_3repE0EEENS1_30default_config_static_selectorELNS0_4arch9wavefront6targetE0EEEvT1_,"axG",@progbits,_ZN7rocprim17ROCPRIM_400000_NS6detail17trampoline_kernelINS0_14default_configENS1_27scan_by_key_config_selectorIidEEZZNS1_16scan_by_key_implILNS1_25lookback_scan_determinismE0ELb0ES3_N6thrust23THRUST_200600_302600_NS6detail15normal_iteratorINS9_10device_ptrIiEEEENSB_INSC_IdEEEESG_dNS9_4plusIvEENS9_8equal_toIvEEdEE10hipError_tPvRmT2_T3_T4_T5_mT6_T7_P12ihipStream_tbENKUlT_T0_E_clISt17integral_constantIbLb0EES10_IbLb1EEEEDaSW_SX_EUlSW_E_NS1_11comp_targetILNS1_3genE9ELNS1_11target_archE1100ELNS1_3gpuE3ELNS1_3repE0EEENS1_30default_config_static_selectorELNS0_4arch9wavefront6targetE0EEEvT1_,comdat
.Lfunc_end1125:
	.size	_ZN7rocprim17ROCPRIM_400000_NS6detail17trampoline_kernelINS0_14default_configENS1_27scan_by_key_config_selectorIidEEZZNS1_16scan_by_key_implILNS1_25lookback_scan_determinismE0ELb0ES3_N6thrust23THRUST_200600_302600_NS6detail15normal_iteratorINS9_10device_ptrIiEEEENSB_INSC_IdEEEESG_dNS9_4plusIvEENS9_8equal_toIvEEdEE10hipError_tPvRmT2_T3_T4_T5_mT6_T7_P12ihipStream_tbENKUlT_T0_E_clISt17integral_constantIbLb0EES10_IbLb1EEEEDaSW_SX_EUlSW_E_NS1_11comp_targetILNS1_3genE9ELNS1_11target_archE1100ELNS1_3gpuE3ELNS1_3repE0EEENS1_30default_config_static_selectorELNS0_4arch9wavefront6targetE0EEEvT1_, .Lfunc_end1125-_ZN7rocprim17ROCPRIM_400000_NS6detail17trampoline_kernelINS0_14default_configENS1_27scan_by_key_config_selectorIidEEZZNS1_16scan_by_key_implILNS1_25lookback_scan_determinismE0ELb0ES3_N6thrust23THRUST_200600_302600_NS6detail15normal_iteratorINS9_10device_ptrIiEEEENSB_INSC_IdEEEESG_dNS9_4plusIvEENS9_8equal_toIvEEdEE10hipError_tPvRmT2_T3_T4_T5_mT6_T7_P12ihipStream_tbENKUlT_T0_E_clISt17integral_constantIbLb0EES10_IbLb1EEEEDaSW_SX_EUlSW_E_NS1_11comp_targetILNS1_3genE9ELNS1_11target_archE1100ELNS1_3gpuE3ELNS1_3repE0EEENS1_30default_config_static_selectorELNS0_4arch9wavefront6targetE0EEEvT1_
                                        ; -- End function
	.set _ZN7rocprim17ROCPRIM_400000_NS6detail17trampoline_kernelINS0_14default_configENS1_27scan_by_key_config_selectorIidEEZZNS1_16scan_by_key_implILNS1_25lookback_scan_determinismE0ELb0ES3_N6thrust23THRUST_200600_302600_NS6detail15normal_iteratorINS9_10device_ptrIiEEEENSB_INSC_IdEEEESG_dNS9_4plusIvEENS9_8equal_toIvEEdEE10hipError_tPvRmT2_T3_T4_T5_mT6_T7_P12ihipStream_tbENKUlT_T0_E_clISt17integral_constantIbLb0EES10_IbLb1EEEEDaSW_SX_EUlSW_E_NS1_11comp_targetILNS1_3genE9ELNS1_11target_archE1100ELNS1_3gpuE3ELNS1_3repE0EEENS1_30default_config_static_selectorELNS0_4arch9wavefront6targetE0EEEvT1_.num_vgpr, 0
	.set _ZN7rocprim17ROCPRIM_400000_NS6detail17trampoline_kernelINS0_14default_configENS1_27scan_by_key_config_selectorIidEEZZNS1_16scan_by_key_implILNS1_25lookback_scan_determinismE0ELb0ES3_N6thrust23THRUST_200600_302600_NS6detail15normal_iteratorINS9_10device_ptrIiEEEENSB_INSC_IdEEEESG_dNS9_4plusIvEENS9_8equal_toIvEEdEE10hipError_tPvRmT2_T3_T4_T5_mT6_T7_P12ihipStream_tbENKUlT_T0_E_clISt17integral_constantIbLb0EES10_IbLb1EEEEDaSW_SX_EUlSW_E_NS1_11comp_targetILNS1_3genE9ELNS1_11target_archE1100ELNS1_3gpuE3ELNS1_3repE0EEENS1_30default_config_static_selectorELNS0_4arch9wavefront6targetE0EEEvT1_.num_agpr, 0
	.set _ZN7rocprim17ROCPRIM_400000_NS6detail17trampoline_kernelINS0_14default_configENS1_27scan_by_key_config_selectorIidEEZZNS1_16scan_by_key_implILNS1_25lookback_scan_determinismE0ELb0ES3_N6thrust23THRUST_200600_302600_NS6detail15normal_iteratorINS9_10device_ptrIiEEEENSB_INSC_IdEEEESG_dNS9_4plusIvEENS9_8equal_toIvEEdEE10hipError_tPvRmT2_T3_T4_T5_mT6_T7_P12ihipStream_tbENKUlT_T0_E_clISt17integral_constantIbLb0EES10_IbLb1EEEEDaSW_SX_EUlSW_E_NS1_11comp_targetILNS1_3genE9ELNS1_11target_archE1100ELNS1_3gpuE3ELNS1_3repE0EEENS1_30default_config_static_selectorELNS0_4arch9wavefront6targetE0EEEvT1_.numbered_sgpr, 0
	.set _ZN7rocprim17ROCPRIM_400000_NS6detail17trampoline_kernelINS0_14default_configENS1_27scan_by_key_config_selectorIidEEZZNS1_16scan_by_key_implILNS1_25lookback_scan_determinismE0ELb0ES3_N6thrust23THRUST_200600_302600_NS6detail15normal_iteratorINS9_10device_ptrIiEEEENSB_INSC_IdEEEESG_dNS9_4plusIvEENS9_8equal_toIvEEdEE10hipError_tPvRmT2_T3_T4_T5_mT6_T7_P12ihipStream_tbENKUlT_T0_E_clISt17integral_constantIbLb0EES10_IbLb1EEEEDaSW_SX_EUlSW_E_NS1_11comp_targetILNS1_3genE9ELNS1_11target_archE1100ELNS1_3gpuE3ELNS1_3repE0EEENS1_30default_config_static_selectorELNS0_4arch9wavefront6targetE0EEEvT1_.num_named_barrier, 0
	.set _ZN7rocprim17ROCPRIM_400000_NS6detail17trampoline_kernelINS0_14default_configENS1_27scan_by_key_config_selectorIidEEZZNS1_16scan_by_key_implILNS1_25lookback_scan_determinismE0ELb0ES3_N6thrust23THRUST_200600_302600_NS6detail15normal_iteratorINS9_10device_ptrIiEEEENSB_INSC_IdEEEESG_dNS9_4plusIvEENS9_8equal_toIvEEdEE10hipError_tPvRmT2_T3_T4_T5_mT6_T7_P12ihipStream_tbENKUlT_T0_E_clISt17integral_constantIbLb0EES10_IbLb1EEEEDaSW_SX_EUlSW_E_NS1_11comp_targetILNS1_3genE9ELNS1_11target_archE1100ELNS1_3gpuE3ELNS1_3repE0EEENS1_30default_config_static_selectorELNS0_4arch9wavefront6targetE0EEEvT1_.private_seg_size, 0
	.set _ZN7rocprim17ROCPRIM_400000_NS6detail17trampoline_kernelINS0_14default_configENS1_27scan_by_key_config_selectorIidEEZZNS1_16scan_by_key_implILNS1_25lookback_scan_determinismE0ELb0ES3_N6thrust23THRUST_200600_302600_NS6detail15normal_iteratorINS9_10device_ptrIiEEEENSB_INSC_IdEEEESG_dNS9_4plusIvEENS9_8equal_toIvEEdEE10hipError_tPvRmT2_T3_T4_T5_mT6_T7_P12ihipStream_tbENKUlT_T0_E_clISt17integral_constantIbLb0EES10_IbLb1EEEEDaSW_SX_EUlSW_E_NS1_11comp_targetILNS1_3genE9ELNS1_11target_archE1100ELNS1_3gpuE3ELNS1_3repE0EEENS1_30default_config_static_selectorELNS0_4arch9wavefront6targetE0EEEvT1_.uses_vcc, 0
	.set _ZN7rocprim17ROCPRIM_400000_NS6detail17trampoline_kernelINS0_14default_configENS1_27scan_by_key_config_selectorIidEEZZNS1_16scan_by_key_implILNS1_25lookback_scan_determinismE0ELb0ES3_N6thrust23THRUST_200600_302600_NS6detail15normal_iteratorINS9_10device_ptrIiEEEENSB_INSC_IdEEEESG_dNS9_4plusIvEENS9_8equal_toIvEEdEE10hipError_tPvRmT2_T3_T4_T5_mT6_T7_P12ihipStream_tbENKUlT_T0_E_clISt17integral_constantIbLb0EES10_IbLb1EEEEDaSW_SX_EUlSW_E_NS1_11comp_targetILNS1_3genE9ELNS1_11target_archE1100ELNS1_3gpuE3ELNS1_3repE0EEENS1_30default_config_static_selectorELNS0_4arch9wavefront6targetE0EEEvT1_.uses_flat_scratch, 0
	.set _ZN7rocprim17ROCPRIM_400000_NS6detail17trampoline_kernelINS0_14default_configENS1_27scan_by_key_config_selectorIidEEZZNS1_16scan_by_key_implILNS1_25lookback_scan_determinismE0ELb0ES3_N6thrust23THRUST_200600_302600_NS6detail15normal_iteratorINS9_10device_ptrIiEEEENSB_INSC_IdEEEESG_dNS9_4plusIvEENS9_8equal_toIvEEdEE10hipError_tPvRmT2_T3_T4_T5_mT6_T7_P12ihipStream_tbENKUlT_T0_E_clISt17integral_constantIbLb0EES10_IbLb1EEEEDaSW_SX_EUlSW_E_NS1_11comp_targetILNS1_3genE9ELNS1_11target_archE1100ELNS1_3gpuE3ELNS1_3repE0EEENS1_30default_config_static_selectorELNS0_4arch9wavefront6targetE0EEEvT1_.has_dyn_sized_stack, 0
	.set _ZN7rocprim17ROCPRIM_400000_NS6detail17trampoline_kernelINS0_14default_configENS1_27scan_by_key_config_selectorIidEEZZNS1_16scan_by_key_implILNS1_25lookback_scan_determinismE0ELb0ES3_N6thrust23THRUST_200600_302600_NS6detail15normal_iteratorINS9_10device_ptrIiEEEENSB_INSC_IdEEEESG_dNS9_4plusIvEENS9_8equal_toIvEEdEE10hipError_tPvRmT2_T3_T4_T5_mT6_T7_P12ihipStream_tbENKUlT_T0_E_clISt17integral_constantIbLb0EES10_IbLb1EEEEDaSW_SX_EUlSW_E_NS1_11comp_targetILNS1_3genE9ELNS1_11target_archE1100ELNS1_3gpuE3ELNS1_3repE0EEENS1_30default_config_static_selectorELNS0_4arch9wavefront6targetE0EEEvT1_.has_recursion, 0
	.set _ZN7rocprim17ROCPRIM_400000_NS6detail17trampoline_kernelINS0_14default_configENS1_27scan_by_key_config_selectorIidEEZZNS1_16scan_by_key_implILNS1_25lookback_scan_determinismE0ELb0ES3_N6thrust23THRUST_200600_302600_NS6detail15normal_iteratorINS9_10device_ptrIiEEEENSB_INSC_IdEEEESG_dNS9_4plusIvEENS9_8equal_toIvEEdEE10hipError_tPvRmT2_T3_T4_T5_mT6_T7_P12ihipStream_tbENKUlT_T0_E_clISt17integral_constantIbLb0EES10_IbLb1EEEEDaSW_SX_EUlSW_E_NS1_11comp_targetILNS1_3genE9ELNS1_11target_archE1100ELNS1_3gpuE3ELNS1_3repE0EEENS1_30default_config_static_selectorELNS0_4arch9wavefront6targetE0EEEvT1_.has_indirect_call, 0
	.section	.AMDGPU.csdata,"",@progbits
; Kernel info:
; codeLenInByte = 0
; TotalNumSgprs: 0
; NumVgprs: 0
; ScratchSize: 0
; MemoryBound: 0
; FloatMode: 240
; IeeeMode: 1
; LDSByteSize: 0 bytes/workgroup (compile time only)
; SGPRBlocks: 0
; VGPRBlocks: 0
; NumSGPRsForWavesPerEU: 1
; NumVGPRsForWavesPerEU: 1
; NamedBarCnt: 0
; Occupancy: 16
; WaveLimiterHint : 0
; COMPUTE_PGM_RSRC2:SCRATCH_EN: 0
; COMPUTE_PGM_RSRC2:USER_SGPR: 2
; COMPUTE_PGM_RSRC2:TRAP_HANDLER: 0
; COMPUTE_PGM_RSRC2:TGID_X_EN: 1
; COMPUTE_PGM_RSRC2:TGID_Y_EN: 0
; COMPUTE_PGM_RSRC2:TGID_Z_EN: 0
; COMPUTE_PGM_RSRC2:TIDIG_COMP_CNT: 0
	.section	.text._ZN7rocprim17ROCPRIM_400000_NS6detail17trampoline_kernelINS0_14default_configENS1_27scan_by_key_config_selectorIidEEZZNS1_16scan_by_key_implILNS1_25lookback_scan_determinismE0ELb0ES3_N6thrust23THRUST_200600_302600_NS6detail15normal_iteratorINS9_10device_ptrIiEEEENSB_INSC_IdEEEESG_dNS9_4plusIvEENS9_8equal_toIvEEdEE10hipError_tPvRmT2_T3_T4_T5_mT6_T7_P12ihipStream_tbENKUlT_T0_E_clISt17integral_constantIbLb0EES10_IbLb1EEEEDaSW_SX_EUlSW_E_NS1_11comp_targetILNS1_3genE8ELNS1_11target_archE1030ELNS1_3gpuE2ELNS1_3repE0EEENS1_30default_config_static_selectorELNS0_4arch9wavefront6targetE0EEEvT1_,"axG",@progbits,_ZN7rocprim17ROCPRIM_400000_NS6detail17trampoline_kernelINS0_14default_configENS1_27scan_by_key_config_selectorIidEEZZNS1_16scan_by_key_implILNS1_25lookback_scan_determinismE0ELb0ES3_N6thrust23THRUST_200600_302600_NS6detail15normal_iteratorINS9_10device_ptrIiEEEENSB_INSC_IdEEEESG_dNS9_4plusIvEENS9_8equal_toIvEEdEE10hipError_tPvRmT2_T3_T4_T5_mT6_T7_P12ihipStream_tbENKUlT_T0_E_clISt17integral_constantIbLb0EES10_IbLb1EEEEDaSW_SX_EUlSW_E_NS1_11comp_targetILNS1_3genE8ELNS1_11target_archE1030ELNS1_3gpuE2ELNS1_3repE0EEENS1_30default_config_static_selectorELNS0_4arch9wavefront6targetE0EEEvT1_,comdat
	.protected	_ZN7rocprim17ROCPRIM_400000_NS6detail17trampoline_kernelINS0_14default_configENS1_27scan_by_key_config_selectorIidEEZZNS1_16scan_by_key_implILNS1_25lookback_scan_determinismE0ELb0ES3_N6thrust23THRUST_200600_302600_NS6detail15normal_iteratorINS9_10device_ptrIiEEEENSB_INSC_IdEEEESG_dNS9_4plusIvEENS9_8equal_toIvEEdEE10hipError_tPvRmT2_T3_T4_T5_mT6_T7_P12ihipStream_tbENKUlT_T0_E_clISt17integral_constantIbLb0EES10_IbLb1EEEEDaSW_SX_EUlSW_E_NS1_11comp_targetILNS1_3genE8ELNS1_11target_archE1030ELNS1_3gpuE2ELNS1_3repE0EEENS1_30default_config_static_selectorELNS0_4arch9wavefront6targetE0EEEvT1_ ; -- Begin function _ZN7rocprim17ROCPRIM_400000_NS6detail17trampoline_kernelINS0_14default_configENS1_27scan_by_key_config_selectorIidEEZZNS1_16scan_by_key_implILNS1_25lookback_scan_determinismE0ELb0ES3_N6thrust23THRUST_200600_302600_NS6detail15normal_iteratorINS9_10device_ptrIiEEEENSB_INSC_IdEEEESG_dNS9_4plusIvEENS9_8equal_toIvEEdEE10hipError_tPvRmT2_T3_T4_T5_mT6_T7_P12ihipStream_tbENKUlT_T0_E_clISt17integral_constantIbLb0EES10_IbLb1EEEEDaSW_SX_EUlSW_E_NS1_11comp_targetILNS1_3genE8ELNS1_11target_archE1030ELNS1_3gpuE2ELNS1_3repE0EEENS1_30default_config_static_selectorELNS0_4arch9wavefront6targetE0EEEvT1_
	.globl	_ZN7rocprim17ROCPRIM_400000_NS6detail17trampoline_kernelINS0_14default_configENS1_27scan_by_key_config_selectorIidEEZZNS1_16scan_by_key_implILNS1_25lookback_scan_determinismE0ELb0ES3_N6thrust23THRUST_200600_302600_NS6detail15normal_iteratorINS9_10device_ptrIiEEEENSB_INSC_IdEEEESG_dNS9_4plusIvEENS9_8equal_toIvEEdEE10hipError_tPvRmT2_T3_T4_T5_mT6_T7_P12ihipStream_tbENKUlT_T0_E_clISt17integral_constantIbLb0EES10_IbLb1EEEEDaSW_SX_EUlSW_E_NS1_11comp_targetILNS1_3genE8ELNS1_11target_archE1030ELNS1_3gpuE2ELNS1_3repE0EEENS1_30default_config_static_selectorELNS0_4arch9wavefront6targetE0EEEvT1_
	.p2align	8
	.type	_ZN7rocprim17ROCPRIM_400000_NS6detail17trampoline_kernelINS0_14default_configENS1_27scan_by_key_config_selectorIidEEZZNS1_16scan_by_key_implILNS1_25lookback_scan_determinismE0ELb0ES3_N6thrust23THRUST_200600_302600_NS6detail15normal_iteratorINS9_10device_ptrIiEEEENSB_INSC_IdEEEESG_dNS9_4plusIvEENS9_8equal_toIvEEdEE10hipError_tPvRmT2_T3_T4_T5_mT6_T7_P12ihipStream_tbENKUlT_T0_E_clISt17integral_constantIbLb0EES10_IbLb1EEEEDaSW_SX_EUlSW_E_NS1_11comp_targetILNS1_3genE8ELNS1_11target_archE1030ELNS1_3gpuE2ELNS1_3repE0EEENS1_30default_config_static_selectorELNS0_4arch9wavefront6targetE0EEEvT1_,@function
_ZN7rocprim17ROCPRIM_400000_NS6detail17trampoline_kernelINS0_14default_configENS1_27scan_by_key_config_selectorIidEEZZNS1_16scan_by_key_implILNS1_25lookback_scan_determinismE0ELb0ES3_N6thrust23THRUST_200600_302600_NS6detail15normal_iteratorINS9_10device_ptrIiEEEENSB_INSC_IdEEEESG_dNS9_4plusIvEENS9_8equal_toIvEEdEE10hipError_tPvRmT2_T3_T4_T5_mT6_T7_P12ihipStream_tbENKUlT_T0_E_clISt17integral_constantIbLb0EES10_IbLb1EEEEDaSW_SX_EUlSW_E_NS1_11comp_targetILNS1_3genE8ELNS1_11target_archE1030ELNS1_3gpuE2ELNS1_3repE0EEENS1_30default_config_static_selectorELNS0_4arch9wavefront6targetE0EEEvT1_: ; @_ZN7rocprim17ROCPRIM_400000_NS6detail17trampoline_kernelINS0_14default_configENS1_27scan_by_key_config_selectorIidEEZZNS1_16scan_by_key_implILNS1_25lookback_scan_determinismE0ELb0ES3_N6thrust23THRUST_200600_302600_NS6detail15normal_iteratorINS9_10device_ptrIiEEEENSB_INSC_IdEEEESG_dNS9_4plusIvEENS9_8equal_toIvEEdEE10hipError_tPvRmT2_T3_T4_T5_mT6_T7_P12ihipStream_tbENKUlT_T0_E_clISt17integral_constantIbLb0EES10_IbLb1EEEEDaSW_SX_EUlSW_E_NS1_11comp_targetILNS1_3genE8ELNS1_11target_archE1030ELNS1_3gpuE2ELNS1_3repE0EEENS1_30default_config_static_selectorELNS0_4arch9wavefront6targetE0EEEvT1_
; %bb.0:
	.section	.rodata,"a",@progbits
	.p2align	6, 0x0
	.amdhsa_kernel _ZN7rocprim17ROCPRIM_400000_NS6detail17trampoline_kernelINS0_14default_configENS1_27scan_by_key_config_selectorIidEEZZNS1_16scan_by_key_implILNS1_25lookback_scan_determinismE0ELb0ES3_N6thrust23THRUST_200600_302600_NS6detail15normal_iteratorINS9_10device_ptrIiEEEENSB_INSC_IdEEEESG_dNS9_4plusIvEENS9_8equal_toIvEEdEE10hipError_tPvRmT2_T3_T4_T5_mT6_T7_P12ihipStream_tbENKUlT_T0_E_clISt17integral_constantIbLb0EES10_IbLb1EEEEDaSW_SX_EUlSW_E_NS1_11comp_targetILNS1_3genE8ELNS1_11target_archE1030ELNS1_3gpuE2ELNS1_3repE0EEENS1_30default_config_static_selectorELNS0_4arch9wavefront6targetE0EEEvT1_
		.amdhsa_group_segment_fixed_size 0
		.amdhsa_private_segment_fixed_size 0
		.amdhsa_kernarg_size 136
		.amdhsa_user_sgpr_count 2
		.amdhsa_user_sgpr_dispatch_ptr 0
		.amdhsa_user_sgpr_queue_ptr 0
		.amdhsa_user_sgpr_kernarg_segment_ptr 1
		.amdhsa_user_sgpr_dispatch_id 0
		.amdhsa_user_sgpr_kernarg_preload_length 0
		.amdhsa_user_sgpr_kernarg_preload_offset 0
		.amdhsa_user_sgpr_private_segment_size 0
		.amdhsa_wavefront_size32 1
		.amdhsa_uses_dynamic_stack 0
		.amdhsa_enable_private_segment 0
		.amdhsa_system_sgpr_workgroup_id_x 1
		.amdhsa_system_sgpr_workgroup_id_y 0
		.amdhsa_system_sgpr_workgroup_id_z 0
		.amdhsa_system_sgpr_workgroup_info 0
		.amdhsa_system_vgpr_workitem_id 0
		.amdhsa_next_free_vgpr 1
		.amdhsa_next_free_sgpr 1
		.amdhsa_named_barrier_count 0
		.amdhsa_reserve_vcc 0
		.amdhsa_float_round_mode_32 0
		.amdhsa_float_round_mode_16_64 0
		.amdhsa_float_denorm_mode_32 3
		.amdhsa_float_denorm_mode_16_64 3
		.amdhsa_fp16_overflow 0
		.amdhsa_memory_ordered 1
		.amdhsa_forward_progress 1
		.amdhsa_inst_pref_size 0
		.amdhsa_round_robin_scheduling 0
		.amdhsa_exception_fp_ieee_invalid_op 0
		.amdhsa_exception_fp_denorm_src 0
		.amdhsa_exception_fp_ieee_div_zero 0
		.amdhsa_exception_fp_ieee_overflow 0
		.amdhsa_exception_fp_ieee_underflow 0
		.amdhsa_exception_fp_ieee_inexact 0
		.amdhsa_exception_int_div_zero 0
	.end_amdhsa_kernel
	.section	.text._ZN7rocprim17ROCPRIM_400000_NS6detail17trampoline_kernelINS0_14default_configENS1_27scan_by_key_config_selectorIidEEZZNS1_16scan_by_key_implILNS1_25lookback_scan_determinismE0ELb0ES3_N6thrust23THRUST_200600_302600_NS6detail15normal_iteratorINS9_10device_ptrIiEEEENSB_INSC_IdEEEESG_dNS9_4plusIvEENS9_8equal_toIvEEdEE10hipError_tPvRmT2_T3_T4_T5_mT6_T7_P12ihipStream_tbENKUlT_T0_E_clISt17integral_constantIbLb0EES10_IbLb1EEEEDaSW_SX_EUlSW_E_NS1_11comp_targetILNS1_3genE8ELNS1_11target_archE1030ELNS1_3gpuE2ELNS1_3repE0EEENS1_30default_config_static_selectorELNS0_4arch9wavefront6targetE0EEEvT1_,"axG",@progbits,_ZN7rocprim17ROCPRIM_400000_NS6detail17trampoline_kernelINS0_14default_configENS1_27scan_by_key_config_selectorIidEEZZNS1_16scan_by_key_implILNS1_25lookback_scan_determinismE0ELb0ES3_N6thrust23THRUST_200600_302600_NS6detail15normal_iteratorINS9_10device_ptrIiEEEENSB_INSC_IdEEEESG_dNS9_4plusIvEENS9_8equal_toIvEEdEE10hipError_tPvRmT2_T3_T4_T5_mT6_T7_P12ihipStream_tbENKUlT_T0_E_clISt17integral_constantIbLb0EES10_IbLb1EEEEDaSW_SX_EUlSW_E_NS1_11comp_targetILNS1_3genE8ELNS1_11target_archE1030ELNS1_3gpuE2ELNS1_3repE0EEENS1_30default_config_static_selectorELNS0_4arch9wavefront6targetE0EEEvT1_,comdat
.Lfunc_end1126:
	.size	_ZN7rocprim17ROCPRIM_400000_NS6detail17trampoline_kernelINS0_14default_configENS1_27scan_by_key_config_selectorIidEEZZNS1_16scan_by_key_implILNS1_25lookback_scan_determinismE0ELb0ES3_N6thrust23THRUST_200600_302600_NS6detail15normal_iteratorINS9_10device_ptrIiEEEENSB_INSC_IdEEEESG_dNS9_4plusIvEENS9_8equal_toIvEEdEE10hipError_tPvRmT2_T3_T4_T5_mT6_T7_P12ihipStream_tbENKUlT_T0_E_clISt17integral_constantIbLb0EES10_IbLb1EEEEDaSW_SX_EUlSW_E_NS1_11comp_targetILNS1_3genE8ELNS1_11target_archE1030ELNS1_3gpuE2ELNS1_3repE0EEENS1_30default_config_static_selectorELNS0_4arch9wavefront6targetE0EEEvT1_, .Lfunc_end1126-_ZN7rocprim17ROCPRIM_400000_NS6detail17trampoline_kernelINS0_14default_configENS1_27scan_by_key_config_selectorIidEEZZNS1_16scan_by_key_implILNS1_25lookback_scan_determinismE0ELb0ES3_N6thrust23THRUST_200600_302600_NS6detail15normal_iteratorINS9_10device_ptrIiEEEENSB_INSC_IdEEEESG_dNS9_4plusIvEENS9_8equal_toIvEEdEE10hipError_tPvRmT2_T3_T4_T5_mT6_T7_P12ihipStream_tbENKUlT_T0_E_clISt17integral_constantIbLb0EES10_IbLb1EEEEDaSW_SX_EUlSW_E_NS1_11comp_targetILNS1_3genE8ELNS1_11target_archE1030ELNS1_3gpuE2ELNS1_3repE0EEENS1_30default_config_static_selectorELNS0_4arch9wavefront6targetE0EEEvT1_
                                        ; -- End function
	.set _ZN7rocprim17ROCPRIM_400000_NS6detail17trampoline_kernelINS0_14default_configENS1_27scan_by_key_config_selectorIidEEZZNS1_16scan_by_key_implILNS1_25lookback_scan_determinismE0ELb0ES3_N6thrust23THRUST_200600_302600_NS6detail15normal_iteratorINS9_10device_ptrIiEEEENSB_INSC_IdEEEESG_dNS9_4plusIvEENS9_8equal_toIvEEdEE10hipError_tPvRmT2_T3_T4_T5_mT6_T7_P12ihipStream_tbENKUlT_T0_E_clISt17integral_constantIbLb0EES10_IbLb1EEEEDaSW_SX_EUlSW_E_NS1_11comp_targetILNS1_3genE8ELNS1_11target_archE1030ELNS1_3gpuE2ELNS1_3repE0EEENS1_30default_config_static_selectorELNS0_4arch9wavefront6targetE0EEEvT1_.num_vgpr, 0
	.set _ZN7rocprim17ROCPRIM_400000_NS6detail17trampoline_kernelINS0_14default_configENS1_27scan_by_key_config_selectorIidEEZZNS1_16scan_by_key_implILNS1_25lookback_scan_determinismE0ELb0ES3_N6thrust23THRUST_200600_302600_NS6detail15normal_iteratorINS9_10device_ptrIiEEEENSB_INSC_IdEEEESG_dNS9_4plusIvEENS9_8equal_toIvEEdEE10hipError_tPvRmT2_T3_T4_T5_mT6_T7_P12ihipStream_tbENKUlT_T0_E_clISt17integral_constantIbLb0EES10_IbLb1EEEEDaSW_SX_EUlSW_E_NS1_11comp_targetILNS1_3genE8ELNS1_11target_archE1030ELNS1_3gpuE2ELNS1_3repE0EEENS1_30default_config_static_selectorELNS0_4arch9wavefront6targetE0EEEvT1_.num_agpr, 0
	.set _ZN7rocprim17ROCPRIM_400000_NS6detail17trampoline_kernelINS0_14default_configENS1_27scan_by_key_config_selectorIidEEZZNS1_16scan_by_key_implILNS1_25lookback_scan_determinismE0ELb0ES3_N6thrust23THRUST_200600_302600_NS6detail15normal_iteratorINS9_10device_ptrIiEEEENSB_INSC_IdEEEESG_dNS9_4plusIvEENS9_8equal_toIvEEdEE10hipError_tPvRmT2_T3_T4_T5_mT6_T7_P12ihipStream_tbENKUlT_T0_E_clISt17integral_constantIbLb0EES10_IbLb1EEEEDaSW_SX_EUlSW_E_NS1_11comp_targetILNS1_3genE8ELNS1_11target_archE1030ELNS1_3gpuE2ELNS1_3repE0EEENS1_30default_config_static_selectorELNS0_4arch9wavefront6targetE0EEEvT1_.numbered_sgpr, 0
	.set _ZN7rocprim17ROCPRIM_400000_NS6detail17trampoline_kernelINS0_14default_configENS1_27scan_by_key_config_selectorIidEEZZNS1_16scan_by_key_implILNS1_25lookback_scan_determinismE0ELb0ES3_N6thrust23THRUST_200600_302600_NS6detail15normal_iteratorINS9_10device_ptrIiEEEENSB_INSC_IdEEEESG_dNS9_4plusIvEENS9_8equal_toIvEEdEE10hipError_tPvRmT2_T3_T4_T5_mT6_T7_P12ihipStream_tbENKUlT_T0_E_clISt17integral_constantIbLb0EES10_IbLb1EEEEDaSW_SX_EUlSW_E_NS1_11comp_targetILNS1_3genE8ELNS1_11target_archE1030ELNS1_3gpuE2ELNS1_3repE0EEENS1_30default_config_static_selectorELNS0_4arch9wavefront6targetE0EEEvT1_.num_named_barrier, 0
	.set _ZN7rocprim17ROCPRIM_400000_NS6detail17trampoline_kernelINS0_14default_configENS1_27scan_by_key_config_selectorIidEEZZNS1_16scan_by_key_implILNS1_25lookback_scan_determinismE0ELb0ES3_N6thrust23THRUST_200600_302600_NS6detail15normal_iteratorINS9_10device_ptrIiEEEENSB_INSC_IdEEEESG_dNS9_4plusIvEENS9_8equal_toIvEEdEE10hipError_tPvRmT2_T3_T4_T5_mT6_T7_P12ihipStream_tbENKUlT_T0_E_clISt17integral_constantIbLb0EES10_IbLb1EEEEDaSW_SX_EUlSW_E_NS1_11comp_targetILNS1_3genE8ELNS1_11target_archE1030ELNS1_3gpuE2ELNS1_3repE0EEENS1_30default_config_static_selectorELNS0_4arch9wavefront6targetE0EEEvT1_.private_seg_size, 0
	.set _ZN7rocprim17ROCPRIM_400000_NS6detail17trampoline_kernelINS0_14default_configENS1_27scan_by_key_config_selectorIidEEZZNS1_16scan_by_key_implILNS1_25lookback_scan_determinismE0ELb0ES3_N6thrust23THRUST_200600_302600_NS6detail15normal_iteratorINS9_10device_ptrIiEEEENSB_INSC_IdEEEESG_dNS9_4plusIvEENS9_8equal_toIvEEdEE10hipError_tPvRmT2_T3_T4_T5_mT6_T7_P12ihipStream_tbENKUlT_T0_E_clISt17integral_constantIbLb0EES10_IbLb1EEEEDaSW_SX_EUlSW_E_NS1_11comp_targetILNS1_3genE8ELNS1_11target_archE1030ELNS1_3gpuE2ELNS1_3repE0EEENS1_30default_config_static_selectorELNS0_4arch9wavefront6targetE0EEEvT1_.uses_vcc, 0
	.set _ZN7rocprim17ROCPRIM_400000_NS6detail17trampoline_kernelINS0_14default_configENS1_27scan_by_key_config_selectorIidEEZZNS1_16scan_by_key_implILNS1_25lookback_scan_determinismE0ELb0ES3_N6thrust23THRUST_200600_302600_NS6detail15normal_iteratorINS9_10device_ptrIiEEEENSB_INSC_IdEEEESG_dNS9_4plusIvEENS9_8equal_toIvEEdEE10hipError_tPvRmT2_T3_T4_T5_mT6_T7_P12ihipStream_tbENKUlT_T0_E_clISt17integral_constantIbLb0EES10_IbLb1EEEEDaSW_SX_EUlSW_E_NS1_11comp_targetILNS1_3genE8ELNS1_11target_archE1030ELNS1_3gpuE2ELNS1_3repE0EEENS1_30default_config_static_selectorELNS0_4arch9wavefront6targetE0EEEvT1_.uses_flat_scratch, 0
	.set _ZN7rocprim17ROCPRIM_400000_NS6detail17trampoline_kernelINS0_14default_configENS1_27scan_by_key_config_selectorIidEEZZNS1_16scan_by_key_implILNS1_25lookback_scan_determinismE0ELb0ES3_N6thrust23THRUST_200600_302600_NS6detail15normal_iteratorINS9_10device_ptrIiEEEENSB_INSC_IdEEEESG_dNS9_4plusIvEENS9_8equal_toIvEEdEE10hipError_tPvRmT2_T3_T4_T5_mT6_T7_P12ihipStream_tbENKUlT_T0_E_clISt17integral_constantIbLb0EES10_IbLb1EEEEDaSW_SX_EUlSW_E_NS1_11comp_targetILNS1_3genE8ELNS1_11target_archE1030ELNS1_3gpuE2ELNS1_3repE0EEENS1_30default_config_static_selectorELNS0_4arch9wavefront6targetE0EEEvT1_.has_dyn_sized_stack, 0
	.set _ZN7rocprim17ROCPRIM_400000_NS6detail17trampoline_kernelINS0_14default_configENS1_27scan_by_key_config_selectorIidEEZZNS1_16scan_by_key_implILNS1_25lookback_scan_determinismE0ELb0ES3_N6thrust23THRUST_200600_302600_NS6detail15normal_iteratorINS9_10device_ptrIiEEEENSB_INSC_IdEEEESG_dNS9_4plusIvEENS9_8equal_toIvEEdEE10hipError_tPvRmT2_T3_T4_T5_mT6_T7_P12ihipStream_tbENKUlT_T0_E_clISt17integral_constantIbLb0EES10_IbLb1EEEEDaSW_SX_EUlSW_E_NS1_11comp_targetILNS1_3genE8ELNS1_11target_archE1030ELNS1_3gpuE2ELNS1_3repE0EEENS1_30default_config_static_selectorELNS0_4arch9wavefront6targetE0EEEvT1_.has_recursion, 0
	.set _ZN7rocprim17ROCPRIM_400000_NS6detail17trampoline_kernelINS0_14default_configENS1_27scan_by_key_config_selectorIidEEZZNS1_16scan_by_key_implILNS1_25lookback_scan_determinismE0ELb0ES3_N6thrust23THRUST_200600_302600_NS6detail15normal_iteratorINS9_10device_ptrIiEEEENSB_INSC_IdEEEESG_dNS9_4plusIvEENS9_8equal_toIvEEdEE10hipError_tPvRmT2_T3_T4_T5_mT6_T7_P12ihipStream_tbENKUlT_T0_E_clISt17integral_constantIbLb0EES10_IbLb1EEEEDaSW_SX_EUlSW_E_NS1_11comp_targetILNS1_3genE8ELNS1_11target_archE1030ELNS1_3gpuE2ELNS1_3repE0EEENS1_30default_config_static_selectorELNS0_4arch9wavefront6targetE0EEEvT1_.has_indirect_call, 0
	.section	.AMDGPU.csdata,"",@progbits
; Kernel info:
; codeLenInByte = 0
; TotalNumSgprs: 0
; NumVgprs: 0
; ScratchSize: 0
; MemoryBound: 0
; FloatMode: 240
; IeeeMode: 1
; LDSByteSize: 0 bytes/workgroup (compile time only)
; SGPRBlocks: 0
; VGPRBlocks: 0
; NumSGPRsForWavesPerEU: 1
; NumVGPRsForWavesPerEU: 1
; NamedBarCnt: 0
; Occupancy: 16
; WaveLimiterHint : 0
; COMPUTE_PGM_RSRC2:SCRATCH_EN: 0
; COMPUTE_PGM_RSRC2:USER_SGPR: 2
; COMPUTE_PGM_RSRC2:TRAP_HANDLER: 0
; COMPUTE_PGM_RSRC2:TGID_X_EN: 1
; COMPUTE_PGM_RSRC2:TGID_Y_EN: 0
; COMPUTE_PGM_RSRC2:TGID_Z_EN: 0
; COMPUTE_PGM_RSRC2:TIDIG_COMP_CNT: 0
	.section	.text._ZN6thrust23THRUST_200600_302600_NS11hip_rocprim14__parallel_for6kernelILj256ENS1_11__transform17unary_transform_fINS0_7pointerIiNS1_3tagENS0_11use_defaultES8_EENS0_10device_ptrIfEENS4_14no_stencil_tagENS0_8identityIiEENS4_21always_true_predicateEEElLj1EEEvT0_T1_SI_,"axG",@progbits,_ZN6thrust23THRUST_200600_302600_NS11hip_rocprim14__parallel_for6kernelILj256ENS1_11__transform17unary_transform_fINS0_7pointerIiNS1_3tagENS0_11use_defaultES8_EENS0_10device_ptrIfEENS4_14no_stencil_tagENS0_8identityIiEENS4_21always_true_predicateEEElLj1EEEvT0_T1_SI_,comdat
	.protected	_ZN6thrust23THRUST_200600_302600_NS11hip_rocprim14__parallel_for6kernelILj256ENS1_11__transform17unary_transform_fINS0_7pointerIiNS1_3tagENS0_11use_defaultES8_EENS0_10device_ptrIfEENS4_14no_stencil_tagENS0_8identityIiEENS4_21always_true_predicateEEElLj1EEEvT0_T1_SI_ ; -- Begin function _ZN6thrust23THRUST_200600_302600_NS11hip_rocprim14__parallel_for6kernelILj256ENS1_11__transform17unary_transform_fINS0_7pointerIiNS1_3tagENS0_11use_defaultES8_EENS0_10device_ptrIfEENS4_14no_stencil_tagENS0_8identityIiEENS4_21always_true_predicateEEElLj1EEEvT0_T1_SI_
	.globl	_ZN6thrust23THRUST_200600_302600_NS11hip_rocprim14__parallel_for6kernelILj256ENS1_11__transform17unary_transform_fINS0_7pointerIiNS1_3tagENS0_11use_defaultES8_EENS0_10device_ptrIfEENS4_14no_stencil_tagENS0_8identityIiEENS4_21always_true_predicateEEElLj1EEEvT0_T1_SI_
	.p2align	8
	.type	_ZN6thrust23THRUST_200600_302600_NS11hip_rocprim14__parallel_for6kernelILj256ENS1_11__transform17unary_transform_fINS0_7pointerIiNS1_3tagENS0_11use_defaultES8_EENS0_10device_ptrIfEENS4_14no_stencil_tagENS0_8identityIiEENS4_21always_true_predicateEEElLj1EEEvT0_T1_SI_,@function
_ZN6thrust23THRUST_200600_302600_NS11hip_rocprim14__parallel_for6kernelILj256ENS1_11__transform17unary_transform_fINS0_7pointerIiNS1_3tagENS0_11use_defaultES8_EENS0_10device_ptrIfEENS4_14no_stencil_tagENS0_8identityIiEENS4_21always_true_predicateEEElLj1EEEvT0_T1_SI_: ; @_ZN6thrust23THRUST_200600_302600_NS11hip_rocprim14__parallel_for6kernelILj256ENS1_11__transform17unary_transform_fINS0_7pointerIiNS1_3tagENS0_11use_defaultES8_EENS0_10device_ptrIfEENS4_14no_stencil_tagENS0_8identityIiEENS4_21always_true_predicateEEElLj1EEEvT0_T1_SI_
; %bb.0:
	s_load_b128 s[4:7], s[0:1], 0x18
	s_bfe_u32 s2, ttmp6, 0x4000c
	s_and_b32 s3, ttmp6, 15
	s_add_co_i32 s2, s2, 1
	s_getreg_b32 s8, hwreg(HW_REG_IB_STS2, 6, 4)
	s_mul_i32 s2, ttmp9, s2
	s_delay_alu instid0(SALU_CYCLE_1)
	s_add_co_i32 s3, s3, s2
	s_cmp_eq_u32 s8, 0
	s_cselect_b32 s2, ttmp9, s3
	s_mov_b32 s3, 0
	s_lshl_b32 s2, s2, 8
	s_wait_kmcnt 0x0
	s_add_nc_u64 s[2:3], s[6:7], s[2:3]
	s_delay_alu instid0(SALU_CYCLE_1) | instskip(NEXT) | instid1(SALU_CYCLE_1)
	s_sub_nc_u64 s[4:5], s[4:5], s[2:3]
	v_min_i64 v[2:3], 0x100, s[4:5]
	s_load_b128 s[4:7], s[0:1], 0x0
	s_wait_xcnt 0x0
	s_mov_b32 s0, -1
	s_delay_alu instid0(VALU_DEP_1)
	v_cmp_eq_u32_e32 vcc_lo, 0x100, v2
	s_cbranch_vccz .LBB1127_3
; %bb.1:
	s_and_not1_b32 vcc_lo, exec_lo, s0
	s_cbranch_vccz .LBB1127_6
.LBB1127_2:
	s_endpgm
.LBB1127_3:
	s_mov_b32 s0, exec_lo
	v_cmpx_lt_u32_e64 v0, v2
	s_cbranch_execz .LBB1127_5
; %bb.4:
	v_mov_b32_e32 v1, 0
	s_delay_alu instid0(VALU_DEP_1) | instskip(NEXT) | instid1(VALU_DEP_1)
	v_add_nc_u64_e32 v[2:3], s[2:3], v[0:1]
	v_lshlrev_b64_e32 v[2:3], 2, v[2:3]
	s_wait_kmcnt 0x0
	s_delay_alu instid0(VALU_DEP_1)
	v_add_nc_u64_e32 v[4:5], s[4:5], v[2:3]
	v_add_nc_u64_e32 v[2:3], s[6:7], v[2:3]
	flat_load_b32 v1, v[4:5]
	s_wait_loadcnt_dscnt 0x0
	v_cvt_f32_i32_e32 v1, v1
	flat_store_b32 v[2:3], v1
.LBB1127_5:
	s_wait_xcnt 0x0
	s_or_b32 exec_lo, exec_lo, s0
	s_cbranch_execnz .LBB1127_2
.LBB1127_6:
	v_mov_b32_e32 v1, 0
	s_delay_alu instid0(VALU_DEP_1) | instskip(NEXT) | instid1(VALU_DEP_1)
	v_add_nc_u64_e32 v[0:1], s[2:3], v[0:1]
	v_lshlrev_b64_e32 v[0:1], 2, v[0:1]
	s_wait_kmcnt 0x0
	s_delay_alu instid0(VALU_DEP_1)
	v_add_nc_u64_e32 v[2:3], s[4:5], v[0:1]
	v_add_nc_u64_e32 v[0:1], s[6:7], v[0:1]
	flat_load_b32 v2, v[2:3]
	s_wait_loadcnt_dscnt 0x0
	v_cvt_f32_i32_e32 v2, v2
	flat_store_b32 v[0:1], v2
	s_endpgm
	.section	.rodata,"a",@progbits
	.p2align	6, 0x0
	.amdhsa_kernel _ZN6thrust23THRUST_200600_302600_NS11hip_rocprim14__parallel_for6kernelILj256ENS1_11__transform17unary_transform_fINS0_7pointerIiNS1_3tagENS0_11use_defaultES8_EENS0_10device_ptrIfEENS4_14no_stencil_tagENS0_8identityIiEENS4_21always_true_predicateEEElLj1EEEvT0_T1_SI_
		.amdhsa_group_segment_fixed_size 0
		.amdhsa_private_segment_fixed_size 0
		.amdhsa_kernarg_size 40
		.amdhsa_user_sgpr_count 2
		.amdhsa_user_sgpr_dispatch_ptr 0
		.amdhsa_user_sgpr_queue_ptr 0
		.amdhsa_user_sgpr_kernarg_segment_ptr 1
		.amdhsa_user_sgpr_dispatch_id 0
		.amdhsa_user_sgpr_kernarg_preload_length 0
		.amdhsa_user_sgpr_kernarg_preload_offset 0
		.amdhsa_user_sgpr_private_segment_size 0
		.amdhsa_wavefront_size32 1
		.amdhsa_uses_dynamic_stack 0
		.amdhsa_enable_private_segment 0
		.amdhsa_system_sgpr_workgroup_id_x 1
		.amdhsa_system_sgpr_workgroup_id_y 0
		.amdhsa_system_sgpr_workgroup_id_z 0
		.amdhsa_system_sgpr_workgroup_info 0
		.amdhsa_system_vgpr_workitem_id 0
		.amdhsa_next_free_vgpr 6
		.amdhsa_next_free_sgpr 9
		.amdhsa_named_barrier_count 0
		.amdhsa_reserve_vcc 1
		.amdhsa_float_round_mode_32 0
		.amdhsa_float_round_mode_16_64 0
		.amdhsa_float_denorm_mode_32 3
		.amdhsa_float_denorm_mode_16_64 3
		.amdhsa_fp16_overflow 0
		.amdhsa_memory_ordered 1
		.amdhsa_forward_progress 1
		.amdhsa_inst_pref_size 3
		.amdhsa_round_robin_scheduling 0
		.amdhsa_exception_fp_ieee_invalid_op 0
		.amdhsa_exception_fp_denorm_src 0
		.amdhsa_exception_fp_ieee_div_zero 0
		.amdhsa_exception_fp_ieee_overflow 0
		.amdhsa_exception_fp_ieee_underflow 0
		.amdhsa_exception_fp_ieee_inexact 0
		.amdhsa_exception_int_div_zero 0
	.end_amdhsa_kernel
	.section	.text._ZN6thrust23THRUST_200600_302600_NS11hip_rocprim14__parallel_for6kernelILj256ENS1_11__transform17unary_transform_fINS0_7pointerIiNS1_3tagENS0_11use_defaultES8_EENS0_10device_ptrIfEENS4_14no_stencil_tagENS0_8identityIiEENS4_21always_true_predicateEEElLj1EEEvT0_T1_SI_,"axG",@progbits,_ZN6thrust23THRUST_200600_302600_NS11hip_rocprim14__parallel_for6kernelILj256ENS1_11__transform17unary_transform_fINS0_7pointerIiNS1_3tagENS0_11use_defaultES8_EENS0_10device_ptrIfEENS4_14no_stencil_tagENS0_8identityIiEENS4_21always_true_predicateEEElLj1EEEvT0_T1_SI_,comdat
.Lfunc_end1127:
	.size	_ZN6thrust23THRUST_200600_302600_NS11hip_rocprim14__parallel_for6kernelILj256ENS1_11__transform17unary_transform_fINS0_7pointerIiNS1_3tagENS0_11use_defaultES8_EENS0_10device_ptrIfEENS4_14no_stencil_tagENS0_8identityIiEENS4_21always_true_predicateEEElLj1EEEvT0_T1_SI_, .Lfunc_end1127-_ZN6thrust23THRUST_200600_302600_NS11hip_rocprim14__parallel_for6kernelILj256ENS1_11__transform17unary_transform_fINS0_7pointerIiNS1_3tagENS0_11use_defaultES8_EENS0_10device_ptrIfEENS4_14no_stencil_tagENS0_8identityIiEENS4_21always_true_predicateEEElLj1EEEvT0_T1_SI_
                                        ; -- End function
	.set _ZN6thrust23THRUST_200600_302600_NS11hip_rocprim14__parallel_for6kernelILj256ENS1_11__transform17unary_transform_fINS0_7pointerIiNS1_3tagENS0_11use_defaultES8_EENS0_10device_ptrIfEENS4_14no_stencil_tagENS0_8identityIiEENS4_21always_true_predicateEEElLj1EEEvT0_T1_SI_.num_vgpr, 6
	.set _ZN6thrust23THRUST_200600_302600_NS11hip_rocprim14__parallel_for6kernelILj256ENS1_11__transform17unary_transform_fINS0_7pointerIiNS1_3tagENS0_11use_defaultES8_EENS0_10device_ptrIfEENS4_14no_stencil_tagENS0_8identityIiEENS4_21always_true_predicateEEElLj1EEEvT0_T1_SI_.num_agpr, 0
	.set _ZN6thrust23THRUST_200600_302600_NS11hip_rocprim14__parallel_for6kernelILj256ENS1_11__transform17unary_transform_fINS0_7pointerIiNS1_3tagENS0_11use_defaultES8_EENS0_10device_ptrIfEENS4_14no_stencil_tagENS0_8identityIiEENS4_21always_true_predicateEEElLj1EEEvT0_T1_SI_.numbered_sgpr, 9
	.set _ZN6thrust23THRUST_200600_302600_NS11hip_rocprim14__parallel_for6kernelILj256ENS1_11__transform17unary_transform_fINS0_7pointerIiNS1_3tagENS0_11use_defaultES8_EENS0_10device_ptrIfEENS4_14no_stencil_tagENS0_8identityIiEENS4_21always_true_predicateEEElLj1EEEvT0_T1_SI_.num_named_barrier, 0
	.set _ZN6thrust23THRUST_200600_302600_NS11hip_rocprim14__parallel_for6kernelILj256ENS1_11__transform17unary_transform_fINS0_7pointerIiNS1_3tagENS0_11use_defaultES8_EENS0_10device_ptrIfEENS4_14no_stencil_tagENS0_8identityIiEENS4_21always_true_predicateEEElLj1EEEvT0_T1_SI_.private_seg_size, 0
	.set _ZN6thrust23THRUST_200600_302600_NS11hip_rocprim14__parallel_for6kernelILj256ENS1_11__transform17unary_transform_fINS0_7pointerIiNS1_3tagENS0_11use_defaultES8_EENS0_10device_ptrIfEENS4_14no_stencil_tagENS0_8identityIiEENS4_21always_true_predicateEEElLj1EEEvT0_T1_SI_.uses_vcc, 1
	.set _ZN6thrust23THRUST_200600_302600_NS11hip_rocprim14__parallel_for6kernelILj256ENS1_11__transform17unary_transform_fINS0_7pointerIiNS1_3tagENS0_11use_defaultES8_EENS0_10device_ptrIfEENS4_14no_stencil_tagENS0_8identityIiEENS4_21always_true_predicateEEElLj1EEEvT0_T1_SI_.uses_flat_scratch, 0
	.set _ZN6thrust23THRUST_200600_302600_NS11hip_rocprim14__parallel_for6kernelILj256ENS1_11__transform17unary_transform_fINS0_7pointerIiNS1_3tagENS0_11use_defaultES8_EENS0_10device_ptrIfEENS4_14no_stencil_tagENS0_8identityIiEENS4_21always_true_predicateEEElLj1EEEvT0_T1_SI_.has_dyn_sized_stack, 0
	.set _ZN6thrust23THRUST_200600_302600_NS11hip_rocprim14__parallel_for6kernelILj256ENS1_11__transform17unary_transform_fINS0_7pointerIiNS1_3tagENS0_11use_defaultES8_EENS0_10device_ptrIfEENS4_14no_stencil_tagENS0_8identityIiEENS4_21always_true_predicateEEElLj1EEEvT0_T1_SI_.has_recursion, 0
	.set _ZN6thrust23THRUST_200600_302600_NS11hip_rocprim14__parallel_for6kernelILj256ENS1_11__transform17unary_transform_fINS0_7pointerIiNS1_3tagENS0_11use_defaultES8_EENS0_10device_ptrIfEENS4_14no_stencil_tagENS0_8identityIiEENS4_21always_true_predicateEEElLj1EEEvT0_T1_SI_.has_indirect_call, 0
	.section	.AMDGPU.csdata,"",@progbits
; Kernel info:
; codeLenInByte = 288
; TotalNumSgprs: 11
; NumVgprs: 6
; ScratchSize: 0
; MemoryBound: 0
; FloatMode: 240
; IeeeMode: 1
; LDSByteSize: 0 bytes/workgroup (compile time only)
; SGPRBlocks: 0
; VGPRBlocks: 0
; NumSGPRsForWavesPerEU: 11
; NumVGPRsForWavesPerEU: 6
; NamedBarCnt: 0
; Occupancy: 16
; WaveLimiterHint : 0
; COMPUTE_PGM_RSRC2:SCRATCH_EN: 0
; COMPUTE_PGM_RSRC2:USER_SGPR: 2
; COMPUTE_PGM_RSRC2:TRAP_HANDLER: 0
; COMPUTE_PGM_RSRC2:TGID_X_EN: 1
; COMPUTE_PGM_RSRC2:TGID_Y_EN: 0
; COMPUTE_PGM_RSRC2:TGID_Z_EN: 0
; COMPUTE_PGM_RSRC2:TIDIG_COMP_CNT: 0
	.section	.text._ZN7rocprim17ROCPRIM_400000_NS6detail30init_device_scan_by_key_kernelINS1_19lookback_scan_stateINS0_5tupleIJfbEEELb0ELb1EEEN6thrust23THRUST_200600_302600_NS6detail15normal_iteratorINS8_10device_ptrIiEEEEjNS1_16block_id_wrapperIjLb0EEEEEvT_jjPNSG_10value_typeET0_PNSt15iterator_traitsISJ_E10value_typeEmT1_T2_,"axG",@progbits,_ZN7rocprim17ROCPRIM_400000_NS6detail30init_device_scan_by_key_kernelINS1_19lookback_scan_stateINS0_5tupleIJfbEEELb0ELb1EEEN6thrust23THRUST_200600_302600_NS6detail15normal_iteratorINS8_10device_ptrIiEEEEjNS1_16block_id_wrapperIjLb0EEEEEvT_jjPNSG_10value_typeET0_PNSt15iterator_traitsISJ_E10value_typeEmT1_T2_,comdat
	.protected	_ZN7rocprim17ROCPRIM_400000_NS6detail30init_device_scan_by_key_kernelINS1_19lookback_scan_stateINS0_5tupleIJfbEEELb0ELb1EEEN6thrust23THRUST_200600_302600_NS6detail15normal_iteratorINS8_10device_ptrIiEEEEjNS1_16block_id_wrapperIjLb0EEEEEvT_jjPNSG_10value_typeET0_PNSt15iterator_traitsISJ_E10value_typeEmT1_T2_ ; -- Begin function _ZN7rocprim17ROCPRIM_400000_NS6detail30init_device_scan_by_key_kernelINS1_19lookback_scan_stateINS0_5tupleIJfbEEELb0ELb1EEEN6thrust23THRUST_200600_302600_NS6detail15normal_iteratorINS8_10device_ptrIiEEEEjNS1_16block_id_wrapperIjLb0EEEEEvT_jjPNSG_10value_typeET0_PNSt15iterator_traitsISJ_E10value_typeEmT1_T2_
	.globl	_ZN7rocprim17ROCPRIM_400000_NS6detail30init_device_scan_by_key_kernelINS1_19lookback_scan_stateINS0_5tupleIJfbEEELb0ELb1EEEN6thrust23THRUST_200600_302600_NS6detail15normal_iteratorINS8_10device_ptrIiEEEEjNS1_16block_id_wrapperIjLb0EEEEEvT_jjPNSG_10value_typeET0_PNSt15iterator_traitsISJ_E10value_typeEmT1_T2_
	.p2align	8
	.type	_ZN7rocprim17ROCPRIM_400000_NS6detail30init_device_scan_by_key_kernelINS1_19lookback_scan_stateINS0_5tupleIJfbEEELb0ELb1EEEN6thrust23THRUST_200600_302600_NS6detail15normal_iteratorINS8_10device_ptrIiEEEEjNS1_16block_id_wrapperIjLb0EEEEEvT_jjPNSG_10value_typeET0_PNSt15iterator_traitsISJ_E10value_typeEmT1_T2_,@function
_ZN7rocprim17ROCPRIM_400000_NS6detail30init_device_scan_by_key_kernelINS1_19lookback_scan_stateINS0_5tupleIJfbEEELb0ELb1EEEN6thrust23THRUST_200600_302600_NS6detail15normal_iteratorINS8_10device_ptrIiEEEEjNS1_16block_id_wrapperIjLb0EEEEEvT_jjPNSG_10value_typeET0_PNSt15iterator_traitsISJ_E10value_typeEmT1_T2_: ; @_ZN7rocprim17ROCPRIM_400000_NS6detail30init_device_scan_by_key_kernelINS1_19lookback_scan_stateINS0_5tupleIJfbEEELb0ELb1EEEN6thrust23THRUST_200600_302600_NS6detail15normal_iteratorINS8_10device_ptrIiEEEEjNS1_16block_id_wrapperIjLb0EEEEEvT_jjPNSG_10value_typeET0_PNSt15iterator_traitsISJ_E10value_typeEmT1_T2_
; %bb.0:
	s_clause 0x2
	s_load_b32 s2, s[0:1], 0x44
	s_load_b32 s14, s[0:1], 0x38
	s_load_b256 s[4:11], s[0:1], 0x0
	s_bfe_u32 s3, ttmp6, 0x4000c
	s_and_b32 s12, ttmp6, 15
	s_add_co_i32 s3, s3, 1
	s_getreg_b32 s13, hwreg(HW_REG_IB_STS2, 6, 4)
	s_mul_i32 s3, ttmp9, s3
	s_delay_alu instid0(SALU_CYCLE_1)
	s_add_co_i32 s12, s12, s3
	s_wait_kmcnt 0x0
	s_and_b32 s15, s2, 0xffff
	s_cmp_eq_u32 s13, 0
	s_cselect_b32 s2, ttmp9, s12
	s_cmp_eq_u64 s[8:9], 0
	v_mad_u32 v4, s2, s15, v0
	s_cbranch_scc1 .LBB1128_8
; %bb.1:
	s_cmp_lt_u32 s7, s6
	s_mov_b32 s16, exec_lo
	s_cselect_b32 s2, s7, 0
	s_delay_alu instid0(VALU_DEP_1) | instid1(SALU_CYCLE_1)
	v_cmpx_eq_u32_e64 s2, v4
	s_cbranch_execz .LBB1128_7
; %bb.2:
	s_add_co_i32 s2, s7, 32
	s_mov_b32 s3, 0
	v_mov_b32_e32 v7, 0
	s_lshl_b64 s[12:13], s[2:3], 4
	s_mov_b32 s2, exec_lo
	s_add_nc_u64 s[12:13], s[4:5], s[12:13]
	s_delay_alu instid0(SALU_CYCLE_1) | instskip(SKIP_2) | instid1(VALU_DEP_1)
	v_mov_b64_e32 v[0:1], s[12:13]
	;;#ASMSTART
	global_load_b128 v[0:3], v[0:1] off scope:SCOPE_DEV	
s_wait_loadcnt 0x0
	;;#ASMEND
	v_and_b32_e32 v6, 0xff, v2
	v_cmpx_eq_u64_e32 0, v[6:7]
	s_cbranch_execz .LBB1128_6
; %bb.3:
	v_mov_b64_e32 v[8:9], s[12:13]
.LBB1128_4:                             ; =>This Inner Loop Header: Depth=1
	;;#ASMSTART
	global_load_b128 v[0:3], v[8:9] off scope:SCOPE_DEV	
s_wait_loadcnt 0x0
	;;#ASMEND
	v_and_b32_e32 v6, 0xff, v2
	s_delay_alu instid0(VALU_DEP_1) | instskip(SKIP_1) | instid1(SALU_CYCLE_1)
	v_cmp_ne_u64_e32 vcc_lo, 0, v[6:7]
	s_or_b32 s3, vcc_lo, s3
	s_and_not1_b32 exec_lo, exec_lo, s3
	s_cbranch_execnz .LBB1128_4
; %bb.5:
	s_or_b32 exec_lo, exec_lo, s3
.LBB1128_6:
	s_delay_alu instid0(SALU_CYCLE_1)
	s_or_b32 exec_lo, exec_lo, s2
	v_mov_b32_e32 v2, 0
	s_clause 0x1
	global_store_b32 v2, v0, s[8:9]
	global_store_b8 v2, v1, s[8:9] offset:4
.LBB1128_7:
	s_wait_xcnt 0x0
	s_or_b32 exec_lo, exec_lo, s16
.LBB1128_8:
	s_delay_alu instid0(SALU_CYCLE_1) | instskip(NEXT) | instid1(VALU_DEP_1)
	s_mov_b32 s2, exec_lo
	v_cmpx_gt_u32_e64 s6, v4
	s_cbranch_execz .LBB1128_10
; %bb.9:
	v_dual_mov_b32 v0, 0 :: v_dual_add_nc_u32 v5, 32, v4
	s_delay_alu instid0(VALU_DEP_1)
	v_dual_mov_b32 v1, v0 :: v_dual_mov_b32 v2, v0
	v_mov_b32_e32 v3, v0
	global_store_b128 v5, v[0:3], s[4:5] scale_offset
.LBB1128_10:
	s_wait_xcnt 0x0
	s_or_b32 exec_lo, exec_lo, s2
	v_mov_b32_e32 v5, 0
	s_mov_b32 s2, exec_lo
	v_cmpx_gt_u32_e32 32, v4
	s_cbranch_execz .LBB1128_12
; %bb.11:
	s_delay_alu instid0(VALU_DEP_2)
	v_lshl_add_u64 v[6:7], v[4:5], 4, s[4:5]
	v_dual_mov_b32 v2, 0xff :: v_dual_mov_b32 v1, v5
	v_dual_mov_b32 v0, v5 :: v_dual_mov_b32 v3, v5
	global_store_b128 v[6:7], v[0:3], off
.LBB1128_12:
	s_wait_xcnt 0x0
	s_or_b32 exec_lo, exec_lo, s2
	s_load_b64 s[2:3], s[0:1], 0x28
	s_mov_b32 s4, exec_lo
	s_wait_kmcnt 0x0
	v_cmpx_gt_u64_e64 s[2:3], v[4:5]
	s_cbranch_execz .LBB1128_15
; %bb.13:
	s_clause 0x1
	s_load_b32 s4, s[0:1], 0x30
	s_load_b64 s[6:7], s[0:1], 0x20
	s_mov_b32 s5, 0
	s_wait_xcnt 0x0
	s_mul_i32 s0, s14, s15
	s_mov_b32 s9, s5
	s_mov_b32 s1, s5
	s_wait_kmcnt 0x0
	v_mul_u64_e32 v[0:1], s[4:5], v[4:5]
	s_add_co_i32 s8, s4, -1
	v_lshl_add_u64 v[2:3], v[4:5], 2, s[6:7]
	s_lshl_b64 s[8:9], s[8:9], 2
	s_delay_alu instid0(SALU_CYCLE_1) | instskip(SKIP_1) | instid1(SALU_CYCLE_1)
	s_add_nc_u64 s[8:9], s[10:11], s[8:9]
	s_mul_u64 s[10:11], s[4:5], s[0:1]
	s_lshl_b64 s[6:7], s[10:11], 2
	s_delay_alu instid0(VALU_DEP_2)
	v_lshl_add_u64 v[0:1], v[0:1], 2, s[8:9]
	s_lshl_b64 s[8:9], s[0:1], 2
.LBB1128_14:                            ; =>This Inner Loop Header: Depth=1
	global_load_b32 v6, v[0:1], off
	v_add_nc_u64_e32 v[4:5], s[0:1], v[4:5]
	s_wait_xcnt 0x0
	v_add_nc_u64_e32 v[0:1], s[6:7], v[0:1]
	s_delay_alu instid0(VALU_DEP_2)
	v_cmp_le_u64_e32 vcc_lo, s[2:3], v[4:5]
	s_or_b32 s5, vcc_lo, s5
	s_wait_loadcnt 0x0
	global_store_b32 v[2:3], v6, off
	s_wait_xcnt 0x0
	v_add_nc_u64_e32 v[2:3], s[8:9], v[2:3]
	s_and_not1_b32 exec_lo, exec_lo, s5
	s_cbranch_execnz .LBB1128_14
.LBB1128_15:
	s_endpgm
	.section	.rodata,"a",@progbits
	.p2align	6, 0x0
	.amdhsa_kernel _ZN7rocprim17ROCPRIM_400000_NS6detail30init_device_scan_by_key_kernelINS1_19lookback_scan_stateINS0_5tupleIJfbEEELb0ELb1EEEN6thrust23THRUST_200600_302600_NS6detail15normal_iteratorINS8_10device_ptrIiEEEEjNS1_16block_id_wrapperIjLb0EEEEEvT_jjPNSG_10value_typeET0_PNSt15iterator_traitsISJ_E10value_typeEmT1_T2_
		.amdhsa_group_segment_fixed_size 0
		.amdhsa_private_segment_fixed_size 0
		.amdhsa_kernarg_size 312
		.amdhsa_user_sgpr_count 2
		.amdhsa_user_sgpr_dispatch_ptr 0
		.amdhsa_user_sgpr_queue_ptr 0
		.amdhsa_user_sgpr_kernarg_segment_ptr 1
		.amdhsa_user_sgpr_dispatch_id 0
		.amdhsa_user_sgpr_kernarg_preload_length 0
		.amdhsa_user_sgpr_kernarg_preload_offset 0
		.amdhsa_user_sgpr_private_segment_size 0
		.amdhsa_wavefront_size32 1
		.amdhsa_uses_dynamic_stack 0
		.amdhsa_enable_private_segment 0
		.amdhsa_system_sgpr_workgroup_id_x 1
		.amdhsa_system_sgpr_workgroup_id_y 0
		.amdhsa_system_sgpr_workgroup_id_z 0
		.amdhsa_system_sgpr_workgroup_info 0
		.amdhsa_system_vgpr_workitem_id 0
		.amdhsa_next_free_vgpr 10
		.amdhsa_next_free_sgpr 17
		.amdhsa_named_barrier_count 0
		.amdhsa_reserve_vcc 1
		.amdhsa_float_round_mode_32 0
		.amdhsa_float_round_mode_16_64 0
		.amdhsa_float_denorm_mode_32 3
		.amdhsa_float_denorm_mode_16_64 3
		.amdhsa_fp16_overflow 0
		.amdhsa_memory_ordered 1
		.amdhsa_forward_progress 1
		.amdhsa_inst_pref_size 5
		.amdhsa_round_robin_scheduling 0
		.amdhsa_exception_fp_ieee_invalid_op 0
		.amdhsa_exception_fp_denorm_src 0
		.amdhsa_exception_fp_ieee_div_zero 0
		.amdhsa_exception_fp_ieee_overflow 0
		.amdhsa_exception_fp_ieee_underflow 0
		.amdhsa_exception_fp_ieee_inexact 0
		.amdhsa_exception_int_div_zero 0
	.end_amdhsa_kernel
	.section	.text._ZN7rocprim17ROCPRIM_400000_NS6detail30init_device_scan_by_key_kernelINS1_19lookback_scan_stateINS0_5tupleIJfbEEELb0ELb1EEEN6thrust23THRUST_200600_302600_NS6detail15normal_iteratorINS8_10device_ptrIiEEEEjNS1_16block_id_wrapperIjLb0EEEEEvT_jjPNSG_10value_typeET0_PNSt15iterator_traitsISJ_E10value_typeEmT1_T2_,"axG",@progbits,_ZN7rocprim17ROCPRIM_400000_NS6detail30init_device_scan_by_key_kernelINS1_19lookback_scan_stateINS0_5tupleIJfbEEELb0ELb1EEEN6thrust23THRUST_200600_302600_NS6detail15normal_iteratorINS8_10device_ptrIiEEEEjNS1_16block_id_wrapperIjLb0EEEEEvT_jjPNSG_10value_typeET0_PNSt15iterator_traitsISJ_E10value_typeEmT1_T2_,comdat
.Lfunc_end1128:
	.size	_ZN7rocprim17ROCPRIM_400000_NS6detail30init_device_scan_by_key_kernelINS1_19lookback_scan_stateINS0_5tupleIJfbEEELb0ELb1EEEN6thrust23THRUST_200600_302600_NS6detail15normal_iteratorINS8_10device_ptrIiEEEEjNS1_16block_id_wrapperIjLb0EEEEEvT_jjPNSG_10value_typeET0_PNSt15iterator_traitsISJ_E10value_typeEmT1_T2_, .Lfunc_end1128-_ZN7rocprim17ROCPRIM_400000_NS6detail30init_device_scan_by_key_kernelINS1_19lookback_scan_stateINS0_5tupleIJfbEEELb0ELb1EEEN6thrust23THRUST_200600_302600_NS6detail15normal_iteratorINS8_10device_ptrIiEEEEjNS1_16block_id_wrapperIjLb0EEEEEvT_jjPNSG_10value_typeET0_PNSt15iterator_traitsISJ_E10value_typeEmT1_T2_
                                        ; -- End function
	.set _ZN7rocprim17ROCPRIM_400000_NS6detail30init_device_scan_by_key_kernelINS1_19lookback_scan_stateINS0_5tupleIJfbEEELb0ELb1EEEN6thrust23THRUST_200600_302600_NS6detail15normal_iteratorINS8_10device_ptrIiEEEEjNS1_16block_id_wrapperIjLb0EEEEEvT_jjPNSG_10value_typeET0_PNSt15iterator_traitsISJ_E10value_typeEmT1_T2_.num_vgpr, 10
	.set _ZN7rocprim17ROCPRIM_400000_NS6detail30init_device_scan_by_key_kernelINS1_19lookback_scan_stateINS0_5tupleIJfbEEELb0ELb1EEEN6thrust23THRUST_200600_302600_NS6detail15normal_iteratorINS8_10device_ptrIiEEEEjNS1_16block_id_wrapperIjLb0EEEEEvT_jjPNSG_10value_typeET0_PNSt15iterator_traitsISJ_E10value_typeEmT1_T2_.num_agpr, 0
	.set _ZN7rocprim17ROCPRIM_400000_NS6detail30init_device_scan_by_key_kernelINS1_19lookback_scan_stateINS0_5tupleIJfbEEELb0ELb1EEEN6thrust23THRUST_200600_302600_NS6detail15normal_iteratorINS8_10device_ptrIiEEEEjNS1_16block_id_wrapperIjLb0EEEEEvT_jjPNSG_10value_typeET0_PNSt15iterator_traitsISJ_E10value_typeEmT1_T2_.numbered_sgpr, 17
	.set _ZN7rocprim17ROCPRIM_400000_NS6detail30init_device_scan_by_key_kernelINS1_19lookback_scan_stateINS0_5tupleIJfbEEELb0ELb1EEEN6thrust23THRUST_200600_302600_NS6detail15normal_iteratorINS8_10device_ptrIiEEEEjNS1_16block_id_wrapperIjLb0EEEEEvT_jjPNSG_10value_typeET0_PNSt15iterator_traitsISJ_E10value_typeEmT1_T2_.num_named_barrier, 0
	.set _ZN7rocprim17ROCPRIM_400000_NS6detail30init_device_scan_by_key_kernelINS1_19lookback_scan_stateINS0_5tupleIJfbEEELb0ELb1EEEN6thrust23THRUST_200600_302600_NS6detail15normal_iteratorINS8_10device_ptrIiEEEEjNS1_16block_id_wrapperIjLb0EEEEEvT_jjPNSG_10value_typeET0_PNSt15iterator_traitsISJ_E10value_typeEmT1_T2_.private_seg_size, 0
	.set _ZN7rocprim17ROCPRIM_400000_NS6detail30init_device_scan_by_key_kernelINS1_19lookback_scan_stateINS0_5tupleIJfbEEELb0ELb1EEEN6thrust23THRUST_200600_302600_NS6detail15normal_iteratorINS8_10device_ptrIiEEEEjNS1_16block_id_wrapperIjLb0EEEEEvT_jjPNSG_10value_typeET0_PNSt15iterator_traitsISJ_E10value_typeEmT1_T2_.uses_vcc, 1
	.set _ZN7rocprim17ROCPRIM_400000_NS6detail30init_device_scan_by_key_kernelINS1_19lookback_scan_stateINS0_5tupleIJfbEEELb0ELb1EEEN6thrust23THRUST_200600_302600_NS6detail15normal_iteratorINS8_10device_ptrIiEEEEjNS1_16block_id_wrapperIjLb0EEEEEvT_jjPNSG_10value_typeET0_PNSt15iterator_traitsISJ_E10value_typeEmT1_T2_.uses_flat_scratch, 0
	.set _ZN7rocprim17ROCPRIM_400000_NS6detail30init_device_scan_by_key_kernelINS1_19lookback_scan_stateINS0_5tupleIJfbEEELb0ELb1EEEN6thrust23THRUST_200600_302600_NS6detail15normal_iteratorINS8_10device_ptrIiEEEEjNS1_16block_id_wrapperIjLb0EEEEEvT_jjPNSG_10value_typeET0_PNSt15iterator_traitsISJ_E10value_typeEmT1_T2_.has_dyn_sized_stack, 0
	.set _ZN7rocprim17ROCPRIM_400000_NS6detail30init_device_scan_by_key_kernelINS1_19lookback_scan_stateINS0_5tupleIJfbEEELb0ELb1EEEN6thrust23THRUST_200600_302600_NS6detail15normal_iteratorINS8_10device_ptrIiEEEEjNS1_16block_id_wrapperIjLb0EEEEEvT_jjPNSG_10value_typeET0_PNSt15iterator_traitsISJ_E10value_typeEmT1_T2_.has_recursion, 0
	.set _ZN7rocprim17ROCPRIM_400000_NS6detail30init_device_scan_by_key_kernelINS1_19lookback_scan_stateINS0_5tupleIJfbEEELb0ELb1EEEN6thrust23THRUST_200600_302600_NS6detail15normal_iteratorINS8_10device_ptrIiEEEEjNS1_16block_id_wrapperIjLb0EEEEEvT_jjPNSG_10value_typeET0_PNSt15iterator_traitsISJ_E10value_typeEmT1_T2_.has_indirect_call, 0
	.section	.AMDGPU.csdata,"",@progbits
; Kernel info:
; codeLenInByte = 584
; TotalNumSgprs: 19
; NumVgprs: 10
; ScratchSize: 0
; MemoryBound: 0
; FloatMode: 240
; IeeeMode: 1
; LDSByteSize: 0 bytes/workgroup (compile time only)
; SGPRBlocks: 0
; VGPRBlocks: 0
; NumSGPRsForWavesPerEU: 19
; NumVGPRsForWavesPerEU: 10
; NamedBarCnt: 0
; Occupancy: 16
; WaveLimiterHint : 0
; COMPUTE_PGM_RSRC2:SCRATCH_EN: 0
; COMPUTE_PGM_RSRC2:USER_SGPR: 2
; COMPUTE_PGM_RSRC2:TRAP_HANDLER: 0
; COMPUTE_PGM_RSRC2:TGID_X_EN: 1
; COMPUTE_PGM_RSRC2:TGID_Y_EN: 0
; COMPUTE_PGM_RSRC2:TGID_Z_EN: 0
; COMPUTE_PGM_RSRC2:TIDIG_COMP_CNT: 0
	.section	.text._ZN7rocprim17ROCPRIM_400000_NS6detail30init_device_scan_by_key_kernelINS1_19lookback_scan_stateINS0_5tupleIJfbEEELb0ELb1EEENS1_16block_id_wrapperIjLb0EEEEEvT_jjPNS9_10value_typeET0_,"axG",@progbits,_ZN7rocprim17ROCPRIM_400000_NS6detail30init_device_scan_by_key_kernelINS1_19lookback_scan_stateINS0_5tupleIJfbEEELb0ELb1EEENS1_16block_id_wrapperIjLb0EEEEEvT_jjPNS9_10value_typeET0_,comdat
	.protected	_ZN7rocprim17ROCPRIM_400000_NS6detail30init_device_scan_by_key_kernelINS1_19lookback_scan_stateINS0_5tupleIJfbEEELb0ELb1EEENS1_16block_id_wrapperIjLb0EEEEEvT_jjPNS9_10value_typeET0_ ; -- Begin function _ZN7rocprim17ROCPRIM_400000_NS6detail30init_device_scan_by_key_kernelINS1_19lookback_scan_stateINS0_5tupleIJfbEEELb0ELb1EEENS1_16block_id_wrapperIjLb0EEEEEvT_jjPNS9_10value_typeET0_
	.globl	_ZN7rocprim17ROCPRIM_400000_NS6detail30init_device_scan_by_key_kernelINS1_19lookback_scan_stateINS0_5tupleIJfbEEELb0ELb1EEENS1_16block_id_wrapperIjLb0EEEEEvT_jjPNS9_10value_typeET0_
	.p2align	8
	.type	_ZN7rocprim17ROCPRIM_400000_NS6detail30init_device_scan_by_key_kernelINS1_19lookback_scan_stateINS0_5tupleIJfbEEELb0ELb1EEENS1_16block_id_wrapperIjLb0EEEEEvT_jjPNS9_10value_typeET0_,@function
_ZN7rocprim17ROCPRIM_400000_NS6detail30init_device_scan_by_key_kernelINS1_19lookback_scan_stateINS0_5tupleIJfbEEELb0ELb1EEENS1_16block_id_wrapperIjLb0EEEEEvT_jjPNS9_10value_typeET0_: ; @_ZN7rocprim17ROCPRIM_400000_NS6detail30init_device_scan_by_key_kernelINS1_19lookback_scan_stateINS0_5tupleIJfbEEELb0ELb1EEENS1_16block_id_wrapperIjLb0EEEEEvT_jjPNS9_10value_typeET0_
; %bb.0:
	s_clause 0x2
	s_load_b32 s8, s[0:1], 0x2c
	s_load_b128 s[4:7], s[0:1], 0x0
	s_load_b64 s[2:3], s[0:1], 0x10
	s_wait_xcnt 0x0
	s_bfe_u32 s0, ttmp6, 0x4000c
	s_and_b32 s1, ttmp6, 15
	s_add_co_i32 s0, s0, 1
	s_getreg_b32 s9, hwreg(HW_REG_IB_STS2, 6, 4)
	s_mul_i32 s0, ttmp9, s0
	s_delay_alu instid0(SALU_CYCLE_1)
	s_add_co_i32 s1, s1, s0
	s_wait_kmcnt 0x0
	s_and_b32 s8, s8, 0xffff
	s_cmp_eq_u32 s9, 0
	s_cselect_b32 s0, ttmp9, s1
	s_cmp_eq_u64 s[2:3], 0
	v_mad_u32 v8, s0, s8, v0
	s_cbranch_scc1 .LBB1129_8
; %bb.1:
	s_cmp_lt_u32 s7, s6
	s_mov_b32 s10, exec_lo
	s_cselect_b32 s0, s7, 0
	s_delay_alu instid0(VALU_DEP_1) | instid1(SALU_CYCLE_1)
	v_cmpx_eq_u32_e64 s0, v8
	s_cbranch_execz .LBB1129_7
; %bb.2:
	s_add_co_i32 s0, s7, 32
	s_mov_b32 s1, 0
	v_mov_b32_e32 v5, 0
	s_lshl_b64 s[8:9], s[0:1], 4
	s_mov_b32 s0, exec_lo
	s_add_nc_u64 s[8:9], s[4:5], s[8:9]
	s_delay_alu instid0(SALU_CYCLE_1) | instskip(SKIP_2) | instid1(VALU_DEP_1)
	v_mov_b64_e32 v[0:1], s[8:9]
	;;#ASMSTART
	global_load_b128 v[0:3], v[0:1] off scope:SCOPE_DEV	
s_wait_loadcnt 0x0
	;;#ASMEND
	v_and_b32_e32 v4, 0xff, v2
	v_cmpx_eq_u64_e32 0, v[4:5]
	s_cbranch_execz .LBB1129_6
; %bb.3:
	v_mov_b64_e32 v[6:7], s[8:9]
.LBB1129_4:                             ; =>This Inner Loop Header: Depth=1
	;;#ASMSTART
	global_load_b128 v[0:3], v[6:7] off scope:SCOPE_DEV	
s_wait_loadcnt 0x0
	;;#ASMEND
	v_and_b32_e32 v4, 0xff, v2
	s_delay_alu instid0(VALU_DEP_1) | instskip(SKIP_1) | instid1(SALU_CYCLE_1)
	v_cmp_ne_u64_e32 vcc_lo, 0, v[4:5]
	s_or_b32 s1, vcc_lo, s1
	s_and_not1_b32 exec_lo, exec_lo, s1
	s_cbranch_execnz .LBB1129_4
; %bb.5:
	s_or_b32 exec_lo, exec_lo, s1
.LBB1129_6:
	s_delay_alu instid0(SALU_CYCLE_1)
	s_or_b32 exec_lo, exec_lo, s0
	v_mov_b32_e32 v2, 0
	s_clause 0x1
	global_store_b32 v2, v0, s[2:3]
	global_store_b8 v2, v1, s[2:3] offset:4
.LBB1129_7:
	s_wait_xcnt 0x0
	s_or_b32 exec_lo, exec_lo, s10
.LBB1129_8:
	s_delay_alu instid0(SALU_CYCLE_1) | instskip(NEXT) | instid1(VALU_DEP_1)
	s_mov_b32 s0, exec_lo
	v_cmpx_gt_u32_e64 s6, v8
	s_cbranch_execz .LBB1129_10
; %bb.9:
	v_dual_mov_b32 v0, 0 :: v_dual_add_nc_u32 v4, 32, v8
	s_delay_alu instid0(VALU_DEP_1)
	v_dual_mov_b32 v1, v0 :: v_dual_mov_b32 v2, v0
	v_mov_b32_e32 v3, v0
	global_store_b128 v4, v[0:3], s[4:5] scale_offset
.LBB1129_10:
	s_wait_xcnt 0x0
	s_or_b32 exec_lo, exec_lo, s0
	s_delay_alu instid0(SALU_CYCLE_1)
	s_mov_b32 s0, exec_lo
	v_cmpx_gt_u32_e32 32, v8
	s_cbranch_execz .LBB1129_12
; %bb.11:
	v_mov_b32_e32 v0, 0
	s_delay_alu instid0(VALU_DEP_1)
	v_dual_mov_b32 v2, 0xff :: v_dual_mov_b32 v1, v0
	v_mov_b32_e32 v3, v0
	global_store_b128 v8, v[0:3], s[4:5] scale_offset
.LBB1129_12:
	s_endpgm
	.section	.rodata,"a",@progbits
	.p2align	6, 0x0
	.amdhsa_kernel _ZN7rocprim17ROCPRIM_400000_NS6detail30init_device_scan_by_key_kernelINS1_19lookback_scan_stateINS0_5tupleIJfbEEELb0ELb1EEENS1_16block_id_wrapperIjLb0EEEEEvT_jjPNS9_10value_typeET0_
		.amdhsa_group_segment_fixed_size 0
		.amdhsa_private_segment_fixed_size 0
		.amdhsa_kernarg_size 288
		.amdhsa_user_sgpr_count 2
		.amdhsa_user_sgpr_dispatch_ptr 0
		.amdhsa_user_sgpr_queue_ptr 0
		.amdhsa_user_sgpr_kernarg_segment_ptr 1
		.amdhsa_user_sgpr_dispatch_id 0
		.amdhsa_user_sgpr_kernarg_preload_length 0
		.amdhsa_user_sgpr_kernarg_preload_offset 0
		.amdhsa_user_sgpr_private_segment_size 0
		.amdhsa_wavefront_size32 1
		.amdhsa_uses_dynamic_stack 0
		.amdhsa_enable_private_segment 0
		.amdhsa_system_sgpr_workgroup_id_x 1
		.amdhsa_system_sgpr_workgroup_id_y 0
		.amdhsa_system_sgpr_workgroup_id_z 0
		.amdhsa_system_sgpr_workgroup_info 0
		.amdhsa_system_vgpr_workitem_id 0
		.amdhsa_next_free_vgpr 9
		.amdhsa_next_free_sgpr 11
		.amdhsa_named_barrier_count 0
		.amdhsa_reserve_vcc 1
		.amdhsa_float_round_mode_32 0
		.amdhsa_float_round_mode_16_64 0
		.amdhsa_float_denorm_mode_32 3
		.amdhsa_float_denorm_mode_16_64 3
		.amdhsa_fp16_overflow 0
		.amdhsa_memory_ordered 1
		.amdhsa_forward_progress 1
		.amdhsa_inst_pref_size 3
		.amdhsa_round_robin_scheduling 0
		.amdhsa_exception_fp_ieee_invalid_op 0
		.amdhsa_exception_fp_denorm_src 0
		.amdhsa_exception_fp_ieee_div_zero 0
		.amdhsa_exception_fp_ieee_overflow 0
		.amdhsa_exception_fp_ieee_underflow 0
		.amdhsa_exception_fp_ieee_inexact 0
		.amdhsa_exception_int_div_zero 0
	.end_amdhsa_kernel
	.section	.text._ZN7rocprim17ROCPRIM_400000_NS6detail30init_device_scan_by_key_kernelINS1_19lookback_scan_stateINS0_5tupleIJfbEEELb0ELb1EEENS1_16block_id_wrapperIjLb0EEEEEvT_jjPNS9_10value_typeET0_,"axG",@progbits,_ZN7rocprim17ROCPRIM_400000_NS6detail30init_device_scan_by_key_kernelINS1_19lookback_scan_stateINS0_5tupleIJfbEEELb0ELb1EEENS1_16block_id_wrapperIjLb0EEEEEvT_jjPNS9_10value_typeET0_,comdat
.Lfunc_end1129:
	.size	_ZN7rocprim17ROCPRIM_400000_NS6detail30init_device_scan_by_key_kernelINS1_19lookback_scan_stateINS0_5tupleIJfbEEELb0ELb1EEENS1_16block_id_wrapperIjLb0EEEEEvT_jjPNS9_10value_typeET0_, .Lfunc_end1129-_ZN7rocprim17ROCPRIM_400000_NS6detail30init_device_scan_by_key_kernelINS1_19lookback_scan_stateINS0_5tupleIJfbEEELb0ELb1EEENS1_16block_id_wrapperIjLb0EEEEEvT_jjPNS9_10value_typeET0_
                                        ; -- End function
	.set _ZN7rocprim17ROCPRIM_400000_NS6detail30init_device_scan_by_key_kernelINS1_19lookback_scan_stateINS0_5tupleIJfbEEELb0ELb1EEENS1_16block_id_wrapperIjLb0EEEEEvT_jjPNS9_10value_typeET0_.num_vgpr, 9
	.set _ZN7rocprim17ROCPRIM_400000_NS6detail30init_device_scan_by_key_kernelINS1_19lookback_scan_stateINS0_5tupleIJfbEEELb0ELb1EEENS1_16block_id_wrapperIjLb0EEEEEvT_jjPNS9_10value_typeET0_.num_agpr, 0
	.set _ZN7rocprim17ROCPRIM_400000_NS6detail30init_device_scan_by_key_kernelINS1_19lookback_scan_stateINS0_5tupleIJfbEEELb0ELb1EEENS1_16block_id_wrapperIjLb0EEEEEvT_jjPNS9_10value_typeET0_.numbered_sgpr, 11
	.set _ZN7rocprim17ROCPRIM_400000_NS6detail30init_device_scan_by_key_kernelINS1_19lookback_scan_stateINS0_5tupleIJfbEEELb0ELb1EEENS1_16block_id_wrapperIjLb0EEEEEvT_jjPNS9_10value_typeET0_.num_named_barrier, 0
	.set _ZN7rocprim17ROCPRIM_400000_NS6detail30init_device_scan_by_key_kernelINS1_19lookback_scan_stateINS0_5tupleIJfbEEELb0ELb1EEENS1_16block_id_wrapperIjLb0EEEEEvT_jjPNS9_10value_typeET0_.private_seg_size, 0
	.set _ZN7rocprim17ROCPRIM_400000_NS6detail30init_device_scan_by_key_kernelINS1_19lookback_scan_stateINS0_5tupleIJfbEEELb0ELb1EEENS1_16block_id_wrapperIjLb0EEEEEvT_jjPNS9_10value_typeET0_.uses_vcc, 1
	.set _ZN7rocprim17ROCPRIM_400000_NS6detail30init_device_scan_by_key_kernelINS1_19lookback_scan_stateINS0_5tupleIJfbEEELb0ELb1EEENS1_16block_id_wrapperIjLb0EEEEEvT_jjPNS9_10value_typeET0_.uses_flat_scratch, 0
	.set _ZN7rocprim17ROCPRIM_400000_NS6detail30init_device_scan_by_key_kernelINS1_19lookback_scan_stateINS0_5tupleIJfbEEELb0ELb1EEENS1_16block_id_wrapperIjLb0EEEEEvT_jjPNS9_10value_typeET0_.has_dyn_sized_stack, 0
	.set _ZN7rocprim17ROCPRIM_400000_NS6detail30init_device_scan_by_key_kernelINS1_19lookback_scan_stateINS0_5tupleIJfbEEELb0ELb1EEENS1_16block_id_wrapperIjLb0EEEEEvT_jjPNS9_10value_typeET0_.has_recursion, 0
	.set _ZN7rocprim17ROCPRIM_400000_NS6detail30init_device_scan_by_key_kernelINS1_19lookback_scan_stateINS0_5tupleIJfbEEELb0ELb1EEENS1_16block_id_wrapperIjLb0EEEEEvT_jjPNS9_10value_typeET0_.has_indirect_call, 0
	.section	.AMDGPU.csdata,"",@progbits
; Kernel info:
; codeLenInByte = 384
; TotalNumSgprs: 13
; NumVgprs: 9
; ScratchSize: 0
; MemoryBound: 0
; FloatMode: 240
; IeeeMode: 1
; LDSByteSize: 0 bytes/workgroup (compile time only)
; SGPRBlocks: 0
; VGPRBlocks: 0
; NumSGPRsForWavesPerEU: 13
; NumVGPRsForWavesPerEU: 9
; NamedBarCnt: 0
; Occupancy: 16
; WaveLimiterHint : 0
; COMPUTE_PGM_RSRC2:SCRATCH_EN: 0
; COMPUTE_PGM_RSRC2:USER_SGPR: 2
; COMPUTE_PGM_RSRC2:TRAP_HANDLER: 0
; COMPUTE_PGM_RSRC2:TGID_X_EN: 1
; COMPUTE_PGM_RSRC2:TGID_Y_EN: 0
; COMPUTE_PGM_RSRC2:TGID_Z_EN: 0
; COMPUTE_PGM_RSRC2:TIDIG_COMP_CNT: 0
	.section	.text._ZN7rocprim17ROCPRIM_400000_NS6detail17trampoline_kernelINS0_14default_configENS1_27scan_by_key_config_selectorIifEEZZNS1_16scan_by_key_implILNS1_25lookback_scan_determinismE0ELb0ES3_N6thrust23THRUST_200600_302600_NS6detail15normal_iteratorINS9_10device_ptrIiEEEENSB_INSC_IfEEEESG_fNS9_4plusIvEENS9_8equal_toIvEEfEE10hipError_tPvRmT2_T3_T4_T5_mT6_T7_P12ihipStream_tbENKUlT_T0_E_clISt17integral_constantIbLb0EES11_EEDaSW_SX_EUlSW_E_NS1_11comp_targetILNS1_3genE0ELNS1_11target_archE4294967295ELNS1_3gpuE0ELNS1_3repE0EEENS1_30default_config_static_selectorELNS0_4arch9wavefront6targetE0EEEvT1_,"axG",@progbits,_ZN7rocprim17ROCPRIM_400000_NS6detail17trampoline_kernelINS0_14default_configENS1_27scan_by_key_config_selectorIifEEZZNS1_16scan_by_key_implILNS1_25lookback_scan_determinismE0ELb0ES3_N6thrust23THRUST_200600_302600_NS6detail15normal_iteratorINS9_10device_ptrIiEEEENSB_INSC_IfEEEESG_fNS9_4plusIvEENS9_8equal_toIvEEfEE10hipError_tPvRmT2_T3_T4_T5_mT6_T7_P12ihipStream_tbENKUlT_T0_E_clISt17integral_constantIbLb0EES11_EEDaSW_SX_EUlSW_E_NS1_11comp_targetILNS1_3genE0ELNS1_11target_archE4294967295ELNS1_3gpuE0ELNS1_3repE0EEENS1_30default_config_static_selectorELNS0_4arch9wavefront6targetE0EEEvT1_,comdat
	.protected	_ZN7rocprim17ROCPRIM_400000_NS6detail17trampoline_kernelINS0_14default_configENS1_27scan_by_key_config_selectorIifEEZZNS1_16scan_by_key_implILNS1_25lookback_scan_determinismE0ELb0ES3_N6thrust23THRUST_200600_302600_NS6detail15normal_iteratorINS9_10device_ptrIiEEEENSB_INSC_IfEEEESG_fNS9_4plusIvEENS9_8equal_toIvEEfEE10hipError_tPvRmT2_T3_T4_T5_mT6_T7_P12ihipStream_tbENKUlT_T0_E_clISt17integral_constantIbLb0EES11_EEDaSW_SX_EUlSW_E_NS1_11comp_targetILNS1_3genE0ELNS1_11target_archE4294967295ELNS1_3gpuE0ELNS1_3repE0EEENS1_30default_config_static_selectorELNS0_4arch9wavefront6targetE0EEEvT1_ ; -- Begin function _ZN7rocprim17ROCPRIM_400000_NS6detail17trampoline_kernelINS0_14default_configENS1_27scan_by_key_config_selectorIifEEZZNS1_16scan_by_key_implILNS1_25lookback_scan_determinismE0ELb0ES3_N6thrust23THRUST_200600_302600_NS6detail15normal_iteratorINS9_10device_ptrIiEEEENSB_INSC_IfEEEESG_fNS9_4plusIvEENS9_8equal_toIvEEfEE10hipError_tPvRmT2_T3_T4_T5_mT6_T7_P12ihipStream_tbENKUlT_T0_E_clISt17integral_constantIbLb0EES11_EEDaSW_SX_EUlSW_E_NS1_11comp_targetILNS1_3genE0ELNS1_11target_archE4294967295ELNS1_3gpuE0ELNS1_3repE0EEENS1_30default_config_static_selectorELNS0_4arch9wavefront6targetE0EEEvT1_
	.globl	_ZN7rocprim17ROCPRIM_400000_NS6detail17trampoline_kernelINS0_14default_configENS1_27scan_by_key_config_selectorIifEEZZNS1_16scan_by_key_implILNS1_25lookback_scan_determinismE0ELb0ES3_N6thrust23THRUST_200600_302600_NS6detail15normal_iteratorINS9_10device_ptrIiEEEENSB_INSC_IfEEEESG_fNS9_4plusIvEENS9_8equal_toIvEEfEE10hipError_tPvRmT2_T3_T4_T5_mT6_T7_P12ihipStream_tbENKUlT_T0_E_clISt17integral_constantIbLb0EES11_EEDaSW_SX_EUlSW_E_NS1_11comp_targetILNS1_3genE0ELNS1_11target_archE4294967295ELNS1_3gpuE0ELNS1_3repE0EEENS1_30default_config_static_selectorELNS0_4arch9wavefront6targetE0EEEvT1_
	.p2align	8
	.type	_ZN7rocprim17ROCPRIM_400000_NS6detail17trampoline_kernelINS0_14default_configENS1_27scan_by_key_config_selectorIifEEZZNS1_16scan_by_key_implILNS1_25lookback_scan_determinismE0ELb0ES3_N6thrust23THRUST_200600_302600_NS6detail15normal_iteratorINS9_10device_ptrIiEEEENSB_INSC_IfEEEESG_fNS9_4plusIvEENS9_8equal_toIvEEfEE10hipError_tPvRmT2_T3_T4_T5_mT6_T7_P12ihipStream_tbENKUlT_T0_E_clISt17integral_constantIbLb0EES11_EEDaSW_SX_EUlSW_E_NS1_11comp_targetILNS1_3genE0ELNS1_11target_archE4294967295ELNS1_3gpuE0ELNS1_3repE0EEENS1_30default_config_static_selectorELNS0_4arch9wavefront6targetE0EEEvT1_,@function
_ZN7rocprim17ROCPRIM_400000_NS6detail17trampoline_kernelINS0_14default_configENS1_27scan_by_key_config_selectorIifEEZZNS1_16scan_by_key_implILNS1_25lookback_scan_determinismE0ELb0ES3_N6thrust23THRUST_200600_302600_NS6detail15normal_iteratorINS9_10device_ptrIiEEEENSB_INSC_IfEEEESG_fNS9_4plusIvEENS9_8equal_toIvEEfEE10hipError_tPvRmT2_T3_T4_T5_mT6_T7_P12ihipStream_tbENKUlT_T0_E_clISt17integral_constantIbLb0EES11_EEDaSW_SX_EUlSW_E_NS1_11comp_targetILNS1_3genE0ELNS1_11target_archE4294967295ELNS1_3gpuE0ELNS1_3repE0EEENS1_30default_config_static_selectorELNS0_4arch9wavefront6targetE0EEEvT1_: ; @_ZN7rocprim17ROCPRIM_400000_NS6detail17trampoline_kernelINS0_14default_configENS1_27scan_by_key_config_selectorIifEEZZNS1_16scan_by_key_implILNS1_25lookback_scan_determinismE0ELb0ES3_N6thrust23THRUST_200600_302600_NS6detail15normal_iteratorINS9_10device_ptrIiEEEENSB_INSC_IfEEEESG_fNS9_4plusIvEENS9_8equal_toIvEEfEE10hipError_tPvRmT2_T3_T4_T5_mT6_T7_P12ihipStream_tbENKUlT_T0_E_clISt17integral_constantIbLb0EES11_EEDaSW_SX_EUlSW_E_NS1_11comp_targetILNS1_3genE0ELNS1_11target_archE4294967295ELNS1_3gpuE0ELNS1_3repE0EEENS1_30default_config_static_selectorELNS0_4arch9wavefront6targetE0EEEvT1_
; %bb.0:
	s_clause 0x3
	s_load_b256 s[8:15], s[0:1], 0x0
	s_load_b256 s[16:23], s[0:1], 0x48
	s_load_b96 s[28:30], s[0:1], 0x38
	s_load_b128 s[24:27], s[0:1], 0x28
	s_getreg_b32 s4, hwreg(HW_REG_IB_STS2, 6, 4)
	s_wait_xcnt 0x0
	s_mov_b32 s1, 0
	s_barrier_signal -1
	s_barrier_wait -1
	s_wait_kmcnt 0x0
	s_lshl_b64 s[34:35], s[10:11], 2
	s_cmp_lg_u64 s[20:21], 0
	s_mov_b32 s0, s30
	s_cselect_b32 s33, -1, 0
	s_bfe_u32 s2, ttmp6, 0x4000c
	s_and_b32 s5, ttmp6, 15
	s_add_co_i32 s2, s2, 1
	s_mov_b32 s21, s1
	s_mul_i32 s6, ttmp9, s2
	s_add_nc_u64 s[2:3], s[8:9], s[34:35]
	s_add_co_i32 s6, s5, s6
	s_cmp_eq_u32 s4, 0
	s_mul_u64 s[4:5], s[28:29], s[0:1]
	s_cselect_b32 s20, ttmp9, s6
	s_add_nc_u64 s[6:7], s[12:13], s[34:35]
	s_add_nc_u64 s[36:37], s[4:5], s[20:21]
	s_add_nc_u64 s[4:5], s[16:17], -1
	s_mul_i32 s0, s20, 0xc00
	v_cmp_ge_u64_e64 s21, s[36:37], s[4:5]
	s_lshl_b64 s[16:17], s[0:1], 2
	s_mul_i32 s27, s4, 0xfffff400
	s_add_nc_u64 s[30:31], s[2:3], s[16:17]
	s_add_nc_u64 s[12:13], s[6:7], s[16:17]
	s_and_b32 vcc_lo, exec_lo, s21
	s_cbranch_vccz .LBB1130_28
; %bb.1:
	v_mov_b32_e32 v1, 0
	s_add_co_i32 s40, s27, s26
	s_delay_alu instid0(SALU_CYCLE_1)
	v_cmp_gt_u32_e64 s0, s40, v0
	flat_load_b32 v2, v1, s[30:31]
	s_wait_loadcnt_dscnt 0x0
	v_mov_b32_e32 v3, v2
	s_and_saveexec_b32 s1, s0
	s_cbranch_execz .LBB1130_3
; %bb.2:
	flat_load_b32 v3, v0, s[30:31] scale_offset
.LBB1130_3:
	s_wait_xcnt 0x0
	s_or_b32 exec_lo, exec_lo, s1
	v_or_b32_e32 v1, 0x100, v0
	v_mov_b32_e32 v4, v2
	s_delay_alu instid0(VALU_DEP_2)
	v_cmp_gt_u32_e64 s1, s40, v1
	s_and_saveexec_b32 s2, s1
	s_cbranch_execz .LBB1130_5
; %bb.4:
	flat_load_b32 v4, v0, s[30:31] offset:1024 scale_offset
.LBB1130_5:
	s_wait_xcnt 0x0
	s_or_b32 exec_lo, exec_lo, s2
	v_or_b32_e32 v1, 0x200, v0
	v_mov_b32_e32 v5, v2
	s_delay_alu instid0(VALU_DEP_2)
	v_cmp_gt_u32_e64 s2, s40, v1
	s_and_saveexec_b32 s3, s2
	s_cbranch_execz .LBB1130_7
; %bb.6:
	flat_load_b32 v5, v0, s[30:31] offset:2048 scale_offset
.LBB1130_7:
	;; [unrolled: 11-line block ×10, first 2 shown]
	s_wait_xcnt 0x0
	s_or_b32 exec_lo, exec_lo, s11
	v_or_b32_e32 v1, 0xb00, v0
	s_mov_b32 s38, exec_lo
	s_delay_alu instid0(VALU_DEP_1) | instskip(SKIP_2) | instid1(SALU_CYCLE_1)
	v_cmp_gt_u32_e64 s11, s40, v1
	v_cmpx_le_u32_e64 s40, v1
	s_xor_b32 s38, exec_lo, s38
	s_and_not1_saveexec_b32 s38, s38
	s_cbranch_execz .LBB1130_25
; %bb.24:
	flat_load_b32 v2, v0, s[30:31] offset:11264 scale_offset
.LBB1130_25:
	s_wait_xcnt 0x0
	s_or_b32 exec_lo, exec_lo, s38
	v_lshlrev_b32_e32 v1, 2, v0
	s_cmp_eq_u64 s[36:37], 0
	s_mov_b64 s[38:39], s[30:31]
	s_wait_loadcnt_dscnt 0x0
	ds_store_2addr_stride64_b32 v1, v3, v4 offset1:4
	ds_store_2addr_stride64_b32 v1, v5, v6 offset0:8 offset1:12
	ds_store_2addr_stride64_b32 v1, v7, v8 offset0:16 offset1:20
	;; [unrolled: 1-line block ×5, first 2 shown]
	v_mad_u32_u24 v17, v0, 44, v1
	s_wait_dscnt 0x0
	s_barrier_signal -1
	s_barrier_wait -1
	ds_load_b32 v52, v17 offset:44
	ds_load_b64 v[38:39], v17
	ds_load_2addr_b64 v[2:5], v17 offset0:1 offset1:2
	ds_load_2addr_b32 v[30:31], v17 offset0:5 offset1:6
	ds_load_2addr_b32 v[14:15], v17 offset0:9 offset1:10
	;; [unrolled: 1-line block ×4, first 2 shown]
	s_cbranch_scc1 .LBB1130_31
; %bb.26:
	s_and_not1_b32 vcc_lo, exec_lo, s33
	s_cbranch_vccnz .LBB1130_29
; %bb.27:
	s_lshl_b64 s[38:39], s[36:37], 2
	s_mov_b32 s41, 0
	s_add_nc_u64 s[38:39], s[22:23], s[38:39]
	s_delay_alu instid0(SALU_CYCLE_1)
	s_add_nc_u64 s[38:39], s[38:39], -4
	s_branch .LBB1130_30
.LBB1130_28:
                                        ; implicit-def: $sgpr6
                                        ; implicit-def: $vgpr6_vgpr7
                                        ; implicit-def: $vgpr10_vgpr11
                                        ; implicit-def: $vgpr12_vgpr13
                                        ; implicit-def: $vgpr34_vgpr35
                                        ; implicit-def: $vgpr53
                                        ; implicit-def: $vgpr48
                                        ; implicit-def: $vgpr51
                                        ; implicit-def: $vgpr49
                                        ; implicit-def: $vgpr50
                                        ; implicit-def: $vgpr57
                                        ; implicit-def: $vgpr16
                                        ; implicit-def: $vgpr55
                                        ; implicit-def: $vgpr54
                                        ; implicit-def: $vgpr40
                                        ; implicit-def: $vgpr1
                                        ; implicit-def: $vgpr8
                                        ; implicit-def: $vgpr9
                                        ; implicit-def: $vgpr22_vgpr23
                                        ; implicit-def: $vgpr18_vgpr19
                                        ; implicit-def: $vgpr24_vgpr25
                                        ; implicit-def: $vgpr26_vgpr27
                                        ; implicit-def: $vgpr28_vgpr29
                                        ; implicit-def: $vgpr44
                                        ; implicit-def: $vgpr43
                                        ; implicit-def: $vgpr42
                                        ; implicit-def: $vgpr41
                                        ; implicit-def: $vgpr47
                                        ; implicit-def: $vgpr46
                                        ; implicit-def: $vgpr45
	v_lshlrev_b32_e32 v20, 2, v0
	s_cbranch_execnz .LBB1130_69
	s_branch .LBB1130_88
.LBB1130_29:
	s_add_nc_u64 s[38:39], s[30:31], -4
	s_mov_b32 s41, -1
.LBB1130_30:
	s_delay_alu instid0(SALU_CYCLE_1)
	s_and_not1_b32 vcc_lo, exec_lo, s41
.LBB1130_31:
	v_mov_b32_e32 v6, 0
	flat_load_b32 v20, v6, s[38:39]
	s_wait_xcnt 0x0
	v_mad_i32_i24 v6, 0xffffffd4, v0, v17
	s_mov_b32 s38, exec_lo
	s_wait_dscnt 0x7
	ds_store_b32 v6, v52 offset:12288
	s_wait_loadcnt_dscnt 0x0
	s_barrier_signal -1
	s_barrier_wait -1
	v_cmpx_ne_u32_e32 0, v0
; %bb.32:
	v_mul_i32_i24_e32 v6, 0xffffffd4, v0
	s_delay_alu instid0(VALU_DEP_1)
	v_add_nc_u32_e32 v6, v17, v6
	ds_load_b32 v20, v6 offset:12284
; %bb.33:
	s_or_b32 exec_lo, exec_lo, s38
	s_wait_dscnt 0x0
	s_barrier_signal -1
	s_barrier_wait -1
                                        ; implicit-def: $vgpr6
	s_and_saveexec_b32 s38, s0
	s_cbranch_execnz .LBB1130_72
; %bb.34:
	s_or_b32 exec_lo, exec_lo, s38
                                        ; implicit-def: $vgpr7
	s_and_saveexec_b32 s0, s1
	s_cbranch_execnz .LBB1130_73
.LBB1130_35:
	s_or_b32 exec_lo, exec_lo, s0
                                        ; implicit-def: $vgpr8
	s_and_saveexec_b32 s0, s2
	s_cbranch_execnz .LBB1130_74
.LBB1130_36:
	s_or_b32 exec_lo, exec_lo, s0
                                        ; implicit-def: $vgpr9
	s_and_saveexec_b32 s0, s3
	s_cbranch_execnz .LBB1130_75
.LBB1130_37:
	s_or_b32 exec_lo, exec_lo, s0
                                        ; implicit-def: $vgpr10
	s_and_saveexec_b32 s0, s4
	s_cbranch_execnz .LBB1130_76
.LBB1130_38:
	s_or_b32 exec_lo, exec_lo, s0
                                        ; implicit-def: $vgpr11
	s_and_saveexec_b32 s0, s5
	s_cbranch_execnz .LBB1130_77
.LBB1130_39:
	s_or_b32 exec_lo, exec_lo, s0
                                        ; implicit-def: $vgpr12
	s_and_saveexec_b32 s0, s6
	s_cbranch_execnz .LBB1130_78
.LBB1130_40:
	s_or_b32 exec_lo, exec_lo, s0
                                        ; implicit-def: $vgpr13
	s_and_saveexec_b32 s0, s7
	s_cbranch_execnz .LBB1130_79
.LBB1130_41:
	s_or_b32 exec_lo, exec_lo, s0
                                        ; implicit-def: $vgpr16
	s_and_saveexec_b32 s0, s8
	s_cbranch_execnz .LBB1130_80
.LBB1130_42:
	s_or_b32 exec_lo, exec_lo, s0
                                        ; implicit-def: $vgpr18
	s_and_saveexec_b32 s0, s9
	s_cbranch_execnz .LBB1130_81
.LBB1130_43:
	s_or_b32 exec_lo, exec_lo, s0
                                        ; implicit-def: $vgpr19
	s_and_saveexec_b32 s0, s10
	s_cbranch_execnz .LBB1130_82
.LBB1130_44:
	s_or_b32 exec_lo, exec_lo, s0
                                        ; implicit-def: $vgpr21
	s_and_saveexec_b32 s0, s11
	s_cbranch_execz .LBB1130_46
.LBB1130_45:
	flat_load_b32 v21, v0, s[12:13] offset:11264 scale_offset
.LBB1130_46:
	s_wait_xcnt 0x0
	s_or_b32 exec_lo, exec_lo, s0
	v_mul_u32_u24_e32 v56, 12, v0
	s_wait_loadcnt_dscnt 0x0
	ds_store_2addr_stride64_b32 v1, v6, v7 offset1:4
	ds_store_2addr_stride64_b32 v1, v8, v9 offset0:8 offset1:12
	ds_store_2addr_stride64_b32 v1, v10, v11 offset0:16 offset1:20
	ds_store_2addr_stride64_b32 v1, v12, v13 offset0:24 offset1:28
	ds_store_2addr_stride64_b32 v1, v16, v18 offset0:32 offset1:36
	ds_store_2addr_stride64_b32 v1, v19, v21 offset0:40 offset1:44
	v_mov_b64_e32 v[6:7], 0
	v_mov_b64_e32 v[10:11], 0
	;; [unrolled: 1-line block ×9, first 2 shown]
	v_cmp_gt_u32_e32 vcc_lo, s40, v56
	v_dual_mov_b32 v53, 0 :: v_dual_mov_b32 v48, 0
	v_dual_mov_b32 v51, 0 :: v_dual_mov_b32 v49, 0
	;; [unrolled: 1-line block ×9, first 2 shown]
	v_mov_b32_e32 v45, 0
	s_mov_b32 s5, 0
	s_mov_b32 s1, 0
	s_wait_dscnt 0x0
	s_barrier_signal -1
	s_barrier_wait -1
                                        ; implicit-def: $sgpr6
                                        ; implicit-def: $vgpr50
	s_and_saveexec_b32 s7, vcc_lo
	s_cbranch_execz .LBB1130_68
; %bb.47:
	ds_load_b32 v16, v17
	v_dual_mov_b32 v53, 0 :: v_dual_bitop2_b32 v1, 1, v56 bitop3:0x54
	v_mov_b64_e32 v[6:7], 0
	v_mov_b64_e32 v[10:11], 0
	;; [unrolled: 1-line block ×9, first 2 shown]
	v_cmp_gt_u32_e64 s0, s40, v1
	v_dual_mov_b32 v48, 0 :: v_dual_mov_b32 v51, 0
	v_dual_mov_b32 v49, 0 :: v_dual_mov_b32 v55, 0
	;; [unrolled: 1-line block ×7, first 2 shown]
	v_mov_b32_e32 v45, 0
	v_cmp_ne_u32_e32 vcc_lo, v20, v38
                                        ; implicit-def: $sgpr6
                                        ; implicit-def: $vgpr50
	s_and_saveexec_b32 s8, s0
	s_cbranch_execz .LBB1130_67
; %bb.48:
	ds_load_2addr_b32 v[20:21], v17 offset0:1 offset1:2
	v_dual_mov_b32 v35, 0 :: v_dual_bitop2_b32 v1, 2, v56 bitop3:0x54
	v_mov_b64_e32 v[6:7], 0
	v_mov_b64_e32 v[10:11], 0
	;; [unrolled: 1-line block ×7, first 2 shown]
	v_cmp_ne_u32_e64 s0, v38, v39
	v_cmp_gt_u32_e64 s1, s40, v1
	v_dual_mov_b32 v53, v35 :: v_dual_mov_b32 v48, v35
	v_dual_mov_b32 v51, v35 :: v_dual_mov_b32 v49, v35
	;; [unrolled: 1-line block ×4, first 2 shown]
	s_wait_dscnt 0x0
	v_dual_mov_b32 v9, v35 :: v_dual_mov_b32 v34, v20
	v_dual_mov_b32 v44, v35 :: v_dual_mov_b32 v43, v35
	v_dual_mov_b32 v42, v35 :: v_dual_mov_b32 v41, v35
	v_mov_b32_e32 v45, v35
	s_mov_b32 s2, 0
                                        ; implicit-def: $sgpr6
                                        ; implicit-def: $vgpr50
	s_and_saveexec_b32 s9, s1
	s_cbranch_execz .LBB1130_66
; %bb.49:
	v_dual_mov_b32 v53, 0 :: v_dual_bitop2_b32 v1, 3, v56 bitop3:0x54
	v_mov_b64_e32 v[6:7], 0
	v_mov_b64_e32 v[10:11], 0
	;; [unrolled: 1-line block ×7, first 2 shown]
	v_cmp_ne_u32_e64 s1, v39, v2
	v_cmp_gt_u32_e64 s2, s40, v1
	v_dual_mov_b32 v48, 0 :: v_dual_mov_b32 v51, 0
	v_dual_mov_b32 v49, 0 :: v_dual_mov_b32 v40, 0
	;; [unrolled: 1-line block ×5, first 2 shown]
	s_mov_b32 s3, 0
                                        ; implicit-def: $sgpr6
                                        ; implicit-def: $vgpr50
	s_and_saveexec_b32 s10, s2
	s_cbranch_execz .LBB1130_65
; %bb.50:
	ds_load_2addr_b32 v[26:27], v17 offset0:3 offset1:4
	v_cmp_ne_u32_e64 s4, v3, v37
	v_mov_b64_e32 v[6:7], 0
	v_mov_b64_e32 v[10:11], 0
	;; [unrolled: 1-line block ×3, first 2 shown]
	v_mov_b32_e32 v13, 0
	v_cndmask_b32_e64 v1, 0, 1, s4
	v_cmp_ne_u32_e64 s4, v2, v36
	v_add_nc_u32_e32 v2, 4, v56
	v_mov_b64_e32 v[18:19], 0
	v_mov_b64_e32 v[24:25], 0
	v_cmp_ne_u32_e64 s2, v4, v30
	v_cmp_ne_u32_e64 s3, v5, v31
	v_cndmask_b32_e64 v28, 0, 1, s4
	v_lshlrev_b16 v29, 8, v1
	v_dual_mov_b32 v48, v13 :: v_dual_mov_b32 v51, v13
	v_dual_mov_b32 v49, v13 :: v_dual_mov_b32 v40, v13
	;; [unrolled: 1-line block ×3, first 2 shown]
	s_wait_dscnt 0x0
	v_dual_mov_b32 v9, v13 :: v_dual_mov_b32 v12, v26
	v_dual_mov_b32 v43, v13 :: v_dual_mov_b32 v42, v13
	v_mov_b32_e32 v41, v13
	s_mov_b32 s38, 0
	s_mov_b32 s11, exec_lo
                                        ; implicit-def: $sgpr6
                                        ; implicit-def: $vgpr50
	v_cmpx_gt_u32_e64 s40, v2
	s_cbranch_execz .LBB1130_64
; %bb.51:
	v_cndmask_b32_e64 v1, 0, 1, s3
	v_cndmask_b32_e64 v2, 0, 1, s2
	v_and_b32_e32 v3, 0xffff, v29
	v_mov_b64_e32 v[6:7], 0
	v_mov_b64_e32 v[10:11], 0
	v_lshlrev_b16 v1, 8, v1
	v_add_nc_u32_e32 v4, 5, v56
	v_mov_b64_e32 v[22:23], 0
	v_mov_b64_e32 v[18:19], 0
	;; [unrolled: 1-line block ×3, first 2 shown]
	v_dual_mov_b32 v51, 0 :: v_dual_bitop2_b32 v12, v2, v1 bitop3:0x54
	v_dual_mov_b32 v49, 0 :: v_dual_mov_b32 v1, 0
	s_delay_alu instid0(VALU_DEP_2) | instskip(SKIP_3) | instid1(VALU_DEP_2)
	v_dual_mov_b32 v8, 0 :: v_dual_lshlrev_b32 v13, 16, v12
	v_dual_mov_b32 v40, 0 :: v_dual_mov_b32 v9, 0
	s_mov_b32 s3, 0
	s_mov_b32 s38, exec_lo
	v_or_b32_e32 v2, v3, v13
                                        ; implicit-def: $sgpr6
                                        ; implicit-def: $vgpr50
	s_delay_alu instid0(VALU_DEP_1)
	v_dual_mov_b32 v41, 0 :: v_dual_lshrrev_b32 v48, 8, v2
	v_cmpx_gt_u32_e64 s40, v4
	s_cbranch_execz .LBB1130_63
; %bb.52:
	ds_load_2addr_b32 v[2:3], v17 offset0:5 offset1:6
	v_dual_add_nc_u32 v1, 6, v56 :: v_dual_mov_b32 v11, 0
	v_mov_b64_e32 v[6:7], 0
	v_mov_b64_e32 v[22:23], 0
	v_mov_b64_e32 v[18:19], 0
	s_delay_alu instid0(VALU_DEP_4)
	v_cmp_gt_u32_e64 s2, s40, v1
	v_dual_mov_b32 v49, v11 :: v_dual_mov_b32 v40, v11
	v_dual_mov_b32 v1, v11 :: v_dual_mov_b32 v8, v11
	;; [unrolled: 1-line block ×3, first 2 shown]
                                        ; implicit-def: $sgpr6
                                        ; implicit-def: $vgpr50
	s_wait_dscnt 0x0
	v_mov_b32_e32 v10, v2
	s_and_saveexec_b32 s39, s2
	s_cbranch_execz .LBB1130_62
; %bb.53:
	v_mov_b64_e32 v[6:7], 0
	v_mov_b64_e32 v[22:23], 0
	;; [unrolled: 1-line block ×3, first 2 shown]
	v_dual_add_nc_u32 v4, 7, v56 :: v_dual_mov_b32 v40, 0
	v_dual_mov_b32 v1, 0 :: v_dual_mov_b32 v8, 0
	v_mov_b32_e32 v9, 0
	s_mov_b32 s41, exec_lo
                                        ; implicit-def: $sgpr6
                                        ; implicit-def: $vgpr50
	s_delay_alu instid0(VALU_DEP_3)
	v_cmpx_gt_u32_e64 s40, v4
	s_cbranch_execz .LBB1130_61
; %bb.54:
	ds_load_2addr_b32 v[4:5], v17 offset0:7 offset1:8
	v_cmp_ne_u32_e64 s4, v32, v33
	v_dual_mov_b32 v7, 0 :: v_dual_add_nc_u32 v6, 8, v56
	v_mov_b64_e32 v[22:23], 0
	v_cmp_ne_u32_e64 s2, v33, v14
	s_delay_alu instid0(VALU_DEP_4)
	v_cndmask_b32_e64 v1, 0, 1, s4
	v_cmp_ne_u32_e64 s4, v31, v32
	v_cmp_ne_u32_e64 s3, v14, v15
	s_mov_b32 s43, 0
	v_mov_b32_e32 v8, v7
	v_lshlrev_b16 v11, 8, v1
	v_cndmask_b32_e64 v10, 0, 1, s4
	v_cmp_gt_u32_e64 s4, s40, v6
	v_mov_b32_e32 v1, v7
                                        ; implicit-def: $sgpr6
                                        ; implicit-def: $vgpr50
	s_wait_dscnt 0x0
	v_dual_mov_b32 v9, v7 :: v_dual_mov_b32 v6, v4
	s_and_saveexec_b32 s42, s4
	s_cbranch_execz .LBB1130_60
; %bb.55:
	v_cndmask_b32_e64 v1, 0, 1, s3
	v_cndmask_b32_e64 v6, 0, 1, s2
	v_mov_b64_e32 v[22:23], 0
	s_mov_b32 s4, 0
	s_mov_b32 s3, exec_lo
	v_lshlrev_b16 v1, 8, v1
                                        ; implicit-def: $sgpr6
                                        ; implicit-def: $vgpr50
	v_dual_mov_b32 v8, 0 :: v_dual_mov_b32 v9, 0
	s_delay_alu instid0(VALU_DEP_2) | instskip(SKIP_1) | instid1(VALU_DEP_2)
	v_dual_add_nc_u32 v6, 9, v56 :: v_dual_bitop2_b32 v14, v6, v1 bitop3:0x54
	v_and_b32_e32 v1, 0xffff, v11
	v_lshlrev_b32_e32 v18, 16, v14
	s_delay_alu instid0(VALU_DEP_1) | instskip(NEXT) | instid1(VALU_DEP_1)
	v_or_b32_e32 v1, v1, v18
	v_lshrrev_b32_e32 v1, 8, v1
	v_cmpx_gt_u32_e64 s40, v6
	s_cbranch_execz .LBB1130_59
; %bb.56:
	ds_load_2addr_b32 v[6:7], v17 offset0:9 offset1:10
	v_dual_add_nc_u32 v19, 10, v56 :: v_dual_mov_b32 v9, 0
	s_mov_b32 s43, exec_lo
                                        ; implicit-def: $sgpr6
                                        ; implicit-def: $vgpr50
	s_wait_dscnt 0x0
	v_mov_b32_e32 v8, v6
	s_delay_alu instid0(VALU_DEP_1)
	v_mov_b64_e32 v[22:23], v[8:9]
	v_cmpx_gt_u32_e64 s40, v19
	s_xor_b32 s43, exec_lo, s43
	s_cbranch_execz .LBB1130_58
; %bb.57:
	ds_load_b32 v50, v17 offset:44
	v_dual_add_nc_u32 v8, 11, v56 :: v_dual_lshrrev_b32 v9, 24, v18
	v_mov_b64_e32 v[22:23], v[6:7]
	v_cmp_ne_u32_e64 s6, v15, v52
	s_delay_alu instid0(VALU_DEP_3)
	v_cmp_gt_u32_e64 s2, s40, v8
	s_and_b32 s4, s2, exec_lo
.LBB1130_58:
	s_or_b32 exec_lo, exec_lo, s43
	v_mov_b32_e32 v8, v14
	s_and_b32 s4, s4, exec_lo
.LBB1130_59:
	s_or_b32 exec_lo, exec_lo, s3
	v_mov_b64_e32 v[6:7], v[4:5]
	s_and_b32 s43, s4, exec_lo
.LBB1130_60:
	s_or_b32 exec_lo, exec_lo, s42
	s_delay_alu instid0(VALU_DEP_1)
	v_mov_b64_e32 v[18:19], v[6:7]
	v_or_b32_e32 v40, v10, v11
	s_and_b32 s3, s43, exec_lo
.LBB1130_61:
	s_or_b32 exec_lo, exec_lo, s41
	v_lshrrev_b32_e32 v49, 24, v13
	v_mov_b64_e32 v[10:11], v[2:3]
	s_and_b32 s3, s3, exec_lo
	s_delay_alu instid0(VALU_DEP_2)
	v_mov_b32_e32 v41, v49
.LBB1130_62:
	s_or_b32 exec_lo, exec_lo, s39
	s_delay_alu instid0(VALU_DEP_1)
	v_mov_b64_e32 v[24:25], v[10:11]
	v_mov_b32_e32 v51, v12
	s_and_b32 s3, s3, exec_lo
.LBB1130_63:
	s_or_b32 exec_lo, exec_lo, s38
	v_mov_b64_e32 v[12:13], v[26:27]
	s_delay_alu instid0(VALU_DEP_2)
	v_dual_mov_b32 v43, v48 :: v_dual_mov_b32 v42, v51
	s_and_b32 s38, s3, exec_lo
.LBB1130_64:
	s_or_b32 exec_lo, exec_lo, s11
	s_delay_alu instid0(VALU_DEP_2)
	v_mov_b64_e32 v[26:27], v[12:13]
	v_or_b32_e32 v53, v28, v29
	s_and_b32 s3, s38, exec_lo
.LBB1130_65:
	s_or_b32 exec_lo, exec_lo, s10
	v_cndmask_b32_e64 v54, 0, 1, s1
	v_mov_b64_e32 v[34:35], v[20:21]
	v_mov_b32_e32 v44, v53
	s_and_b32 s2, s3, exec_lo
	s_delay_alu instid0(VALU_DEP_3)
	v_mov_b32_e32 v45, v54
.LBB1130_66:
	s_or_b32 exec_lo, exec_lo, s9
	v_cndmask_b32_e64 v55, 0, 1, s0
	s_delay_alu instid0(VALU_DEP_4) | instskip(SKIP_1) | instid1(VALU_DEP_2)
	v_mov_b64_e32 v[28:29], v[34:35]
	s_and_b32 s1, s2, exec_lo
	v_mov_b32_e32 v46, v55
.LBB1130_67:
	s_or_b32 exec_lo, exec_lo, s8
	v_cndmask_b32_e64 v57, 0, 1, vcc_lo
	s_and_b32 s1, s1, exec_lo
	s_delay_alu instid0(VALU_DEP_1)
	v_mov_b32_e32 v47, v57
.LBB1130_68:
	s_or_b32 exec_lo, exec_lo, s7
	v_lshlrev_b32_e32 v20, 2, v0
	s_and_b32 vcc_lo, exec_lo, s5
	s_cbranch_vccz .LBB1130_88
.LBB1130_69:
	s_clause 0xb
	flat_load_b32 v2, v0, s[30:31] scale_offset
	flat_load_b32 v3, v0, s[30:31] offset:1024 scale_offset
	flat_load_b32 v4, v0, s[30:31] offset:2048 scale_offset
	;; [unrolled: 1-line block ×11, first 2 shown]
	v_mad_u32_u24 v1, v0, 44, v20
	v_mov_b32_e32 v17, 0
	s_cmp_eq_u64 s[36:37], 0
	s_wait_loadcnt_dscnt 0xa0a
	ds_store_2addr_stride64_b32 v20, v2, v3 offset1:4
	s_wait_loadcnt_dscnt 0x809
	ds_store_2addr_stride64_b32 v20, v4, v5 offset0:8 offset1:12
	s_wait_loadcnt_dscnt 0x608
	ds_store_2addr_stride64_b32 v20, v6, v7 offset0:16 offset1:20
	s_wait_loadcnt_dscnt 0x407
	ds_store_2addr_stride64_b32 v20, v8, v9 offset0:24 offset1:28
	s_wait_loadcnt_dscnt 0x206
	ds_store_2addr_stride64_b32 v20, v10, v11 offset0:32 offset1:36
	s_wait_loadcnt_dscnt 0x5
	ds_store_2addr_stride64_b32 v20, v12, v13 offset0:40 offset1:44
	s_wait_dscnt 0x0
	s_barrier_signal -1
	s_barrier_wait -1
	ds_load_b32 v16, v1 offset:44
	ds_load_b64 v[6:7], v1
	ds_load_2addr_b64 v[2:5], v1 offset0:1 offset1:2
	ds_load_2addr_b32 v[8:9], v1 offset0:5 offset1:6
	ds_load_2addr_b32 v[12:13], v1 offset0:9 offset1:10
	;; [unrolled: 1-line block ×4, first 2 shown]
	s_cbranch_scc1 .LBB1130_85
; %bb.70:
	s_and_not1_b32 vcc_lo, exec_lo, s33
	s_cbranch_vccnz .LBB1130_83
; %bb.71:
	s_lshl_b64 s[0:1], s[36:37], 2
	s_delay_alu instid0(SALU_CYCLE_1) | instskip(NEXT) | instid1(SALU_CYCLE_1)
	s_add_nc_u64 s[0:1], s[22:23], s[0:1]
	s_add_nc_u64 s[30:31], s[0:1], -4
	s_mov_b32 s0, 0
	s_branch .LBB1130_84
.LBB1130_72:
	flat_load_b32 v6, v0, s[12:13] scale_offset
	s_wait_xcnt 0x0
	s_or_b32 exec_lo, exec_lo, s38
                                        ; implicit-def: $vgpr7
	s_and_saveexec_b32 s0, s1
	s_cbranch_execz .LBB1130_35
.LBB1130_73:
	flat_load_b32 v7, v0, s[12:13] offset:1024 scale_offset
	s_wait_xcnt 0x0
	s_or_b32 exec_lo, exec_lo, s0
                                        ; implicit-def: $vgpr8
	s_and_saveexec_b32 s0, s2
	s_cbranch_execz .LBB1130_36
.LBB1130_74:
	flat_load_b32 v8, v0, s[12:13] offset:2048 scale_offset
	s_wait_xcnt 0x0
	s_or_b32 exec_lo, exec_lo, s0
                                        ; implicit-def: $vgpr9
	s_and_saveexec_b32 s0, s3
	s_cbranch_execz .LBB1130_37
.LBB1130_75:
	flat_load_b32 v9, v0, s[12:13] offset:3072 scale_offset
	s_wait_xcnt 0x0
	s_or_b32 exec_lo, exec_lo, s0
                                        ; implicit-def: $vgpr10
	s_and_saveexec_b32 s0, s4
	s_cbranch_execz .LBB1130_38
.LBB1130_76:
	flat_load_b32 v10, v0, s[12:13] offset:4096 scale_offset
	s_wait_xcnt 0x0
	s_or_b32 exec_lo, exec_lo, s0
                                        ; implicit-def: $vgpr11
	s_and_saveexec_b32 s0, s5
	s_cbranch_execz .LBB1130_39
.LBB1130_77:
	flat_load_b32 v11, v0, s[12:13] offset:5120 scale_offset
	s_wait_xcnt 0x0
	s_or_b32 exec_lo, exec_lo, s0
                                        ; implicit-def: $vgpr12
	s_and_saveexec_b32 s0, s6
	s_cbranch_execz .LBB1130_40
.LBB1130_78:
	flat_load_b32 v12, v0, s[12:13] offset:6144 scale_offset
	s_wait_xcnt 0x0
	s_or_b32 exec_lo, exec_lo, s0
                                        ; implicit-def: $vgpr13
	s_and_saveexec_b32 s0, s7
	s_cbranch_execz .LBB1130_41
.LBB1130_79:
	flat_load_b32 v13, v0, s[12:13] offset:7168 scale_offset
	s_wait_xcnt 0x0
	s_or_b32 exec_lo, exec_lo, s0
                                        ; implicit-def: $vgpr16
	s_and_saveexec_b32 s0, s8
	s_cbranch_execz .LBB1130_42
.LBB1130_80:
	flat_load_b32 v16, v0, s[12:13] offset:8192 scale_offset
	s_wait_xcnt 0x0
	s_or_b32 exec_lo, exec_lo, s0
                                        ; implicit-def: $vgpr18
	s_and_saveexec_b32 s0, s9
	s_cbranch_execz .LBB1130_43
.LBB1130_81:
	flat_load_b32 v18, v0, s[12:13] offset:9216 scale_offset
	s_wait_xcnt 0x0
	s_or_b32 exec_lo, exec_lo, s0
                                        ; implicit-def: $vgpr19
	s_and_saveexec_b32 s0, s10
	s_cbranch_execz .LBB1130_44
.LBB1130_82:
	flat_load_b32 v19, v0, s[12:13] offset:10240 scale_offset
	s_wait_xcnt 0x0
	s_or_b32 exec_lo, exec_lo, s0
                                        ; implicit-def: $vgpr21
	s_and_saveexec_b32 s0, s11
	s_cbranch_execnz .LBB1130_45
	s_branch .LBB1130_46
.LBB1130_83:
	s_add_nc_u64 s[30:31], s[30:31], -4
	s_mov_b32 s0, -1
.LBB1130_84:
	s_delay_alu instid0(SALU_CYCLE_1)
	s_and_not1_b32 vcc_lo, exec_lo, s0
.LBB1130_85:
	flat_load_b32 v17, v17, s[30:31]
	v_mad_i32_i24 v18, 0xffffffd4, v0, v1
	s_mov_b32 s0, exec_lo
	s_wait_dscnt 0x7
	ds_store_b32 v18, v16 offset:12288
	s_wait_loadcnt_dscnt 0x0
	s_barrier_signal -1
	s_barrier_wait -1
	v_cmpx_ne_u32_e32 0, v0
; %bb.86:
	v_mul_i32_i24_e32 v17, 0xffffffd4, v0
	s_delay_alu instid0(VALU_DEP_1)
	v_add_nc_u32_e32 v17, v1, v17
	ds_load_b32 v17, v17 offset:12284
; %bb.87:
	s_or_b32 exec_lo, exec_lo, s0
	s_wait_dscnt 0x0
	s_barrier_signal -1
	s_barrier_wait -1
	s_clause 0xb
	flat_load_b32 v18, v0, s[12:13] scale_offset
	flat_load_b32 v19, v0, s[12:13] offset:1024 scale_offset
	flat_load_b32 v21, v0, s[12:13] offset:2048 scale_offset
	;; [unrolled: 1-line block ×11, first 2 shown]
	v_cmp_ne_u32_e32 vcc_lo, v14, v15
	v_cmp_ne_u32_e64 s6, v13, v16
	s_mov_b32 s1, -1
	s_wait_loadcnt_dscnt 0xa0a
	ds_store_2addr_stride64_b32 v20, v18, v19 offset1:4
	s_wait_loadcnt_dscnt 0x809
	ds_store_2addr_stride64_b32 v20, v21, v22 offset0:8 offset1:12
	s_wait_loadcnt_dscnt 0x608
	ds_store_2addr_stride64_b32 v20, v23, v24 offset0:16 offset1:20
	;; [unrolled: 2-line block ×5, first 2 shown]
	v_cndmask_b32_e64 v16, 0, 1, vcc_lo
	v_cmp_ne_u32_e32 vcc_lo, v9, v14
	s_wait_dscnt 0x0
	s_barrier_signal -1
	s_barrier_wait -1
	v_cndmask_b32_e64 v14, 0, 1, vcc_lo
	v_cmp_ne_u32_e32 vcc_lo, v12, v13
	v_cndmask_b32_e64 v13, 0, 1, vcc_lo
	v_cmp_ne_u32_e32 vcc_lo, v15, v12
	;; [unrolled: 2-line block ×4, first 2 shown]
	s_delay_alu instid0(VALU_DEP_2) | instskip(SKIP_4) | instid1(VALU_DEP_2)
	v_lshlrev_b16 v3, 8, v3
	v_cndmask_b32_e64 v10, 0, 1, vcc_lo
	v_cmp_ne_u32_e32 vcc_lo, v5, v9
	v_cndmask_b32_e64 v5, 0, 1, vcc_lo
	v_cmp_ne_u32_e32 vcc_lo, v4, v8
	v_lshlrev_b16 v5, 8, v5
	v_cndmask_b32_e64 v4, 0, 1, vcc_lo
	v_cmp_ne_u32_e32 vcc_lo, v7, v2
	v_lshlrev_b16 v2, 8, v16
	s_delay_alu instid0(VALU_DEP_3) | instskip(SKIP_2) | instid1(VALU_DEP_3)
	v_or_b32_e32 v51, v4, v5
	v_cndmask_b32_e64 v54, 0, 1, vcc_lo
	v_cmp_ne_u32_e32 vcc_lo, v6, v7
	v_dual_lshlrev_b32 v4, 16, v51 :: v_dual_bitop2_b32 v40, v14, v2 bitop3:0x54
	v_cndmask_b32_e64 v55, 0, 1, vcc_lo
	v_cmp_ne_u32_e32 vcc_lo, v17, v6
	v_lshlrev_b16 v6, 8, v13
	ds_load_b96 v[16:18], v1
	v_and_b32_e32 v2, 0xffff, v2
	v_lshrrev_b32_e32 v49, 24, v4
	v_cndmask_b32_e64 v57, 0, 1, vcc_lo
	v_or_b32_e32 v8, v12, v6
	v_or_b32_e32 v53, v10, v3
	ds_load_2addr_b32 v[10:11], v1 offset0:5 offset1:6
	ds_load_2addr_b32 v[6:7], v1 offset0:7 offset1:8
	;; [unrolled: 1-line block ×3, first 2 shown]
	v_and_b32_e32 v3, 0xffff, v3
	v_lshlrev_b32_e32 v5, 16, v8
	ds_load_b32 v50, v1 offset:44
	ds_load_2addr_b32 v[22:23], v1 offset0:9 offset1:10
	v_dual_mov_b32 v44, v53 :: v_dual_mov_b32 v42, v51
	v_dual_lshrrev_b32 v9, 24, v5 :: v_dual_bitop2_b32 v3, v3, v4 bitop3:0x54
	v_dual_mov_b32 v41, v49 :: v_dual_bitop2_b32 v1, v2, v5 bitop3:0x54
	v_dual_mov_b32 v47, v57 :: v_dual_mov_b32 v46, v55
	s_delay_alu instid0(VALU_DEP_2) | instskip(SKIP_2) | instid1(VALU_DEP_2)
	v_dual_lshrrev_b32 v48, 8, v3 :: v_dual_lshrrev_b32 v1, 8, v1
	s_wait_dscnt 0x5
	v_dual_mov_b32 v34, v17 :: v_dual_mov_b32 v35, v18
	v_dual_mov_b32 v45, v54 :: v_dual_mov_b32 v43, v48
	s_wait_dscnt 0x4
	v_mov_b64_e32 v[24:25], v[10:11]
	s_wait_dscnt 0x3
	v_mov_b64_e32 v[18:19], v[6:7]
	;; [unrolled: 2-line block ×3, first 2 shown]
	v_mov_b64_e32 v[28:29], v[34:35]
.LBB1130_88:
	v_dual_mov_b32 v21, 0 :: v_dual_mov_b32 v30, 0
	s_and_saveexec_b32 s0, s1
	s_cbranch_execz .LBB1130_90
; %bb.89:
	v_mov_b64_e32 v[28:29], v[34:35]
	v_mov_b64_e32 v[26:27], v[12:13]
	;; [unrolled: 1-line block ×4, first 2 shown]
	v_cndmask_b32_e64 v30, 0, 1, s6
	v_dual_mov_b32 v45, v54 :: v_dual_mov_b32 v46, v55
	s_wait_dscnt 0x0
	v_dual_mov_b32 v47, v57 :: v_dual_mov_b32 v21, v50
	v_dual_mov_b32 v44, v53 :: v_dual_mov_b32 v43, v48
	v_dual_mov_b32 v42, v51 :: v_dual_mov_b32 v41, v49
.LBB1130_90:
	s_or_b32 exec_lo, exec_lo, s0
	s_delay_alu instid0(VALU_DEP_1)
	v_dual_lshrrev_b32 v33, 2, v0 :: v_dual_bitop2_b32 v31, 1, v30 bitop3:0x40
	v_or_b32_e32 v32, v9, v8
	v_and_b32_e32 v51, 0xff, v46
	v_and_b32_e32 v49, 0xff, v45
	;; [unrolled: 1-line block ×5, first 2 shown]
	s_wait_dscnt 0x0
	v_and_b32_e32 v50, 0xff, v44
	v_and_b32_e32 v34, 0xff, v9
	;; [unrolled: 1-line block ×5, first 2 shown]
	v_cmp_eq_u16_e64 s0, 0, v30
	v_cmp_eq_u32_e64 s11, 1, v31
	s_cmp_lg_u32 s20, 0
	v_cmp_gt_u32_e32 vcc_lo, 32, v0
	s_barrier_signal -1
	s_barrier_wait -1
	s_cbranch_scc0 .LBB1130_138
; %bb.91:
	v_or_b32_e32 v3, v44, v43
	v_dual_add_f32 v2, v28, v16 :: v_dual_bitop2_b32 v4, 56, v33 bitop3:0x40
	v_cmp_eq_u16_e64 s1, 0, v51
	v_and_b32_e32 v12, 0xff, v47
	s_delay_alu instid0(VALU_DEP_4)
	v_bitop3_b16 v3, v3, v41, v42 bitop3:0xfe
	v_cmp_eq_u16_e64 s2, 0, v49
	v_cmp_eq_u16_e64 s3, 0, v50
	;; [unrolled: 1-line block ×4, first 2 shown]
	v_bitop3_b16 v3, v3, v40, v45 bitop3:0xfe
	v_cmp_eq_u16_e64 s6, 0, v37
	v_cmp_eq_u16_e64 s7, 0, v38
	;; [unrolled: 1-line block ×4, first 2 shown]
	v_bitop3_b16 v3, v3, v46, v1 bitop3:0xfe
	v_cmp_eq_u16_e64 s10, 0, v34
	v_lshl_add_u32 v4, v0, 3, v4
	s_delay_alu instid0(VALU_DEP_3) | instskip(NEXT) | instid1(VALU_DEP_1)
	v_bitop3_b16 v3, v32, 0xff, v3 bitop3:0xc8
	v_cmp_eq_u16_e64 s12, 0, v3
	s_delay_alu instid0(VALU_DEP_1) | instskip(NEXT) | instid1(VALU_DEP_1)
	v_dual_cndmask_b32 v2, v28, v2, s1 :: v_dual_cndmask_b32 v3, 1, v12, s12
	v_add_f32_e32 v2, v29, v2
	s_delay_alu instid0(VALU_DEP_2) | instskip(NEXT) | instid1(VALU_DEP_2)
	v_cndmask_b32_e64 v14, v3, 1, s11
	v_cndmask_b32_e64 v2, v29, v2, s2
	s_delay_alu instid0(VALU_DEP_1) | instskip(NEXT) | instid1(VALU_DEP_1)
	v_add_f32_e32 v2, v26, v2
	v_cndmask_b32_e64 v2, v26, v2, s3
	s_delay_alu instid0(VALU_DEP_1) | instskip(NEXT) | instid1(VALU_DEP_1)
	v_add_f32_e32 v2, v27, v2
	;; [unrolled: 3-line block ×9, first 2 shown]
	v_cndmask_b32_e64 v13, v21, v2, s0
	ds_store_b32 v4, v13
	ds_store_b8 v4, v14 offset:4
	s_wait_dscnt 0x0
	s_barrier_signal -1
	s_barrier_wait -1
	s_and_saveexec_b32 s13, vcc_lo
	s_cbranch_execz .LBB1130_103
; %bb.92:
	v_dual_lshlrev_b32 v2, 1, v0 :: v_dual_lshlrev_b32 v3, 6, v0
	s_mov_b32 s22, exec_lo
	s_delay_alu instid0(VALU_DEP_1) | instskip(NEXT) | instid1(VALU_DEP_1)
	v_and_b32_e32 v2, 0x1f8, v2
	v_add_nc_u32_e32 v4, v2, v3
	ds_load_2addr_b32 v[6:7], v4 offset0:2 offset1:4
	ds_load_b64 v[2:3], v4
	ds_load_u8 v5, v4 offset:12
	ds_load_2addr_b32 v[8:9], v4 offset0:6 offset1:8
	ds_load_u8 v10, v4 offset:20
	ds_load_u8 v11, v4 offset:28
	;; [unrolled: 1-line block ×5, first 2 shown]
	ds_load_b32 v53, v4 offset:56
	s_wait_dscnt 0x8
	v_add_f32_e32 v54, v2, v6
	s_wait_dscnt 0x7
	v_cmp_eq_u16_e64 s11, 0, v5
	s_wait_dscnt 0x5
	v_or_b32_e32 v5, v10, v5
	s_delay_alu instid0(VALU_DEP_2) | instskip(SKIP_2) | instid1(VALU_DEP_3)
	v_cndmask_b32_e64 v6, v6, v54, s11
	v_cmp_eq_u16_e64 s11, 0, v10
	s_wait_dscnt 0x3
	v_bitop3_b16 v5, v5, v15, v11 bitop3:0xfe
	s_delay_alu instid0(VALU_DEP_3) | instskip(NEXT) | instid1(VALU_DEP_1)
	v_add_f32_e32 v6, v7, v6
	v_cndmask_b32_e64 v54, v7, v6, s11
	ds_load_2addr_b32 v[6:7], v4 offset0:10 offset1:12
	v_cmp_eq_u16_e64 s11, 0, v11
	v_and_b32_e32 v11, 0xffffff00, v3
	v_add_f32_e32 v54, v8, v54
	s_delay_alu instid0(VALU_DEP_1) | instskip(SKIP_3) | instid1(VALU_DEP_1)
	v_cndmask_b32_e64 v8, v8, v54, s11
	v_cmp_eq_u16_e64 s11, 0, v15
	ds_load_u8 v54, v4 offset:60
	v_add_f32_e32 v8, v9, v8
	v_cndmask_b32_e64 v8, v9, v8, s11
	s_wait_dscnt 0x4
	v_cmp_eq_u16_e64 s11, 0, v17
	s_wait_dscnt 0x1
	s_delay_alu instid0(VALU_DEP_2) | instskip(NEXT) | instid1(VALU_DEP_1)
	v_add_f32_e32 v8, v6, v8
	v_cndmask_b32_e64 v6, v6, v8, s11
	v_bitop3_b16 v8, v5, v52, v17 bitop3:0xfe
	v_and_b32_e32 v5, 1, v3
	s_wait_dscnt 0x0
	v_and_b32_e32 v9, 1, v54
	s_delay_alu instid0(VALU_DEP_3) | instskip(NEXT) | instid1(VALU_DEP_1)
	v_cmp_eq_u16_e64 s11, 0, v8
	v_dual_add_f32 v6, v7, v6 :: v_dual_cndmask_b32 v8, 1, v5, s11
	v_cmp_eq_u16_e64 s11, 0, v52
	s_delay_alu instid0(VALU_DEP_1) | instskip(SKIP_1) | instid1(VALU_DEP_1)
	v_cndmask_b32_e64 v6, v7, v6, s11
	v_cmp_eq_u32_e64 s11, 1, v9
	v_cndmask_b32_e64 v9, v8, 1, s11
	v_cmp_eq_u16_e64 s11, 0, v54
	s_delay_alu instid0(VALU_DEP_2) | instskip(SKIP_2) | instid1(VALU_DEP_3)
	v_or_b32_e32 v8, v9, v11
	v_add_f32_e32 v7, v53, v6
	v_mbcnt_lo_u32_b32 v6, -1, 0
	v_mov_b32_dpp v17, v8 row_shr:1 row_mask:0xf bank_mask:0xf
	s_delay_alu instid0(VALU_DEP_2) | instskip(NEXT) | instid1(VALU_DEP_1)
	v_dual_cndmask_b32 v7, v53, v7, s11 :: v_dual_bitop2_b32 v10, 15, v6 bitop3:0x40
	v_mov_b32_dpp v15, v7 row_shr:1 row_mask:0xf bank_mask:0xf
	s_delay_alu instid0(VALU_DEP_2)
	v_cmpx_ne_u32_e32 0, v10
	s_cbranch_execz .LBB1130_94
; %bb.93:
	s_delay_alu instid0(VALU_DEP_2) | instskip(SKIP_2) | instid1(VALU_DEP_3)
	v_dual_add_f32 v15, v7, v15 :: v_dual_bitop2_b32 v8, 1, v9 bitop3:0x40
	v_cmp_eq_u32_e64 s11, 0, v9
	v_and_b32_e32 v17, 1, v17
	v_cmp_eq_u32_e64 s12, 1, v8
	s_delay_alu instid0(VALU_DEP_3) | instskip(NEXT) | instid1(VALU_DEP_2)
	v_cndmask_b32_e64 v7, v7, v15, s11
	v_cndmask_b32_e64 v9, v17, 1, s12
	s_delay_alu instid0(VALU_DEP_1)
	v_or_b32_e32 v8, v9, v11
.LBB1130_94:
	s_or_b32 exec_lo, exec_lo, s22
	s_delay_alu instid0(VALU_DEP_3) | instskip(NEXT) | instid1(VALU_DEP_2)
	v_mov_b32_dpp v11, v7 row_shr:2 row_mask:0xf bank_mask:0xf
	v_mov_b32_dpp v15, v8 row_shr:2 row_mask:0xf bank_mask:0xf
	s_mov_b32 s22, exec_lo
	v_cmpx_lt_u32_e32 1, v10
	s_cbranch_execz .LBB1130_96
; %bb.95:
	v_dual_add_f32 v11, v7, v11 :: v_dual_bitop2_b32 v17, 1, v9 bitop3:0x40
	v_and_b32_e32 v15, 1, v15
	v_cmp_eq_u32_e64 s11, 0, v9
	s_delay_alu instid0(VALU_DEP_3) | instskip(NEXT) | instid1(VALU_DEP_2)
	v_cmp_eq_u32_e64 s12, 1, v17
	v_cndmask_b32_e64 v7, v7, v11, s11
	s_delay_alu instid0(VALU_DEP_2) | instskip(NEXT) | instid1(VALU_DEP_1)
	v_cndmask_b32_e64 v9, v15, 1, s12
	v_and_or_b32 v8, 0xffffff00, v8, v9
.LBB1130_96:
	s_or_b32 exec_lo, exec_lo, s22
	s_delay_alu instid0(VALU_DEP_3) | instskip(NEXT) | instid1(VALU_DEP_2)
	v_mov_b32_dpp v11, v7 row_shr:4 row_mask:0xf bank_mask:0xf
	v_mov_b32_dpp v15, v8 row_shr:4 row_mask:0xf bank_mask:0xf
	s_mov_b32 s22, exec_lo
	v_cmpx_lt_u32_e32 3, v10
	s_cbranch_execz .LBB1130_98
; %bb.97:
	v_dual_add_f32 v11, v7, v11 :: v_dual_bitop2_b32 v17, 1, v9 bitop3:0x40
	v_and_b32_e32 v15, 1, v15
	v_cmp_eq_u32_e64 s11, 0, v9
	s_delay_alu instid0(VALU_DEP_3) | instskip(NEXT) | instid1(VALU_DEP_2)
	v_cmp_eq_u32_e64 s12, 1, v17
	v_cndmask_b32_e64 v7, v7, v11, s11
	s_delay_alu instid0(VALU_DEP_2) | instskip(NEXT) | instid1(VALU_DEP_1)
	v_cndmask_b32_e64 v9, v15, 1, s12
	v_and_or_b32 v8, 0xffffff00, v8, v9
.LBB1130_98:
	;; [unrolled: 18-line block ×3, first 2 shown]
	s_or_b32 exec_lo, exec_lo, s22
	ds_swizzle_b32 v10, v7 offset:swizzle(BROADCAST,32,15)
	ds_swizzle_b32 v11, v8 offset:swizzle(BROADCAST,32,15)
	v_and_b32_e32 v15, 16, v6
	s_mov_b32 s12, exec_lo
	s_delay_alu instid0(VALU_DEP_1)
	v_cmpx_ne_u32_e32 0, v15
	s_cbranch_execz .LBB1130_102
; %bb.101:
	s_wait_dscnt 0x1
	v_dual_add_f32 v10, v7, v10 :: v_dual_bitop2_b32 v15, 1, v9 bitop3:0x40
	s_wait_dscnt 0x0
	v_and_b32_e32 v11, 1, v11
	s_delay_alu instid0(VALU_DEP_2) | instskip(NEXT) | instid1(VALU_DEP_1)
	v_cmp_eq_u32_e64 s11, 1, v15
	v_cndmask_b32_e64 v11, v11, 1, s11
	v_cmp_eq_u32_e64 s11, 0, v9
	s_delay_alu instid0(VALU_DEP_2) | instskip(NEXT) | instid1(VALU_DEP_2)
	v_and_or_b32 v8, 0xffffff00, v8, v11
	v_cndmask_b32_e64 v7, v7, v10, s11
.LBB1130_102:
	s_or_b32 exec_lo, exec_lo, s12
	v_add_nc_u32_e32 v9, -1, v6
	v_and_b32_e32 v3, 0xff, v3
	; wave barrier
	s_delay_alu instid0(VALU_DEP_2) | instskip(NEXT) | instid1(VALU_DEP_1)
	v_cmp_gt_i32_e64 s11, 0, v9
	v_cndmask_b32_e64 v6, v9, v6, s11
	s_delay_alu instid0(VALU_DEP_3) | instskip(NEXT) | instid1(VALU_DEP_2)
	v_cmp_eq_u32_e64 s11, 0, v3
	v_lshlrev_b32_e32 v6, 2, v6
	ds_bpermute_b32 v7, v6, v7
	ds_bpermute_b32 v6, v6, v8
	s_wait_dscnt 0x0
	v_dual_add_f32 v7, v2, v7 :: v_dual_bitop2_b32 v6, 1, v6 bitop3:0x40
	s_delay_alu instid0(VALU_DEP_1) | instskip(SKIP_1) | instid1(VALU_DEP_1)
	v_cndmask_b32_e64 v2, v2, v7, s11
	v_cmp_eq_u32_e64 s11, 1, v5
	v_cndmask_b32_e64 v3, v6, 1, s11
	v_cmp_eq_u32_e64 s11, 0, v0
	s_delay_alu instid0(VALU_DEP_1)
	v_dual_cndmask_b32 v5, v2, v13, s11 :: v_dual_cndmask_b32 v8, v3, v14, s11
	ds_store_b32 v4, v5
	ds_store_b8 v4, v8 offset:4
	; wave barrier
	ds_load_2addr_b32 v[2:3], v4 offset0:2 offset1:4
	ds_load_u8 v9, v4 offset:12
	ds_load_u8 v10, v4 offset:20
	ds_load_2addr_b32 v[6:7], v4 offset0:6 offset1:8
	ds_load_u8 v11, v4 offset:28
	ds_load_u8 v15, v4 offset:36
	;; [unrolled: 1-line block ×4, first 2 shown]
	ds_load_b32 v53, v4 offset:56
	ds_load_u8 v54, v4 offset:60
	s_wait_dscnt 0x9
	v_add_f32_e32 v5, v5, v2
	s_wait_dscnt 0x8
	v_cmp_eq_u16_e64 s11, 0, v9
	s_delay_alu instid0(VALU_DEP_1) | instskip(SKIP_2) | instid1(VALU_DEP_2)
	v_cndmask_b32_e64 v5, v2, v5, s11
	s_wait_dscnt 0x7
	v_cmp_eq_u16_e64 s11, 0, v10
	v_add_f32_e32 v2, v5, v3
	s_delay_alu instid0(VALU_DEP_1)
	v_cndmask_b32_e64 v55, v3, v2, s11
	s_wait_dscnt 0x5
	v_cmp_eq_u16_e64 s11, 0, v11
	ds_load_2addr_b32 v[2:3], v4 offset0:10 offset1:12
	v_add_f32_e32 v56, v55, v6
	ds_store_2addr_b32 v4, v5, v55 offset0:2 offset1:4
	v_dual_cndmask_b32 v6, v6, v56, s11 :: v_dual_bitop2_b32 v9, 1, v9 bitop3:0x40
	s_delay_alu instid0(VALU_DEP_1) | instskip(NEXT) | instid1(VALU_DEP_2)
	v_add_f32_e32 v56, v6, v7
	v_cmp_eq_u32_e64 s11, 1, v9
	s_delay_alu instid0(VALU_DEP_1) | instskip(SKIP_2) | instid1(VALU_DEP_1)
	v_cndmask_b32_e64 v8, v8, 1, s11
	s_wait_dscnt 0x6
	v_cmp_eq_u16_e64 s11, 0, v15
	v_dual_cndmask_b32 v7, v7, v56, s11 :: v_dual_bitop2_b32 v10, 1, v10 bitop3:0x40
	v_and_b32_e32 v9, 1, v11
	s_delay_alu instid0(VALU_DEP_2) | instskip(SKIP_1) | instid1(VALU_DEP_3)
	v_cmp_eq_u32_e64 s11, 1, v10
	s_wait_dscnt 0x1
	v_dual_add_f32 v15, v7, v2 :: v_dual_bitop2_b32 v11, 1, v15 bitop3:0x40
	s_delay_alu instid0(VALU_DEP_2) | instskip(SKIP_1) | instid1(VALU_DEP_1)
	v_cndmask_b32_e64 v10, v8, 1, s11
	v_cmp_eq_u32_e64 s11, 1, v9
	v_cndmask_b32_e64 v9, v10, 1, s11
	v_cmp_eq_u16_e64 s11, 0, v17
	s_delay_alu instid0(VALU_DEP_1) | instskip(SKIP_1) | instid1(VALU_DEP_2)
	v_dual_cndmask_b32 v2, v2, v15, s11 :: v_dual_bitop2_b32 v56, 1, v17 bitop3:0x40
	v_cmp_eq_u32_e64 s11, 1, v11
	v_add_f32_e32 v17, v2, v3
	s_delay_alu instid0(VALU_DEP_2) | instskip(NEXT) | instid1(VALU_DEP_4)
	v_cndmask_b32_e64 v11, v9, 1, s11
	v_cmp_eq_u32_e64 s11, 1, v56
	s_delay_alu instid0(VALU_DEP_1) | instskip(SKIP_1) | instid1(VALU_DEP_1)
	v_cndmask_b32_e64 v56, v11, 1, s11
	v_cmp_eq_u16_e64 s11, 0, v52
	v_dual_cndmask_b32 v3, v3, v17, s11 :: v_dual_bitop2_b32 v15, 1, v52 bitop3:0x40
	v_and_b32_e32 v57, 1, v54
	s_delay_alu instid0(VALU_DEP_2)
	v_cmp_eq_u32_e64 s11, 1, v15
	ds_store_2addr_b32 v4, v6, v7 offset0:6 offset1:8
	ds_store_2addr_b32 v4, v2, v3 offset0:10 offset1:12
	v_add_f32_e32 v5, v3, v53
	v_cndmask_b32_e64 v15, v56, 1, s11
	v_cmp_eq_u32_e64 s11, 1, v57
	s_delay_alu instid0(VALU_DEP_1) | instskip(SKIP_1) | instid1(VALU_DEP_1)
	v_cndmask_b32_e64 v17, v15, 1, s11
	v_cmp_eq_u16_e64 s11, 0, v54
	v_cndmask_b32_e64 v2, v53, v5, s11
	ds_store_b8 v4, v8 offset:12
	ds_store_b8 v4, v10 offset:20
	;; [unrolled: 1-line block ×6, first 2 shown]
	ds_store_b32 v4, v2 offset:56
	ds_store_b8 v4, v17 offset:60
.LBB1130_103:
	s_or_b32 exec_lo, exec_lo, s13
	v_cmp_eq_u32_e64 s11, 0, v0
	s_mov_b32 s13, exec_lo
	s_wait_dscnt 0x0
	s_barrier_signal -1
	s_barrier_wait -1
	v_cmpx_ne_u32_e32 0, v0
	s_cbranch_execz .LBB1130_105
; %bb.104:
	v_add_nc_u32_e32 v2, -1, v0
	s_delay_alu instid0(VALU_DEP_1) | instskip(NEXT) | instid1(VALU_DEP_1)
	v_lshrrev_b32_e32 v3, 2, v2
	v_and_b32_e32 v3, 0x3ffffff8, v3
	s_delay_alu instid0(VALU_DEP_1)
	v_lshl_add_u32 v2, v2, 3, v3
	ds_load_b32 v13, v2
	ds_load_u8 v14, v2 offset:4
.LBB1130_105:
	s_or_b32 exec_lo, exec_lo, s13
	s_and_saveexec_b32 s13, vcc_lo
	s_cbranch_execz .LBB1130_183
; %bb.106:
	v_mov_b32_e32 v5, 0
	v_mbcnt_lo_u32_b32 v15, -1, 0
	s_mov_b32 s23, 0
	ds_load_b64 v[2:3], v5 offset:2096
	v_cmp_eq_u32_e64 s12, 0, v15
	s_and_saveexec_b32 s30, s12
	s_cbranch_execz .LBB1130_108
; %bb.107:
	s_add_co_i32 s22, s20, 32
	v_mov_b32_e32 v4, 1
	s_lshl_b64 s[22:23], s[22:23], 4
	s_delay_alu instid0(SALU_CYCLE_1) | instskip(NEXT) | instid1(SALU_CYCLE_1)
	s_add_nc_u64 s[22:23], s[24:25], s[22:23]
	v_mov_b64_e32 v[6:7], s[22:23]
	s_wait_dscnt 0x0
	;;#ASMSTART
	global_store_b128 v[6:7], v[2:5] off scope:SCOPE_DEV	
s_wait_storecnt 0x0
	;;#ASMEND
.LBB1130_108:
	s_or_b32 exec_lo, exec_lo, s30
	v_xad_u32 v8, v15, -1, s20
	s_mov_b32 s22, exec_lo
	s_delay_alu instid0(VALU_DEP_1) | instskip(NEXT) | instid1(VALU_DEP_1)
	v_add_nc_u32_e32 v4, 32, v8
	v_lshl_add_u64 v[10:11], v[4:5], 4, s[24:25]
	;;#ASMSTART
	global_load_b128 v[4:7], v[10:11] off scope:SCOPE_DEV	
s_wait_loadcnt 0x0
	;;#ASMEND
	v_and_b32_e32 v7, 0xff, v6
	s_delay_alu instid0(VALU_DEP_1)
	v_cmpx_eq_u16_e32 0, v7
	s_cbranch_execz .LBB1130_112
; %bb.109:
	s_mov_b32 s23, 0
.LBB1130_110:                           ; =>This Inner Loop Header: Depth=1
	;;#ASMSTART
	global_load_b128 v[4:7], v[10:11] off scope:SCOPE_DEV	
s_wait_loadcnt 0x0
	;;#ASMEND
	v_and_b32_e32 v7, 0xff, v6
	s_delay_alu instid0(VALU_DEP_1) | instskip(SKIP_1) | instid1(SALU_CYCLE_1)
	v_cmp_ne_u16_e32 vcc_lo, 0, v7
	s_or_b32 s23, vcc_lo, s23
	s_and_not1_b32 exec_lo, exec_lo, s23
	s_cbranch_execnz .LBB1130_110
; %bb.111:
	s_or_b32 exec_lo, exec_lo, s23
.LBB1130_112:
	s_delay_alu instid0(SALU_CYCLE_1)
	s_or_b32 exec_lo, exec_lo, s22
	v_cmp_ne_u32_e32 vcc_lo, 31, v15
	v_and_b32_e32 v10, 0xff, v6
	v_and_b32_e32 v9, 0xff, v5
	v_lshlrev_b32_e64 v52, v15, -1
	s_mov_b32 s22, exec_lo
	v_add_co_ci_u32_e64 v7, null, 0, v15, vcc_lo
	v_cmp_eq_u16_e32 vcc_lo, 2, v10
	s_delay_alu instid0(VALU_DEP_2) | instskip(SKIP_4) | instid1(VALU_DEP_1)
	v_lshlrev_b32_e32 v17, 2, v7
	v_and_or_b32 v7, vcc_lo, v52, 0x80000000
	ds_bpermute_b32 v10, v17, v4
	ds_bpermute_b32 v11, v17, v9
	v_ctz_i32_b32_e32 v7, v7
	v_cmpx_lt_u32_e64 v15, v7
	s_cbranch_execz .LBB1130_114
; %bb.113:
	s_wait_dscnt 0x1
	v_dual_add_f32 v10, v4, v10 :: v_dual_bitop2_b32 v9, 1, v5 bitop3:0x40
	s_wait_dscnt 0x0
	v_and_b32_e32 v11, 1, v11
	v_and_b32_e32 v53, 0xff, v5
	s_delay_alu instid0(VALU_DEP_3) | instskip(NEXT) | instid1(VALU_DEP_3)
	v_cmp_eq_u32_e32 vcc_lo, 1, v9
	v_cndmask_b32_e64 v5, v11, 1, vcc_lo
	s_delay_alu instid0(VALU_DEP_3) | instskip(NEXT) | instid1(VALU_DEP_2)
	v_cmp_eq_u16_e32 vcc_lo, 0, v53
	v_and_b32_e32 v9, 0xffff, v5
	v_cndmask_b32_e32 v4, v4, v10, vcc_lo
.LBB1130_114:
	s_or_b32 exec_lo, exec_lo, s22
	v_cmp_gt_u32_e32 vcc_lo, 30, v15
	v_add_nc_u32_e32 v54, 2, v15
	s_mov_b32 s22, exec_lo
	s_wait_dscnt 0x1
	v_cndmask_b32_e64 v10, 0, 2, vcc_lo
	s_delay_alu instid0(VALU_DEP_1)
	v_add_lshl_u32 v53, v10, v15, 2
	ds_bpermute_b32 v10, v53, v4
	s_wait_dscnt 0x1
	ds_bpermute_b32 v11, v53, v9
	v_cmpx_le_u32_e64 v54, v7
	s_cbranch_execz .LBB1130_116
; %bb.115:
	s_wait_dscnt 0x1
	v_dual_add_f32 v10, v4, v10 :: v_dual_bitop2_b32 v9, 1, v5 bitop3:0x40
	s_wait_dscnt 0x0
	v_and_b32_e32 v11, 1, v11
	v_and_b32_e32 v55, 0xff, v5
	s_delay_alu instid0(VALU_DEP_3) | instskip(NEXT) | instid1(VALU_DEP_3)
	v_cmp_eq_u32_e32 vcc_lo, 1, v9
	v_cndmask_b32_e64 v5, v11, 1, vcc_lo
	s_delay_alu instid0(VALU_DEP_3) | instskip(NEXT) | instid1(VALU_DEP_2)
	v_cmp_eq_u16_e32 vcc_lo, 0, v55
	v_and_b32_e32 v9, 0xffff, v5
	v_cndmask_b32_e32 v4, v4, v10, vcc_lo
.LBB1130_116:
	s_or_b32 exec_lo, exec_lo, s22
	v_cmp_gt_u32_e32 vcc_lo, 28, v15
	v_add_nc_u32_e32 v56, 4, v15
	s_mov_b32 s22, exec_lo
	s_wait_dscnt 0x1
	v_cndmask_b32_e64 v10, 0, 4, vcc_lo
	s_delay_alu instid0(VALU_DEP_1)
	v_add_lshl_u32 v55, v10, v15, 2
	ds_bpermute_b32 v10, v55, v4
	s_wait_dscnt 0x1
	ds_bpermute_b32 v11, v55, v9
	v_cmpx_le_u32_e64 v56, v7
	;; [unrolled: 27-line block ×3, first 2 shown]
	s_cbranch_execz .LBB1130_120
; %bb.119:
	s_wait_dscnt 0x1
	v_dual_add_f32 v10, v4, v10 :: v_dual_bitop2_b32 v9, 1, v5 bitop3:0x40
	s_wait_dscnt 0x0
	v_and_b32_e32 v11, 1, v11
	v_and_b32_e32 v59, 0xff, v5
	s_delay_alu instid0(VALU_DEP_3) | instskip(NEXT) | instid1(VALU_DEP_3)
	v_cmp_eq_u32_e32 vcc_lo, 1, v9
	v_cndmask_b32_e64 v5, v11, 1, vcc_lo
	s_delay_alu instid0(VALU_DEP_3) | instskip(NEXT) | instid1(VALU_DEP_2)
	v_cmp_eq_u16_e32 vcc_lo, 0, v59
	v_and_b32_e32 v9, 0xffff, v5
	v_cndmask_b32_e32 v4, v4, v10, vcc_lo
.LBB1130_120:
	s_or_b32 exec_lo, exec_lo, s22
	v_lshl_or_b32 v61, v15, 2, 64
	v_add_nc_u32_e32 v62, 16, v15
	s_mov_b32 s22, exec_lo
	s_wait_dscnt 0x1
	ds_bpermute_b32 v10, v61, v4
	ds_bpermute_b32 v9, v61, v9
	v_cmpx_le_u32_e64 v62, v7
	s_cbranch_execz .LBB1130_122
; %bb.121:
	v_and_b32_e32 v7, 0xff, v5
	s_wait_dscnt 0x1
	v_dual_add_f32 v10, v4, v10 :: v_dual_bitop2_b32 v5, 1, v5 bitop3:0x40
	s_delay_alu instid0(VALU_DEP_2) | instskip(SKIP_1) | instid1(VALU_DEP_2)
	v_cmp_eq_u16_e32 vcc_lo, 0, v7
	s_wait_dscnt 0x0
	v_dual_cndmask_b32 v4, v4, v10, vcc_lo :: v_dual_bitop2_b32 v9, 1, v9 bitop3:0x40
	s_delay_alu instid0(VALU_DEP_3) | instskip(NEXT) | instid1(VALU_DEP_2)
	v_cmp_eq_u32_e32 vcc_lo, 1, v5
	v_cndmask_b32_e64 v5, v9, 1, vcc_lo
.LBB1130_122:
	s_or_b32 exec_lo, exec_lo, s22
	s_wait_dscnt 0x0
	v_mov_b32_e32 v9, 0
	s_branch .LBB1130_125
.LBB1130_123:                           ;   in Loop: Header=BB1130_125 Depth=1
	s_or_b32 exec_lo, exec_lo, s22
	s_wait_dscnt 0x1
	ds_bpermute_b32 v11, v61, v4
	ds_bpermute_b32 v10, v61, v10
	s_wait_dscnt 0x2
	v_and_b32_e32 v63, 1, v5
	v_and_b32_e32 v64, 0xff, v5
	v_subrev_nc_u32_e32 v8, 32, v8
	s_mov_b32 s22, 0
	s_wait_dscnt 0x1
	v_add_f32_e32 v11, v4, v11
	v_cmp_eq_u32_e32 vcc_lo, 1, v63
	s_wait_dscnt 0x0
	v_cndmask_b32_e64 v10, v10, 1, vcc_lo
	v_cmp_eq_u16_e32 vcc_lo, 0, v64
	v_cndmask_b32_e32 v11, v4, v11, vcc_lo
	v_cmp_gt_u32_e32 vcc_lo, v62, v7
	v_and_b32_e32 v7, 0xff, v59
	s_delay_alu instid0(VALU_DEP_3) | instskip(SKIP_1) | instid1(VALU_DEP_3)
	v_dual_cndmask_b32 v5, v10, v5 :: v_dual_cndmask_b32 v4, v11, v4
	v_and_b32_e32 v10, 1, v59
	v_cmp_eq_u16_e32 vcc_lo, 0, v7
	s_delay_alu instid0(VALU_DEP_3) | instskip(NEXT) | instid1(VALU_DEP_1)
	v_dual_add_f32 v4, v60, v4 :: v_dual_bitop2_b32 v5, 1, v5 bitop3:0x40
	v_cndmask_b32_e32 v4, v60, v4, vcc_lo
	s_delay_alu instid0(VALU_DEP_4) | instskip(NEXT) | instid1(VALU_DEP_3)
	v_cmp_eq_u32_e32 vcc_lo, 1, v10
	v_cndmask_b32_e64 v5, v5, 1, vcc_lo
.LBB1130_124:                           ;   in Loop: Header=BB1130_125 Depth=1
	s_and_b32 vcc_lo, exec_lo, s22
	s_cbranch_vccnz .LBB1130_179
.LBB1130_125:                           ; =>This Loop Header: Depth=1
                                        ;     Child Loop BB1130_128 Depth 2
	v_and_b32_e32 v6, 0xff, v6
	s_delay_alu instid0(VALU_DEP_2) | instskip(SKIP_1) | instid1(VALU_DEP_2)
	v_dual_mov_b32 v59, v5 :: v_dual_mov_b32 v60, v4
	s_mov_b32 s22, -1
	v_cmp_ne_u16_e32 vcc_lo, 2, v6
                                        ; implicit-def: $vgpr5
	s_cmp_lg_u32 vcc_lo, exec_lo
	s_cbranch_scc1 .LBB1130_124
; %bb.126:                              ;   in Loop: Header=BB1130_125 Depth=1
	v_lshl_add_u64 v[10:11], v[8:9], 4, s[24:25]
	;;#ASMSTART
	global_load_b128 v[4:7], v[10:11] off scope:SCOPE_DEV	
s_wait_loadcnt 0x0
	;;#ASMEND
	v_and_b32_e32 v7, 0xff, v6
	s_mov_b32 s22, exec_lo
	s_delay_alu instid0(VALU_DEP_1)
	v_cmpx_eq_u16_e32 0, v7
	s_cbranch_execz .LBB1130_130
; %bb.127:                              ;   in Loop: Header=BB1130_125 Depth=1
	s_mov_b32 s23, 0
.LBB1130_128:                           ;   Parent Loop BB1130_125 Depth=1
                                        ; =>  This Inner Loop Header: Depth=2
	;;#ASMSTART
	global_load_b128 v[4:7], v[10:11] off scope:SCOPE_DEV	
s_wait_loadcnt 0x0
	;;#ASMEND
	v_and_b32_e32 v7, 0xff, v6
	s_delay_alu instid0(VALU_DEP_1) | instskip(SKIP_1) | instid1(SALU_CYCLE_1)
	v_cmp_ne_u16_e32 vcc_lo, 0, v7
	s_or_b32 s23, vcc_lo, s23
	s_and_not1_b32 exec_lo, exec_lo, s23
	s_cbranch_execnz .LBB1130_128
; %bb.129:                              ;   in Loop: Header=BB1130_125 Depth=1
	s_or_b32 exec_lo, exec_lo, s23
.LBB1130_130:                           ;   in Loop: Header=BB1130_125 Depth=1
	s_delay_alu instid0(SALU_CYCLE_1)
	s_or_b32 exec_lo, exec_lo, s22
	v_and_b32_e32 v10, 0xff, v5
	v_and_b32_e32 v7, 0xff, v6
	ds_bpermute_b32 v11, v17, v4
	s_mov_b32 s22, exec_lo
	ds_bpermute_b32 v63, v17, v10
	v_cmp_eq_u16_e32 vcc_lo, 2, v7
	v_and_or_b32 v7, vcc_lo, v52, 0x80000000
	s_delay_alu instid0(VALU_DEP_1) | instskip(NEXT) | instid1(VALU_DEP_1)
	v_ctz_i32_b32_e32 v7, v7
	v_cmpx_lt_u32_e64 v15, v7
	s_cbranch_execz .LBB1130_132
; %bb.131:                              ;   in Loop: Header=BB1130_125 Depth=1
	s_wait_dscnt 0x1
	v_dual_add_f32 v11, v4, v11 :: v_dual_bitop2_b32 v10, 1, v5 bitop3:0x40
	s_wait_dscnt 0x0
	v_and_b32_e32 v63, 1, v63
	v_and_b32_e32 v64, 0xff, v5
	s_delay_alu instid0(VALU_DEP_3) | instskip(NEXT) | instid1(VALU_DEP_3)
	v_cmp_eq_u32_e32 vcc_lo, 1, v10
	v_cndmask_b32_e64 v5, v63, 1, vcc_lo
	s_delay_alu instid0(VALU_DEP_3) | instskip(NEXT) | instid1(VALU_DEP_2)
	v_cmp_eq_u16_e32 vcc_lo, 0, v64
	v_and_b32_e32 v10, 0xffff, v5
	v_cndmask_b32_e32 v4, v4, v11, vcc_lo
.LBB1130_132:                           ;   in Loop: Header=BB1130_125 Depth=1
	s_or_b32 exec_lo, exec_lo, s22
	s_wait_dscnt 0x1
	ds_bpermute_b32 v11, v53, v4
	s_wait_dscnt 0x1
	ds_bpermute_b32 v63, v53, v10
	s_mov_b32 s22, exec_lo
	v_cmpx_le_u32_e64 v54, v7
	s_cbranch_execz .LBB1130_134
; %bb.133:                              ;   in Loop: Header=BB1130_125 Depth=1
	s_wait_dscnt 0x1
	v_dual_add_f32 v11, v4, v11 :: v_dual_bitop2_b32 v10, 1, v5 bitop3:0x40
	s_wait_dscnt 0x0
	v_and_b32_e32 v63, 1, v63
	v_and_b32_e32 v64, 0xff, v5
	s_delay_alu instid0(VALU_DEP_3) | instskip(NEXT) | instid1(VALU_DEP_3)
	v_cmp_eq_u32_e32 vcc_lo, 1, v10
	v_cndmask_b32_e64 v5, v63, 1, vcc_lo
	s_delay_alu instid0(VALU_DEP_3) | instskip(NEXT) | instid1(VALU_DEP_2)
	v_cmp_eq_u16_e32 vcc_lo, 0, v64
	v_and_b32_e32 v10, 0xffff, v5
	v_cndmask_b32_e32 v4, v4, v11, vcc_lo
.LBB1130_134:                           ;   in Loop: Header=BB1130_125 Depth=1
	s_or_b32 exec_lo, exec_lo, s22
	s_wait_dscnt 0x1
	ds_bpermute_b32 v11, v55, v4
	s_wait_dscnt 0x1
	ds_bpermute_b32 v63, v55, v10
	s_mov_b32 s22, exec_lo
	v_cmpx_le_u32_e64 v56, v7
	;; [unrolled: 22-line block ×3, first 2 shown]
	s_cbranch_execz .LBB1130_123
; %bb.137:                              ;   in Loop: Header=BB1130_125 Depth=1
	s_wait_dscnt 0x1
	v_dual_add_f32 v11, v4, v11 :: v_dual_bitop2_b32 v10, 1, v5 bitop3:0x40
	s_wait_dscnt 0x0
	v_and_b32_e32 v63, 1, v63
	v_and_b32_e32 v64, 0xff, v5
	s_delay_alu instid0(VALU_DEP_3) | instskip(NEXT) | instid1(VALU_DEP_3)
	v_cmp_eq_u32_e32 vcc_lo, 1, v10
	v_cndmask_b32_e64 v5, v63, 1, vcc_lo
	s_delay_alu instid0(VALU_DEP_3) | instskip(NEXT) | instid1(VALU_DEP_2)
	v_cmp_eq_u16_e32 vcc_lo, 0, v64
	v_and_b32_e32 v10, 0xffff, v5
	v_cndmask_b32_e32 v4, v4, v11, vcc_lo
	s_branch .LBB1130_123
.LBB1130_138:
                                        ; implicit-def: $vgpr13
                                        ; implicit-def: $vgpr5
                                        ; implicit-def: $vgpr9
                                        ; implicit-def: $vgpr14_vgpr15
	s_cbranch_execnz .LBB1130_184
.LBB1130_139:
	s_add_nc_u64 s[0:1], s[14:15], s[34:35]
	s_and_b32 vcc_lo, exec_lo, s21
	s_add_nc_u64 s[0:1], s[0:1], s[16:17]
	s_cbranch_vccz .LBB1130_203
.LBB1130_140:
	v_mul_u32_u24_e32 v1, 12, v0
	s_add_co_i32 s27, s27, s26
	s_mov_b32 s2, exec_lo
	s_delay_alu instid0(VALU_DEP_1)
	v_cmpx_gt_u32_e64 s27, v1
	s_cbranch_execz .LBB1130_156
; %bb.141:
	v_or_b32_e32 v7, 1, v1
	s_mov_b32 s3, exec_lo
	s_delay_alu instid0(VALU_DEP_1)
	v_cmpx_gt_u32_e64 s27, v7
	s_cbranch_execz .LBB1130_155
; %bb.142:
	v_or_b32_e32 v7, 2, v1
	;; [unrolled: 6-line block ×3, first 2 shown]
	s_mov_b32 s5, exec_lo
	s_delay_alu instid0(VALU_DEP_1)
	v_cmpx_gt_u32_e64 s27, v7
	s_cbranch_execz .LBB1130_153
; %bb.144:
	v_add_nc_u32_e32 v7, 4, v1
	s_mov_b32 s6, exec_lo
	s_delay_alu instid0(VALU_DEP_1)
	v_cmpx_gt_u32_e64 s27, v7
	s_cbranch_execz .LBB1130_152
; %bb.145:
	v_add_nc_u32_e32 v7, 5, v1
	;; [unrolled: 6-line block ×4, first 2 shown]
	s_mov_b32 s9, exec_lo
	s_delay_alu instid0(VALU_DEP_1)
	v_cmpx_gt_u32_e64 s27, v7
; %bb.148:
	v_add_nc_u32_e32 v7, 8, v1
	s_mov_b32 s10, exec_lo
	s_delay_alu instid0(VALU_DEP_1)
	v_cmpx_gt_u32_e64 s27, v7
	s_or_b32 exec_lo, exec_lo, s10
; %bb.149:
	s_delay_alu instid0(SALU_CYCLE_1)
	s_or_b32 exec_lo, exec_lo, s9
.LBB1130_150:
	s_delay_alu instid0(SALU_CYCLE_1)
	s_or_b32 exec_lo, exec_lo, s8
.LBB1130_151:
	s_delay_alu instid0(SALU_CYCLE_1)
	s_or_b32 exec_lo, exec_lo, s7
.LBB1130_152:
	s_delay_alu instid0(SALU_CYCLE_1)
	s_or_b32 exec_lo, exec_lo, s6
.LBB1130_153:
	s_delay_alu instid0(SALU_CYCLE_1)
	s_or_b32 exec_lo, exec_lo, s5
.LBB1130_154:
	s_delay_alu instid0(SALU_CYCLE_1)
	s_or_b32 exec_lo, exec_lo, s4
.LBB1130_155:
	s_delay_alu instid0(SALU_CYCLE_1)
	s_or_b32 exec_lo, exec_lo, s3
	v_mov_b32_e32 v7, v17
.LBB1130_156:
	s_or_b32 exec_lo, exec_lo, s2
	v_dual_lshlrev_b32 v1, 2, v1 :: v_dual_mov_b32 v21, 0
	s_barrier_signal -1
	s_barrier_wait -1
	ds_store_b128 v1, v[6:9]
	ds_store_b128 v1, v[2:5] offset:16
	ds_store_b128 v1, v[10:13] offset:32
	v_mad_i32_i24 v6, 0xffffffd4, v0, v1
	s_wait_dscnt 0x0
	s_barrier_signal -1
	s_barrier_wait -1
	ds_load_2addr_stride64_b32 v[28:29], v6 offset0:4 offset1:8
	ds_load_2addr_stride64_b32 v[26:27], v6 offset0:12 offset1:16
	;; [unrolled: 1-line block ×5, first 2 shown]
	ds_load_b32 v7, v6 offset:11264
	v_add_nc_u64_e32 v[18:19], s[0:1], v[20:21]
	s_mov_b32 s2, exec_lo
	v_cmpx_gt_u32_e64 s27, v0
	s_cbranch_execz .LBB1130_158
; %bb.157:
	v_mul_i32_i24_e32 v6, 0xffffffd4, v0
	s_delay_alu instid0(VALU_DEP_1)
	v_add_nc_u32_e32 v1, v1, v6
	ds_load_b32 v1, v1
	s_wait_dscnt 0x0
	flat_store_b32 v[18:19], v1
.LBB1130_158:
	s_wait_xcnt 0x0
	s_or_b32 exec_lo, exec_lo, s2
	v_or_b32_e32 v1, 0x100, v0
	s_mov_b32 s2, exec_lo
	s_delay_alu instid0(VALU_DEP_1)
	v_cmpx_gt_u32_e64 s27, v1
	s_cbranch_execz .LBB1130_160
; %bb.159:
	s_wait_dscnt 0x5
	flat_store_b32 v[18:19], v28 offset:1024
.LBB1130_160:
	s_wait_xcnt 0x0
	s_or_b32 exec_lo, exec_lo, s2
	v_or_b32_e32 v1, 0x200, v0
	s_mov_b32 s2, exec_lo
	s_delay_alu instid0(VALU_DEP_1)
	v_cmpx_gt_u32_e64 s27, v1
	s_cbranch_execz .LBB1130_162
; %bb.161:
	s_wait_dscnt 0x5
	flat_store_b32 v[18:19], v29 offset:2048
.LBB1130_162:
	;; [unrolled: 11-line block ×10, first 2 shown]
	s_wait_xcnt 0x0
	s_or_b32 exec_lo, exec_lo, s2
	v_or_b32_e32 v1, 0xb00, v0
	s_delay_alu instid0(VALU_DEP_1)
	v_cmp_gt_u32_e64 s2, s27, v1
	s_branch .LBB1130_205
.LBB1130_179:
	s_and_saveexec_b32 s22, s12
	s_cbranch_execz .LBB1130_181
; %bb.180:
	v_and_b32_e32 v4, 0xff, v3
	v_dual_add_f32 v5, v60, v2 :: v_dual_bitop2_b32 v3, 1, v3 bitop3:0x40
	s_mov_b32 s31, 0
	s_add_co_i32 s30, s20, 32
	s_delay_alu instid0(VALU_DEP_2)
	v_cmp_eq_u32_e32 vcc_lo, 0, v4
	v_and_b32_e32 v6, 1, v59
	s_lshl_b64 s[30:31], s[30:31], 4
	v_mov_b32_e32 v4, 2
	s_add_nc_u64 s[30:31], s[24:25], s[30:31]
	v_cndmask_b32_e32 v2, v2, v5, vcc_lo
	v_cmp_eq_u32_e32 vcc_lo, 1, v3
	v_mov_b32_e32 v5, 0
	v_cndmask_b32_e64 v3, v6, 1, vcc_lo
	v_mov_b64_e32 v[6:7], s[30:31]
	;;#ASMSTART
	global_store_b128 v[6:7], v[2:5] off scope:SCOPE_DEV	
s_wait_storecnt 0x0
	;;#ASMEND
.LBB1130_181:
	s_or_b32 exec_lo, exec_lo, s22
	s_delay_alu instid0(SALU_CYCLE_1)
	s_and_b32 exec_lo, exec_lo, s11
	s_cbranch_execz .LBB1130_183
; %bb.182:
	v_mov_b32_e32 v2, 0
	ds_store_b32 v2, v60
	ds_store_b8 v2, v59 offset:4
.LBB1130_183:
	s_or_b32 exec_lo, exec_lo, s13
	v_dual_mov_b32 v2, 0 :: v_dual_bitop2_b32 v3, 1, v47 bitop3:0x40
	s_wait_dscnt 0x0
	s_barrier_signal -1
	s_barrier_wait -1
	ds_load_b32 v2, v2
	v_cmp_eq_u32_e32 vcc_lo, 1, v3
	v_cndmask_b32_e64 v3, v14, 1, vcc_lo
	v_add_f32_e32 v4, v16, v13
	v_cmp_eq_u16_e32 vcc_lo, 0, v12
	s_delay_alu instid0(VALU_DEP_2) | instskip(NEXT) | instid1(VALU_DEP_1)
	v_dual_cndmask_b32 v3, v3, v47, s11 :: v_dual_cndmask_b32 v4, v16, v4, vcc_lo
	v_and_b32_e32 v3, 0xff, v3
	s_delay_alu instid0(VALU_DEP_2) | instskip(NEXT) | instid1(VALU_DEP_2)
	v_cndmask_b32_e64 v4, v4, v16, s11
	v_cmp_eq_u16_e32 vcc_lo, 0, v3
	s_wait_dscnt 0x0
	s_delay_alu instid0(VALU_DEP_2) | instskip(NEXT) | instid1(VALU_DEP_1)
	v_add_f32_e32 v2, v4, v2
	v_cndmask_b32_e32 v6, v4, v2, vcc_lo
	s_delay_alu instid0(VALU_DEP_1) | instskip(NEXT) | instid1(VALU_DEP_1)
	v_add_f32_e32 v2, v28, v6
	v_cndmask_b32_e64 v7, v28, v2, s1
	s_delay_alu instid0(VALU_DEP_1) | instskip(NEXT) | instid1(VALU_DEP_1)
	v_add_f32_e32 v2, v29, v7
	v_cndmask_b32_e64 v8, v29, v2, s2
	;; [unrolled: 3-line block ×3, first 2 shown]
	v_mov_b64_e32 v[14:15], v[6:7]
	v_mov_b32_e32 v17, v7
	s_delay_alu instid0(VALU_DEP_3) | instskip(NEXT) | instid1(VALU_DEP_1)
	v_add_f32_e32 v2, v27, v9
	v_cndmask_b32_e64 v2, v27, v2, s4
	s_delay_alu instid0(VALU_DEP_1) | instskip(NEXT) | instid1(VALU_DEP_1)
	v_add_f32_e32 v3, v24, v2
	v_cndmask_b32_e64 v3, v24, v3, s5
	s_delay_alu instid0(VALU_DEP_1) | instskip(NEXT) | instid1(VALU_DEP_1)
	;; [unrolled: 3-line block ×7, first 2 shown]
	v_add_f32_e32 v13, v21, v12
	v_cndmask_b32_e64 v13, v21, v13, s0
	s_branch .LBB1130_139
.LBB1130_184:
	s_cmp_lg_u64 s[28:29], 0
	v_cmp_eq_u32_e32 vcc_lo, 0, v0
	s_cselect_b32 s1, -1, 0
	s_cmp_lg_u64 s[18:19], 0
	v_cmp_ne_u32_e64 s0, 0, v0
	s_cselect_b32 s2, -1, 0
	s_delay_alu instid0(SALU_CYCLE_1) | instskip(NEXT) | instid1(SALU_CYCLE_1)
	s_and_b32 s1, s1, s2
	s_and_b32 s1, vcc_lo, s1
	s_delay_alu instid0(SALU_CYCLE_1)
	s_and_saveexec_b32 s2, s1
	s_cbranch_execz .LBB1130_186
; %bb.185:
	v_dual_mov_b32 v2, 0 :: v_dual_bitop2_b32 v5, 1, v47 bitop3:0x40
	s_clause 0x1
	global_load_b32 v3, v2, s[18:19]
	global_load_u8 v4, v2, s[18:19] offset:4
	s_wait_xcnt 0x0
	v_and_b32_e32 v2, 0xff, v47
	s_delay_alu instid0(VALU_DEP_1) | instskip(SKIP_2) | instid1(VALU_DEP_1)
	v_cmp_eq_u16_e64 s1, 0, v2
	s_wait_loadcnt 0x0
	v_dual_add_f32 v3, v16, v3 :: v_dual_bitop2_b32 v4, 1, v4 bitop3:0x40
	v_cndmask_b32_e64 v16, v16, v3, s1
	v_cmp_eq_u32_e64 s1, 1, v5
	s_delay_alu instid0(VALU_DEP_1)
	v_cndmask_b32_e64 v47, v4, 1, s1
.LBB1130_186:
	s_or_b32 exec_lo, exec_lo, s2
	s_delay_alu instid0(VALU_DEP_3)
	v_add_f32_e32 v2, v28, v16
	v_cmp_eq_u16_e64 s1, 0, v51
	v_cmp_eq_u16_e64 s2, 0, v49
	;; [unrolled: 1-line block ×5, first 2 shown]
	v_cndmask_b32_e64 v17, v28, v2, s1
	v_cmp_eq_u16_e64 s6, 0, v37
	v_cmp_eq_u16_e64 s7, 0, v38
	;; [unrolled: 1-line block ×4, first 2 shown]
	v_add_f32_e32 v2, v29, v17
	v_cmp_eq_u16_e64 s11, 0, v34
	v_cmp_eq_u32_e64 s12, 1, v31
	s_mov_b32 s18, exec_lo
	v_cndmask_b32_e64 v8, v29, v2, s2
	s_delay_alu instid0(VALU_DEP_1) | instskip(NEXT) | instid1(VALU_DEP_1)
	v_add_f32_e32 v2, v26, v8
	v_cndmask_b32_e64 v9, v26, v2, s3
	s_delay_alu instid0(VALU_DEP_1) | instskip(NEXT) | instid1(VALU_DEP_1)
	v_add_f32_e32 v2, v27, v9
	;; [unrolled: 3-line block ×6, first 2 shown]
	v_cndmask_b32_e64 v10, v19, v6, s8
	s_delay_alu instid0(VALU_DEP_1) | instskip(NEXT) | instid1(VALU_DEP_1)
	v_dual_add_f32 v7, v22, v10 :: v_dual_bitop2_b32 v6, v43, v41 bitop3:0x54
	v_bitop3_b16 v6, v44, v6, v42 bitop3:0xfe
	s_delay_alu instid0(VALU_DEP_2) | instskip(NEXT) | instid1(VALU_DEP_2)
	v_cndmask_b32_e64 v11, v22, v7, s10
	v_bitop3_b16 v1, v6, v40, v1 bitop3:0xfe
	s_delay_alu instid0(VALU_DEP_2) | instskip(NEXT) | instid1(VALU_DEP_2)
	v_dual_add_f32 v6, v23, v11 :: v_dual_bitop2_b32 v7, 56, v33 bitop3:0x40
	v_bitop3_b16 v1, v1, v46, v45 bitop3:0xfe
	s_delay_alu instid0(VALU_DEP_2) | instskip(NEXT) | instid1(VALU_DEP_3)
	v_lshl_add_u32 v7, v0, 3, v7
	v_cndmask_b32_e64 v12, v23, v6, s11
	s_delay_alu instid0(VALU_DEP_3) | instskip(SKIP_1) | instid1(VALU_DEP_2)
	v_bitop3_b16 v6, v1, 0xff, v32 bitop3:0xc8
	v_and_b32_e32 v1, 0xff, v47
	v_cmp_eq_u16_e64 s9, 0, v6
	s_delay_alu instid0(VALU_DEP_1) | instskip(SKIP_1) | instid1(VALU_DEP_2)
	v_dual_add_f32 v13, v21, v12 :: v_dual_cndmask_b32 v6, 1, v1, s9
	v_cmp_eq_u16_e64 s9, 0, v30
	v_cndmask_b32_e64 v15, v6, 1, s12
	s_delay_alu instid0(VALU_DEP_2)
	v_cndmask_b32_e64 v13, v21, v13, s9
	ds_store_b32 v7, v13
	ds_store_b8 v7, v15 offset:4
	s_wait_dscnt 0x0
	s_barrier_signal -1
	s_barrier_wait -1
	v_cmpx_gt_u32_e32 32, v0
	s_cbranch_execz .LBB1130_198
; %bb.187:
	v_dual_lshlrev_b32 v6, 1, v0 :: v_dual_lshlrev_b32 v7, 6, v0
	s_mov_b32 s19, exec_lo
	s_delay_alu instid0(VALU_DEP_1) | instskip(NEXT) | instid1(VALU_DEP_1)
	v_and_b32_e32 v6, 0x1f8, v6
	v_add_nc_u32_e32 v14, v6, v7
	ds_load_2addr_b32 v[30:31], v14 offset0:2 offset1:4
	ds_load_b64 v[6:7], v14
	ds_load_u8 v34, v14 offset:12
	ds_load_2addr_b32 v[32:33], v14 offset0:6 offset1:8
	ds_load_u8 v35, v14 offset:20
	ds_load_u8 v36, v14 offset:28
	;; [unrolled: 1-line block ×5, first 2 shown]
	ds_load_b32 v40, v14 offset:56
	s_wait_dscnt 0x8
	v_add_f32_e32 v41, v6, v30
	s_wait_dscnt 0x7
	v_cmp_eq_u16_e64 s12, 0, v34
	s_delay_alu instid0(VALU_DEP_1) | instskip(SKIP_2) | instid1(VALU_DEP_2)
	v_cndmask_b32_e64 v30, v30, v41, s12
	s_wait_dscnt 0x5
	v_cmp_eq_u16_e64 s12, 0, v35
	v_add_f32_e32 v30, v31, v30
	s_delay_alu instid0(VALU_DEP_1) | instskip(SKIP_4) | instid1(VALU_DEP_1)
	v_cndmask_b32_e64 v41, v31, v30, s12
	s_wait_dscnt 0x4
	v_cmp_eq_u16_e64 s12, 0, v36
	ds_load_2addr_b32 v[30:31], v14 offset0:10 offset1:12
	v_add_f32_e32 v41, v32, v41
	v_cndmask_b32_e64 v32, v32, v41, s12
	s_wait_dscnt 0x4
	v_cmp_eq_u16_e64 s12, 0, v37
	ds_load_u8 v41, v14 offset:60
	v_add_f32_e32 v32, v33, v32
	s_delay_alu instid0(VALU_DEP_1) | instskip(SKIP_3) | instid1(VALU_DEP_2)
	v_dual_cndmask_b32 v32, v33, v32, s12 :: v_dual_bitop2_b32 v33, v35, v34 bitop3:0x54
	s_wait_dscnt 0x4
	v_cmp_eq_u16_e64 s12, 0, v38
	s_wait_dscnt 0x1
	v_add_f32_e32 v32, v30, v32
	v_bitop3_b16 v33, v33, v37, v36 bitop3:0xfe
	v_and_b32_e32 v36, 0xffffff00, v7
	s_delay_alu instid0(VALU_DEP_3) | instskip(NEXT) | instid1(VALU_DEP_3)
	v_cndmask_b32_e64 v32, v30, v32, s12
	v_bitop3_b16 v33, v33, v39, v38 bitop3:0xfe
	v_and_b32_e32 v30, 1, v7
	s_wait_dscnt 0x0
	v_and_b32_e32 v34, 1, v41
	s_delay_alu instid0(VALU_DEP_3) | instskip(NEXT) | instid1(VALU_DEP_1)
	v_cmp_eq_u16_e64 s12, 0, v33
	v_dual_add_f32 v32, v31, v32 :: v_dual_cndmask_b32 v33, 1, v30, s12
	v_cmp_eq_u16_e64 s12, 0, v39
	s_delay_alu instid0(VALU_DEP_1) | instskip(SKIP_1) | instid1(VALU_DEP_1)
	v_cndmask_b32_e64 v31, v31, v32, s12
	v_cmp_eq_u32_e64 s12, 1, v34
	v_cndmask_b32_e64 v34, v33, 1, s12
	s_delay_alu instid0(VALU_DEP_3) | instskip(SKIP_2) | instid1(VALU_DEP_4)
	v_add_f32_e32 v32, v40, v31
	v_cmp_eq_u16_e64 s12, 0, v41
	v_mbcnt_lo_u32_b32 v31, -1, 0
	v_or_b32_e32 v33, v34, v36
	s_delay_alu instid0(VALU_DEP_2) | instskip(NEXT) | instid1(VALU_DEP_2)
	v_dual_cndmask_b32 v32, v40, v32, s12 :: v_dual_bitop2_b32 v35, 15, v31 bitop3:0x40
	v_mov_b32_dpp v38, v33 row_shr:1 row_mask:0xf bank_mask:0xf
	s_delay_alu instid0(VALU_DEP_2) | instskip(NEXT) | instid1(VALU_DEP_3)
	v_mov_b32_dpp v37, v32 row_shr:1 row_mask:0xf bank_mask:0xf
	v_cmpx_ne_u32_e32 0, v35
	s_cbranch_execz .LBB1130_189
; %bb.188:
	s_delay_alu instid0(VALU_DEP_2) | instskip(SKIP_2) | instid1(VALU_DEP_3)
	v_dual_add_f32 v37, v32, v37 :: v_dual_bitop2_b32 v33, 1, v34 bitop3:0x40
	v_cmp_eq_u32_e64 s12, 0, v34
	v_and_b32_e32 v38, 1, v38
	v_cmp_eq_u32_e64 s13, 1, v33
	s_delay_alu instid0(VALU_DEP_3) | instskip(NEXT) | instid1(VALU_DEP_2)
	v_cndmask_b32_e64 v32, v32, v37, s12
	v_cndmask_b32_e64 v34, v38, 1, s13
	s_delay_alu instid0(VALU_DEP_1)
	v_or_b32_e32 v33, v34, v36
.LBB1130_189:
	s_or_b32 exec_lo, exec_lo, s19
	s_delay_alu instid0(VALU_DEP_3) | instskip(NEXT) | instid1(VALU_DEP_2)
	v_mov_b32_dpp v36, v32 row_shr:2 row_mask:0xf bank_mask:0xf
	v_mov_b32_dpp v37, v33 row_shr:2 row_mask:0xf bank_mask:0xf
	s_mov_b32 s19, exec_lo
	v_cmpx_lt_u32_e32 1, v35
	s_cbranch_execz .LBB1130_191
; %bb.190:
	v_dual_add_f32 v36, v32, v36 :: v_dual_bitop2_b32 v38, 1, v34 bitop3:0x40
	v_cmp_eq_u32_e64 s12, 0, v34
	v_and_b32_e32 v37, 1, v37
	s_delay_alu instid0(VALU_DEP_3) | instskip(NEXT) | instid1(VALU_DEP_3)
	v_cmp_eq_u32_e64 s13, 1, v38
	v_cndmask_b32_e64 v32, v32, v36, s12
	s_delay_alu instid0(VALU_DEP_2) | instskip(NEXT) | instid1(VALU_DEP_1)
	v_cndmask_b32_e64 v34, v37, 1, s13
	v_and_or_b32 v33, 0xffffff00, v33, v34
.LBB1130_191:
	s_or_b32 exec_lo, exec_lo, s19
	s_delay_alu instid0(VALU_DEP_3) | instskip(NEXT) | instid1(VALU_DEP_2)
	v_mov_b32_dpp v36, v32 row_shr:4 row_mask:0xf bank_mask:0xf
	v_mov_b32_dpp v37, v33 row_shr:4 row_mask:0xf bank_mask:0xf
	s_mov_b32 s19, exec_lo
	v_cmpx_lt_u32_e32 3, v35
	s_cbranch_execz .LBB1130_193
; %bb.192:
	v_dual_add_f32 v36, v32, v36 :: v_dual_bitop2_b32 v38, 1, v34 bitop3:0x40
	v_cmp_eq_u32_e64 s12, 0, v34
	v_and_b32_e32 v37, 1, v37
	s_delay_alu instid0(VALU_DEP_3) | instskip(NEXT) | instid1(VALU_DEP_3)
	v_cmp_eq_u32_e64 s13, 1, v38
	v_cndmask_b32_e64 v32, v32, v36, s12
	s_delay_alu instid0(VALU_DEP_2) | instskip(NEXT) | instid1(VALU_DEP_1)
	v_cndmask_b32_e64 v34, v37, 1, s13
	v_and_or_b32 v33, 0xffffff00, v33, v34
.LBB1130_193:
	;; [unrolled: 18-line block ×3, first 2 shown]
	s_or_b32 exec_lo, exec_lo, s19
	ds_swizzle_b32 v35, v32 offset:swizzle(BROADCAST,32,15)
	ds_swizzle_b32 v36, v33 offset:swizzle(BROADCAST,32,15)
	v_and_b32_e32 v37, 16, v31
	s_mov_b32 s13, exec_lo
	s_delay_alu instid0(VALU_DEP_1)
	v_cmpx_ne_u32_e32 0, v37
	s_cbranch_execz .LBB1130_197
; %bb.196:
	s_wait_dscnt 0x1
	v_dual_add_f32 v35, v32, v35 :: v_dual_bitop2_b32 v37, 1, v34 bitop3:0x40
	s_wait_dscnt 0x0
	v_and_b32_e32 v36, 1, v36
	s_delay_alu instid0(VALU_DEP_2) | instskip(NEXT) | instid1(VALU_DEP_1)
	v_cmp_eq_u32_e64 s12, 1, v37
	v_cndmask_b32_e64 v36, v36, 1, s12
	v_cmp_eq_u32_e64 s12, 0, v34
	s_delay_alu instid0(VALU_DEP_2) | instskip(NEXT) | instid1(VALU_DEP_2)
	v_and_or_b32 v33, 0xffffff00, v33, v36
	v_cndmask_b32_e64 v32, v32, v35, s12
.LBB1130_197:
	s_or_b32 exec_lo, exec_lo, s13
	v_add_nc_u32_e32 v34, -1, v31
	v_and_b32_e32 v7, 0xff, v7
	; wave barrier
	s_delay_alu instid0(VALU_DEP_2) | instskip(NEXT) | instid1(VALU_DEP_1)
	v_cmp_gt_i32_e64 s12, 0, v34
	v_cndmask_b32_e64 v31, v34, v31, s12
	s_delay_alu instid0(VALU_DEP_3) | instskip(NEXT) | instid1(VALU_DEP_2)
	v_cmp_eq_u32_e64 s12, 0, v7
	v_lshlrev_b32_e32 v31, 2, v31
	ds_bpermute_b32 v32, v31, v32
	ds_bpermute_b32 v31, v31, v33
	s_wait_dscnt 0x0
	v_dual_add_f32 v32, v6, v32 :: v_dual_bitop2_b32 v31, 1, v31 bitop3:0x40
	s_delay_alu instid0(VALU_DEP_1) | instskip(SKIP_1) | instid1(VALU_DEP_1)
	v_cndmask_b32_e64 v6, v6, v32, s12
	v_cmp_eq_u32_e64 s12, 1, v30
	v_cndmask_b32_e64 v7, v31, 1, s12
	s_delay_alu instid0(VALU_DEP_1)
	v_dual_cndmask_b32 v15, v7, v15 :: v_dual_cndmask_b32 v32, v6, v13
	ds_store_b32 v14, v32
	ds_store_b8 v14, v15 offset:4
	; wave barrier
	ds_load_2addr_b32 v[6:7], v14 offset0:2 offset1:4
	ds_load_u8 v33, v14 offset:12
	ds_load_u8 v34, v14 offset:20
	ds_load_2addr_b32 v[30:31], v14 offset0:6 offset1:8
	ds_load_u8 v35, v14 offset:28
	ds_load_u8 v36, v14 offset:36
	ds_load_u8 v37, v14 offset:44
	ds_load_u8 v38, v14 offset:52
	ds_load_b32 v39, v14 offset:56
	ds_load_u8 v40, v14 offset:60
	s_wait_dscnt 0x9
	v_add_f32_e32 v32, v32, v6
	s_wait_dscnt 0x8
	v_cmp_eq_u16_e64 s12, 0, v33
	s_delay_alu instid0(VALU_DEP_1) | instskip(SKIP_2) | instid1(VALU_DEP_2)
	v_cndmask_b32_e64 v32, v6, v32, s12
	s_wait_dscnt 0x7
	v_cmp_eq_u16_e64 s12, 0, v34
	v_add_f32_e32 v6, v32, v7
	s_delay_alu instid0(VALU_DEP_1)
	v_cndmask_b32_e64 v41, v7, v6, s12
	s_wait_dscnt 0x5
	v_cmp_eq_u16_e64 s12, 0, v35
	ds_load_2addr_b32 v[6:7], v14 offset0:10 offset1:12
	v_add_f32_e32 v42, v41, v30
	ds_store_2addr_b32 v14, v32, v41 offset0:2 offset1:4
	v_dual_cndmask_b32 v30, v30, v42, s12 :: v_dual_bitop2_b32 v33, 1, v33 bitop3:0x40
	s_delay_alu instid0(VALU_DEP_1) | instskip(NEXT) | instid1(VALU_DEP_2)
	v_add_f32_e32 v42, v30, v31
	v_cmp_eq_u32_e64 s12, 1, v33
	s_delay_alu instid0(VALU_DEP_1) | instskip(SKIP_2) | instid1(VALU_DEP_1)
	v_cndmask_b32_e64 v15, v15, 1, s12
	s_wait_dscnt 0x6
	v_cmp_eq_u16_e64 s12, 0, v36
	v_dual_cndmask_b32 v31, v31, v42, s12 :: v_dual_bitop2_b32 v33, 1, v35 bitop3:0x40
	s_wait_dscnt 0x1
	s_delay_alu instid0(VALU_DEP_1) | instskip(SKIP_1) | instid1(VALU_DEP_1)
	v_dual_add_f32 v36, v31, v6 :: v_dual_bitop2_b32 v35, 1, v36 bitop3:0x40
	v_and_b32_e32 v34, 1, v34
	v_cmp_eq_u32_e64 s12, 1, v34
	s_delay_alu instid0(VALU_DEP_1) | instskip(SKIP_1) | instid1(VALU_DEP_1)
	v_cndmask_b32_e64 v34, v15, 1, s12
	v_cmp_eq_u32_e64 s12, 1, v33
	v_cndmask_b32_e64 v33, v34, 1, s12
	v_cmp_eq_u16_e64 s12, 0, v37
	s_delay_alu instid0(VALU_DEP_1) | instskip(SKIP_1) | instid1(VALU_DEP_2)
	v_dual_cndmask_b32 v6, v6, v36, s12 :: v_dual_bitop2_b32 v42, 1, v37 bitop3:0x40
	v_cmp_eq_u32_e64 s12, 1, v35
	v_add_f32_e32 v37, v6, v7
	s_delay_alu instid0(VALU_DEP_2) | instskip(NEXT) | instid1(VALU_DEP_4)
	v_cndmask_b32_e64 v35, v33, 1, s12
	v_cmp_eq_u32_e64 s12, 1, v42
	s_delay_alu instid0(VALU_DEP_1) | instskip(SKIP_1) | instid1(VALU_DEP_1)
	v_cndmask_b32_e64 v42, v35, 1, s12
	v_cmp_eq_u16_e64 s12, 0, v38
	v_dual_cndmask_b32 v7, v7, v37, s12 :: v_dual_bitop2_b32 v36, 1, v38 bitop3:0x40
	v_and_b32_e32 v43, 1, v40
	s_delay_alu instid0(VALU_DEP_2)
	v_cmp_eq_u32_e64 s12, 1, v36
	ds_store_2addr_b32 v14, v30, v31 offset0:6 offset1:8
	ds_store_2addr_b32 v14, v6, v7 offset0:10 offset1:12
	v_add_f32_e32 v32, v7, v39
	v_cndmask_b32_e64 v36, v42, 1, s12
	v_cmp_eq_u32_e64 s12, 1, v43
	s_delay_alu instid0(VALU_DEP_1) | instskip(SKIP_1) | instid1(VALU_DEP_1)
	v_cndmask_b32_e64 v37, v36, 1, s12
	v_cmp_eq_u16_e64 s12, 0, v40
	v_cndmask_b32_e64 v6, v39, v32, s12
	ds_store_b8 v14, v15 offset:12
	ds_store_b8 v14, v34 offset:20
	ds_store_b8 v14, v33 offset:28
	ds_store_b8 v14, v35 offset:36
	ds_store_b8 v14, v42 offset:44
	ds_store_b8 v14, v36 offset:52
	ds_store_b32 v14, v6 offset:56
	ds_store_b8 v14, v37 offset:60
.LBB1130_198:
	s_or_b32 exec_lo, exec_lo, s18
	v_mov_b64_e32 v[14:15], v[16:17]
	s_wait_dscnt 0x0
	s_barrier_signal -1
	s_barrier_wait -1
	s_and_saveexec_b32 s12, s0
	s_cbranch_execz .LBB1130_200
; %bb.199:
	v_add_nc_u32_e32 v2, -1, v0
	v_cmp_eq_u16_e64 s0, 0, v1
	s_delay_alu instid0(VALU_DEP_2) | instskip(NEXT) | instid1(VALU_DEP_1)
	v_lshrrev_b32_e32 v3, 2, v2
	v_and_b32_e32 v3, 0x3ffffff8, v3
	s_delay_alu instid0(VALU_DEP_1) | instskip(SKIP_4) | instid1(VALU_DEP_1)
	v_lshl_add_u32 v2, v2, 3, v3
	ds_load_b32 v2, v2
	;;#ASMSTART
	;;#ASMEND
	s_wait_dscnt 0x0
	v_add_f32_e32 v2, v16, v2
	v_cndmask_b32_e64 v14, v16, v2, s0
	s_delay_alu instid0(VALU_DEP_1) | instskip(NEXT) | instid1(VALU_DEP_1)
	v_add_f32_e32 v1, v28, v14
	v_cndmask_b32_e64 v15, v28, v1, s1
	s_delay_alu instid0(VALU_DEP_1) | instskip(NEXT) | instid1(VALU_DEP_1)
	v_dual_add_f32 v1, v29, v15 :: v_dual_mov_b32 v16, v14
	v_dual_cndmask_b32 v8, v29, v1, s2 :: v_dual_mov_b32 v17, v15
	s_delay_alu instid0(VALU_DEP_1) | instskip(NEXT) | instid1(VALU_DEP_1)
	v_add_f32_e32 v1, v26, v8
	v_cndmask_b32_e64 v9, v26, v1, s3
	s_delay_alu instid0(VALU_DEP_1) | instskip(NEXT) | instid1(VALU_DEP_1)
	v_add_f32_e32 v1, v27, v9
	v_cndmask_b32_e64 v2, v27, v1, s4
	;; [unrolled: 3-line block ×9, first 2 shown]
.LBB1130_200:
	s_or_b32 exec_lo, exec_lo, s12
	s_and_saveexec_b32 s0, vcc_lo
	s_cbranch_execz .LBB1130_202
; %bb.201:
	v_dual_mov_b32 v25, 0 :: v_dual_mov_b32 v24, 2
	s_add_nc_u64 s[2:3], s[24:25], 0x200
	ds_load_b32 v22, v25 offset:2096
	ds_load_u8 v23, v25 offset:2100
	v_mov_b64_e32 v[6:7], s[2:3]
	s_wait_dscnt 0x0
	;;#ASMSTART
	global_store_b128 v[6:7], v[22:25] off scope:SCOPE_DEV	
s_wait_storecnt 0x0
	;;#ASMEND
.LBB1130_202:
	s_or_b32 exec_lo, exec_lo, s0
	v_mov_b32_e32 v6, v16
	s_add_nc_u64 s[0:1], s[14:15], s[34:35]
	s_and_b32 vcc_lo, exec_lo, s21
	s_add_nc_u64 s[0:1], s[0:1], s[16:17]
	s_cbranch_vccnz .LBB1130_140
.LBB1130_203:
	s_mov_b32 s2, 0
                                        ; implicit-def: $vgpr7
	s_cbranch_execz .LBB1130_205
; %bb.204:
	v_mul_u32_u24_e32 v1, 48, v0
	s_wait_dscnt 0x1
	v_dual_mov_b32 v16, v8 :: v_dual_mov_b32 v17, v9
	v_mul_i32_i24_e32 v6, 0xffffffd4, v0
	s_wait_storecnt_dscnt 0x0
	s_barrier_signal -1
	s_barrier_wait -1
	ds_store_b128 v1, v[14:17]
	ds_store_b128 v1, v[2:5] offset:16
	ds_store_b128 v1, v[10:13] offset:32
	v_mad_u32_u24 v1, v0, 48, v6
	s_wait_dscnt 0x0
	s_barrier_signal -1
	s_barrier_wait -1
	ds_load_2addr_stride64_b32 v[2:3], v1 offset1:4
	ds_load_2addr_stride64_b32 v[4:5], v1 offset0:8 offset1:12
	ds_load_2addr_stride64_b32 v[8:9], v1 offset0:16 offset1:20
	;; [unrolled: 1-line block ×5, first 2 shown]
	s_or_b32 s2, s2, exec_lo
	s_wait_dscnt 0x5
	s_clause 0x1
	flat_store_b32 v0, v2, s[0:1] scale_offset
	flat_store_b32 v0, v3, s[0:1] offset:1024 scale_offset
	s_wait_dscnt 0x6
	s_clause 0x1
	flat_store_b32 v0, v4, s[0:1] offset:2048 scale_offset
	flat_store_b32 v0, v5, s[0:1] offset:3072 scale_offset
	s_wait_dscnt 0x7
	s_clause 0x1
	flat_store_b32 v0, v8, s[0:1] offset:4096 scale_offset
	;; [unrolled: 4-line block ×4, first 2 shown]
	flat_store_b32 v0, v13, s[0:1] offset:9216 scale_offset
	s_wait_dscnt 0xa
	flat_store_b32 v0, v6, s[0:1] offset:10240 scale_offset
.LBB1130_205:
	s_wait_xcnt 0x0
	s_delay_alu instid0(VALU_DEP_1)
	s_and_saveexec_b32 s3, s2
	s_cbranch_execnz .LBB1130_207
; %bb.206:
	s_sendmsg sendmsg(MSG_DEALLOC_VGPRS)
	s_endpgm
.LBB1130_207:
	s_wait_dscnt 0x0
	flat_store_b32 v0, v7, s[0:1] offset:11264 scale_offset
	s_sendmsg sendmsg(MSG_DEALLOC_VGPRS)
	s_endpgm
	.section	.rodata,"a",@progbits
	.p2align	6, 0x0
	.amdhsa_kernel _ZN7rocprim17ROCPRIM_400000_NS6detail17trampoline_kernelINS0_14default_configENS1_27scan_by_key_config_selectorIifEEZZNS1_16scan_by_key_implILNS1_25lookback_scan_determinismE0ELb0ES3_N6thrust23THRUST_200600_302600_NS6detail15normal_iteratorINS9_10device_ptrIiEEEENSB_INSC_IfEEEESG_fNS9_4plusIvEENS9_8equal_toIvEEfEE10hipError_tPvRmT2_T3_T4_T5_mT6_T7_P12ihipStream_tbENKUlT_T0_E_clISt17integral_constantIbLb0EES11_EEDaSW_SX_EUlSW_E_NS1_11comp_targetILNS1_3genE0ELNS1_11target_archE4294967295ELNS1_3gpuE0ELNS1_3repE0EEENS1_30default_config_static_selectorELNS0_4arch9wavefront6targetE0EEEvT1_
		.amdhsa_group_segment_fixed_size 14336
		.amdhsa_private_segment_fixed_size 0
		.amdhsa_kernarg_size 112
		.amdhsa_user_sgpr_count 2
		.amdhsa_user_sgpr_dispatch_ptr 0
		.amdhsa_user_sgpr_queue_ptr 0
		.amdhsa_user_sgpr_kernarg_segment_ptr 1
		.amdhsa_user_sgpr_dispatch_id 0
		.amdhsa_user_sgpr_kernarg_preload_length 0
		.amdhsa_user_sgpr_kernarg_preload_offset 0
		.amdhsa_user_sgpr_private_segment_size 0
		.amdhsa_wavefront_size32 1
		.amdhsa_uses_dynamic_stack 0
		.amdhsa_enable_private_segment 0
		.amdhsa_system_sgpr_workgroup_id_x 1
		.amdhsa_system_sgpr_workgroup_id_y 0
		.amdhsa_system_sgpr_workgroup_id_z 0
		.amdhsa_system_sgpr_workgroup_info 0
		.amdhsa_system_vgpr_workitem_id 0
		.amdhsa_next_free_vgpr 65
		.amdhsa_next_free_sgpr 44
		.amdhsa_named_barrier_count 0
		.amdhsa_reserve_vcc 1
		.amdhsa_float_round_mode_32 0
		.amdhsa_float_round_mode_16_64 0
		.amdhsa_float_denorm_mode_32 3
		.amdhsa_float_denorm_mode_16_64 3
		.amdhsa_fp16_overflow 0
		.amdhsa_memory_ordered 1
		.amdhsa_forward_progress 1
		.amdhsa_inst_pref_size 99
		.amdhsa_round_robin_scheduling 0
		.amdhsa_exception_fp_ieee_invalid_op 0
		.amdhsa_exception_fp_denorm_src 0
		.amdhsa_exception_fp_ieee_div_zero 0
		.amdhsa_exception_fp_ieee_overflow 0
		.amdhsa_exception_fp_ieee_underflow 0
		.amdhsa_exception_fp_ieee_inexact 0
		.amdhsa_exception_int_div_zero 0
	.end_amdhsa_kernel
	.section	.text._ZN7rocprim17ROCPRIM_400000_NS6detail17trampoline_kernelINS0_14default_configENS1_27scan_by_key_config_selectorIifEEZZNS1_16scan_by_key_implILNS1_25lookback_scan_determinismE0ELb0ES3_N6thrust23THRUST_200600_302600_NS6detail15normal_iteratorINS9_10device_ptrIiEEEENSB_INSC_IfEEEESG_fNS9_4plusIvEENS9_8equal_toIvEEfEE10hipError_tPvRmT2_T3_T4_T5_mT6_T7_P12ihipStream_tbENKUlT_T0_E_clISt17integral_constantIbLb0EES11_EEDaSW_SX_EUlSW_E_NS1_11comp_targetILNS1_3genE0ELNS1_11target_archE4294967295ELNS1_3gpuE0ELNS1_3repE0EEENS1_30default_config_static_selectorELNS0_4arch9wavefront6targetE0EEEvT1_,"axG",@progbits,_ZN7rocprim17ROCPRIM_400000_NS6detail17trampoline_kernelINS0_14default_configENS1_27scan_by_key_config_selectorIifEEZZNS1_16scan_by_key_implILNS1_25lookback_scan_determinismE0ELb0ES3_N6thrust23THRUST_200600_302600_NS6detail15normal_iteratorINS9_10device_ptrIiEEEENSB_INSC_IfEEEESG_fNS9_4plusIvEENS9_8equal_toIvEEfEE10hipError_tPvRmT2_T3_T4_T5_mT6_T7_P12ihipStream_tbENKUlT_T0_E_clISt17integral_constantIbLb0EES11_EEDaSW_SX_EUlSW_E_NS1_11comp_targetILNS1_3genE0ELNS1_11target_archE4294967295ELNS1_3gpuE0ELNS1_3repE0EEENS1_30default_config_static_selectorELNS0_4arch9wavefront6targetE0EEEvT1_,comdat
.Lfunc_end1130:
	.size	_ZN7rocprim17ROCPRIM_400000_NS6detail17trampoline_kernelINS0_14default_configENS1_27scan_by_key_config_selectorIifEEZZNS1_16scan_by_key_implILNS1_25lookback_scan_determinismE0ELb0ES3_N6thrust23THRUST_200600_302600_NS6detail15normal_iteratorINS9_10device_ptrIiEEEENSB_INSC_IfEEEESG_fNS9_4plusIvEENS9_8equal_toIvEEfEE10hipError_tPvRmT2_T3_T4_T5_mT6_T7_P12ihipStream_tbENKUlT_T0_E_clISt17integral_constantIbLb0EES11_EEDaSW_SX_EUlSW_E_NS1_11comp_targetILNS1_3genE0ELNS1_11target_archE4294967295ELNS1_3gpuE0ELNS1_3repE0EEENS1_30default_config_static_selectorELNS0_4arch9wavefront6targetE0EEEvT1_, .Lfunc_end1130-_ZN7rocprim17ROCPRIM_400000_NS6detail17trampoline_kernelINS0_14default_configENS1_27scan_by_key_config_selectorIifEEZZNS1_16scan_by_key_implILNS1_25lookback_scan_determinismE0ELb0ES3_N6thrust23THRUST_200600_302600_NS6detail15normal_iteratorINS9_10device_ptrIiEEEENSB_INSC_IfEEEESG_fNS9_4plusIvEENS9_8equal_toIvEEfEE10hipError_tPvRmT2_T3_T4_T5_mT6_T7_P12ihipStream_tbENKUlT_T0_E_clISt17integral_constantIbLb0EES11_EEDaSW_SX_EUlSW_E_NS1_11comp_targetILNS1_3genE0ELNS1_11target_archE4294967295ELNS1_3gpuE0ELNS1_3repE0EEENS1_30default_config_static_selectorELNS0_4arch9wavefront6targetE0EEEvT1_
                                        ; -- End function
	.set _ZN7rocprim17ROCPRIM_400000_NS6detail17trampoline_kernelINS0_14default_configENS1_27scan_by_key_config_selectorIifEEZZNS1_16scan_by_key_implILNS1_25lookback_scan_determinismE0ELb0ES3_N6thrust23THRUST_200600_302600_NS6detail15normal_iteratorINS9_10device_ptrIiEEEENSB_INSC_IfEEEESG_fNS9_4plusIvEENS9_8equal_toIvEEfEE10hipError_tPvRmT2_T3_T4_T5_mT6_T7_P12ihipStream_tbENKUlT_T0_E_clISt17integral_constantIbLb0EES11_EEDaSW_SX_EUlSW_E_NS1_11comp_targetILNS1_3genE0ELNS1_11target_archE4294967295ELNS1_3gpuE0ELNS1_3repE0EEENS1_30default_config_static_selectorELNS0_4arch9wavefront6targetE0EEEvT1_.num_vgpr, 65
	.set _ZN7rocprim17ROCPRIM_400000_NS6detail17trampoline_kernelINS0_14default_configENS1_27scan_by_key_config_selectorIifEEZZNS1_16scan_by_key_implILNS1_25lookback_scan_determinismE0ELb0ES3_N6thrust23THRUST_200600_302600_NS6detail15normal_iteratorINS9_10device_ptrIiEEEENSB_INSC_IfEEEESG_fNS9_4plusIvEENS9_8equal_toIvEEfEE10hipError_tPvRmT2_T3_T4_T5_mT6_T7_P12ihipStream_tbENKUlT_T0_E_clISt17integral_constantIbLb0EES11_EEDaSW_SX_EUlSW_E_NS1_11comp_targetILNS1_3genE0ELNS1_11target_archE4294967295ELNS1_3gpuE0ELNS1_3repE0EEENS1_30default_config_static_selectorELNS0_4arch9wavefront6targetE0EEEvT1_.num_agpr, 0
	.set _ZN7rocprim17ROCPRIM_400000_NS6detail17trampoline_kernelINS0_14default_configENS1_27scan_by_key_config_selectorIifEEZZNS1_16scan_by_key_implILNS1_25lookback_scan_determinismE0ELb0ES3_N6thrust23THRUST_200600_302600_NS6detail15normal_iteratorINS9_10device_ptrIiEEEENSB_INSC_IfEEEESG_fNS9_4plusIvEENS9_8equal_toIvEEfEE10hipError_tPvRmT2_T3_T4_T5_mT6_T7_P12ihipStream_tbENKUlT_T0_E_clISt17integral_constantIbLb0EES11_EEDaSW_SX_EUlSW_E_NS1_11comp_targetILNS1_3genE0ELNS1_11target_archE4294967295ELNS1_3gpuE0ELNS1_3repE0EEENS1_30default_config_static_selectorELNS0_4arch9wavefront6targetE0EEEvT1_.numbered_sgpr, 44
	.set _ZN7rocprim17ROCPRIM_400000_NS6detail17trampoline_kernelINS0_14default_configENS1_27scan_by_key_config_selectorIifEEZZNS1_16scan_by_key_implILNS1_25lookback_scan_determinismE0ELb0ES3_N6thrust23THRUST_200600_302600_NS6detail15normal_iteratorINS9_10device_ptrIiEEEENSB_INSC_IfEEEESG_fNS9_4plusIvEENS9_8equal_toIvEEfEE10hipError_tPvRmT2_T3_T4_T5_mT6_T7_P12ihipStream_tbENKUlT_T0_E_clISt17integral_constantIbLb0EES11_EEDaSW_SX_EUlSW_E_NS1_11comp_targetILNS1_3genE0ELNS1_11target_archE4294967295ELNS1_3gpuE0ELNS1_3repE0EEENS1_30default_config_static_selectorELNS0_4arch9wavefront6targetE0EEEvT1_.num_named_barrier, 0
	.set _ZN7rocprim17ROCPRIM_400000_NS6detail17trampoline_kernelINS0_14default_configENS1_27scan_by_key_config_selectorIifEEZZNS1_16scan_by_key_implILNS1_25lookback_scan_determinismE0ELb0ES3_N6thrust23THRUST_200600_302600_NS6detail15normal_iteratorINS9_10device_ptrIiEEEENSB_INSC_IfEEEESG_fNS9_4plusIvEENS9_8equal_toIvEEfEE10hipError_tPvRmT2_T3_T4_T5_mT6_T7_P12ihipStream_tbENKUlT_T0_E_clISt17integral_constantIbLb0EES11_EEDaSW_SX_EUlSW_E_NS1_11comp_targetILNS1_3genE0ELNS1_11target_archE4294967295ELNS1_3gpuE0ELNS1_3repE0EEENS1_30default_config_static_selectorELNS0_4arch9wavefront6targetE0EEEvT1_.private_seg_size, 0
	.set _ZN7rocprim17ROCPRIM_400000_NS6detail17trampoline_kernelINS0_14default_configENS1_27scan_by_key_config_selectorIifEEZZNS1_16scan_by_key_implILNS1_25lookback_scan_determinismE0ELb0ES3_N6thrust23THRUST_200600_302600_NS6detail15normal_iteratorINS9_10device_ptrIiEEEENSB_INSC_IfEEEESG_fNS9_4plusIvEENS9_8equal_toIvEEfEE10hipError_tPvRmT2_T3_T4_T5_mT6_T7_P12ihipStream_tbENKUlT_T0_E_clISt17integral_constantIbLb0EES11_EEDaSW_SX_EUlSW_E_NS1_11comp_targetILNS1_3genE0ELNS1_11target_archE4294967295ELNS1_3gpuE0ELNS1_3repE0EEENS1_30default_config_static_selectorELNS0_4arch9wavefront6targetE0EEEvT1_.uses_vcc, 1
	.set _ZN7rocprim17ROCPRIM_400000_NS6detail17trampoline_kernelINS0_14default_configENS1_27scan_by_key_config_selectorIifEEZZNS1_16scan_by_key_implILNS1_25lookback_scan_determinismE0ELb0ES3_N6thrust23THRUST_200600_302600_NS6detail15normal_iteratorINS9_10device_ptrIiEEEENSB_INSC_IfEEEESG_fNS9_4plusIvEENS9_8equal_toIvEEfEE10hipError_tPvRmT2_T3_T4_T5_mT6_T7_P12ihipStream_tbENKUlT_T0_E_clISt17integral_constantIbLb0EES11_EEDaSW_SX_EUlSW_E_NS1_11comp_targetILNS1_3genE0ELNS1_11target_archE4294967295ELNS1_3gpuE0ELNS1_3repE0EEENS1_30default_config_static_selectorELNS0_4arch9wavefront6targetE0EEEvT1_.uses_flat_scratch, 1
	.set _ZN7rocprim17ROCPRIM_400000_NS6detail17trampoline_kernelINS0_14default_configENS1_27scan_by_key_config_selectorIifEEZZNS1_16scan_by_key_implILNS1_25lookback_scan_determinismE0ELb0ES3_N6thrust23THRUST_200600_302600_NS6detail15normal_iteratorINS9_10device_ptrIiEEEENSB_INSC_IfEEEESG_fNS9_4plusIvEENS9_8equal_toIvEEfEE10hipError_tPvRmT2_T3_T4_T5_mT6_T7_P12ihipStream_tbENKUlT_T0_E_clISt17integral_constantIbLb0EES11_EEDaSW_SX_EUlSW_E_NS1_11comp_targetILNS1_3genE0ELNS1_11target_archE4294967295ELNS1_3gpuE0ELNS1_3repE0EEENS1_30default_config_static_selectorELNS0_4arch9wavefront6targetE0EEEvT1_.has_dyn_sized_stack, 0
	.set _ZN7rocprim17ROCPRIM_400000_NS6detail17trampoline_kernelINS0_14default_configENS1_27scan_by_key_config_selectorIifEEZZNS1_16scan_by_key_implILNS1_25lookback_scan_determinismE0ELb0ES3_N6thrust23THRUST_200600_302600_NS6detail15normal_iteratorINS9_10device_ptrIiEEEENSB_INSC_IfEEEESG_fNS9_4plusIvEENS9_8equal_toIvEEfEE10hipError_tPvRmT2_T3_T4_T5_mT6_T7_P12ihipStream_tbENKUlT_T0_E_clISt17integral_constantIbLb0EES11_EEDaSW_SX_EUlSW_E_NS1_11comp_targetILNS1_3genE0ELNS1_11target_archE4294967295ELNS1_3gpuE0ELNS1_3repE0EEENS1_30default_config_static_selectorELNS0_4arch9wavefront6targetE0EEEvT1_.has_recursion, 0
	.set _ZN7rocprim17ROCPRIM_400000_NS6detail17trampoline_kernelINS0_14default_configENS1_27scan_by_key_config_selectorIifEEZZNS1_16scan_by_key_implILNS1_25lookback_scan_determinismE0ELb0ES3_N6thrust23THRUST_200600_302600_NS6detail15normal_iteratorINS9_10device_ptrIiEEEENSB_INSC_IfEEEESG_fNS9_4plusIvEENS9_8equal_toIvEEfEE10hipError_tPvRmT2_T3_T4_T5_mT6_T7_P12ihipStream_tbENKUlT_T0_E_clISt17integral_constantIbLb0EES11_EEDaSW_SX_EUlSW_E_NS1_11comp_targetILNS1_3genE0ELNS1_11target_archE4294967295ELNS1_3gpuE0ELNS1_3repE0EEENS1_30default_config_static_selectorELNS0_4arch9wavefront6targetE0EEEvT1_.has_indirect_call, 0
	.section	.AMDGPU.csdata,"",@progbits
; Kernel info:
; codeLenInByte = 12576
; TotalNumSgprs: 46
; NumVgprs: 65
; ScratchSize: 0
; MemoryBound: 0
; FloatMode: 240
; IeeeMode: 1
; LDSByteSize: 14336 bytes/workgroup (compile time only)
; SGPRBlocks: 0
; VGPRBlocks: 4
; NumSGPRsForWavesPerEU: 46
; NumVGPRsForWavesPerEU: 65
; NamedBarCnt: 0
; Occupancy: 12
; WaveLimiterHint : 1
; COMPUTE_PGM_RSRC2:SCRATCH_EN: 0
; COMPUTE_PGM_RSRC2:USER_SGPR: 2
; COMPUTE_PGM_RSRC2:TRAP_HANDLER: 0
; COMPUTE_PGM_RSRC2:TGID_X_EN: 1
; COMPUTE_PGM_RSRC2:TGID_Y_EN: 0
; COMPUTE_PGM_RSRC2:TGID_Z_EN: 0
; COMPUTE_PGM_RSRC2:TIDIG_COMP_CNT: 0
	.section	.text._ZN7rocprim17ROCPRIM_400000_NS6detail17trampoline_kernelINS0_14default_configENS1_27scan_by_key_config_selectorIifEEZZNS1_16scan_by_key_implILNS1_25lookback_scan_determinismE0ELb0ES3_N6thrust23THRUST_200600_302600_NS6detail15normal_iteratorINS9_10device_ptrIiEEEENSB_INSC_IfEEEESG_fNS9_4plusIvEENS9_8equal_toIvEEfEE10hipError_tPvRmT2_T3_T4_T5_mT6_T7_P12ihipStream_tbENKUlT_T0_E_clISt17integral_constantIbLb0EES11_EEDaSW_SX_EUlSW_E_NS1_11comp_targetILNS1_3genE10ELNS1_11target_archE1201ELNS1_3gpuE5ELNS1_3repE0EEENS1_30default_config_static_selectorELNS0_4arch9wavefront6targetE0EEEvT1_,"axG",@progbits,_ZN7rocprim17ROCPRIM_400000_NS6detail17trampoline_kernelINS0_14default_configENS1_27scan_by_key_config_selectorIifEEZZNS1_16scan_by_key_implILNS1_25lookback_scan_determinismE0ELb0ES3_N6thrust23THRUST_200600_302600_NS6detail15normal_iteratorINS9_10device_ptrIiEEEENSB_INSC_IfEEEESG_fNS9_4plusIvEENS9_8equal_toIvEEfEE10hipError_tPvRmT2_T3_T4_T5_mT6_T7_P12ihipStream_tbENKUlT_T0_E_clISt17integral_constantIbLb0EES11_EEDaSW_SX_EUlSW_E_NS1_11comp_targetILNS1_3genE10ELNS1_11target_archE1201ELNS1_3gpuE5ELNS1_3repE0EEENS1_30default_config_static_selectorELNS0_4arch9wavefront6targetE0EEEvT1_,comdat
	.protected	_ZN7rocprim17ROCPRIM_400000_NS6detail17trampoline_kernelINS0_14default_configENS1_27scan_by_key_config_selectorIifEEZZNS1_16scan_by_key_implILNS1_25lookback_scan_determinismE0ELb0ES3_N6thrust23THRUST_200600_302600_NS6detail15normal_iteratorINS9_10device_ptrIiEEEENSB_INSC_IfEEEESG_fNS9_4plusIvEENS9_8equal_toIvEEfEE10hipError_tPvRmT2_T3_T4_T5_mT6_T7_P12ihipStream_tbENKUlT_T0_E_clISt17integral_constantIbLb0EES11_EEDaSW_SX_EUlSW_E_NS1_11comp_targetILNS1_3genE10ELNS1_11target_archE1201ELNS1_3gpuE5ELNS1_3repE0EEENS1_30default_config_static_selectorELNS0_4arch9wavefront6targetE0EEEvT1_ ; -- Begin function _ZN7rocprim17ROCPRIM_400000_NS6detail17trampoline_kernelINS0_14default_configENS1_27scan_by_key_config_selectorIifEEZZNS1_16scan_by_key_implILNS1_25lookback_scan_determinismE0ELb0ES3_N6thrust23THRUST_200600_302600_NS6detail15normal_iteratorINS9_10device_ptrIiEEEENSB_INSC_IfEEEESG_fNS9_4plusIvEENS9_8equal_toIvEEfEE10hipError_tPvRmT2_T3_T4_T5_mT6_T7_P12ihipStream_tbENKUlT_T0_E_clISt17integral_constantIbLb0EES11_EEDaSW_SX_EUlSW_E_NS1_11comp_targetILNS1_3genE10ELNS1_11target_archE1201ELNS1_3gpuE5ELNS1_3repE0EEENS1_30default_config_static_selectorELNS0_4arch9wavefront6targetE0EEEvT1_
	.globl	_ZN7rocprim17ROCPRIM_400000_NS6detail17trampoline_kernelINS0_14default_configENS1_27scan_by_key_config_selectorIifEEZZNS1_16scan_by_key_implILNS1_25lookback_scan_determinismE0ELb0ES3_N6thrust23THRUST_200600_302600_NS6detail15normal_iteratorINS9_10device_ptrIiEEEENSB_INSC_IfEEEESG_fNS9_4plusIvEENS9_8equal_toIvEEfEE10hipError_tPvRmT2_T3_T4_T5_mT6_T7_P12ihipStream_tbENKUlT_T0_E_clISt17integral_constantIbLb0EES11_EEDaSW_SX_EUlSW_E_NS1_11comp_targetILNS1_3genE10ELNS1_11target_archE1201ELNS1_3gpuE5ELNS1_3repE0EEENS1_30default_config_static_selectorELNS0_4arch9wavefront6targetE0EEEvT1_
	.p2align	8
	.type	_ZN7rocprim17ROCPRIM_400000_NS6detail17trampoline_kernelINS0_14default_configENS1_27scan_by_key_config_selectorIifEEZZNS1_16scan_by_key_implILNS1_25lookback_scan_determinismE0ELb0ES3_N6thrust23THRUST_200600_302600_NS6detail15normal_iteratorINS9_10device_ptrIiEEEENSB_INSC_IfEEEESG_fNS9_4plusIvEENS9_8equal_toIvEEfEE10hipError_tPvRmT2_T3_T4_T5_mT6_T7_P12ihipStream_tbENKUlT_T0_E_clISt17integral_constantIbLb0EES11_EEDaSW_SX_EUlSW_E_NS1_11comp_targetILNS1_3genE10ELNS1_11target_archE1201ELNS1_3gpuE5ELNS1_3repE0EEENS1_30default_config_static_selectorELNS0_4arch9wavefront6targetE0EEEvT1_,@function
_ZN7rocprim17ROCPRIM_400000_NS6detail17trampoline_kernelINS0_14default_configENS1_27scan_by_key_config_selectorIifEEZZNS1_16scan_by_key_implILNS1_25lookback_scan_determinismE0ELb0ES3_N6thrust23THRUST_200600_302600_NS6detail15normal_iteratorINS9_10device_ptrIiEEEENSB_INSC_IfEEEESG_fNS9_4plusIvEENS9_8equal_toIvEEfEE10hipError_tPvRmT2_T3_T4_T5_mT6_T7_P12ihipStream_tbENKUlT_T0_E_clISt17integral_constantIbLb0EES11_EEDaSW_SX_EUlSW_E_NS1_11comp_targetILNS1_3genE10ELNS1_11target_archE1201ELNS1_3gpuE5ELNS1_3repE0EEENS1_30default_config_static_selectorELNS0_4arch9wavefront6targetE0EEEvT1_: ; @_ZN7rocprim17ROCPRIM_400000_NS6detail17trampoline_kernelINS0_14default_configENS1_27scan_by_key_config_selectorIifEEZZNS1_16scan_by_key_implILNS1_25lookback_scan_determinismE0ELb0ES3_N6thrust23THRUST_200600_302600_NS6detail15normal_iteratorINS9_10device_ptrIiEEEENSB_INSC_IfEEEESG_fNS9_4plusIvEENS9_8equal_toIvEEfEE10hipError_tPvRmT2_T3_T4_T5_mT6_T7_P12ihipStream_tbENKUlT_T0_E_clISt17integral_constantIbLb0EES11_EEDaSW_SX_EUlSW_E_NS1_11comp_targetILNS1_3genE10ELNS1_11target_archE1201ELNS1_3gpuE5ELNS1_3repE0EEENS1_30default_config_static_selectorELNS0_4arch9wavefront6targetE0EEEvT1_
; %bb.0:
	.section	.rodata,"a",@progbits
	.p2align	6, 0x0
	.amdhsa_kernel _ZN7rocprim17ROCPRIM_400000_NS6detail17trampoline_kernelINS0_14default_configENS1_27scan_by_key_config_selectorIifEEZZNS1_16scan_by_key_implILNS1_25lookback_scan_determinismE0ELb0ES3_N6thrust23THRUST_200600_302600_NS6detail15normal_iteratorINS9_10device_ptrIiEEEENSB_INSC_IfEEEESG_fNS9_4plusIvEENS9_8equal_toIvEEfEE10hipError_tPvRmT2_T3_T4_T5_mT6_T7_P12ihipStream_tbENKUlT_T0_E_clISt17integral_constantIbLb0EES11_EEDaSW_SX_EUlSW_E_NS1_11comp_targetILNS1_3genE10ELNS1_11target_archE1201ELNS1_3gpuE5ELNS1_3repE0EEENS1_30default_config_static_selectorELNS0_4arch9wavefront6targetE0EEEvT1_
		.amdhsa_group_segment_fixed_size 0
		.amdhsa_private_segment_fixed_size 0
		.amdhsa_kernarg_size 112
		.amdhsa_user_sgpr_count 2
		.amdhsa_user_sgpr_dispatch_ptr 0
		.amdhsa_user_sgpr_queue_ptr 0
		.amdhsa_user_sgpr_kernarg_segment_ptr 1
		.amdhsa_user_sgpr_dispatch_id 0
		.amdhsa_user_sgpr_kernarg_preload_length 0
		.amdhsa_user_sgpr_kernarg_preload_offset 0
		.amdhsa_user_sgpr_private_segment_size 0
		.amdhsa_wavefront_size32 1
		.amdhsa_uses_dynamic_stack 0
		.amdhsa_enable_private_segment 0
		.amdhsa_system_sgpr_workgroup_id_x 1
		.amdhsa_system_sgpr_workgroup_id_y 0
		.amdhsa_system_sgpr_workgroup_id_z 0
		.amdhsa_system_sgpr_workgroup_info 0
		.amdhsa_system_vgpr_workitem_id 0
		.amdhsa_next_free_vgpr 1
		.amdhsa_next_free_sgpr 1
		.amdhsa_named_barrier_count 0
		.amdhsa_reserve_vcc 0
		.amdhsa_float_round_mode_32 0
		.amdhsa_float_round_mode_16_64 0
		.amdhsa_float_denorm_mode_32 3
		.amdhsa_float_denorm_mode_16_64 3
		.amdhsa_fp16_overflow 0
		.amdhsa_memory_ordered 1
		.amdhsa_forward_progress 1
		.amdhsa_inst_pref_size 0
		.amdhsa_round_robin_scheduling 0
		.amdhsa_exception_fp_ieee_invalid_op 0
		.amdhsa_exception_fp_denorm_src 0
		.amdhsa_exception_fp_ieee_div_zero 0
		.amdhsa_exception_fp_ieee_overflow 0
		.amdhsa_exception_fp_ieee_underflow 0
		.amdhsa_exception_fp_ieee_inexact 0
		.amdhsa_exception_int_div_zero 0
	.end_amdhsa_kernel
	.section	.text._ZN7rocprim17ROCPRIM_400000_NS6detail17trampoline_kernelINS0_14default_configENS1_27scan_by_key_config_selectorIifEEZZNS1_16scan_by_key_implILNS1_25lookback_scan_determinismE0ELb0ES3_N6thrust23THRUST_200600_302600_NS6detail15normal_iteratorINS9_10device_ptrIiEEEENSB_INSC_IfEEEESG_fNS9_4plusIvEENS9_8equal_toIvEEfEE10hipError_tPvRmT2_T3_T4_T5_mT6_T7_P12ihipStream_tbENKUlT_T0_E_clISt17integral_constantIbLb0EES11_EEDaSW_SX_EUlSW_E_NS1_11comp_targetILNS1_3genE10ELNS1_11target_archE1201ELNS1_3gpuE5ELNS1_3repE0EEENS1_30default_config_static_selectorELNS0_4arch9wavefront6targetE0EEEvT1_,"axG",@progbits,_ZN7rocprim17ROCPRIM_400000_NS6detail17trampoline_kernelINS0_14default_configENS1_27scan_by_key_config_selectorIifEEZZNS1_16scan_by_key_implILNS1_25lookback_scan_determinismE0ELb0ES3_N6thrust23THRUST_200600_302600_NS6detail15normal_iteratorINS9_10device_ptrIiEEEENSB_INSC_IfEEEESG_fNS9_4plusIvEENS9_8equal_toIvEEfEE10hipError_tPvRmT2_T3_T4_T5_mT6_T7_P12ihipStream_tbENKUlT_T0_E_clISt17integral_constantIbLb0EES11_EEDaSW_SX_EUlSW_E_NS1_11comp_targetILNS1_3genE10ELNS1_11target_archE1201ELNS1_3gpuE5ELNS1_3repE0EEENS1_30default_config_static_selectorELNS0_4arch9wavefront6targetE0EEEvT1_,comdat
.Lfunc_end1131:
	.size	_ZN7rocprim17ROCPRIM_400000_NS6detail17trampoline_kernelINS0_14default_configENS1_27scan_by_key_config_selectorIifEEZZNS1_16scan_by_key_implILNS1_25lookback_scan_determinismE0ELb0ES3_N6thrust23THRUST_200600_302600_NS6detail15normal_iteratorINS9_10device_ptrIiEEEENSB_INSC_IfEEEESG_fNS9_4plusIvEENS9_8equal_toIvEEfEE10hipError_tPvRmT2_T3_T4_T5_mT6_T7_P12ihipStream_tbENKUlT_T0_E_clISt17integral_constantIbLb0EES11_EEDaSW_SX_EUlSW_E_NS1_11comp_targetILNS1_3genE10ELNS1_11target_archE1201ELNS1_3gpuE5ELNS1_3repE0EEENS1_30default_config_static_selectorELNS0_4arch9wavefront6targetE0EEEvT1_, .Lfunc_end1131-_ZN7rocprim17ROCPRIM_400000_NS6detail17trampoline_kernelINS0_14default_configENS1_27scan_by_key_config_selectorIifEEZZNS1_16scan_by_key_implILNS1_25lookback_scan_determinismE0ELb0ES3_N6thrust23THRUST_200600_302600_NS6detail15normal_iteratorINS9_10device_ptrIiEEEENSB_INSC_IfEEEESG_fNS9_4plusIvEENS9_8equal_toIvEEfEE10hipError_tPvRmT2_T3_T4_T5_mT6_T7_P12ihipStream_tbENKUlT_T0_E_clISt17integral_constantIbLb0EES11_EEDaSW_SX_EUlSW_E_NS1_11comp_targetILNS1_3genE10ELNS1_11target_archE1201ELNS1_3gpuE5ELNS1_3repE0EEENS1_30default_config_static_selectorELNS0_4arch9wavefront6targetE0EEEvT1_
                                        ; -- End function
	.set _ZN7rocprim17ROCPRIM_400000_NS6detail17trampoline_kernelINS0_14default_configENS1_27scan_by_key_config_selectorIifEEZZNS1_16scan_by_key_implILNS1_25lookback_scan_determinismE0ELb0ES3_N6thrust23THRUST_200600_302600_NS6detail15normal_iteratorINS9_10device_ptrIiEEEENSB_INSC_IfEEEESG_fNS9_4plusIvEENS9_8equal_toIvEEfEE10hipError_tPvRmT2_T3_T4_T5_mT6_T7_P12ihipStream_tbENKUlT_T0_E_clISt17integral_constantIbLb0EES11_EEDaSW_SX_EUlSW_E_NS1_11comp_targetILNS1_3genE10ELNS1_11target_archE1201ELNS1_3gpuE5ELNS1_3repE0EEENS1_30default_config_static_selectorELNS0_4arch9wavefront6targetE0EEEvT1_.num_vgpr, 0
	.set _ZN7rocprim17ROCPRIM_400000_NS6detail17trampoline_kernelINS0_14default_configENS1_27scan_by_key_config_selectorIifEEZZNS1_16scan_by_key_implILNS1_25lookback_scan_determinismE0ELb0ES3_N6thrust23THRUST_200600_302600_NS6detail15normal_iteratorINS9_10device_ptrIiEEEENSB_INSC_IfEEEESG_fNS9_4plusIvEENS9_8equal_toIvEEfEE10hipError_tPvRmT2_T3_T4_T5_mT6_T7_P12ihipStream_tbENKUlT_T0_E_clISt17integral_constantIbLb0EES11_EEDaSW_SX_EUlSW_E_NS1_11comp_targetILNS1_3genE10ELNS1_11target_archE1201ELNS1_3gpuE5ELNS1_3repE0EEENS1_30default_config_static_selectorELNS0_4arch9wavefront6targetE0EEEvT1_.num_agpr, 0
	.set _ZN7rocprim17ROCPRIM_400000_NS6detail17trampoline_kernelINS0_14default_configENS1_27scan_by_key_config_selectorIifEEZZNS1_16scan_by_key_implILNS1_25lookback_scan_determinismE0ELb0ES3_N6thrust23THRUST_200600_302600_NS6detail15normal_iteratorINS9_10device_ptrIiEEEENSB_INSC_IfEEEESG_fNS9_4plusIvEENS9_8equal_toIvEEfEE10hipError_tPvRmT2_T3_T4_T5_mT6_T7_P12ihipStream_tbENKUlT_T0_E_clISt17integral_constantIbLb0EES11_EEDaSW_SX_EUlSW_E_NS1_11comp_targetILNS1_3genE10ELNS1_11target_archE1201ELNS1_3gpuE5ELNS1_3repE0EEENS1_30default_config_static_selectorELNS0_4arch9wavefront6targetE0EEEvT1_.numbered_sgpr, 0
	.set _ZN7rocprim17ROCPRIM_400000_NS6detail17trampoline_kernelINS0_14default_configENS1_27scan_by_key_config_selectorIifEEZZNS1_16scan_by_key_implILNS1_25lookback_scan_determinismE0ELb0ES3_N6thrust23THRUST_200600_302600_NS6detail15normal_iteratorINS9_10device_ptrIiEEEENSB_INSC_IfEEEESG_fNS9_4plusIvEENS9_8equal_toIvEEfEE10hipError_tPvRmT2_T3_T4_T5_mT6_T7_P12ihipStream_tbENKUlT_T0_E_clISt17integral_constantIbLb0EES11_EEDaSW_SX_EUlSW_E_NS1_11comp_targetILNS1_3genE10ELNS1_11target_archE1201ELNS1_3gpuE5ELNS1_3repE0EEENS1_30default_config_static_selectorELNS0_4arch9wavefront6targetE0EEEvT1_.num_named_barrier, 0
	.set _ZN7rocprim17ROCPRIM_400000_NS6detail17trampoline_kernelINS0_14default_configENS1_27scan_by_key_config_selectorIifEEZZNS1_16scan_by_key_implILNS1_25lookback_scan_determinismE0ELb0ES3_N6thrust23THRUST_200600_302600_NS6detail15normal_iteratorINS9_10device_ptrIiEEEENSB_INSC_IfEEEESG_fNS9_4plusIvEENS9_8equal_toIvEEfEE10hipError_tPvRmT2_T3_T4_T5_mT6_T7_P12ihipStream_tbENKUlT_T0_E_clISt17integral_constantIbLb0EES11_EEDaSW_SX_EUlSW_E_NS1_11comp_targetILNS1_3genE10ELNS1_11target_archE1201ELNS1_3gpuE5ELNS1_3repE0EEENS1_30default_config_static_selectorELNS0_4arch9wavefront6targetE0EEEvT1_.private_seg_size, 0
	.set _ZN7rocprim17ROCPRIM_400000_NS6detail17trampoline_kernelINS0_14default_configENS1_27scan_by_key_config_selectorIifEEZZNS1_16scan_by_key_implILNS1_25lookback_scan_determinismE0ELb0ES3_N6thrust23THRUST_200600_302600_NS6detail15normal_iteratorINS9_10device_ptrIiEEEENSB_INSC_IfEEEESG_fNS9_4plusIvEENS9_8equal_toIvEEfEE10hipError_tPvRmT2_T3_T4_T5_mT6_T7_P12ihipStream_tbENKUlT_T0_E_clISt17integral_constantIbLb0EES11_EEDaSW_SX_EUlSW_E_NS1_11comp_targetILNS1_3genE10ELNS1_11target_archE1201ELNS1_3gpuE5ELNS1_3repE0EEENS1_30default_config_static_selectorELNS0_4arch9wavefront6targetE0EEEvT1_.uses_vcc, 0
	.set _ZN7rocprim17ROCPRIM_400000_NS6detail17trampoline_kernelINS0_14default_configENS1_27scan_by_key_config_selectorIifEEZZNS1_16scan_by_key_implILNS1_25lookback_scan_determinismE0ELb0ES3_N6thrust23THRUST_200600_302600_NS6detail15normal_iteratorINS9_10device_ptrIiEEEENSB_INSC_IfEEEESG_fNS9_4plusIvEENS9_8equal_toIvEEfEE10hipError_tPvRmT2_T3_T4_T5_mT6_T7_P12ihipStream_tbENKUlT_T0_E_clISt17integral_constantIbLb0EES11_EEDaSW_SX_EUlSW_E_NS1_11comp_targetILNS1_3genE10ELNS1_11target_archE1201ELNS1_3gpuE5ELNS1_3repE0EEENS1_30default_config_static_selectorELNS0_4arch9wavefront6targetE0EEEvT1_.uses_flat_scratch, 0
	.set _ZN7rocprim17ROCPRIM_400000_NS6detail17trampoline_kernelINS0_14default_configENS1_27scan_by_key_config_selectorIifEEZZNS1_16scan_by_key_implILNS1_25lookback_scan_determinismE0ELb0ES3_N6thrust23THRUST_200600_302600_NS6detail15normal_iteratorINS9_10device_ptrIiEEEENSB_INSC_IfEEEESG_fNS9_4plusIvEENS9_8equal_toIvEEfEE10hipError_tPvRmT2_T3_T4_T5_mT6_T7_P12ihipStream_tbENKUlT_T0_E_clISt17integral_constantIbLb0EES11_EEDaSW_SX_EUlSW_E_NS1_11comp_targetILNS1_3genE10ELNS1_11target_archE1201ELNS1_3gpuE5ELNS1_3repE0EEENS1_30default_config_static_selectorELNS0_4arch9wavefront6targetE0EEEvT1_.has_dyn_sized_stack, 0
	.set _ZN7rocprim17ROCPRIM_400000_NS6detail17trampoline_kernelINS0_14default_configENS1_27scan_by_key_config_selectorIifEEZZNS1_16scan_by_key_implILNS1_25lookback_scan_determinismE0ELb0ES3_N6thrust23THRUST_200600_302600_NS6detail15normal_iteratorINS9_10device_ptrIiEEEENSB_INSC_IfEEEESG_fNS9_4plusIvEENS9_8equal_toIvEEfEE10hipError_tPvRmT2_T3_T4_T5_mT6_T7_P12ihipStream_tbENKUlT_T0_E_clISt17integral_constantIbLb0EES11_EEDaSW_SX_EUlSW_E_NS1_11comp_targetILNS1_3genE10ELNS1_11target_archE1201ELNS1_3gpuE5ELNS1_3repE0EEENS1_30default_config_static_selectorELNS0_4arch9wavefront6targetE0EEEvT1_.has_recursion, 0
	.set _ZN7rocprim17ROCPRIM_400000_NS6detail17trampoline_kernelINS0_14default_configENS1_27scan_by_key_config_selectorIifEEZZNS1_16scan_by_key_implILNS1_25lookback_scan_determinismE0ELb0ES3_N6thrust23THRUST_200600_302600_NS6detail15normal_iteratorINS9_10device_ptrIiEEEENSB_INSC_IfEEEESG_fNS9_4plusIvEENS9_8equal_toIvEEfEE10hipError_tPvRmT2_T3_T4_T5_mT6_T7_P12ihipStream_tbENKUlT_T0_E_clISt17integral_constantIbLb0EES11_EEDaSW_SX_EUlSW_E_NS1_11comp_targetILNS1_3genE10ELNS1_11target_archE1201ELNS1_3gpuE5ELNS1_3repE0EEENS1_30default_config_static_selectorELNS0_4arch9wavefront6targetE0EEEvT1_.has_indirect_call, 0
	.section	.AMDGPU.csdata,"",@progbits
; Kernel info:
; codeLenInByte = 0
; TotalNumSgprs: 0
; NumVgprs: 0
; ScratchSize: 0
; MemoryBound: 0
; FloatMode: 240
; IeeeMode: 1
; LDSByteSize: 0 bytes/workgroup (compile time only)
; SGPRBlocks: 0
; VGPRBlocks: 0
; NumSGPRsForWavesPerEU: 1
; NumVGPRsForWavesPerEU: 1
; NamedBarCnt: 0
; Occupancy: 16
; WaveLimiterHint : 0
; COMPUTE_PGM_RSRC2:SCRATCH_EN: 0
; COMPUTE_PGM_RSRC2:USER_SGPR: 2
; COMPUTE_PGM_RSRC2:TRAP_HANDLER: 0
; COMPUTE_PGM_RSRC2:TGID_X_EN: 1
; COMPUTE_PGM_RSRC2:TGID_Y_EN: 0
; COMPUTE_PGM_RSRC2:TGID_Z_EN: 0
; COMPUTE_PGM_RSRC2:TIDIG_COMP_CNT: 0
	.section	.text._ZN7rocprim17ROCPRIM_400000_NS6detail17trampoline_kernelINS0_14default_configENS1_27scan_by_key_config_selectorIifEEZZNS1_16scan_by_key_implILNS1_25lookback_scan_determinismE0ELb0ES3_N6thrust23THRUST_200600_302600_NS6detail15normal_iteratorINS9_10device_ptrIiEEEENSB_INSC_IfEEEESG_fNS9_4plusIvEENS9_8equal_toIvEEfEE10hipError_tPvRmT2_T3_T4_T5_mT6_T7_P12ihipStream_tbENKUlT_T0_E_clISt17integral_constantIbLb0EES11_EEDaSW_SX_EUlSW_E_NS1_11comp_targetILNS1_3genE5ELNS1_11target_archE942ELNS1_3gpuE9ELNS1_3repE0EEENS1_30default_config_static_selectorELNS0_4arch9wavefront6targetE0EEEvT1_,"axG",@progbits,_ZN7rocprim17ROCPRIM_400000_NS6detail17trampoline_kernelINS0_14default_configENS1_27scan_by_key_config_selectorIifEEZZNS1_16scan_by_key_implILNS1_25lookback_scan_determinismE0ELb0ES3_N6thrust23THRUST_200600_302600_NS6detail15normal_iteratorINS9_10device_ptrIiEEEENSB_INSC_IfEEEESG_fNS9_4plusIvEENS9_8equal_toIvEEfEE10hipError_tPvRmT2_T3_T4_T5_mT6_T7_P12ihipStream_tbENKUlT_T0_E_clISt17integral_constantIbLb0EES11_EEDaSW_SX_EUlSW_E_NS1_11comp_targetILNS1_3genE5ELNS1_11target_archE942ELNS1_3gpuE9ELNS1_3repE0EEENS1_30default_config_static_selectorELNS0_4arch9wavefront6targetE0EEEvT1_,comdat
	.protected	_ZN7rocprim17ROCPRIM_400000_NS6detail17trampoline_kernelINS0_14default_configENS1_27scan_by_key_config_selectorIifEEZZNS1_16scan_by_key_implILNS1_25lookback_scan_determinismE0ELb0ES3_N6thrust23THRUST_200600_302600_NS6detail15normal_iteratorINS9_10device_ptrIiEEEENSB_INSC_IfEEEESG_fNS9_4plusIvEENS9_8equal_toIvEEfEE10hipError_tPvRmT2_T3_T4_T5_mT6_T7_P12ihipStream_tbENKUlT_T0_E_clISt17integral_constantIbLb0EES11_EEDaSW_SX_EUlSW_E_NS1_11comp_targetILNS1_3genE5ELNS1_11target_archE942ELNS1_3gpuE9ELNS1_3repE0EEENS1_30default_config_static_selectorELNS0_4arch9wavefront6targetE0EEEvT1_ ; -- Begin function _ZN7rocprim17ROCPRIM_400000_NS6detail17trampoline_kernelINS0_14default_configENS1_27scan_by_key_config_selectorIifEEZZNS1_16scan_by_key_implILNS1_25lookback_scan_determinismE0ELb0ES3_N6thrust23THRUST_200600_302600_NS6detail15normal_iteratorINS9_10device_ptrIiEEEENSB_INSC_IfEEEESG_fNS9_4plusIvEENS9_8equal_toIvEEfEE10hipError_tPvRmT2_T3_T4_T5_mT6_T7_P12ihipStream_tbENKUlT_T0_E_clISt17integral_constantIbLb0EES11_EEDaSW_SX_EUlSW_E_NS1_11comp_targetILNS1_3genE5ELNS1_11target_archE942ELNS1_3gpuE9ELNS1_3repE0EEENS1_30default_config_static_selectorELNS0_4arch9wavefront6targetE0EEEvT1_
	.globl	_ZN7rocprim17ROCPRIM_400000_NS6detail17trampoline_kernelINS0_14default_configENS1_27scan_by_key_config_selectorIifEEZZNS1_16scan_by_key_implILNS1_25lookback_scan_determinismE0ELb0ES3_N6thrust23THRUST_200600_302600_NS6detail15normal_iteratorINS9_10device_ptrIiEEEENSB_INSC_IfEEEESG_fNS9_4plusIvEENS9_8equal_toIvEEfEE10hipError_tPvRmT2_T3_T4_T5_mT6_T7_P12ihipStream_tbENKUlT_T0_E_clISt17integral_constantIbLb0EES11_EEDaSW_SX_EUlSW_E_NS1_11comp_targetILNS1_3genE5ELNS1_11target_archE942ELNS1_3gpuE9ELNS1_3repE0EEENS1_30default_config_static_selectorELNS0_4arch9wavefront6targetE0EEEvT1_
	.p2align	8
	.type	_ZN7rocprim17ROCPRIM_400000_NS6detail17trampoline_kernelINS0_14default_configENS1_27scan_by_key_config_selectorIifEEZZNS1_16scan_by_key_implILNS1_25lookback_scan_determinismE0ELb0ES3_N6thrust23THRUST_200600_302600_NS6detail15normal_iteratorINS9_10device_ptrIiEEEENSB_INSC_IfEEEESG_fNS9_4plusIvEENS9_8equal_toIvEEfEE10hipError_tPvRmT2_T3_T4_T5_mT6_T7_P12ihipStream_tbENKUlT_T0_E_clISt17integral_constantIbLb0EES11_EEDaSW_SX_EUlSW_E_NS1_11comp_targetILNS1_3genE5ELNS1_11target_archE942ELNS1_3gpuE9ELNS1_3repE0EEENS1_30default_config_static_selectorELNS0_4arch9wavefront6targetE0EEEvT1_,@function
_ZN7rocprim17ROCPRIM_400000_NS6detail17trampoline_kernelINS0_14default_configENS1_27scan_by_key_config_selectorIifEEZZNS1_16scan_by_key_implILNS1_25lookback_scan_determinismE0ELb0ES3_N6thrust23THRUST_200600_302600_NS6detail15normal_iteratorINS9_10device_ptrIiEEEENSB_INSC_IfEEEESG_fNS9_4plusIvEENS9_8equal_toIvEEfEE10hipError_tPvRmT2_T3_T4_T5_mT6_T7_P12ihipStream_tbENKUlT_T0_E_clISt17integral_constantIbLb0EES11_EEDaSW_SX_EUlSW_E_NS1_11comp_targetILNS1_3genE5ELNS1_11target_archE942ELNS1_3gpuE9ELNS1_3repE0EEENS1_30default_config_static_selectorELNS0_4arch9wavefront6targetE0EEEvT1_: ; @_ZN7rocprim17ROCPRIM_400000_NS6detail17trampoline_kernelINS0_14default_configENS1_27scan_by_key_config_selectorIifEEZZNS1_16scan_by_key_implILNS1_25lookback_scan_determinismE0ELb0ES3_N6thrust23THRUST_200600_302600_NS6detail15normal_iteratorINS9_10device_ptrIiEEEENSB_INSC_IfEEEESG_fNS9_4plusIvEENS9_8equal_toIvEEfEE10hipError_tPvRmT2_T3_T4_T5_mT6_T7_P12ihipStream_tbENKUlT_T0_E_clISt17integral_constantIbLb0EES11_EEDaSW_SX_EUlSW_E_NS1_11comp_targetILNS1_3genE5ELNS1_11target_archE942ELNS1_3gpuE9ELNS1_3repE0EEENS1_30default_config_static_selectorELNS0_4arch9wavefront6targetE0EEEvT1_
; %bb.0:
	.section	.rodata,"a",@progbits
	.p2align	6, 0x0
	.amdhsa_kernel _ZN7rocprim17ROCPRIM_400000_NS6detail17trampoline_kernelINS0_14default_configENS1_27scan_by_key_config_selectorIifEEZZNS1_16scan_by_key_implILNS1_25lookback_scan_determinismE0ELb0ES3_N6thrust23THRUST_200600_302600_NS6detail15normal_iteratorINS9_10device_ptrIiEEEENSB_INSC_IfEEEESG_fNS9_4plusIvEENS9_8equal_toIvEEfEE10hipError_tPvRmT2_T3_T4_T5_mT6_T7_P12ihipStream_tbENKUlT_T0_E_clISt17integral_constantIbLb0EES11_EEDaSW_SX_EUlSW_E_NS1_11comp_targetILNS1_3genE5ELNS1_11target_archE942ELNS1_3gpuE9ELNS1_3repE0EEENS1_30default_config_static_selectorELNS0_4arch9wavefront6targetE0EEEvT1_
		.amdhsa_group_segment_fixed_size 0
		.amdhsa_private_segment_fixed_size 0
		.amdhsa_kernarg_size 112
		.amdhsa_user_sgpr_count 2
		.amdhsa_user_sgpr_dispatch_ptr 0
		.amdhsa_user_sgpr_queue_ptr 0
		.amdhsa_user_sgpr_kernarg_segment_ptr 1
		.amdhsa_user_sgpr_dispatch_id 0
		.amdhsa_user_sgpr_kernarg_preload_length 0
		.amdhsa_user_sgpr_kernarg_preload_offset 0
		.amdhsa_user_sgpr_private_segment_size 0
		.amdhsa_wavefront_size32 1
		.amdhsa_uses_dynamic_stack 0
		.amdhsa_enable_private_segment 0
		.amdhsa_system_sgpr_workgroup_id_x 1
		.amdhsa_system_sgpr_workgroup_id_y 0
		.amdhsa_system_sgpr_workgroup_id_z 0
		.amdhsa_system_sgpr_workgroup_info 0
		.amdhsa_system_vgpr_workitem_id 0
		.amdhsa_next_free_vgpr 1
		.amdhsa_next_free_sgpr 1
		.amdhsa_named_barrier_count 0
		.amdhsa_reserve_vcc 0
		.amdhsa_float_round_mode_32 0
		.amdhsa_float_round_mode_16_64 0
		.amdhsa_float_denorm_mode_32 3
		.amdhsa_float_denorm_mode_16_64 3
		.amdhsa_fp16_overflow 0
		.amdhsa_memory_ordered 1
		.amdhsa_forward_progress 1
		.amdhsa_inst_pref_size 0
		.amdhsa_round_robin_scheduling 0
		.amdhsa_exception_fp_ieee_invalid_op 0
		.amdhsa_exception_fp_denorm_src 0
		.amdhsa_exception_fp_ieee_div_zero 0
		.amdhsa_exception_fp_ieee_overflow 0
		.amdhsa_exception_fp_ieee_underflow 0
		.amdhsa_exception_fp_ieee_inexact 0
		.amdhsa_exception_int_div_zero 0
	.end_amdhsa_kernel
	.section	.text._ZN7rocprim17ROCPRIM_400000_NS6detail17trampoline_kernelINS0_14default_configENS1_27scan_by_key_config_selectorIifEEZZNS1_16scan_by_key_implILNS1_25lookback_scan_determinismE0ELb0ES3_N6thrust23THRUST_200600_302600_NS6detail15normal_iteratorINS9_10device_ptrIiEEEENSB_INSC_IfEEEESG_fNS9_4plusIvEENS9_8equal_toIvEEfEE10hipError_tPvRmT2_T3_T4_T5_mT6_T7_P12ihipStream_tbENKUlT_T0_E_clISt17integral_constantIbLb0EES11_EEDaSW_SX_EUlSW_E_NS1_11comp_targetILNS1_3genE5ELNS1_11target_archE942ELNS1_3gpuE9ELNS1_3repE0EEENS1_30default_config_static_selectorELNS0_4arch9wavefront6targetE0EEEvT1_,"axG",@progbits,_ZN7rocprim17ROCPRIM_400000_NS6detail17trampoline_kernelINS0_14default_configENS1_27scan_by_key_config_selectorIifEEZZNS1_16scan_by_key_implILNS1_25lookback_scan_determinismE0ELb0ES3_N6thrust23THRUST_200600_302600_NS6detail15normal_iteratorINS9_10device_ptrIiEEEENSB_INSC_IfEEEESG_fNS9_4plusIvEENS9_8equal_toIvEEfEE10hipError_tPvRmT2_T3_T4_T5_mT6_T7_P12ihipStream_tbENKUlT_T0_E_clISt17integral_constantIbLb0EES11_EEDaSW_SX_EUlSW_E_NS1_11comp_targetILNS1_3genE5ELNS1_11target_archE942ELNS1_3gpuE9ELNS1_3repE0EEENS1_30default_config_static_selectorELNS0_4arch9wavefront6targetE0EEEvT1_,comdat
.Lfunc_end1132:
	.size	_ZN7rocprim17ROCPRIM_400000_NS6detail17trampoline_kernelINS0_14default_configENS1_27scan_by_key_config_selectorIifEEZZNS1_16scan_by_key_implILNS1_25lookback_scan_determinismE0ELb0ES3_N6thrust23THRUST_200600_302600_NS6detail15normal_iteratorINS9_10device_ptrIiEEEENSB_INSC_IfEEEESG_fNS9_4plusIvEENS9_8equal_toIvEEfEE10hipError_tPvRmT2_T3_T4_T5_mT6_T7_P12ihipStream_tbENKUlT_T0_E_clISt17integral_constantIbLb0EES11_EEDaSW_SX_EUlSW_E_NS1_11comp_targetILNS1_3genE5ELNS1_11target_archE942ELNS1_3gpuE9ELNS1_3repE0EEENS1_30default_config_static_selectorELNS0_4arch9wavefront6targetE0EEEvT1_, .Lfunc_end1132-_ZN7rocprim17ROCPRIM_400000_NS6detail17trampoline_kernelINS0_14default_configENS1_27scan_by_key_config_selectorIifEEZZNS1_16scan_by_key_implILNS1_25lookback_scan_determinismE0ELb0ES3_N6thrust23THRUST_200600_302600_NS6detail15normal_iteratorINS9_10device_ptrIiEEEENSB_INSC_IfEEEESG_fNS9_4plusIvEENS9_8equal_toIvEEfEE10hipError_tPvRmT2_T3_T4_T5_mT6_T7_P12ihipStream_tbENKUlT_T0_E_clISt17integral_constantIbLb0EES11_EEDaSW_SX_EUlSW_E_NS1_11comp_targetILNS1_3genE5ELNS1_11target_archE942ELNS1_3gpuE9ELNS1_3repE0EEENS1_30default_config_static_selectorELNS0_4arch9wavefront6targetE0EEEvT1_
                                        ; -- End function
	.set _ZN7rocprim17ROCPRIM_400000_NS6detail17trampoline_kernelINS0_14default_configENS1_27scan_by_key_config_selectorIifEEZZNS1_16scan_by_key_implILNS1_25lookback_scan_determinismE0ELb0ES3_N6thrust23THRUST_200600_302600_NS6detail15normal_iteratorINS9_10device_ptrIiEEEENSB_INSC_IfEEEESG_fNS9_4plusIvEENS9_8equal_toIvEEfEE10hipError_tPvRmT2_T3_T4_T5_mT6_T7_P12ihipStream_tbENKUlT_T0_E_clISt17integral_constantIbLb0EES11_EEDaSW_SX_EUlSW_E_NS1_11comp_targetILNS1_3genE5ELNS1_11target_archE942ELNS1_3gpuE9ELNS1_3repE0EEENS1_30default_config_static_selectorELNS0_4arch9wavefront6targetE0EEEvT1_.num_vgpr, 0
	.set _ZN7rocprim17ROCPRIM_400000_NS6detail17trampoline_kernelINS0_14default_configENS1_27scan_by_key_config_selectorIifEEZZNS1_16scan_by_key_implILNS1_25lookback_scan_determinismE0ELb0ES3_N6thrust23THRUST_200600_302600_NS6detail15normal_iteratorINS9_10device_ptrIiEEEENSB_INSC_IfEEEESG_fNS9_4plusIvEENS9_8equal_toIvEEfEE10hipError_tPvRmT2_T3_T4_T5_mT6_T7_P12ihipStream_tbENKUlT_T0_E_clISt17integral_constantIbLb0EES11_EEDaSW_SX_EUlSW_E_NS1_11comp_targetILNS1_3genE5ELNS1_11target_archE942ELNS1_3gpuE9ELNS1_3repE0EEENS1_30default_config_static_selectorELNS0_4arch9wavefront6targetE0EEEvT1_.num_agpr, 0
	.set _ZN7rocprim17ROCPRIM_400000_NS6detail17trampoline_kernelINS0_14default_configENS1_27scan_by_key_config_selectorIifEEZZNS1_16scan_by_key_implILNS1_25lookback_scan_determinismE0ELb0ES3_N6thrust23THRUST_200600_302600_NS6detail15normal_iteratorINS9_10device_ptrIiEEEENSB_INSC_IfEEEESG_fNS9_4plusIvEENS9_8equal_toIvEEfEE10hipError_tPvRmT2_T3_T4_T5_mT6_T7_P12ihipStream_tbENKUlT_T0_E_clISt17integral_constantIbLb0EES11_EEDaSW_SX_EUlSW_E_NS1_11comp_targetILNS1_3genE5ELNS1_11target_archE942ELNS1_3gpuE9ELNS1_3repE0EEENS1_30default_config_static_selectorELNS0_4arch9wavefront6targetE0EEEvT1_.numbered_sgpr, 0
	.set _ZN7rocprim17ROCPRIM_400000_NS6detail17trampoline_kernelINS0_14default_configENS1_27scan_by_key_config_selectorIifEEZZNS1_16scan_by_key_implILNS1_25lookback_scan_determinismE0ELb0ES3_N6thrust23THRUST_200600_302600_NS6detail15normal_iteratorINS9_10device_ptrIiEEEENSB_INSC_IfEEEESG_fNS9_4plusIvEENS9_8equal_toIvEEfEE10hipError_tPvRmT2_T3_T4_T5_mT6_T7_P12ihipStream_tbENKUlT_T0_E_clISt17integral_constantIbLb0EES11_EEDaSW_SX_EUlSW_E_NS1_11comp_targetILNS1_3genE5ELNS1_11target_archE942ELNS1_3gpuE9ELNS1_3repE0EEENS1_30default_config_static_selectorELNS0_4arch9wavefront6targetE0EEEvT1_.num_named_barrier, 0
	.set _ZN7rocprim17ROCPRIM_400000_NS6detail17trampoline_kernelINS0_14default_configENS1_27scan_by_key_config_selectorIifEEZZNS1_16scan_by_key_implILNS1_25lookback_scan_determinismE0ELb0ES3_N6thrust23THRUST_200600_302600_NS6detail15normal_iteratorINS9_10device_ptrIiEEEENSB_INSC_IfEEEESG_fNS9_4plusIvEENS9_8equal_toIvEEfEE10hipError_tPvRmT2_T3_T4_T5_mT6_T7_P12ihipStream_tbENKUlT_T0_E_clISt17integral_constantIbLb0EES11_EEDaSW_SX_EUlSW_E_NS1_11comp_targetILNS1_3genE5ELNS1_11target_archE942ELNS1_3gpuE9ELNS1_3repE0EEENS1_30default_config_static_selectorELNS0_4arch9wavefront6targetE0EEEvT1_.private_seg_size, 0
	.set _ZN7rocprim17ROCPRIM_400000_NS6detail17trampoline_kernelINS0_14default_configENS1_27scan_by_key_config_selectorIifEEZZNS1_16scan_by_key_implILNS1_25lookback_scan_determinismE0ELb0ES3_N6thrust23THRUST_200600_302600_NS6detail15normal_iteratorINS9_10device_ptrIiEEEENSB_INSC_IfEEEESG_fNS9_4plusIvEENS9_8equal_toIvEEfEE10hipError_tPvRmT2_T3_T4_T5_mT6_T7_P12ihipStream_tbENKUlT_T0_E_clISt17integral_constantIbLb0EES11_EEDaSW_SX_EUlSW_E_NS1_11comp_targetILNS1_3genE5ELNS1_11target_archE942ELNS1_3gpuE9ELNS1_3repE0EEENS1_30default_config_static_selectorELNS0_4arch9wavefront6targetE0EEEvT1_.uses_vcc, 0
	.set _ZN7rocprim17ROCPRIM_400000_NS6detail17trampoline_kernelINS0_14default_configENS1_27scan_by_key_config_selectorIifEEZZNS1_16scan_by_key_implILNS1_25lookback_scan_determinismE0ELb0ES3_N6thrust23THRUST_200600_302600_NS6detail15normal_iteratorINS9_10device_ptrIiEEEENSB_INSC_IfEEEESG_fNS9_4plusIvEENS9_8equal_toIvEEfEE10hipError_tPvRmT2_T3_T4_T5_mT6_T7_P12ihipStream_tbENKUlT_T0_E_clISt17integral_constantIbLb0EES11_EEDaSW_SX_EUlSW_E_NS1_11comp_targetILNS1_3genE5ELNS1_11target_archE942ELNS1_3gpuE9ELNS1_3repE0EEENS1_30default_config_static_selectorELNS0_4arch9wavefront6targetE0EEEvT1_.uses_flat_scratch, 0
	.set _ZN7rocprim17ROCPRIM_400000_NS6detail17trampoline_kernelINS0_14default_configENS1_27scan_by_key_config_selectorIifEEZZNS1_16scan_by_key_implILNS1_25lookback_scan_determinismE0ELb0ES3_N6thrust23THRUST_200600_302600_NS6detail15normal_iteratorINS9_10device_ptrIiEEEENSB_INSC_IfEEEESG_fNS9_4plusIvEENS9_8equal_toIvEEfEE10hipError_tPvRmT2_T3_T4_T5_mT6_T7_P12ihipStream_tbENKUlT_T0_E_clISt17integral_constantIbLb0EES11_EEDaSW_SX_EUlSW_E_NS1_11comp_targetILNS1_3genE5ELNS1_11target_archE942ELNS1_3gpuE9ELNS1_3repE0EEENS1_30default_config_static_selectorELNS0_4arch9wavefront6targetE0EEEvT1_.has_dyn_sized_stack, 0
	.set _ZN7rocprim17ROCPRIM_400000_NS6detail17trampoline_kernelINS0_14default_configENS1_27scan_by_key_config_selectorIifEEZZNS1_16scan_by_key_implILNS1_25lookback_scan_determinismE0ELb0ES3_N6thrust23THRUST_200600_302600_NS6detail15normal_iteratorINS9_10device_ptrIiEEEENSB_INSC_IfEEEESG_fNS9_4plusIvEENS9_8equal_toIvEEfEE10hipError_tPvRmT2_T3_T4_T5_mT6_T7_P12ihipStream_tbENKUlT_T0_E_clISt17integral_constantIbLb0EES11_EEDaSW_SX_EUlSW_E_NS1_11comp_targetILNS1_3genE5ELNS1_11target_archE942ELNS1_3gpuE9ELNS1_3repE0EEENS1_30default_config_static_selectorELNS0_4arch9wavefront6targetE0EEEvT1_.has_recursion, 0
	.set _ZN7rocprim17ROCPRIM_400000_NS6detail17trampoline_kernelINS0_14default_configENS1_27scan_by_key_config_selectorIifEEZZNS1_16scan_by_key_implILNS1_25lookback_scan_determinismE0ELb0ES3_N6thrust23THRUST_200600_302600_NS6detail15normal_iteratorINS9_10device_ptrIiEEEENSB_INSC_IfEEEESG_fNS9_4plusIvEENS9_8equal_toIvEEfEE10hipError_tPvRmT2_T3_T4_T5_mT6_T7_P12ihipStream_tbENKUlT_T0_E_clISt17integral_constantIbLb0EES11_EEDaSW_SX_EUlSW_E_NS1_11comp_targetILNS1_3genE5ELNS1_11target_archE942ELNS1_3gpuE9ELNS1_3repE0EEENS1_30default_config_static_selectorELNS0_4arch9wavefront6targetE0EEEvT1_.has_indirect_call, 0
	.section	.AMDGPU.csdata,"",@progbits
; Kernel info:
; codeLenInByte = 0
; TotalNumSgprs: 0
; NumVgprs: 0
; ScratchSize: 0
; MemoryBound: 0
; FloatMode: 240
; IeeeMode: 1
; LDSByteSize: 0 bytes/workgroup (compile time only)
; SGPRBlocks: 0
; VGPRBlocks: 0
; NumSGPRsForWavesPerEU: 1
; NumVGPRsForWavesPerEU: 1
; NamedBarCnt: 0
; Occupancy: 16
; WaveLimiterHint : 0
; COMPUTE_PGM_RSRC2:SCRATCH_EN: 0
; COMPUTE_PGM_RSRC2:USER_SGPR: 2
; COMPUTE_PGM_RSRC2:TRAP_HANDLER: 0
; COMPUTE_PGM_RSRC2:TGID_X_EN: 1
; COMPUTE_PGM_RSRC2:TGID_Y_EN: 0
; COMPUTE_PGM_RSRC2:TGID_Z_EN: 0
; COMPUTE_PGM_RSRC2:TIDIG_COMP_CNT: 0
	.section	.text._ZN7rocprim17ROCPRIM_400000_NS6detail17trampoline_kernelINS0_14default_configENS1_27scan_by_key_config_selectorIifEEZZNS1_16scan_by_key_implILNS1_25lookback_scan_determinismE0ELb0ES3_N6thrust23THRUST_200600_302600_NS6detail15normal_iteratorINS9_10device_ptrIiEEEENSB_INSC_IfEEEESG_fNS9_4plusIvEENS9_8equal_toIvEEfEE10hipError_tPvRmT2_T3_T4_T5_mT6_T7_P12ihipStream_tbENKUlT_T0_E_clISt17integral_constantIbLb0EES11_EEDaSW_SX_EUlSW_E_NS1_11comp_targetILNS1_3genE4ELNS1_11target_archE910ELNS1_3gpuE8ELNS1_3repE0EEENS1_30default_config_static_selectorELNS0_4arch9wavefront6targetE0EEEvT1_,"axG",@progbits,_ZN7rocprim17ROCPRIM_400000_NS6detail17trampoline_kernelINS0_14default_configENS1_27scan_by_key_config_selectorIifEEZZNS1_16scan_by_key_implILNS1_25lookback_scan_determinismE0ELb0ES3_N6thrust23THRUST_200600_302600_NS6detail15normal_iteratorINS9_10device_ptrIiEEEENSB_INSC_IfEEEESG_fNS9_4plusIvEENS9_8equal_toIvEEfEE10hipError_tPvRmT2_T3_T4_T5_mT6_T7_P12ihipStream_tbENKUlT_T0_E_clISt17integral_constantIbLb0EES11_EEDaSW_SX_EUlSW_E_NS1_11comp_targetILNS1_3genE4ELNS1_11target_archE910ELNS1_3gpuE8ELNS1_3repE0EEENS1_30default_config_static_selectorELNS0_4arch9wavefront6targetE0EEEvT1_,comdat
	.protected	_ZN7rocprim17ROCPRIM_400000_NS6detail17trampoline_kernelINS0_14default_configENS1_27scan_by_key_config_selectorIifEEZZNS1_16scan_by_key_implILNS1_25lookback_scan_determinismE0ELb0ES3_N6thrust23THRUST_200600_302600_NS6detail15normal_iteratorINS9_10device_ptrIiEEEENSB_INSC_IfEEEESG_fNS9_4plusIvEENS9_8equal_toIvEEfEE10hipError_tPvRmT2_T3_T4_T5_mT6_T7_P12ihipStream_tbENKUlT_T0_E_clISt17integral_constantIbLb0EES11_EEDaSW_SX_EUlSW_E_NS1_11comp_targetILNS1_3genE4ELNS1_11target_archE910ELNS1_3gpuE8ELNS1_3repE0EEENS1_30default_config_static_selectorELNS0_4arch9wavefront6targetE0EEEvT1_ ; -- Begin function _ZN7rocprim17ROCPRIM_400000_NS6detail17trampoline_kernelINS0_14default_configENS1_27scan_by_key_config_selectorIifEEZZNS1_16scan_by_key_implILNS1_25lookback_scan_determinismE0ELb0ES3_N6thrust23THRUST_200600_302600_NS6detail15normal_iteratorINS9_10device_ptrIiEEEENSB_INSC_IfEEEESG_fNS9_4plusIvEENS9_8equal_toIvEEfEE10hipError_tPvRmT2_T3_T4_T5_mT6_T7_P12ihipStream_tbENKUlT_T0_E_clISt17integral_constantIbLb0EES11_EEDaSW_SX_EUlSW_E_NS1_11comp_targetILNS1_3genE4ELNS1_11target_archE910ELNS1_3gpuE8ELNS1_3repE0EEENS1_30default_config_static_selectorELNS0_4arch9wavefront6targetE0EEEvT1_
	.globl	_ZN7rocprim17ROCPRIM_400000_NS6detail17trampoline_kernelINS0_14default_configENS1_27scan_by_key_config_selectorIifEEZZNS1_16scan_by_key_implILNS1_25lookback_scan_determinismE0ELb0ES3_N6thrust23THRUST_200600_302600_NS6detail15normal_iteratorINS9_10device_ptrIiEEEENSB_INSC_IfEEEESG_fNS9_4plusIvEENS9_8equal_toIvEEfEE10hipError_tPvRmT2_T3_T4_T5_mT6_T7_P12ihipStream_tbENKUlT_T0_E_clISt17integral_constantIbLb0EES11_EEDaSW_SX_EUlSW_E_NS1_11comp_targetILNS1_3genE4ELNS1_11target_archE910ELNS1_3gpuE8ELNS1_3repE0EEENS1_30default_config_static_selectorELNS0_4arch9wavefront6targetE0EEEvT1_
	.p2align	8
	.type	_ZN7rocprim17ROCPRIM_400000_NS6detail17trampoline_kernelINS0_14default_configENS1_27scan_by_key_config_selectorIifEEZZNS1_16scan_by_key_implILNS1_25lookback_scan_determinismE0ELb0ES3_N6thrust23THRUST_200600_302600_NS6detail15normal_iteratorINS9_10device_ptrIiEEEENSB_INSC_IfEEEESG_fNS9_4plusIvEENS9_8equal_toIvEEfEE10hipError_tPvRmT2_T3_T4_T5_mT6_T7_P12ihipStream_tbENKUlT_T0_E_clISt17integral_constantIbLb0EES11_EEDaSW_SX_EUlSW_E_NS1_11comp_targetILNS1_3genE4ELNS1_11target_archE910ELNS1_3gpuE8ELNS1_3repE0EEENS1_30default_config_static_selectorELNS0_4arch9wavefront6targetE0EEEvT1_,@function
_ZN7rocprim17ROCPRIM_400000_NS6detail17trampoline_kernelINS0_14default_configENS1_27scan_by_key_config_selectorIifEEZZNS1_16scan_by_key_implILNS1_25lookback_scan_determinismE0ELb0ES3_N6thrust23THRUST_200600_302600_NS6detail15normal_iteratorINS9_10device_ptrIiEEEENSB_INSC_IfEEEESG_fNS9_4plusIvEENS9_8equal_toIvEEfEE10hipError_tPvRmT2_T3_T4_T5_mT6_T7_P12ihipStream_tbENKUlT_T0_E_clISt17integral_constantIbLb0EES11_EEDaSW_SX_EUlSW_E_NS1_11comp_targetILNS1_3genE4ELNS1_11target_archE910ELNS1_3gpuE8ELNS1_3repE0EEENS1_30default_config_static_selectorELNS0_4arch9wavefront6targetE0EEEvT1_: ; @_ZN7rocprim17ROCPRIM_400000_NS6detail17trampoline_kernelINS0_14default_configENS1_27scan_by_key_config_selectorIifEEZZNS1_16scan_by_key_implILNS1_25lookback_scan_determinismE0ELb0ES3_N6thrust23THRUST_200600_302600_NS6detail15normal_iteratorINS9_10device_ptrIiEEEENSB_INSC_IfEEEESG_fNS9_4plusIvEENS9_8equal_toIvEEfEE10hipError_tPvRmT2_T3_T4_T5_mT6_T7_P12ihipStream_tbENKUlT_T0_E_clISt17integral_constantIbLb0EES11_EEDaSW_SX_EUlSW_E_NS1_11comp_targetILNS1_3genE4ELNS1_11target_archE910ELNS1_3gpuE8ELNS1_3repE0EEENS1_30default_config_static_selectorELNS0_4arch9wavefront6targetE0EEEvT1_
; %bb.0:
	.section	.rodata,"a",@progbits
	.p2align	6, 0x0
	.amdhsa_kernel _ZN7rocprim17ROCPRIM_400000_NS6detail17trampoline_kernelINS0_14default_configENS1_27scan_by_key_config_selectorIifEEZZNS1_16scan_by_key_implILNS1_25lookback_scan_determinismE0ELb0ES3_N6thrust23THRUST_200600_302600_NS6detail15normal_iteratorINS9_10device_ptrIiEEEENSB_INSC_IfEEEESG_fNS9_4plusIvEENS9_8equal_toIvEEfEE10hipError_tPvRmT2_T3_T4_T5_mT6_T7_P12ihipStream_tbENKUlT_T0_E_clISt17integral_constantIbLb0EES11_EEDaSW_SX_EUlSW_E_NS1_11comp_targetILNS1_3genE4ELNS1_11target_archE910ELNS1_3gpuE8ELNS1_3repE0EEENS1_30default_config_static_selectorELNS0_4arch9wavefront6targetE0EEEvT1_
		.amdhsa_group_segment_fixed_size 0
		.amdhsa_private_segment_fixed_size 0
		.amdhsa_kernarg_size 112
		.amdhsa_user_sgpr_count 2
		.amdhsa_user_sgpr_dispatch_ptr 0
		.amdhsa_user_sgpr_queue_ptr 0
		.amdhsa_user_sgpr_kernarg_segment_ptr 1
		.amdhsa_user_sgpr_dispatch_id 0
		.amdhsa_user_sgpr_kernarg_preload_length 0
		.amdhsa_user_sgpr_kernarg_preload_offset 0
		.amdhsa_user_sgpr_private_segment_size 0
		.amdhsa_wavefront_size32 1
		.amdhsa_uses_dynamic_stack 0
		.amdhsa_enable_private_segment 0
		.amdhsa_system_sgpr_workgroup_id_x 1
		.amdhsa_system_sgpr_workgroup_id_y 0
		.amdhsa_system_sgpr_workgroup_id_z 0
		.amdhsa_system_sgpr_workgroup_info 0
		.amdhsa_system_vgpr_workitem_id 0
		.amdhsa_next_free_vgpr 1
		.amdhsa_next_free_sgpr 1
		.amdhsa_named_barrier_count 0
		.amdhsa_reserve_vcc 0
		.amdhsa_float_round_mode_32 0
		.amdhsa_float_round_mode_16_64 0
		.amdhsa_float_denorm_mode_32 3
		.amdhsa_float_denorm_mode_16_64 3
		.amdhsa_fp16_overflow 0
		.amdhsa_memory_ordered 1
		.amdhsa_forward_progress 1
		.amdhsa_inst_pref_size 0
		.amdhsa_round_robin_scheduling 0
		.amdhsa_exception_fp_ieee_invalid_op 0
		.amdhsa_exception_fp_denorm_src 0
		.amdhsa_exception_fp_ieee_div_zero 0
		.amdhsa_exception_fp_ieee_overflow 0
		.amdhsa_exception_fp_ieee_underflow 0
		.amdhsa_exception_fp_ieee_inexact 0
		.amdhsa_exception_int_div_zero 0
	.end_amdhsa_kernel
	.section	.text._ZN7rocprim17ROCPRIM_400000_NS6detail17trampoline_kernelINS0_14default_configENS1_27scan_by_key_config_selectorIifEEZZNS1_16scan_by_key_implILNS1_25lookback_scan_determinismE0ELb0ES3_N6thrust23THRUST_200600_302600_NS6detail15normal_iteratorINS9_10device_ptrIiEEEENSB_INSC_IfEEEESG_fNS9_4plusIvEENS9_8equal_toIvEEfEE10hipError_tPvRmT2_T3_T4_T5_mT6_T7_P12ihipStream_tbENKUlT_T0_E_clISt17integral_constantIbLb0EES11_EEDaSW_SX_EUlSW_E_NS1_11comp_targetILNS1_3genE4ELNS1_11target_archE910ELNS1_3gpuE8ELNS1_3repE0EEENS1_30default_config_static_selectorELNS0_4arch9wavefront6targetE0EEEvT1_,"axG",@progbits,_ZN7rocprim17ROCPRIM_400000_NS6detail17trampoline_kernelINS0_14default_configENS1_27scan_by_key_config_selectorIifEEZZNS1_16scan_by_key_implILNS1_25lookback_scan_determinismE0ELb0ES3_N6thrust23THRUST_200600_302600_NS6detail15normal_iteratorINS9_10device_ptrIiEEEENSB_INSC_IfEEEESG_fNS9_4plusIvEENS9_8equal_toIvEEfEE10hipError_tPvRmT2_T3_T4_T5_mT6_T7_P12ihipStream_tbENKUlT_T0_E_clISt17integral_constantIbLb0EES11_EEDaSW_SX_EUlSW_E_NS1_11comp_targetILNS1_3genE4ELNS1_11target_archE910ELNS1_3gpuE8ELNS1_3repE0EEENS1_30default_config_static_selectorELNS0_4arch9wavefront6targetE0EEEvT1_,comdat
.Lfunc_end1133:
	.size	_ZN7rocprim17ROCPRIM_400000_NS6detail17trampoline_kernelINS0_14default_configENS1_27scan_by_key_config_selectorIifEEZZNS1_16scan_by_key_implILNS1_25lookback_scan_determinismE0ELb0ES3_N6thrust23THRUST_200600_302600_NS6detail15normal_iteratorINS9_10device_ptrIiEEEENSB_INSC_IfEEEESG_fNS9_4plusIvEENS9_8equal_toIvEEfEE10hipError_tPvRmT2_T3_T4_T5_mT6_T7_P12ihipStream_tbENKUlT_T0_E_clISt17integral_constantIbLb0EES11_EEDaSW_SX_EUlSW_E_NS1_11comp_targetILNS1_3genE4ELNS1_11target_archE910ELNS1_3gpuE8ELNS1_3repE0EEENS1_30default_config_static_selectorELNS0_4arch9wavefront6targetE0EEEvT1_, .Lfunc_end1133-_ZN7rocprim17ROCPRIM_400000_NS6detail17trampoline_kernelINS0_14default_configENS1_27scan_by_key_config_selectorIifEEZZNS1_16scan_by_key_implILNS1_25lookback_scan_determinismE0ELb0ES3_N6thrust23THRUST_200600_302600_NS6detail15normal_iteratorINS9_10device_ptrIiEEEENSB_INSC_IfEEEESG_fNS9_4plusIvEENS9_8equal_toIvEEfEE10hipError_tPvRmT2_T3_T4_T5_mT6_T7_P12ihipStream_tbENKUlT_T0_E_clISt17integral_constantIbLb0EES11_EEDaSW_SX_EUlSW_E_NS1_11comp_targetILNS1_3genE4ELNS1_11target_archE910ELNS1_3gpuE8ELNS1_3repE0EEENS1_30default_config_static_selectorELNS0_4arch9wavefront6targetE0EEEvT1_
                                        ; -- End function
	.set _ZN7rocprim17ROCPRIM_400000_NS6detail17trampoline_kernelINS0_14default_configENS1_27scan_by_key_config_selectorIifEEZZNS1_16scan_by_key_implILNS1_25lookback_scan_determinismE0ELb0ES3_N6thrust23THRUST_200600_302600_NS6detail15normal_iteratorINS9_10device_ptrIiEEEENSB_INSC_IfEEEESG_fNS9_4plusIvEENS9_8equal_toIvEEfEE10hipError_tPvRmT2_T3_T4_T5_mT6_T7_P12ihipStream_tbENKUlT_T0_E_clISt17integral_constantIbLb0EES11_EEDaSW_SX_EUlSW_E_NS1_11comp_targetILNS1_3genE4ELNS1_11target_archE910ELNS1_3gpuE8ELNS1_3repE0EEENS1_30default_config_static_selectorELNS0_4arch9wavefront6targetE0EEEvT1_.num_vgpr, 0
	.set _ZN7rocprim17ROCPRIM_400000_NS6detail17trampoline_kernelINS0_14default_configENS1_27scan_by_key_config_selectorIifEEZZNS1_16scan_by_key_implILNS1_25lookback_scan_determinismE0ELb0ES3_N6thrust23THRUST_200600_302600_NS6detail15normal_iteratorINS9_10device_ptrIiEEEENSB_INSC_IfEEEESG_fNS9_4plusIvEENS9_8equal_toIvEEfEE10hipError_tPvRmT2_T3_T4_T5_mT6_T7_P12ihipStream_tbENKUlT_T0_E_clISt17integral_constantIbLb0EES11_EEDaSW_SX_EUlSW_E_NS1_11comp_targetILNS1_3genE4ELNS1_11target_archE910ELNS1_3gpuE8ELNS1_3repE0EEENS1_30default_config_static_selectorELNS0_4arch9wavefront6targetE0EEEvT1_.num_agpr, 0
	.set _ZN7rocprim17ROCPRIM_400000_NS6detail17trampoline_kernelINS0_14default_configENS1_27scan_by_key_config_selectorIifEEZZNS1_16scan_by_key_implILNS1_25lookback_scan_determinismE0ELb0ES3_N6thrust23THRUST_200600_302600_NS6detail15normal_iteratorINS9_10device_ptrIiEEEENSB_INSC_IfEEEESG_fNS9_4plusIvEENS9_8equal_toIvEEfEE10hipError_tPvRmT2_T3_T4_T5_mT6_T7_P12ihipStream_tbENKUlT_T0_E_clISt17integral_constantIbLb0EES11_EEDaSW_SX_EUlSW_E_NS1_11comp_targetILNS1_3genE4ELNS1_11target_archE910ELNS1_3gpuE8ELNS1_3repE0EEENS1_30default_config_static_selectorELNS0_4arch9wavefront6targetE0EEEvT1_.numbered_sgpr, 0
	.set _ZN7rocprim17ROCPRIM_400000_NS6detail17trampoline_kernelINS0_14default_configENS1_27scan_by_key_config_selectorIifEEZZNS1_16scan_by_key_implILNS1_25lookback_scan_determinismE0ELb0ES3_N6thrust23THRUST_200600_302600_NS6detail15normal_iteratorINS9_10device_ptrIiEEEENSB_INSC_IfEEEESG_fNS9_4plusIvEENS9_8equal_toIvEEfEE10hipError_tPvRmT2_T3_T4_T5_mT6_T7_P12ihipStream_tbENKUlT_T0_E_clISt17integral_constantIbLb0EES11_EEDaSW_SX_EUlSW_E_NS1_11comp_targetILNS1_3genE4ELNS1_11target_archE910ELNS1_3gpuE8ELNS1_3repE0EEENS1_30default_config_static_selectorELNS0_4arch9wavefront6targetE0EEEvT1_.num_named_barrier, 0
	.set _ZN7rocprim17ROCPRIM_400000_NS6detail17trampoline_kernelINS0_14default_configENS1_27scan_by_key_config_selectorIifEEZZNS1_16scan_by_key_implILNS1_25lookback_scan_determinismE0ELb0ES3_N6thrust23THRUST_200600_302600_NS6detail15normal_iteratorINS9_10device_ptrIiEEEENSB_INSC_IfEEEESG_fNS9_4plusIvEENS9_8equal_toIvEEfEE10hipError_tPvRmT2_T3_T4_T5_mT6_T7_P12ihipStream_tbENKUlT_T0_E_clISt17integral_constantIbLb0EES11_EEDaSW_SX_EUlSW_E_NS1_11comp_targetILNS1_3genE4ELNS1_11target_archE910ELNS1_3gpuE8ELNS1_3repE0EEENS1_30default_config_static_selectorELNS0_4arch9wavefront6targetE0EEEvT1_.private_seg_size, 0
	.set _ZN7rocprim17ROCPRIM_400000_NS6detail17trampoline_kernelINS0_14default_configENS1_27scan_by_key_config_selectorIifEEZZNS1_16scan_by_key_implILNS1_25lookback_scan_determinismE0ELb0ES3_N6thrust23THRUST_200600_302600_NS6detail15normal_iteratorINS9_10device_ptrIiEEEENSB_INSC_IfEEEESG_fNS9_4plusIvEENS9_8equal_toIvEEfEE10hipError_tPvRmT2_T3_T4_T5_mT6_T7_P12ihipStream_tbENKUlT_T0_E_clISt17integral_constantIbLb0EES11_EEDaSW_SX_EUlSW_E_NS1_11comp_targetILNS1_3genE4ELNS1_11target_archE910ELNS1_3gpuE8ELNS1_3repE0EEENS1_30default_config_static_selectorELNS0_4arch9wavefront6targetE0EEEvT1_.uses_vcc, 0
	.set _ZN7rocprim17ROCPRIM_400000_NS6detail17trampoline_kernelINS0_14default_configENS1_27scan_by_key_config_selectorIifEEZZNS1_16scan_by_key_implILNS1_25lookback_scan_determinismE0ELb0ES3_N6thrust23THRUST_200600_302600_NS6detail15normal_iteratorINS9_10device_ptrIiEEEENSB_INSC_IfEEEESG_fNS9_4plusIvEENS9_8equal_toIvEEfEE10hipError_tPvRmT2_T3_T4_T5_mT6_T7_P12ihipStream_tbENKUlT_T0_E_clISt17integral_constantIbLb0EES11_EEDaSW_SX_EUlSW_E_NS1_11comp_targetILNS1_3genE4ELNS1_11target_archE910ELNS1_3gpuE8ELNS1_3repE0EEENS1_30default_config_static_selectorELNS0_4arch9wavefront6targetE0EEEvT1_.uses_flat_scratch, 0
	.set _ZN7rocprim17ROCPRIM_400000_NS6detail17trampoline_kernelINS0_14default_configENS1_27scan_by_key_config_selectorIifEEZZNS1_16scan_by_key_implILNS1_25lookback_scan_determinismE0ELb0ES3_N6thrust23THRUST_200600_302600_NS6detail15normal_iteratorINS9_10device_ptrIiEEEENSB_INSC_IfEEEESG_fNS9_4plusIvEENS9_8equal_toIvEEfEE10hipError_tPvRmT2_T3_T4_T5_mT6_T7_P12ihipStream_tbENKUlT_T0_E_clISt17integral_constantIbLb0EES11_EEDaSW_SX_EUlSW_E_NS1_11comp_targetILNS1_3genE4ELNS1_11target_archE910ELNS1_3gpuE8ELNS1_3repE0EEENS1_30default_config_static_selectorELNS0_4arch9wavefront6targetE0EEEvT1_.has_dyn_sized_stack, 0
	.set _ZN7rocprim17ROCPRIM_400000_NS6detail17trampoline_kernelINS0_14default_configENS1_27scan_by_key_config_selectorIifEEZZNS1_16scan_by_key_implILNS1_25lookback_scan_determinismE0ELb0ES3_N6thrust23THRUST_200600_302600_NS6detail15normal_iteratorINS9_10device_ptrIiEEEENSB_INSC_IfEEEESG_fNS9_4plusIvEENS9_8equal_toIvEEfEE10hipError_tPvRmT2_T3_T4_T5_mT6_T7_P12ihipStream_tbENKUlT_T0_E_clISt17integral_constantIbLb0EES11_EEDaSW_SX_EUlSW_E_NS1_11comp_targetILNS1_3genE4ELNS1_11target_archE910ELNS1_3gpuE8ELNS1_3repE0EEENS1_30default_config_static_selectorELNS0_4arch9wavefront6targetE0EEEvT1_.has_recursion, 0
	.set _ZN7rocprim17ROCPRIM_400000_NS6detail17trampoline_kernelINS0_14default_configENS1_27scan_by_key_config_selectorIifEEZZNS1_16scan_by_key_implILNS1_25lookback_scan_determinismE0ELb0ES3_N6thrust23THRUST_200600_302600_NS6detail15normal_iteratorINS9_10device_ptrIiEEEENSB_INSC_IfEEEESG_fNS9_4plusIvEENS9_8equal_toIvEEfEE10hipError_tPvRmT2_T3_T4_T5_mT6_T7_P12ihipStream_tbENKUlT_T0_E_clISt17integral_constantIbLb0EES11_EEDaSW_SX_EUlSW_E_NS1_11comp_targetILNS1_3genE4ELNS1_11target_archE910ELNS1_3gpuE8ELNS1_3repE0EEENS1_30default_config_static_selectorELNS0_4arch9wavefront6targetE0EEEvT1_.has_indirect_call, 0
	.section	.AMDGPU.csdata,"",@progbits
; Kernel info:
; codeLenInByte = 0
; TotalNumSgprs: 0
; NumVgprs: 0
; ScratchSize: 0
; MemoryBound: 0
; FloatMode: 240
; IeeeMode: 1
; LDSByteSize: 0 bytes/workgroup (compile time only)
; SGPRBlocks: 0
; VGPRBlocks: 0
; NumSGPRsForWavesPerEU: 1
; NumVGPRsForWavesPerEU: 1
; NamedBarCnt: 0
; Occupancy: 16
; WaveLimiterHint : 0
; COMPUTE_PGM_RSRC2:SCRATCH_EN: 0
; COMPUTE_PGM_RSRC2:USER_SGPR: 2
; COMPUTE_PGM_RSRC2:TRAP_HANDLER: 0
; COMPUTE_PGM_RSRC2:TGID_X_EN: 1
; COMPUTE_PGM_RSRC2:TGID_Y_EN: 0
; COMPUTE_PGM_RSRC2:TGID_Z_EN: 0
; COMPUTE_PGM_RSRC2:TIDIG_COMP_CNT: 0
	.section	.text._ZN7rocprim17ROCPRIM_400000_NS6detail17trampoline_kernelINS0_14default_configENS1_27scan_by_key_config_selectorIifEEZZNS1_16scan_by_key_implILNS1_25lookback_scan_determinismE0ELb0ES3_N6thrust23THRUST_200600_302600_NS6detail15normal_iteratorINS9_10device_ptrIiEEEENSB_INSC_IfEEEESG_fNS9_4plusIvEENS9_8equal_toIvEEfEE10hipError_tPvRmT2_T3_T4_T5_mT6_T7_P12ihipStream_tbENKUlT_T0_E_clISt17integral_constantIbLb0EES11_EEDaSW_SX_EUlSW_E_NS1_11comp_targetILNS1_3genE3ELNS1_11target_archE908ELNS1_3gpuE7ELNS1_3repE0EEENS1_30default_config_static_selectorELNS0_4arch9wavefront6targetE0EEEvT1_,"axG",@progbits,_ZN7rocprim17ROCPRIM_400000_NS6detail17trampoline_kernelINS0_14default_configENS1_27scan_by_key_config_selectorIifEEZZNS1_16scan_by_key_implILNS1_25lookback_scan_determinismE0ELb0ES3_N6thrust23THRUST_200600_302600_NS6detail15normal_iteratorINS9_10device_ptrIiEEEENSB_INSC_IfEEEESG_fNS9_4plusIvEENS9_8equal_toIvEEfEE10hipError_tPvRmT2_T3_T4_T5_mT6_T7_P12ihipStream_tbENKUlT_T0_E_clISt17integral_constantIbLb0EES11_EEDaSW_SX_EUlSW_E_NS1_11comp_targetILNS1_3genE3ELNS1_11target_archE908ELNS1_3gpuE7ELNS1_3repE0EEENS1_30default_config_static_selectorELNS0_4arch9wavefront6targetE0EEEvT1_,comdat
	.protected	_ZN7rocprim17ROCPRIM_400000_NS6detail17trampoline_kernelINS0_14default_configENS1_27scan_by_key_config_selectorIifEEZZNS1_16scan_by_key_implILNS1_25lookback_scan_determinismE0ELb0ES3_N6thrust23THRUST_200600_302600_NS6detail15normal_iteratorINS9_10device_ptrIiEEEENSB_INSC_IfEEEESG_fNS9_4plusIvEENS9_8equal_toIvEEfEE10hipError_tPvRmT2_T3_T4_T5_mT6_T7_P12ihipStream_tbENKUlT_T0_E_clISt17integral_constantIbLb0EES11_EEDaSW_SX_EUlSW_E_NS1_11comp_targetILNS1_3genE3ELNS1_11target_archE908ELNS1_3gpuE7ELNS1_3repE0EEENS1_30default_config_static_selectorELNS0_4arch9wavefront6targetE0EEEvT1_ ; -- Begin function _ZN7rocprim17ROCPRIM_400000_NS6detail17trampoline_kernelINS0_14default_configENS1_27scan_by_key_config_selectorIifEEZZNS1_16scan_by_key_implILNS1_25lookback_scan_determinismE0ELb0ES3_N6thrust23THRUST_200600_302600_NS6detail15normal_iteratorINS9_10device_ptrIiEEEENSB_INSC_IfEEEESG_fNS9_4plusIvEENS9_8equal_toIvEEfEE10hipError_tPvRmT2_T3_T4_T5_mT6_T7_P12ihipStream_tbENKUlT_T0_E_clISt17integral_constantIbLb0EES11_EEDaSW_SX_EUlSW_E_NS1_11comp_targetILNS1_3genE3ELNS1_11target_archE908ELNS1_3gpuE7ELNS1_3repE0EEENS1_30default_config_static_selectorELNS0_4arch9wavefront6targetE0EEEvT1_
	.globl	_ZN7rocprim17ROCPRIM_400000_NS6detail17trampoline_kernelINS0_14default_configENS1_27scan_by_key_config_selectorIifEEZZNS1_16scan_by_key_implILNS1_25lookback_scan_determinismE0ELb0ES3_N6thrust23THRUST_200600_302600_NS6detail15normal_iteratorINS9_10device_ptrIiEEEENSB_INSC_IfEEEESG_fNS9_4plusIvEENS9_8equal_toIvEEfEE10hipError_tPvRmT2_T3_T4_T5_mT6_T7_P12ihipStream_tbENKUlT_T0_E_clISt17integral_constantIbLb0EES11_EEDaSW_SX_EUlSW_E_NS1_11comp_targetILNS1_3genE3ELNS1_11target_archE908ELNS1_3gpuE7ELNS1_3repE0EEENS1_30default_config_static_selectorELNS0_4arch9wavefront6targetE0EEEvT1_
	.p2align	8
	.type	_ZN7rocprim17ROCPRIM_400000_NS6detail17trampoline_kernelINS0_14default_configENS1_27scan_by_key_config_selectorIifEEZZNS1_16scan_by_key_implILNS1_25lookback_scan_determinismE0ELb0ES3_N6thrust23THRUST_200600_302600_NS6detail15normal_iteratorINS9_10device_ptrIiEEEENSB_INSC_IfEEEESG_fNS9_4plusIvEENS9_8equal_toIvEEfEE10hipError_tPvRmT2_T3_T4_T5_mT6_T7_P12ihipStream_tbENKUlT_T0_E_clISt17integral_constantIbLb0EES11_EEDaSW_SX_EUlSW_E_NS1_11comp_targetILNS1_3genE3ELNS1_11target_archE908ELNS1_3gpuE7ELNS1_3repE0EEENS1_30default_config_static_selectorELNS0_4arch9wavefront6targetE0EEEvT1_,@function
_ZN7rocprim17ROCPRIM_400000_NS6detail17trampoline_kernelINS0_14default_configENS1_27scan_by_key_config_selectorIifEEZZNS1_16scan_by_key_implILNS1_25lookback_scan_determinismE0ELb0ES3_N6thrust23THRUST_200600_302600_NS6detail15normal_iteratorINS9_10device_ptrIiEEEENSB_INSC_IfEEEESG_fNS9_4plusIvEENS9_8equal_toIvEEfEE10hipError_tPvRmT2_T3_T4_T5_mT6_T7_P12ihipStream_tbENKUlT_T0_E_clISt17integral_constantIbLb0EES11_EEDaSW_SX_EUlSW_E_NS1_11comp_targetILNS1_3genE3ELNS1_11target_archE908ELNS1_3gpuE7ELNS1_3repE0EEENS1_30default_config_static_selectorELNS0_4arch9wavefront6targetE0EEEvT1_: ; @_ZN7rocprim17ROCPRIM_400000_NS6detail17trampoline_kernelINS0_14default_configENS1_27scan_by_key_config_selectorIifEEZZNS1_16scan_by_key_implILNS1_25lookback_scan_determinismE0ELb0ES3_N6thrust23THRUST_200600_302600_NS6detail15normal_iteratorINS9_10device_ptrIiEEEENSB_INSC_IfEEEESG_fNS9_4plusIvEENS9_8equal_toIvEEfEE10hipError_tPvRmT2_T3_T4_T5_mT6_T7_P12ihipStream_tbENKUlT_T0_E_clISt17integral_constantIbLb0EES11_EEDaSW_SX_EUlSW_E_NS1_11comp_targetILNS1_3genE3ELNS1_11target_archE908ELNS1_3gpuE7ELNS1_3repE0EEENS1_30default_config_static_selectorELNS0_4arch9wavefront6targetE0EEEvT1_
; %bb.0:
	.section	.rodata,"a",@progbits
	.p2align	6, 0x0
	.amdhsa_kernel _ZN7rocprim17ROCPRIM_400000_NS6detail17trampoline_kernelINS0_14default_configENS1_27scan_by_key_config_selectorIifEEZZNS1_16scan_by_key_implILNS1_25lookback_scan_determinismE0ELb0ES3_N6thrust23THRUST_200600_302600_NS6detail15normal_iteratorINS9_10device_ptrIiEEEENSB_INSC_IfEEEESG_fNS9_4plusIvEENS9_8equal_toIvEEfEE10hipError_tPvRmT2_T3_T4_T5_mT6_T7_P12ihipStream_tbENKUlT_T0_E_clISt17integral_constantIbLb0EES11_EEDaSW_SX_EUlSW_E_NS1_11comp_targetILNS1_3genE3ELNS1_11target_archE908ELNS1_3gpuE7ELNS1_3repE0EEENS1_30default_config_static_selectorELNS0_4arch9wavefront6targetE0EEEvT1_
		.amdhsa_group_segment_fixed_size 0
		.amdhsa_private_segment_fixed_size 0
		.amdhsa_kernarg_size 112
		.amdhsa_user_sgpr_count 2
		.amdhsa_user_sgpr_dispatch_ptr 0
		.amdhsa_user_sgpr_queue_ptr 0
		.amdhsa_user_sgpr_kernarg_segment_ptr 1
		.amdhsa_user_sgpr_dispatch_id 0
		.amdhsa_user_sgpr_kernarg_preload_length 0
		.amdhsa_user_sgpr_kernarg_preload_offset 0
		.amdhsa_user_sgpr_private_segment_size 0
		.amdhsa_wavefront_size32 1
		.amdhsa_uses_dynamic_stack 0
		.amdhsa_enable_private_segment 0
		.amdhsa_system_sgpr_workgroup_id_x 1
		.amdhsa_system_sgpr_workgroup_id_y 0
		.amdhsa_system_sgpr_workgroup_id_z 0
		.amdhsa_system_sgpr_workgroup_info 0
		.amdhsa_system_vgpr_workitem_id 0
		.amdhsa_next_free_vgpr 1
		.amdhsa_next_free_sgpr 1
		.amdhsa_named_barrier_count 0
		.amdhsa_reserve_vcc 0
		.amdhsa_float_round_mode_32 0
		.amdhsa_float_round_mode_16_64 0
		.amdhsa_float_denorm_mode_32 3
		.amdhsa_float_denorm_mode_16_64 3
		.amdhsa_fp16_overflow 0
		.amdhsa_memory_ordered 1
		.amdhsa_forward_progress 1
		.amdhsa_inst_pref_size 0
		.amdhsa_round_robin_scheduling 0
		.amdhsa_exception_fp_ieee_invalid_op 0
		.amdhsa_exception_fp_denorm_src 0
		.amdhsa_exception_fp_ieee_div_zero 0
		.amdhsa_exception_fp_ieee_overflow 0
		.amdhsa_exception_fp_ieee_underflow 0
		.amdhsa_exception_fp_ieee_inexact 0
		.amdhsa_exception_int_div_zero 0
	.end_amdhsa_kernel
	.section	.text._ZN7rocprim17ROCPRIM_400000_NS6detail17trampoline_kernelINS0_14default_configENS1_27scan_by_key_config_selectorIifEEZZNS1_16scan_by_key_implILNS1_25lookback_scan_determinismE0ELb0ES3_N6thrust23THRUST_200600_302600_NS6detail15normal_iteratorINS9_10device_ptrIiEEEENSB_INSC_IfEEEESG_fNS9_4plusIvEENS9_8equal_toIvEEfEE10hipError_tPvRmT2_T3_T4_T5_mT6_T7_P12ihipStream_tbENKUlT_T0_E_clISt17integral_constantIbLb0EES11_EEDaSW_SX_EUlSW_E_NS1_11comp_targetILNS1_3genE3ELNS1_11target_archE908ELNS1_3gpuE7ELNS1_3repE0EEENS1_30default_config_static_selectorELNS0_4arch9wavefront6targetE0EEEvT1_,"axG",@progbits,_ZN7rocprim17ROCPRIM_400000_NS6detail17trampoline_kernelINS0_14default_configENS1_27scan_by_key_config_selectorIifEEZZNS1_16scan_by_key_implILNS1_25lookback_scan_determinismE0ELb0ES3_N6thrust23THRUST_200600_302600_NS6detail15normal_iteratorINS9_10device_ptrIiEEEENSB_INSC_IfEEEESG_fNS9_4plusIvEENS9_8equal_toIvEEfEE10hipError_tPvRmT2_T3_T4_T5_mT6_T7_P12ihipStream_tbENKUlT_T0_E_clISt17integral_constantIbLb0EES11_EEDaSW_SX_EUlSW_E_NS1_11comp_targetILNS1_3genE3ELNS1_11target_archE908ELNS1_3gpuE7ELNS1_3repE0EEENS1_30default_config_static_selectorELNS0_4arch9wavefront6targetE0EEEvT1_,comdat
.Lfunc_end1134:
	.size	_ZN7rocprim17ROCPRIM_400000_NS6detail17trampoline_kernelINS0_14default_configENS1_27scan_by_key_config_selectorIifEEZZNS1_16scan_by_key_implILNS1_25lookback_scan_determinismE0ELb0ES3_N6thrust23THRUST_200600_302600_NS6detail15normal_iteratorINS9_10device_ptrIiEEEENSB_INSC_IfEEEESG_fNS9_4plusIvEENS9_8equal_toIvEEfEE10hipError_tPvRmT2_T3_T4_T5_mT6_T7_P12ihipStream_tbENKUlT_T0_E_clISt17integral_constantIbLb0EES11_EEDaSW_SX_EUlSW_E_NS1_11comp_targetILNS1_3genE3ELNS1_11target_archE908ELNS1_3gpuE7ELNS1_3repE0EEENS1_30default_config_static_selectorELNS0_4arch9wavefront6targetE0EEEvT1_, .Lfunc_end1134-_ZN7rocprim17ROCPRIM_400000_NS6detail17trampoline_kernelINS0_14default_configENS1_27scan_by_key_config_selectorIifEEZZNS1_16scan_by_key_implILNS1_25lookback_scan_determinismE0ELb0ES3_N6thrust23THRUST_200600_302600_NS6detail15normal_iteratorINS9_10device_ptrIiEEEENSB_INSC_IfEEEESG_fNS9_4plusIvEENS9_8equal_toIvEEfEE10hipError_tPvRmT2_T3_T4_T5_mT6_T7_P12ihipStream_tbENKUlT_T0_E_clISt17integral_constantIbLb0EES11_EEDaSW_SX_EUlSW_E_NS1_11comp_targetILNS1_3genE3ELNS1_11target_archE908ELNS1_3gpuE7ELNS1_3repE0EEENS1_30default_config_static_selectorELNS0_4arch9wavefront6targetE0EEEvT1_
                                        ; -- End function
	.set _ZN7rocprim17ROCPRIM_400000_NS6detail17trampoline_kernelINS0_14default_configENS1_27scan_by_key_config_selectorIifEEZZNS1_16scan_by_key_implILNS1_25lookback_scan_determinismE0ELb0ES3_N6thrust23THRUST_200600_302600_NS6detail15normal_iteratorINS9_10device_ptrIiEEEENSB_INSC_IfEEEESG_fNS9_4plusIvEENS9_8equal_toIvEEfEE10hipError_tPvRmT2_T3_T4_T5_mT6_T7_P12ihipStream_tbENKUlT_T0_E_clISt17integral_constantIbLb0EES11_EEDaSW_SX_EUlSW_E_NS1_11comp_targetILNS1_3genE3ELNS1_11target_archE908ELNS1_3gpuE7ELNS1_3repE0EEENS1_30default_config_static_selectorELNS0_4arch9wavefront6targetE0EEEvT1_.num_vgpr, 0
	.set _ZN7rocprim17ROCPRIM_400000_NS6detail17trampoline_kernelINS0_14default_configENS1_27scan_by_key_config_selectorIifEEZZNS1_16scan_by_key_implILNS1_25lookback_scan_determinismE0ELb0ES3_N6thrust23THRUST_200600_302600_NS6detail15normal_iteratorINS9_10device_ptrIiEEEENSB_INSC_IfEEEESG_fNS9_4plusIvEENS9_8equal_toIvEEfEE10hipError_tPvRmT2_T3_T4_T5_mT6_T7_P12ihipStream_tbENKUlT_T0_E_clISt17integral_constantIbLb0EES11_EEDaSW_SX_EUlSW_E_NS1_11comp_targetILNS1_3genE3ELNS1_11target_archE908ELNS1_3gpuE7ELNS1_3repE0EEENS1_30default_config_static_selectorELNS0_4arch9wavefront6targetE0EEEvT1_.num_agpr, 0
	.set _ZN7rocprim17ROCPRIM_400000_NS6detail17trampoline_kernelINS0_14default_configENS1_27scan_by_key_config_selectorIifEEZZNS1_16scan_by_key_implILNS1_25lookback_scan_determinismE0ELb0ES3_N6thrust23THRUST_200600_302600_NS6detail15normal_iteratorINS9_10device_ptrIiEEEENSB_INSC_IfEEEESG_fNS9_4plusIvEENS9_8equal_toIvEEfEE10hipError_tPvRmT2_T3_T4_T5_mT6_T7_P12ihipStream_tbENKUlT_T0_E_clISt17integral_constantIbLb0EES11_EEDaSW_SX_EUlSW_E_NS1_11comp_targetILNS1_3genE3ELNS1_11target_archE908ELNS1_3gpuE7ELNS1_3repE0EEENS1_30default_config_static_selectorELNS0_4arch9wavefront6targetE0EEEvT1_.numbered_sgpr, 0
	.set _ZN7rocprim17ROCPRIM_400000_NS6detail17trampoline_kernelINS0_14default_configENS1_27scan_by_key_config_selectorIifEEZZNS1_16scan_by_key_implILNS1_25lookback_scan_determinismE0ELb0ES3_N6thrust23THRUST_200600_302600_NS6detail15normal_iteratorINS9_10device_ptrIiEEEENSB_INSC_IfEEEESG_fNS9_4plusIvEENS9_8equal_toIvEEfEE10hipError_tPvRmT2_T3_T4_T5_mT6_T7_P12ihipStream_tbENKUlT_T0_E_clISt17integral_constantIbLb0EES11_EEDaSW_SX_EUlSW_E_NS1_11comp_targetILNS1_3genE3ELNS1_11target_archE908ELNS1_3gpuE7ELNS1_3repE0EEENS1_30default_config_static_selectorELNS0_4arch9wavefront6targetE0EEEvT1_.num_named_barrier, 0
	.set _ZN7rocprim17ROCPRIM_400000_NS6detail17trampoline_kernelINS0_14default_configENS1_27scan_by_key_config_selectorIifEEZZNS1_16scan_by_key_implILNS1_25lookback_scan_determinismE0ELb0ES3_N6thrust23THRUST_200600_302600_NS6detail15normal_iteratorINS9_10device_ptrIiEEEENSB_INSC_IfEEEESG_fNS9_4plusIvEENS9_8equal_toIvEEfEE10hipError_tPvRmT2_T3_T4_T5_mT6_T7_P12ihipStream_tbENKUlT_T0_E_clISt17integral_constantIbLb0EES11_EEDaSW_SX_EUlSW_E_NS1_11comp_targetILNS1_3genE3ELNS1_11target_archE908ELNS1_3gpuE7ELNS1_3repE0EEENS1_30default_config_static_selectorELNS0_4arch9wavefront6targetE0EEEvT1_.private_seg_size, 0
	.set _ZN7rocprim17ROCPRIM_400000_NS6detail17trampoline_kernelINS0_14default_configENS1_27scan_by_key_config_selectorIifEEZZNS1_16scan_by_key_implILNS1_25lookback_scan_determinismE0ELb0ES3_N6thrust23THRUST_200600_302600_NS6detail15normal_iteratorINS9_10device_ptrIiEEEENSB_INSC_IfEEEESG_fNS9_4plusIvEENS9_8equal_toIvEEfEE10hipError_tPvRmT2_T3_T4_T5_mT6_T7_P12ihipStream_tbENKUlT_T0_E_clISt17integral_constantIbLb0EES11_EEDaSW_SX_EUlSW_E_NS1_11comp_targetILNS1_3genE3ELNS1_11target_archE908ELNS1_3gpuE7ELNS1_3repE0EEENS1_30default_config_static_selectorELNS0_4arch9wavefront6targetE0EEEvT1_.uses_vcc, 0
	.set _ZN7rocprim17ROCPRIM_400000_NS6detail17trampoline_kernelINS0_14default_configENS1_27scan_by_key_config_selectorIifEEZZNS1_16scan_by_key_implILNS1_25lookback_scan_determinismE0ELb0ES3_N6thrust23THRUST_200600_302600_NS6detail15normal_iteratorINS9_10device_ptrIiEEEENSB_INSC_IfEEEESG_fNS9_4plusIvEENS9_8equal_toIvEEfEE10hipError_tPvRmT2_T3_T4_T5_mT6_T7_P12ihipStream_tbENKUlT_T0_E_clISt17integral_constantIbLb0EES11_EEDaSW_SX_EUlSW_E_NS1_11comp_targetILNS1_3genE3ELNS1_11target_archE908ELNS1_3gpuE7ELNS1_3repE0EEENS1_30default_config_static_selectorELNS0_4arch9wavefront6targetE0EEEvT1_.uses_flat_scratch, 0
	.set _ZN7rocprim17ROCPRIM_400000_NS6detail17trampoline_kernelINS0_14default_configENS1_27scan_by_key_config_selectorIifEEZZNS1_16scan_by_key_implILNS1_25lookback_scan_determinismE0ELb0ES3_N6thrust23THRUST_200600_302600_NS6detail15normal_iteratorINS9_10device_ptrIiEEEENSB_INSC_IfEEEESG_fNS9_4plusIvEENS9_8equal_toIvEEfEE10hipError_tPvRmT2_T3_T4_T5_mT6_T7_P12ihipStream_tbENKUlT_T0_E_clISt17integral_constantIbLb0EES11_EEDaSW_SX_EUlSW_E_NS1_11comp_targetILNS1_3genE3ELNS1_11target_archE908ELNS1_3gpuE7ELNS1_3repE0EEENS1_30default_config_static_selectorELNS0_4arch9wavefront6targetE0EEEvT1_.has_dyn_sized_stack, 0
	.set _ZN7rocprim17ROCPRIM_400000_NS6detail17trampoline_kernelINS0_14default_configENS1_27scan_by_key_config_selectorIifEEZZNS1_16scan_by_key_implILNS1_25lookback_scan_determinismE0ELb0ES3_N6thrust23THRUST_200600_302600_NS6detail15normal_iteratorINS9_10device_ptrIiEEEENSB_INSC_IfEEEESG_fNS9_4plusIvEENS9_8equal_toIvEEfEE10hipError_tPvRmT2_T3_T4_T5_mT6_T7_P12ihipStream_tbENKUlT_T0_E_clISt17integral_constantIbLb0EES11_EEDaSW_SX_EUlSW_E_NS1_11comp_targetILNS1_3genE3ELNS1_11target_archE908ELNS1_3gpuE7ELNS1_3repE0EEENS1_30default_config_static_selectorELNS0_4arch9wavefront6targetE0EEEvT1_.has_recursion, 0
	.set _ZN7rocprim17ROCPRIM_400000_NS6detail17trampoline_kernelINS0_14default_configENS1_27scan_by_key_config_selectorIifEEZZNS1_16scan_by_key_implILNS1_25lookback_scan_determinismE0ELb0ES3_N6thrust23THRUST_200600_302600_NS6detail15normal_iteratorINS9_10device_ptrIiEEEENSB_INSC_IfEEEESG_fNS9_4plusIvEENS9_8equal_toIvEEfEE10hipError_tPvRmT2_T3_T4_T5_mT6_T7_P12ihipStream_tbENKUlT_T0_E_clISt17integral_constantIbLb0EES11_EEDaSW_SX_EUlSW_E_NS1_11comp_targetILNS1_3genE3ELNS1_11target_archE908ELNS1_3gpuE7ELNS1_3repE0EEENS1_30default_config_static_selectorELNS0_4arch9wavefront6targetE0EEEvT1_.has_indirect_call, 0
	.section	.AMDGPU.csdata,"",@progbits
; Kernel info:
; codeLenInByte = 0
; TotalNumSgprs: 0
; NumVgprs: 0
; ScratchSize: 0
; MemoryBound: 0
; FloatMode: 240
; IeeeMode: 1
; LDSByteSize: 0 bytes/workgroup (compile time only)
; SGPRBlocks: 0
; VGPRBlocks: 0
; NumSGPRsForWavesPerEU: 1
; NumVGPRsForWavesPerEU: 1
; NamedBarCnt: 0
; Occupancy: 16
; WaveLimiterHint : 0
; COMPUTE_PGM_RSRC2:SCRATCH_EN: 0
; COMPUTE_PGM_RSRC2:USER_SGPR: 2
; COMPUTE_PGM_RSRC2:TRAP_HANDLER: 0
; COMPUTE_PGM_RSRC2:TGID_X_EN: 1
; COMPUTE_PGM_RSRC2:TGID_Y_EN: 0
; COMPUTE_PGM_RSRC2:TGID_Z_EN: 0
; COMPUTE_PGM_RSRC2:TIDIG_COMP_CNT: 0
	.section	.text._ZN7rocprim17ROCPRIM_400000_NS6detail17trampoline_kernelINS0_14default_configENS1_27scan_by_key_config_selectorIifEEZZNS1_16scan_by_key_implILNS1_25lookback_scan_determinismE0ELb0ES3_N6thrust23THRUST_200600_302600_NS6detail15normal_iteratorINS9_10device_ptrIiEEEENSB_INSC_IfEEEESG_fNS9_4plusIvEENS9_8equal_toIvEEfEE10hipError_tPvRmT2_T3_T4_T5_mT6_T7_P12ihipStream_tbENKUlT_T0_E_clISt17integral_constantIbLb0EES11_EEDaSW_SX_EUlSW_E_NS1_11comp_targetILNS1_3genE2ELNS1_11target_archE906ELNS1_3gpuE6ELNS1_3repE0EEENS1_30default_config_static_selectorELNS0_4arch9wavefront6targetE0EEEvT1_,"axG",@progbits,_ZN7rocprim17ROCPRIM_400000_NS6detail17trampoline_kernelINS0_14default_configENS1_27scan_by_key_config_selectorIifEEZZNS1_16scan_by_key_implILNS1_25lookback_scan_determinismE0ELb0ES3_N6thrust23THRUST_200600_302600_NS6detail15normal_iteratorINS9_10device_ptrIiEEEENSB_INSC_IfEEEESG_fNS9_4plusIvEENS9_8equal_toIvEEfEE10hipError_tPvRmT2_T3_T4_T5_mT6_T7_P12ihipStream_tbENKUlT_T0_E_clISt17integral_constantIbLb0EES11_EEDaSW_SX_EUlSW_E_NS1_11comp_targetILNS1_3genE2ELNS1_11target_archE906ELNS1_3gpuE6ELNS1_3repE0EEENS1_30default_config_static_selectorELNS0_4arch9wavefront6targetE0EEEvT1_,comdat
	.protected	_ZN7rocprim17ROCPRIM_400000_NS6detail17trampoline_kernelINS0_14default_configENS1_27scan_by_key_config_selectorIifEEZZNS1_16scan_by_key_implILNS1_25lookback_scan_determinismE0ELb0ES3_N6thrust23THRUST_200600_302600_NS6detail15normal_iteratorINS9_10device_ptrIiEEEENSB_INSC_IfEEEESG_fNS9_4plusIvEENS9_8equal_toIvEEfEE10hipError_tPvRmT2_T3_T4_T5_mT6_T7_P12ihipStream_tbENKUlT_T0_E_clISt17integral_constantIbLb0EES11_EEDaSW_SX_EUlSW_E_NS1_11comp_targetILNS1_3genE2ELNS1_11target_archE906ELNS1_3gpuE6ELNS1_3repE0EEENS1_30default_config_static_selectorELNS0_4arch9wavefront6targetE0EEEvT1_ ; -- Begin function _ZN7rocprim17ROCPRIM_400000_NS6detail17trampoline_kernelINS0_14default_configENS1_27scan_by_key_config_selectorIifEEZZNS1_16scan_by_key_implILNS1_25lookback_scan_determinismE0ELb0ES3_N6thrust23THRUST_200600_302600_NS6detail15normal_iteratorINS9_10device_ptrIiEEEENSB_INSC_IfEEEESG_fNS9_4plusIvEENS9_8equal_toIvEEfEE10hipError_tPvRmT2_T3_T4_T5_mT6_T7_P12ihipStream_tbENKUlT_T0_E_clISt17integral_constantIbLb0EES11_EEDaSW_SX_EUlSW_E_NS1_11comp_targetILNS1_3genE2ELNS1_11target_archE906ELNS1_3gpuE6ELNS1_3repE0EEENS1_30default_config_static_selectorELNS0_4arch9wavefront6targetE0EEEvT1_
	.globl	_ZN7rocprim17ROCPRIM_400000_NS6detail17trampoline_kernelINS0_14default_configENS1_27scan_by_key_config_selectorIifEEZZNS1_16scan_by_key_implILNS1_25lookback_scan_determinismE0ELb0ES3_N6thrust23THRUST_200600_302600_NS6detail15normal_iteratorINS9_10device_ptrIiEEEENSB_INSC_IfEEEESG_fNS9_4plusIvEENS9_8equal_toIvEEfEE10hipError_tPvRmT2_T3_T4_T5_mT6_T7_P12ihipStream_tbENKUlT_T0_E_clISt17integral_constantIbLb0EES11_EEDaSW_SX_EUlSW_E_NS1_11comp_targetILNS1_3genE2ELNS1_11target_archE906ELNS1_3gpuE6ELNS1_3repE0EEENS1_30default_config_static_selectorELNS0_4arch9wavefront6targetE0EEEvT1_
	.p2align	8
	.type	_ZN7rocprim17ROCPRIM_400000_NS6detail17trampoline_kernelINS0_14default_configENS1_27scan_by_key_config_selectorIifEEZZNS1_16scan_by_key_implILNS1_25lookback_scan_determinismE0ELb0ES3_N6thrust23THRUST_200600_302600_NS6detail15normal_iteratorINS9_10device_ptrIiEEEENSB_INSC_IfEEEESG_fNS9_4plusIvEENS9_8equal_toIvEEfEE10hipError_tPvRmT2_T3_T4_T5_mT6_T7_P12ihipStream_tbENKUlT_T0_E_clISt17integral_constantIbLb0EES11_EEDaSW_SX_EUlSW_E_NS1_11comp_targetILNS1_3genE2ELNS1_11target_archE906ELNS1_3gpuE6ELNS1_3repE0EEENS1_30default_config_static_selectorELNS0_4arch9wavefront6targetE0EEEvT1_,@function
_ZN7rocprim17ROCPRIM_400000_NS6detail17trampoline_kernelINS0_14default_configENS1_27scan_by_key_config_selectorIifEEZZNS1_16scan_by_key_implILNS1_25lookback_scan_determinismE0ELb0ES3_N6thrust23THRUST_200600_302600_NS6detail15normal_iteratorINS9_10device_ptrIiEEEENSB_INSC_IfEEEESG_fNS9_4plusIvEENS9_8equal_toIvEEfEE10hipError_tPvRmT2_T3_T4_T5_mT6_T7_P12ihipStream_tbENKUlT_T0_E_clISt17integral_constantIbLb0EES11_EEDaSW_SX_EUlSW_E_NS1_11comp_targetILNS1_3genE2ELNS1_11target_archE906ELNS1_3gpuE6ELNS1_3repE0EEENS1_30default_config_static_selectorELNS0_4arch9wavefront6targetE0EEEvT1_: ; @_ZN7rocprim17ROCPRIM_400000_NS6detail17trampoline_kernelINS0_14default_configENS1_27scan_by_key_config_selectorIifEEZZNS1_16scan_by_key_implILNS1_25lookback_scan_determinismE0ELb0ES3_N6thrust23THRUST_200600_302600_NS6detail15normal_iteratorINS9_10device_ptrIiEEEENSB_INSC_IfEEEESG_fNS9_4plusIvEENS9_8equal_toIvEEfEE10hipError_tPvRmT2_T3_T4_T5_mT6_T7_P12ihipStream_tbENKUlT_T0_E_clISt17integral_constantIbLb0EES11_EEDaSW_SX_EUlSW_E_NS1_11comp_targetILNS1_3genE2ELNS1_11target_archE906ELNS1_3gpuE6ELNS1_3repE0EEENS1_30default_config_static_selectorELNS0_4arch9wavefront6targetE0EEEvT1_
; %bb.0:
	.section	.rodata,"a",@progbits
	.p2align	6, 0x0
	.amdhsa_kernel _ZN7rocprim17ROCPRIM_400000_NS6detail17trampoline_kernelINS0_14default_configENS1_27scan_by_key_config_selectorIifEEZZNS1_16scan_by_key_implILNS1_25lookback_scan_determinismE0ELb0ES3_N6thrust23THRUST_200600_302600_NS6detail15normal_iteratorINS9_10device_ptrIiEEEENSB_INSC_IfEEEESG_fNS9_4plusIvEENS9_8equal_toIvEEfEE10hipError_tPvRmT2_T3_T4_T5_mT6_T7_P12ihipStream_tbENKUlT_T0_E_clISt17integral_constantIbLb0EES11_EEDaSW_SX_EUlSW_E_NS1_11comp_targetILNS1_3genE2ELNS1_11target_archE906ELNS1_3gpuE6ELNS1_3repE0EEENS1_30default_config_static_selectorELNS0_4arch9wavefront6targetE0EEEvT1_
		.amdhsa_group_segment_fixed_size 0
		.amdhsa_private_segment_fixed_size 0
		.amdhsa_kernarg_size 112
		.amdhsa_user_sgpr_count 2
		.amdhsa_user_sgpr_dispatch_ptr 0
		.amdhsa_user_sgpr_queue_ptr 0
		.amdhsa_user_sgpr_kernarg_segment_ptr 1
		.amdhsa_user_sgpr_dispatch_id 0
		.amdhsa_user_sgpr_kernarg_preload_length 0
		.amdhsa_user_sgpr_kernarg_preload_offset 0
		.amdhsa_user_sgpr_private_segment_size 0
		.amdhsa_wavefront_size32 1
		.amdhsa_uses_dynamic_stack 0
		.amdhsa_enable_private_segment 0
		.amdhsa_system_sgpr_workgroup_id_x 1
		.amdhsa_system_sgpr_workgroup_id_y 0
		.amdhsa_system_sgpr_workgroup_id_z 0
		.amdhsa_system_sgpr_workgroup_info 0
		.amdhsa_system_vgpr_workitem_id 0
		.amdhsa_next_free_vgpr 1
		.amdhsa_next_free_sgpr 1
		.amdhsa_named_barrier_count 0
		.amdhsa_reserve_vcc 0
		.amdhsa_float_round_mode_32 0
		.amdhsa_float_round_mode_16_64 0
		.amdhsa_float_denorm_mode_32 3
		.amdhsa_float_denorm_mode_16_64 3
		.amdhsa_fp16_overflow 0
		.amdhsa_memory_ordered 1
		.amdhsa_forward_progress 1
		.amdhsa_inst_pref_size 0
		.amdhsa_round_robin_scheduling 0
		.amdhsa_exception_fp_ieee_invalid_op 0
		.amdhsa_exception_fp_denorm_src 0
		.amdhsa_exception_fp_ieee_div_zero 0
		.amdhsa_exception_fp_ieee_overflow 0
		.amdhsa_exception_fp_ieee_underflow 0
		.amdhsa_exception_fp_ieee_inexact 0
		.amdhsa_exception_int_div_zero 0
	.end_amdhsa_kernel
	.section	.text._ZN7rocprim17ROCPRIM_400000_NS6detail17trampoline_kernelINS0_14default_configENS1_27scan_by_key_config_selectorIifEEZZNS1_16scan_by_key_implILNS1_25lookback_scan_determinismE0ELb0ES3_N6thrust23THRUST_200600_302600_NS6detail15normal_iteratorINS9_10device_ptrIiEEEENSB_INSC_IfEEEESG_fNS9_4plusIvEENS9_8equal_toIvEEfEE10hipError_tPvRmT2_T3_T4_T5_mT6_T7_P12ihipStream_tbENKUlT_T0_E_clISt17integral_constantIbLb0EES11_EEDaSW_SX_EUlSW_E_NS1_11comp_targetILNS1_3genE2ELNS1_11target_archE906ELNS1_3gpuE6ELNS1_3repE0EEENS1_30default_config_static_selectorELNS0_4arch9wavefront6targetE0EEEvT1_,"axG",@progbits,_ZN7rocprim17ROCPRIM_400000_NS6detail17trampoline_kernelINS0_14default_configENS1_27scan_by_key_config_selectorIifEEZZNS1_16scan_by_key_implILNS1_25lookback_scan_determinismE0ELb0ES3_N6thrust23THRUST_200600_302600_NS6detail15normal_iteratorINS9_10device_ptrIiEEEENSB_INSC_IfEEEESG_fNS9_4plusIvEENS9_8equal_toIvEEfEE10hipError_tPvRmT2_T3_T4_T5_mT6_T7_P12ihipStream_tbENKUlT_T0_E_clISt17integral_constantIbLb0EES11_EEDaSW_SX_EUlSW_E_NS1_11comp_targetILNS1_3genE2ELNS1_11target_archE906ELNS1_3gpuE6ELNS1_3repE0EEENS1_30default_config_static_selectorELNS0_4arch9wavefront6targetE0EEEvT1_,comdat
.Lfunc_end1135:
	.size	_ZN7rocprim17ROCPRIM_400000_NS6detail17trampoline_kernelINS0_14default_configENS1_27scan_by_key_config_selectorIifEEZZNS1_16scan_by_key_implILNS1_25lookback_scan_determinismE0ELb0ES3_N6thrust23THRUST_200600_302600_NS6detail15normal_iteratorINS9_10device_ptrIiEEEENSB_INSC_IfEEEESG_fNS9_4plusIvEENS9_8equal_toIvEEfEE10hipError_tPvRmT2_T3_T4_T5_mT6_T7_P12ihipStream_tbENKUlT_T0_E_clISt17integral_constantIbLb0EES11_EEDaSW_SX_EUlSW_E_NS1_11comp_targetILNS1_3genE2ELNS1_11target_archE906ELNS1_3gpuE6ELNS1_3repE0EEENS1_30default_config_static_selectorELNS0_4arch9wavefront6targetE0EEEvT1_, .Lfunc_end1135-_ZN7rocprim17ROCPRIM_400000_NS6detail17trampoline_kernelINS0_14default_configENS1_27scan_by_key_config_selectorIifEEZZNS1_16scan_by_key_implILNS1_25lookback_scan_determinismE0ELb0ES3_N6thrust23THRUST_200600_302600_NS6detail15normal_iteratorINS9_10device_ptrIiEEEENSB_INSC_IfEEEESG_fNS9_4plusIvEENS9_8equal_toIvEEfEE10hipError_tPvRmT2_T3_T4_T5_mT6_T7_P12ihipStream_tbENKUlT_T0_E_clISt17integral_constantIbLb0EES11_EEDaSW_SX_EUlSW_E_NS1_11comp_targetILNS1_3genE2ELNS1_11target_archE906ELNS1_3gpuE6ELNS1_3repE0EEENS1_30default_config_static_selectorELNS0_4arch9wavefront6targetE0EEEvT1_
                                        ; -- End function
	.set _ZN7rocprim17ROCPRIM_400000_NS6detail17trampoline_kernelINS0_14default_configENS1_27scan_by_key_config_selectorIifEEZZNS1_16scan_by_key_implILNS1_25lookback_scan_determinismE0ELb0ES3_N6thrust23THRUST_200600_302600_NS6detail15normal_iteratorINS9_10device_ptrIiEEEENSB_INSC_IfEEEESG_fNS9_4plusIvEENS9_8equal_toIvEEfEE10hipError_tPvRmT2_T3_T4_T5_mT6_T7_P12ihipStream_tbENKUlT_T0_E_clISt17integral_constantIbLb0EES11_EEDaSW_SX_EUlSW_E_NS1_11comp_targetILNS1_3genE2ELNS1_11target_archE906ELNS1_3gpuE6ELNS1_3repE0EEENS1_30default_config_static_selectorELNS0_4arch9wavefront6targetE0EEEvT1_.num_vgpr, 0
	.set _ZN7rocprim17ROCPRIM_400000_NS6detail17trampoline_kernelINS0_14default_configENS1_27scan_by_key_config_selectorIifEEZZNS1_16scan_by_key_implILNS1_25lookback_scan_determinismE0ELb0ES3_N6thrust23THRUST_200600_302600_NS6detail15normal_iteratorINS9_10device_ptrIiEEEENSB_INSC_IfEEEESG_fNS9_4plusIvEENS9_8equal_toIvEEfEE10hipError_tPvRmT2_T3_T4_T5_mT6_T7_P12ihipStream_tbENKUlT_T0_E_clISt17integral_constantIbLb0EES11_EEDaSW_SX_EUlSW_E_NS1_11comp_targetILNS1_3genE2ELNS1_11target_archE906ELNS1_3gpuE6ELNS1_3repE0EEENS1_30default_config_static_selectorELNS0_4arch9wavefront6targetE0EEEvT1_.num_agpr, 0
	.set _ZN7rocprim17ROCPRIM_400000_NS6detail17trampoline_kernelINS0_14default_configENS1_27scan_by_key_config_selectorIifEEZZNS1_16scan_by_key_implILNS1_25lookback_scan_determinismE0ELb0ES3_N6thrust23THRUST_200600_302600_NS6detail15normal_iteratorINS9_10device_ptrIiEEEENSB_INSC_IfEEEESG_fNS9_4plusIvEENS9_8equal_toIvEEfEE10hipError_tPvRmT2_T3_T4_T5_mT6_T7_P12ihipStream_tbENKUlT_T0_E_clISt17integral_constantIbLb0EES11_EEDaSW_SX_EUlSW_E_NS1_11comp_targetILNS1_3genE2ELNS1_11target_archE906ELNS1_3gpuE6ELNS1_3repE0EEENS1_30default_config_static_selectorELNS0_4arch9wavefront6targetE0EEEvT1_.numbered_sgpr, 0
	.set _ZN7rocprim17ROCPRIM_400000_NS6detail17trampoline_kernelINS0_14default_configENS1_27scan_by_key_config_selectorIifEEZZNS1_16scan_by_key_implILNS1_25lookback_scan_determinismE0ELb0ES3_N6thrust23THRUST_200600_302600_NS6detail15normal_iteratorINS9_10device_ptrIiEEEENSB_INSC_IfEEEESG_fNS9_4plusIvEENS9_8equal_toIvEEfEE10hipError_tPvRmT2_T3_T4_T5_mT6_T7_P12ihipStream_tbENKUlT_T0_E_clISt17integral_constantIbLb0EES11_EEDaSW_SX_EUlSW_E_NS1_11comp_targetILNS1_3genE2ELNS1_11target_archE906ELNS1_3gpuE6ELNS1_3repE0EEENS1_30default_config_static_selectorELNS0_4arch9wavefront6targetE0EEEvT1_.num_named_barrier, 0
	.set _ZN7rocprim17ROCPRIM_400000_NS6detail17trampoline_kernelINS0_14default_configENS1_27scan_by_key_config_selectorIifEEZZNS1_16scan_by_key_implILNS1_25lookback_scan_determinismE0ELb0ES3_N6thrust23THRUST_200600_302600_NS6detail15normal_iteratorINS9_10device_ptrIiEEEENSB_INSC_IfEEEESG_fNS9_4plusIvEENS9_8equal_toIvEEfEE10hipError_tPvRmT2_T3_T4_T5_mT6_T7_P12ihipStream_tbENKUlT_T0_E_clISt17integral_constantIbLb0EES11_EEDaSW_SX_EUlSW_E_NS1_11comp_targetILNS1_3genE2ELNS1_11target_archE906ELNS1_3gpuE6ELNS1_3repE0EEENS1_30default_config_static_selectorELNS0_4arch9wavefront6targetE0EEEvT1_.private_seg_size, 0
	.set _ZN7rocprim17ROCPRIM_400000_NS6detail17trampoline_kernelINS0_14default_configENS1_27scan_by_key_config_selectorIifEEZZNS1_16scan_by_key_implILNS1_25lookback_scan_determinismE0ELb0ES3_N6thrust23THRUST_200600_302600_NS6detail15normal_iteratorINS9_10device_ptrIiEEEENSB_INSC_IfEEEESG_fNS9_4plusIvEENS9_8equal_toIvEEfEE10hipError_tPvRmT2_T3_T4_T5_mT6_T7_P12ihipStream_tbENKUlT_T0_E_clISt17integral_constantIbLb0EES11_EEDaSW_SX_EUlSW_E_NS1_11comp_targetILNS1_3genE2ELNS1_11target_archE906ELNS1_3gpuE6ELNS1_3repE0EEENS1_30default_config_static_selectorELNS0_4arch9wavefront6targetE0EEEvT1_.uses_vcc, 0
	.set _ZN7rocprim17ROCPRIM_400000_NS6detail17trampoline_kernelINS0_14default_configENS1_27scan_by_key_config_selectorIifEEZZNS1_16scan_by_key_implILNS1_25lookback_scan_determinismE0ELb0ES3_N6thrust23THRUST_200600_302600_NS6detail15normal_iteratorINS9_10device_ptrIiEEEENSB_INSC_IfEEEESG_fNS9_4plusIvEENS9_8equal_toIvEEfEE10hipError_tPvRmT2_T3_T4_T5_mT6_T7_P12ihipStream_tbENKUlT_T0_E_clISt17integral_constantIbLb0EES11_EEDaSW_SX_EUlSW_E_NS1_11comp_targetILNS1_3genE2ELNS1_11target_archE906ELNS1_3gpuE6ELNS1_3repE0EEENS1_30default_config_static_selectorELNS0_4arch9wavefront6targetE0EEEvT1_.uses_flat_scratch, 0
	.set _ZN7rocprim17ROCPRIM_400000_NS6detail17trampoline_kernelINS0_14default_configENS1_27scan_by_key_config_selectorIifEEZZNS1_16scan_by_key_implILNS1_25lookback_scan_determinismE0ELb0ES3_N6thrust23THRUST_200600_302600_NS6detail15normal_iteratorINS9_10device_ptrIiEEEENSB_INSC_IfEEEESG_fNS9_4plusIvEENS9_8equal_toIvEEfEE10hipError_tPvRmT2_T3_T4_T5_mT6_T7_P12ihipStream_tbENKUlT_T0_E_clISt17integral_constantIbLb0EES11_EEDaSW_SX_EUlSW_E_NS1_11comp_targetILNS1_3genE2ELNS1_11target_archE906ELNS1_3gpuE6ELNS1_3repE0EEENS1_30default_config_static_selectorELNS0_4arch9wavefront6targetE0EEEvT1_.has_dyn_sized_stack, 0
	.set _ZN7rocprim17ROCPRIM_400000_NS6detail17trampoline_kernelINS0_14default_configENS1_27scan_by_key_config_selectorIifEEZZNS1_16scan_by_key_implILNS1_25lookback_scan_determinismE0ELb0ES3_N6thrust23THRUST_200600_302600_NS6detail15normal_iteratorINS9_10device_ptrIiEEEENSB_INSC_IfEEEESG_fNS9_4plusIvEENS9_8equal_toIvEEfEE10hipError_tPvRmT2_T3_T4_T5_mT6_T7_P12ihipStream_tbENKUlT_T0_E_clISt17integral_constantIbLb0EES11_EEDaSW_SX_EUlSW_E_NS1_11comp_targetILNS1_3genE2ELNS1_11target_archE906ELNS1_3gpuE6ELNS1_3repE0EEENS1_30default_config_static_selectorELNS0_4arch9wavefront6targetE0EEEvT1_.has_recursion, 0
	.set _ZN7rocprim17ROCPRIM_400000_NS6detail17trampoline_kernelINS0_14default_configENS1_27scan_by_key_config_selectorIifEEZZNS1_16scan_by_key_implILNS1_25lookback_scan_determinismE0ELb0ES3_N6thrust23THRUST_200600_302600_NS6detail15normal_iteratorINS9_10device_ptrIiEEEENSB_INSC_IfEEEESG_fNS9_4plusIvEENS9_8equal_toIvEEfEE10hipError_tPvRmT2_T3_T4_T5_mT6_T7_P12ihipStream_tbENKUlT_T0_E_clISt17integral_constantIbLb0EES11_EEDaSW_SX_EUlSW_E_NS1_11comp_targetILNS1_3genE2ELNS1_11target_archE906ELNS1_3gpuE6ELNS1_3repE0EEENS1_30default_config_static_selectorELNS0_4arch9wavefront6targetE0EEEvT1_.has_indirect_call, 0
	.section	.AMDGPU.csdata,"",@progbits
; Kernel info:
; codeLenInByte = 0
; TotalNumSgprs: 0
; NumVgprs: 0
; ScratchSize: 0
; MemoryBound: 0
; FloatMode: 240
; IeeeMode: 1
; LDSByteSize: 0 bytes/workgroup (compile time only)
; SGPRBlocks: 0
; VGPRBlocks: 0
; NumSGPRsForWavesPerEU: 1
; NumVGPRsForWavesPerEU: 1
; NamedBarCnt: 0
; Occupancy: 16
; WaveLimiterHint : 0
; COMPUTE_PGM_RSRC2:SCRATCH_EN: 0
; COMPUTE_PGM_RSRC2:USER_SGPR: 2
; COMPUTE_PGM_RSRC2:TRAP_HANDLER: 0
; COMPUTE_PGM_RSRC2:TGID_X_EN: 1
; COMPUTE_PGM_RSRC2:TGID_Y_EN: 0
; COMPUTE_PGM_RSRC2:TGID_Z_EN: 0
; COMPUTE_PGM_RSRC2:TIDIG_COMP_CNT: 0
	.section	.text._ZN7rocprim17ROCPRIM_400000_NS6detail17trampoline_kernelINS0_14default_configENS1_27scan_by_key_config_selectorIifEEZZNS1_16scan_by_key_implILNS1_25lookback_scan_determinismE0ELb0ES3_N6thrust23THRUST_200600_302600_NS6detail15normal_iteratorINS9_10device_ptrIiEEEENSB_INSC_IfEEEESG_fNS9_4plusIvEENS9_8equal_toIvEEfEE10hipError_tPvRmT2_T3_T4_T5_mT6_T7_P12ihipStream_tbENKUlT_T0_E_clISt17integral_constantIbLb0EES11_EEDaSW_SX_EUlSW_E_NS1_11comp_targetILNS1_3genE10ELNS1_11target_archE1200ELNS1_3gpuE4ELNS1_3repE0EEENS1_30default_config_static_selectorELNS0_4arch9wavefront6targetE0EEEvT1_,"axG",@progbits,_ZN7rocprim17ROCPRIM_400000_NS6detail17trampoline_kernelINS0_14default_configENS1_27scan_by_key_config_selectorIifEEZZNS1_16scan_by_key_implILNS1_25lookback_scan_determinismE0ELb0ES3_N6thrust23THRUST_200600_302600_NS6detail15normal_iteratorINS9_10device_ptrIiEEEENSB_INSC_IfEEEESG_fNS9_4plusIvEENS9_8equal_toIvEEfEE10hipError_tPvRmT2_T3_T4_T5_mT6_T7_P12ihipStream_tbENKUlT_T0_E_clISt17integral_constantIbLb0EES11_EEDaSW_SX_EUlSW_E_NS1_11comp_targetILNS1_3genE10ELNS1_11target_archE1200ELNS1_3gpuE4ELNS1_3repE0EEENS1_30default_config_static_selectorELNS0_4arch9wavefront6targetE0EEEvT1_,comdat
	.protected	_ZN7rocprim17ROCPRIM_400000_NS6detail17trampoline_kernelINS0_14default_configENS1_27scan_by_key_config_selectorIifEEZZNS1_16scan_by_key_implILNS1_25lookback_scan_determinismE0ELb0ES3_N6thrust23THRUST_200600_302600_NS6detail15normal_iteratorINS9_10device_ptrIiEEEENSB_INSC_IfEEEESG_fNS9_4plusIvEENS9_8equal_toIvEEfEE10hipError_tPvRmT2_T3_T4_T5_mT6_T7_P12ihipStream_tbENKUlT_T0_E_clISt17integral_constantIbLb0EES11_EEDaSW_SX_EUlSW_E_NS1_11comp_targetILNS1_3genE10ELNS1_11target_archE1200ELNS1_3gpuE4ELNS1_3repE0EEENS1_30default_config_static_selectorELNS0_4arch9wavefront6targetE0EEEvT1_ ; -- Begin function _ZN7rocprim17ROCPRIM_400000_NS6detail17trampoline_kernelINS0_14default_configENS1_27scan_by_key_config_selectorIifEEZZNS1_16scan_by_key_implILNS1_25lookback_scan_determinismE0ELb0ES3_N6thrust23THRUST_200600_302600_NS6detail15normal_iteratorINS9_10device_ptrIiEEEENSB_INSC_IfEEEESG_fNS9_4plusIvEENS9_8equal_toIvEEfEE10hipError_tPvRmT2_T3_T4_T5_mT6_T7_P12ihipStream_tbENKUlT_T0_E_clISt17integral_constantIbLb0EES11_EEDaSW_SX_EUlSW_E_NS1_11comp_targetILNS1_3genE10ELNS1_11target_archE1200ELNS1_3gpuE4ELNS1_3repE0EEENS1_30default_config_static_selectorELNS0_4arch9wavefront6targetE0EEEvT1_
	.globl	_ZN7rocprim17ROCPRIM_400000_NS6detail17trampoline_kernelINS0_14default_configENS1_27scan_by_key_config_selectorIifEEZZNS1_16scan_by_key_implILNS1_25lookback_scan_determinismE0ELb0ES3_N6thrust23THRUST_200600_302600_NS6detail15normal_iteratorINS9_10device_ptrIiEEEENSB_INSC_IfEEEESG_fNS9_4plusIvEENS9_8equal_toIvEEfEE10hipError_tPvRmT2_T3_T4_T5_mT6_T7_P12ihipStream_tbENKUlT_T0_E_clISt17integral_constantIbLb0EES11_EEDaSW_SX_EUlSW_E_NS1_11comp_targetILNS1_3genE10ELNS1_11target_archE1200ELNS1_3gpuE4ELNS1_3repE0EEENS1_30default_config_static_selectorELNS0_4arch9wavefront6targetE0EEEvT1_
	.p2align	8
	.type	_ZN7rocprim17ROCPRIM_400000_NS6detail17trampoline_kernelINS0_14default_configENS1_27scan_by_key_config_selectorIifEEZZNS1_16scan_by_key_implILNS1_25lookback_scan_determinismE0ELb0ES3_N6thrust23THRUST_200600_302600_NS6detail15normal_iteratorINS9_10device_ptrIiEEEENSB_INSC_IfEEEESG_fNS9_4plusIvEENS9_8equal_toIvEEfEE10hipError_tPvRmT2_T3_T4_T5_mT6_T7_P12ihipStream_tbENKUlT_T0_E_clISt17integral_constantIbLb0EES11_EEDaSW_SX_EUlSW_E_NS1_11comp_targetILNS1_3genE10ELNS1_11target_archE1200ELNS1_3gpuE4ELNS1_3repE0EEENS1_30default_config_static_selectorELNS0_4arch9wavefront6targetE0EEEvT1_,@function
_ZN7rocprim17ROCPRIM_400000_NS6detail17trampoline_kernelINS0_14default_configENS1_27scan_by_key_config_selectorIifEEZZNS1_16scan_by_key_implILNS1_25lookback_scan_determinismE0ELb0ES3_N6thrust23THRUST_200600_302600_NS6detail15normal_iteratorINS9_10device_ptrIiEEEENSB_INSC_IfEEEESG_fNS9_4plusIvEENS9_8equal_toIvEEfEE10hipError_tPvRmT2_T3_T4_T5_mT6_T7_P12ihipStream_tbENKUlT_T0_E_clISt17integral_constantIbLb0EES11_EEDaSW_SX_EUlSW_E_NS1_11comp_targetILNS1_3genE10ELNS1_11target_archE1200ELNS1_3gpuE4ELNS1_3repE0EEENS1_30default_config_static_selectorELNS0_4arch9wavefront6targetE0EEEvT1_: ; @_ZN7rocprim17ROCPRIM_400000_NS6detail17trampoline_kernelINS0_14default_configENS1_27scan_by_key_config_selectorIifEEZZNS1_16scan_by_key_implILNS1_25lookback_scan_determinismE0ELb0ES3_N6thrust23THRUST_200600_302600_NS6detail15normal_iteratorINS9_10device_ptrIiEEEENSB_INSC_IfEEEESG_fNS9_4plusIvEENS9_8equal_toIvEEfEE10hipError_tPvRmT2_T3_T4_T5_mT6_T7_P12ihipStream_tbENKUlT_T0_E_clISt17integral_constantIbLb0EES11_EEDaSW_SX_EUlSW_E_NS1_11comp_targetILNS1_3genE10ELNS1_11target_archE1200ELNS1_3gpuE4ELNS1_3repE0EEENS1_30default_config_static_selectorELNS0_4arch9wavefront6targetE0EEEvT1_
; %bb.0:
	.section	.rodata,"a",@progbits
	.p2align	6, 0x0
	.amdhsa_kernel _ZN7rocprim17ROCPRIM_400000_NS6detail17trampoline_kernelINS0_14default_configENS1_27scan_by_key_config_selectorIifEEZZNS1_16scan_by_key_implILNS1_25lookback_scan_determinismE0ELb0ES3_N6thrust23THRUST_200600_302600_NS6detail15normal_iteratorINS9_10device_ptrIiEEEENSB_INSC_IfEEEESG_fNS9_4plusIvEENS9_8equal_toIvEEfEE10hipError_tPvRmT2_T3_T4_T5_mT6_T7_P12ihipStream_tbENKUlT_T0_E_clISt17integral_constantIbLb0EES11_EEDaSW_SX_EUlSW_E_NS1_11comp_targetILNS1_3genE10ELNS1_11target_archE1200ELNS1_3gpuE4ELNS1_3repE0EEENS1_30default_config_static_selectorELNS0_4arch9wavefront6targetE0EEEvT1_
		.amdhsa_group_segment_fixed_size 0
		.amdhsa_private_segment_fixed_size 0
		.amdhsa_kernarg_size 112
		.amdhsa_user_sgpr_count 2
		.amdhsa_user_sgpr_dispatch_ptr 0
		.amdhsa_user_sgpr_queue_ptr 0
		.amdhsa_user_sgpr_kernarg_segment_ptr 1
		.amdhsa_user_sgpr_dispatch_id 0
		.amdhsa_user_sgpr_kernarg_preload_length 0
		.amdhsa_user_sgpr_kernarg_preload_offset 0
		.amdhsa_user_sgpr_private_segment_size 0
		.amdhsa_wavefront_size32 1
		.amdhsa_uses_dynamic_stack 0
		.amdhsa_enable_private_segment 0
		.amdhsa_system_sgpr_workgroup_id_x 1
		.amdhsa_system_sgpr_workgroup_id_y 0
		.amdhsa_system_sgpr_workgroup_id_z 0
		.amdhsa_system_sgpr_workgroup_info 0
		.amdhsa_system_vgpr_workitem_id 0
		.amdhsa_next_free_vgpr 1
		.amdhsa_next_free_sgpr 1
		.amdhsa_named_barrier_count 0
		.amdhsa_reserve_vcc 0
		.amdhsa_float_round_mode_32 0
		.amdhsa_float_round_mode_16_64 0
		.amdhsa_float_denorm_mode_32 3
		.amdhsa_float_denorm_mode_16_64 3
		.amdhsa_fp16_overflow 0
		.amdhsa_memory_ordered 1
		.amdhsa_forward_progress 1
		.amdhsa_inst_pref_size 0
		.amdhsa_round_robin_scheduling 0
		.amdhsa_exception_fp_ieee_invalid_op 0
		.amdhsa_exception_fp_denorm_src 0
		.amdhsa_exception_fp_ieee_div_zero 0
		.amdhsa_exception_fp_ieee_overflow 0
		.amdhsa_exception_fp_ieee_underflow 0
		.amdhsa_exception_fp_ieee_inexact 0
		.amdhsa_exception_int_div_zero 0
	.end_amdhsa_kernel
	.section	.text._ZN7rocprim17ROCPRIM_400000_NS6detail17trampoline_kernelINS0_14default_configENS1_27scan_by_key_config_selectorIifEEZZNS1_16scan_by_key_implILNS1_25lookback_scan_determinismE0ELb0ES3_N6thrust23THRUST_200600_302600_NS6detail15normal_iteratorINS9_10device_ptrIiEEEENSB_INSC_IfEEEESG_fNS9_4plusIvEENS9_8equal_toIvEEfEE10hipError_tPvRmT2_T3_T4_T5_mT6_T7_P12ihipStream_tbENKUlT_T0_E_clISt17integral_constantIbLb0EES11_EEDaSW_SX_EUlSW_E_NS1_11comp_targetILNS1_3genE10ELNS1_11target_archE1200ELNS1_3gpuE4ELNS1_3repE0EEENS1_30default_config_static_selectorELNS0_4arch9wavefront6targetE0EEEvT1_,"axG",@progbits,_ZN7rocprim17ROCPRIM_400000_NS6detail17trampoline_kernelINS0_14default_configENS1_27scan_by_key_config_selectorIifEEZZNS1_16scan_by_key_implILNS1_25lookback_scan_determinismE0ELb0ES3_N6thrust23THRUST_200600_302600_NS6detail15normal_iteratorINS9_10device_ptrIiEEEENSB_INSC_IfEEEESG_fNS9_4plusIvEENS9_8equal_toIvEEfEE10hipError_tPvRmT2_T3_T4_T5_mT6_T7_P12ihipStream_tbENKUlT_T0_E_clISt17integral_constantIbLb0EES11_EEDaSW_SX_EUlSW_E_NS1_11comp_targetILNS1_3genE10ELNS1_11target_archE1200ELNS1_3gpuE4ELNS1_3repE0EEENS1_30default_config_static_selectorELNS0_4arch9wavefront6targetE0EEEvT1_,comdat
.Lfunc_end1136:
	.size	_ZN7rocprim17ROCPRIM_400000_NS6detail17trampoline_kernelINS0_14default_configENS1_27scan_by_key_config_selectorIifEEZZNS1_16scan_by_key_implILNS1_25lookback_scan_determinismE0ELb0ES3_N6thrust23THRUST_200600_302600_NS6detail15normal_iteratorINS9_10device_ptrIiEEEENSB_INSC_IfEEEESG_fNS9_4plusIvEENS9_8equal_toIvEEfEE10hipError_tPvRmT2_T3_T4_T5_mT6_T7_P12ihipStream_tbENKUlT_T0_E_clISt17integral_constantIbLb0EES11_EEDaSW_SX_EUlSW_E_NS1_11comp_targetILNS1_3genE10ELNS1_11target_archE1200ELNS1_3gpuE4ELNS1_3repE0EEENS1_30default_config_static_selectorELNS0_4arch9wavefront6targetE0EEEvT1_, .Lfunc_end1136-_ZN7rocprim17ROCPRIM_400000_NS6detail17trampoline_kernelINS0_14default_configENS1_27scan_by_key_config_selectorIifEEZZNS1_16scan_by_key_implILNS1_25lookback_scan_determinismE0ELb0ES3_N6thrust23THRUST_200600_302600_NS6detail15normal_iteratorINS9_10device_ptrIiEEEENSB_INSC_IfEEEESG_fNS9_4plusIvEENS9_8equal_toIvEEfEE10hipError_tPvRmT2_T3_T4_T5_mT6_T7_P12ihipStream_tbENKUlT_T0_E_clISt17integral_constantIbLb0EES11_EEDaSW_SX_EUlSW_E_NS1_11comp_targetILNS1_3genE10ELNS1_11target_archE1200ELNS1_3gpuE4ELNS1_3repE0EEENS1_30default_config_static_selectorELNS0_4arch9wavefront6targetE0EEEvT1_
                                        ; -- End function
	.set _ZN7rocprim17ROCPRIM_400000_NS6detail17trampoline_kernelINS0_14default_configENS1_27scan_by_key_config_selectorIifEEZZNS1_16scan_by_key_implILNS1_25lookback_scan_determinismE0ELb0ES3_N6thrust23THRUST_200600_302600_NS6detail15normal_iteratorINS9_10device_ptrIiEEEENSB_INSC_IfEEEESG_fNS9_4plusIvEENS9_8equal_toIvEEfEE10hipError_tPvRmT2_T3_T4_T5_mT6_T7_P12ihipStream_tbENKUlT_T0_E_clISt17integral_constantIbLb0EES11_EEDaSW_SX_EUlSW_E_NS1_11comp_targetILNS1_3genE10ELNS1_11target_archE1200ELNS1_3gpuE4ELNS1_3repE0EEENS1_30default_config_static_selectorELNS0_4arch9wavefront6targetE0EEEvT1_.num_vgpr, 0
	.set _ZN7rocprim17ROCPRIM_400000_NS6detail17trampoline_kernelINS0_14default_configENS1_27scan_by_key_config_selectorIifEEZZNS1_16scan_by_key_implILNS1_25lookback_scan_determinismE0ELb0ES3_N6thrust23THRUST_200600_302600_NS6detail15normal_iteratorINS9_10device_ptrIiEEEENSB_INSC_IfEEEESG_fNS9_4plusIvEENS9_8equal_toIvEEfEE10hipError_tPvRmT2_T3_T4_T5_mT6_T7_P12ihipStream_tbENKUlT_T0_E_clISt17integral_constantIbLb0EES11_EEDaSW_SX_EUlSW_E_NS1_11comp_targetILNS1_3genE10ELNS1_11target_archE1200ELNS1_3gpuE4ELNS1_3repE0EEENS1_30default_config_static_selectorELNS0_4arch9wavefront6targetE0EEEvT1_.num_agpr, 0
	.set _ZN7rocprim17ROCPRIM_400000_NS6detail17trampoline_kernelINS0_14default_configENS1_27scan_by_key_config_selectorIifEEZZNS1_16scan_by_key_implILNS1_25lookback_scan_determinismE0ELb0ES3_N6thrust23THRUST_200600_302600_NS6detail15normal_iteratorINS9_10device_ptrIiEEEENSB_INSC_IfEEEESG_fNS9_4plusIvEENS9_8equal_toIvEEfEE10hipError_tPvRmT2_T3_T4_T5_mT6_T7_P12ihipStream_tbENKUlT_T0_E_clISt17integral_constantIbLb0EES11_EEDaSW_SX_EUlSW_E_NS1_11comp_targetILNS1_3genE10ELNS1_11target_archE1200ELNS1_3gpuE4ELNS1_3repE0EEENS1_30default_config_static_selectorELNS0_4arch9wavefront6targetE0EEEvT1_.numbered_sgpr, 0
	.set _ZN7rocprim17ROCPRIM_400000_NS6detail17trampoline_kernelINS0_14default_configENS1_27scan_by_key_config_selectorIifEEZZNS1_16scan_by_key_implILNS1_25lookback_scan_determinismE0ELb0ES3_N6thrust23THRUST_200600_302600_NS6detail15normal_iteratorINS9_10device_ptrIiEEEENSB_INSC_IfEEEESG_fNS9_4plusIvEENS9_8equal_toIvEEfEE10hipError_tPvRmT2_T3_T4_T5_mT6_T7_P12ihipStream_tbENKUlT_T0_E_clISt17integral_constantIbLb0EES11_EEDaSW_SX_EUlSW_E_NS1_11comp_targetILNS1_3genE10ELNS1_11target_archE1200ELNS1_3gpuE4ELNS1_3repE0EEENS1_30default_config_static_selectorELNS0_4arch9wavefront6targetE0EEEvT1_.num_named_barrier, 0
	.set _ZN7rocprim17ROCPRIM_400000_NS6detail17trampoline_kernelINS0_14default_configENS1_27scan_by_key_config_selectorIifEEZZNS1_16scan_by_key_implILNS1_25lookback_scan_determinismE0ELb0ES3_N6thrust23THRUST_200600_302600_NS6detail15normal_iteratorINS9_10device_ptrIiEEEENSB_INSC_IfEEEESG_fNS9_4plusIvEENS9_8equal_toIvEEfEE10hipError_tPvRmT2_T3_T4_T5_mT6_T7_P12ihipStream_tbENKUlT_T0_E_clISt17integral_constantIbLb0EES11_EEDaSW_SX_EUlSW_E_NS1_11comp_targetILNS1_3genE10ELNS1_11target_archE1200ELNS1_3gpuE4ELNS1_3repE0EEENS1_30default_config_static_selectorELNS0_4arch9wavefront6targetE0EEEvT1_.private_seg_size, 0
	.set _ZN7rocprim17ROCPRIM_400000_NS6detail17trampoline_kernelINS0_14default_configENS1_27scan_by_key_config_selectorIifEEZZNS1_16scan_by_key_implILNS1_25lookback_scan_determinismE0ELb0ES3_N6thrust23THRUST_200600_302600_NS6detail15normal_iteratorINS9_10device_ptrIiEEEENSB_INSC_IfEEEESG_fNS9_4plusIvEENS9_8equal_toIvEEfEE10hipError_tPvRmT2_T3_T4_T5_mT6_T7_P12ihipStream_tbENKUlT_T0_E_clISt17integral_constantIbLb0EES11_EEDaSW_SX_EUlSW_E_NS1_11comp_targetILNS1_3genE10ELNS1_11target_archE1200ELNS1_3gpuE4ELNS1_3repE0EEENS1_30default_config_static_selectorELNS0_4arch9wavefront6targetE0EEEvT1_.uses_vcc, 0
	.set _ZN7rocprim17ROCPRIM_400000_NS6detail17trampoline_kernelINS0_14default_configENS1_27scan_by_key_config_selectorIifEEZZNS1_16scan_by_key_implILNS1_25lookback_scan_determinismE0ELb0ES3_N6thrust23THRUST_200600_302600_NS6detail15normal_iteratorINS9_10device_ptrIiEEEENSB_INSC_IfEEEESG_fNS9_4plusIvEENS9_8equal_toIvEEfEE10hipError_tPvRmT2_T3_T4_T5_mT6_T7_P12ihipStream_tbENKUlT_T0_E_clISt17integral_constantIbLb0EES11_EEDaSW_SX_EUlSW_E_NS1_11comp_targetILNS1_3genE10ELNS1_11target_archE1200ELNS1_3gpuE4ELNS1_3repE0EEENS1_30default_config_static_selectorELNS0_4arch9wavefront6targetE0EEEvT1_.uses_flat_scratch, 0
	.set _ZN7rocprim17ROCPRIM_400000_NS6detail17trampoline_kernelINS0_14default_configENS1_27scan_by_key_config_selectorIifEEZZNS1_16scan_by_key_implILNS1_25lookback_scan_determinismE0ELb0ES3_N6thrust23THRUST_200600_302600_NS6detail15normal_iteratorINS9_10device_ptrIiEEEENSB_INSC_IfEEEESG_fNS9_4plusIvEENS9_8equal_toIvEEfEE10hipError_tPvRmT2_T3_T4_T5_mT6_T7_P12ihipStream_tbENKUlT_T0_E_clISt17integral_constantIbLb0EES11_EEDaSW_SX_EUlSW_E_NS1_11comp_targetILNS1_3genE10ELNS1_11target_archE1200ELNS1_3gpuE4ELNS1_3repE0EEENS1_30default_config_static_selectorELNS0_4arch9wavefront6targetE0EEEvT1_.has_dyn_sized_stack, 0
	.set _ZN7rocprim17ROCPRIM_400000_NS6detail17trampoline_kernelINS0_14default_configENS1_27scan_by_key_config_selectorIifEEZZNS1_16scan_by_key_implILNS1_25lookback_scan_determinismE0ELb0ES3_N6thrust23THRUST_200600_302600_NS6detail15normal_iteratorINS9_10device_ptrIiEEEENSB_INSC_IfEEEESG_fNS9_4plusIvEENS9_8equal_toIvEEfEE10hipError_tPvRmT2_T3_T4_T5_mT6_T7_P12ihipStream_tbENKUlT_T0_E_clISt17integral_constantIbLb0EES11_EEDaSW_SX_EUlSW_E_NS1_11comp_targetILNS1_3genE10ELNS1_11target_archE1200ELNS1_3gpuE4ELNS1_3repE0EEENS1_30default_config_static_selectorELNS0_4arch9wavefront6targetE0EEEvT1_.has_recursion, 0
	.set _ZN7rocprim17ROCPRIM_400000_NS6detail17trampoline_kernelINS0_14default_configENS1_27scan_by_key_config_selectorIifEEZZNS1_16scan_by_key_implILNS1_25lookback_scan_determinismE0ELb0ES3_N6thrust23THRUST_200600_302600_NS6detail15normal_iteratorINS9_10device_ptrIiEEEENSB_INSC_IfEEEESG_fNS9_4plusIvEENS9_8equal_toIvEEfEE10hipError_tPvRmT2_T3_T4_T5_mT6_T7_P12ihipStream_tbENKUlT_T0_E_clISt17integral_constantIbLb0EES11_EEDaSW_SX_EUlSW_E_NS1_11comp_targetILNS1_3genE10ELNS1_11target_archE1200ELNS1_3gpuE4ELNS1_3repE0EEENS1_30default_config_static_selectorELNS0_4arch9wavefront6targetE0EEEvT1_.has_indirect_call, 0
	.section	.AMDGPU.csdata,"",@progbits
; Kernel info:
; codeLenInByte = 0
; TotalNumSgprs: 0
; NumVgprs: 0
; ScratchSize: 0
; MemoryBound: 0
; FloatMode: 240
; IeeeMode: 1
; LDSByteSize: 0 bytes/workgroup (compile time only)
; SGPRBlocks: 0
; VGPRBlocks: 0
; NumSGPRsForWavesPerEU: 1
; NumVGPRsForWavesPerEU: 1
; NamedBarCnt: 0
; Occupancy: 16
; WaveLimiterHint : 0
; COMPUTE_PGM_RSRC2:SCRATCH_EN: 0
; COMPUTE_PGM_RSRC2:USER_SGPR: 2
; COMPUTE_PGM_RSRC2:TRAP_HANDLER: 0
; COMPUTE_PGM_RSRC2:TGID_X_EN: 1
; COMPUTE_PGM_RSRC2:TGID_Y_EN: 0
; COMPUTE_PGM_RSRC2:TGID_Z_EN: 0
; COMPUTE_PGM_RSRC2:TIDIG_COMP_CNT: 0
	.section	.text._ZN7rocprim17ROCPRIM_400000_NS6detail17trampoline_kernelINS0_14default_configENS1_27scan_by_key_config_selectorIifEEZZNS1_16scan_by_key_implILNS1_25lookback_scan_determinismE0ELb0ES3_N6thrust23THRUST_200600_302600_NS6detail15normal_iteratorINS9_10device_ptrIiEEEENSB_INSC_IfEEEESG_fNS9_4plusIvEENS9_8equal_toIvEEfEE10hipError_tPvRmT2_T3_T4_T5_mT6_T7_P12ihipStream_tbENKUlT_T0_E_clISt17integral_constantIbLb0EES11_EEDaSW_SX_EUlSW_E_NS1_11comp_targetILNS1_3genE9ELNS1_11target_archE1100ELNS1_3gpuE3ELNS1_3repE0EEENS1_30default_config_static_selectorELNS0_4arch9wavefront6targetE0EEEvT1_,"axG",@progbits,_ZN7rocprim17ROCPRIM_400000_NS6detail17trampoline_kernelINS0_14default_configENS1_27scan_by_key_config_selectorIifEEZZNS1_16scan_by_key_implILNS1_25lookback_scan_determinismE0ELb0ES3_N6thrust23THRUST_200600_302600_NS6detail15normal_iteratorINS9_10device_ptrIiEEEENSB_INSC_IfEEEESG_fNS9_4plusIvEENS9_8equal_toIvEEfEE10hipError_tPvRmT2_T3_T4_T5_mT6_T7_P12ihipStream_tbENKUlT_T0_E_clISt17integral_constantIbLb0EES11_EEDaSW_SX_EUlSW_E_NS1_11comp_targetILNS1_3genE9ELNS1_11target_archE1100ELNS1_3gpuE3ELNS1_3repE0EEENS1_30default_config_static_selectorELNS0_4arch9wavefront6targetE0EEEvT1_,comdat
	.protected	_ZN7rocprim17ROCPRIM_400000_NS6detail17trampoline_kernelINS0_14default_configENS1_27scan_by_key_config_selectorIifEEZZNS1_16scan_by_key_implILNS1_25lookback_scan_determinismE0ELb0ES3_N6thrust23THRUST_200600_302600_NS6detail15normal_iteratorINS9_10device_ptrIiEEEENSB_INSC_IfEEEESG_fNS9_4plusIvEENS9_8equal_toIvEEfEE10hipError_tPvRmT2_T3_T4_T5_mT6_T7_P12ihipStream_tbENKUlT_T0_E_clISt17integral_constantIbLb0EES11_EEDaSW_SX_EUlSW_E_NS1_11comp_targetILNS1_3genE9ELNS1_11target_archE1100ELNS1_3gpuE3ELNS1_3repE0EEENS1_30default_config_static_selectorELNS0_4arch9wavefront6targetE0EEEvT1_ ; -- Begin function _ZN7rocprim17ROCPRIM_400000_NS6detail17trampoline_kernelINS0_14default_configENS1_27scan_by_key_config_selectorIifEEZZNS1_16scan_by_key_implILNS1_25lookback_scan_determinismE0ELb0ES3_N6thrust23THRUST_200600_302600_NS6detail15normal_iteratorINS9_10device_ptrIiEEEENSB_INSC_IfEEEESG_fNS9_4plusIvEENS9_8equal_toIvEEfEE10hipError_tPvRmT2_T3_T4_T5_mT6_T7_P12ihipStream_tbENKUlT_T0_E_clISt17integral_constantIbLb0EES11_EEDaSW_SX_EUlSW_E_NS1_11comp_targetILNS1_3genE9ELNS1_11target_archE1100ELNS1_3gpuE3ELNS1_3repE0EEENS1_30default_config_static_selectorELNS0_4arch9wavefront6targetE0EEEvT1_
	.globl	_ZN7rocprim17ROCPRIM_400000_NS6detail17trampoline_kernelINS0_14default_configENS1_27scan_by_key_config_selectorIifEEZZNS1_16scan_by_key_implILNS1_25lookback_scan_determinismE0ELb0ES3_N6thrust23THRUST_200600_302600_NS6detail15normal_iteratorINS9_10device_ptrIiEEEENSB_INSC_IfEEEESG_fNS9_4plusIvEENS9_8equal_toIvEEfEE10hipError_tPvRmT2_T3_T4_T5_mT6_T7_P12ihipStream_tbENKUlT_T0_E_clISt17integral_constantIbLb0EES11_EEDaSW_SX_EUlSW_E_NS1_11comp_targetILNS1_3genE9ELNS1_11target_archE1100ELNS1_3gpuE3ELNS1_3repE0EEENS1_30default_config_static_selectorELNS0_4arch9wavefront6targetE0EEEvT1_
	.p2align	8
	.type	_ZN7rocprim17ROCPRIM_400000_NS6detail17trampoline_kernelINS0_14default_configENS1_27scan_by_key_config_selectorIifEEZZNS1_16scan_by_key_implILNS1_25lookback_scan_determinismE0ELb0ES3_N6thrust23THRUST_200600_302600_NS6detail15normal_iteratorINS9_10device_ptrIiEEEENSB_INSC_IfEEEESG_fNS9_4plusIvEENS9_8equal_toIvEEfEE10hipError_tPvRmT2_T3_T4_T5_mT6_T7_P12ihipStream_tbENKUlT_T0_E_clISt17integral_constantIbLb0EES11_EEDaSW_SX_EUlSW_E_NS1_11comp_targetILNS1_3genE9ELNS1_11target_archE1100ELNS1_3gpuE3ELNS1_3repE0EEENS1_30default_config_static_selectorELNS0_4arch9wavefront6targetE0EEEvT1_,@function
_ZN7rocprim17ROCPRIM_400000_NS6detail17trampoline_kernelINS0_14default_configENS1_27scan_by_key_config_selectorIifEEZZNS1_16scan_by_key_implILNS1_25lookback_scan_determinismE0ELb0ES3_N6thrust23THRUST_200600_302600_NS6detail15normal_iteratorINS9_10device_ptrIiEEEENSB_INSC_IfEEEESG_fNS9_4plusIvEENS9_8equal_toIvEEfEE10hipError_tPvRmT2_T3_T4_T5_mT6_T7_P12ihipStream_tbENKUlT_T0_E_clISt17integral_constantIbLb0EES11_EEDaSW_SX_EUlSW_E_NS1_11comp_targetILNS1_3genE9ELNS1_11target_archE1100ELNS1_3gpuE3ELNS1_3repE0EEENS1_30default_config_static_selectorELNS0_4arch9wavefront6targetE0EEEvT1_: ; @_ZN7rocprim17ROCPRIM_400000_NS6detail17trampoline_kernelINS0_14default_configENS1_27scan_by_key_config_selectorIifEEZZNS1_16scan_by_key_implILNS1_25lookback_scan_determinismE0ELb0ES3_N6thrust23THRUST_200600_302600_NS6detail15normal_iteratorINS9_10device_ptrIiEEEENSB_INSC_IfEEEESG_fNS9_4plusIvEENS9_8equal_toIvEEfEE10hipError_tPvRmT2_T3_T4_T5_mT6_T7_P12ihipStream_tbENKUlT_T0_E_clISt17integral_constantIbLb0EES11_EEDaSW_SX_EUlSW_E_NS1_11comp_targetILNS1_3genE9ELNS1_11target_archE1100ELNS1_3gpuE3ELNS1_3repE0EEENS1_30default_config_static_selectorELNS0_4arch9wavefront6targetE0EEEvT1_
; %bb.0:
	.section	.rodata,"a",@progbits
	.p2align	6, 0x0
	.amdhsa_kernel _ZN7rocprim17ROCPRIM_400000_NS6detail17trampoline_kernelINS0_14default_configENS1_27scan_by_key_config_selectorIifEEZZNS1_16scan_by_key_implILNS1_25lookback_scan_determinismE0ELb0ES3_N6thrust23THRUST_200600_302600_NS6detail15normal_iteratorINS9_10device_ptrIiEEEENSB_INSC_IfEEEESG_fNS9_4plusIvEENS9_8equal_toIvEEfEE10hipError_tPvRmT2_T3_T4_T5_mT6_T7_P12ihipStream_tbENKUlT_T0_E_clISt17integral_constantIbLb0EES11_EEDaSW_SX_EUlSW_E_NS1_11comp_targetILNS1_3genE9ELNS1_11target_archE1100ELNS1_3gpuE3ELNS1_3repE0EEENS1_30default_config_static_selectorELNS0_4arch9wavefront6targetE0EEEvT1_
		.amdhsa_group_segment_fixed_size 0
		.amdhsa_private_segment_fixed_size 0
		.amdhsa_kernarg_size 112
		.amdhsa_user_sgpr_count 2
		.amdhsa_user_sgpr_dispatch_ptr 0
		.amdhsa_user_sgpr_queue_ptr 0
		.amdhsa_user_sgpr_kernarg_segment_ptr 1
		.amdhsa_user_sgpr_dispatch_id 0
		.amdhsa_user_sgpr_kernarg_preload_length 0
		.amdhsa_user_sgpr_kernarg_preload_offset 0
		.amdhsa_user_sgpr_private_segment_size 0
		.amdhsa_wavefront_size32 1
		.amdhsa_uses_dynamic_stack 0
		.amdhsa_enable_private_segment 0
		.amdhsa_system_sgpr_workgroup_id_x 1
		.amdhsa_system_sgpr_workgroup_id_y 0
		.amdhsa_system_sgpr_workgroup_id_z 0
		.amdhsa_system_sgpr_workgroup_info 0
		.amdhsa_system_vgpr_workitem_id 0
		.amdhsa_next_free_vgpr 1
		.amdhsa_next_free_sgpr 1
		.amdhsa_named_barrier_count 0
		.amdhsa_reserve_vcc 0
		.amdhsa_float_round_mode_32 0
		.amdhsa_float_round_mode_16_64 0
		.amdhsa_float_denorm_mode_32 3
		.amdhsa_float_denorm_mode_16_64 3
		.amdhsa_fp16_overflow 0
		.amdhsa_memory_ordered 1
		.amdhsa_forward_progress 1
		.amdhsa_inst_pref_size 0
		.amdhsa_round_robin_scheduling 0
		.amdhsa_exception_fp_ieee_invalid_op 0
		.amdhsa_exception_fp_denorm_src 0
		.amdhsa_exception_fp_ieee_div_zero 0
		.amdhsa_exception_fp_ieee_overflow 0
		.amdhsa_exception_fp_ieee_underflow 0
		.amdhsa_exception_fp_ieee_inexact 0
		.amdhsa_exception_int_div_zero 0
	.end_amdhsa_kernel
	.section	.text._ZN7rocprim17ROCPRIM_400000_NS6detail17trampoline_kernelINS0_14default_configENS1_27scan_by_key_config_selectorIifEEZZNS1_16scan_by_key_implILNS1_25lookback_scan_determinismE0ELb0ES3_N6thrust23THRUST_200600_302600_NS6detail15normal_iteratorINS9_10device_ptrIiEEEENSB_INSC_IfEEEESG_fNS9_4plusIvEENS9_8equal_toIvEEfEE10hipError_tPvRmT2_T3_T4_T5_mT6_T7_P12ihipStream_tbENKUlT_T0_E_clISt17integral_constantIbLb0EES11_EEDaSW_SX_EUlSW_E_NS1_11comp_targetILNS1_3genE9ELNS1_11target_archE1100ELNS1_3gpuE3ELNS1_3repE0EEENS1_30default_config_static_selectorELNS0_4arch9wavefront6targetE0EEEvT1_,"axG",@progbits,_ZN7rocprim17ROCPRIM_400000_NS6detail17trampoline_kernelINS0_14default_configENS1_27scan_by_key_config_selectorIifEEZZNS1_16scan_by_key_implILNS1_25lookback_scan_determinismE0ELb0ES3_N6thrust23THRUST_200600_302600_NS6detail15normal_iteratorINS9_10device_ptrIiEEEENSB_INSC_IfEEEESG_fNS9_4plusIvEENS9_8equal_toIvEEfEE10hipError_tPvRmT2_T3_T4_T5_mT6_T7_P12ihipStream_tbENKUlT_T0_E_clISt17integral_constantIbLb0EES11_EEDaSW_SX_EUlSW_E_NS1_11comp_targetILNS1_3genE9ELNS1_11target_archE1100ELNS1_3gpuE3ELNS1_3repE0EEENS1_30default_config_static_selectorELNS0_4arch9wavefront6targetE0EEEvT1_,comdat
.Lfunc_end1137:
	.size	_ZN7rocprim17ROCPRIM_400000_NS6detail17trampoline_kernelINS0_14default_configENS1_27scan_by_key_config_selectorIifEEZZNS1_16scan_by_key_implILNS1_25lookback_scan_determinismE0ELb0ES3_N6thrust23THRUST_200600_302600_NS6detail15normal_iteratorINS9_10device_ptrIiEEEENSB_INSC_IfEEEESG_fNS9_4plusIvEENS9_8equal_toIvEEfEE10hipError_tPvRmT2_T3_T4_T5_mT6_T7_P12ihipStream_tbENKUlT_T0_E_clISt17integral_constantIbLb0EES11_EEDaSW_SX_EUlSW_E_NS1_11comp_targetILNS1_3genE9ELNS1_11target_archE1100ELNS1_3gpuE3ELNS1_3repE0EEENS1_30default_config_static_selectorELNS0_4arch9wavefront6targetE0EEEvT1_, .Lfunc_end1137-_ZN7rocprim17ROCPRIM_400000_NS6detail17trampoline_kernelINS0_14default_configENS1_27scan_by_key_config_selectorIifEEZZNS1_16scan_by_key_implILNS1_25lookback_scan_determinismE0ELb0ES3_N6thrust23THRUST_200600_302600_NS6detail15normal_iteratorINS9_10device_ptrIiEEEENSB_INSC_IfEEEESG_fNS9_4plusIvEENS9_8equal_toIvEEfEE10hipError_tPvRmT2_T3_T4_T5_mT6_T7_P12ihipStream_tbENKUlT_T0_E_clISt17integral_constantIbLb0EES11_EEDaSW_SX_EUlSW_E_NS1_11comp_targetILNS1_3genE9ELNS1_11target_archE1100ELNS1_3gpuE3ELNS1_3repE0EEENS1_30default_config_static_selectorELNS0_4arch9wavefront6targetE0EEEvT1_
                                        ; -- End function
	.set _ZN7rocprim17ROCPRIM_400000_NS6detail17trampoline_kernelINS0_14default_configENS1_27scan_by_key_config_selectorIifEEZZNS1_16scan_by_key_implILNS1_25lookback_scan_determinismE0ELb0ES3_N6thrust23THRUST_200600_302600_NS6detail15normal_iteratorINS9_10device_ptrIiEEEENSB_INSC_IfEEEESG_fNS9_4plusIvEENS9_8equal_toIvEEfEE10hipError_tPvRmT2_T3_T4_T5_mT6_T7_P12ihipStream_tbENKUlT_T0_E_clISt17integral_constantIbLb0EES11_EEDaSW_SX_EUlSW_E_NS1_11comp_targetILNS1_3genE9ELNS1_11target_archE1100ELNS1_3gpuE3ELNS1_3repE0EEENS1_30default_config_static_selectorELNS0_4arch9wavefront6targetE0EEEvT1_.num_vgpr, 0
	.set _ZN7rocprim17ROCPRIM_400000_NS6detail17trampoline_kernelINS0_14default_configENS1_27scan_by_key_config_selectorIifEEZZNS1_16scan_by_key_implILNS1_25lookback_scan_determinismE0ELb0ES3_N6thrust23THRUST_200600_302600_NS6detail15normal_iteratorINS9_10device_ptrIiEEEENSB_INSC_IfEEEESG_fNS9_4plusIvEENS9_8equal_toIvEEfEE10hipError_tPvRmT2_T3_T4_T5_mT6_T7_P12ihipStream_tbENKUlT_T0_E_clISt17integral_constantIbLb0EES11_EEDaSW_SX_EUlSW_E_NS1_11comp_targetILNS1_3genE9ELNS1_11target_archE1100ELNS1_3gpuE3ELNS1_3repE0EEENS1_30default_config_static_selectorELNS0_4arch9wavefront6targetE0EEEvT1_.num_agpr, 0
	.set _ZN7rocprim17ROCPRIM_400000_NS6detail17trampoline_kernelINS0_14default_configENS1_27scan_by_key_config_selectorIifEEZZNS1_16scan_by_key_implILNS1_25lookback_scan_determinismE0ELb0ES3_N6thrust23THRUST_200600_302600_NS6detail15normal_iteratorINS9_10device_ptrIiEEEENSB_INSC_IfEEEESG_fNS9_4plusIvEENS9_8equal_toIvEEfEE10hipError_tPvRmT2_T3_T4_T5_mT6_T7_P12ihipStream_tbENKUlT_T0_E_clISt17integral_constantIbLb0EES11_EEDaSW_SX_EUlSW_E_NS1_11comp_targetILNS1_3genE9ELNS1_11target_archE1100ELNS1_3gpuE3ELNS1_3repE0EEENS1_30default_config_static_selectorELNS0_4arch9wavefront6targetE0EEEvT1_.numbered_sgpr, 0
	.set _ZN7rocprim17ROCPRIM_400000_NS6detail17trampoline_kernelINS0_14default_configENS1_27scan_by_key_config_selectorIifEEZZNS1_16scan_by_key_implILNS1_25lookback_scan_determinismE0ELb0ES3_N6thrust23THRUST_200600_302600_NS6detail15normal_iteratorINS9_10device_ptrIiEEEENSB_INSC_IfEEEESG_fNS9_4plusIvEENS9_8equal_toIvEEfEE10hipError_tPvRmT2_T3_T4_T5_mT6_T7_P12ihipStream_tbENKUlT_T0_E_clISt17integral_constantIbLb0EES11_EEDaSW_SX_EUlSW_E_NS1_11comp_targetILNS1_3genE9ELNS1_11target_archE1100ELNS1_3gpuE3ELNS1_3repE0EEENS1_30default_config_static_selectorELNS0_4arch9wavefront6targetE0EEEvT1_.num_named_barrier, 0
	.set _ZN7rocprim17ROCPRIM_400000_NS6detail17trampoline_kernelINS0_14default_configENS1_27scan_by_key_config_selectorIifEEZZNS1_16scan_by_key_implILNS1_25lookback_scan_determinismE0ELb0ES3_N6thrust23THRUST_200600_302600_NS6detail15normal_iteratorINS9_10device_ptrIiEEEENSB_INSC_IfEEEESG_fNS9_4plusIvEENS9_8equal_toIvEEfEE10hipError_tPvRmT2_T3_T4_T5_mT6_T7_P12ihipStream_tbENKUlT_T0_E_clISt17integral_constantIbLb0EES11_EEDaSW_SX_EUlSW_E_NS1_11comp_targetILNS1_3genE9ELNS1_11target_archE1100ELNS1_3gpuE3ELNS1_3repE0EEENS1_30default_config_static_selectorELNS0_4arch9wavefront6targetE0EEEvT1_.private_seg_size, 0
	.set _ZN7rocprim17ROCPRIM_400000_NS6detail17trampoline_kernelINS0_14default_configENS1_27scan_by_key_config_selectorIifEEZZNS1_16scan_by_key_implILNS1_25lookback_scan_determinismE0ELb0ES3_N6thrust23THRUST_200600_302600_NS6detail15normal_iteratorINS9_10device_ptrIiEEEENSB_INSC_IfEEEESG_fNS9_4plusIvEENS9_8equal_toIvEEfEE10hipError_tPvRmT2_T3_T4_T5_mT6_T7_P12ihipStream_tbENKUlT_T0_E_clISt17integral_constantIbLb0EES11_EEDaSW_SX_EUlSW_E_NS1_11comp_targetILNS1_3genE9ELNS1_11target_archE1100ELNS1_3gpuE3ELNS1_3repE0EEENS1_30default_config_static_selectorELNS0_4arch9wavefront6targetE0EEEvT1_.uses_vcc, 0
	.set _ZN7rocprim17ROCPRIM_400000_NS6detail17trampoline_kernelINS0_14default_configENS1_27scan_by_key_config_selectorIifEEZZNS1_16scan_by_key_implILNS1_25lookback_scan_determinismE0ELb0ES3_N6thrust23THRUST_200600_302600_NS6detail15normal_iteratorINS9_10device_ptrIiEEEENSB_INSC_IfEEEESG_fNS9_4plusIvEENS9_8equal_toIvEEfEE10hipError_tPvRmT2_T3_T4_T5_mT6_T7_P12ihipStream_tbENKUlT_T0_E_clISt17integral_constantIbLb0EES11_EEDaSW_SX_EUlSW_E_NS1_11comp_targetILNS1_3genE9ELNS1_11target_archE1100ELNS1_3gpuE3ELNS1_3repE0EEENS1_30default_config_static_selectorELNS0_4arch9wavefront6targetE0EEEvT1_.uses_flat_scratch, 0
	.set _ZN7rocprim17ROCPRIM_400000_NS6detail17trampoline_kernelINS0_14default_configENS1_27scan_by_key_config_selectorIifEEZZNS1_16scan_by_key_implILNS1_25lookback_scan_determinismE0ELb0ES3_N6thrust23THRUST_200600_302600_NS6detail15normal_iteratorINS9_10device_ptrIiEEEENSB_INSC_IfEEEESG_fNS9_4plusIvEENS9_8equal_toIvEEfEE10hipError_tPvRmT2_T3_T4_T5_mT6_T7_P12ihipStream_tbENKUlT_T0_E_clISt17integral_constantIbLb0EES11_EEDaSW_SX_EUlSW_E_NS1_11comp_targetILNS1_3genE9ELNS1_11target_archE1100ELNS1_3gpuE3ELNS1_3repE0EEENS1_30default_config_static_selectorELNS0_4arch9wavefront6targetE0EEEvT1_.has_dyn_sized_stack, 0
	.set _ZN7rocprim17ROCPRIM_400000_NS6detail17trampoline_kernelINS0_14default_configENS1_27scan_by_key_config_selectorIifEEZZNS1_16scan_by_key_implILNS1_25lookback_scan_determinismE0ELb0ES3_N6thrust23THRUST_200600_302600_NS6detail15normal_iteratorINS9_10device_ptrIiEEEENSB_INSC_IfEEEESG_fNS9_4plusIvEENS9_8equal_toIvEEfEE10hipError_tPvRmT2_T3_T4_T5_mT6_T7_P12ihipStream_tbENKUlT_T0_E_clISt17integral_constantIbLb0EES11_EEDaSW_SX_EUlSW_E_NS1_11comp_targetILNS1_3genE9ELNS1_11target_archE1100ELNS1_3gpuE3ELNS1_3repE0EEENS1_30default_config_static_selectorELNS0_4arch9wavefront6targetE0EEEvT1_.has_recursion, 0
	.set _ZN7rocprim17ROCPRIM_400000_NS6detail17trampoline_kernelINS0_14default_configENS1_27scan_by_key_config_selectorIifEEZZNS1_16scan_by_key_implILNS1_25lookback_scan_determinismE0ELb0ES3_N6thrust23THRUST_200600_302600_NS6detail15normal_iteratorINS9_10device_ptrIiEEEENSB_INSC_IfEEEESG_fNS9_4plusIvEENS9_8equal_toIvEEfEE10hipError_tPvRmT2_T3_T4_T5_mT6_T7_P12ihipStream_tbENKUlT_T0_E_clISt17integral_constantIbLb0EES11_EEDaSW_SX_EUlSW_E_NS1_11comp_targetILNS1_3genE9ELNS1_11target_archE1100ELNS1_3gpuE3ELNS1_3repE0EEENS1_30default_config_static_selectorELNS0_4arch9wavefront6targetE0EEEvT1_.has_indirect_call, 0
	.section	.AMDGPU.csdata,"",@progbits
; Kernel info:
; codeLenInByte = 0
; TotalNumSgprs: 0
; NumVgprs: 0
; ScratchSize: 0
; MemoryBound: 0
; FloatMode: 240
; IeeeMode: 1
; LDSByteSize: 0 bytes/workgroup (compile time only)
; SGPRBlocks: 0
; VGPRBlocks: 0
; NumSGPRsForWavesPerEU: 1
; NumVGPRsForWavesPerEU: 1
; NamedBarCnt: 0
; Occupancy: 16
; WaveLimiterHint : 0
; COMPUTE_PGM_RSRC2:SCRATCH_EN: 0
; COMPUTE_PGM_RSRC2:USER_SGPR: 2
; COMPUTE_PGM_RSRC2:TRAP_HANDLER: 0
; COMPUTE_PGM_RSRC2:TGID_X_EN: 1
; COMPUTE_PGM_RSRC2:TGID_Y_EN: 0
; COMPUTE_PGM_RSRC2:TGID_Z_EN: 0
; COMPUTE_PGM_RSRC2:TIDIG_COMP_CNT: 0
	.section	.text._ZN7rocprim17ROCPRIM_400000_NS6detail17trampoline_kernelINS0_14default_configENS1_27scan_by_key_config_selectorIifEEZZNS1_16scan_by_key_implILNS1_25lookback_scan_determinismE0ELb0ES3_N6thrust23THRUST_200600_302600_NS6detail15normal_iteratorINS9_10device_ptrIiEEEENSB_INSC_IfEEEESG_fNS9_4plusIvEENS9_8equal_toIvEEfEE10hipError_tPvRmT2_T3_T4_T5_mT6_T7_P12ihipStream_tbENKUlT_T0_E_clISt17integral_constantIbLb0EES11_EEDaSW_SX_EUlSW_E_NS1_11comp_targetILNS1_3genE8ELNS1_11target_archE1030ELNS1_3gpuE2ELNS1_3repE0EEENS1_30default_config_static_selectorELNS0_4arch9wavefront6targetE0EEEvT1_,"axG",@progbits,_ZN7rocprim17ROCPRIM_400000_NS6detail17trampoline_kernelINS0_14default_configENS1_27scan_by_key_config_selectorIifEEZZNS1_16scan_by_key_implILNS1_25lookback_scan_determinismE0ELb0ES3_N6thrust23THRUST_200600_302600_NS6detail15normal_iteratorINS9_10device_ptrIiEEEENSB_INSC_IfEEEESG_fNS9_4plusIvEENS9_8equal_toIvEEfEE10hipError_tPvRmT2_T3_T4_T5_mT6_T7_P12ihipStream_tbENKUlT_T0_E_clISt17integral_constantIbLb0EES11_EEDaSW_SX_EUlSW_E_NS1_11comp_targetILNS1_3genE8ELNS1_11target_archE1030ELNS1_3gpuE2ELNS1_3repE0EEENS1_30default_config_static_selectorELNS0_4arch9wavefront6targetE0EEEvT1_,comdat
	.protected	_ZN7rocprim17ROCPRIM_400000_NS6detail17trampoline_kernelINS0_14default_configENS1_27scan_by_key_config_selectorIifEEZZNS1_16scan_by_key_implILNS1_25lookback_scan_determinismE0ELb0ES3_N6thrust23THRUST_200600_302600_NS6detail15normal_iteratorINS9_10device_ptrIiEEEENSB_INSC_IfEEEESG_fNS9_4plusIvEENS9_8equal_toIvEEfEE10hipError_tPvRmT2_T3_T4_T5_mT6_T7_P12ihipStream_tbENKUlT_T0_E_clISt17integral_constantIbLb0EES11_EEDaSW_SX_EUlSW_E_NS1_11comp_targetILNS1_3genE8ELNS1_11target_archE1030ELNS1_3gpuE2ELNS1_3repE0EEENS1_30default_config_static_selectorELNS0_4arch9wavefront6targetE0EEEvT1_ ; -- Begin function _ZN7rocprim17ROCPRIM_400000_NS6detail17trampoline_kernelINS0_14default_configENS1_27scan_by_key_config_selectorIifEEZZNS1_16scan_by_key_implILNS1_25lookback_scan_determinismE0ELb0ES3_N6thrust23THRUST_200600_302600_NS6detail15normal_iteratorINS9_10device_ptrIiEEEENSB_INSC_IfEEEESG_fNS9_4plusIvEENS9_8equal_toIvEEfEE10hipError_tPvRmT2_T3_T4_T5_mT6_T7_P12ihipStream_tbENKUlT_T0_E_clISt17integral_constantIbLb0EES11_EEDaSW_SX_EUlSW_E_NS1_11comp_targetILNS1_3genE8ELNS1_11target_archE1030ELNS1_3gpuE2ELNS1_3repE0EEENS1_30default_config_static_selectorELNS0_4arch9wavefront6targetE0EEEvT1_
	.globl	_ZN7rocprim17ROCPRIM_400000_NS6detail17trampoline_kernelINS0_14default_configENS1_27scan_by_key_config_selectorIifEEZZNS1_16scan_by_key_implILNS1_25lookback_scan_determinismE0ELb0ES3_N6thrust23THRUST_200600_302600_NS6detail15normal_iteratorINS9_10device_ptrIiEEEENSB_INSC_IfEEEESG_fNS9_4plusIvEENS9_8equal_toIvEEfEE10hipError_tPvRmT2_T3_T4_T5_mT6_T7_P12ihipStream_tbENKUlT_T0_E_clISt17integral_constantIbLb0EES11_EEDaSW_SX_EUlSW_E_NS1_11comp_targetILNS1_3genE8ELNS1_11target_archE1030ELNS1_3gpuE2ELNS1_3repE0EEENS1_30default_config_static_selectorELNS0_4arch9wavefront6targetE0EEEvT1_
	.p2align	8
	.type	_ZN7rocprim17ROCPRIM_400000_NS6detail17trampoline_kernelINS0_14default_configENS1_27scan_by_key_config_selectorIifEEZZNS1_16scan_by_key_implILNS1_25lookback_scan_determinismE0ELb0ES3_N6thrust23THRUST_200600_302600_NS6detail15normal_iteratorINS9_10device_ptrIiEEEENSB_INSC_IfEEEESG_fNS9_4plusIvEENS9_8equal_toIvEEfEE10hipError_tPvRmT2_T3_T4_T5_mT6_T7_P12ihipStream_tbENKUlT_T0_E_clISt17integral_constantIbLb0EES11_EEDaSW_SX_EUlSW_E_NS1_11comp_targetILNS1_3genE8ELNS1_11target_archE1030ELNS1_3gpuE2ELNS1_3repE0EEENS1_30default_config_static_selectorELNS0_4arch9wavefront6targetE0EEEvT1_,@function
_ZN7rocprim17ROCPRIM_400000_NS6detail17trampoline_kernelINS0_14default_configENS1_27scan_by_key_config_selectorIifEEZZNS1_16scan_by_key_implILNS1_25lookback_scan_determinismE0ELb0ES3_N6thrust23THRUST_200600_302600_NS6detail15normal_iteratorINS9_10device_ptrIiEEEENSB_INSC_IfEEEESG_fNS9_4plusIvEENS9_8equal_toIvEEfEE10hipError_tPvRmT2_T3_T4_T5_mT6_T7_P12ihipStream_tbENKUlT_T0_E_clISt17integral_constantIbLb0EES11_EEDaSW_SX_EUlSW_E_NS1_11comp_targetILNS1_3genE8ELNS1_11target_archE1030ELNS1_3gpuE2ELNS1_3repE0EEENS1_30default_config_static_selectorELNS0_4arch9wavefront6targetE0EEEvT1_: ; @_ZN7rocprim17ROCPRIM_400000_NS6detail17trampoline_kernelINS0_14default_configENS1_27scan_by_key_config_selectorIifEEZZNS1_16scan_by_key_implILNS1_25lookback_scan_determinismE0ELb0ES3_N6thrust23THRUST_200600_302600_NS6detail15normal_iteratorINS9_10device_ptrIiEEEENSB_INSC_IfEEEESG_fNS9_4plusIvEENS9_8equal_toIvEEfEE10hipError_tPvRmT2_T3_T4_T5_mT6_T7_P12ihipStream_tbENKUlT_T0_E_clISt17integral_constantIbLb0EES11_EEDaSW_SX_EUlSW_E_NS1_11comp_targetILNS1_3genE8ELNS1_11target_archE1030ELNS1_3gpuE2ELNS1_3repE0EEENS1_30default_config_static_selectorELNS0_4arch9wavefront6targetE0EEEvT1_
; %bb.0:
	.section	.rodata,"a",@progbits
	.p2align	6, 0x0
	.amdhsa_kernel _ZN7rocprim17ROCPRIM_400000_NS6detail17trampoline_kernelINS0_14default_configENS1_27scan_by_key_config_selectorIifEEZZNS1_16scan_by_key_implILNS1_25lookback_scan_determinismE0ELb0ES3_N6thrust23THRUST_200600_302600_NS6detail15normal_iteratorINS9_10device_ptrIiEEEENSB_INSC_IfEEEESG_fNS9_4plusIvEENS9_8equal_toIvEEfEE10hipError_tPvRmT2_T3_T4_T5_mT6_T7_P12ihipStream_tbENKUlT_T0_E_clISt17integral_constantIbLb0EES11_EEDaSW_SX_EUlSW_E_NS1_11comp_targetILNS1_3genE8ELNS1_11target_archE1030ELNS1_3gpuE2ELNS1_3repE0EEENS1_30default_config_static_selectorELNS0_4arch9wavefront6targetE0EEEvT1_
		.amdhsa_group_segment_fixed_size 0
		.amdhsa_private_segment_fixed_size 0
		.amdhsa_kernarg_size 112
		.amdhsa_user_sgpr_count 2
		.amdhsa_user_sgpr_dispatch_ptr 0
		.amdhsa_user_sgpr_queue_ptr 0
		.amdhsa_user_sgpr_kernarg_segment_ptr 1
		.amdhsa_user_sgpr_dispatch_id 0
		.amdhsa_user_sgpr_kernarg_preload_length 0
		.amdhsa_user_sgpr_kernarg_preload_offset 0
		.amdhsa_user_sgpr_private_segment_size 0
		.amdhsa_wavefront_size32 1
		.amdhsa_uses_dynamic_stack 0
		.amdhsa_enable_private_segment 0
		.amdhsa_system_sgpr_workgroup_id_x 1
		.amdhsa_system_sgpr_workgroup_id_y 0
		.amdhsa_system_sgpr_workgroup_id_z 0
		.amdhsa_system_sgpr_workgroup_info 0
		.amdhsa_system_vgpr_workitem_id 0
		.amdhsa_next_free_vgpr 1
		.amdhsa_next_free_sgpr 1
		.amdhsa_named_barrier_count 0
		.amdhsa_reserve_vcc 0
		.amdhsa_float_round_mode_32 0
		.amdhsa_float_round_mode_16_64 0
		.amdhsa_float_denorm_mode_32 3
		.amdhsa_float_denorm_mode_16_64 3
		.amdhsa_fp16_overflow 0
		.amdhsa_memory_ordered 1
		.amdhsa_forward_progress 1
		.amdhsa_inst_pref_size 0
		.amdhsa_round_robin_scheduling 0
		.amdhsa_exception_fp_ieee_invalid_op 0
		.amdhsa_exception_fp_denorm_src 0
		.amdhsa_exception_fp_ieee_div_zero 0
		.amdhsa_exception_fp_ieee_overflow 0
		.amdhsa_exception_fp_ieee_underflow 0
		.amdhsa_exception_fp_ieee_inexact 0
		.amdhsa_exception_int_div_zero 0
	.end_amdhsa_kernel
	.section	.text._ZN7rocprim17ROCPRIM_400000_NS6detail17trampoline_kernelINS0_14default_configENS1_27scan_by_key_config_selectorIifEEZZNS1_16scan_by_key_implILNS1_25lookback_scan_determinismE0ELb0ES3_N6thrust23THRUST_200600_302600_NS6detail15normal_iteratorINS9_10device_ptrIiEEEENSB_INSC_IfEEEESG_fNS9_4plusIvEENS9_8equal_toIvEEfEE10hipError_tPvRmT2_T3_T4_T5_mT6_T7_P12ihipStream_tbENKUlT_T0_E_clISt17integral_constantIbLb0EES11_EEDaSW_SX_EUlSW_E_NS1_11comp_targetILNS1_3genE8ELNS1_11target_archE1030ELNS1_3gpuE2ELNS1_3repE0EEENS1_30default_config_static_selectorELNS0_4arch9wavefront6targetE0EEEvT1_,"axG",@progbits,_ZN7rocprim17ROCPRIM_400000_NS6detail17trampoline_kernelINS0_14default_configENS1_27scan_by_key_config_selectorIifEEZZNS1_16scan_by_key_implILNS1_25lookback_scan_determinismE0ELb0ES3_N6thrust23THRUST_200600_302600_NS6detail15normal_iteratorINS9_10device_ptrIiEEEENSB_INSC_IfEEEESG_fNS9_4plusIvEENS9_8equal_toIvEEfEE10hipError_tPvRmT2_T3_T4_T5_mT6_T7_P12ihipStream_tbENKUlT_T0_E_clISt17integral_constantIbLb0EES11_EEDaSW_SX_EUlSW_E_NS1_11comp_targetILNS1_3genE8ELNS1_11target_archE1030ELNS1_3gpuE2ELNS1_3repE0EEENS1_30default_config_static_selectorELNS0_4arch9wavefront6targetE0EEEvT1_,comdat
.Lfunc_end1138:
	.size	_ZN7rocprim17ROCPRIM_400000_NS6detail17trampoline_kernelINS0_14default_configENS1_27scan_by_key_config_selectorIifEEZZNS1_16scan_by_key_implILNS1_25lookback_scan_determinismE0ELb0ES3_N6thrust23THRUST_200600_302600_NS6detail15normal_iteratorINS9_10device_ptrIiEEEENSB_INSC_IfEEEESG_fNS9_4plusIvEENS9_8equal_toIvEEfEE10hipError_tPvRmT2_T3_T4_T5_mT6_T7_P12ihipStream_tbENKUlT_T0_E_clISt17integral_constantIbLb0EES11_EEDaSW_SX_EUlSW_E_NS1_11comp_targetILNS1_3genE8ELNS1_11target_archE1030ELNS1_3gpuE2ELNS1_3repE0EEENS1_30default_config_static_selectorELNS0_4arch9wavefront6targetE0EEEvT1_, .Lfunc_end1138-_ZN7rocprim17ROCPRIM_400000_NS6detail17trampoline_kernelINS0_14default_configENS1_27scan_by_key_config_selectorIifEEZZNS1_16scan_by_key_implILNS1_25lookback_scan_determinismE0ELb0ES3_N6thrust23THRUST_200600_302600_NS6detail15normal_iteratorINS9_10device_ptrIiEEEENSB_INSC_IfEEEESG_fNS9_4plusIvEENS9_8equal_toIvEEfEE10hipError_tPvRmT2_T3_T4_T5_mT6_T7_P12ihipStream_tbENKUlT_T0_E_clISt17integral_constantIbLb0EES11_EEDaSW_SX_EUlSW_E_NS1_11comp_targetILNS1_3genE8ELNS1_11target_archE1030ELNS1_3gpuE2ELNS1_3repE0EEENS1_30default_config_static_selectorELNS0_4arch9wavefront6targetE0EEEvT1_
                                        ; -- End function
	.set _ZN7rocprim17ROCPRIM_400000_NS6detail17trampoline_kernelINS0_14default_configENS1_27scan_by_key_config_selectorIifEEZZNS1_16scan_by_key_implILNS1_25lookback_scan_determinismE0ELb0ES3_N6thrust23THRUST_200600_302600_NS6detail15normal_iteratorINS9_10device_ptrIiEEEENSB_INSC_IfEEEESG_fNS9_4plusIvEENS9_8equal_toIvEEfEE10hipError_tPvRmT2_T3_T4_T5_mT6_T7_P12ihipStream_tbENKUlT_T0_E_clISt17integral_constantIbLb0EES11_EEDaSW_SX_EUlSW_E_NS1_11comp_targetILNS1_3genE8ELNS1_11target_archE1030ELNS1_3gpuE2ELNS1_3repE0EEENS1_30default_config_static_selectorELNS0_4arch9wavefront6targetE0EEEvT1_.num_vgpr, 0
	.set _ZN7rocprim17ROCPRIM_400000_NS6detail17trampoline_kernelINS0_14default_configENS1_27scan_by_key_config_selectorIifEEZZNS1_16scan_by_key_implILNS1_25lookback_scan_determinismE0ELb0ES3_N6thrust23THRUST_200600_302600_NS6detail15normal_iteratorINS9_10device_ptrIiEEEENSB_INSC_IfEEEESG_fNS9_4plusIvEENS9_8equal_toIvEEfEE10hipError_tPvRmT2_T3_T4_T5_mT6_T7_P12ihipStream_tbENKUlT_T0_E_clISt17integral_constantIbLb0EES11_EEDaSW_SX_EUlSW_E_NS1_11comp_targetILNS1_3genE8ELNS1_11target_archE1030ELNS1_3gpuE2ELNS1_3repE0EEENS1_30default_config_static_selectorELNS0_4arch9wavefront6targetE0EEEvT1_.num_agpr, 0
	.set _ZN7rocprim17ROCPRIM_400000_NS6detail17trampoline_kernelINS0_14default_configENS1_27scan_by_key_config_selectorIifEEZZNS1_16scan_by_key_implILNS1_25lookback_scan_determinismE0ELb0ES3_N6thrust23THRUST_200600_302600_NS6detail15normal_iteratorINS9_10device_ptrIiEEEENSB_INSC_IfEEEESG_fNS9_4plusIvEENS9_8equal_toIvEEfEE10hipError_tPvRmT2_T3_T4_T5_mT6_T7_P12ihipStream_tbENKUlT_T0_E_clISt17integral_constantIbLb0EES11_EEDaSW_SX_EUlSW_E_NS1_11comp_targetILNS1_3genE8ELNS1_11target_archE1030ELNS1_3gpuE2ELNS1_3repE0EEENS1_30default_config_static_selectorELNS0_4arch9wavefront6targetE0EEEvT1_.numbered_sgpr, 0
	.set _ZN7rocprim17ROCPRIM_400000_NS6detail17trampoline_kernelINS0_14default_configENS1_27scan_by_key_config_selectorIifEEZZNS1_16scan_by_key_implILNS1_25lookback_scan_determinismE0ELb0ES3_N6thrust23THRUST_200600_302600_NS6detail15normal_iteratorINS9_10device_ptrIiEEEENSB_INSC_IfEEEESG_fNS9_4plusIvEENS9_8equal_toIvEEfEE10hipError_tPvRmT2_T3_T4_T5_mT6_T7_P12ihipStream_tbENKUlT_T0_E_clISt17integral_constantIbLb0EES11_EEDaSW_SX_EUlSW_E_NS1_11comp_targetILNS1_3genE8ELNS1_11target_archE1030ELNS1_3gpuE2ELNS1_3repE0EEENS1_30default_config_static_selectorELNS0_4arch9wavefront6targetE0EEEvT1_.num_named_barrier, 0
	.set _ZN7rocprim17ROCPRIM_400000_NS6detail17trampoline_kernelINS0_14default_configENS1_27scan_by_key_config_selectorIifEEZZNS1_16scan_by_key_implILNS1_25lookback_scan_determinismE0ELb0ES3_N6thrust23THRUST_200600_302600_NS6detail15normal_iteratorINS9_10device_ptrIiEEEENSB_INSC_IfEEEESG_fNS9_4plusIvEENS9_8equal_toIvEEfEE10hipError_tPvRmT2_T3_T4_T5_mT6_T7_P12ihipStream_tbENKUlT_T0_E_clISt17integral_constantIbLb0EES11_EEDaSW_SX_EUlSW_E_NS1_11comp_targetILNS1_3genE8ELNS1_11target_archE1030ELNS1_3gpuE2ELNS1_3repE0EEENS1_30default_config_static_selectorELNS0_4arch9wavefront6targetE0EEEvT1_.private_seg_size, 0
	.set _ZN7rocprim17ROCPRIM_400000_NS6detail17trampoline_kernelINS0_14default_configENS1_27scan_by_key_config_selectorIifEEZZNS1_16scan_by_key_implILNS1_25lookback_scan_determinismE0ELb0ES3_N6thrust23THRUST_200600_302600_NS6detail15normal_iteratorINS9_10device_ptrIiEEEENSB_INSC_IfEEEESG_fNS9_4plusIvEENS9_8equal_toIvEEfEE10hipError_tPvRmT2_T3_T4_T5_mT6_T7_P12ihipStream_tbENKUlT_T0_E_clISt17integral_constantIbLb0EES11_EEDaSW_SX_EUlSW_E_NS1_11comp_targetILNS1_3genE8ELNS1_11target_archE1030ELNS1_3gpuE2ELNS1_3repE0EEENS1_30default_config_static_selectorELNS0_4arch9wavefront6targetE0EEEvT1_.uses_vcc, 0
	.set _ZN7rocprim17ROCPRIM_400000_NS6detail17trampoline_kernelINS0_14default_configENS1_27scan_by_key_config_selectorIifEEZZNS1_16scan_by_key_implILNS1_25lookback_scan_determinismE0ELb0ES3_N6thrust23THRUST_200600_302600_NS6detail15normal_iteratorINS9_10device_ptrIiEEEENSB_INSC_IfEEEESG_fNS9_4plusIvEENS9_8equal_toIvEEfEE10hipError_tPvRmT2_T3_T4_T5_mT6_T7_P12ihipStream_tbENKUlT_T0_E_clISt17integral_constantIbLb0EES11_EEDaSW_SX_EUlSW_E_NS1_11comp_targetILNS1_3genE8ELNS1_11target_archE1030ELNS1_3gpuE2ELNS1_3repE0EEENS1_30default_config_static_selectorELNS0_4arch9wavefront6targetE0EEEvT1_.uses_flat_scratch, 0
	.set _ZN7rocprim17ROCPRIM_400000_NS6detail17trampoline_kernelINS0_14default_configENS1_27scan_by_key_config_selectorIifEEZZNS1_16scan_by_key_implILNS1_25lookback_scan_determinismE0ELb0ES3_N6thrust23THRUST_200600_302600_NS6detail15normal_iteratorINS9_10device_ptrIiEEEENSB_INSC_IfEEEESG_fNS9_4plusIvEENS9_8equal_toIvEEfEE10hipError_tPvRmT2_T3_T4_T5_mT6_T7_P12ihipStream_tbENKUlT_T0_E_clISt17integral_constantIbLb0EES11_EEDaSW_SX_EUlSW_E_NS1_11comp_targetILNS1_3genE8ELNS1_11target_archE1030ELNS1_3gpuE2ELNS1_3repE0EEENS1_30default_config_static_selectorELNS0_4arch9wavefront6targetE0EEEvT1_.has_dyn_sized_stack, 0
	.set _ZN7rocprim17ROCPRIM_400000_NS6detail17trampoline_kernelINS0_14default_configENS1_27scan_by_key_config_selectorIifEEZZNS1_16scan_by_key_implILNS1_25lookback_scan_determinismE0ELb0ES3_N6thrust23THRUST_200600_302600_NS6detail15normal_iteratorINS9_10device_ptrIiEEEENSB_INSC_IfEEEESG_fNS9_4plusIvEENS9_8equal_toIvEEfEE10hipError_tPvRmT2_T3_T4_T5_mT6_T7_P12ihipStream_tbENKUlT_T0_E_clISt17integral_constantIbLb0EES11_EEDaSW_SX_EUlSW_E_NS1_11comp_targetILNS1_3genE8ELNS1_11target_archE1030ELNS1_3gpuE2ELNS1_3repE0EEENS1_30default_config_static_selectorELNS0_4arch9wavefront6targetE0EEEvT1_.has_recursion, 0
	.set _ZN7rocprim17ROCPRIM_400000_NS6detail17trampoline_kernelINS0_14default_configENS1_27scan_by_key_config_selectorIifEEZZNS1_16scan_by_key_implILNS1_25lookback_scan_determinismE0ELb0ES3_N6thrust23THRUST_200600_302600_NS6detail15normal_iteratorINS9_10device_ptrIiEEEENSB_INSC_IfEEEESG_fNS9_4plusIvEENS9_8equal_toIvEEfEE10hipError_tPvRmT2_T3_T4_T5_mT6_T7_P12ihipStream_tbENKUlT_T0_E_clISt17integral_constantIbLb0EES11_EEDaSW_SX_EUlSW_E_NS1_11comp_targetILNS1_3genE8ELNS1_11target_archE1030ELNS1_3gpuE2ELNS1_3repE0EEENS1_30default_config_static_selectorELNS0_4arch9wavefront6targetE0EEEvT1_.has_indirect_call, 0
	.section	.AMDGPU.csdata,"",@progbits
; Kernel info:
; codeLenInByte = 0
; TotalNumSgprs: 0
; NumVgprs: 0
; ScratchSize: 0
; MemoryBound: 0
; FloatMode: 240
; IeeeMode: 1
; LDSByteSize: 0 bytes/workgroup (compile time only)
; SGPRBlocks: 0
; VGPRBlocks: 0
; NumSGPRsForWavesPerEU: 1
; NumVGPRsForWavesPerEU: 1
; NamedBarCnt: 0
; Occupancy: 16
; WaveLimiterHint : 0
; COMPUTE_PGM_RSRC2:SCRATCH_EN: 0
; COMPUTE_PGM_RSRC2:USER_SGPR: 2
; COMPUTE_PGM_RSRC2:TRAP_HANDLER: 0
; COMPUTE_PGM_RSRC2:TGID_X_EN: 1
; COMPUTE_PGM_RSRC2:TGID_Y_EN: 0
; COMPUTE_PGM_RSRC2:TGID_Z_EN: 0
; COMPUTE_PGM_RSRC2:TIDIG_COMP_CNT: 0
	.section	.text._ZN7rocprim17ROCPRIM_400000_NS6detail30init_device_scan_by_key_kernelINS1_19lookback_scan_stateINS0_5tupleIJfbEEELb1ELb1EEEN6thrust23THRUST_200600_302600_NS6detail15normal_iteratorINS8_10device_ptrIiEEEEjNS1_16block_id_wrapperIjLb1EEEEEvT_jjPNSG_10value_typeET0_PNSt15iterator_traitsISJ_E10value_typeEmT1_T2_,"axG",@progbits,_ZN7rocprim17ROCPRIM_400000_NS6detail30init_device_scan_by_key_kernelINS1_19lookback_scan_stateINS0_5tupleIJfbEEELb1ELb1EEEN6thrust23THRUST_200600_302600_NS6detail15normal_iteratorINS8_10device_ptrIiEEEEjNS1_16block_id_wrapperIjLb1EEEEEvT_jjPNSG_10value_typeET0_PNSt15iterator_traitsISJ_E10value_typeEmT1_T2_,comdat
	.protected	_ZN7rocprim17ROCPRIM_400000_NS6detail30init_device_scan_by_key_kernelINS1_19lookback_scan_stateINS0_5tupleIJfbEEELb1ELb1EEEN6thrust23THRUST_200600_302600_NS6detail15normal_iteratorINS8_10device_ptrIiEEEEjNS1_16block_id_wrapperIjLb1EEEEEvT_jjPNSG_10value_typeET0_PNSt15iterator_traitsISJ_E10value_typeEmT1_T2_ ; -- Begin function _ZN7rocprim17ROCPRIM_400000_NS6detail30init_device_scan_by_key_kernelINS1_19lookback_scan_stateINS0_5tupleIJfbEEELb1ELb1EEEN6thrust23THRUST_200600_302600_NS6detail15normal_iteratorINS8_10device_ptrIiEEEEjNS1_16block_id_wrapperIjLb1EEEEEvT_jjPNSG_10value_typeET0_PNSt15iterator_traitsISJ_E10value_typeEmT1_T2_
	.globl	_ZN7rocprim17ROCPRIM_400000_NS6detail30init_device_scan_by_key_kernelINS1_19lookback_scan_stateINS0_5tupleIJfbEEELb1ELb1EEEN6thrust23THRUST_200600_302600_NS6detail15normal_iteratorINS8_10device_ptrIiEEEEjNS1_16block_id_wrapperIjLb1EEEEEvT_jjPNSG_10value_typeET0_PNSt15iterator_traitsISJ_E10value_typeEmT1_T2_
	.p2align	8
	.type	_ZN7rocprim17ROCPRIM_400000_NS6detail30init_device_scan_by_key_kernelINS1_19lookback_scan_stateINS0_5tupleIJfbEEELb1ELb1EEEN6thrust23THRUST_200600_302600_NS6detail15normal_iteratorINS8_10device_ptrIiEEEEjNS1_16block_id_wrapperIjLb1EEEEEvT_jjPNSG_10value_typeET0_PNSt15iterator_traitsISJ_E10value_typeEmT1_T2_,@function
_ZN7rocprim17ROCPRIM_400000_NS6detail30init_device_scan_by_key_kernelINS1_19lookback_scan_stateINS0_5tupleIJfbEEELb1ELb1EEEN6thrust23THRUST_200600_302600_NS6detail15normal_iteratorINS8_10device_ptrIiEEEEjNS1_16block_id_wrapperIjLb1EEEEEvT_jjPNSG_10value_typeET0_PNSt15iterator_traitsISJ_E10value_typeEmT1_T2_: ; @_ZN7rocprim17ROCPRIM_400000_NS6detail30init_device_scan_by_key_kernelINS1_19lookback_scan_stateINS0_5tupleIJfbEEELb1ELb1EEEN6thrust23THRUST_200600_302600_NS6detail15normal_iteratorINS8_10device_ptrIiEEEEjNS1_16block_id_wrapperIjLb1EEEEEvT_jjPNSG_10value_typeET0_PNSt15iterator_traitsISJ_E10value_typeEmT1_T2_
; %bb.0:
	s_clause 0x2
	s_load_b32 s2, s[0:1], 0x4c
	s_load_b32 s14, s[0:1], 0x40
	s_load_b256 s[4:11], s[0:1], 0x0
	s_bfe_u32 s3, ttmp6, 0x4000c
	s_and_b32 s12, ttmp6, 15
	s_add_co_i32 s3, s3, 1
	s_getreg_b32 s13, hwreg(HW_REG_IB_STS2, 6, 4)
	s_mul_i32 s3, ttmp9, s3
	s_delay_alu instid0(SALU_CYCLE_1)
	s_add_co_i32 s12, s12, s3
	s_wait_kmcnt 0x0
	s_and_b32 s15, s2, 0xffff
	s_cmp_eq_u32 s13, 0
	s_cselect_b32 s2, ttmp9, s12
	s_cmp_eq_u64 s[8:9], 0
	v_mad_u32 v4, s2, s15, v0
	s_cbranch_scc1 .LBB1139_10
; %bb.1:
	s_cmp_lt_u32 s7, s6
	s_mov_b32 s16, exec_lo
	s_cselect_b32 s2, s7, 0
	s_delay_alu instid0(VALU_DEP_1) | instid1(SALU_CYCLE_1)
	v_cmpx_eq_u32_e64 s2, v4
	s_cbranch_execz .LBB1139_9
; %bb.2:
	s_add_co_i32 s2, s7, 32
	s_mov_b32 s3, 0
	v_mov_b32_e32 v7, 0
	s_lshl_b64 s[12:13], s[2:3], 4
	s_mov_b32 s2, exec_lo
	s_add_nc_u64 s[12:13], s[4:5], s[12:13]
	s_delay_alu instid0(SALU_CYCLE_1) | instskip(SKIP_2) | instid1(VALU_DEP_1)
	v_mov_b64_e32 v[0:1], s[12:13]
	;;#ASMSTART
	global_load_b128 v[0:3], v[0:1] off scope:SCOPE_DEV	
s_wait_loadcnt 0x0
	;;#ASMEND
	v_and_b32_e32 v6, 0xff, v2
	v_cmpx_eq_u64_e32 0, v[6:7]
	s_cbranch_execz .LBB1139_8
; %bb.3:
	v_mov_b64_e32 v[8:9], s[12:13]
	s_mov_b32 s7, 1
.LBB1139_4:                             ; =>This Loop Header: Depth=1
                                        ;     Child Loop BB1139_5 Depth 2
	s_delay_alu instid0(SALU_CYCLE_1)
	s_mov_b32 s12, s7
.LBB1139_5:                             ;   Parent Loop BB1139_4 Depth=1
                                        ; =>  This Inner Loop Header: Depth=2
	s_delay_alu instid0(SALU_CYCLE_1)
	s_add_co_i32 s12, s12, -1
	s_sleep 1
	s_cmp_eq_u32 s12, 0
	s_cbranch_scc0 .LBB1139_5
; %bb.6:                                ;   in Loop: Header=BB1139_4 Depth=1
	;;#ASMSTART
	global_load_b128 v[0:3], v[8:9] off scope:SCOPE_DEV	
s_wait_loadcnt 0x0
	;;#ASMEND
	v_and_b32_e32 v6, 0xff, v2
	s_cmp_lt_u32 s7, 32
	s_cselect_b32 s12, -1, 0
	s_delay_alu instid0(VALU_DEP_1) | instskip(SKIP_3) | instid1(SALU_CYCLE_1)
	v_cmp_ne_u64_e32 vcc_lo, 0, v[6:7]
	s_cmp_lg_u32 s12, 0
	s_add_co_ci_u32 s7, s7, 0
	s_or_b32 s3, vcc_lo, s3
	s_and_not1_b32 exec_lo, exec_lo, s3
	s_cbranch_execnz .LBB1139_4
; %bb.7:
	s_or_b32 exec_lo, exec_lo, s3
.LBB1139_8:
	s_delay_alu instid0(SALU_CYCLE_1)
	s_or_b32 exec_lo, exec_lo, s2
	v_mov_b32_e32 v2, 0
	s_clause 0x1
	global_store_b32 v2, v0, s[8:9]
	global_store_b8 v2, v1, s[8:9] offset:4
.LBB1139_9:
	s_wait_xcnt 0x0
	s_or_b32 exec_lo, exec_lo, s16
.LBB1139_10:
	s_delay_alu instid0(SALU_CYCLE_1) | instskip(NEXT) | instid1(VALU_DEP_1)
	s_mov_b32 s2, exec_lo
	v_cmpx_eq_u32_e32 0, v4
	s_cbranch_execz .LBB1139_12
; %bb.11:
	s_load_b64 s[8:9], s[0:1], 0x38
	v_mov_b32_e32 v0, 0
	s_wait_kmcnt 0x0
	global_store_b32 v0, v0, s[8:9]
.LBB1139_12:
	s_wait_xcnt 0x0
	s_or_b32 exec_lo, exec_lo, s2
	s_delay_alu instid0(SALU_CYCLE_1)
	s_mov_b32 s2, exec_lo
	v_cmpx_gt_u32_e64 s6, v4
	s_cbranch_execz .LBB1139_14
; %bb.13:
	v_dual_mov_b32 v0, 0 :: v_dual_add_nc_u32 v5, 32, v4
	s_delay_alu instid0(VALU_DEP_1)
	v_dual_mov_b32 v1, v0 :: v_dual_mov_b32 v2, v0
	v_mov_b32_e32 v3, v0
	global_store_b128 v5, v[0:3], s[4:5] scale_offset
.LBB1139_14:
	s_wait_xcnt 0x0
	s_or_b32 exec_lo, exec_lo, s2
	v_mov_b32_e32 v5, 0
	s_mov_b32 s2, exec_lo
	v_cmpx_gt_u32_e32 32, v4
	s_cbranch_execz .LBB1139_16
; %bb.15:
	s_delay_alu instid0(VALU_DEP_2)
	v_lshl_add_u64 v[6:7], v[4:5], 4, s[4:5]
	v_dual_mov_b32 v2, 0xff :: v_dual_mov_b32 v1, v5
	v_dual_mov_b32 v0, v5 :: v_dual_mov_b32 v3, v5
	global_store_b128 v[6:7], v[0:3], off
.LBB1139_16:
	s_wait_xcnt 0x0
	s_or_b32 exec_lo, exec_lo, s2
	s_load_b64 s[2:3], s[0:1], 0x28
	s_mov_b32 s4, exec_lo
	s_wait_kmcnt 0x0
	v_cmpx_gt_u64_e64 s[2:3], v[4:5]
	s_cbranch_execz .LBB1139_19
; %bb.17:
	s_clause 0x1
	s_load_b32 s4, s[0:1], 0x30
	s_load_b64 s[6:7], s[0:1], 0x20
	s_mov_b32 s5, 0
	s_wait_xcnt 0x0
	s_mul_i32 s0, s14, s15
	s_mov_b32 s9, s5
	s_mov_b32 s1, s5
	s_wait_kmcnt 0x0
	v_mul_u64_e32 v[0:1], s[4:5], v[4:5]
	s_add_co_i32 s8, s4, -1
	v_lshl_add_u64 v[2:3], v[4:5], 2, s[6:7]
	s_lshl_b64 s[8:9], s[8:9], 2
	s_delay_alu instid0(SALU_CYCLE_1) | instskip(SKIP_1) | instid1(SALU_CYCLE_1)
	s_add_nc_u64 s[8:9], s[10:11], s[8:9]
	s_mul_u64 s[10:11], s[4:5], s[0:1]
	s_lshl_b64 s[6:7], s[10:11], 2
	s_delay_alu instid0(VALU_DEP_2)
	v_lshl_add_u64 v[0:1], v[0:1], 2, s[8:9]
	s_lshl_b64 s[8:9], s[0:1], 2
.LBB1139_18:                            ; =>This Inner Loop Header: Depth=1
	global_load_b32 v6, v[0:1], off
	v_add_nc_u64_e32 v[4:5], s[0:1], v[4:5]
	s_wait_xcnt 0x0
	v_add_nc_u64_e32 v[0:1], s[6:7], v[0:1]
	s_delay_alu instid0(VALU_DEP_2)
	v_cmp_le_u64_e32 vcc_lo, s[2:3], v[4:5]
	s_or_b32 s5, vcc_lo, s5
	s_wait_loadcnt 0x0
	global_store_b32 v[2:3], v6, off
	s_wait_xcnt 0x0
	v_add_nc_u64_e32 v[2:3], s[8:9], v[2:3]
	s_and_not1_b32 exec_lo, exec_lo, s5
	s_cbranch_execnz .LBB1139_18
.LBB1139_19:
	s_endpgm
	.section	.rodata,"a",@progbits
	.p2align	6, 0x0
	.amdhsa_kernel _ZN7rocprim17ROCPRIM_400000_NS6detail30init_device_scan_by_key_kernelINS1_19lookback_scan_stateINS0_5tupleIJfbEEELb1ELb1EEEN6thrust23THRUST_200600_302600_NS6detail15normal_iteratorINS8_10device_ptrIiEEEEjNS1_16block_id_wrapperIjLb1EEEEEvT_jjPNSG_10value_typeET0_PNSt15iterator_traitsISJ_E10value_typeEmT1_T2_
		.amdhsa_group_segment_fixed_size 0
		.amdhsa_private_segment_fixed_size 0
		.amdhsa_kernarg_size 320
		.amdhsa_user_sgpr_count 2
		.amdhsa_user_sgpr_dispatch_ptr 0
		.amdhsa_user_sgpr_queue_ptr 0
		.amdhsa_user_sgpr_kernarg_segment_ptr 1
		.amdhsa_user_sgpr_dispatch_id 0
		.amdhsa_user_sgpr_kernarg_preload_length 0
		.amdhsa_user_sgpr_kernarg_preload_offset 0
		.amdhsa_user_sgpr_private_segment_size 0
		.amdhsa_wavefront_size32 1
		.amdhsa_uses_dynamic_stack 0
		.amdhsa_enable_private_segment 0
		.amdhsa_system_sgpr_workgroup_id_x 1
		.amdhsa_system_sgpr_workgroup_id_y 0
		.amdhsa_system_sgpr_workgroup_id_z 0
		.amdhsa_system_sgpr_workgroup_info 0
		.amdhsa_system_vgpr_workitem_id 0
		.amdhsa_next_free_vgpr 10
		.amdhsa_next_free_sgpr 17
		.amdhsa_named_barrier_count 0
		.amdhsa_reserve_vcc 1
		.amdhsa_float_round_mode_32 0
		.amdhsa_float_round_mode_16_64 0
		.amdhsa_float_denorm_mode_32 3
		.amdhsa_float_denorm_mode_16_64 3
		.amdhsa_fp16_overflow 0
		.amdhsa_memory_ordered 1
		.amdhsa_forward_progress 1
		.amdhsa_inst_pref_size 6
		.amdhsa_round_robin_scheduling 0
		.amdhsa_exception_fp_ieee_invalid_op 0
		.amdhsa_exception_fp_denorm_src 0
		.amdhsa_exception_fp_ieee_div_zero 0
		.amdhsa_exception_fp_ieee_overflow 0
		.amdhsa_exception_fp_ieee_underflow 0
		.amdhsa_exception_fp_ieee_inexact 0
		.amdhsa_exception_int_div_zero 0
	.end_amdhsa_kernel
	.section	.text._ZN7rocprim17ROCPRIM_400000_NS6detail30init_device_scan_by_key_kernelINS1_19lookback_scan_stateINS0_5tupleIJfbEEELb1ELb1EEEN6thrust23THRUST_200600_302600_NS6detail15normal_iteratorINS8_10device_ptrIiEEEEjNS1_16block_id_wrapperIjLb1EEEEEvT_jjPNSG_10value_typeET0_PNSt15iterator_traitsISJ_E10value_typeEmT1_T2_,"axG",@progbits,_ZN7rocprim17ROCPRIM_400000_NS6detail30init_device_scan_by_key_kernelINS1_19lookback_scan_stateINS0_5tupleIJfbEEELb1ELb1EEEN6thrust23THRUST_200600_302600_NS6detail15normal_iteratorINS8_10device_ptrIiEEEEjNS1_16block_id_wrapperIjLb1EEEEEvT_jjPNSG_10value_typeET0_PNSt15iterator_traitsISJ_E10value_typeEmT1_T2_,comdat
.Lfunc_end1139:
	.size	_ZN7rocprim17ROCPRIM_400000_NS6detail30init_device_scan_by_key_kernelINS1_19lookback_scan_stateINS0_5tupleIJfbEEELb1ELb1EEEN6thrust23THRUST_200600_302600_NS6detail15normal_iteratorINS8_10device_ptrIiEEEEjNS1_16block_id_wrapperIjLb1EEEEEvT_jjPNSG_10value_typeET0_PNSt15iterator_traitsISJ_E10value_typeEmT1_T2_, .Lfunc_end1139-_ZN7rocprim17ROCPRIM_400000_NS6detail30init_device_scan_by_key_kernelINS1_19lookback_scan_stateINS0_5tupleIJfbEEELb1ELb1EEEN6thrust23THRUST_200600_302600_NS6detail15normal_iteratorINS8_10device_ptrIiEEEEjNS1_16block_id_wrapperIjLb1EEEEEvT_jjPNSG_10value_typeET0_PNSt15iterator_traitsISJ_E10value_typeEmT1_T2_
                                        ; -- End function
	.set _ZN7rocprim17ROCPRIM_400000_NS6detail30init_device_scan_by_key_kernelINS1_19lookback_scan_stateINS0_5tupleIJfbEEELb1ELb1EEEN6thrust23THRUST_200600_302600_NS6detail15normal_iteratorINS8_10device_ptrIiEEEEjNS1_16block_id_wrapperIjLb1EEEEEvT_jjPNSG_10value_typeET0_PNSt15iterator_traitsISJ_E10value_typeEmT1_T2_.num_vgpr, 10
	.set _ZN7rocprim17ROCPRIM_400000_NS6detail30init_device_scan_by_key_kernelINS1_19lookback_scan_stateINS0_5tupleIJfbEEELb1ELb1EEEN6thrust23THRUST_200600_302600_NS6detail15normal_iteratorINS8_10device_ptrIiEEEEjNS1_16block_id_wrapperIjLb1EEEEEvT_jjPNSG_10value_typeET0_PNSt15iterator_traitsISJ_E10value_typeEmT1_T2_.num_agpr, 0
	.set _ZN7rocprim17ROCPRIM_400000_NS6detail30init_device_scan_by_key_kernelINS1_19lookback_scan_stateINS0_5tupleIJfbEEELb1ELb1EEEN6thrust23THRUST_200600_302600_NS6detail15normal_iteratorINS8_10device_ptrIiEEEEjNS1_16block_id_wrapperIjLb1EEEEEvT_jjPNSG_10value_typeET0_PNSt15iterator_traitsISJ_E10value_typeEmT1_T2_.numbered_sgpr, 17
	.set _ZN7rocprim17ROCPRIM_400000_NS6detail30init_device_scan_by_key_kernelINS1_19lookback_scan_stateINS0_5tupleIJfbEEELb1ELb1EEEN6thrust23THRUST_200600_302600_NS6detail15normal_iteratorINS8_10device_ptrIiEEEEjNS1_16block_id_wrapperIjLb1EEEEEvT_jjPNSG_10value_typeET0_PNSt15iterator_traitsISJ_E10value_typeEmT1_T2_.num_named_barrier, 0
	.set _ZN7rocprim17ROCPRIM_400000_NS6detail30init_device_scan_by_key_kernelINS1_19lookback_scan_stateINS0_5tupleIJfbEEELb1ELb1EEEN6thrust23THRUST_200600_302600_NS6detail15normal_iteratorINS8_10device_ptrIiEEEEjNS1_16block_id_wrapperIjLb1EEEEEvT_jjPNSG_10value_typeET0_PNSt15iterator_traitsISJ_E10value_typeEmT1_T2_.private_seg_size, 0
	.set _ZN7rocprim17ROCPRIM_400000_NS6detail30init_device_scan_by_key_kernelINS1_19lookback_scan_stateINS0_5tupleIJfbEEELb1ELb1EEEN6thrust23THRUST_200600_302600_NS6detail15normal_iteratorINS8_10device_ptrIiEEEEjNS1_16block_id_wrapperIjLb1EEEEEvT_jjPNSG_10value_typeET0_PNSt15iterator_traitsISJ_E10value_typeEmT1_T2_.uses_vcc, 1
	.set _ZN7rocprim17ROCPRIM_400000_NS6detail30init_device_scan_by_key_kernelINS1_19lookback_scan_stateINS0_5tupleIJfbEEELb1ELb1EEEN6thrust23THRUST_200600_302600_NS6detail15normal_iteratorINS8_10device_ptrIiEEEEjNS1_16block_id_wrapperIjLb1EEEEEvT_jjPNSG_10value_typeET0_PNSt15iterator_traitsISJ_E10value_typeEmT1_T2_.uses_flat_scratch, 0
	.set _ZN7rocprim17ROCPRIM_400000_NS6detail30init_device_scan_by_key_kernelINS1_19lookback_scan_stateINS0_5tupleIJfbEEELb1ELb1EEEN6thrust23THRUST_200600_302600_NS6detail15normal_iteratorINS8_10device_ptrIiEEEEjNS1_16block_id_wrapperIjLb1EEEEEvT_jjPNSG_10value_typeET0_PNSt15iterator_traitsISJ_E10value_typeEmT1_T2_.has_dyn_sized_stack, 0
	.set _ZN7rocprim17ROCPRIM_400000_NS6detail30init_device_scan_by_key_kernelINS1_19lookback_scan_stateINS0_5tupleIJfbEEELb1ELb1EEEN6thrust23THRUST_200600_302600_NS6detail15normal_iteratorINS8_10device_ptrIiEEEEjNS1_16block_id_wrapperIjLb1EEEEEvT_jjPNSG_10value_typeET0_PNSt15iterator_traitsISJ_E10value_typeEmT1_T2_.has_recursion, 0
	.set _ZN7rocprim17ROCPRIM_400000_NS6detail30init_device_scan_by_key_kernelINS1_19lookback_scan_stateINS0_5tupleIJfbEEELb1ELb1EEEN6thrust23THRUST_200600_302600_NS6detail15normal_iteratorINS8_10device_ptrIiEEEEjNS1_16block_id_wrapperIjLb1EEEEEvT_jjPNSG_10value_typeET0_PNSt15iterator_traitsISJ_E10value_typeEmT1_T2_.has_indirect_call, 0
	.section	.AMDGPU.csdata,"",@progbits
; Kernel info:
; codeLenInByte = 684
; TotalNumSgprs: 19
; NumVgprs: 10
; ScratchSize: 0
; MemoryBound: 0
; FloatMode: 240
; IeeeMode: 1
; LDSByteSize: 0 bytes/workgroup (compile time only)
; SGPRBlocks: 0
; VGPRBlocks: 0
; NumSGPRsForWavesPerEU: 19
; NumVGPRsForWavesPerEU: 10
; NamedBarCnt: 0
; Occupancy: 16
; WaveLimiterHint : 0
; COMPUTE_PGM_RSRC2:SCRATCH_EN: 0
; COMPUTE_PGM_RSRC2:USER_SGPR: 2
; COMPUTE_PGM_RSRC2:TRAP_HANDLER: 0
; COMPUTE_PGM_RSRC2:TGID_X_EN: 1
; COMPUTE_PGM_RSRC2:TGID_Y_EN: 0
; COMPUTE_PGM_RSRC2:TGID_Z_EN: 0
; COMPUTE_PGM_RSRC2:TIDIG_COMP_CNT: 0
	.section	.text._ZN7rocprim17ROCPRIM_400000_NS6detail30init_device_scan_by_key_kernelINS1_19lookback_scan_stateINS0_5tupleIJfbEEELb1ELb1EEENS1_16block_id_wrapperIjLb1EEEEEvT_jjPNS9_10value_typeET0_,"axG",@progbits,_ZN7rocprim17ROCPRIM_400000_NS6detail30init_device_scan_by_key_kernelINS1_19lookback_scan_stateINS0_5tupleIJfbEEELb1ELb1EEENS1_16block_id_wrapperIjLb1EEEEEvT_jjPNS9_10value_typeET0_,comdat
	.protected	_ZN7rocprim17ROCPRIM_400000_NS6detail30init_device_scan_by_key_kernelINS1_19lookback_scan_stateINS0_5tupleIJfbEEELb1ELb1EEENS1_16block_id_wrapperIjLb1EEEEEvT_jjPNS9_10value_typeET0_ ; -- Begin function _ZN7rocprim17ROCPRIM_400000_NS6detail30init_device_scan_by_key_kernelINS1_19lookback_scan_stateINS0_5tupleIJfbEEELb1ELb1EEENS1_16block_id_wrapperIjLb1EEEEEvT_jjPNS9_10value_typeET0_
	.globl	_ZN7rocprim17ROCPRIM_400000_NS6detail30init_device_scan_by_key_kernelINS1_19lookback_scan_stateINS0_5tupleIJfbEEELb1ELb1EEENS1_16block_id_wrapperIjLb1EEEEEvT_jjPNS9_10value_typeET0_
	.p2align	8
	.type	_ZN7rocprim17ROCPRIM_400000_NS6detail30init_device_scan_by_key_kernelINS1_19lookback_scan_stateINS0_5tupleIJfbEEELb1ELb1EEENS1_16block_id_wrapperIjLb1EEEEEvT_jjPNS9_10value_typeET0_,@function
_ZN7rocprim17ROCPRIM_400000_NS6detail30init_device_scan_by_key_kernelINS1_19lookback_scan_stateINS0_5tupleIJfbEEELb1ELb1EEENS1_16block_id_wrapperIjLb1EEEEEvT_jjPNS9_10value_typeET0_: ; @_ZN7rocprim17ROCPRIM_400000_NS6detail30init_device_scan_by_key_kernelINS1_19lookback_scan_stateINS0_5tupleIJfbEEELb1ELb1EEENS1_16block_id_wrapperIjLb1EEEEEvT_jjPNS9_10value_typeET0_
; %bb.0:
	s_clause 0x1
	s_load_b32 s2, s[0:1], 0x2c
	s_load_b256 s[4:11], s[0:1], 0x0
	s_wait_xcnt 0x0
	s_bfe_u32 s0, ttmp6, 0x4000c
	s_and_b32 s1, ttmp6, 15
	s_add_co_i32 s0, s0, 1
	s_getreg_b32 s3, hwreg(HW_REG_IB_STS2, 6, 4)
	s_mul_i32 s0, ttmp9, s0
	s_delay_alu instid0(SALU_CYCLE_1)
	s_add_co_i32 s1, s1, s0
	s_wait_kmcnt 0x0
	s_and_b32 s2, s2, 0xffff
	s_cmp_eq_u32 s3, 0
	s_cselect_b32 s0, ttmp9, s1
	s_cmp_eq_u64 s[8:9], 0
	v_mad_u32 v8, s0, s2, v0
	s_cbranch_scc1 .LBB1140_10
; %bb.1:
	s_cmp_lt_u32 s7, s6
	s_mov_b32 s12, exec_lo
	s_cselect_b32 s0, s7, 0
	s_delay_alu instid0(VALU_DEP_1) | instid1(SALU_CYCLE_1)
	v_cmpx_eq_u32_e64 s0, v8
	s_cbranch_execz .LBB1140_9
; %bb.2:
	s_add_co_i32 s0, s7, 32
	s_mov_b32 s1, 0
	v_mov_b32_e32 v5, 0
	s_lshl_b64 s[2:3], s[0:1], 4
	s_mov_b32 s0, exec_lo
	s_add_nc_u64 s[2:3], s[4:5], s[2:3]
	s_delay_alu instid0(SALU_CYCLE_1) | instskip(SKIP_2) | instid1(VALU_DEP_1)
	v_mov_b64_e32 v[0:1], s[2:3]
	;;#ASMSTART
	global_load_b128 v[0:3], v[0:1] off scope:SCOPE_DEV	
s_wait_loadcnt 0x0
	;;#ASMEND
	v_and_b32_e32 v4, 0xff, v2
	v_cmpx_eq_u64_e32 0, v[4:5]
	s_cbranch_execz .LBB1140_8
; %bb.3:
	v_mov_b64_e32 v[6:7], s[2:3]
	s_mov_b32 s2, 1
.LBB1140_4:                             ; =>This Loop Header: Depth=1
                                        ;     Child Loop BB1140_5 Depth 2
	s_delay_alu instid0(SALU_CYCLE_1)
	s_mov_b32 s3, s2
.LBB1140_5:                             ;   Parent Loop BB1140_4 Depth=1
                                        ; =>  This Inner Loop Header: Depth=2
	s_delay_alu instid0(SALU_CYCLE_1)
	s_add_co_i32 s3, s3, -1
	s_sleep 1
	s_cmp_eq_u32 s3, 0
	s_cbranch_scc0 .LBB1140_5
; %bb.6:                                ;   in Loop: Header=BB1140_4 Depth=1
	;;#ASMSTART
	global_load_b128 v[0:3], v[6:7] off scope:SCOPE_DEV	
s_wait_loadcnt 0x0
	;;#ASMEND
	v_and_b32_e32 v4, 0xff, v2
	s_cmp_lt_u32 s2, 32
	s_cselect_b32 s3, -1, 0
	s_delay_alu instid0(VALU_DEP_1) | instskip(SKIP_3) | instid1(SALU_CYCLE_1)
	v_cmp_ne_u64_e32 vcc_lo, 0, v[4:5]
	s_cmp_lg_u32 s3, 0
	s_add_co_ci_u32 s2, s2, 0
	s_or_b32 s1, vcc_lo, s1
	s_and_not1_b32 exec_lo, exec_lo, s1
	s_cbranch_execnz .LBB1140_4
; %bb.7:
	s_or_b32 exec_lo, exec_lo, s1
.LBB1140_8:
	s_delay_alu instid0(SALU_CYCLE_1)
	s_or_b32 exec_lo, exec_lo, s0
	v_mov_b32_e32 v2, 0
	s_clause 0x1
	global_store_b32 v2, v0, s[8:9]
	global_store_b8 v2, v1, s[8:9] offset:4
.LBB1140_9:
	s_wait_xcnt 0x0
	s_or_b32 exec_lo, exec_lo, s12
.LBB1140_10:
	s_delay_alu instid0(SALU_CYCLE_1) | instskip(NEXT) | instid1(VALU_DEP_1)
	s_mov_b32 s0, exec_lo
	v_cmpx_eq_u32_e32 0, v8
	s_cbranch_execz .LBB1140_12
; %bb.11:
	v_mov_b32_e32 v0, 0
	global_store_b32 v0, v0, s[10:11]
.LBB1140_12:
	s_wait_xcnt 0x0
	s_or_b32 exec_lo, exec_lo, s0
	s_delay_alu instid0(SALU_CYCLE_1)
	s_mov_b32 s0, exec_lo
	v_cmpx_gt_u32_e64 s6, v8
	s_cbranch_execz .LBB1140_14
; %bb.13:
	v_dual_mov_b32 v0, 0 :: v_dual_add_nc_u32 v4, 32, v8
	s_delay_alu instid0(VALU_DEP_1)
	v_dual_mov_b32 v1, v0 :: v_dual_mov_b32 v2, v0
	v_mov_b32_e32 v3, v0
	global_store_b128 v4, v[0:3], s[4:5] scale_offset
.LBB1140_14:
	s_wait_xcnt 0x0
	s_or_b32 exec_lo, exec_lo, s0
	s_delay_alu instid0(SALU_CYCLE_1)
	s_mov_b32 s0, exec_lo
	v_cmpx_gt_u32_e32 32, v8
	s_cbranch_execz .LBB1140_16
; %bb.15:
	v_mov_b32_e32 v0, 0
	s_delay_alu instid0(VALU_DEP_1)
	v_dual_mov_b32 v2, 0xff :: v_dual_mov_b32 v1, v0
	v_mov_b32_e32 v3, v0
	global_store_b128 v8, v[0:3], s[4:5] scale_offset
.LBB1140_16:
	s_endpgm
	.section	.rodata,"a",@progbits
	.p2align	6, 0x0
	.amdhsa_kernel _ZN7rocprim17ROCPRIM_400000_NS6detail30init_device_scan_by_key_kernelINS1_19lookback_scan_stateINS0_5tupleIJfbEEELb1ELb1EEENS1_16block_id_wrapperIjLb1EEEEEvT_jjPNS9_10value_typeET0_
		.amdhsa_group_segment_fixed_size 0
		.amdhsa_private_segment_fixed_size 0
		.amdhsa_kernarg_size 288
		.amdhsa_user_sgpr_count 2
		.amdhsa_user_sgpr_dispatch_ptr 0
		.amdhsa_user_sgpr_queue_ptr 0
		.amdhsa_user_sgpr_kernarg_segment_ptr 1
		.amdhsa_user_sgpr_dispatch_id 0
		.amdhsa_user_sgpr_kernarg_preload_length 0
		.amdhsa_user_sgpr_kernarg_preload_offset 0
		.amdhsa_user_sgpr_private_segment_size 0
		.amdhsa_wavefront_size32 1
		.amdhsa_uses_dynamic_stack 0
		.amdhsa_enable_private_segment 0
		.amdhsa_system_sgpr_workgroup_id_x 1
		.amdhsa_system_sgpr_workgroup_id_y 0
		.amdhsa_system_sgpr_workgroup_id_z 0
		.amdhsa_system_sgpr_workgroup_info 0
		.amdhsa_system_vgpr_workitem_id 0
		.amdhsa_next_free_vgpr 9
		.amdhsa_next_free_sgpr 13
		.amdhsa_named_barrier_count 0
		.amdhsa_reserve_vcc 1
		.amdhsa_float_round_mode_32 0
		.amdhsa_float_round_mode_16_64 0
		.amdhsa_float_denorm_mode_32 3
		.amdhsa_float_denorm_mode_16_64 3
		.amdhsa_fp16_overflow 0
		.amdhsa_memory_ordered 1
		.amdhsa_forward_progress 1
		.amdhsa_inst_pref_size 4
		.amdhsa_round_robin_scheduling 0
		.amdhsa_exception_fp_ieee_invalid_op 0
		.amdhsa_exception_fp_denorm_src 0
		.amdhsa_exception_fp_ieee_div_zero 0
		.amdhsa_exception_fp_ieee_overflow 0
		.amdhsa_exception_fp_ieee_underflow 0
		.amdhsa_exception_fp_ieee_inexact 0
		.amdhsa_exception_int_div_zero 0
	.end_amdhsa_kernel
	.section	.text._ZN7rocprim17ROCPRIM_400000_NS6detail30init_device_scan_by_key_kernelINS1_19lookback_scan_stateINS0_5tupleIJfbEEELb1ELb1EEENS1_16block_id_wrapperIjLb1EEEEEvT_jjPNS9_10value_typeET0_,"axG",@progbits,_ZN7rocprim17ROCPRIM_400000_NS6detail30init_device_scan_by_key_kernelINS1_19lookback_scan_stateINS0_5tupleIJfbEEELb1ELb1EEENS1_16block_id_wrapperIjLb1EEEEEvT_jjPNS9_10value_typeET0_,comdat
.Lfunc_end1140:
	.size	_ZN7rocprim17ROCPRIM_400000_NS6detail30init_device_scan_by_key_kernelINS1_19lookback_scan_stateINS0_5tupleIJfbEEELb1ELb1EEENS1_16block_id_wrapperIjLb1EEEEEvT_jjPNS9_10value_typeET0_, .Lfunc_end1140-_ZN7rocprim17ROCPRIM_400000_NS6detail30init_device_scan_by_key_kernelINS1_19lookback_scan_stateINS0_5tupleIJfbEEELb1ELb1EEENS1_16block_id_wrapperIjLb1EEEEEvT_jjPNS9_10value_typeET0_
                                        ; -- End function
	.set _ZN7rocprim17ROCPRIM_400000_NS6detail30init_device_scan_by_key_kernelINS1_19lookback_scan_stateINS0_5tupleIJfbEEELb1ELb1EEENS1_16block_id_wrapperIjLb1EEEEEvT_jjPNS9_10value_typeET0_.num_vgpr, 9
	.set _ZN7rocprim17ROCPRIM_400000_NS6detail30init_device_scan_by_key_kernelINS1_19lookback_scan_stateINS0_5tupleIJfbEEELb1ELb1EEENS1_16block_id_wrapperIjLb1EEEEEvT_jjPNS9_10value_typeET0_.num_agpr, 0
	.set _ZN7rocprim17ROCPRIM_400000_NS6detail30init_device_scan_by_key_kernelINS1_19lookback_scan_stateINS0_5tupleIJfbEEELb1ELb1EEENS1_16block_id_wrapperIjLb1EEEEEvT_jjPNS9_10value_typeET0_.numbered_sgpr, 13
	.set _ZN7rocprim17ROCPRIM_400000_NS6detail30init_device_scan_by_key_kernelINS1_19lookback_scan_stateINS0_5tupleIJfbEEELb1ELb1EEENS1_16block_id_wrapperIjLb1EEEEEvT_jjPNS9_10value_typeET0_.num_named_barrier, 0
	.set _ZN7rocprim17ROCPRIM_400000_NS6detail30init_device_scan_by_key_kernelINS1_19lookback_scan_stateINS0_5tupleIJfbEEELb1ELb1EEENS1_16block_id_wrapperIjLb1EEEEEvT_jjPNS9_10value_typeET0_.private_seg_size, 0
	.set _ZN7rocprim17ROCPRIM_400000_NS6detail30init_device_scan_by_key_kernelINS1_19lookback_scan_stateINS0_5tupleIJfbEEELb1ELb1EEENS1_16block_id_wrapperIjLb1EEEEEvT_jjPNS9_10value_typeET0_.uses_vcc, 1
	.set _ZN7rocprim17ROCPRIM_400000_NS6detail30init_device_scan_by_key_kernelINS1_19lookback_scan_stateINS0_5tupleIJfbEEELb1ELb1EEENS1_16block_id_wrapperIjLb1EEEEEvT_jjPNS9_10value_typeET0_.uses_flat_scratch, 0
	.set _ZN7rocprim17ROCPRIM_400000_NS6detail30init_device_scan_by_key_kernelINS1_19lookback_scan_stateINS0_5tupleIJfbEEELb1ELb1EEENS1_16block_id_wrapperIjLb1EEEEEvT_jjPNS9_10value_typeET0_.has_dyn_sized_stack, 0
	.set _ZN7rocprim17ROCPRIM_400000_NS6detail30init_device_scan_by_key_kernelINS1_19lookback_scan_stateINS0_5tupleIJfbEEELb1ELb1EEENS1_16block_id_wrapperIjLb1EEEEEvT_jjPNS9_10value_typeET0_.has_recursion, 0
	.set _ZN7rocprim17ROCPRIM_400000_NS6detail30init_device_scan_by_key_kernelINS1_19lookback_scan_stateINS0_5tupleIJfbEEELb1ELb1EEENS1_16block_id_wrapperIjLb1EEEEEvT_jjPNS9_10value_typeET0_.has_indirect_call, 0
	.section	.AMDGPU.csdata,"",@progbits
; Kernel info:
; codeLenInByte = 464
; TotalNumSgprs: 15
; NumVgprs: 9
; ScratchSize: 0
; MemoryBound: 0
; FloatMode: 240
; IeeeMode: 1
; LDSByteSize: 0 bytes/workgroup (compile time only)
; SGPRBlocks: 0
; VGPRBlocks: 0
; NumSGPRsForWavesPerEU: 15
; NumVGPRsForWavesPerEU: 9
; NamedBarCnt: 0
; Occupancy: 16
; WaveLimiterHint : 0
; COMPUTE_PGM_RSRC2:SCRATCH_EN: 0
; COMPUTE_PGM_RSRC2:USER_SGPR: 2
; COMPUTE_PGM_RSRC2:TRAP_HANDLER: 0
; COMPUTE_PGM_RSRC2:TGID_X_EN: 1
; COMPUTE_PGM_RSRC2:TGID_Y_EN: 0
; COMPUTE_PGM_RSRC2:TGID_Z_EN: 0
; COMPUTE_PGM_RSRC2:TIDIG_COMP_CNT: 0
	.section	.text._ZN7rocprim17ROCPRIM_400000_NS6detail17trampoline_kernelINS0_14default_configENS1_27scan_by_key_config_selectorIifEEZZNS1_16scan_by_key_implILNS1_25lookback_scan_determinismE0ELb0ES3_N6thrust23THRUST_200600_302600_NS6detail15normal_iteratorINS9_10device_ptrIiEEEENSB_INSC_IfEEEESG_fNS9_4plusIvEENS9_8equal_toIvEEfEE10hipError_tPvRmT2_T3_T4_T5_mT6_T7_P12ihipStream_tbENKUlT_T0_E_clISt17integral_constantIbLb1EES11_EEDaSW_SX_EUlSW_E_NS1_11comp_targetILNS1_3genE0ELNS1_11target_archE4294967295ELNS1_3gpuE0ELNS1_3repE0EEENS1_30default_config_static_selectorELNS0_4arch9wavefront6targetE0EEEvT1_,"axG",@progbits,_ZN7rocprim17ROCPRIM_400000_NS6detail17trampoline_kernelINS0_14default_configENS1_27scan_by_key_config_selectorIifEEZZNS1_16scan_by_key_implILNS1_25lookback_scan_determinismE0ELb0ES3_N6thrust23THRUST_200600_302600_NS6detail15normal_iteratorINS9_10device_ptrIiEEEENSB_INSC_IfEEEESG_fNS9_4plusIvEENS9_8equal_toIvEEfEE10hipError_tPvRmT2_T3_T4_T5_mT6_T7_P12ihipStream_tbENKUlT_T0_E_clISt17integral_constantIbLb1EES11_EEDaSW_SX_EUlSW_E_NS1_11comp_targetILNS1_3genE0ELNS1_11target_archE4294967295ELNS1_3gpuE0ELNS1_3repE0EEENS1_30default_config_static_selectorELNS0_4arch9wavefront6targetE0EEEvT1_,comdat
	.protected	_ZN7rocprim17ROCPRIM_400000_NS6detail17trampoline_kernelINS0_14default_configENS1_27scan_by_key_config_selectorIifEEZZNS1_16scan_by_key_implILNS1_25lookback_scan_determinismE0ELb0ES3_N6thrust23THRUST_200600_302600_NS6detail15normal_iteratorINS9_10device_ptrIiEEEENSB_INSC_IfEEEESG_fNS9_4plusIvEENS9_8equal_toIvEEfEE10hipError_tPvRmT2_T3_T4_T5_mT6_T7_P12ihipStream_tbENKUlT_T0_E_clISt17integral_constantIbLb1EES11_EEDaSW_SX_EUlSW_E_NS1_11comp_targetILNS1_3genE0ELNS1_11target_archE4294967295ELNS1_3gpuE0ELNS1_3repE0EEENS1_30default_config_static_selectorELNS0_4arch9wavefront6targetE0EEEvT1_ ; -- Begin function _ZN7rocprim17ROCPRIM_400000_NS6detail17trampoline_kernelINS0_14default_configENS1_27scan_by_key_config_selectorIifEEZZNS1_16scan_by_key_implILNS1_25lookback_scan_determinismE0ELb0ES3_N6thrust23THRUST_200600_302600_NS6detail15normal_iteratorINS9_10device_ptrIiEEEENSB_INSC_IfEEEESG_fNS9_4plusIvEENS9_8equal_toIvEEfEE10hipError_tPvRmT2_T3_T4_T5_mT6_T7_P12ihipStream_tbENKUlT_T0_E_clISt17integral_constantIbLb1EES11_EEDaSW_SX_EUlSW_E_NS1_11comp_targetILNS1_3genE0ELNS1_11target_archE4294967295ELNS1_3gpuE0ELNS1_3repE0EEENS1_30default_config_static_selectorELNS0_4arch9wavefront6targetE0EEEvT1_
	.globl	_ZN7rocprim17ROCPRIM_400000_NS6detail17trampoline_kernelINS0_14default_configENS1_27scan_by_key_config_selectorIifEEZZNS1_16scan_by_key_implILNS1_25lookback_scan_determinismE0ELb0ES3_N6thrust23THRUST_200600_302600_NS6detail15normal_iteratorINS9_10device_ptrIiEEEENSB_INSC_IfEEEESG_fNS9_4plusIvEENS9_8equal_toIvEEfEE10hipError_tPvRmT2_T3_T4_T5_mT6_T7_P12ihipStream_tbENKUlT_T0_E_clISt17integral_constantIbLb1EES11_EEDaSW_SX_EUlSW_E_NS1_11comp_targetILNS1_3genE0ELNS1_11target_archE4294967295ELNS1_3gpuE0ELNS1_3repE0EEENS1_30default_config_static_selectorELNS0_4arch9wavefront6targetE0EEEvT1_
	.p2align	8
	.type	_ZN7rocprim17ROCPRIM_400000_NS6detail17trampoline_kernelINS0_14default_configENS1_27scan_by_key_config_selectorIifEEZZNS1_16scan_by_key_implILNS1_25lookback_scan_determinismE0ELb0ES3_N6thrust23THRUST_200600_302600_NS6detail15normal_iteratorINS9_10device_ptrIiEEEENSB_INSC_IfEEEESG_fNS9_4plusIvEENS9_8equal_toIvEEfEE10hipError_tPvRmT2_T3_T4_T5_mT6_T7_P12ihipStream_tbENKUlT_T0_E_clISt17integral_constantIbLb1EES11_EEDaSW_SX_EUlSW_E_NS1_11comp_targetILNS1_3genE0ELNS1_11target_archE4294967295ELNS1_3gpuE0ELNS1_3repE0EEENS1_30default_config_static_selectorELNS0_4arch9wavefront6targetE0EEEvT1_,@function
_ZN7rocprim17ROCPRIM_400000_NS6detail17trampoline_kernelINS0_14default_configENS1_27scan_by_key_config_selectorIifEEZZNS1_16scan_by_key_implILNS1_25lookback_scan_determinismE0ELb0ES3_N6thrust23THRUST_200600_302600_NS6detail15normal_iteratorINS9_10device_ptrIiEEEENSB_INSC_IfEEEESG_fNS9_4plusIvEENS9_8equal_toIvEEfEE10hipError_tPvRmT2_T3_T4_T5_mT6_T7_P12ihipStream_tbENKUlT_T0_E_clISt17integral_constantIbLb1EES11_EEDaSW_SX_EUlSW_E_NS1_11comp_targetILNS1_3genE0ELNS1_11target_archE4294967295ELNS1_3gpuE0ELNS1_3repE0EEENS1_30default_config_static_selectorELNS0_4arch9wavefront6targetE0EEEvT1_: ; @_ZN7rocprim17ROCPRIM_400000_NS6detail17trampoline_kernelINS0_14default_configENS1_27scan_by_key_config_selectorIifEEZZNS1_16scan_by_key_implILNS1_25lookback_scan_determinismE0ELb0ES3_N6thrust23THRUST_200600_302600_NS6detail15normal_iteratorINS9_10device_ptrIiEEEENSB_INSC_IfEEEESG_fNS9_4plusIvEENS9_8equal_toIvEEfEE10hipError_tPvRmT2_T3_T4_T5_mT6_T7_P12ihipStream_tbENKUlT_T0_E_clISt17integral_constantIbLb1EES11_EEDaSW_SX_EUlSW_E_NS1_11comp_targetILNS1_3genE0ELNS1_11target_archE4294967295ELNS1_3gpuE0ELNS1_3repE0EEENS1_30default_config_static_selectorELNS0_4arch9wavefront6targetE0EEEvT1_
; %bb.0:
	s_endpgm
	.section	.rodata,"a",@progbits
	.p2align	6, 0x0
	.amdhsa_kernel _ZN7rocprim17ROCPRIM_400000_NS6detail17trampoline_kernelINS0_14default_configENS1_27scan_by_key_config_selectorIifEEZZNS1_16scan_by_key_implILNS1_25lookback_scan_determinismE0ELb0ES3_N6thrust23THRUST_200600_302600_NS6detail15normal_iteratorINS9_10device_ptrIiEEEENSB_INSC_IfEEEESG_fNS9_4plusIvEENS9_8equal_toIvEEfEE10hipError_tPvRmT2_T3_T4_T5_mT6_T7_P12ihipStream_tbENKUlT_T0_E_clISt17integral_constantIbLb1EES11_EEDaSW_SX_EUlSW_E_NS1_11comp_targetILNS1_3genE0ELNS1_11target_archE4294967295ELNS1_3gpuE0ELNS1_3repE0EEENS1_30default_config_static_selectorELNS0_4arch9wavefront6targetE0EEEvT1_
		.amdhsa_group_segment_fixed_size 0
		.amdhsa_private_segment_fixed_size 0
		.amdhsa_kernarg_size 112
		.amdhsa_user_sgpr_count 2
		.amdhsa_user_sgpr_dispatch_ptr 0
		.amdhsa_user_sgpr_queue_ptr 0
		.amdhsa_user_sgpr_kernarg_segment_ptr 1
		.amdhsa_user_sgpr_dispatch_id 0
		.amdhsa_user_sgpr_kernarg_preload_length 0
		.amdhsa_user_sgpr_kernarg_preload_offset 0
		.amdhsa_user_sgpr_private_segment_size 0
		.amdhsa_wavefront_size32 1
		.amdhsa_uses_dynamic_stack 0
		.amdhsa_enable_private_segment 0
		.amdhsa_system_sgpr_workgroup_id_x 1
		.amdhsa_system_sgpr_workgroup_id_y 0
		.amdhsa_system_sgpr_workgroup_id_z 0
		.amdhsa_system_sgpr_workgroup_info 0
		.amdhsa_system_vgpr_workitem_id 0
		.amdhsa_next_free_vgpr 1
		.amdhsa_next_free_sgpr 1
		.amdhsa_named_barrier_count 0
		.amdhsa_reserve_vcc 0
		.amdhsa_float_round_mode_32 0
		.amdhsa_float_round_mode_16_64 0
		.amdhsa_float_denorm_mode_32 3
		.amdhsa_float_denorm_mode_16_64 3
		.amdhsa_fp16_overflow 0
		.amdhsa_memory_ordered 1
		.amdhsa_forward_progress 1
		.amdhsa_inst_pref_size 1
		.amdhsa_round_robin_scheduling 0
		.amdhsa_exception_fp_ieee_invalid_op 0
		.amdhsa_exception_fp_denorm_src 0
		.amdhsa_exception_fp_ieee_div_zero 0
		.amdhsa_exception_fp_ieee_overflow 0
		.amdhsa_exception_fp_ieee_underflow 0
		.amdhsa_exception_fp_ieee_inexact 0
		.amdhsa_exception_int_div_zero 0
	.end_amdhsa_kernel
	.section	.text._ZN7rocprim17ROCPRIM_400000_NS6detail17trampoline_kernelINS0_14default_configENS1_27scan_by_key_config_selectorIifEEZZNS1_16scan_by_key_implILNS1_25lookback_scan_determinismE0ELb0ES3_N6thrust23THRUST_200600_302600_NS6detail15normal_iteratorINS9_10device_ptrIiEEEENSB_INSC_IfEEEESG_fNS9_4plusIvEENS9_8equal_toIvEEfEE10hipError_tPvRmT2_T3_T4_T5_mT6_T7_P12ihipStream_tbENKUlT_T0_E_clISt17integral_constantIbLb1EES11_EEDaSW_SX_EUlSW_E_NS1_11comp_targetILNS1_3genE0ELNS1_11target_archE4294967295ELNS1_3gpuE0ELNS1_3repE0EEENS1_30default_config_static_selectorELNS0_4arch9wavefront6targetE0EEEvT1_,"axG",@progbits,_ZN7rocprim17ROCPRIM_400000_NS6detail17trampoline_kernelINS0_14default_configENS1_27scan_by_key_config_selectorIifEEZZNS1_16scan_by_key_implILNS1_25lookback_scan_determinismE0ELb0ES3_N6thrust23THRUST_200600_302600_NS6detail15normal_iteratorINS9_10device_ptrIiEEEENSB_INSC_IfEEEESG_fNS9_4plusIvEENS9_8equal_toIvEEfEE10hipError_tPvRmT2_T3_T4_T5_mT6_T7_P12ihipStream_tbENKUlT_T0_E_clISt17integral_constantIbLb1EES11_EEDaSW_SX_EUlSW_E_NS1_11comp_targetILNS1_3genE0ELNS1_11target_archE4294967295ELNS1_3gpuE0ELNS1_3repE0EEENS1_30default_config_static_selectorELNS0_4arch9wavefront6targetE0EEEvT1_,comdat
.Lfunc_end1141:
	.size	_ZN7rocprim17ROCPRIM_400000_NS6detail17trampoline_kernelINS0_14default_configENS1_27scan_by_key_config_selectorIifEEZZNS1_16scan_by_key_implILNS1_25lookback_scan_determinismE0ELb0ES3_N6thrust23THRUST_200600_302600_NS6detail15normal_iteratorINS9_10device_ptrIiEEEENSB_INSC_IfEEEESG_fNS9_4plusIvEENS9_8equal_toIvEEfEE10hipError_tPvRmT2_T3_T4_T5_mT6_T7_P12ihipStream_tbENKUlT_T0_E_clISt17integral_constantIbLb1EES11_EEDaSW_SX_EUlSW_E_NS1_11comp_targetILNS1_3genE0ELNS1_11target_archE4294967295ELNS1_3gpuE0ELNS1_3repE0EEENS1_30default_config_static_selectorELNS0_4arch9wavefront6targetE0EEEvT1_, .Lfunc_end1141-_ZN7rocprim17ROCPRIM_400000_NS6detail17trampoline_kernelINS0_14default_configENS1_27scan_by_key_config_selectorIifEEZZNS1_16scan_by_key_implILNS1_25lookback_scan_determinismE0ELb0ES3_N6thrust23THRUST_200600_302600_NS6detail15normal_iteratorINS9_10device_ptrIiEEEENSB_INSC_IfEEEESG_fNS9_4plusIvEENS9_8equal_toIvEEfEE10hipError_tPvRmT2_T3_T4_T5_mT6_T7_P12ihipStream_tbENKUlT_T0_E_clISt17integral_constantIbLb1EES11_EEDaSW_SX_EUlSW_E_NS1_11comp_targetILNS1_3genE0ELNS1_11target_archE4294967295ELNS1_3gpuE0ELNS1_3repE0EEENS1_30default_config_static_selectorELNS0_4arch9wavefront6targetE0EEEvT1_
                                        ; -- End function
	.set _ZN7rocprim17ROCPRIM_400000_NS6detail17trampoline_kernelINS0_14default_configENS1_27scan_by_key_config_selectorIifEEZZNS1_16scan_by_key_implILNS1_25lookback_scan_determinismE0ELb0ES3_N6thrust23THRUST_200600_302600_NS6detail15normal_iteratorINS9_10device_ptrIiEEEENSB_INSC_IfEEEESG_fNS9_4plusIvEENS9_8equal_toIvEEfEE10hipError_tPvRmT2_T3_T4_T5_mT6_T7_P12ihipStream_tbENKUlT_T0_E_clISt17integral_constantIbLb1EES11_EEDaSW_SX_EUlSW_E_NS1_11comp_targetILNS1_3genE0ELNS1_11target_archE4294967295ELNS1_3gpuE0ELNS1_3repE0EEENS1_30default_config_static_selectorELNS0_4arch9wavefront6targetE0EEEvT1_.num_vgpr, 0
	.set _ZN7rocprim17ROCPRIM_400000_NS6detail17trampoline_kernelINS0_14default_configENS1_27scan_by_key_config_selectorIifEEZZNS1_16scan_by_key_implILNS1_25lookback_scan_determinismE0ELb0ES3_N6thrust23THRUST_200600_302600_NS6detail15normal_iteratorINS9_10device_ptrIiEEEENSB_INSC_IfEEEESG_fNS9_4plusIvEENS9_8equal_toIvEEfEE10hipError_tPvRmT2_T3_T4_T5_mT6_T7_P12ihipStream_tbENKUlT_T0_E_clISt17integral_constantIbLb1EES11_EEDaSW_SX_EUlSW_E_NS1_11comp_targetILNS1_3genE0ELNS1_11target_archE4294967295ELNS1_3gpuE0ELNS1_3repE0EEENS1_30default_config_static_selectorELNS0_4arch9wavefront6targetE0EEEvT1_.num_agpr, 0
	.set _ZN7rocprim17ROCPRIM_400000_NS6detail17trampoline_kernelINS0_14default_configENS1_27scan_by_key_config_selectorIifEEZZNS1_16scan_by_key_implILNS1_25lookback_scan_determinismE0ELb0ES3_N6thrust23THRUST_200600_302600_NS6detail15normal_iteratorINS9_10device_ptrIiEEEENSB_INSC_IfEEEESG_fNS9_4plusIvEENS9_8equal_toIvEEfEE10hipError_tPvRmT2_T3_T4_T5_mT6_T7_P12ihipStream_tbENKUlT_T0_E_clISt17integral_constantIbLb1EES11_EEDaSW_SX_EUlSW_E_NS1_11comp_targetILNS1_3genE0ELNS1_11target_archE4294967295ELNS1_3gpuE0ELNS1_3repE0EEENS1_30default_config_static_selectorELNS0_4arch9wavefront6targetE0EEEvT1_.numbered_sgpr, 0
	.set _ZN7rocprim17ROCPRIM_400000_NS6detail17trampoline_kernelINS0_14default_configENS1_27scan_by_key_config_selectorIifEEZZNS1_16scan_by_key_implILNS1_25lookback_scan_determinismE0ELb0ES3_N6thrust23THRUST_200600_302600_NS6detail15normal_iteratorINS9_10device_ptrIiEEEENSB_INSC_IfEEEESG_fNS9_4plusIvEENS9_8equal_toIvEEfEE10hipError_tPvRmT2_T3_T4_T5_mT6_T7_P12ihipStream_tbENKUlT_T0_E_clISt17integral_constantIbLb1EES11_EEDaSW_SX_EUlSW_E_NS1_11comp_targetILNS1_3genE0ELNS1_11target_archE4294967295ELNS1_3gpuE0ELNS1_3repE0EEENS1_30default_config_static_selectorELNS0_4arch9wavefront6targetE0EEEvT1_.num_named_barrier, 0
	.set _ZN7rocprim17ROCPRIM_400000_NS6detail17trampoline_kernelINS0_14default_configENS1_27scan_by_key_config_selectorIifEEZZNS1_16scan_by_key_implILNS1_25lookback_scan_determinismE0ELb0ES3_N6thrust23THRUST_200600_302600_NS6detail15normal_iteratorINS9_10device_ptrIiEEEENSB_INSC_IfEEEESG_fNS9_4plusIvEENS9_8equal_toIvEEfEE10hipError_tPvRmT2_T3_T4_T5_mT6_T7_P12ihipStream_tbENKUlT_T0_E_clISt17integral_constantIbLb1EES11_EEDaSW_SX_EUlSW_E_NS1_11comp_targetILNS1_3genE0ELNS1_11target_archE4294967295ELNS1_3gpuE0ELNS1_3repE0EEENS1_30default_config_static_selectorELNS0_4arch9wavefront6targetE0EEEvT1_.private_seg_size, 0
	.set _ZN7rocprim17ROCPRIM_400000_NS6detail17trampoline_kernelINS0_14default_configENS1_27scan_by_key_config_selectorIifEEZZNS1_16scan_by_key_implILNS1_25lookback_scan_determinismE0ELb0ES3_N6thrust23THRUST_200600_302600_NS6detail15normal_iteratorINS9_10device_ptrIiEEEENSB_INSC_IfEEEESG_fNS9_4plusIvEENS9_8equal_toIvEEfEE10hipError_tPvRmT2_T3_T4_T5_mT6_T7_P12ihipStream_tbENKUlT_T0_E_clISt17integral_constantIbLb1EES11_EEDaSW_SX_EUlSW_E_NS1_11comp_targetILNS1_3genE0ELNS1_11target_archE4294967295ELNS1_3gpuE0ELNS1_3repE0EEENS1_30default_config_static_selectorELNS0_4arch9wavefront6targetE0EEEvT1_.uses_vcc, 0
	.set _ZN7rocprim17ROCPRIM_400000_NS6detail17trampoline_kernelINS0_14default_configENS1_27scan_by_key_config_selectorIifEEZZNS1_16scan_by_key_implILNS1_25lookback_scan_determinismE0ELb0ES3_N6thrust23THRUST_200600_302600_NS6detail15normal_iteratorINS9_10device_ptrIiEEEENSB_INSC_IfEEEESG_fNS9_4plusIvEENS9_8equal_toIvEEfEE10hipError_tPvRmT2_T3_T4_T5_mT6_T7_P12ihipStream_tbENKUlT_T0_E_clISt17integral_constantIbLb1EES11_EEDaSW_SX_EUlSW_E_NS1_11comp_targetILNS1_3genE0ELNS1_11target_archE4294967295ELNS1_3gpuE0ELNS1_3repE0EEENS1_30default_config_static_selectorELNS0_4arch9wavefront6targetE0EEEvT1_.uses_flat_scratch, 0
	.set _ZN7rocprim17ROCPRIM_400000_NS6detail17trampoline_kernelINS0_14default_configENS1_27scan_by_key_config_selectorIifEEZZNS1_16scan_by_key_implILNS1_25lookback_scan_determinismE0ELb0ES3_N6thrust23THRUST_200600_302600_NS6detail15normal_iteratorINS9_10device_ptrIiEEEENSB_INSC_IfEEEESG_fNS9_4plusIvEENS9_8equal_toIvEEfEE10hipError_tPvRmT2_T3_T4_T5_mT6_T7_P12ihipStream_tbENKUlT_T0_E_clISt17integral_constantIbLb1EES11_EEDaSW_SX_EUlSW_E_NS1_11comp_targetILNS1_3genE0ELNS1_11target_archE4294967295ELNS1_3gpuE0ELNS1_3repE0EEENS1_30default_config_static_selectorELNS0_4arch9wavefront6targetE0EEEvT1_.has_dyn_sized_stack, 0
	.set _ZN7rocprim17ROCPRIM_400000_NS6detail17trampoline_kernelINS0_14default_configENS1_27scan_by_key_config_selectorIifEEZZNS1_16scan_by_key_implILNS1_25lookback_scan_determinismE0ELb0ES3_N6thrust23THRUST_200600_302600_NS6detail15normal_iteratorINS9_10device_ptrIiEEEENSB_INSC_IfEEEESG_fNS9_4plusIvEENS9_8equal_toIvEEfEE10hipError_tPvRmT2_T3_T4_T5_mT6_T7_P12ihipStream_tbENKUlT_T0_E_clISt17integral_constantIbLb1EES11_EEDaSW_SX_EUlSW_E_NS1_11comp_targetILNS1_3genE0ELNS1_11target_archE4294967295ELNS1_3gpuE0ELNS1_3repE0EEENS1_30default_config_static_selectorELNS0_4arch9wavefront6targetE0EEEvT1_.has_recursion, 0
	.set _ZN7rocprim17ROCPRIM_400000_NS6detail17trampoline_kernelINS0_14default_configENS1_27scan_by_key_config_selectorIifEEZZNS1_16scan_by_key_implILNS1_25lookback_scan_determinismE0ELb0ES3_N6thrust23THRUST_200600_302600_NS6detail15normal_iteratorINS9_10device_ptrIiEEEENSB_INSC_IfEEEESG_fNS9_4plusIvEENS9_8equal_toIvEEfEE10hipError_tPvRmT2_T3_T4_T5_mT6_T7_P12ihipStream_tbENKUlT_T0_E_clISt17integral_constantIbLb1EES11_EEDaSW_SX_EUlSW_E_NS1_11comp_targetILNS1_3genE0ELNS1_11target_archE4294967295ELNS1_3gpuE0ELNS1_3repE0EEENS1_30default_config_static_selectorELNS0_4arch9wavefront6targetE0EEEvT1_.has_indirect_call, 0
	.section	.AMDGPU.csdata,"",@progbits
; Kernel info:
; codeLenInByte = 4
; TotalNumSgprs: 0
; NumVgprs: 0
; ScratchSize: 0
; MemoryBound: 0
; FloatMode: 240
; IeeeMode: 1
; LDSByteSize: 0 bytes/workgroup (compile time only)
; SGPRBlocks: 0
; VGPRBlocks: 0
; NumSGPRsForWavesPerEU: 1
; NumVGPRsForWavesPerEU: 1
; NamedBarCnt: 0
; Occupancy: 16
; WaveLimiterHint : 0
; COMPUTE_PGM_RSRC2:SCRATCH_EN: 0
; COMPUTE_PGM_RSRC2:USER_SGPR: 2
; COMPUTE_PGM_RSRC2:TRAP_HANDLER: 0
; COMPUTE_PGM_RSRC2:TGID_X_EN: 1
; COMPUTE_PGM_RSRC2:TGID_Y_EN: 0
; COMPUTE_PGM_RSRC2:TGID_Z_EN: 0
; COMPUTE_PGM_RSRC2:TIDIG_COMP_CNT: 0
	.section	.text._ZN7rocprim17ROCPRIM_400000_NS6detail17trampoline_kernelINS0_14default_configENS1_27scan_by_key_config_selectorIifEEZZNS1_16scan_by_key_implILNS1_25lookback_scan_determinismE0ELb0ES3_N6thrust23THRUST_200600_302600_NS6detail15normal_iteratorINS9_10device_ptrIiEEEENSB_INSC_IfEEEESG_fNS9_4plusIvEENS9_8equal_toIvEEfEE10hipError_tPvRmT2_T3_T4_T5_mT6_T7_P12ihipStream_tbENKUlT_T0_E_clISt17integral_constantIbLb1EES11_EEDaSW_SX_EUlSW_E_NS1_11comp_targetILNS1_3genE10ELNS1_11target_archE1201ELNS1_3gpuE5ELNS1_3repE0EEENS1_30default_config_static_selectorELNS0_4arch9wavefront6targetE0EEEvT1_,"axG",@progbits,_ZN7rocprim17ROCPRIM_400000_NS6detail17trampoline_kernelINS0_14default_configENS1_27scan_by_key_config_selectorIifEEZZNS1_16scan_by_key_implILNS1_25lookback_scan_determinismE0ELb0ES3_N6thrust23THRUST_200600_302600_NS6detail15normal_iteratorINS9_10device_ptrIiEEEENSB_INSC_IfEEEESG_fNS9_4plusIvEENS9_8equal_toIvEEfEE10hipError_tPvRmT2_T3_T4_T5_mT6_T7_P12ihipStream_tbENKUlT_T0_E_clISt17integral_constantIbLb1EES11_EEDaSW_SX_EUlSW_E_NS1_11comp_targetILNS1_3genE10ELNS1_11target_archE1201ELNS1_3gpuE5ELNS1_3repE0EEENS1_30default_config_static_selectorELNS0_4arch9wavefront6targetE0EEEvT1_,comdat
	.protected	_ZN7rocprim17ROCPRIM_400000_NS6detail17trampoline_kernelINS0_14default_configENS1_27scan_by_key_config_selectorIifEEZZNS1_16scan_by_key_implILNS1_25lookback_scan_determinismE0ELb0ES3_N6thrust23THRUST_200600_302600_NS6detail15normal_iteratorINS9_10device_ptrIiEEEENSB_INSC_IfEEEESG_fNS9_4plusIvEENS9_8equal_toIvEEfEE10hipError_tPvRmT2_T3_T4_T5_mT6_T7_P12ihipStream_tbENKUlT_T0_E_clISt17integral_constantIbLb1EES11_EEDaSW_SX_EUlSW_E_NS1_11comp_targetILNS1_3genE10ELNS1_11target_archE1201ELNS1_3gpuE5ELNS1_3repE0EEENS1_30default_config_static_selectorELNS0_4arch9wavefront6targetE0EEEvT1_ ; -- Begin function _ZN7rocprim17ROCPRIM_400000_NS6detail17trampoline_kernelINS0_14default_configENS1_27scan_by_key_config_selectorIifEEZZNS1_16scan_by_key_implILNS1_25lookback_scan_determinismE0ELb0ES3_N6thrust23THRUST_200600_302600_NS6detail15normal_iteratorINS9_10device_ptrIiEEEENSB_INSC_IfEEEESG_fNS9_4plusIvEENS9_8equal_toIvEEfEE10hipError_tPvRmT2_T3_T4_T5_mT6_T7_P12ihipStream_tbENKUlT_T0_E_clISt17integral_constantIbLb1EES11_EEDaSW_SX_EUlSW_E_NS1_11comp_targetILNS1_3genE10ELNS1_11target_archE1201ELNS1_3gpuE5ELNS1_3repE0EEENS1_30default_config_static_selectorELNS0_4arch9wavefront6targetE0EEEvT1_
	.globl	_ZN7rocprim17ROCPRIM_400000_NS6detail17trampoline_kernelINS0_14default_configENS1_27scan_by_key_config_selectorIifEEZZNS1_16scan_by_key_implILNS1_25lookback_scan_determinismE0ELb0ES3_N6thrust23THRUST_200600_302600_NS6detail15normal_iteratorINS9_10device_ptrIiEEEENSB_INSC_IfEEEESG_fNS9_4plusIvEENS9_8equal_toIvEEfEE10hipError_tPvRmT2_T3_T4_T5_mT6_T7_P12ihipStream_tbENKUlT_T0_E_clISt17integral_constantIbLb1EES11_EEDaSW_SX_EUlSW_E_NS1_11comp_targetILNS1_3genE10ELNS1_11target_archE1201ELNS1_3gpuE5ELNS1_3repE0EEENS1_30default_config_static_selectorELNS0_4arch9wavefront6targetE0EEEvT1_
	.p2align	8
	.type	_ZN7rocprim17ROCPRIM_400000_NS6detail17trampoline_kernelINS0_14default_configENS1_27scan_by_key_config_selectorIifEEZZNS1_16scan_by_key_implILNS1_25lookback_scan_determinismE0ELb0ES3_N6thrust23THRUST_200600_302600_NS6detail15normal_iteratorINS9_10device_ptrIiEEEENSB_INSC_IfEEEESG_fNS9_4plusIvEENS9_8equal_toIvEEfEE10hipError_tPvRmT2_T3_T4_T5_mT6_T7_P12ihipStream_tbENKUlT_T0_E_clISt17integral_constantIbLb1EES11_EEDaSW_SX_EUlSW_E_NS1_11comp_targetILNS1_3genE10ELNS1_11target_archE1201ELNS1_3gpuE5ELNS1_3repE0EEENS1_30default_config_static_selectorELNS0_4arch9wavefront6targetE0EEEvT1_,@function
_ZN7rocprim17ROCPRIM_400000_NS6detail17trampoline_kernelINS0_14default_configENS1_27scan_by_key_config_selectorIifEEZZNS1_16scan_by_key_implILNS1_25lookback_scan_determinismE0ELb0ES3_N6thrust23THRUST_200600_302600_NS6detail15normal_iteratorINS9_10device_ptrIiEEEENSB_INSC_IfEEEESG_fNS9_4plusIvEENS9_8equal_toIvEEfEE10hipError_tPvRmT2_T3_T4_T5_mT6_T7_P12ihipStream_tbENKUlT_T0_E_clISt17integral_constantIbLb1EES11_EEDaSW_SX_EUlSW_E_NS1_11comp_targetILNS1_3genE10ELNS1_11target_archE1201ELNS1_3gpuE5ELNS1_3repE0EEENS1_30default_config_static_selectorELNS0_4arch9wavefront6targetE0EEEvT1_: ; @_ZN7rocprim17ROCPRIM_400000_NS6detail17trampoline_kernelINS0_14default_configENS1_27scan_by_key_config_selectorIifEEZZNS1_16scan_by_key_implILNS1_25lookback_scan_determinismE0ELb0ES3_N6thrust23THRUST_200600_302600_NS6detail15normal_iteratorINS9_10device_ptrIiEEEENSB_INSC_IfEEEESG_fNS9_4plusIvEENS9_8equal_toIvEEfEE10hipError_tPvRmT2_T3_T4_T5_mT6_T7_P12ihipStream_tbENKUlT_T0_E_clISt17integral_constantIbLb1EES11_EEDaSW_SX_EUlSW_E_NS1_11comp_targetILNS1_3genE10ELNS1_11target_archE1201ELNS1_3gpuE5ELNS1_3repE0EEENS1_30default_config_static_selectorELNS0_4arch9wavefront6targetE0EEEvT1_
; %bb.0:
	.section	.rodata,"a",@progbits
	.p2align	6, 0x0
	.amdhsa_kernel _ZN7rocprim17ROCPRIM_400000_NS6detail17trampoline_kernelINS0_14default_configENS1_27scan_by_key_config_selectorIifEEZZNS1_16scan_by_key_implILNS1_25lookback_scan_determinismE0ELb0ES3_N6thrust23THRUST_200600_302600_NS6detail15normal_iteratorINS9_10device_ptrIiEEEENSB_INSC_IfEEEESG_fNS9_4plusIvEENS9_8equal_toIvEEfEE10hipError_tPvRmT2_T3_T4_T5_mT6_T7_P12ihipStream_tbENKUlT_T0_E_clISt17integral_constantIbLb1EES11_EEDaSW_SX_EUlSW_E_NS1_11comp_targetILNS1_3genE10ELNS1_11target_archE1201ELNS1_3gpuE5ELNS1_3repE0EEENS1_30default_config_static_selectorELNS0_4arch9wavefront6targetE0EEEvT1_
		.amdhsa_group_segment_fixed_size 0
		.amdhsa_private_segment_fixed_size 0
		.amdhsa_kernarg_size 112
		.amdhsa_user_sgpr_count 2
		.amdhsa_user_sgpr_dispatch_ptr 0
		.amdhsa_user_sgpr_queue_ptr 0
		.amdhsa_user_sgpr_kernarg_segment_ptr 1
		.amdhsa_user_sgpr_dispatch_id 0
		.amdhsa_user_sgpr_kernarg_preload_length 0
		.amdhsa_user_sgpr_kernarg_preload_offset 0
		.amdhsa_user_sgpr_private_segment_size 0
		.amdhsa_wavefront_size32 1
		.amdhsa_uses_dynamic_stack 0
		.amdhsa_enable_private_segment 0
		.amdhsa_system_sgpr_workgroup_id_x 1
		.amdhsa_system_sgpr_workgroup_id_y 0
		.amdhsa_system_sgpr_workgroup_id_z 0
		.amdhsa_system_sgpr_workgroup_info 0
		.amdhsa_system_vgpr_workitem_id 0
		.amdhsa_next_free_vgpr 1
		.amdhsa_next_free_sgpr 1
		.amdhsa_named_barrier_count 0
		.amdhsa_reserve_vcc 0
		.amdhsa_float_round_mode_32 0
		.amdhsa_float_round_mode_16_64 0
		.amdhsa_float_denorm_mode_32 3
		.amdhsa_float_denorm_mode_16_64 3
		.amdhsa_fp16_overflow 0
		.amdhsa_memory_ordered 1
		.amdhsa_forward_progress 1
		.amdhsa_inst_pref_size 0
		.amdhsa_round_robin_scheduling 0
		.amdhsa_exception_fp_ieee_invalid_op 0
		.amdhsa_exception_fp_denorm_src 0
		.amdhsa_exception_fp_ieee_div_zero 0
		.amdhsa_exception_fp_ieee_overflow 0
		.amdhsa_exception_fp_ieee_underflow 0
		.amdhsa_exception_fp_ieee_inexact 0
		.amdhsa_exception_int_div_zero 0
	.end_amdhsa_kernel
	.section	.text._ZN7rocprim17ROCPRIM_400000_NS6detail17trampoline_kernelINS0_14default_configENS1_27scan_by_key_config_selectorIifEEZZNS1_16scan_by_key_implILNS1_25lookback_scan_determinismE0ELb0ES3_N6thrust23THRUST_200600_302600_NS6detail15normal_iteratorINS9_10device_ptrIiEEEENSB_INSC_IfEEEESG_fNS9_4plusIvEENS9_8equal_toIvEEfEE10hipError_tPvRmT2_T3_T4_T5_mT6_T7_P12ihipStream_tbENKUlT_T0_E_clISt17integral_constantIbLb1EES11_EEDaSW_SX_EUlSW_E_NS1_11comp_targetILNS1_3genE10ELNS1_11target_archE1201ELNS1_3gpuE5ELNS1_3repE0EEENS1_30default_config_static_selectorELNS0_4arch9wavefront6targetE0EEEvT1_,"axG",@progbits,_ZN7rocprim17ROCPRIM_400000_NS6detail17trampoline_kernelINS0_14default_configENS1_27scan_by_key_config_selectorIifEEZZNS1_16scan_by_key_implILNS1_25lookback_scan_determinismE0ELb0ES3_N6thrust23THRUST_200600_302600_NS6detail15normal_iteratorINS9_10device_ptrIiEEEENSB_INSC_IfEEEESG_fNS9_4plusIvEENS9_8equal_toIvEEfEE10hipError_tPvRmT2_T3_T4_T5_mT6_T7_P12ihipStream_tbENKUlT_T0_E_clISt17integral_constantIbLb1EES11_EEDaSW_SX_EUlSW_E_NS1_11comp_targetILNS1_3genE10ELNS1_11target_archE1201ELNS1_3gpuE5ELNS1_3repE0EEENS1_30default_config_static_selectorELNS0_4arch9wavefront6targetE0EEEvT1_,comdat
.Lfunc_end1142:
	.size	_ZN7rocprim17ROCPRIM_400000_NS6detail17trampoline_kernelINS0_14default_configENS1_27scan_by_key_config_selectorIifEEZZNS1_16scan_by_key_implILNS1_25lookback_scan_determinismE0ELb0ES3_N6thrust23THRUST_200600_302600_NS6detail15normal_iteratorINS9_10device_ptrIiEEEENSB_INSC_IfEEEESG_fNS9_4plusIvEENS9_8equal_toIvEEfEE10hipError_tPvRmT2_T3_T4_T5_mT6_T7_P12ihipStream_tbENKUlT_T0_E_clISt17integral_constantIbLb1EES11_EEDaSW_SX_EUlSW_E_NS1_11comp_targetILNS1_3genE10ELNS1_11target_archE1201ELNS1_3gpuE5ELNS1_3repE0EEENS1_30default_config_static_selectorELNS0_4arch9wavefront6targetE0EEEvT1_, .Lfunc_end1142-_ZN7rocprim17ROCPRIM_400000_NS6detail17trampoline_kernelINS0_14default_configENS1_27scan_by_key_config_selectorIifEEZZNS1_16scan_by_key_implILNS1_25lookback_scan_determinismE0ELb0ES3_N6thrust23THRUST_200600_302600_NS6detail15normal_iteratorINS9_10device_ptrIiEEEENSB_INSC_IfEEEESG_fNS9_4plusIvEENS9_8equal_toIvEEfEE10hipError_tPvRmT2_T3_T4_T5_mT6_T7_P12ihipStream_tbENKUlT_T0_E_clISt17integral_constantIbLb1EES11_EEDaSW_SX_EUlSW_E_NS1_11comp_targetILNS1_3genE10ELNS1_11target_archE1201ELNS1_3gpuE5ELNS1_3repE0EEENS1_30default_config_static_selectorELNS0_4arch9wavefront6targetE0EEEvT1_
                                        ; -- End function
	.set _ZN7rocprim17ROCPRIM_400000_NS6detail17trampoline_kernelINS0_14default_configENS1_27scan_by_key_config_selectorIifEEZZNS1_16scan_by_key_implILNS1_25lookback_scan_determinismE0ELb0ES3_N6thrust23THRUST_200600_302600_NS6detail15normal_iteratorINS9_10device_ptrIiEEEENSB_INSC_IfEEEESG_fNS9_4plusIvEENS9_8equal_toIvEEfEE10hipError_tPvRmT2_T3_T4_T5_mT6_T7_P12ihipStream_tbENKUlT_T0_E_clISt17integral_constantIbLb1EES11_EEDaSW_SX_EUlSW_E_NS1_11comp_targetILNS1_3genE10ELNS1_11target_archE1201ELNS1_3gpuE5ELNS1_3repE0EEENS1_30default_config_static_selectorELNS0_4arch9wavefront6targetE0EEEvT1_.num_vgpr, 0
	.set _ZN7rocprim17ROCPRIM_400000_NS6detail17trampoline_kernelINS0_14default_configENS1_27scan_by_key_config_selectorIifEEZZNS1_16scan_by_key_implILNS1_25lookback_scan_determinismE0ELb0ES3_N6thrust23THRUST_200600_302600_NS6detail15normal_iteratorINS9_10device_ptrIiEEEENSB_INSC_IfEEEESG_fNS9_4plusIvEENS9_8equal_toIvEEfEE10hipError_tPvRmT2_T3_T4_T5_mT6_T7_P12ihipStream_tbENKUlT_T0_E_clISt17integral_constantIbLb1EES11_EEDaSW_SX_EUlSW_E_NS1_11comp_targetILNS1_3genE10ELNS1_11target_archE1201ELNS1_3gpuE5ELNS1_3repE0EEENS1_30default_config_static_selectorELNS0_4arch9wavefront6targetE0EEEvT1_.num_agpr, 0
	.set _ZN7rocprim17ROCPRIM_400000_NS6detail17trampoline_kernelINS0_14default_configENS1_27scan_by_key_config_selectorIifEEZZNS1_16scan_by_key_implILNS1_25lookback_scan_determinismE0ELb0ES3_N6thrust23THRUST_200600_302600_NS6detail15normal_iteratorINS9_10device_ptrIiEEEENSB_INSC_IfEEEESG_fNS9_4plusIvEENS9_8equal_toIvEEfEE10hipError_tPvRmT2_T3_T4_T5_mT6_T7_P12ihipStream_tbENKUlT_T0_E_clISt17integral_constantIbLb1EES11_EEDaSW_SX_EUlSW_E_NS1_11comp_targetILNS1_3genE10ELNS1_11target_archE1201ELNS1_3gpuE5ELNS1_3repE0EEENS1_30default_config_static_selectorELNS0_4arch9wavefront6targetE0EEEvT1_.numbered_sgpr, 0
	.set _ZN7rocprim17ROCPRIM_400000_NS6detail17trampoline_kernelINS0_14default_configENS1_27scan_by_key_config_selectorIifEEZZNS1_16scan_by_key_implILNS1_25lookback_scan_determinismE0ELb0ES3_N6thrust23THRUST_200600_302600_NS6detail15normal_iteratorINS9_10device_ptrIiEEEENSB_INSC_IfEEEESG_fNS9_4plusIvEENS9_8equal_toIvEEfEE10hipError_tPvRmT2_T3_T4_T5_mT6_T7_P12ihipStream_tbENKUlT_T0_E_clISt17integral_constantIbLb1EES11_EEDaSW_SX_EUlSW_E_NS1_11comp_targetILNS1_3genE10ELNS1_11target_archE1201ELNS1_3gpuE5ELNS1_3repE0EEENS1_30default_config_static_selectorELNS0_4arch9wavefront6targetE0EEEvT1_.num_named_barrier, 0
	.set _ZN7rocprim17ROCPRIM_400000_NS6detail17trampoline_kernelINS0_14default_configENS1_27scan_by_key_config_selectorIifEEZZNS1_16scan_by_key_implILNS1_25lookback_scan_determinismE0ELb0ES3_N6thrust23THRUST_200600_302600_NS6detail15normal_iteratorINS9_10device_ptrIiEEEENSB_INSC_IfEEEESG_fNS9_4plusIvEENS9_8equal_toIvEEfEE10hipError_tPvRmT2_T3_T4_T5_mT6_T7_P12ihipStream_tbENKUlT_T0_E_clISt17integral_constantIbLb1EES11_EEDaSW_SX_EUlSW_E_NS1_11comp_targetILNS1_3genE10ELNS1_11target_archE1201ELNS1_3gpuE5ELNS1_3repE0EEENS1_30default_config_static_selectorELNS0_4arch9wavefront6targetE0EEEvT1_.private_seg_size, 0
	.set _ZN7rocprim17ROCPRIM_400000_NS6detail17trampoline_kernelINS0_14default_configENS1_27scan_by_key_config_selectorIifEEZZNS1_16scan_by_key_implILNS1_25lookback_scan_determinismE0ELb0ES3_N6thrust23THRUST_200600_302600_NS6detail15normal_iteratorINS9_10device_ptrIiEEEENSB_INSC_IfEEEESG_fNS9_4plusIvEENS9_8equal_toIvEEfEE10hipError_tPvRmT2_T3_T4_T5_mT6_T7_P12ihipStream_tbENKUlT_T0_E_clISt17integral_constantIbLb1EES11_EEDaSW_SX_EUlSW_E_NS1_11comp_targetILNS1_3genE10ELNS1_11target_archE1201ELNS1_3gpuE5ELNS1_3repE0EEENS1_30default_config_static_selectorELNS0_4arch9wavefront6targetE0EEEvT1_.uses_vcc, 0
	.set _ZN7rocprim17ROCPRIM_400000_NS6detail17trampoline_kernelINS0_14default_configENS1_27scan_by_key_config_selectorIifEEZZNS1_16scan_by_key_implILNS1_25lookback_scan_determinismE0ELb0ES3_N6thrust23THRUST_200600_302600_NS6detail15normal_iteratorINS9_10device_ptrIiEEEENSB_INSC_IfEEEESG_fNS9_4plusIvEENS9_8equal_toIvEEfEE10hipError_tPvRmT2_T3_T4_T5_mT6_T7_P12ihipStream_tbENKUlT_T0_E_clISt17integral_constantIbLb1EES11_EEDaSW_SX_EUlSW_E_NS1_11comp_targetILNS1_3genE10ELNS1_11target_archE1201ELNS1_3gpuE5ELNS1_3repE0EEENS1_30default_config_static_selectorELNS0_4arch9wavefront6targetE0EEEvT1_.uses_flat_scratch, 0
	.set _ZN7rocprim17ROCPRIM_400000_NS6detail17trampoline_kernelINS0_14default_configENS1_27scan_by_key_config_selectorIifEEZZNS1_16scan_by_key_implILNS1_25lookback_scan_determinismE0ELb0ES3_N6thrust23THRUST_200600_302600_NS6detail15normal_iteratorINS9_10device_ptrIiEEEENSB_INSC_IfEEEESG_fNS9_4plusIvEENS9_8equal_toIvEEfEE10hipError_tPvRmT2_T3_T4_T5_mT6_T7_P12ihipStream_tbENKUlT_T0_E_clISt17integral_constantIbLb1EES11_EEDaSW_SX_EUlSW_E_NS1_11comp_targetILNS1_3genE10ELNS1_11target_archE1201ELNS1_3gpuE5ELNS1_3repE0EEENS1_30default_config_static_selectorELNS0_4arch9wavefront6targetE0EEEvT1_.has_dyn_sized_stack, 0
	.set _ZN7rocprim17ROCPRIM_400000_NS6detail17trampoline_kernelINS0_14default_configENS1_27scan_by_key_config_selectorIifEEZZNS1_16scan_by_key_implILNS1_25lookback_scan_determinismE0ELb0ES3_N6thrust23THRUST_200600_302600_NS6detail15normal_iteratorINS9_10device_ptrIiEEEENSB_INSC_IfEEEESG_fNS9_4plusIvEENS9_8equal_toIvEEfEE10hipError_tPvRmT2_T3_T4_T5_mT6_T7_P12ihipStream_tbENKUlT_T0_E_clISt17integral_constantIbLb1EES11_EEDaSW_SX_EUlSW_E_NS1_11comp_targetILNS1_3genE10ELNS1_11target_archE1201ELNS1_3gpuE5ELNS1_3repE0EEENS1_30default_config_static_selectorELNS0_4arch9wavefront6targetE0EEEvT1_.has_recursion, 0
	.set _ZN7rocprim17ROCPRIM_400000_NS6detail17trampoline_kernelINS0_14default_configENS1_27scan_by_key_config_selectorIifEEZZNS1_16scan_by_key_implILNS1_25lookback_scan_determinismE0ELb0ES3_N6thrust23THRUST_200600_302600_NS6detail15normal_iteratorINS9_10device_ptrIiEEEENSB_INSC_IfEEEESG_fNS9_4plusIvEENS9_8equal_toIvEEfEE10hipError_tPvRmT2_T3_T4_T5_mT6_T7_P12ihipStream_tbENKUlT_T0_E_clISt17integral_constantIbLb1EES11_EEDaSW_SX_EUlSW_E_NS1_11comp_targetILNS1_3genE10ELNS1_11target_archE1201ELNS1_3gpuE5ELNS1_3repE0EEENS1_30default_config_static_selectorELNS0_4arch9wavefront6targetE0EEEvT1_.has_indirect_call, 0
	.section	.AMDGPU.csdata,"",@progbits
; Kernel info:
; codeLenInByte = 0
; TotalNumSgprs: 0
; NumVgprs: 0
; ScratchSize: 0
; MemoryBound: 0
; FloatMode: 240
; IeeeMode: 1
; LDSByteSize: 0 bytes/workgroup (compile time only)
; SGPRBlocks: 0
; VGPRBlocks: 0
; NumSGPRsForWavesPerEU: 1
; NumVGPRsForWavesPerEU: 1
; NamedBarCnt: 0
; Occupancy: 16
; WaveLimiterHint : 0
; COMPUTE_PGM_RSRC2:SCRATCH_EN: 0
; COMPUTE_PGM_RSRC2:USER_SGPR: 2
; COMPUTE_PGM_RSRC2:TRAP_HANDLER: 0
; COMPUTE_PGM_RSRC2:TGID_X_EN: 1
; COMPUTE_PGM_RSRC2:TGID_Y_EN: 0
; COMPUTE_PGM_RSRC2:TGID_Z_EN: 0
; COMPUTE_PGM_RSRC2:TIDIG_COMP_CNT: 0
	.section	.text._ZN7rocprim17ROCPRIM_400000_NS6detail17trampoline_kernelINS0_14default_configENS1_27scan_by_key_config_selectorIifEEZZNS1_16scan_by_key_implILNS1_25lookback_scan_determinismE0ELb0ES3_N6thrust23THRUST_200600_302600_NS6detail15normal_iteratorINS9_10device_ptrIiEEEENSB_INSC_IfEEEESG_fNS9_4plusIvEENS9_8equal_toIvEEfEE10hipError_tPvRmT2_T3_T4_T5_mT6_T7_P12ihipStream_tbENKUlT_T0_E_clISt17integral_constantIbLb1EES11_EEDaSW_SX_EUlSW_E_NS1_11comp_targetILNS1_3genE5ELNS1_11target_archE942ELNS1_3gpuE9ELNS1_3repE0EEENS1_30default_config_static_selectorELNS0_4arch9wavefront6targetE0EEEvT1_,"axG",@progbits,_ZN7rocprim17ROCPRIM_400000_NS6detail17trampoline_kernelINS0_14default_configENS1_27scan_by_key_config_selectorIifEEZZNS1_16scan_by_key_implILNS1_25lookback_scan_determinismE0ELb0ES3_N6thrust23THRUST_200600_302600_NS6detail15normal_iteratorINS9_10device_ptrIiEEEENSB_INSC_IfEEEESG_fNS9_4plusIvEENS9_8equal_toIvEEfEE10hipError_tPvRmT2_T3_T4_T5_mT6_T7_P12ihipStream_tbENKUlT_T0_E_clISt17integral_constantIbLb1EES11_EEDaSW_SX_EUlSW_E_NS1_11comp_targetILNS1_3genE5ELNS1_11target_archE942ELNS1_3gpuE9ELNS1_3repE0EEENS1_30default_config_static_selectorELNS0_4arch9wavefront6targetE0EEEvT1_,comdat
	.protected	_ZN7rocprim17ROCPRIM_400000_NS6detail17trampoline_kernelINS0_14default_configENS1_27scan_by_key_config_selectorIifEEZZNS1_16scan_by_key_implILNS1_25lookback_scan_determinismE0ELb0ES3_N6thrust23THRUST_200600_302600_NS6detail15normal_iteratorINS9_10device_ptrIiEEEENSB_INSC_IfEEEESG_fNS9_4plusIvEENS9_8equal_toIvEEfEE10hipError_tPvRmT2_T3_T4_T5_mT6_T7_P12ihipStream_tbENKUlT_T0_E_clISt17integral_constantIbLb1EES11_EEDaSW_SX_EUlSW_E_NS1_11comp_targetILNS1_3genE5ELNS1_11target_archE942ELNS1_3gpuE9ELNS1_3repE0EEENS1_30default_config_static_selectorELNS0_4arch9wavefront6targetE0EEEvT1_ ; -- Begin function _ZN7rocprim17ROCPRIM_400000_NS6detail17trampoline_kernelINS0_14default_configENS1_27scan_by_key_config_selectorIifEEZZNS1_16scan_by_key_implILNS1_25lookback_scan_determinismE0ELb0ES3_N6thrust23THRUST_200600_302600_NS6detail15normal_iteratorINS9_10device_ptrIiEEEENSB_INSC_IfEEEESG_fNS9_4plusIvEENS9_8equal_toIvEEfEE10hipError_tPvRmT2_T3_T4_T5_mT6_T7_P12ihipStream_tbENKUlT_T0_E_clISt17integral_constantIbLb1EES11_EEDaSW_SX_EUlSW_E_NS1_11comp_targetILNS1_3genE5ELNS1_11target_archE942ELNS1_3gpuE9ELNS1_3repE0EEENS1_30default_config_static_selectorELNS0_4arch9wavefront6targetE0EEEvT1_
	.globl	_ZN7rocprim17ROCPRIM_400000_NS6detail17trampoline_kernelINS0_14default_configENS1_27scan_by_key_config_selectorIifEEZZNS1_16scan_by_key_implILNS1_25lookback_scan_determinismE0ELb0ES3_N6thrust23THRUST_200600_302600_NS6detail15normal_iteratorINS9_10device_ptrIiEEEENSB_INSC_IfEEEESG_fNS9_4plusIvEENS9_8equal_toIvEEfEE10hipError_tPvRmT2_T3_T4_T5_mT6_T7_P12ihipStream_tbENKUlT_T0_E_clISt17integral_constantIbLb1EES11_EEDaSW_SX_EUlSW_E_NS1_11comp_targetILNS1_3genE5ELNS1_11target_archE942ELNS1_3gpuE9ELNS1_3repE0EEENS1_30default_config_static_selectorELNS0_4arch9wavefront6targetE0EEEvT1_
	.p2align	8
	.type	_ZN7rocprim17ROCPRIM_400000_NS6detail17trampoline_kernelINS0_14default_configENS1_27scan_by_key_config_selectorIifEEZZNS1_16scan_by_key_implILNS1_25lookback_scan_determinismE0ELb0ES3_N6thrust23THRUST_200600_302600_NS6detail15normal_iteratorINS9_10device_ptrIiEEEENSB_INSC_IfEEEESG_fNS9_4plusIvEENS9_8equal_toIvEEfEE10hipError_tPvRmT2_T3_T4_T5_mT6_T7_P12ihipStream_tbENKUlT_T0_E_clISt17integral_constantIbLb1EES11_EEDaSW_SX_EUlSW_E_NS1_11comp_targetILNS1_3genE5ELNS1_11target_archE942ELNS1_3gpuE9ELNS1_3repE0EEENS1_30default_config_static_selectorELNS0_4arch9wavefront6targetE0EEEvT1_,@function
_ZN7rocprim17ROCPRIM_400000_NS6detail17trampoline_kernelINS0_14default_configENS1_27scan_by_key_config_selectorIifEEZZNS1_16scan_by_key_implILNS1_25lookback_scan_determinismE0ELb0ES3_N6thrust23THRUST_200600_302600_NS6detail15normal_iteratorINS9_10device_ptrIiEEEENSB_INSC_IfEEEESG_fNS9_4plusIvEENS9_8equal_toIvEEfEE10hipError_tPvRmT2_T3_T4_T5_mT6_T7_P12ihipStream_tbENKUlT_T0_E_clISt17integral_constantIbLb1EES11_EEDaSW_SX_EUlSW_E_NS1_11comp_targetILNS1_3genE5ELNS1_11target_archE942ELNS1_3gpuE9ELNS1_3repE0EEENS1_30default_config_static_selectorELNS0_4arch9wavefront6targetE0EEEvT1_: ; @_ZN7rocprim17ROCPRIM_400000_NS6detail17trampoline_kernelINS0_14default_configENS1_27scan_by_key_config_selectorIifEEZZNS1_16scan_by_key_implILNS1_25lookback_scan_determinismE0ELb0ES3_N6thrust23THRUST_200600_302600_NS6detail15normal_iteratorINS9_10device_ptrIiEEEENSB_INSC_IfEEEESG_fNS9_4plusIvEENS9_8equal_toIvEEfEE10hipError_tPvRmT2_T3_T4_T5_mT6_T7_P12ihipStream_tbENKUlT_T0_E_clISt17integral_constantIbLb1EES11_EEDaSW_SX_EUlSW_E_NS1_11comp_targetILNS1_3genE5ELNS1_11target_archE942ELNS1_3gpuE9ELNS1_3repE0EEENS1_30default_config_static_selectorELNS0_4arch9wavefront6targetE0EEEvT1_
; %bb.0:
	.section	.rodata,"a",@progbits
	.p2align	6, 0x0
	.amdhsa_kernel _ZN7rocprim17ROCPRIM_400000_NS6detail17trampoline_kernelINS0_14default_configENS1_27scan_by_key_config_selectorIifEEZZNS1_16scan_by_key_implILNS1_25lookback_scan_determinismE0ELb0ES3_N6thrust23THRUST_200600_302600_NS6detail15normal_iteratorINS9_10device_ptrIiEEEENSB_INSC_IfEEEESG_fNS9_4plusIvEENS9_8equal_toIvEEfEE10hipError_tPvRmT2_T3_T4_T5_mT6_T7_P12ihipStream_tbENKUlT_T0_E_clISt17integral_constantIbLb1EES11_EEDaSW_SX_EUlSW_E_NS1_11comp_targetILNS1_3genE5ELNS1_11target_archE942ELNS1_3gpuE9ELNS1_3repE0EEENS1_30default_config_static_selectorELNS0_4arch9wavefront6targetE0EEEvT1_
		.amdhsa_group_segment_fixed_size 0
		.amdhsa_private_segment_fixed_size 0
		.amdhsa_kernarg_size 112
		.amdhsa_user_sgpr_count 2
		.amdhsa_user_sgpr_dispatch_ptr 0
		.amdhsa_user_sgpr_queue_ptr 0
		.amdhsa_user_sgpr_kernarg_segment_ptr 1
		.amdhsa_user_sgpr_dispatch_id 0
		.amdhsa_user_sgpr_kernarg_preload_length 0
		.amdhsa_user_sgpr_kernarg_preload_offset 0
		.amdhsa_user_sgpr_private_segment_size 0
		.amdhsa_wavefront_size32 1
		.amdhsa_uses_dynamic_stack 0
		.amdhsa_enable_private_segment 0
		.amdhsa_system_sgpr_workgroup_id_x 1
		.amdhsa_system_sgpr_workgroup_id_y 0
		.amdhsa_system_sgpr_workgroup_id_z 0
		.amdhsa_system_sgpr_workgroup_info 0
		.amdhsa_system_vgpr_workitem_id 0
		.amdhsa_next_free_vgpr 1
		.amdhsa_next_free_sgpr 1
		.amdhsa_named_barrier_count 0
		.amdhsa_reserve_vcc 0
		.amdhsa_float_round_mode_32 0
		.amdhsa_float_round_mode_16_64 0
		.amdhsa_float_denorm_mode_32 3
		.amdhsa_float_denorm_mode_16_64 3
		.amdhsa_fp16_overflow 0
		.amdhsa_memory_ordered 1
		.amdhsa_forward_progress 1
		.amdhsa_inst_pref_size 0
		.amdhsa_round_robin_scheduling 0
		.amdhsa_exception_fp_ieee_invalid_op 0
		.amdhsa_exception_fp_denorm_src 0
		.amdhsa_exception_fp_ieee_div_zero 0
		.amdhsa_exception_fp_ieee_overflow 0
		.amdhsa_exception_fp_ieee_underflow 0
		.amdhsa_exception_fp_ieee_inexact 0
		.amdhsa_exception_int_div_zero 0
	.end_amdhsa_kernel
	.section	.text._ZN7rocprim17ROCPRIM_400000_NS6detail17trampoline_kernelINS0_14default_configENS1_27scan_by_key_config_selectorIifEEZZNS1_16scan_by_key_implILNS1_25lookback_scan_determinismE0ELb0ES3_N6thrust23THRUST_200600_302600_NS6detail15normal_iteratorINS9_10device_ptrIiEEEENSB_INSC_IfEEEESG_fNS9_4plusIvEENS9_8equal_toIvEEfEE10hipError_tPvRmT2_T3_T4_T5_mT6_T7_P12ihipStream_tbENKUlT_T0_E_clISt17integral_constantIbLb1EES11_EEDaSW_SX_EUlSW_E_NS1_11comp_targetILNS1_3genE5ELNS1_11target_archE942ELNS1_3gpuE9ELNS1_3repE0EEENS1_30default_config_static_selectorELNS0_4arch9wavefront6targetE0EEEvT1_,"axG",@progbits,_ZN7rocprim17ROCPRIM_400000_NS6detail17trampoline_kernelINS0_14default_configENS1_27scan_by_key_config_selectorIifEEZZNS1_16scan_by_key_implILNS1_25lookback_scan_determinismE0ELb0ES3_N6thrust23THRUST_200600_302600_NS6detail15normal_iteratorINS9_10device_ptrIiEEEENSB_INSC_IfEEEESG_fNS9_4plusIvEENS9_8equal_toIvEEfEE10hipError_tPvRmT2_T3_T4_T5_mT6_T7_P12ihipStream_tbENKUlT_T0_E_clISt17integral_constantIbLb1EES11_EEDaSW_SX_EUlSW_E_NS1_11comp_targetILNS1_3genE5ELNS1_11target_archE942ELNS1_3gpuE9ELNS1_3repE0EEENS1_30default_config_static_selectorELNS0_4arch9wavefront6targetE0EEEvT1_,comdat
.Lfunc_end1143:
	.size	_ZN7rocprim17ROCPRIM_400000_NS6detail17trampoline_kernelINS0_14default_configENS1_27scan_by_key_config_selectorIifEEZZNS1_16scan_by_key_implILNS1_25lookback_scan_determinismE0ELb0ES3_N6thrust23THRUST_200600_302600_NS6detail15normal_iteratorINS9_10device_ptrIiEEEENSB_INSC_IfEEEESG_fNS9_4plusIvEENS9_8equal_toIvEEfEE10hipError_tPvRmT2_T3_T4_T5_mT6_T7_P12ihipStream_tbENKUlT_T0_E_clISt17integral_constantIbLb1EES11_EEDaSW_SX_EUlSW_E_NS1_11comp_targetILNS1_3genE5ELNS1_11target_archE942ELNS1_3gpuE9ELNS1_3repE0EEENS1_30default_config_static_selectorELNS0_4arch9wavefront6targetE0EEEvT1_, .Lfunc_end1143-_ZN7rocprim17ROCPRIM_400000_NS6detail17trampoline_kernelINS0_14default_configENS1_27scan_by_key_config_selectorIifEEZZNS1_16scan_by_key_implILNS1_25lookback_scan_determinismE0ELb0ES3_N6thrust23THRUST_200600_302600_NS6detail15normal_iteratorINS9_10device_ptrIiEEEENSB_INSC_IfEEEESG_fNS9_4plusIvEENS9_8equal_toIvEEfEE10hipError_tPvRmT2_T3_T4_T5_mT6_T7_P12ihipStream_tbENKUlT_T0_E_clISt17integral_constantIbLb1EES11_EEDaSW_SX_EUlSW_E_NS1_11comp_targetILNS1_3genE5ELNS1_11target_archE942ELNS1_3gpuE9ELNS1_3repE0EEENS1_30default_config_static_selectorELNS0_4arch9wavefront6targetE0EEEvT1_
                                        ; -- End function
	.set _ZN7rocprim17ROCPRIM_400000_NS6detail17trampoline_kernelINS0_14default_configENS1_27scan_by_key_config_selectorIifEEZZNS1_16scan_by_key_implILNS1_25lookback_scan_determinismE0ELb0ES3_N6thrust23THRUST_200600_302600_NS6detail15normal_iteratorINS9_10device_ptrIiEEEENSB_INSC_IfEEEESG_fNS9_4plusIvEENS9_8equal_toIvEEfEE10hipError_tPvRmT2_T3_T4_T5_mT6_T7_P12ihipStream_tbENKUlT_T0_E_clISt17integral_constantIbLb1EES11_EEDaSW_SX_EUlSW_E_NS1_11comp_targetILNS1_3genE5ELNS1_11target_archE942ELNS1_3gpuE9ELNS1_3repE0EEENS1_30default_config_static_selectorELNS0_4arch9wavefront6targetE0EEEvT1_.num_vgpr, 0
	.set _ZN7rocprim17ROCPRIM_400000_NS6detail17trampoline_kernelINS0_14default_configENS1_27scan_by_key_config_selectorIifEEZZNS1_16scan_by_key_implILNS1_25lookback_scan_determinismE0ELb0ES3_N6thrust23THRUST_200600_302600_NS6detail15normal_iteratorINS9_10device_ptrIiEEEENSB_INSC_IfEEEESG_fNS9_4plusIvEENS9_8equal_toIvEEfEE10hipError_tPvRmT2_T3_T4_T5_mT6_T7_P12ihipStream_tbENKUlT_T0_E_clISt17integral_constantIbLb1EES11_EEDaSW_SX_EUlSW_E_NS1_11comp_targetILNS1_3genE5ELNS1_11target_archE942ELNS1_3gpuE9ELNS1_3repE0EEENS1_30default_config_static_selectorELNS0_4arch9wavefront6targetE0EEEvT1_.num_agpr, 0
	.set _ZN7rocprim17ROCPRIM_400000_NS6detail17trampoline_kernelINS0_14default_configENS1_27scan_by_key_config_selectorIifEEZZNS1_16scan_by_key_implILNS1_25lookback_scan_determinismE0ELb0ES3_N6thrust23THRUST_200600_302600_NS6detail15normal_iteratorINS9_10device_ptrIiEEEENSB_INSC_IfEEEESG_fNS9_4plusIvEENS9_8equal_toIvEEfEE10hipError_tPvRmT2_T3_T4_T5_mT6_T7_P12ihipStream_tbENKUlT_T0_E_clISt17integral_constantIbLb1EES11_EEDaSW_SX_EUlSW_E_NS1_11comp_targetILNS1_3genE5ELNS1_11target_archE942ELNS1_3gpuE9ELNS1_3repE0EEENS1_30default_config_static_selectorELNS0_4arch9wavefront6targetE0EEEvT1_.numbered_sgpr, 0
	.set _ZN7rocprim17ROCPRIM_400000_NS6detail17trampoline_kernelINS0_14default_configENS1_27scan_by_key_config_selectorIifEEZZNS1_16scan_by_key_implILNS1_25lookback_scan_determinismE0ELb0ES3_N6thrust23THRUST_200600_302600_NS6detail15normal_iteratorINS9_10device_ptrIiEEEENSB_INSC_IfEEEESG_fNS9_4plusIvEENS9_8equal_toIvEEfEE10hipError_tPvRmT2_T3_T4_T5_mT6_T7_P12ihipStream_tbENKUlT_T0_E_clISt17integral_constantIbLb1EES11_EEDaSW_SX_EUlSW_E_NS1_11comp_targetILNS1_3genE5ELNS1_11target_archE942ELNS1_3gpuE9ELNS1_3repE0EEENS1_30default_config_static_selectorELNS0_4arch9wavefront6targetE0EEEvT1_.num_named_barrier, 0
	.set _ZN7rocprim17ROCPRIM_400000_NS6detail17trampoline_kernelINS0_14default_configENS1_27scan_by_key_config_selectorIifEEZZNS1_16scan_by_key_implILNS1_25lookback_scan_determinismE0ELb0ES3_N6thrust23THRUST_200600_302600_NS6detail15normal_iteratorINS9_10device_ptrIiEEEENSB_INSC_IfEEEESG_fNS9_4plusIvEENS9_8equal_toIvEEfEE10hipError_tPvRmT2_T3_T4_T5_mT6_T7_P12ihipStream_tbENKUlT_T0_E_clISt17integral_constantIbLb1EES11_EEDaSW_SX_EUlSW_E_NS1_11comp_targetILNS1_3genE5ELNS1_11target_archE942ELNS1_3gpuE9ELNS1_3repE0EEENS1_30default_config_static_selectorELNS0_4arch9wavefront6targetE0EEEvT1_.private_seg_size, 0
	.set _ZN7rocprim17ROCPRIM_400000_NS6detail17trampoline_kernelINS0_14default_configENS1_27scan_by_key_config_selectorIifEEZZNS1_16scan_by_key_implILNS1_25lookback_scan_determinismE0ELb0ES3_N6thrust23THRUST_200600_302600_NS6detail15normal_iteratorINS9_10device_ptrIiEEEENSB_INSC_IfEEEESG_fNS9_4plusIvEENS9_8equal_toIvEEfEE10hipError_tPvRmT2_T3_T4_T5_mT6_T7_P12ihipStream_tbENKUlT_T0_E_clISt17integral_constantIbLb1EES11_EEDaSW_SX_EUlSW_E_NS1_11comp_targetILNS1_3genE5ELNS1_11target_archE942ELNS1_3gpuE9ELNS1_3repE0EEENS1_30default_config_static_selectorELNS0_4arch9wavefront6targetE0EEEvT1_.uses_vcc, 0
	.set _ZN7rocprim17ROCPRIM_400000_NS6detail17trampoline_kernelINS0_14default_configENS1_27scan_by_key_config_selectorIifEEZZNS1_16scan_by_key_implILNS1_25lookback_scan_determinismE0ELb0ES3_N6thrust23THRUST_200600_302600_NS6detail15normal_iteratorINS9_10device_ptrIiEEEENSB_INSC_IfEEEESG_fNS9_4plusIvEENS9_8equal_toIvEEfEE10hipError_tPvRmT2_T3_T4_T5_mT6_T7_P12ihipStream_tbENKUlT_T0_E_clISt17integral_constantIbLb1EES11_EEDaSW_SX_EUlSW_E_NS1_11comp_targetILNS1_3genE5ELNS1_11target_archE942ELNS1_3gpuE9ELNS1_3repE0EEENS1_30default_config_static_selectorELNS0_4arch9wavefront6targetE0EEEvT1_.uses_flat_scratch, 0
	.set _ZN7rocprim17ROCPRIM_400000_NS6detail17trampoline_kernelINS0_14default_configENS1_27scan_by_key_config_selectorIifEEZZNS1_16scan_by_key_implILNS1_25lookback_scan_determinismE0ELb0ES3_N6thrust23THRUST_200600_302600_NS6detail15normal_iteratorINS9_10device_ptrIiEEEENSB_INSC_IfEEEESG_fNS9_4plusIvEENS9_8equal_toIvEEfEE10hipError_tPvRmT2_T3_T4_T5_mT6_T7_P12ihipStream_tbENKUlT_T0_E_clISt17integral_constantIbLb1EES11_EEDaSW_SX_EUlSW_E_NS1_11comp_targetILNS1_3genE5ELNS1_11target_archE942ELNS1_3gpuE9ELNS1_3repE0EEENS1_30default_config_static_selectorELNS0_4arch9wavefront6targetE0EEEvT1_.has_dyn_sized_stack, 0
	.set _ZN7rocprim17ROCPRIM_400000_NS6detail17trampoline_kernelINS0_14default_configENS1_27scan_by_key_config_selectorIifEEZZNS1_16scan_by_key_implILNS1_25lookback_scan_determinismE0ELb0ES3_N6thrust23THRUST_200600_302600_NS6detail15normal_iteratorINS9_10device_ptrIiEEEENSB_INSC_IfEEEESG_fNS9_4plusIvEENS9_8equal_toIvEEfEE10hipError_tPvRmT2_T3_T4_T5_mT6_T7_P12ihipStream_tbENKUlT_T0_E_clISt17integral_constantIbLb1EES11_EEDaSW_SX_EUlSW_E_NS1_11comp_targetILNS1_3genE5ELNS1_11target_archE942ELNS1_3gpuE9ELNS1_3repE0EEENS1_30default_config_static_selectorELNS0_4arch9wavefront6targetE0EEEvT1_.has_recursion, 0
	.set _ZN7rocprim17ROCPRIM_400000_NS6detail17trampoline_kernelINS0_14default_configENS1_27scan_by_key_config_selectorIifEEZZNS1_16scan_by_key_implILNS1_25lookback_scan_determinismE0ELb0ES3_N6thrust23THRUST_200600_302600_NS6detail15normal_iteratorINS9_10device_ptrIiEEEENSB_INSC_IfEEEESG_fNS9_4plusIvEENS9_8equal_toIvEEfEE10hipError_tPvRmT2_T3_T4_T5_mT6_T7_P12ihipStream_tbENKUlT_T0_E_clISt17integral_constantIbLb1EES11_EEDaSW_SX_EUlSW_E_NS1_11comp_targetILNS1_3genE5ELNS1_11target_archE942ELNS1_3gpuE9ELNS1_3repE0EEENS1_30default_config_static_selectorELNS0_4arch9wavefront6targetE0EEEvT1_.has_indirect_call, 0
	.section	.AMDGPU.csdata,"",@progbits
; Kernel info:
; codeLenInByte = 0
; TotalNumSgprs: 0
; NumVgprs: 0
; ScratchSize: 0
; MemoryBound: 0
; FloatMode: 240
; IeeeMode: 1
; LDSByteSize: 0 bytes/workgroup (compile time only)
; SGPRBlocks: 0
; VGPRBlocks: 0
; NumSGPRsForWavesPerEU: 1
; NumVGPRsForWavesPerEU: 1
; NamedBarCnt: 0
; Occupancy: 16
; WaveLimiterHint : 0
; COMPUTE_PGM_RSRC2:SCRATCH_EN: 0
; COMPUTE_PGM_RSRC2:USER_SGPR: 2
; COMPUTE_PGM_RSRC2:TRAP_HANDLER: 0
; COMPUTE_PGM_RSRC2:TGID_X_EN: 1
; COMPUTE_PGM_RSRC2:TGID_Y_EN: 0
; COMPUTE_PGM_RSRC2:TGID_Z_EN: 0
; COMPUTE_PGM_RSRC2:TIDIG_COMP_CNT: 0
	.section	.text._ZN7rocprim17ROCPRIM_400000_NS6detail17trampoline_kernelINS0_14default_configENS1_27scan_by_key_config_selectorIifEEZZNS1_16scan_by_key_implILNS1_25lookback_scan_determinismE0ELb0ES3_N6thrust23THRUST_200600_302600_NS6detail15normal_iteratorINS9_10device_ptrIiEEEENSB_INSC_IfEEEESG_fNS9_4plusIvEENS9_8equal_toIvEEfEE10hipError_tPvRmT2_T3_T4_T5_mT6_T7_P12ihipStream_tbENKUlT_T0_E_clISt17integral_constantIbLb1EES11_EEDaSW_SX_EUlSW_E_NS1_11comp_targetILNS1_3genE4ELNS1_11target_archE910ELNS1_3gpuE8ELNS1_3repE0EEENS1_30default_config_static_selectorELNS0_4arch9wavefront6targetE0EEEvT1_,"axG",@progbits,_ZN7rocprim17ROCPRIM_400000_NS6detail17trampoline_kernelINS0_14default_configENS1_27scan_by_key_config_selectorIifEEZZNS1_16scan_by_key_implILNS1_25lookback_scan_determinismE0ELb0ES3_N6thrust23THRUST_200600_302600_NS6detail15normal_iteratorINS9_10device_ptrIiEEEENSB_INSC_IfEEEESG_fNS9_4plusIvEENS9_8equal_toIvEEfEE10hipError_tPvRmT2_T3_T4_T5_mT6_T7_P12ihipStream_tbENKUlT_T0_E_clISt17integral_constantIbLb1EES11_EEDaSW_SX_EUlSW_E_NS1_11comp_targetILNS1_3genE4ELNS1_11target_archE910ELNS1_3gpuE8ELNS1_3repE0EEENS1_30default_config_static_selectorELNS0_4arch9wavefront6targetE0EEEvT1_,comdat
	.protected	_ZN7rocprim17ROCPRIM_400000_NS6detail17trampoline_kernelINS0_14default_configENS1_27scan_by_key_config_selectorIifEEZZNS1_16scan_by_key_implILNS1_25lookback_scan_determinismE0ELb0ES3_N6thrust23THRUST_200600_302600_NS6detail15normal_iteratorINS9_10device_ptrIiEEEENSB_INSC_IfEEEESG_fNS9_4plusIvEENS9_8equal_toIvEEfEE10hipError_tPvRmT2_T3_T4_T5_mT6_T7_P12ihipStream_tbENKUlT_T0_E_clISt17integral_constantIbLb1EES11_EEDaSW_SX_EUlSW_E_NS1_11comp_targetILNS1_3genE4ELNS1_11target_archE910ELNS1_3gpuE8ELNS1_3repE0EEENS1_30default_config_static_selectorELNS0_4arch9wavefront6targetE0EEEvT1_ ; -- Begin function _ZN7rocprim17ROCPRIM_400000_NS6detail17trampoline_kernelINS0_14default_configENS1_27scan_by_key_config_selectorIifEEZZNS1_16scan_by_key_implILNS1_25lookback_scan_determinismE0ELb0ES3_N6thrust23THRUST_200600_302600_NS6detail15normal_iteratorINS9_10device_ptrIiEEEENSB_INSC_IfEEEESG_fNS9_4plusIvEENS9_8equal_toIvEEfEE10hipError_tPvRmT2_T3_T4_T5_mT6_T7_P12ihipStream_tbENKUlT_T0_E_clISt17integral_constantIbLb1EES11_EEDaSW_SX_EUlSW_E_NS1_11comp_targetILNS1_3genE4ELNS1_11target_archE910ELNS1_3gpuE8ELNS1_3repE0EEENS1_30default_config_static_selectorELNS0_4arch9wavefront6targetE0EEEvT1_
	.globl	_ZN7rocprim17ROCPRIM_400000_NS6detail17trampoline_kernelINS0_14default_configENS1_27scan_by_key_config_selectorIifEEZZNS1_16scan_by_key_implILNS1_25lookback_scan_determinismE0ELb0ES3_N6thrust23THRUST_200600_302600_NS6detail15normal_iteratorINS9_10device_ptrIiEEEENSB_INSC_IfEEEESG_fNS9_4plusIvEENS9_8equal_toIvEEfEE10hipError_tPvRmT2_T3_T4_T5_mT6_T7_P12ihipStream_tbENKUlT_T0_E_clISt17integral_constantIbLb1EES11_EEDaSW_SX_EUlSW_E_NS1_11comp_targetILNS1_3genE4ELNS1_11target_archE910ELNS1_3gpuE8ELNS1_3repE0EEENS1_30default_config_static_selectorELNS0_4arch9wavefront6targetE0EEEvT1_
	.p2align	8
	.type	_ZN7rocprim17ROCPRIM_400000_NS6detail17trampoline_kernelINS0_14default_configENS1_27scan_by_key_config_selectorIifEEZZNS1_16scan_by_key_implILNS1_25lookback_scan_determinismE0ELb0ES3_N6thrust23THRUST_200600_302600_NS6detail15normal_iteratorINS9_10device_ptrIiEEEENSB_INSC_IfEEEESG_fNS9_4plusIvEENS9_8equal_toIvEEfEE10hipError_tPvRmT2_T3_T4_T5_mT6_T7_P12ihipStream_tbENKUlT_T0_E_clISt17integral_constantIbLb1EES11_EEDaSW_SX_EUlSW_E_NS1_11comp_targetILNS1_3genE4ELNS1_11target_archE910ELNS1_3gpuE8ELNS1_3repE0EEENS1_30default_config_static_selectorELNS0_4arch9wavefront6targetE0EEEvT1_,@function
_ZN7rocprim17ROCPRIM_400000_NS6detail17trampoline_kernelINS0_14default_configENS1_27scan_by_key_config_selectorIifEEZZNS1_16scan_by_key_implILNS1_25lookback_scan_determinismE0ELb0ES3_N6thrust23THRUST_200600_302600_NS6detail15normal_iteratorINS9_10device_ptrIiEEEENSB_INSC_IfEEEESG_fNS9_4plusIvEENS9_8equal_toIvEEfEE10hipError_tPvRmT2_T3_T4_T5_mT6_T7_P12ihipStream_tbENKUlT_T0_E_clISt17integral_constantIbLb1EES11_EEDaSW_SX_EUlSW_E_NS1_11comp_targetILNS1_3genE4ELNS1_11target_archE910ELNS1_3gpuE8ELNS1_3repE0EEENS1_30default_config_static_selectorELNS0_4arch9wavefront6targetE0EEEvT1_: ; @_ZN7rocprim17ROCPRIM_400000_NS6detail17trampoline_kernelINS0_14default_configENS1_27scan_by_key_config_selectorIifEEZZNS1_16scan_by_key_implILNS1_25lookback_scan_determinismE0ELb0ES3_N6thrust23THRUST_200600_302600_NS6detail15normal_iteratorINS9_10device_ptrIiEEEENSB_INSC_IfEEEESG_fNS9_4plusIvEENS9_8equal_toIvEEfEE10hipError_tPvRmT2_T3_T4_T5_mT6_T7_P12ihipStream_tbENKUlT_T0_E_clISt17integral_constantIbLb1EES11_EEDaSW_SX_EUlSW_E_NS1_11comp_targetILNS1_3genE4ELNS1_11target_archE910ELNS1_3gpuE8ELNS1_3repE0EEENS1_30default_config_static_selectorELNS0_4arch9wavefront6targetE0EEEvT1_
; %bb.0:
	.section	.rodata,"a",@progbits
	.p2align	6, 0x0
	.amdhsa_kernel _ZN7rocprim17ROCPRIM_400000_NS6detail17trampoline_kernelINS0_14default_configENS1_27scan_by_key_config_selectorIifEEZZNS1_16scan_by_key_implILNS1_25lookback_scan_determinismE0ELb0ES3_N6thrust23THRUST_200600_302600_NS6detail15normal_iteratorINS9_10device_ptrIiEEEENSB_INSC_IfEEEESG_fNS9_4plusIvEENS9_8equal_toIvEEfEE10hipError_tPvRmT2_T3_T4_T5_mT6_T7_P12ihipStream_tbENKUlT_T0_E_clISt17integral_constantIbLb1EES11_EEDaSW_SX_EUlSW_E_NS1_11comp_targetILNS1_3genE4ELNS1_11target_archE910ELNS1_3gpuE8ELNS1_3repE0EEENS1_30default_config_static_selectorELNS0_4arch9wavefront6targetE0EEEvT1_
		.amdhsa_group_segment_fixed_size 0
		.amdhsa_private_segment_fixed_size 0
		.amdhsa_kernarg_size 112
		.amdhsa_user_sgpr_count 2
		.amdhsa_user_sgpr_dispatch_ptr 0
		.amdhsa_user_sgpr_queue_ptr 0
		.amdhsa_user_sgpr_kernarg_segment_ptr 1
		.amdhsa_user_sgpr_dispatch_id 0
		.amdhsa_user_sgpr_kernarg_preload_length 0
		.amdhsa_user_sgpr_kernarg_preload_offset 0
		.amdhsa_user_sgpr_private_segment_size 0
		.amdhsa_wavefront_size32 1
		.amdhsa_uses_dynamic_stack 0
		.amdhsa_enable_private_segment 0
		.amdhsa_system_sgpr_workgroup_id_x 1
		.amdhsa_system_sgpr_workgroup_id_y 0
		.amdhsa_system_sgpr_workgroup_id_z 0
		.amdhsa_system_sgpr_workgroup_info 0
		.amdhsa_system_vgpr_workitem_id 0
		.amdhsa_next_free_vgpr 1
		.amdhsa_next_free_sgpr 1
		.amdhsa_named_barrier_count 0
		.amdhsa_reserve_vcc 0
		.amdhsa_float_round_mode_32 0
		.amdhsa_float_round_mode_16_64 0
		.amdhsa_float_denorm_mode_32 3
		.amdhsa_float_denorm_mode_16_64 3
		.amdhsa_fp16_overflow 0
		.amdhsa_memory_ordered 1
		.amdhsa_forward_progress 1
		.amdhsa_inst_pref_size 0
		.amdhsa_round_robin_scheduling 0
		.amdhsa_exception_fp_ieee_invalid_op 0
		.amdhsa_exception_fp_denorm_src 0
		.amdhsa_exception_fp_ieee_div_zero 0
		.amdhsa_exception_fp_ieee_overflow 0
		.amdhsa_exception_fp_ieee_underflow 0
		.amdhsa_exception_fp_ieee_inexact 0
		.amdhsa_exception_int_div_zero 0
	.end_amdhsa_kernel
	.section	.text._ZN7rocprim17ROCPRIM_400000_NS6detail17trampoline_kernelINS0_14default_configENS1_27scan_by_key_config_selectorIifEEZZNS1_16scan_by_key_implILNS1_25lookback_scan_determinismE0ELb0ES3_N6thrust23THRUST_200600_302600_NS6detail15normal_iteratorINS9_10device_ptrIiEEEENSB_INSC_IfEEEESG_fNS9_4plusIvEENS9_8equal_toIvEEfEE10hipError_tPvRmT2_T3_T4_T5_mT6_T7_P12ihipStream_tbENKUlT_T0_E_clISt17integral_constantIbLb1EES11_EEDaSW_SX_EUlSW_E_NS1_11comp_targetILNS1_3genE4ELNS1_11target_archE910ELNS1_3gpuE8ELNS1_3repE0EEENS1_30default_config_static_selectorELNS0_4arch9wavefront6targetE0EEEvT1_,"axG",@progbits,_ZN7rocprim17ROCPRIM_400000_NS6detail17trampoline_kernelINS0_14default_configENS1_27scan_by_key_config_selectorIifEEZZNS1_16scan_by_key_implILNS1_25lookback_scan_determinismE0ELb0ES3_N6thrust23THRUST_200600_302600_NS6detail15normal_iteratorINS9_10device_ptrIiEEEENSB_INSC_IfEEEESG_fNS9_4plusIvEENS9_8equal_toIvEEfEE10hipError_tPvRmT2_T3_T4_T5_mT6_T7_P12ihipStream_tbENKUlT_T0_E_clISt17integral_constantIbLb1EES11_EEDaSW_SX_EUlSW_E_NS1_11comp_targetILNS1_3genE4ELNS1_11target_archE910ELNS1_3gpuE8ELNS1_3repE0EEENS1_30default_config_static_selectorELNS0_4arch9wavefront6targetE0EEEvT1_,comdat
.Lfunc_end1144:
	.size	_ZN7rocprim17ROCPRIM_400000_NS6detail17trampoline_kernelINS0_14default_configENS1_27scan_by_key_config_selectorIifEEZZNS1_16scan_by_key_implILNS1_25lookback_scan_determinismE0ELb0ES3_N6thrust23THRUST_200600_302600_NS6detail15normal_iteratorINS9_10device_ptrIiEEEENSB_INSC_IfEEEESG_fNS9_4plusIvEENS9_8equal_toIvEEfEE10hipError_tPvRmT2_T3_T4_T5_mT6_T7_P12ihipStream_tbENKUlT_T0_E_clISt17integral_constantIbLb1EES11_EEDaSW_SX_EUlSW_E_NS1_11comp_targetILNS1_3genE4ELNS1_11target_archE910ELNS1_3gpuE8ELNS1_3repE0EEENS1_30default_config_static_selectorELNS0_4arch9wavefront6targetE0EEEvT1_, .Lfunc_end1144-_ZN7rocprim17ROCPRIM_400000_NS6detail17trampoline_kernelINS0_14default_configENS1_27scan_by_key_config_selectorIifEEZZNS1_16scan_by_key_implILNS1_25lookback_scan_determinismE0ELb0ES3_N6thrust23THRUST_200600_302600_NS6detail15normal_iteratorINS9_10device_ptrIiEEEENSB_INSC_IfEEEESG_fNS9_4plusIvEENS9_8equal_toIvEEfEE10hipError_tPvRmT2_T3_T4_T5_mT6_T7_P12ihipStream_tbENKUlT_T0_E_clISt17integral_constantIbLb1EES11_EEDaSW_SX_EUlSW_E_NS1_11comp_targetILNS1_3genE4ELNS1_11target_archE910ELNS1_3gpuE8ELNS1_3repE0EEENS1_30default_config_static_selectorELNS0_4arch9wavefront6targetE0EEEvT1_
                                        ; -- End function
	.set _ZN7rocprim17ROCPRIM_400000_NS6detail17trampoline_kernelINS0_14default_configENS1_27scan_by_key_config_selectorIifEEZZNS1_16scan_by_key_implILNS1_25lookback_scan_determinismE0ELb0ES3_N6thrust23THRUST_200600_302600_NS6detail15normal_iteratorINS9_10device_ptrIiEEEENSB_INSC_IfEEEESG_fNS9_4plusIvEENS9_8equal_toIvEEfEE10hipError_tPvRmT2_T3_T4_T5_mT6_T7_P12ihipStream_tbENKUlT_T0_E_clISt17integral_constantIbLb1EES11_EEDaSW_SX_EUlSW_E_NS1_11comp_targetILNS1_3genE4ELNS1_11target_archE910ELNS1_3gpuE8ELNS1_3repE0EEENS1_30default_config_static_selectorELNS0_4arch9wavefront6targetE0EEEvT1_.num_vgpr, 0
	.set _ZN7rocprim17ROCPRIM_400000_NS6detail17trampoline_kernelINS0_14default_configENS1_27scan_by_key_config_selectorIifEEZZNS1_16scan_by_key_implILNS1_25lookback_scan_determinismE0ELb0ES3_N6thrust23THRUST_200600_302600_NS6detail15normal_iteratorINS9_10device_ptrIiEEEENSB_INSC_IfEEEESG_fNS9_4plusIvEENS9_8equal_toIvEEfEE10hipError_tPvRmT2_T3_T4_T5_mT6_T7_P12ihipStream_tbENKUlT_T0_E_clISt17integral_constantIbLb1EES11_EEDaSW_SX_EUlSW_E_NS1_11comp_targetILNS1_3genE4ELNS1_11target_archE910ELNS1_3gpuE8ELNS1_3repE0EEENS1_30default_config_static_selectorELNS0_4arch9wavefront6targetE0EEEvT1_.num_agpr, 0
	.set _ZN7rocprim17ROCPRIM_400000_NS6detail17trampoline_kernelINS0_14default_configENS1_27scan_by_key_config_selectorIifEEZZNS1_16scan_by_key_implILNS1_25lookback_scan_determinismE0ELb0ES3_N6thrust23THRUST_200600_302600_NS6detail15normal_iteratorINS9_10device_ptrIiEEEENSB_INSC_IfEEEESG_fNS9_4plusIvEENS9_8equal_toIvEEfEE10hipError_tPvRmT2_T3_T4_T5_mT6_T7_P12ihipStream_tbENKUlT_T0_E_clISt17integral_constantIbLb1EES11_EEDaSW_SX_EUlSW_E_NS1_11comp_targetILNS1_3genE4ELNS1_11target_archE910ELNS1_3gpuE8ELNS1_3repE0EEENS1_30default_config_static_selectorELNS0_4arch9wavefront6targetE0EEEvT1_.numbered_sgpr, 0
	.set _ZN7rocprim17ROCPRIM_400000_NS6detail17trampoline_kernelINS0_14default_configENS1_27scan_by_key_config_selectorIifEEZZNS1_16scan_by_key_implILNS1_25lookback_scan_determinismE0ELb0ES3_N6thrust23THRUST_200600_302600_NS6detail15normal_iteratorINS9_10device_ptrIiEEEENSB_INSC_IfEEEESG_fNS9_4plusIvEENS9_8equal_toIvEEfEE10hipError_tPvRmT2_T3_T4_T5_mT6_T7_P12ihipStream_tbENKUlT_T0_E_clISt17integral_constantIbLb1EES11_EEDaSW_SX_EUlSW_E_NS1_11comp_targetILNS1_3genE4ELNS1_11target_archE910ELNS1_3gpuE8ELNS1_3repE0EEENS1_30default_config_static_selectorELNS0_4arch9wavefront6targetE0EEEvT1_.num_named_barrier, 0
	.set _ZN7rocprim17ROCPRIM_400000_NS6detail17trampoline_kernelINS0_14default_configENS1_27scan_by_key_config_selectorIifEEZZNS1_16scan_by_key_implILNS1_25lookback_scan_determinismE0ELb0ES3_N6thrust23THRUST_200600_302600_NS6detail15normal_iteratorINS9_10device_ptrIiEEEENSB_INSC_IfEEEESG_fNS9_4plusIvEENS9_8equal_toIvEEfEE10hipError_tPvRmT2_T3_T4_T5_mT6_T7_P12ihipStream_tbENKUlT_T0_E_clISt17integral_constantIbLb1EES11_EEDaSW_SX_EUlSW_E_NS1_11comp_targetILNS1_3genE4ELNS1_11target_archE910ELNS1_3gpuE8ELNS1_3repE0EEENS1_30default_config_static_selectorELNS0_4arch9wavefront6targetE0EEEvT1_.private_seg_size, 0
	.set _ZN7rocprim17ROCPRIM_400000_NS6detail17trampoline_kernelINS0_14default_configENS1_27scan_by_key_config_selectorIifEEZZNS1_16scan_by_key_implILNS1_25lookback_scan_determinismE0ELb0ES3_N6thrust23THRUST_200600_302600_NS6detail15normal_iteratorINS9_10device_ptrIiEEEENSB_INSC_IfEEEESG_fNS9_4plusIvEENS9_8equal_toIvEEfEE10hipError_tPvRmT2_T3_T4_T5_mT6_T7_P12ihipStream_tbENKUlT_T0_E_clISt17integral_constantIbLb1EES11_EEDaSW_SX_EUlSW_E_NS1_11comp_targetILNS1_3genE4ELNS1_11target_archE910ELNS1_3gpuE8ELNS1_3repE0EEENS1_30default_config_static_selectorELNS0_4arch9wavefront6targetE0EEEvT1_.uses_vcc, 0
	.set _ZN7rocprim17ROCPRIM_400000_NS6detail17trampoline_kernelINS0_14default_configENS1_27scan_by_key_config_selectorIifEEZZNS1_16scan_by_key_implILNS1_25lookback_scan_determinismE0ELb0ES3_N6thrust23THRUST_200600_302600_NS6detail15normal_iteratorINS9_10device_ptrIiEEEENSB_INSC_IfEEEESG_fNS9_4plusIvEENS9_8equal_toIvEEfEE10hipError_tPvRmT2_T3_T4_T5_mT6_T7_P12ihipStream_tbENKUlT_T0_E_clISt17integral_constantIbLb1EES11_EEDaSW_SX_EUlSW_E_NS1_11comp_targetILNS1_3genE4ELNS1_11target_archE910ELNS1_3gpuE8ELNS1_3repE0EEENS1_30default_config_static_selectorELNS0_4arch9wavefront6targetE0EEEvT1_.uses_flat_scratch, 0
	.set _ZN7rocprim17ROCPRIM_400000_NS6detail17trampoline_kernelINS0_14default_configENS1_27scan_by_key_config_selectorIifEEZZNS1_16scan_by_key_implILNS1_25lookback_scan_determinismE0ELb0ES3_N6thrust23THRUST_200600_302600_NS6detail15normal_iteratorINS9_10device_ptrIiEEEENSB_INSC_IfEEEESG_fNS9_4plusIvEENS9_8equal_toIvEEfEE10hipError_tPvRmT2_T3_T4_T5_mT6_T7_P12ihipStream_tbENKUlT_T0_E_clISt17integral_constantIbLb1EES11_EEDaSW_SX_EUlSW_E_NS1_11comp_targetILNS1_3genE4ELNS1_11target_archE910ELNS1_3gpuE8ELNS1_3repE0EEENS1_30default_config_static_selectorELNS0_4arch9wavefront6targetE0EEEvT1_.has_dyn_sized_stack, 0
	.set _ZN7rocprim17ROCPRIM_400000_NS6detail17trampoline_kernelINS0_14default_configENS1_27scan_by_key_config_selectorIifEEZZNS1_16scan_by_key_implILNS1_25lookback_scan_determinismE0ELb0ES3_N6thrust23THRUST_200600_302600_NS6detail15normal_iteratorINS9_10device_ptrIiEEEENSB_INSC_IfEEEESG_fNS9_4plusIvEENS9_8equal_toIvEEfEE10hipError_tPvRmT2_T3_T4_T5_mT6_T7_P12ihipStream_tbENKUlT_T0_E_clISt17integral_constantIbLb1EES11_EEDaSW_SX_EUlSW_E_NS1_11comp_targetILNS1_3genE4ELNS1_11target_archE910ELNS1_3gpuE8ELNS1_3repE0EEENS1_30default_config_static_selectorELNS0_4arch9wavefront6targetE0EEEvT1_.has_recursion, 0
	.set _ZN7rocprim17ROCPRIM_400000_NS6detail17trampoline_kernelINS0_14default_configENS1_27scan_by_key_config_selectorIifEEZZNS1_16scan_by_key_implILNS1_25lookback_scan_determinismE0ELb0ES3_N6thrust23THRUST_200600_302600_NS6detail15normal_iteratorINS9_10device_ptrIiEEEENSB_INSC_IfEEEESG_fNS9_4plusIvEENS9_8equal_toIvEEfEE10hipError_tPvRmT2_T3_T4_T5_mT6_T7_P12ihipStream_tbENKUlT_T0_E_clISt17integral_constantIbLb1EES11_EEDaSW_SX_EUlSW_E_NS1_11comp_targetILNS1_3genE4ELNS1_11target_archE910ELNS1_3gpuE8ELNS1_3repE0EEENS1_30default_config_static_selectorELNS0_4arch9wavefront6targetE0EEEvT1_.has_indirect_call, 0
	.section	.AMDGPU.csdata,"",@progbits
; Kernel info:
; codeLenInByte = 0
; TotalNumSgprs: 0
; NumVgprs: 0
; ScratchSize: 0
; MemoryBound: 0
; FloatMode: 240
; IeeeMode: 1
; LDSByteSize: 0 bytes/workgroup (compile time only)
; SGPRBlocks: 0
; VGPRBlocks: 0
; NumSGPRsForWavesPerEU: 1
; NumVGPRsForWavesPerEU: 1
; NamedBarCnt: 0
; Occupancy: 16
; WaveLimiterHint : 0
; COMPUTE_PGM_RSRC2:SCRATCH_EN: 0
; COMPUTE_PGM_RSRC2:USER_SGPR: 2
; COMPUTE_PGM_RSRC2:TRAP_HANDLER: 0
; COMPUTE_PGM_RSRC2:TGID_X_EN: 1
; COMPUTE_PGM_RSRC2:TGID_Y_EN: 0
; COMPUTE_PGM_RSRC2:TGID_Z_EN: 0
; COMPUTE_PGM_RSRC2:TIDIG_COMP_CNT: 0
	.section	.text._ZN7rocprim17ROCPRIM_400000_NS6detail17trampoline_kernelINS0_14default_configENS1_27scan_by_key_config_selectorIifEEZZNS1_16scan_by_key_implILNS1_25lookback_scan_determinismE0ELb0ES3_N6thrust23THRUST_200600_302600_NS6detail15normal_iteratorINS9_10device_ptrIiEEEENSB_INSC_IfEEEESG_fNS9_4plusIvEENS9_8equal_toIvEEfEE10hipError_tPvRmT2_T3_T4_T5_mT6_T7_P12ihipStream_tbENKUlT_T0_E_clISt17integral_constantIbLb1EES11_EEDaSW_SX_EUlSW_E_NS1_11comp_targetILNS1_3genE3ELNS1_11target_archE908ELNS1_3gpuE7ELNS1_3repE0EEENS1_30default_config_static_selectorELNS0_4arch9wavefront6targetE0EEEvT1_,"axG",@progbits,_ZN7rocprim17ROCPRIM_400000_NS6detail17trampoline_kernelINS0_14default_configENS1_27scan_by_key_config_selectorIifEEZZNS1_16scan_by_key_implILNS1_25lookback_scan_determinismE0ELb0ES3_N6thrust23THRUST_200600_302600_NS6detail15normal_iteratorINS9_10device_ptrIiEEEENSB_INSC_IfEEEESG_fNS9_4plusIvEENS9_8equal_toIvEEfEE10hipError_tPvRmT2_T3_T4_T5_mT6_T7_P12ihipStream_tbENKUlT_T0_E_clISt17integral_constantIbLb1EES11_EEDaSW_SX_EUlSW_E_NS1_11comp_targetILNS1_3genE3ELNS1_11target_archE908ELNS1_3gpuE7ELNS1_3repE0EEENS1_30default_config_static_selectorELNS0_4arch9wavefront6targetE0EEEvT1_,comdat
	.protected	_ZN7rocprim17ROCPRIM_400000_NS6detail17trampoline_kernelINS0_14default_configENS1_27scan_by_key_config_selectorIifEEZZNS1_16scan_by_key_implILNS1_25lookback_scan_determinismE0ELb0ES3_N6thrust23THRUST_200600_302600_NS6detail15normal_iteratorINS9_10device_ptrIiEEEENSB_INSC_IfEEEESG_fNS9_4plusIvEENS9_8equal_toIvEEfEE10hipError_tPvRmT2_T3_T4_T5_mT6_T7_P12ihipStream_tbENKUlT_T0_E_clISt17integral_constantIbLb1EES11_EEDaSW_SX_EUlSW_E_NS1_11comp_targetILNS1_3genE3ELNS1_11target_archE908ELNS1_3gpuE7ELNS1_3repE0EEENS1_30default_config_static_selectorELNS0_4arch9wavefront6targetE0EEEvT1_ ; -- Begin function _ZN7rocprim17ROCPRIM_400000_NS6detail17trampoline_kernelINS0_14default_configENS1_27scan_by_key_config_selectorIifEEZZNS1_16scan_by_key_implILNS1_25lookback_scan_determinismE0ELb0ES3_N6thrust23THRUST_200600_302600_NS6detail15normal_iteratorINS9_10device_ptrIiEEEENSB_INSC_IfEEEESG_fNS9_4plusIvEENS9_8equal_toIvEEfEE10hipError_tPvRmT2_T3_T4_T5_mT6_T7_P12ihipStream_tbENKUlT_T0_E_clISt17integral_constantIbLb1EES11_EEDaSW_SX_EUlSW_E_NS1_11comp_targetILNS1_3genE3ELNS1_11target_archE908ELNS1_3gpuE7ELNS1_3repE0EEENS1_30default_config_static_selectorELNS0_4arch9wavefront6targetE0EEEvT1_
	.globl	_ZN7rocprim17ROCPRIM_400000_NS6detail17trampoline_kernelINS0_14default_configENS1_27scan_by_key_config_selectorIifEEZZNS1_16scan_by_key_implILNS1_25lookback_scan_determinismE0ELb0ES3_N6thrust23THRUST_200600_302600_NS6detail15normal_iteratorINS9_10device_ptrIiEEEENSB_INSC_IfEEEESG_fNS9_4plusIvEENS9_8equal_toIvEEfEE10hipError_tPvRmT2_T3_T4_T5_mT6_T7_P12ihipStream_tbENKUlT_T0_E_clISt17integral_constantIbLb1EES11_EEDaSW_SX_EUlSW_E_NS1_11comp_targetILNS1_3genE3ELNS1_11target_archE908ELNS1_3gpuE7ELNS1_3repE0EEENS1_30default_config_static_selectorELNS0_4arch9wavefront6targetE0EEEvT1_
	.p2align	8
	.type	_ZN7rocprim17ROCPRIM_400000_NS6detail17trampoline_kernelINS0_14default_configENS1_27scan_by_key_config_selectorIifEEZZNS1_16scan_by_key_implILNS1_25lookback_scan_determinismE0ELb0ES3_N6thrust23THRUST_200600_302600_NS6detail15normal_iteratorINS9_10device_ptrIiEEEENSB_INSC_IfEEEESG_fNS9_4plusIvEENS9_8equal_toIvEEfEE10hipError_tPvRmT2_T3_T4_T5_mT6_T7_P12ihipStream_tbENKUlT_T0_E_clISt17integral_constantIbLb1EES11_EEDaSW_SX_EUlSW_E_NS1_11comp_targetILNS1_3genE3ELNS1_11target_archE908ELNS1_3gpuE7ELNS1_3repE0EEENS1_30default_config_static_selectorELNS0_4arch9wavefront6targetE0EEEvT1_,@function
_ZN7rocprim17ROCPRIM_400000_NS6detail17trampoline_kernelINS0_14default_configENS1_27scan_by_key_config_selectorIifEEZZNS1_16scan_by_key_implILNS1_25lookback_scan_determinismE0ELb0ES3_N6thrust23THRUST_200600_302600_NS6detail15normal_iteratorINS9_10device_ptrIiEEEENSB_INSC_IfEEEESG_fNS9_4plusIvEENS9_8equal_toIvEEfEE10hipError_tPvRmT2_T3_T4_T5_mT6_T7_P12ihipStream_tbENKUlT_T0_E_clISt17integral_constantIbLb1EES11_EEDaSW_SX_EUlSW_E_NS1_11comp_targetILNS1_3genE3ELNS1_11target_archE908ELNS1_3gpuE7ELNS1_3repE0EEENS1_30default_config_static_selectorELNS0_4arch9wavefront6targetE0EEEvT1_: ; @_ZN7rocprim17ROCPRIM_400000_NS6detail17trampoline_kernelINS0_14default_configENS1_27scan_by_key_config_selectorIifEEZZNS1_16scan_by_key_implILNS1_25lookback_scan_determinismE0ELb0ES3_N6thrust23THRUST_200600_302600_NS6detail15normal_iteratorINS9_10device_ptrIiEEEENSB_INSC_IfEEEESG_fNS9_4plusIvEENS9_8equal_toIvEEfEE10hipError_tPvRmT2_T3_T4_T5_mT6_T7_P12ihipStream_tbENKUlT_T0_E_clISt17integral_constantIbLb1EES11_EEDaSW_SX_EUlSW_E_NS1_11comp_targetILNS1_3genE3ELNS1_11target_archE908ELNS1_3gpuE7ELNS1_3repE0EEENS1_30default_config_static_selectorELNS0_4arch9wavefront6targetE0EEEvT1_
; %bb.0:
	.section	.rodata,"a",@progbits
	.p2align	6, 0x0
	.amdhsa_kernel _ZN7rocprim17ROCPRIM_400000_NS6detail17trampoline_kernelINS0_14default_configENS1_27scan_by_key_config_selectorIifEEZZNS1_16scan_by_key_implILNS1_25lookback_scan_determinismE0ELb0ES3_N6thrust23THRUST_200600_302600_NS6detail15normal_iteratorINS9_10device_ptrIiEEEENSB_INSC_IfEEEESG_fNS9_4plusIvEENS9_8equal_toIvEEfEE10hipError_tPvRmT2_T3_T4_T5_mT6_T7_P12ihipStream_tbENKUlT_T0_E_clISt17integral_constantIbLb1EES11_EEDaSW_SX_EUlSW_E_NS1_11comp_targetILNS1_3genE3ELNS1_11target_archE908ELNS1_3gpuE7ELNS1_3repE0EEENS1_30default_config_static_selectorELNS0_4arch9wavefront6targetE0EEEvT1_
		.amdhsa_group_segment_fixed_size 0
		.amdhsa_private_segment_fixed_size 0
		.amdhsa_kernarg_size 112
		.amdhsa_user_sgpr_count 2
		.amdhsa_user_sgpr_dispatch_ptr 0
		.amdhsa_user_sgpr_queue_ptr 0
		.amdhsa_user_sgpr_kernarg_segment_ptr 1
		.amdhsa_user_sgpr_dispatch_id 0
		.amdhsa_user_sgpr_kernarg_preload_length 0
		.amdhsa_user_sgpr_kernarg_preload_offset 0
		.amdhsa_user_sgpr_private_segment_size 0
		.amdhsa_wavefront_size32 1
		.amdhsa_uses_dynamic_stack 0
		.amdhsa_enable_private_segment 0
		.amdhsa_system_sgpr_workgroup_id_x 1
		.amdhsa_system_sgpr_workgroup_id_y 0
		.amdhsa_system_sgpr_workgroup_id_z 0
		.amdhsa_system_sgpr_workgroup_info 0
		.amdhsa_system_vgpr_workitem_id 0
		.amdhsa_next_free_vgpr 1
		.amdhsa_next_free_sgpr 1
		.amdhsa_named_barrier_count 0
		.amdhsa_reserve_vcc 0
		.amdhsa_float_round_mode_32 0
		.amdhsa_float_round_mode_16_64 0
		.amdhsa_float_denorm_mode_32 3
		.amdhsa_float_denorm_mode_16_64 3
		.amdhsa_fp16_overflow 0
		.amdhsa_memory_ordered 1
		.amdhsa_forward_progress 1
		.amdhsa_inst_pref_size 0
		.amdhsa_round_robin_scheduling 0
		.amdhsa_exception_fp_ieee_invalid_op 0
		.amdhsa_exception_fp_denorm_src 0
		.amdhsa_exception_fp_ieee_div_zero 0
		.amdhsa_exception_fp_ieee_overflow 0
		.amdhsa_exception_fp_ieee_underflow 0
		.amdhsa_exception_fp_ieee_inexact 0
		.amdhsa_exception_int_div_zero 0
	.end_amdhsa_kernel
	.section	.text._ZN7rocprim17ROCPRIM_400000_NS6detail17trampoline_kernelINS0_14default_configENS1_27scan_by_key_config_selectorIifEEZZNS1_16scan_by_key_implILNS1_25lookback_scan_determinismE0ELb0ES3_N6thrust23THRUST_200600_302600_NS6detail15normal_iteratorINS9_10device_ptrIiEEEENSB_INSC_IfEEEESG_fNS9_4plusIvEENS9_8equal_toIvEEfEE10hipError_tPvRmT2_T3_T4_T5_mT6_T7_P12ihipStream_tbENKUlT_T0_E_clISt17integral_constantIbLb1EES11_EEDaSW_SX_EUlSW_E_NS1_11comp_targetILNS1_3genE3ELNS1_11target_archE908ELNS1_3gpuE7ELNS1_3repE0EEENS1_30default_config_static_selectorELNS0_4arch9wavefront6targetE0EEEvT1_,"axG",@progbits,_ZN7rocprim17ROCPRIM_400000_NS6detail17trampoline_kernelINS0_14default_configENS1_27scan_by_key_config_selectorIifEEZZNS1_16scan_by_key_implILNS1_25lookback_scan_determinismE0ELb0ES3_N6thrust23THRUST_200600_302600_NS6detail15normal_iteratorINS9_10device_ptrIiEEEENSB_INSC_IfEEEESG_fNS9_4plusIvEENS9_8equal_toIvEEfEE10hipError_tPvRmT2_T3_T4_T5_mT6_T7_P12ihipStream_tbENKUlT_T0_E_clISt17integral_constantIbLb1EES11_EEDaSW_SX_EUlSW_E_NS1_11comp_targetILNS1_3genE3ELNS1_11target_archE908ELNS1_3gpuE7ELNS1_3repE0EEENS1_30default_config_static_selectorELNS0_4arch9wavefront6targetE0EEEvT1_,comdat
.Lfunc_end1145:
	.size	_ZN7rocprim17ROCPRIM_400000_NS6detail17trampoline_kernelINS0_14default_configENS1_27scan_by_key_config_selectorIifEEZZNS1_16scan_by_key_implILNS1_25lookback_scan_determinismE0ELb0ES3_N6thrust23THRUST_200600_302600_NS6detail15normal_iteratorINS9_10device_ptrIiEEEENSB_INSC_IfEEEESG_fNS9_4plusIvEENS9_8equal_toIvEEfEE10hipError_tPvRmT2_T3_T4_T5_mT6_T7_P12ihipStream_tbENKUlT_T0_E_clISt17integral_constantIbLb1EES11_EEDaSW_SX_EUlSW_E_NS1_11comp_targetILNS1_3genE3ELNS1_11target_archE908ELNS1_3gpuE7ELNS1_3repE0EEENS1_30default_config_static_selectorELNS0_4arch9wavefront6targetE0EEEvT1_, .Lfunc_end1145-_ZN7rocprim17ROCPRIM_400000_NS6detail17trampoline_kernelINS0_14default_configENS1_27scan_by_key_config_selectorIifEEZZNS1_16scan_by_key_implILNS1_25lookback_scan_determinismE0ELb0ES3_N6thrust23THRUST_200600_302600_NS6detail15normal_iteratorINS9_10device_ptrIiEEEENSB_INSC_IfEEEESG_fNS9_4plusIvEENS9_8equal_toIvEEfEE10hipError_tPvRmT2_T3_T4_T5_mT6_T7_P12ihipStream_tbENKUlT_T0_E_clISt17integral_constantIbLb1EES11_EEDaSW_SX_EUlSW_E_NS1_11comp_targetILNS1_3genE3ELNS1_11target_archE908ELNS1_3gpuE7ELNS1_3repE0EEENS1_30default_config_static_selectorELNS0_4arch9wavefront6targetE0EEEvT1_
                                        ; -- End function
	.set _ZN7rocprim17ROCPRIM_400000_NS6detail17trampoline_kernelINS0_14default_configENS1_27scan_by_key_config_selectorIifEEZZNS1_16scan_by_key_implILNS1_25lookback_scan_determinismE0ELb0ES3_N6thrust23THRUST_200600_302600_NS6detail15normal_iteratorINS9_10device_ptrIiEEEENSB_INSC_IfEEEESG_fNS9_4plusIvEENS9_8equal_toIvEEfEE10hipError_tPvRmT2_T3_T4_T5_mT6_T7_P12ihipStream_tbENKUlT_T0_E_clISt17integral_constantIbLb1EES11_EEDaSW_SX_EUlSW_E_NS1_11comp_targetILNS1_3genE3ELNS1_11target_archE908ELNS1_3gpuE7ELNS1_3repE0EEENS1_30default_config_static_selectorELNS0_4arch9wavefront6targetE0EEEvT1_.num_vgpr, 0
	.set _ZN7rocprim17ROCPRIM_400000_NS6detail17trampoline_kernelINS0_14default_configENS1_27scan_by_key_config_selectorIifEEZZNS1_16scan_by_key_implILNS1_25lookback_scan_determinismE0ELb0ES3_N6thrust23THRUST_200600_302600_NS6detail15normal_iteratorINS9_10device_ptrIiEEEENSB_INSC_IfEEEESG_fNS9_4plusIvEENS9_8equal_toIvEEfEE10hipError_tPvRmT2_T3_T4_T5_mT6_T7_P12ihipStream_tbENKUlT_T0_E_clISt17integral_constantIbLb1EES11_EEDaSW_SX_EUlSW_E_NS1_11comp_targetILNS1_3genE3ELNS1_11target_archE908ELNS1_3gpuE7ELNS1_3repE0EEENS1_30default_config_static_selectorELNS0_4arch9wavefront6targetE0EEEvT1_.num_agpr, 0
	.set _ZN7rocprim17ROCPRIM_400000_NS6detail17trampoline_kernelINS0_14default_configENS1_27scan_by_key_config_selectorIifEEZZNS1_16scan_by_key_implILNS1_25lookback_scan_determinismE0ELb0ES3_N6thrust23THRUST_200600_302600_NS6detail15normal_iteratorINS9_10device_ptrIiEEEENSB_INSC_IfEEEESG_fNS9_4plusIvEENS9_8equal_toIvEEfEE10hipError_tPvRmT2_T3_T4_T5_mT6_T7_P12ihipStream_tbENKUlT_T0_E_clISt17integral_constantIbLb1EES11_EEDaSW_SX_EUlSW_E_NS1_11comp_targetILNS1_3genE3ELNS1_11target_archE908ELNS1_3gpuE7ELNS1_3repE0EEENS1_30default_config_static_selectorELNS0_4arch9wavefront6targetE0EEEvT1_.numbered_sgpr, 0
	.set _ZN7rocprim17ROCPRIM_400000_NS6detail17trampoline_kernelINS0_14default_configENS1_27scan_by_key_config_selectorIifEEZZNS1_16scan_by_key_implILNS1_25lookback_scan_determinismE0ELb0ES3_N6thrust23THRUST_200600_302600_NS6detail15normal_iteratorINS9_10device_ptrIiEEEENSB_INSC_IfEEEESG_fNS9_4plusIvEENS9_8equal_toIvEEfEE10hipError_tPvRmT2_T3_T4_T5_mT6_T7_P12ihipStream_tbENKUlT_T0_E_clISt17integral_constantIbLb1EES11_EEDaSW_SX_EUlSW_E_NS1_11comp_targetILNS1_3genE3ELNS1_11target_archE908ELNS1_3gpuE7ELNS1_3repE0EEENS1_30default_config_static_selectorELNS0_4arch9wavefront6targetE0EEEvT1_.num_named_barrier, 0
	.set _ZN7rocprim17ROCPRIM_400000_NS6detail17trampoline_kernelINS0_14default_configENS1_27scan_by_key_config_selectorIifEEZZNS1_16scan_by_key_implILNS1_25lookback_scan_determinismE0ELb0ES3_N6thrust23THRUST_200600_302600_NS6detail15normal_iteratorINS9_10device_ptrIiEEEENSB_INSC_IfEEEESG_fNS9_4plusIvEENS9_8equal_toIvEEfEE10hipError_tPvRmT2_T3_T4_T5_mT6_T7_P12ihipStream_tbENKUlT_T0_E_clISt17integral_constantIbLb1EES11_EEDaSW_SX_EUlSW_E_NS1_11comp_targetILNS1_3genE3ELNS1_11target_archE908ELNS1_3gpuE7ELNS1_3repE0EEENS1_30default_config_static_selectorELNS0_4arch9wavefront6targetE0EEEvT1_.private_seg_size, 0
	.set _ZN7rocprim17ROCPRIM_400000_NS6detail17trampoline_kernelINS0_14default_configENS1_27scan_by_key_config_selectorIifEEZZNS1_16scan_by_key_implILNS1_25lookback_scan_determinismE0ELb0ES3_N6thrust23THRUST_200600_302600_NS6detail15normal_iteratorINS9_10device_ptrIiEEEENSB_INSC_IfEEEESG_fNS9_4plusIvEENS9_8equal_toIvEEfEE10hipError_tPvRmT2_T3_T4_T5_mT6_T7_P12ihipStream_tbENKUlT_T0_E_clISt17integral_constantIbLb1EES11_EEDaSW_SX_EUlSW_E_NS1_11comp_targetILNS1_3genE3ELNS1_11target_archE908ELNS1_3gpuE7ELNS1_3repE0EEENS1_30default_config_static_selectorELNS0_4arch9wavefront6targetE0EEEvT1_.uses_vcc, 0
	.set _ZN7rocprim17ROCPRIM_400000_NS6detail17trampoline_kernelINS0_14default_configENS1_27scan_by_key_config_selectorIifEEZZNS1_16scan_by_key_implILNS1_25lookback_scan_determinismE0ELb0ES3_N6thrust23THRUST_200600_302600_NS6detail15normal_iteratorINS9_10device_ptrIiEEEENSB_INSC_IfEEEESG_fNS9_4plusIvEENS9_8equal_toIvEEfEE10hipError_tPvRmT2_T3_T4_T5_mT6_T7_P12ihipStream_tbENKUlT_T0_E_clISt17integral_constantIbLb1EES11_EEDaSW_SX_EUlSW_E_NS1_11comp_targetILNS1_3genE3ELNS1_11target_archE908ELNS1_3gpuE7ELNS1_3repE0EEENS1_30default_config_static_selectorELNS0_4arch9wavefront6targetE0EEEvT1_.uses_flat_scratch, 0
	.set _ZN7rocprim17ROCPRIM_400000_NS6detail17trampoline_kernelINS0_14default_configENS1_27scan_by_key_config_selectorIifEEZZNS1_16scan_by_key_implILNS1_25lookback_scan_determinismE0ELb0ES3_N6thrust23THRUST_200600_302600_NS6detail15normal_iteratorINS9_10device_ptrIiEEEENSB_INSC_IfEEEESG_fNS9_4plusIvEENS9_8equal_toIvEEfEE10hipError_tPvRmT2_T3_T4_T5_mT6_T7_P12ihipStream_tbENKUlT_T0_E_clISt17integral_constantIbLb1EES11_EEDaSW_SX_EUlSW_E_NS1_11comp_targetILNS1_3genE3ELNS1_11target_archE908ELNS1_3gpuE7ELNS1_3repE0EEENS1_30default_config_static_selectorELNS0_4arch9wavefront6targetE0EEEvT1_.has_dyn_sized_stack, 0
	.set _ZN7rocprim17ROCPRIM_400000_NS6detail17trampoline_kernelINS0_14default_configENS1_27scan_by_key_config_selectorIifEEZZNS1_16scan_by_key_implILNS1_25lookback_scan_determinismE0ELb0ES3_N6thrust23THRUST_200600_302600_NS6detail15normal_iteratorINS9_10device_ptrIiEEEENSB_INSC_IfEEEESG_fNS9_4plusIvEENS9_8equal_toIvEEfEE10hipError_tPvRmT2_T3_T4_T5_mT6_T7_P12ihipStream_tbENKUlT_T0_E_clISt17integral_constantIbLb1EES11_EEDaSW_SX_EUlSW_E_NS1_11comp_targetILNS1_3genE3ELNS1_11target_archE908ELNS1_3gpuE7ELNS1_3repE0EEENS1_30default_config_static_selectorELNS0_4arch9wavefront6targetE0EEEvT1_.has_recursion, 0
	.set _ZN7rocprim17ROCPRIM_400000_NS6detail17trampoline_kernelINS0_14default_configENS1_27scan_by_key_config_selectorIifEEZZNS1_16scan_by_key_implILNS1_25lookback_scan_determinismE0ELb0ES3_N6thrust23THRUST_200600_302600_NS6detail15normal_iteratorINS9_10device_ptrIiEEEENSB_INSC_IfEEEESG_fNS9_4plusIvEENS9_8equal_toIvEEfEE10hipError_tPvRmT2_T3_T4_T5_mT6_T7_P12ihipStream_tbENKUlT_T0_E_clISt17integral_constantIbLb1EES11_EEDaSW_SX_EUlSW_E_NS1_11comp_targetILNS1_3genE3ELNS1_11target_archE908ELNS1_3gpuE7ELNS1_3repE0EEENS1_30default_config_static_selectorELNS0_4arch9wavefront6targetE0EEEvT1_.has_indirect_call, 0
	.section	.AMDGPU.csdata,"",@progbits
; Kernel info:
; codeLenInByte = 0
; TotalNumSgprs: 0
; NumVgprs: 0
; ScratchSize: 0
; MemoryBound: 0
; FloatMode: 240
; IeeeMode: 1
; LDSByteSize: 0 bytes/workgroup (compile time only)
; SGPRBlocks: 0
; VGPRBlocks: 0
; NumSGPRsForWavesPerEU: 1
; NumVGPRsForWavesPerEU: 1
; NamedBarCnt: 0
; Occupancy: 16
; WaveLimiterHint : 0
; COMPUTE_PGM_RSRC2:SCRATCH_EN: 0
; COMPUTE_PGM_RSRC2:USER_SGPR: 2
; COMPUTE_PGM_RSRC2:TRAP_HANDLER: 0
; COMPUTE_PGM_RSRC2:TGID_X_EN: 1
; COMPUTE_PGM_RSRC2:TGID_Y_EN: 0
; COMPUTE_PGM_RSRC2:TGID_Z_EN: 0
; COMPUTE_PGM_RSRC2:TIDIG_COMP_CNT: 0
	.section	.text._ZN7rocprim17ROCPRIM_400000_NS6detail17trampoline_kernelINS0_14default_configENS1_27scan_by_key_config_selectorIifEEZZNS1_16scan_by_key_implILNS1_25lookback_scan_determinismE0ELb0ES3_N6thrust23THRUST_200600_302600_NS6detail15normal_iteratorINS9_10device_ptrIiEEEENSB_INSC_IfEEEESG_fNS9_4plusIvEENS9_8equal_toIvEEfEE10hipError_tPvRmT2_T3_T4_T5_mT6_T7_P12ihipStream_tbENKUlT_T0_E_clISt17integral_constantIbLb1EES11_EEDaSW_SX_EUlSW_E_NS1_11comp_targetILNS1_3genE2ELNS1_11target_archE906ELNS1_3gpuE6ELNS1_3repE0EEENS1_30default_config_static_selectorELNS0_4arch9wavefront6targetE0EEEvT1_,"axG",@progbits,_ZN7rocprim17ROCPRIM_400000_NS6detail17trampoline_kernelINS0_14default_configENS1_27scan_by_key_config_selectorIifEEZZNS1_16scan_by_key_implILNS1_25lookback_scan_determinismE0ELb0ES3_N6thrust23THRUST_200600_302600_NS6detail15normal_iteratorINS9_10device_ptrIiEEEENSB_INSC_IfEEEESG_fNS9_4plusIvEENS9_8equal_toIvEEfEE10hipError_tPvRmT2_T3_T4_T5_mT6_T7_P12ihipStream_tbENKUlT_T0_E_clISt17integral_constantIbLb1EES11_EEDaSW_SX_EUlSW_E_NS1_11comp_targetILNS1_3genE2ELNS1_11target_archE906ELNS1_3gpuE6ELNS1_3repE0EEENS1_30default_config_static_selectorELNS0_4arch9wavefront6targetE0EEEvT1_,comdat
	.protected	_ZN7rocprim17ROCPRIM_400000_NS6detail17trampoline_kernelINS0_14default_configENS1_27scan_by_key_config_selectorIifEEZZNS1_16scan_by_key_implILNS1_25lookback_scan_determinismE0ELb0ES3_N6thrust23THRUST_200600_302600_NS6detail15normal_iteratorINS9_10device_ptrIiEEEENSB_INSC_IfEEEESG_fNS9_4plusIvEENS9_8equal_toIvEEfEE10hipError_tPvRmT2_T3_T4_T5_mT6_T7_P12ihipStream_tbENKUlT_T0_E_clISt17integral_constantIbLb1EES11_EEDaSW_SX_EUlSW_E_NS1_11comp_targetILNS1_3genE2ELNS1_11target_archE906ELNS1_3gpuE6ELNS1_3repE0EEENS1_30default_config_static_selectorELNS0_4arch9wavefront6targetE0EEEvT1_ ; -- Begin function _ZN7rocprim17ROCPRIM_400000_NS6detail17trampoline_kernelINS0_14default_configENS1_27scan_by_key_config_selectorIifEEZZNS1_16scan_by_key_implILNS1_25lookback_scan_determinismE0ELb0ES3_N6thrust23THRUST_200600_302600_NS6detail15normal_iteratorINS9_10device_ptrIiEEEENSB_INSC_IfEEEESG_fNS9_4plusIvEENS9_8equal_toIvEEfEE10hipError_tPvRmT2_T3_T4_T5_mT6_T7_P12ihipStream_tbENKUlT_T0_E_clISt17integral_constantIbLb1EES11_EEDaSW_SX_EUlSW_E_NS1_11comp_targetILNS1_3genE2ELNS1_11target_archE906ELNS1_3gpuE6ELNS1_3repE0EEENS1_30default_config_static_selectorELNS0_4arch9wavefront6targetE0EEEvT1_
	.globl	_ZN7rocprim17ROCPRIM_400000_NS6detail17trampoline_kernelINS0_14default_configENS1_27scan_by_key_config_selectorIifEEZZNS1_16scan_by_key_implILNS1_25lookback_scan_determinismE0ELb0ES3_N6thrust23THRUST_200600_302600_NS6detail15normal_iteratorINS9_10device_ptrIiEEEENSB_INSC_IfEEEESG_fNS9_4plusIvEENS9_8equal_toIvEEfEE10hipError_tPvRmT2_T3_T4_T5_mT6_T7_P12ihipStream_tbENKUlT_T0_E_clISt17integral_constantIbLb1EES11_EEDaSW_SX_EUlSW_E_NS1_11comp_targetILNS1_3genE2ELNS1_11target_archE906ELNS1_3gpuE6ELNS1_3repE0EEENS1_30default_config_static_selectorELNS0_4arch9wavefront6targetE0EEEvT1_
	.p2align	8
	.type	_ZN7rocprim17ROCPRIM_400000_NS6detail17trampoline_kernelINS0_14default_configENS1_27scan_by_key_config_selectorIifEEZZNS1_16scan_by_key_implILNS1_25lookback_scan_determinismE0ELb0ES3_N6thrust23THRUST_200600_302600_NS6detail15normal_iteratorINS9_10device_ptrIiEEEENSB_INSC_IfEEEESG_fNS9_4plusIvEENS9_8equal_toIvEEfEE10hipError_tPvRmT2_T3_T4_T5_mT6_T7_P12ihipStream_tbENKUlT_T0_E_clISt17integral_constantIbLb1EES11_EEDaSW_SX_EUlSW_E_NS1_11comp_targetILNS1_3genE2ELNS1_11target_archE906ELNS1_3gpuE6ELNS1_3repE0EEENS1_30default_config_static_selectorELNS0_4arch9wavefront6targetE0EEEvT1_,@function
_ZN7rocprim17ROCPRIM_400000_NS6detail17trampoline_kernelINS0_14default_configENS1_27scan_by_key_config_selectorIifEEZZNS1_16scan_by_key_implILNS1_25lookback_scan_determinismE0ELb0ES3_N6thrust23THRUST_200600_302600_NS6detail15normal_iteratorINS9_10device_ptrIiEEEENSB_INSC_IfEEEESG_fNS9_4plusIvEENS9_8equal_toIvEEfEE10hipError_tPvRmT2_T3_T4_T5_mT6_T7_P12ihipStream_tbENKUlT_T0_E_clISt17integral_constantIbLb1EES11_EEDaSW_SX_EUlSW_E_NS1_11comp_targetILNS1_3genE2ELNS1_11target_archE906ELNS1_3gpuE6ELNS1_3repE0EEENS1_30default_config_static_selectorELNS0_4arch9wavefront6targetE0EEEvT1_: ; @_ZN7rocprim17ROCPRIM_400000_NS6detail17trampoline_kernelINS0_14default_configENS1_27scan_by_key_config_selectorIifEEZZNS1_16scan_by_key_implILNS1_25lookback_scan_determinismE0ELb0ES3_N6thrust23THRUST_200600_302600_NS6detail15normal_iteratorINS9_10device_ptrIiEEEENSB_INSC_IfEEEESG_fNS9_4plusIvEENS9_8equal_toIvEEfEE10hipError_tPvRmT2_T3_T4_T5_mT6_T7_P12ihipStream_tbENKUlT_T0_E_clISt17integral_constantIbLb1EES11_EEDaSW_SX_EUlSW_E_NS1_11comp_targetILNS1_3genE2ELNS1_11target_archE906ELNS1_3gpuE6ELNS1_3repE0EEENS1_30default_config_static_selectorELNS0_4arch9wavefront6targetE0EEEvT1_
; %bb.0:
	.section	.rodata,"a",@progbits
	.p2align	6, 0x0
	.amdhsa_kernel _ZN7rocprim17ROCPRIM_400000_NS6detail17trampoline_kernelINS0_14default_configENS1_27scan_by_key_config_selectorIifEEZZNS1_16scan_by_key_implILNS1_25lookback_scan_determinismE0ELb0ES3_N6thrust23THRUST_200600_302600_NS6detail15normal_iteratorINS9_10device_ptrIiEEEENSB_INSC_IfEEEESG_fNS9_4plusIvEENS9_8equal_toIvEEfEE10hipError_tPvRmT2_T3_T4_T5_mT6_T7_P12ihipStream_tbENKUlT_T0_E_clISt17integral_constantIbLb1EES11_EEDaSW_SX_EUlSW_E_NS1_11comp_targetILNS1_3genE2ELNS1_11target_archE906ELNS1_3gpuE6ELNS1_3repE0EEENS1_30default_config_static_selectorELNS0_4arch9wavefront6targetE0EEEvT1_
		.amdhsa_group_segment_fixed_size 0
		.amdhsa_private_segment_fixed_size 0
		.amdhsa_kernarg_size 112
		.amdhsa_user_sgpr_count 2
		.amdhsa_user_sgpr_dispatch_ptr 0
		.amdhsa_user_sgpr_queue_ptr 0
		.amdhsa_user_sgpr_kernarg_segment_ptr 1
		.amdhsa_user_sgpr_dispatch_id 0
		.amdhsa_user_sgpr_kernarg_preload_length 0
		.amdhsa_user_sgpr_kernarg_preload_offset 0
		.amdhsa_user_sgpr_private_segment_size 0
		.amdhsa_wavefront_size32 1
		.amdhsa_uses_dynamic_stack 0
		.amdhsa_enable_private_segment 0
		.amdhsa_system_sgpr_workgroup_id_x 1
		.amdhsa_system_sgpr_workgroup_id_y 0
		.amdhsa_system_sgpr_workgroup_id_z 0
		.amdhsa_system_sgpr_workgroup_info 0
		.amdhsa_system_vgpr_workitem_id 0
		.amdhsa_next_free_vgpr 1
		.amdhsa_next_free_sgpr 1
		.amdhsa_named_barrier_count 0
		.amdhsa_reserve_vcc 0
		.amdhsa_float_round_mode_32 0
		.amdhsa_float_round_mode_16_64 0
		.amdhsa_float_denorm_mode_32 3
		.amdhsa_float_denorm_mode_16_64 3
		.amdhsa_fp16_overflow 0
		.amdhsa_memory_ordered 1
		.amdhsa_forward_progress 1
		.amdhsa_inst_pref_size 0
		.amdhsa_round_robin_scheduling 0
		.amdhsa_exception_fp_ieee_invalid_op 0
		.amdhsa_exception_fp_denorm_src 0
		.amdhsa_exception_fp_ieee_div_zero 0
		.amdhsa_exception_fp_ieee_overflow 0
		.amdhsa_exception_fp_ieee_underflow 0
		.amdhsa_exception_fp_ieee_inexact 0
		.amdhsa_exception_int_div_zero 0
	.end_amdhsa_kernel
	.section	.text._ZN7rocprim17ROCPRIM_400000_NS6detail17trampoline_kernelINS0_14default_configENS1_27scan_by_key_config_selectorIifEEZZNS1_16scan_by_key_implILNS1_25lookback_scan_determinismE0ELb0ES3_N6thrust23THRUST_200600_302600_NS6detail15normal_iteratorINS9_10device_ptrIiEEEENSB_INSC_IfEEEESG_fNS9_4plusIvEENS9_8equal_toIvEEfEE10hipError_tPvRmT2_T3_T4_T5_mT6_T7_P12ihipStream_tbENKUlT_T0_E_clISt17integral_constantIbLb1EES11_EEDaSW_SX_EUlSW_E_NS1_11comp_targetILNS1_3genE2ELNS1_11target_archE906ELNS1_3gpuE6ELNS1_3repE0EEENS1_30default_config_static_selectorELNS0_4arch9wavefront6targetE0EEEvT1_,"axG",@progbits,_ZN7rocprim17ROCPRIM_400000_NS6detail17trampoline_kernelINS0_14default_configENS1_27scan_by_key_config_selectorIifEEZZNS1_16scan_by_key_implILNS1_25lookback_scan_determinismE0ELb0ES3_N6thrust23THRUST_200600_302600_NS6detail15normal_iteratorINS9_10device_ptrIiEEEENSB_INSC_IfEEEESG_fNS9_4plusIvEENS9_8equal_toIvEEfEE10hipError_tPvRmT2_T3_T4_T5_mT6_T7_P12ihipStream_tbENKUlT_T0_E_clISt17integral_constantIbLb1EES11_EEDaSW_SX_EUlSW_E_NS1_11comp_targetILNS1_3genE2ELNS1_11target_archE906ELNS1_3gpuE6ELNS1_3repE0EEENS1_30default_config_static_selectorELNS0_4arch9wavefront6targetE0EEEvT1_,comdat
.Lfunc_end1146:
	.size	_ZN7rocprim17ROCPRIM_400000_NS6detail17trampoline_kernelINS0_14default_configENS1_27scan_by_key_config_selectorIifEEZZNS1_16scan_by_key_implILNS1_25lookback_scan_determinismE0ELb0ES3_N6thrust23THRUST_200600_302600_NS6detail15normal_iteratorINS9_10device_ptrIiEEEENSB_INSC_IfEEEESG_fNS9_4plusIvEENS9_8equal_toIvEEfEE10hipError_tPvRmT2_T3_T4_T5_mT6_T7_P12ihipStream_tbENKUlT_T0_E_clISt17integral_constantIbLb1EES11_EEDaSW_SX_EUlSW_E_NS1_11comp_targetILNS1_3genE2ELNS1_11target_archE906ELNS1_3gpuE6ELNS1_3repE0EEENS1_30default_config_static_selectorELNS0_4arch9wavefront6targetE0EEEvT1_, .Lfunc_end1146-_ZN7rocprim17ROCPRIM_400000_NS6detail17trampoline_kernelINS0_14default_configENS1_27scan_by_key_config_selectorIifEEZZNS1_16scan_by_key_implILNS1_25lookback_scan_determinismE0ELb0ES3_N6thrust23THRUST_200600_302600_NS6detail15normal_iteratorINS9_10device_ptrIiEEEENSB_INSC_IfEEEESG_fNS9_4plusIvEENS9_8equal_toIvEEfEE10hipError_tPvRmT2_T3_T4_T5_mT6_T7_P12ihipStream_tbENKUlT_T0_E_clISt17integral_constantIbLb1EES11_EEDaSW_SX_EUlSW_E_NS1_11comp_targetILNS1_3genE2ELNS1_11target_archE906ELNS1_3gpuE6ELNS1_3repE0EEENS1_30default_config_static_selectorELNS0_4arch9wavefront6targetE0EEEvT1_
                                        ; -- End function
	.set _ZN7rocprim17ROCPRIM_400000_NS6detail17trampoline_kernelINS0_14default_configENS1_27scan_by_key_config_selectorIifEEZZNS1_16scan_by_key_implILNS1_25lookback_scan_determinismE0ELb0ES3_N6thrust23THRUST_200600_302600_NS6detail15normal_iteratorINS9_10device_ptrIiEEEENSB_INSC_IfEEEESG_fNS9_4plusIvEENS9_8equal_toIvEEfEE10hipError_tPvRmT2_T3_T4_T5_mT6_T7_P12ihipStream_tbENKUlT_T0_E_clISt17integral_constantIbLb1EES11_EEDaSW_SX_EUlSW_E_NS1_11comp_targetILNS1_3genE2ELNS1_11target_archE906ELNS1_3gpuE6ELNS1_3repE0EEENS1_30default_config_static_selectorELNS0_4arch9wavefront6targetE0EEEvT1_.num_vgpr, 0
	.set _ZN7rocprim17ROCPRIM_400000_NS6detail17trampoline_kernelINS0_14default_configENS1_27scan_by_key_config_selectorIifEEZZNS1_16scan_by_key_implILNS1_25lookback_scan_determinismE0ELb0ES3_N6thrust23THRUST_200600_302600_NS6detail15normal_iteratorINS9_10device_ptrIiEEEENSB_INSC_IfEEEESG_fNS9_4plusIvEENS9_8equal_toIvEEfEE10hipError_tPvRmT2_T3_T4_T5_mT6_T7_P12ihipStream_tbENKUlT_T0_E_clISt17integral_constantIbLb1EES11_EEDaSW_SX_EUlSW_E_NS1_11comp_targetILNS1_3genE2ELNS1_11target_archE906ELNS1_3gpuE6ELNS1_3repE0EEENS1_30default_config_static_selectorELNS0_4arch9wavefront6targetE0EEEvT1_.num_agpr, 0
	.set _ZN7rocprim17ROCPRIM_400000_NS6detail17trampoline_kernelINS0_14default_configENS1_27scan_by_key_config_selectorIifEEZZNS1_16scan_by_key_implILNS1_25lookback_scan_determinismE0ELb0ES3_N6thrust23THRUST_200600_302600_NS6detail15normal_iteratorINS9_10device_ptrIiEEEENSB_INSC_IfEEEESG_fNS9_4plusIvEENS9_8equal_toIvEEfEE10hipError_tPvRmT2_T3_T4_T5_mT6_T7_P12ihipStream_tbENKUlT_T0_E_clISt17integral_constantIbLb1EES11_EEDaSW_SX_EUlSW_E_NS1_11comp_targetILNS1_3genE2ELNS1_11target_archE906ELNS1_3gpuE6ELNS1_3repE0EEENS1_30default_config_static_selectorELNS0_4arch9wavefront6targetE0EEEvT1_.numbered_sgpr, 0
	.set _ZN7rocprim17ROCPRIM_400000_NS6detail17trampoline_kernelINS0_14default_configENS1_27scan_by_key_config_selectorIifEEZZNS1_16scan_by_key_implILNS1_25lookback_scan_determinismE0ELb0ES3_N6thrust23THRUST_200600_302600_NS6detail15normal_iteratorINS9_10device_ptrIiEEEENSB_INSC_IfEEEESG_fNS9_4plusIvEENS9_8equal_toIvEEfEE10hipError_tPvRmT2_T3_T4_T5_mT6_T7_P12ihipStream_tbENKUlT_T0_E_clISt17integral_constantIbLb1EES11_EEDaSW_SX_EUlSW_E_NS1_11comp_targetILNS1_3genE2ELNS1_11target_archE906ELNS1_3gpuE6ELNS1_3repE0EEENS1_30default_config_static_selectorELNS0_4arch9wavefront6targetE0EEEvT1_.num_named_barrier, 0
	.set _ZN7rocprim17ROCPRIM_400000_NS6detail17trampoline_kernelINS0_14default_configENS1_27scan_by_key_config_selectorIifEEZZNS1_16scan_by_key_implILNS1_25lookback_scan_determinismE0ELb0ES3_N6thrust23THRUST_200600_302600_NS6detail15normal_iteratorINS9_10device_ptrIiEEEENSB_INSC_IfEEEESG_fNS9_4plusIvEENS9_8equal_toIvEEfEE10hipError_tPvRmT2_T3_T4_T5_mT6_T7_P12ihipStream_tbENKUlT_T0_E_clISt17integral_constantIbLb1EES11_EEDaSW_SX_EUlSW_E_NS1_11comp_targetILNS1_3genE2ELNS1_11target_archE906ELNS1_3gpuE6ELNS1_3repE0EEENS1_30default_config_static_selectorELNS0_4arch9wavefront6targetE0EEEvT1_.private_seg_size, 0
	.set _ZN7rocprim17ROCPRIM_400000_NS6detail17trampoline_kernelINS0_14default_configENS1_27scan_by_key_config_selectorIifEEZZNS1_16scan_by_key_implILNS1_25lookback_scan_determinismE0ELb0ES3_N6thrust23THRUST_200600_302600_NS6detail15normal_iteratorINS9_10device_ptrIiEEEENSB_INSC_IfEEEESG_fNS9_4plusIvEENS9_8equal_toIvEEfEE10hipError_tPvRmT2_T3_T4_T5_mT6_T7_P12ihipStream_tbENKUlT_T0_E_clISt17integral_constantIbLb1EES11_EEDaSW_SX_EUlSW_E_NS1_11comp_targetILNS1_3genE2ELNS1_11target_archE906ELNS1_3gpuE6ELNS1_3repE0EEENS1_30default_config_static_selectorELNS0_4arch9wavefront6targetE0EEEvT1_.uses_vcc, 0
	.set _ZN7rocprim17ROCPRIM_400000_NS6detail17trampoline_kernelINS0_14default_configENS1_27scan_by_key_config_selectorIifEEZZNS1_16scan_by_key_implILNS1_25lookback_scan_determinismE0ELb0ES3_N6thrust23THRUST_200600_302600_NS6detail15normal_iteratorINS9_10device_ptrIiEEEENSB_INSC_IfEEEESG_fNS9_4plusIvEENS9_8equal_toIvEEfEE10hipError_tPvRmT2_T3_T4_T5_mT6_T7_P12ihipStream_tbENKUlT_T0_E_clISt17integral_constantIbLb1EES11_EEDaSW_SX_EUlSW_E_NS1_11comp_targetILNS1_3genE2ELNS1_11target_archE906ELNS1_3gpuE6ELNS1_3repE0EEENS1_30default_config_static_selectorELNS0_4arch9wavefront6targetE0EEEvT1_.uses_flat_scratch, 0
	.set _ZN7rocprim17ROCPRIM_400000_NS6detail17trampoline_kernelINS0_14default_configENS1_27scan_by_key_config_selectorIifEEZZNS1_16scan_by_key_implILNS1_25lookback_scan_determinismE0ELb0ES3_N6thrust23THRUST_200600_302600_NS6detail15normal_iteratorINS9_10device_ptrIiEEEENSB_INSC_IfEEEESG_fNS9_4plusIvEENS9_8equal_toIvEEfEE10hipError_tPvRmT2_T3_T4_T5_mT6_T7_P12ihipStream_tbENKUlT_T0_E_clISt17integral_constantIbLb1EES11_EEDaSW_SX_EUlSW_E_NS1_11comp_targetILNS1_3genE2ELNS1_11target_archE906ELNS1_3gpuE6ELNS1_3repE0EEENS1_30default_config_static_selectorELNS0_4arch9wavefront6targetE0EEEvT1_.has_dyn_sized_stack, 0
	.set _ZN7rocprim17ROCPRIM_400000_NS6detail17trampoline_kernelINS0_14default_configENS1_27scan_by_key_config_selectorIifEEZZNS1_16scan_by_key_implILNS1_25lookback_scan_determinismE0ELb0ES3_N6thrust23THRUST_200600_302600_NS6detail15normal_iteratorINS9_10device_ptrIiEEEENSB_INSC_IfEEEESG_fNS9_4plusIvEENS9_8equal_toIvEEfEE10hipError_tPvRmT2_T3_T4_T5_mT6_T7_P12ihipStream_tbENKUlT_T0_E_clISt17integral_constantIbLb1EES11_EEDaSW_SX_EUlSW_E_NS1_11comp_targetILNS1_3genE2ELNS1_11target_archE906ELNS1_3gpuE6ELNS1_3repE0EEENS1_30default_config_static_selectorELNS0_4arch9wavefront6targetE0EEEvT1_.has_recursion, 0
	.set _ZN7rocprim17ROCPRIM_400000_NS6detail17trampoline_kernelINS0_14default_configENS1_27scan_by_key_config_selectorIifEEZZNS1_16scan_by_key_implILNS1_25lookback_scan_determinismE0ELb0ES3_N6thrust23THRUST_200600_302600_NS6detail15normal_iteratorINS9_10device_ptrIiEEEENSB_INSC_IfEEEESG_fNS9_4plusIvEENS9_8equal_toIvEEfEE10hipError_tPvRmT2_T3_T4_T5_mT6_T7_P12ihipStream_tbENKUlT_T0_E_clISt17integral_constantIbLb1EES11_EEDaSW_SX_EUlSW_E_NS1_11comp_targetILNS1_3genE2ELNS1_11target_archE906ELNS1_3gpuE6ELNS1_3repE0EEENS1_30default_config_static_selectorELNS0_4arch9wavefront6targetE0EEEvT1_.has_indirect_call, 0
	.section	.AMDGPU.csdata,"",@progbits
; Kernel info:
; codeLenInByte = 0
; TotalNumSgprs: 0
; NumVgprs: 0
; ScratchSize: 0
; MemoryBound: 0
; FloatMode: 240
; IeeeMode: 1
; LDSByteSize: 0 bytes/workgroup (compile time only)
; SGPRBlocks: 0
; VGPRBlocks: 0
; NumSGPRsForWavesPerEU: 1
; NumVGPRsForWavesPerEU: 1
; NamedBarCnt: 0
; Occupancy: 16
; WaveLimiterHint : 0
; COMPUTE_PGM_RSRC2:SCRATCH_EN: 0
; COMPUTE_PGM_RSRC2:USER_SGPR: 2
; COMPUTE_PGM_RSRC2:TRAP_HANDLER: 0
; COMPUTE_PGM_RSRC2:TGID_X_EN: 1
; COMPUTE_PGM_RSRC2:TGID_Y_EN: 0
; COMPUTE_PGM_RSRC2:TGID_Z_EN: 0
; COMPUTE_PGM_RSRC2:TIDIG_COMP_CNT: 0
	.section	.text._ZN7rocprim17ROCPRIM_400000_NS6detail17trampoline_kernelINS0_14default_configENS1_27scan_by_key_config_selectorIifEEZZNS1_16scan_by_key_implILNS1_25lookback_scan_determinismE0ELb0ES3_N6thrust23THRUST_200600_302600_NS6detail15normal_iteratorINS9_10device_ptrIiEEEENSB_INSC_IfEEEESG_fNS9_4plusIvEENS9_8equal_toIvEEfEE10hipError_tPvRmT2_T3_T4_T5_mT6_T7_P12ihipStream_tbENKUlT_T0_E_clISt17integral_constantIbLb1EES11_EEDaSW_SX_EUlSW_E_NS1_11comp_targetILNS1_3genE10ELNS1_11target_archE1200ELNS1_3gpuE4ELNS1_3repE0EEENS1_30default_config_static_selectorELNS0_4arch9wavefront6targetE0EEEvT1_,"axG",@progbits,_ZN7rocprim17ROCPRIM_400000_NS6detail17trampoline_kernelINS0_14default_configENS1_27scan_by_key_config_selectorIifEEZZNS1_16scan_by_key_implILNS1_25lookback_scan_determinismE0ELb0ES3_N6thrust23THRUST_200600_302600_NS6detail15normal_iteratorINS9_10device_ptrIiEEEENSB_INSC_IfEEEESG_fNS9_4plusIvEENS9_8equal_toIvEEfEE10hipError_tPvRmT2_T3_T4_T5_mT6_T7_P12ihipStream_tbENKUlT_T0_E_clISt17integral_constantIbLb1EES11_EEDaSW_SX_EUlSW_E_NS1_11comp_targetILNS1_3genE10ELNS1_11target_archE1200ELNS1_3gpuE4ELNS1_3repE0EEENS1_30default_config_static_selectorELNS0_4arch9wavefront6targetE0EEEvT1_,comdat
	.protected	_ZN7rocprim17ROCPRIM_400000_NS6detail17trampoline_kernelINS0_14default_configENS1_27scan_by_key_config_selectorIifEEZZNS1_16scan_by_key_implILNS1_25lookback_scan_determinismE0ELb0ES3_N6thrust23THRUST_200600_302600_NS6detail15normal_iteratorINS9_10device_ptrIiEEEENSB_INSC_IfEEEESG_fNS9_4plusIvEENS9_8equal_toIvEEfEE10hipError_tPvRmT2_T3_T4_T5_mT6_T7_P12ihipStream_tbENKUlT_T0_E_clISt17integral_constantIbLb1EES11_EEDaSW_SX_EUlSW_E_NS1_11comp_targetILNS1_3genE10ELNS1_11target_archE1200ELNS1_3gpuE4ELNS1_3repE0EEENS1_30default_config_static_selectorELNS0_4arch9wavefront6targetE0EEEvT1_ ; -- Begin function _ZN7rocprim17ROCPRIM_400000_NS6detail17trampoline_kernelINS0_14default_configENS1_27scan_by_key_config_selectorIifEEZZNS1_16scan_by_key_implILNS1_25lookback_scan_determinismE0ELb0ES3_N6thrust23THRUST_200600_302600_NS6detail15normal_iteratorINS9_10device_ptrIiEEEENSB_INSC_IfEEEESG_fNS9_4plusIvEENS9_8equal_toIvEEfEE10hipError_tPvRmT2_T3_T4_T5_mT6_T7_P12ihipStream_tbENKUlT_T0_E_clISt17integral_constantIbLb1EES11_EEDaSW_SX_EUlSW_E_NS1_11comp_targetILNS1_3genE10ELNS1_11target_archE1200ELNS1_3gpuE4ELNS1_3repE0EEENS1_30default_config_static_selectorELNS0_4arch9wavefront6targetE0EEEvT1_
	.globl	_ZN7rocprim17ROCPRIM_400000_NS6detail17trampoline_kernelINS0_14default_configENS1_27scan_by_key_config_selectorIifEEZZNS1_16scan_by_key_implILNS1_25lookback_scan_determinismE0ELb0ES3_N6thrust23THRUST_200600_302600_NS6detail15normal_iteratorINS9_10device_ptrIiEEEENSB_INSC_IfEEEESG_fNS9_4plusIvEENS9_8equal_toIvEEfEE10hipError_tPvRmT2_T3_T4_T5_mT6_T7_P12ihipStream_tbENKUlT_T0_E_clISt17integral_constantIbLb1EES11_EEDaSW_SX_EUlSW_E_NS1_11comp_targetILNS1_3genE10ELNS1_11target_archE1200ELNS1_3gpuE4ELNS1_3repE0EEENS1_30default_config_static_selectorELNS0_4arch9wavefront6targetE0EEEvT1_
	.p2align	8
	.type	_ZN7rocprim17ROCPRIM_400000_NS6detail17trampoline_kernelINS0_14default_configENS1_27scan_by_key_config_selectorIifEEZZNS1_16scan_by_key_implILNS1_25lookback_scan_determinismE0ELb0ES3_N6thrust23THRUST_200600_302600_NS6detail15normal_iteratorINS9_10device_ptrIiEEEENSB_INSC_IfEEEESG_fNS9_4plusIvEENS9_8equal_toIvEEfEE10hipError_tPvRmT2_T3_T4_T5_mT6_T7_P12ihipStream_tbENKUlT_T0_E_clISt17integral_constantIbLb1EES11_EEDaSW_SX_EUlSW_E_NS1_11comp_targetILNS1_3genE10ELNS1_11target_archE1200ELNS1_3gpuE4ELNS1_3repE0EEENS1_30default_config_static_selectorELNS0_4arch9wavefront6targetE0EEEvT1_,@function
_ZN7rocprim17ROCPRIM_400000_NS6detail17trampoline_kernelINS0_14default_configENS1_27scan_by_key_config_selectorIifEEZZNS1_16scan_by_key_implILNS1_25lookback_scan_determinismE0ELb0ES3_N6thrust23THRUST_200600_302600_NS6detail15normal_iteratorINS9_10device_ptrIiEEEENSB_INSC_IfEEEESG_fNS9_4plusIvEENS9_8equal_toIvEEfEE10hipError_tPvRmT2_T3_T4_T5_mT6_T7_P12ihipStream_tbENKUlT_T0_E_clISt17integral_constantIbLb1EES11_EEDaSW_SX_EUlSW_E_NS1_11comp_targetILNS1_3genE10ELNS1_11target_archE1200ELNS1_3gpuE4ELNS1_3repE0EEENS1_30default_config_static_selectorELNS0_4arch9wavefront6targetE0EEEvT1_: ; @_ZN7rocprim17ROCPRIM_400000_NS6detail17trampoline_kernelINS0_14default_configENS1_27scan_by_key_config_selectorIifEEZZNS1_16scan_by_key_implILNS1_25lookback_scan_determinismE0ELb0ES3_N6thrust23THRUST_200600_302600_NS6detail15normal_iteratorINS9_10device_ptrIiEEEENSB_INSC_IfEEEESG_fNS9_4plusIvEENS9_8equal_toIvEEfEE10hipError_tPvRmT2_T3_T4_T5_mT6_T7_P12ihipStream_tbENKUlT_T0_E_clISt17integral_constantIbLb1EES11_EEDaSW_SX_EUlSW_E_NS1_11comp_targetILNS1_3genE10ELNS1_11target_archE1200ELNS1_3gpuE4ELNS1_3repE0EEENS1_30default_config_static_selectorELNS0_4arch9wavefront6targetE0EEEvT1_
; %bb.0:
	.section	.rodata,"a",@progbits
	.p2align	6, 0x0
	.amdhsa_kernel _ZN7rocprim17ROCPRIM_400000_NS6detail17trampoline_kernelINS0_14default_configENS1_27scan_by_key_config_selectorIifEEZZNS1_16scan_by_key_implILNS1_25lookback_scan_determinismE0ELb0ES3_N6thrust23THRUST_200600_302600_NS6detail15normal_iteratorINS9_10device_ptrIiEEEENSB_INSC_IfEEEESG_fNS9_4plusIvEENS9_8equal_toIvEEfEE10hipError_tPvRmT2_T3_T4_T5_mT6_T7_P12ihipStream_tbENKUlT_T0_E_clISt17integral_constantIbLb1EES11_EEDaSW_SX_EUlSW_E_NS1_11comp_targetILNS1_3genE10ELNS1_11target_archE1200ELNS1_3gpuE4ELNS1_3repE0EEENS1_30default_config_static_selectorELNS0_4arch9wavefront6targetE0EEEvT1_
		.amdhsa_group_segment_fixed_size 0
		.amdhsa_private_segment_fixed_size 0
		.amdhsa_kernarg_size 112
		.amdhsa_user_sgpr_count 2
		.amdhsa_user_sgpr_dispatch_ptr 0
		.amdhsa_user_sgpr_queue_ptr 0
		.amdhsa_user_sgpr_kernarg_segment_ptr 1
		.amdhsa_user_sgpr_dispatch_id 0
		.amdhsa_user_sgpr_kernarg_preload_length 0
		.amdhsa_user_sgpr_kernarg_preload_offset 0
		.amdhsa_user_sgpr_private_segment_size 0
		.amdhsa_wavefront_size32 1
		.amdhsa_uses_dynamic_stack 0
		.amdhsa_enable_private_segment 0
		.amdhsa_system_sgpr_workgroup_id_x 1
		.amdhsa_system_sgpr_workgroup_id_y 0
		.amdhsa_system_sgpr_workgroup_id_z 0
		.amdhsa_system_sgpr_workgroup_info 0
		.amdhsa_system_vgpr_workitem_id 0
		.amdhsa_next_free_vgpr 1
		.amdhsa_next_free_sgpr 1
		.amdhsa_named_barrier_count 0
		.amdhsa_reserve_vcc 0
		.amdhsa_float_round_mode_32 0
		.amdhsa_float_round_mode_16_64 0
		.amdhsa_float_denorm_mode_32 3
		.amdhsa_float_denorm_mode_16_64 3
		.amdhsa_fp16_overflow 0
		.amdhsa_memory_ordered 1
		.amdhsa_forward_progress 1
		.amdhsa_inst_pref_size 0
		.amdhsa_round_robin_scheduling 0
		.amdhsa_exception_fp_ieee_invalid_op 0
		.amdhsa_exception_fp_denorm_src 0
		.amdhsa_exception_fp_ieee_div_zero 0
		.amdhsa_exception_fp_ieee_overflow 0
		.amdhsa_exception_fp_ieee_underflow 0
		.amdhsa_exception_fp_ieee_inexact 0
		.amdhsa_exception_int_div_zero 0
	.end_amdhsa_kernel
	.section	.text._ZN7rocprim17ROCPRIM_400000_NS6detail17trampoline_kernelINS0_14default_configENS1_27scan_by_key_config_selectorIifEEZZNS1_16scan_by_key_implILNS1_25lookback_scan_determinismE0ELb0ES3_N6thrust23THRUST_200600_302600_NS6detail15normal_iteratorINS9_10device_ptrIiEEEENSB_INSC_IfEEEESG_fNS9_4plusIvEENS9_8equal_toIvEEfEE10hipError_tPvRmT2_T3_T4_T5_mT6_T7_P12ihipStream_tbENKUlT_T0_E_clISt17integral_constantIbLb1EES11_EEDaSW_SX_EUlSW_E_NS1_11comp_targetILNS1_3genE10ELNS1_11target_archE1200ELNS1_3gpuE4ELNS1_3repE0EEENS1_30default_config_static_selectorELNS0_4arch9wavefront6targetE0EEEvT1_,"axG",@progbits,_ZN7rocprim17ROCPRIM_400000_NS6detail17trampoline_kernelINS0_14default_configENS1_27scan_by_key_config_selectorIifEEZZNS1_16scan_by_key_implILNS1_25lookback_scan_determinismE0ELb0ES3_N6thrust23THRUST_200600_302600_NS6detail15normal_iteratorINS9_10device_ptrIiEEEENSB_INSC_IfEEEESG_fNS9_4plusIvEENS9_8equal_toIvEEfEE10hipError_tPvRmT2_T3_T4_T5_mT6_T7_P12ihipStream_tbENKUlT_T0_E_clISt17integral_constantIbLb1EES11_EEDaSW_SX_EUlSW_E_NS1_11comp_targetILNS1_3genE10ELNS1_11target_archE1200ELNS1_3gpuE4ELNS1_3repE0EEENS1_30default_config_static_selectorELNS0_4arch9wavefront6targetE0EEEvT1_,comdat
.Lfunc_end1147:
	.size	_ZN7rocprim17ROCPRIM_400000_NS6detail17trampoline_kernelINS0_14default_configENS1_27scan_by_key_config_selectorIifEEZZNS1_16scan_by_key_implILNS1_25lookback_scan_determinismE0ELb0ES3_N6thrust23THRUST_200600_302600_NS6detail15normal_iteratorINS9_10device_ptrIiEEEENSB_INSC_IfEEEESG_fNS9_4plusIvEENS9_8equal_toIvEEfEE10hipError_tPvRmT2_T3_T4_T5_mT6_T7_P12ihipStream_tbENKUlT_T0_E_clISt17integral_constantIbLb1EES11_EEDaSW_SX_EUlSW_E_NS1_11comp_targetILNS1_3genE10ELNS1_11target_archE1200ELNS1_3gpuE4ELNS1_3repE0EEENS1_30default_config_static_selectorELNS0_4arch9wavefront6targetE0EEEvT1_, .Lfunc_end1147-_ZN7rocprim17ROCPRIM_400000_NS6detail17trampoline_kernelINS0_14default_configENS1_27scan_by_key_config_selectorIifEEZZNS1_16scan_by_key_implILNS1_25lookback_scan_determinismE0ELb0ES3_N6thrust23THRUST_200600_302600_NS6detail15normal_iteratorINS9_10device_ptrIiEEEENSB_INSC_IfEEEESG_fNS9_4plusIvEENS9_8equal_toIvEEfEE10hipError_tPvRmT2_T3_T4_T5_mT6_T7_P12ihipStream_tbENKUlT_T0_E_clISt17integral_constantIbLb1EES11_EEDaSW_SX_EUlSW_E_NS1_11comp_targetILNS1_3genE10ELNS1_11target_archE1200ELNS1_3gpuE4ELNS1_3repE0EEENS1_30default_config_static_selectorELNS0_4arch9wavefront6targetE0EEEvT1_
                                        ; -- End function
	.set _ZN7rocprim17ROCPRIM_400000_NS6detail17trampoline_kernelINS0_14default_configENS1_27scan_by_key_config_selectorIifEEZZNS1_16scan_by_key_implILNS1_25lookback_scan_determinismE0ELb0ES3_N6thrust23THRUST_200600_302600_NS6detail15normal_iteratorINS9_10device_ptrIiEEEENSB_INSC_IfEEEESG_fNS9_4plusIvEENS9_8equal_toIvEEfEE10hipError_tPvRmT2_T3_T4_T5_mT6_T7_P12ihipStream_tbENKUlT_T0_E_clISt17integral_constantIbLb1EES11_EEDaSW_SX_EUlSW_E_NS1_11comp_targetILNS1_3genE10ELNS1_11target_archE1200ELNS1_3gpuE4ELNS1_3repE0EEENS1_30default_config_static_selectorELNS0_4arch9wavefront6targetE0EEEvT1_.num_vgpr, 0
	.set _ZN7rocprim17ROCPRIM_400000_NS6detail17trampoline_kernelINS0_14default_configENS1_27scan_by_key_config_selectorIifEEZZNS1_16scan_by_key_implILNS1_25lookback_scan_determinismE0ELb0ES3_N6thrust23THRUST_200600_302600_NS6detail15normal_iteratorINS9_10device_ptrIiEEEENSB_INSC_IfEEEESG_fNS9_4plusIvEENS9_8equal_toIvEEfEE10hipError_tPvRmT2_T3_T4_T5_mT6_T7_P12ihipStream_tbENKUlT_T0_E_clISt17integral_constantIbLb1EES11_EEDaSW_SX_EUlSW_E_NS1_11comp_targetILNS1_3genE10ELNS1_11target_archE1200ELNS1_3gpuE4ELNS1_3repE0EEENS1_30default_config_static_selectorELNS0_4arch9wavefront6targetE0EEEvT1_.num_agpr, 0
	.set _ZN7rocprim17ROCPRIM_400000_NS6detail17trampoline_kernelINS0_14default_configENS1_27scan_by_key_config_selectorIifEEZZNS1_16scan_by_key_implILNS1_25lookback_scan_determinismE0ELb0ES3_N6thrust23THRUST_200600_302600_NS6detail15normal_iteratorINS9_10device_ptrIiEEEENSB_INSC_IfEEEESG_fNS9_4plusIvEENS9_8equal_toIvEEfEE10hipError_tPvRmT2_T3_T4_T5_mT6_T7_P12ihipStream_tbENKUlT_T0_E_clISt17integral_constantIbLb1EES11_EEDaSW_SX_EUlSW_E_NS1_11comp_targetILNS1_3genE10ELNS1_11target_archE1200ELNS1_3gpuE4ELNS1_3repE0EEENS1_30default_config_static_selectorELNS0_4arch9wavefront6targetE0EEEvT1_.numbered_sgpr, 0
	.set _ZN7rocprim17ROCPRIM_400000_NS6detail17trampoline_kernelINS0_14default_configENS1_27scan_by_key_config_selectorIifEEZZNS1_16scan_by_key_implILNS1_25lookback_scan_determinismE0ELb0ES3_N6thrust23THRUST_200600_302600_NS6detail15normal_iteratorINS9_10device_ptrIiEEEENSB_INSC_IfEEEESG_fNS9_4plusIvEENS9_8equal_toIvEEfEE10hipError_tPvRmT2_T3_T4_T5_mT6_T7_P12ihipStream_tbENKUlT_T0_E_clISt17integral_constantIbLb1EES11_EEDaSW_SX_EUlSW_E_NS1_11comp_targetILNS1_3genE10ELNS1_11target_archE1200ELNS1_3gpuE4ELNS1_3repE0EEENS1_30default_config_static_selectorELNS0_4arch9wavefront6targetE0EEEvT1_.num_named_barrier, 0
	.set _ZN7rocprim17ROCPRIM_400000_NS6detail17trampoline_kernelINS0_14default_configENS1_27scan_by_key_config_selectorIifEEZZNS1_16scan_by_key_implILNS1_25lookback_scan_determinismE0ELb0ES3_N6thrust23THRUST_200600_302600_NS6detail15normal_iteratorINS9_10device_ptrIiEEEENSB_INSC_IfEEEESG_fNS9_4plusIvEENS9_8equal_toIvEEfEE10hipError_tPvRmT2_T3_T4_T5_mT6_T7_P12ihipStream_tbENKUlT_T0_E_clISt17integral_constantIbLb1EES11_EEDaSW_SX_EUlSW_E_NS1_11comp_targetILNS1_3genE10ELNS1_11target_archE1200ELNS1_3gpuE4ELNS1_3repE0EEENS1_30default_config_static_selectorELNS0_4arch9wavefront6targetE0EEEvT1_.private_seg_size, 0
	.set _ZN7rocprim17ROCPRIM_400000_NS6detail17trampoline_kernelINS0_14default_configENS1_27scan_by_key_config_selectorIifEEZZNS1_16scan_by_key_implILNS1_25lookback_scan_determinismE0ELb0ES3_N6thrust23THRUST_200600_302600_NS6detail15normal_iteratorINS9_10device_ptrIiEEEENSB_INSC_IfEEEESG_fNS9_4plusIvEENS9_8equal_toIvEEfEE10hipError_tPvRmT2_T3_T4_T5_mT6_T7_P12ihipStream_tbENKUlT_T0_E_clISt17integral_constantIbLb1EES11_EEDaSW_SX_EUlSW_E_NS1_11comp_targetILNS1_3genE10ELNS1_11target_archE1200ELNS1_3gpuE4ELNS1_3repE0EEENS1_30default_config_static_selectorELNS0_4arch9wavefront6targetE0EEEvT1_.uses_vcc, 0
	.set _ZN7rocprim17ROCPRIM_400000_NS6detail17trampoline_kernelINS0_14default_configENS1_27scan_by_key_config_selectorIifEEZZNS1_16scan_by_key_implILNS1_25lookback_scan_determinismE0ELb0ES3_N6thrust23THRUST_200600_302600_NS6detail15normal_iteratorINS9_10device_ptrIiEEEENSB_INSC_IfEEEESG_fNS9_4plusIvEENS9_8equal_toIvEEfEE10hipError_tPvRmT2_T3_T4_T5_mT6_T7_P12ihipStream_tbENKUlT_T0_E_clISt17integral_constantIbLb1EES11_EEDaSW_SX_EUlSW_E_NS1_11comp_targetILNS1_3genE10ELNS1_11target_archE1200ELNS1_3gpuE4ELNS1_3repE0EEENS1_30default_config_static_selectorELNS0_4arch9wavefront6targetE0EEEvT1_.uses_flat_scratch, 0
	.set _ZN7rocprim17ROCPRIM_400000_NS6detail17trampoline_kernelINS0_14default_configENS1_27scan_by_key_config_selectorIifEEZZNS1_16scan_by_key_implILNS1_25lookback_scan_determinismE0ELb0ES3_N6thrust23THRUST_200600_302600_NS6detail15normal_iteratorINS9_10device_ptrIiEEEENSB_INSC_IfEEEESG_fNS9_4plusIvEENS9_8equal_toIvEEfEE10hipError_tPvRmT2_T3_T4_T5_mT6_T7_P12ihipStream_tbENKUlT_T0_E_clISt17integral_constantIbLb1EES11_EEDaSW_SX_EUlSW_E_NS1_11comp_targetILNS1_3genE10ELNS1_11target_archE1200ELNS1_3gpuE4ELNS1_3repE0EEENS1_30default_config_static_selectorELNS0_4arch9wavefront6targetE0EEEvT1_.has_dyn_sized_stack, 0
	.set _ZN7rocprim17ROCPRIM_400000_NS6detail17trampoline_kernelINS0_14default_configENS1_27scan_by_key_config_selectorIifEEZZNS1_16scan_by_key_implILNS1_25lookback_scan_determinismE0ELb0ES3_N6thrust23THRUST_200600_302600_NS6detail15normal_iteratorINS9_10device_ptrIiEEEENSB_INSC_IfEEEESG_fNS9_4plusIvEENS9_8equal_toIvEEfEE10hipError_tPvRmT2_T3_T4_T5_mT6_T7_P12ihipStream_tbENKUlT_T0_E_clISt17integral_constantIbLb1EES11_EEDaSW_SX_EUlSW_E_NS1_11comp_targetILNS1_3genE10ELNS1_11target_archE1200ELNS1_3gpuE4ELNS1_3repE0EEENS1_30default_config_static_selectorELNS0_4arch9wavefront6targetE0EEEvT1_.has_recursion, 0
	.set _ZN7rocprim17ROCPRIM_400000_NS6detail17trampoline_kernelINS0_14default_configENS1_27scan_by_key_config_selectorIifEEZZNS1_16scan_by_key_implILNS1_25lookback_scan_determinismE0ELb0ES3_N6thrust23THRUST_200600_302600_NS6detail15normal_iteratorINS9_10device_ptrIiEEEENSB_INSC_IfEEEESG_fNS9_4plusIvEENS9_8equal_toIvEEfEE10hipError_tPvRmT2_T3_T4_T5_mT6_T7_P12ihipStream_tbENKUlT_T0_E_clISt17integral_constantIbLb1EES11_EEDaSW_SX_EUlSW_E_NS1_11comp_targetILNS1_3genE10ELNS1_11target_archE1200ELNS1_3gpuE4ELNS1_3repE0EEENS1_30default_config_static_selectorELNS0_4arch9wavefront6targetE0EEEvT1_.has_indirect_call, 0
	.section	.AMDGPU.csdata,"",@progbits
; Kernel info:
; codeLenInByte = 0
; TotalNumSgprs: 0
; NumVgprs: 0
; ScratchSize: 0
; MemoryBound: 0
; FloatMode: 240
; IeeeMode: 1
; LDSByteSize: 0 bytes/workgroup (compile time only)
; SGPRBlocks: 0
; VGPRBlocks: 0
; NumSGPRsForWavesPerEU: 1
; NumVGPRsForWavesPerEU: 1
; NamedBarCnt: 0
; Occupancy: 16
; WaveLimiterHint : 0
; COMPUTE_PGM_RSRC2:SCRATCH_EN: 0
; COMPUTE_PGM_RSRC2:USER_SGPR: 2
; COMPUTE_PGM_RSRC2:TRAP_HANDLER: 0
; COMPUTE_PGM_RSRC2:TGID_X_EN: 1
; COMPUTE_PGM_RSRC2:TGID_Y_EN: 0
; COMPUTE_PGM_RSRC2:TGID_Z_EN: 0
; COMPUTE_PGM_RSRC2:TIDIG_COMP_CNT: 0
	.section	.text._ZN7rocprim17ROCPRIM_400000_NS6detail17trampoline_kernelINS0_14default_configENS1_27scan_by_key_config_selectorIifEEZZNS1_16scan_by_key_implILNS1_25lookback_scan_determinismE0ELb0ES3_N6thrust23THRUST_200600_302600_NS6detail15normal_iteratorINS9_10device_ptrIiEEEENSB_INSC_IfEEEESG_fNS9_4plusIvEENS9_8equal_toIvEEfEE10hipError_tPvRmT2_T3_T4_T5_mT6_T7_P12ihipStream_tbENKUlT_T0_E_clISt17integral_constantIbLb1EES11_EEDaSW_SX_EUlSW_E_NS1_11comp_targetILNS1_3genE9ELNS1_11target_archE1100ELNS1_3gpuE3ELNS1_3repE0EEENS1_30default_config_static_selectorELNS0_4arch9wavefront6targetE0EEEvT1_,"axG",@progbits,_ZN7rocprim17ROCPRIM_400000_NS6detail17trampoline_kernelINS0_14default_configENS1_27scan_by_key_config_selectorIifEEZZNS1_16scan_by_key_implILNS1_25lookback_scan_determinismE0ELb0ES3_N6thrust23THRUST_200600_302600_NS6detail15normal_iteratorINS9_10device_ptrIiEEEENSB_INSC_IfEEEESG_fNS9_4plusIvEENS9_8equal_toIvEEfEE10hipError_tPvRmT2_T3_T4_T5_mT6_T7_P12ihipStream_tbENKUlT_T0_E_clISt17integral_constantIbLb1EES11_EEDaSW_SX_EUlSW_E_NS1_11comp_targetILNS1_3genE9ELNS1_11target_archE1100ELNS1_3gpuE3ELNS1_3repE0EEENS1_30default_config_static_selectorELNS0_4arch9wavefront6targetE0EEEvT1_,comdat
	.protected	_ZN7rocprim17ROCPRIM_400000_NS6detail17trampoline_kernelINS0_14default_configENS1_27scan_by_key_config_selectorIifEEZZNS1_16scan_by_key_implILNS1_25lookback_scan_determinismE0ELb0ES3_N6thrust23THRUST_200600_302600_NS6detail15normal_iteratorINS9_10device_ptrIiEEEENSB_INSC_IfEEEESG_fNS9_4plusIvEENS9_8equal_toIvEEfEE10hipError_tPvRmT2_T3_T4_T5_mT6_T7_P12ihipStream_tbENKUlT_T0_E_clISt17integral_constantIbLb1EES11_EEDaSW_SX_EUlSW_E_NS1_11comp_targetILNS1_3genE9ELNS1_11target_archE1100ELNS1_3gpuE3ELNS1_3repE0EEENS1_30default_config_static_selectorELNS0_4arch9wavefront6targetE0EEEvT1_ ; -- Begin function _ZN7rocprim17ROCPRIM_400000_NS6detail17trampoline_kernelINS0_14default_configENS1_27scan_by_key_config_selectorIifEEZZNS1_16scan_by_key_implILNS1_25lookback_scan_determinismE0ELb0ES3_N6thrust23THRUST_200600_302600_NS6detail15normal_iteratorINS9_10device_ptrIiEEEENSB_INSC_IfEEEESG_fNS9_4plusIvEENS9_8equal_toIvEEfEE10hipError_tPvRmT2_T3_T4_T5_mT6_T7_P12ihipStream_tbENKUlT_T0_E_clISt17integral_constantIbLb1EES11_EEDaSW_SX_EUlSW_E_NS1_11comp_targetILNS1_3genE9ELNS1_11target_archE1100ELNS1_3gpuE3ELNS1_3repE0EEENS1_30default_config_static_selectorELNS0_4arch9wavefront6targetE0EEEvT1_
	.globl	_ZN7rocprim17ROCPRIM_400000_NS6detail17trampoline_kernelINS0_14default_configENS1_27scan_by_key_config_selectorIifEEZZNS1_16scan_by_key_implILNS1_25lookback_scan_determinismE0ELb0ES3_N6thrust23THRUST_200600_302600_NS6detail15normal_iteratorINS9_10device_ptrIiEEEENSB_INSC_IfEEEESG_fNS9_4plusIvEENS9_8equal_toIvEEfEE10hipError_tPvRmT2_T3_T4_T5_mT6_T7_P12ihipStream_tbENKUlT_T0_E_clISt17integral_constantIbLb1EES11_EEDaSW_SX_EUlSW_E_NS1_11comp_targetILNS1_3genE9ELNS1_11target_archE1100ELNS1_3gpuE3ELNS1_3repE0EEENS1_30default_config_static_selectorELNS0_4arch9wavefront6targetE0EEEvT1_
	.p2align	8
	.type	_ZN7rocprim17ROCPRIM_400000_NS6detail17trampoline_kernelINS0_14default_configENS1_27scan_by_key_config_selectorIifEEZZNS1_16scan_by_key_implILNS1_25lookback_scan_determinismE0ELb0ES3_N6thrust23THRUST_200600_302600_NS6detail15normal_iteratorINS9_10device_ptrIiEEEENSB_INSC_IfEEEESG_fNS9_4plusIvEENS9_8equal_toIvEEfEE10hipError_tPvRmT2_T3_T4_T5_mT6_T7_P12ihipStream_tbENKUlT_T0_E_clISt17integral_constantIbLb1EES11_EEDaSW_SX_EUlSW_E_NS1_11comp_targetILNS1_3genE9ELNS1_11target_archE1100ELNS1_3gpuE3ELNS1_3repE0EEENS1_30default_config_static_selectorELNS0_4arch9wavefront6targetE0EEEvT1_,@function
_ZN7rocprim17ROCPRIM_400000_NS6detail17trampoline_kernelINS0_14default_configENS1_27scan_by_key_config_selectorIifEEZZNS1_16scan_by_key_implILNS1_25lookback_scan_determinismE0ELb0ES3_N6thrust23THRUST_200600_302600_NS6detail15normal_iteratorINS9_10device_ptrIiEEEENSB_INSC_IfEEEESG_fNS9_4plusIvEENS9_8equal_toIvEEfEE10hipError_tPvRmT2_T3_T4_T5_mT6_T7_P12ihipStream_tbENKUlT_T0_E_clISt17integral_constantIbLb1EES11_EEDaSW_SX_EUlSW_E_NS1_11comp_targetILNS1_3genE9ELNS1_11target_archE1100ELNS1_3gpuE3ELNS1_3repE0EEENS1_30default_config_static_selectorELNS0_4arch9wavefront6targetE0EEEvT1_: ; @_ZN7rocprim17ROCPRIM_400000_NS6detail17trampoline_kernelINS0_14default_configENS1_27scan_by_key_config_selectorIifEEZZNS1_16scan_by_key_implILNS1_25lookback_scan_determinismE0ELb0ES3_N6thrust23THRUST_200600_302600_NS6detail15normal_iteratorINS9_10device_ptrIiEEEENSB_INSC_IfEEEESG_fNS9_4plusIvEENS9_8equal_toIvEEfEE10hipError_tPvRmT2_T3_T4_T5_mT6_T7_P12ihipStream_tbENKUlT_T0_E_clISt17integral_constantIbLb1EES11_EEDaSW_SX_EUlSW_E_NS1_11comp_targetILNS1_3genE9ELNS1_11target_archE1100ELNS1_3gpuE3ELNS1_3repE0EEENS1_30default_config_static_selectorELNS0_4arch9wavefront6targetE0EEEvT1_
; %bb.0:
	.section	.rodata,"a",@progbits
	.p2align	6, 0x0
	.amdhsa_kernel _ZN7rocprim17ROCPRIM_400000_NS6detail17trampoline_kernelINS0_14default_configENS1_27scan_by_key_config_selectorIifEEZZNS1_16scan_by_key_implILNS1_25lookback_scan_determinismE0ELb0ES3_N6thrust23THRUST_200600_302600_NS6detail15normal_iteratorINS9_10device_ptrIiEEEENSB_INSC_IfEEEESG_fNS9_4plusIvEENS9_8equal_toIvEEfEE10hipError_tPvRmT2_T3_T4_T5_mT6_T7_P12ihipStream_tbENKUlT_T0_E_clISt17integral_constantIbLb1EES11_EEDaSW_SX_EUlSW_E_NS1_11comp_targetILNS1_3genE9ELNS1_11target_archE1100ELNS1_3gpuE3ELNS1_3repE0EEENS1_30default_config_static_selectorELNS0_4arch9wavefront6targetE0EEEvT1_
		.amdhsa_group_segment_fixed_size 0
		.amdhsa_private_segment_fixed_size 0
		.amdhsa_kernarg_size 112
		.amdhsa_user_sgpr_count 2
		.amdhsa_user_sgpr_dispatch_ptr 0
		.amdhsa_user_sgpr_queue_ptr 0
		.amdhsa_user_sgpr_kernarg_segment_ptr 1
		.amdhsa_user_sgpr_dispatch_id 0
		.amdhsa_user_sgpr_kernarg_preload_length 0
		.amdhsa_user_sgpr_kernarg_preload_offset 0
		.amdhsa_user_sgpr_private_segment_size 0
		.amdhsa_wavefront_size32 1
		.amdhsa_uses_dynamic_stack 0
		.amdhsa_enable_private_segment 0
		.amdhsa_system_sgpr_workgroup_id_x 1
		.amdhsa_system_sgpr_workgroup_id_y 0
		.amdhsa_system_sgpr_workgroup_id_z 0
		.amdhsa_system_sgpr_workgroup_info 0
		.amdhsa_system_vgpr_workitem_id 0
		.amdhsa_next_free_vgpr 1
		.amdhsa_next_free_sgpr 1
		.amdhsa_named_barrier_count 0
		.amdhsa_reserve_vcc 0
		.amdhsa_float_round_mode_32 0
		.amdhsa_float_round_mode_16_64 0
		.amdhsa_float_denorm_mode_32 3
		.amdhsa_float_denorm_mode_16_64 3
		.amdhsa_fp16_overflow 0
		.amdhsa_memory_ordered 1
		.amdhsa_forward_progress 1
		.amdhsa_inst_pref_size 0
		.amdhsa_round_robin_scheduling 0
		.amdhsa_exception_fp_ieee_invalid_op 0
		.amdhsa_exception_fp_denorm_src 0
		.amdhsa_exception_fp_ieee_div_zero 0
		.amdhsa_exception_fp_ieee_overflow 0
		.amdhsa_exception_fp_ieee_underflow 0
		.amdhsa_exception_fp_ieee_inexact 0
		.amdhsa_exception_int_div_zero 0
	.end_amdhsa_kernel
	.section	.text._ZN7rocprim17ROCPRIM_400000_NS6detail17trampoline_kernelINS0_14default_configENS1_27scan_by_key_config_selectorIifEEZZNS1_16scan_by_key_implILNS1_25lookback_scan_determinismE0ELb0ES3_N6thrust23THRUST_200600_302600_NS6detail15normal_iteratorINS9_10device_ptrIiEEEENSB_INSC_IfEEEESG_fNS9_4plusIvEENS9_8equal_toIvEEfEE10hipError_tPvRmT2_T3_T4_T5_mT6_T7_P12ihipStream_tbENKUlT_T0_E_clISt17integral_constantIbLb1EES11_EEDaSW_SX_EUlSW_E_NS1_11comp_targetILNS1_3genE9ELNS1_11target_archE1100ELNS1_3gpuE3ELNS1_3repE0EEENS1_30default_config_static_selectorELNS0_4arch9wavefront6targetE0EEEvT1_,"axG",@progbits,_ZN7rocprim17ROCPRIM_400000_NS6detail17trampoline_kernelINS0_14default_configENS1_27scan_by_key_config_selectorIifEEZZNS1_16scan_by_key_implILNS1_25lookback_scan_determinismE0ELb0ES3_N6thrust23THRUST_200600_302600_NS6detail15normal_iteratorINS9_10device_ptrIiEEEENSB_INSC_IfEEEESG_fNS9_4plusIvEENS9_8equal_toIvEEfEE10hipError_tPvRmT2_T3_T4_T5_mT6_T7_P12ihipStream_tbENKUlT_T0_E_clISt17integral_constantIbLb1EES11_EEDaSW_SX_EUlSW_E_NS1_11comp_targetILNS1_3genE9ELNS1_11target_archE1100ELNS1_3gpuE3ELNS1_3repE0EEENS1_30default_config_static_selectorELNS0_4arch9wavefront6targetE0EEEvT1_,comdat
.Lfunc_end1148:
	.size	_ZN7rocprim17ROCPRIM_400000_NS6detail17trampoline_kernelINS0_14default_configENS1_27scan_by_key_config_selectorIifEEZZNS1_16scan_by_key_implILNS1_25lookback_scan_determinismE0ELb0ES3_N6thrust23THRUST_200600_302600_NS6detail15normal_iteratorINS9_10device_ptrIiEEEENSB_INSC_IfEEEESG_fNS9_4plusIvEENS9_8equal_toIvEEfEE10hipError_tPvRmT2_T3_T4_T5_mT6_T7_P12ihipStream_tbENKUlT_T0_E_clISt17integral_constantIbLb1EES11_EEDaSW_SX_EUlSW_E_NS1_11comp_targetILNS1_3genE9ELNS1_11target_archE1100ELNS1_3gpuE3ELNS1_3repE0EEENS1_30default_config_static_selectorELNS0_4arch9wavefront6targetE0EEEvT1_, .Lfunc_end1148-_ZN7rocprim17ROCPRIM_400000_NS6detail17trampoline_kernelINS0_14default_configENS1_27scan_by_key_config_selectorIifEEZZNS1_16scan_by_key_implILNS1_25lookback_scan_determinismE0ELb0ES3_N6thrust23THRUST_200600_302600_NS6detail15normal_iteratorINS9_10device_ptrIiEEEENSB_INSC_IfEEEESG_fNS9_4plusIvEENS9_8equal_toIvEEfEE10hipError_tPvRmT2_T3_T4_T5_mT6_T7_P12ihipStream_tbENKUlT_T0_E_clISt17integral_constantIbLb1EES11_EEDaSW_SX_EUlSW_E_NS1_11comp_targetILNS1_3genE9ELNS1_11target_archE1100ELNS1_3gpuE3ELNS1_3repE0EEENS1_30default_config_static_selectorELNS0_4arch9wavefront6targetE0EEEvT1_
                                        ; -- End function
	.set _ZN7rocprim17ROCPRIM_400000_NS6detail17trampoline_kernelINS0_14default_configENS1_27scan_by_key_config_selectorIifEEZZNS1_16scan_by_key_implILNS1_25lookback_scan_determinismE0ELb0ES3_N6thrust23THRUST_200600_302600_NS6detail15normal_iteratorINS9_10device_ptrIiEEEENSB_INSC_IfEEEESG_fNS9_4plusIvEENS9_8equal_toIvEEfEE10hipError_tPvRmT2_T3_T4_T5_mT6_T7_P12ihipStream_tbENKUlT_T0_E_clISt17integral_constantIbLb1EES11_EEDaSW_SX_EUlSW_E_NS1_11comp_targetILNS1_3genE9ELNS1_11target_archE1100ELNS1_3gpuE3ELNS1_3repE0EEENS1_30default_config_static_selectorELNS0_4arch9wavefront6targetE0EEEvT1_.num_vgpr, 0
	.set _ZN7rocprim17ROCPRIM_400000_NS6detail17trampoline_kernelINS0_14default_configENS1_27scan_by_key_config_selectorIifEEZZNS1_16scan_by_key_implILNS1_25lookback_scan_determinismE0ELb0ES3_N6thrust23THRUST_200600_302600_NS6detail15normal_iteratorINS9_10device_ptrIiEEEENSB_INSC_IfEEEESG_fNS9_4plusIvEENS9_8equal_toIvEEfEE10hipError_tPvRmT2_T3_T4_T5_mT6_T7_P12ihipStream_tbENKUlT_T0_E_clISt17integral_constantIbLb1EES11_EEDaSW_SX_EUlSW_E_NS1_11comp_targetILNS1_3genE9ELNS1_11target_archE1100ELNS1_3gpuE3ELNS1_3repE0EEENS1_30default_config_static_selectorELNS0_4arch9wavefront6targetE0EEEvT1_.num_agpr, 0
	.set _ZN7rocprim17ROCPRIM_400000_NS6detail17trampoline_kernelINS0_14default_configENS1_27scan_by_key_config_selectorIifEEZZNS1_16scan_by_key_implILNS1_25lookback_scan_determinismE0ELb0ES3_N6thrust23THRUST_200600_302600_NS6detail15normal_iteratorINS9_10device_ptrIiEEEENSB_INSC_IfEEEESG_fNS9_4plusIvEENS9_8equal_toIvEEfEE10hipError_tPvRmT2_T3_T4_T5_mT6_T7_P12ihipStream_tbENKUlT_T0_E_clISt17integral_constantIbLb1EES11_EEDaSW_SX_EUlSW_E_NS1_11comp_targetILNS1_3genE9ELNS1_11target_archE1100ELNS1_3gpuE3ELNS1_3repE0EEENS1_30default_config_static_selectorELNS0_4arch9wavefront6targetE0EEEvT1_.numbered_sgpr, 0
	.set _ZN7rocprim17ROCPRIM_400000_NS6detail17trampoline_kernelINS0_14default_configENS1_27scan_by_key_config_selectorIifEEZZNS1_16scan_by_key_implILNS1_25lookback_scan_determinismE0ELb0ES3_N6thrust23THRUST_200600_302600_NS6detail15normal_iteratorINS9_10device_ptrIiEEEENSB_INSC_IfEEEESG_fNS9_4plusIvEENS9_8equal_toIvEEfEE10hipError_tPvRmT2_T3_T4_T5_mT6_T7_P12ihipStream_tbENKUlT_T0_E_clISt17integral_constantIbLb1EES11_EEDaSW_SX_EUlSW_E_NS1_11comp_targetILNS1_3genE9ELNS1_11target_archE1100ELNS1_3gpuE3ELNS1_3repE0EEENS1_30default_config_static_selectorELNS0_4arch9wavefront6targetE0EEEvT1_.num_named_barrier, 0
	.set _ZN7rocprim17ROCPRIM_400000_NS6detail17trampoline_kernelINS0_14default_configENS1_27scan_by_key_config_selectorIifEEZZNS1_16scan_by_key_implILNS1_25lookback_scan_determinismE0ELb0ES3_N6thrust23THRUST_200600_302600_NS6detail15normal_iteratorINS9_10device_ptrIiEEEENSB_INSC_IfEEEESG_fNS9_4plusIvEENS9_8equal_toIvEEfEE10hipError_tPvRmT2_T3_T4_T5_mT6_T7_P12ihipStream_tbENKUlT_T0_E_clISt17integral_constantIbLb1EES11_EEDaSW_SX_EUlSW_E_NS1_11comp_targetILNS1_3genE9ELNS1_11target_archE1100ELNS1_3gpuE3ELNS1_3repE0EEENS1_30default_config_static_selectorELNS0_4arch9wavefront6targetE0EEEvT1_.private_seg_size, 0
	.set _ZN7rocprim17ROCPRIM_400000_NS6detail17trampoline_kernelINS0_14default_configENS1_27scan_by_key_config_selectorIifEEZZNS1_16scan_by_key_implILNS1_25lookback_scan_determinismE0ELb0ES3_N6thrust23THRUST_200600_302600_NS6detail15normal_iteratorINS9_10device_ptrIiEEEENSB_INSC_IfEEEESG_fNS9_4plusIvEENS9_8equal_toIvEEfEE10hipError_tPvRmT2_T3_T4_T5_mT6_T7_P12ihipStream_tbENKUlT_T0_E_clISt17integral_constantIbLb1EES11_EEDaSW_SX_EUlSW_E_NS1_11comp_targetILNS1_3genE9ELNS1_11target_archE1100ELNS1_3gpuE3ELNS1_3repE0EEENS1_30default_config_static_selectorELNS0_4arch9wavefront6targetE0EEEvT1_.uses_vcc, 0
	.set _ZN7rocprim17ROCPRIM_400000_NS6detail17trampoline_kernelINS0_14default_configENS1_27scan_by_key_config_selectorIifEEZZNS1_16scan_by_key_implILNS1_25lookback_scan_determinismE0ELb0ES3_N6thrust23THRUST_200600_302600_NS6detail15normal_iteratorINS9_10device_ptrIiEEEENSB_INSC_IfEEEESG_fNS9_4plusIvEENS9_8equal_toIvEEfEE10hipError_tPvRmT2_T3_T4_T5_mT6_T7_P12ihipStream_tbENKUlT_T0_E_clISt17integral_constantIbLb1EES11_EEDaSW_SX_EUlSW_E_NS1_11comp_targetILNS1_3genE9ELNS1_11target_archE1100ELNS1_3gpuE3ELNS1_3repE0EEENS1_30default_config_static_selectorELNS0_4arch9wavefront6targetE0EEEvT1_.uses_flat_scratch, 0
	.set _ZN7rocprim17ROCPRIM_400000_NS6detail17trampoline_kernelINS0_14default_configENS1_27scan_by_key_config_selectorIifEEZZNS1_16scan_by_key_implILNS1_25lookback_scan_determinismE0ELb0ES3_N6thrust23THRUST_200600_302600_NS6detail15normal_iteratorINS9_10device_ptrIiEEEENSB_INSC_IfEEEESG_fNS9_4plusIvEENS9_8equal_toIvEEfEE10hipError_tPvRmT2_T3_T4_T5_mT6_T7_P12ihipStream_tbENKUlT_T0_E_clISt17integral_constantIbLb1EES11_EEDaSW_SX_EUlSW_E_NS1_11comp_targetILNS1_3genE9ELNS1_11target_archE1100ELNS1_3gpuE3ELNS1_3repE0EEENS1_30default_config_static_selectorELNS0_4arch9wavefront6targetE0EEEvT1_.has_dyn_sized_stack, 0
	.set _ZN7rocprim17ROCPRIM_400000_NS6detail17trampoline_kernelINS0_14default_configENS1_27scan_by_key_config_selectorIifEEZZNS1_16scan_by_key_implILNS1_25lookback_scan_determinismE0ELb0ES3_N6thrust23THRUST_200600_302600_NS6detail15normal_iteratorINS9_10device_ptrIiEEEENSB_INSC_IfEEEESG_fNS9_4plusIvEENS9_8equal_toIvEEfEE10hipError_tPvRmT2_T3_T4_T5_mT6_T7_P12ihipStream_tbENKUlT_T0_E_clISt17integral_constantIbLb1EES11_EEDaSW_SX_EUlSW_E_NS1_11comp_targetILNS1_3genE9ELNS1_11target_archE1100ELNS1_3gpuE3ELNS1_3repE0EEENS1_30default_config_static_selectorELNS0_4arch9wavefront6targetE0EEEvT1_.has_recursion, 0
	.set _ZN7rocprim17ROCPRIM_400000_NS6detail17trampoline_kernelINS0_14default_configENS1_27scan_by_key_config_selectorIifEEZZNS1_16scan_by_key_implILNS1_25lookback_scan_determinismE0ELb0ES3_N6thrust23THRUST_200600_302600_NS6detail15normal_iteratorINS9_10device_ptrIiEEEENSB_INSC_IfEEEESG_fNS9_4plusIvEENS9_8equal_toIvEEfEE10hipError_tPvRmT2_T3_T4_T5_mT6_T7_P12ihipStream_tbENKUlT_T0_E_clISt17integral_constantIbLb1EES11_EEDaSW_SX_EUlSW_E_NS1_11comp_targetILNS1_3genE9ELNS1_11target_archE1100ELNS1_3gpuE3ELNS1_3repE0EEENS1_30default_config_static_selectorELNS0_4arch9wavefront6targetE0EEEvT1_.has_indirect_call, 0
	.section	.AMDGPU.csdata,"",@progbits
; Kernel info:
; codeLenInByte = 0
; TotalNumSgprs: 0
; NumVgprs: 0
; ScratchSize: 0
; MemoryBound: 0
; FloatMode: 240
; IeeeMode: 1
; LDSByteSize: 0 bytes/workgroup (compile time only)
; SGPRBlocks: 0
; VGPRBlocks: 0
; NumSGPRsForWavesPerEU: 1
; NumVGPRsForWavesPerEU: 1
; NamedBarCnt: 0
; Occupancy: 16
; WaveLimiterHint : 0
; COMPUTE_PGM_RSRC2:SCRATCH_EN: 0
; COMPUTE_PGM_RSRC2:USER_SGPR: 2
; COMPUTE_PGM_RSRC2:TRAP_HANDLER: 0
; COMPUTE_PGM_RSRC2:TGID_X_EN: 1
; COMPUTE_PGM_RSRC2:TGID_Y_EN: 0
; COMPUTE_PGM_RSRC2:TGID_Z_EN: 0
; COMPUTE_PGM_RSRC2:TIDIG_COMP_CNT: 0
	.section	.text._ZN7rocprim17ROCPRIM_400000_NS6detail17trampoline_kernelINS0_14default_configENS1_27scan_by_key_config_selectorIifEEZZNS1_16scan_by_key_implILNS1_25lookback_scan_determinismE0ELb0ES3_N6thrust23THRUST_200600_302600_NS6detail15normal_iteratorINS9_10device_ptrIiEEEENSB_INSC_IfEEEESG_fNS9_4plusIvEENS9_8equal_toIvEEfEE10hipError_tPvRmT2_T3_T4_T5_mT6_T7_P12ihipStream_tbENKUlT_T0_E_clISt17integral_constantIbLb1EES11_EEDaSW_SX_EUlSW_E_NS1_11comp_targetILNS1_3genE8ELNS1_11target_archE1030ELNS1_3gpuE2ELNS1_3repE0EEENS1_30default_config_static_selectorELNS0_4arch9wavefront6targetE0EEEvT1_,"axG",@progbits,_ZN7rocprim17ROCPRIM_400000_NS6detail17trampoline_kernelINS0_14default_configENS1_27scan_by_key_config_selectorIifEEZZNS1_16scan_by_key_implILNS1_25lookback_scan_determinismE0ELb0ES3_N6thrust23THRUST_200600_302600_NS6detail15normal_iteratorINS9_10device_ptrIiEEEENSB_INSC_IfEEEESG_fNS9_4plusIvEENS9_8equal_toIvEEfEE10hipError_tPvRmT2_T3_T4_T5_mT6_T7_P12ihipStream_tbENKUlT_T0_E_clISt17integral_constantIbLb1EES11_EEDaSW_SX_EUlSW_E_NS1_11comp_targetILNS1_3genE8ELNS1_11target_archE1030ELNS1_3gpuE2ELNS1_3repE0EEENS1_30default_config_static_selectorELNS0_4arch9wavefront6targetE0EEEvT1_,comdat
	.protected	_ZN7rocprim17ROCPRIM_400000_NS6detail17trampoline_kernelINS0_14default_configENS1_27scan_by_key_config_selectorIifEEZZNS1_16scan_by_key_implILNS1_25lookback_scan_determinismE0ELb0ES3_N6thrust23THRUST_200600_302600_NS6detail15normal_iteratorINS9_10device_ptrIiEEEENSB_INSC_IfEEEESG_fNS9_4plusIvEENS9_8equal_toIvEEfEE10hipError_tPvRmT2_T3_T4_T5_mT6_T7_P12ihipStream_tbENKUlT_T0_E_clISt17integral_constantIbLb1EES11_EEDaSW_SX_EUlSW_E_NS1_11comp_targetILNS1_3genE8ELNS1_11target_archE1030ELNS1_3gpuE2ELNS1_3repE0EEENS1_30default_config_static_selectorELNS0_4arch9wavefront6targetE0EEEvT1_ ; -- Begin function _ZN7rocprim17ROCPRIM_400000_NS6detail17trampoline_kernelINS0_14default_configENS1_27scan_by_key_config_selectorIifEEZZNS1_16scan_by_key_implILNS1_25lookback_scan_determinismE0ELb0ES3_N6thrust23THRUST_200600_302600_NS6detail15normal_iteratorINS9_10device_ptrIiEEEENSB_INSC_IfEEEESG_fNS9_4plusIvEENS9_8equal_toIvEEfEE10hipError_tPvRmT2_T3_T4_T5_mT6_T7_P12ihipStream_tbENKUlT_T0_E_clISt17integral_constantIbLb1EES11_EEDaSW_SX_EUlSW_E_NS1_11comp_targetILNS1_3genE8ELNS1_11target_archE1030ELNS1_3gpuE2ELNS1_3repE0EEENS1_30default_config_static_selectorELNS0_4arch9wavefront6targetE0EEEvT1_
	.globl	_ZN7rocprim17ROCPRIM_400000_NS6detail17trampoline_kernelINS0_14default_configENS1_27scan_by_key_config_selectorIifEEZZNS1_16scan_by_key_implILNS1_25lookback_scan_determinismE0ELb0ES3_N6thrust23THRUST_200600_302600_NS6detail15normal_iteratorINS9_10device_ptrIiEEEENSB_INSC_IfEEEESG_fNS9_4plusIvEENS9_8equal_toIvEEfEE10hipError_tPvRmT2_T3_T4_T5_mT6_T7_P12ihipStream_tbENKUlT_T0_E_clISt17integral_constantIbLb1EES11_EEDaSW_SX_EUlSW_E_NS1_11comp_targetILNS1_3genE8ELNS1_11target_archE1030ELNS1_3gpuE2ELNS1_3repE0EEENS1_30default_config_static_selectorELNS0_4arch9wavefront6targetE0EEEvT1_
	.p2align	8
	.type	_ZN7rocprim17ROCPRIM_400000_NS6detail17trampoline_kernelINS0_14default_configENS1_27scan_by_key_config_selectorIifEEZZNS1_16scan_by_key_implILNS1_25lookback_scan_determinismE0ELb0ES3_N6thrust23THRUST_200600_302600_NS6detail15normal_iteratorINS9_10device_ptrIiEEEENSB_INSC_IfEEEESG_fNS9_4plusIvEENS9_8equal_toIvEEfEE10hipError_tPvRmT2_T3_T4_T5_mT6_T7_P12ihipStream_tbENKUlT_T0_E_clISt17integral_constantIbLb1EES11_EEDaSW_SX_EUlSW_E_NS1_11comp_targetILNS1_3genE8ELNS1_11target_archE1030ELNS1_3gpuE2ELNS1_3repE0EEENS1_30default_config_static_selectorELNS0_4arch9wavefront6targetE0EEEvT1_,@function
_ZN7rocprim17ROCPRIM_400000_NS6detail17trampoline_kernelINS0_14default_configENS1_27scan_by_key_config_selectorIifEEZZNS1_16scan_by_key_implILNS1_25lookback_scan_determinismE0ELb0ES3_N6thrust23THRUST_200600_302600_NS6detail15normal_iteratorINS9_10device_ptrIiEEEENSB_INSC_IfEEEESG_fNS9_4plusIvEENS9_8equal_toIvEEfEE10hipError_tPvRmT2_T3_T4_T5_mT6_T7_P12ihipStream_tbENKUlT_T0_E_clISt17integral_constantIbLb1EES11_EEDaSW_SX_EUlSW_E_NS1_11comp_targetILNS1_3genE8ELNS1_11target_archE1030ELNS1_3gpuE2ELNS1_3repE0EEENS1_30default_config_static_selectorELNS0_4arch9wavefront6targetE0EEEvT1_: ; @_ZN7rocprim17ROCPRIM_400000_NS6detail17trampoline_kernelINS0_14default_configENS1_27scan_by_key_config_selectorIifEEZZNS1_16scan_by_key_implILNS1_25lookback_scan_determinismE0ELb0ES3_N6thrust23THRUST_200600_302600_NS6detail15normal_iteratorINS9_10device_ptrIiEEEENSB_INSC_IfEEEESG_fNS9_4plusIvEENS9_8equal_toIvEEfEE10hipError_tPvRmT2_T3_T4_T5_mT6_T7_P12ihipStream_tbENKUlT_T0_E_clISt17integral_constantIbLb1EES11_EEDaSW_SX_EUlSW_E_NS1_11comp_targetILNS1_3genE8ELNS1_11target_archE1030ELNS1_3gpuE2ELNS1_3repE0EEENS1_30default_config_static_selectorELNS0_4arch9wavefront6targetE0EEEvT1_
; %bb.0:
	.section	.rodata,"a",@progbits
	.p2align	6, 0x0
	.amdhsa_kernel _ZN7rocprim17ROCPRIM_400000_NS6detail17trampoline_kernelINS0_14default_configENS1_27scan_by_key_config_selectorIifEEZZNS1_16scan_by_key_implILNS1_25lookback_scan_determinismE0ELb0ES3_N6thrust23THRUST_200600_302600_NS6detail15normal_iteratorINS9_10device_ptrIiEEEENSB_INSC_IfEEEESG_fNS9_4plusIvEENS9_8equal_toIvEEfEE10hipError_tPvRmT2_T3_T4_T5_mT6_T7_P12ihipStream_tbENKUlT_T0_E_clISt17integral_constantIbLb1EES11_EEDaSW_SX_EUlSW_E_NS1_11comp_targetILNS1_3genE8ELNS1_11target_archE1030ELNS1_3gpuE2ELNS1_3repE0EEENS1_30default_config_static_selectorELNS0_4arch9wavefront6targetE0EEEvT1_
		.amdhsa_group_segment_fixed_size 0
		.amdhsa_private_segment_fixed_size 0
		.amdhsa_kernarg_size 112
		.amdhsa_user_sgpr_count 2
		.amdhsa_user_sgpr_dispatch_ptr 0
		.amdhsa_user_sgpr_queue_ptr 0
		.amdhsa_user_sgpr_kernarg_segment_ptr 1
		.amdhsa_user_sgpr_dispatch_id 0
		.amdhsa_user_sgpr_kernarg_preload_length 0
		.amdhsa_user_sgpr_kernarg_preload_offset 0
		.amdhsa_user_sgpr_private_segment_size 0
		.amdhsa_wavefront_size32 1
		.amdhsa_uses_dynamic_stack 0
		.amdhsa_enable_private_segment 0
		.amdhsa_system_sgpr_workgroup_id_x 1
		.amdhsa_system_sgpr_workgroup_id_y 0
		.amdhsa_system_sgpr_workgroup_id_z 0
		.amdhsa_system_sgpr_workgroup_info 0
		.amdhsa_system_vgpr_workitem_id 0
		.amdhsa_next_free_vgpr 1
		.amdhsa_next_free_sgpr 1
		.amdhsa_named_barrier_count 0
		.amdhsa_reserve_vcc 0
		.amdhsa_float_round_mode_32 0
		.amdhsa_float_round_mode_16_64 0
		.amdhsa_float_denorm_mode_32 3
		.amdhsa_float_denorm_mode_16_64 3
		.amdhsa_fp16_overflow 0
		.amdhsa_memory_ordered 1
		.amdhsa_forward_progress 1
		.amdhsa_inst_pref_size 0
		.amdhsa_round_robin_scheduling 0
		.amdhsa_exception_fp_ieee_invalid_op 0
		.amdhsa_exception_fp_denorm_src 0
		.amdhsa_exception_fp_ieee_div_zero 0
		.amdhsa_exception_fp_ieee_overflow 0
		.amdhsa_exception_fp_ieee_underflow 0
		.amdhsa_exception_fp_ieee_inexact 0
		.amdhsa_exception_int_div_zero 0
	.end_amdhsa_kernel
	.section	.text._ZN7rocprim17ROCPRIM_400000_NS6detail17trampoline_kernelINS0_14default_configENS1_27scan_by_key_config_selectorIifEEZZNS1_16scan_by_key_implILNS1_25lookback_scan_determinismE0ELb0ES3_N6thrust23THRUST_200600_302600_NS6detail15normal_iteratorINS9_10device_ptrIiEEEENSB_INSC_IfEEEESG_fNS9_4plusIvEENS9_8equal_toIvEEfEE10hipError_tPvRmT2_T3_T4_T5_mT6_T7_P12ihipStream_tbENKUlT_T0_E_clISt17integral_constantIbLb1EES11_EEDaSW_SX_EUlSW_E_NS1_11comp_targetILNS1_3genE8ELNS1_11target_archE1030ELNS1_3gpuE2ELNS1_3repE0EEENS1_30default_config_static_selectorELNS0_4arch9wavefront6targetE0EEEvT1_,"axG",@progbits,_ZN7rocprim17ROCPRIM_400000_NS6detail17trampoline_kernelINS0_14default_configENS1_27scan_by_key_config_selectorIifEEZZNS1_16scan_by_key_implILNS1_25lookback_scan_determinismE0ELb0ES3_N6thrust23THRUST_200600_302600_NS6detail15normal_iteratorINS9_10device_ptrIiEEEENSB_INSC_IfEEEESG_fNS9_4plusIvEENS9_8equal_toIvEEfEE10hipError_tPvRmT2_T3_T4_T5_mT6_T7_P12ihipStream_tbENKUlT_T0_E_clISt17integral_constantIbLb1EES11_EEDaSW_SX_EUlSW_E_NS1_11comp_targetILNS1_3genE8ELNS1_11target_archE1030ELNS1_3gpuE2ELNS1_3repE0EEENS1_30default_config_static_selectorELNS0_4arch9wavefront6targetE0EEEvT1_,comdat
.Lfunc_end1149:
	.size	_ZN7rocprim17ROCPRIM_400000_NS6detail17trampoline_kernelINS0_14default_configENS1_27scan_by_key_config_selectorIifEEZZNS1_16scan_by_key_implILNS1_25lookback_scan_determinismE0ELb0ES3_N6thrust23THRUST_200600_302600_NS6detail15normal_iteratorINS9_10device_ptrIiEEEENSB_INSC_IfEEEESG_fNS9_4plusIvEENS9_8equal_toIvEEfEE10hipError_tPvRmT2_T3_T4_T5_mT6_T7_P12ihipStream_tbENKUlT_T0_E_clISt17integral_constantIbLb1EES11_EEDaSW_SX_EUlSW_E_NS1_11comp_targetILNS1_3genE8ELNS1_11target_archE1030ELNS1_3gpuE2ELNS1_3repE0EEENS1_30default_config_static_selectorELNS0_4arch9wavefront6targetE0EEEvT1_, .Lfunc_end1149-_ZN7rocprim17ROCPRIM_400000_NS6detail17trampoline_kernelINS0_14default_configENS1_27scan_by_key_config_selectorIifEEZZNS1_16scan_by_key_implILNS1_25lookback_scan_determinismE0ELb0ES3_N6thrust23THRUST_200600_302600_NS6detail15normal_iteratorINS9_10device_ptrIiEEEENSB_INSC_IfEEEESG_fNS9_4plusIvEENS9_8equal_toIvEEfEE10hipError_tPvRmT2_T3_T4_T5_mT6_T7_P12ihipStream_tbENKUlT_T0_E_clISt17integral_constantIbLb1EES11_EEDaSW_SX_EUlSW_E_NS1_11comp_targetILNS1_3genE8ELNS1_11target_archE1030ELNS1_3gpuE2ELNS1_3repE0EEENS1_30default_config_static_selectorELNS0_4arch9wavefront6targetE0EEEvT1_
                                        ; -- End function
	.set _ZN7rocprim17ROCPRIM_400000_NS6detail17trampoline_kernelINS0_14default_configENS1_27scan_by_key_config_selectorIifEEZZNS1_16scan_by_key_implILNS1_25lookback_scan_determinismE0ELb0ES3_N6thrust23THRUST_200600_302600_NS6detail15normal_iteratorINS9_10device_ptrIiEEEENSB_INSC_IfEEEESG_fNS9_4plusIvEENS9_8equal_toIvEEfEE10hipError_tPvRmT2_T3_T4_T5_mT6_T7_P12ihipStream_tbENKUlT_T0_E_clISt17integral_constantIbLb1EES11_EEDaSW_SX_EUlSW_E_NS1_11comp_targetILNS1_3genE8ELNS1_11target_archE1030ELNS1_3gpuE2ELNS1_3repE0EEENS1_30default_config_static_selectorELNS0_4arch9wavefront6targetE0EEEvT1_.num_vgpr, 0
	.set _ZN7rocprim17ROCPRIM_400000_NS6detail17trampoline_kernelINS0_14default_configENS1_27scan_by_key_config_selectorIifEEZZNS1_16scan_by_key_implILNS1_25lookback_scan_determinismE0ELb0ES3_N6thrust23THRUST_200600_302600_NS6detail15normal_iteratorINS9_10device_ptrIiEEEENSB_INSC_IfEEEESG_fNS9_4plusIvEENS9_8equal_toIvEEfEE10hipError_tPvRmT2_T3_T4_T5_mT6_T7_P12ihipStream_tbENKUlT_T0_E_clISt17integral_constantIbLb1EES11_EEDaSW_SX_EUlSW_E_NS1_11comp_targetILNS1_3genE8ELNS1_11target_archE1030ELNS1_3gpuE2ELNS1_3repE0EEENS1_30default_config_static_selectorELNS0_4arch9wavefront6targetE0EEEvT1_.num_agpr, 0
	.set _ZN7rocprim17ROCPRIM_400000_NS6detail17trampoline_kernelINS0_14default_configENS1_27scan_by_key_config_selectorIifEEZZNS1_16scan_by_key_implILNS1_25lookback_scan_determinismE0ELb0ES3_N6thrust23THRUST_200600_302600_NS6detail15normal_iteratorINS9_10device_ptrIiEEEENSB_INSC_IfEEEESG_fNS9_4plusIvEENS9_8equal_toIvEEfEE10hipError_tPvRmT2_T3_T4_T5_mT6_T7_P12ihipStream_tbENKUlT_T0_E_clISt17integral_constantIbLb1EES11_EEDaSW_SX_EUlSW_E_NS1_11comp_targetILNS1_3genE8ELNS1_11target_archE1030ELNS1_3gpuE2ELNS1_3repE0EEENS1_30default_config_static_selectorELNS0_4arch9wavefront6targetE0EEEvT1_.numbered_sgpr, 0
	.set _ZN7rocprim17ROCPRIM_400000_NS6detail17trampoline_kernelINS0_14default_configENS1_27scan_by_key_config_selectorIifEEZZNS1_16scan_by_key_implILNS1_25lookback_scan_determinismE0ELb0ES3_N6thrust23THRUST_200600_302600_NS6detail15normal_iteratorINS9_10device_ptrIiEEEENSB_INSC_IfEEEESG_fNS9_4plusIvEENS9_8equal_toIvEEfEE10hipError_tPvRmT2_T3_T4_T5_mT6_T7_P12ihipStream_tbENKUlT_T0_E_clISt17integral_constantIbLb1EES11_EEDaSW_SX_EUlSW_E_NS1_11comp_targetILNS1_3genE8ELNS1_11target_archE1030ELNS1_3gpuE2ELNS1_3repE0EEENS1_30default_config_static_selectorELNS0_4arch9wavefront6targetE0EEEvT1_.num_named_barrier, 0
	.set _ZN7rocprim17ROCPRIM_400000_NS6detail17trampoline_kernelINS0_14default_configENS1_27scan_by_key_config_selectorIifEEZZNS1_16scan_by_key_implILNS1_25lookback_scan_determinismE0ELb0ES3_N6thrust23THRUST_200600_302600_NS6detail15normal_iteratorINS9_10device_ptrIiEEEENSB_INSC_IfEEEESG_fNS9_4plusIvEENS9_8equal_toIvEEfEE10hipError_tPvRmT2_T3_T4_T5_mT6_T7_P12ihipStream_tbENKUlT_T0_E_clISt17integral_constantIbLb1EES11_EEDaSW_SX_EUlSW_E_NS1_11comp_targetILNS1_3genE8ELNS1_11target_archE1030ELNS1_3gpuE2ELNS1_3repE0EEENS1_30default_config_static_selectorELNS0_4arch9wavefront6targetE0EEEvT1_.private_seg_size, 0
	.set _ZN7rocprim17ROCPRIM_400000_NS6detail17trampoline_kernelINS0_14default_configENS1_27scan_by_key_config_selectorIifEEZZNS1_16scan_by_key_implILNS1_25lookback_scan_determinismE0ELb0ES3_N6thrust23THRUST_200600_302600_NS6detail15normal_iteratorINS9_10device_ptrIiEEEENSB_INSC_IfEEEESG_fNS9_4plusIvEENS9_8equal_toIvEEfEE10hipError_tPvRmT2_T3_T4_T5_mT6_T7_P12ihipStream_tbENKUlT_T0_E_clISt17integral_constantIbLb1EES11_EEDaSW_SX_EUlSW_E_NS1_11comp_targetILNS1_3genE8ELNS1_11target_archE1030ELNS1_3gpuE2ELNS1_3repE0EEENS1_30default_config_static_selectorELNS0_4arch9wavefront6targetE0EEEvT1_.uses_vcc, 0
	.set _ZN7rocprim17ROCPRIM_400000_NS6detail17trampoline_kernelINS0_14default_configENS1_27scan_by_key_config_selectorIifEEZZNS1_16scan_by_key_implILNS1_25lookback_scan_determinismE0ELb0ES3_N6thrust23THRUST_200600_302600_NS6detail15normal_iteratorINS9_10device_ptrIiEEEENSB_INSC_IfEEEESG_fNS9_4plusIvEENS9_8equal_toIvEEfEE10hipError_tPvRmT2_T3_T4_T5_mT6_T7_P12ihipStream_tbENKUlT_T0_E_clISt17integral_constantIbLb1EES11_EEDaSW_SX_EUlSW_E_NS1_11comp_targetILNS1_3genE8ELNS1_11target_archE1030ELNS1_3gpuE2ELNS1_3repE0EEENS1_30default_config_static_selectorELNS0_4arch9wavefront6targetE0EEEvT1_.uses_flat_scratch, 0
	.set _ZN7rocprim17ROCPRIM_400000_NS6detail17trampoline_kernelINS0_14default_configENS1_27scan_by_key_config_selectorIifEEZZNS1_16scan_by_key_implILNS1_25lookback_scan_determinismE0ELb0ES3_N6thrust23THRUST_200600_302600_NS6detail15normal_iteratorINS9_10device_ptrIiEEEENSB_INSC_IfEEEESG_fNS9_4plusIvEENS9_8equal_toIvEEfEE10hipError_tPvRmT2_T3_T4_T5_mT6_T7_P12ihipStream_tbENKUlT_T0_E_clISt17integral_constantIbLb1EES11_EEDaSW_SX_EUlSW_E_NS1_11comp_targetILNS1_3genE8ELNS1_11target_archE1030ELNS1_3gpuE2ELNS1_3repE0EEENS1_30default_config_static_selectorELNS0_4arch9wavefront6targetE0EEEvT1_.has_dyn_sized_stack, 0
	.set _ZN7rocprim17ROCPRIM_400000_NS6detail17trampoline_kernelINS0_14default_configENS1_27scan_by_key_config_selectorIifEEZZNS1_16scan_by_key_implILNS1_25lookback_scan_determinismE0ELb0ES3_N6thrust23THRUST_200600_302600_NS6detail15normal_iteratorINS9_10device_ptrIiEEEENSB_INSC_IfEEEESG_fNS9_4plusIvEENS9_8equal_toIvEEfEE10hipError_tPvRmT2_T3_T4_T5_mT6_T7_P12ihipStream_tbENKUlT_T0_E_clISt17integral_constantIbLb1EES11_EEDaSW_SX_EUlSW_E_NS1_11comp_targetILNS1_3genE8ELNS1_11target_archE1030ELNS1_3gpuE2ELNS1_3repE0EEENS1_30default_config_static_selectorELNS0_4arch9wavefront6targetE0EEEvT1_.has_recursion, 0
	.set _ZN7rocprim17ROCPRIM_400000_NS6detail17trampoline_kernelINS0_14default_configENS1_27scan_by_key_config_selectorIifEEZZNS1_16scan_by_key_implILNS1_25lookback_scan_determinismE0ELb0ES3_N6thrust23THRUST_200600_302600_NS6detail15normal_iteratorINS9_10device_ptrIiEEEENSB_INSC_IfEEEESG_fNS9_4plusIvEENS9_8equal_toIvEEfEE10hipError_tPvRmT2_T3_T4_T5_mT6_T7_P12ihipStream_tbENKUlT_T0_E_clISt17integral_constantIbLb1EES11_EEDaSW_SX_EUlSW_E_NS1_11comp_targetILNS1_3genE8ELNS1_11target_archE1030ELNS1_3gpuE2ELNS1_3repE0EEENS1_30default_config_static_selectorELNS0_4arch9wavefront6targetE0EEEvT1_.has_indirect_call, 0
	.section	.AMDGPU.csdata,"",@progbits
; Kernel info:
; codeLenInByte = 0
; TotalNumSgprs: 0
; NumVgprs: 0
; ScratchSize: 0
; MemoryBound: 0
; FloatMode: 240
; IeeeMode: 1
; LDSByteSize: 0 bytes/workgroup (compile time only)
; SGPRBlocks: 0
; VGPRBlocks: 0
; NumSGPRsForWavesPerEU: 1
; NumVGPRsForWavesPerEU: 1
; NamedBarCnt: 0
; Occupancy: 16
; WaveLimiterHint : 0
; COMPUTE_PGM_RSRC2:SCRATCH_EN: 0
; COMPUTE_PGM_RSRC2:USER_SGPR: 2
; COMPUTE_PGM_RSRC2:TRAP_HANDLER: 0
; COMPUTE_PGM_RSRC2:TGID_X_EN: 1
; COMPUTE_PGM_RSRC2:TGID_Y_EN: 0
; COMPUTE_PGM_RSRC2:TGID_Z_EN: 0
; COMPUTE_PGM_RSRC2:TIDIG_COMP_CNT: 0
	.section	.text._ZN7rocprim17ROCPRIM_400000_NS6detail30init_device_scan_by_key_kernelINS1_19lookback_scan_stateINS0_5tupleIJfbEEELb1ELb1EEEN6thrust23THRUST_200600_302600_NS6detail15normal_iteratorINS8_10device_ptrIiEEEEjNS1_16block_id_wrapperIjLb0EEEEEvT_jjPNSG_10value_typeET0_PNSt15iterator_traitsISJ_E10value_typeEmT1_T2_,"axG",@progbits,_ZN7rocprim17ROCPRIM_400000_NS6detail30init_device_scan_by_key_kernelINS1_19lookback_scan_stateINS0_5tupleIJfbEEELb1ELb1EEEN6thrust23THRUST_200600_302600_NS6detail15normal_iteratorINS8_10device_ptrIiEEEEjNS1_16block_id_wrapperIjLb0EEEEEvT_jjPNSG_10value_typeET0_PNSt15iterator_traitsISJ_E10value_typeEmT1_T2_,comdat
	.protected	_ZN7rocprim17ROCPRIM_400000_NS6detail30init_device_scan_by_key_kernelINS1_19lookback_scan_stateINS0_5tupleIJfbEEELb1ELb1EEEN6thrust23THRUST_200600_302600_NS6detail15normal_iteratorINS8_10device_ptrIiEEEEjNS1_16block_id_wrapperIjLb0EEEEEvT_jjPNSG_10value_typeET0_PNSt15iterator_traitsISJ_E10value_typeEmT1_T2_ ; -- Begin function _ZN7rocprim17ROCPRIM_400000_NS6detail30init_device_scan_by_key_kernelINS1_19lookback_scan_stateINS0_5tupleIJfbEEELb1ELb1EEEN6thrust23THRUST_200600_302600_NS6detail15normal_iteratorINS8_10device_ptrIiEEEEjNS1_16block_id_wrapperIjLb0EEEEEvT_jjPNSG_10value_typeET0_PNSt15iterator_traitsISJ_E10value_typeEmT1_T2_
	.globl	_ZN7rocprim17ROCPRIM_400000_NS6detail30init_device_scan_by_key_kernelINS1_19lookback_scan_stateINS0_5tupleIJfbEEELb1ELb1EEEN6thrust23THRUST_200600_302600_NS6detail15normal_iteratorINS8_10device_ptrIiEEEEjNS1_16block_id_wrapperIjLb0EEEEEvT_jjPNSG_10value_typeET0_PNSt15iterator_traitsISJ_E10value_typeEmT1_T2_
	.p2align	8
	.type	_ZN7rocprim17ROCPRIM_400000_NS6detail30init_device_scan_by_key_kernelINS1_19lookback_scan_stateINS0_5tupleIJfbEEELb1ELb1EEEN6thrust23THRUST_200600_302600_NS6detail15normal_iteratorINS8_10device_ptrIiEEEEjNS1_16block_id_wrapperIjLb0EEEEEvT_jjPNSG_10value_typeET0_PNSt15iterator_traitsISJ_E10value_typeEmT1_T2_,@function
_ZN7rocprim17ROCPRIM_400000_NS6detail30init_device_scan_by_key_kernelINS1_19lookback_scan_stateINS0_5tupleIJfbEEELb1ELb1EEEN6thrust23THRUST_200600_302600_NS6detail15normal_iteratorINS8_10device_ptrIiEEEEjNS1_16block_id_wrapperIjLb0EEEEEvT_jjPNSG_10value_typeET0_PNSt15iterator_traitsISJ_E10value_typeEmT1_T2_: ; @_ZN7rocprim17ROCPRIM_400000_NS6detail30init_device_scan_by_key_kernelINS1_19lookback_scan_stateINS0_5tupleIJfbEEELb1ELb1EEEN6thrust23THRUST_200600_302600_NS6detail15normal_iteratorINS8_10device_ptrIiEEEEjNS1_16block_id_wrapperIjLb0EEEEEvT_jjPNSG_10value_typeET0_PNSt15iterator_traitsISJ_E10value_typeEmT1_T2_
; %bb.0:
	s_clause 0x2
	s_load_b32 s2, s[0:1], 0x44
	s_load_b32 s14, s[0:1], 0x38
	s_load_b256 s[4:11], s[0:1], 0x0
	s_bfe_u32 s3, ttmp6, 0x4000c
	s_and_b32 s12, ttmp6, 15
	s_add_co_i32 s3, s3, 1
	s_getreg_b32 s13, hwreg(HW_REG_IB_STS2, 6, 4)
	s_mul_i32 s3, ttmp9, s3
	s_delay_alu instid0(SALU_CYCLE_1)
	s_add_co_i32 s12, s12, s3
	s_wait_kmcnt 0x0
	s_and_b32 s15, s2, 0xffff
	s_cmp_eq_u32 s13, 0
	s_cselect_b32 s2, ttmp9, s12
	s_cmp_eq_u64 s[8:9], 0
	v_mad_u32 v4, s2, s15, v0
	s_cbranch_scc1 .LBB1150_10
; %bb.1:
	s_cmp_lt_u32 s7, s6
	s_mov_b32 s16, exec_lo
	s_cselect_b32 s2, s7, 0
	s_delay_alu instid0(VALU_DEP_1) | instid1(SALU_CYCLE_1)
	v_cmpx_eq_u32_e64 s2, v4
	s_cbranch_execz .LBB1150_9
; %bb.2:
	s_add_co_i32 s2, s7, 32
	s_mov_b32 s3, 0
	v_mov_b32_e32 v7, 0
	s_lshl_b64 s[12:13], s[2:3], 4
	s_mov_b32 s2, exec_lo
	s_add_nc_u64 s[12:13], s[4:5], s[12:13]
	s_delay_alu instid0(SALU_CYCLE_1) | instskip(SKIP_2) | instid1(VALU_DEP_1)
	v_mov_b64_e32 v[0:1], s[12:13]
	;;#ASMSTART
	global_load_b128 v[0:3], v[0:1] off scope:SCOPE_DEV	
s_wait_loadcnt 0x0
	;;#ASMEND
	v_and_b32_e32 v6, 0xff, v2
	v_cmpx_eq_u64_e32 0, v[6:7]
	s_cbranch_execz .LBB1150_8
; %bb.3:
	v_mov_b64_e32 v[8:9], s[12:13]
	s_mov_b32 s7, 1
.LBB1150_4:                             ; =>This Loop Header: Depth=1
                                        ;     Child Loop BB1150_5 Depth 2
	s_delay_alu instid0(SALU_CYCLE_1)
	s_mov_b32 s12, s7
.LBB1150_5:                             ;   Parent Loop BB1150_4 Depth=1
                                        ; =>  This Inner Loop Header: Depth=2
	s_delay_alu instid0(SALU_CYCLE_1)
	s_add_co_i32 s12, s12, -1
	s_sleep 1
	s_cmp_eq_u32 s12, 0
	s_cbranch_scc0 .LBB1150_5
; %bb.6:                                ;   in Loop: Header=BB1150_4 Depth=1
	;;#ASMSTART
	global_load_b128 v[0:3], v[8:9] off scope:SCOPE_DEV	
s_wait_loadcnt 0x0
	;;#ASMEND
	v_and_b32_e32 v6, 0xff, v2
	s_cmp_lt_u32 s7, 32
	s_cselect_b32 s12, -1, 0
	s_delay_alu instid0(VALU_DEP_1) | instskip(SKIP_3) | instid1(SALU_CYCLE_1)
	v_cmp_ne_u64_e32 vcc_lo, 0, v[6:7]
	s_cmp_lg_u32 s12, 0
	s_add_co_ci_u32 s7, s7, 0
	s_or_b32 s3, vcc_lo, s3
	s_and_not1_b32 exec_lo, exec_lo, s3
	s_cbranch_execnz .LBB1150_4
; %bb.7:
	s_or_b32 exec_lo, exec_lo, s3
.LBB1150_8:
	s_delay_alu instid0(SALU_CYCLE_1)
	s_or_b32 exec_lo, exec_lo, s2
	v_mov_b32_e32 v2, 0
	s_clause 0x1
	global_store_b32 v2, v0, s[8:9]
	global_store_b8 v2, v1, s[8:9] offset:4
.LBB1150_9:
	s_wait_xcnt 0x0
	s_or_b32 exec_lo, exec_lo, s16
.LBB1150_10:
	s_delay_alu instid0(SALU_CYCLE_1) | instskip(NEXT) | instid1(VALU_DEP_1)
	s_mov_b32 s2, exec_lo
	v_cmpx_gt_u32_e64 s6, v4
	s_cbranch_execz .LBB1150_12
; %bb.11:
	v_dual_mov_b32 v0, 0 :: v_dual_add_nc_u32 v5, 32, v4
	s_delay_alu instid0(VALU_DEP_1)
	v_dual_mov_b32 v1, v0 :: v_dual_mov_b32 v2, v0
	v_mov_b32_e32 v3, v0
	global_store_b128 v5, v[0:3], s[4:5] scale_offset
.LBB1150_12:
	s_wait_xcnt 0x0
	s_or_b32 exec_lo, exec_lo, s2
	v_mov_b32_e32 v5, 0
	s_mov_b32 s2, exec_lo
	v_cmpx_gt_u32_e32 32, v4
	s_cbranch_execz .LBB1150_14
; %bb.13:
	s_delay_alu instid0(VALU_DEP_2)
	v_lshl_add_u64 v[6:7], v[4:5], 4, s[4:5]
	v_dual_mov_b32 v2, 0xff :: v_dual_mov_b32 v1, v5
	v_dual_mov_b32 v0, v5 :: v_dual_mov_b32 v3, v5
	global_store_b128 v[6:7], v[0:3], off
.LBB1150_14:
	s_wait_xcnt 0x0
	s_or_b32 exec_lo, exec_lo, s2
	s_load_b64 s[2:3], s[0:1], 0x28
	s_mov_b32 s4, exec_lo
	s_wait_kmcnt 0x0
	v_cmpx_gt_u64_e64 s[2:3], v[4:5]
	s_cbranch_execz .LBB1150_17
; %bb.15:
	s_clause 0x1
	s_load_b32 s4, s[0:1], 0x30
	s_load_b64 s[6:7], s[0:1], 0x20
	s_mov_b32 s5, 0
	s_wait_xcnt 0x0
	s_mul_i32 s0, s14, s15
	s_mov_b32 s9, s5
	s_mov_b32 s1, s5
	s_wait_kmcnt 0x0
	v_mul_u64_e32 v[0:1], s[4:5], v[4:5]
	s_add_co_i32 s8, s4, -1
	v_lshl_add_u64 v[2:3], v[4:5], 2, s[6:7]
	s_lshl_b64 s[8:9], s[8:9], 2
	s_delay_alu instid0(SALU_CYCLE_1) | instskip(SKIP_1) | instid1(SALU_CYCLE_1)
	s_add_nc_u64 s[8:9], s[10:11], s[8:9]
	s_mul_u64 s[10:11], s[4:5], s[0:1]
	s_lshl_b64 s[6:7], s[10:11], 2
	s_delay_alu instid0(VALU_DEP_2)
	v_lshl_add_u64 v[0:1], v[0:1], 2, s[8:9]
	s_lshl_b64 s[8:9], s[0:1], 2
.LBB1150_16:                            ; =>This Inner Loop Header: Depth=1
	global_load_b32 v6, v[0:1], off
	v_add_nc_u64_e32 v[4:5], s[0:1], v[4:5]
	s_wait_xcnt 0x0
	v_add_nc_u64_e32 v[0:1], s[6:7], v[0:1]
	s_delay_alu instid0(VALU_DEP_2)
	v_cmp_le_u64_e32 vcc_lo, s[2:3], v[4:5]
	s_or_b32 s5, vcc_lo, s5
	s_wait_loadcnt 0x0
	global_store_b32 v[2:3], v6, off
	s_wait_xcnt 0x0
	v_add_nc_u64_e32 v[2:3], s[8:9], v[2:3]
	s_and_not1_b32 exec_lo, exec_lo, s5
	s_cbranch_execnz .LBB1150_16
.LBB1150_17:
	s_endpgm
	.section	.rodata,"a",@progbits
	.p2align	6, 0x0
	.amdhsa_kernel _ZN7rocprim17ROCPRIM_400000_NS6detail30init_device_scan_by_key_kernelINS1_19lookback_scan_stateINS0_5tupleIJfbEEELb1ELb1EEEN6thrust23THRUST_200600_302600_NS6detail15normal_iteratorINS8_10device_ptrIiEEEEjNS1_16block_id_wrapperIjLb0EEEEEvT_jjPNSG_10value_typeET0_PNSt15iterator_traitsISJ_E10value_typeEmT1_T2_
		.amdhsa_group_segment_fixed_size 0
		.amdhsa_private_segment_fixed_size 0
		.amdhsa_kernarg_size 312
		.amdhsa_user_sgpr_count 2
		.amdhsa_user_sgpr_dispatch_ptr 0
		.amdhsa_user_sgpr_queue_ptr 0
		.amdhsa_user_sgpr_kernarg_segment_ptr 1
		.amdhsa_user_sgpr_dispatch_id 0
		.amdhsa_user_sgpr_kernarg_preload_length 0
		.amdhsa_user_sgpr_kernarg_preload_offset 0
		.amdhsa_user_sgpr_private_segment_size 0
		.amdhsa_wavefront_size32 1
		.amdhsa_uses_dynamic_stack 0
		.amdhsa_enable_private_segment 0
		.amdhsa_system_sgpr_workgroup_id_x 1
		.amdhsa_system_sgpr_workgroup_id_y 0
		.amdhsa_system_sgpr_workgroup_id_z 0
		.amdhsa_system_sgpr_workgroup_info 0
		.amdhsa_system_vgpr_workitem_id 0
		.amdhsa_next_free_vgpr 10
		.amdhsa_next_free_sgpr 17
		.amdhsa_named_barrier_count 0
		.amdhsa_reserve_vcc 1
		.amdhsa_float_round_mode_32 0
		.amdhsa_float_round_mode_16_64 0
		.amdhsa_float_denorm_mode_32 3
		.amdhsa_float_denorm_mode_16_64 3
		.amdhsa_fp16_overflow 0
		.amdhsa_memory_ordered 1
		.amdhsa_forward_progress 1
		.amdhsa_inst_pref_size 5
		.amdhsa_round_robin_scheduling 0
		.amdhsa_exception_fp_ieee_invalid_op 0
		.amdhsa_exception_fp_denorm_src 0
		.amdhsa_exception_fp_ieee_div_zero 0
		.amdhsa_exception_fp_ieee_overflow 0
		.amdhsa_exception_fp_ieee_underflow 0
		.amdhsa_exception_fp_ieee_inexact 0
		.amdhsa_exception_int_div_zero 0
	.end_amdhsa_kernel
	.section	.text._ZN7rocprim17ROCPRIM_400000_NS6detail30init_device_scan_by_key_kernelINS1_19lookback_scan_stateINS0_5tupleIJfbEEELb1ELb1EEEN6thrust23THRUST_200600_302600_NS6detail15normal_iteratorINS8_10device_ptrIiEEEEjNS1_16block_id_wrapperIjLb0EEEEEvT_jjPNSG_10value_typeET0_PNSt15iterator_traitsISJ_E10value_typeEmT1_T2_,"axG",@progbits,_ZN7rocprim17ROCPRIM_400000_NS6detail30init_device_scan_by_key_kernelINS1_19lookback_scan_stateINS0_5tupleIJfbEEELb1ELb1EEEN6thrust23THRUST_200600_302600_NS6detail15normal_iteratorINS8_10device_ptrIiEEEEjNS1_16block_id_wrapperIjLb0EEEEEvT_jjPNSG_10value_typeET0_PNSt15iterator_traitsISJ_E10value_typeEmT1_T2_,comdat
.Lfunc_end1150:
	.size	_ZN7rocprim17ROCPRIM_400000_NS6detail30init_device_scan_by_key_kernelINS1_19lookback_scan_stateINS0_5tupleIJfbEEELb1ELb1EEEN6thrust23THRUST_200600_302600_NS6detail15normal_iteratorINS8_10device_ptrIiEEEEjNS1_16block_id_wrapperIjLb0EEEEEvT_jjPNSG_10value_typeET0_PNSt15iterator_traitsISJ_E10value_typeEmT1_T2_, .Lfunc_end1150-_ZN7rocprim17ROCPRIM_400000_NS6detail30init_device_scan_by_key_kernelINS1_19lookback_scan_stateINS0_5tupleIJfbEEELb1ELb1EEEN6thrust23THRUST_200600_302600_NS6detail15normal_iteratorINS8_10device_ptrIiEEEEjNS1_16block_id_wrapperIjLb0EEEEEvT_jjPNSG_10value_typeET0_PNSt15iterator_traitsISJ_E10value_typeEmT1_T2_
                                        ; -- End function
	.set _ZN7rocprim17ROCPRIM_400000_NS6detail30init_device_scan_by_key_kernelINS1_19lookback_scan_stateINS0_5tupleIJfbEEELb1ELb1EEEN6thrust23THRUST_200600_302600_NS6detail15normal_iteratorINS8_10device_ptrIiEEEEjNS1_16block_id_wrapperIjLb0EEEEEvT_jjPNSG_10value_typeET0_PNSt15iterator_traitsISJ_E10value_typeEmT1_T2_.num_vgpr, 10
	.set _ZN7rocprim17ROCPRIM_400000_NS6detail30init_device_scan_by_key_kernelINS1_19lookback_scan_stateINS0_5tupleIJfbEEELb1ELb1EEEN6thrust23THRUST_200600_302600_NS6detail15normal_iteratorINS8_10device_ptrIiEEEEjNS1_16block_id_wrapperIjLb0EEEEEvT_jjPNSG_10value_typeET0_PNSt15iterator_traitsISJ_E10value_typeEmT1_T2_.num_agpr, 0
	.set _ZN7rocprim17ROCPRIM_400000_NS6detail30init_device_scan_by_key_kernelINS1_19lookback_scan_stateINS0_5tupleIJfbEEELb1ELb1EEEN6thrust23THRUST_200600_302600_NS6detail15normal_iteratorINS8_10device_ptrIiEEEEjNS1_16block_id_wrapperIjLb0EEEEEvT_jjPNSG_10value_typeET0_PNSt15iterator_traitsISJ_E10value_typeEmT1_T2_.numbered_sgpr, 17
	.set _ZN7rocprim17ROCPRIM_400000_NS6detail30init_device_scan_by_key_kernelINS1_19lookback_scan_stateINS0_5tupleIJfbEEELb1ELb1EEEN6thrust23THRUST_200600_302600_NS6detail15normal_iteratorINS8_10device_ptrIiEEEEjNS1_16block_id_wrapperIjLb0EEEEEvT_jjPNSG_10value_typeET0_PNSt15iterator_traitsISJ_E10value_typeEmT1_T2_.num_named_barrier, 0
	.set _ZN7rocprim17ROCPRIM_400000_NS6detail30init_device_scan_by_key_kernelINS1_19lookback_scan_stateINS0_5tupleIJfbEEELb1ELb1EEEN6thrust23THRUST_200600_302600_NS6detail15normal_iteratorINS8_10device_ptrIiEEEEjNS1_16block_id_wrapperIjLb0EEEEEvT_jjPNSG_10value_typeET0_PNSt15iterator_traitsISJ_E10value_typeEmT1_T2_.private_seg_size, 0
	.set _ZN7rocprim17ROCPRIM_400000_NS6detail30init_device_scan_by_key_kernelINS1_19lookback_scan_stateINS0_5tupleIJfbEEELb1ELb1EEEN6thrust23THRUST_200600_302600_NS6detail15normal_iteratorINS8_10device_ptrIiEEEEjNS1_16block_id_wrapperIjLb0EEEEEvT_jjPNSG_10value_typeET0_PNSt15iterator_traitsISJ_E10value_typeEmT1_T2_.uses_vcc, 1
	.set _ZN7rocprim17ROCPRIM_400000_NS6detail30init_device_scan_by_key_kernelINS1_19lookback_scan_stateINS0_5tupleIJfbEEELb1ELb1EEEN6thrust23THRUST_200600_302600_NS6detail15normal_iteratorINS8_10device_ptrIiEEEEjNS1_16block_id_wrapperIjLb0EEEEEvT_jjPNSG_10value_typeET0_PNSt15iterator_traitsISJ_E10value_typeEmT1_T2_.uses_flat_scratch, 0
	.set _ZN7rocprim17ROCPRIM_400000_NS6detail30init_device_scan_by_key_kernelINS1_19lookback_scan_stateINS0_5tupleIJfbEEELb1ELb1EEEN6thrust23THRUST_200600_302600_NS6detail15normal_iteratorINS8_10device_ptrIiEEEEjNS1_16block_id_wrapperIjLb0EEEEEvT_jjPNSG_10value_typeET0_PNSt15iterator_traitsISJ_E10value_typeEmT1_T2_.has_dyn_sized_stack, 0
	.set _ZN7rocprim17ROCPRIM_400000_NS6detail30init_device_scan_by_key_kernelINS1_19lookback_scan_stateINS0_5tupleIJfbEEELb1ELb1EEEN6thrust23THRUST_200600_302600_NS6detail15normal_iteratorINS8_10device_ptrIiEEEEjNS1_16block_id_wrapperIjLb0EEEEEvT_jjPNSG_10value_typeET0_PNSt15iterator_traitsISJ_E10value_typeEmT1_T2_.has_recursion, 0
	.set _ZN7rocprim17ROCPRIM_400000_NS6detail30init_device_scan_by_key_kernelINS1_19lookback_scan_stateINS0_5tupleIJfbEEELb1ELb1EEEN6thrust23THRUST_200600_302600_NS6detail15normal_iteratorINS8_10device_ptrIiEEEEjNS1_16block_id_wrapperIjLb0EEEEEvT_jjPNSG_10value_typeET0_PNSt15iterator_traitsISJ_E10value_typeEmT1_T2_.has_indirect_call, 0
	.section	.AMDGPU.csdata,"",@progbits
; Kernel info:
; codeLenInByte = 632
; TotalNumSgprs: 19
; NumVgprs: 10
; ScratchSize: 0
; MemoryBound: 0
; FloatMode: 240
; IeeeMode: 1
; LDSByteSize: 0 bytes/workgroup (compile time only)
; SGPRBlocks: 0
; VGPRBlocks: 0
; NumSGPRsForWavesPerEU: 19
; NumVGPRsForWavesPerEU: 10
; NamedBarCnt: 0
; Occupancy: 16
; WaveLimiterHint : 0
; COMPUTE_PGM_RSRC2:SCRATCH_EN: 0
; COMPUTE_PGM_RSRC2:USER_SGPR: 2
; COMPUTE_PGM_RSRC2:TRAP_HANDLER: 0
; COMPUTE_PGM_RSRC2:TGID_X_EN: 1
; COMPUTE_PGM_RSRC2:TGID_Y_EN: 0
; COMPUTE_PGM_RSRC2:TGID_Z_EN: 0
; COMPUTE_PGM_RSRC2:TIDIG_COMP_CNT: 0
	.section	.text._ZN7rocprim17ROCPRIM_400000_NS6detail30init_device_scan_by_key_kernelINS1_19lookback_scan_stateINS0_5tupleIJfbEEELb1ELb1EEENS1_16block_id_wrapperIjLb0EEEEEvT_jjPNS9_10value_typeET0_,"axG",@progbits,_ZN7rocprim17ROCPRIM_400000_NS6detail30init_device_scan_by_key_kernelINS1_19lookback_scan_stateINS0_5tupleIJfbEEELb1ELb1EEENS1_16block_id_wrapperIjLb0EEEEEvT_jjPNS9_10value_typeET0_,comdat
	.protected	_ZN7rocprim17ROCPRIM_400000_NS6detail30init_device_scan_by_key_kernelINS1_19lookback_scan_stateINS0_5tupleIJfbEEELb1ELb1EEENS1_16block_id_wrapperIjLb0EEEEEvT_jjPNS9_10value_typeET0_ ; -- Begin function _ZN7rocprim17ROCPRIM_400000_NS6detail30init_device_scan_by_key_kernelINS1_19lookback_scan_stateINS0_5tupleIJfbEEELb1ELb1EEENS1_16block_id_wrapperIjLb0EEEEEvT_jjPNS9_10value_typeET0_
	.globl	_ZN7rocprim17ROCPRIM_400000_NS6detail30init_device_scan_by_key_kernelINS1_19lookback_scan_stateINS0_5tupleIJfbEEELb1ELb1EEENS1_16block_id_wrapperIjLb0EEEEEvT_jjPNS9_10value_typeET0_
	.p2align	8
	.type	_ZN7rocprim17ROCPRIM_400000_NS6detail30init_device_scan_by_key_kernelINS1_19lookback_scan_stateINS0_5tupleIJfbEEELb1ELb1EEENS1_16block_id_wrapperIjLb0EEEEEvT_jjPNS9_10value_typeET0_,@function
_ZN7rocprim17ROCPRIM_400000_NS6detail30init_device_scan_by_key_kernelINS1_19lookback_scan_stateINS0_5tupleIJfbEEELb1ELb1EEENS1_16block_id_wrapperIjLb0EEEEEvT_jjPNS9_10value_typeET0_: ; @_ZN7rocprim17ROCPRIM_400000_NS6detail30init_device_scan_by_key_kernelINS1_19lookback_scan_stateINS0_5tupleIJfbEEELb1ELb1EEENS1_16block_id_wrapperIjLb0EEEEEvT_jjPNS9_10value_typeET0_
; %bb.0:
	s_clause 0x2
	s_load_b32 s8, s[0:1], 0x2c
	s_load_b128 s[4:7], s[0:1], 0x0
	s_load_b64 s[2:3], s[0:1], 0x10
	s_wait_xcnt 0x0
	s_bfe_u32 s0, ttmp6, 0x4000c
	s_and_b32 s1, ttmp6, 15
	s_add_co_i32 s0, s0, 1
	s_getreg_b32 s9, hwreg(HW_REG_IB_STS2, 6, 4)
	s_mul_i32 s0, ttmp9, s0
	s_delay_alu instid0(SALU_CYCLE_1)
	s_add_co_i32 s1, s1, s0
	s_wait_kmcnt 0x0
	s_and_b32 s8, s8, 0xffff
	s_cmp_eq_u32 s9, 0
	s_cselect_b32 s0, ttmp9, s1
	s_cmp_eq_u64 s[2:3], 0
	v_mad_u32 v8, s0, s8, v0
	s_cbranch_scc1 .LBB1151_10
; %bb.1:
	s_cmp_lt_u32 s7, s6
	s_mov_b32 s10, exec_lo
	s_cselect_b32 s0, s7, 0
	s_delay_alu instid0(VALU_DEP_1) | instid1(SALU_CYCLE_1)
	v_cmpx_eq_u32_e64 s0, v8
	s_cbranch_execz .LBB1151_9
; %bb.2:
	s_add_co_i32 s0, s7, 32
	s_mov_b32 s1, 0
	v_mov_b32_e32 v5, 0
	s_lshl_b64 s[8:9], s[0:1], 4
	s_mov_b32 s0, exec_lo
	s_add_nc_u64 s[8:9], s[4:5], s[8:9]
	s_delay_alu instid0(SALU_CYCLE_1) | instskip(SKIP_2) | instid1(VALU_DEP_1)
	v_mov_b64_e32 v[0:1], s[8:9]
	;;#ASMSTART
	global_load_b128 v[0:3], v[0:1] off scope:SCOPE_DEV	
s_wait_loadcnt 0x0
	;;#ASMEND
	v_and_b32_e32 v4, 0xff, v2
	v_cmpx_eq_u64_e32 0, v[4:5]
	s_cbranch_execz .LBB1151_8
; %bb.3:
	v_mov_b64_e32 v[6:7], s[8:9]
	s_mov_b32 s7, 1
.LBB1151_4:                             ; =>This Loop Header: Depth=1
                                        ;     Child Loop BB1151_5 Depth 2
	s_delay_alu instid0(SALU_CYCLE_1)
	s_mov_b32 s8, s7
.LBB1151_5:                             ;   Parent Loop BB1151_4 Depth=1
                                        ; =>  This Inner Loop Header: Depth=2
	s_delay_alu instid0(SALU_CYCLE_1)
	s_add_co_i32 s8, s8, -1
	s_sleep 1
	s_cmp_eq_u32 s8, 0
	s_cbranch_scc0 .LBB1151_5
; %bb.6:                                ;   in Loop: Header=BB1151_4 Depth=1
	;;#ASMSTART
	global_load_b128 v[0:3], v[6:7] off scope:SCOPE_DEV	
s_wait_loadcnt 0x0
	;;#ASMEND
	v_and_b32_e32 v4, 0xff, v2
	s_cmp_lt_u32 s7, 32
	s_cselect_b32 s8, -1, 0
	s_delay_alu instid0(VALU_DEP_1) | instskip(SKIP_3) | instid1(SALU_CYCLE_1)
	v_cmp_ne_u64_e32 vcc_lo, 0, v[4:5]
	s_cmp_lg_u32 s8, 0
	s_add_co_ci_u32 s7, s7, 0
	s_or_b32 s1, vcc_lo, s1
	s_and_not1_b32 exec_lo, exec_lo, s1
	s_cbranch_execnz .LBB1151_4
; %bb.7:
	s_or_b32 exec_lo, exec_lo, s1
.LBB1151_8:
	s_delay_alu instid0(SALU_CYCLE_1)
	s_or_b32 exec_lo, exec_lo, s0
	v_mov_b32_e32 v2, 0
	s_clause 0x1
	global_store_b32 v2, v0, s[2:3]
	global_store_b8 v2, v1, s[2:3] offset:4
.LBB1151_9:
	s_wait_xcnt 0x0
	s_or_b32 exec_lo, exec_lo, s10
.LBB1151_10:
	s_delay_alu instid0(SALU_CYCLE_1) | instskip(NEXT) | instid1(VALU_DEP_1)
	s_mov_b32 s0, exec_lo
	v_cmpx_gt_u32_e64 s6, v8
	s_cbranch_execz .LBB1151_12
; %bb.11:
	v_dual_mov_b32 v0, 0 :: v_dual_add_nc_u32 v4, 32, v8
	s_delay_alu instid0(VALU_DEP_1)
	v_dual_mov_b32 v1, v0 :: v_dual_mov_b32 v2, v0
	v_mov_b32_e32 v3, v0
	global_store_b128 v4, v[0:3], s[4:5] scale_offset
.LBB1151_12:
	s_wait_xcnt 0x0
	s_or_b32 exec_lo, exec_lo, s0
	s_delay_alu instid0(SALU_CYCLE_1)
	s_mov_b32 s0, exec_lo
	v_cmpx_gt_u32_e32 32, v8
	s_cbranch_execz .LBB1151_14
; %bb.13:
	v_mov_b32_e32 v0, 0
	s_delay_alu instid0(VALU_DEP_1)
	v_dual_mov_b32 v2, 0xff :: v_dual_mov_b32 v1, v0
	v_mov_b32_e32 v3, v0
	global_store_b128 v8, v[0:3], s[4:5] scale_offset
.LBB1151_14:
	s_endpgm
	.section	.rodata,"a",@progbits
	.p2align	6, 0x0
	.amdhsa_kernel _ZN7rocprim17ROCPRIM_400000_NS6detail30init_device_scan_by_key_kernelINS1_19lookback_scan_stateINS0_5tupleIJfbEEELb1ELb1EEENS1_16block_id_wrapperIjLb0EEEEEvT_jjPNS9_10value_typeET0_
		.amdhsa_group_segment_fixed_size 0
		.amdhsa_private_segment_fixed_size 0
		.amdhsa_kernarg_size 288
		.amdhsa_user_sgpr_count 2
		.amdhsa_user_sgpr_dispatch_ptr 0
		.amdhsa_user_sgpr_queue_ptr 0
		.amdhsa_user_sgpr_kernarg_segment_ptr 1
		.amdhsa_user_sgpr_dispatch_id 0
		.amdhsa_user_sgpr_kernarg_preload_length 0
		.amdhsa_user_sgpr_kernarg_preload_offset 0
		.amdhsa_user_sgpr_private_segment_size 0
		.amdhsa_wavefront_size32 1
		.amdhsa_uses_dynamic_stack 0
		.amdhsa_enable_private_segment 0
		.amdhsa_system_sgpr_workgroup_id_x 1
		.amdhsa_system_sgpr_workgroup_id_y 0
		.amdhsa_system_sgpr_workgroup_id_z 0
		.amdhsa_system_sgpr_workgroup_info 0
		.amdhsa_system_vgpr_workitem_id 0
		.amdhsa_next_free_vgpr 9
		.amdhsa_next_free_sgpr 11
		.amdhsa_named_barrier_count 0
		.amdhsa_reserve_vcc 1
		.amdhsa_float_round_mode_32 0
		.amdhsa_float_round_mode_16_64 0
		.amdhsa_float_denorm_mode_32 3
		.amdhsa_float_denorm_mode_16_64 3
		.amdhsa_fp16_overflow 0
		.amdhsa_memory_ordered 1
		.amdhsa_forward_progress 1
		.amdhsa_inst_pref_size 4
		.amdhsa_round_robin_scheduling 0
		.amdhsa_exception_fp_ieee_invalid_op 0
		.amdhsa_exception_fp_denorm_src 0
		.amdhsa_exception_fp_ieee_div_zero 0
		.amdhsa_exception_fp_ieee_overflow 0
		.amdhsa_exception_fp_ieee_underflow 0
		.amdhsa_exception_fp_ieee_inexact 0
		.amdhsa_exception_int_div_zero 0
	.end_amdhsa_kernel
	.section	.text._ZN7rocprim17ROCPRIM_400000_NS6detail30init_device_scan_by_key_kernelINS1_19lookback_scan_stateINS0_5tupleIJfbEEELb1ELb1EEENS1_16block_id_wrapperIjLb0EEEEEvT_jjPNS9_10value_typeET0_,"axG",@progbits,_ZN7rocprim17ROCPRIM_400000_NS6detail30init_device_scan_by_key_kernelINS1_19lookback_scan_stateINS0_5tupleIJfbEEELb1ELb1EEENS1_16block_id_wrapperIjLb0EEEEEvT_jjPNS9_10value_typeET0_,comdat
.Lfunc_end1151:
	.size	_ZN7rocprim17ROCPRIM_400000_NS6detail30init_device_scan_by_key_kernelINS1_19lookback_scan_stateINS0_5tupleIJfbEEELb1ELb1EEENS1_16block_id_wrapperIjLb0EEEEEvT_jjPNS9_10value_typeET0_, .Lfunc_end1151-_ZN7rocprim17ROCPRIM_400000_NS6detail30init_device_scan_by_key_kernelINS1_19lookback_scan_stateINS0_5tupleIJfbEEELb1ELb1EEENS1_16block_id_wrapperIjLb0EEEEEvT_jjPNS9_10value_typeET0_
                                        ; -- End function
	.set _ZN7rocprim17ROCPRIM_400000_NS6detail30init_device_scan_by_key_kernelINS1_19lookback_scan_stateINS0_5tupleIJfbEEELb1ELb1EEENS1_16block_id_wrapperIjLb0EEEEEvT_jjPNS9_10value_typeET0_.num_vgpr, 9
	.set _ZN7rocprim17ROCPRIM_400000_NS6detail30init_device_scan_by_key_kernelINS1_19lookback_scan_stateINS0_5tupleIJfbEEELb1ELb1EEENS1_16block_id_wrapperIjLb0EEEEEvT_jjPNS9_10value_typeET0_.num_agpr, 0
	.set _ZN7rocprim17ROCPRIM_400000_NS6detail30init_device_scan_by_key_kernelINS1_19lookback_scan_stateINS0_5tupleIJfbEEELb1ELb1EEENS1_16block_id_wrapperIjLb0EEEEEvT_jjPNS9_10value_typeET0_.numbered_sgpr, 11
	.set _ZN7rocprim17ROCPRIM_400000_NS6detail30init_device_scan_by_key_kernelINS1_19lookback_scan_stateINS0_5tupleIJfbEEELb1ELb1EEENS1_16block_id_wrapperIjLb0EEEEEvT_jjPNS9_10value_typeET0_.num_named_barrier, 0
	.set _ZN7rocprim17ROCPRIM_400000_NS6detail30init_device_scan_by_key_kernelINS1_19lookback_scan_stateINS0_5tupleIJfbEEELb1ELb1EEENS1_16block_id_wrapperIjLb0EEEEEvT_jjPNS9_10value_typeET0_.private_seg_size, 0
	.set _ZN7rocprim17ROCPRIM_400000_NS6detail30init_device_scan_by_key_kernelINS1_19lookback_scan_stateINS0_5tupleIJfbEEELb1ELb1EEENS1_16block_id_wrapperIjLb0EEEEEvT_jjPNS9_10value_typeET0_.uses_vcc, 1
	.set _ZN7rocprim17ROCPRIM_400000_NS6detail30init_device_scan_by_key_kernelINS1_19lookback_scan_stateINS0_5tupleIJfbEEELb1ELb1EEENS1_16block_id_wrapperIjLb0EEEEEvT_jjPNS9_10value_typeET0_.uses_flat_scratch, 0
	.set _ZN7rocprim17ROCPRIM_400000_NS6detail30init_device_scan_by_key_kernelINS1_19lookback_scan_stateINS0_5tupleIJfbEEELb1ELb1EEENS1_16block_id_wrapperIjLb0EEEEEvT_jjPNS9_10value_typeET0_.has_dyn_sized_stack, 0
	.set _ZN7rocprim17ROCPRIM_400000_NS6detail30init_device_scan_by_key_kernelINS1_19lookback_scan_stateINS0_5tupleIJfbEEELb1ELb1EEENS1_16block_id_wrapperIjLb0EEEEEvT_jjPNS9_10value_typeET0_.has_recursion, 0
	.set _ZN7rocprim17ROCPRIM_400000_NS6detail30init_device_scan_by_key_kernelINS1_19lookback_scan_stateINS0_5tupleIJfbEEELb1ELb1EEENS1_16block_id_wrapperIjLb0EEEEEvT_jjPNS9_10value_typeET0_.has_indirect_call, 0
	.section	.AMDGPU.csdata,"",@progbits
; Kernel info:
; codeLenInByte = 432
; TotalNumSgprs: 13
; NumVgprs: 9
; ScratchSize: 0
; MemoryBound: 0
; FloatMode: 240
; IeeeMode: 1
; LDSByteSize: 0 bytes/workgroup (compile time only)
; SGPRBlocks: 0
; VGPRBlocks: 0
; NumSGPRsForWavesPerEU: 13
; NumVGPRsForWavesPerEU: 9
; NamedBarCnt: 0
; Occupancy: 16
; WaveLimiterHint : 0
; COMPUTE_PGM_RSRC2:SCRATCH_EN: 0
; COMPUTE_PGM_RSRC2:USER_SGPR: 2
; COMPUTE_PGM_RSRC2:TRAP_HANDLER: 0
; COMPUTE_PGM_RSRC2:TGID_X_EN: 1
; COMPUTE_PGM_RSRC2:TGID_Y_EN: 0
; COMPUTE_PGM_RSRC2:TGID_Z_EN: 0
; COMPUTE_PGM_RSRC2:TIDIG_COMP_CNT: 0
	.section	.text._ZN7rocprim17ROCPRIM_400000_NS6detail17trampoline_kernelINS0_14default_configENS1_27scan_by_key_config_selectorIifEEZZNS1_16scan_by_key_implILNS1_25lookback_scan_determinismE0ELb0ES3_N6thrust23THRUST_200600_302600_NS6detail15normal_iteratorINS9_10device_ptrIiEEEENSB_INSC_IfEEEESG_fNS9_4plusIvEENS9_8equal_toIvEEfEE10hipError_tPvRmT2_T3_T4_T5_mT6_T7_P12ihipStream_tbENKUlT_T0_E_clISt17integral_constantIbLb1EES10_IbLb0EEEEDaSW_SX_EUlSW_E_NS1_11comp_targetILNS1_3genE0ELNS1_11target_archE4294967295ELNS1_3gpuE0ELNS1_3repE0EEENS1_30default_config_static_selectorELNS0_4arch9wavefront6targetE0EEEvT1_,"axG",@progbits,_ZN7rocprim17ROCPRIM_400000_NS6detail17trampoline_kernelINS0_14default_configENS1_27scan_by_key_config_selectorIifEEZZNS1_16scan_by_key_implILNS1_25lookback_scan_determinismE0ELb0ES3_N6thrust23THRUST_200600_302600_NS6detail15normal_iteratorINS9_10device_ptrIiEEEENSB_INSC_IfEEEESG_fNS9_4plusIvEENS9_8equal_toIvEEfEE10hipError_tPvRmT2_T3_T4_T5_mT6_T7_P12ihipStream_tbENKUlT_T0_E_clISt17integral_constantIbLb1EES10_IbLb0EEEEDaSW_SX_EUlSW_E_NS1_11comp_targetILNS1_3genE0ELNS1_11target_archE4294967295ELNS1_3gpuE0ELNS1_3repE0EEENS1_30default_config_static_selectorELNS0_4arch9wavefront6targetE0EEEvT1_,comdat
	.protected	_ZN7rocprim17ROCPRIM_400000_NS6detail17trampoline_kernelINS0_14default_configENS1_27scan_by_key_config_selectorIifEEZZNS1_16scan_by_key_implILNS1_25lookback_scan_determinismE0ELb0ES3_N6thrust23THRUST_200600_302600_NS6detail15normal_iteratorINS9_10device_ptrIiEEEENSB_INSC_IfEEEESG_fNS9_4plusIvEENS9_8equal_toIvEEfEE10hipError_tPvRmT2_T3_T4_T5_mT6_T7_P12ihipStream_tbENKUlT_T0_E_clISt17integral_constantIbLb1EES10_IbLb0EEEEDaSW_SX_EUlSW_E_NS1_11comp_targetILNS1_3genE0ELNS1_11target_archE4294967295ELNS1_3gpuE0ELNS1_3repE0EEENS1_30default_config_static_selectorELNS0_4arch9wavefront6targetE0EEEvT1_ ; -- Begin function _ZN7rocprim17ROCPRIM_400000_NS6detail17trampoline_kernelINS0_14default_configENS1_27scan_by_key_config_selectorIifEEZZNS1_16scan_by_key_implILNS1_25lookback_scan_determinismE0ELb0ES3_N6thrust23THRUST_200600_302600_NS6detail15normal_iteratorINS9_10device_ptrIiEEEENSB_INSC_IfEEEESG_fNS9_4plusIvEENS9_8equal_toIvEEfEE10hipError_tPvRmT2_T3_T4_T5_mT6_T7_P12ihipStream_tbENKUlT_T0_E_clISt17integral_constantIbLb1EES10_IbLb0EEEEDaSW_SX_EUlSW_E_NS1_11comp_targetILNS1_3genE0ELNS1_11target_archE4294967295ELNS1_3gpuE0ELNS1_3repE0EEENS1_30default_config_static_selectorELNS0_4arch9wavefront6targetE0EEEvT1_
	.globl	_ZN7rocprim17ROCPRIM_400000_NS6detail17trampoline_kernelINS0_14default_configENS1_27scan_by_key_config_selectorIifEEZZNS1_16scan_by_key_implILNS1_25lookback_scan_determinismE0ELb0ES3_N6thrust23THRUST_200600_302600_NS6detail15normal_iteratorINS9_10device_ptrIiEEEENSB_INSC_IfEEEESG_fNS9_4plusIvEENS9_8equal_toIvEEfEE10hipError_tPvRmT2_T3_T4_T5_mT6_T7_P12ihipStream_tbENKUlT_T0_E_clISt17integral_constantIbLb1EES10_IbLb0EEEEDaSW_SX_EUlSW_E_NS1_11comp_targetILNS1_3genE0ELNS1_11target_archE4294967295ELNS1_3gpuE0ELNS1_3repE0EEENS1_30default_config_static_selectorELNS0_4arch9wavefront6targetE0EEEvT1_
	.p2align	8
	.type	_ZN7rocprim17ROCPRIM_400000_NS6detail17trampoline_kernelINS0_14default_configENS1_27scan_by_key_config_selectorIifEEZZNS1_16scan_by_key_implILNS1_25lookback_scan_determinismE0ELb0ES3_N6thrust23THRUST_200600_302600_NS6detail15normal_iteratorINS9_10device_ptrIiEEEENSB_INSC_IfEEEESG_fNS9_4plusIvEENS9_8equal_toIvEEfEE10hipError_tPvRmT2_T3_T4_T5_mT6_T7_P12ihipStream_tbENKUlT_T0_E_clISt17integral_constantIbLb1EES10_IbLb0EEEEDaSW_SX_EUlSW_E_NS1_11comp_targetILNS1_3genE0ELNS1_11target_archE4294967295ELNS1_3gpuE0ELNS1_3repE0EEENS1_30default_config_static_selectorELNS0_4arch9wavefront6targetE0EEEvT1_,@function
_ZN7rocprim17ROCPRIM_400000_NS6detail17trampoline_kernelINS0_14default_configENS1_27scan_by_key_config_selectorIifEEZZNS1_16scan_by_key_implILNS1_25lookback_scan_determinismE0ELb0ES3_N6thrust23THRUST_200600_302600_NS6detail15normal_iteratorINS9_10device_ptrIiEEEENSB_INSC_IfEEEESG_fNS9_4plusIvEENS9_8equal_toIvEEfEE10hipError_tPvRmT2_T3_T4_T5_mT6_T7_P12ihipStream_tbENKUlT_T0_E_clISt17integral_constantIbLb1EES10_IbLb0EEEEDaSW_SX_EUlSW_E_NS1_11comp_targetILNS1_3genE0ELNS1_11target_archE4294967295ELNS1_3gpuE0ELNS1_3repE0EEENS1_30default_config_static_selectorELNS0_4arch9wavefront6targetE0EEEvT1_: ; @_ZN7rocprim17ROCPRIM_400000_NS6detail17trampoline_kernelINS0_14default_configENS1_27scan_by_key_config_selectorIifEEZZNS1_16scan_by_key_implILNS1_25lookback_scan_determinismE0ELb0ES3_N6thrust23THRUST_200600_302600_NS6detail15normal_iteratorINS9_10device_ptrIiEEEENSB_INSC_IfEEEESG_fNS9_4plusIvEENS9_8equal_toIvEEfEE10hipError_tPvRmT2_T3_T4_T5_mT6_T7_P12ihipStream_tbENKUlT_T0_E_clISt17integral_constantIbLb1EES10_IbLb0EEEEDaSW_SX_EUlSW_E_NS1_11comp_targetILNS1_3genE0ELNS1_11target_archE4294967295ELNS1_3gpuE0ELNS1_3repE0EEENS1_30default_config_static_selectorELNS0_4arch9wavefront6targetE0EEEvT1_
; %bb.0:
	s_endpgm
	.section	.rodata,"a",@progbits
	.p2align	6, 0x0
	.amdhsa_kernel _ZN7rocprim17ROCPRIM_400000_NS6detail17trampoline_kernelINS0_14default_configENS1_27scan_by_key_config_selectorIifEEZZNS1_16scan_by_key_implILNS1_25lookback_scan_determinismE0ELb0ES3_N6thrust23THRUST_200600_302600_NS6detail15normal_iteratorINS9_10device_ptrIiEEEENSB_INSC_IfEEEESG_fNS9_4plusIvEENS9_8equal_toIvEEfEE10hipError_tPvRmT2_T3_T4_T5_mT6_T7_P12ihipStream_tbENKUlT_T0_E_clISt17integral_constantIbLb1EES10_IbLb0EEEEDaSW_SX_EUlSW_E_NS1_11comp_targetILNS1_3genE0ELNS1_11target_archE4294967295ELNS1_3gpuE0ELNS1_3repE0EEENS1_30default_config_static_selectorELNS0_4arch9wavefront6targetE0EEEvT1_
		.amdhsa_group_segment_fixed_size 0
		.amdhsa_private_segment_fixed_size 0
		.amdhsa_kernarg_size 112
		.amdhsa_user_sgpr_count 2
		.amdhsa_user_sgpr_dispatch_ptr 0
		.amdhsa_user_sgpr_queue_ptr 0
		.amdhsa_user_sgpr_kernarg_segment_ptr 1
		.amdhsa_user_sgpr_dispatch_id 0
		.amdhsa_user_sgpr_kernarg_preload_length 0
		.amdhsa_user_sgpr_kernarg_preload_offset 0
		.amdhsa_user_sgpr_private_segment_size 0
		.amdhsa_wavefront_size32 1
		.amdhsa_uses_dynamic_stack 0
		.amdhsa_enable_private_segment 0
		.amdhsa_system_sgpr_workgroup_id_x 1
		.amdhsa_system_sgpr_workgroup_id_y 0
		.amdhsa_system_sgpr_workgroup_id_z 0
		.amdhsa_system_sgpr_workgroup_info 0
		.amdhsa_system_vgpr_workitem_id 0
		.amdhsa_next_free_vgpr 1
		.amdhsa_next_free_sgpr 1
		.amdhsa_named_barrier_count 0
		.amdhsa_reserve_vcc 0
		.amdhsa_float_round_mode_32 0
		.amdhsa_float_round_mode_16_64 0
		.amdhsa_float_denorm_mode_32 3
		.amdhsa_float_denorm_mode_16_64 3
		.amdhsa_fp16_overflow 0
		.amdhsa_memory_ordered 1
		.amdhsa_forward_progress 1
		.amdhsa_inst_pref_size 1
		.amdhsa_round_robin_scheduling 0
		.amdhsa_exception_fp_ieee_invalid_op 0
		.amdhsa_exception_fp_denorm_src 0
		.amdhsa_exception_fp_ieee_div_zero 0
		.amdhsa_exception_fp_ieee_overflow 0
		.amdhsa_exception_fp_ieee_underflow 0
		.amdhsa_exception_fp_ieee_inexact 0
		.amdhsa_exception_int_div_zero 0
	.end_amdhsa_kernel
	.section	.text._ZN7rocprim17ROCPRIM_400000_NS6detail17trampoline_kernelINS0_14default_configENS1_27scan_by_key_config_selectorIifEEZZNS1_16scan_by_key_implILNS1_25lookback_scan_determinismE0ELb0ES3_N6thrust23THRUST_200600_302600_NS6detail15normal_iteratorINS9_10device_ptrIiEEEENSB_INSC_IfEEEESG_fNS9_4plusIvEENS9_8equal_toIvEEfEE10hipError_tPvRmT2_T3_T4_T5_mT6_T7_P12ihipStream_tbENKUlT_T0_E_clISt17integral_constantIbLb1EES10_IbLb0EEEEDaSW_SX_EUlSW_E_NS1_11comp_targetILNS1_3genE0ELNS1_11target_archE4294967295ELNS1_3gpuE0ELNS1_3repE0EEENS1_30default_config_static_selectorELNS0_4arch9wavefront6targetE0EEEvT1_,"axG",@progbits,_ZN7rocprim17ROCPRIM_400000_NS6detail17trampoline_kernelINS0_14default_configENS1_27scan_by_key_config_selectorIifEEZZNS1_16scan_by_key_implILNS1_25lookback_scan_determinismE0ELb0ES3_N6thrust23THRUST_200600_302600_NS6detail15normal_iteratorINS9_10device_ptrIiEEEENSB_INSC_IfEEEESG_fNS9_4plusIvEENS9_8equal_toIvEEfEE10hipError_tPvRmT2_T3_T4_T5_mT6_T7_P12ihipStream_tbENKUlT_T0_E_clISt17integral_constantIbLb1EES10_IbLb0EEEEDaSW_SX_EUlSW_E_NS1_11comp_targetILNS1_3genE0ELNS1_11target_archE4294967295ELNS1_3gpuE0ELNS1_3repE0EEENS1_30default_config_static_selectorELNS0_4arch9wavefront6targetE0EEEvT1_,comdat
.Lfunc_end1152:
	.size	_ZN7rocprim17ROCPRIM_400000_NS6detail17trampoline_kernelINS0_14default_configENS1_27scan_by_key_config_selectorIifEEZZNS1_16scan_by_key_implILNS1_25lookback_scan_determinismE0ELb0ES3_N6thrust23THRUST_200600_302600_NS6detail15normal_iteratorINS9_10device_ptrIiEEEENSB_INSC_IfEEEESG_fNS9_4plusIvEENS9_8equal_toIvEEfEE10hipError_tPvRmT2_T3_T4_T5_mT6_T7_P12ihipStream_tbENKUlT_T0_E_clISt17integral_constantIbLb1EES10_IbLb0EEEEDaSW_SX_EUlSW_E_NS1_11comp_targetILNS1_3genE0ELNS1_11target_archE4294967295ELNS1_3gpuE0ELNS1_3repE0EEENS1_30default_config_static_selectorELNS0_4arch9wavefront6targetE0EEEvT1_, .Lfunc_end1152-_ZN7rocprim17ROCPRIM_400000_NS6detail17trampoline_kernelINS0_14default_configENS1_27scan_by_key_config_selectorIifEEZZNS1_16scan_by_key_implILNS1_25lookback_scan_determinismE0ELb0ES3_N6thrust23THRUST_200600_302600_NS6detail15normal_iteratorINS9_10device_ptrIiEEEENSB_INSC_IfEEEESG_fNS9_4plusIvEENS9_8equal_toIvEEfEE10hipError_tPvRmT2_T3_T4_T5_mT6_T7_P12ihipStream_tbENKUlT_T0_E_clISt17integral_constantIbLb1EES10_IbLb0EEEEDaSW_SX_EUlSW_E_NS1_11comp_targetILNS1_3genE0ELNS1_11target_archE4294967295ELNS1_3gpuE0ELNS1_3repE0EEENS1_30default_config_static_selectorELNS0_4arch9wavefront6targetE0EEEvT1_
                                        ; -- End function
	.set _ZN7rocprim17ROCPRIM_400000_NS6detail17trampoline_kernelINS0_14default_configENS1_27scan_by_key_config_selectorIifEEZZNS1_16scan_by_key_implILNS1_25lookback_scan_determinismE0ELb0ES3_N6thrust23THRUST_200600_302600_NS6detail15normal_iteratorINS9_10device_ptrIiEEEENSB_INSC_IfEEEESG_fNS9_4plusIvEENS9_8equal_toIvEEfEE10hipError_tPvRmT2_T3_T4_T5_mT6_T7_P12ihipStream_tbENKUlT_T0_E_clISt17integral_constantIbLb1EES10_IbLb0EEEEDaSW_SX_EUlSW_E_NS1_11comp_targetILNS1_3genE0ELNS1_11target_archE4294967295ELNS1_3gpuE0ELNS1_3repE0EEENS1_30default_config_static_selectorELNS0_4arch9wavefront6targetE0EEEvT1_.num_vgpr, 0
	.set _ZN7rocprim17ROCPRIM_400000_NS6detail17trampoline_kernelINS0_14default_configENS1_27scan_by_key_config_selectorIifEEZZNS1_16scan_by_key_implILNS1_25lookback_scan_determinismE0ELb0ES3_N6thrust23THRUST_200600_302600_NS6detail15normal_iteratorINS9_10device_ptrIiEEEENSB_INSC_IfEEEESG_fNS9_4plusIvEENS9_8equal_toIvEEfEE10hipError_tPvRmT2_T3_T4_T5_mT6_T7_P12ihipStream_tbENKUlT_T0_E_clISt17integral_constantIbLb1EES10_IbLb0EEEEDaSW_SX_EUlSW_E_NS1_11comp_targetILNS1_3genE0ELNS1_11target_archE4294967295ELNS1_3gpuE0ELNS1_3repE0EEENS1_30default_config_static_selectorELNS0_4arch9wavefront6targetE0EEEvT1_.num_agpr, 0
	.set _ZN7rocprim17ROCPRIM_400000_NS6detail17trampoline_kernelINS0_14default_configENS1_27scan_by_key_config_selectorIifEEZZNS1_16scan_by_key_implILNS1_25lookback_scan_determinismE0ELb0ES3_N6thrust23THRUST_200600_302600_NS6detail15normal_iteratorINS9_10device_ptrIiEEEENSB_INSC_IfEEEESG_fNS9_4plusIvEENS9_8equal_toIvEEfEE10hipError_tPvRmT2_T3_T4_T5_mT6_T7_P12ihipStream_tbENKUlT_T0_E_clISt17integral_constantIbLb1EES10_IbLb0EEEEDaSW_SX_EUlSW_E_NS1_11comp_targetILNS1_3genE0ELNS1_11target_archE4294967295ELNS1_3gpuE0ELNS1_3repE0EEENS1_30default_config_static_selectorELNS0_4arch9wavefront6targetE0EEEvT1_.numbered_sgpr, 0
	.set _ZN7rocprim17ROCPRIM_400000_NS6detail17trampoline_kernelINS0_14default_configENS1_27scan_by_key_config_selectorIifEEZZNS1_16scan_by_key_implILNS1_25lookback_scan_determinismE0ELb0ES3_N6thrust23THRUST_200600_302600_NS6detail15normal_iteratorINS9_10device_ptrIiEEEENSB_INSC_IfEEEESG_fNS9_4plusIvEENS9_8equal_toIvEEfEE10hipError_tPvRmT2_T3_T4_T5_mT6_T7_P12ihipStream_tbENKUlT_T0_E_clISt17integral_constantIbLb1EES10_IbLb0EEEEDaSW_SX_EUlSW_E_NS1_11comp_targetILNS1_3genE0ELNS1_11target_archE4294967295ELNS1_3gpuE0ELNS1_3repE0EEENS1_30default_config_static_selectorELNS0_4arch9wavefront6targetE0EEEvT1_.num_named_barrier, 0
	.set _ZN7rocprim17ROCPRIM_400000_NS6detail17trampoline_kernelINS0_14default_configENS1_27scan_by_key_config_selectorIifEEZZNS1_16scan_by_key_implILNS1_25lookback_scan_determinismE0ELb0ES3_N6thrust23THRUST_200600_302600_NS6detail15normal_iteratorINS9_10device_ptrIiEEEENSB_INSC_IfEEEESG_fNS9_4plusIvEENS9_8equal_toIvEEfEE10hipError_tPvRmT2_T3_T4_T5_mT6_T7_P12ihipStream_tbENKUlT_T0_E_clISt17integral_constantIbLb1EES10_IbLb0EEEEDaSW_SX_EUlSW_E_NS1_11comp_targetILNS1_3genE0ELNS1_11target_archE4294967295ELNS1_3gpuE0ELNS1_3repE0EEENS1_30default_config_static_selectorELNS0_4arch9wavefront6targetE0EEEvT1_.private_seg_size, 0
	.set _ZN7rocprim17ROCPRIM_400000_NS6detail17trampoline_kernelINS0_14default_configENS1_27scan_by_key_config_selectorIifEEZZNS1_16scan_by_key_implILNS1_25lookback_scan_determinismE0ELb0ES3_N6thrust23THRUST_200600_302600_NS6detail15normal_iteratorINS9_10device_ptrIiEEEENSB_INSC_IfEEEESG_fNS9_4plusIvEENS9_8equal_toIvEEfEE10hipError_tPvRmT2_T3_T4_T5_mT6_T7_P12ihipStream_tbENKUlT_T0_E_clISt17integral_constantIbLb1EES10_IbLb0EEEEDaSW_SX_EUlSW_E_NS1_11comp_targetILNS1_3genE0ELNS1_11target_archE4294967295ELNS1_3gpuE0ELNS1_3repE0EEENS1_30default_config_static_selectorELNS0_4arch9wavefront6targetE0EEEvT1_.uses_vcc, 0
	.set _ZN7rocprim17ROCPRIM_400000_NS6detail17trampoline_kernelINS0_14default_configENS1_27scan_by_key_config_selectorIifEEZZNS1_16scan_by_key_implILNS1_25lookback_scan_determinismE0ELb0ES3_N6thrust23THRUST_200600_302600_NS6detail15normal_iteratorINS9_10device_ptrIiEEEENSB_INSC_IfEEEESG_fNS9_4plusIvEENS9_8equal_toIvEEfEE10hipError_tPvRmT2_T3_T4_T5_mT6_T7_P12ihipStream_tbENKUlT_T0_E_clISt17integral_constantIbLb1EES10_IbLb0EEEEDaSW_SX_EUlSW_E_NS1_11comp_targetILNS1_3genE0ELNS1_11target_archE4294967295ELNS1_3gpuE0ELNS1_3repE0EEENS1_30default_config_static_selectorELNS0_4arch9wavefront6targetE0EEEvT1_.uses_flat_scratch, 0
	.set _ZN7rocprim17ROCPRIM_400000_NS6detail17trampoline_kernelINS0_14default_configENS1_27scan_by_key_config_selectorIifEEZZNS1_16scan_by_key_implILNS1_25lookback_scan_determinismE0ELb0ES3_N6thrust23THRUST_200600_302600_NS6detail15normal_iteratorINS9_10device_ptrIiEEEENSB_INSC_IfEEEESG_fNS9_4plusIvEENS9_8equal_toIvEEfEE10hipError_tPvRmT2_T3_T4_T5_mT6_T7_P12ihipStream_tbENKUlT_T0_E_clISt17integral_constantIbLb1EES10_IbLb0EEEEDaSW_SX_EUlSW_E_NS1_11comp_targetILNS1_3genE0ELNS1_11target_archE4294967295ELNS1_3gpuE0ELNS1_3repE0EEENS1_30default_config_static_selectorELNS0_4arch9wavefront6targetE0EEEvT1_.has_dyn_sized_stack, 0
	.set _ZN7rocprim17ROCPRIM_400000_NS6detail17trampoline_kernelINS0_14default_configENS1_27scan_by_key_config_selectorIifEEZZNS1_16scan_by_key_implILNS1_25lookback_scan_determinismE0ELb0ES3_N6thrust23THRUST_200600_302600_NS6detail15normal_iteratorINS9_10device_ptrIiEEEENSB_INSC_IfEEEESG_fNS9_4plusIvEENS9_8equal_toIvEEfEE10hipError_tPvRmT2_T3_T4_T5_mT6_T7_P12ihipStream_tbENKUlT_T0_E_clISt17integral_constantIbLb1EES10_IbLb0EEEEDaSW_SX_EUlSW_E_NS1_11comp_targetILNS1_3genE0ELNS1_11target_archE4294967295ELNS1_3gpuE0ELNS1_3repE0EEENS1_30default_config_static_selectorELNS0_4arch9wavefront6targetE0EEEvT1_.has_recursion, 0
	.set _ZN7rocprim17ROCPRIM_400000_NS6detail17trampoline_kernelINS0_14default_configENS1_27scan_by_key_config_selectorIifEEZZNS1_16scan_by_key_implILNS1_25lookback_scan_determinismE0ELb0ES3_N6thrust23THRUST_200600_302600_NS6detail15normal_iteratorINS9_10device_ptrIiEEEENSB_INSC_IfEEEESG_fNS9_4plusIvEENS9_8equal_toIvEEfEE10hipError_tPvRmT2_T3_T4_T5_mT6_T7_P12ihipStream_tbENKUlT_T0_E_clISt17integral_constantIbLb1EES10_IbLb0EEEEDaSW_SX_EUlSW_E_NS1_11comp_targetILNS1_3genE0ELNS1_11target_archE4294967295ELNS1_3gpuE0ELNS1_3repE0EEENS1_30default_config_static_selectorELNS0_4arch9wavefront6targetE0EEEvT1_.has_indirect_call, 0
	.section	.AMDGPU.csdata,"",@progbits
; Kernel info:
; codeLenInByte = 4
; TotalNumSgprs: 0
; NumVgprs: 0
; ScratchSize: 0
; MemoryBound: 0
; FloatMode: 240
; IeeeMode: 1
; LDSByteSize: 0 bytes/workgroup (compile time only)
; SGPRBlocks: 0
; VGPRBlocks: 0
; NumSGPRsForWavesPerEU: 1
; NumVGPRsForWavesPerEU: 1
; NamedBarCnt: 0
; Occupancy: 16
; WaveLimiterHint : 0
; COMPUTE_PGM_RSRC2:SCRATCH_EN: 0
; COMPUTE_PGM_RSRC2:USER_SGPR: 2
; COMPUTE_PGM_RSRC2:TRAP_HANDLER: 0
; COMPUTE_PGM_RSRC2:TGID_X_EN: 1
; COMPUTE_PGM_RSRC2:TGID_Y_EN: 0
; COMPUTE_PGM_RSRC2:TGID_Z_EN: 0
; COMPUTE_PGM_RSRC2:TIDIG_COMP_CNT: 0
	.section	.text._ZN7rocprim17ROCPRIM_400000_NS6detail17trampoline_kernelINS0_14default_configENS1_27scan_by_key_config_selectorIifEEZZNS1_16scan_by_key_implILNS1_25lookback_scan_determinismE0ELb0ES3_N6thrust23THRUST_200600_302600_NS6detail15normal_iteratorINS9_10device_ptrIiEEEENSB_INSC_IfEEEESG_fNS9_4plusIvEENS9_8equal_toIvEEfEE10hipError_tPvRmT2_T3_T4_T5_mT6_T7_P12ihipStream_tbENKUlT_T0_E_clISt17integral_constantIbLb1EES10_IbLb0EEEEDaSW_SX_EUlSW_E_NS1_11comp_targetILNS1_3genE10ELNS1_11target_archE1201ELNS1_3gpuE5ELNS1_3repE0EEENS1_30default_config_static_selectorELNS0_4arch9wavefront6targetE0EEEvT1_,"axG",@progbits,_ZN7rocprim17ROCPRIM_400000_NS6detail17trampoline_kernelINS0_14default_configENS1_27scan_by_key_config_selectorIifEEZZNS1_16scan_by_key_implILNS1_25lookback_scan_determinismE0ELb0ES3_N6thrust23THRUST_200600_302600_NS6detail15normal_iteratorINS9_10device_ptrIiEEEENSB_INSC_IfEEEESG_fNS9_4plusIvEENS9_8equal_toIvEEfEE10hipError_tPvRmT2_T3_T4_T5_mT6_T7_P12ihipStream_tbENKUlT_T0_E_clISt17integral_constantIbLb1EES10_IbLb0EEEEDaSW_SX_EUlSW_E_NS1_11comp_targetILNS1_3genE10ELNS1_11target_archE1201ELNS1_3gpuE5ELNS1_3repE0EEENS1_30default_config_static_selectorELNS0_4arch9wavefront6targetE0EEEvT1_,comdat
	.protected	_ZN7rocprim17ROCPRIM_400000_NS6detail17trampoline_kernelINS0_14default_configENS1_27scan_by_key_config_selectorIifEEZZNS1_16scan_by_key_implILNS1_25lookback_scan_determinismE0ELb0ES3_N6thrust23THRUST_200600_302600_NS6detail15normal_iteratorINS9_10device_ptrIiEEEENSB_INSC_IfEEEESG_fNS9_4plusIvEENS9_8equal_toIvEEfEE10hipError_tPvRmT2_T3_T4_T5_mT6_T7_P12ihipStream_tbENKUlT_T0_E_clISt17integral_constantIbLb1EES10_IbLb0EEEEDaSW_SX_EUlSW_E_NS1_11comp_targetILNS1_3genE10ELNS1_11target_archE1201ELNS1_3gpuE5ELNS1_3repE0EEENS1_30default_config_static_selectorELNS0_4arch9wavefront6targetE0EEEvT1_ ; -- Begin function _ZN7rocprim17ROCPRIM_400000_NS6detail17trampoline_kernelINS0_14default_configENS1_27scan_by_key_config_selectorIifEEZZNS1_16scan_by_key_implILNS1_25lookback_scan_determinismE0ELb0ES3_N6thrust23THRUST_200600_302600_NS6detail15normal_iteratorINS9_10device_ptrIiEEEENSB_INSC_IfEEEESG_fNS9_4plusIvEENS9_8equal_toIvEEfEE10hipError_tPvRmT2_T3_T4_T5_mT6_T7_P12ihipStream_tbENKUlT_T0_E_clISt17integral_constantIbLb1EES10_IbLb0EEEEDaSW_SX_EUlSW_E_NS1_11comp_targetILNS1_3genE10ELNS1_11target_archE1201ELNS1_3gpuE5ELNS1_3repE0EEENS1_30default_config_static_selectorELNS0_4arch9wavefront6targetE0EEEvT1_
	.globl	_ZN7rocprim17ROCPRIM_400000_NS6detail17trampoline_kernelINS0_14default_configENS1_27scan_by_key_config_selectorIifEEZZNS1_16scan_by_key_implILNS1_25lookback_scan_determinismE0ELb0ES3_N6thrust23THRUST_200600_302600_NS6detail15normal_iteratorINS9_10device_ptrIiEEEENSB_INSC_IfEEEESG_fNS9_4plusIvEENS9_8equal_toIvEEfEE10hipError_tPvRmT2_T3_T4_T5_mT6_T7_P12ihipStream_tbENKUlT_T0_E_clISt17integral_constantIbLb1EES10_IbLb0EEEEDaSW_SX_EUlSW_E_NS1_11comp_targetILNS1_3genE10ELNS1_11target_archE1201ELNS1_3gpuE5ELNS1_3repE0EEENS1_30default_config_static_selectorELNS0_4arch9wavefront6targetE0EEEvT1_
	.p2align	8
	.type	_ZN7rocprim17ROCPRIM_400000_NS6detail17trampoline_kernelINS0_14default_configENS1_27scan_by_key_config_selectorIifEEZZNS1_16scan_by_key_implILNS1_25lookback_scan_determinismE0ELb0ES3_N6thrust23THRUST_200600_302600_NS6detail15normal_iteratorINS9_10device_ptrIiEEEENSB_INSC_IfEEEESG_fNS9_4plusIvEENS9_8equal_toIvEEfEE10hipError_tPvRmT2_T3_T4_T5_mT6_T7_P12ihipStream_tbENKUlT_T0_E_clISt17integral_constantIbLb1EES10_IbLb0EEEEDaSW_SX_EUlSW_E_NS1_11comp_targetILNS1_3genE10ELNS1_11target_archE1201ELNS1_3gpuE5ELNS1_3repE0EEENS1_30default_config_static_selectorELNS0_4arch9wavefront6targetE0EEEvT1_,@function
_ZN7rocprim17ROCPRIM_400000_NS6detail17trampoline_kernelINS0_14default_configENS1_27scan_by_key_config_selectorIifEEZZNS1_16scan_by_key_implILNS1_25lookback_scan_determinismE0ELb0ES3_N6thrust23THRUST_200600_302600_NS6detail15normal_iteratorINS9_10device_ptrIiEEEENSB_INSC_IfEEEESG_fNS9_4plusIvEENS9_8equal_toIvEEfEE10hipError_tPvRmT2_T3_T4_T5_mT6_T7_P12ihipStream_tbENKUlT_T0_E_clISt17integral_constantIbLb1EES10_IbLb0EEEEDaSW_SX_EUlSW_E_NS1_11comp_targetILNS1_3genE10ELNS1_11target_archE1201ELNS1_3gpuE5ELNS1_3repE0EEENS1_30default_config_static_selectorELNS0_4arch9wavefront6targetE0EEEvT1_: ; @_ZN7rocprim17ROCPRIM_400000_NS6detail17trampoline_kernelINS0_14default_configENS1_27scan_by_key_config_selectorIifEEZZNS1_16scan_by_key_implILNS1_25lookback_scan_determinismE0ELb0ES3_N6thrust23THRUST_200600_302600_NS6detail15normal_iteratorINS9_10device_ptrIiEEEENSB_INSC_IfEEEESG_fNS9_4plusIvEENS9_8equal_toIvEEfEE10hipError_tPvRmT2_T3_T4_T5_mT6_T7_P12ihipStream_tbENKUlT_T0_E_clISt17integral_constantIbLb1EES10_IbLb0EEEEDaSW_SX_EUlSW_E_NS1_11comp_targetILNS1_3genE10ELNS1_11target_archE1201ELNS1_3gpuE5ELNS1_3repE0EEENS1_30default_config_static_selectorELNS0_4arch9wavefront6targetE0EEEvT1_
; %bb.0:
	.section	.rodata,"a",@progbits
	.p2align	6, 0x0
	.amdhsa_kernel _ZN7rocprim17ROCPRIM_400000_NS6detail17trampoline_kernelINS0_14default_configENS1_27scan_by_key_config_selectorIifEEZZNS1_16scan_by_key_implILNS1_25lookback_scan_determinismE0ELb0ES3_N6thrust23THRUST_200600_302600_NS6detail15normal_iteratorINS9_10device_ptrIiEEEENSB_INSC_IfEEEESG_fNS9_4plusIvEENS9_8equal_toIvEEfEE10hipError_tPvRmT2_T3_T4_T5_mT6_T7_P12ihipStream_tbENKUlT_T0_E_clISt17integral_constantIbLb1EES10_IbLb0EEEEDaSW_SX_EUlSW_E_NS1_11comp_targetILNS1_3genE10ELNS1_11target_archE1201ELNS1_3gpuE5ELNS1_3repE0EEENS1_30default_config_static_selectorELNS0_4arch9wavefront6targetE0EEEvT1_
		.amdhsa_group_segment_fixed_size 0
		.amdhsa_private_segment_fixed_size 0
		.amdhsa_kernarg_size 112
		.amdhsa_user_sgpr_count 2
		.amdhsa_user_sgpr_dispatch_ptr 0
		.amdhsa_user_sgpr_queue_ptr 0
		.amdhsa_user_sgpr_kernarg_segment_ptr 1
		.amdhsa_user_sgpr_dispatch_id 0
		.amdhsa_user_sgpr_kernarg_preload_length 0
		.amdhsa_user_sgpr_kernarg_preload_offset 0
		.amdhsa_user_sgpr_private_segment_size 0
		.amdhsa_wavefront_size32 1
		.amdhsa_uses_dynamic_stack 0
		.amdhsa_enable_private_segment 0
		.amdhsa_system_sgpr_workgroup_id_x 1
		.amdhsa_system_sgpr_workgroup_id_y 0
		.amdhsa_system_sgpr_workgroup_id_z 0
		.amdhsa_system_sgpr_workgroup_info 0
		.amdhsa_system_vgpr_workitem_id 0
		.amdhsa_next_free_vgpr 1
		.amdhsa_next_free_sgpr 1
		.amdhsa_named_barrier_count 0
		.amdhsa_reserve_vcc 0
		.amdhsa_float_round_mode_32 0
		.amdhsa_float_round_mode_16_64 0
		.amdhsa_float_denorm_mode_32 3
		.amdhsa_float_denorm_mode_16_64 3
		.amdhsa_fp16_overflow 0
		.amdhsa_memory_ordered 1
		.amdhsa_forward_progress 1
		.amdhsa_inst_pref_size 0
		.amdhsa_round_robin_scheduling 0
		.amdhsa_exception_fp_ieee_invalid_op 0
		.amdhsa_exception_fp_denorm_src 0
		.amdhsa_exception_fp_ieee_div_zero 0
		.amdhsa_exception_fp_ieee_overflow 0
		.amdhsa_exception_fp_ieee_underflow 0
		.amdhsa_exception_fp_ieee_inexact 0
		.amdhsa_exception_int_div_zero 0
	.end_amdhsa_kernel
	.section	.text._ZN7rocprim17ROCPRIM_400000_NS6detail17trampoline_kernelINS0_14default_configENS1_27scan_by_key_config_selectorIifEEZZNS1_16scan_by_key_implILNS1_25lookback_scan_determinismE0ELb0ES3_N6thrust23THRUST_200600_302600_NS6detail15normal_iteratorINS9_10device_ptrIiEEEENSB_INSC_IfEEEESG_fNS9_4plusIvEENS9_8equal_toIvEEfEE10hipError_tPvRmT2_T3_T4_T5_mT6_T7_P12ihipStream_tbENKUlT_T0_E_clISt17integral_constantIbLb1EES10_IbLb0EEEEDaSW_SX_EUlSW_E_NS1_11comp_targetILNS1_3genE10ELNS1_11target_archE1201ELNS1_3gpuE5ELNS1_3repE0EEENS1_30default_config_static_selectorELNS0_4arch9wavefront6targetE0EEEvT1_,"axG",@progbits,_ZN7rocprim17ROCPRIM_400000_NS6detail17trampoline_kernelINS0_14default_configENS1_27scan_by_key_config_selectorIifEEZZNS1_16scan_by_key_implILNS1_25lookback_scan_determinismE0ELb0ES3_N6thrust23THRUST_200600_302600_NS6detail15normal_iteratorINS9_10device_ptrIiEEEENSB_INSC_IfEEEESG_fNS9_4plusIvEENS9_8equal_toIvEEfEE10hipError_tPvRmT2_T3_T4_T5_mT6_T7_P12ihipStream_tbENKUlT_T0_E_clISt17integral_constantIbLb1EES10_IbLb0EEEEDaSW_SX_EUlSW_E_NS1_11comp_targetILNS1_3genE10ELNS1_11target_archE1201ELNS1_3gpuE5ELNS1_3repE0EEENS1_30default_config_static_selectorELNS0_4arch9wavefront6targetE0EEEvT1_,comdat
.Lfunc_end1153:
	.size	_ZN7rocprim17ROCPRIM_400000_NS6detail17trampoline_kernelINS0_14default_configENS1_27scan_by_key_config_selectorIifEEZZNS1_16scan_by_key_implILNS1_25lookback_scan_determinismE0ELb0ES3_N6thrust23THRUST_200600_302600_NS6detail15normal_iteratorINS9_10device_ptrIiEEEENSB_INSC_IfEEEESG_fNS9_4plusIvEENS9_8equal_toIvEEfEE10hipError_tPvRmT2_T3_T4_T5_mT6_T7_P12ihipStream_tbENKUlT_T0_E_clISt17integral_constantIbLb1EES10_IbLb0EEEEDaSW_SX_EUlSW_E_NS1_11comp_targetILNS1_3genE10ELNS1_11target_archE1201ELNS1_3gpuE5ELNS1_3repE0EEENS1_30default_config_static_selectorELNS0_4arch9wavefront6targetE0EEEvT1_, .Lfunc_end1153-_ZN7rocprim17ROCPRIM_400000_NS6detail17trampoline_kernelINS0_14default_configENS1_27scan_by_key_config_selectorIifEEZZNS1_16scan_by_key_implILNS1_25lookback_scan_determinismE0ELb0ES3_N6thrust23THRUST_200600_302600_NS6detail15normal_iteratorINS9_10device_ptrIiEEEENSB_INSC_IfEEEESG_fNS9_4plusIvEENS9_8equal_toIvEEfEE10hipError_tPvRmT2_T3_T4_T5_mT6_T7_P12ihipStream_tbENKUlT_T0_E_clISt17integral_constantIbLb1EES10_IbLb0EEEEDaSW_SX_EUlSW_E_NS1_11comp_targetILNS1_3genE10ELNS1_11target_archE1201ELNS1_3gpuE5ELNS1_3repE0EEENS1_30default_config_static_selectorELNS0_4arch9wavefront6targetE0EEEvT1_
                                        ; -- End function
	.set _ZN7rocprim17ROCPRIM_400000_NS6detail17trampoline_kernelINS0_14default_configENS1_27scan_by_key_config_selectorIifEEZZNS1_16scan_by_key_implILNS1_25lookback_scan_determinismE0ELb0ES3_N6thrust23THRUST_200600_302600_NS6detail15normal_iteratorINS9_10device_ptrIiEEEENSB_INSC_IfEEEESG_fNS9_4plusIvEENS9_8equal_toIvEEfEE10hipError_tPvRmT2_T3_T4_T5_mT6_T7_P12ihipStream_tbENKUlT_T0_E_clISt17integral_constantIbLb1EES10_IbLb0EEEEDaSW_SX_EUlSW_E_NS1_11comp_targetILNS1_3genE10ELNS1_11target_archE1201ELNS1_3gpuE5ELNS1_3repE0EEENS1_30default_config_static_selectorELNS0_4arch9wavefront6targetE0EEEvT1_.num_vgpr, 0
	.set _ZN7rocprim17ROCPRIM_400000_NS6detail17trampoline_kernelINS0_14default_configENS1_27scan_by_key_config_selectorIifEEZZNS1_16scan_by_key_implILNS1_25lookback_scan_determinismE0ELb0ES3_N6thrust23THRUST_200600_302600_NS6detail15normal_iteratorINS9_10device_ptrIiEEEENSB_INSC_IfEEEESG_fNS9_4plusIvEENS9_8equal_toIvEEfEE10hipError_tPvRmT2_T3_T4_T5_mT6_T7_P12ihipStream_tbENKUlT_T0_E_clISt17integral_constantIbLb1EES10_IbLb0EEEEDaSW_SX_EUlSW_E_NS1_11comp_targetILNS1_3genE10ELNS1_11target_archE1201ELNS1_3gpuE5ELNS1_3repE0EEENS1_30default_config_static_selectorELNS0_4arch9wavefront6targetE0EEEvT1_.num_agpr, 0
	.set _ZN7rocprim17ROCPRIM_400000_NS6detail17trampoline_kernelINS0_14default_configENS1_27scan_by_key_config_selectorIifEEZZNS1_16scan_by_key_implILNS1_25lookback_scan_determinismE0ELb0ES3_N6thrust23THRUST_200600_302600_NS6detail15normal_iteratorINS9_10device_ptrIiEEEENSB_INSC_IfEEEESG_fNS9_4plusIvEENS9_8equal_toIvEEfEE10hipError_tPvRmT2_T3_T4_T5_mT6_T7_P12ihipStream_tbENKUlT_T0_E_clISt17integral_constantIbLb1EES10_IbLb0EEEEDaSW_SX_EUlSW_E_NS1_11comp_targetILNS1_3genE10ELNS1_11target_archE1201ELNS1_3gpuE5ELNS1_3repE0EEENS1_30default_config_static_selectorELNS0_4arch9wavefront6targetE0EEEvT1_.numbered_sgpr, 0
	.set _ZN7rocprim17ROCPRIM_400000_NS6detail17trampoline_kernelINS0_14default_configENS1_27scan_by_key_config_selectorIifEEZZNS1_16scan_by_key_implILNS1_25lookback_scan_determinismE0ELb0ES3_N6thrust23THRUST_200600_302600_NS6detail15normal_iteratorINS9_10device_ptrIiEEEENSB_INSC_IfEEEESG_fNS9_4plusIvEENS9_8equal_toIvEEfEE10hipError_tPvRmT2_T3_T4_T5_mT6_T7_P12ihipStream_tbENKUlT_T0_E_clISt17integral_constantIbLb1EES10_IbLb0EEEEDaSW_SX_EUlSW_E_NS1_11comp_targetILNS1_3genE10ELNS1_11target_archE1201ELNS1_3gpuE5ELNS1_3repE0EEENS1_30default_config_static_selectorELNS0_4arch9wavefront6targetE0EEEvT1_.num_named_barrier, 0
	.set _ZN7rocprim17ROCPRIM_400000_NS6detail17trampoline_kernelINS0_14default_configENS1_27scan_by_key_config_selectorIifEEZZNS1_16scan_by_key_implILNS1_25lookback_scan_determinismE0ELb0ES3_N6thrust23THRUST_200600_302600_NS6detail15normal_iteratorINS9_10device_ptrIiEEEENSB_INSC_IfEEEESG_fNS9_4plusIvEENS9_8equal_toIvEEfEE10hipError_tPvRmT2_T3_T4_T5_mT6_T7_P12ihipStream_tbENKUlT_T0_E_clISt17integral_constantIbLb1EES10_IbLb0EEEEDaSW_SX_EUlSW_E_NS1_11comp_targetILNS1_3genE10ELNS1_11target_archE1201ELNS1_3gpuE5ELNS1_3repE0EEENS1_30default_config_static_selectorELNS0_4arch9wavefront6targetE0EEEvT1_.private_seg_size, 0
	.set _ZN7rocprim17ROCPRIM_400000_NS6detail17trampoline_kernelINS0_14default_configENS1_27scan_by_key_config_selectorIifEEZZNS1_16scan_by_key_implILNS1_25lookback_scan_determinismE0ELb0ES3_N6thrust23THRUST_200600_302600_NS6detail15normal_iteratorINS9_10device_ptrIiEEEENSB_INSC_IfEEEESG_fNS9_4plusIvEENS9_8equal_toIvEEfEE10hipError_tPvRmT2_T3_T4_T5_mT6_T7_P12ihipStream_tbENKUlT_T0_E_clISt17integral_constantIbLb1EES10_IbLb0EEEEDaSW_SX_EUlSW_E_NS1_11comp_targetILNS1_3genE10ELNS1_11target_archE1201ELNS1_3gpuE5ELNS1_3repE0EEENS1_30default_config_static_selectorELNS0_4arch9wavefront6targetE0EEEvT1_.uses_vcc, 0
	.set _ZN7rocprim17ROCPRIM_400000_NS6detail17trampoline_kernelINS0_14default_configENS1_27scan_by_key_config_selectorIifEEZZNS1_16scan_by_key_implILNS1_25lookback_scan_determinismE0ELb0ES3_N6thrust23THRUST_200600_302600_NS6detail15normal_iteratorINS9_10device_ptrIiEEEENSB_INSC_IfEEEESG_fNS9_4plusIvEENS9_8equal_toIvEEfEE10hipError_tPvRmT2_T3_T4_T5_mT6_T7_P12ihipStream_tbENKUlT_T0_E_clISt17integral_constantIbLb1EES10_IbLb0EEEEDaSW_SX_EUlSW_E_NS1_11comp_targetILNS1_3genE10ELNS1_11target_archE1201ELNS1_3gpuE5ELNS1_3repE0EEENS1_30default_config_static_selectorELNS0_4arch9wavefront6targetE0EEEvT1_.uses_flat_scratch, 0
	.set _ZN7rocprim17ROCPRIM_400000_NS6detail17trampoline_kernelINS0_14default_configENS1_27scan_by_key_config_selectorIifEEZZNS1_16scan_by_key_implILNS1_25lookback_scan_determinismE0ELb0ES3_N6thrust23THRUST_200600_302600_NS6detail15normal_iteratorINS9_10device_ptrIiEEEENSB_INSC_IfEEEESG_fNS9_4plusIvEENS9_8equal_toIvEEfEE10hipError_tPvRmT2_T3_T4_T5_mT6_T7_P12ihipStream_tbENKUlT_T0_E_clISt17integral_constantIbLb1EES10_IbLb0EEEEDaSW_SX_EUlSW_E_NS1_11comp_targetILNS1_3genE10ELNS1_11target_archE1201ELNS1_3gpuE5ELNS1_3repE0EEENS1_30default_config_static_selectorELNS0_4arch9wavefront6targetE0EEEvT1_.has_dyn_sized_stack, 0
	.set _ZN7rocprim17ROCPRIM_400000_NS6detail17trampoline_kernelINS0_14default_configENS1_27scan_by_key_config_selectorIifEEZZNS1_16scan_by_key_implILNS1_25lookback_scan_determinismE0ELb0ES3_N6thrust23THRUST_200600_302600_NS6detail15normal_iteratorINS9_10device_ptrIiEEEENSB_INSC_IfEEEESG_fNS9_4plusIvEENS9_8equal_toIvEEfEE10hipError_tPvRmT2_T3_T4_T5_mT6_T7_P12ihipStream_tbENKUlT_T0_E_clISt17integral_constantIbLb1EES10_IbLb0EEEEDaSW_SX_EUlSW_E_NS1_11comp_targetILNS1_3genE10ELNS1_11target_archE1201ELNS1_3gpuE5ELNS1_3repE0EEENS1_30default_config_static_selectorELNS0_4arch9wavefront6targetE0EEEvT1_.has_recursion, 0
	.set _ZN7rocprim17ROCPRIM_400000_NS6detail17trampoline_kernelINS0_14default_configENS1_27scan_by_key_config_selectorIifEEZZNS1_16scan_by_key_implILNS1_25lookback_scan_determinismE0ELb0ES3_N6thrust23THRUST_200600_302600_NS6detail15normal_iteratorINS9_10device_ptrIiEEEENSB_INSC_IfEEEESG_fNS9_4plusIvEENS9_8equal_toIvEEfEE10hipError_tPvRmT2_T3_T4_T5_mT6_T7_P12ihipStream_tbENKUlT_T0_E_clISt17integral_constantIbLb1EES10_IbLb0EEEEDaSW_SX_EUlSW_E_NS1_11comp_targetILNS1_3genE10ELNS1_11target_archE1201ELNS1_3gpuE5ELNS1_3repE0EEENS1_30default_config_static_selectorELNS0_4arch9wavefront6targetE0EEEvT1_.has_indirect_call, 0
	.section	.AMDGPU.csdata,"",@progbits
; Kernel info:
; codeLenInByte = 0
; TotalNumSgprs: 0
; NumVgprs: 0
; ScratchSize: 0
; MemoryBound: 0
; FloatMode: 240
; IeeeMode: 1
; LDSByteSize: 0 bytes/workgroup (compile time only)
; SGPRBlocks: 0
; VGPRBlocks: 0
; NumSGPRsForWavesPerEU: 1
; NumVGPRsForWavesPerEU: 1
; NamedBarCnt: 0
; Occupancy: 16
; WaveLimiterHint : 0
; COMPUTE_PGM_RSRC2:SCRATCH_EN: 0
; COMPUTE_PGM_RSRC2:USER_SGPR: 2
; COMPUTE_PGM_RSRC2:TRAP_HANDLER: 0
; COMPUTE_PGM_RSRC2:TGID_X_EN: 1
; COMPUTE_PGM_RSRC2:TGID_Y_EN: 0
; COMPUTE_PGM_RSRC2:TGID_Z_EN: 0
; COMPUTE_PGM_RSRC2:TIDIG_COMP_CNT: 0
	.section	.text._ZN7rocprim17ROCPRIM_400000_NS6detail17trampoline_kernelINS0_14default_configENS1_27scan_by_key_config_selectorIifEEZZNS1_16scan_by_key_implILNS1_25lookback_scan_determinismE0ELb0ES3_N6thrust23THRUST_200600_302600_NS6detail15normal_iteratorINS9_10device_ptrIiEEEENSB_INSC_IfEEEESG_fNS9_4plusIvEENS9_8equal_toIvEEfEE10hipError_tPvRmT2_T3_T4_T5_mT6_T7_P12ihipStream_tbENKUlT_T0_E_clISt17integral_constantIbLb1EES10_IbLb0EEEEDaSW_SX_EUlSW_E_NS1_11comp_targetILNS1_3genE5ELNS1_11target_archE942ELNS1_3gpuE9ELNS1_3repE0EEENS1_30default_config_static_selectorELNS0_4arch9wavefront6targetE0EEEvT1_,"axG",@progbits,_ZN7rocprim17ROCPRIM_400000_NS6detail17trampoline_kernelINS0_14default_configENS1_27scan_by_key_config_selectorIifEEZZNS1_16scan_by_key_implILNS1_25lookback_scan_determinismE0ELb0ES3_N6thrust23THRUST_200600_302600_NS6detail15normal_iteratorINS9_10device_ptrIiEEEENSB_INSC_IfEEEESG_fNS9_4plusIvEENS9_8equal_toIvEEfEE10hipError_tPvRmT2_T3_T4_T5_mT6_T7_P12ihipStream_tbENKUlT_T0_E_clISt17integral_constantIbLb1EES10_IbLb0EEEEDaSW_SX_EUlSW_E_NS1_11comp_targetILNS1_3genE5ELNS1_11target_archE942ELNS1_3gpuE9ELNS1_3repE0EEENS1_30default_config_static_selectorELNS0_4arch9wavefront6targetE0EEEvT1_,comdat
	.protected	_ZN7rocprim17ROCPRIM_400000_NS6detail17trampoline_kernelINS0_14default_configENS1_27scan_by_key_config_selectorIifEEZZNS1_16scan_by_key_implILNS1_25lookback_scan_determinismE0ELb0ES3_N6thrust23THRUST_200600_302600_NS6detail15normal_iteratorINS9_10device_ptrIiEEEENSB_INSC_IfEEEESG_fNS9_4plusIvEENS9_8equal_toIvEEfEE10hipError_tPvRmT2_T3_T4_T5_mT6_T7_P12ihipStream_tbENKUlT_T0_E_clISt17integral_constantIbLb1EES10_IbLb0EEEEDaSW_SX_EUlSW_E_NS1_11comp_targetILNS1_3genE5ELNS1_11target_archE942ELNS1_3gpuE9ELNS1_3repE0EEENS1_30default_config_static_selectorELNS0_4arch9wavefront6targetE0EEEvT1_ ; -- Begin function _ZN7rocprim17ROCPRIM_400000_NS6detail17trampoline_kernelINS0_14default_configENS1_27scan_by_key_config_selectorIifEEZZNS1_16scan_by_key_implILNS1_25lookback_scan_determinismE0ELb0ES3_N6thrust23THRUST_200600_302600_NS6detail15normal_iteratorINS9_10device_ptrIiEEEENSB_INSC_IfEEEESG_fNS9_4plusIvEENS9_8equal_toIvEEfEE10hipError_tPvRmT2_T3_T4_T5_mT6_T7_P12ihipStream_tbENKUlT_T0_E_clISt17integral_constantIbLb1EES10_IbLb0EEEEDaSW_SX_EUlSW_E_NS1_11comp_targetILNS1_3genE5ELNS1_11target_archE942ELNS1_3gpuE9ELNS1_3repE0EEENS1_30default_config_static_selectorELNS0_4arch9wavefront6targetE0EEEvT1_
	.globl	_ZN7rocprim17ROCPRIM_400000_NS6detail17trampoline_kernelINS0_14default_configENS1_27scan_by_key_config_selectorIifEEZZNS1_16scan_by_key_implILNS1_25lookback_scan_determinismE0ELb0ES3_N6thrust23THRUST_200600_302600_NS6detail15normal_iteratorINS9_10device_ptrIiEEEENSB_INSC_IfEEEESG_fNS9_4plusIvEENS9_8equal_toIvEEfEE10hipError_tPvRmT2_T3_T4_T5_mT6_T7_P12ihipStream_tbENKUlT_T0_E_clISt17integral_constantIbLb1EES10_IbLb0EEEEDaSW_SX_EUlSW_E_NS1_11comp_targetILNS1_3genE5ELNS1_11target_archE942ELNS1_3gpuE9ELNS1_3repE0EEENS1_30default_config_static_selectorELNS0_4arch9wavefront6targetE0EEEvT1_
	.p2align	8
	.type	_ZN7rocprim17ROCPRIM_400000_NS6detail17trampoline_kernelINS0_14default_configENS1_27scan_by_key_config_selectorIifEEZZNS1_16scan_by_key_implILNS1_25lookback_scan_determinismE0ELb0ES3_N6thrust23THRUST_200600_302600_NS6detail15normal_iteratorINS9_10device_ptrIiEEEENSB_INSC_IfEEEESG_fNS9_4plusIvEENS9_8equal_toIvEEfEE10hipError_tPvRmT2_T3_T4_T5_mT6_T7_P12ihipStream_tbENKUlT_T0_E_clISt17integral_constantIbLb1EES10_IbLb0EEEEDaSW_SX_EUlSW_E_NS1_11comp_targetILNS1_3genE5ELNS1_11target_archE942ELNS1_3gpuE9ELNS1_3repE0EEENS1_30default_config_static_selectorELNS0_4arch9wavefront6targetE0EEEvT1_,@function
_ZN7rocprim17ROCPRIM_400000_NS6detail17trampoline_kernelINS0_14default_configENS1_27scan_by_key_config_selectorIifEEZZNS1_16scan_by_key_implILNS1_25lookback_scan_determinismE0ELb0ES3_N6thrust23THRUST_200600_302600_NS6detail15normal_iteratorINS9_10device_ptrIiEEEENSB_INSC_IfEEEESG_fNS9_4plusIvEENS9_8equal_toIvEEfEE10hipError_tPvRmT2_T3_T4_T5_mT6_T7_P12ihipStream_tbENKUlT_T0_E_clISt17integral_constantIbLb1EES10_IbLb0EEEEDaSW_SX_EUlSW_E_NS1_11comp_targetILNS1_3genE5ELNS1_11target_archE942ELNS1_3gpuE9ELNS1_3repE0EEENS1_30default_config_static_selectorELNS0_4arch9wavefront6targetE0EEEvT1_: ; @_ZN7rocprim17ROCPRIM_400000_NS6detail17trampoline_kernelINS0_14default_configENS1_27scan_by_key_config_selectorIifEEZZNS1_16scan_by_key_implILNS1_25lookback_scan_determinismE0ELb0ES3_N6thrust23THRUST_200600_302600_NS6detail15normal_iteratorINS9_10device_ptrIiEEEENSB_INSC_IfEEEESG_fNS9_4plusIvEENS9_8equal_toIvEEfEE10hipError_tPvRmT2_T3_T4_T5_mT6_T7_P12ihipStream_tbENKUlT_T0_E_clISt17integral_constantIbLb1EES10_IbLb0EEEEDaSW_SX_EUlSW_E_NS1_11comp_targetILNS1_3genE5ELNS1_11target_archE942ELNS1_3gpuE9ELNS1_3repE0EEENS1_30default_config_static_selectorELNS0_4arch9wavefront6targetE0EEEvT1_
; %bb.0:
	.section	.rodata,"a",@progbits
	.p2align	6, 0x0
	.amdhsa_kernel _ZN7rocprim17ROCPRIM_400000_NS6detail17trampoline_kernelINS0_14default_configENS1_27scan_by_key_config_selectorIifEEZZNS1_16scan_by_key_implILNS1_25lookback_scan_determinismE0ELb0ES3_N6thrust23THRUST_200600_302600_NS6detail15normal_iteratorINS9_10device_ptrIiEEEENSB_INSC_IfEEEESG_fNS9_4plusIvEENS9_8equal_toIvEEfEE10hipError_tPvRmT2_T3_T4_T5_mT6_T7_P12ihipStream_tbENKUlT_T0_E_clISt17integral_constantIbLb1EES10_IbLb0EEEEDaSW_SX_EUlSW_E_NS1_11comp_targetILNS1_3genE5ELNS1_11target_archE942ELNS1_3gpuE9ELNS1_3repE0EEENS1_30default_config_static_selectorELNS0_4arch9wavefront6targetE0EEEvT1_
		.amdhsa_group_segment_fixed_size 0
		.amdhsa_private_segment_fixed_size 0
		.amdhsa_kernarg_size 112
		.amdhsa_user_sgpr_count 2
		.amdhsa_user_sgpr_dispatch_ptr 0
		.amdhsa_user_sgpr_queue_ptr 0
		.amdhsa_user_sgpr_kernarg_segment_ptr 1
		.amdhsa_user_sgpr_dispatch_id 0
		.amdhsa_user_sgpr_kernarg_preload_length 0
		.amdhsa_user_sgpr_kernarg_preload_offset 0
		.amdhsa_user_sgpr_private_segment_size 0
		.amdhsa_wavefront_size32 1
		.amdhsa_uses_dynamic_stack 0
		.amdhsa_enable_private_segment 0
		.amdhsa_system_sgpr_workgroup_id_x 1
		.amdhsa_system_sgpr_workgroup_id_y 0
		.amdhsa_system_sgpr_workgroup_id_z 0
		.amdhsa_system_sgpr_workgroup_info 0
		.amdhsa_system_vgpr_workitem_id 0
		.amdhsa_next_free_vgpr 1
		.amdhsa_next_free_sgpr 1
		.amdhsa_named_barrier_count 0
		.amdhsa_reserve_vcc 0
		.amdhsa_float_round_mode_32 0
		.amdhsa_float_round_mode_16_64 0
		.amdhsa_float_denorm_mode_32 3
		.amdhsa_float_denorm_mode_16_64 3
		.amdhsa_fp16_overflow 0
		.amdhsa_memory_ordered 1
		.amdhsa_forward_progress 1
		.amdhsa_inst_pref_size 0
		.amdhsa_round_robin_scheduling 0
		.amdhsa_exception_fp_ieee_invalid_op 0
		.amdhsa_exception_fp_denorm_src 0
		.amdhsa_exception_fp_ieee_div_zero 0
		.amdhsa_exception_fp_ieee_overflow 0
		.amdhsa_exception_fp_ieee_underflow 0
		.amdhsa_exception_fp_ieee_inexact 0
		.amdhsa_exception_int_div_zero 0
	.end_amdhsa_kernel
	.section	.text._ZN7rocprim17ROCPRIM_400000_NS6detail17trampoline_kernelINS0_14default_configENS1_27scan_by_key_config_selectorIifEEZZNS1_16scan_by_key_implILNS1_25lookback_scan_determinismE0ELb0ES3_N6thrust23THRUST_200600_302600_NS6detail15normal_iteratorINS9_10device_ptrIiEEEENSB_INSC_IfEEEESG_fNS9_4plusIvEENS9_8equal_toIvEEfEE10hipError_tPvRmT2_T3_T4_T5_mT6_T7_P12ihipStream_tbENKUlT_T0_E_clISt17integral_constantIbLb1EES10_IbLb0EEEEDaSW_SX_EUlSW_E_NS1_11comp_targetILNS1_3genE5ELNS1_11target_archE942ELNS1_3gpuE9ELNS1_3repE0EEENS1_30default_config_static_selectorELNS0_4arch9wavefront6targetE0EEEvT1_,"axG",@progbits,_ZN7rocprim17ROCPRIM_400000_NS6detail17trampoline_kernelINS0_14default_configENS1_27scan_by_key_config_selectorIifEEZZNS1_16scan_by_key_implILNS1_25lookback_scan_determinismE0ELb0ES3_N6thrust23THRUST_200600_302600_NS6detail15normal_iteratorINS9_10device_ptrIiEEEENSB_INSC_IfEEEESG_fNS9_4plusIvEENS9_8equal_toIvEEfEE10hipError_tPvRmT2_T3_T4_T5_mT6_T7_P12ihipStream_tbENKUlT_T0_E_clISt17integral_constantIbLb1EES10_IbLb0EEEEDaSW_SX_EUlSW_E_NS1_11comp_targetILNS1_3genE5ELNS1_11target_archE942ELNS1_3gpuE9ELNS1_3repE0EEENS1_30default_config_static_selectorELNS0_4arch9wavefront6targetE0EEEvT1_,comdat
.Lfunc_end1154:
	.size	_ZN7rocprim17ROCPRIM_400000_NS6detail17trampoline_kernelINS0_14default_configENS1_27scan_by_key_config_selectorIifEEZZNS1_16scan_by_key_implILNS1_25lookback_scan_determinismE0ELb0ES3_N6thrust23THRUST_200600_302600_NS6detail15normal_iteratorINS9_10device_ptrIiEEEENSB_INSC_IfEEEESG_fNS9_4plusIvEENS9_8equal_toIvEEfEE10hipError_tPvRmT2_T3_T4_T5_mT6_T7_P12ihipStream_tbENKUlT_T0_E_clISt17integral_constantIbLb1EES10_IbLb0EEEEDaSW_SX_EUlSW_E_NS1_11comp_targetILNS1_3genE5ELNS1_11target_archE942ELNS1_3gpuE9ELNS1_3repE0EEENS1_30default_config_static_selectorELNS0_4arch9wavefront6targetE0EEEvT1_, .Lfunc_end1154-_ZN7rocprim17ROCPRIM_400000_NS6detail17trampoline_kernelINS0_14default_configENS1_27scan_by_key_config_selectorIifEEZZNS1_16scan_by_key_implILNS1_25lookback_scan_determinismE0ELb0ES3_N6thrust23THRUST_200600_302600_NS6detail15normal_iteratorINS9_10device_ptrIiEEEENSB_INSC_IfEEEESG_fNS9_4plusIvEENS9_8equal_toIvEEfEE10hipError_tPvRmT2_T3_T4_T5_mT6_T7_P12ihipStream_tbENKUlT_T0_E_clISt17integral_constantIbLb1EES10_IbLb0EEEEDaSW_SX_EUlSW_E_NS1_11comp_targetILNS1_3genE5ELNS1_11target_archE942ELNS1_3gpuE9ELNS1_3repE0EEENS1_30default_config_static_selectorELNS0_4arch9wavefront6targetE0EEEvT1_
                                        ; -- End function
	.set _ZN7rocprim17ROCPRIM_400000_NS6detail17trampoline_kernelINS0_14default_configENS1_27scan_by_key_config_selectorIifEEZZNS1_16scan_by_key_implILNS1_25lookback_scan_determinismE0ELb0ES3_N6thrust23THRUST_200600_302600_NS6detail15normal_iteratorINS9_10device_ptrIiEEEENSB_INSC_IfEEEESG_fNS9_4plusIvEENS9_8equal_toIvEEfEE10hipError_tPvRmT2_T3_T4_T5_mT6_T7_P12ihipStream_tbENKUlT_T0_E_clISt17integral_constantIbLb1EES10_IbLb0EEEEDaSW_SX_EUlSW_E_NS1_11comp_targetILNS1_3genE5ELNS1_11target_archE942ELNS1_3gpuE9ELNS1_3repE0EEENS1_30default_config_static_selectorELNS0_4arch9wavefront6targetE0EEEvT1_.num_vgpr, 0
	.set _ZN7rocprim17ROCPRIM_400000_NS6detail17trampoline_kernelINS0_14default_configENS1_27scan_by_key_config_selectorIifEEZZNS1_16scan_by_key_implILNS1_25lookback_scan_determinismE0ELb0ES3_N6thrust23THRUST_200600_302600_NS6detail15normal_iteratorINS9_10device_ptrIiEEEENSB_INSC_IfEEEESG_fNS9_4plusIvEENS9_8equal_toIvEEfEE10hipError_tPvRmT2_T3_T4_T5_mT6_T7_P12ihipStream_tbENKUlT_T0_E_clISt17integral_constantIbLb1EES10_IbLb0EEEEDaSW_SX_EUlSW_E_NS1_11comp_targetILNS1_3genE5ELNS1_11target_archE942ELNS1_3gpuE9ELNS1_3repE0EEENS1_30default_config_static_selectorELNS0_4arch9wavefront6targetE0EEEvT1_.num_agpr, 0
	.set _ZN7rocprim17ROCPRIM_400000_NS6detail17trampoline_kernelINS0_14default_configENS1_27scan_by_key_config_selectorIifEEZZNS1_16scan_by_key_implILNS1_25lookback_scan_determinismE0ELb0ES3_N6thrust23THRUST_200600_302600_NS6detail15normal_iteratorINS9_10device_ptrIiEEEENSB_INSC_IfEEEESG_fNS9_4plusIvEENS9_8equal_toIvEEfEE10hipError_tPvRmT2_T3_T4_T5_mT6_T7_P12ihipStream_tbENKUlT_T0_E_clISt17integral_constantIbLb1EES10_IbLb0EEEEDaSW_SX_EUlSW_E_NS1_11comp_targetILNS1_3genE5ELNS1_11target_archE942ELNS1_3gpuE9ELNS1_3repE0EEENS1_30default_config_static_selectorELNS0_4arch9wavefront6targetE0EEEvT1_.numbered_sgpr, 0
	.set _ZN7rocprim17ROCPRIM_400000_NS6detail17trampoline_kernelINS0_14default_configENS1_27scan_by_key_config_selectorIifEEZZNS1_16scan_by_key_implILNS1_25lookback_scan_determinismE0ELb0ES3_N6thrust23THRUST_200600_302600_NS6detail15normal_iteratorINS9_10device_ptrIiEEEENSB_INSC_IfEEEESG_fNS9_4plusIvEENS9_8equal_toIvEEfEE10hipError_tPvRmT2_T3_T4_T5_mT6_T7_P12ihipStream_tbENKUlT_T0_E_clISt17integral_constantIbLb1EES10_IbLb0EEEEDaSW_SX_EUlSW_E_NS1_11comp_targetILNS1_3genE5ELNS1_11target_archE942ELNS1_3gpuE9ELNS1_3repE0EEENS1_30default_config_static_selectorELNS0_4arch9wavefront6targetE0EEEvT1_.num_named_barrier, 0
	.set _ZN7rocprim17ROCPRIM_400000_NS6detail17trampoline_kernelINS0_14default_configENS1_27scan_by_key_config_selectorIifEEZZNS1_16scan_by_key_implILNS1_25lookback_scan_determinismE0ELb0ES3_N6thrust23THRUST_200600_302600_NS6detail15normal_iteratorINS9_10device_ptrIiEEEENSB_INSC_IfEEEESG_fNS9_4plusIvEENS9_8equal_toIvEEfEE10hipError_tPvRmT2_T3_T4_T5_mT6_T7_P12ihipStream_tbENKUlT_T0_E_clISt17integral_constantIbLb1EES10_IbLb0EEEEDaSW_SX_EUlSW_E_NS1_11comp_targetILNS1_3genE5ELNS1_11target_archE942ELNS1_3gpuE9ELNS1_3repE0EEENS1_30default_config_static_selectorELNS0_4arch9wavefront6targetE0EEEvT1_.private_seg_size, 0
	.set _ZN7rocprim17ROCPRIM_400000_NS6detail17trampoline_kernelINS0_14default_configENS1_27scan_by_key_config_selectorIifEEZZNS1_16scan_by_key_implILNS1_25lookback_scan_determinismE0ELb0ES3_N6thrust23THRUST_200600_302600_NS6detail15normal_iteratorINS9_10device_ptrIiEEEENSB_INSC_IfEEEESG_fNS9_4plusIvEENS9_8equal_toIvEEfEE10hipError_tPvRmT2_T3_T4_T5_mT6_T7_P12ihipStream_tbENKUlT_T0_E_clISt17integral_constantIbLb1EES10_IbLb0EEEEDaSW_SX_EUlSW_E_NS1_11comp_targetILNS1_3genE5ELNS1_11target_archE942ELNS1_3gpuE9ELNS1_3repE0EEENS1_30default_config_static_selectorELNS0_4arch9wavefront6targetE0EEEvT1_.uses_vcc, 0
	.set _ZN7rocprim17ROCPRIM_400000_NS6detail17trampoline_kernelINS0_14default_configENS1_27scan_by_key_config_selectorIifEEZZNS1_16scan_by_key_implILNS1_25lookback_scan_determinismE0ELb0ES3_N6thrust23THRUST_200600_302600_NS6detail15normal_iteratorINS9_10device_ptrIiEEEENSB_INSC_IfEEEESG_fNS9_4plusIvEENS9_8equal_toIvEEfEE10hipError_tPvRmT2_T3_T4_T5_mT6_T7_P12ihipStream_tbENKUlT_T0_E_clISt17integral_constantIbLb1EES10_IbLb0EEEEDaSW_SX_EUlSW_E_NS1_11comp_targetILNS1_3genE5ELNS1_11target_archE942ELNS1_3gpuE9ELNS1_3repE0EEENS1_30default_config_static_selectorELNS0_4arch9wavefront6targetE0EEEvT1_.uses_flat_scratch, 0
	.set _ZN7rocprim17ROCPRIM_400000_NS6detail17trampoline_kernelINS0_14default_configENS1_27scan_by_key_config_selectorIifEEZZNS1_16scan_by_key_implILNS1_25lookback_scan_determinismE0ELb0ES3_N6thrust23THRUST_200600_302600_NS6detail15normal_iteratorINS9_10device_ptrIiEEEENSB_INSC_IfEEEESG_fNS9_4plusIvEENS9_8equal_toIvEEfEE10hipError_tPvRmT2_T3_T4_T5_mT6_T7_P12ihipStream_tbENKUlT_T0_E_clISt17integral_constantIbLb1EES10_IbLb0EEEEDaSW_SX_EUlSW_E_NS1_11comp_targetILNS1_3genE5ELNS1_11target_archE942ELNS1_3gpuE9ELNS1_3repE0EEENS1_30default_config_static_selectorELNS0_4arch9wavefront6targetE0EEEvT1_.has_dyn_sized_stack, 0
	.set _ZN7rocprim17ROCPRIM_400000_NS6detail17trampoline_kernelINS0_14default_configENS1_27scan_by_key_config_selectorIifEEZZNS1_16scan_by_key_implILNS1_25lookback_scan_determinismE0ELb0ES3_N6thrust23THRUST_200600_302600_NS6detail15normal_iteratorINS9_10device_ptrIiEEEENSB_INSC_IfEEEESG_fNS9_4plusIvEENS9_8equal_toIvEEfEE10hipError_tPvRmT2_T3_T4_T5_mT6_T7_P12ihipStream_tbENKUlT_T0_E_clISt17integral_constantIbLb1EES10_IbLb0EEEEDaSW_SX_EUlSW_E_NS1_11comp_targetILNS1_3genE5ELNS1_11target_archE942ELNS1_3gpuE9ELNS1_3repE0EEENS1_30default_config_static_selectorELNS0_4arch9wavefront6targetE0EEEvT1_.has_recursion, 0
	.set _ZN7rocprim17ROCPRIM_400000_NS6detail17trampoline_kernelINS0_14default_configENS1_27scan_by_key_config_selectorIifEEZZNS1_16scan_by_key_implILNS1_25lookback_scan_determinismE0ELb0ES3_N6thrust23THRUST_200600_302600_NS6detail15normal_iteratorINS9_10device_ptrIiEEEENSB_INSC_IfEEEESG_fNS9_4plusIvEENS9_8equal_toIvEEfEE10hipError_tPvRmT2_T3_T4_T5_mT6_T7_P12ihipStream_tbENKUlT_T0_E_clISt17integral_constantIbLb1EES10_IbLb0EEEEDaSW_SX_EUlSW_E_NS1_11comp_targetILNS1_3genE5ELNS1_11target_archE942ELNS1_3gpuE9ELNS1_3repE0EEENS1_30default_config_static_selectorELNS0_4arch9wavefront6targetE0EEEvT1_.has_indirect_call, 0
	.section	.AMDGPU.csdata,"",@progbits
; Kernel info:
; codeLenInByte = 0
; TotalNumSgprs: 0
; NumVgprs: 0
; ScratchSize: 0
; MemoryBound: 0
; FloatMode: 240
; IeeeMode: 1
; LDSByteSize: 0 bytes/workgroup (compile time only)
; SGPRBlocks: 0
; VGPRBlocks: 0
; NumSGPRsForWavesPerEU: 1
; NumVGPRsForWavesPerEU: 1
; NamedBarCnt: 0
; Occupancy: 16
; WaveLimiterHint : 0
; COMPUTE_PGM_RSRC2:SCRATCH_EN: 0
; COMPUTE_PGM_RSRC2:USER_SGPR: 2
; COMPUTE_PGM_RSRC2:TRAP_HANDLER: 0
; COMPUTE_PGM_RSRC2:TGID_X_EN: 1
; COMPUTE_PGM_RSRC2:TGID_Y_EN: 0
; COMPUTE_PGM_RSRC2:TGID_Z_EN: 0
; COMPUTE_PGM_RSRC2:TIDIG_COMP_CNT: 0
	.section	.text._ZN7rocprim17ROCPRIM_400000_NS6detail17trampoline_kernelINS0_14default_configENS1_27scan_by_key_config_selectorIifEEZZNS1_16scan_by_key_implILNS1_25lookback_scan_determinismE0ELb0ES3_N6thrust23THRUST_200600_302600_NS6detail15normal_iteratorINS9_10device_ptrIiEEEENSB_INSC_IfEEEESG_fNS9_4plusIvEENS9_8equal_toIvEEfEE10hipError_tPvRmT2_T3_T4_T5_mT6_T7_P12ihipStream_tbENKUlT_T0_E_clISt17integral_constantIbLb1EES10_IbLb0EEEEDaSW_SX_EUlSW_E_NS1_11comp_targetILNS1_3genE4ELNS1_11target_archE910ELNS1_3gpuE8ELNS1_3repE0EEENS1_30default_config_static_selectorELNS0_4arch9wavefront6targetE0EEEvT1_,"axG",@progbits,_ZN7rocprim17ROCPRIM_400000_NS6detail17trampoline_kernelINS0_14default_configENS1_27scan_by_key_config_selectorIifEEZZNS1_16scan_by_key_implILNS1_25lookback_scan_determinismE0ELb0ES3_N6thrust23THRUST_200600_302600_NS6detail15normal_iteratorINS9_10device_ptrIiEEEENSB_INSC_IfEEEESG_fNS9_4plusIvEENS9_8equal_toIvEEfEE10hipError_tPvRmT2_T3_T4_T5_mT6_T7_P12ihipStream_tbENKUlT_T0_E_clISt17integral_constantIbLb1EES10_IbLb0EEEEDaSW_SX_EUlSW_E_NS1_11comp_targetILNS1_3genE4ELNS1_11target_archE910ELNS1_3gpuE8ELNS1_3repE0EEENS1_30default_config_static_selectorELNS0_4arch9wavefront6targetE0EEEvT1_,comdat
	.protected	_ZN7rocprim17ROCPRIM_400000_NS6detail17trampoline_kernelINS0_14default_configENS1_27scan_by_key_config_selectorIifEEZZNS1_16scan_by_key_implILNS1_25lookback_scan_determinismE0ELb0ES3_N6thrust23THRUST_200600_302600_NS6detail15normal_iteratorINS9_10device_ptrIiEEEENSB_INSC_IfEEEESG_fNS9_4plusIvEENS9_8equal_toIvEEfEE10hipError_tPvRmT2_T3_T4_T5_mT6_T7_P12ihipStream_tbENKUlT_T0_E_clISt17integral_constantIbLb1EES10_IbLb0EEEEDaSW_SX_EUlSW_E_NS1_11comp_targetILNS1_3genE4ELNS1_11target_archE910ELNS1_3gpuE8ELNS1_3repE0EEENS1_30default_config_static_selectorELNS0_4arch9wavefront6targetE0EEEvT1_ ; -- Begin function _ZN7rocprim17ROCPRIM_400000_NS6detail17trampoline_kernelINS0_14default_configENS1_27scan_by_key_config_selectorIifEEZZNS1_16scan_by_key_implILNS1_25lookback_scan_determinismE0ELb0ES3_N6thrust23THRUST_200600_302600_NS6detail15normal_iteratorINS9_10device_ptrIiEEEENSB_INSC_IfEEEESG_fNS9_4plusIvEENS9_8equal_toIvEEfEE10hipError_tPvRmT2_T3_T4_T5_mT6_T7_P12ihipStream_tbENKUlT_T0_E_clISt17integral_constantIbLb1EES10_IbLb0EEEEDaSW_SX_EUlSW_E_NS1_11comp_targetILNS1_3genE4ELNS1_11target_archE910ELNS1_3gpuE8ELNS1_3repE0EEENS1_30default_config_static_selectorELNS0_4arch9wavefront6targetE0EEEvT1_
	.globl	_ZN7rocprim17ROCPRIM_400000_NS6detail17trampoline_kernelINS0_14default_configENS1_27scan_by_key_config_selectorIifEEZZNS1_16scan_by_key_implILNS1_25lookback_scan_determinismE0ELb0ES3_N6thrust23THRUST_200600_302600_NS6detail15normal_iteratorINS9_10device_ptrIiEEEENSB_INSC_IfEEEESG_fNS9_4plusIvEENS9_8equal_toIvEEfEE10hipError_tPvRmT2_T3_T4_T5_mT6_T7_P12ihipStream_tbENKUlT_T0_E_clISt17integral_constantIbLb1EES10_IbLb0EEEEDaSW_SX_EUlSW_E_NS1_11comp_targetILNS1_3genE4ELNS1_11target_archE910ELNS1_3gpuE8ELNS1_3repE0EEENS1_30default_config_static_selectorELNS0_4arch9wavefront6targetE0EEEvT1_
	.p2align	8
	.type	_ZN7rocprim17ROCPRIM_400000_NS6detail17trampoline_kernelINS0_14default_configENS1_27scan_by_key_config_selectorIifEEZZNS1_16scan_by_key_implILNS1_25lookback_scan_determinismE0ELb0ES3_N6thrust23THRUST_200600_302600_NS6detail15normal_iteratorINS9_10device_ptrIiEEEENSB_INSC_IfEEEESG_fNS9_4plusIvEENS9_8equal_toIvEEfEE10hipError_tPvRmT2_T3_T4_T5_mT6_T7_P12ihipStream_tbENKUlT_T0_E_clISt17integral_constantIbLb1EES10_IbLb0EEEEDaSW_SX_EUlSW_E_NS1_11comp_targetILNS1_3genE4ELNS1_11target_archE910ELNS1_3gpuE8ELNS1_3repE0EEENS1_30default_config_static_selectorELNS0_4arch9wavefront6targetE0EEEvT1_,@function
_ZN7rocprim17ROCPRIM_400000_NS6detail17trampoline_kernelINS0_14default_configENS1_27scan_by_key_config_selectorIifEEZZNS1_16scan_by_key_implILNS1_25lookback_scan_determinismE0ELb0ES3_N6thrust23THRUST_200600_302600_NS6detail15normal_iteratorINS9_10device_ptrIiEEEENSB_INSC_IfEEEESG_fNS9_4plusIvEENS9_8equal_toIvEEfEE10hipError_tPvRmT2_T3_T4_T5_mT6_T7_P12ihipStream_tbENKUlT_T0_E_clISt17integral_constantIbLb1EES10_IbLb0EEEEDaSW_SX_EUlSW_E_NS1_11comp_targetILNS1_3genE4ELNS1_11target_archE910ELNS1_3gpuE8ELNS1_3repE0EEENS1_30default_config_static_selectorELNS0_4arch9wavefront6targetE0EEEvT1_: ; @_ZN7rocprim17ROCPRIM_400000_NS6detail17trampoline_kernelINS0_14default_configENS1_27scan_by_key_config_selectorIifEEZZNS1_16scan_by_key_implILNS1_25lookback_scan_determinismE0ELb0ES3_N6thrust23THRUST_200600_302600_NS6detail15normal_iteratorINS9_10device_ptrIiEEEENSB_INSC_IfEEEESG_fNS9_4plusIvEENS9_8equal_toIvEEfEE10hipError_tPvRmT2_T3_T4_T5_mT6_T7_P12ihipStream_tbENKUlT_T0_E_clISt17integral_constantIbLb1EES10_IbLb0EEEEDaSW_SX_EUlSW_E_NS1_11comp_targetILNS1_3genE4ELNS1_11target_archE910ELNS1_3gpuE8ELNS1_3repE0EEENS1_30default_config_static_selectorELNS0_4arch9wavefront6targetE0EEEvT1_
; %bb.0:
	.section	.rodata,"a",@progbits
	.p2align	6, 0x0
	.amdhsa_kernel _ZN7rocprim17ROCPRIM_400000_NS6detail17trampoline_kernelINS0_14default_configENS1_27scan_by_key_config_selectorIifEEZZNS1_16scan_by_key_implILNS1_25lookback_scan_determinismE0ELb0ES3_N6thrust23THRUST_200600_302600_NS6detail15normal_iteratorINS9_10device_ptrIiEEEENSB_INSC_IfEEEESG_fNS9_4plusIvEENS9_8equal_toIvEEfEE10hipError_tPvRmT2_T3_T4_T5_mT6_T7_P12ihipStream_tbENKUlT_T0_E_clISt17integral_constantIbLb1EES10_IbLb0EEEEDaSW_SX_EUlSW_E_NS1_11comp_targetILNS1_3genE4ELNS1_11target_archE910ELNS1_3gpuE8ELNS1_3repE0EEENS1_30default_config_static_selectorELNS0_4arch9wavefront6targetE0EEEvT1_
		.amdhsa_group_segment_fixed_size 0
		.amdhsa_private_segment_fixed_size 0
		.amdhsa_kernarg_size 112
		.amdhsa_user_sgpr_count 2
		.amdhsa_user_sgpr_dispatch_ptr 0
		.amdhsa_user_sgpr_queue_ptr 0
		.amdhsa_user_sgpr_kernarg_segment_ptr 1
		.amdhsa_user_sgpr_dispatch_id 0
		.amdhsa_user_sgpr_kernarg_preload_length 0
		.amdhsa_user_sgpr_kernarg_preload_offset 0
		.amdhsa_user_sgpr_private_segment_size 0
		.amdhsa_wavefront_size32 1
		.amdhsa_uses_dynamic_stack 0
		.amdhsa_enable_private_segment 0
		.amdhsa_system_sgpr_workgroup_id_x 1
		.amdhsa_system_sgpr_workgroup_id_y 0
		.amdhsa_system_sgpr_workgroup_id_z 0
		.amdhsa_system_sgpr_workgroup_info 0
		.amdhsa_system_vgpr_workitem_id 0
		.amdhsa_next_free_vgpr 1
		.amdhsa_next_free_sgpr 1
		.amdhsa_named_barrier_count 0
		.amdhsa_reserve_vcc 0
		.amdhsa_float_round_mode_32 0
		.amdhsa_float_round_mode_16_64 0
		.amdhsa_float_denorm_mode_32 3
		.amdhsa_float_denorm_mode_16_64 3
		.amdhsa_fp16_overflow 0
		.amdhsa_memory_ordered 1
		.amdhsa_forward_progress 1
		.amdhsa_inst_pref_size 0
		.amdhsa_round_robin_scheduling 0
		.amdhsa_exception_fp_ieee_invalid_op 0
		.amdhsa_exception_fp_denorm_src 0
		.amdhsa_exception_fp_ieee_div_zero 0
		.amdhsa_exception_fp_ieee_overflow 0
		.amdhsa_exception_fp_ieee_underflow 0
		.amdhsa_exception_fp_ieee_inexact 0
		.amdhsa_exception_int_div_zero 0
	.end_amdhsa_kernel
	.section	.text._ZN7rocprim17ROCPRIM_400000_NS6detail17trampoline_kernelINS0_14default_configENS1_27scan_by_key_config_selectorIifEEZZNS1_16scan_by_key_implILNS1_25lookback_scan_determinismE0ELb0ES3_N6thrust23THRUST_200600_302600_NS6detail15normal_iteratorINS9_10device_ptrIiEEEENSB_INSC_IfEEEESG_fNS9_4plusIvEENS9_8equal_toIvEEfEE10hipError_tPvRmT2_T3_T4_T5_mT6_T7_P12ihipStream_tbENKUlT_T0_E_clISt17integral_constantIbLb1EES10_IbLb0EEEEDaSW_SX_EUlSW_E_NS1_11comp_targetILNS1_3genE4ELNS1_11target_archE910ELNS1_3gpuE8ELNS1_3repE0EEENS1_30default_config_static_selectorELNS0_4arch9wavefront6targetE0EEEvT1_,"axG",@progbits,_ZN7rocprim17ROCPRIM_400000_NS6detail17trampoline_kernelINS0_14default_configENS1_27scan_by_key_config_selectorIifEEZZNS1_16scan_by_key_implILNS1_25lookback_scan_determinismE0ELb0ES3_N6thrust23THRUST_200600_302600_NS6detail15normal_iteratorINS9_10device_ptrIiEEEENSB_INSC_IfEEEESG_fNS9_4plusIvEENS9_8equal_toIvEEfEE10hipError_tPvRmT2_T3_T4_T5_mT6_T7_P12ihipStream_tbENKUlT_T0_E_clISt17integral_constantIbLb1EES10_IbLb0EEEEDaSW_SX_EUlSW_E_NS1_11comp_targetILNS1_3genE4ELNS1_11target_archE910ELNS1_3gpuE8ELNS1_3repE0EEENS1_30default_config_static_selectorELNS0_4arch9wavefront6targetE0EEEvT1_,comdat
.Lfunc_end1155:
	.size	_ZN7rocprim17ROCPRIM_400000_NS6detail17trampoline_kernelINS0_14default_configENS1_27scan_by_key_config_selectorIifEEZZNS1_16scan_by_key_implILNS1_25lookback_scan_determinismE0ELb0ES3_N6thrust23THRUST_200600_302600_NS6detail15normal_iteratorINS9_10device_ptrIiEEEENSB_INSC_IfEEEESG_fNS9_4plusIvEENS9_8equal_toIvEEfEE10hipError_tPvRmT2_T3_T4_T5_mT6_T7_P12ihipStream_tbENKUlT_T0_E_clISt17integral_constantIbLb1EES10_IbLb0EEEEDaSW_SX_EUlSW_E_NS1_11comp_targetILNS1_3genE4ELNS1_11target_archE910ELNS1_3gpuE8ELNS1_3repE0EEENS1_30default_config_static_selectorELNS0_4arch9wavefront6targetE0EEEvT1_, .Lfunc_end1155-_ZN7rocprim17ROCPRIM_400000_NS6detail17trampoline_kernelINS0_14default_configENS1_27scan_by_key_config_selectorIifEEZZNS1_16scan_by_key_implILNS1_25lookback_scan_determinismE0ELb0ES3_N6thrust23THRUST_200600_302600_NS6detail15normal_iteratorINS9_10device_ptrIiEEEENSB_INSC_IfEEEESG_fNS9_4plusIvEENS9_8equal_toIvEEfEE10hipError_tPvRmT2_T3_T4_T5_mT6_T7_P12ihipStream_tbENKUlT_T0_E_clISt17integral_constantIbLb1EES10_IbLb0EEEEDaSW_SX_EUlSW_E_NS1_11comp_targetILNS1_3genE4ELNS1_11target_archE910ELNS1_3gpuE8ELNS1_3repE0EEENS1_30default_config_static_selectorELNS0_4arch9wavefront6targetE0EEEvT1_
                                        ; -- End function
	.set _ZN7rocprim17ROCPRIM_400000_NS6detail17trampoline_kernelINS0_14default_configENS1_27scan_by_key_config_selectorIifEEZZNS1_16scan_by_key_implILNS1_25lookback_scan_determinismE0ELb0ES3_N6thrust23THRUST_200600_302600_NS6detail15normal_iteratorINS9_10device_ptrIiEEEENSB_INSC_IfEEEESG_fNS9_4plusIvEENS9_8equal_toIvEEfEE10hipError_tPvRmT2_T3_T4_T5_mT6_T7_P12ihipStream_tbENKUlT_T0_E_clISt17integral_constantIbLb1EES10_IbLb0EEEEDaSW_SX_EUlSW_E_NS1_11comp_targetILNS1_3genE4ELNS1_11target_archE910ELNS1_3gpuE8ELNS1_3repE0EEENS1_30default_config_static_selectorELNS0_4arch9wavefront6targetE0EEEvT1_.num_vgpr, 0
	.set _ZN7rocprim17ROCPRIM_400000_NS6detail17trampoline_kernelINS0_14default_configENS1_27scan_by_key_config_selectorIifEEZZNS1_16scan_by_key_implILNS1_25lookback_scan_determinismE0ELb0ES3_N6thrust23THRUST_200600_302600_NS6detail15normal_iteratorINS9_10device_ptrIiEEEENSB_INSC_IfEEEESG_fNS9_4plusIvEENS9_8equal_toIvEEfEE10hipError_tPvRmT2_T3_T4_T5_mT6_T7_P12ihipStream_tbENKUlT_T0_E_clISt17integral_constantIbLb1EES10_IbLb0EEEEDaSW_SX_EUlSW_E_NS1_11comp_targetILNS1_3genE4ELNS1_11target_archE910ELNS1_3gpuE8ELNS1_3repE0EEENS1_30default_config_static_selectorELNS0_4arch9wavefront6targetE0EEEvT1_.num_agpr, 0
	.set _ZN7rocprim17ROCPRIM_400000_NS6detail17trampoline_kernelINS0_14default_configENS1_27scan_by_key_config_selectorIifEEZZNS1_16scan_by_key_implILNS1_25lookback_scan_determinismE0ELb0ES3_N6thrust23THRUST_200600_302600_NS6detail15normal_iteratorINS9_10device_ptrIiEEEENSB_INSC_IfEEEESG_fNS9_4plusIvEENS9_8equal_toIvEEfEE10hipError_tPvRmT2_T3_T4_T5_mT6_T7_P12ihipStream_tbENKUlT_T0_E_clISt17integral_constantIbLb1EES10_IbLb0EEEEDaSW_SX_EUlSW_E_NS1_11comp_targetILNS1_3genE4ELNS1_11target_archE910ELNS1_3gpuE8ELNS1_3repE0EEENS1_30default_config_static_selectorELNS0_4arch9wavefront6targetE0EEEvT1_.numbered_sgpr, 0
	.set _ZN7rocprim17ROCPRIM_400000_NS6detail17trampoline_kernelINS0_14default_configENS1_27scan_by_key_config_selectorIifEEZZNS1_16scan_by_key_implILNS1_25lookback_scan_determinismE0ELb0ES3_N6thrust23THRUST_200600_302600_NS6detail15normal_iteratorINS9_10device_ptrIiEEEENSB_INSC_IfEEEESG_fNS9_4plusIvEENS9_8equal_toIvEEfEE10hipError_tPvRmT2_T3_T4_T5_mT6_T7_P12ihipStream_tbENKUlT_T0_E_clISt17integral_constantIbLb1EES10_IbLb0EEEEDaSW_SX_EUlSW_E_NS1_11comp_targetILNS1_3genE4ELNS1_11target_archE910ELNS1_3gpuE8ELNS1_3repE0EEENS1_30default_config_static_selectorELNS0_4arch9wavefront6targetE0EEEvT1_.num_named_barrier, 0
	.set _ZN7rocprim17ROCPRIM_400000_NS6detail17trampoline_kernelINS0_14default_configENS1_27scan_by_key_config_selectorIifEEZZNS1_16scan_by_key_implILNS1_25lookback_scan_determinismE0ELb0ES3_N6thrust23THRUST_200600_302600_NS6detail15normal_iteratorINS9_10device_ptrIiEEEENSB_INSC_IfEEEESG_fNS9_4plusIvEENS9_8equal_toIvEEfEE10hipError_tPvRmT2_T3_T4_T5_mT6_T7_P12ihipStream_tbENKUlT_T0_E_clISt17integral_constantIbLb1EES10_IbLb0EEEEDaSW_SX_EUlSW_E_NS1_11comp_targetILNS1_3genE4ELNS1_11target_archE910ELNS1_3gpuE8ELNS1_3repE0EEENS1_30default_config_static_selectorELNS0_4arch9wavefront6targetE0EEEvT1_.private_seg_size, 0
	.set _ZN7rocprim17ROCPRIM_400000_NS6detail17trampoline_kernelINS0_14default_configENS1_27scan_by_key_config_selectorIifEEZZNS1_16scan_by_key_implILNS1_25lookback_scan_determinismE0ELb0ES3_N6thrust23THRUST_200600_302600_NS6detail15normal_iteratorINS9_10device_ptrIiEEEENSB_INSC_IfEEEESG_fNS9_4plusIvEENS9_8equal_toIvEEfEE10hipError_tPvRmT2_T3_T4_T5_mT6_T7_P12ihipStream_tbENKUlT_T0_E_clISt17integral_constantIbLb1EES10_IbLb0EEEEDaSW_SX_EUlSW_E_NS1_11comp_targetILNS1_3genE4ELNS1_11target_archE910ELNS1_3gpuE8ELNS1_3repE0EEENS1_30default_config_static_selectorELNS0_4arch9wavefront6targetE0EEEvT1_.uses_vcc, 0
	.set _ZN7rocprim17ROCPRIM_400000_NS6detail17trampoline_kernelINS0_14default_configENS1_27scan_by_key_config_selectorIifEEZZNS1_16scan_by_key_implILNS1_25lookback_scan_determinismE0ELb0ES3_N6thrust23THRUST_200600_302600_NS6detail15normal_iteratorINS9_10device_ptrIiEEEENSB_INSC_IfEEEESG_fNS9_4plusIvEENS9_8equal_toIvEEfEE10hipError_tPvRmT2_T3_T4_T5_mT6_T7_P12ihipStream_tbENKUlT_T0_E_clISt17integral_constantIbLb1EES10_IbLb0EEEEDaSW_SX_EUlSW_E_NS1_11comp_targetILNS1_3genE4ELNS1_11target_archE910ELNS1_3gpuE8ELNS1_3repE0EEENS1_30default_config_static_selectorELNS0_4arch9wavefront6targetE0EEEvT1_.uses_flat_scratch, 0
	.set _ZN7rocprim17ROCPRIM_400000_NS6detail17trampoline_kernelINS0_14default_configENS1_27scan_by_key_config_selectorIifEEZZNS1_16scan_by_key_implILNS1_25lookback_scan_determinismE0ELb0ES3_N6thrust23THRUST_200600_302600_NS6detail15normal_iteratorINS9_10device_ptrIiEEEENSB_INSC_IfEEEESG_fNS9_4plusIvEENS9_8equal_toIvEEfEE10hipError_tPvRmT2_T3_T4_T5_mT6_T7_P12ihipStream_tbENKUlT_T0_E_clISt17integral_constantIbLb1EES10_IbLb0EEEEDaSW_SX_EUlSW_E_NS1_11comp_targetILNS1_3genE4ELNS1_11target_archE910ELNS1_3gpuE8ELNS1_3repE0EEENS1_30default_config_static_selectorELNS0_4arch9wavefront6targetE0EEEvT1_.has_dyn_sized_stack, 0
	.set _ZN7rocprim17ROCPRIM_400000_NS6detail17trampoline_kernelINS0_14default_configENS1_27scan_by_key_config_selectorIifEEZZNS1_16scan_by_key_implILNS1_25lookback_scan_determinismE0ELb0ES3_N6thrust23THRUST_200600_302600_NS6detail15normal_iteratorINS9_10device_ptrIiEEEENSB_INSC_IfEEEESG_fNS9_4plusIvEENS9_8equal_toIvEEfEE10hipError_tPvRmT2_T3_T4_T5_mT6_T7_P12ihipStream_tbENKUlT_T0_E_clISt17integral_constantIbLb1EES10_IbLb0EEEEDaSW_SX_EUlSW_E_NS1_11comp_targetILNS1_3genE4ELNS1_11target_archE910ELNS1_3gpuE8ELNS1_3repE0EEENS1_30default_config_static_selectorELNS0_4arch9wavefront6targetE0EEEvT1_.has_recursion, 0
	.set _ZN7rocprim17ROCPRIM_400000_NS6detail17trampoline_kernelINS0_14default_configENS1_27scan_by_key_config_selectorIifEEZZNS1_16scan_by_key_implILNS1_25lookback_scan_determinismE0ELb0ES3_N6thrust23THRUST_200600_302600_NS6detail15normal_iteratorINS9_10device_ptrIiEEEENSB_INSC_IfEEEESG_fNS9_4plusIvEENS9_8equal_toIvEEfEE10hipError_tPvRmT2_T3_T4_T5_mT6_T7_P12ihipStream_tbENKUlT_T0_E_clISt17integral_constantIbLb1EES10_IbLb0EEEEDaSW_SX_EUlSW_E_NS1_11comp_targetILNS1_3genE4ELNS1_11target_archE910ELNS1_3gpuE8ELNS1_3repE0EEENS1_30default_config_static_selectorELNS0_4arch9wavefront6targetE0EEEvT1_.has_indirect_call, 0
	.section	.AMDGPU.csdata,"",@progbits
; Kernel info:
; codeLenInByte = 0
; TotalNumSgprs: 0
; NumVgprs: 0
; ScratchSize: 0
; MemoryBound: 0
; FloatMode: 240
; IeeeMode: 1
; LDSByteSize: 0 bytes/workgroup (compile time only)
; SGPRBlocks: 0
; VGPRBlocks: 0
; NumSGPRsForWavesPerEU: 1
; NumVGPRsForWavesPerEU: 1
; NamedBarCnt: 0
; Occupancy: 16
; WaveLimiterHint : 0
; COMPUTE_PGM_RSRC2:SCRATCH_EN: 0
; COMPUTE_PGM_RSRC2:USER_SGPR: 2
; COMPUTE_PGM_RSRC2:TRAP_HANDLER: 0
; COMPUTE_PGM_RSRC2:TGID_X_EN: 1
; COMPUTE_PGM_RSRC2:TGID_Y_EN: 0
; COMPUTE_PGM_RSRC2:TGID_Z_EN: 0
; COMPUTE_PGM_RSRC2:TIDIG_COMP_CNT: 0
	.section	.text._ZN7rocprim17ROCPRIM_400000_NS6detail17trampoline_kernelINS0_14default_configENS1_27scan_by_key_config_selectorIifEEZZNS1_16scan_by_key_implILNS1_25lookback_scan_determinismE0ELb0ES3_N6thrust23THRUST_200600_302600_NS6detail15normal_iteratorINS9_10device_ptrIiEEEENSB_INSC_IfEEEESG_fNS9_4plusIvEENS9_8equal_toIvEEfEE10hipError_tPvRmT2_T3_T4_T5_mT6_T7_P12ihipStream_tbENKUlT_T0_E_clISt17integral_constantIbLb1EES10_IbLb0EEEEDaSW_SX_EUlSW_E_NS1_11comp_targetILNS1_3genE3ELNS1_11target_archE908ELNS1_3gpuE7ELNS1_3repE0EEENS1_30default_config_static_selectorELNS0_4arch9wavefront6targetE0EEEvT1_,"axG",@progbits,_ZN7rocprim17ROCPRIM_400000_NS6detail17trampoline_kernelINS0_14default_configENS1_27scan_by_key_config_selectorIifEEZZNS1_16scan_by_key_implILNS1_25lookback_scan_determinismE0ELb0ES3_N6thrust23THRUST_200600_302600_NS6detail15normal_iteratorINS9_10device_ptrIiEEEENSB_INSC_IfEEEESG_fNS9_4plusIvEENS9_8equal_toIvEEfEE10hipError_tPvRmT2_T3_T4_T5_mT6_T7_P12ihipStream_tbENKUlT_T0_E_clISt17integral_constantIbLb1EES10_IbLb0EEEEDaSW_SX_EUlSW_E_NS1_11comp_targetILNS1_3genE3ELNS1_11target_archE908ELNS1_3gpuE7ELNS1_3repE0EEENS1_30default_config_static_selectorELNS0_4arch9wavefront6targetE0EEEvT1_,comdat
	.protected	_ZN7rocprim17ROCPRIM_400000_NS6detail17trampoline_kernelINS0_14default_configENS1_27scan_by_key_config_selectorIifEEZZNS1_16scan_by_key_implILNS1_25lookback_scan_determinismE0ELb0ES3_N6thrust23THRUST_200600_302600_NS6detail15normal_iteratorINS9_10device_ptrIiEEEENSB_INSC_IfEEEESG_fNS9_4plusIvEENS9_8equal_toIvEEfEE10hipError_tPvRmT2_T3_T4_T5_mT6_T7_P12ihipStream_tbENKUlT_T0_E_clISt17integral_constantIbLb1EES10_IbLb0EEEEDaSW_SX_EUlSW_E_NS1_11comp_targetILNS1_3genE3ELNS1_11target_archE908ELNS1_3gpuE7ELNS1_3repE0EEENS1_30default_config_static_selectorELNS0_4arch9wavefront6targetE0EEEvT1_ ; -- Begin function _ZN7rocprim17ROCPRIM_400000_NS6detail17trampoline_kernelINS0_14default_configENS1_27scan_by_key_config_selectorIifEEZZNS1_16scan_by_key_implILNS1_25lookback_scan_determinismE0ELb0ES3_N6thrust23THRUST_200600_302600_NS6detail15normal_iteratorINS9_10device_ptrIiEEEENSB_INSC_IfEEEESG_fNS9_4plusIvEENS9_8equal_toIvEEfEE10hipError_tPvRmT2_T3_T4_T5_mT6_T7_P12ihipStream_tbENKUlT_T0_E_clISt17integral_constantIbLb1EES10_IbLb0EEEEDaSW_SX_EUlSW_E_NS1_11comp_targetILNS1_3genE3ELNS1_11target_archE908ELNS1_3gpuE7ELNS1_3repE0EEENS1_30default_config_static_selectorELNS0_4arch9wavefront6targetE0EEEvT1_
	.globl	_ZN7rocprim17ROCPRIM_400000_NS6detail17trampoline_kernelINS0_14default_configENS1_27scan_by_key_config_selectorIifEEZZNS1_16scan_by_key_implILNS1_25lookback_scan_determinismE0ELb0ES3_N6thrust23THRUST_200600_302600_NS6detail15normal_iteratorINS9_10device_ptrIiEEEENSB_INSC_IfEEEESG_fNS9_4plusIvEENS9_8equal_toIvEEfEE10hipError_tPvRmT2_T3_T4_T5_mT6_T7_P12ihipStream_tbENKUlT_T0_E_clISt17integral_constantIbLb1EES10_IbLb0EEEEDaSW_SX_EUlSW_E_NS1_11comp_targetILNS1_3genE3ELNS1_11target_archE908ELNS1_3gpuE7ELNS1_3repE0EEENS1_30default_config_static_selectorELNS0_4arch9wavefront6targetE0EEEvT1_
	.p2align	8
	.type	_ZN7rocprim17ROCPRIM_400000_NS6detail17trampoline_kernelINS0_14default_configENS1_27scan_by_key_config_selectorIifEEZZNS1_16scan_by_key_implILNS1_25lookback_scan_determinismE0ELb0ES3_N6thrust23THRUST_200600_302600_NS6detail15normal_iteratorINS9_10device_ptrIiEEEENSB_INSC_IfEEEESG_fNS9_4plusIvEENS9_8equal_toIvEEfEE10hipError_tPvRmT2_T3_T4_T5_mT6_T7_P12ihipStream_tbENKUlT_T0_E_clISt17integral_constantIbLb1EES10_IbLb0EEEEDaSW_SX_EUlSW_E_NS1_11comp_targetILNS1_3genE3ELNS1_11target_archE908ELNS1_3gpuE7ELNS1_3repE0EEENS1_30default_config_static_selectorELNS0_4arch9wavefront6targetE0EEEvT1_,@function
_ZN7rocprim17ROCPRIM_400000_NS6detail17trampoline_kernelINS0_14default_configENS1_27scan_by_key_config_selectorIifEEZZNS1_16scan_by_key_implILNS1_25lookback_scan_determinismE0ELb0ES3_N6thrust23THRUST_200600_302600_NS6detail15normal_iteratorINS9_10device_ptrIiEEEENSB_INSC_IfEEEESG_fNS9_4plusIvEENS9_8equal_toIvEEfEE10hipError_tPvRmT2_T3_T4_T5_mT6_T7_P12ihipStream_tbENKUlT_T0_E_clISt17integral_constantIbLb1EES10_IbLb0EEEEDaSW_SX_EUlSW_E_NS1_11comp_targetILNS1_3genE3ELNS1_11target_archE908ELNS1_3gpuE7ELNS1_3repE0EEENS1_30default_config_static_selectorELNS0_4arch9wavefront6targetE0EEEvT1_: ; @_ZN7rocprim17ROCPRIM_400000_NS6detail17trampoline_kernelINS0_14default_configENS1_27scan_by_key_config_selectorIifEEZZNS1_16scan_by_key_implILNS1_25lookback_scan_determinismE0ELb0ES3_N6thrust23THRUST_200600_302600_NS6detail15normal_iteratorINS9_10device_ptrIiEEEENSB_INSC_IfEEEESG_fNS9_4plusIvEENS9_8equal_toIvEEfEE10hipError_tPvRmT2_T3_T4_T5_mT6_T7_P12ihipStream_tbENKUlT_T0_E_clISt17integral_constantIbLb1EES10_IbLb0EEEEDaSW_SX_EUlSW_E_NS1_11comp_targetILNS1_3genE3ELNS1_11target_archE908ELNS1_3gpuE7ELNS1_3repE0EEENS1_30default_config_static_selectorELNS0_4arch9wavefront6targetE0EEEvT1_
; %bb.0:
	.section	.rodata,"a",@progbits
	.p2align	6, 0x0
	.amdhsa_kernel _ZN7rocprim17ROCPRIM_400000_NS6detail17trampoline_kernelINS0_14default_configENS1_27scan_by_key_config_selectorIifEEZZNS1_16scan_by_key_implILNS1_25lookback_scan_determinismE0ELb0ES3_N6thrust23THRUST_200600_302600_NS6detail15normal_iteratorINS9_10device_ptrIiEEEENSB_INSC_IfEEEESG_fNS9_4plusIvEENS9_8equal_toIvEEfEE10hipError_tPvRmT2_T3_T4_T5_mT6_T7_P12ihipStream_tbENKUlT_T0_E_clISt17integral_constantIbLb1EES10_IbLb0EEEEDaSW_SX_EUlSW_E_NS1_11comp_targetILNS1_3genE3ELNS1_11target_archE908ELNS1_3gpuE7ELNS1_3repE0EEENS1_30default_config_static_selectorELNS0_4arch9wavefront6targetE0EEEvT1_
		.amdhsa_group_segment_fixed_size 0
		.amdhsa_private_segment_fixed_size 0
		.amdhsa_kernarg_size 112
		.amdhsa_user_sgpr_count 2
		.amdhsa_user_sgpr_dispatch_ptr 0
		.amdhsa_user_sgpr_queue_ptr 0
		.amdhsa_user_sgpr_kernarg_segment_ptr 1
		.amdhsa_user_sgpr_dispatch_id 0
		.amdhsa_user_sgpr_kernarg_preload_length 0
		.amdhsa_user_sgpr_kernarg_preload_offset 0
		.amdhsa_user_sgpr_private_segment_size 0
		.amdhsa_wavefront_size32 1
		.amdhsa_uses_dynamic_stack 0
		.amdhsa_enable_private_segment 0
		.amdhsa_system_sgpr_workgroup_id_x 1
		.amdhsa_system_sgpr_workgroup_id_y 0
		.amdhsa_system_sgpr_workgroup_id_z 0
		.amdhsa_system_sgpr_workgroup_info 0
		.amdhsa_system_vgpr_workitem_id 0
		.amdhsa_next_free_vgpr 1
		.amdhsa_next_free_sgpr 1
		.amdhsa_named_barrier_count 0
		.amdhsa_reserve_vcc 0
		.amdhsa_float_round_mode_32 0
		.amdhsa_float_round_mode_16_64 0
		.amdhsa_float_denorm_mode_32 3
		.amdhsa_float_denorm_mode_16_64 3
		.amdhsa_fp16_overflow 0
		.amdhsa_memory_ordered 1
		.amdhsa_forward_progress 1
		.amdhsa_inst_pref_size 0
		.amdhsa_round_robin_scheduling 0
		.amdhsa_exception_fp_ieee_invalid_op 0
		.amdhsa_exception_fp_denorm_src 0
		.amdhsa_exception_fp_ieee_div_zero 0
		.amdhsa_exception_fp_ieee_overflow 0
		.amdhsa_exception_fp_ieee_underflow 0
		.amdhsa_exception_fp_ieee_inexact 0
		.amdhsa_exception_int_div_zero 0
	.end_amdhsa_kernel
	.section	.text._ZN7rocprim17ROCPRIM_400000_NS6detail17trampoline_kernelINS0_14default_configENS1_27scan_by_key_config_selectorIifEEZZNS1_16scan_by_key_implILNS1_25lookback_scan_determinismE0ELb0ES3_N6thrust23THRUST_200600_302600_NS6detail15normal_iteratorINS9_10device_ptrIiEEEENSB_INSC_IfEEEESG_fNS9_4plusIvEENS9_8equal_toIvEEfEE10hipError_tPvRmT2_T3_T4_T5_mT6_T7_P12ihipStream_tbENKUlT_T0_E_clISt17integral_constantIbLb1EES10_IbLb0EEEEDaSW_SX_EUlSW_E_NS1_11comp_targetILNS1_3genE3ELNS1_11target_archE908ELNS1_3gpuE7ELNS1_3repE0EEENS1_30default_config_static_selectorELNS0_4arch9wavefront6targetE0EEEvT1_,"axG",@progbits,_ZN7rocprim17ROCPRIM_400000_NS6detail17trampoline_kernelINS0_14default_configENS1_27scan_by_key_config_selectorIifEEZZNS1_16scan_by_key_implILNS1_25lookback_scan_determinismE0ELb0ES3_N6thrust23THRUST_200600_302600_NS6detail15normal_iteratorINS9_10device_ptrIiEEEENSB_INSC_IfEEEESG_fNS9_4plusIvEENS9_8equal_toIvEEfEE10hipError_tPvRmT2_T3_T4_T5_mT6_T7_P12ihipStream_tbENKUlT_T0_E_clISt17integral_constantIbLb1EES10_IbLb0EEEEDaSW_SX_EUlSW_E_NS1_11comp_targetILNS1_3genE3ELNS1_11target_archE908ELNS1_3gpuE7ELNS1_3repE0EEENS1_30default_config_static_selectorELNS0_4arch9wavefront6targetE0EEEvT1_,comdat
.Lfunc_end1156:
	.size	_ZN7rocprim17ROCPRIM_400000_NS6detail17trampoline_kernelINS0_14default_configENS1_27scan_by_key_config_selectorIifEEZZNS1_16scan_by_key_implILNS1_25lookback_scan_determinismE0ELb0ES3_N6thrust23THRUST_200600_302600_NS6detail15normal_iteratorINS9_10device_ptrIiEEEENSB_INSC_IfEEEESG_fNS9_4plusIvEENS9_8equal_toIvEEfEE10hipError_tPvRmT2_T3_T4_T5_mT6_T7_P12ihipStream_tbENKUlT_T0_E_clISt17integral_constantIbLb1EES10_IbLb0EEEEDaSW_SX_EUlSW_E_NS1_11comp_targetILNS1_3genE3ELNS1_11target_archE908ELNS1_3gpuE7ELNS1_3repE0EEENS1_30default_config_static_selectorELNS0_4arch9wavefront6targetE0EEEvT1_, .Lfunc_end1156-_ZN7rocprim17ROCPRIM_400000_NS6detail17trampoline_kernelINS0_14default_configENS1_27scan_by_key_config_selectorIifEEZZNS1_16scan_by_key_implILNS1_25lookback_scan_determinismE0ELb0ES3_N6thrust23THRUST_200600_302600_NS6detail15normal_iteratorINS9_10device_ptrIiEEEENSB_INSC_IfEEEESG_fNS9_4plusIvEENS9_8equal_toIvEEfEE10hipError_tPvRmT2_T3_T4_T5_mT6_T7_P12ihipStream_tbENKUlT_T0_E_clISt17integral_constantIbLb1EES10_IbLb0EEEEDaSW_SX_EUlSW_E_NS1_11comp_targetILNS1_3genE3ELNS1_11target_archE908ELNS1_3gpuE7ELNS1_3repE0EEENS1_30default_config_static_selectorELNS0_4arch9wavefront6targetE0EEEvT1_
                                        ; -- End function
	.set _ZN7rocprim17ROCPRIM_400000_NS6detail17trampoline_kernelINS0_14default_configENS1_27scan_by_key_config_selectorIifEEZZNS1_16scan_by_key_implILNS1_25lookback_scan_determinismE0ELb0ES3_N6thrust23THRUST_200600_302600_NS6detail15normal_iteratorINS9_10device_ptrIiEEEENSB_INSC_IfEEEESG_fNS9_4plusIvEENS9_8equal_toIvEEfEE10hipError_tPvRmT2_T3_T4_T5_mT6_T7_P12ihipStream_tbENKUlT_T0_E_clISt17integral_constantIbLb1EES10_IbLb0EEEEDaSW_SX_EUlSW_E_NS1_11comp_targetILNS1_3genE3ELNS1_11target_archE908ELNS1_3gpuE7ELNS1_3repE0EEENS1_30default_config_static_selectorELNS0_4arch9wavefront6targetE0EEEvT1_.num_vgpr, 0
	.set _ZN7rocprim17ROCPRIM_400000_NS6detail17trampoline_kernelINS0_14default_configENS1_27scan_by_key_config_selectorIifEEZZNS1_16scan_by_key_implILNS1_25lookback_scan_determinismE0ELb0ES3_N6thrust23THRUST_200600_302600_NS6detail15normal_iteratorINS9_10device_ptrIiEEEENSB_INSC_IfEEEESG_fNS9_4plusIvEENS9_8equal_toIvEEfEE10hipError_tPvRmT2_T3_T4_T5_mT6_T7_P12ihipStream_tbENKUlT_T0_E_clISt17integral_constantIbLb1EES10_IbLb0EEEEDaSW_SX_EUlSW_E_NS1_11comp_targetILNS1_3genE3ELNS1_11target_archE908ELNS1_3gpuE7ELNS1_3repE0EEENS1_30default_config_static_selectorELNS0_4arch9wavefront6targetE0EEEvT1_.num_agpr, 0
	.set _ZN7rocprim17ROCPRIM_400000_NS6detail17trampoline_kernelINS0_14default_configENS1_27scan_by_key_config_selectorIifEEZZNS1_16scan_by_key_implILNS1_25lookback_scan_determinismE0ELb0ES3_N6thrust23THRUST_200600_302600_NS6detail15normal_iteratorINS9_10device_ptrIiEEEENSB_INSC_IfEEEESG_fNS9_4plusIvEENS9_8equal_toIvEEfEE10hipError_tPvRmT2_T3_T4_T5_mT6_T7_P12ihipStream_tbENKUlT_T0_E_clISt17integral_constantIbLb1EES10_IbLb0EEEEDaSW_SX_EUlSW_E_NS1_11comp_targetILNS1_3genE3ELNS1_11target_archE908ELNS1_3gpuE7ELNS1_3repE0EEENS1_30default_config_static_selectorELNS0_4arch9wavefront6targetE0EEEvT1_.numbered_sgpr, 0
	.set _ZN7rocprim17ROCPRIM_400000_NS6detail17trampoline_kernelINS0_14default_configENS1_27scan_by_key_config_selectorIifEEZZNS1_16scan_by_key_implILNS1_25lookback_scan_determinismE0ELb0ES3_N6thrust23THRUST_200600_302600_NS6detail15normal_iteratorINS9_10device_ptrIiEEEENSB_INSC_IfEEEESG_fNS9_4plusIvEENS9_8equal_toIvEEfEE10hipError_tPvRmT2_T3_T4_T5_mT6_T7_P12ihipStream_tbENKUlT_T0_E_clISt17integral_constantIbLb1EES10_IbLb0EEEEDaSW_SX_EUlSW_E_NS1_11comp_targetILNS1_3genE3ELNS1_11target_archE908ELNS1_3gpuE7ELNS1_3repE0EEENS1_30default_config_static_selectorELNS0_4arch9wavefront6targetE0EEEvT1_.num_named_barrier, 0
	.set _ZN7rocprim17ROCPRIM_400000_NS6detail17trampoline_kernelINS0_14default_configENS1_27scan_by_key_config_selectorIifEEZZNS1_16scan_by_key_implILNS1_25lookback_scan_determinismE0ELb0ES3_N6thrust23THRUST_200600_302600_NS6detail15normal_iteratorINS9_10device_ptrIiEEEENSB_INSC_IfEEEESG_fNS9_4plusIvEENS9_8equal_toIvEEfEE10hipError_tPvRmT2_T3_T4_T5_mT6_T7_P12ihipStream_tbENKUlT_T0_E_clISt17integral_constantIbLb1EES10_IbLb0EEEEDaSW_SX_EUlSW_E_NS1_11comp_targetILNS1_3genE3ELNS1_11target_archE908ELNS1_3gpuE7ELNS1_3repE0EEENS1_30default_config_static_selectorELNS0_4arch9wavefront6targetE0EEEvT1_.private_seg_size, 0
	.set _ZN7rocprim17ROCPRIM_400000_NS6detail17trampoline_kernelINS0_14default_configENS1_27scan_by_key_config_selectorIifEEZZNS1_16scan_by_key_implILNS1_25lookback_scan_determinismE0ELb0ES3_N6thrust23THRUST_200600_302600_NS6detail15normal_iteratorINS9_10device_ptrIiEEEENSB_INSC_IfEEEESG_fNS9_4plusIvEENS9_8equal_toIvEEfEE10hipError_tPvRmT2_T3_T4_T5_mT6_T7_P12ihipStream_tbENKUlT_T0_E_clISt17integral_constantIbLb1EES10_IbLb0EEEEDaSW_SX_EUlSW_E_NS1_11comp_targetILNS1_3genE3ELNS1_11target_archE908ELNS1_3gpuE7ELNS1_3repE0EEENS1_30default_config_static_selectorELNS0_4arch9wavefront6targetE0EEEvT1_.uses_vcc, 0
	.set _ZN7rocprim17ROCPRIM_400000_NS6detail17trampoline_kernelINS0_14default_configENS1_27scan_by_key_config_selectorIifEEZZNS1_16scan_by_key_implILNS1_25lookback_scan_determinismE0ELb0ES3_N6thrust23THRUST_200600_302600_NS6detail15normal_iteratorINS9_10device_ptrIiEEEENSB_INSC_IfEEEESG_fNS9_4plusIvEENS9_8equal_toIvEEfEE10hipError_tPvRmT2_T3_T4_T5_mT6_T7_P12ihipStream_tbENKUlT_T0_E_clISt17integral_constantIbLb1EES10_IbLb0EEEEDaSW_SX_EUlSW_E_NS1_11comp_targetILNS1_3genE3ELNS1_11target_archE908ELNS1_3gpuE7ELNS1_3repE0EEENS1_30default_config_static_selectorELNS0_4arch9wavefront6targetE0EEEvT1_.uses_flat_scratch, 0
	.set _ZN7rocprim17ROCPRIM_400000_NS6detail17trampoline_kernelINS0_14default_configENS1_27scan_by_key_config_selectorIifEEZZNS1_16scan_by_key_implILNS1_25lookback_scan_determinismE0ELb0ES3_N6thrust23THRUST_200600_302600_NS6detail15normal_iteratorINS9_10device_ptrIiEEEENSB_INSC_IfEEEESG_fNS9_4plusIvEENS9_8equal_toIvEEfEE10hipError_tPvRmT2_T3_T4_T5_mT6_T7_P12ihipStream_tbENKUlT_T0_E_clISt17integral_constantIbLb1EES10_IbLb0EEEEDaSW_SX_EUlSW_E_NS1_11comp_targetILNS1_3genE3ELNS1_11target_archE908ELNS1_3gpuE7ELNS1_3repE0EEENS1_30default_config_static_selectorELNS0_4arch9wavefront6targetE0EEEvT1_.has_dyn_sized_stack, 0
	.set _ZN7rocprim17ROCPRIM_400000_NS6detail17trampoline_kernelINS0_14default_configENS1_27scan_by_key_config_selectorIifEEZZNS1_16scan_by_key_implILNS1_25lookback_scan_determinismE0ELb0ES3_N6thrust23THRUST_200600_302600_NS6detail15normal_iteratorINS9_10device_ptrIiEEEENSB_INSC_IfEEEESG_fNS9_4plusIvEENS9_8equal_toIvEEfEE10hipError_tPvRmT2_T3_T4_T5_mT6_T7_P12ihipStream_tbENKUlT_T0_E_clISt17integral_constantIbLb1EES10_IbLb0EEEEDaSW_SX_EUlSW_E_NS1_11comp_targetILNS1_3genE3ELNS1_11target_archE908ELNS1_3gpuE7ELNS1_3repE0EEENS1_30default_config_static_selectorELNS0_4arch9wavefront6targetE0EEEvT1_.has_recursion, 0
	.set _ZN7rocprim17ROCPRIM_400000_NS6detail17trampoline_kernelINS0_14default_configENS1_27scan_by_key_config_selectorIifEEZZNS1_16scan_by_key_implILNS1_25lookback_scan_determinismE0ELb0ES3_N6thrust23THRUST_200600_302600_NS6detail15normal_iteratorINS9_10device_ptrIiEEEENSB_INSC_IfEEEESG_fNS9_4plusIvEENS9_8equal_toIvEEfEE10hipError_tPvRmT2_T3_T4_T5_mT6_T7_P12ihipStream_tbENKUlT_T0_E_clISt17integral_constantIbLb1EES10_IbLb0EEEEDaSW_SX_EUlSW_E_NS1_11comp_targetILNS1_3genE3ELNS1_11target_archE908ELNS1_3gpuE7ELNS1_3repE0EEENS1_30default_config_static_selectorELNS0_4arch9wavefront6targetE0EEEvT1_.has_indirect_call, 0
	.section	.AMDGPU.csdata,"",@progbits
; Kernel info:
; codeLenInByte = 0
; TotalNumSgprs: 0
; NumVgprs: 0
; ScratchSize: 0
; MemoryBound: 0
; FloatMode: 240
; IeeeMode: 1
; LDSByteSize: 0 bytes/workgroup (compile time only)
; SGPRBlocks: 0
; VGPRBlocks: 0
; NumSGPRsForWavesPerEU: 1
; NumVGPRsForWavesPerEU: 1
; NamedBarCnt: 0
; Occupancy: 16
; WaveLimiterHint : 0
; COMPUTE_PGM_RSRC2:SCRATCH_EN: 0
; COMPUTE_PGM_RSRC2:USER_SGPR: 2
; COMPUTE_PGM_RSRC2:TRAP_HANDLER: 0
; COMPUTE_PGM_RSRC2:TGID_X_EN: 1
; COMPUTE_PGM_RSRC2:TGID_Y_EN: 0
; COMPUTE_PGM_RSRC2:TGID_Z_EN: 0
; COMPUTE_PGM_RSRC2:TIDIG_COMP_CNT: 0
	.section	.text._ZN7rocprim17ROCPRIM_400000_NS6detail17trampoline_kernelINS0_14default_configENS1_27scan_by_key_config_selectorIifEEZZNS1_16scan_by_key_implILNS1_25lookback_scan_determinismE0ELb0ES3_N6thrust23THRUST_200600_302600_NS6detail15normal_iteratorINS9_10device_ptrIiEEEENSB_INSC_IfEEEESG_fNS9_4plusIvEENS9_8equal_toIvEEfEE10hipError_tPvRmT2_T3_T4_T5_mT6_T7_P12ihipStream_tbENKUlT_T0_E_clISt17integral_constantIbLb1EES10_IbLb0EEEEDaSW_SX_EUlSW_E_NS1_11comp_targetILNS1_3genE2ELNS1_11target_archE906ELNS1_3gpuE6ELNS1_3repE0EEENS1_30default_config_static_selectorELNS0_4arch9wavefront6targetE0EEEvT1_,"axG",@progbits,_ZN7rocprim17ROCPRIM_400000_NS6detail17trampoline_kernelINS0_14default_configENS1_27scan_by_key_config_selectorIifEEZZNS1_16scan_by_key_implILNS1_25lookback_scan_determinismE0ELb0ES3_N6thrust23THRUST_200600_302600_NS6detail15normal_iteratorINS9_10device_ptrIiEEEENSB_INSC_IfEEEESG_fNS9_4plusIvEENS9_8equal_toIvEEfEE10hipError_tPvRmT2_T3_T4_T5_mT6_T7_P12ihipStream_tbENKUlT_T0_E_clISt17integral_constantIbLb1EES10_IbLb0EEEEDaSW_SX_EUlSW_E_NS1_11comp_targetILNS1_3genE2ELNS1_11target_archE906ELNS1_3gpuE6ELNS1_3repE0EEENS1_30default_config_static_selectorELNS0_4arch9wavefront6targetE0EEEvT1_,comdat
	.protected	_ZN7rocprim17ROCPRIM_400000_NS6detail17trampoline_kernelINS0_14default_configENS1_27scan_by_key_config_selectorIifEEZZNS1_16scan_by_key_implILNS1_25lookback_scan_determinismE0ELb0ES3_N6thrust23THRUST_200600_302600_NS6detail15normal_iteratorINS9_10device_ptrIiEEEENSB_INSC_IfEEEESG_fNS9_4plusIvEENS9_8equal_toIvEEfEE10hipError_tPvRmT2_T3_T4_T5_mT6_T7_P12ihipStream_tbENKUlT_T0_E_clISt17integral_constantIbLb1EES10_IbLb0EEEEDaSW_SX_EUlSW_E_NS1_11comp_targetILNS1_3genE2ELNS1_11target_archE906ELNS1_3gpuE6ELNS1_3repE0EEENS1_30default_config_static_selectorELNS0_4arch9wavefront6targetE0EEEvT1_ ; -- Begin function _ZN7rocprim17ROCPRIM_400000_NS6detail17trampoline_kernelINS0_14default_configENS1_27scan_by_key_config_selectorIifEEZZNS1_16scan_by_key_implILNS1_25lookback_scan_determinismE0ELb0ES3_N6thrust23THRUST_200600_302600_NS6detail15normal_iteratorINS9_10device_ptrIiEEEENSB_INSC_IfEEEESG_fNS9_4plusIvEENS9_8equal_toIvEEfEE10hipError_tPvRmT2_T3_T4_T5_mT6_T7_P12ihipStream_tbENKUlT_T0_E_clISt17integral_constantIbLb1EES10_IbLb0EEEEDaSW_SX_EUlSW_E_NS1_11comp_targetILNS1_3genE2ELNS1_11target_archE906ELNS1_3gpuE6ELNS1_3repE0EEENS1_30default_config_static_selectorELNS0_4arch9wavefront6targetE0EEEvT1_
	.globl	_ZN7rocprim17ROCPRIM_400000_NS6detail17trampoline_kernelINS0_14default_configENS1_27scan_by_key_config_selectorIifEEZZNS1_16scan_by_key_implILNS1_25lookback_scan_determinismE0ELb0ES3_N6thrust23THRUST_200600_302600_NS6detail15normal_iteratorINS9_10device_ptrIiEEEENSB_INSC_IfEEEESG_fNS9_4plusIvEENS9_8equal_toIvEEfEE10hipError_tPvRmT2_T3_T4_T5_mT6_T7_P12ihipStream_tbENKUlT_T0_E_clISt17integral_constantIbLb1EES10_IbLb0EEEEDaSW_SX_EUlSW_E_NS1_11comp_targetILNS1_3genE2ELNS1_11target_archE906ELNS1_3gpuE6ELNS1_3repE0EEENS1_30default_config_static_selectorELNS0_4arch9wavefront6targetE0EEEvT1_
	.p2align	8
	.type	_ZN7rocprim17ROCPRIM_400000_NS6detail17trampoline_kernelINS0_14default_configENS1_27scan_by_key_config_selectorIifEEZZNS1_16scan_by_key_implILNS1_25lookback_scan_determinismE0ELb0ES3_N6thrust23THRUST_200600_302600_NS6detail15normal_iteratorINS9_10device_ptrIiEEEENSB_INSC_IfEEEESG_fNS9_4plusIvEENS9_8equal_toIvEEfEE10hipError_tPvRmT2_T3_T4_T5_mT6_T7_P12ihipStream_tbENKUlT_T0_E_clISt17integral_constantIbLb1EES10_IbLb0EEEEDaSW_SX_EUlSW_E_NS1_11comp_targetILNS1_3genE2ELNS1_11target_archE906ELNS1_3gpuE6ELNS1_3repE0EEENS1_30default_config_static_selectorELNS0_4arch9wavefront6targetE0EEEvT1_,@function
_ZN7rocprim17ROCPRIM_400000_NS6detail17trampoline_kernelINS0_14default_configENS1_27scan_by_key_config_selectorIifEEZZNS1_16scan_by_key_implILNS1_25lookback_scan_determinismE0ELb0ES3_N6thrust23THRUST_200600_302600_NS6detail15normal_iteratorINS9_10device_ptrIiEEEENSB_INSC_IfEEEESG_fNS9_4plusIvEENS9_8equal_toIvEEfEE10hipError_tPvRmT2_T3_T4_T5_mT6_T7_P12ihipStream_tbENKUlT_T0_E_clISt17integral_constantIbLb1EES10_IbLb0EEEEDaSW_SX_EUlSW_E_NS1_11comp_targetILNS1_3genE2ELNS1_11target_archE906ELNS1_3gpuE6ELNS1_3repE0EEENS1_30default_config_static_selectorELNS0_4arch9wavefront6targetE0EEEvT1_: ; @_ZN7rocprim17ROCPRIM_400000_NS6detail17trampoline_kernelINS0_14default_configENS1_27scan_by_key_config_selectorIifEEZZNS1_16scan_by_key_implILNS1_25lookback_scan_determinismE0ELb0ES3_N6thrust23THRUST_200600_302600_NS6detail15normal_iteratorINS9_10device_ptrIiEEEENSB_INSC_IfEEEESG_fNS9_4plusIvEENS9_8equal_toIvEEfEE10hipError_tPvRmT2_T3_T4_T5_mT6_T7_P12ihipStream_tbENKUlT_T0_E_clISt17integral_constantIbLb1EES10_IbLb0EEEEDaSW_SX_EUlSW_E_NS1_11comp_targetILNS1_3genE2ELNS1_11target_archE906ELNS1_3gpuE6ELNS1_3repE0EEENS1_30default_config_static_selectorELNS0_4arch9wavefront6targetE0EEEvT1_
; %bb.0:
	.section	.rodata,"a",@progbits
	.p2align	6, 0x0
	.amdhsa_kernel _ZN7rocprim17ROCPRIM_400000_NS6detail17trampoline_kernelINS0_14default_configENS1_27scan_by_key_config_selectorIifEEZZNS1_16scan_by_key_implILNS1_25lookback_scan_determinismE0ELb0ES3_N6thrust23THRUST_200600_302600_NS6detail15normal_iteratorINS9_10device_ptrIiEEEENSB_INSC_IfEEEESG_fNS9_4plusIvEENS9_8equal_toIvEEfEE10hipError_tPvRmT2_T3_T4_T5_mT6_T7_P12ihipStream_tbENKUlT_T0_E_clISt17integral_constantIbLb1EES10_IbLb0EEEEDaSW_SX_EUlSW_E_NS1_11comp_targetILNS1_3genE2ELNS1_11target_archE906ELNS1_3gpuE6ELNS1_3repE0EEENS1_30default_config_static_selectorELNS0_4arch9wavefront6targetE0EEEvT1_
		.amdhsa_group_segment_fixed_size 0
		.amdhsa_private_segment_fixed_size 0
		.amdhsa_kernarg_size 112
		.amdhsa_user_sgpr_count 2
		.amdhsa_user_sgpr_dispatch_ptr 0
		.amdhsa_user_sgpr_queue_ptr 0
		.amdhsa_user_sgpr_kernarg_segment_ptr 1
		.amdhsa_user_sgpr_dispatch_id 0
		.amdhsa_user_sgpr_kernarg_preload_length 0
		.amdhsa_user_sgpr_kernarg_preload_offset 0
		.amdhsa_user_sgpr_private_segment_size 0
		.amdhsa_wavefront_size32 1
		.amdhsa_uses_dynamic_stack 0
		.amdhsa_enable_private_segment 0
		.amdhsa_system_sgpr_workgroup_id_x 1
		.amdhsa_system_sgpr_workgroup_id_y 0
		.amdhsa_system_sgpr_workgroup_id_z 0
		.amdhsa_system_sgpr_workgroup_info 0
		.amdhsa_system_vgpr_workitem_id 0
		.amdhsa_next_free_vgpr 1
		.amdhsa_next_free_sgpr 1
		.amdhsa_named_barrier_count 0
		.amdhsa_reserve_vcc 0
		.amdhsa_float_round_mode_32 0
		.amdhsa_float_round_mode_16_64 0
		.amdhsa_float_denorm_mode_32 3
		.amdhsa_float_denorm_mode_16_64 3
		.amdhsa_fp16_overflow 0
		.amdhsa_memory_ordered 1
		.amdhsa_forward_progress 1
		.amdhsa_inst_pref_size 0
		.amdhsa_round_robin_scheduling 0
		.amdhsa_exception_fp_ieee_invalid_op 0
		.amdhsa_exception_fp_denorm_src 0
		.amdhsa_exception_fp_ieee_div_zero 0
		.amdhsa_exception_fp_ieee_overflow 0
		.amdhsa_exception_fp_ieee_underflow 0
		.amdhsa_exception_fp_ieee_inexact 0
		.amdhsa_exception_int_div_zero 0
	.end_amdhsa_kernel
	.section	.text._ZN7rocprim17ROCPRIM_400000_NS6detail17trampoline_kernelINS0_14default_configENS1_27scan_by_key_config_selectorIifEEZZNS1_16scan_by_key_implILNS1_25lookback_scan_determinismE0ELb0ES3_N6thrust23THRUST_200600_302600_NS6detail15normal_iteratorINS9_10device_ptrIiEEEENSB_INSC_IfEEEESG_fNS9_4plusIvEENS9_8equal_toIvEEfEE10hipError_tPvRmT2_T3_T4_T5_mT6_T7_P12ihipStream_tbENKUlT_T0_E_clISt17integral_constantIbLb1EES10_IbLb0EEEEDaSW_SX_EUlSW_E_NS1_11comp_targetILNS1_3genE2ELNS1_11target_archE906ELNS1_3gpuE6ELNS1_3repE0EEENS1_30default_config_static_selectorELNS0_4arch9wavefront6targetE0EEEvT1_,"axG",@progbits,_ZN7rocprim17ROCPRIM_400000_NS6detail17trampoline_kernelINS0_14default_configENS1_27scan_by_key_config_selectorIifEEZZNS1_16scan_by_key_implILNS1_25lookback_scan_determinismE0ELb0ES3_N6thrust23THRUST_200600_302600_NS6detail15normal_iteratorINS9_10device_ptrIiEEEENSB_INSC_IfEEEESG_fNS9_4plusIvEENS9_8equal_toIvEEfEE10hipError_tPvRmT2_T3_T4_T5_mT6_T7_P12ihipStream_tbENKUlT_T0_E_clISt17integral_constantIbLb1EES10_IbLb0EEEEDaSW_SX_EUlSW_E_NS1_11comp_targetILNS1_3genE2ELNS1_11target_archE906ELNS1_3gpuE6ELNS1_3repE0EEENS1_30default_config_static_selectorELNS0_4arch9wavefront6targetE0EEEvT1_,comdat
.Lfunc_end1157:
	.size	_ZN7rocprim17ROCPRIM_400000_NS6detail17trampoline_kernelINS0_14default_configENS1_27scan_by_key_config_selectorIifEEZZNS1_16scan_by_key_implILNS1_25lookback_scan_determinismE0ELb0ES3_N6thrust23THRUST_200600_302600_NS6detail15normal_iteratorINS9_10device_ptrIiEEEENSB_INSC_IfEEEESG_fNS9_4plusIvEENS9_8equal_toIvEEfEE10hipError_tPvRmT2_T3_T4_T5_mT6_T7_P12ihipStream_tbENKUlT_T0_E_clISt17integral_constantIbLb1EES10_IbLb0EEEEDaSW_SX_EUlSW_E_NS1_11comp_targetILNS1_3genE2ELNS1_11target_archE906ELNS1_3gpuE6ELNS1_3repE0EEENS1_30default_config_static_selectorELNS0_4arch9wavefront6targetE0EEEvT1_, .Lfunc_end1157-_ZN7rocprim17ROCPRIM_400000_NS6detail17trampoline_kernelINS0_14default_configENS1_27scan_by_key_config_selectorIifEEZZNS1_16scan_by_key_implILNS1_25lookback_scan_determinismE0ELb0ES3_N6thrust23THRUST_200600_302600_NS6detail15normal_iteratorINS9_10device_ptrIiEEEENSB_INSC_IfEEEESG_fNS9_4plusIvEENS9_8equal_toIvEEfEE10hipError_tPvRmT2_T3_T4_T5_mT6_T7_P12ihipStream_tbENKUlT_T0_E_clISt17integral_constantIbLb1EES10_IbLb0EEEEDaSW_SX_EUlSW_E_NS1_11comp_targetILNS1_3genE2ELNS1_11target_archE906ELNS1_3gpuE6ELNS1_3repE0EEENS1_30default_config_static_selectorELNS0_4arch9wavefront6targetE0EEEvT1_
                                        ; -- End function
	.set _ZN7rocprim17ROCPRIM_400000_NS6detail17trampoline_kernelINS0_14default_configENS1_27scan_by_key_config_selectorIifEEZZNS1_16scan_by_key_implILNS1_25lookback_scan_determinismE0ELb0ES3_N6thrust23THRUST_200600_302600_NS6detail15normal_iteratorINS9_10device_ptrIiEEEENSB_INSC_IfEEEESG_fNS9_4plusIvEENS9_8equal_toIvEEfEE10hipError_tPvRmT2_T3_T4_T5_mT6_T7_P12ihipStream_tbENKUlT_T0_E_clISt17integral_constantIbLb1EES10_IbLb0EEEEDaSW_SX_EUlSW_E_NS1_11comp_targetILNS1_3genE2ELNS1_11target_archE906ELNS1_3gpuE6ELNS1_3repE0EEENS1_30default_config_static_selectorELNS0_4arch9wavefront6targetE0EEEvT1_.num_vgpr, 0
	.set _ZN7rocprim17ROCPRIM_400000_NS6detail17trampoline_kernelINS0_14default_configENS1_27scan_by_key_config_selectorIifEEZZNS1_16scan_by_key_implILNS1_25lookback_scan_determinismE0ELb0ES3_N6thrust23THRUST_200600_302600_NS6detail15normal_iteratorINS9_10device_ptrIiEEEENSB_INSC_IfEEEESG_fNS9_4plusIvEENS9_8equal_toIvEEfEE10hipError_tPvRmT2_T3_T4_T5_mT6_T7_P12ihipStream_tbENKUlT_T0_E_clISt17integral_constantIbLb1EES10_IbLb0EEEEDaSW_SX_EUlSW_E_NS1_11comp_targetILNS1_3genE2ELNS1_11target_archE906ELNS1_3gpuE6ELNS1_3repE0EEENS1_30default_config_static_selectorELNS0_4arch9wavefront6targetE0EEEvT1_.num_agpr, 0
	.set _ZN7rocprim17ROCPRIM_400000_NS6detail17trampoline_kernelINS0_14default_configENS1_27scan_by_key_config_selectorIifEEZZNS1_16scan_by_key_implILNS1_25lookback_scan_determinismE0ELb0ES3_N6thrust23THRUST_200600_302600_NS6detail15normal_iteratorINS9_10device_ptrIiEEEENSB_INSC_IfEEEESG_fNS9_4plusIvEENS9_8equal_toIvEEfEE10hipError_tPvRmT2_T3_T4_T5_mT6_T7_P12ihipStream_tbENKUlT_T0_E_clISt17integral_constantIbLb1EES10_IbLb0EEEEDaSW_SX_EUlSW_E_NS1_11comp_targetILNS1_3genE2ELNS1_11target_archE906ELNS1_3gpuE6ELNS1_3repE0EEENS1_30default_config_static_selectorELNS0_4arch9wavefront6targetE0EEEvT1_.numbered_sgpr, 0
	.set _ZN7rocprim17ROCPRIM_400000_NS6detail17trampoline_kernelINS0_14default_configENS1_27scan_by_key_config_selectorIifEEZZNS1_16scan_by_key_implILNS1_25lookback_scan_determinismE0ELb0ES3_N6thrust23THRUST_200600_302600_NS6detail15normal_iteratorINS9_10device_ptrIiEEEENSB_INSC_IfEEEESG_fNS9_4plusIvEENS9_8equal_toIvEEfEE10hipError_tPvRmT2_T3_T4_T5_mT6_T7_P12ihipStream_tbENKUlT_T0_E_clISt17integral_constantIbLb1EES10_IbLb0EEEEDaSW_SX_EUlSW_E_NS1_11comp_targetILNS1_3genE2ELNS1_11target_archE906ELNS1_3gpuE6ELNS1_3repE0EEENS1_30default_config_static_selectorELNS0_4arch9wavefront6targetE0EEEvT1_.num_named_barrier, 0
	.set _ZN7rocprim17ROCPRIM_400000_NS6detail17trampoline_kernelINS0_14default_configENS1_27scan_by_key_config_selectorIifEEZZNS1_16scan_by_key_implILNS1_25lookback_scan_determinismE0ELb0ES3_N6thrust23THRUST_200600_302600_NS6detail15normal_iteratorINS9_10device_ptrIiEEEENSB_INSC_IfEEEESG_fNS9_4plusIvEENS9_8equal_toIvEEfEE10hipError_tPvRmT2_T3_T4_T5_mT6_T7_P12ihipStream_tbENKUlT_T0_E_clISt17integral_constantIbLb1EES10_IbLb0EEEEDaSW_SX_EUlSW_E_NS1_11comp_targetILNS1_3genE2ELNS1_11target_archE906ELNS1_3gpuE6ELNS1_3repE0EEENS1_30default_config_static_selectorELNS0_4arch9wavefront6targetE0EEEvT1_.private_seg_size, 0
	.set _ZN7rocprim17ROCPRIM_400000_NS6detail17trampoline_kernelINS0_14default_configENS1_27scan_by_key_config_selectorIifEEZZNS1_16scan_by_key_implILNS1_25lookback_scan_determinismE0ELb0ES3_N6thrust23THRUST_200600_302600_NS6detail15normal_iteratorINS9_10device_ptrIiEEEENSB_INSC_IfEEEESG_fNS9_4plusIvEENS9_8equal_toIvEEfEE10hipError_tPvRmT2_T3_T4_T5_mT6_T7_P12ihipStream_tbENKUlT_T0_E_clISt17integral_constantIbLb1EES10_IbLb0EEEEDaSW_SX_EUlSW_E_NS1_11comp_targetILNS1_3genE2ELNS1_11target_archE906ELNS1_3gpuE6ELNS1_3repE0EEENS1_30default_config_static_selectorELNS0_4arch9wavefront6targetE0EEEvT1_.uses_vcc, 0
	.set _ZN7rocprim17ROCPRIM_400000_NS6detail17trampoline_kernelINS0_14default_configENS1_27scan_by_key_config_selectorIifEEZZNS1_16scan_by_key_implILNS1_25lookback_scan_determinismE0ELb0ES3_N6thrust23THRUST_200600_302600_NS6detail15normal_iteratorINS9_10device_ptrIiEEEENSB_INSC_IfEEEESG_fNS9_4plusIvEENS9_8equal_toIvEEfEE10hipError_tPvRmT2_T3_T4_T5_mT6_T7_P12ihipStream_tbENKUlT_T0_E_clISt17integral_constantIbLb1EES10_IbLb0EEEEDaSW_SX_EUlSW_E_NS1_11comp_targetILNS1_3genE2ELNS1_11target_archE906ELNS1_3gpuE6ELNS1_3repE0EEENS1_30default_config_static_selectorELNS0_4arch9wavefront6targetE0EEEvT1_.uses_flat_scratch, 0
	.set _ZN7rocprim17ROCPRIM_400000_NS6detail17trampoline_kernelINS0_14default_configENS1_27scan_by_key_config_selectorIifEEZZNS1_16scan_by_key_implILNS1_25lookback_scan_determinismE0ELb0ES3_N6thrust23THRUST_200600_302600_NS6detail15normal_iteratorINS9_10device_ptrIiEEEENSB_INSC_IfEEEESG_fNS9_4plusIvEENS9_8equal_toIvEEfEE10hipError_tPvRmT2_T3_T4_T5_mT6_T7_P12ihipStream_tbENKUlT_T0_E_clISt17integral_constantIbLb1EES10_IbLb0EEEEDaSW_SX_EUlSW_E_NS1_11comp_targetILNS1_3genE2ELNS1_11target_archE906ELNS1_3gpuE6ELNS1_3repE0EEENS1_30default_config_static_selectorELNS0_4arch9wavefront6targetE0EEEvT1_.has_dyn_sized_stack, 0
	.set _ZN7rocprim17ROCPRIM_400000_NS6detail17trampoline_kernelINS0_14default_configENS1_27scan_by_key_config_selectorIifEEZZNS1_16scan_by_key_implILNS1_25lookback_scan_determinismE0ELb0ES3_N6thrust23THRUST_200600_302600_NS6detail15normal_iteratorINS9_10device_ptrIiEEEENSB_INSC_IfEEEESG_fNS9_4plusIvEENS9_8equal_toIvEEfEE10hipError_tPvRmT2_T3_T4_T5_mT6_T7_P12ihipStream_tbENKUlT_T0_E_clISt17integral_constantIbLb1EES10_IbLb0EEEEDaSW_SX_EUlSW_E_NS1_11comp_targetILNS1_3genE2ELNS1_11target_archE906ELNS1_3gpuE6ELNS1_3repE0EEENS1_30default_config_static_selectorELNS0_4arch9wavefront6targetE0EEEvT1_.has_recursion, 0
	.set _ZN7rocprim17ROCPRIM_400000_NS6detail17trampoline_kernelINS0_14default_configENS1_27scan_by_key_config_selectorIifEEZZNS1_16scan_by_key_implILNS1_25lookback_scan_determinismE0ELb0ES3_N6thrust23THRUST_200600_302600_NS6detail15normal_iteratorINS9_10device_ptrIiEEEENSB_INSC_IfEEEESG_fNS9_4plusIvEENS9_8equal_toIvEEfEE10hipError_tPvRmT2_T3_T4_T5_mT6_T7_P12ihipStream_tbENKUlT_T0_E_clISt17integral_constantIbLb1EES10_IbLb0EEEEDaSW_SX_EUlSW_E_NS1_11comp_targetILNS1_3genE2ELNS1_11target_archE906ELNS1_3gpuE6ELNS1_3repE0EEENS1_30default_config_static_selectorELNS0_4arch9wavefront6targetE0EEEvT1_.has_indirect_call, 0
	.section	.AMDGPU.csdata,"",@progbits
; Kernel info:
; codeLenInByte = 0
; TotalNumSgprs: 0
; NumVgprs: 0
; ScratchSize: 0
; MemoryBound: 0
; FloatMode: 240
; IeeeMode: 1
; LDSByteSize: 0 bytes/workgroup (compile time only)
; SGPRBlocks: 0
; VGPRBlocks: 0
; NumSGPRsForWavesPerEU: 1
; NumVGPRsForWavesPerEU: 1
; NamedBarCnt: 0
; Occupancy: 16
; WaveLimiterHint : 0
; COMPUTE_PGM_RSRC2:SCRATCH_EN: 0
; COMPUTE_PGM_RSRC2:USER_SGPR: 2
; COMPUTE_PGM_RSRC2:TRAP_HANDLER: 0
; COMPUTE_PGM_RSRC2:TGID_X_EN: 1
; COMPUTE_PGM_RSRC2:TGID_Y_EN: 0
; COMPUTE_PGM_RSRC2:TGID_Z_EN: 0
; COMPUTE_PGM_RSRC2:TIDIG_COMP_CNT: 0
	.section	.text._ZN7rocprim17ROCPRIM_400000_NS6detail17trampoline_kernelINS0_14default_configENS1_27scan_by_key_config_selectorIifEEZZNS1_16scan_by_key_implILNS1_25lookback_scan_determinismE0ELb0ES3_N6thrust23THRUST_200600_302600_NS6detail15normal_iteratorINS9_10device_ptrIiEEEENSB_INSC_IfEEEESG_fNS9_4plusIvEENS9_8equal_toIvEEfEE10hipError_tPvRmT2_T3_T4_T5_mT6_T7_P12ihipStream_tbENKUlT_T0_E_clISt17integral_constantIbLb1EES10_IbLb0EEEEDaSW_SX_EUlSW_E_NS1_11comp_targetILNS1_3genE10ELNS1_11target_archE1200ELNS1_3gpuE4ELNS1_3repE0EEENS1_30default_config_static_selectorELNS0_4arch9wavefront6targetE0EEEvT1_,"axG",@progbits,_ZN7rocprim17ROCPRIM_400000_NS6detail17trampoline_kernelINS0_14default_configENS1_27scan_by_key_config_selectorIifEEZZNS1_16scan_by_key_implILNS1_25lookback_scan_determinismE0ELb0ES3_N6thrust23THRUST_200600_302600_NS6detail15normal_iteratorINS9_10device_ptrIiEEEENSB_INSC_IfEEEESG_fNS9_4plusIvEENS9_8equal_toIvEEfEE10hipError_tPvRmT2_T3_T4_T5_mT6_T7_P12ihipStream_tbENKUlT_T0_E_clISt17integral_constantIbLb1EES10_IbLb0EEEEDaSW_SX_EUlSW_E_NS1_11comp_targetILNS1_3genE10ELNS1_11target_archE1200ELNS1_3gpuE4ELNS1_3repE0EEENS1_30default_config_static_selectorELNS0_4arch9wavefront6targetE0EEEvT1_,comdat
	.protected	_ZN7rocprim17ROCPRIM_400000_NS6detail17trampoline_kernelINS0_14default_configENS1_27scan_by_key_config_selectorIifEEZZNS1_16scan_by_key_implILNS1_25lookback_scan_determinismE0ELb0ES3_N6thrust23THRUST_200600_302600_NS6detail15normal_iteratorINS9_10device_ptrIiEEEENSB_INSC_IfEEEESG_fNS9_4plusIvEENS9_8equal_toIvEEfEE10hipError_tPvRmT2_T3_T4_T5_mT6_T7_P12ihipStream_tbENKUlT_T0_E_clISt17integral_constantIbLb1EES10_IbLb0EEEEDaSW_SX_EUlSW_E_NS1_11comp_targetILNS1_3genE10ELNS1_11target_archE1200ELNS1_3gpuE4ELNS1_3repE0EEENS1_30default_config_static_selectorELNS0_4arch9wavefront6targetE0EEEvT1_ ; -- Begin function _ZN7rocprim17ROCPRIM_400000_NS6detail17trampoline_kernelINS0_14default_configENS1_27scan_by_key_config_selectorIifEEZZNS1_16scan_by_key_implILNS1_25lookback_scan_determinismE0ELb0ES3_N6thrust23THRUST_200600_302600_NS6detail15normal_iteratorINS9_10device_ptrIiEEEENSB_INSC_IfEEEESG_fNS9_4plusIvEENS9_8equal_toIvEEfEE10hipError_tPvRmT2_T3_T4_T5_mT6_T7_P12ihipStream_tbENKUlT_T0_E_clISt17integral_constantIbLb1EES10_IbLb0EEEEDaSW_SX_EUlSW_E_NS1_11comp_targetILNS1_3genE10ELNS1_11target_archE1200ELNS1_3gpuE4ELNS1_3repE0EEENS1_30default_config_static_selectorELNS0_4arch9wavefront6targetE0EEEvT1_
	.globl	_ZN7rocprim17ROCPRIM_400000_NS6detail17trampoline_kernelINS0_14default_configENS1_27scan_by_key_config_selectorIifEEZZNS1_16scan_by_key_implILNS1_25lookback_scan_determinismE0ELb0ES3_N6thrust23THRUST_200600_302600_NS6detail15normal_iteratorINS9_10device_ptrIiEEEENSB_INSC_IfEEEESG_fNS9_4plusIvEENS9_8equal_toIvEEfEE10hipError_tPvRmT2_T3_T4_T5_mT6_T7_P12ihipStream_tbENKUlT_T0_E_clISt17integral_constantIbLb1EES10_IbLb0EEEEDaSW_SX_EUlSW_E_NS1_11comp_targetILNS1_3genE10ELNS1_11target_archE1200ELNS1_3gpuE4ELNS1_3repE0EEENS1_30default_config_static_selectorELNS0_4arch9wavefront6targetE0EEEvT1_
	.p2align	8
	.type	_ZN7rocprim17ROCPRIM_400000_NS6detail17trampoline_kernelINS0_14default_configENS1_27scan_by_key_config_selectorIifEEZZNS1_16scan_by_key_implILNS1_25lookback_scan_determinismE0ELb0ES3_N6thrust23THRUST_200600_302600_NS6detail15normal_iteratorINS9_10device_ptrIiEEEENSB_INSC_IfEEEESG_fNS9_4plusIvEENS9_8equal_toIvEEfEE10hipError_tPvRmT2_T3_T4_T5_mT6_T7_P12ihipStream_tbENKUlT_T0_E_clISt17integral_constantIbLb1EES10_IbLb0EEEEDaSW_SX_EUlSW_E_NS1_11comp_targetILNS1_3genE10ELNS1_11target_archE1200ELNS1_3gpuE4ELNS1_3repE0EEENS1_30default_config_static_selectorELNS0_4arch9wavefront6targetE0EEEvT1_,@function
_ZN7rocprim17ROCPRIM_400000_NS6detail17trampoline_kernelINS0_14default_configENS1_27scan_by_key_config_selectorIifEEZZNS1_16scan_by_key_implILNS1_25lookback_scan_determinismE0ELb0ES3_N6thrust23THRUST_200600_302600_NS6detail15normal_iteratorINS9_10device_ptrIiEEEENSB_INSC_IfEEEESG_fNS9_4plusIvEENS9_8equal_toIvEEfEE10hipError_tPvRmT2_T3_T4_T5_mT6_T7_P12ihipStream_tbENKUlT_T0_E_clISt17integral_constantIbLb1EES10_IbLb0EEEEDaSW_SX_EUlSW_E_NS1_11comp_targetILNS1_3genE10ELNS1_11target_archE1200ELNS1_3gpuE4ELNS1_3repE0EEENS1_30default_config_static_selectorELNS0_4arch9wavefront6targetE0EEEvT1_: ; @_ZN7rocprim17ROCPRIM_400000_NS6detail17trampoline_kernelINS0_14default_configENS1_27scan_by_key_config_selectorIifEEZZNS1_16scan_by_key_implILNS1_25lookback_scan_determinismE0ELb0ES3_N6thrust23THRUST_200600_302600_NS6detail15normal_iteratorINS9_10device_ptrIiEEEENSB_INSC_IfEEEESG_fNS9_4plusIvEENS9_8equal_toIvEEfEE10hipError_tPvRmT2_T3_T4_T5_mT6_T7_P12ihipStream_tbENKUlT_T0_E_clISt17integral_constantIbLb1EES10_IbLb0EEEEDaSW_SX_EUlSW_E_NS1_11comp_targetILNS1_3genE10ELNS1_11target_archE1200ELNS1_3gpuE4ELNS1_3repE0EEENS1_30default_config_static_selectorELNS0_4arch9wavefront6targetE0EEEvT1_
; %bb.0:
	.section	.rodata,"a",@progbits
	.p2align	6, 0x0
	.amdhsa_kernel _ZN7rocprim17ROCPRIM_400000_NS6detail17trampoline_kernelINS0_14default_configENS1_27scan_by_key_config_selectorIifEEZZNS1_16scan_by_key_implILNS1_25lookback_scan_determinismE0ELb0ES3_N6thrust23THRUST_200600_302600_NS6detail15normal_iteratorINS9_10device_ptrIiEEEENSB_INSC_IfEEEESG_fNS9_4plusIvEENS9_8equal_toIvEEfEE10hipError_tPvRmT2_T3_T4_T5_mT6_T7_P12ihipStream_tbENKUlT_T0_E_clISt17integral_constantIbLb1EES10_IbLb0EEEEDaSW_SX_EUlSW_E_NS1_11comp_targetILNS1_3genE10ELNS1_11target_archE1200ELNS1_3gpuE4ELNS1_3repE0EEENS1_30default_config_static_selectorELNS0_4arch9wavefront6targetE0EEEvT1_
		.amdhsa_group_segment_fixed_size 0
		.amdhsa_private_segment_fixed_size 0
		.amdhsa_kernarg_size 112
		.amdhsa_user_sgpr_count 2
		.amdhsa_user_sgpr_dispatch_ptr 0
		.amdhsa_user_sgpr_queue_ptr 0
		.amdhsa_user_sgpr_kernarg_segment_ptr 1
		.amdhsa_user_sgpr_dispatch_id 0
		.amdhsa_user_sgpr_kernarg_preload_length 0
		.amdhsa_user_sgpr_kernarg_preload_offset 0
		.amdhsa_user_sgpr_private_segment_size 0
		.amdhsa_wavefront_size32 1
		.amdhsa_uses_dynamic_stack 0
		.amdhsa_enable_private_segment 0
		.amdhsa_system_sgpr_workgroup_id_x 1
		.amdhsa_system_sgpr_workgroup_id_y 0
		.amdhsa_system_sgpr_workgroup_id_z 0
		.amdhsa_system_sgpr_workgroup_info 0
		.amdhsa_system_vgpr_workitem_id 0
		.amdhsa_next_free_vgpr 1
		.amdhsa_next_free_sgpr 1
		.amdhsa_named_barrier_count 0
		.amdhsa_reserve_vcc 0
		.amdhsa_float_round_mode_32 0
		.amdhsa_float_round_mode_16_64 0
		.amdhsa_float_denorm_mode_32 3
		.amdhsa_float_denorm_mode_16_64 3
		.amdhsa_fp16_overflow 0
		.amdhsa_memory_ordered 1
		.amdhsa_forward_progress 1
		.amdhsa_inst_pref_size 0
		.amdhsa_round_robin_scheduling 0
		.amdhsa_exception_fp_ieee_invalid_op 0
		.amdhsa_exception_fp_denorm_src 0
		.amdhsa_exception_fp_ieee_div_zero 0
		.amdhsa_exception_fp_ieee_overflow 0
		.amdhsa_exception_fp_ieee_underflow 0
		.amdhsa_exception_fp_ieee_inexact 0
		.amdhsa_exception_int_div_zero 0
	.end_amdhsa_kernel
	.section	.text._ZN7rocprim17ROCPRIM_400000_NS6detail17trampoline_kernelINS0_14default_configENS1_27scan_by_key_config_selectorIifEEZZNS1_16scan_by_key_implILNS1_25lookback_scan_determinismE0ELb0ES3_N6thrust23THRUST_200600_302600_NS6detail15normal_iteratorINS9_10device_ptrIiEEEENSB_INSC_IfEEEESG_fNS9_4plusIvEENS9_8equal_toIvEEfEE10hipError_tPvRmT2_T3_T4_T5_mT6_T7_P12ihipStream_tbENKUlT_T0_E_clISt17integral_constantIbLb1EES10_IbLb0EEEEDaSW_SX_EUlSW_E_NS1_11comp_targetILNS1_3genE10ELNS1_11target_archE1200ELNS1_3gpuE4ELNS1_3repE0EEENS1_30default_config_static_selectorELNS0_4arch9wavefront6targetE0EEEvT1_,"axG",@progbits,_ZN7rocprim17ROCPRIM_400000_NS6detail17trampoline_kernelINS0_14default_configENS1_27scan_by_key_config_selectorIifEEZZNS1_16scan_by_key_implILNS1_25lookback_scan_determinismE0ELb0ES3_N6thrust23THRUST_200600_302600_NS6detail15normal_iteratorINS9_10device_ptrIiEEEENSB_INSC_IfEEEESG_fNS9_4plusIvEENS9_8equal_toIvEEfEE10hipError_tPvRmT2_T3_T4_T5_mT6_T7_P12ihipStream_tbENKUlT_T0_E_clISt17integral_constantIbLb1EES10_IbLb0EEEEDaSW_SX_EUlSW_E_NS1_11comp_targetILNS1_3genE10ELNS1_11target_archE1200ELNS1_3gpuE4ELNS1_3repE0EEENS1_30default_config_static_selectorELNS0_4arch9wavefront6targetE0EEEvT1_,comdat
.Lfunc_end1158:
	.size	_ZN7rocprim17ROCPRIM_400000_NS6detail17trampoline_kernelINS0_14default_configENS1_27scan_by_key_config_selectorIifEEZZNS1_16scan_by_key_implILNS1_25lookback_scan_determinismE0ELb0ES3_N6thrust23THRUST_200600_302600_NS6detail15normal_iteratorINS9_10device_ptrIiEEEENSB_INSC_IfEEEESG_fNS9_4plusIvEENS9_8equal_toIvEEfEE10hipError_tPvRmT2_T3_T4_T5_mT6_T7_P12ihipStream_tbENKUlT_T0_E_clISt17integral_constantIbLb1EES10_IbLb0EEEEDaSW_SX_EUlSW_E_NS1_11comp_targetILNS1_3genE10ELNS1_11target_archE1200ELNS1_3gpuE4ELNS1_3repE0EEENS1_30default_config_static_selectorELNS0_4arch9wavefront6targetE0EEEvT1_, .Lfunc_end1158-_ZN7rocprim17ROCPRIM_400000_NS6detail17trampoline_kernelINS0_14default_configENS1_27scan_by_key_config_selectorIifEEZZNS1_16scan_by_key_implILNS1_25lookback_scan_determinismE0ELb0ES3_N6thrust23THRUST_200600_302600_NS6detail15normal_iteratorINS9_10device_ptrIiEEEENSB_INSC_IfEEEESG_fNS9_4plusIvEENS9_8equal_toIvEEfEE10hipError_tPvRmT2_T3_T4_T5_mT6_T7_P12ihipStream_tbENKUlT_T0_E_clISt17integral_constantIbLb1EES10_IbLb0EEEEDaSW_SX_EUlSW_E_NS1_11comp_targetILNS1_3genE10ELNS1_11target_archE1200ELNS1_3gpuE4ELNS1_3repE0EEENS1_30default_config_static_selectorELNS0_4arch9wavefront6targetE0EEEvT1_
                                        ; -- End function
	.set _ZN7rocprim17ROCPRIM_400000_NS6detail17trampoline_kernelINS0_14default_configENS1_27scan_by_key_config_selectorIifEEZZNS1_16scan_by_key_implILNS1_25lookback_scan_determinismE0ELb0ES3_N6thrust23THRUST_200600_302600_NS6detail15normal_iteratorINS9_10device_ptrIiEEEENSB_INSC_IfEEEESG_fNS9_4plusIvEENS9_8equal_toIvEEfEE10hipError_tPvRmT2_T3_T4_T5_mT6_T7_P12ihipStream_tbENKUlT_T0_E_clISt17integral_constantIbLb1EES10_IbLb0EEEEDaSW_SX_EUlSW_E_NS1_11comp_targetILNS1_3genE10ELNS1_11target_archE1200ELNS1_3gpuE4ELNS1_3repE0EEENS1_30default_config_static_selectorELNS0_4arch9wavefront6targetE0EEEvT1_.num_vgpr, 0
	.set _ZN7rocprim17ROCPRIM_400000_NS6detail17trampoline_kernelINS0_14default_configENS1_27scan_by_key_config_selectorIifEEZZNS1_16scan_by_key_implILNS1_25lookback_scan_determinismE0ELb0ES3_N6thrust23THRUST_200600_302600_NS6detail15normal_iteratorINS9_10device_ptrIiEEEENSB_INSC_IfEEEESG_fNS9_4plusIvEENS9_8equal_toIvEEfEE10hipError_tPvRmT2_T3_T4_T5_mT6_T7_P12ihipStream_tbENKUlT_T0_E_clISt17integral_constantIbLb1EES10_IbLb0EEEEDaSW_SX_EUlSW_E_NS1_11comp_targetILNS1_3genE10ELNS1_11target_archE1200ELNS1_3gpuE4ELNS1_3repE0EEENS1_30default_config_static_selectorELNS0_4arch9wavefront6targetE0EEEvT1_.num_agpr, 0
	.set _ZN7rocprim17ROCPRIM_400000_NS6detail17trampoline_kernelINS0_14default_configENS1_27scan_by_key_config_selectorIifEEZZNS1_16scan_by_key_implILNS1_25lookback_scan_determinismE0ELb0ES3_N6thrust23THRUST_200600_302600_NS6detail15normal_iteratorINS9_10device_ptrIiEEEENSB_INSC_IfEEEESG_fNS9_4plusIvEENS9_8equal_toIvEEfEE10hipError_tPvRmT2_T3_T4_T5_mT6_T7_P12ihipStream_tbENKUlT_T0_E_clISt17integral_constantIbLb1EES10_IbLb0EEEEDaSW_SX_EUlSW_E_NS1_11comp_targetILNS1_3genE10ELNS1_11target_archE1200ELNS1_3gpuE4ELNS1_3repE0EEENS1_30default_config_static_selectorELNS0_4arch9wavefront6targetE0EEEvT1_.numbered_sgpr, 0
	.set _ZN7rocprim17ROCPRIM_400000_NS6detail17trampoline_kernelINS0_14default_configENS1_27scan_by_key_config_selectorIifEEZZNS1_16scan_by_key_implILNS1_25lookback_scan_determinismE0ELb0ES3_N6thrust23THRUST_200600_302600_NS6detail15normal_iteratorINS9_10device_ptrIiEEEENSB_INSC_IfEEEESG_fNS9_4plusIvEENS9_8equal_toIvEEfEE10hipError_tPvRmT2_T3_T4_T5_mT6_T7_P12ihipStream_tbENKUlT_T0_E_clISt17integral_constantIbLb1EES10_IbLb0EEEEDaSW_SX_EUlSW_E_NS1_11comp_targetILNS1_3genE10ELNS1_11target_archE1200ELNS1_3gpuE4ELNS1_3repE0EEENS1_30default_config_static_selectorELNS0_4arch9wavefront6targetE0EEEvT1_.num_named_barrier, 0
	.set _ZN7rocprim17ROCPRIM_400000_NS6detail17trampoline_kernelINS0_14default_configENS1_27scan_by_key_config_selectorIifEEZZNS1_16scan_by_key_implILNS1_25lookback_scan_determinismE0ELb0ES3_N6thrust23THRUST_200600_302600_NS6detail15normal_iteratorINS9_10device_ptrIiEEEENSB_INSC_IfEEEESG_fNS9_4plusIvEENS9_8equal_toIvEEfEE10hipError_tPvRmT2_T3_T4_T5_mT6_T7_P12ihipStream_tbENKUlT_T0_E_clISt17integral_constantIbLb1EES10_IbLb0EEEEDaSW_SX_EUlSW_E_NS1_11comp_targetILNS1_3genE10ELNS1_11target_archE1200ELNS1_3gpuE4ELNS1_3repE0EEENS1_30default_config_static_selectorELNS0_4arch9wavefront6targetE0EEEvT1_.private_seg_size, 0
	.set _ZN7rocprim17ROCPRIM_400000_NS6detail17trampoline_kernelINS0_14default_configENS1_27scan_by_key_config_selectorIifEEZZNS1_16scan_by_key_implILNS1_25lookback_scan_determinismE0ELb0ES3_N6thrust23THRUST_200600_302600_NS6detail15normal_iteratorINS9_10device_ptrIiEEEENSB_INSC_IfEEEESG_fNS9_4plusIvEENS9_8equal_toIvEEfEE10hipError_tPvRmT2_T3_T4_T5_mT6_T7_P12ihipStream_tbENKUlT_T0_E_clISt17integral_constantIbLb1EES10_IbLb0EEEEDaSW_SX_EUlSW_E_NS1_11comp_targetILNS1_3genE10ELNS1_11target_archE1200ELNS1_3gpuE4ELNS1_3repE0EEENS1_30default_config_static_selectorELNS0_4arch9wavefront6targetE0EEEvT1_.uses_vcc, 0
	.set _ZN7rocprim17ROCPRIM_400000_NS6detail17trampoline_kernelINS0_14default_configENS1_27scan_by_key_config_selectorIifEEZZNS1_16scan_by_key_implILNS1_25lookback_scan_determinismE0ELb0ES3_N6thrust23THRUST_200600_302600_NS6detail15normal_iteratorINS9_10device_ptrIiEEEENSB_INSC_IfEEEESG_fNS9_4plusIvEENS9_8equal_toIvEEfEE10hipError_tPvRmT2_T3_T4_T5_mT6_T7_P12ihipStream_tbENKUlT_T0_E_clISt17integral_constantIbLb1EES10_IbLb0EEEEDaSW_SX_EUlSW_E_NS1_11comp_targetILNS1_3genE10ELNS1_11target_archE1200ELNS1_3gpuE4ELNS1_3repE0EEENS1_30default_config_static_selectorELNS0_4arch9wavefront6targetE0EEEvT1_.uses_flat_scratch, 0
	.set _ZN7rocprim17ROCPRIM_400000_NS6detail17trampoline_kernelINS0_14default_configENS1_27scan_by_key_config_selectorIifEEZZNS1_16scan_by_key_implILNS1_25lookback_scan_determinismE0ELb0ES3_N6thrust23THRUST_200600_302600_NS6detail15normal_iteratorINS9_10device_ptrIiEEEENSB_INSC_IfEEEESG_fNS9_4plusIvEENS9_8equal_toIvEEfEE10hipError_tPvRmT2_T3_T4_T5_mT6_T7_P12ihipStream_tbENKUlT_T0_E_clISt17integral_constantIbLb1EES10_IbLb0EEEEDaSW_SX_EUlSW_E_NS1_11comp_targetILNS1_3genE10ELNS1_11target_archE1200ELNS1_3gpuE4ELNS1_3repE0EEENS1_30default_config_static_selectorELNS0_4arch9wavefront6targetE0EEEvT1_.has_dyn_sized_stack, 0
	.set _ZN7rocprim17ROCPRIM_400000_NS6detail17trampoline_kernelINS0_14default_configENS1_27scan_by_key_config_selectorIifEEZZNS1_16scan_by_key_implILNS1_25lookback_scan_determinismE0ELb0ES3_N6thrust23THRUST_200600_302600_NS6detail15normal_iteratorINS9_10device_ptrIiEEEENSB_INSC_IfEEEESG_fNS9_4plusIvEENS9_8equal_toIvEEfEE10hipError_tPvRmT2_T3_T4_T5_mT6_T7_P12ihipStream_tbENKUlT_T0_E_clISt17integral_constantIbLb1EES10_IbLb0EEEEDaSW_SX_EUlSW_E_NS1_11comp_targetILNS1_3genE10ELNS1_11target_archE1200ELNS1_3gpuE4ELNS1_3repE0EEENS1_30default_config_static_selectorELNS0_4arch9wavefront6targetE0EEEvT1_.has_recursion, 0
	.set _ZN7rocprim17ROCPRIM_400000_NS6detail17trampoline_kernelINS0_14default_configENS1_27scan_by_key_config_selectorIifEEZZNS1_16scan_by_key_implILNS1_25lookback_scan_determinismE0ELb0ES3_N6thrust23THRUST_200600_302600_NS6detail15normal_iteratorINS9_10device_ptrIiEEEENSB_INSC_IfEEEESG_fNS9_4plusIvEENS9_8equal_toIvEEfEE10hipError_tPvRmT2_T3_T4_T5_mT6_T7_P12ihipStream_tbENKUlT_T0_E_clISt17integral_constantIbLb1EES10_IbLb0EEEEDaSW_SX_EUlSW_E_NS1_11comp_targetILNS1_3genE10ELNS1_11target_archE1200ELNS1_3gpuE4ELNS1_3repE0EEENS1_30default_config_static_selectorELNS0_4arch9wavefront6targetE0EEEvT1_.has_indirect_call, 0
	.section	.AMDGPU.csdata,"",@progbits
; Kernel info:
; codeLenInByte = 0
; TotalNumSgprs: 0
; NumVgprs: 0
; ScratchSize: 0
; MemoryBound: 0
; FloatMode: 240
; IeeeMode: 1
; LDSByteSize: 0 bytes/workgroup (compile time only)
; SGPRBlocks: 0
; VGPRBlocks: 0
; NumSGPRsForWavesPerEU: 1
; NumVGPRsForWavesPerEU: 1
; NamedBarCnt: 0
; Occupancy: 16
; WaveLimiterHint : 0
; COMPUTE_PGM_RSRC2:SCRATCH_EN: 0
; COMPUTE_PGM_RSRC2:USER_SGPR: 2
; COMPUTE_PGM_RSRC2:TRAP_HANDLER: 0
; COMPUTE_PGM_RSRC2:TGID_X_EN: 1
; COMPUTE_PGM_RSRC2:TGID_Y_EN: 0
; COMPUTE_PGM_RSRC2:TGID_Z_EN: 0
; COMPUTE_PGM_RSRC2:TIDIG_COMP_CNT: 0
	.section	.text._ZN7rocprim17ROCPRIM_400000_NS6detail17trampoline_kernelINS0_14default_configENS1_27scan_by_key_config_selectorIifEEZZNS1_16scan_by_key_implILNS1_25lookback_scan_determinismE0ELb0ES3_N6thrust23THRUST_200600_302600_NS6detail15normal_iteratorINS9_10device_ptrIiEEEENSB_INSC_IfEEEESG_fNS9_4plusIvEENS9_8equal_toIvEEfEE10hipError_tPvRmT2_T3_T4_T5_mT6_T7_P12ihipStream_tbENKUlT_T0_E_clISt17integral_constantIbLb1EES10_IbLb0EEEEDaSW_SX_EUlSW_E_NS1_11comp_targetILNS1_3genE9ELNS1_11target_archE1100ELNS1_3gpuE3ELNS1_3repE0EEENS1_30default_config_static_selectorELNS0_4arch9wavefront6targetE0EEEvT1_,"axG",@progbits,_ZN7rocprim17ROCPRIM_400000_NS6detail17trampoline_kernelINS0_14default_configENS1_27scan_by_key_config_selectorIifEEZZNS1_16scan_by_key_implILNS1_25lookback_scan_determinismE0ELb0ES3_N6thrust23THRUST_200600_302600_NS6detail15normal_iteratorINS9_10device_ptrIiEEEENSB_INSC_IfEEEESG_fNS9_4plusIvEENS9_8equal_toIvEEfEE10hipError_tPvRmT2_T3_T4_T5_mT6_T7_P12ihipStream_tbENKUlT_T0_E_clISt17integral_constantIbLb1EES10_IbLb0EEEEDaSW_SX_EUlSW_E_NS1_11comp_targetILNS1_3genE9ELNS1_11target_archE1100ELNS1_3gpuE3ELNS1_3repE0EEENS1_30default_config_static_selectorELNS0_4arch9wavefront6targetE0EEEvT1_,comdat
	.protected	_ZN7rocprim17ROCPRIM_400000_NS6detail17trampoline_kernelINS0_14default_configENS1_27scan_by_key_config_selectorIifEEZZNS1_16scan_by_key_implILNS1_25lookback_scan_determinismE0ELb0ES3_N6thrust23THRUST_200600_302600_NS6detail15normal_iteratorINS9_10device_ptrIiEEEENSB_INSC_IfEEEESG_fNS9_4plusIvEENS9_8equal_toIvEEfEE10hipError_tPvRmT2_T3_T4_T5_mT6_T7_P12ihipStream_tbENKUlT_T0_E_clISt17integral_constantIbLb1EES10_IbLb0EEEEDaSW_SX_EUlSW_E_NS1_11comp_targetILNS1_3genE9ELNS1_11target_archE1100ELNS1_3gpuE3ELNS1_3repE0EEENS1_30default_config_static_selectorELNS0_4arch9wavefront6targetE0EEEvT1_ ; -- Begin function _ZN7rocprim17ROCPRIM_400000_NS6detail17trampoline_kernelINS0_14default_configENS1_27scan_by_key_config_selectorIifEEZZNS1_16scan_by_key_implILNS1_25lookback_scan_determinismE0ELb0ES3_N6thrust23THRUST_200600_302600_NS6detail15normal_iteratorINS9_10device_ptrIiEEEENSB_INSC_IfEEEESG_fNS9_4plusIvEENS9_8equal_toIvEEfEE10hipError_tPvRmT2_T3_T4_T5_mT6_T7_P12ihipStream_tbENKUlT_T0_E_clISt17integral_constantIbLb1EES10_IbLb0EEEEDaSW_SX_EUlSW_E_NS1_11comp_targetILNS1_3genE9ELNS1_11target_archE1100ELNS1_3gpuE3ELNS1_3repE0EEENS1_30default_config_static_selectorELNS0_4arch9wavefront6targetE0EEEvT1_
	.globl	_ZN7rocprim17ROCPRIM_400000_NS6detail17trampoline_kernelINS0_14default_configENS1_27scan_by_key_config_selectorIifEEZZNS1_16scan_by_key_implILNS1_25lookback_scan_determinismE0ELb0ES3_N6thrust23THRUST_200600_302600_NS6detail15normal_iteratorINS9_10device_ptrIiEEEENSB_INSC_IfEEEESG_fNS9_4plusIvEENS9_8equal_toIvEEfEE10hipError_tPvRmT2_T3_T4_T5_mT6_T7_P12ihipStream_tbENKUlT_T0_E_clISt17integral_constantIbLb1EES10_IbLb0EEEEDaSW_SX_EUlSW_E_NS1_11comp_targetILNS1_3genE9ELNS1_11target_archE1100ELNS1_3gpuE3ELNS1_3repE0EEENS1_30default_config_static_selectorELNS0_4arch9wavefront6targetE0EEEvT1_
	.p2align	8
	.type	_ZN7rocprim17ROCPRIM_400000_NS6detail17trampoline_kernelINS0_14default_configENS1_27scan_by_key_config_selectorIifEEZZNS1_16scan_by_key_implILNS1_25lookback_scan_determinismE0ELb0ES3_N6thrust23THRUST_200600_302600_NS6detail15normal_iteratorINS9_10device_ptrIiEEEENSB_INSC_IfEEEESG_fNS9_4plusIvEENS9_8equal_toIvEEfEE10hipError_tPvRmT2_T3_T4_T5_mT6_T7_P12ihipStream_tbENKUlT_T0_E_clISt17integral_constantIbLb1EES10_IbLb0EEEEDaSW_SX_EUlSW_E_NS1_11comp_targetILNS1_3genE9ELNS1_11target_archE1100ELNS1_3gpuE3ELNS1_3repE0EEENS1_30default_config_static_selectorELNS0_4arch9wavefront6targetE0EEEvT1_,@function
_ZN7rocprim17ROCPRIM_400000_NS6detail17trampoline_kernelINS0_14default_configENS1_27scan_by_key_config_selectorIifEEZZNS1_16scan_by_key_implILNS1_25lookback_scan_determinismE0ELb0ES3_N6thrust23THRUST_200600_302600_NS6detail15normal_iteratorINS9_10device_ptrIiEEEENSB_INSC_IfEEEESG_fNS9_4plusIvEENS9_8equal_toIvEEfEE10hipError_tPvRmT2_T3_T4_T5_mT6_T7_P12ihipStream_tbENKUlT_T0_E_clISt17integral_constantIbLb1EES10_IbLb0EEEEDaSW_SX_EUlSW_E_NS1_11comp_targetILNS1_3genE9ELNS1_11target_archE1100ELNS1_3gpuE3ELNS1_3repE0EEENS1_30default_config_static_selectorELNS0_4arch9wavefront6targetE0EEEvT1_: ; @_ZN7rocprim17ROCPRIM_400000_NS6detail17trampoline_kernelINS0_14default_configENS1_27scan_by_key_config_selectorIifEEZZNS1_16scan_by_key_implILNS1_25lookback_scan_determinismE0ELb0ES3_N6thrust23THRUST_200600_302600_NS6detail15normal_iteratorINS9_10device_ptrIiEEEENSB_INSC_IfEEEESG_fNS9_4plusIvEENS9_8equal_toIvEEfEE10hipError_tPvRmT2_T3_T4_T5_mT6_T7_P12ihipStream_tbENKUlT_T0_E_clISt17integral_constantIbLb1EES10_IbLb0EEEEDaSW_SX_EUlSW_E_NS1_11comp_targetILNS1_3genE9ELNS1_11target_archE1100ELNS1_3gpuE3ELNS1_3repE0EEENS1_30default_config_static_selectorELNS0_4arch9wavefront6targetE0EEEvT1_
; %bb.0:
	.section	.rodata,"a",@progbits
	.p2align	6, 0x0
	.amdhsa_kernel _ZN7rocprim17ROCPRIM_400000_NS6detail17trampoline_kernelINS0_14default_configENS1_27scan_by_key_config_selectorIifEEZZNS1_16scan_by_key_implILNS1_25lookback_scan_determinismE0ELb0ES3_N6thrust23THRUST_200600_302600_NS6detail15normal_iteratorINS9_10device_ptrIiEEEENSB_INSC_IfEEEESG_fNS9_4plusIvEENS9_8equal_toIvEEfEE10hipError_tPvRmT2_T3_T4_T5_mT6_T7_P12ihipStream_tbENKUlT_T0_E_clISt17integral_constantIbLb1EES10_IbLb0EEEEDaSW_SX_EUlSW_E_NS1_11comp_targetILNS1_3genE9ELNS1_11target_archE1100ELNS1_3gpuE3ELNS1_3repE0EEENS1_30default_config_static_selectorELNS0_4arch9wavefront6targetE0EEEvT1_
		.amdhsa_group_segment_fixed_size 0
		.amdhsa_private_segment_fixed_size 0
		.amdhsa_kernarg_size 112
		.amdhsa_user_sgpr_count 2
		.amdhsa_user_sgpr_dispatch_ptr 0
		.amdhsa_user_sgpr_queue_ptr 0
		.amdhsa_user_sgpr_kernarg_segment_ptr 1
		.amdhsa_user_sgpr_dispatch_id 0
		.amdhsa_user_sgpr_kernarg_preload_length 0
		.amdhsa_user_sgpr_kernarg_preload_offset 0
		.amdhsa_user_sgpr_private_segment_size 0
		.amdhsa_wavefront_size32 1
		.amdhsa_uses_dynamic_stack 0
		.amdhsa_enable_private_segment 0
		.amdhsa_system_sgpr_workgroup_id_x 1
		.amdhsa_system_sgpr_workgroup_id_y 0
		.amdhsa_system_sgpr_workgroup_id_z 0
		.amdhsa_system_sgpr_workgroup_info 0
		.amdhsa_system_vgpr_workitem_id 0
		.amdhsa_next_free_vgpr 1
		.amdhsa_next_free_sgpr 1
		.amdhsa_named_barrier_count 0
		.amdhsa_reserve_vcc 0
		.amdhsa_float_round_mode_32 0
		.amdhsa_float_round_mode_16_64 0
		.amdhsa_float_denorm_mode_32 3
		.amdhsa_float_denorm_mode_16_64 3
		.amdhsa_fp16_overflow 0
		.amdhsa_memory_ordered 1
		.amdhsa_forward_progress 1
		.amdhsa_inst_pref_size 0
		.amdhsa_round_robin_scheduling 0
		.amdhsa_exception_fp_ieee_invalid_op 0
		.amdhsa_exception_fp_denorm_src 0
		.amdhsa_exception_fp_ieee_div_zero 0
		.amdhsa_exception_fp_ieee_overflow 0
		.amdhsa_exception_fp_ieee_underflow 0
		.amdhsa_exception_fp_ieee_inexact 0
		.amdhsa_exception_int_div_zero 0
	.end_amdhsa_kernel
	.section	.text._ZN7rocprim17ROCPRIM_400000_NS6detail17trampoline_kernelINS0_14default_configENS1_27scan_by_key_config_selectorIifEEZZNS1_16scan_by_key_implILNS1_25lookback_scan_determinismE0ELb0ES3_N6thrust23THRUST_200600_302600_NS6detail15normal_iteratorINS9_10device_ptrIiEEEENSB_INSC_IfEEEESG_fNS9_4plusIvEENS9_8equal_toIvEEfEE10hipError_tPvRmT2_T3_T4_T5_mT6_T7_P12ihipStream_tbENKUlT_T0_E_clISt17integral_constantIbLb1EES10_IbLb0EEEEDaSW_SX_EUlSW_E_NS1_11comp_targetILNS1_3genE9ELNS1_11target_archE1100ELNS1_3gpuE3ELNS1_3repE0EEENS1_30default_config_static_selectorELNS0_4arch9wavefront6targetE0EEEvT1_,"axG",@progbits,_ZN7rocprim17ROCPRIM_400000_NS6detail17trampoline_kernelINS0_14default_configENS1_27scan_by_key_config_selectorIifEEZZNS1_16scan_by_key_implILNS1_25lookback_scan_determinismE0ELb0ES3_N6thrust23THRUST_200600_302600_NS6detail15normal_iteratorINS9_10device_ptrIiEEEENSB_INSC_IfEEEESG_fNS9_4plusIvEENS9_8equal_toIvEEfEE10hipError_tPvRmT2_T3_T4_T5_mT6_T7_P12ihipStream_tbENKUlT_T0_E_clISt17integral_constantIbLb1EES10_IbLb0EEEEDaSW_SX_EUlSW_E_NS1_11comp_targetILNS1_3genE9ELNS1_11target_archE1100ELNS1_3gpuE3ELNS1_3repE0EEENS1_30default_config_static_selectorELNS0_4arch9wavefront6targetE0EEEvT1_,comdat
.Lfunc_end1159:
	.size	_ZN7rocprim17ROCPRIM_400000_NS6detail17trampoline_kernelINS0_14default_configENS1_27scan_by_key_config_selectorIifEEZZNS1_16scan_by_key_implILNS1_25lookback_scan_determinismE0ELb0ES3_N6thrust23THRUST_200600_302600_NS6detail15normal_iteratorINS9_10device_ptrIiEEEENSB_INSC_IfEEEESG_fNS9_4plusIvEENS9_8equal_toIvEEfEE10hipError_tPvRmT2_T3_T4_T5_mT6_T7_P12ihipStream_tbENKUlT_T0_E_clISt17integral_constantIbLb1EES10_IbLb0EEEEDaSW_SX_EUlSW_E_NS1_11comp_targetILNS1_3genE9ELNS1_11target_archE1100ELNS1_3gpuE3ELNS1_3repE0EEENS1_30default_config_static_selectorELNS0_4arch9wavefront6targetE0EEEvT1_, .Lfunc_end1159-_ZN7rocprim17ROCPRIM_400000_NS6detail17trampoline_kernelINS0_14default_configENS1_27scan_by_key_config_selectorIifEEZZNS1_16scan_by_key_implILNS1_25lookback_scan_determinismE0ELb0ES3_N6thrust23THRUST_200600_302600_NS6detail15normal_iteratorINS9_10device_ptrIiEEEENSB_INSC_IfEEEESG_fNS9_4plusIvEENS9_8equal_toIvEEfEE10hipError_tPvRmT2_T3_T4_T5_mT6_T7_P12ihipStream_tbENKUlT_T0_E_clISt17integral_constantIbLb1EES10_IbLb0EEEEDaSW_SX_EUlSW_E_NS1_11comp_targetILNS1_3genE9ELNS1_11target_archE1100ELNS1_3gpuE3ELNS1_3repE0EEENS1_30default_config_static_selectorELNS0_4arch9wavefront6targetE0EEEvT1_
                                        ; -- End function
	.set _ZN7rocprim17ROCPRIM_400000_NS6detail17trampoline_kernelINS0_14default_configENS1_27scan_by_key_config_selectorIifEEZZNS1_16scan_by_key_implILNS1_25lookback_scan_determinismE0ELb0ES3_N6thrust23THRUST_200600_302600_NS6detail15normal_iteratorINS9_10device_ptrIiEEEENSB_INSC_IfEEEESG_fNS9_4plusIvEENS9_8equal_toIvEEfEE10hipError_tPvRmT2_T3_T4_T5_mT6_T7_P12ihipStream_tbENKUlT_T0_E_clISt17integral_constantIbLb1EES10_IbLb0EEEEDaSW_SX_EUlSW_E_NS1_11comp_targetILNS1_3genE9ELNS1_11target_archE1100ELNS1_3gpuE3ELNS1_3repE0EEENS1_30default_config_static_selectorELNS0_4arch9wavefront6targetE0EEEvT1_.num_vgpr, 0
	.set _ZN7rocprim17ROCPRIM_400000_NS6detail17trampoline_kernelINS0_14default_configENS1_27scan_by_key_config_selectorIifEEZZNS1_16scan_by_key_implILNS1_25lookback_scan_determinismE0ELb0ES3_N6thrust23THRUST_200600_302600_NS6detail15normal_iteratorINS9_10device_ptrIiEEEENSB_INSC_IfEEEESG_fNS9_4plusIvEENS9_8equal_toIvEEfEE10hipError_tPvRmT2_T3_T4_T5_mT6_T7_P12ihipStream_tbENKUlT_T0_E_clISt17integral_constantIbLb1EES10_IbLb0EEEEDaSW_SX_EUlSW_E_NS1_11comp_targetILNS1_3genE9ELNS1_11target_archE1100ELNS1_3gpuE3ELNS1_3repE0EEENS1_30default_config_static_selectorELNS0_4arch9wavefront6targetE0EEEvT1_.num_agpr, 0
	.set _ZN7rocprim17ROCPRIM_400000_NS6detail17trampoline_kernelINS0_14default_configENS1_27scan_by_key_config_selectorIifEEZZNS1_16scan_by_key_implILNS1_25lookback_scan_determinismE0ELb0ES3_N6thrust23THRUST_200600_302600_NS6detail15normal_iteratorINS9_10device_ptrIiEEEENSB_INSC_IfEEEESG_fNS9_4plusIvEENS9_8equal_toIvEEfEE10hipError_tPvRmT2_T3_T4_T5_mT6_T7_P12ihipStream_tbENKUlT_T0_E_clISt17integral_constantIbLb1EES10_IbLb0EEEEDaSW_SX_EUlSW_E_NS1_11comp_targetILNS1_3genE9ELNS1_11target_archE1100ELNS1_3gpuE3ELNS1_3repE0EEENS1_30default_config_static_selectorELNS0_4arch9wavefront6targetE0EEEvT1_.numbered_sgpr, 0
	.set _ZN7rocprim17ROCPRIM_400000_NS6detail17trampoline_kernelINS0_14default_configENS1_27scan_by_key_config_selectorIifEEZZNS1_16scan_by_key_implILNS1_25lookback_scan_determinismE0ELb0ES3_N6thrust23THRUST_200600_302600_NS6detail15normal_iteratorINS9_10device_ptrIiEEEENSB_INSC_IfEEEESG_fNS9_4plusIvEENS9_8equal_toIvEEfEE10hipError_tPvRmT2_T3_T4_T5_mT6_T7_P12ihipStream_tbENKUlT_T0_E_clISt17integral_constantIbLb1EES10_IbLb0EEEEDaSW_SX_EUlSW_E_NS1_11comp_targetILNS1_3genE9ELNS1_11target_archE1100ELNS1_3gpuE3ELNS1_3repE0EEENS1_30default_config_static_selectorELNS0_4arch9wavefront6targetE0EEEvT1_.num_named_barrier, 0
	.set _ZN7rocprim17ROCPRIM_400000_NS6detail17trampoline_kernelINS0_14default_configENS1_27scan_by_key_config_selectorIifEEZZNS1_16scan_by_key_implILNS1_25lookback_scan_determinismE0ELb0ES3_N6thrust23THRUST_200600_302600_NS6detail15normal_iteratorINS9_10device_ptrIiEEEENSB_INSC_IfEEEESG_fNS9_4plusIvEENS9_8equal_toIvEEfEE10hipError_tPvRmT2_T3_T4_T5_mT6_T7_P12ihipStream_tbENKUlT_T0_E_clISt17integral_constantIbLb1EES10_IbLb0EEEEDaSW_SX_EUlSW_E_NS1_11comp_targetILNS1_3genE9ELNS1_11target_archE1100ELNS1_3gpuE3ELNS1_3repE0EEENS1_30default_config_static_selectorELNS0_4arch9wavefront6targetE0EEEvT1_.private_seg_size, 0
	.set _ZN7rocprim17ROCPRIM_400000_NS6detail17trampoline_kernelINS0_14default_configENS1_27scan_by_key_config_selectorIifEEZZNS1_16scan_by_key_implILNS1_25lookback_scan_determinismE0ELb0ES3_N6thrust23THRUST_200600_302600_NS6detail15normal_iteratorINS9_10device_ptrIiEEEENSB_INSC_IfEEEESG_fNS9_4plusIvEENS9_8equal_toIvEEfEE10hipError_tPvRmT2_T3_T4_T5_mT6_T7_P12ihipStream_tbENKUlT_T0_E_clISt17integral_constantIbLb1EES10_IbLb0EEEEDaSW_SX_EUlSW_E_NS1_11comp_targetILNS1_3genE9ELNS1_11target_archE1100ELNS1_3gpuE3ELNS1_3repE0EEENS1_30default_config_static_selectorELNS0_4arch9wavefront6targetE0EEEvT1_.uses_vcc, 0
	.set _ZN7rocprim17ROCPRIM_400000_NS6detail17trampoline_kernelINS0_14default_configENS1_27scan_by_key_config_selectorIifEEZZNS1_16scan_by_key_implILNS1_25lookback_scan_determinismE0ELb0ES3_N6thrust23THRUST_200600_302600_NS6detail15normal_iteratorINS9_10device_ptrIiEEEENSB_INSC_IfEEEESG_fNS9_4plusIvEENS9_8equal_toIvEEfEE10hipError_tPvRmT2_T3_T4_T5_mT6_T7_P12ihipStream_tbENKUlT_T0_E_clISt17integral_constantIbLb1EES10_IbLb0EEEEDaSW_SX_EUlSW_E_NS1_11comp_targetILNS1_3genE9ELNS1_11target_archE1100ELNS1_3gpuE3ELNS1_3repE0EEENS1_30default_config_static_selectorELNS0_4arch9wavefront6targetE0EEEvT1_.uses_flat_scratch, 0
	.set _ZN7rocprim17ROCPRIM_400000_NS6detail17trampoline_kernelINS0_14default_configENS1_27scan_by_key_config_selectorIifEEZZNS1_16scan_by_key_implILNS1_25lookback_scan_determinismE0ELb0ES3_N6thrust23THRUST_200600_302600_NS6detail15normal_iteratorINS9_10device_ptrIiEEEENSB_INSC_IfEEEESG_fNS9_4plusIvEENS9_8equal_toIvEEfEE10hipError_tPvRmT2_T3_T4_T5_mT6_T7_P12ihipStream_tbENKUlT_T0_E_clISt17integral_constantIbLb1EES10_IbLb0EEEEDaSW_SX_EUlSW_E_NS1_11comp_targetILNS1_3genE9ELNS1_11target_archE1100ELNS1_3gpuE3ELNS1_3repE0EEENS1_30default_config_static_selectorELNS0_4arch9wavefront6targetE0EEEvT1_.has_dyn_sized_stack, 0
	.set _ZN7rocprim17ROCPRIM_400000_NS6detail17trampoline_kernelINS0_14default_configENS1_27scan_by_key_config_selectorIifEEZZNS1_16scan_by_key_implILNS1_25lookback_scan_determinismE0ELb0ES3_N6thrust23THRUST_200600_302600_NS6detail15normal_iteratorINS9_10device_ptrIiEEEENSB_INSC_IfEEEESG_fNS9_4plusIvEENS9_8equal_toIvEEfEE10hipError_tPvRmT2_T3_T4_T5_mT6_T7_P12ihipStream_tbENKUlT_T0_E_clISt17integral_constantIbLb1EES10_IbLb0EEEEDaSW_SX_EUlSW_E_NS1_11comp_targetILNS1_3genE9ELNS1_11target_archE1100ELNS1_3gpuE3ELNS1_3repE0EEENS1_30default_config_static_selectorELNS0_4arch9wavefront6targetE0EEEvT1_.has_recursion, 0
	.set _ZN7rocprim17ROCPRIM_400000_NS6detail17trampoline_kernelINS0_14default_configENS1_27scan_by_key_config_selectorIifEEZZNS1_16scan_by_key_implILNS1_25lookback_scan_determinismE0ELb0ES3_N6thrust23THRUST_200600_302600_NS6detail15normal_iteratorINS9_10device_ptrIiEEEENSB_INSC_IfEEEESG_fNS9_4plusIvEENS9_8equal_toIvEEfEE10hipError_tPvRmT2_T3_T4_T5_mT6_T7_P12ihipStream_tbENKUlT_T0_E_clISt17integral_constantIbLb1EES10_IbLb0EEEEDaSW_SX_EUlSW_E_NS1_11comp_targetILNS1_3genE9ELNS1_11target_archE1100ELNS1_3gpuE3ELNS1_3repE0EEENS1_30default_config_static_selectorELNS0_4arch9wavefront6targetE0EEEvT1_.has_indirect_call, 0
	.section	.AMDGPU.csdata,"",@progbits
; Kernel info:
; codeLenInByte = 0
; TotalNumSgprs: 0
; NumVgprs: 0
; ScratchSize: 0
; MemoryBound: 0
; FloatMode: 240
; IeeeMode: 1
; LDSByteSize: 0 bytes/workgroup (compile time only)
; SGPRBlocks: 0
; VGPRBlocks: 0
; NumSGPRsForWavesPerEU: 1
; NumVGPRsForWavesPerEU: 1
; NamedBarCnt: 0
; Occupancy: 16
; WaveLimiterHint : 0
; COMPUTE_PGM_RSRC2:SCRATCH_EN: 0
; COMPUTE_PGM_RSRC2:USER_SGPR: 2
; COMPUTE_PGM_RSRC2:TRAP_HANDLER: 0
; COMPUTE_PGM_RSRC2:TGID_X_EN: 1
; COMPUTE_PGM_RSRC2:TGID_Y_EN: 0
; COMPUTE_PGM_RSRC2:TGID_Z_EN: 0
; COMPUTE_PGM_RSRC2:TIDIG_COMP_CNT: 0
	.section	.text._ZN7rocprim17ROCPRIM_400000_NS6detail17trampoline_kernelINS0_14default_configENS1_27scan_by_key_config_selectorIifEEZZNS1_16scan_by_key_implILNS1_25lookback_scan_determinismE0ELb0ES3_N6thrust23THRUST_200600_302600_NS6detail15normal_iteratorINS9_10device_ptrIiEEEENSB_INSC_IfEEEESG_fNS9_4plusIvEENS9_8equal_toIvEEfEE10hipError_tPvRmT2_T3_T4_T5_mT6_T7_P12ihipStream_tbENKUlT_T0_E_clISt17integral_constantIbLb1EES10_IbLb0EEEEDaSW_SX_EUlSW_E_NS1_11comp_targetILNS1_3genE8ELNS1_11target_archE1030ELNS1_3gpuE2ELNS1_3repE0EEENS1_30default_config_static_selectorELNS0_4arch9wavefront6targetE0EEEvT1_,"axG",@progbits,_ZN7rocprim17ROCPRIM_400000_NS6detail17trampoline_kernelINS0_14default_configENS1_27scan_by_key_config_selectorIifEEZZNS1_16scan_by_key_implILNS1_25lookback_scan_determinismE0ELb0ES3_N6thrust23THRUST_200600_302600_NS6detail15normal_iteratorINS9_10device_ptrIiEEEENSB_INSC_IfEEEESG_fNS9_4plusIvEENS9_8equal_toIvEEfEE10hipError_tPvRmT2_T3_T4_T5_mT6_T7_P12ihipStream_tbENKUlT_T0_E_clISt17integral_constantIbLb1EES10_IbLb0EEEEDaSW_SX_EUlSW_E_NS1_11comp_targetILNS1_3genE8ELNS1_11target_archE1030ELNS1_3gpuE2ELNS1_3repE0EEENS1_30default_config_static_selectorELNS0_4arch9wavefront6targetE0EEEvT1_,comdat
	.protected	_ZN7rocprim17ROCPRIM_400000_NS6detail17trampoline_kernelINS0_14default_configENS1_27scan_by_key_config_selectorIifEEZZNS1_16scan_by_key_implILNS1_25lookback_scan_determinismE0ELb0ES3_N6thrust23THRUST_200600_302600_NS6detail15normal_iteratorINS9_10device_ptrIiEEEENSB_INSC_IfEEEESG_fNS9_4plusIvEENS9_8equal_toIvEEfEE10hipError_tPvRmT2_T3_T4_T5_mT6_T7_P12ihipStream_tbENKUlT_T0_E_clISt17integral_constantIbLb1EES10_IbLb0EEEEDaSW_SX_EUlSW_E_NS1_11comp_targetILNS1_3genE8ELNS1_11target_archE1030ELNS1_3gpuE2ELNS1_3repE0EEENS1_30default_config_static_selectorELNS0_4arch9wavefront6targetE0EEEvT1_ ; -- Begin function _ZN7rocprim17ROCPRIM_400000_NS6detail17trampoline_kernelINS0_14default_configENS1_27scan_by_key_config_selectorIifEEZZNS1_16scan_by_key_implILNS1_25lookback_scan_determinismE0ELb0ES3_N6thrust23THRUST_200600_302600_NS6detail15normal_iteratorINS9_10device_ptrIiEEEENSB_INSC_IfEEEESG_fNS9_4plusIvEENS9_8equal_toIvEEfEE10hipError_tPvRmT2_T3_T4_T5_mT6_T7_P12ihipStream_tbENKUlT_T0_E_clISt17integral_constantIbLb1EES10_IbLb0EEEEDaSW_SX_EUlSW_E_NS1_11comp_targetILNS1_3genE8ELNS1_11target_archE1030ELNS1_3gpuE2ELNS1_3repE0EEENS1_30default_config_static_selectorELNS0_4arch9wavefront6targetE0EEEvT1_
	.globl	_ZN7rocprim17ROCPRIM_400000_NS6detail17trampoline_kernelINS0_14default_configENS1_27scan_by_key_config_selectorIifEEZZNS1_16scan_by_key_implILNS1_25lookback_scan_determinismE0ELb0ES3_N6thrust23THRUST_200600_302600_NS6detail15normal_iteratorINS9_10device_ptrIiEEEENSB_INSC_IfEEEESG_fNS9_4plusIvEENS9_8equal_toIvEEfEE10hipError_tPvRmT2_T3_T4_T5_mT6_T7_P12ihipStream_tbENKUlT_T0_E_clISt17integral_constantIbLb1EES10_IbLb0EEEEDaSW_SX_EUlSW_E_NS1_11comp_targetILNS1_3genE8ELNS1_11target_archE1030ELNS1_3gpuE2ELNS1_3repE0EEENS1_30default_config_static_selectorELNS0_4arch9wavefront6targetE0EEEvT1_
	.p2align	8
	.type	_ZN7rocprim17ROCPRIM_400000_NS6detail17trampoline_kernelINS0_14default_configENS1_27scan_by_key_config_selectorIifEEZZNS1_16scan_by_key_implILNS1_25lookback_scan_determinismE0ELb0ES3_N6thrust23THRUST_200600_302600_NS6detail15normal_iteratorINS9_10device_ptrIiEEEENSB_INSC_IfEEEESG_fNS9_4plusIvEENS9_8equal_toIvEEfEE10hipError_tPvRmT2_T3_T4_T5_mT6_T7_P12ihipStream_tbENKUlT_T0_E_clISt17integral_constantIbLb1EES10_IbLb0EEEEDaSW_SX_EUlSW_E_NS1_11comp_targetILNS1_3genE8ELNS1_11target_archE1030ELNS1_3gpuE2ELNS1_3repE0EEENS1_30default_config_static_selectorELNS0_4arch9wavefront6targetE0EEEvT1_,@function
_ZN7rocprim17ROCPRIM_400000_NS6detail17trampoline_kernelINS0_14default_configENS1_27scan_by_key_config_selectorIifEEZZNS1_16scan_by_key_implILNS1_25lookback_scan_determinismE0ELb0ES3_N6thrust23THRUST_200600_302600_NS6detail15normal_iteratorINS9_10device_ptrIiEEEENSB_INSC_IfEEEESG_fNS9_4plusIvEENS9_8equal_toIvEEfEE10hipError_tPvRmT2_T3_T4_T5_mT6_T7_P12ihipStream_tbENKUlT_T0_E_clISt17integral_constantIbLb1EES10_IbLb0EEEEDaSW_SX_EUlSW_E_NS1_11comp_targetILNS1_3genE8ELNS1_11target_archE1030ELNS1_3gpuE2ELNS1_3repE0EEENS1_30default_config_static_selectorELNS0_4arch9wavefront6targetE0EEEvT1_: ; @_ZN7rocprim17ROCPRIM_400000_NS6detail17trampoline_kernelINS0_14default_configENS1_27scan_by_key_config_selectorIifEEZZNS1_16scan_by_key_implILNS1_25lookback_scan_determinismE0ELb0ES3_N6thrust23THRUST_200600_302600_NS6detail15normal_iteratorINS9_10device_ptrIiEEEENSB_INSC_IfEEEESG_fNS9_4plusIvEENS9_8equal_toIvEEfEE10hipError_tPvRmT2_T3_T4_T5_mT6_T7_P12ihipStream_tbENKUlT_T0_E_clISt17integral_constantIbLb1EES10_IbLb0EEEEDaSW_SX_EUlSW_E_NS1_11comp_targetILNS1_3genE8ELNS1_11target_archE1030ELNS1_3gpuE2ELNS1_3repE0EEENS1_30default_config_static_selectorELNS0_4arch9wavefront6targetE0EEEvT1_
; %bb.0:
	.section	.rodata,"a",@progbits
	.p2align	6, 0x0
	.amdhsa_kernel _ZN7rocprim17ROCPRIM_400000_NS6detail17trampoline_kernelINS0_14default_configENS1_27scan_by_key_config_selectorIifEEZZNS1_16scan_by_key_implILNS1_25lookback_scan_determinismE0ELb0ES3_N6thrust23THRUST_200600_302600_NS6detail15normal_iteratorINS9_10device_ptrIiEEEENSB_INSC_IfEEEESG_fNS9_4plusIvEENS9_8equal_toIvEEfEE10hipError_tPvRmT2_T3_T4_T5_mT6_T7_P12ihipStream_tbENKUlT_T0_E_clISt17integral_constantIbLb1EES10_IbLb0EEEEDaSW_SX_EUlSW_E_NS1_11comp_targetILNS1_3genE8ELNS1_11target_archE1030ELNS1_3gpuE2ELNS1_3repE0EEENS1_30default_config_static_selectorELNS0_4arch9wavefront6targetE0EEEvT1_
		.amdhsa_group_segment_fixed_size 0
		.amdhsa_private_segment_fixed_size 0
		.amdhsa_kernarg_size 112
		.amdhsa_user_sgpr_count 2
		.amdhsa_user_sgpr_dispatch_ptr 0
		.amdhsa_user_sgpr_queue_ptr 0
		.amdhsa_user_sgpr_kernarg_segment_ptr 1
		.amdhsa_user_sgpr_dispatch_id 0
		.amdhsa_user_sgpr_kernarg_preload_length 0
		.amdhsa_user_sgpr_kernarg_preload_offset 0
		.amdhsa_user_sgpr_private_segment_size 0
		.amdhsa_wavefront_size32 1
		.amdhsa_uses_dynamic_stack 0
		.amdhsa_enable_private_segment 0
		.amdhsa_system_sgpr_workgroup_id_x 1
		.amdhsa_system_sgpr_workgroup_id_y 0
		.amdhsa_system_sgpr_workgroup_id_z 0
		.amdhsa_system_sgpr_workgroup_info 0
		.amdhsa_system_vgpr_workitem_id 0
		.amdhsa_next_free_vgpr 1
		.amdhsa_next_free_sgpr 1
		.amdhsa_named_barrier_count 0
		.amdhsa_reserve_vcc 0
		.amdhsa_float_round_mode_32 0
		.amdhsa_float_round_mode_16_64 0
		.amdhsa_float_denorm_mode_32 3
		.amdhsa_float_denorm_mode_16_64 3
		.amdhsa_fp16_overflow 0
		.amdhsa_memory_ordered 1
		.amdhsa_forward_progress 1
		.amdhsa_inst_pref_size 0
		.amdhsa_round_robin_scheduling 0
		.amdhsa_exception_fp_ieee_invalid_op 0
		.amdhsa_exception_fp_denorm_src 0
		.amdhsa_exception_fp_ieee_div_zero 0
		.amdhsa_exception_fp_ieee_overflow 0
		.amdhsa_exception_fp_ieee_underflow 0
		.amdhsa_exception_fp_ieee_inexact 0
		.amdhsa_exception_int_div_zero 0
	.end_amdhsa_kernel
	.section	.text._ZN7rocprim17ROCPRIM_400000_NS6detail17trampoline_kernelINS0_14default_configENS1_27scan_by_key_config_selectorIifEEZZNS1_16scan_by_key_implILNS1_25lookback_scan_determinismE0ELb0ES3_N6thrust23THRUST_200600_302600_NS6detail15normal_iteratorINS9_10device_ptrIiEEEENSB_INSC_IfEEEESG_fNS9_4plusIvEENS9_8equal_toIvEEfEE10hipError_tPvRmT2_T3_T4_T5_mT6_T7_P12ihipStream_tbENKUlT_T0_E_clISt17integral_constantIbLb1EES10_IbLb0EEEEDaSW_SX_EUlSW_E_NS1_11comp_targetILNS1_3genE8ELNS1_11target_archE1030ELNS1_3gpuE2ELNS1_3repE0EEENS1_30default_config_static_selectorELNS0_4arch9wavefront6targetE0EEEvT1_,"axG",@progbits,_ZN7rocprim17ROCPRIM_400000_NS6detail17trampoline_kernelINS0_14default_configENS1_27scan_by_key_config_selectorIifEEZZNS1_16scan_by_key_implILNS1_25lookback_scan_determinismE0ELb0ES3_N6thrust23THRUST_200600_302600_NS6detail15normal_iteratorINS9_10device_ptrIiEEEENSB_INSC_IfEEEESG_fNS9_4plusIvEENS9_8equal_toIvEEfEE10hipError_tPvRmT2_T3_T4_T5_mT6_T7_P12ihipStream_tbENKUlT_T0_E_clISt17integral_constantIbLb1EES10_IbLb0EEEEDaSW_SX_EUlSW_E_NS1_11comp_targetILNS1_3genE8ELNS1_11target_archE1030ELNS1_3gpuE2ELNS1_3repE0EEENS1_30default_config_static_selectorELNS0_4arch9wavefront6targetE0EEEvT1_,comdat
.Lfunc_end1160:
	.size	_ZN7rocprim17ROCPRIM_400000_NS6detail17trampoline_kernelINS0_14default_configENS1_27scan_by_key_config_selectorIifEEZZNS1_16scan_by_key_implILNS1_25lookback_scan_determinismE0ELb0ES3_N6thrust23THRUST_200600_302600_NS6detail15normal_iteratorINS9_10device_ptrIiEEEENSB_INSC_IfEEEESG_fNS9_4plusIvEENS9_8equal_toIvEEfEE10hipError_tPvRmT2_T3_T4_T5_mT6_T7_P12ihipStream_tbENKUlT_T0_E_clISt17integral_constantIbLb1EES10_IbLb0EEEEDaSW_SX_EUlSW_E_NS1_11comp_targetILNS1_3genE8ELNS1_11target_archE1030ELNS1_3gpuE2ELNS1_3repE0EEENS1_30default_config_static_selectorELNS0_4arch9wavefront6targetE0EEEvT1_, .Lfunc_end1160-_ZN7rocprim17ROCPRIM_400000_NS6detail17trampoline_kernelINS0_14default_configENS1_27scan_by_key_config_selectorIifEEZZNS1_16scan_by_key_implILNS1_25lookback_scan_determinismE0ELb0ES3_N6thrust23THRUST_200600_302600_NS6detail15normal_iteratorINS9_10device_ptrIiEEEENSB_INSC_IfEEEESG_fNS9_4plusIvEENS9_8equal_toIvEEfEE10hipError_tPvRmT2_T3_T4_T5_mT6_T7_P12ihipStream_tbENKUlT_T0_E_clISt17integral_constantIbLb1EES10_IbLb0EEEEDaSW_SX_EUlSW_E_NS1_11comp_targetILNS1_3genE8ELNS1_11target_archE1030ELNS1_3gpuE2ELNS1_3repE0EEENS1_30default_config_static_selectorELNS0_4arch9wavefront6targetE0EEEvT1_
                                        ; -- End function
	.set _ZN7rocprim17ROCPRIM_400000_NS6detail17trampoline_kernelINS0_14default_configENS1_27scan_by_key_config_selectorIifEEZZNS1_16scan_by_key_implILNS1_25lookback_scan_determinismE0ELb0ES3_N6thrust23THRUST_200600_302600_NS6detail15normal_iteratorINS9_10device_ptrIiEEEENSB_INSC_IfEEEESG_fNS9_4plusIvEENS9_8equal_toIvEEfEE10hipError_tPvRmT2_T3_T4_T5_mT6_T7_P12ihipStream_tbENKUlT_T0_E_clISt17integral_constantIbLb1EES10_IbLb0EEEEDaSW_SX_EUlSW_E_NS1_11comp_targetILNS1_3genE8ELNS1_11target_archE1030ELNS1_3gpuE2ELNS1_3repE0EEENS1_30default_config_static_selectorELNS0_4arch9wavefront6targetE0EEEvT1_.num_vgpr, 0
	.set _ZN7rocprim17ROCPRIM_400000_NS6detail17trampoline_kernelINS0_14default_configENS1_27scan_by_key_config_selectorIifEEZZNS1_16scan_by_key_implILNS1_25lookback_scan_determinismE0ELb0ES3_N6thrust23THRUST_200600_302600_NS6detail15normal_iteratorINS9_10device_ptrIiEEEENSB_INSC_IfEEEESG_fNS9_4plusIvEENS9_8equal_toIvEEfEE10hipError_tPvRmT2_T3_T4_T5_mT6_T7_P12ihipStream_tbENKUlT_T0_E_clISt17integral_constantIbLb1EES10_IbLb0EEEEDaSW_SX_EUlSW_E_NS1_11comp_targetILNS1_3genE8ELNS1_11target_archE1030ELNS1_3gpuE2ELNS1_3repE0EEENS1_30default_config_static_selectorELNS0_4arch9wavefront6targetE0EEEvT1_.num_agpr, 0
	.set _ZN7rocprim17ROCPRIM_400000_NS6detail17trampoline_kernelINS0_14default_configENS1_27scan_by_key_config_selectorIifEEZZNS1_16scan_by_key_implILNS1_25lookback_scan_determinismE0ELb0ES3_N6thrust23THRUST_200600_302600_NS6detail15normal_iteratorINS9_10device_ptrIiEEEENSB_INSC_IfEEEESG_fNS9_4plusIvEENS9_8equal_toIvEEfEE10hipError_tPvRmT2_T3_T4_T5_mT6_T7_P12ihipStream_tbENKUlT_T0_E_clISt17integral_constantIbLb1EES10_IbLb0EEEEDaSW_SX_EUlSW_E_NS1_11comp_targetILNS1_3genE8ELNS1_11target_archE1030ELNS1_3gpuE2ELNS1_3repE0EEENS1_30default_config_static_selectorELNS0_4arch9wavefront6targetE0EEEvT1_.numbered_sgpr, 0
	.set _ZN7rocprim17ROCPRIM_400000_NS6detail17trampoline_kernelINS0_14default_configENS1_27scan_by_key_config_selectorIifEEZZNS1_16scan_by_key_implILNS1_25lookback_scan_determinismE0ELb0ES3_N6thrust23THRUST_200600_302600_NS6detail15normal_iteratorINS9_10device_ptrIiEEEENSB_INSC_IfEEEESG_fNS9_4plusIvEENS9_8equal_toIvEEfEE10hipError_tPvRmT2_T3_T4_T5_mT6_T7_P12ihipStream_tbENKUlT_T0_E_clISt17integral_constantIbLb1EES10_IbLb0EEEEDaSW_SX_EUlSW_E_NS1_11comp_targetILNS1_3genE8ELNS1_11target_archE1030ELNS1_3gpuE2ELNS1_3repE0EEENS1_30default_config_static_selectorELNS0_4arch9wavefront6targetE0EEEvT1_.num_named_barrier, 0
	.set _ZN7rocprim17ROCPRIM_400000_NS6detail17trampoline_kernelINS0_14default_configENS1_27scan_by_key_config_selectorIifEEZZNS1_16scan_by_key_implILNS1_25lookback_scan_determinismE0ELb0ES3_N6thrust23THRUST_200600_302600_NS6detail15normal_iteratorINS9_10device_ptrIiEEEENSB_INSC_IfEEEESG_fNS9_4plusIvEENS9_8equal_toIvEEfEE10hipError_tPvRmT2_T3_T4_T5_mT6_T7_P12ihipStream_tbENKUlT_T0_E_clISt17integral_constantIbLb1EES10_IbLb0EEEEDaSW_SX_EUlSW_E_NS1_11comp_targetILNS1_3genE8ELNS1_11target_archE1030ELNS1_3gpuE2ELNS1_3repE0EEENS1_30default_config_static_selectorELNS0_4arch9wavefront6targetE0EEEvT1_.private_seg_size, 0
	.set _ZN7rocprim17ROCPRIM_400000_NS6detail17trampoline_kernelINS0_14default_configENS1_27scan_by_key_config_selectorIifEEZZNS1_16scan_by_key_implILNS1_25lookback_scan_determinismE0ELb0ES3_N6thrust23THRUST_200600_302600_NS6detail15normal_iteratorINS9_10device_ptrIiEEEENSB_INSC_IfEEEESG_fNS9_4plusIvEENS9_8equal_toIvEEfEE10hipError_tPvRmT2_T3_T4_T5_mT6_T7_P12ihipStream_tbENKUlT_T0_E_clISt17integral_constantIbLb1EES10_IbLb0EEEEDaSW_SX_EUlSW_E_NS1_11comp_targetILNS1_3genE8ELNS1_11target_archE1030ELNS1_3gpuE2ELNS1_3repE0EEENS1_30default_config_static_selectorELNS0_4arch9wavefront6targetE0EEEvT1_.uses_vcc, 0
	.set _ZN7rocprim17ROCPRIM_400000_NS6detail17trampoline_kernelINS0_14default_configENS1_27scan_by_key_config_selectorIifEEZZNS1_16scan_by_key_implILNS1_25lookback_scan_determinismE0ELb0ES3_N6thrust23THRUST_200600_302600_NS6detail15normal_iteratorINS9_10device_ptrIiEEEENSB_INSC_IfEEEESG_fNS9_4plusIvEENS9_8equal_toIvEEfEE10hipError_tPvRmT2_T3_T4_T5_mT6_T7_P12ihipStream_tbENKUlT_T0_E_clISt17integral_constantIbLb1EES10_IbLb0EEEEDaSW_SX_EUlSW_E_NS1_11comp_targetILNS1_3genE8ELNS1_11target_archE1030ELNS1_3gpuE2ELNS1_3repE0EEENS1_30default_config_static_selectorELNS0_4arch9wavefront6targetE0EEEvT1_.uses_flat_scratch, 0
	.set _ZN7rocprim17ROCPRIM_400000_NS6detail17trampoline_kernelINS0_14default_configENS1_27scan_by_key_config_selectorIifEEZZNS1_16scan_by_key_implILNS1_25lookback_scan_determinismE0ELb0ES3_N6thrust23THRUST_200600_302600_NS6detail15normal_iteratorINS9_10device_ptrIiEEEENSB_INSC_IfEEEESG_fNS9_4plusIvEENS9_8equal_toIvEEfEE10hipError_tPvRmT2_T3_T4_T5_mT6_T7_P12ihipStream_tbENKUlT_T0_E_clISt17integral_constantIbLb1EES10_IbLb0EEEEDaSW_SX_EUlSW_E_NS1_11comp_targetILNS1_3genE8ELNS1_11target_archE1030ELNS1_3gpuE2ELNS1_3repE0EEENS1_30default_config_static_selectorELNS0_4arch9wavefront6targetE0EEEvT1_.has_dyn_sized_stack, 0
	.set _ZN7rocprim17ROCPRIM_400000_NS6detail17trampoline_kernelINS0_14default_configENS1_27scan_by_key_config_selectorIifEEZZNS1_16scan_by_key_implILNS1_25lookback_scan_determinismE0ELb0ES3_N6thrust23THRUST_200600_302600_NS6detail15normal_iteratorINS9_10device_ptrIiEEEENSB_INSC_IfEEEESG_fNS9_4plusIvEENS9_8equal_toIvEEfEE10hipError_tPvRmT2_T3_T4_T5_mT6_T7_P12ihipStream_tbENKUlT_T0_E_clISt17integral_constantIbLb1EES10_IbLb0EEEEDaSW_SX_EUlSW_E_NS1_11comp_targetILNS1_3genE8ELNS1_11target_archE1030ELNS1_3gpuE2ELNS1_3repE0EEENS1_30default_config_static_selectorELNS0_4arch9wavefront6targetE0EEEvT1_.has_recursion, 0
	.set _ZN7rocprim17ROCPRIM_400000_NS6detail17trampoline_kernelINS0_14default_configENS1_27scan_by_key_config_selectorIifEEZZNS1_16scan_by_key_implILNS1_25lookback_scan_determinismE0ELb0ES3_N6thrust23THRUST_200600_302600_NS6detail15normal_iteratorINS9_10device_ptrIiEEEENSB_INSC_IfEEEESG_fNS9_4plusIvEENS9_8equal_toIvEEfEE10hipError_tPvRmT2_T3_T4_T5_mT6_T7_P12ihipStream_tbENKUlT_T0_E_clISt17integral_constantIbLb1EES10_IbLb0EEEEDaSW_SX_EUlSW_E_NS1_11comp_targetILNS1_3genE8ELNS1_11target_archE1030ELNS1_3gpuE2ELNS1_3repE0EEENS1_30default_config_static_selectorELNS0_4arch9wavefront6targetE0EEEvT1_.has_indirect_call, 0
	.section	.AMDGPU.csdata,"",@progbits
; Kernel info:
; codeLenInByte = 0
; TotalNumSgprs: 0
; NumVgprs: 0
; ScratchSize: 0
; MemoryBound: 0
; FloatMode: 240
; IeeeMode: 1
; LDSByteSize: 0 bytes/workgroup (compile time only)
; SGPRBlocks: 0
; VGPRBlocks: 0
; NumSGPRsForWavesPerEU: 1
; NumVGPRsForWavesPerEU: 1
; NamedBarCnt: 0
; Occupancy: 16
; WaveLimiterHint : 0
; COMPUTE_PGM_RSRC2:SCRATCH_EN: 0
; COMPUTE_PGM_RSRC2:USER_SGPR: 2
; COMPUTE_PGM_RSRC2:TRAP_HANDLER: 0
; COMPUTE_PGM_RSRC2:TGID_X_EN: 1
; COMPUTE_PGM_RSRC2:TGID_Y_EN: 0
; COMPUTE_PGM_RSRC2:TGID_Z_EN: 0
; COMPUTE_PGM_RSRC2:TIDIG_COMP_CNT: 0
	.section	.text._ZN7rocprim17ROCPRIM_400000_NS6detail30init_device_scan_by_key_kernelINS1_19lookback_scan_stateINS0_5tupleIJfbEEELb0ELb1EEEN6thrust23THRUST_200600_302600_NS6detail15normal_iteratorINS8_10device_ptrIiEEEEjNS1_16block_id_wrapperIjLb1EEEEEvT_jjPNSG_10value_typeET0_PNSt15iterator_traitsISJ_E10value_typeEmT1_T2_,"axG",@progbits,_ZN7rocprim17ROCPRIM_400000_NS6detail30init_device_scan_by_key_kernelINS1_19lookback_scan_stateINS0_5tupleIJfbEEELb0ELb1EEEN6thrust23THRUST_200600_302600_NS6detail15normal_iteratorINS8_10device_ptrIiEEEEjNS1_16block_id_wrapperIjLb1EEEEEvT_jjPNSG_10value_typeET0_PNSt15iterator_traitsISJ_E10value_typeEmT1_T2_,comdat
	.protected	_ZN7rocprim17ROCPRIM_400000_NS6detail30init_device_scan_by_key_kernelINS1_19lookback_scan_stateINS0_5tupleIJfbEEELb0ELb1EEEN6thrust23THRUST_200600_302600_NS6detail15normal_iteratorINS8_10device_ptrIiEEEEjNS1_16block_id_wrapperIjLb1EEEEEvT_jjPNSG_10value_typeET0_PNSt15iterator_traitsISJ_E10value_typeEmT1_T2_ ; -- Begin function _ZN7rocprim17ROCPRIM_400000_NS6detail30init_device_scan_by_key_kernelINS1_19lookback_scan_stateINS0_5tupleIJfbEEELb0ELb1EEEN6thrust23THRUST_200600_302600_NS6detail15normal_iteratorINS8_10device_ptrIiEEEEjNS1_16block_id_wrapperIjLb1EEEEEvT_jjPNSG_10value_typeET0_PNSt15iterator_traitsISJ_E10value_typeEmT1_T2_
	.globl	_ZN7rocprim17ROCPRIM_400000_NS6detail30init_device_scan_by_key_kernelINS1_19lookback_scan_stateINS0_5tupleIJfbEEELb0ELb1EEEN6thrust23THRUST_200600_302600_NS6detail15normal_iteratorINS8_10device_ptrIiEEEEjNS1_16block_id_wrapperIjLb1EEEEEvT_jjPNSG_10value_typeET0_PNSt15iterator_traitsISJ_E10value_typeEmT1_T2_
	.p2align	8
	.type	_ZN7rocprim17ROCPRIM_400000_NS6detail30init_device_scan_by_key_kernelINS1_19lookback_scan_stateINS0_5tupleIJfbEEELb0ELb1EEEN6thrust23THRUST_200600_302600_NS6detail15normal_iteratorINS8_10device_ptrIiEEEEjNS1_16block_id_wrapperIjLb1EEEEEvT_jjPNSG_10value_typeET0_PNSt15iterator_traitsISJ_E10value_typeEmT1_T2_,@function
_ZN7rocprim17ROCPRIM_400000_NS6detail30init_device_scan_by_key_kernelINS1_19lookback_scan_stateINS0_5tupleIJfbEEELb0ELb1EEEN6thrust23THRUST_200600_302600_NS6detail15normal_iteratorINS8_10device_ptrIiEEEEjNS1_16block_id_wrapperIjLb1EEEEEvT_jjPNSG_10value_typeET0_PNSt15iterator_traitsISJ_E10value_typeEmT1_T2_: ; @_ZN7rocprim17ROCPRIM_400000_NS6detail30init_device_scan_by_key_kernelINS1_19lookback_scan_stateINS0_5tupleIJfbEEELb0ELb1EEEN6thrust23THRUST_200600_302600_NS6detail15normal_iteratorINS8_10device_ptrIiEEEEjNS1_16block_id_wrapperIjLb1EEEEEvT_jjPNSG_10value_typeET0_PNSt15iterator_traitsISJ_E10value_typeEmT1_T2_
; %bb.0:
	s_clause 0x2
	s_load_b32 s2, s[0:1], 0x4c
	s_load_b32 s14, s[0:1], 0x40
	s_load_b256 s[4:11], s[0:1], 0x0
	s_bfe_u32 s3, ttmp6, 0x4000c
	s_and_b32 s12, ttmp6, 15
	s_add_co_i32 s3, s3, 1
	s_getreg_b32 s13, hwreg(HW_REG_IB_STS2, 6, 4)
	s_mul_i32 s3, ttmp9, s3
	s_delay_alu instid0(SALU_CYCLE_1)
	s_add_co_i32 s12, s12, s3
	s_wait_kmcnt 0x0
	s_and_b32 s15, s2, 0xffff
	s_cmp_eq_u32 s13, 0
	s_cselect_b32 s2, ttmp9, s12
	s_cmp_eq_u64 s[8:9], 0
	v_mad_u32 v4, s2, s15, v0
	s_cbranch_scc1 .LBB1161_8
; %bb.1:
	s_cmp_lt_u32 s7, s6
	s_mov_b32 s16, exec_lo
	s_cselect_b32 s2, s7, 0
	s_delay_alu instid0(VALU_DEP_1) | instid1(SALU_CYCLE_1)
	v_cmpx_eq_u32_e64 s2, v4
	s_cbranch_execz .LBB1161_7
; %bb.2:
	s_add_co_i32 s2, s7, 32
	s_mov_b32 s3, 0
	v_mov_b32_e32 v7, 0
	s_lshl_b64 s[12:13], s[2:3], 4
	s_mov_b32 s2, exec_lo
	s_add_nc_u64 s[12:13], s[4:5], s[12:13]
	s_delay_alu instid0(SALU_CYCLE_1) | instskip(SKIP_2) | instid1(VALU_DEP_1)
	v_mov_b64_e32 v[0:1], s[12:13]
	;;#ASMSTART
	global_load_b128 v[0:3], v[0:1] off scope:SCOPE_DEV	
s_wait_loadcnt 0x0
	;;#ASMEND
	v_and_b32_e32 v6, 0xff, v2
	v_cmpx_eq_u64_e32 0, v[6:7]
	s_cbranch_execz .LBB1161_6
; %bb.3:
	v_mov_b64_e32 v[8:9], s[12:13]
.LBB1161_4:                             ; =>This Inner Loop Header: Depth=1
	;;#ASMSTART
	global_load_b128 v[0:3], v[8:9] off scope:SCOPE_DEV	
s_wait_loadcnt 0x0
	;;#ASMEND
	v_and_b32_e32 v6, 0xff, v2
	s_delay_alu instid0(VALU_DEP_1) | instskip(SKIP_1) | instid1(SALU_CYCLE_1)
	v_cmp_ne_u64_e32 vcc_lo, 0, v[6:7]
	s_or_b32 s3, vcc_lo, s3
	s_and_not1_b32 exec_lo, exec_lo, s3
	s_cbranch_execnz .LBB1161_4
; %bb.5:
	s_or_b32 exec_lo, exec_lo, s3
.LBB1161_6:
	s_delay_alu instid0(SALU_CYCLE_1)
	s_or_b32 exec_lo, exec_lo, s2
	v_mov_b32_e32 v2, 0
	s_clause 0x1
	global_store_b32 v2, v0, s[8:9]
	global_store_b8 v2, v1, s[8:9] offset:4
.LBB1161_7:
	s_wait_xcnt 0x0
	s_or_b32 exec_lo, exec_lo, s16
.LBB1161_8:
	s_delay_alu instid0(SALU_CYCLE_1) | instskip(NEXT) | instid1(VALU_DEP_1)
	s_mov_b32 s2, exec_lo
	v_cmpx_eq_u32_e32 0, v4
	s_cbranch_execz .LBB1161_10
; %bb.9:
	s_load_b64 s[8:9], s[0:1], 0x38
	v_mov_b32_e32 v0, 0
	s_wait_kmcnt 0x0
	global_store_b32 v0, v0, s[8:9]
.LBB1161_10:
	s_wait_xcnt 0x0
	s_or_b32 exec_lo, exec_lo, s2
	s_delay_alu instid0(SALU_CYCLE_1)
	s_mov_b32 s2, exec_lo
	v_cmpx_gt_u32_e64 s6, v4
	s_cbranch_execz .LBB1161_12
; %bb.11:
	v_dual_mov_b32 v0, 0 :: v_dual_add_nc_u32 v5, 32, v4
	s_delay_alu instid0(VALU_DEP_1)
	v_dual_mov_b32 v1, v0 :: v_dual_mov_b32 v2, v0
	v_mov_b32_e32 v3, v0
	global_store_b128 v5, v[0:3], s[4:5] scale_offset
.LBB1161_12:
	s_wait_xcnt 0x0
	s_or_b32 exec_lo, exec_lo, s2
	v_mov_b32_e32 v5, 0
	s_mov_b32 s2, exec_lo
	v_cmpx_gt_u32_e32 32, v4
	s_cbranch_execz .LBB1161_14
; %bb.13:
	s_delay_alu instid0(VALU_DEP_2)
	v_lshl_add_u64 v[6:7], v[4:5], 4, s[4:5]
	v_dual_mov_b32 v2, 0xff :: v_dual_mov_b32 v1, v5
	v_dual_mov_b32 v0, v5 :: v_dual_mov_b32 v3, v5
	global_store_b128 v[6:7], v[0:3], off
.LBB1161_14:
	s_wait_xcnt 0x0
	s_or_b32 exec_lo, exec_lo, s2
	s_load_b64 s[2:3], s[0:1], 0x28
	s_mov_b32 s4, exec_lo
	s_wait_kmcnt 0x0
	v_cmpx_gt_u64_e64 s[2:3], v[4:5]
	s_cbranch_execz .LBB1161_17
; %bb.15:
	s_clause 0x1
	s_load_b32 s4, s[0:1], 0x30
	s_load_b64 s[6:7], s[0:1], 0x20
	s_mov_b32 s5, 0
	s_wait_xcnt 0x0
	s_mul_i32 s0, s14, s15
	s_mov_b32 s9, s5
	s_mov_b32 s1, s5
	s_wait_kmcnt 0x0
	v_mul_u64_e32 v[0:1], s[4:5], v[4:5]
	s_add_co_i32 s8, s4, -1
	v_lshl_add_u64 v[2:3], v[4:5], 2, s[6:7]
	s_lshl_b64 s[8:9], s[8:9], 2
	s_delay_alu instid0(SALU_CYCLE_1) | instskip(SKIP_1) | instid1(SALU_CYCLE_1)
	s_add_nc_u64 s[8:9], s[10:11], s[8:9]
	s_mul_u64 s[10:11], s[4:5], s[0:1]
	s_lshl_b64 s[6:7], s[10:11], 2
	s_delay_alu instid0(VALU_DEP_2)
	v_lshl_add_u64 v[0:1], v[0:1], 2, s[8:9]
	s_lshl_b64 s[8:9], s[0:1], 2
.LBB1161_16:                            ; =>This Inner Loop Header: Depth=1
	global_load_b32 v6, v[0:1], off
	v_add_nc_u64_e32 v[4:5], s[0:1], v[4:5]
	s_wait_xcnt 0x0
	v_add_nc_u64_e32 v[0:1], s[6:7], v[0:1]
	s_delay_alu instid0(VALU_DEP_2)
	v_cmp_le_u64_e32 vcc_lo, s[2:3], v[4:5]
	s_or_b32 s5, vcc_lo, s5
	s_wait_loadcnt 0x0
	global_store_b32 v[2:3], v6, off
	s_wait_xcnt 0x0
	v_add_nc_u64_e32 v[2:3], s[8:9], v[2:3]
	s_and_not1_b32 exec_lo, exec_lo, s5
	s_cbranch_execnz .LBB1161_16
.LBB1161_17:
	s_endpgm
	.section	.rodata,"a",@progbits
	.p2align	6, 0x0
	.amdhsa_kernel _ZN7rocprim17ROCPRIM_400000_NS6detail30init_device_scan_by_key_kernelINS1_19lookback_scan_stateINS0_5tupleIJfbEEELb0ELb1EEEN6thrust23THRUST_200600_302600_NS6detail15normal_iteratorINS8_10device_ptrIiEEEEjNS1_16block_id_wrapperIjLb1EEEEEvT_jjPNSG_10value_typeET0_PNSt15iterator_traitsISJ_E10value_typeEmT1_T2_
		.amdhsa_group_segment_fixed_size 0
		.amdhsa_private_segment_fixed_size 0
		.amdhsa_kernarg_size 320
		.amdhsa_user_sgpr_count 2
		.amdhsa_user_sgpr_dispatch_ptr 0
		.amdhsa_user_sgpr_queue_ptr 0
		.amdhsa_user_sgpr_kernarg_segment_ptr 1
		.amdhsa_user_sgpr_dispatch_id 0
		.amdhsa_user_sgpr_kernarg_preload_length 0
		.amdhsa_user_sgpr_kernarg_preload_offset 0
		.amdhsa_user_sgpr_private_segment_size 0
		.amdhsa_wavefront_size32 1
		.amdhsa_uses_dynamic_stack 0
		.amdhsa_enable_private_segment 0
		.amdhsa_system_sgpr_workgroup_id_x 1
		.amdhsa_system_sgpr_workgroup_id_y 0
		.amdhsa_system_sgpr_workgroup_id_z 0
		.amdhsa_system_sgpr_workgroup_info 0
		.amdhsa_system_vgpr_workitem_id 0
		.amdhsa_next_free_vgpr 10
		.amdhsa_next_free_sgpr 17
		.amdhsa_named_barrier_count 0
		.amdhsa_reserve_vcc 1
		.amdhsa_float_round_mode_32 0
		.amdhsa_float_round_mode_16_64 0
		.amdhsa_float_denorm_mode_32 3
		.amdhsa_float_denorm_mode_16_64 3
		.amdhsa_fp16_overflow 0
		.amdhsa_memory_ordered 1
		.amdhsa_forward_progress 1
		.amdhsa_inst_pref_size 5
		.amdhsa_round_robin_scheduling 0
		.amdhsa_exception_fp_ieee_invalid_op 0
		.amdhsa_exception_fp_denorm_src 0
		.amdhsa_exception_fp_ieee_div_zero 0
		.amdhsa_exception_fp_ieee_overflow 0
		.amdhsa_exception_fp_ieee_underflow 0
		.amdhsa_exception_fp_ieee_inexact 0
		.amdhsa_exception_int_div_zero 0
	.end_amdhsa_kernel
	.section	.text._ZN7rocprim17ROCPRIM_400000_NS6detail30init_device_scan_by_key_kernelINS1_19lookback_scan_stateINS0_5tupleIJfbEEELb0ELb1EEEN6thrust23THRUST_200600_302600_NS6detail15normal_iteratorINS8_10device_ptrIiEEEEjNS1_16block_id_wrapperIjLb1EEEEEvT_jjPNSG_10value_typeET0_PNSt15iterator_traitsISJ_E10value_typeEmT1_T2_,"axG",@progbits,_ZN7rocprim17ROCPRIM_400000_NS6detail30init_device_scan_by_key_kernelINS1_19lookback_scan_stateINS0_5tupleIJfbEEELb0ELb1EEEN6thrust23THRUST_200600_302600_NS6detail15normal_iteratorINS8_10device_ptrIiEEEEjNS1_16block_id_wrapperIjLb1EEEEEvT_jjPNSG_10value_typeET0_PNSt15iterator_traitsISJ_E10value_typeEmT1_T2_,comdat
.Lfunc_end1161:
	.size	_ZN7rocprim17ROCPRIM_400000_NS6detail30init_device_scan_by_key_kernelINS1_19lookback_scan_stateINS0_5tupleIJfbEEELb0ELb1EEEN6thrust23THRUST_200600_302600_NS6detail15normal_iteratorINS8_10device_ptrIiEEEEjNS1_16block_id_wrapperIjLb1EEEEEvT_jjPNSG_10value_typeET0_PNSt15iterator_traitsISJ_E10value_typeEmT1_T2_, .Lfunc_end1161-_ZN7rocprim17ROCPRIM_400000_NS6detail30init_device_scan_by_key_kernelINS1_19lookback_scan_stateINS0_5tupleIJfbEEELb0ELb1EEEN6thrust23THRUST_200600_302600_NS6detail15normal_iteratorINS8_10device_ptrIiEEEEjNS1_16block_id_wrapperIjLb1EEEEEvT_jjPNSG_10value_typeET0_PNSt15iterator_traitsISJ_E10value_typeEmT1_T2_
                                        ; -- End function
	.set _ZN7rocprim17ROCPRIM_400000_NS6detail30init_device_scan_by_key_kernelINS1_19lookback_scan_stateINS0_5tupleIJfbEEELb0ELb1EEEN6thrust23THRUST_200600_302600_NS6detail15normal_iteratorINS8_10device_ptrIiEEEEjNS1_16block_id_wrapperIjLb1EEEEEvT_jjPNSG_10value_typeET0_PNSt15iterator_traitsISJ_E10value_typeEmT1_T2_.num_vgpr, 10
	.set _ZN7rocprim17ROCPRIM_400000_NS6detail30init_device_scan_by_key_kernelINS1_19lookback_scan_stateINS0_5tupleIJfbEEELb0ELb1EEEN6thrust23THRUST_200600_302600_NS6detail15normal_iteratorINS8_10device_ptrIiEEEEjNS1_16block_id_wrapperIjLb1EEEEEvT_jjPNSG_10value_typeET0_PNSt15iterator_traitsISJ_E10value_typeEmT1_T2_.num_agpr, 0
	.set _ZN7rocprim17ROCPRIM_400000_NS6detail30init_device_scan_by_key_kernelINS1_19lookback_scan_stateINS0_5tupleIJfbEEELb0ELb1EEEN6thrust23THRUST_200600_302600_NS6detail15normal_iteratorINS8_10device_ptrIiEEEEjNS1_16block_id_wrapperIjLb1EEEEEvT_jjPNSG_10value_typeET0_PNSt15iterator_traitsISJ_E10value_typeEmT1_T2_.numbered_sgpr, 17
	.set _ZN7rocprim17ROCPRIM_400000_NS6detail30init_device_scan_by_key_kernelINS1_19lookback_scan_stateINS0_5tupleIJfbEEELb0ELb1EEEN6thrust23THRUST_200600_302600_NS6detail15normal_iteratorINS8_10device_ptrIiEEEEjNS1_16block_id_wrapperIjLb1EEEEEvT_jjPNSG_10value_typeET0_PNSt15iterator_traitsISJ_E10value_typeEmT1_T2_.num_named_barrier, 0
	.set _ZN7rocprim17ROCPRIM_400000_NS6detail30init_device_scan_by_key_kernelINS1_19lookback_scan_stateINS0_5tupleIJfbEEELb0ELb1EEEN6thrust23THRUST_200600_302600_NS6detail15normal_iteratorINS8_10device_ptrIiEEEEjNS1_16block_id_wrapperIjLb1EEEEEvT_jjPNSG_10value_typeET0_PNSt15iterator_traitsISJ_E10value_typeEmT1_T2_.private_seg_size, 0
	.set _ZN7rocprim17ROCPRIM_400000_NS6detail30init_device_scan_by_key_kernelINS1_19lookback_scan_stateINS0_5tupleIJfbEEELb0ELb1EEEN6thrust23THRUST_200600_302600_NS6detail15normal_iteratorINS8_10device_ptrIiEEEEjNS1_16block_id_wrapperIjLb1EEEEEvT_jjPNSG_10value_typeET0_PNSt15iterator_traitsISJ_E10value_typeEmT1_T2_.uses_vcc, 1
	.set _ZN7rocprim17ROCPRIM_400000_NS6detail30init_device_scan_by_key_kernelINS1_19lookback_scan_stateINS0_5tupleIJfbEEELb0ELb1EEEN6thrust23THRUST_200600_302600_NS6detail15normal_iteratorINS8_10device_ptrIiEEEEjNS1_16block_id_wrapperIjLb1EEEEEvT_jjPNSG_10value_typeET0_PNSt15iterator_traitsISJ_E10value_typeEmT1_T2_.uses_flat_scratch, 0
	.set _ZN7rocprim17ROCPRIM_400000_NS6detail30init_device_scan_by_key_kernelINS1_19lookback_scan_stateINS0_5tupleIJfbEEELb0ELb1EEEN6thrust23THRUST_200600_302600_NS6detail15normal_iteratorINS8_10device_ptrIiEEEEjNS1_16block_id_wrapperIjLb1EEEEEvT_jjPNSG_10value_typeET0_PNSt15iterator_traitsISJ_E10value_typeEmT1_T2_.has_dyn_sized_stack, 0
	.set _ZN7rocprim17ROCPRIM_400000_NS6detail30init_device_scan_by_key_kernelINS1_19lookback_scan_stateINS0_5tupleIJfbEEELb0ELb1EEEN6thrust23THRUST_200600_302600_NS6detail15normal_iteratorINS8_10device_ptrIiEEEEjNS1_16block_id_wrapperIjLb1EEEEEvT_jjPNSG_10value_typeET0_PNSt15iterator_traitsISJ_E10value_typeEmT1_T2_.has_recursion, 0
	.set _ZN7rocprim17ROCPRIM_400000_NS6detail30init_device_scan_by_key_kernelINS1_19lookback_scan_stateINS0_5tupleIJfbEEELb0ELb1EEEN6thrust23THRUST_200600_302600_NS6detail15normal_iteratorINS8_10device_ptrIiEEEEjNS1_16block_id_wrapperIjLb1EEEEEvT_jjPNSG_10value_typeET0_PNSt15iterator_traitsISJ_E10value_typeEmT1_T2_.has_indirect_call, 0
	.section	.AMDGPU.csdata,"",@progbits
; Kernel info:
; codeLenInByte = 636
; TotalNumSgprs: 19
; NumVgprs: 10
; ScratchSize: 0
; MemoryBound: 0
; FloatMode: 240
; IeeeMode: 1
; LDSByteSize: 0 bytes/workgroup (compile time only)
; SGPRBlocks: 0
; VGPRBlocks: 0
; NumSGPRsForWavesPerEU: 19
; NumVGPRsForWavesPerEU: 10
; NamedBarCnt: 0
; Occupancy: 16
; WaveLimiterHint : 0
; COMPUTE_PGM_RSRC2:SCRATCH_EN: 0
; COMPUTE_PGM_RSRC2:USER_SGPR: 2
; COMPUTE_PGM_RSRC2:TRAP_HANDLER: 0
; COMPUTE_PGM_RSRC2:TGID_X_EN: 1
; COMPUTE_PGM_RSRC2:TGID_Y_EN: 0
; COMPUTE_PGM_RSRC2:TGID_Z_EN: 0
; COMPUTE_PGM_RSRC2:TIDIG_COMP_CNT: 0
	.section	.text._ZN7rocprim17ROCPRIM_400000_NS6detail30init_device_scan_by_key_kernelINS1_19lookback_scan_stateINS0_5tupleIJfbEEELb0ELb1EEENS1_16block_id_wrapperIjLb1EEEEEvT_jjPNS9_10value_typeET0_,"axG",@progbits,_ZN7rocprim17ROCPRIM_400000_NS6detail30init_device_scan_by_key_kernelINS1_19lookback_scan_stateINS0_5tupleIJfbEEELb0ELb1EEENS1_16block_id_wrapperIjLb1EEEEEvT_jjPNS9_10value_typeET0_,comdat
	.protected	_ZN7rocprim17ROCPRIM_400000_NS6detail30init_device_scan_by_key_kernelINS1_19lookback_scan_stateINS0_5tupleIJfbEEELb0ELb1EEENS1_16block_id_wrapperIjLb1EEEEEvT_jjPNS9_10value_typeET0_ ; -- Begin function _ZN7rocprim17ROCPRIM_400000_NS6detail30init_device_scan_by_key_kernelINS1_19lookback_scan_stateINS0_5tupleIJfbEEELb0ELb1EEENS1_16block_id_wrapperIjLb1EEEEEvT_jjPNS9_10value_typeET0_
	.globl	_ZN7rocprim17ROCPRIM_400000_NS6detail30init_device_scan_by_key_kernelINS1_19lookback_scan_stateINS0_5tupleIJfbEEELb0ELb1EEENS1_16block_id_wrapperIjLb1EEEEEvT_jjPNS9_10value_typeET0_
	.p2align	8
	.type	_ZN7rocprim17ROCPRIM_400000_NS6detail30init_device_scan_by_key_kernelINS1_19lookback_scan_stateINS0_5tupleIJfbEEELb0ELb1EEENS1_16block_id_wrapperIjLb1EEEEEvT_jjPNS9_10value_typeET0_,@function
_ZN7rocprim17ROCPRIM_400000_NS6detail30init_device_scan_by_key_kernelINS1_19lookback_scan_stateINS0_5tupleIJfbEEELb0ELb1EEENS1_16block_id_wrapperIjLb1EEEEEvT_jjPNS9_10value_typeET0_: ; @_ZN7rocprim17ROCPRIM_400000_NS6detail30init_device_scan_by_key_kernelINS1_19lookback_scan_stateINS0_5tupleIJfbEEELb0ELb1EEENS1_16block_id_wrapperIjLb1EEEEEvT_jjPNS9_10value_typeET0_
; %bb.0:
	s_clause 0x1
	s_load_b32 s2, s[0:1], 0x2c
	s_load_b256 s[4:11], s[0:1], 0x0
	s_wait_xcnt 0x0
	s_bfe_u32 s0, ttmp6, 0x4000c
	s_and_b32 s1, ttmp6, 15
	s_add_co_i32 s0, s0, 1
	s_getreg_b32 s3, hwreg(HW_REG_IB_STS2, 6, 4)
	s_mul_i32 s0, ttmp9, s0
	s_delay_alu instid0(SALU_CYCLE_1)
	s_add_co_i32 s1, s1, s0
	s_wait_kmcnt 0x0
	s_and_b32 s2, s2, 0xffff
	s_cmp_eq_u32 s3, 0
	s_cselect_b32 s0, ttmp9, s1
	s_cmp_eq_u64 s[8:9], 0
	v_mad_u32 v8, s0, s2, v0
	s_cbranch_scc1 .LBB1162_8
; %bb.1:
	s_cmp_lt_u32 s7, s6
	s_mov_b32 s12, exec_lo
	s_cselect_b32 s0, s7, 0
	s_delay_alu instid0(VALU_DEP_1) | instid1(SALU_CYCLE_1)
	v_cmpx_eq_u32_e64 s0, v8
	s_cbranch_execz .LBB1162_7
; %bb.2:
	s_add_co_i32 s0, s7, 32
	s_mov_b32 s1, 0
	v_mov_b32_e32 v5, 0
	s_lshl_b64 s[2:3], s[0:1], 4
	s_mov_b32 s0, exec_lo
	s_add_nc_u64 s[2:3], s[4:5], s[2:3]
	s_delay_alu instid0(SALU_CYCLE_1) | instskip(SKIP_2) | instid1(VALU_DEP_1)
	v_mov_b64_e32 v[0:1], s[2:3]
	;;#ASMSTART
	global_load_b128 v[0:3], v[0:1] off scope:SCOPE_DEV	
s_wait_loadcnt 0x0
	;;#ASMEND
	v_and_b32_e32 v4, 0xff, v2
	v_cmpx_eq_u64_e32 0, v[4:5]
	s_cbranch_execz .LBB1162_6
; %bb.3:
	v_mov_b64_e32 v[6:7], s[2:3]
.LBB1162_4:                             ; =>This Inner Loop Header: Depth=1
	;;#ASMSTART
	global_load_b128 v[0:3], v[6:7] off scope:SCOPE_DEV	
s_wait_loadcnt 0x0
	;;#ASMEND
	v_and_b32_e32 v4, 0xff, v2
	s_delay_alu instid0(VALU_DEP_1) | instskip(SKIP_1) | instid1(SALU_CYCLE_1)
	v_cmp_ne_u64_e32 vcc_lo, 0, v[4:5]
	s_or_b32 s1, vcc_lo, s1
	s_and_not1_b32 exec_lo, exec_lo, s1
	s_cbranch_execnz .LBB1162_4
; %bb.5:
	s_or_b32 exec_lo, exec_lo, s1
.LBB1162_6:
	s_delay_alu instid0(SALU_CYCLE_1)
	s_or_b32 exec_lo, exec_lo, s0
	v_mov_b32_e32 v2, 0
	s_clause 0x1
	global_store_b32 v2, v0, s[8:9]
	global_store_b8 v2, v1, s[8:9] offset:4
.LBB1162_7:
	s_wait_xcnt 0x0
	s_or_b32 exec_lo, exec_lo, s12
.LBB1162_8:
	s_delay_alu instid0(SALU_CYCLE_1) | instskip(NEXT) | instid1(VALU_DEP_1)
	s_mov_b32 s0, exec_lo
	v_cmpx_eq_u32_e32 0, v8
	s_cbranch_execz .LBB1162_10
; %bb.9:
	v_mov_b32_e32 v0, 0
	global_store_b32 v0, v0, s[10:11]
.LBB1162_10:
	s_wait_xcnt 0x0
	s_or_b32 exec_lo, exec_lo, s0
	s_delay_alu instid0(SALU_CYCLE_1)
	s_mov_b32 s0, exec_lo
	v_cmpx_gt_u32_e64 s6, v8
	s_cbranch_execz .LBB1162_12
; %bb.11:
	v_dual_mov_b32 v0, 0 :: v_dual_add_nc_u32 v4, 32, v8
	s_delay_alu instid0(VALU_DEP_1)
	v_dual_mov_b32 v1, v0 :: v_dual_mov_b32 v2, v0
	v_mov_b32_e32 v3, v0
	global_store_b128 v4, v[0:3], s[4:5] scale_offset
.LBB1162_12:
	s_wait_xcnt 0x0
	s_or_b32 exec_lo, exec_lo, s0
	s_delay_alu instid0(SALU_CYCLE_1)
	s_mov_b32 s0, exec_lo
	v_cmpx_gt_u32_e32 32, v8
	s_cbranch_execz .LBB1162_14
; %bb.13:
	v_mov_b32_e32 v0, 0
	s_delay_alu instid0(VALU_DEP_1)
	v_dual_mov_b32 v2, 0xff :: v_dual_mov_b32 v1, v0
	v_mov_b32_e32 v3, v0
	global_store_b128 v8, v[0:3], s[4:5] scale_offset
.LBB1162_14:
	s_endpgm
	.section	.rodata,"a",@progbits
	.p2align	6, 0x0
	.amdhsa_kernel _ZN7rocprim17ROCPRIM_400000_NS6detail30init_device_scan_by_key_kernelINS1_19lookback_scan_stateINS0_5tupleIJfbEEELb0ELb1EEENS1_16block_id_wrapperIjLb1EEEEEvT_jjPNS9_10value_typeET0_
		.amdhsa_group_segment_fixed_size 0
		.amdhsa_private_segment_fixed_size 0
		.amdhsa_kernarg_size 288
		.amdhsa_user_sgpr_count 2
		.amdhsa_user_sgpr_dispatch_ptr 0
		.amdhsa_user_sgpr_queue_ptr 0
		.amdhsa_user_sgpr_kernarg_segment_ptr 1
		.amdhsa_user_sgpr_dispatch_id 0
		.amdhsa_user_sgpr_kernarg_preload_length 0
		.amdhsa_user_sgpr_kernarg_preload_offset 0
		.amdhsa_user_sgpr_private_segment_size 0
		.amdhsa_wavefront_size32 1
		.amdhsa_uses_dynamic_stack 0
		.amdhsa_enable_private_segment 0
		.amdhsa_system_sgpr_workgroup_id_x 1
		.amdhsa_system_sgpr_workgroup_id_y 0
		.amdhsa_system_sgpr_workgroup_id_z 0
		.amdhsa_system_sgpr_workgroup_info 0
		.amdhsa_system_vgpr_workitem_id 0
		.amdhsa_next_free_vgpr 9
		.amdhsa_next_free_sgpr 13
		.amdhsa_named_barrier_count 0
		.amdhsa_reserve_vcc 1
		.amdhsa_float_round_mode_32 0
		.amdhsa_float_round_mode_16_64 0
		.amdhsa_float_denorm_mode_32 3
		.amdhsa_float_denorm_mode_16_64 3
		.amdhsa_fp16_overflow 0
		.amdhsa_memory_ordered 1
		.amdhsa_forward_progress 1
		.amdhsa_inst_pref_size 4
		.amdhsa_round_robin_scheduling 0
		.amdhsa_exception_fp_ieee_invalid_op 0
		.amdhsa_exception_fp_denorm_src 0
		.amdhsa_exception_fp_ieee_div_zero 0
		.amdhsa_exception_fp_ieee_overflow 0
		.amdhsa_exception_fp_ieee_underflow 0
		.amdhsa_exception_fp_ieee_inexact 0
		.amdhsa_exception_int_div_zero 0
	.end_amdhsa_kernel
	.section	.text._ZN7rocprim17ROCPRIM_400000_NS6detail30init_device_scan_by_key_kernelINS1_19lookback_scan_stateINS0_5tupleIJfbEEELb0ELb1EEENS1_16block_id_wrapperIjLb1EEEEEvT_jjPNS9_10value_typeET0_,"axG",@progbits,_ZN7rocprim17ROCPRIM_400000_NS6detail30init_device_scan_by_key_kernelINS1_19lookback_scan_stateINS0_5tupleIJfbEEELb0ELb1EEENS1_16block_id_wrapperIjLb1EEEEEvT_jjPNS9_10value_typeET0_,comdat
.Lfunc_end1162:
	.size	_ZN7rocprim17ROCPRIM_400000_NS6detail30init_device_scan_by_key_kernelINS1_19lookback_scan_stateINS0_5tupleIJfbEEELb0ELb1EEENS1_16block_id_wrapperIjLb1EEEEEvT_jjPNS9_10value_typeET0_, .Lfunc_end1162-_ZN7rocprim17ROCPRIM_400000_NS6detail30init_device_scan_by_key_kernelINS1_19lookback_scan_stateINS0_5tupleIJfbEEELb0ELb1EEENS1_16block_id_wrapperIjLb1EEEEEvT_jjPNS9_10value_typeET0_
                                        ; -- End function
	.set _ZN7rocprim17ROCPRIM_400000_NS6detail30init_device_scan_by_key_kernelINS1_19lookback_scan_stateINS0_5tupleIJfbEEELb0ELb1EEENS1_16block_id_wrapperIjLb1EEEEEvT_jjPNS9_10value_typeET0_.num_vgpr, 9
	.set _ZN7rocprim17ROCPRIM_400000_NS6detail30init_device_scan_by_key_kernelINS1_19lookback_scan_stateINS0_5tupleIJfbEEELb0ELb1EEENS1_16block_id_wrapperIjLb1EEEEEvT_jjPNS9_10value_typeET0_.num_agpr, 0
	.set _ZN7rocprim17ROCPRIM_400000_NS6detail30init_device_scan_by_key_kernelINS1_19lookback_scan_stateINS0_5tupleIJfbEEELb0ELb1EEENS1_16block_id_wrapperIjLb1EEEEEvT_jjPNS9_10value_typeET0_.numbered_sgpr, 13
	.set _ZN7rocprim17ROCPRIM_400000_NS6detail30init_device_scan_by_key_kernelINS1_19lookback_scan_stateINS0_5tupleIJfbEEELb0ELb1EEENS1_16block_id_wrapperIjLb1EEEEEvT_jjPNS9_10value_typeET0_.num_named_barrier, 0
	.set _ZN7rocprim17ROCPRIM_400000_NS6detail30init_device_scan_by_key_kernelINS1_19lookback_scan_stateINS0_5tupleIJfbEEELb0ELb1EEENS1_16block_id_wrapperIjLb1EEEEEvT_jjPNS9_10value_typeET0_.private_seg_size, 0
	.set _ZN7rocprim17ROCPRIM_400000_NS6detail30init_device_scan_by_key_kernelINS1_19lookback_scan_stateINS0_5tupleIJfbEEELb0ELb1EEENS1_16block_id_wrapperIjLb1EEEEEvT_jjPNS9_10value_typeET0_.uses_vcc, 1
	.set _ZN7rocprim17ROCPRIM_400000_NS6detail30init_device_scan_by_key_kernelINS1_19lookback_scan_stateINS0_5tupleIJfbEEELb0ELb1EEENS1_16block_id_wrapperIjLb1EEEEEvT_jjPNS9_10value_typeET0_.uses_flat_scratch, 0
	.set _ZN7rocprim17ROCPRIM_400000_NS6detail30init_device_scan_by_key_kernelINS1_19lookback_scan_stateINS0_5tupleIJfbEEELb0ELb1EEENS1_16block_id_wrapperIjLb1EEEEEvT_jjPNS9_10value_typeET0_.has_dyn_sized_stack, 0
	.set _ZN7rocprim17ROCPRIM_400000_NS6detail30init_device_scan_by_key_kernelINS1_19lookback_scan_stateINS0_5tupleIJfbEEELb0ELb1EEENS1_16block_id_wrapperIjLb1EEEEEvT_jjPNS9_10value_typeET0_.has_recursion, 0
	.set _ZN7rocprim17ROCPRIM_400000_NS6detail30init_device_scan_by_key_kernelINS1_19lookback_scan_stateINS0_5tupleIJfbEEELb0ELb1EEENS1_16block_id_wrapperIjLb1EEEEEvT_jjPNS9_10value_typeET0_.has_indirect_call, 0
	.section	.AMDGPU.csdata,"",@progbits
; Kernel info:
; codeLenInByte = 416
; TotalNumSgprs: 15
; NumVgprs: 9
; ScratchSize: 0
; MemoryBound: 0
; FloatMode: 240
; IeeeMode: 1
; LDSByteSize: 0 bytes/workgroup (compile time only)
; SGPRBlocks: 0
; VGPRBlocks: 0
; NumSGPRsForWavesPerEU: 15
; NumVGPRsForWavesPerEU: 9
; NamedBarCnt: 0
; Occupancy: 16
; WaveLimiterHint : 0
; COMPUTE_PGM_RSRC2:SCRATCH_EN: 0
; COMPUTE_PGM_RSRC2:USER_SGPR: 2
; COMPUTE_PGM_RSRC2:TRAP_HANDLER: 0
; COMPUTE_PGM_RSRC2:TGID_X_EN: 1
; COMPUTE_PGM_RSRC2:TGID_Y_EN: 0
; COMPUTE_PGM_RSRC2:TGID_Z_EN: 0
; COMPUTE_PGM_RSRC2:TIDIG_COMP_CNT: 0
	.section	.text._ZN7rocprim17ROCPRIM_400000_NS6detail17trampoline_kernelINS0_14default_configENS1_27scan_by_key_config_selectorIifEEZZNS1_16scan_by_key_implILNS1_25lookback_scan_determinismE0ELb0ES3_N6thrust23THRUST_200600_302600_NS6detail15normal_iteratorINS9_10device_ptrIiEEEENSB_INSC_IfEEEESG_fNS9_4plusIvEENS9_8equal_toIvEEfEE10hipError_tPvRmT2_T3_T4_T5_mT6_T7_P12ihipStream_tbENKUlT_T0_E_clISt17integral_constantIbLb0EES10_IbLb1EEEEDaSW_SX_EUlSW_E_NS1_11comp_targetILNS1_3genE0ELNS1_11target_archE4294967295ELNS1_3gpuE0ELNS1_3repE0EEENS1_30default_config_static_selectorELNS0_4arch9wavefront6targetE0EEEvT1_,"axG",@progbits,_ZN7rocprim17ROCPRIM_400000_NS6detail17trampoline_kernelINS0_14default_configENS1_27scan_by_key_config_selectorIifEEZZNS1_16scan_by_key_implILNS1_25lookback_scan_determinismE0ELb0ES3_N6thrust23THRUST_200600_302600_NS6detail15normal_iteratorINS9_10device_ptrIiEEEENSB_INSC_IfEEEESG_fNS9_4plusIvEENS9_8equal_toIvEEfEE10hipError_tPvRmT2_T3_T4_T5_mT6_T7_P12ihipStream_tbENKUlT_T0_E_clISt17integral_constantIbLb0EES10_IbLb1EEEEDaSW_SX_EUlSW_E_NS1_11comp_targetILNS1_3genE0ELNS1_11target_archE4294967295ELNS1_3gpuE0ELNS1_3repE0EEENS1_30default_config_static_selectorELNS0_4arch9wavefront6targetE0EEEvT1_,comdat
	.protected	_ZN7rocprim17ROCPRIM_400000_NS6detail17trampoline_kernelINS0_14default_configENS1_27scan_by_key_config_selectorIifEEZZNS1_16scan_by_key_implILNS1_25lookback_scan_determinismE0ELb0ES3_N6thrust23THRUST_200600_302600_NS6detail15normal_iteratorINS9_10device_ptrIiEEEENSB_INSC_IfEEEESG_fNS9_4plusIvEENS9_8equal_toIvEEfEE10hipError_tPvRmT2_T3_T4_T5_mT6_T7_P12ihipStream_tbENKUlT_T0_E_clISt17integral_constantIbLb0EES10_IbLb1EEEEDaSW_SX_EUlSW_E_NS1_11comp_targetILNS1_3genE0ELNS1_11target_archE4294967295ELNS1_3gpuE0ELNS1_3repE0EEENS1_30default_config_static_selectorELNS0_4arch9wavefront6targetE0EEEvT1_ ; -- Begin function _ZN7rocprim17ROCPRIM_400000_NS6detail17trampoline_kernelINS0_14default_configENS1_27scan_by_key_config_selectorIifEEZZNS1_16scan_by_key_implILNS1_25lookback_scan_determinismE0ELb0ES3_N6thrust23THRUST_200600_302600_NS6detail15normal_iteratorINS9_10device_ptrIiEEEENSB_INSC_IfEEEESG_fNS9_4plusIvEENS9_8equal_toIvEEfEE10hipError_tPvRmT2_T3_T4_T5_mT6_T7_P12ihipStream_tbENKUlT_T0_E_clISt17integral_constantIbLb0EES10_IbLb1EEEEDaSW_SX_EUlSW_E_NS1_11comp_targetILNS1_3genE0ELNS1_11target_archE4294967295ELNS1_3gpuE0ELNS1_3repE0EEENS1_30default_config_static_selectorELNS0_4arch9wavefront6targetE0EEEvT1_
	.globl	_ZN7rocprim17ROCPRIM_400000_NS6detail17trampoline_kernelINS0_14default_configENS1_27scan_by_key_config_selectorIifEEZZNS1_16scan_by_key_implILNS1_25lookback_scan_determinismE0ELb0ES3_N6thrust23THRUST_200600_302600_NS6detail15normal_iteratorINS9_10device_ptrIiEEEENSB_INSC_IfEEEESG_fNS9_4plusIvEENS9_8equal_toIvEEfEE10hipError_tPvRmT2_T3_T4_T5_mT6_T7_P12ihipStream_tbENKUlT_T0_E_clISt17integral_constantIbLb0EES10_IbLb1EEEEDaSW_SX_EUlSW_E_NS1_11comp_targetILNS1_3genE0ELNS1_11target_archE4294967295ELNS1_3gpuE0ELNS1_3repE0EEENS1_30default_config_static_selectorELNS0_4arch9wavefront6targetE0EEEvT1_
	.p2align	8
	.type	_ZN7rocprim17ROCPRIM_400000_NS6detail17trampoline_kernelINS0_14default_configENS1_27scan_by_key_config_selectorIifEEZZNS1_16scan_by_key_implILNS1_25lookback_scan_determinismE0ELb0ES3_N6thrust23THRUST_200600_302600_NS6detail15normal_iteratorINS9_10device_ptrIiEEEENSB_INSC_IfEEEESG_fNS9_4plusIvEENS9_8equal_toIvEEfEE10hipError_tPvRmT2_T3_T4_T5_mT6_T7_P12ihipStream_tbENKUlT_T0_E_clISt17integral_constantIbLb0EES10_IbLb1EEEEDaSW_SX_EUlSW_E_NS1_11comp_targetILNS1_3genE0ELNS1_11target_archE4294967295ELNS1_3gpuE0ELNS1_3repE0EEENS1_30default_config_static_selectorELNS0_4arch9wavefront6targetE0EEEvT1_,@function
_ZN7rocprim17ROCPRIM_400000_NS6detail17trampoline_kernelINS0_14default_configENS1_27scan_by_key_config_selectorIifEEZZNS1_16scan_by_key_implILNS1_25lookback_scan_determinismE0ELb0ES3_N6thrust23THRUST_200600_302600_NS6detail15normal_iteratorINS9_10device_ptrIiEEEENSB_INSC_IfEEEESG_fNS9_4plusIvEENS9_8equal_toIvEEfEE10hipError_tPvRmT2_T3_T4_T5_mT6_T7_P12ihipStream_tbENKUlT_T0_E_clISt17integral_constantIbLb0EES10_IbLb1EEEEDaSW_SX_EUlSW_E_NS1_11comp_targetILNS1_3genE0ELNS1_11target_archE4294967295ELNS1_3gpuE0ELNS1_3repE0EEENS1_30default_config_static_selectorELNS0_4arch9wavefront6targetE0EEEvT1_: ; @_ZN7rocprim17ROCPRIM_400000_NS6detail17trampoline_kernelINS0_14default_configENS1_27scan_by_key_config_selectorIifEEZZNS1_16scan_by_key_implILNS1_25lookback_scan_determinismE0ELb0ES3_N6thrust23THRUST_200600_302600_NS6detail15normal_iteratorINS9_10device_ptrIiEEEENSB_INSC_IfEEEESG_fNS9_4plusIvEENS9_8equal_toIvEEfEE10hipError_tPvRmT2_T3_T4_T5_mT6_T7_P12ihipStream_tbENKUlT_T0_E_clISt17integral_constantIbLb0EES10_IbLb1EEEEDaSW_SX_EUlSW_E_NS1_11comp_targetILNS1_3genE0ELNS1_11target_archE4294967295ELNS1_3gpuE0ELNS1_3repE0EEENS1_30default_config_static_selectorELNS0_4arch9wavefront6targetE0EEEvT1_
; %bb.0:
	s_clause 0x1
	s_load_b128 s[28:31], s[0:1], 0x28
	s_load_b64 s[36:37], s[0:1], 0x38
	v_cmp_ne_u32_e64 s3, 0, v0
	v_cmp_eq_u32_e64 s2, 0, v0
	s_and_saveexec_b32 s4, s2
	s_cbranch_execz .LBB1163_4
; %bb.1:
	s_mov_b32 s6, exec_lo
	s_mov_b32 s5, exec_lo
	v_mbcnt_lo_u32_b32 v1, s6, 0
                                        ; implicit-def: $vgpr2
	s_delay_alu instid0(VALU_DEP_1)
	v_cmpx_eq_u32_e32 0, v1
	s_cbranch_execz .LBB1163_3
; %bb.2:
	s_load_b64 s[8:9], s[0:1], 0x68
	s_bcnt1_i32_b32 s6, s6
	s_delay_alu instid0(SALU_CYCLE_1)
	v_dual_mov_b32 v2, 0 :: v_dual_mov_b32 v3, s6
	s_wait_xcnt 0x0
	s_wait_kmcnt 0x0
	global_atomic_add_u32 v2, v2, v3, s[8:9] th:TH_ATOMIC_RETURN scope:SCOPE_DEV
.LBB1163_3:
	s_wait_xcnt 0x0
	s_or_b32 exec_lo, exec_lo, s5
	s_wait_loadcnt 0x0
	v_readfirstlane_b32 s5, v2
	s_delay_alu instid0(VALU_DEP_1)
	v_dual_mov_b32 v2, 0 :: v_dual_add_nc_u32 v1, s5, v1
	ds_store_b32 v2, v1
.LBB1163_4:
	s_or_b32 exec_lo, exec_lo, s4
	v_mov_b32_e32 v1, 0
	s_clause 0x2
	s_load_b256 s[12:19], s[0:1], 0x0
	s_load_b32 s38, s[0:1], 0x40
	s_load_b256 s[20:27], s[0:1], 0x48
	s_wait_dscnt 0x0
	s_barrier_signal -1
	s_barrier_wait -1
	ds_load_b32 v2, v1
	s_mov_b32 s39, 0
	s_wait_dscnt 0x0
	s_mov_b32 s9, s39
	s_barrier_signal -1
	s_barrier_wait -1
	s_barrier_signal -1
	s_barrier_wait -1
	s_wait_kmcnt 0x0
	s_lshl_b64 s[34:35], s[14:15], 2
	s_mul_u64 s[6:7], s[36:37], s[38:39]
	s_cmp_lg_u64 s[24:25], 0
	s_add_nc_u64 s[0:1], s[12:13], s[34:35]
	s_add_nc_u64 s[4:5], s[16:17], s[34:35]
	s_cselect_b32 s42, -1, 0
	v_readfirstlane_b32 s38, v2
	s_add_nc_u64 s[24:25], s[6:7], s[38:39]
	s_add_nc_u64 s[6:7], s[20:21], -1
	s_mul_i32 s8, s38, 0xc00
	v_cmp_ge_u64_e64 s31, s[24:25], s[6:7]
	s_lshl_b64 s[16:17], s[8:9], 2
	s_mul_i32 s33, s6, 0xfffff400
	s_add_nc_u64 s[20:21], s[0:1], s[16:17]
	s_add_nc_u64 s[14:15], s[4:5], s[16:17]
	s_and_b32 vcc_lo, exec_lo, s31
	s_cbranch_vccz .LBB1163_32
; %bb.5:
	flat_load_b32 v2, v1, s[20:21]
	s_add_co_i32 s43, s33, s30
	s_delay_alu instid0(SALU_CYCLE_1)
	v_cmp_gt_u32_e64 s0, s43, v0
	s_wait_loadcnt_dscnt 0x0
	v_mov_b32_e32 v3, v2
	s_and_saveexec_b32 s1, s0
	s_cbranch_execz .LBB1163_7
; %bb.6:
	flat_load_b32 v3, v0, s[20:21] scale_offset
.LBB1163_7:
	s_wait_xcnt 0x0
	s_or_b32 exec_lo, exec_lo, s1
	v_or_b32_e32 v1, 0x100, v0
	v_mov_b32_e32 v4, v2
	s_delay_alu instid0(VALU_DEP_2)
	v_cmp_gt_u32_e64 s1, s43, v1
	s_and_saveexec_b32 s4, s1
	s_cbranch_execz .LBB1163_9
; %bb.8:
	flat_load_b32 v4, v0, s[20:21] offset:1024 scale_offset
.LBB1163_9:
	s_wait_xcnt 0x0
	s_or_b32 exec_lo, exec_lo, s4
	v_or_b32_e32 v1, 0x200, v0
	v_mov_b32_e32 v5, v2
	s_delay_alu instid0(VALU_DEP_2)
	v_cmp_gt_u32_e64 s4, s43, v1
	s_and_saveexec_b32 s5, s4
	s_cbranch_execz .LBB1163_11
; %bb.10:
	flat_load_b32 v5, v0, s[20:21] offset:2048 scale_offset
.LBB1163_11:
	;; [unrolled: 11-line block ×10, first 2 shown]
	s_wait_xcnt 0x0
	s_or_b32 exec_lo, exec_lo, s13
	v_or_b32_e32 v1, 0xb00, v0
	s_mov_b32 s39, exec_lo
	s_delay_alu instid0(VALU_DEP_1) | instskip(SKIP_2) | instid1(SALU_CYCLE_1)
	v_cmp_gt_u32_e64 s13, s43, v1
	v_cmpx_le_u32_e64 s43, v1
	s_xor_b32 s39, exec_lo, s39
	s_and_not1_saveexec_b32 s39, s39
	s_cbranch_execz .LBB1163_29
; %bb.28:
	flat_load_b32 v2, v0, s[20:21] offset:11264 scale_offset
.LBB1163_29:
	s_wait_xcnt 0x0
	s_or_b32 exec_lo, exec_lo, s39
	v_lshlrev_b32_e32 v1, 2, v0
	s_cmp_eq_u64 s[24:25], 0
	s_mov_b64 s[40:41], s[20:21]
	s_wait_loadcnt_dscnt 0x0
	ds_store_2addr_stride64_b32 v1, v3, v4 offset1:4
	ds_store_2addr_stride64_b32 v1, v5, v6 offset0:8 offset1:12
	ds_store_2addr_stride64_b32 v1, v7, v8 offset0:16 offset1:20
	;; [unrolled: 1-line block ×5, first 2 shown]
	v_mad_u32_u24 v17, v0, 44, v1
	s_wait_dscnt 0x0
	s_barrier_signal -1
	s_barrier_wait -1
	ds_load_b32 v52, v17 offset:44
	ds_load_b64 v[38:39], v17
	ds_load_2addr_b64 v[2:5], v17 offset0:1 offset1:2
	ds_load_2addr_b32 v[30:31], v17 offset0:5 offset1:6
	ds_load_2addr_b32 v[14:15], v17 offset0:9 offset1:10
	;; [unrolled: 1-line block ×4, first 2 shown]
	s_cbranch_scc1 .LBB1163_35
; %bb.30:
	s_and_not1_b32 vcc_lo, exec_lo, s42
	s_cbranch_vccnz .LBB1163_33
; %bb.31:
	s_lshl_b64 s[40:41], s[24:25], 2
	s_mov_b32 s39, 0
	s_add_nc_u64 s[40:41], s[26:27], s[40:41]
	s_delay_alu instid0(SALU_CYCLE_1)
	s_add_nc_u64 s[40:41], s[40:41], -4
	s_branch .LBB1163_34
.LBB1163_32:
                                        ; implicit-def: $sgpr8
                                        ; implicit-def: $vgpr6_vgpr7
                                        ; implicit-def: $vgpr10_vgpr11
                                        ; implicit-def: $vgpr12_vgpr13
                                        ; implicit-def: $vgpr34_vgpr35
                                        ; implicit-def: $vgpr53
                                        ; implicit-def: $vgpr48
                                        ; implicit-def: $vgpr51
                                        ; implicit-def: $vgpr49
                                        ; implicit-def: $vgpr50
                                        ; implicit-def: $vgpr57
                                        ; implicit-def: $vgpr16
                                        ; implicit-def: $vgpr55
                                        ; implicit-def: $vgpr54
                                        ; implicit-def: $vgpr40
                                        ; implicit-def: $vgpr1
                                        ; implicit-def: $vgpr8
                                        ; implicit-def: $vgpr9
                                        ; implicit-def: $vgpr22_vgpr23
                                        ; implicit-def: $vgpr18_vgpr19
                                        ; implicit-def: $vgpr24_vgpr25
                                        ; implicit-def: $vgpr26_vgpr27
                                        ; implicit-def: $vgpr28_vgpr29
                                        ; implicit-def: $vgpr44
                                        ; implicit-def: $vgpr43
                                        ; implicit-def: $vgpr42
                                        ; implicit-def: $vgpr41
                                        ; implicit-def: $vgpr47
                                        ; implicit-def: $vgpr46
                                        ; implicit-def: $vgpr45
	v_lshlrev_b32_e32 v20, 2, v0
	s_cbranch_execnz .LBB1163_73
	s_branch .LBB1163_92
.LBB1163_33:
	s_add_nc_u64 s[40:41], s[20:21], -4
	s_mov_b32 s39, -1
.LBB1163_34:
	s_delay_alu instid0(SALU_CYCLE_1)
	s_and_not1_b32 vcc_lo, exec_lo, s39
.LBB1163_35:
	v_mov_b32_e32 v6, 0
	flat_load_b32 v20, v6, s[40:41]
	s_wait_xcnt 0x0
	v_mad_i32_i24 v6, 0xffffffd4, v0, v17
	s_wait_dscnt 0x7
	ds_store_b32 v6, v52 offset:12288
	s_wait_loadcnt_dscnt 0x0
	s_barrier_signal -1
	s_barrier_wait -1
	s_and_saveexec_b32 s39, s3
; %bb.36:
	v_mul_i32_i24_e32 v6, 0xffffffd4, v0
	s_delay_alu instid0(VALU_DEP_1)
	v_add_nc_u32_e32 v6, v17, v6
	ds_load_b32 v20, v6 offset:12284
; %bb.37:
	s_or_b32 exec_lo, exec_lo, s39
	s_wait_dscnt 0x0
	s_barrier_signal -1
	s_barrier_wait -1
                                        ; implicit-def: $vgpr6
	s_and_saveexec_b32 s39, s0
	s_cbranch_execnz .LBB1163_76
; %bb.38:
	s_or_b32 exec_lo, exec_lo, s39
                                        ; implicit-def: $vgpr7
	s_and_saveexec_b32 s0, s1
	s_cbranch_execnz .LBB1163_77
.LBB1163_39:
	s_or_b32 exec_lo, exec_lo, s0
                                        ; implicit-def: $vgpr8
	s_and_saveexec_b32 s0, s4
	s_cbranch_execnz .LBB1163_78
.LBB1163_40:
	s_or_b32 exec_lo, exec_lo, s0
                                        ; implicit-def: $vgpr9
	s_and_saveexec_b32 s0, s5
	s_cbranch_execnz .LBB1163_79
.LBB1163_41:
	s_or_b32 exec_lo, exec_lo, s0
                                        ; implicit-def: $vgpr10
	s_and_saveexec_b32 s0, s6
	s_cbranch_execnz .LBB1163_80
.LBB1163_42:
	s_or_b32 exec_lo, exec_lo, s0
                                        ; implicit-def: $vgpr11
	s_and_saveexec_b32 s0, s7
	s_cbranch_execnz .LBB1163_81
.LBB1163_43:
	s_or_b32 exec_lo, exec_lo, s0
                                        ; implicit-def: $vgpr12
	s_and_saveexec_b32 s0, s8
	s_cbranch_execnz .LBB1163_82
.LBB1163_44:
	s_or_b32 exec_lo, exec_lo, s0
                                        ; implicit-def: $vgpr13
	s_and_saveexec_b32 s0, s9
	s_cbranch_execnz .LBB1163_83
.LBB1163_45:
	s_or_b32 exec_lo, exec_lo, s0
                                        ; implicit-def: $vgpr16
	s_and_saveexec_b32 s0, s10
	s_cbranch_execnz .LBB1163_84
.LBB1163_46:
	s_or_b32 exec_lo, exec_lo, s0
                                        ; implicit-def: $vgpr18
	s_and_saveexec_b32 s0, s11
	s_cbranch_execnz .LBB1163_85
.LBB1163_47:
	s_or_b32 exec_lo, exec_lo, s0
                                        ; implicit-def: $vgpr19
	s_and_saveexec_b32 s0, s12
	s_cbranch_execnz .LBB1163_86
.LBB1163_48:
	s_or_b32 exec_lo, exec_lo, s0
                                        ; implicit-def: $vgpr21
	s_and_saveexec_b32 s0, s13
	s_cbranch_execz .LBB1163_50
.LBB1163_49:
	flat_load_b32 v21, v0, s[14:15] offset:11264 scale_offset
.LBB1163_50:
	s_wait_xcnt 0x0
	s_or_b32 exec_lo, exec_lo, s0
	v_mul_u32_u24_e32 v56, 12, v0
	s_wait_loadcnt_dscnt 0x0
	ds_store_2addr_stride64_b32 v1, v6, v7 offset1:4
	ds_store_2addr_stride64_b32 v1, v8, v9 offset0:8 offset1:12
	ds_store_2addr_stride64_b32 v1, v10, v11 offset0:16 offset1:20
	;; [unrolled: 1-line block ×5, first 2 shown]
	v_mov_b64_e32 v[6:7], 0
	v_mov_b64_e32 v[10:11], 0
	;; [unrolled: 1-line block ×9, first 2 shown]
	v_cmp_gt_u32_e32 vcc_lo, s43, v56
	v_dual_mov_b32 v53, 0 :: v_dual_mov_b32 v48, 0
	v_dual_mov_b32 v51, 0 :: v_dual_mov_b32 v49, 0
	;; [unrolled: 1-line block ×9, first 2 shown]
	v_mov_b32_e32 v45, 0
	s_mov_b32 s7, 0
	s_mov_b32 s39, 0
	s_wait_dscnt 0x0
	s_barrier_signal -1
	s_barrier_wait -1
                                        ; implicit-def: $sgpr8
                                        ; implicit-def: $vgpr50
	s_and_saveexec_b32 s9, vcc_lo
	s_cbranch_execz .LBB1163_72
; %bb.51:
	ds_load_b32 v16, v17
	v_dual_mov_b32 v53, 0 :: v_dual_bitop2_b32 v1, 1, v56 bitop3:0x54
	v_mov_b64_e32 v[6:7], 0
	v_mov_b64_e32 v[10:11], 0
	;; [unrolled: 1-line block ×9, first 2 shown]
	v_cmp_gt_u32_e64 s0, s43, v1
	v_dual_mov_b32 v48, 0 :: v_dual_mov_b32 v51, 0
	v_dual_mov_b32 v49, 0 :: v_dual_mov_b32 v55, 0
	;; [unrolled: 1-line block ×7, first 2 shown]
	v_mov_b32_e32 v45, 0
	s_mov_b32 s1, 0
	v_cmp_ne_u32_e32 vcc_lo, v20, v38
                                        ; implicit-def: $sgpr8
                                        ; implicit-def: $vgpr50
	s_and_saveexec_b32 s10, s0
	s_cbranch_execz .LBB1163_71
; %bb.52:
	ds_load_2addr_b32 v[20:21], v17 offset0:1 offset1:2
	v_dual_mov_b32 v35, 0 :: v_dual_bitop2_b32 v1, 2, v56 bitop3:0x54
	v_mov_b64_e32 v[6:7], 0
	v_mov_b64_e32 v[10:11], 0
	;; [unrolled: 1-line block ×7, first 2 shown]
	v_cmp_ne_u32_e64 s0, v38, v39
	v_cmp_gt_u32_e64 s1, s43, v1
	v_dual_mov_b32 v53, v35 :: v_dual_mov_b32 v48, v35
	v_dual_mov_b32 v51, v35 :: v_dual_mov_b32 v49, v35
	;; [unrolled: 1-line block ×4, first 2 shown]
	s_wait_dscnt 0x0
	v_dual_mov_b32 v9, v35 :: v_dual_mov_b32 v34, v20
	v_dual_mov_b32 v44, v35 :: v_dual_mov_b32 v43, v35
	;; [unrolled: 1-line block ×3, first 2 shown]
	v_mov_b32_e32 v45, v35
	s_mov_b32 s4, 0
                                        ; implicit-def: $sgpr8
                                        ; implicit-def: $vgpr50
	s_and_saveexec_b32 s11, s1
	s_cbranch_execz .LBB1163_70
; %bb.53:
	v_dual_mov_b32 v53, 0 :: v_dual_bitop2_b32 v1, 3, v56 bitop3:0x54
	v_mov_b64_e32 v[6:7], 0
	v_mov_b64_e32 v[10:11], 0
	;; [unrolled: 1-line block ×7, first 2 shown]
	v_cmp_ne_u32_e64 s1, v39, v2
	v_cmp_gt_u32_e64 s4, s43, v1
	v_dual_mov_b32 v48, 0 :: v_dual_mov_b32 v51, 0
	v_dual_mov_b32 v49, 0 :: v_dual_mov_b32 v40, 0
	;; [unrolled: 1-line block ×5, first 2 shown]
	s_mov_b32 s5, 0
                                        ; implicit-def: $sgpr8
                                        ; implicit-def: $vgpr50
	s_and_saveexec_b32 s12, s4
	s_cbranch_execz .LBB1163_69
; %bb.54:
	ds_load_2addr_b32 v[26:27], v17 offset0:3 offset1:4
	v_cmp_ne_u32_e64 s6, v3, v37
	v_mov_b64_e32 v[6:7], 0
	v_mov_b64_e32 v[10:11], 0
	;; [unrolled: 1-line block ×3, first 2 shown]
	v_mov_b32_e32 v13, 0
	v_cndmask_b32_e64 v1, 0, 1, s6
	v_cmp_ne_u32_e64 s6, v2, v36
	v_add_nc_u32_e32 v2, 4, v56
	v_mov_b64_e32 v[18:19], 0
	v_mov_b64_e32 v[24:25], 0
	v_cmp_ne_u32_e64 s4, v4, v30
	v_cmp_ne_u32_e64 s5, v5, v31
	v_cndmask_b32_e64 v28, 0, 1, s6
	v_lshlrev_b16 v29, 8, v1
	v_dual_mov_b32 v48, v13 :: v_dual_mov_b32 v51, v13
	v_dual_mov_b32 v49, v13 :: v_dual_mov_b32 v40, v13
	;; [unrolled: 1-line block ×3, first 2 shown]
	s_wait_dscnt 0x0
	v_dual_mov_b32 v9, v13 :: v_dual_mov_b32 v12, v26
	v_dual_mov_b32 v43, v13 :: v_dual_mov_b32 v42, v13
	v_mov_b32_e32 v41, v13
	s_mov_b32 s13, exec_lo
                                        ; implicit-def: $sgpr8
                                        ; implicit-def: $vgpr50
	v_cmpx_gt_u32_e64 s43, v2
	s_cbranch_execz .LBB1163_68
; %bb.55:
	v_cndmask_b32_e64 v1, 0, 1, s5
	v_cndmask_b32_e64 v2, 0, 1, s4
	v_and_b32_e32 v3, 0xffff, v29
	v_mov_b64_e32 v[6:7], 0
	v_mov_b64_e32 v[10:11], 0
	v_lshlrev_b16 v1, 8, v1
	v_add_nc_u32_e32 v4, 5, v56
	v_mov_b64_e32 v[22:23], 0
	v_mov_b64_e32 v[18:19], 0
	;; [unrolled: 1-line block ×3, first 2 shown]
	v_dual_mov_b32 v51, 0 :: v_dual_bitop2_b32 v12, v2, v1 bitop3:0x54
	v_dual_mov_b32 v49, 0 :: v_dual_mov_b32 v1, 0
	s_delay_alu instid0(VALU_DEP_2) | instskip(SKIP_3) | instid1(VALU_DEP_2)
	v_dual_mov_b32 v8, 0 :: v_dual_lshlrev_b32 v13, 16, v12
	v_dual_mov_b32 v40, 0 :: v_dual_mov_b32 v9, 0
	s_mov_b32 s5, 0
	s_mov_b32 s39, exec_lo
	v_or_b32_e32 v2, v3, v13
                                        ; implicit-def: $sgpr8
                                        ; implicit-def: $vgpr50
	s_delay_alu instid0(VALU_DEP_1)
	v_dual_mov_b32 v41, 0 :: v_dual_lshrrev_b32 v48, 8, v2
	v_cmpx_gt_u32_e64 s43, v4
	s_cbranch_execz .LBB1163_67
; %bb.56:
	ds_load_2addr_b32 v[2:3], v17 offset0:5 offset1:6
	v_dual_add_nc_u32 v1, 6, v56 :: v_dual_mov_b32 v11, 0
	v_mov_b64_e32 v[6:7], 0
	v_mov_b64_e32 v[22:23], 0
	;; [unrolled: 1-line block ×3, first 2 shown]
	s_delay_alu instid0(VALU_DEP_4)
	v_cmp_gt_u32_e64 s4, s43, v1
	v_dual_mov_b32 v49, v11 :: v_dual_mov_b32 v40, v11
	v_dual_mov_b32 v1, v11 :: v_dual_mov_b32 v8, v11
	;; [unrolled: 1-line block ×3, first 2 shown]
                                        ; implicit-def: $sgpr8
                                        ; implicit-def: $vgpr50
	s_wait_dscnt 0x0
	v_mov_b32_e32 v10, v2
	s_and_saveexec_b32 s40, s4
	s_cbranch_execz .LBB1163_66
; %bb.57:
	v_mov_b64_e32 v[6:7], 0
	v_mov_b64_e32 v[22:23], 0
	;; [unrolled: 1-line block ×3, first 2 shown]
	v_dual_add_nc_u32 v4, 7, v56 :: v_dual_mov_b32 v40, 0
	v_dual_mov_b32 v1, 0 :: v_dual_mov_b32 v8, 0
	v_mov_b32_e32 v9, 0
	s_mov_b32 s41, exec_lo
                                        ; implicit-def: $sgpr8
                                        ; implicit-def: $vgpr50
	s_delay_alu instid0(VALU_DEP_3)
	v_cmpx_gt_u32_e64 s43, v4
	s_cbranch_execz .LBB1163_65
; %bb.58:
	ds_load_2addr_b32 v[4:5], v17 offset0:7 offset1:8
	v_cmp_ne_u32_e64 s6, v32, v33
	v_dual_mov_b32 v7, 0 :: v_dual_add_nc_u32 v6, 8, v56
	v_mov_b64_e32 v[22:23], 0
	v_cmp_ne_u32_e64 s4, v33, v14
	s_delay_alu instid0(VALU_DEP_4)
	v_cndmask_b32_e64 v1, 0, 1, s6
	v_cmp_ne_u32_e64 s6, v31, v32
	v_cmp_ne_u32_e64 s5, v14, v15
	s_mov_b32 s45, 0
	v_mov_b32_e32 v8, v7
	v_lshlrev_b16 v11, 8, v1
	v_cndmask_b32_e64 v10, 0, 1, s6
	v_cmp_gt_u32_e64 s6, s43, v6
	v_mov_b32_e32 v1, v7
                                        ; implicit-def: $sgpr8
                                        ; implicit-def: $vgpr50
	s_wait_dscnt 0x0
	v_dual_mov_b32 v9, v7 :: v_dual_mov_b32 v6, v4
	s_and_saveexec_b32 s44, s6
	s_cbranch_execz .LBB1163_64
; %bb.59:
	v_cndmask_b32_e64 v1, 0, 1, s5
	v_cndmask_b32_e64 v6, 0, 1, s4
	v_mov_b64_e32 v[22:23], 0
	s_mov_b32 s6, 0
	s_mov_b32 s5, exec_lo
	v_lshlrev_b16 v1, 8, v1
                                        ; implicit-def: $sgpr8
                                        ; implicit-def: $vgpr50
	v_dual_mov_b32 v8, 0 :: v_dual_mov_b32 v9, 0
	s_delay_alu instid0(VALU_DEP_2) | instskip(SKIP_1) | instid1(VALU_DEP_2)
	v_dual_add_nc_u32 v6, 9, v56 :: v_dual_bitop2_b32 v14, v6, v1 bitop3:0x54
	v_and_b32_e32 v1, 0xffff, v11
	v_lshlrev_b32_e32 v18, 16, v14
	s_delay_alu instid0(VALU_DEP_1) | instskip(NEXT) | instid1(VALU_DEP_1)
	v_or_b32_e32 v1, v1, v18
	v_lshrrev_b32_e32 v1, 8, v1
	v_cmpx_gt_u32_e64 s43, v6
	s_cbranch_execz .LBB1163_63
; %bb.60:
	ds_load_2addr_b32 v[6:7], v17 offset0:9 offset1:10
	v_dual_add_nc_u32 v19, 10, v56 :: v_dual_mov_b32 v9, 0
	s_mov_b32 s45, exec_lo
                                        ; implicit-def: $sgpr8
                                        ; implicit-def: $vgpr50
	s_wait_dscnt 0x0
	v_mov_b32_e32 v8, v6
	s_delay_alu instid0(VALU_DEP_1)
	v_mov_b64_e32 v[22:23], v[8:9]
	v_cmpx_gt_u32_e64 s43, v19
	s_xor_b32 s45, exec_lo, s45
	s_cbranch_execz .LBB1163_62
; %bb.61:
	ds_load_b32 v50, v17 offset:44
	v_dual_add_nc_u32 v8, 11, v56 :: v_dual_lshrrev_b32 v9, 24, v18
	v_mov_b64_e32 v[22:23], v[6:7]
	v_cmp_ne_u32_e64 s8, v15, v52
	s_delay_alu instid0(VALU_DEP_3)
	v_cmp_gt_u32_e64 s4, s43, v8
	s_and_b32 s6, s4, exec_lo
.LBB1163_62:
	s_or_b32 exec_lo, exec_lo, s45
	v_mov_b32_e32 v8, v14
	s_and_b32 s6, s6, exec_lo
.LBB1163_63:
	s_or_b32 exec_lo, exec_lo, s5
	v_mov_b64_e32 v[6:7], v[4:5]
	s_and_b32 s45, s6, exec_lo
.LBB1163_64:
	s_or_b32 exec_lo, exec_lo, s44
	s_delay_alu instid0(VALU_DEP_1)
	v_mov_b64_e32 v[18:19], v[6:7]
	v_or_b32_e32 v40, v10, v11
	s_and_b32 s5, s45, exec_lo
.LBB1163_65:
	s_or_b32 exec_lo, exec_lo, s41
	v_lshrrev_b32_e32 v49, 24, v13
	v_mov_b64_e32 v[10:11], v[2:3]
	s_and_b32 s5, s5, exec_lo
	s_delay_alu instid0(VALU_DEP_2)
	v_mov_b32_e32 v41, v49
.LBB1163_66:
	s_or_b32 exec_lo, exec_lo, s40
	s_delay_alu instid0(VALU_DEP_1)
	v_mov_b64_e32 v[24:25], v[10:11]
	v_mov_b32_e32 v51, v12
	s_and_b32 s5, s5, exec_lo
.LBB1163_67:
	s_or_b32 exec_lo, exec_lo, s39
	v_mov_b64_e32 v[12:13], v[26:27]
	s_delay_alu instid0(VALU_DEP_2)
	v_dual_mov_b32 v43, v48 :: v_dual_mov_b32 v42, v51
	s_and_b32 s39, s5, exec_lo
.LBB1163_68:
	s_or_b32 exec_lo, exec_lo, s13
	s_delay_alu instid0(VALU_DEP_2)
	v_mov_b64_e32 v[26:27], v[12:13]
	v_or_b32_e32 v53, v28, v29
	s_and_b32 s5, s39, exec_lo
.LBB1163_69:
	s_or_b32 exec_lo, exec_lo, s12
	v_cndmask_b32_e64 v54, 0, 1, s1
	v_mov_b64_e32 v[34:35], v[20:21]
	v_mov_b32_e32 v44, v53
	s_and_b32 s4, s5, exec_lo
	s_delay_alu instid0(VALU_DEP_3)
	v_mov_b32_e32 v45, v54
.LBB1163_70:
	s_or_b32 exec_lo, exec_lo, s11
	v_cndmask_b32_e64 v55, 0, 1, s0
	s_delay_alu instid0(VALU_DEP_4) | instskip(SKIP_1) | instid1(VALU_DEP_2)
	v_mov_b64_e32 v[28:29], v[34:35]
	s_and_b32 s1, s4, exec_lo
	v_mov_b32_e32 v46, v55
.LBB1163_71:
	s_or_b32 exec_lo, exec_lo, s10
	v_cndmask_b32_e64 v57, 0, 1, vcc_lo
	s_and_b32 s39, s1, exec_lo
	s_delay_alu instid0(VALU_DEP_1)
	v_mov_b32_e32 v47, v57
.LBB1163_72:
	s_or_b32 exec_lo, exec_lo, s9
	v_lshlrev_b32_e32 v20, 2, v0
	s_and_b32 vcc_lo, exec_lo, s7
	s_cbranch_vccz .LBB1163_92
.LBB1163_73:
	s_clause 0xb
	flat_load_b32 v2, v0, s[20:21] scale_offset
	flat_load_b32 v3, v0, s[20:21] offset:1024 scale_offset
	flat_load_b32 v4, v0, s[20:21] offset:2048 scale_offset
	;; [unrolled: 1-line block ×11, first 2 shown]
	v_mad_u32_u24 v1, v0, 44, v20
	v_mov_b32_e32 v17, 0
	s_cmp_eq_u64 s[24:25], 0
	s_wait_loadcnt_dscnt 0xa0a
	ds_store_2addr_stride64_b32 v20, v2, v3 offset1:4
	s_wait_loadcnt_dscnt 0x809
	ds_store_2addr_stride64_b32 v20, v4, v5 offset0:8 offset1:12
	s_wait_loadcnt_dscnt 0x608
	ds_store_2addr_stride64_b32 v20, v6, v7 offset0:16 offset1:20
	;; [unrolled: 2-line block ×5, first 2 shown]
	s_wait_dscnt 0x0
	s_barrier_signal -1
	s_barrier_wait -1
	ds_load_b32 v16, v1 offset:44
	ds_load_b64 v[6:7], v1
	ds_load_2addr_b64 v[2:5], v1 offset0:1 offset1:2
	ds_load_2addr_b32 v[8:9], v1 offset0:5 offset1:6
	ds_load_2addr_b32 v[12:13], v1 offset0:9 offset1:10
	;; [unrolled: 1-line block ×4, first 2 shown]
	s_cbranch_scc1 .LBB1163_89
; %bb.74:
	s_and_not1_b32 vcc_lo, exec_lo, s42
	s_cbranch_vccnz .LBB1163_87
; %bb.75:
	s_lshl_b64 s[0:1], s[24:25], 2
	s_delay_alu instid0(SALU_CYCLE_1) | instskip(NEXT) | instid1(SALU_CYCLE_1)
	s_add_nc_u64 s[0:1], s[26:27], s[0:1]
	s_add_nc_u64 s[20:21], s[0:1], -4
	s_mov_b32 s0, 0
	s_branch .LBB1163_88
.LBB1163_76:
	flat_load_b32 v6, v0, s[14:15] scale_offset
	s_wait_xcnt 0x0
	s_or_b32 exec_lo, exec_lo, s39
                                        ; implicit-def: $vgpr7
	s_and_saveexec_b32 s0, s1
	s_cbranch_execz .LBB1163_39
.LBB1163_77:
	flat_load_b32 v7, v0, s[14:15] offset:1024 scale_offset
	s_wait_xcnt 0x0
	s_or_b32 exec_lo, exec_lo, s0
                                        ; implicit-def: $vgpr8
	s_and_saveexec_b32 s0, s4
	s_cbranch_execz .LBB1163_40
.LBB1163_78:
	flat_load_b32 v8, v0, s[14:15] offset:2048 scale_offset
	s_wait_xcnt 0x0
	s_or_b32 exec_lo, exec_lo, s0
                                        ; implicit-def: $vgpr9
	s_and_saveexec_b32 s0, s5
	s_cbranch_execz .LBB1163_41
.LBB1163_79:
	flat_load_b32 v9, v0, s[14:15] offset:3072 scale_offset
	s_wait_xcnt 0x0
	s_or_b32 exec_lo, exec_lo, s0
                                        ; implicit-def: $vgpr10
	s_and_saveexec_b32 s0, s6
	s_cbranch_execz .LBB1163_42
.LBB1163_80:
	flat_load_b32 v10, v0, s[14:15] offset:4096 scale_offset
	s_wait_xcnt 0x0
	s_or_b32 exec_lo, exec_lo, s0
                                        ; implicit-def: $vgpr11
	s_and_saveexec_b32 s0, s7
	s_cbranch_execz .LBB1163_43
.LBB1163_81:
	flat_load_b32 v11, v0, s[14:15] offset:5120 scale_offset
	s_wait_xcnt 0x0
	s_or_b32 exec_lo, exec_lo, s0
                                        ; implicit-def: $vgpr12
	s_and_saveexec_b32 s0, s8
	s_cbranch_execz .LBB1163_44
.LBB1163_82:
	flat_load_b32 v12, v0, s[14:15] offset:6144 scale_offset
	s_wait_xcnt 0x0
	s_or_b32 exec_lo, exec_lo, s0
                                        ; implicit-def: $vgpr13
	s_and_saveexec_b32 s0, s9
	s_cbranch_execz .LBB1163_45
.LBB1163_83:
	flat_load_b32 v13, v0, s[14:15] offset:7168 scale_offset
	s_wait_xcnt 0x0
	s_or_b32 exec_lo, exec_lo, s0
                                        ; implicit-def: $vgpr16
	s_and_saveexec_b32 s0, s10
	s_cbranch_execz .LBB1163_46
.LBB1163_84:
	flat_load_b32 v16, v0, s[14:15] offset:8192 scale_offset
	s_wait_xcnt 0x0
	s_or_b32 exec_lo, exec_lo, s0
                                        ; implicit-def: $vgpr18
	s_and_saveexec_b32 s0, s11
	s_cbranch_execz .LBB1163_47
.LBB1163_85:
	flat_load_b32 v18, v0, s[14:15] offset:9216 scale_offset
	s_wait_xcnt 0x0
	s_or_b32 exec_lo, exec_lo, s0
                                        ; implicit-def: $vgpr19
	s_and_saveexec_b32 s0, s12
	s_cbranch_execz .LBB1163_48
.LBB1163_86:
	flat_load_b32 v19, v0, s[14:15] offset:10240 scale_offset
	s_wait_xcnt 0x0
	s_or_b32 exec_lo, exec_lo, s0
                                        ; implicit-def: $vgpr21
	s_and_saveexec_b32 s0, s13
	s_cbranch_execnz .LBB1163_49
	s_branch .LBB1163_50
.LBB1163_87:
	s_add_nc_u64 s[20:21], s[20:21], -4
	s_mov_b32 s0, -1
.LBB1163_88:
	s_delay_alu instid0(SALU_CYCLE_1)
	s_and_not1_b32 vcc_lo, exec_lo, s0
.LBB1163_89:
	flat_load_b32 v17, v17, s[20:21]
	v_mad_i32_i24 v18, 0xffffffd4, v0, v1
	s_wait_dscnt 0x7
	ds_store_b32 v18, v16 offset:12288
	s_wait_loadcnt_dscnt 0x0
	s_barrier_signal -1
	s_barrier_wait -1
	s_and_saveexec_b32 s0, s3
; %bb.90:
	v_mul_i32_i24_e32 v17, 0xffffffd4, v0
	s_delay_alu instid0(VALU_DEP_1)
	v_add_nc_u32_e32 v17, v1, v17
	ds_load_b32 v17, v17 offset:12284
; %bb.91:
	s_or_b32 exec_lo, exec_lo, s0
	s_wait_dscnt 0x0
	s_barrier_signal -1
	s_barrier_wait -1
	s_clause 0xb
	flat_load_b32 v18, v0, s[14:15] scale_offset
	flat_load_b32 v19, v0, s[14:15] offset:1024 scale_offset
	flat_load_b32 v21, v0, s[14:15] offset:2048 scale_offset
	;; [unrolled: 1-line block ×11, first 2 shown]
	v_cmp_ne_u32_e32 vcc_lo, v14, v15
	v_cmp_ne_u32_e64 s8, v13, v16
	s_mov_b32 s39, -1
	s_wait_loadcnt_dscnt 0xa0a
	ds_store_2addr_stride64_b32 v20, v18, v19 offset1:4
	s_wait_loadcnt_dscnt 0x809
	ds_store_2addr_stride64_b32 v20, v21, v22 offset0:8 offset1:12
	s_wait_loadcnt_dscnt 0x608
	ds_store_2addr_stride64_b32 v20, v23, v24 offset0:16 offset1:20
	;; [unrolled: 2-line block ×5, first 2 shown]
	v_cndmask_b32_e64 v16, 0, 1, vcc_lo
	v_cmp_ne_u32_e32 vcc_lo, v9, v14
	s_wait_dscnt 0x0
	s_barrier_signal -1
	s_barrier_wait -1
	v_cndmask_b32_e64 v14, 0, 1, vcc_lo
	v_cmp_ne_u32_e32 vcc_lo, v12, v13
	v_cndmask_b32_e64 v13, 0, 1, vcc_lo
	v_cmp_ne_u32_e32 vcc_lo, v15, v12
	;; [unrolled: 2-line block ×4, first 2 shown]
	s_delay_alu instid0(VALU_DEP_2) | instskip(SKIP_4) | instid1(VALU_DEP_2)
	v_lshlrev_b16 v3, 8, v3
	v_cndmask_b32_e64 v10, 0, 1, vcc_lo
	v_cmp_ne_u32_e32 vcc_lo, v5, v9
	v_cndmask_b32_e64 v5, 0, 1, vcc_lo
	v_cmp_ne_u32_e32 vcc_lo, v4, v8
	v_lshlrev_b16 v5, 8, v5
	v_cndmask_b32_e64 v4, 0, 1, vcc_lo
	v_cmp_ne_u32_e32 vcc_lo, v7, v2
	v_lshlrev_b16 v2, 8, v16
	s_delay_alu instid0(VALU_DEP_3) | instskip(SKIP_2) | instid1(VALU_DEP_3)
	v_or_b32_e32 v51, v4, v5
	v_cndmask_b32_e64 v54, 0, 1, vcc_lo
	v_cmp_ne_u32_e32 vcc_lo, v6, v7
	v_dual_lshlrev_b32 v4, 16, v51 :: v_dual_bitop2_b32 v40, v14, v2 bitop3:0x54
	v_cndmask_b32_e64 v55, 0, 1, vcc_lo
	v_cmp_ne_u32_e32 vcc_lo, v17, v6
	v_lshlrev_b16 v6, 8, v13
	ds_load_b96 v[16:18], v1
	v_and_b32_e32 v2, 0xffff, v2
	v_lshrrev_b32_e32 v49, 24, v4
	v_cndmask_b32_e64 v57, 0, 1, vcc_lo
	v_or_b32_e32 v8, v12, v6
	v_or_b32_e32 v53, v10, v3
	ds_load_2addr_b32 v[10:11], v1 offset0:5 offset1:6
	ds_load_2addr_b32 v[6:7], v1 offset0:7 offset1:8
	;; [unrolled: 1-line block ×3, first 2 shown]
	v_and_b32_e32 v3, 0xffff, v3
	v_lshlrev_b32_e32 v5, 16, v8
	ds_load_b32 v50, v1 offset:44
	ds_load_2addr_b32 v[22:23], v1 offset0:9 offset1:10
	v_dual_mov_b32 v44, v53 :: v_dual_mov_b32 v42, v51
	v_dual_lshrrev_b32 v9, 24, v5 :: v_dual_bitop2_b32 v3, v3, v4 bitop3:0x54
	v_dual_mov_b32 v41, v49 :: v_dual_bitop2_b32 v1, v2, v5 bitop3:0x54
	v_dual_mov_b32 v47, v57 :: v_dual_mov_b32 v46, v55
	s_delay_alu instid0(VALU_DEP_2) | instskip(SKIP_2) | instid1(VALU_DEP_2)
	v_dual_lshrrev_b32 v48, 8, v3 :: v_dual_lshrrev_b32 v1, 8, v1
	s_wait_dscnt 0x5
	v_dual_mov_b32 v34, v17 :: v_dual_mov_b32 v35, v18
	v_dual_mov_b32 v45, v54 :: v_dual_mov_b32 v43, v48
	s_wait_dscnt 0x4
	v_mov_b64_e32 v[24:25], v[10:11]
	s_wait_dscnt 0x3
	v_mov_b64_e32 v[18:19], v[6:7]
	;; [unrolled: 2-line block ×3, first 2 shown]
	v_mov_b64_e32 v[28:29], v[34:35]
.LBB1163_92:
	v_dual_mov_b32 v21, 0 :: v_dual_mov_b32 v30, 0
	s_and_saveexec_b32 s0, s39
	s_cbranch_execz .LBB1163_94
; %bb.93:
	v_mov_b64_e32 v[28:29], v[34:35]
	v_mov_b64_e32 v[26:27], v[12:13]
	;; [unrolled: 1-line block ×4, first 2 shown]
	v_cndmask_b32_e64 v30, 0, 1, s8
	v_dual_mov_b32 v45, v54 :: v_dual_mov_b32 v46, v55
	s_wait_dscnt 0x0
	v_dual_mov_b32 v47, v57 :: v_dual_mov_b32 v21, v50
	v_dual_mov_b32 v44, v53 :: v_dual_mov_b32 v43, v48
	;; [unrolled: 1-line block ×3, first 2 shown]
.LBB1163_94:
	s_or_b32 exec_lo, exec_lo, s0
	s_delay_alu instid0(VALU_DEP_1)
	v_dual_lshrrev_b32 v33, 2, v0 :: v_dual_bitop2_b32 v31, 1, v30 bitop3:0x40
	v_or_b32_e32 v32, v9, v8
	v_and_b32_e32 v51, 0xff, v46
	v_and_b32_e32 v49, 0xff, v45
	;; [unrolled: 1-line block ×5, first 2 shown]
	s_wait_dscnt 0x0
	v_and_b32_e32 v50, 0xff, v44
	v_and_b32_e32 v34, 0xff, v9
	;; [unrolled: 1-line block ×5, first 2 shown]
	v_cmp_eq_u16_e64 s0, 0, v30
	v_cmp_eq_u32_e64 s13, 1, v31
	s_cmp_lg_u32 s38, 0
	v_cmp_gt_u32_e32 vcc_lo, 32, v0
	s_barrier_signal -1
	s_barrier_wait -1
	s_cbranch_scc0 .LBB1163_142
; %bb.95:
	v_or_b32_e32 v3, v44, v43
	v_dual_add_f32 v2, v28, v16 :: v_dual_bitop2_b32 v4, 56, v33 bitop3:0x40
	v_cmp_eq_u16_e64 s1, 0, v51
	v_and_b32_e32 v12, 0xff, v47
	s_delay_alu instid0(VALU_DEP_4)
	v_bitop3_b16 v3, v3, v41, v42 bitop3:0xfe
	v_cmp_eq_u16_e64 s4, 0, v49
	v_cmp_eq_u16_e64 s5, 0, v50
	;; [unrolled: 1-line block ×4, first 2 shown]
	v_bitop3_b16 v3, v3, v40, v45 bitop3:0xfe
	v_cmp_eq_u16_e64 s8, 0, v37
	v_cmp_eq_u16_e64 s9, 0, v38
	;; [unrolled: 1-line block ×4, first 2 shown]
	v_bitop3_b16 v3, v3, v46, v1 bitop3:0xfe
	v_cmp_eq_u16_e64 s12, 0, v34
	v_lshl_add_u32 v4, v0, 3, v4
	s_delay_alu instid0(VALU_DEP_3) | instskip(NEXT) | instid1(VALU_DEP_1)
	v_bitop3_b16 v3, v32, 0xff, v3 bitop3:0xc8
	v_cmp_eq_u16_e64 s14, 0, v3
	s_delay_alu instid0(VALU_DEP_1) | instskip(NEXT) | instid1(VALU_DEP_1)
	v_dual_cndmask_b32 v2, v28, v2, s1 :: v_dual_cndmask_b32 v3, 1, v12, s14
	v_add_f32_e32 v2, v29, v2
	s_delay_alu instid0(VALU_DEP_2) | instskip(NEXT) | instid1(VALU_DEP_2)
	v_cndmask_b32_e64 v14, v3, 1, s13
	v_cndmask_b32_e64 v2, v29, v2, s4
	s_delay_alu instid0(VALU_DEP_1) | instskip(NEXT) | instid1(VALU_DEP_1)
	v_add_f32_e32 v2, v26, v2
	v_cndmask_b32_e64 v2, v26, v2, s5
	s_delay_alu instid0(VALU_DEP_1) | instskip(NEXT) | instid1(VALU_DEP_1)
	v_add_f32_e32 v2, v27, v2
	;; [unrolled: 3-line block ×9, first 2 shown]
	v_cndmask_b32_e64 v13, v21, v2, s0
	ds_store_b32 v4, v13
	ds_store_b8 v4, v14 offset:4
	s_wait_dscnt 0x0
	s_barrier_signal -1
	s_barrier_wait -1
	s_and_saveexec_b32 s15, vcc_lo
	s_cbranch_execz .LBB1163_107
; %bb.96:
	v_dual_lshlrev_b32 v2, 1, v0 :: v_dual_lshlrev_b32 v3, 6, v0
	s_mov_b32 s20, exec_lo
	s_delay_alu instid0(VALU_DEP_1) | instskip(NEXT) | instid1(VALU_DEP_1)
	v_and_b32_e32 v2, 0x1f8, v2
	v_add_nc_u32_e32 v4, v2, v3
	ds_load_2addr_b32 v[6:7], v4 offset0:2 offset1:4
	ds_load_b64 v[2:3], v4
	ds_load_u8 v5, v4 offset:12
	ds_load_2addr_b32 v[8:9], v4 offset0:6 offset1:8
	ds_load_u8 v10, v4 offset:20
	ds_load_u8 v11, v4 offset:28
	;; [unrolled: 1-line block ×5, first 2 shown]
	ds_load_b32 v53, v4 offset:56
	s_wait_dscnt 0x8
	v_add_f32_e32 v54, v2, v6
	s_wait_dscnt 0x7
	v_cmp_eq_u16_e64 s13, 0, v5
	s_wait_dscnt 0x5
	v_or_b32_e32 v5, v10, v5
	s_delay_alu instid0(VALU_DEP_2) | instskip(SKIP_2) | instid1(VALU_DEP_3)
	v_cndmask_b32_e64 v6, v6, v54, s13
	v_cmp_eq_u16_e64 s13, 0, v10
	s_wait_dscnt 0x3
	v_bitop3_b16 v5, v5, v15, v11 bitop3:0xfe
	s_delay_alu instid0(VALU_DEP_3) | instskip(NEXT) | instid1(VALU_DEP_1)
	v_add_f32_e32 v6, v7, v6
	v_cndmask_b32_e64 v54, v7, v6, s13
	ds_load_2addr_b32 v[6:7], v4 offset0:10 offset1:12
	v_cmp_eq_u16_e64 s13, 0, v11
	v_and_b32_e32 v11, 0xffffff00, v3
	v_add_f32_e32 v54, v8, v54
	s_delay_alu instid0(VALU_DEP_1) | instskip(SKIP_3) | instid1(VALU_DEP_1)
	v_cndmask_b32_e64 v8, v8, v54, s13
	v_cmp_eq_u16_e64 s13, 0, v15
	ds_load_u8 v54, v4 offset:60
	v_add_f32_e32 v8, v9, v8
	v_cndmask_b32_e64 v8, v9, v8, s13
	s_wait_dscnt 0x4
	v_cmp_eq_u16_e64 s13, 0, v17
	s_wait_dscnt 0x1
	s_delay_alu instid0(VALU_DEP_2) | instskip(NEXT) | instid1(VALU_DEP_1)
	v_add_f32_e32 v8, v6, v8
	v_cndmask_b32_e64 v6, v6, v8, s13
	v_bitop3_b16 v8, v5, v52, v17 bitop3:0xfe
	v_and_b32_e32 v5, 1, v3
	s_wait_dscnt 0x0
	v_and_b32_e32 v9, 1, v54
	s_delay_alu instid0(VALU_DEP_3) | instskip(NEXT) | instid1(VALU_DEP_1)
	v_cmp_eq_u16_e64 s13, 0, v8
	v_dual_add_f32 v6, v7, v6 :: v_dual_cndmask_b32 v8, 1, v5, s13
	v_cmp_eq_u16_e64 s13, 0, v52
	s_delay_alu instid0(VALU_DEP_1) | instskip(SKIP_1) | instid1(VALU_DEP_1)
	v_cndmask_b32_e64 v6, v7, v6, s13
	v_cmp_eq_u32_e64 s13, 1, v9
	v_cndmask_b32_e64 v9, v8, 1, s13
	v_cmp_eq_u16_e64 s13, 0, v54
	s_delay_alu instid0(VALU_DEP_2) | instskip(SKIP_2) | instid1(VALU_DEP_3)
	v_or_b32_e32 v8, v9, v11
	v_add_f32_e32 v7, v53, v6
	v_mbcnt_lo_u32_b32 v6, -1, 0
	v_mov_b32_dpp v17, v8 row_shr:1 row_mask:0xf bank_mask:0xf
	s_delay_alu instid0(VALU_DEP_2) | instskip(NEXT) | instid1(VALU_DEP_1)
	v_dual_cndmask_b32 v7, v53, v7, s13 :: v_dual_bitop2_b32 v10, 15, v6 bitop3:0x40
	v_mov_b32_dpp v15, v7 row_shr:1 row_mask:0xf bank_mask:0xf
	s_delay_alu instid0(VALU_DEP_2)
	v_cmpx_ne_u32_e32 0, v10
	s_cbranch_execz .LBB1163_98
; %bb.97:
	s_delay_alu instid0(VALU_DEP_2) | instskip(SKIP_2) | instid1(VALU_DEP_3)
	v_dual_add_f32 v15, v7, v15 :: v_dual_bitop2_b32 v8, 1, v9 bitop3:0x40
	v_cmp_eq_u32_e64 s13, 0, v9
	v_and_b32_e32 v17, 1, v17
	v_cmp_eq_u32_e64 s14, 1, v8
	s_delay_alu instid0(VALU_DEP_3) | instskip(NEXT) | instid1(VALU_DEP_2)
	v_cndmask_b32_e64 v7, v7, v15, s13
	v_cndmask_b32_e64 v9, v17, 1, s14
	s_delay_alu instid0(VALU_DEP_1)
	v_or_b32_e32 v8, v9, v11
.LBB1163_98:
	s_or_b32 exec_lo, exec_lo, s20
	s_delay_alu instid0(VALU_DEP_3) | instskip(NEXT) | instid1(VALU_DEP_2)
	v_mov_b32_dpp v11, v7 row_shr:2 row_mask:0xf bank_mask:0xf
	v_mov_b32_dpp v15, v8 row_shr:2 row_mask:0xf bank_mask:0xf
	s_mov_b32 s20, exec_lo
	v_cmpx_lt_u32_e32 1, v10
	s_cbranch_execz .LBB1163_100
; %bb.99:
	v_dual_add_f32 v11, v7, v11 :: v_dual_bitop2_b32 v17, 1, v9 bitop3:0x40
	v_and_b32_e32 v15, 1, v15
	v_cmp_eq_u32_e64 s13, 0, v9
	s_delay_alu instid0(VALU_DEP_3) | instskip(NEXT) | instid1(VALU_DEP_2)
	v_cmp_eq_u32_e64 s14, 1, v17
	v_cndmask_b32_e64 v7, v7, v11, s13
	s_delay_alu instid0(VALU_DEP_2) | instskip(NEXT) | instid1(VALU_DEP_1)
	v_cndmask_b32_e64 v9, v15, 1, s14
	v_and_or_b32 v8, 0xffffff00, v8, v9
.LBB1163_100:
	s_or_b32 exec_lo, exec_lo, s20
	s_delay_alu instid0(VALU_DEP_3) | instskip(NEXT) | instid1(VALU_DEP_2)
	v_mov_b32_dpp v11, v7 row_shr:4 row_mask:0xf bank_mask:0xf
	v_mov_b32_dpp v15, v8 row_shr:4 row_mask:0xf bank_mask:0xf
	s_mov_b32 s20, exec_lo
	v_cmpx_lt_u32_e32 3, v10
	s_cbranch_execz .LBB1163_102
; %bb.101:
	v_dual_add_f32 v11, v7, v11 :: v_dual_bitop2_b32 v17, 1, v9 bitop3:0x40
	v_and_b32_e32 v15, 1, v15
	v_cmp_eq_u32_e64 s13, 0, v9
	s_delay_alu instid0(VALU_DEP_3) | instskip(NEXT) | instid1(VALU_DEP_2)
	v_cmp_eq_u32_e64 s14, 1, v17
	v_cndmask_b32_e64 v7, v7, v11, s13
	s_delay_alu instid0(VALU_DEP_2) | instskip(NEXT) | instid1(VALU_DEP_1)
	v_cndmask_b32_e64 v9, v15, 1, s14
	v_and_or_b32 v8, 0xffffff00, v8, v9
.LBB1163_102:
	s_or_b32 exec_lo, exec_lo, s20
	s_delay_alu instid0(VALU_DEP_3) | instskip(NEXT) | instid1(VALU_DEP_2)
	v_mov_b32_dpp v11, v7 row_shr:8 row_mask:0xf bank_mask:0xf
	v_mov_b32_dpp v15, v8 row_shr:8 row_mask:0xf bank_mask:0xf
	s_mov_b32 s20, exec_lo
	v_cmpx_lt_u32_e32 7, v10
	s_cbranch_execz .LBB1163_104
; %bb.103:
	v_dual_add_f32 v11, v7, v11 :: v_dual_bitop2_b32 v10, 1, v9 bitop3:0x40
	v_and_b32_e32 v15, 1, v15
	v_cmp_eq_u32_e64 s13, 0, v9
	s_delay_alu instid0(VALU_DEP_3) | instskip(NEXT) | instid1(VALU_DEP_2)
	v_cmp_eq_u32_e64 s14, 1, v10
	v_cndmask_b32_e64 v7, v7, v11, s13
	s_delay_alu instid0(VALU_DEP_2) | instskip(NEXT) | instid1(VALU_DEP_1)
	v_cndmask_b32_e64 v9, v15, 1, s14
	v_and_or_b32 v8, 0xffffff00, v8, v9
.LBB1163_104:
	s_or_b32 exec_lo, exec_lo, s20
	ds_swizzle_b32 v10, v7 offset:swizzle(BROADCAST,32,15)
	ds_swizzle_b32 v11, v8 offset:swizzle(BROADCAST,32,15)
	v_and_b32_e32 v15, 16, v6
	s_mov_b32 s14, exec_lo
	s_delay_alu instid0(VALU_DEP_1)
	v_cmpx_ne_u32_e32 0, v15
	s_cbranch_execz .LBB1163_106
; %bb.105:
	s_wait_dscnt 0x1
	v_dual_add_f32 v10, v7, v10 :: v_dual_bitop2_b32 v15, 1, v9 bitop3:0x40
	s_wait_dscnt 0x0
	v_and_b32_e32 v11, 1, v11
	s_delay_alu instid0(VALU_DEP_2) | instskip(NEXT) | instid1(VALU_DEP_1)
	v_cmp_eq_u32_e64 s13, 1, v15
	v_cndmask_b32_e64 v11, v11, 1, s13
	v_cmp_eq_u32_e64 s13, 0, v9
	s_delay_alu instid0(VALU_DEP_2) | instskip(NEXT) | instid1(VALU_DEP_2)
	v_and_or_b32 v8, 0xffffff00, v8, v11
	v_cndmask_b32_e64 v7, v7, v10, s13
.LBB1163_106:
	s_or_b32 exec_lo, exec_lo, s14
	v_add_nc_u32_e32 v9, -1, v6
	v_and_b32_e32 v3, 0xff, v3
	; wave barrier
	s_delay_alu instid0(VALU_DEP_2) | instskip(NEXT) | instid1(VALU_DEP_1)
	v_cmp_gt_i32_e64 s13, 0, v9
	v_cndmask_b32_e64 v6, v9, v6, s13
	s_delay_alu instid0(VALU_DEP_3) | instskip(NEXT) | instid1(VALU_DEP_2)
	v_cmp_eq_u32_e64 s13, 0, v3
	v_lshlrev_b32_e32 v6, 2, v6
	ds_bpermute_b32 v7, v6, v7
	ds_bpermute_b32 v6, v6, v8
	s_wait_dscnt 0x0
	v_dual_add_f32 v7, v2, v7 :: v_dual_bitop2_b32 v6, 1, v6 bitop3:0x40
	s_delay_alu instid0(VALU_DEP_1) | instskip(SKIP_1) | instid1(VALU_DEP_1)
	v_cndmask_b32_e64 v2, v2, v7, s13
	v_cmp_eq_u32_e64 s13, 1, v5
	v_cndmask_b32_e64 v3, v6, 1, s13
	s_delay_alu instid0(VALU_DEP_1)
	v_dual_cndmask_b32 v5, v2, v13, s2 :: v_dual_cndmask_b32 v8, v3, v14, s2
	ds_store_b32 v4, v5
	ds_store_b8 v4, v8 offset:4
	; wave barrier
	ds_load_2addr_b32 v[2:3], v4 offset0:2 offset1:4
	ds_load_u8 v9, v4 offset:12
	ds_load_u8 v10, v4 offset:20
	ds_load_2addr_b32 v[6:7], v4 offset0:6 offset1:8
	ds_load_u8 v11, v4 offset:28
	ds_load_u8 v15, v4 offset:36
	;; [unrolled: 1-line block ×4, first 2 shown]
	ds_load_b32 v53, v4 offset:56
	ds_load_u8 v54, v4 offset:60
	s_wait_dscnt 0x9
	v_add_f32_e32 v5, v5, v2
	s_wait_dscnt 0x8
	v_cmp_eq_u16_e64 s13, 0, v9
	s_delay_alu instid0(VALU_DEP_1) | instskip(SKIP_2) | instid1(VALU_DEP_2)
	v_cndmask_b32_e64 v5, v2, v5, s13
	s_wait_dscnt 0x7
	v_cmp_eq_u16_e64 s13, 0, v10
	v_add_f32_e32 v2, v5, v3
	s_delay_alu instid0(VALU_DEP_1)
	v_cndmask_b32_e64 v55, v3, v2, s13
	s_wait_dscnt 0x5
	v_cmp_eq_u16_e64 s13, 0, v11
	ds_load_2addr_b32 v[2:3], v4 offset0:10 offset1:12
	v_add_f32_e32 v56, v55, v6
	ds_store_2addr_b32 v4, v5, v55 offset0:2 offset1:4
	v_dual_cndmask_b32 v6, v6, v56, s13 :: v_dual_bitop2_b32 v9, 1, v9 bitop3:0x40
	s_delay_alu instid0(VALU_DEP_1) | instskip(NEXT) | instid1(VALU_DEP_2)
	v_add_f32_e32 v56, v6, v7
	v_cmp_eq_u32_e64 s13, 1, v9
	s_delay_alu instid0(VALU_DEP_1) | instskip(SKIP_2) | instid1(VALU_DEP_1)
	v_cndmask_b32_e64 v8, v8, 1, s13
	s_wait_dscnt 0x6
	v_cmp_eq_u16_e64 s13, 0, v15
	v_dual_cndmask_b32 v7, v7, v56, s13 :: v_dual_bitop2_b32 v10, 1, v10 bitop3:0x40
	v_and_b32_e32 v9, 1, v11
	s_delay_alu instid0(VALU_DEP_2) | instskip(SKIP_1) | instid1(VALU_DEP_3)
	v_cmp_eq_u32_e64 s13, 1, v10
	s_wait_dscnt 0x1
	v_dual_add_f32 v15, v7, v2 :: v_dual_bitop2_b32 v11, 1, v15 bitop3:0x40
	s_delay_alu instid0(VALU_DEP_2) | instskip(SKIP_1) | instid1(VALU_DEP_1)
	v_cndmask_b32_e64 v10, v8, 1, s13
	v_cmp_eq_u32_e64 s13, 1, v9
	v_cndmask_b32_e64 v9, v10, 1, s13
	v_cmp_eq_u16_e64 s13, 0, v17
	s_delay_alu instid0(VALU_DEP_1) | instskip(SKIP_1) | instid1(VALU_DEP_2)
	v_dual_cndmask_b32 v2, v2, v15, s13 :: v_dual_bitop2_b32 v56, 1, v17 bitop3:0x40
	v_cmp_eq_u32_e64 s13, 1, v11
	v_add_f32_e32 v17, v2, v3
	s_delay_alu instid0(VALU_DEP_2) | instskip(NEXT) | instid1(VALU_DEP_4)
	v_cndmask_b32_e64 v11, v9, 1, s13
	v_cmp_eq_u32_e64 s13, 1, v56
	s_delay_alu instid0(VALU_DEP_1) | instskip(SKIP_1) | instid1(VALU_DEP_1)
	v_cndmask_b32_e64 v56, v11, 1, s13
	v_cmp_eq_u16_e64 s13, 0, v52
	v_dual_cndmask_b32 v3, v3, v17, s13 :: v_dual_bitop2_b32 v15, 1, v52 bitop3:0x40
	v_and_b32_e32 v57, 1, v54
	s_delay_alu instid0(VALU_DEP_2)
	v_cmp_eq_u32_e64 s13, 1, v15
	ds_store_2addr_b32 v4, v6, v7 offset0:6 offset1:8
	ds_store_2addr_b32 v4, v2, v3 offset0:10 offset1:12
	v_add_f32_e32 v5, v3, v53
	v_cndmask_b32_e64 v15, v56, 1, s13
	v_cmp_eq_u32_e64 s13, 1, v57
	s_delay_alu instid0(VALU_DEP_1) | instskip(SKIP_1) | instid1(VALU_DEP_1)
	v_cndmask_b32_e64 v17, v15, 1, s13
	v_cmp_eq_u16_e64 s13, 0, v54
	v_cndmask_b32_e64 v2, v53, v5, s13
	ds_store_b8 v4, v8 offset:12
	ds_store_b8 v4, v10 offset:20
	;; [unrolled: 1-line block ×6, first 2 shown]
	ds_store_b32 v4, v2 offset:56
	ds_store_b8 v4, v17 offset:60
.LBB1163_107:
	s_or_b32 exec_lo, exec_lo, s15
	s_wait_dscnt 0x0
	s_barrier_signal -1
	s_barrier_wait -1
	s_and_saveexec_b32 s13, s3
	s_cbranch_execz .LBB1163_109
; %bb.108:
	v_add_nc_u32_e32 v2, -1, v0
	s_delay_alu instid0(VALU_DEP_1) | instskip(NEXT) | instid1(VALU_DEP_1)
	v_lshrrev_b32_e32 v3, 2, v2
	v_and_b32_e32 v3, 0x3ffffff8, v3
	s_delay_alu instid0(VALU_DEP_1)
	v_lshl_add_u32 v2, v2, 3, v3
	ds_load_b32 v13, v2
	ds_load_u8 v14, v2 offset:4
.LBB1163_109:
	s_or_b32 exec_lo, exec_lo, s13
	s_and_saveexec_b32 s20, vcc_lo
	s_cbranch_execz .LBB1163_187
; %bb.110:
	v_mov_b32_e32 v5, 0
	v_mbcnt_lo_u32_b32 v15, -1, 0
	s_mov_b32 s15, 0
	ds_load_b64 v[2:3], v5 offset:2096
	v_cmp_eq_u32_e64 s13, 0, v15
	s_and_saveexec_b32 s21, s13
	s_cbranch_execz .LBB1163_112
; %bb.111:
	s_add_co_i32 s14, s38, 32
	v_mov_b32_e32 v4, 1
	s_lshl_b64 s[14:15], s[14:15], 4
	s_delay_alu instid0(SALU_CYCLE_1) | instskip(NEXT) | instid1(SALU_CYCLE_1)
	s_add_nc_u64 s[14:15], s[28:29], s[14:15]
	v_mov_b64_e32 v[6:7], s[14:15]
	s_wait_dscnt 0x0
	;;#ASMSTART
	global_store_b128 v[6:7], v[2:5] off scope:SCOPE_DEV	
s_wait_storecnt 0x0
	;;#ASMEND
.LBB1163_112:
	s_or_b32 exec_lo, exec_lo, s21
	v_xad_u32 v8, v15, -1, s38
	s_mov_b32 s14, exec_lo
	s_delay_alu instid0(VALU_DEP_1) | instskip(NEXT) | instid1(VALU_DEP_1)
	v_add_nc_u32_e32 v4, 32, v8
	v_lshl_add_u64 v[10:11], v[4:5], 4, s[28:29]
	;;#ASMSTART
	global_load_b128 v[4:7], v[10:11] off scope:SCOPE_DEV	
s_wait_loadcnt 0x0
	;;#ASMEND
	v_and_b32_e32 v7, 0xff, v6
	s_delay_alu instid0(VALU_DEP_1)
	v_cmpx_eq_u16_e32 0, v7
	s_cbranch_execz .LBB1163_116
; %bb.113:
	s_mov_b32 s15, 0
.LBB1163_114:                           ; =>This Inner Loop Header: Depth=1
	;;#ASMSTART
	global_load_b128 v[4:7], v[10:11] off scope:SCOPE_DEV	
s_wait_loadcnt 0x0
	;;#ASMEND
	v_and_b32_e32 v7, 0xff, v6
	s_delay_alu instid0(VALU_DEP_1) | instskip(SKIP_1) | instid1(SALU_CYCLE_1)
	v_cmp_ne_u16_e32 vcc_lo, 0, v7
	s_or_b32 s15, vcc_lo, s15
	s_and_not1_b32 exec_lo, exec_lo, s15
	s_cbranch_execnz .LBB1163_114
; %bb.115:
	s_or_b32 exec_lo, exec_lo, s15
.LBB1163_116:
	s_delay_alu instid0(SALU_CYCLE_1)
	s_or_b32 exec_lo, exec_lo, s14
	v_cmp_ne_u32_e32 vcc_lo, 31, v15
	v_and_b32_e32 v10, 0xff, v6
	v_and_b32_e32 v9, 0xff, v5
	v_lshlrev_b32_e64 v52, v15, -1
	s_mov_b32 s14, exec_lo
	v_add_co_ci_u32_e64 v7, null, 0, v15, vcc_lo
	v_cmp_eq_u16_e32 vcc_lo, 2, v10
	s_delay_alu instid0(VALU_DEP_2) | instskip(SKIP_4) | instid1(VALU_DEP_1)
	v_lshlrev_b32_e32 v17, 2, v7
	v_and_or_b32 v7, vcc_lo, v52, 0x80000000
	ds_bpermute_b32 v10, v17, v4
	ds_bpermute_b32 v11, v17, v9
	v_ctz_i32_b32_e32 v7, v7
	v_cmpx_lt_u32_e64 v15, v7
	s_cbranch_execz .LBB1163_118
; %bb.117:
	s_wait_dscnt 0x1
	v_dual_add_f32 v10, v4, v10 :: v_dual_bitop2_b32 v9, 1, v5 bitop3:0x40
	s_wait_dscnt 0x0
	v_and_b32_e32 v11, 1, v11
	v_and_b32_e32 v53, 0xff, v5
	s_delay_alu instid0(VALU_DEP_3) | instskip(NEXT) | instid1(VALU_DEP_3)
	v_cmp_eq_u32_e32 vcc_lo, 1, v9
	v_cndmask_b32_e64 v5, v11, 1, vcc_lo
	s_delay_alu instid0(VALU_DEP_3) | instskip(NEXT) | instid1(VALU_DEP_2)
	v_cmp_eq_u16_e32 vcc_lo, 0, v53
	v_and_b32_e32 v9, 0xffff, v5
	v_cndmask_b32_e32 v4, v4, v10, vcc_lo
.LBB1163_118:
	s_or_b32 exec_lo, exec_lo, s14
	v_cmp_gt_u32_e32 vcc_lo, 30, v15
	v_add_nc_u32_e32 v54, 2, v15
	s_mov_b32 s14, exec_lo
	s_wait_dscnt 0x1
	v_cndmask_b32_e64 v10, 0, 2, vcc_lo
	s_delay_alu instid0(VALU_DEP_1)
	v_add_lshl_u32 v53, v10, v15, 2
	ds_bpermute_b32 v10, v53, v4
	s_wait_dscnt 0x1
	ds_bpermute_b32 v11, v53, v9
	v_cmpx_le_u32_e64 v54, v7
	s_cbranch_execz .LBB1163_120
; %bb.119:
	s_wait_dscnt 0x1
	v_dual_add_f32 v10, v4, v10 :: v_dual_bitop2_b32 v9, 1, v5 bitop3:0x40
	s_wait_dscnt 0x0
	v_and_b32_e32 v11, 1, v11
	v_and_b32_e32 v55, 0xff, v5
	s_delay_alu instid0(VALU_DEP_3) | instskip(NEXT) | instid1(VALU_DEP_3)
	v_cmp_eq_u32_e32 vcc_lo, 1, v9
	v_cndmask_b32_e64 v5, v11, 1, vcc_lo
	s_delay_alu instid0(VALU_DEP_3) | instskip(NEXT) | instid1(VALU_DEP_2)
	v_cmp_eq_u16_e32 vcc_lo, 0, v55
	v_and_b32_e32 v9, 0xffff, v5
	v_cndmask_b32_e32 v4, v4, v10, vcc_lo
.LBB1163_120:
	s_or_b32 exec_lo, exec_lo, s14
	v_cmp_gt_u32_e32 vcc_lo, 28, v15
	v_add_nc_u32_e32 v56, 4, v15
	s_mov_b32 s14, exec_lo
	s_wait_dscnt 0x1
	v_cndmask_b32_e64 v10, 0, 4, vcc_lo
	s_delay_alu instid0(VALU_DEP_1)
	v_add_lshl_u32 v55, v10, v15, 2
	ds_bpermute_b32 v10, v55, v4
	s_wait_dscnt 0x1
	ds_bpermute_b32 v11, v55, v9
	v_cmpx_le_u32_e64 v56, v7
	;; [unrolled: 27-line block ×3, first 2 shown]
	s_cbranch_execz .LBB1163_124
; %bb.123:
	s_wait_dscnt 0x1
	v_dual_add_f32 v10, v4, v10 :: v_dual_bitop2_b32 v9, 1, v5 bitop3:0x40
	s_wait_dscnt 0x0
	v_and_b32_e32 v11, 1, v11
	v_and_b32_e32 v59, 0xff, v5
	s_delay_alu instid0(VALU_DEP_3) | instskip(NEXT) | instid1(VALU_DEP_3)
	v_cmp_eq_u32_e32 vcc_lo, 1, v9
	v_cndmask_b32_e64 v5, v11, 1, vcc_lo
	s_delay_alu instid0(VALU_DEP_3) | instskip(NEXT) | instid1(VALU_DEP_2)
	v_cmp_eq_u16_e32 vcc_lo, 0, v59
	v_and_b32_e32 v9, 0xffff, v5
	v_cndmask_b32_e32 v4, v4, v10, vcc_lo
.LBB1163_124:
	s_or_b32 exec_lo, exec_lo, s14
	v_lshl_or_b32 v61, v15, 2, 64
	v_add_nc_u32_e32 v62, 16, v15
	s_mov_b32 s14, exec_lo
	s_wait_dscnt 0x1
	ds_bpermute_b32 v10, v61, v4
	ds_bpermute_b32 v9, v61, v9
	v_cmpx_le_u32_e64 v62, v7
	s_cbranch_execz .LBB1163_126
; %bb.125:
	v_and_b32_e32 v7, 0xff, v5
	s_wait_dscnt 0x1
	v_dual_add_f32 v10, v4, v10 :: v_dual_bitop2_b32 v5, 1, v5 bitop3:0x40
	s_delay_alu instid0(VALU_DEP_2) | instskip(SKIP_1) | instid1(VALU_DEP_2)
	v_cmp_eq_u16_e32 vcc_lo, 0, v7
	s_wait_dscnt 0x0
	v_dual_cndmask_b32 v4, v4, v10, vcc_lo :: v_dual_bitop2_b32 v9, 1, v9 bitop3:0x40
	s_delay_alu instid0(VALU_DEP_3) | instskip(NEXT) | instid1(VALU_DEP_2)
	v_cmp_eq_u32_e32 vcc_lo, 1, v5
	v_cndmask_b32_e64 v5, v9, 1, vcc_lo
.LBB1163_126:
	s_or_b32 exec_lo, exec_lo, s14
	s_wait_dscnt 0x0
	v_mov_b32_e32 v9, 0
	s_branch .LBB1163_129
.LBB1163_127:                           ;   in Loop: Header=BB1163_129 Depth=1
	s_or_b32 exec_lo, exec_lo, s14
	s_wait_dscnt 0x1
	ds_bpermute_b32 v11, v61, v4
	ds_bpermute_b32 v10, v61, v10
	s_wait_dscnt 0x2
	v_and_b32_e32 v63, 1, v5
	v_and_b32_e32 v64, 0xff, v5
	v_subrev_nc_u32_e32 v8, 32, v8
	s_mov_b32 s14, 0
	s_wait_dscnt 0x1
	v_add_f32_e32 v11, v4, v11
	v_cmp_eq_u32_e32 vcc_lo, 1, v63
	s_wait_dscnt 0x0
	v_cndmask_b32_e64 v10, v10, 1, vcc_lo
	v_cmp_eq_u16_e32 vcc_lo, 0, v64
	v_cndmask_b32_e32 v11, v4, v11, vcc_lo
	v_cmp_gt_u32_e32 vcc_lo, v62, v7
	v_and_b32_e32 v7, 0xff, v59
	s_delay_alu instid0(VALU_DEP_3) | instskip(SKIP_1) | instid1(VALU_DEP_3)
	v_dual_cndmask_b32 v5, v10, v5 :: v_dual_cndmask_b32 v4, v11, v4
	v_and_b32_e32 v10, 1, v59
	v_cmp_eq_u16_e32 vcc_lo, 0, v7
	s_delay_alu instid0(VALU_DEP_3) | instskip(NEXT) | instid1(VALU_DEP_1)
	v_dual_add_f32 v4, v60, v4 :: v_dual_bitop2_b32 v5, 1, v5 bitop3:0x40
	v_cndmask_b32_e32 v4, v60, v4, vcc_lo
	s_delay_alu instid0(VALU_DEP_4) | instskip(NEXT) | instid1(VALU_DEP_3)
	v_cmp_eq_u32_e32 vcc_lo, 1, v10
	v_cndmask_b32_e64 v5, v5, 1, vcc_lo
.LBB1163_128:                           ;   in Loop: Header=BB1163_129 Depth=1
	s_and_b32 vcc_lo, exec_lo, s14
	s_cbranch_vccnz .LBB1163_183
.LBB1163_129:                           ; =>This Loop Header: Depth=1
                                        ;     Child Loop BB1163_132 Depth 2
	v_and_b32_e32 v6, 0xff, v6
	s_delay_alu instid0(VALU_DEP_2) | instskip(SKIP_1) | instid1(VALU_DEP_2)
	v_dual_mov_b32 v59, v5 :: v_dual_mov_b32 v60, v4
	s_mov_b32 s14, -1
	v_cmp_ne_u16_e32 vcc_lo, 2, v6
                                        ; implicit-def: $vgpr5
	s_cmp_lg_u32 vcc_lo, exec_lo
	s_cbranch_scc1 .LBB1163_128
; %bb.130:                              ;   in Loop: Header=BB1163_129 Depth=1
	v_lshl_add_u64 v[10:11], v[8:9], 4, s[28:29]
	;;#ASMSTART
	global_load_b128 v[4:7], v[10:11] off scope:SCOPE_DEV	
s_wait_loadcnt 0x0
	;;#ASMEND
	v_and_b32_e32 v7, 0xff, v6
	s_mov_b32 s14, exec_lo
	s_delay_alu instid0(VALU_DEP_1)
	v_cmpx_eq_u16_e32 0, v7
	s_cbranch_execz .LBB1163_134
; %bb.131:                              ;   in Loop: Header=BB1163_129 Depth=1
	s_mov_b32 s15, 0
.LBB1163_132:                           ;   Parent Loop BB1163_129 Depth=1
                                        ; =>  This Inner Loop Header: Depth=2
	;;#ASMSTART
	global_load_b128 v[4:7], v[10:11] off scope:SCOPE_DEV	
s_wait_loadcnt 0x0
	;;#ASMEND
	v_and_b32_e32 v7, 0xff, v6
	s_delay_alu instid0(VALU_DEP_1) | instskip(SKIP_1) | instid1(SALU_CYCLE_1)
	v_cmp_ne_u16_e32 vcc_lo, 0, v7
	s_or_b32 s15, vcc_lo, s15
	s_and_not1_b32 exec_lo, exec_lo, s15
	s_cbranch_execnz .LBB1163_132
; %bb.133:                              ;   in Loop: Header=BB1163_129 Depth=1
	s_or_b32 exec_lo, exec_lo, s15
.LBB1163_134:                           ;   in Loop: Header=BB1163_129 Depth=1
	s_delay_alu instid0(SALU_CYCLE_1)
	s_or_b32 exec_lo, exec_lo, s14
	v_and_b32_e32 v10, 0xff, v5
	v_and_b32_e32 v7, 0xff, v6
	ds_bpermute_b32 v11, v17, v4
	s_mov_b32 s14, exec_lo
	ds_bpermute_b32 v63, v17, v10
	v_cmp_eq_u16_e32 vcc_lo, 2, v7
	v_and_or_b32 v7, vcc_lo, v52, 0x80000000
	s_delay_alu instid0(VALU_DEP_1) | instskip(NEXT) | instid1(VALU_DEP_1)
	v_ctz_i32_b32_e32 v7, v7
	v_cmpx_lt_u32_e64 v15, v7
	s_cbranch_execz .LBB1163_136
; %bb.135:                              ;   in Loop: Header=BB1163_129 Depth=1
	s_wait_dscnt 0x1
	v_dual_add_f32 v11, v4, v11 :: v_dual_bitop2_b32 v10, 1, v5 bitop3:0x40
	s_wait_dscnt 0x0
	v_and_b32_e32 v63, 1, v63
	v_and_b32_e32 v64, 0xff, v5
	s_delay_alu instid0(VALU_DEP_3) | instskip(NEXT) | instid1(VALU_DEP_3)
	v_cmp_eq_u32_e32 vcc_lo, 1, v10
	v_cndmask_b32_e64 v5, v63, 1, vcc_lo
	s_delay_alu instid0(VALU_DEP_3) | instskip(NEXT) | instid1(VALU_DEP_2)
	v_cmp_eq_u16_e32 vcc_lo, 0, v64
	v_and_b32_e32 v10, 0xffff, v5
	v_cndmask_b32_e32 v4, v4, v11, vcc_lo
.LBB1163_136:                           ;   in Loop: Header=BB1163_129 Depth=1
	s_or_b32 exec_lo, exec_lo, s14
	s_wait_dscnt 0x1
	ds_bpermute_b32 v11, v53, v4
	s_wait_dscnt 0x1
	ds_bpermute_b32 v63, v53, v10
	s_mov_b32 s14, exec_lo
	v_cmpx_le_u32_e64 v54, v7
	s_cbranch_execz .LBB1163_138
; %bb.137:                              ;   in Loop: Header=BB1163_129 Depth=1
	s_wait_dscnt 0x1
	v_dual_add_f32 v11, v4, v11 :: v_dual_bitop2_b32 v10, 1, v5 bitop3:0x40
	s_wait_dscnt 0x0
	v_and_b32_e32 v63, 1, v63
	v_and_b32_e32 v64, 0xff, v5
	s_delay_alu instid0(VALU_DEP_3) | instskip(NEXT) | instid1(VALU_DEP_3)
	v_cmp_eq_u32_e32 vcc_lo, 1, v10
	v_cndmask_b32_e64 v5, v63, 1, vcc_lo
	s_delay_alu instid0(VALU_DEP_3) | instskip(NEXT) | instid1(VALU_DEP_2)
	v_cmp_eq_u16_e32 vcc_lo, 0, v64
	v_and_b32_e32 v10, 0xffff, v5
	v_cndmask_b32_e32 v4, v4, v11, vcc_lo
.LBB1163_138:                           ;   in Loop: Header=BB1163_129 Depth=1
	s_or_b32 exec_lo, exec_lo, s14
	s_wait_dscnt 0x1
	ds_bpermute_b32 v11, v55, v4
	s_wait_dscnt 0x1
	ds_bpermute_b32 v63, v55, v10
	s_mov_b32 s14, exec_lo
	v_cmpx_le_u32_e64 v56, v7
	;; [unrolled: 22-line block ×3, first 2 shown]
	s_cbranch_execz .LBB1163_127
; %bb.141:                              ;   in Loop: Header=BB1163_129 Depth=1
	s_wait_dscnt 0x1
	v_dual_add_f32 v11, v4, v11 :: v_dual_bitop2_b32 v10, 1, v5 bitop3:0x40
	s_wait_dscnt 0x0
	v_and_b32_e32 v63, 1, v63
	v_and_b32_e32 v64, 0xff, v5
	s_delay_alu instid0(VALU_DEP_3) | instskip(NEXT) | instid1(VALU_DEP_3)
	v_cmp_eq_u32_e32 vcc_lo, 1, v10
	v_cndmask_b32_e64 v5, v63, 1, vcc_lo
	s_delay_alu instid0(VALU_DEP_3) | instskip(NEXT) | instid1(VALU_DEP_2)
	v_cmp_eq_u16_e32 vcc_lo, 0, v64
	v_and_b32_e32 v10, 0xffff, v5
	v_cndmask_b32_e32 v4, v4, v11, vcc_lo
	s_branch .LBB1163_127
.LBB1163_142:
                                        ; implicit-def: $vgpr13
                                        ; implicit-def: $vgpr5
                                        ; implicit-def: $vgpr9
                                        ; implicit-def: $vgpr14_vgpr15
	s_cbranch_execnz .LBB1163_188
.LBB1163_143:
	s_add_nc_u64 s[0:1], s[18:19], s[34:35]
	s_and_b32 vcc_lo, exec_lo, s31
	s_add_nc_u64 s[0:1], s[0:1], s[16:17]
	s_cbranch_vccz .LBB1163_207
.LBB1163_144:
	v_mul_u32_u24_e32 v1, 12, v0
	s_add_co_i32 s33, s33, s30
	s_mov_b32 s2, exec_lo
	s_delay_alu instid0(VALU_DEP_1)
	v_cmpx_gt_u32_e64 s33, v1
	s_cbranch_execz .LBB1163_160
; %bb.145:
	v_or_b32_e32 v7, 1, v1
	s_mov_b32 s3, exec_lo
	s_delay_alu instid0(VALU_DEP_1)
	v_cmpx_gt_u32_e64 s33, v7
	s_cbranch_execz .LBB1163_159
; %bb.146:
	v_or_b32_e32 v7, 2, v1
	;; [unrolled: 6-line block ×3, first 2 shown]
	s_mov_b32 s5, exec_lo
	s_delay_alu instid0(VALU_DEP_1)
	v_cmpx_gt_u32_e64 s33, v7
	s_cbranch_execz .LBB1163_157
; %bb.148:
	v_add_nc_u32_e32 v7, 4, v1
	s_mov_b32 s6, exec_lo
	s_delay_alu instid0(VALU_DEP_1)
	v_cmpx_gt_u32_e64 s33, v7
	s_cbranch_execz .LBB1163_156
; %bb.149:
	v_add_nc_u32_e32 v7, 5, v1
	;; [unrolled: 6-line block ×4, first 2 shown]
	s_mov_b32 s9, exec_lo
	s_delay_alu instid0(VALU_DEP_1)
	v_cmpx_gt_u32_e64 s33, v7
; %bb.152:
	v_add_nc_u32_e32 v7, 8, v1
	s_mov_b32 s10, exec_lo
	s_delay_alu instid0(VALU_DEP_1)
	v_cmpx_gt_u32_e64 s33, v7
	s_or_b32 exec_lo, exec_lo, s10
; %bb.153:
	s_delay_alu instid0(SALU_CYCLE_1)
	s_or_b32 exec_lo, exec_lo, s9
.LBB1163_154:
	s_delay_alu instid0(SALU_CYCLE_1)
	s_or_b32 exec_lo, exec_lo, s8
.LBB1163_155:
	s_delay_alu instid0(SALU_CYCLE_1)
	s_or_b32 exec_lo, exec_lo, s7
.LBB1163_156:
	s_delay_alu instid0(SALU_CYCLE_1)
	s_or_b32 exec_lo, exec_lo, s6
.LBB1163_157:
	s_delay_alu instid0(SALU_CYCLE_1)
	s_or_b32 exec_lo, exec_lo, s5
.LBB1163_158:
	s_delay_alu instid0(SALU_CYCLE_1)
	s_or_b32 exec_lo, exec_lo, s4
.LBB1163_159:
	s_delay_alu instid0(SALU_CYCLE_1)
	s_or_b32 exec_lo, exec_lo, s3
	v_mov_b32_e32 v7, v17
.LBB1163_160:
	s_or_b32 exec_lo, exec_lo, s2
	v_dual_lshlrev_b32 v1, 2, v1 :: v_dual_mov_b32 v21, 0
	s_barrier_signal -1
	s_barrier_wait -1
	ds_store_b128 v1, v[6:9]
	ds_store_b128 v1, v[2:5] offset:16
	ds_store_b128 v1, v[10:13] offset:32
	v_mad_i32_i24 v6, 0xffffffd4, v0, v1
	s_wait_dscnt 0x0
	s_barrier_signal -1
	s_barrier_wait -1
	ds_load_2addr_stride64_b32 v[28:29], v6 offset0:4 offset1:8
	ds_load_2addr_stride64_b32 v[26:27], v6 offset0:12 offset1:16
	;; [unrolled: 1-line block ×5, first 2 shown]
	ds_load_b32 v7, v6 offset:11264
	v_add_nc_u64_e32 v[18:19], s[0:1], v[20:21]
	s_mov_b32 s2, exec_lo
	v_cmpx_gt_u32_e64 s33, v0
	s_cbranch_execz .LBB1163_162
; %bb.161:
	v_mul_i32_i24_e32 v6, 0xffffffd4, v0
	s_delay_alu instid0(VALU_DEP_1)
	v_add_nc_u32_e32 v1, v1, v6
	ds_load_b32 v1, v1
	s_wait_dscnt 0x0
	flat_store_b32 v[18:19], v1
.LBB1163_162:
	s_wait_xcnt 0x0
	s_or_b32 exec_lo, exec_lo, s2
	v_or_b32_e32 v1, 0x100, v0
	s_mov_b32 s2, exec_lo
	s_delay_alu instid0(VALU_DEP_1)
	v_cmpx_gt_u32_e64 s33, v1
	s_cbranch_execz .LBB1163_164
; %bb.163:
	s_wait_dscnt 0x5
	flat_store_b32 v[18:19], v28 offset:1024
.LBB1163_164:
	s_wait_xcnt 0x0
	s_or_b32 exec_lo, exec_lo, s2
	v_or_b32_e32 v1, 0x200, v0
	s_mov_b32 s2, exec_lo
	s_delay_alu instid0(VALU_DEP_1)
	v_cmpx_gt_u32_e64 s33, v1
	s_cbranch_execz .LBB1163_166
; %bb.165:
	s_wait_dscnt 0x5
	flat_store_b32 v[18:19], v29 offset:2048
.LBB1163_166:
	;; [unrolled: 11-line block ×10, first 2 shown]
	s_wait_xcnt 0x0
	s_or_b32 exec_lo, exec_lo, s2
	v_or_b32_e32 v1, 0xb00, v0
	s_delay_alu instid0(VALU_DEP_1)
	v_cmp_gt_u32_e64 s2, s33, v1
	s_branch .LBB1163_209
.LBB1163_183:
	s_and_saveexec_b32 s14, s13
	s_cbranch_execz .LBB1163_185
; %bb.184:
	v_and_b32_e32 v4, 0xff, v3
	v_dual_add_f32 v5, v60, v2 :: v_dual_bitop2_b32 v3, 1, v3 bitop3:0x40
	s_mov_b32 s25, 0
	s_add_co_i32 s24, s38, 32
	s_delay_alu instid0(VALU_DEP_2)
	v_cmp_eq_u32_e32 vcc_lo, 0, v4
	v_and_b32_e32 v6, 1, v59
	s_lshl_b64 s[24:25], s[24:25], 4
	v_mov_b32_e32 v4, 2
	s_add_nc_u64 s[24:25], s[28:29], s[24:25]
	v_cndmask_b32_e32 v2, v2, v5, vcc_lo
	v_cmp_eq_u32_e32 vcc_lo, 1, v3
	v_mov_b32_e32 v5, 0
	v_cndmask_b32_e64 v3, v6, 1, vcc_lo
	v_mov_b64_e32 v[6:7], s[24:25]
	;;#ASMSTART
	global_store_b128 v[6:7], v[2:5] off scope:SCOPE_DEV	
s_wait_storecnt 0x0
	;;#ASMEND
.LBB1163_185:
	s_or_b32 exec_lo, exec_lo, s14
	s_delay_alu instid0(SALU_CYCLE_1)
	s_and_b32 exec_lo, exec_lo, s2
	s_cbranch_execz .LBB1163_187
; %bb.186:
	v_mov_b32_e32 v2, 0
	ds_store_b32 v2, v60
	ds_store_b8 v2, v59 offset:4
.LBB1163_187:
	s_or_b32 exec_lo, exec_lo, s20
	v_dual_mov_b32 v2, 0 :: v_dual_bitop2_b32 v3, 1, v47 bitop3:0x40
	s_wait_dscnt 0x0
	s_barrier_signal -1
	s_barrier_wait -1
	ds_load_b32 v2, v2
	v_cmp_eq_u32_e32 vcc_lo, 1, v3
	v_cndmask_b32_e64 v3, v14, 1, vcc_lo
	v_add_f32_e32 v4, v16, v13
	v_cmp_eq_u16_e32 vcc_lo, 0, v12
	s_delay_alu instid0(VALU_DEP_2) | instskip(NEXT) | instid1(VALU_DEP_1)
	v_dual_cndmask_b32 v3, v3, v47, s2 :: v_dual_cndmask_b32 v4, v16, v4, vcc_lo
	v_and_b32_e32 v3, 0xff, v3
	s_delay_alu instid0(VALU_DEP_2) | instskip(NEXT) | instid1(VALU_DEP_2)
	v_cndmask_b32_e64 v4, v4, v16, s2
	v_cmp_eq_u16_e32 vcc_lo, 0, v3
	s_wait_dscnt 0x0
	s_delay_alu instid0(VALU_DEP_2) | instskip(NEXT) | instid1(VALU_DEP_1)
	v_add_f32_e32 v2, v4, v2
	v_cndmask_b32_e32 v6, v4, v2, vcc_lo
	s_delay_alu instid0(VALU_DEP_1) | instskip(NEXT) | instid1(VALU_DEP_1)
	v_add_f32_e32 v2, v28, v6
	v_cndmask_b32_e64 v7, v28, v2, s1
	s_delay_alu instid0(VALU_DEP_1) | instskip(NEXT) | instid1(VALU_DEP_1)
	v_add_f32_e32 v2, v29, v7
	v_cndmask_b32_e64 v8, v29, v2, s4
	;; [unrolled: 3-line block ×3, first 2 shown]
	v_mov_b64_e32 v[14:15], v[6:7]
	v_mov_b32_e32 v17, v7
	s_delay_alu instid0(VALU_DEP_3) | instskip(NEXT) | instid1(VALU_DEP_1)
	v_add_f32_e32 v2, v27, v9
	v_cndmask_b32_e64 v2, v27, v2, s6
	s_delay_alu instid0(VALU_DEP_1) | instskip(NEXT) | instid1(VALU_DEP_1)
	v_add_f32_e32 v3, v24, v2
	v_cndmask_b32_e64 v3, v24, v3, s7
	s_delay_alu instid0(VALU_DEP_1) | instskip(NEXT) | instid1(VALU_DEP_1)
	;; [unrolled: 3-line block ×7, first 2 shown]
	v_add_f32_e32 v13, v21, v12
	v_cndmask_b32_e64 v13, v21, v13, s0
	s_branch .LBB1163_143
.LBB1163_188:
	s_cmp_lg_u64 s[36:37], 0
	s_cselect_b32 s0, -1, 0
	s_cmp_lg_u64 s[22:23], 0
	s_cselect_b32 s1, -1, 0
	s_delay_alu instid0(SALU_CYCLE_1) | instskip(NEXT) | instid1(SALU_CYCLE_1)
	s_and_b32 s0, s0, s1
	s_and_b32 s1, s2, s0
	s_delay_alu instid0(SALU_CYCLE_1)
	s_and_saveexec_b32 s0, s1
	s_cbranch_execz .LBB1163_190
; %bb.189:
	v_dual_mov_b32 v2, 0 :: v_dual_bitop2_b32 v5, 1, v47 bitop3:0x40
	s_clause 0x1
	global_load_b32 v3, v2, s[22:23]
	global_load_u8 v4, v2, s[22:23] offset:4
	s_wait_xcnt 0x0
	v_and_b32_e32 v2, 0xff, v47
	s_delay_alu instid0(VALU_DEP_1) | instskip(SKIP_2) | instid1(VALU_DEP_1)
	v_cmp_eq_u16_e32 vcc_lo, 0, v2
	s_wait_loadcnt 0x0
	v_dual_add_f32 v3, v16, v3 :: v_dual_bitop2_b32 v4, 1, v4 bitop3:0x40
	v_cndmask_b32_e32 v16, v16, v3, vcc_lo
	v_cmp_eq_u32_e32 vcc_lo, 1, v5
	s_delay_alu instid0(VALU_DEP_3)
	v_cndmask_b32_e64 v47, v4, 1, vcc_lo
.LBB1163_190:
	s_or_b32 exec_lo, exec_lo, s0
	s_delay_alu instid0(VALU_DEP_3)
	v_add_f32_e32 v2, v28, v16
	v_cmp_eq_u16_e32 vcc_lo, 0, v51
	v_cmp_eq_u16_e64 s0, 0, v49
	v_cmp_eq_u16_e64 s5, 0, v39
	;; [unrolled: 1-line block ×4, first 2 shown]
	v_cndmask_b32_e32 v17, v28, v2, vcc_lo
	v_cmp_eq_u16_e64 s6, 0, v37
	v_cmp_eq_u16_e64 s7, 0, v38
	v_cmp_eq_u16_e64 s8, 0, v36
	v_cmp_eq_u16_e64 s10, 0, v35
	v_add_f32_e32 v2, v29, v17
	v_cmp_eq_u16_e64 s11, 0, v34
	v_cmp_eq_u32_e64 s12, 1, v31
	s_mov_b32 s14, exec_lo
	v_cndmask_b32_e64 v8, v29, v2, s0
	s_delay_alu instid0(VALU_DEP_1) | instskip(NEXT) | instid1(VALU_DEP_1)
	v_add_f32_e32 v2, v26, v8
	v_cndmask_b32_e64 v9, v26, v2, s1
	s_delay_alu instid0(VALU_DEP_1) | instskip(NEXT) | instid1(VALU_DEP_1)
	v_add_f32_e32 v2, v27, v9
	;; [unrolled: 3-line block ×6, first 2 shown]
	v_cndmask_b32_e64 v10, v19, v6, s8
	s_delay_alu instid0(VALU_DEP_1) | instskip(NEXT) | instid1(VALU_DEP_1)
	v_dual_add_f32 v7, v22, v10 :: v_dual_bitop2_b32 v6, v43, v41 bitop3:0x54
	v_bitop3_b16 v6, v44, v6, v42 bitop3:0xfe
	s_delay_alu instid0(VALU_DEP_2) | instskip(NEXT) | instid1(VALU_DEP_2)
	v_cndmask_b32_e64 v11, v22, v7, s10
	v_bitop3_b16 v1, v6, v40, v1 bitop3:0xfe
	s_delay_alu instid0(VALU_DEP_2) | instskip(NEXT) | instid1(VALU_DEP_2)
	v_dual_add_f32 v6, v23, v11 :: v_dual_bitop2_b32 v7, 56, v33 bitop3:0x40
	v_bitop3_b16 v1, v1, v46, v45 bitop3:0xfe
	s_delay_alu instid0(VALU_DEP_2) | instskip(NEXT) | instid1(VALU_DEP_3)
	v_lshl_add_u32 v7, v0, 3, v7
	v_cndmask_b32_e64 v12, v23, v6, s11
	s_delay_alu instid0(VALU_DEP_3) | instskip(SKIP_1) | instid1(VALU_DEP_2)
	v_bitop3_b16 v6, v1, 0xff, v32 bitop3:0xc8
	v_and_b32_e32 v1, 0xff, v47
	v_cmp_eq_u16_e64 s9, 0, v6
	s_delay_alu instid0(VALU_DEP_1) | instskip(SKIP_1) | instid1(VALU_DEP_2)
	v_dual_add_f32 v13, v21, v12 :: v_dual_cndmask_b32 v6, 1, v1, s9
	v_cmp_eq_u16_e64 s9, 0, v30
	v_cndmask_b32_e64 v15, v6, 1, s12
	s_delay_alu instid0(VALU_DEP_2)
	v_cndmask_b32_e64 v13, v21, v13, s9
	ds_store_b32 v7, v13
	ds_store_b8 v7, v15 offset:4
	s_wait_dscnt 0x0
	s_barrier_signal -1
	s_barrier_wait -1
	v_cmpx_gt_u32_e32 32, v0
	s_cbranch_execz .LBB1163_202
; %bb.191:
	v_dual_lshlrev_b32 v6, 1, v0 :: v_dual_lshlrev_b32 v7, 6, v0
	s_mov_b32 s15, exec_lo
	s_delay_alu instid0(VALU_DEP_1) | instskip(NEXT) | instid1(VALU_DEP_1)
	v_and_b32_e32 v6, 0x1f8, v6
	v_add_nc_u32_e32 v14, v6, v7
	ds_load_2addr_b32 v[30:31], v14 offset0:2 offset1:4
	ds_load_b64 v[6:7], v14
	ds_load_u8 v34, v14 offset:12
	ds_load_2addr_b32 v[32:33], v14 offset0:6 offset1:8
	ds_load_u8 v35, v14 offset:20
	ds_load_u8 v36, v14 offset:28
	;; [unrolled: 1-line block ×5, first 2 shown]
	ds_load_b32 v40, v14 offset:56
	s_wait_dscnt 0x8
	v_add_f32_e32 v41, v6, v30
	s_wait_dscnt 0x7
	v_cmp_eq_u16_e64 s12, 0, v34
	s_delay_alu instid0(VALU_DEP_1) | instskip(SKIP_2) | instid1(VALU_DEP_2)
	v_cndmask_b32_e64 v30, v30, v41, s12
	s_wait_dscnt 0x5
	v_cmp_eq_u16_e64 s12, 0, v35
	v_add_f32_e32 v30, v31, v30
	s_delay_alu instid0(VALU_DEP_1) | instskip(SKIP_4) | instid1(VALU_DEP_1)
	v_cndmask_b32_e64 v41, v31, v30, s12
	s_wait_dscnt 0x4
	v_cmp_eq_u16_e64 s12, 0, v36
	ds_load_2addr_b32 v[30:31], v14 offset0:10 offset1:12
	v_add_f32_e32 v41, v32, v41
	v_cndmask_b32_e64 v32, v32, v41, s12
	s_wait_dscnt 0x4
	v_cmp_eq_u16_e64 s12, 0, v37
	ds_load_u8 v41, v14 offset:60
	v_add_f32_e32 v32, v33, v32
	s_delay_alu instid0(VALU_DEP_1) | instskip(SKIP_3) | instid1(VALU_DEP_2)
	v_dual_cndmask_b32 v32, v33, v32, s12 :: v_dual_bitop2_b32 v33, v35, v34 bitop3:0x54
	s_wait_dscnt 0x4
	v_cmp_eq_u16_e64 s12, 0, v38
	s_wait_dscnt 0x1
	v_add_f32_e32 v32, v30, v32
	v_bitop3_b16 v33, v33, v37, v36 bitop3:0xfe
	v_and_b32_e32 v36, 0xffffff00, v7
	s_delay_alu instid0(VALU_DEP_3) | instskip(NEXT) | instid1(VALU_DEP_3)
	v_cndmask_b32_e64 v32, v30, v32, s12
	v_bitop3_b16 v33, v33, v39, v38 bitop3:0xfe
	v_and_b32_e32 v30, 1, v7
	s_wait_dscnt 0x0
	v_and_b32_e32 v34, 1, v41
	s_delay_alu instid0(VALU_DEP_3) | instskip(NEXT) | instid1(VALU_DEP_1)
	v_cmp_eq_u16_e64 s12, 0, v33
	v_dual_add_f32 v32, v31, v32 :: v_dual_cndmask_b32 v33, 1, v30, s12
	v_cmp_eq_u16_e64 s12, 0, v39
	s_delay_alu instid0(VALU_DEP_1) | instskip(SKIP_1) | instid1(VALU_DEP_1)
	v_cndmask_b32_e64 v31, v31, v32, s12
	v_cmp_eq_u32_e64 s12, 1, v34
	v_cndmask_b32_e64 v34, v33, 1, s12
	s_delay_alu instid0(VALU_DEP_3) | instskip(SKIP_2) | instid1(VALU_DEP_4)
	v_add_f32_e32 v32, v40, v31
	v_cmp_eq_u16_e64 s12, 0, v41
	v_mbcnt_lo_u32_b32 v31, -1, 0
	v_or_b32_e32 v33, v34, v36
	s_delay_alu instid0(VALU_DEP_2) | instskip(NEXT) | instid1(VALU_DEP_2)
	v_dual_cndmask_b32 v32, v40, v32, s12 :: v_dual_bitop2_b32 v35, 15, v31 bitop3:0x40
	v_mov_b32_dpp v38, v33 row_shr:1 row_mask:0xf bank_mask:0xf
	s_delay_alu instid0(VALU_DEP_2) | instskip(NEXT) | instid1(VALU_DEP_3)
	v_mov_b32_dpp v37, v32 row_shr:1 row_mask:0xf bank_mask:0xf
	v_cmpx_ne_u32_e32 0, v35
	s_cbranch_execz .LBB1163_193
; %bb.192:
	s_delay_alu instid0(VALU_DEP_2) | instskip(SKIP_2) | instid1(VALU_DEP_3)
	v_dual_add_f32 v37, v32, v37 :: v_dual_bitop2_b32 v33, 1, v34 bitop3:0x40
	v_cmp_eq_u32_e64 s12, 0, v34
	v_and_b32_e32 v38, 1, v38
	v_cmp_eq_u32_e64 s13, 1, v33
	s_delay_alu instid0(VALU_DEP_3) | instskip(NEXT) | instid1(VALU_DEP_2)
	v_cndmask_b32_e64 v32, v32, v37, s12
	v_cndmask_b32_e64 v34, v38, 1, s13
	s_delay_alu instid0(VALU_DEP_1)
	v_or_b32_e32 v33, v34, v36
.LBB1163_193:
	s_or_b32 exec_lo, exec_lo, s15
	s_delay_alu instid0(VALU_DEP_3) | instskip(NEXT) | instid1(VALU_DEP_2)
	v_mov_b32_dpp v36, v32 row_shr:2 row_mask:0xf bank_mask:0xf
	v_mov_b32_dpp v37, v33 row_shr:2 row_mask:0xf bank_mask:0xf
	s_mov_b32 s15, exec_lo
	v_cmpx_lt_u32_e32 1, v35
	s_cbranch_execz .LBB1163_195
; %bb.194:
	v_dual_add_f32 v36, v32, v36 :: v_dual_bitop2_b32 v38, 1, v34 bitop3:0x40
	v_cmp_eq_u32_e64 s12, 0, v34
	v_and_b32_e32 v37, 1, v37
	s_delay_alu instid0(VALU_DEP_3) | instskip(NEXT) | instid1(VALU_DEP_3)
	v_cmp_eq_u32_e64 s13, 1, v38
	v_cndmask_b32_e64 v32, v32, v36, s12
	s_delay_alu instid0(VALU_DEP_2) | instskip(NEXT) | instid1(VALU_DEP_1)
	v_cndmask_b32_e64 v34, v37, 1, s13
	v_and_or_b32 v33, 0xffffff00, v33, v34
.LBB1163_195:
	s_or_b32 exec_lo, exec_lo, s15
	s_delay_alu instid0(VALU_DEP_3) | instskip(NEXT) | instid1(VALU_DEP_2)
	v_mov_b32_dpp v36, v32 row_shr:4 row_mask:0xf bank_mask:0xf
	v_mov_b32_dpp v37, v33 row_shr:4 row_mask:0xf bank_mask:0xf
	s_mov_b32 s15, exec_lo
	v_cmpx_lt_u32_e32 3, v35
	s_cbranch_execz .LBB1163_197
; %bb.196:
	v_dual_add_f32 v36, v32, v36 :: v_dual_bitop2_b32 v38, 1, v34 bitop3:0x40
	v_cmp_eq_u32_e64 s12, 0, v34
	v_and_b32_e32 v37, 1, v37
	s_delay_alu instid0(VALU_DEP_3) | instskip(NEXT) | instid1(VALU_DEP_3)
	v_cmp_eq_u32_e64 s13, 1, v38
	v_cndmask_b32_e64 v32, v32, v36, s12
	s_delay_alu instid0(VALU_DEP_2) | instskip(NEXT) | instid1(VALU_DEP_1)
	v_cndmask_b32_e64 v34, v37, 1, s13
	v_and_or_b32 v33, 0xffffff00, v33, v34
.LBB1163_197:
	;; [unrolled: 18-line block ×3, first 2 shown]
	s_or_b32 exec_lo, exec_lo, s15
	ds_swizzle_b32 v35, v32 offset:swizzle(BROADCAST,32,15)
	ds_swizzle_b32 v36, v33 offset:swizzle(BROADCAST,32,15)
	v_and_b32_e32 v37, 16, v31
	s_mov_b32 s13, exec_lo
	s_delay_alu instid0(VALU_DEP_1)
	v_cmpx_ne_u32_e32 0, v37
	s_cbranch_execz .LBB1163_201
; %bb.200:
	s_wait_dscnt 0x1
	v_dual_add_f32 v35, v32, v35 :: v_dual_bitop2_b32 v37, 1, v34 bitop3:0x40
	s_wait_dscnt 0x0
	v_and_b32_e32 v36, 1, v36
	s_delay_alu instid0(VALU_DEP_2) | instskip(NEXT) | instid1(VALU_DEP_1)
	v_cmp_eq_u32_e64 s12, 1, v37
	v_cndmask_b32_e64 v36, v36, 1, s12
	v_cmp_eq_u32_e64 s12, 0, v34
	s_delay_alu instid0(VALU_DEP_2) | instskip(NEXT) | instid1(VALU_DEP_2)
	v_and_or_b32 v33, 0xffffff00, v33, v36
	v_cndmask_b32_e64 v32, v32, v35, s12
.LBB1163_201:
	s_or_b32 exec_lo, exec_lo, s13
	v_add_nc_u32_e32 v34, -1, v31
	v_and_b32_e32 v7, 0xff, v7
	; wave barrier
	s_delay_alu instid0(VALU_DEP_2) | instskip(NEXT) | instid1(VALU_DEP_1)
	v_cmp_gt_i32_e64 s12, 0, v34
	v_cndmask_b32_e64 v31, v34, v31, s12
	s_delay_alu instid0(VALU_DEP_3) | instskip(NEXT) | instid1(VALU_DEP_2)
	v_cmp_eq_u32_e64 s12, 0, v7
	v_lshlrev_b32_e32 v31, 2, v31
	ds_bpermute_b32 v32, v31, v32
	ds_bpermute_b32 v31, v31, v33
	s_wait_dscnt 0x0
	v_dual_add_f32 v32, v6, v32 :: v_dual_bitop2_b32 v31, 1, v31 bitop3:0x40
	s_delay_alu instid0(VALU_DEP_1) | instskip(SKIP_1) | instid1(VALU_DEP_1)
	v_cndmask_b32_e64 v6, v6, v32, s12
	v_cmp_eq_u32_e64 s12, 1, v30
	v_cndmask_b32_e64 v7, v31, 1, s12
	s_delay_alu instid0(VALU_DEP_1)
	v_dual_cndmask_b32 v15, v7, v15, s2 :: v_dual_cndmask_b32 v32, v6, v13, s2
	ds_store_b32 v14, v32
	ds_store_b8 v14, v15 offset:4
	; wave barrier
	ds_load_2addr_b32 v[6:7], v14 offset0:2 offset1:4
	ds_load_u8 v33, v14 offset:12
	ds_load_u8 v34, v14 offset:20
	ds_load_2addr_b32 v[30:31], v14 offset0:6 offset1:8
	ds_load_u8 v35, v14 offset:28
	ds_load_u8 v36, v14 offset:36
	;; [unrolled: 1-line block ×4, first 2 shown]
	ds_load_b32 v39, v14 offset:56
	ds_load_u8 v40, v14 offset:60
	s_wait_dscnt 0x9
	v_add_f32_e32 v32, v32, v6
	s_wait_dscnt 0x8
	v_cmp_eq_u16_e64 s12, 0, v33
	s_delay_alu instid0(VALU_DEP_1) | instskip(SKIP_2) | instid1(VALU_DEP_2)
	v_cndmask_b32_e64 v32, v6, v32, s12
	s_wait_dscnt 0x7
	v_cmp_eq_u16_e64 s12, 0, v34
	v_add_f32_e32 v6, v32, v7
	s_delay_alu instid0(VALU_DEP_1)
	v_cndmask_b32_e64 v41, v7, v6, s12
	s_wait_dscnt 0x5
	v_cmp_eq_u16_e64 s12, 0, v35
	ds_load_2addr_b32 v[6:7], v14 offset0:10 offset1:12
	v_add_f32_e32 v42, v41, v30
	ds_store_2addr_b32 v14, v32, v41 offset0:2 offset1:4
	v_dual_cndmask_b32 v30, v30, v42, s12 :: v_dual_bitop2_b32 v33, 1, v33 bitop3:0x40
	s_delay_alu instid0(VALU_DEP_1) | instskip(NEXT) | instid1(VALU_DEP_2)
	v_add_f32_e32 v42, v30, v31
	v_cmp_eq_u32_e64 s12, 1, v33
	s_delay_alu instid0(VALU_DEP_1) | instskip(SKIP_2) | instid1(VALU_DEP_1)
	v_cndmask_b32_e64 v15, v15, 1, s12
	s_wait_dscnt 0x6
	v_cmp_eq_u16_e64 s12, 0, v36
	v_dual_cndmask_b32 v31, v31, v42, s12 :: v_dual_bitop2_b32 v33, 1, v35 bitop3:0x40
	s_wait_dscnt 0x1
	s_delay_alu instid0(VALU_DEP_1) | instskip(SKIP_1) | instid1(VALU_DEP_1)
	v_dual_add_f32 v36, v31, v6 :: v_dual_bitop2_b32 v35, 1, v36 bitop3:0x40
	v_and_b32_e32 v34, 1, v34
	v_cmp_eq_u32_e64 s12, 1, v34
	s_delay_alu instid0(VALU_DEP_1) | instskip(SKIP_1) | instid1(VALU_DEP_1)
	v_cndmask_b32_e64 v34, v15, 1, s12
	v_cmp_eq_u32_e64 s12, 1, v33
	v_cndmask_b32_e64 v33, v34, 1, s12
	v_cmp_eq_u16_e64 s12, 0, v37
	s_delay_alu instid0(VALU_DEP_1) | instskip(SKIP_1) | instid1(VALU_DEP_2)
	v_dual_cndmask_b32 v6, v6, v36, s12 :: v_dual_bitop2_b32 v42, 1, v37 bitop3:0x40
	v_cmp_eq_u32_e64 s12, 1, v35
	v_add_f32_e32 v37, v6, v7
	s_delay_alu instid0(VALU_DEP_2) | instskip(NEXT) | instid1(VALU_DEP_4)
	v_cndmask_b32_e64 v35, v33, 1, s12
	v_cmp_eq_u32_e64 s12, 1, v42
	s_delay_alu instid0(VALU_DEP_1) | instskip(SKIP_1) | instid1(VALU_DEP_1)
	v_cndmask_b32_e64 v42, v35, 1, s12
	v_cmp_eq_u16_e64 s12, 0, v38
	v_dual_cndmask_b32 v7, v7, v37, s12 :: v_dual_bitop2_b32 v36, 1, v38 bitop3:0x40
	v_and_b32_e32 v43, 1, v40
	s_delay_alu instid0(VALU_DEP_2)
	v_cmp_eq_u32_e64 s12, 1, v36
	ds_store_2addr_b32 v14, v30, v31 offset0:6 offset1:8
	ds_store_2addr_b32 v14, v6, v7 offset0:10 offset1:12
	v_add_f32_e32 v32, v7, v39
	v_cndmask_b32_e64 v36, v42, 1, s12
	v_cmp_eq_u32_e64 s12, 1, v43
	s_delay_alu instid0(VALU_DEP_1) | instskip(SKIP_1) | instid1(VALU_DEP_1)
	v_cndmask_b32_e64 v37, v36, 1, s12
	v_cmp_eq_u16_e64 s12, 0, v40
	v_cndmask_b32_e64 v6, v39, v32, s12
	ds_store_b8 v14, v15 offset:12
	ds_store_b8 v14, v34 offset:20
	;; [unrolled: 1-line block ×6, first 2 shown]
	ds_store_b32 v14, v6 offset:56
	ds_store_b8 v14, v37 offset:60
.LBB1163_202:
	s_or_b32 exec_lo, exec_lo, s14
	v_mov_b64_e32 v[14:15], v[16:17]
	s_wait_dscnt 0x0
	s_barrier_signal -1
	s_barrier_wait -1
	s_and_saveexec_b32 s12, s3
	s_cbranch_execz .LBB1163_204
; %bb.203:
	v_add_nc_u32_e32 v2, -1, v0
	v_cmp_eq_u16_e64 s3, 0, v1
	s_delay_alu instid0(VALU_DEP_2) | instskip(NEXT) | instid1(VALU_DEP_1)
	v_lshrrev_b32_e32 v3, 2, v2
	v_and_b32_e32 v3, 0x3ffffff8, v3
	s_delay_alu instid0(VALU_DEP_1) | instskip(SKIP_4) | instid1(VALU_DEP_1)
	v_lshl_add_u32 v2, v2, 3, v3
	ds_load_b32 v2, v2
	;;#ASMSTART
	;;#ASMEND
	s_wait_dscnt 0x0
	v_add_f32_e32 v2, v16, v2
	v_cndmask_b32_e64 v14, v16, v2, s3
	s_delay_alu instid0(VALU_DEP_1) | instskip(NEXT) | instid1(VALU_DEP_1)
	v_add_f32_e32 v1, v28, v14
	v_cndmask_b32_e32 v15, v28, v1, vcc_lo
	s_delay_alu instid0(VALU_DEP_1) | instskip(NEXT) | instid1(VALU_DEP_1)
	v_dual_add_f32 v1, v29, v15 :: v_dual_mov_b32 v16, v14
	v_dual_cndmask_b32 v8, v29, v1, s0 :: v_dual_mov_b32 v17, v15
	s_delay_alu instid0(VALU_DEP_1) | instskip(NEXT) | instid1(VALU_DEP_1)
	v_add_f32_e32 v1, v26, v8
	v_cndmask_b32_e64 v9, v26, v1, s1
	s_delay_alu instid0(VALU_DEP_1) | instskip(NEXT) | instid1(VALU_DEP_1)
	v_add_f32_e32 v1, v27, v9
	v_cndmask_b32_e64 v2, v27, v1, s4
	;; [unrolled: 3-line block ×9, first 2 shown]
.LBB1163_204:
	s_or_b32 exec_lo, exec_lo, s12
	s_and_saveexec_b32 s0, s2
	s_cbranch_execz .LBB1163_206
; %bb.205:
	v_dual_mov_b32 v25, 0 :: v_dual_mov_b32 v24, 2
	s_add_nc_u64 s[2:3], s[28:29], 0x200
	ds_load_b32 v22, v25 offset:2096
	ds_load_u8 v23, v25 offset:2100
	v_mov_b64_e32 v[6:7], s[2:3]
	s_wait_dscnt 0x0
	;;#ASMSTART
	global_store_b128 v[6:7], v[22:25] off scope:SCOPE_DEV	
s_wait_storecnt 0x0
	;;#ASMEND
.LBB1163_206:
	s_or_b32 exec_lo, exec_lo, s0
	v_mov_b32_e32 v6, v16
	s_add_nc_u64 s[0:1], s[18:19], s[34:35]
	s_and_b32 vcc_lo, exec_lo, s31
	s_add_nc_u64 s[0:1], s[0:1], s[16:17]
	s_cbranch_vccnz .LBB1163_144
.LBB1163_207:
	s_mov_b32 s2, 0
                                        ; implicit-def: $vgpr7
	s_cbranch_execz .LBB1163_209
; %bb.208:
	v_mul_u32_u24_e32 v1, 48, v0
	s_wait_dscnt 0x1
	v_dual_mov_b32 v16, v8 :: v_dual_mov_b32 v17, v9
	v_mul_i32_i24_e32 v6, 0xffffffd4, v0
	s_wait_storecnt_dscnt 0x0
	s_barrier_signal -1
	s_barrier_wait -1
	ds_store_b128 v1, v[14:17]
	ds_store_b128 v1, v[2:5] offset:16
	ds_store_b128 v1, v[10:13] offset:32
	v_mad_u32_u24 v1, v0, 48, v6
	s_wait_dscnt 0x0
	s_barrier_signal -1
	s_barrier_wait -1
	ds_load_2addr_stride64_b32 v[2:3], v1 offset1:4
	ds_load_2addr_stride64_b32 v[4:5], v1 offset0:8 offset1:12
	ds_load_2addr_stride64_b32 v[8:9], v1 offset0:16 offset1:20
	;; [unrolled: 1-line block ×5, first 2 shown]
	s_or_b32 s2, s2, exec_lo
	s_wait_dscnt 0x5
	s_clause 0x1
	flat_store_b32 v0, v2, s[0:1] scale_offset
	flat_store_b32 v0, v3, s[0:1] offset:1024 scale_offset
	s_wait_dscnt 0x6
	s_clause 0x1
	flat_store_b32 v0, v4, s[0:1] offset:2048 scale_offset
	flat_store_b32 v0, v5, s[0:1] offset:3072 scale_offset
	s_wait_dscnt 0x7
	s_clause 0x1
	flat_store_b32 v0, v8, s[0:1] offset:4096 scale_offset
	;; [unrolled: 4-line block ×4, first 2 shown]
	flat_store_b32 v0, v13, s[0:1] offset:9216 scale_offset
	s_wait_dscnt 0xa
	flat_store_b32 v0, v6, s[0:1] offset:10240 scale_offset
.LBB1163_209:
	s_wait_xcnt 0x0
	s_delay_alu instid0(VALU_DEP_1)
	s_and_saveexec_b32 s3, s2
	s_cbranch_execnz .LBB1163_211
; %bb.210:
	s_sendmsg sendmsg(MSG_DEALLOC_VGPRS)
	s_endpgm
.LBB1163_211:
	s_wait_dscnt 0x0
	flat_store_b32 v0, v7, s[0:1] offset:11264 scale_offset
	s_sendmsg sendmsg(MSG_DEALLOC_VGPRS)
	s_endpgm
	.section	.rodata,"a",@progbits
	.p2align	6, 0x0
	.amdhsa_kernel _ZN7rocprim17ROCPRIM_400000_NS6detail17trampoline_kernelINS0_14default_configENS1_27scan_by_key_config_selectorIifEEZZNS1_16scan_by_key_implILNS1_25lookback_scan_determinismE0ELb0ES3_N6thrust23THRUST_200600_302600_NS6detail15normal_iteratorINS9_10device_ptrIiEEEENSB_INSC_IfEEEESG_fNS9_4plusIvEENS9_8equal_toIvEEfEE10hipError_tPvRmT2_T3_T4_T5_mT6_T7_P12ihipStream_tbENKUlT_T0_E_clISt17integral_constantIbLb0EES10_IbLb1EEEEDaSW_SX_EUlSW_E_NS1_11comp_targetILNS1_3genE0ELNS1_11target_archE4294967295ELNS1_3gpuE0ELNS1_3repE0EEENS1_30default_config_static_selectorELNS0_4arch9wavefront6targetE0EEEvT1_
		.amdhsa_group_segment_fixed_size 14336
		.amdhsa_private_segment_fixed_size 0
		.amdhsa_kernarg_size 112
		.amdhsa_user_sgpr_count 2
		.amdhsa_user_sgpr_dispatch_ptr 0
		.amdhsa_user_sgpr_queue_ptr 0
		.amdhsa_user_sgpr_kernarg_segment_ptr 1
		.amdhsa_user_sgpr_dispatch_id 0
		.amdhsa_user_sgpr_kernarg_preload_length 0
		.amdhsa_user_sgpr_kernarg_preload_offset 0
		.amdhsa_user_sgpr_private_segment_size 0
		.amdhsa_wavefront_size32 1
		.amdhsa_uses_dynamic_stack 0
		.amdhsa_enable_private_segment 0
		.amdhsa_system_sgpr_workgroup_id_x 1
		.amdhsa_system_sgpr_workgroup_id_y 0
		.amdhsa_system_sgpr_workgroup_id_z 0
		.amdhsa_system_sgpr_workgroup_info 0
		.amdhsa_system_vgpr_workitem_id 0
		.amdhsa_next_free_vgpr 65
		.amdhsa_next_free_sgpr 46
		.amdhsa_named_barrier_count 0
		.amdhsa_reserve_vcc 1
		.amdhsa_float_round_mode_32 0
		.amdhsa_float_round_mode_16_64 0
		.amdhsa_float_denorm_mode_32 3
		.amdhsa_float_denorm_mode_16_64 3
		.amdhsa_fp16_overflow 0
		.amdhsa_memory_ordered 1
		.amdhsa_forward_progress 1
		.amdhsa_inst_pref_size 99
		.amdhsa_round_robin_scheduling 0
		.amdhsa_exception_fp_ieee_invalid_op 0
		.amdhsa_exception_fp_denorm_src 0
		.amdhsa_exception_fp_ieee_div_zero 0
		.amdhsa_exception_fp_ieee_overflow 0
		.amdhsa_exception_fp_ieee_underflow 0
		.amdhsa_exception_fp_ieee_inexact 0
		.amdhsa_exception_int_div_zero 0
	.end_amdhsa_kernel
	.section	.text._ZN7rocprim17ROCPRIM_400000_NS6detail17trampoline_kernelINS0_14default_configENS1_27scan_by_key_config_selectorIifEEZZNS1_16scan_by_key_implILNS1_25lookback_scan_determinismE0ELb0ES3_N6thrust23THRUST_200600_302600_NS6detail15normal_iteratorINS9_10device_ptrIiEEEENSB_INSC_IfEEEESG_fNS9_4plusIvEENS9_8equal_toIvEEfEE10hipError_tPvRmT2_T3_T4_T5_mT6_T7_P12ihipStream_tbENKUlT_T0_E_clISt17integral_constantIbLb0EES10_IbLb1EEEEDaSW_SX_EUlSW_E_NS1_11comp_targetILNS1_3genE0ELNS1_11target_archE4294967295ELNS1_3gpuE0ELNS1_3repE0EEENS1_30default_config_static_selectorELNS0_4arch9wavefront6targetE0EEEvT1_,"axG",@progbits,_ZN7rocprim17ROCPRIM_400000_NS6detail17trampoline_kernelINS0_14default_configENS1_27scan_by_key_config_selectorIifEEZZNS1_16scan_by_key_implILNS1_25lookback_scan_determinismE0ELb0ES3_N6thrust23THRUST_200600_302600_NS6detail15normal_iteratorINS9_10device_ptrIiEEEENSB_INSC_IfEEEESG_fNS9_4plusIvEENS9_8equal_toIvEEfEE10hipError_tPvRmT2_T3_T4_T5_mT6_T7_P12ihipStream_tbENKUlT_T0_E_clISt17integral_constantIbLb0EES10_IbLb1EEEEDaSW_SX_EUlSW_E_NS1_11comp_targetILNS1_3genE0ELNS1_11target_archE4294967295ELNS1_3gpuE0ELNS1_3repE0EEENS1_30default_config_static_selectorELNS0_4arch9wavefront6targetE0EEEvT1_,comdat
.Lfunc_end1163:
	.size	_ZN7rocprim17ROCPRIM_400000_NS6detail17trampoline_kernelINS0_14default_configENS1_27scan_by_key_config_selectorIifEEZZNS1_16scan_by_key_implILNS1_25lookback_scan_determinismE0ELb0ES3_N6thrust23THRUST_200600_302600_NS6detail15normal_iteratorINS9_10device_ptrIiEEEENSB_INSC_IfEEEESG_fNS9_4plusIvEENS9_8equal_toIvEEfEE10hipError_tPvRmT2_T3_T4_T5_mT6_T7_P12ihipStream_tbENKUlT_T0_E_clISt17integral_constantIbLb0EES10_IbLb1EEEEDaSW_SX_EUlSW_E_NS1_11comp_targetILNS1_3genE0ELNS1_11target_archE4294967295ELNS1_3gpuE0ELNS1_3repE0EEENS1_30default_config_static_selectorELNS0_4arch9wavefront6targetE0EEEvT1_, .Lfunc_end1163-_ZN7rocprim17ROCPRIM_400000_NS6detail17trampoline_kernelINS0_14default_configENS1_27scan_by_key_config_selectorIifEEZZNS1_16scan_by_key_implILNS1_25lookback_scan_determinismE0ELb0ES3_N6thrust23THRUST_200600_302600_NS6detail15normal_iteratorINS9_10device_ptrIiEEEENSB_INSC_IfEEEESG_fNS9_4plusIvEENS9_8equal_toIvEEfEE10hipError_tPvRmT2_T3_T4_T5_mT6_T7_P12ihipStream_tbENKUlT_T0_E_clISt17integral_constantIbLb0EES10_IbLb1EEEEDaSW_SX_EUlSW_E_NS1_11comp_targetILNS1_3genE0ELNS1_11target_archE4294967295ELNS1_3gpuE0ELNS1_3repE0EEENS1_30default_config_static_selectorELNS0_4arch9wavefront6targetE0EEEvT1_
                                        ; -- End function
	.set _ZN7rocprim17ROCPRIM_400000_NS6detail17trampoline_kernelINS0_14default_configENS1_27scan_by_key_config_selectorIifEEZZNS1_16scan_by_key_implILNS1_25lookback_scan_determinismE0ELb0ES3_N6thrust23THRUST_200600_302600_NS6detail15normal_iteratorINS9_10device_ptrIiEEEENSB_INSC_IfEEEESG_fNS9_4plusIvEENS9_8equal_toIvEEfEE10hipError_tPvRmT2_T3_T4_T5_mT6_T7_P12ihipStream_tbENKUlT_T0_E_clISt17integral_constantIbLb0EES10_IbLb1EEEEDaSW_SX_EUlSW_E_NS1_11comp_targetILNS1_3genE0ELNS1_11target_archE4294967295ELNS1_3gpuE0ELNS1_3repE0EEENS1_30default_config_static_selectorELNS0_4arch9wavefront6targetE0EEEvT1_.num_vgpr, 65
	.set _ZN7rocprim17ROCPRIM_400000_NS6detail17trampoline_kernelINS0_14default_configENS1_27scan_by_key_config_selectorIifEEZZNS1_16scan_by_key_implILNS1_25lookback_scan_determinismE0ELb0ES3_N6thrust23THRUST_200600_302600_NS6detail15normal_iteratorINS9_10device_ptrIiEEEENSB_INSC_IfEEEESG_fNS9_4plusIvEENS9_8equal_toIvEEfEE10hipError_tPvRmT2_T3_T4_T5_mT6_T7_P12ihipStream_tbENKUlT_T0_E_clISt17integral_constantIbLb0EES10_IbLb1EEEEDaSW_SX_EUlSW_E_NS1_11comp_targetILNS1_3genE0ELNS1_11target_archE4294967295ELNS1_3gpuE0ELNS1_3repE0EEENS1_30default_config_static_selectorELNS0_4arch9wavefront6targetE0EEEvT1_.num_agpr, 0
	.set _ZN7rocprim17ROCPRIM_400000_NS6detail17trampoline_kernelINS0_14default_configENS1_27scan_by_key_config_selectorIifEEZZNS1_16scan_by_key_implILNS1_25lookback_scan_determinismE0ELb0ES3_N6thrust23THRUST_200600_302600_NS6detail15normal_iteratorINS9_10device_ptrIiEEEENSB_INSC_IfEEEESG_fNS9_4plusIvEENS9_8equal_toIvEEfEE10hipError_tPvRmT2_T3_T4_T5_mT6_T7_P12ihipStream_tbENKUlT_T0_E_clISt17integral_constantIbLb0EES10_IbLb1EEEEDaSW_SX_EUlSW_E_NS1_11comp_targetILNS1_3genE0ELNS1_11target_archE4294967295ELNS1_3gpuE0ELNS1_3repE0EEENS1_30default_config_static_selectorELNS0_4arch9wavefront6targetE0EEEvT1_.numbered_sgpr, 46
	.set _ZN7rocprim17ROCPRIM_400000_NS6detail17trampoline_kernelINS0_14default_configENS1_27scan_by_key_config_selectorIifEEZZNS1_16scan_by_key_implILNS1_25lookback_scan_determinismE0ELb0ES3_N6thrust23THRUST_200600_302600_NS6detail15normal_iteratorINS9_10device_ptrIiEEEENSB_INSC_IfEEEESG_fNS9_4plusIvEENS9_8equal_toIvEEfEE10hipError_tPvRmT2_T3_T4_T5_mT6_T7_P12ihipStream_tbENKUlT_T0_E_clISt17integral_constantIbLb0EES10_IbLb1EEEEDaSW_SX_EUlSW_E_NS1_11comp_targetILNS1_3genE0ELNS1_11target_archE4294967295ELNS1_3gpuE0ELNS1_3repE0EEENS1_30default_config_static_selectorELNS0_4arch9wavefront6targetE0EEEvT1_.num_named_barrier, 0
	.set _ZN7rocprim17ROCPRIM_400000_NS6detail17trampoline_kernelINS0_14default_configENS1_27scan_by_key_config_selectorIifEEZZNS1_16scan_by_key_implILNS1_25lookback_scan_determinismE0ELb0ES3_N6thrust23THRUST_200600_302600_NS6detail15normal_iteratorINS9_10device_ptrIiEEEENSB_INSC_IfEEEESG_fNS9_4plusIvEENS9_8equal_toIvEEfEE10hipError_tPvRmT2_T3_T4_T5_mT6_T7_P12ihipStream_tbENKUlT_T0_E_clISt17integral_constantIbLb0EES10_IbLb1EEEEDaSW_SX_EUlSW_E_NS1_11comp_targetILNS1_3genE0ELNS1_11target_archE4294967295ELNS1_3gpuE0ELNS1_3repE0EEENS1_30default_config_static_selectorELNS0_4arch9wavefront6targetE0EEEvT1_.private_seg_size, 0
	.set _ZN7rocprim17ROCPRIM_400000_NS6detail17trampoline_kernelINS0_14default_configENS1_27scan_by_key_config_selectorIifEEZZNS1_16scan_by_key_implILNS1_25lookback_scan_determinismE0ELb0ES3_N6thrust23THRUST_200600_302600_NS6detail15normal_iteratorINS9_10device_ptrIiEEEENSB_INSC_IfEEEESG_fNS9_4plusIvEENS9_8equal_toIvEEfEE10hipError_tPvRmT2_T3_T4_T5_mT6_T7_P12ihipStream_tbENKUlT_T0_E_clISt17integral_constantIbLb0EES10_IbLb1EEEEDaSW_SX_EUlSW_E_NS1_11comp_targetILNS1_3genE0ELNS1_11target_archE4294967295ELNS1_3gpuE0ELNS1_3repE0EEENS1_30default_config_static_selectorELNS0_4arch9wavefront6targetE0EEEvT1_.uses_vcc, 1
	.set _ZN7rocprim17ROCPRIM_400000_NS6detail17trampoline_kernelINS0_14default_configENS1_27scan_by_key_config_selectorIifEEZZNS1_16scan_by_key_implILNS1_25lookback_scan_determinismE0ELb0ES3_N6thrust23THRUST_200600_302600_NS6detail15normal_iteratorINS9_10device_ptrIiEEEENSB_INSC_IfEEEESG_fNS9_4plusIvEENS9_8equal_toIvEEfEE10hipError_tPvRmT2_T3_T4_T5_mT6_T7_P12ihipStream_tbENKUlT_T0_E_clISt17integral_constantIbLb0EES10_IbLb1EEEEDaSW_SX_EUlSW_E_NS1_11comp_targetILNS1_3genE0ELNS1_11target_archE4294967295ELNS1_3gpuE0ELNS1_3repE0EEENS1_30default_config_static_selectorELNS0_4arch9wavefront6targetE0EEEvT1_.uses_flat_scratch, 1
	.set _ZN7rocprim17ROCPRIM_400000_NS6detail17trampoline_kernelINS0_14default_configENS1_27scan_by_key_config_selectorIifEEZZNS1_16scan_by_key_implILNS1_25lookback_scan_determinismE0ELb0ES3_N6thrust23THRUST_200600_302600_NS6detail15normal_iteratorINS9_10device_ptrIiEEEENSB_INSC_IfEEEESG_fNS9_4plusIvEENS9_8equal_toIvEEfEE10hipError_tPvRmT2_T3_T4_T5_mT6_T7_P12ihipStream_tbENKUlT_T0_E_clISt17integral_constantIbLb0EES10_IbLb1EEEEDaSW_SX_EUlSW_E_NS1_11comp_targetILNS1_3genE0ELNS1_11target_archE4294967295ELNS1_3gpuE0ELNS1_3repE0EEENS1_30default_config_static_selectorELNS0_4arch9wavefront6targetE0EEEvT1_.has_dyn_sized_stack, 0
	.set _ZN7rocprim17ROCPRIM_400000_NS6detail17trampoline_kernelINS0_14default_configENS1_27scan_by_key_config_selectorIifEEZZNS1_16scan_by_key_implILNS1_25lookback_scan_determinismE0ELb0ES3_N6thrust23THRUST_200600_302600_NS6detail15normal_iteratorINS9_10device_ptrIiEEEENSB_INSC_IfEEEESG_fNS9_4plusIvEENS9_8equal_toIvEEfEE10hipError_tPvRmT2_T3_T4_T5_mT6_T7_P12ihipStream_tbENKUlT_T0_E_clISt17integral_constantIbLb0EES10_IbLb1EEEEDaSW_SX_EUlSW_E_NS1_11comp_targetILNS1_3genE0ELNS1_11target_archE4294967295ELNS1_3gpuE0ELNS1_3repE0EEENS1_30default_config_static_selectorELNS0_4arch9wavefront6targetE0EEEvT1_.has_recursion, 0
	.set _ZN7rocprim17ROCPRIM_400000_NS6detail17trampoline_kernelINS0_14default_configENS1_27scan_by_key_config_selectorIifEEZZNS1_16scan_by_key_implILNS1_25lookback_scan_determinismE0ELb0ES3_N6thrust23THRUST_200600_302600_NS6detail15normal_iteratorINS9_10device_ptrIiEEEENSB_INSC_IfEEEESG_fNS9_4plusIvEENS9_8equal_toIvEEfEE10hipError_tPvRmT2_T3_T4_T5_mT6_T7_P12ihipStream_tbENKUlT_T0_E_clISt17integral_constantIbLb0EES10_IbLb1EEEEDaSW_SX_EUlSW_E_NS1_11comp_targetILNS1_3genE0ELNS1_11target_archE4294967295ELNS1_3gpuE0ELNS1_3repE0EEENS1_30default_config_static_selectorELNS0_4arch9wavefront6targetE0EEEvT1_.has_indirect_call, 0
	.section	.AMDGPU.csdata,"",@progbits
; Kernel info:
; codeLenInByte = 12656
; TotalNumSgprs: 48
; NumVgprs: 65
; ScratchSize: 0
; MemoryBound: 0
; FloatMode: 240
; IeeeMode: 1
; LDSByteSize: 14336 bytes/workgroup (compile time only)
; SGPRBlocks: 0
; VGPRBlocks: 4
; NumSGPRsForWavesPerEU: 48
; NumVGPRsForWavesPerEU: 65
; NamedBarCnt: 0
; Occupancy: 12
; WaveLimiterHint : 1
; COMPUTE_PGM_RSRC2:SCRATCH_EN: 0
; COMPUTE_PGM_RSRC2:USER_SGPR: 2
; COMPUTE_PGM_RSRC2:TRAP_HANDLER: 0
; COMPUTE_PGM_RSRC2:TGID_X_EN: 1
; COMPUTE_PGM_RSRC2:TGID_Y_EN: 0
; COMPUTE_PGM_RSRC2:TGID_Z_EN: 0
; COMPUTE_PGM_RSRC2:TIDIG_COMP_CNT: 0
	.section	.text._ZN7rocprim17ROCPRIM_400000_NS6detail17trampoline_kernelINS0_14default_configENS1_27scan_by_key_config_selectorIifEEZZNS1_16scan_by_key_implILNS1_25lookback_scan_determinismE0ELb0ES3_N6thrust23THRUST_200600_302600_NS6detail15normal_iteratorINS9_10device_ptrIiEEEENSB_INSC_IfEEEESG_fNS9_4plusIvEENS9_8equal_toIvEEfEE10hipError_tPvRmT2_T3_T4_T5_mT6_T7_P12ihipStream_tbENKUlT_T0_E_clISt17integral_constantIbLb0EES10_IbLb1EEEEDaSW_SX_EUlSW_E_NS1_11comp_targetILNS1_3genE10ELNS1_11target_archE1201ELNS1_3gpuE5ELNS1_3repE0EEENS1_30default_config_static_selectorELNS0_4arch9wavefront6targetE0EEEvT1_,"axG",@progbits,_ZN7rocprim17ROCPRIM_400000_NS6detail17trampoline_kernelINS0_14default_configENS1_27scan_by_key_config_selectorIifEEZZNS1_16scan_by_key_implILNS1_25lookback_scan_determinismE0ELb0ES3_N6thrust23THRUST_200600_302600_NS6detail15normal_iteratorINS9_10device_ptrIiEEEENSB_INSC_IfEEEESG_fNS9_4plusIvEENS9_8equal_toIvEEfEE10hipError_tPvRmT2_T3_T4_T5_mT6_T7_P12ihipStream_tbENKUlT_T0_E_clISt17integral_constantIbLb0EES10_IbLb1EEEEDaSW_SX_EUlSW_E_NS1_11comp_targetILNS1_3genE10ELNS1_11target_archE1201ELNS1_3gpuE5ELNS1_3repE0EEENS1_30default_config_static_selectorELNS0_4arch9wavefront6targetE0EEEvT1_,comdat
	.protected	_ZN7rocprim17ROCPRIM_400000_NS6detail17trampoline_kernelINS0_14default_configENS1_27scan_by_key_config_selectorIifEEZZNS1_16scan_by_key_implILNS1_25lookback_scan_determinismE0ELb0ES3_N6thrust23THRUST_200600_302600_NS6detail15normal_iteratorINS9_10device_ptrIiEEEENSB_INSC_IfEEEESG_fNS9_4plusIvEENS9_8equal_toIvEEfEE10hipError_tPvRmT2_T3_T4_T5_mT6_T7_P12ihipStream_tbENKUlT_T0_E_clISt17integral_constantIbLb0EES10_IbLb1EEEEDaSW_SX_EUlSW_E_NS1_11comp_targetILNS1_3genE10ELNS1_11target_archE1201ELNS1_3gpuE5ELNS1_3repE0EEENS1_30default_config_static_selectorELNS0_4arch9wavefront6targetE0EEEvT1_ ; -- Begin function _ZN7rocprim17ROCPRIM_400000_NS6detail17trampoline_kernelINS0_14default_configENS1_27scan_by_key_config_selectorIifEEZZNS1_16scan_by_key_implILNS1_25lookback_scan_determinismE0ELb0ES3_N6thrust23THRUST_200600_302600_NS6detail15normal_iteratorINS9_10device_ptrIiEEEENSB_INSC_IfEEEESG_fNS9_4plusIvEENS9_8equal_toIvEEfEE10hipError_tPvRmT2_T3_T4_T5_mT6_T7_P12ihipStream_tbENKUlT_T0_E_clISt17integral_constantIbLb0EES10_IbLb1EEEEDaSW_SX_EUlSW_E_NS1_11comp_targetILNS1_3genE10ELNS1_11target_archE1201ELNS1_3gpuE5ELNS1_3repE0EEENS1_30default_config_static_selectorELNS0_4arch9wavefront6targetE0EEEvT1_
	.globl	_ZN7rocprim17ROCPRIM_400000_NS6detail17trampoline_kernelINS0_14default_configENS1_27scan_by_key_config_selectorIifEEZZNS1_16scan_by_key_implILNS1_25lookback_scan_determinismE0ELb0ES3_N6thrust23THRUST_200600_302600_NS6detail15normal_iteratorINS9_10device_ptrIiEEEENSB_INSC_IfEEEESG_fNS9_4plusIvEENS9_8equal_toIvEEfEE10hipError_tPvRmT2_T3_T4_T5_mT6_T7_P12ihipStream_tbENKUlT_T0_E_clISt17integral_constantIbLb0EES10_IbLb1EEEEDaSW_SX_EUlSW_E_NS1_11comp_targetILNS1_3genE10ELNS1_11target_archE1201ELNS1_3gpuE5ELNS1_3repE0EEENS1_30default_config_static_selectorELNS0_4arch9wavefront6targetE0EEEvT1_
	.p2align	8
	.type	_ZN7rocprim17ROCPRIM_400000_NS6detail17trampoline_kernelINS0_14default_configENS1_27scan_by_key_config_selectorIifEEZZNS1_16scan_by_key_implILNS1_25lookback_scan_determinismE0ELb0ES3_N6thrust23THRUST_200600_302600_NS6detail15normal_iteratorINS9_10device_ptrIiEEEENSB_INSC_IfEEEESG_fNS9_4plusIvEENS9_8equal_toIvEEfEE10hipError_tPvRmT2_T3_T4_T5_mT6_T7_P12ihipStream_tbENKUlT_T0_E_clISt17integral_constantIbLb0EES10_IbLb1EEEEDaSW_SX_EUlSW_E_NS1_11comp_targetILNS1_3genE10ELNS1_11target_archE1201ELNS1_3gpuE5ELNS1_3repE0EEENS1_30default_config_static_selectorELNS0_4arch9wavefront6targetE0EEEvT1_,@function
_ZN7rocprim17ROCPRIM_400000_NS6detail17trampoline_kernelINS0_14default_configENS1_27scan_by_key_config_selectorIifEEZZNS1_16scan_by_key_implILNS1_25lookback_scan_determinismE0ELb0ES3_N6thrust23THRUST_200600_302600_NS6detail15normal_iteratorINS9_10device_ptrIiEEEENSB_INSC_IfEEEESG_fNS9_4plusIvEENS9_8equal_toIvEEfEE10hipError_tPvRmT2_T3_T4_T5_mT6_T7_P12ihipStream_tbENKUlT_T0_E_clISt17integral_constantIbLb0EES10_IbLb1EEEEDaSW_SX_EUlSW_E_NS1_11comp_targetILNS1_3genE10ELNS1_11target_archE1201ELNS1_3gpuE5ELNS1_3repE0EEENS1_30default_config_static_selectorELNS0_4arch9wavefront6targetE0EEEvT1_: ; @_ZN7rocprim17ROCPRIM_400000_NS6detail17trampoline_kernelINS0_14default_configENS1_27scan_by_key_config_selectorIifEEZZNS1_16scan_by_key_implILNS1_25lookback_scan_determinismE0ELb0ES3_N6thrust23THRUST_200600_302600_NS6detail15normal_iteratorINS9_10device_ptrIiEEEENSB_INSC_IfEEEESG_fNS9_4plusIvEENS9_8equal_toIvEEfEE10hipError_tPvRmT2_T3_T4_T5_mT6_T7_P12ihipStream_tbENKUlT_T0_E_clISt17integral_constantIbLb0EES10_IbLb1EEEEDaSW_SX_EUlSW_E_NS1_11comp_targetILNS1_3genE10ELNS1_11target_archE1201ELNS1_3gpuE5ELNS1_3repE0EEENS1_30default_config_static_selectorELNS0_4arch9wavefront6targetE0EEEvT1_
; %bb.0:
	.section	.rodata,"a",@progbits
	.p2align	6, 0x0
	.amdhsa_kernel _ZN7rocprim17ROCPRIM_400000_NS6detail17trampoline_kernelINS0_14default_configENS1_27scan_by_key_config_selectorIifEEZZNS1_16scan_by_key_implILNS1_25lookback_scan_determinismE0ELb0ES3_N6thrust23THRUST_200600_302600_NS6detail15normal_iteratorINS9_10device_ptrIiEEEENSB_INSC_IfEEEESG_fNS9_4plusIvEENS9_8equal_toIvEEfEE10hipError_tPvRmT2_T3_T4_T5_mT6_T7_P12ihipStream_tbENKUlT_T0_E_clISt17integral_constantIbLb0EES10_IbLb1EEEEDaSW_SX_EUlSW_E_NS1_11comp_targetILNS1_3genE10ELNS1_11target_archE1201ELNS1_3gpuE5ELNS1_3repE0EEENS1_30default_config_static_selectorELNS0_4arch9wavefront6targetE0EEEvT1_
		.amdhsa_group_segment_fixed_size 0
		.amdhsa_private_segment_fixed_size 0
		.amdhsa_kernarg_size 112
		.amdhsa_user_sgpr_count 2
		.amdhsa_user_sgpr_dispatch_ptr 0
		.amdhsa_user_sgpr_queue_ptr 0
		.amdhsa_user_sgpr_kernarg_segment_ptr 1
		.amdhsa_user_sgpr_dispatch_id 0
		.amdhsa_user_sgpr_kernarg_preload_length 0
		.amdhsa_user_sgpr_kernarg_preload_offset 0
		.amdhsa_user_sgpr_private_segment_size 0
		.amdhsa_wavefront_size32 1
		.amdhsa_uses_dynamic_stack 0
		.amdhsa_enable_private_segment 0
		.amdhsa_system_sgpr_workgroup_id_x 1
		.amdhsa_system_sgpr_workgroup_id_y 0
		.amdhsa_system_sgpr_workgroup_id_z 0
		.amdhsa_system_sgpr_workgroup_info 0
		.amdhsa_system_vgpr_workitem_id 0
		.amdhsa_next_free_vgpr 1
		.amdhsa_next_free_sgpr 1
		.amdhsa_named_barrier_count 0
		.amdhsa_reserve_vcc 0
		.amdhsa_float_round_mode_32 0
		.amdhsa_float_round_mode_16_64 0
		.amdhsa_float_denorm_mode_32 3
		.amdhsa_float_denorm_mode_16_64 3
		.amdhsa_fp16_overflow 0
		.amdhsa_memory_ordered 1
		.amdhsa_forward_progress 1
		.amdhsa_inst_pref_size 0
		.amdhsa_round_robin_scheduling 0
		.amdhsa_exception_fp_ieee_invalid_op 0
		.amdhsa_exception_fp_denorm_src 0
		.amdhsa_exception_fp_ieee_div_zero 0
		.amdhsa_exception_fp_ieee_overflow 0
		.amdhsa_exception_fp_ieee_underflow 0
		.amdhsa_exception_fp_ieee_inexact 0
		.amdhsa_exception_int_div_zero 0
	.end_amdhsa_kernel
	.section	.text._ZN7rocprim17ROCPRIM_400000_NS6detail17trampoline_kernelINS0_14default_configENS1_27scan_by_key_config_selectorIifEEZZNS1_16scan_by_key_implILNS1_25lookback_scan_determinismE0ELb0ES3_N6thrust23THRUST_200600_302600_NS6detail15normal_iteratorINS9_10device_ptrIiEEEENSB_INSC_IfEEEESG_fNS9_4plusIvEENS9_8equal_toIvEEfEE10hipError_tPvRmT2_T3_T4_T5_mT6_T7_P12ihipStream_tbENKUlT_T0_E_clISt17integral_constantIbLb0EES10_IbLb1EEEEDaSW_SX_EUlSW_E_NS1_11comp_targetILNS1_3genE10ELNS1_11target_archE1201ELNS1_3gpuE5ELNS1_3repE0EEENS1_30default_config_static_selectorELNS0_4arch9wavefront6targetE0EEEvT1_,"axG",@progbits,_ZN7rocprim17ROCPRIM_400000_NS6detail17trampoline_kernelINS0_14default_configENS1_27scan_by_key_config_selectorIifEEZZNS1_16scan_by_key_implILNS1_25lookback_scan_determinismE0ELb0ES3_N6thrust23THRUST_200600_302600_NS6detail15normal_iteratorINS9_10device_ptrIiEEEENSB_INSC_IfEEEESG_fNS9_4plusIvEENS9_8equal_toIvEEfEE10hipError_tPvRmT2_T3_T4_T5_mT6_T7_P12ihipStream_tbENKUlT_T0_E_clISt17integral_constantIbLb0EES10_IbLb1EEEEDaSW_SX_EUlSW_E_NS1_11comp_targetILNS1_3genE10ELNS1_11target_archE1201ELNS1_3gpuE5ELNS1_3repE0EEENS1_30default_config_static_selectorELNS0_4arch9wavefront6targetE0EEEvT1_,comdat
.Lfunc_end1164:
	.size	_ZN7rocprim17ROCPRIM_400000_NS6detail17trampoline_kernelINS0_14default_configENS1_27scan_by_key_config_selectorIifEEZZNS1_16scan_by_key_implILNS1_25lookback_scan_determinismE0ELb0ES3_N6thrust23THRUST_200600_302600_NS6detail15normal_iteratorINS9_10device_ptrIiEEEENSB_INSC_IfEEEESG_fNS9_4plusIvEENS9_8equal_toIvEEfEE10hipError_tPvRmT2_T3_T4_T5_mT6_T7_P12ihipStream_tbENKUlT_T0_E_clISt17integral_constantIbLb0EES10_IbLb1EEEEDaSW_SX_EUlSW_E_NS1_11comp_targetILNS1_3genE10ELNS1_11target_archE1201ELNS1_3gpuE5ELNS1_3repE0EEENS1_30default_config_static_selectorELNS0_4arch9wavefront6targetE0EEEvT1_, .Lfunc_end1164-_ZN7rocprim17ROCPRIM_400000_NS6detail17trampoline_kernelINS0_14default_configENS1_27scan_by_key_config_selectorIifEEZZNS1_16scan_by_key_implILNS1_25lookback_scan_determinismE0ELb0ES3_N6thrust23THRUST_200600_302600_NS6detail15normal_iteratorINS9_10device_ptrIiEEEENSB_INSC_IfEEEESG_fNS9_4plusIvEENS9_8equal_toIvEEfEE10hipError_tPvRmT2_T3_T4_T5_mT6_T7_P12ihipStream_tbENKUlT_T0_E_clISt17integral_constantIbLb0EES10_IbLb1EEEEDaSW_SX_EUlSW_E_NS1_11comp_targetILNS1_3genE10ELNS1_11target_archE1201ELNS1_3gpuE5ELNS1_3repE0EEENS1_30default_config_static_selectorELNS0_4arch9wavefront6targetE0EEEvT1_
                                        ; -- End function
	.set _ZN7rocprim17ROCPRIM_400000_NS6detail17trampoline_kernelINS0_14default_configENS1_27scan_by_key_config_selectorIifEEZZNS1_16scan_by_key_implILNS1_25lookback_scan_determinismE0ELb0ES3_N6thrust23THRUST_200600_302600_NS6detail15normal_iteratorINS9_10device_ptrIiEEEENSB_INSC_IfEEEESG_fNS9_4plusIvEENS9_8equal_toIvEEfEE10hipError_tPvRmT2_T3_T4_T5_mT6_T7_P12ihipStream_tbENKUlT_T0_E_clISt17integral_constantIbLb0EES10_IbLb1EEEEDaSW_SX_EUlSW_E_NS1_11comp_targetILNS1_3genE10ELNS1_11target_archE1201ELNS1_3gpuE5ELNS1_3repE0EEENS1_30default_config_static_selectorELNS0_4arch9wavefront6targetE0EEEvT1_.num_vgpr, 0
	.set _ZN7rocprim17ROCPRIM_400000_NS6detail17trampoline_kernelINS0_14default_configENS1_27scan_by_key_config_selectorIifEEZZNS1_16scan_by_key_implILNS1_25lookback_scan_determinismE0ELb0ES3_N6thrust23THRUST_200600_302600_NS6detail15normal_iteratorINS9_10device_ptrIiEEEENSB_INSC_IfEEEESG_fNS9_4plusIvEENS9_8equal_toIvEEfEE10hipError_tPvRmT2_T3_T4_T5_mT6_T7_P12ihipStream_tbENKUlT_T0_E_clISt17integral_constantIbLb0EES10_IbLb1EEEEDaSW_SX_EUlSW_E_NS1_11comp_targetILNS1_3genE10ELNS1_11target_archE1201ELNS1_3gpuE5ELNS1_3repE0EEENS1_30default_config_static_selectorELNS0_4arch9wavefront6targetE0EEEvT1_.num_agpr, 0
	.set _ZN7rocprim17ROCPRIM_400000_NS6detail17trampoline_kernelINS0_14default_configENS1_27scan_by_key_config_selectorIifEEZZNS1_16scan_by_key_implILNS1_25lookback_scan_determinismE0ELb0ES3_N6thrust23THRUST_200600_302600_NS6detail15normal_iteratorINS9_10device_ptrIiEEEENSB_INSC_IfEEEESG_fNS9_4plusIvEENS9_8equal_toIvEEfEE10hipError_tPvRmT2_T3_T4_T5_mT6_T7_P12ihipStream_tbENKUlT_T0_E_clISt17integral_constantIbLb0EES10_IbLb1EEEEDaSW_SX_EUlSW_E_NS1_11comp_targetILNS1_3genE10ELNS1_11target_archE1201ELNS1_3gpuE5ELNS1_3repE0EEENS1_30default_config_static_selectorELNS0_4arch9wavefront6targetE0EEEvT1_.numbered_sgpr, 0
	.set _ZN7rocprim17ROCPRIM_400000_NS6detail17trampoline_kernelINS0_14default_configENS1_27scan_by_key_config_selectorIifEEZZNS1_16scan_by_key_implILNS1_25lookback_scan_determinismE0ELb0ES3_N6thrust23THRUST_200600_302600_NS6detail15normal_iteratorINS9_10device_ptrIiEEEENSB_INSC_IfEEEESG_fNS9_4plusIvEENS9_8equal_toIvEEfEE10hipError_tPvRmT2_T3_T4_T5_mT6_T7_P12ihipStream_tbENKUlT_T0_E_clISt17integral_constantIbLb0EES10_IbLb1EEEEDaSW_SX_EUlSW_E_NS1_11comp_targetILNS1_3genE10ELNS1_11target_archE1201ELNS1_3gpuE5ELNS1_3repE0EEENS1_30default_config_static_selectorELNS0_4arch9wavefront6targetE0EEEvT1_.num_named_barrier, 0
	.set _ZN7rocprim17ROCPRIM_400000_NS6detail17trampoline_kernelINS0_14default_configENS1_27scan_by_key_config_selectorIifEEZZNS1_16scan_by_key_implILNS1_25lookback_scan_determinismE0ELb0ES3_N6thrust23THRUST_200600_302600_NS6detail15normal_iteratorINS9_10device_ptrIiEEEENSB_INSC_IfEEEESG_fNS9_4plusIvEENS9_8equal_toIvEEfEE10hipError_tPvRmT2_T3_T4_T5_mT6_T7_P12ihipStream_tbENKUlT_T0_E_clISt17integral_constantIbLb0EES10_IbLb1EEEEDaSW_SX_EUlSW_E_NS1_11comp_targetILNS1_3genE10ELNS1_11target_archE1201ELNS1_3gpuE5ELNS1_3repE0EEENS1_30default_config_static_selectorELNS0_4arch9wavefront6targetE0EEEvT1_.private_seg_size, 0
	.set _ZN7rocprim17ROCPRIM_400000_NS6detail17trampoline_kernelINS0_14default_configENS1_27scan_by_key_config_selectorIifEEZZNS1_16scan_by_key_implILNS1_25lookback_scan_determinismE0ELb0ES3_N6thrust23THRUST_200600_302600_NS6detail15normal_iteratorINS9_10device_ptrIiEEEENSB_INSC_IfEEEESG_fNS9_4plusIvEENS9_8equal_toIvEEfEE10hipError_tPvRmT2_T3_T4_T5_mT6_T7_P12ihipStream_tbENKUlT_T0_E_clISt17integral_constantIbLb0EES10_IbLb1EEEEDaSW_SX_EUlSW_E_NS1_11comp_targetILNS1_3genE10ELNS1_11target_archE1201ELNS1_3gpuE5ELNS1_3repE0EEENS1_30default_config_static_selectorELNS0_4arch9wavefront6targetE0EEEvT1_.uses_vcc, 0
	.set _ZN7rocprim17ROCPRIM_400000_NS6detail17trampoline_kernelINS0_14default_configENS1_27scan_by_key_config_selectorIifEEZZNS1_16scan_by_key_implILNS1_25lookback_scan_determinismE0ELb0ES3_N6thrust23THRUST_200600_302600_NS6detail15normal_iteratorINS9_10device_ptrIiEEEENSB_INSC_IfEEEESG_fNS9_4plusIvEENS9_8equal_toIvEEfEE10hipError_tPvRmT2_T3_T4_T5_mT6_T7_P12ihipStream_tbENKUlT_T0_E_clISt17integral_constantIbLb0EES10_IbLb1EEEEDaSW_SX_EUlSW_E_NS1_11comp_targetILNS1_3genE10ELNS1_11target_archE1201ELNS1_3gpuE5ELNS1_3repE0EEENS1_30default_config_static_selectorELNS0_4arch9wavefront6targetE0EEEvT1_.uses_flat_scratch, 0
	.set _ZN7rocprim17ROCPRIM_400000_NS6detail17trampoline_kernelINS0_14default_configENS1_27scan_by_key_config_selectorIifEEZZNS1_16scan_by_key_implILNS1_25lookback_scan_determinismE0ELb0ES3_N6thrust23THRUST_200600_302600_NS6detail15normal_iteratorINS9_10device_ptrIiEEEENSB_INSC_IfEEEESG_fNS9_4plusIvEENS9_8equal_toIvEEfEE10hipError_tPvRmT2_T3_T4_T5_mT6_T7_P12ihipStream_tbENKUlT_T0_E_clISt17integral_constantIbLb0EES10_IbLb1EEEEDaSW_SX_EUlSW_E_NS1_11comp_targetILNS1_3genE10ELNS1_11target_archE1201ELNS1_3gpuE5ELNS1_3repE0EEENS1_30default_config_static_selectorELNS0_4arch9wavefront6targetE0EEEvT1_.has_dyn_sized_stack, 0
	.set _ZN7rocprim17ROCPRIM_400000_NS6detail17trampoline_kernelINS0_14default_configENS1_27scan_by_key_config_selectorIifEEZZNS1_16scan_by_key_implILNS1_25lookback_scan_determinismE0ELb0ES3_N6thrust23THRUST_200600_302600_NS6detail15normal_iteratorINS9_10device_ptrIiEEEENSB_INSC_IfEEEESG_fNS9_4plusIvEENS9_8equal_toIvEEfEE10hipError_tPvRmT2_T3_T4_T5_mT6_T7_P12ihipStream_tbENKUlT_T0_E_clISt17integral_constantIbLb0EES10_IbLb1EEEEDaSW_SX_EUlSW_E_NS1_11comp_targetILNS1_3genE10ELNS1_11target_archE1201ELNS1_3gpuE5ELNS1_3repE0EEENS1_30default_config_static_selectorELNS0_4arch9wavefront6targetE0EEEvT1_.has_recursion, 0
	.set _ZN7rocprim17ROCPRIM_400000_NS6detail17trampoline_kernelINS0_14default_configENS1_27scan_by_key_config_selectorIifEEZZNS1_16scan_by_key_implILNS1_25lookback_scan_determinismE0ELb0ES3_N6thrust23THRUST_200600_302600_NS6detail15normal_iteratorINS9_10device_ptrIiEEEENSB_INSC_IfEEEESG_fNS9_4plusIvEENS9_8equal_toIvEEfEE10hipError_tPvRmT2_T3_T4_T5_mT6_T7_P12ihipStream_tbENKUlT_T0_E_clISt17integral_constantIbLb0EES10_IbLb1EEEEDaSW_SX_EUlSW_E_NS1_11comp_targetILNS1_3genE10ELNS1_11target_archE1201ELNS1_3gpuE5ELNS1_3repE0EEENS1_30default_config_static_selectorELNS0_4arch9wavefront6targetE0EEEvT1_.has_indirect_call, 0
	.section	.AMDGPU.csdata,"",@progbits
; Kernel info:
; codeLenInByte = 0
; TotalNumSgprs: 0
; NumVgprs: 0
; ScratchSize: 0
; MemoryBound: 0
; FloatMode: 240
; IeeeMode: 1
; LDSByteSize: 0 bytes/workgroup (compile time only)
; SGPRBlocks: 0
; VGPRBlocks: 0
; NumSGPRsForWavesPerEU: 1
; NumVGPRsForWavesPerEU: 1
; NamedBarCnt: 0
; Occupancy: 16
; WaveLimiterHint : 0
; COMPUTE_PGM_RSRC2:SCRATCH_EN: 0
; COMPUTE_PGM_RSRC2:USER_SGPR: 2
; COMPUTE_PGM_RSRC2:TRAP_HANDLER: 0
; COMPUTE_PGM_RSRC2:TGID_X_EN: 1
; COMPUTE_PGM_RSRC2:TGID_Y_EN: 0
; COMPUTE_PGM_RSRC2:TGID_Z_EN: 0
; COMPUTE_PGM_RSRC2:TIDIG_COMP_CNT: 0
	.section	.text._ZN7rocprim17ROCPRIM_400000_NS6detail17trampoline_kernelINS0_14default_configENS1_27scan_by_key_config_selectorIifEEZZNS1_16scan_by_key_implILNS1_25lookback_scan_determinismE0ELb0ES3_N6thrust23THRUST_200600_302600_NS6detail15normal_iteratorINS9_10device_ptrIiEEEENSB_INSC_IfEEEESG_fNS9_4plusIvEENS9_8equal_toIvEEfEE10hipError_tPvRmT2_T3_T4_T5_mT6_T7_P12ihipStream_tbENKUlT_T0_E_clISt17integral_constantIbLb0EES10_IbLb1EEEEDaSW_SX_EUlSW_E_NS1_11comp_targetILNS1_3genE5ELNS1_11target_archE942ELNS1_3gpuE9ELNS1_3repE0EEENS1_30default_config_static_selectorELNS0_4arch9wavefront6targetE0EEEvT1_,"axG",@progbits,_ZN7rocprim17ROCPRIM_400000_NS6detail17trampoline_kernelINS0_14default_configENS1_27scan_by_key_config_selectorIifEEZZNS1_16scan_by_key_implILNS1_25lookback_scan_determinismE0ELb0ES3_N6thrust23THRUST_200600_302600_NS6detail15normal_iteratorINS9_10device_ptrIiEEEENSB_INSC_IfEEEESG_fNS9_4plusIvEENS9_8equal_toIvEEfEE10hipError_tPvRmT2_T3_T4_T5_mT6_T7_P12ihipStream_tbENKUlT_T0_E_clISt17integral_constantIbLb0EES10_IbLb1EEEEDaSW_SX_EUlSW_E_NS1_11comp_targetILNS1_3genE5ELNS1_11target_archE942ELNS1_3gpuE9ELNS1_3repE0EEENS1_30default_config_static_selectorELNS0_4arch9wavefront6targetE0EEEvT1_,comdat
	.protected	_ZN7rocprim17ROCPRIM_400000_NS6detail17trampoline_kernelINS0_14default_configENS1_27scan_by_key_config_selectorIifEEZZNS1_16scan_by_key_implILNS1_25lookback_scan_determinismE0ELb0ES3_N6thrust23THRUST_200600_302600_NS6detail15normal_iteratorINS9_10device_ptrIiEEEENSB_INSC_IfEEEESG_fNS9_4plusIvEENS9_8equal_toIvEEfEE10hipError_tPvRmT2_T3_T4_T5_mT6_T7_P12ihipStream_tbENKUlT_T0_E_clISt17integral_constantIbLb0EES10_IbLb1EEEEDaSW_SX_EUlSW_E_NS1_11comp_targetILNS1_3genE5ELNS1_11target_archE942ELNS1_3gpuE9ELNS1_3repE0EEENS1_30default_config_static_selectorELNS0_4arch9wavefront6targetE0EEEvT1_ ; -- Begin function _ZN7rocprim17ROCPRIM_400000_NS6detail17trampoline_kernelINS0_14default_configENS1_27scan_by_key_config_selectorIifEEZZNS1_16scan_by_key_implILNS1_25lookback_scan_determinismE0ELb0ES3_N6thrust23THRUST_200600_302600_NS6detail15normal_iteratorINS9_10device_ptrIiEEEENSB_INSC_IfEEEESG_fNS9_4plusIvEENS9_8equal_toIvEEfEE10hipError_tPvRmT2_T3_T4_T5_mT6_T7_P12ihipStream_tbENKUlT_T0_E_clISt17integral_constantIbLb0EES10_IbLb1EEEEDaSW_SX_EUlSW_E_NS1_11comp_targetILNS1_3genE5ELNS1_11target_archE942ELNS1_3gpuE9ELNS1_3repE0EEENS1_30default_config_static_selectorELNS0_4arch9wavefront6targetE0EEEvT1_
	.globl	_ZN7rocprim17ROCPRIM_400000_NS6detail17trampoline_kernelINS0_14default_configENS1_27scan_by_key_config_selectorIifEEZZNS1_16scan_by_key_implILNS1_25lookback_scan_determinismE0ELb0ES3_N6thrust23THRUST_200600_302600_NS6detail15normal_iteratorINS9_10device_ptrIiEEEENSB_INSC_IfEEEESG_fNS9_4plusIvEENS9_8equal_toIvEEfEE10hipError_tPvRmT2_T3_T4_T5_mT6_T7_P12ihipStream_tbENKUlT_T0_E_clISt17integral_constantIbLb0EES10_IbLb1EEEEDaSW_SX_EUlSW_E_NS1_11comp_targetILNS1_3genE5ELNS1_11target_archE942ELNS1_3gpuE9ELNS1_3repE0EEENS1_30default_config_static_selectorELNS0_4arch9wavefront6targetE0EEEvT1_
	.p2align	8
	.type	_ZN7rocprim17ROCPRIM_400000_NS6detail17trampoline_kernelINS0_14default_configENS1_27scan_by_key_config_selectorIifEEZZNS1_16scan_by_key_implILNS1_25lookback_scan_determinismE0ELb0ES3_N6thrust23THRUST_200600_302600_NS6detail15normal_iteratorINS9_10device_ptrIiEEEENSB_INSC_IfEEEESG_fNS9_4plusIvEENS9_8equal_toIvEEfEE10hipError_tPvRmT2_T3_T4_T5_mT6_T7_P12ihipStream_tbENKUlT_T0_E_clISt17integral_constantIbLb0EES10_IbLb1EEEEDaSW_SX_EUlSW_E_NS1_11comp_targetILNS1_3genE5ELNS1_11target_archE942ELNS1_3gpuE9ELNS1_3repE0EEENS1_30default_config_static_selectorELNS0_4arch9wavefront6targetE0EEEvT1_,@function
_ZN7rocprim17ROCPRIM_400000_NS6detail17trampoline_kernelINS0_14default_configENS1_27scan_by_key_config_selectorIifEEZZNS1_16scan_by_key_implILNS1_25lookback_scan_determinismE0ELb0ES3_N6thrust23THRUST_200600_302600_NS6detail15normal_iteratorINS9_10device_ptrIiEEEENSB_INSC_IfEEEESG_fNS9_4plusIvEENS9_8equal_toIvEEfEE10hipError_tPvRmT2_T3_T4_T5_mT6_T7_P12ihipStream_tbENKUlT_T0_E_clISt17integral_constantIbLb0EES10_IbLb1EEEEDaSW_SX_EUlSW_E_NS1_11comp_targetILNS1_3genE5ELNS1_11target_archE942ELNS1_3gpuE9ELNS1_3repE0EEENS1_30default_config_static_selectorELNS0_4arch9wavefront6targetE0EEEvT1_: ; @_ZN7rocprim17ROCPRIM_400000_NS6detail17trampoline_kernelINS0_14default_configENS1_27scan_by_key_config_selectorIifEEZZNS1_16scan_by_key_implILNS1_25lookback_scan_determinismE0ELb0ES3_N6thrust23THRUST_200600_302600_NS6detail15normal_iteratorINS9_10device_ptrIiEEEENSB_INSC_IfEEEESG_fNS9_4plusIvEENS9_8equal_toIvEEfEE10hipError_tPvRmT2_T3_T4_T5_mT6_T7_P12ihipStream_tbENKUlT_T0_E_clISt17integral_constantIbLb0EES10_IbLb1EEEEDaSW_SX_EUlSW_E_NS1_11comp_targetILNS1_3genE5ELNS1_11target_archE942ELNS1_3gpuE9ELNS1_3repE0EEENS1_30default_config_static_selectorELNS0_4arch9wavefront6targetE0EEEvT1_
; %bb.0:
	.section	.rodata,"a",@progbits
	.p2align	6, 0x0
	.amdhsa_kernel _ZN7rocprim17ROCPRIM_400000_NS6detail17trampoline_kernelINS0_14default_configENS1_27scan_by_key_config_selectorIifEEZZNS1_16scan_by_key_implILNS1_25lookback_scan_determinismE0ELb0ES3_N6thrust23THRUST_200600_302600_NS6detail15normal_iteratorINS9_10device_ptrIiEEEENSB_INSC_IfEEEESG_fNS9_4plusIvEENS9_8equal_toIvEEfEE10hipError_tPvRmT2_T3_T4_T5_mT6_T7_P12ihipStream_tbENKUlT_T0_E_clISt17integral_constantIbLb0EES10_IbLb1EEEEDaSW_SX_EUlSW_E_NS1_11comp_targetILNS1_3genE5ELNS1_11target_archE942ELNS1_3gpuE9ELNS1_3repE0EEENS1_30default_config_static_selectorELNS0_4arch9wavefront6targetE0EEEvT1_
		.amdhsa_group_segment_fixed_size 0
		.amdhsa_private_segment_fixed_size 0
		.amdhsa_kernarg_size 112
		.amdhsa_user_sgpr_count 2
		.amdhsa_user_sgpr_dispatch_ptr 0
		.amdhsa_user_sgpr_queue_ptr 0
		.amdhsa_user_sgpr_kernarg_segment_ptr 1
		.amdhsa_user_sgpr_dispatch_id 0
		.amdhsa_user_sgpr_kernarg_preload_length 0
		.amdhsa_user_sgpr_kernarg_preload_offset 0
		.amdhsa_user_sgpr_private_segment_size 0
		.amdhsa_wavefront_size32 1
		.amdhsa_uses_dynamic_stack 0
		.amdhsa_enable_private_segment 0
		.amdhsa_system_sgpr_workgroup_id_x 1
		.amdhsa_system_sgpr_workgroup_id_y 0
		.amdhsa_system_sgpr_workgroup_id_z 0
		.amdhsa_system_sgpr_workgroup_info 0
		.amdhsa_system_vgpr_workitem_id 0
		.amdhsa_next_free_vgpr 1
		.amdhsa_next_free_sgpr 1
		.amdhsa_named_barrier_count 0
		.amdhsa_reserve_vcc 0
		.amdhsa_float_round_mode_32 0
		.amdhsa_float_round_mode_16_64 0
		.amdhsa_float_denorm_mode_32 3
		.amdhsa_float_denorm_mode_16_64 3
		.amdhsa_fp16_overflow 0
		.amdhsa_memory_ordered 1
		.amdhsa_forward_progress 1
		.amdhsa_inst_pref_size 0
		.amdhsa_round_robin_scheduling 0
		.amdhsa_exception_fp_ieee_invalid_op 0
		.amdhsa_exception_fp_denorm_src 0
		.amdhsa_exception_fp_ieee_div_zero 0
		.amdhsa_exception_fp_ieee_overflow 0
		.amdhsa_exception_fp_ieee_underflow 0
		.amdhsa_exception_fp_ieee_inexact 0
		.amdhsa_exception_int_div_zero 0
	.end_amdhsa_kernel
	.section	.text._ZN7rocprim17ROCPRIM_400000_NS6detail17trampoline_kernelINS0_14default_configENS1_27scan_by_key_config_selectorIifEEZZNS1_16scan_by_key_implILNS1_25lookback_scan_determinismE0ELb0ES3_N6thrust23THRUST_200600_302600_NS6detail15normal_iteratorINS9_10device_ptrIiEEEENSB_INSC_IfEEEESG_fNS9_4plusIvEENS9_8equal_toIvEEfEE10hipError_tPvRmT2_T3_T4_T5_mT6_T7_P12ihipStream_tbENKUlT_T0_E_clISt17integral_constantIbLb0EES10_IbLb1EEEEDaSW_SX_EUlSW_E_NS1_11comp_targetILNS1_3genE5ELNS1_11target_archE942ELNS1_3gpuE9ELNS1_3repE0EEENS1_30default_config_static_selectorELNS0_4arch9wavefront6targetE0EEEvT1_,"axG",@progbits,_ZN7rocprim17ROCPRIM_400000_NS6detail17trampoline_kernelINS0_14default_configENS1_27scan_by_key_config_selectorIifEEZZNS1_16scan_by_key_implILNS1_25lookback_scan_determinismE0ELb0ES3_N6thrust23THRUST_200600_302600_NS6detail15normal_iteratorINS9_10device_ptrIiEEEENSB_INSC_IfEEEESG_fNS9_4plusIvEENS9_8equal_toIvEEfEE10hipError_tPvRmT2_T3_T4_T5_mT6_T7_P12ihipStream_tbENKUlT_T0_E_clISt17integral_constantIbLb0EES10_IbLb1EEEEDaSW_SX_EUlSW_E_NS1_11comp_targetILNS1_3genE5ELNS1_11target_archE942ELNS1_3gpuE9ELNS1_3repE0EEENS1_30default_config_static_selectorELNS0_4arch9wavefront6targetE0EEEvT1_,comdat
.Lfunc_end1165:
	.size	_ZN7rocprim17ROCPRIM_400000_NS6detail17trampoline_kernelINS0_14default_configENS1_27scan_by_key_config_selectorIifEEZZNS1_16scan_by_key_implILNS1_25lookback_scan_determinismE0ELb0ES3_N6thrust23THRUST_200600_302600_NS6detail15normal_iteratorINS9_10device_ptrIiEEEENSB_INSC_IfEEEESG_fNS9_4plusIvEENS9_8equal_toIvEEfEE10hipError_tPvRmT2_T3_T4_T5_mT6_T7_P12ihipStream_tbENKUlT_T0_E_clISt17integral_constantIbLb0EES10_IbLb1EEEEDaSW_SX_EUlSW_E_NS1_11comp_targetILNS1_3genE5ELNS1_11target_archE942ELNS1_3gpuE9ELNS1_3repE0EEENS1_30default_config_static_selectorELNS0_4arch9wavefront6targetE0EEEvT1_, .Lfunc_end1165-_ZN7rocprim17ROCPRIM_400000_NS6detail17trampoline_kernelINS0_14default_configENS1_27scan_by_key_config_selectorIifEEZZNS1_16scan_by_key_implILNS1_25lookback_scan_determinismE0ELb0ES3_N6thrust23THRUST_200600_302600_NS6detail15normal_iteratorINS9_10device_ptrIiEEEENSB_INSC_IfEEEESG_fNS9_4plusIvEENS9_8equal_toIvEEfEE10hipError_tPvRmT2_T3_T4_T5_mT6_T7_P12ihipStream_tbENKUlT_T0_E_clISt17integral_constantIbLb0EES10_IbLb1EEEEDaSW_SX_EUlSW_E_NS1_11comp_targetILNS1_3genE5ELNS1_11target_archE942ELNS1_3gpuE9ELNS1_3repE0EEENS1_30default_config_static_selectorELNS0_4arch9wavefront6targetE0EEEvT1_
                                        ; -- End function
	.set _ZN7rocprim17ROCPRIM_400000_NS6detail17trampoline_kernelINS0_14default_configENS1_27scan_by_key_config_selectorIifEEZZNS1_16scan_by_key_implILNS1_25lookback_scan_determinismE0ELb0ES3_N6thrust23THRUST_200600_302600_NS6detail15normal_iteratorINS9_10device_ptrIiEEEENSB_INSC_IfEEEESG_fNS9_4plusIvEENS9_8equal_toIvEEfEE10hipError_tPvRmT2_T3_T4_T5_mT6_T7_P12ihipStream_tbENKUlT_T0_E_clISt17integral_constantIbLb0EES10_IbLb1EEEEDaSW_SX_EUlSW_E_NS1_11comp_targetILNS1_3genE5ELNS1_11target_archE942ELNS1_3gpuE9ELNS1_3repE0EEENS1_30default_config_static_selectorELNS0_4arch9wavefront6targetE0EEEvT1_.num_vgpr, 0
	.set _ZN7rocprim17ROCPRIM_400000_NS6detail17trampoline_kernelINS0_14default_configENS1_27scan_by_key_config_selectorIifEEZZNS1_16scan_by_key_implILNS1_25lookback_scan_determinismE0ELb0ES3_N6thrust23THRUST_200600_302600_NS6detail15normal_iteratorINS9_10device_ptrIiEEEENSB_INSC_IfEEEESG_fNS9_4plusIvEENS9_8equal_toIvEEfEE10hipError_tPvRmT2_T3_T4_T5_mT6_T7_P12ihipStream_tbENKUlT_T0_E_clISt17integral_constantIbLb0EES10_IbLb1EEEEDaSW_SX_EUlSW_E_NS1_11comp_targetILNS1_3genE5ELNS1_11target_archE942ELNS1_3gpuE9ELNS1_3repE0EEENS1_30default_config_static_selectorELNS0_4arch9wavefront6targetE0EEEvT1_.num_agpr, 0
	.set _ZN7rocprim17ROCPRIM_400000_NS6detail17trampoline_kernelINS0_14default_configENS1_27scan_by_key_config_selectorIifEEZZNS1_16scan_by_key_implILNS1_25lookback_scan_determinismE0ELb0ES3_N6thrust23THRUST_200600_302600_NS6detail15normal_iteratorINS9_10device_ptrIiEEEENSB_INSC_IfEEEESG_fNS9_4plusIvEENS9_8equal_toIvEEfEE10hipError_tPvRmT2_T3_T4_T5_mT6_T7_P12ihipStream_tbENKUlT_T0_E_clISt17integral_constantIbLb0EES10_IbLb1EEEEDaSW_SX_EUlSW_E_NS1_11comp_targetILNS1_3genE5ELNS1_11target_archE942ELNS1_3gpuE9ELNS1_3repE0EEENS1_30default_config_static_selectorELNS0_4arch9wavefront6targetE0EEEvT1_.numbered_sgpr, 0
	.set _ZN7rocprim17ROCPRIM_400000_NS6detail17trampoline_kernelINS0_14default_configENS1_27scan_by_key_config_selectorIifEEZZNS1_16scan_by_key_implILNS1_25lookback_scan_determinismE0ELb0ES3_N6thrust23THRUST_200600_302600_NS6detail15normal_iteratorINS9_10device_ptrIiEEEENSB_INSC_IfEEEESG_fNS9_4plusIvEENS9_8equal_toIvEEfEE10hipError_tPvRmT2_T3_T4_T5_mT6_T7_P12ihipStream_tbENKUlT_T0_E_clISt17integral_constantIbLb0EES10_IbLb1EEEEDaSW_SX_EUlSW_E_NS1_11comp_targetILNS1_3genE5ELNS1_11target_archE942ELNS1_3gpuE9ELNS1_3repE0EEENS1_30default_config_static_selectorELNS0_4arch9wavefront6targetE0EEEvT1_.num_named_barrier, 0
	.set _ZN7rocprim17ROCPRIM_400000_NS6detail17trampoline_kernelINS0_14default_configENS1_27scan_by_key_config_selectorIifEEZZNS1_16scan_by_key_implILNS1_25lookback_scan_determinismE0ELb0ES3_N6thrust23THRUST_200600_302600_NS6detail15normal_iteratorINS9_10device_ptrIiEEEENSB_INSC_IfEEEESG_fNS9_4plusIvEENS9_8equal_toIvEEfEE10hipError_tPvRmT2_T3_T4_T5_mT6_T7_P12ihipStream_tbENKUlT_T0_E_clISt17integral_constantIbLb0EES10_IbLb1EEEEDaSW_SX_EUlSW_E_NS1_11comp_targetILNS1_3genE5ELNS1_11target_archE942ELNS1_3gpuE9ELNS1_3repE0EEENS1_30default_config_static_selectorELNS0_4arch9wavefront6targetE0EEEvT1_.private_seg_size, 0
	.set _ZN7rocprim17ROCPRIM_400000_NS6detail17trampoline_kernelINS0_14default_configENS1_27scan_by_key_config_selectorIifEEZZNS1_16scan_by_key_implILNS1_25lookback_scan_determinismE0ELb0ES3_N6thrust23THRUST_200600_302600_NS6detail15normal_iteratorINS9_10device_ptrIiEEEENSB_INSC_IfEEEESG_fNS9_4plusIvEENS9_8equal_toIvEEfEE10hipError_tPvRmT2_T3_T4_T5_mT6_T7_P12ihipStream_tbENKUlT_T0_E_clISt17integral_constantIbLb0EES10_IbLb1EEEEDaSW_SX_EUlSW_E_NS1_11comp_targetILNS1_3genE5ELNS1_11target_archE942ELNS1_3gpuE9ELNS1_3repE0EEENS1_30default_config_static_selectorELNS0_4arch9wavefront6targetE0EEEvT1_.uses_vcc, 0
	.set _ZN7rocprim17ROCPRIM_400000_NS6detail17trampoline_kernelINS0_14default_configENS1_27scan_by_key_config_selectorIifEEZZNS1_16scan_by_key_implILNS1_25lookback_scan_determinismE0ELb0ES3_N6thrust23THRUST_200600_302600_NS6detail15normal_iteratorINS9_10device_ptrIiEEEENSB_INSC_IfEEEESG_fNS9_4plusIvEENS9_8equal_toIvEEfEE10hipError_tPvRmT2_T3_T4_T5_mT6_T7_P12ihipStream_tbENKUlT_T0_E_clISt17integral_constantIbLb0EES10_IbLb1EEEEDaSW_SX_EUlSW_E_NS1_11comp_targetILNS1_3genE5ELNS1_11target_archE942ELNS1_3gpuE9ELNS1_3repE0EEENS1_30default_config_static_selectorELNS0_4arch9wavefront6targetE0EEEvT1_.uses_flat_scratch, 0
	.set _ZN7rocprim17ROCPRIM_400000_NS6detail17trampoline_kernelINS0_14default_configENS1_27scan_by_key_config_selectorIifEEZZNS1_16scan_by_key_implILNS1_25lookback_scan_determinismE0ELb0ES3_N6thrust23THRUST_200600_302600_NS6detail15normal_iteratorINS9_10device_ptrIiEEEENSB_INSC_IfEEEESG_fNS9_4plusIvEENS9_8equal_toIvEEfEE10hipError_tPvRmT2_T3_T4_T5_mT6_T7_P12ihipStream_tbENKUlT_T0_E_clISt17integral_constantIbLb0EES10_IbLb1EEEEDaSW_SX_EUlSW_E_NS1_11comp_targetILNS1_3genE5ELNS1_11target_archE942ELNS1_3gpuE9ELNS1_3repE0EEENS1_30default_config_static_selectorELNS0_4arch9wavefront6targetE0EEEvT1_.has_dyn_sized_stack, 0
	.set _ZN7rocprim17ROCPRIM_400000_NS6detail17trampoline_kernelINS0_14default_configENS1_27scan_by_key_config_selectorIifEEZZNS1_16scan_by_key_implILNS1_25lookback_scan_determinismE0ELb0ES3_N6thrust23THRUST_200600_302600_NS6detail15normal_iteratorINS9_10device_ptrIiEEEENSB_INSC_IfEEEESG_fNS9_4plusIvEENS9_8equal_toIvEEfEE10hipError_tPvRmT2_T3_T4_T5_mT6_T7_P12ihipStream_tbENKUlT_T0_E_clISt17integral_constantIbLb0EES10_IbLb1EEEEDaSW_SX_EUlSW_E_NS1_11comp_targetILNS1_3genE5ELNS1_11target_archE942ELNS1_3gpuE9ELNS1_3repE0EEENS1_30default_config_static_selectorELNS0_4arch9wavefront6targetE0EEEvT1_.has_recursion, 0
	.set _ZN7rocprim17ROCPRIM_400000_NS6detail17trampoline_kernelINS0_14default_configENS1_27scan_by_key_config_selectorIifEEZZNS1_16scan_by_key_implILNS1_25lookback_scan_determinismE0ELb0ES3_N6thrust23THRUST_200600_302600_NS6detail15normal_iteratorINS9_10device_ptrIiEEEENSB_INSC_IfEEEESG_fNS9_4plusIvEENS9_8equal_toIvEEfEE10hipError_tPvRmT2_T3_T4_T5_mT6_T7_P12ihipStream_tbENKUlT_T0_E_clISt17integral_constantIbLb0EES10_IbLb1EEEEDaSW_SX_EUlSW_E_NS1_11comp_targetILNS1_3genE5ELNS1_11target_archE942ELNS1_3gpuE9ELNS1_3repE0EEENS1_30default_config_static_selectorELNS0_4arch9wavefront6targetE0EEEvT1_.has_indirect_call, 0
	.section	.AMDGPU.csdata,"",@progbits
; Kernel info:
; codeLenInByte = 0
; TotalNumSgprs: 0
; NumVgprs: 0
; ScratchSize: 0
; MemoryBound: 0
; FloatMode: 240
; IeeeMode: 1
; LDSByteSize: 0 bytes/workgroup (compile time only)
; SGPRBlocks: 0
; VGPRBlocks: 0
; NumSGPRsForWavesPerEU: 1
; NumVGPRsForWavesPerEU: 1
; NamedBarCnt: 0
; Occupancy: 16
; WaveLimiterHint : 0
; COMPUTE_PGM_RSRC2:SCRATCH_EN: 0
; COMPUTE_PGM_RSRC2:USER_SGPR: 2
; COMPUTE_PGM_RSRC2:TRAP_HANDLER: 0
; COMPUTE_PGM_RSRC2:TGID_X_EN: 1
; COMPUTE_PGM_RSRC2:TGID_Y_EN: 0
; COMPUTE_PGM_RSRC2:TGID_Z_EN: 0
; COMPUTE_PGM_RSRC2:TIDIG_COMP_CNT: 0
	.section	.text._ZN7rocprim17ROCPRIM_400000_NS6detail17trampoline_kernelINS0_14default_configENS1_27scan_by_key_config_selectorIifEEZZNS1_16scan_by_key_implILNS1_25lookback_scan_determinismE0ELb0ES3_N6thrust23THRUST_200600_302600_NS6detail15normal_iteratorINS9_10device_ptrIiEEEENSB_INSC_IfEEEESG_fNS9_4plusIvEENS9_8equal_toIvEEfEE10hipError_tPvRmT2_T3_T4_T5_mT6_T7_P12ihipStream_tbENKUlT_T0_E_clISt17integral_constantIbLb0EES10_IbLb1EEEEDaSW_SX_EUlSW_E_NS1_11comp_targetILNS1_3genE4ELNS1_11target_archE910ELNS1_3gpuE8ELNS1_3repE0EEENS1_30default_config_static_selectorELNS0_4arch9wavefront6targetE0EEEvT1_,"axG",@progbits,_ZN7rocprim17ROCPRIM_400000_NS6detail17trampoline_kernelINS0_14default_configENS1_27scan_by_key_config_selectorIifEEZZNS1_16scan_by_key_implILNS1_25lookback_scan_determinismE0ELb0ES3_N6thrust23THRUST_200600_302600_NS6detail15normal_iteratorINS9_10device_ptrIiEEEENSB_INSC_IfEEEESG_fNS9_4plusIvEENS9_8equal_toIvEEfEE10hipError_tPvRmT2_T3_T4_T5_mT6_T7_P12ihipStream_tbENKUlT_T0_E_clISt17integral_constantIbLb0EES10_IbLb1EEEEDaSW_SX_EUlSW_E_NS1_11comp_targetILNS1_3genE4ELNS1_11target_archE910ELNS1_3gpuE8ELNS1_3repE0EEENS1_30default_config_static_selectorELNS0_4arch9wavefront6targetE0EEEvT1_,comdat
	.protected	_ZN7rocprim17ROCPRIM_400000_NS6detail17trampoline_kernelINS0_14default_configENS1_27scan_by_key_config_selectorIifEEZZNS1_16scan_by_key_implILNS1_25lookback_scan_determinismE0ELb0ES3_N6thrust23THRUST_200600_302600_NS6detail15normal_iteratorINS9_10device_ptrIiEEEENSB_INSC_IfEEEESG_fNS9_4plusIvEENS9_8equal_toIvEEfEE10hipError_tPvRmT2_T3_T4_T5_mT6_T7_P12ihipStream_tbENKUlT_T0_E_clISt17integral_constantIbLb0EES10_IbLb1EEEEDaSW_SX_EUlSW_E_NS1_11comp_targetILNS1_3genE4ELNS1_11target_archE910ELNS1_3gpuE8ELNS1_3repE0EEENS1_30default_config_static_selectorELNS0_4arch9wavefront6targetE0EEEvT1_ ; -- Begin function _ZN7rocprim17ROCPRIM_400000_NS6detail17trampoline_kernelINS0_14default_configENS1_27scan_by_key_config_selectorIifEEZZNS1_16scan_by_key_implILNS1_25lookback_scan_determinismE0ELb0ES3_N6thrust23THRUST_200600_302600_NS6detail15normal_iteratorINS9_10device_ptrIiEEEENSB_INSC_IfEEEESG_fNS9_4plusIvEENS9_8equal_toIvEEfEE10hipError_tPvRmT2_T3_T4_T5_mT6_T7_P12ihipStream_tbENKUlT_T0_E_clISt17integral_constantIbLb0EES10_IbLb1EEEEDaSW_SX_EUlSW_E_NS1_11comp_targetILNS1_3genE4ELNS1_11target_archE910ELNS1_3gpuE8ELNS1_3repE0EEENS1_30default_config_static_selectorELNS0_4arch9wavefront6targetE0EEEvT1_
	.globl	_ZN7rocprim17ROCPRIM_400000_NS6detail17trampoline_kernelINS0_14default_configENS1_27scan_by_key_config_selectorIifEEZZNS1_16scan_by_key_implILNS1_25lookback_scan_determinismE0ELb0ES3_N6thrust23THRUST_200600_302600_NS6detail15normal_iteratorINS9_10device_ptrIiEEEENSB_INSC_IfEEEESG_fNS9_4plusIvEENS9_8equal_toIvEEfEE10hipError_tPvRmT2_T3_T4_T5_mT6_T7_P12ihipStream_tbENKUlT_T0_E_clISt17integral_constantIbLb0EES10_IbLb1EEEEDaSW_SX_EUlSW_E_NS1_11comp_targetILNS1_3genE4ELNS1_11target_archE910ELNS1_3gpuE8ELNS1_3repE0EEENS1_30default_config_static_selectorELNS0_4arch9wavefront6targetE0EEEvT1_
	.p2align	8
	.type	_ZN7rocprim17ROCPRIM_400000_NS6detail17trampoline_kernelINS0_14default_configENS1_27scan_by_key_config_selectorIifEEZZNS1_16scan_by_key_implILNS1_25lookback_scan_determinismE0ELb0ES3_N6thrust23THRUST_200600_302600_NS6detail15normal_iteratorINS9_10device_ptrIiEEEENSB_INSC_IfEEEESG_fNS9_4plusIvEENS9_8equal_toIvEEfEE10hipError_tPvRmT2_T3_T4_T5_mT6_T7_P12ihipStream_tbENKUlT_T0_E_clISt17integral_constantIbLb0EES10_IbLb1EEEEDaSW_SX_EUlSW_E_NS1_11comp_targetILNS1_3genE4ELNS1_11target_archE910ELNS1_3gpuE8ELNS1_3repE0EEENS1_30default_config_static_selectorELNS0_4arch9wavefront6targetE0EEEvT1_,@function
_ZN7rocprim17ROCPRIM_400000_NS6detail17trampoline_kernelINS0_14default_configENS1_27scan_by_key_config_selectorIifEEZZNS1_16scan_by_key_implILNS1_25lookback_scan_determinismE0ELb0ES3_N6thrust23THRUST_200600_302600_NS6detail15normal_iteratorINS9_10device_ptrIiEEEENSB_INSC_IfEEEESG_fNS9_4plusIvEENS9_8equal_toIvEEfEE10hipError_tPvRmT2_T3_T4_T5_mT6_T7_P12ihipStream_tbENKUlT_T0_E_clISt17integral_constantIbLb0EES10_IbLb1EEEEDaSW_SX_EUlSW_E_NS1_11comp_targetILNS1_3genE4ELNS1_11target_archE910ELNS1_3gpuE8ELNS1_3repE0EEENS1_30default_config_static_selectorELNS0_4arch9wavefront6targetE0EEEvT1_: ; @_ZN7rocprim17ROCPRIM_400000_NS6detail17trampoline_kernelINS0_14default_configENS1_27scan_by_key_config_selectorIifEEZZNS1_16scan_by_key_implILNS1_25lookback_scan_determinismE0ELb0ES3_N6thrust23THRUST_200600_302600_NS6detail15normal_iteratorINS9_10device_ptrIiEEEENSB_INSC_IfEEEESG_fNS9_4plusIvEENS9_8equal_toIvEEfEE10hipError_tPvRmT2_T3_T4_T5_mT6_T7_P12ihipStream_tbENKUlT_T0_E_clISt17integral_constantIbLb0EES10_IbLb1EEEEDaSW_SX_EUlSW_E_NS1_11comp_targetILNS1_3genE4ELNS1_11target_archE910ELNS1_3gpuE8ELNS1_3repE0EEENS1_30default_config_static_selectorELNS0_4arch9wavefront6targetE0EEEvT1_
; %bb.0:
	.section	.rodata,"a",@progbits
	.p2align	6, 0x0
	.amdhsa_kernel _ZN7rocprim17ROCPRIM_400000_NS6detail17trampoline_kernelINS0_14default_configENS1_27scan_by_key_config_selectorIifEEZZNS1_16scan_by_key_implILNS1_25lookback_scan_determinismE0ELb0ES3_N6thrust23THRUST_200600_302600_NS6detail15normal_iteratorINS9_10device_ptrIiEEEENSB_INSC_IfEEEESG_fNS9_4plusIvEENS9_8equal_toIvEEfEE10hipError_tPvRmT2_T3_T4_T5_mT6_T7_P12ihipStream_tbENKUlT_T0_E_clISt17integral_constantIbLb0EES10_IbLb1EEEEDaSW_SX_EUlSW_E_NS1_11comp_targetILNS1_3genE4ELNS1_11target_archE910ELNS1_3gpuE8ELNS1_3repE0EEENS1_30default_config_static_selectorELNS0_4arch9wavefront6targetE0EEEvT1_
		.amdhsa_group_segment_fixed_size 0
		.amdhsa_private_segment_fixed_size 0
		.amdhsa_kernarg_size 112
		.amdhsa_user_sgpr_count 2
		.amdhsa_user_sgpr_dispatch_ptr 0
		.amdhsa_user_sgpr_queue_ptr 0
		.amdhsa_user_sgpr_kernarg_segment_ptr 1
		.amdhsa_user_sgpr_dispatch_id 0
		.amdhsa_user_sgpr_kernarg_preload_length 0
		.amdhsa_user_sgpr_kernarg_preload_offset 0
		.amdhsa_user_sgpr_private_segment_size 0
		.amdhsa_wavefront_size32 1
		.amdhsa_uses_dynamic_stack 0
		.amdhsa_enable_private_segment 0
		.amdhsa_system_sgpr_workgroup_id_x 1
		.amdhsa_system_sgpr_workgroup_id_y 0
		.amdhsa_system_sgpr_workgroup_id_z 0
		.amdhsa_system_sgpr_workgroup_info 0
		.amdhsa_system_vgpr_workitem_id 0
		.amdhsa_next_free_vgpr 1
		.amdhsa_next_free_sgpr 1
		.amdhsa_named_barrier_count 0
		.amdhsa_reserve_vcc 0
		.amdhsa_float_round_mode_32 0
		.amdhsa_float_round_mode_16_64 0
		.amdhsa_float_denorm_mode_32 3
		.amdhsa_float_denorm_mode_16_64 3
		.amdhsa_fp16_overflow 0
		.amdhsa_memory_ordered 1
		.amdhsa_forward_progress 1
		.amdhsa_inst_pref_size 0
		.amdhsa_round_robin_scheduling 0
		.amdhsa_exception_fp_ieee_invalid_op 0
		.amdhsa_exception_fp_denorm_src 0
		.amdhsa_exception_fp_ieee_div_zero 0
		.amdhsa_exception_fp_ieee_overflow 0
		.amdhsa_exception_fp_ieee_underflow 0
		.amdhsa_exception_fp_ieee_inexact 0
		.amdhsa_exception_int_div_zero 0
	.end_amdhsa_kernel
	.section	.text._ZN7rocprim17ROCPRIM_400000_NS6detail17trampoline_kernelINS0_14default_configENS1_27scan_by_key_config_selectorIifEEZZNS1_16scan_by_key_implILNS1_25lookback_scan_determinismE0ELb0ES3_N6thrust23THRUST_200600_302600_NS6detail15normal_iteratorINS9_10device_ptrIiEEEENSB_INSC_IfEEEESG_fNS9_4plusIvEENS9_8equal_toIvEEfEE10hipError_tPvRmT2_T3_T4_T5_mT6_T7_P12ihipStream_tbENKUlT_T0_E_clISt17integral_constantIbLb0EES10_IbLb1EEEEDaSW_SX_EUlSW_E_NS1_11comp_targetILNS1_3genE4ELNS1_11target_archE910ELNS1_3gpuE8ELNS1_3repE0EEENS1_30default_config_static_selectorELNS0_4arch9wavefront6targetE0EEEvT1_,"axG",@progbits,_ZN7rocprim17ROCPRIM_400000_NS6detail17trampoline_kernelINS0_14default_configENS1_27scan_by_key_config_selectorIifEEZZNS1_16scan_by_key_implILNS1_25lookback_scan_determinismE0ELb0ES3_N6thrust23THRUST_200600_302600_NS6detail15normal_iteratorINS9_10device_ptrIiEEEENSB_INSC_IfEEEESG_fNS9_4plusIvEENS9_8equal_toIvEEfEE10hipError_tPvRmT2_T3_T4_T5_mT6_T7_P12ihipStream_tbENKUlT_T0_E_clISt17integral_constantIbLb0EES10_IbLb1EEEEDaSW_SX_EUlSW_E_NS1_11comp_targetILNS1_3genE4ELNS1_11target_archE910ELNS1_3gpuE8ELNS1_3repE0EEENS1_30default_config_static_selectorELNS0_4arch9wavefront6targetE0EEEvT1_,comdat
.Lfunc_end1166:
	.size	_ZN7rocprim17ROCPRIM_400000_NS6detail17trampoline_kernelINS0_14default_configENS1_27scan_by_key_config_selectorIifEEZZNS1_16scan_by_key_implILNS1_25lookback_scan_determinismE0ELb0ES3_N6thrust23THRUST_200600_302600_NS6detail15normal_iteratorINS9_10device_ptrIiEEEENSB_INSC_IfEEEESG_fNS9_4plusIvEENS9_8equal_toIvEEfEE10hipError_tPvRmT2_T3_T4_T5_mT6_T7_P12ihipStream_tbENKUlT_T0_E_clISt17integral_constantIbLb0EES10_IbLb1EEEEDaSW_SX_EUlSW_E_NS1_11comp_targetILNS1_3genE4ELNS1_11target_archE910ELNS1_3gpuE8ELNS1_3repE0EEENS1_30default_config_static_selectorELNS0_4arch9wavefront6targetE0EEEvT1_, .Lfunc_end1166-_ZN7rocprim17ROCPRIM_400000_NS6detail17trampoline_kernelINS0_14default_configENS1_27scan_by_key_config_selectorIifEEZZNS1_16scan_by_key_implILNS1_25lookback_scan_determinismE0ELb0ES3_N6thrust23THRUST_200600_302600_NS6detail15normal_iteratorINS9_10device_ptrIiEEEENSB_INSC_IfEEEESG_fNS9_4plusIvEENS9_8equal_toIvEEfEE10hipError_tPvRmT2_T3_T4_T5_mT6_T7_P12ihipStream_tbENKUlT_T0_E_clISt17integral_constantIbLb0EES10_IbLb1EEEEDaSW_SX_EUlSW_E_NS1_11comp_targetILNS1_3genE4ELNS1_11target_archE910ELNS1_3gpuE8ELNS1_3repE0EEENS1_30default_config_static_selectorELNS0_4arch9wavefront6targetE0EEEvT1_
                                        ; -- End function
	.set _ZN7rocprim17ROCPRIM_400000_NS6detail17trampoline_kernelINS0_14default_configENS1_27scan_by_key_config_selectorIifEEZZNS1_16scan_by_key_implILNS1_25lookback_scan_determinismE0ELb0ES3_N6thrust23THRUST_200600_302600_NS6detail15normal_iteratorINS9_10device_ptrIiEEEENSB_INSC_IfEEEESG_fNS9_4plusIvEENS9_8equal_toIvEEfEE10hipError_tPvRmT2_T3_T4_T5_mT6_T7_P12ihipStream_tbENKUlT_T0_E_clISt17integral_constantIbLb0EES10_IbLb1EEEEDaSW_SX_EUlSW_E_NS1_11comp_targetILNS1_3genE4ELNS1_11target_archE910ELNS1_3gpuE8ELNS1_3repE0EEENS1_30default_config_static_selectorELNS0_4arch9wavefront6targetE0EEEvT1_.num_vgpr, 0
	.set _ZN7rocprim17ROCPRIM_400000_NS6detail17trampoline_kernelINS0_14default_configENS1_27scan_by_key_config_selectorIifEEZZNS1_16scan_by_key_implILNS1_25lookback_scan_determinismE0ELb0ES3_N6thrust23THRUST_200600_302600_NS6detail15normal_iteratorINS9_10device_ptrIiEEEENSB_INSC_IfEEEESG_fNS9_4plusIvEENS9_8equal_toIvEEfEE10hipError_tPvRmT2_T3_T4_T5_mT6_T7_P12ihipStream_tbENKUlT_T0_E_clISt17integral_constantIbLb0EES10_IbLb1EEEEDaSW_SX_EUlSW_E_NS1_11comp_targetILNS1_3genE4ELNS1_11target_archE910ELNS1_3gpuE8ELNS1_3repE0EEENS1_30default_config_static_selectorELNS0_4arch9wavefront6targetE0EEEvT1_.num_agpr, 0
	.set _ZN7rocprim17ROCPRIM_400000_NS6detail17trampoline_kernelINS0_14default_configENS1_27scan_by_key_config_selectorIifEEZZNS1_16scan_by_key_implILNS1_25lookback_scan_determinismE0ELb0ES3_N6thrust23THRUST_200600_302600_NS6detail15normal_iteratorINS9_10device_ptrIiEEEENSB_INSC_IfEEEESG_fNS9_4plusIvEENS9_8equal_toIvEEfEE10hipError_tPvRmT2_T3_T4_T5_mT6_T7_P12ihipStream_tbENKUlT_T0_E_clISt17integral_constantIbLb0EES10_IbLb1EEEEDaSW_SX_EUlSW_E_NS1_11comp_targetILNS1_3genE4ELNS1_11target_archE910ELNS1_3gpuE8ELNS1_3repE0EEENS1_30default_config_static_selectorELNS0_4arch9wavefront6targetE0EEEvT1_.numbered_sgpr, 0
	.set _ZN7rocprim17ROCPRIM_400000_NS6detail17trampoline_kernelINS0_14default_configENS1_27scan_by_key_config_selectorIifEEZZNS1_16scan_by_key_implILNS1_25lookback_scan_determinismE0ELb0ES3_N6thrust23THRUST_200600_302600_NS6detail15normal_iteratorINS9_10device_ptrIiEEEENSB_INSC_IfEEEESG_fNS9_4plusIvEENS9_8equal_toIvEEfEE10hipError_tPvRmT2_T3_T4_T5_mT6_T7_P12ihipStream_tbENKUlT_T0_E_clISt17integral_constantIbLb0EES10_IbLb1EEEEDaSW_SX_EUlSW_E_NS1_11comp_targetILNS1_3genE4ELNS1_11target_archE910ELNS1_3gpuE8ELNS1_3repE0EEENS1_30default_config_static_selectorELNS0_4arch9wavefront6targetE0EEEvT1_.num_named_barrier, 0
	.set _ZN7rocprim17ROCPRIM_400000_NS6detail17trampoline_kernelINS0_14default_configENS1_27scan_by_key_config_selectorIifEEZZNS1_16scan_by_key_implILNS1_25lookback_scan_determinismE0ELb0ES3_N6thrust23THRUST_200600_302600_NS6detail15normal_iteratorINS9_10device_ptrIiEEEENSB_INSC_IfEEEESG_fNS9_4plusIvEENS9_8equal_toIvEEfEE10hipError_tPvRmT2_T3_T4_T5_mT6_T7_P12ihipStream_tbENKUlT_T0_E_clISt17integral_constantIbLb0EES10_IbLb1EEEEDaSW_SX_EUlSW_E_NS1_11comp_targetILNS1_3genE4ELNS1_11target_archE910ELNS1_3gpuE8ELNS1_3repE0EEENS1_30default_config_static_selectorELNS0_4arch9wavefront6targetE0EEEvT1_.private_seg_size, 0
	.set _ZN7rocprim17ROCPRIM_400000_NS6detail17trampoline_kernelINS0_14default_configENS1_27scan_by_key_config_selectorIifEEZZNS1_16scan_by_key_implILNS1_25lookback_scan_determinismE0ELb0ES3_N6thrust23THRUST_200600_302600_NS6detail15normal_iteratorINS9_10device_ptrIiEEEENSB_INSC_IfEEEESG_fNS9_4plusIvEENS9_8equal_toIvEEfEE10hipError_tPvRmT2_T3_T4_T5_mT6_T7_P12ihipStream_tbENKUlT_T0_E_clISt17integral_constantIbLb0EES10_IbLb1EEEEDaSW_SX_EUlSW_E_NS1_11comp_targetILNS1_3genE4ELNS1_11target_archE910ELNS1_3gpuE8ELNS1_3repE0EEENS1_30default_config_static_selectorELNS0_4arch9wavefront6targetE0EEEvT1_.uses_vcc, 0
	.set _ZN7rocprim17ROCPRIM_400000_NS6detail17trampoline_kernelINS0_14default_configENS1_27scan_by_key_config_selectorIifEEZZNS1_16scan_by_key_implILNS1_25lookback_scan_determinismE0ELb0ES3_N6thrust23THRUST_200600_302600_NS6detail15normal_iteratorINS9_10device_ptrIiEEEENSB_INSC_IfEEEESG_fNS9_4plusIvEENS9_8equal_toIvEEfEE10hipError_tPvRmT2_T3_T4_T5_mT6_T7_P12ihipStream_tbENKUlT_T0_E_clISt17integral_constantIbLb0EES10_IbLb1EEEEDaSW_SX_EUlSW_E_NS1_11comp_targetILNS1_3genE4ELNS1_11target_archE910ELNS1_3gpuE8ELNS1_3repE0EEENS1_30default_config_static_selectorELNS0_4arch9wavefront6targetE0EEEvT1_.uses_flat_scratch, 0
	.set _ZN7rocprim17ROCPRIM_400000_NS6detail17trampoline_kernelINS0_14default_configENS1_27scan_by_key_config_selectorIifEEZZNS1_16scan_by_key_implILNS1_25lookback_scan_determinismE0ELb0ES3_N6thrust23THRUST_200600_302600_NS6detail15normal_iteratorINS9_10device_ptrIiEEEENSB_INSC_IfEEEESG_fNS9_4plusIvEENS9_8equal_toIvEEfEE10hipError_tPvRmT2_T3_T4_T5_mT6_T7_P12ihipStream_tbENKUlT_T0_E_clISt17integral_constantIbLb0EES10_IbLb1EEEEDaSW_SX_EUlSW_E_NS1_11comp_targetILNS1_3genE4ELNS1_11target_archE910ELNS1_3gpuE8ELNS1_3repE0EEENS1_30default_config_static_selectorELNS0_4arch9wavefront6targetE0EEEvT1_.has_dyn_sized_stack, 0
	.set _ZN7rocprim17ROCPRIM_400000_NS6detail17trampoline_kernelINS0_14default_configENS1_27scan_by_key_config_selectorIifEEZZNS1_16scan_by_key_implILNS1_25lookback_scan_determinismE0ELb0ES3_N6thrust23THRUST_200600_302600_NS6detail15normal_iteratorINS9_10device_ptrIiEEEENSB_INSC_IfEEEESG_fNS9_4plusIvEENS9_8equal_toIvEEfEE10hipError_tPvRmT2_T3_T4_T5_mT6_T7_P12ihipStream_tbENKUlT_T0_E_clISt17integral_constantIbLb0EES10_IbLb1EEEEDaSW_SX_EUlSW_E_NS1_11comp_targetILNS1_3genE4ELNS1_11target_archE910ELNS1_3gpuE8ELNS1_3repE0EEENS1_30default_config_static_selectorELNS0_4arch9wavefront6targetE0EEEvT1_.has_recursion, 0
	.set _ZN7rocprim17ROCPRIM_400000_NS6detail17trampoline_kernelINS0_14default_configENS1_27scan_by_key_config_selectorIifEEZZNS1_16scan_by_key_implILNS1_25lookback_scan_determinismE0ELb0ES3_N6thrust23THRUST_200600_302600_NS6detail15normal_iteratorINS9_10device_ptrIiEEEENSB_INSC_IfEEEESG_fNS9_4plusIvEENS9_8equal_toIvEEfEE10hipError_tPvRmT2_T3_T4_T5_mT6_T7_P12ihipStream_tbENKUlT_T0_E_clISt17integral_constantIbLb0EES10_IbLb1EEEEDaSW_SX_EUlSW_E_NS1_11comp_targetILNS1_3genE4ELNS1_11target_archE910ELNS1_3gpuE8ELNS1_3repE0EEENS1_30default_config_static_selectorELNS0_4arch9wavefront6targetE0EEEvT1_.has_indirect_call, 0
	.section	.AMDGPU.csdata,"",@progbits
; Kernel info:
; codeLenInByte = 0
; TotalNumSgprs: 0
; NumVgprs: 0
; ScratchSize: 0
; MemoryBound: 0
; FloatMode: 240
; IeeeMode: 1
; LDSByteSize: 0 bytes/workgroup (compile time only)
; SGPRBlocks: 0
; VGPRBlocks: 0
; NumSGPRsForWavesPerEU: 1
; NumVGPRsForWavesPerEU: 1
; NamedBarCnt: 0
; Occupancy: 16
; WaveLimiterHint : 0
; COMPUTE_PGM_RSRC2:SCRATCH_EN: 0
; COMPUTE_PGM_RSRC2:USER_SGPR: 2
; COMPUTE_PGM_RSRC2:TRAP_HANDLER: 0
; COMPUTE_PGM_RSRC2:TGID_X_EN: 1
; COMPUTE_PGM_RSRC2:TGID_Y_EN: 0
; COMPUTE_PGM_RSRC2:TGID_Z_EN: 0
; COMPUTE_PGM_RSRC2:TIDIG_COMP_CNT: 0
	.section	.text._ZN7rocprim17ROCPRIM_400000_NS6detail17trampoline_kernelINS0_14default_configENS1_27scan_by_key_config_selectorIifEEZZNS1_16scan_by_key_implILNS1_25lookback_scan_determinismE0ELb0ES3_N6thrust23THRUST_200600_302600_NS6detail15normal_iteratorINS9_10device_ptrIiEEEENSB_INSC_IfEEEESG_fNS9_4plusIvEENS9_8equal_toIvEEfEE10hipError_tPvRmT2_T3_T4_T5_mT6_T7_P12ihipStream_tbENKUlT_T0_E_clISt17integral_constantIbLb0EES10_IbLb1EEEEDaSW_SX_EUlSW_E_NS1_11comp_targetILNS1_3genE3ELNS1_11target_archE908ELNS1_3gpuE7ELNS1_3repE0EEENS1_30default_config_static_selectorELNS0_4arch9wavefront6targetE0EEEvT1_,"axG",@progbits,_ZN7rocprim17ROCPRIM_400000_NS6detail17trampoline_kernelINS0_14default_configENS1_27scan_by_key_config_selectorIifEEZZNS1_16scan_by_key_implILNS1_25lookback_scan_determinismE0ELb0ES3_N6thrust23THRUST_200600_302600_NS6detail15normal_iteratorINS9_10device_ptrIiEEEENSB_INSC_IfEEEESG_fNS9_4plusIvEENS9_8equal_toIvEEfEE10hipError_tPvRmT2_T3_T4_T5_mT6_T7_P12ihipStream_tbENKUlT_T0_E_clISt17integral_constantIbLb0EES10_IbLb1EEEEDaSW_SX_EUlSW_E_NS1_11comp_targetILNS1_3genE3ELNS1_11target_archE908ELNS1_3gpuE7ELNS1_3repE0EEENS1_30default_config_static_selectorELNS0_4arch9wavefront6targetE0EEEvT1_,comdat
	.protected	_ZN7rocprim17ROCPRIM_400000_NS6detail17trampoline_kernelINS0_14default_configENS1_27scan_by_key_config_selectorIifEEZZNS1_16scan_by_key_implILNS1_25lookback_scan_determinismE0ELb0ES3_N6thrust23THRUST_200600_302600_NS6detail15normal_iteratorINS9_10device_ptrIiEEEENSB_INSC_IfEEEESG_fNS9_4plusIvEENS9_8equal_toIvEEfEE10hipError_tPvRmT2_T3_T4_T5_mT6_T7_P12ihipStream_tbENKUlT_T0_E_clISt17integral_constantIbLb0EES10_IbLb1EEEEDaSW_SX_EUlSW_E_NS1_11comp_targetILNS1_3genE3ELNS1_11target_archE908ELNS1_3gpuE7ELNS1_3repE0EEENS1_30default_config_static_selectorELNS0_4arch9wavefront6targetE0EEEvT1_ ; -- Begin function _ZN7rocprim17ROCPRIM_400000_NS6detail17trampoline_kernelINS0_14default_configENS1_27scan_by_key_config_selectorIifEEZZNS1_16scan_by_key_implILNS1_25lookback_scan_determinismE0ELb0ES3_N6thrust23THRUST_200600_302600_NS6detail15normal_iteratorINS9_10device_ptrIiEEEENSB_INSC_IfEEEESG_fNS9_4plusIvEENS9_8equal_toIvEEfEE10hipError_tPvRmT2_T3_T4_T5_mT6_T7_P12ihipStream_tbENKUlT_T0_E_clISt17integral_constantIbLb0EES10_IbLb1EEEEDaSW_SX_EUlSW_E_NS1_11comp_targetILNS1_3genE3ELNS1_11target_archE908ELNS1_3gpuE7ELNS1_3repE0EEENS1_30default_config_static_selectorELNS0_4arch9wavefront6targetE0EEEvT1_
	.globl	_ZN7rocprim17ROCPRIM_400000_NS6detail17trampoline_kernelINS0_14default_configENS1_27scan_by_key_config_selectorIifEEZZNS1_16scan_by_key_implILNS1_25lookback_scan_determinismE0ELb0ES3_N6thrust23THRUST_200600_302600_NS6detail15normal_iteratorINS9_10device_ptrIiEEEENSB_INSC_IfEEEESG_fNS9_4plusIvEENS9_8equal_toIvEEfEE10hipError_tPvRmT2_T3_T4_T5_mT6_T7_P12ihipStream_tbENKUlT_T0_E_clISt17integral_constantIbLb0EES10_IbLb1EEEEDaSW_SX_EUlSW_E_NS1_11comp_targetILNS1_3genE3ELNS1_11target_archE908ELNS1_3gpuE7ELNS1_3repE0EEENS1_30default_config_static_selectorELNS0_4arch9wavefront6targetE0EEEvT1_
	.p2align	8
	.type	_ZN7rocprim17ROCPRIM_400000_NS6detail17trampoline_kernelINS0_14default_configENS1_27scan_by_key_config_selectorIifEEZZNS1_16scan_by_key_implILNS1_25lookback_scan_determinismE0ELb0ES3_N6thrust23THRUST_200600_302600_NS6detail15normal_iteratorINS9_10device_ptrIiEEEENSB_INSC_IfEEEESG_fNS9_4plusIvEENS9_8equal_toIvEEfEE10hipError_tPvRmT2_T3_T4_T5_mT6_T7_P12ihipStream_tbENKUlT_T0_E_clISt17integral_constantIbLb0EES10_IbLb1EEEEDaSW_SX_EUlSW_E_NS1_11comp_targetILNS1_3genE3ELNS1_11target_archE908ELNS1_3gpuE7ELNS1_3repE0EEENS1_30default_config_static_selectorELNS0_4arch9wavefront6targetE0EEEvT1_,@function
_ZN7rocprim17ROCPRIM_400000_NS6detail17trampoline_kernelINS0_14default_configENS1_27scan_by_key_config_selectorIifEEZZNS1_16scan_by_key_implILNS1_25lookback_scan_determinismE0ELb0ES3_N6thrust23THRUST_200600_302600_NS6detail15normal_iteratorINS9_10device_ptrIiEEEENSB_INSC_IfEEEESG_fNS9_4plusIvEENS9_8equal_toIvEEfEE10hipError_tPvRmT2_T3_T4_T5_mT6_T7_P12ihipStream_tbENKUlT_T0_E_clISt17integral_constantIbLb0EES10_IbLb1EEEEDaSW_SX_EUlSW_E_NS1_11comp_targetILNS1_3genE3ELNS1_11target_archE908ELNS1_3gpuE7ELNS1_3repE0EEENS1_30default_config_static_selectorELNS0_4arch9wavefront6targetE0EEEvT1_: ; @_ZN7rocprim17ROCPRIM_400000_NS6detail17trampoline_kernelINS0_14default_configENS1_27scan_by_key_config_selectorIifEEZZNS1_16scan_by_key_implILNS1_25lookback_scan_determinismE0ELb0ES3_N6thrust23THRUST_200600_302600_NS6detail15normal_iteratorINS9_10device_ptrIiEEEENSB_INSC_IfEEEESG_fNS9_4plusIvEENS9_8equal_toIvEEfEE10hipError_tPvRmT2_T3_T4_T5_mT6_T7_P12ihipStream_tbENKUlT_T0_E_clISt17integral_constantIbLb0EES10_IbLb1EEEEDaSW_SX_EUlSW_E_NS1_11comp_targetILNS1_3genE3ELNS1_11target_archE908ELNS1_3gpuE7ELNS1_3repE0EEENS1_30default_config_static_selectorELNS0_4arch9wavefront6targetE0EEEvT1_
; %bb.0:
	.section	.rodata,"a",@progbits
	.p2align	6, 0x0
	.amdhsa_kernel _ZN7rocprim17ROCPRIM_400000_NS6detail17trampoline_kernelINS0_14default_configENS1_27scan_by_key_config_selectorIifEEZZNS1_16scan_by_key_implILNS1_25lookback_scan_determinismE0ELb0ES3_N6thrust23THRUST_200600_302600_NS6detail15normal_iteratorINS9_10device_ptrIiEEEENSB_INSC_IfEEEESG_fNS9_4plusIvEENS9_8equal_toIvEEfEE10hipError_tPvRmT2_T3_T4_T5_mT6_T7_P12ihipStream_tbENKUlT_T0_E_clISt17integral_constantIbLb0EES10_IbLb1EEEEDaSW_SX_EUlSW_E_NS1_11comp_targetILNS1_3genE3ELNS1_11target_archE908ELNS1_3gpuE7ELNS1_3repE0EEENS1_30default_config_static_selectorELNS0_4arch9wavefront6targetE0EEEvT1_
		.amdhsa_group_segment_fixed_size 0
		.amdhsa_private_segment_fixed_size 0
		.amdhsa_kernarg_size 112
		.amdhsa_user_sgpr_count 2
		.amdhsa_user_sgpr_dispatch_ptr 0
		.amdhsa_user_sgpr_queue_ptr 0
		.amdhsa_user_sgpr_kernarg_segment_ptr 1
		.amdhsa_user_sgpr_dispatch_id 0
		.amdhsa_user_sgpr_kernarg_preload_length 0
		.amdhsa_user_sgpr_kernarg_preload_offset 0
		.amdhsa_user_sgpr_private_segment_size 0
		.amdhsa_wavefront_size32 1
		.amdhsa_uses_dynamic_stack 0
		.amdhsa_enable_private_segment 0
		.amdhsa_system_sgpr_workgroup_id_x 1
		.amdhsa_system_sgpr_workgroup_id_y 0
		.amdhsa_system_sgpr_workgroup_id_z 0
		.amdhsa_system_sgpr_workgroup_info 0
		.amdhsa_system_vgpr_workitem_id 0
		.amdhsa_next_free_vgpr 1
		.amdhsa_next_free_sgpr 1
		.amdhsa_named_barrier_count 0
		.amdhsa_reserve_vcc 0
		.amdhsa_float_round_mode_32 0
		.amdhsa_float_round_mode_16_64 0
		.amdhsa_float_denorm_mode_32 3
		.amdhsa_float_denorm_mode_16_64 3
		.amdhsa_fp16_overflow 0
		.amdhsa_memory_ordered 1
		.amdhsa_forward_progress 1
		.amdhsa_inst_pref_size 0
		.amdhsa_round_robin_scheduling 0
		.amdhsa_exception_fp_ieee_invalid_op 0
		.amdhsa_exception_fp_denorm_src 0
		.amdhsa_exception_fp_ieee_div_zero 0
		.amdhsa_exception_fp_ieee_overflow 0
		.amdhsa_exception_fp_ieee_underflow 0
		.amdhsa_exception_fp_ieee_inexact 0
		.amdhsa_exception_int_div_zero 0
	.end_amdhsa_kernel
	.section	.text._ZN7rocprim17ROCPRIM_400000_NS6detail17trampoline_kernelINS0_14default_configENS1_27scan_by_key_config_selectorIifEEZZNS1_16scan_by_key_implILNS1_25lookback_scan_determinismE0ELb0ES3_N6thrust23THRUST_200600_302600_NS6detail15normal_iteratorINS9_10device_ptrIiEEEENSB_INSC_IfEEEESG_fNS9_4plusIvEENS9_8equal_toIvEEfEE10hipError_tPvRmT2_T3_T4_T5_mT6_T7_P12ihipStream_tbENKUlT_T0_E_clISt17integral_constantIbLb0EES10_IbLb1EEEEDaSW_SX_EUlSW_E_NS1_11comp_targetILNS1_3genE3ELNS1_11target_archE908ELNS1_3gpuE7ELNS1_3repE0EEENS1_30default_config_static_selectorELNS0_4arch9wavefront6targetE0EEEvT1_,"axG",@progbits,_ZN7rocprim17ROCPRIM_400000_NS6detail17trampoline_kernelINS0_14default_configENS1_27scan_by_key_config_selectorIifEEZZNS1_16scan_by_key_implILNS1_25lookback_scan_determinismE0ELb0ES3_N6thrust23THRUST_200600_302600_NS6detail15normal_iteratorINS9_10device_ptrIiEEEENSB_INSC_IfEEEESG_fNS9_4plusIvEENS9_8equal_toIvEEfEE10hipError_tPvRmT2_T3_T4_T5_mT6_T7_P12ihipStream_tbENKUlT_T0_E_clISt17integral_constantIbLb0EES10_IbLb1EEEEDaSW_SX_EUlSW_E_NS1_11comp_targetILNS1_3genE3ELNS1_11target_archE908ELNS1_3gpuE7ELNS1_3repE0EEENS1_30default_config_static_selectorELNS0_4arch9wavefront6targetE0EEEvT1_,comdat
.Lfunc_end1167:
	.size	_ZN7rocprim17ROCPRIM_400000_NS6detail17trampoline_kernelINS0_14default_configENS1_27scan_by_key_config_selectorIifEEZZNS1_16scan_by_key_implILNS1_25lookback_scan_determinismE0ELb0ES3_N6thrust23THRUST_200600_302600_NS6detail15normal_iteratorINS9_10device_ptrIiEEEENSB_INSC_IfEEEESG_fNS9_4plusIvEENS9_8equal_toIvEEfEE10hipError_tPvRmT2_T3_T4_T5_mT6_T7_P12ihipStream_tbENKUlT_T0_E_clISt17integral_constantIbLb0EES10_IbLb1EEEEDaSW_SX_EUlSW_E_NS1_11comp_targetILNS1_3genE3ELNS1_11target_archE908ELNS1_3gpuE7ELNS1_3repE0EEENS1_30default_config_static_selectorELNS0_4arch9wavefront6targetE0EEEvT1_, .Lfunc_end1167-_ZN7rocprim17ROCPRIM_400000_NS6detail17trampoline_kernelINS0_14default_configENS1_27scan_by_key_config_selectorIifEEZZNS1_16scan_by_key_implILNS1_25lookback_scan_determinismE0ELb0ES3_N6thrust23THRUST_200600_302600_NS6detail15normal_iteratorINS9_10device_ptrIiEEEENSB_INSC_IfEEEESG_fNS9_4plusIvEENS9_8equal_toIvEEfEE10hipError_tPvRmT2_T3_T4_T5_mT6_T7_P12ihipStream_tbENKUlT_T0_E_clISt17integral_constantIbLb0EES10_IbLb1EEEEDaSW_SX_EUlSW_E_NS1_11comp_targetILNS1_3genE3ELNS1_11target_archE908ELNS1_3gpuE7ELNS1_3repE0EEENS1_30default_config_static_selectorELNS0_4arch9wavefront6targetE0EEEvT1_
                                        ; -- End function
	.set _ZN7rocprim17ROCPRIM_400000_NS6detail17trampoline_kernelINS0_14default_configENS1_27scan_by_key_config_selectorIifEEZZNS1_16scan_by_key_implILNS1_25lookback_scan_determinismE0ELb0ES3_N6thrust23THRUST_200600_302600_NS6detail15normal_iteratorINS9_10device_ptrIiEEEENSB_INSC_IfEEEESG_fNS9_4plusIvEENS9_8equal_toIvEEfEE10hipError_tPvRmT2_T3_T4_T5_mT6_T7_P12ihipStream_tbENKUlT_T0_E_clISt17integral_constantIbLb0EES10_IbLb1EEEEDaSW_SX_EUlSW_E_NS1_11comp_targetILNS1_3genE3ELNS1_11target_archE908ELNS1_3gpuE7ELNS1_3repE0EEENS1_30default_config_static_selectorELNS0_4arch9wavefront6targetE0EEEvT1_.num_vgpr, 0
	.set _ZN7rocprim17ROCPRIM_400000_NS6detail17trampoline_kernelINS0_14default_configENS1_27scan_by_key_config_selectorIifEEZZNS1_16scan_by_key_implILNS1_25lookback_scan_determinismE0ELb0ES3_N6thrust23THRUST_200600_302600_NS6detail15normal_iteratorINS9_10device_ptrIiEEEENSB_INSC_IfEEEESG_fNS9_4plusIvEENS9_8equal_toIvEEfEE10hipError_tPvRmT2_T3_T4_T5_mT6_T7_P12ihipStream_tbENKUlT_T0_E_clISt17integral_constantIbLb0EES10_IbLb1EEEEDaSW_SX_EUlSW_E_NS1_11comp_targetILNS1_3genE3ELNS1_11target_archE908ELNS1_3gpuE7ELNS1_3repE0EEENS1_30default_config_static_selectorELNS0_4arch9wavefront6targetE0EEEvT1_.num_agpr, 0
	.set _ZN7rocprim17ROCPRIM_400000_NS6detail17trampoline_kernelINS0_14default_configENS1_27scan_by_key_config_selectorIifEEZZNS1_16scan_by_key_implILNS1_25lookback_scan_determinismE0ELb0ES3_N6thrust23THRUST_200600_302600_NS6detail15normal_iteratorINS9_10device_ptrIiEEEENSB_INSC_IfEEEESG_fNS9_4plusIvEENS9_8equal_toIvEEfEE10hipError_tPvRmT2_T3_T4_T5_mT6_T7_P12ihipStream_tbENKUlT_T0_E_clISt17integral_constantIbLb0EES10_IbLb1EEEEDaSW_SX_EUlSW_E_NS1_11comp_targetILNS1_3genE3ELNS1_11target_archE908ELNS1_3gpuE7ELNS1_3repE0EEENS1_30default_config_static_selectorELNS0_4arch9wavefront6targetE0EEEvT1_.numbered_sgpr, 0
	.set _ZN7rocprim17ROCPRIM_400000_NS6detail17trampoline_kernelINS0_14default_configENS1_27scan_by_key_config_selectorIifEEZZNS1_16scan_by_key_implILNS1_25lookback_scan_determinismE0ELb0ES3_N6thrust23THRUST_200600_302600_NS6detail15normal_iteratorINS9_10device_ptrIiEEEENSB_INSC_IfEEEESG_fNS9_4plusIvEENS9_8equal_toIvEEfEE10hipError_tPvRmT2_T3_T4_T5_mT6_T7_P12ihipStream_tbENKUlT_T0_E_clISt17integral_constantIbLb0EES10_IbLb1EEEEDaSW_SX_EUlSW_E_NS1_11comp_targetILNS1_3genE3ELNS1_11target_archE908ELNS1_3gpuE7ELNS1_3repE0EEENS1_30default_config_static_selectorELNS0_4arch9wavefront6targetE0EEEvT1_.num_named_barrier, 0
	.set _ZN7rocprim17ROCPRIM_400000_NS6detail17trampoline_kernelINS0_14default_configENS1_27scan_by_key_config_selectorIifEEZZNS1_16scan_by_key_implILNS1_25lookback_scan_determinismE0ELb0ES3_N6thrust23THRUST_200600_302600_NS6detail15normal_iteratorINS9_10device_ptrIiEEEENSB_INSC_IfEEEESG_fNS9_4plusIvEENS9_8equal_toIvEEfEE10hipError_tPvRmT2_T3_T4_T5_mT6_T7_P12ihipStream_tbENKUlT_T0_E_clISt17integral_constantIbLb0EES10_IbLb1EEEEDaSW_SX_EUlSW_E_NS1_11comp_targetILNS1_3genE3ELNS1_11target_archE908ELNS1_3gpuE7ELNS1_3repE0EEENS1_30default_config_static_selectorELNS0_4arch9wavefront6targetE0EEEvT1_.private_seg_size, 0
	.set _ZN7rocprim17ROCPRIM_400000_NS6detail17trampoline_kernelINS0_14default_configENS1_27scan_by_key_config_selectorIifEEZZNS1_16scan_by_key_implILNS1_25lookback_scan_determinismE0ELb0ES3_N6thrust23THRUST_200600_302600_NS6detail15normal_iteratorINS9_10device_ptrIiEEEENSB_INSC_IfEEEESG_fNS9_4plusIvEENS9_8equal_toIvEEfEE10hipError_tPvRmT2_T3_T4_T5_mT6_T7_P12ihipStream_tbENKUlT_T0_E_clISt17integral_constantIbLb0EES10_IbLb1EEEEDaSW_SX_EUlSW_E_NS1_11comp_targetILNS1_3genE3ELNS1_11target_archE908ELNS1_3gpuE7ELNS1_3repE0EEENS1_30default_config_static_selectorELNS0_4arch9wavefront6targetE0EEEvT1_.uses_vcc, 0
	.set _ZN7rocprim17ROCPRIM_400000_NS6detail17trampoline_kernelINS0_14default_configENS1_27scan_by_key_config_selectorIifEEZZNS1_16scan_by_key_implILNS1_25lookback_scan_determinismE0ELb0ES3_N6thrust23THRUST_200600_302600_NS6detail15normal_iteratorINS9_10device_ptrIiEEEENSB_INSC_IfEEEESG_fNS9_4plusIvEENS9_8equal_toIvEEfEE10hipError_tPvRmT2_T3_T4_T5_mT6_T7_P12ihipStream_tbENKUlT_T0_E_clISt17integral_constantIbLb0EES10_IbLb1EEEEDaSW_SX_EUlSW_E_NS1_11comp_targetILNS1_3genE3ELNS1_11target_archE908ELNS1_3gpuE7ELNS1_3repE0EEENS1_30default_config_static_selectorELNS0_4arch9wavefront6targetE0EEEvT1_.uses_flat_scratch, 0
	.set _ZN7rocprim17ROCPRIM_400000_NS6detail17trampoline_kernelINS0_14default_configENS1_27scan_by_key_config_selectorIifEEZZNS1_16scan_by_key_implILNS1_25lookback_scan_determinismE0ELb0ES3_N6thrust23THRUST_200600_302600_NS6detail15normal_iteratorINS9_10device_ptrIiEEEENSB_INSC_IfEEEESG_fNS9_4plusIvEENS9_8equal_toIvEEfEE10hipError_tPvRmT2_T3_T4_T5_mT6_T7_P12ihipStream_tbENKUlT_T0_E_clISt17integral_constantIbLb0EES10_IbLb1EEEEDaSW_SX_EUlSW_E_NS1_11comp_targetILNS1_3genE3ELNS1_11target_archE908ELNS1_3gpuE7ELNS1_3repE0EEENS1_30default_config_static_selectorELNS0_4arch9wavefront6targetE0EEEvT1_.has_dyn_sized_stack, 0
	.set _ZN7rocprim17ROCPRIM_400000_NS6detail17trampoline_kernelINS0_14default_configENS1_27scan_by_key_config_selectorIifEEZZNS1_16scan_by_key_implILNS1_25lookback_scan_determinismE0ELb0ES3_N6thrust23THRUST_200600_302600_NS6detail15normal_iteratorINS9_10device_ptrIiEEEENSB_INSC_IfEEEESG_fNS9_4plusIvEENS9_8equal_toIvEEfEE10hipError_tPvRmT2_T3_T4_T5_mT6_T7_P12ihipStream_tbENKUlT_T0_E_clISt17integral_constantIbLb0EES10_IbLb1EEEEDaSW_SX_EUlSW_E_NS1_11comp_targetILNS1_3genE3ELNS1_11target_archE908ELNS1_3gpuE7ELNS1_3repE0EEENS1_30default_config_static_selectorELNS0_4arch9wavefront6targetE0EEEvT1_.has_recursion, 0
	.set _ZN7rocprim17ROCPRIM_400000_NS6detail17trampoline_kernelINS0_14default_configENS1_27scan_by_key_config_selectorIifEEZZNS1_16scan_by_key_implILNS1_25lookback_scan_determinismE0ELb0ES3_N6thrust23THRUST_200600_302600_NS6detail15normal_iteratorINS9_10device_ptrIiEEEENSB_INSC_IfEEEESG_fNS9_4plusIvEENS9_8equal_toIvEEfEE10hipError_tPvRmT2_T3_T4_T5_mT6_T7_P12ihipStream_tbENKUlT_T0_E_clISt17integral_constantIbLb0EES10_IbLb1EEEEDaSW_SX_EUlSW_E_NS1_11comp_targetILNS1_3genE3ELNS1_11target_archE908ELNS1_3gpuE7ELNS1_3repE0EEENS1_30default_config_static_selectorELNS0_4arch9wavefront6targetE0EEEvT1_.has_indirect_call, 0
	.section	.AMDGPU.csdata,"",@progbits
; Kernel info:
; codeLenInByte = 0
; TotalNumSgprs: 0
; NumVgprs: 0
; ScratchSize: 0
; MemoryBound: 0
; FloatMode: 240
; IeeeMode: 1
; LDSByteSize: 0 bytes/workgroup (compile time only)
; SGPRBlocks: 0
; VGPRBlocks: 0
; NumSGPRsForWavesPerEU: 1
; NumVGPRsForWavesPerEU: 1
; NamedBarCnt: 0
; Occupancy: 16
; WaveLimiterHint : 0
; COMPUTE_PGM_RSRC2:SCRATCH_EN: 0
; COMPUTE_PGM_RSRC2:USER_SGPR: 2
; COMPUTE_PGM_RSRC2:TRAP_HANDLER: 0
; COMPUTE_PGM_RSRC2:TGID_X_EN: 1
; COMPUTE_PGM_RSRC2:TGID_Y_EN: 0
; COMPUTE_PGM_RSRC2:TGID_Z_EN: 0
; COMPUTE_PGM_RSRC2:TIDIG_COMP_CNT: 0
	.section	.text._ZN7rocprim17ROCPRIM_400000_NS6detail17trampoline_kernelINS0_14default_configENS1_27scan_by_key_config_selectorIifEEZZNS1_16scan_by_key_implILNS1_25lookback_scan_determinismE0ELb0ES3_N6thrust23THRUST_200600_302600_NS6detail15normal_iteratorINS9_10device_ptrIiEEEENSB_INSC_IfEEEESG_fNS9_4plusIvEENS9_8equal_toIvEEfEE10hipError_tPvRmT2_T3_T4_T5_mT6_T7_P12ihipStream_tbENKUlT_T0_E_clISt17integral_constantIbLb0EES10_IbLb1EEEEDaSW_SX_EUlSW_E_NS1_11comp_targetILNS1_3genE2ELNS1_11target_archE906ELNS1_3gpuE6ELNS1_3repE0EEENS1_30default_config_static_selectorELNS0_4arch9wavefront6targetE0EEEvT1_,"axG",@progbits,_ZN7rocprim17ROCPRIM_400000_NS6detail17trampoline_kernelINS0_14default_configENS1_27scan_by_key_config_selectorIifEEZZNS1_16scan_by_key_implILNS1_25lookback_scan_determinismE0ELb0ES3_N6thrust23THRUST_200600_302600_NS6detail15normal_iteratorINS9_10device_ptrIiEEEENSB_INSC_IfEEEESG_fNS9_4plusIvEENS9_8equal_toIvEEfEE10hipError_tPvRmT2_T3_T4_T5_mT6_T7_P12ihipStream_tbENKUlT_T0_E_clISt17integral_constantIbLb0EES10_IbLb1EEEEDaSW_SX_EUlSW_E_NS1_11comp_targetILNS1_3genE2ELNS1_11target_archE906ELNS1_3gpuE6ELNS1_3repE0EEENS1_30default_config_static_selectorELNS0_4arch9wavefront6targetE0EEEvT1_,comdat
	.protected	_ZN7rocprim17ROCPRIM_400000_NS6detail17trampoline_kernelINS0_14default_configENS1_27scan_by_key_config_selectorIifEEZZNS1_16scan_by_key_implILNS1_25lookback_scan_determinismE0ELb0ES3_N6thrust23THRUST_200600_302600_NS6detail15normal_iteratorINS9_10device_ptrIiEEEENSB_INSC_IfEEEESG_fNS9_4plusIvEENS9_8equal_toIvEEfEE10hipError_tPvRmT2_T3_T4_T5_mT6_T7_P12ihipStream_tbENKUlT_T0_E_clISt17integral_constantIbLb0EES10_IbLb1EEEEDaSW_SX_EUlSW_E_NS1_11comp_targetILNS1_3genE2ELNS1_11target_archE906ELNS1_3gpuE6ELNS1_3repE0EEENS1_30default_config_static_selectorELNS0_4arch9wavefront6targetE0EEEvT1_ ; -- Begin function _ZN7rocprim17ROCPRIM_400000_NS6detail17trampoline_kernelINS0_14default_configENS1_27scan_by_key_config_selectorIifEEZZNS1_16scan_by_key_implILNS1_25lookback_scan_determinismE0ELb0ES3_N6thrust23THRUST_200600_302600_NS6detail15normal_iteratorINS9_10device_ptrIiEEEENSB_INSC_IfEEEESG_fNS9_4plusIvEENS9_8equal_toIvEEfEE10hipError_tPvRmT2_T3_T4_T5_mT6_T7_P12ihipStream_tbENKUlT_T0_E_clISt17integral_constantIbLb0EES10_IbLb1EEEEDaSW_SX_EUlSW_E_NS1_11comp_targetILNS1_3genE2ELNS1_11target_archE906ELNS1_3gpuE6ELNS1_3repE0EEENS1_30default_config_static_selectorELNS0_4arch9wavefront6targetE0EEEvT1_
	.globl	_ZN7rocprim17ROCPRIM_400000_NS6detail17trampoline_kernelINS0_14default_configENS1_27scan_by_key_config_selectorIifEEZZNS1_16scan_by_key_implILNS1_25lookback_scan_determinismE0ELb0ES3_N6thrust23THRUST_200600_302600_NS6detail15normal_iteratorINS9_10device_ptrIiEEEENSB_INSC_IfEEEESG_fNS9_4plusIvEENS9_8equal_toIvEEfEE10hipError_tPvRmT2_T3_T4_T5_mT6_T7_P12ihipStream_tbENKUlT_T0_E_clISt17integral_constantIbLb0EES10_IbLb1EEEEDaSW_SX_EUlSW_E_NS1_11comp_targetILNS1_3genE2ELNS1_11target_archE906ELNS1_3gpuE6ELNS1_3repE0EEENS1_30default_config_static_selectorELNS0_4arch9wavefront6targetE0EEEvT1_
	.p2align	8
	.type	_ZN7rocprim17ROCPRIM_400000_NS6detail17trampoline_kernelINS0_14default_configENS1_27scan_by_key_config_selectorIifEEZZNS1_16scan_by_key_implILNS1_25lookback_scan_determinismE0ELb0ES3_N6thrust23THRUST_200600_302600_NS6detail15normal_iteratorINS9_10device_ptrIiEEEENSB_INSC_IfEEEESG_fNS9_4plusIvEENS9_8equal_toIvEEfEE10hipError_tPvRmT2_T3_T4_T5_mT6_T7_P12ihipStream_tbENKUlT_T0_E_clISt17integral_constantIbLb0EES10_IbLb1EEEEDaSW_SX_EUlSW_E_NS1_11comp_targetILNS1_3genE2ELNS1_11target_archE906ELNS1_3gpuE6ELNS1_3repE0EEENS1_30default_config_static_selectorELNS0_4arch9wavefront6targetE0EEEvT1_,@function
_ZN7rocprim17ROCPRIM_400000_NS6detail17trampoline_kernelINS0_14default_configENS1_27scan_by_key_config_selectorIifEEZZNS1_16scan_by_key_implILNS1_25lookback_scan_determinismE0ELb0ES3_N6thrust23THRUST_200600_302600_NS6detail15normal_iteratorINS9_10device_ptrIiEEEENSB_INSC_IfEEEESG_fNS9_4plusIvEENS9_8equal_toIvEEfEE10hipError_tPvRmT2_T3_T4_T5_mT6_T7_P12ihipStream_tbENKUlT_T0_E_clISt17integral_constantIbLb0EES10_IbLb1EEEEDaSW_SX_EUlSW_E_NS1_11comp_targetILNS1_3genE2ELNS1_11target_archE906ELNS1_3gpuE6ELNS1_3repE0EEENS1_30default_config_static_selectorELNS0_4arch9wavefront6targetE0EEEvT1_: ; @_ZN7rocprim17ROCPRIM_400000_NS6detail17trampoline_kernelINS0_14default_configENS1_27scan_by_key_config_selectorIifEEZZNS1_16scan_by_key_implILNS1_25lookback_scan_determinismE0ELb0ES3_N6thrust23THRUST_200600_302600_NS6detail15normal_iteratorINS9_10device_ptrIiEEEENSB_INSC_IfEEEESG_fNS9_4plusIvEENS9_8equal_toIvEEfEE10hipError_tPvRmT2_T3_T4_T5_mT6_T7_P12ihipStream_tbENKUlT_T0_E_clISt17integral_constantIbLb0EES10_IbLb1EEEEDaSW_SX_EUlSW_E_NS1_11comp_targetILNS1_3genE2ELNS1_11target_archE906ELNS1_3gpuE6ELNS1_3repE0EEENS1_30default_config_static_selectorELNS0_4arch9wavefront6targetE0EEEvT1_
; %bb.0:
	.section	.rodata,"a",@progbits
	.p2align	6, 0x0
	.amdhsa_kernel _ZN7rocprim17ROCPRIM_400000_NS6detail17trampoline_kernelINS0_14default_configENS1_27scan_by_key_config_selectorIifEEZZNS1_16scan_by_key_implILNS1_25lookback_scan_determinismE0ELb0ES3_N6thrust23THRUST_200600_302600_NS6detail15normal_iteratorINS9_10device_ptrIiEEEENSB_INSC_IfEEEESG_fNS9_4plusIvEENS9_8equal_toIvEEfEE10hipError_tPvRmT2_T3_T4_T5_mT6_T7_P12ihipStream_tbENKUlT_T0_E_clISt17integral_constantIbLb0EES10_IbLb1EEEEDaSW_SX_EUlSW_E_NS1_11comp_targetILNS1_3genE2ELNS1_11target_archE906ELNS1_3gpuE6ELNS1_3repE0EEENS1_30default_config_static_selectorELNS0_4arch9wavefront6targetE0EEEvT1_
		.amdhsa_group_segment_fixed_size 0
		.amdhsa_private_segment_fixed_size 0
		.amdhsa_kernarg_size 112
		.amdhsa_user_sgpr_count 2
		.amdhsa_user_sgpr_dispatch_ptr 0
		.amdhsa_user_sgpr_queue_ptr 0
		.amdhsa_user_sgpr_kernarg_segment_ptr 1
		.amdhsa_user_sgpr_dispatch_id 0
		.amdhsa_user_sgpr_kernarg_preload_length 0
		.amdhsa_user_sgpr_kernarg_preload_offset 0
		.amdhsa_user_sgpr_private_segment_size 0
		.amdhsa_wavefront_size32 1
		.amdhsa_uses_dynamic_stack 0
		.amdhsa_enable_private_segment 0
		.amdhsa_system_sgpr_workgroup_id_x 1
		.amdhsa_system_sgpr_workgroup_id_y 0
		.amdhsa_system_sgpr_workgroup_id_z 0
		.amdhsa_system_sgpr_workgroup_info 0
		.amdhsa_system_vgpr_workitem_id 0
		.amdhsa_next_free_vgpr 1
		.amdhsa_next_free_sgpr 1
		.amdhsa_named_barrier_count 0
		.amdhsa_reserve_vcc 0
		.amdhsa_float_round_mode_32 0
		.amdhsa_float_round_mode_16_64 0
		.amdhsa_float_denorm_mode_32 3
		.amdhsa_float_denorm_mode_16_64 3
		.amdhsa_fp16_overflow 0
		.amdhsa_memory_ordered 1
		.amdhsa_forward_progress 1
		.amdhsa_inst_pref_size 0
		.amdhsa_round_robin_scheduling 0
		.amdhsa_exception_fp_ieee_invalid_op 0
		.amdhsa_exception_fp_denorm_src 0
		.amdhsa_exception_fp_ieee_div_zero 0
		.amdhsa_exception_fp_ieee_overflow 0
		.amdhsa_exception_fp_ieee_underflow 0
		.amdhsa_exception_fp_ieee_inexact 0
		.amdhsa_exception_int_div_zero 0
	.end_amdhsa_kernel
	.section	.text._ZN7rocprim17ROCPRIM_400000_NS6detail17trampoline_kernelINS0_14default_configENS1_27scan_by_key_config_selectorIifEEZZNS1_16scan_by_key_implILNS1_25lookback_scan_determinismE0ELb0ES3_N6thrust23THRUST_200600_302600_NS6detail15normal_iteratorINS9_10device_ptrIiEEEENSB_INSC_IfEEEESG_fNS9_4plusIvEENS9_8equal_toIvEEfEE10hipError_tPvRmT2_T3_T4_T5_mT6_T7_P12ihipStream_tbENKUlT_T0_E_clISt17integral_constantIbLb0EES10_IbLb1EEEEDaSW_SX_EUlSW_E_NS1_11comp_targetILNS1_3genE2ELNS1_11target_archE906ELNS1_3gpuE6ELNS1_3repE0EEENS1_30default_config_static_selectorELNS0_4arch9wavefront6targetE0EEEvT1_,"axG",@progbits,_ZN7rocprim17ROCPRIM_400000_NS6detail17trampoline_kernelINS0_14default_configENS1_27scan_by_key_config_selectorIifEEZZNS1_16scan_by_key_implILNS1_25lookback_scan_determinismE0ELb0ES3_N6thrust23THRUST_200600_302600_NS6detail15normal_iteratorINS9_10device_ptrIiEEEENSB_INSC_IfEEEESG_fNS9_4plusIvEENS9_8equal_toIvEEfEE10hipError_tPvRmT2_T3_T4_T5_mT6_T7_P12ihipStream_tbENKUlT_T0_E_clISt17integral_constantIbLb0EES10_IbLb1EEEEDaSW_SX_EUlSW_E_NS1_11comp_targetILNS1_3genE2ELNS1_11target_archE906ELNS1_3gpuE6ELNS1_3repE0EEENS1_30default_config_static_selectorELNS0_4arch9wavefront6targetE0EEEvT1_,comdat
.Lfunc_end1168:
	.size	_ZN7rocprim17ROCPRIM_400000_NS6detail17trampoline_kernelINS0_14default_configENS1_27scan_by_key_config_selectorIifEEZZNS1_16scan_by_key_implILNS1_25lookback_scan_determinismE0ELb0ES3_N6thrust23THRUST_200600_302600_NS6detail15normal_iteratorINS9_10device_ptrIiEEEENSB_INSC_IfEEEESG_fNS9_4plusIvEENS9_8equal_toIvEEfEE10hipError_tPvRmT2_T3_T4_T5_mT6_T7_P12ihipStream_tbENKUlT_T0_E_clISt17integral_constantIbLb0EES10_IbLb1EEEEDaSW_SX_EUlSW_E_NS1_11comp_targetILNS1_3genE2ELNS1_11target_archE906ELNS1_3gpuE6ELNS1_3repE0EEENS1_30default_config_static_selectorELNS0_4arch9wavefront6targetE0EEEvT1_, .Lfunc_end1168-_ZN7rocprim17ROCPRIM_400000_NS6detail17trampoline_kernelINS0_14default_configENS1_27scan_by_key_config_selectorIifEEZZNS1_16scan_by_key_implILNS1_25lookback_scan_determinismE0ELb0ES3_N6thrust23THRUST_200600_302600_NS6detail15normal_iteratorINS9_10device_ptrIiEEEENSB_INSC_IfEEEESG_fNS9_4plusIvEENS9_8equal_toIvEEfEE10hipError_tPvRmT2_T3_T4_T5_mT6_T7_P12ihipStream_tbENKUlT_T0_E_clISt17integral_constantIbLb0EES10_IbLb1EEEEDaSW_SX_EUlSW_E_NS1_11comp_targetILNS1_3genE2ELNS1_11target_archE906ELNS1_3gpuE6ELNS1_3repE0EEENS1_30default_config_static_selectorELNS0_4arch9wavefront6targetE0EEEvT1_
                                        ; -- End function
	.set _ZN7rocprim17ROCPRIM_400000_NS6detail17trampoline_kernelINS0_14default_configENS1_27scan_by_key_config_selectorIifEEZZNS1_16scan_by_key_implILNS1_25lookback_scan_determinismE0ELb0ES3_N6thrust23THRUST_200600_302600_NS6detail15normal_iteratorINS9_10device_ptrIiEEEENSB_INSC_IfEEEESG_fNS9_4plusIvEENS9_8equal_toIvEEfEE10hipError_tPvRmT2_T3_T4_T5_mT6_T7_P12ihipStream_tbENKUlT_T0_E_clISt17integral_constantIbLb0EES10_IbLb1EEEEDaSW_SX_EUlSW_E_NS1_11comp_targetILNS1_3genE2ELNS1_11target_archE906ELNS1_3gpuE6ELNS1_3repE0EEENS1_30default_config_static_selectorELNS0_4arch9wavefront6targetE0EEEvT1_.num_vgpr, 0
	.set _ZN7rocprim17ROCPRIM_400000_NS6detail17trampoline_kernelINS0_14default_configENS1_27scan_by_key_config_selectorIifEEZZNS1_16scan_by_key_implILNS1_25lookback_scan_determinismE0ELb0ES3_N6thrust23THRUST_200600_302600_NS6detail15normal_iteratorINS9_10device_ptrIiEEEENSB_INSC_IfEEEESG_fNS9_4plusIvEENS9_8equal_toIvEEfEE10hipError_tPvRmT2_T3_T4_T5_mT6_T7_P12ihipStream_tbENKUlT_T0_E_clISt17integral_constantIbLb0EES10_IbLb1EEEEDaSW_SX_EUlSW_E_NS1_11comp_targetILNS1_3genE2ELNS1_11target_archE906ELNS1_3gpuE6ELNS1_3repE0EEENS1_30default_config_static_selectorELNS0_4arch9wavefront6targetE0EEEvT1_.num_agpr, 0
	.set _ZN7rocprim17ROCPRIM_400000_NS6detail17trampoline_kernelINS0_14default_configENS1_27scan_by_key_config_selectorIifEEZZNS1_16scan_by_key_implILNS1_25lookback_scan_determinismE0ELb0ES3_N6thrust23THRUST_200600_302600_NS6detail15normal_iteratorINS9_10device_ptrIiEEEENSB_INSC_IfEEEESG_fNS9_4plusIvEENS9_8equal_toIvEEfEE10hipError_tPvRmT2_T3_T4_T5_mT6_T7_P12ihipStream_tbENKUlT_T0_E_clISt17integral_constantIbLb0EES10_IbLb1EEEEDaSW_SX_EUlSW_E_NS1_11comp_targetILNS1_3genE2ELNS1_11target_archE906ELNS1_3gpuE6ELNS1_3repE0EEENS1_30default_config_static_selectorELNS0_4arch9wavefront6targetE0EEEvT1_.numbered_sgpr, 0
	.set _ZN7rocprim17ROCPRIM_400000_NS6detail17trampoline_kernelINS0_14default_configENS1_27scan_by_key_config_selectorIifEEZZNS1_16scan_by_key_implILNS1_25lookback_scan_determinismE0ELb0ES3_N6thrust23THRUST_200600_302600_NS6detail15normal_iteratorINS9_10device_ptrIiEEEENSB_INSC_IfEEEESG_fNS9_4plusIvEENS9_8equal_toIvEEfEE10hipError_tPvRmT2_T3_T4_T5_mT6_T7_P12ihipStream_tbENKUlT_T0_E_clISt17integral_constantIbLb0EES10_IbLb1EEEEDaSW_SX_EUlSW_E_NS1_11comp_targetILNS1_3genE2ELNS1_11target_archE906ELNS1_3gpuE6ELNS1_3repE0EEENS1_30default_config_static_selectorELNS0_4arch9wavefront6targetE0EEEvT1_.num_named_barrier, 0
	.set _ZN7rocprim17ROCPRIM_400000_NS6detail17trampoline_kernelINS0_14default_configENS1_27scan_by_key_config_selectorIifEEZZNS1_16scan_by_key_implILNS1_25lookback_scan_determinismE0ELb0ES3_N6thrust23THRUST_200600_302600_NS6detail15normal_iteratorINS9_10device_ptrIiEEEENSB_INSC_IfEEEESG_fNS9_4plusIvEENS9_8equal_toIvEEfEE10hipError_tPvRmT2_T3_T4_T5_mT6_T7_P12ihipStream_tbENKUlT_T0_E_clISt17integral_constantIbLb0EES10_IbLb1EEEEDaSW_SX_EUlSW_E_NS1_11comp_targetILNS1_3genE2ELNS1_11target_archE906ELNS1_3gpuE6ELNS1_3repE0EEENS1_30default_config_static_selectorELNS0_4arch9wavefront6targetE0EEEvT1_.private_seg_size, 0
	.set _ZN7rocprim17ROCPRIM_400000_NS6detail17trampoline_kernelINS0_14default_configENS1_27scan_by_key_config_selectorIifEEZZNS1_16scan_by_key_implILNS1_25lookback_scan_determinismE0ELb0ES3_N6thrust23THRUST_200600_302600_NS6detail15normal_iteratorINS9_10device_ptrIiEEEENSB_INSC_IfEEEESG_fNS9_4plusIvEENS9_8equal_toIvEEfEE10hipError_tPvRmT2_T3_T4_T5_mT6_T7_P12ihipStream_tbENKUlT_T0_E_clISt17integral_constantIbLb0EES10_IbLb1EEEEDaSW_SX_EUlSW_E_NS1_11comp_targetILNS1_3genE2ELNS1_11target_archE906ELNS1_3gpuE6ELNS1_3repE0EEENS1_30default_config_static_selectorELNS0_4arch9wavefront6targetE0EEEvT1_.uses_vcc, 0
	.set _ZN7rocprim17ROCPRIM_400000_NS6detail17trampoline_kernelINS0_14default_configENS1_27scan_by_key_config_selectorIifEEZZNS1_16scan_by_key_implILNS1_25lookback_scan_determinismE0ELb0ES3_N6thrust23THRUST_200600_302600_NS6detail15normal_iteratorINS9_10device_ptrIiEEEENSB_INSC_IfEEEESG_fNS9_4plusIvEENS9_8equal_toIvEEfEE10hipError_tPvRmT2_T3_T4_T5_mT6_T7_P12ihipStream_tbENKUlT_T0_E_clISt17integral_constantIbLb0EES10_IbLb1EEEEDaSW_SX_EUlSW_E_NS1_11comp_targetILNS1_3genE2ELNS1_11target_archE906ELNS1_3gpuE6ELNS1_3repE0EEENS1_30default_config_static_selectorELNS0_4arch9wavefront6targetE0EEEvT1_.uses_flat_scratch, 0
	.set _ZN7rocprim17ROCPRIM_400000_NS6detail17trampoline_kernelINS0_14default_configENS1_27scan_by_key_config_selectorIifEEZZNS1_16scan_by_key_implILNS1_25lookback_scan_determinismE0ELb0ES3_N6thrust23THRUST_200600_302600_NS6detail15normal_iteratorINS9_10device_ptrIiEEEENSB_INSC_IfEEEESG_fNS9_4plusIvEENS9_8equal_toIvEEfEE10hipError_tPvRmT2_T3_T4_T5_mT6_T7_P12ihipStream_tbENKUlT_T0_E_clISt17integral_constantIbLb0EES10_IbLb1EEEEDaSW_SX_EUlSW_E_NS1_11comp_targetILNS1_3genE2ELNS1_11target_archE906ELNS1_3gpuE6ELNS1_3repE0EEENS1_30default_config_static_selectorELNS0_4arch9wavefront6targetE0EEEvT1_.has_dyn_sized_stack, 0
	.set _ZN7rocprim17ROCPRIM_400000_NS6detail17trampoline_kernelINS0_14default_configENS1_27scan_by_key_config_selectorIifEEZZNS1_16scan_by_key_implILNS1_25lookback_scan_determinismE0ELb0ES3_N6thrust23THRUST_200600_302600_NS6detail15normal_iteratorINS9_10device_ptrIiEEEENSB_INSC_IfEEEESG_fNS9_4plusIvEENS9_8equal_toIvEEfEE10hipError_tPvRmT2_T3_T4_T5_mT6_T7_P12ihipStream_tbENKUlT_T0_E_clISt17integral_constantIbLb0EES10_IbLb1EEEEDaSW_SX_EUlSW_E_NS1_11comp_targetILNS1_3genE2ELNS1_11target_archE906ELNS1_3gpuE6ELNS1_3repE0EEENS1_30default_config_static_selectorELNS0_4arch9wavefront6targetE0EEEvT1_.has_recursion, 0
	.set _ZN7rocprim17ROCPRIM_400000_NS6detail17trampoline_kernelINS0_14default_configENS1_27scan_by_key_config_selectorIifEEZZNS1_16scan_by_key_implILNS1_25lookback_scan_determinismE0ELb0ES3_N6thrust23THRUST_200600_302600_NS6detail15normal_iteratorINS9_10device_ptrIiEEEENSB_INSC_IfEEEESG_fNS9_4plusIvEENS9_8equal_toIvEEfEE10hipError_tPvRmT2_T3_T4_T5_mT6_T7_P12ihipStream_tbENKUlT_T0_E_clISt17integral_constantIbLb0EES10_IbLb1EEEEDaSW_SX_EUlSW_E_NS1_11comp_targetILNS1_3genE2ELNS1_11target_archE906ELNS1_3gpuE6ELNS1_3repE0EEENS1_30default_config_static_selectorELNS0_4arch9wavefront6targetE0EEEvT1_.has_indirect_call, 0
	.section	.AMDGPU.csdata,"",@progbits
; Kernel info:
; codeLenInByte = 0
; TotalNumSgprs: 0
; NumVgprs: 0
; ScratchSize: 0
; MemoryBound: 0
; FloatMode: 240
; IeeeMode: 1
; LDSByteSize: 0 bytes/workgroup (compile time only)
; SGPRBlocks: 0
; VGPRBlocks: 0
; NumSGPRsForWavesPerEU: 1
; NumVGPRsForWavesPerEU: 1
; NamedBarCnt: 0
; Occupancy: 16
; WaveLimiterHint : 0
; COMPUTE_PGM_RSRC2:SCRATCH_EN: 0
; COMPUTE_PGM_RSRC2:USER_SGPR: 2
; COMPUTE_PGM_RSRC2:TRAP_HANDLER: 0
; COMPUTE_PGM_RSRC2:TGID_X_EN: 1
; COMPUTE_PGM_RSRC2:TGID_Y_EN: 0
; COMPUTE_PGM_RSRC2:TGID_Z_EN: 0
; COMPUTE_PGM_RSRC2:TIDIG_COMP_CNT: 0
	.section	.text._ZN7rocprim17ROCPRIM_400000_NS6detail17trampoline_kernelINS0_14default_configENS1_27scan_by_key_config_selectorIifEEZZNS1_16scan_by_key_implILNS1_25lookback_scan_determinismE0ELb0ES3_N6thrust23THRUST_200600_302600_NS6detail15normal_iteratorINS9_10device_ptrIiEEEENSB_INSC_IfEEEESG_fNS9_4plusIvEENS9_8equal_toIvEEfEE10hipError_tPvRmT2_T3_T4_T5_mT6_T7_P12ihipStream_tbENKUlT_T0_E_clISt17integral_constantIbLb0EES10_IbLb1EEEEDaSW_SX_EUlSW_E_NS1_11comp_targetILNS1_3genE10ELNS1_11target_archE1200ELNS1_3gpuE4ELNS1_3repE0EEENS1_30default_config_static_selectorELNS0_4arch9wavefront6targetE0EEEvT1_,"axG",@progbits,_ZN7rocprim17ROCPRIM_400000_NS6detail17trampoline_kernelINS0_14default_configENS1_27scan_by_key_config_selectorIifEEZZNS1_16scan_by_key_implILNS1_25lookback_scan_determinismE0ELb0ES3_N6thrust23THRUST_200600_302600_NS6detail15normal_iteratorINS9_10device_ptrIiEEEENSB_INSC_IfEEEESG_fNS9_4plusIvEENS9_8equal_toIvEEfEE10hipError_tPvRmT2_T3_T4_T5_mT6_T7_P12ihipStream_tbENKUlT_T0_E_clISt17integral_constantIbLb0EES10_IbLb1EEEEDaSW_SX_EUlSW_E_NS1_11comp_targetILNS1_3genE10ELNS1_11target_archE1200ELNS1_3gpuE4ELNS1_3repE0EEENS1_30default_config_static_selectorELNS0_4arch9wavefront6targetE0EEEvT1_,comdat
	.protected	_ZN7rocprim17ROCPRIM_400000_NS6detail17trampoline_kernelINS0_14default_configENS1_27scan_by_key_config_selectorIifEEZZNS1_16scan_by_key_implILNS1_25lookback_scan_determinismE0ELb0ES3_N6thrust23THRUST_200600_302600_NS6detail15normal_iteratorINS9_10device_ptrIiEEEENSB_INSC_IfEEEESG_fNS9_4plusIvEENS9_8equal_toIvEEfEE10hipError_tPvRmT2_T3_T4_T5_mT6_T7_P12ihipStream_tbENKUlT_T0_E_clISt17integral_constantIbLb0EES10_IbLb1EEEEDaSW_SX_EUlSW_E_NS1_11comp_targetILNS1_3genE10ELNS1_11target_archE1200ELNS1_3gpuE4ELNS1_3repE0EEENS1_30default_config_static_selectorELNS0_4arch9wavefront6targetE0EEEvT1_ ; -- Begin function _ZN7rocprim17ROCPRIM_400000_NS6detail17trampoline_kernelINS0_14default_configENS1_27scan_by_key_config_selectorIifEEZZNS1_16scan_by_key_implILNS1_25lookback_scan_determinismE0ELb0ES3_N6thrust23THRUST_200600_302600_NS6detail15normal_iteratorINS9_10device_ptrIiEEEENSB_INSC_IfEEEESG_fNS9_4plusIvEENS9_8equal_toIvEEfEE10hipError_tPvRmT2_T3_T4_T5_mT6_T7_P12ihipStream_tbENKUlT_T0_E_clISt17integral_constantIbLb0EES10_IbLb1EEEEDaSW_SX_EUlSW_E_NS1_11comp_targetILNS1_3genE10ELNS1_11target_archE1200ELNS1_3gpuE4ELNS1_3repE0EEENS1_30default_config_static_selectorELNS0_4arch9wavefront6targetE0EEEvT1_
	.globl	_ZN7rocprim17ROCPRIM_400000_NS6detail17trampoline_kernelINS0_14default_configENS1_27scan_by_key_config_selectorIifEEZZNS1_16scan_by_key_implILNS1_25lookback_scan_determinismE0ELb0ES3_N6thrust23THRUST_200600_302600_NS6detail15normal_iteratorINS9_10device_ptrIiEEEENSB_INSC_IfEEEESG_fNS9_4plusIvEENS9_8equal_toIvEEfEE10hipError_tPvRmT2_T3_T4_T5_mT6_T7_P12ihipStream_tbENKUlT_T0_E_clISt17integral_constantIbLb0EES10_IbLb1EEEEDaSW_SX_EUlSW_E_NS1_11comp_targetILNS1_3genE10ELNS1_11target_archE1200ELNS1_3gpuE4ELNS1_3repE0EEENS1_30default_config_static_selectorELNS0_4arch9wavefront6targetE0EEEvT1_
	.p2align	8
	.type	_ZN7rocprim17ROCPRIM_400000_NS6detail17trampoline_kernelINS0_14default_configENS1_27scan_by_key_config_selectorIifEEZZNS1_16scan_by_key_implILNS1_25lookback_scan_determinismE0ELb0ES3_N6thrust23THRUST_200600_302600_NS6detail15normal_iteratorINS9_10device_ptrIiEEEENSB_INSC_IfEEEESG_fNS9_4plusIvEENS9_8equal_toIvEEfEE10hipError_tPvRmT2_T3_T4_T5_mT6_T7_P12ihipStream_tbENKUlT_T0_E_clISt17integral_constantIbLb0EES10_IbLb1EEEEDaSW_SX_EUlSW_E_NS1_11comp_targetILNS1_3genE10ELNS1_11target_archE1200ELNS1_3gpuE4ELNS1_3repE0EEENS1_30default_config_static_selectorELNS0_4arch9wavefront6targetE0EEEvT1_,@function
_ZN7rocprim17ROCPRIM_400000_NS6detail17trampoline_kernelINS0_14default_configENS1_27scan_by_key_config_selectorIifEEZZNS1_16scan_by_key_implILNS1_25lookback_scan_determinismE0ELb0ES3_N6thrust23THRUST_200600_302600_NS6detail15normal_iteratorINS9_10device_ptrIiEEEENSB_INSC_IfEEEESG_fNS9_4plusIvEENS9_8equal_toIvEEfEE10hipError_tPvRmT2_T3_T4_T5_mT6_T7_P12ihipStream_tbENKUlT_T0_E_clISt17integral_constantIbLb0EES10_IbLb1EEEEDaSW_SX_EUlSW_E_NS1_11comp_targetILNS1_3genE10ELNS1_11target_archE1200ELNS1_3gpuE4ELNS1_3repE0EEENS1_30default_config_static_selectorELNS0_4arch9wavefront6targetE0EEEvT1_: ; @_ZN7rocprim17ROCPRIM_400000_NS6detail17trampoline_kernelINS0_14default_configENS1_27scan_by_key_config_selectorIifEEZZNS1_16scan_by_key_implILNS1_25lookback_scan_determinismE0ELb0ES3_N6thrust23THRUST_200600_302600_NS6detail15normal_iteratorINS9_10device_ptrIiEEEENSB_INSC_IfEEEESG_fNS9_4plusIvEENS9_8equal_toIvEEfEE10hipError_tPvRmT2_T3_T4_T5_mT6_T7_P12ihipStream_tbENKUlT_T0_E_clISt17integral_constantIbLb0EES10_IbLb1EEEEDaSW_SX_EUlSW_E_NS1_11comp_targetILNS1_3genE10ELNS1_11target_archE1200ELNS1_3gpuE4ELNS1_3repE0EEENS1_30default_config_static_selectorELNS0_4arch9wavefront6targetE0EEEvT1_
; %bb.0:
	.section	.rodata,"a",@progbits
	.p2align	6, 0x0
	.amdhsa_kernel _ZN7rocprim17ROCPRIM_400000_NS6detail17trampoline_kernelINS0_14default_configENS1_27scan_by_key_config_selectorIifEEZZNS1_16scan_by_key_implILNS1_25lookback_scan_determinismE0ELb0ES3_N6thrust23THRUST_200600_302600_NS6detail15normal_iteratorINS9_10device_ptrIiEEEENSB_INSC_IfEEEESG_fNS9_4plusIvEENS9_8equal_toIvEEfEE10hipError_tPvRmT2_T3_T4_T5_mT6_T7_P12ihipStream_tbENKUlT_T0_E_clISt17integral_constantIbLb0EES10_IbLb1EEEEDaSW_SX_EUlSW_E_NS1_11comp_targetILNS1_3genE10ELNS1_11target_archE1200ELNS1_3gpuE4ELNS1_3repE0EEENS1_30default_config_static_selectorELNS0_4arch9wavefront6targetE0EEEvT1_
		.amdhsa_group_segment_fixed_size 0
		.amdhsa_private_segment_fixed_size 0
		.amdhsa_kernarg_size 112
		.amdhsa_user_sgpr_count 2
		.amdhsa_user_sgpr_dispatch_ptr 0
		.amdhsa_user_sgpr_queue_ptr 0
		.amdhsa_user_sgpr_kernarg_segment_ptr 1
		.amdhsa_user_sgpr_dispatch_id 0
		.amdhsa_user_sgpr_kernarg_preload_length 0
		.amdhsa_user_sgpr_kernarg_preload_offset 0
		.amdhsa_user_sgpr_private_segment_size 0
		.amdhsa_wavefront_size32 1
		.amdhsa_uses_dynamic_stack 0
		.amdhsa_enable_private_segment 0
		.amdhsa_system_sgpr_workgroup_id_x 1
		.amdhsa_system_sgpr_workgroup_id_y 0
		.amdhsa_system_sgpr_workgroup_id_z 0
		.amdhsa_system_sgpr_workgroup_info 0
		.amdhsa_system_vgpr_workitem_id 0
		.amdhsa_next_free_vgpr 1
		.amdhsa_next_free_sgpr 1
		.amdhsa_named_barrier_count 0
		.amdhsa_reserve_vcc 0
		.amdhsa_float_round_mode_32 0
		.amdhsa_float_round_mode_16_64 0
		.amdhsa_float_denorm_mode_32 3
		.amdhsa_float_denorm_mode_16_64 3
		.amdhsa_fp16_overflow 0
		.amdhsa_memory_ordered 1
		.amdhsa_forward_progress 1
		.amdhsa_inst_pref_size 0
		.amdhsa_round_robin_scheduling 0
		.amdhsa_exception_fp_ieee_invalid_op 0
		.amdhsa_exception_fp_denorm_src 0
		.amdhsa_exception_fp_ieee_div_zero 0
		.amdhsa_exception_fp_ieee_overflow 0
		.amdhsa_exception_fp_ieee_underflow 0
		.amdhsa_exception_fp_ieee_inexact 0
		.amdhsa_exception_int_div_zero 0
	.end_amdhsa_kernel
	.section	.text._ZN7rocprim17ROCPRIM_400000_NS6detail17trampoline_kernelINS0_14default_configENS1_27scan_by_key_config_selectorIifEEZZNS1_16scan_by_key_implILNS1_25lookback_scan_determinismE0ELb0ES3_N6thrust23THRUST_200600_302600_NS6detail15normal_iteratorINS9_10device_ptrIiEEEENSB_INSC_IfEEEESG_fNS9_4plusIvEENS9_8equal_toIvEEfEE10hipError_tPvRmT2_T3_T4_T5_mT6_T7_P12ihipStream_tbENKUlT_T0_E_clISt17integral_constantIbLb0EES10_IbLb1EEEEDaSW_SX_EUlSW_E_NS1_11comp_targetILNS1_3genE10ELNS1_11target_archE1200ELNS1_3gpuE4ELNS1_3repE0EEENS1_30default_config_static_selectorELNS0_4arch9wavefront6targetE0EEEvT1_,"axG",@progbits,_ZN7rocprim17ROCPRIM_400000_NS6detail17trampoline_kernelINS0_14default_configENS1_27scan_by_key_config_selectorIifEEZZNS1_16scan_by_key_implILNS1_25lookback_scan_determinismE0ELb0ES3_N6thrust23THRUST_200600_302600_NS6detail15normal_iteratorINS9_10device_ptrIiEEEENSB_INSC_IfEEEESG_fNS9_4plusIvEENS9_8equal_toIvEEfEE10hipError_tPvRmT2_T3_T4_T5_mT6_T7_P12ihipStream_tbENKUlT_T0_E_clISt17integral_constantIbLb0EES10_IbLb1EEEEDaSW_SX_EUlSW_E_NS1_11comp_targetILNS1_3genE10ELNS1_11target_archE1200ELNS1_3gpuE4ELNS1_3repE0EEENS1_30default_config_static_selectorELNS0_4arch9wavefront6targetE0EEEvT1_,comdat
.Lfunc_end1169:
	.size	_ZN7rocprim17ROCPRIM_400000_NS6detail17trampoline_kernelINS0_14default_configENS1_27scan_by_key_config_selectorIifEEZZNS1_16scan_by_key_implILNS1_25lookback_scan_determinismE0ELb0ES3_N6thrust23THRUST_200600_302600_NS6detail15normal_iteratorINS9_10device_ptrIiEEEENSB_INSC_IfEEEESG_fNS9_4plusIvEENS9_8equal_toIvEEfEE10hipError_tPvRmT2_T3_T4_T5_mT6_T7_P12ihipStream_tbENKUlT_T0_E_clISt17integral_constantIbLb0EES10_IbLb1EEEEDaSW_SX_EUlSW_E_NS1_11comp_targetILNS1_3genE10ELNS1_11target_archE1200ELNS1_3gpuE4ELNS1_3repE0EEENS1_30default_config_static_selectorELNS0_4arch9wavefront6targetE0EEEvT1_, .Lfunc_end1169-_ZN7rocprim17ROCPRIM_400000_NS6detail17trampoline_kernelINS0_14default_configENS1_27scan_by_key_config_selectorIifEEZZNS1_16scan_by_key_implILNS1_25lookback_scan_determinismE0ELb0ES3_N6thrust23THRUST_200600_302600_NS6detail15normal_iteratorINS9_10device_ptrIiEEEENSB_INSC_IfEEEESG_fNS9_4plusIvEENS9_8equal_toIvEEfEE10hipError_tPvRmT2_T3_T4_T5_mT6_T7_P12ihipStream_tbENKUlT_T0_E_clISt17integral_constantIbLb0EES10_IbLb1EEEEDaSW_SX_EUlSW_E_NS1_11comp_targetILNS1_3genE10ELNS1_11target_archE1200ELNS1_3gpuE4ELNS1_3repE0EEENS1_30default_config_static_selectorELNS0_4arch9wavefront6targetE0EEEvT1_
                                        ; -- End function
	.set _ZN7rocprim17ROCPRIM_400000_NS6detail17trampoline_kernelINS0_14default_configENS1_27scan_by_key_config_selectorIifEEZZNS1_16scan_by_key_implILNS1_25lookback_scan_determinismE0ELb0ES3_N6thrust23THRUST_200600_302600_NS6detail15normal_iteratorINS9_10device_ptrIiEEEENSB_INSC_IfEEEESG_fNS9_4plusIvEENS9_8equal_toIvEEfEE10hipError_tPvRmT2_T3_T4_T5_mT6_T7_P12ihipStream_tbENKUlT_T0_E_clISt17integral_constantIbLb0EES10_IbLb1EEEEDaSW_SX_EUlSW_E_NS1_11comp_targetILNS1_3genE10ELNS1_11target_archE1200ELNS1_3gpuE4ELNS1_3repE0EEENS1_30default_config_static_selectorELNS0_4arch9wavefront6targetE0EEEvT1_.num_vgpr, 0
	.set _ZN7rocprim17ROCPRIM_400000_NS6detail17trampoline_kernelINS0_14default_configENS1_27scan_by_key_config_selectorIifEEZZNS1_16scan_by_key_implILNS1_25lookback_scan_determinismE0ELb0ES3_N6thrust23THRUST_200600_302600_NS6detail15normal_iteratorINS9_10device_ptrIiEEEENSB_INSC_IfEEEESG_fNS9_4plusIvEENS9_8equal_toIvEEfEE10hipError_tPvRmT2_T3_T4_T5_mT6_T7_P12ihipStream_tbENKUlT_T0_E_clISt17integral_constantIbLb0EES10_IbLb1EEEEDaSW_SX_EUlSW_E_NS1_11comp_targetILNS1_3genE10ELNS1_11target_archE1200ELNS1_3gpuE4ELNS1_3repE0EEENS1_30default_config_static_selectorELNS0_4arch9wavefront6targetE0EEEvT1_.num_agpr, 0
	.set _ZN7rocprim17ROCPRIM_400000_NS6detail17trampoline_kernelINS0_14default_configENS1_27scan_by_key_config_selectorIifEEZZNS1_16scan_by_key_implILNS1_25lookback_scan_determinismE0ELb0ES3_N6thrust23THRUST_200600_302600_NS6detail15normal_iteratorINS9_10device_ptrIiEEEENSB_INSC_IfEEEESG_fNS9_4plusIvEENS9_8equal_toIvEEfEE10hipError_tPvRmT2_T3_T4_T5_mT6_T7_P12ihipStream_tbENKUlT_T0_E_clISt17integral_constantIbLb0EES10_IbLb1EEEEDaSW_SX_EUlSW_E_NS1_11comp_targetILNS1_3genE10ELNS1_11target_archE1200ELNS1_3gpuE4ELNS1_3repE0EEENS1_30default_config_static_selectorELNS0_4arch9wavefront6targetE0EEEvT1_.numbered_sgpr, 0
	.set _ZN7rocprim17ROCPRIM_400000_NS6detail17trampoline_kernelINS0_14default_configENS1_27scan_by_key_config_selectorIifEEZZNS1_16scan_by_key_implILNS1_25lookback_scan_determinismE0ELb0ES3_N6thrust23THRUST_200600_302600_NS6detail15normal_iteratorINS9_10device_ptrIiEEEENSB_INSC_IfEEEESG_fNS9_4plusIvEENS9_8equal_toIvEEfEE10hipError_tPvRmT2_T3_T4_T5_mT6_T7_P12ihipStream_tbENKUlT_T0_E_clISt17integral_constantIbLb0EES10_IbLb1EEEEDaSW_SX_EUlSW_E_NS1_11comp_targetILNS1_3genE10ELNS1_11target_archE1200ELNS1_3gpuE4ELNS1_3repE0EEENS1_30default_config_static_selectorELNS0_4arch9wavefront6targetE0EEEvT1_.num_named_barrier, 0
	.set _ZN7rocprim17ROCPRIM_400000_NS6detail17trampoline_kernelINS0_14default_configENS1_27scan_by_key_config_selectorIifEEZZNS1_16scan_by_key_implILNS1_25lookback_scan_determinismE0ELb0ES3_N6thrust23THRUST_200600_302600_NS6detail15normal_iteratorINS9_10device_ptrIiEEEENSB_INSC_IfEEEESG_fNS9_4plusIvEENS9_8equal_toIvEEfEE10hipError_tPvRmT2_T3_T4_T5_mT6_T7_P12ihipStream_tbENKUlT_T0_E_clISt17integral_constantIbLb0EES10_IbLb1EEEEDaSW_SX_EUlSW_E_NS1_11comp_targetILNS1_3genE10ELNS1_11target_archE1200ELNS1_3gpuE4ELNS1_3repE0EEENS1_30default_config_static_selectorELNS0_4arch9wavefront6targetE0EEEvT1_.private_seg_size, 0
	.set _ZN7rocprim17ROCPRIM_400000_NS6detail17trampoline_kernelINS0_14default_configENS1_27scan_by_key_config_selectorIifEEZZNS1_16scan_by_key_implILNS1_25lookback_scan_determinismE0ELb0ES3_N6thrust23THRUST_200600_302600_NS6detail15normal_iteratorINS9_10device_ptrIiEEEENSB_INSC_IfEEEESG_fNS9_4plusIvEENS9_8equal_toIvEEfEE10hipError_tPvRmT2_T3_T4_T5_mT6_T7_P12ihipStream_tbENKUlT_T0_E_clISt17integral_constantIbLb0EES10_IbLb1EEEEDaSW_SX_EUlSW_E_NS1_11comp_targetILNS1_3genE10ELNS1_11target_archE1200ELNS1_3gpuE4ELNS1_3repE0EEENS1_30default_config_static_selectorELNS0_4arch9wavefront6targetE0EEEvT1_.uses_vcc, 0
	.set _ZN7rocprim17ROCPRIM_400000_NS6detail17trampoline_kernelINS0_14default_configENS1_27scan_by_key_config_selectorIifEEZZNS1_16scan_by_key_implILNS1_25lookback_scan_determinismE0ELb0ES3_N6thrust23THRUST_200600_302600_NS6detail15normal_iteratorINS9_10device_ptrIiEEEENSB_INSC_IfEEEESG_fNS9_4plusIvEENS9_8equal_toIvEEfEE10hipError_tPvRmT2_T3_T4_T5_mT6_T7_P12ihipStream_tbENKUlT_T0_E_clISt17integral_constantIbLb0EES10_IbLb1EEEEDaSW_SX_EUlSW_E_NS1_11comp_targetILNS1_3genE10ELNS1_11target_archE1200ELNS1_3gpuE4ELNS1_3repE0EEENS1_30default_config_static_selectorELNS0_4arch9wavefront6targetE0EEEvT1_.uses_flat_scratch, 0
	.set _ZN7rocprim17ROCPRIM_400000_NS6detail17trampoline_kernelINS0_14default_configENS1_27scan_by_key_config_selectorIifEEZZNS1_16scan_by_key_implILNS1_25lookback_scan_determinismE0ELb0ES3_N6thrust23THRUST_200600_302600_NS6detail15normal_iteratorINS9_10device_ptrIiEEEENSB_INSC_IfEEEESG_fNS9_4plusIvEENS9_8equal_toIvEEfEE10hipError_tPvRmT2_T3_T4_T5_mT6_T7_P12ihipStream_tbENKUlT_T0_E_clISt17integral_constantIbLb0EES10_IbLb1EEEEDaSW_SX_EUlSW_E_NS1_11comp_targetILNS1_3genE10ELNS1_11target_archE1200ELNS1_3gpuE4ELNS1_3repE0EEENS1_30default_config_static_selectorELNS0_4arch9wavefront6targetE0EEEvT1_.has_dyn_sized_stack, 0
	.set _ZN7rocprim17ROCPRIM_400000_NS6detail17trampoline_kernelINS0_14default_configENS1_27scan_by_key_config_selectorIifEEZZNS1_16scan_by_key_implILNS1_25lookback_scan_determinismE0ELb0ES3_N6thrust23THRUST_200600_302600_NS6detail15normal_iteratorINS9_10device_ptrIiEEEENSB_INSC_IfEEEESG_fNS9_4plusIvEENS9_8equal_toIvEEfEE10hipError_tPvRmT2_T3_T4_T5_mT6_T7_P12ihipStream_tbENKUlT_T0_E_clISt17integral_constantIbLb0EES10_IbLb1EEEEDaSW_SX_EUlSW_E_NS1_11comp_targetILNS1_3genE10ELNS1_11target_archE1200ELNS1_3gpuE4ELNS1_3repE0EEENS1_30default_config_static_selectorELNS0_4arch9wavefront6targetE0EEEvT1_.has_recursion, 0
	.set _ZN7rocprim17ROCPRIM_400000_NS6detail17trampoline_kernelINS0_14default_configENS1_27scan_by_key_config_selectorIifEEZZNS1_16scan_by_key_implILNS1_25lookback_scan_determinismE0ELb0ES3_N6thrust23THRUST_200600_302600_NS6detail15normal_iteratorINS9_10device_ptrIiEEEENSB_INSC_IfEEEESG_fNS9_4plusIvEENS9_8equal_toIvEEfEE10hipError_tPvRmT2_T3_T4_T5_mT6_T7_P12ihipStream_tbENKUlT_T0_E_clISt17integral_constantIbLb0EES10_IbLb1EEEEDaSW_SX_EUlSW_E_NS1_11comp_targetILNS1_3genE10ELNS1_11target_archE1200ELNS1_3gpuE4ELNS1_3repE0EEENS1_30default_config_static_selectorELNS0_4arch9wavefront6targetE0EEEvT1_.has_indirect_call, 0
	.section	.AMDGPU.csdata,"",@progbits
; Kernel info:
; codeLenInByte = 0
; TotalNumSgprs: 0
; NumVgprs: 0
; ScratchSize: 0
; MemoryBound: 0
; FloatMode: 240
; IeeeMode: 1
; LDSByteSize: 0 bytes/workgroup (compile time only)
; SGPRBlocks: 0
; VGPRBlocks: 0
; NumSGPRsForWavesPerEU: 1
; NumVGPRsForWavesPerEU: 1
; NamedBarCnt: 0
; Occupancy: 16
; WaveLimiterHint : 0
; COMPUTE_PGM_RSRC2:SCRATCH_EN: 0
; COMPUTE_PGM_RSRC2:USER_SGPR: 2
; COMPUTE_PGM_RSRC2:TRAP_HANDLER: 0
; COMPUTE_PGM_RSRC2:TGID_X_EN: 1
; COMPUTE_PGM_RSRC2:TGID_Y_EN: 0
; COMPUTE_PGM_RSRC2:TGID_Z_EN: 0
; COMPUTE_PGM_RSRC2:TIDIG_COMP_CNT: 0
	.section	.text._ZN7rocprim17ROCPRIM_400000_NS6detail17trampoline_kernelINS0_14default_configENS1_27scan_by_key_config_selectorIifEEZZNS1_16scan_by_key_implILNS1_25lookback_scan_determinismE0ELb0ES3_N6thrust23THRUST_200600_302600_NS6detail15normal_iteratorINS9_10device_ptrIiEEEENSB_INSC_IfEEEESG_fNS9_4plusIvEENS9_8equal_toIvEEfEE10hipError_tPvRmT2_T3_T4_T5_mT6_T7_P12ihipStream_tbENKUlT_T0_E_clISt17integral_constantIbLb0EES10_IbLb1EEEEDaSW_SX_EUlSW_E_NS1_11comp_targetILNS1_3genE9ELNS1_11target_archE1100ELNS1_3gpuE3ELNS1_3repE0EEENS1_30default_config_static_selectorELNS0_4arch9wavefront6targetE0EEEvT1_,"axG",@progbits,_ZN7rocprim17ROCPRIM_400000_NS6detail17trampoline_kernelINS0_14default_configENS1_27scan_by_key_config_selectorIifEEZZNS1_16scan_by_key_implILNS1_25lookback_scan_determinismE0ELb0ES3_N6thrust23THRUST_200600_302600_NS6detail15normal_iteratorINS9_10device_ptrIiEEEENSB_INSC_IfEEEESG_fNS9_4plusIvEENS9_8equal_toIvEEfEE10hipError_tPvRmT2_T3_T4_T5_mT6_T7_P12ihipStream_tbENKUlT_T0_E_clISt17integral_constantIbLb0EES10_IbLb1EEEEDaSW_SX_EUlSW_E_NS1_11comp_targetILNS1_3genE9ELNS1_11target_archE1100ELNS1_3gpuE3ELNS1_3repE0EEENS1_30default_config_static_selectorELNS0_4arch9wavefront6targetE0EEEvT1_,comdat
	.protected	_ZN7rocprim17ROCPRIM_400000_NS6detail17trampoline_kernelINS0_14default_configENS1_27scan_by_key_config_selectorIifEEZZNS1_16scan_by_key_implILNS1_25lookback_scan_determinismE0ELb0ES3_N6thrust23THRUST_200600_302600_NS6detail15normal_iteratorINS9_10device_ptrIiEEEENSB_INSC_IfEEEESG_fNS9_4plusIvEENS9_8equal_toIvEEfEE10hipError_tPvRmT2_T3_T4_T5_mT6_T7_P12ihipStream_tbENKUlT_T0_E_clISt17integral_constantIbLb0EES10_IbLb1EEEEDaSW_SX_EUlSW_E_NS1_11comp_targetILNS1_3genE9ELNS1_11target_archE1100ELNS1_3gpuE3ELNS1_3repE0EEENS1_30default_config_static_selectorELNS0_4arch9wavefront6targetE0EEEvT1_ ; -- Begin function _ZN7rocprim17ROCPRIM_400000_NS6detail17trampoline_kernelINS0_14default_configENS1_27scan_by_key_config_selectorIifEEZZNS1_16scan_by_key_implILNS1_25lookback_scan_determinismE0ELb0ES3_N6thrust23THRUST_200600_302600_NS6detail15normal_iteratorINS9_10device_ptrIiEEEENSB_INSC_IfEEEESG_fNS9_4plusIvEENS9_8equal_toIvEEfEE10hipError_tPvRmT2_T3_T4_T5_mT6_T7_P12ihipStream_tbENKUlT_T0_E_clISt17integral_constantIbLb0EES10_IbLb1EEEEDaSW_SX_EUlSW_E_NS1_11comp_targetILNS1_3genE9ELNS1_11target_archE1100ELNS1_3gpuE3ELNS1_3repE0EEENS1_30default_config_static_selectorELNS0_4arch9wavefront6targetE0EEEvT1_
	.globl	_ZN7rocprim17ROCPRIM_400000_NS6detail17trampoline_kernelINS0_14default_configENS1_27scan_by_key_config_selectorIifEEZZNS1_16scan_by_key_implILNS1_25lookback_scan_determinismE0ELb0ES3_N6thrust23THRUST_200600_302600_NS6detail15normal_iteratorINS9_10device_ptrIiEEEENSB_INSC_IfEEEESG_fNS9_4plusIvEENS9_8equal_toIvEEfEE10hipError_tPvRmT2_T3_T4_T5_mT6_T7_P12ihipStream_tbENKUlT_T0_E_clISt17integral_constantIbLb0EES10_IbLb1EEEEDaSW_SX_EUlSW_E_NS1_11comp_targetILNS1_3genE9ELNS1_11target_archE1100ELNS1_3gpuE3ELNS1_3repE0EEENS1_30default_config_static_selectorELNS0_4arch9wavefront6targetE0EEEvT1_
	.p2align	8
	.type	_ZN7rocprim17ROCPRIM_400000_NS6detail17trampoline_kernelINS0_14default_configENS1_27scan_by_key_config_selectorIifEEZZNS1_16scan_by_key_implILNS1_25lookback_scan_determinismE0ELb0ES3_N6thrust23THRUST_200600_302600_NS6detail15normal_iteratorINS9_10device_ptrIiEEEENSB_INSC_IfEEEESG_fNS9_4plusIvEENS9_8equal_toIvEEfEE10hipError_tPvRmT2_T3_T4_T5_mT6_T7_P12ihipStream_tbENKUlT_T0_E_clISt17integral_constantIbLb0EES10_IbLb1EEEEDaSW_SX_EUlSW_E_NS1_11comp_targetILNS1_3genE9ELNS1_11target_archE1100ELNS1_3gpuE3ELNS1_3repE0EEENS1_30default_config_static_selectorELNS0_4arch9wavefront6targetE0EEEvT1_,@function
_ZN7rocprim17ROCPRIM_400000_NS6detail17trampoline_kernelINS0_14default_configENS1_27scan_by_key_config_selectorIifEEZZNS1_16scan_by_key_implILNS1_25lookback_scan_determinismE0ELb0ES3_N6thrust23THRUST_200600_302600_NS6detail15normal_iteratorINS9_10device_ptrIiEEEENSB_INSC_IfEEEESG_fNS9_4plusIvEENS9_8equal_toIvEEfEE10hipError_tPvRmT2_T3_T4_T5_mT6_T7_P12ihipStream_tbENKUlT_T0_E_clISt17integral_constantIbLb0EES10_IbLb1EEEEDaSW_SX_EUlSW_E_NS1_11comp_targetILNS1_3genE9ELNS1_11target_archE1100ELNS1_3gpuE3ELNS1_3repE0EEENS1_30default_config_static_selectorELNS0_4arch9wavefront6targetE0EEEvT1_: ; @_ZN7rocprim17ROCPRIM_400000_NS6detail17trampoline_kernelINS0_14default_configENS1_27scan_by_key_config_selectorIifEEZZNS1_16scan_by_key_implILNS1_25lookback_scan_determinismE0ELb0ES3_N6thrust23THRUST_200600_302600_NS6detail15normal_iteratorINS9_10device_ptrIiEEEENSB_INSC_IfEEEESG_fNS9_4plusIvEENS9_8equal_toIvEEfEE10hipError_tPvRmT2_T3_T4_T5_mT6_T7_P12ihipStream_tbENKUlT_T0_E_clISt17integral_constantIbLb0EES10_IbLb1EEEEDaSW_SX_EUlSW_E_NS1_11comp_targetILNS1_3genE9ELNS1_11target_archE1100ELNS1_3gpuE3ELNS1_3repE0EEENS1_30default_config_static_selectorELNS0_4arch9wavefront6targetE0EEEvT1_
; %bb.0:
	.section	.rodata,"a",@progbits
	.p2align	6, 0x0
	.amdhsa_kernel _ZN7rocprim17ROCPRIM_400000_NS6detail17trampoline_kernelINS0_14default_configENS1_27scan_by_key_config_selectorIifEEZZNS1_16scan_by_key_implILNS1_25lookback_scan_determinismE0ELb0ES3_N6thrust23THRUST_200600_302600_NS6detail15normal_iteratorINS9_10device_ptrIiEEEENSB_INSC_IfEEEESG_fNS9_4plusIvEENS9_8equal_toIvEEfEE10hipError_tPvRmT2_T3_T4_T5_mT6_T7_P12ihipStream_tbENKUlT_T0_E_clISt17integral_constantIbLb0EES10_IbLb1EEEEDaSW_SX_EUlSW_E_NS1_11comp_targetILNS1_3genE9ELNS1_11target_archE1100ELNS1_3gpuE3ELNS1_3repE0EEENS1_30default_config_static_selectorELNS0_4arch9wavefront6targetE0EEEvT1_
		.amdhsa_group_segment_fixed_size 0
		.amdhsa_private_segment_fixed_size 0
		.amdhsa_kernarg_size 112
		.amdhsa_user_sgpr_count 2
		.amdhsa_user_sgpr_dispatch_ptr 0
		.amdhsa_user_sgpr_queue_ptr 0
		.amdhsa_user_sgpr_kernarg_segment_ptr 1
		.amdhsa_user_sgpr_dispatch_id 0
		.amdhsa_user_sgpr_kernarg_preload_length 0
		.amdhsa_user_sgpr_kernarg_preload_offset 0
		.amdhsa_user_sgpr_private_segment_size 0
		.amdhsa_wavefront_size32 1
		.amdhsa_uses_dynamic_stack 0
		.amdhsa_enable_private_segment 0
		.amdhsa_system_sgpr_workgroup_id_x 1
		.amdhsa_system_sgpr_workgroup_id_y 0
		.amdhsa_system_sgpr_workgroup_id_z 0
		.amdhsa_system_sgpr_workgroup_info 0
		.amdhsa_system_vgpr_workitem_id 0
		.amdhsa_next_free_vgpr 1
		.amdhsa_next_free_sgpr 1
		.amdhsa_named_barrier_count 0
		.amdhsa_reserve_vcc 0
		.amdhsa_float_round_mode_32 0
		.amdhsa_float_round_mode_16_64 0
		.amdhsa_float_denorm_mode_32 3
		.amdhsa_float_denorm_mode_16_64 3
		.amdhsa_fp16_overflow 0
		.amdhsa_memory_ordered 1
		.amdhsa_forward_progress 1
		.amdhsa_inst_pref_size 0
		.amdhsa_round_robin_scheduling 0
		.amdhsa_exception_fp_ieee_invalid_op 0
		.amdhsa_exception_fp_denorm_src 0
		.amdhsa_exception_fp_ieee_div_zero 0
		.amdhsa_exception_fp_ieee_overflow 0
		.amdhsa_exception_fp_ieee_underflow 0
		.amdhsa_exception_fp_ieee_inexact 0
		.amdhsa_exception_int_div_zero 0
	.end_amdhsa_kernel
	.section	.text._ZN7rocprim17ROCPRIM_400000_NS6detail17trampoline_kernelINS0_14default_configENS1_27scan_by_key_config_selectorIifEEZZNS1_16scan_by_key_implILNS1_25lookback_scan_determinismE0ELb0ES3_N6thrust23THRUST_200600_302600_NS6detail15normal_iteratorINS9_10device_ptrIiEEEENSB_INSC_IfEEEESG_fNS9_4plusIvEENS9_8equal_toIvEEfEE10hipError_tPvRmT2_T3_T4_T5_mT6_T7_P12ihipStream_tbENKUlT_T0_E_clISt17integral_constantIbLb0EES10_IbLb1EEEEDaSW_SX_EUlSW_E_NS1_11comp_targetILNS1_3genE9ELNS1_11target_archE1100ELNS1_3gpuE3ELNS1_3repE0EEENS1_30default_config_static_selectorELNS0_4arch9wavefront6targetE0EEEvT1_,"axG",@progbits,_ZN7rocprim17ROCPRIM_400000_NS6detail17trampoline_kernelINS0_14default_configENS1_27scan_by_key_config_selectorIifEEZZNS1_16scan_by_key_implILNS1_25lookback_scan_determinismE0ELb0ES3_N6thrust23THRUST_200600_302600_NS6detail15normal_iteratorINS9_10device_ptrIiEEEENSB_INSC_IfEEEESG_fNS9_4plusIvEENS9_8equal_toIvEEfEE10hipError_tPvRmT2_T3_T4_T5_mT6_T7_P12ihipStream_tbENKUlT_T0_E_clISt17integral_constantIbLb0EES10_IbLb1EEEEDaSW_SX_EUlSW_E_NS1_11comp_targetILNS1_3genE9ELNS1_11target_archE1100ELNS1_3gpuE3ELNS1_3repE0EEENS1_30default_config_static_selectorELNS0_4arch9wavefront6targetE0EEEvT1_,comdat
.Lfunc_end1170:
	.size	_ZN7rocprim17ROCPRIM_400000_NS6detail17trampoline_kernelINS0_14default_configENS1_27scan_by_key_config_selectorIifEEZZNS1_16scan_by_key_implILNS1_25lookback_scan_determinismE0ELb0ES3_N6thrust23THRUST_200600_302600_NS6detail15normal_iteratorINS9_10device_ptrIiEEEENSB_INSC_IfEEEESG_fNS9_4plusIvEENS9_8equal_toIvEEfEE10hipError_tPvRmT2_T3_T4_T5_mT6_T7_P12ihipStream_tbENKUlT_T0_E_clISt17integral_constantIbLb0EES10_IbLb1EEEEDaSW_SX_EUlSW_E_NS1_11comp_targetILNS1_3genE9ELNS1_11target_archE1100ELNS1_3gpuE3ELNS1_3repE0EEENS1_30default_config_static_selectorELNS0_4arch9wavefront6targetE0EEEvT1_, .Lfunc_end1170-_ZN7rocprim17ROCPRIM_400000_NS6detail17trampoline_kernelINS0_14default_configENS1_27scan_by_key_config_selectorIifEEZZNS1_16scan_by_key_implILNS1_25lookback_scan_determinismE0ELb0ES3_N6thrust23THRUST_200600_302600_NS6detail15normal_iteratorINS9_10device_ptrIiEEEENSB_INSC_IfEEEESG_fNS9_4plusIvEENS9_8equal_toIvEEfEE10hipError_tPvRmT2_T3_T4_T5_mT6_T7_P12ihipStream_tbENKUlT_T0_E_clISt17integral_constantIbLb0EES10_IbLb1EEEEDaSW_SX_EUlSW_E_NS1_11comp_targetILNS1_3genE9ELNS1_11target_archE1100ELNS1_3gpuE3ELNS1_3repE0EEENS1_30default_config_static_selectorELNS0_4arch9wavefront6targetE0EEEvT1_
                                        ; -- End function
	.set _ZN7rocprim17ROCPRIM_400000_NS6detail17trampoline_kernelINS0_14default_configENS1_27scan_by_key_config_selectorIifEEZZNS1_16scan_by_key_implILNS1_25lookback_scan_determinismE0ELb0ES3_N6thrust23THRUST_200600_302600_NS6detail15normal_iteratorINS9_10device_ptrIiEEEENSB_INSC_IfEEEESG_fNS9_4plusIvEENS9_8equal_toIvEEfEE10hipError_tPvRmT2_T3_T4_T5_mT6_T7_P12ihipStream_tbENKUlT_T0_E_clISt17integral_constantIbLb0EES10_IbLb1EEEEDaSW_SX_EUlSW_E_NS1_11comp_targetILNS1_3genE9ELNS1_11target_archE1100ELNS1_3gpuE3ELNS1_3repE0EEENS1_30default_config_static_selectorELNS0_4arch9wavefront6targetE0EEEvT1_.num_vgpr, 0
	.set _ZN7rocprim17ROCPRIM_400000_NS6detail17trampoline_kernelINS0_14default_configENS1_27scan_by_key_config_selectorIifEEZZNS1_16scan_by_key_implILNS1_25lookback_scan_determinismE0ELb0ES3_N6thrust23THRUST_200600_302600_NS6detail15normal_iteratorINS9_10device_ptrIiEEEENSB_INSC_IfEEEESG_fNS9_4plusIvEENS9_8equal_toIvEEfEE10hipError_tPvRmT2_T3_T4_T5_mT6_T7_P12ihipStream_tbENKUlT_T0_E_clISt17integral_constantIbLb0EES10_IbLb1EEEEDaSW_SX_EUlSW_E_NS1_11comp_targetILNS1_3genE9ELNS1_11target_archE1100ELNS1_3gpuE3ELNS1_3repE0EEENS1_30default_config_static_selectorELNS0_4arch9wavefront6targetE0EEEvT1_.num_agpr, 0
	.set _ZN7rocprim17ROCPRIM_400000_NS6detail17trampoline_kernelINS0_14default_configENS1_27scan_by_key_config_selectorIifEEZZNS1_16scan_by_key_implILNS1_25lookback_scan_determinismE0ELb0ES3_N6thrust23THRUST_200600_302600_NS6detail15normal_iteratorINS9_10device_ptrIiEEEENSB_INSC_IfEEEESG_fNS9_4plusIvEENS9_8equal_toIvEEfEE10hipError_tPvRmT2_T3_T4_T5_mT6_T7_P12ihipStream_tbENKUlT_T0_E_clISt17integral_constantIbLb0EES10_IbLb1EEEEDaSW_SX_EUlSW_E_NS1_11comp_targetILNS1_3genE9ELNS1_11target_archE1100ELNS1_3gpuE3ELNS1_3repE0EEENS1_30default_config_static_selectorELNS0_4arch9wavefront6targetE0EEEvT1_.numbered_sgpr, 0
	.set _ZN7rocprim17ROCPRIM_400000_NS6detail17trampoline_kernelINS0_14default_configENS1_27scan_by_key_config_selectorIifEEZZNS1_16scan_by_key_implILNS1_25lookback_scan_determinismE0ELb0ES3_N6thrust23THRUST_200600_302600_NS6detail15normal_iteratorINS9_10device_ptrIiEEEENSB_INSC_IfEEEESG_fNS9_4plusIvEENS9_8equal_toIvEEfEE10hipError_tPvRmT2_T3_T4_T5_mT6_T7_P12ihipStream_tbENKUlT_T0_E_clISt17integral_constantIbLb0EES10_IbLb1EEEEDaSW_SX_EUlSW_E_NS1_11comp_targetILNS1_3genE9ELNS1_11target_archE1100ELNS1_3gpuE3ELNS1_3repE0EEENS1_30default_config_static_selectorELNS0_4arch9wavefront6targetE0EEEvT1_.num_named_barrier, 0
	.set _ZN7rocprim17ROCPRIM_400000_NS6detail17trampoline_kernelINS0_14default_configENS1_27scan_by_key_config_selectorIifEEZZNS1_16scan_by_key_implILNS1_25lookback_scan_determinismE0ELb0ES3_N6thrust23THRUST_200600_302600_NS6detail15normal_iteratorINS9_10device_ptrIiEEEENSB_INSC_IfEEEESG_fNS9_4plusIvEENS9_8equal_toIvEEfEE10hipError_tPvRmT2_T3_T4_T5_mT6_T7_P12ihipStream_tbENKUlT_T0_E_clISt17integral_constantIbLb0EES10_IbLb1EEEEDaSW_SX_EUlSW_E_NS1_11comp_targetILNS1_3genE9ELNS1_11target_archE1100ELNS1_3gpuE3ELNS1_3repE0EEENS1_30default_config_static_selectorELNS0_4arch9wavefront6targetE0EEEvT1_.private_seg_size, 0
	.set _ZN7rocprim17ROCPRIM_400000_NS6detail17trampoline_kernelINS0_14default_configENS1_27scan_by_key_config_selectorIifEEZZNS1_16scan_by_key_implILNS1_25lookback_scan_determinismE0ELb0ES3_N6thrust23THRUST_200600_302600_NS6detail15normal_iteratorINS9_10device_ptrIiEEEENSB_INSC_IfEEEESG_fNS9_4plusIvEENS9_8equal_toIvEEfEE10hipError_tPvRmT2_T3_T4_T5_mT6_T7_P12ihipStream_tbENKUlT_T0_E_clISt17integral_constantIbLb0EES10_IbLb1EEEEDaSW_SX_EUlSW_E_NS1_11comp_targetILNS1_3genE9ELNS1_11target_archE1100ELNS1_3gpuE3ELNS1_3repE0EEENS1_30default_config_static_selectorELNS0_4arch9wavefront6targetE0EEEvT1_.uses_vcc, 0
	.set _ZN7rocprim17ROCPRIM_400000_NS6detail17trampoline_kernelINS0_14default_configENS1_27scan_by_key_config_selectorIifEEZZNS1_16scan_by_key_implILNS1_25lookback_scan_determinismE0ELb0ES3_N6thrust23THRUST_200600_302600_NS6detail15normal_iteratorINS9_10device_ptrIiEEEENSB_INSC_IfEEEESG_fNS9_4plusIvEENS9_8equal_toIvEEfEE10hipError_tPvRmT2_T3_T4_T5_mT6_T7_P12ihipStream_tbENKUlT_T0_E_clISt17integral_constantIbLb0EES10_IbLb1EEEEDaSW_SX_EUlSW_E_NS1_11comp_targetILNS1_3genE9ELNS1_11target_archE1100ELNS1_3gpuE3ELNS1_3repE0EEENS1_30default_config_static_selectorELNS0_4arch9wavefront6targetE0EEEvT1_.uses_flat_scratch, 0
	.set _ZN7rocprim17ROCPRIM_400000_NS6detail17trampoline_kernelINS0_14default_configENS1_27scan_by_key_config_selectorIifEEZZNS1_16scan_by_key_implILNS1_25lookback_scan_determinismE0ELb0ES3_N6thrust23THRUST_200600_302600_NS6detail15normal_iteratorINS9_10device_ptrIiEEEENSB_INSC_IfEEEESG_fNS9_4plusIvEENS9_8equal_toIvEEfEE10hipError_tPvRmT2_T3_T4_T5_mT6_T7_P12ihipStream_tbENKUlT_T0_E_clISt17integral_constantIbLb0EES10_IbLb1EEEEDaSW_SX_EUlSW_E_NS1_11comp_targetILNS1_3genE9ELNS1_11target_archE1100ELNS1_3gpuE3ELNS1_3repE0EEENS1_30default_config_static_selectorELNS0_4arch9wavefront6targetE0EEEvT1_.has_dyn_sized_stack, 0
	.set _ZN7rocprim17ROCPRIM_400000_NS6detail17trampoline_kernelINS0_14default_configENS1_27scan_by_key_config_selectorIifEEZZNS1_16scan_by_key_implILNS1_25lookback_scan_determinismE0ELb0ES3_N6thrust23THRUST_200600_302600_NS6detail15normal_iteratorINS9_10device_ptrIiEEEENSB_INSC_IfEEEESG_fNS9_4plusIvEENS9_8equal_toIvEEfEE10hipError_tPvRmT2_T3_T4_T5_mT6_T7_P12ihipStream_tbENKUlT_T0_E_clISt17integral_constantIbLb0EES10_IbLb1EEEEDaSW_SX_EUlSW_E_NS1_11comp_targetILNS1_3genE9ELNS1_11target_archE1100ELNS1_3gpuE3ELNS1_3repE0EEENS1_30default_config_static_selectorELNS0_4arch9wavefront6targetE0EEEvT1_.has_recursion, 0
	.set _ZN7rocprim17ROCPRIM_400000_NS6detail17trampoline_kernelINS0_14default_configENS1_27scan_by_key_config_selectorIifEEZZNS1_16scan_by_key_implILNS1_25lookback_scan_determinismE0ELb0ES3_N6thrust23THRUST_200600_302600_NS6detail15normal_iteratorINS9_10device_ptrIiEEEENSB_INSC_IfEEEESG_fNS9_4plusIvEENS9_8equal_toIvEEfEE10hipError_tPvRmT2_T3_T4_T5_mT6_T7_P12ihipStream_tbENKUlT_T0_E_clISt17integral_constantIbLb0EES10_IbLb1EEEEDaSW_SX_EUlSW_E_NS1_11comp_targetILNS1_3genE9ELNS1_11target_archE1100ELNS1_3gpuE3ELNS1_3repE0EEENS1_30default_config_static_selectorELNS0_4arch9wavefront6targetE0EEEvT1_.has_indirect_call, 0
	.section	.AMDGPU.csdata,"",@progbits
; Kernel info:
; codeLenInByte = 0
; TotalNumSgprs: 0
; NumVgprs: 0
; ScratchSize: 0
; MemoryBound: 0
; FloatMode: 240
; IeeeMode: 1
; LDSByteSize: 0 bytes/workgroup (compile time only)
; SGPRBlocks: 0
; VGPRBlocks: 0
; NumSGPRsForWavesPerEU: 1
; NumVGPRsForWavesPerEU: 1
; NamedBarCnt: 0
; Occupancy: 16
; WaveLimiterHint : 0
; COMPUTE_PGM_RSRC2:SCRATCH_EN: 0
; COMPUTE_PGM_RSRC2:USER_SGPR: 2
; COMPUTE_PGM_RSRC2:TRAP_HANDLER: 0
; COMPUTE_PGM_RSRC2:TGID_X_EN: 1
; COMPUTE_PGM_RSRC2:TGID_Y_EN: 0
; COMPUTE_PGM_RSRC2:TGID_Z_EN: 0
; COMPUTE_PGM_RSRC2:TIDIG_COMP_CNT: 0
	.section	.text._ZN7rocprim17ROCPRIM_400000_NS6detail17trampoline_kernelINS0_14default_configENS1_27scan_by_key_config_selectorIifEEZZNS1_16scan_by_key_implILNS1_25lookback_scan_determinismE0ELb0ES3_N6thrust23THRUST_200600_302600_NS6detail15normal_iteratorINS9_10device_ptrIiEEEENSB_INSC_IfEEEESG_fNS9_4plusIvEENS9_8equal_toIvEEfEE10hipError_tPvRmT2_T3_T4_T5_mT6_T7_P12ihipStream_tbENKUlT_T0_E_clISt17integral_constantIbLb0EES10_IbLb1EEEEDaSW_SX_EUlSW_E_NS1_11comp_targetILNS1_3genE8ELNS1_11target_archE1030ELNS1_3gpuE2ELNS1_3repE0EEENS1_30default_config_static_selectorELNS0_4arch9wavefront6targetE0EEEvT1_,"axG",@progbits,_ZN7rocprim17ROCPRIM_400000_NS6detail17trampoline_kernelINS0_14default_configENS1_27scan_by_key_config_selectorIifEEZZNS1_16scan_by_key_implILNS1_25lookback_scan_determinismE0ELb0ES3_N6thrust23THRUST_200600_302600_NS6detail15normal_iteratorINS9_10device_ptrIiEEEENSB_INSC_IfEEEESG_fNS9_4plusIvEENS9_8equal_toIvEEfEE10hipError_tPvRmT2_T3_T4_T5_mT6_T7_P12ihipStream_tbENKUlT_T0_E_clISt17integral_constantIbLb0EES10_IbLb1EEEEDaSW_SX_EUlSW_E_NS1_11comp_targetILNS1_3genE8ELNS1_11target_archE1030ELNS1_3gpuE2ELNS1_3repE0EEENS1_30default_config_static_selectorELNS0_4arch9wavefront6targetE0EEEvT1_,comdat
	.protected	_ZN7rocprim17ROCPRIM_400000_NS6detail17trampoline_kernelINS0_14default_configENS1_27scan_by_key_config_selectorIifEEZZNS1_16scan_by_key_implILNS1_25lookback_scan_determinismE0ELb0ES3_N6thrust23THRUST_200600_302600_NS6detail15normal_iteratorINS9_10device_ptrIiEEEENSB_INSC_IfEEEESG_fNS9_4plusIvEENS9_8equal_toIvEEfEE10hipError_tPvRmT2_T3_T4_T5_mT6_T7_P12ihipStream_tbENKUlT_T0_E_clISt17integral_constantIbLb0EES10_IbLb1EEEEDaSW_SX_EUlSW_E_NS1_11comp_targetILNS1_3genE8ELNS1_11target_archE1030ELNS1_3gpuE2ELNS1_3repE0EEENS1_30default_config_static_selectorELNS0_4arch9wavefront6targetE0EEEvT1_ ; -- Begin function _ZN7rocprim17ROCPRIM_400000_NS6detail17trampoline_kernelINS0_14default_configENS1_27scan_by_key_config_selectorIifEEZZNS1_16scan_by_key_implILNS1_25lookback_scan_determinismE0ELb0ES3_N6thrust23THRUST_200600_302600_NS6detail15normal_iteratorINS9_10device_ptrIiEEEENSB_INSC_IfEEEESG_fNS9_4plusIvEENS9_8equal_toIvEEfEE10hipError_tPvRmT2_T3_T4_T5_mT6_T7_P12ihipStream_tbENKUlT_T0_E_clISt17integral_constantIbLb0EES10_IbLb1EEEEDaSW_SX_EUlSW_E_NS1_11comp_targetILNS1_3genE8ELNS1_11target_archE1030ELNS1_3gpuE2ELNS1_3repE0EEENS1_30default_config_static_selectorELNS0_4arch9wavefront6targetE0EEEvT1_
	.globl	_ZN7rocprim17ROCPRIM_400000_NS6detail17trampoline_kernelINS0_14default_configENS1_27scan_by_key_config_selectorIifEEZZNS1_16scan_by_key_implILNS1_25lookback_scan_determinismE0ELb0ES3_N6thrust23THRUST_200600_302600_NS6detail15normal_iteratorINS9_10device_ptrIiEEEENSB_INSC_IfEEEESG_fNS9_4plusIvEENS9_8equal_toIvEEfEE10hipError_tPvRmT2_T3_T4_T5_mT6_T7_P12ihipStream_tbENKUlT_T0_E_clISt17integral_constantIbLb0EES10_IbLb1EEEEDaSW_SX_EUlSW_E_NS1_11comp_targetILNS1_3genE8ELNS1_11target_archE1030ELNS1_3gpuE2ELNS1_3repE0EEENS1_30default_config_static_selectorELNS0_4arch9wavefront6targetE0EEEvT1_
	.p2align	8
	.type	_ZN7rocprim17ROCPRIM_400000_NS6detail17trampoline_kernelINS0_14default_configENS1_27scan_by_key_config_selectorIifEEZZNS1_16scan_by_key_implILNS1_25lookback_scan_determinismE0ELb0ES3_N6thrust23THRUST_200600_302600_NS6detail15normal_iteratorINS9_10device_ptrIiEEEENSB_INSC_IfEEEESG_fNS9_4plusIvEENS9_8equal_toIvEEfEE10hipError_tPvRmT2_T3_T4_T5_mT6_T7_P12ihipStream_tbENKUlT_T0_E_clISt17integral_constantIbLb0EES10_IbLb1EEEEDaSW_SX_EUlSW_E_NS1_11comp_targetILNS1_3genE8ELNS1_11target_archE1030ELNS1_3gpuE2ELNS1_3repE0EEENS1_30default_config_static_selectorELNS0_4arch9wavefront6targetE0EEEvT1_,@function
_ZN7rocprim17ROCPRIM_400000_NS6detail17trampoline_kernelINS0_14default_configENS1_27scan_by_key_config_selectorIifEEZZNS1_16scan_by_key_implILNS1_25lookback_scan_determinismE0ELb0ES3_N6thrust23THRUST_200600_302600_NS6detail15normal_iteratorINS9_10device_ptrIiEEEENSB_INSC_IfEEEESG_fNS9_4plusIvEENS9_8equal_toIvEEfEE10hipError_tPvRmT2_T3_T4_T5_mT6_T7_P12ihipStream_tbENKUlT_T0_E_clISt17integral_constantIbLb0EES10_IbLb1EEEEDaSW_SX_EUlSW_E_NS1_11comp_targetILNS1_3genE8ELNS1_11target_archE1030ELNS1_3gpuE2ELNS1_3repE0EEENS1_30default_config_static_selectorELNS0_4arch9wavefront6targetE0EEEvT1_: ; @_ZN7rocprim17ROCPRIM_400000_NS6detail17trampoline_kernelINS0_14default_configENS1_27scan_by_key_config_selectorIifEEZZNS1_16scan_by_key_implILNS1_25lookback_scan_determinismE0ELb0ES3_N6thrust23THRUST_200600_302600_NS6detail15normal_iteratorINS9_10device_ptrIiEEEENSB_INSC_IfEEEESG_fNS9_4plusIvEENS9_8equal_toIvEEfEE10hipError_tPvRmT2_T3_T4_T5_mT6_T7_P12ihipStream_tbENKUlT_T0_E_clISt17integral_constantIbLb0EES10_IbLb1EEEEDaSW_SX_EUlSW_E_NS1_11comp_targetILNS1_3genE8ELNS1_11target_archE1030ELNS1_3gpuE2ELNS1_3repE0EEENS1_30default_config_static_selectorELNS0_4arch9wavefront6targetE0EEEvT1_
; %bb.0:
	.section	.rodata,"a",@progbits
	.p2align	6, 0x0
	.amdhsa_kernel _ZN7rocprim17ROCPRIM_400000_NS6detail17trampoline_kernelINS0_14default_configENS1_27scan_by_key_config_selectorIifEEZZNS1_16scan_by_key_implILNS1_25lookback_scan_determinismE0ELb0ES3_N6thrust23THRUST_200600_302600_NS6detail15normal_iteratorINS9_10device_ptrIiEEEENSB_INSC_IfEEEESG_fNS9_4plusIvEENS9_8equal_toIvEEfEE10hipError_tPvRmT2_T3_T4_T5_mT6_T7_P12ihipStream_tbENKUlT_T0_E_clISt17integral_constantIbLb0EES10_IbLb1EEEEDaSW_SX_EUlSW_E_NS1_11comp_targetILNS1_3genE8ELNS1_11target_archE1030ELNS1_3gpuE2ELNS1_3repE0EEENS1_30default_config_static_selectorELNS0_4arch9wavefront6targetE0EEEvT1_
		.amdhsa_group_segment_fixed_size 0
		.amdhsa_private_segment_fixed_size 0
		.amdhsa_kernarg_size 112
		.amdhsa_user_sgpr_count 2
		.amdhsa_user_sgpr_dispatch_ptr 0
		.amdhsa_user_sgpr_queue_ptr 0
		.amdhsa_user_sgpr_kernarg_segment_ptr 1
		.amdhsa_user_sgpr_dispatch_id 0
		.amdhsa_user_sgpr_kernarg_preload_length 0
		.amdhsa_user_sgpr_kernarg_preload_offset 0
		.amdhsa_user_sgpr_private_segment_size 0
		.amdhsa_wavefront_size32 1
		.amdhsa_uses_dynamic_stack 0
		.amdhsa_enable_private_segment 0
		.amdhsa_system_sgpr_workgroup_id_x 1
		.amdhsa_system_sgpr_workgroup_id_y 0
		.amdhsa_system_sgpr_workgroup_id_z 0
		.amdhsa_system_sgpr_workgroup_info 0
		.amdhsa_system_vgpr_workitem_id 0
		.amdhsa_next_free_vgpr 1
		.amdhsa_next_free_sgpr 1
		.amdhsa_named_barrier_count 0
		.amdhsa_reserve_vcc 0
		.amdhsa_float_round_mode_32 0
		.amdhsa_float_round_mode_16_64 0
		.amdhsa_float_denorm_mode_32 3
		.amdhsa_float_denorm_mode_16_64 3
		.amdhsa_fp16_overflow 0
		.amdhsa_memory_ordered 1
		.amdhsa_forward_progress 1
		.amdhsa_inst_pref_size 0
		.amdhsa_round_robin_scheduling 0
		.amdhsa_exception_fp_ieee_invalid_op 0
		.amdhsa_exception_fp_denorm_src 0
		.amdhsa_exception_fp_ieee_div_zero 0
		.amdhsa_exception_fp_ieee_overflow 0
		.amdhsa_exception_fp_ieee_underflow 0
		.amdhsa_exception_fp_ieee_inexact 0
		.amdhsa_exception_int_div_zero 0
	.end_amdhsa_kernel
	.section	.text._ZN7rocprim17ROCPRIM_400000_NS6detail17trampoline_kernelINS0_14default_configENS1_27scan_by_key_config_selectorIifEEZZNS1_16scan_by_key_implILNS1_25lookback_scan_determinismE0ELb0ES3_N6thrust23THRUST_200600_302600_NS6detail15normal_iteratorINS9_10device_ptrIiEEEENSB_INSC_IfEEEESG_fNS9_4plusIvEENS9_8equal_toIvEEfEE10hipError_tPvRmT2_T3_T4_T5_mT6_T7_P12ihipStream_tbENKUlT_T0_E_clISt17integral_constantIbLb0EES10_IbLb1EEEEDaSW_SX_EUlSW_E_NS1_11comp_targetILNS1_3genE8ELNS1_11target_archE1030ELNS1_3gpuE2ELNS1_3repE0EEENS1_30default_config_static_selectorELNS0_4arch9wavefront6targetE0EEEvT1_,"axG",@progbits,_ZN7rocprim17ROCPRIM_400000_NS6detail17trampoline_kernelINS0_14default_configENS1_27scan_by_key_config_selectorIifEEZZNS1_16scan_by_key_implILNS1_25lookback_scan_determinismE0ELb0ES3_N6thrust23THRUST_200600_302600_NS6detail15normal_iteratorINS9_10device_ptrIiEEEENSB_INSC_IfEEEESG_fNS9_4plusIvEENS9_8equal_toIvEEfEE10hipError_tPvRmT2_T3_T4_T5_mT6_T7_P12ihipStream_tbENKUlT_T0_E_clISt17integral_constantIbLb0EES10_IbLb1EEEEDaSW_SX_EUlSW_E_NS1_11comp_targetILNS1_3genE8ELNS1_11target_archE1030ELNS1_3gpuE2ELNS1_3repE0EEENS1_30default_config_static_selectorELNS0_4arch9wavefront6targetE0EEEvT1_,comdat
.Lfunc_end1171:
	.size	_ZN7rocprim17ROCPRIM_400000_NS6detail17trampoline_kernelINS0_14default_configENS1_27scan_by_key_config_selectorIifEEZZNS1_16scan_by_key_implILNS1_25lookback_scan_determinismE0ELb0ES3_N6thrust23THRUST_200600_302600_NS6detail15normal_iteratorINS9_10device_ptrIiEEEENSB_INSC_IfEEEESG_fNS9_4plusIvEENS9_8equal_toIvEEfEE10hipError_tPvRmT2_T3_T4_T5_mT6_T7_P12ihipStream_tbENKUlT_T0_E_clISt17integral_constantIbLb0EES10_IbLb1EEEEDaSW_SX_EUlSW_E_NS1_11comp_targetILNS1_3genE8ELNS1_11target_archE1030ELNS1_3gpuE2ELNS1_3repE0EEENS1_30default_config_static_selectorELNS0_4arch9wavefront6targetE0EEEvT1_, .Lfunc_end1171-_ZN7rocprim17ROCPRIM_400000_NS6detail17trampoline_kernelINS0_14default_configENS1_27scan_by_key_config_selectorIifEEZZNS1_16scan_by_key_implILNS1_25lookback_scan_determinismE0ELb0ES3_N6thrust23THRUST_200600_302600_NS6detail15normal_iteratorINS9_10device_ptrIiEEEENSB_INSC_IfEEEESG_fNS9_4plusIvEENS9_8equal_toIvEEfEE10hipError_tPvRmT2_T3_T4_T5_mT6_T7_P12ihipStream_tbENKUlT_T0_E_clISt17integral_constantIbLb0EES10_IbLb1EEEEDaSW_SX_EUlSW_E_NS1_11comp_targetILNS1_3genE8ELNS1_11target_archE1030ELNS1_3gpuE2ELNS1_3repE0EEENS1_30default_config_static_selectorELNS0_4arch9wavefront6targetE0EEEvT1_
                                        ; -- End function
	.set _ZN7rocprim17ROCPRIM_400000_NS6detail17trampoline_kernelINS0_14default_configENS1_27scan_by_key_config_selectorIifEEZZNS1_16scan_by_key_implILNS1_25lookback_scan_determinismE0ELb0ES3_N6thrust23THRUST_200600_302600_NS6detail15normal_iteratorINS9_10device_ptrIiEEEENSB_INSC_IfEEEESG_fNS9_4plusIvEENS9_8equal_toIvEEfEE10hipError_tPvRmT2_T3_T4_T5_mT6_T7_P12ihipStream_tbENKUlT_T0_E_clISt17integral_constantIbLb0EES10_IbLb1EEEEDaSW_SX_EUlSW_E_NS1_11comp_targetILNS1_3genE8ELNS1_11target_archE1030ELNS1_3gpuE2ELNS1_3repE0EEENS1_30default_config_static_selectorELNS0_4arch9wavefront6targetE0EEEvT1_.num_vgpr, 0
	.set _ZN7rocprim17ROCPRIM_400000_NS6detail17trampoline_kernelINS0_14default_configENS1_27scan_by_key_config_selectorIifEEZZNS1_16scan_by_key_implILNS1_25lookback_scan_determinismE0ELb0ES3_N6thrust23THRUST_200600_302600_NS6detail15normal_iteratorINS9_10device_ptrIiEEEENSB_INSC_IfEEEESG_fNS9_4plusIvEENS9_8equal_toIvEEfEE10hipError_tPvRmT2_T3_T4_T5_mT6_T7_P12ihipStream_tbENKUlT_T0_E_clISt17integral_constantIbLb0EES10_IbLb1EEEEDaSW_SX_EUlSW_E_NS1_11comp_targetILNS1_3genE8ELNS1_11target_archE1030ELNS1_3gpuE2ELNS1_3repE0EEENS1_30default_config_static_selectorELNS0_4arch9wavefront6targetE0EEEvT1_.num_agpr, 0
	.set _ZN7rocprim17ROCPRIM_400000_NS6detail17trampoline_kernelINS0_14default_configENS1_27scan_by_key_config_selectorIifEEZZNS1_16scan_by_key_implILNS1_25lookback_scan_determinismE0ELb0ES3_N6thrust23THRUST_200600_302600_NS6detail15normal_iteratorINS9_10device_ptrIiEEEENSB_INSC_IfEEEESG_fNS9_4plusIvEENS9_8equal_toIvEEfEE10hipError_tPvRmT2_T3_T4_T5_mT6_T7_P12ihipStream_tbENKUlT_T0_E_clISt17integral_constantIbLb0EES10_IbLb1EEEEDaSW_SX_EUlSW_E_NS1_11comp_targetILNS1_3genE8ELNS1_11target_archE1030ELNS1_3gpuE2ELNS1_3repE0EEENS1_30default_config_static_selectorELNS0_4arch9wavefront6targetE0EEEvT1_.numbered_sgpr, 0
	.set _ZN7rocprim17ROCPRIM_400000_NS6detail17trampoline_kernelINS0_14default_configENS1_27scan_by_key_config_selectorIifEEZZNS1_16scan_by_key_implILNS1_25lookback_scan_determinismE0ELb0ES3_N6thrust23THRUST_200600_302600_NS6detail15normal_iteratorINS9_10device_ptrIiEEEENSB_INSC_IfEEEESG_fNS9_4plusIvEENS9_8equal_toIvEEfEE10hipError_tPvRmT2_T3_T4_T5_mT6_T7_P12ihipStream_tbENKUlT_T0_E_clISt17integral_constantIbLb0EES10_IbLb1EEEEDaSW_SX_EUlSW_E_NS1_11comp_targetILNS1_3genE8ELNS1_11target_archE1030ELNS1_3gpuE2ELNS1_3repE0EEENS1_30default_config_static_selectorELNS0_4arch9wavefront6targetE0EEEvT1_.num_named_barrier, 0
	.set _ZN7rocprim17ROCPRIM_400000_NS6detail17trampoline_kernelINS0_14default_configENS1_27scan_by_key_config_selectorIifEEZZNS1_16scan_by_key_implILNS1_25lookback_scan_determinismE0ELb0ES3_N6thrust23THRUST_200600_302600_NS6detail15normal_iteratorINS9_10device_ptrIiEEEENSB_INSC_IfEEEESG_fNS9_4plusIvEENS9_8equal_toIvEEfEE10hipError_tPvRmT2_T3_T4_T5_mT6_T7_P12ihipStream_tbENKUlT_T0_E_clISt17integral_constantIbLb0EES10_IbLb1EEEEDaSW_SX_EUlSW_E_NS1_11comp_targetILNS1_3genE8ELNS1_11target_archE1030ELNS1_3gpuE2ELNS1_3repE0EEENS1_30default_config_static_selectorELNS0_4arch9wavefront6targetE0EEEvT1_.private_seg_size, 0
	.set _ZN7rocprim17ROCPRIM_400000_NS6detail17trampoline_kernelINS0_14default_configENS1_27scan_by_key_config_selectorIifEEZZNS1_16scan_by_key_implILNS1_25lookback_scan_determinismE0ELb0ES3_N6thrust23THRUST_200600_302600_NS6detail15normal_iteratorINS9_10device_ptrIiEEEENSB_INSC_IfEEEESG_fNS9_4plusIvEENS9_8equal_toIvEEfEE10hipError_tPvRmT2_T3_T4_T5_mT6_T7_P12ihipStream_tbENKUlT_T0_E_clISt17integral_constantIbLb0EES10_IbLb1EEEEDaSW_SX_EUlSW_E_NS1_11comp_targetILNS1_3genE8ELNS1_11target_archE1030ELNS1_3gpuE2ELNS1_3repE0EEENS1_30default_config_static_selectorELNS0_4arch9wavefront6targetE0EEEvT1_.uses_vcc, 0
	.set _ZN7rocprim17ROCPRIM_400000_NS6detail17trampoline_kernelINS0_14default_configENS1_27scan_by_key_config_selectorIifEEZZNS1_16scan_by_key_implILNS1_25lookback_scan_determinismE0ELb0ES3_N6thrust23THRUST_200600_302600_NS6detail15normal_iteratorINS9_10device_ptrIiEEEENSB_INSC_IfEEEESG_fNS9_4plusIvEENS9_8equal_toIvEEfEE10hipError_tPvRmT2_T3_T4_T5_mT6_T7_P12ihipStream_tbENKUlT_T0_E_clISt17integral_constantIbLb0EES10_IbLb1EEEEDaSW_SX_EUlSW_E_NS1_11comp_targetILNS1_3genE8ELNS1_11target_archE1030ELNS1_3gpuE2ELNS1_3repE0EEENS1_30default_config_static_selectorELNS0_4arch9wavefront6targetE0EEEvT1_.uses_flat_scratch, 0
	.set _ZN7rocprim17ROCPRIM_400000_NS6detail17trampoline_kernelINS0_14default_configENS1_27scan_by_key_config_selectorIifEEZZNS1_16scan_by_key_implILNS1_25lookback_scan_determinismE0ELb0ES3_N6thrust23THRUST_200600_302600_NS6detail15normal_iteratorINS9_10device_ptrIiEEEENSB_INSC_IfEEEESG_fNS9_4plusIvEENS9_8equal_toIvEEfEE10hipError_tPvRmT2_T3_T4_T5_mT6_T7_P12ihipStream_tbENKUlT_T0_E_clISt17integral_constantIbLb0EES10_IbLb1EEEEDaSW_SX_EUlSW_E_NS1_11comp_targetILNS1_3genE8ELNS1_11target_archE1030ELNS1_3gpuE2ELNS1_3repE0EEENS1_30default_config_static_selectorELNS0_4arch9wavefront6targetE0EEEvT1_.has_dyn_sized_stack, 0
	.set _ZN7rocprim17ROCPRIM_400000_NS6detail17trampoline_kernelINS0_14default_configENS1_27scan_by_key_config_selectorIifEEZZNS1_16scan_by_key_implILNS1_25lookback_scan_determinismE0ELb0ES3_N6thrust23THRUST_200600_302600_NS6detail15normal_iteratorINS9_10device_ptrIiEEEENSB_INSC_IfEEEESG_fNS9_4plusIvEENS9_8equal_toIvEEfEE10hipError_tPvRmT2_T3_T4_T5_mT6_T7_P12ihipStream_tbENKUlT_T0_E_clISt17integral_constantIbLb0EES10_IbLb1EEEEDaSW_SX_EUlSW_E_NS1_11comp_targetILNS1_3genE8ELNS1_11target_archE1030ELNS1_3gpuE2ELNS1_3repE0EEENS1_30default_config_static_selectorELNS0_4arch9wavefront6targetE0EEEvT1_.has_recursion, 0
	.set _ZN7rocprim17ROCPRIM_400000_NS6detail17trampoline_kernelINS0_14default_configENS1_27scan_by_key_config_selectorIifEEZZNS1_16scan_by_key_implILNS1_25lookback_scan_determinismE0ELb0ES3_N6thrust23THRUST_200600_302600_NS6detail15normal_iteratorINS9_10device_ptrIiEEEENSB_INSC_IfEEEESG_fNS9_4plusIvEENS9_8equal_toIvEEfEE10hipError_tPvRmT2_T3_T4_T5_mT6_T7_P12ihipStream_tbENKUlT_T0_E_clISt17integral_constantIbLb0EES10_IbLb1EEEEDaSW_SX_EUlSW_E_NS1_11comp_targetILNS1_3genE8ELNS1_11target_archE1030ELNS1_3gpuE2ELNS1_3repE0EEENS1_30default_config_static_selectorELNS0_4arch9wavefront6targetE0EEEvT1_.has_indirect_call, 0
	.section	.AMDGPU.csdata,"",@progbits
; Kernel info:
; codeLenInByte = 0
; TotalNumSgprs: 0
; NumVgprs: 0
; ScratchSize: 0
; MemoryBound: 0
; FloatMode: 240
; IeeeMode: 1
; LDSByteSize: 0 bytes/workgroup (compile time only)
; SGPRBlocks: 0
; VGPRBlocks: 0
; NumSGPRsForWavesPerEU: 1
; NumVGPRsForWavesPerEU: 1
; NamedBarCnt: 0
; Occupancy: 16
; WaveLimiterHint : 0
; COMPUTE_PGM_RSRC2:SCRATCH_EN: 0
; COMPUTE_PGM_RSRC2:USER_SGPR: 2
; COMPUTE_PGM_RSRC2:TRAP_HANDLER: 0
; COMPUTE_PGM_RSRC2:TGID_X_EN: 1
; COMPUTE_PGM_RSRC2:TGID_Y_EN: 0
; COMPUTE_PGM_RSRC2:TGID_Z_EN: 0
; COMPUTE_PGM_RSRC2:TIDIG_COMP_CNT: 0
	.section	.text._ZN6thrust23THRUST_200600_302600_NS11hip_rocprim14__parallel_for6kernelILj256ENS1_11__transform17unary_transform_fINS0_7pointerIiNS1_3tagENS0_11use_defaultES8_EENS0_10device_ptrIyEENS4_14no_stencil_tagENS0_8identityIiEENS4_21always_true_predicateEEElLj1EEEvT0_T1_SI_,"axG",@progbits,_ZN6thrust23THRUST_200600_302600_NS11hip_rocprim14__parallel_for6kernelILj256ENS1_11__transform17unary_transform_fINS0_7pointerIiNS1_3tagENS0_11use_defaultES8_EENS0_10device_ptrIyEENS4_14no_stencil_tagENS0_8identityIiEENS4_21always_true_predicateEEElLj1EEEvT0_T1_SI_,comdat
	.protected	_ZN6thrust23THRUST_200600_302600_NS11hip_rocprim14__parallel_for6kernelILj256ENS1_11__transform17unary_transform_fINS0_7pointerIiNS1_3tagENS0_11use_defaultES8_EENS0_10device_ptrIyEENS4_14no_stencil_tagENS0_8identityIiEENS4_21always_true_predicateEEElLj1EEEvT0_T1_SI_ ; -- Begin function _ZN6thrust23THRUST_200600_302600_NS11hip_rocprim14__parallel_for6kernelILj256ENS1_11__transform17unary_transform_fINS0_7pointerIiNS1_3tagENS0_11use_defaultES8_EENS0_10device_ptrIyEENS4_14no_stencil_tagENS0_8identityIiEENS4_21always_true_predicateEEElLj1EEEvT0_T1_SI_
	.globl	_ZN6thrust23THRUST_200600_302600_NS11hip_rocprim14__parallel_for6kernelILj256ENS1_11__transform17unary_transform_fINS0_7pointerIiNS1_3tagENS0_11use_defaultES8_EENS0_10device_ptrIyEENS4_14no_stencil_tagENS0_8identityIiEENS4_21always_true_predicateEEElLj1EEEvT0_T1_SI_
	.p2align	8
	.type	_ZN6thrust23THRUST_200600_302600_NS11hip_rocprim14__parallel_for6kernelILj256ENS1_11__transform17unary_transform_fINS0_7pointerIiNS1_3tagENS0_11use_defaultES8_EENS0_10device_ptrIyEENS4_14no_stencil_tagENS0_8identityIiEENS4_21always_true_predicateEEElLj1EEEvT0_T1_SI_,@function
_ZN6thrust23THRUST_200600_302600_NS11hip_rocprim14__parallel_for6kernelILj256ENS1_11__transform17unary_transform_fINS0_7pointerIiNS1_3tagENS0_11use_defaultES8_EENS0_10device_ptrIyEENS4_14no_stencil_tagENS0_8identityIiEENS4_21always_true_predicateEEElLj1EEEvT0_T1_SI_: ; @_ZN6thrust23THRUST_200600_302600_NS11hip_rocprim14__parallel_for6kernelILj256ENS1_11__transform17unary_transform_fINS0_7pointerIiNS1_3tagENS0_11use_defaultES8_EENS0_10device_ptrIyEENS4_14no_stencil_tagENS0_8identityIiEENS4_21always_true_predicateEEElLj1EEEvT0_T1_SI_
; %bb.0:
	s_load_b128 s[4:7], s[0:1], 0x18
	s_bfe_u32 s2, ttmp6, 0x4000c
	s_and_b32 s3, ttmp6, 15
	s_add_co_i32 s2, s2, 1
	s_getreg_b32 s8, hwreg(HW_REG_IB_STS2, 6, 4)
	s_mul_i32 s2, ttmp9, s2
	s_delay_alu instid0(SALU_CYCLE_1)
	s_add_co_i32 s3, s3, s2
	s_cmp_eq_u32 s8, 0
	s_cselect_b32 s2, ttmp9, s3
	s_mov_b32 s3, 0
	s_lshl_b32 s2, s2, 8
	s_wait_kmcnt 0x0
	s_add_nc_u64 s[2:3], s[6:7], s[2:3]
	s_delay_alu instid0(SALU_CYCLE_1) | instskip(NEXT) | instid1(SALU_CYCLE_1)
	s_sub_nc_u64 s[4:5], s[4:5], s[2:3]
	v_min_i64 v[2:3], 0x100, s[4:5]
	s_load_b128 s[4:7], s[0:1], 0x0
	s_wait_xcnt 0x0
	s_mov_b32 s0, -1
	s_delay_alu instid0(VALU_DEP_1)
	v_cmp_eq_u32_e32 vcc_lo, 0x100, v2
	s_cbranch_vccz .LBB1172_3
; %bb.1:
	s_and_not1_b32 vcc_lo, exec_lo, s0
	s_cbranch_vccz .LBB1172_6
.LBB1172_2:
	s_endpgm
.LBB1172_3:
	s_mov_b32 s0, exec_lo
	v_cmpx_lt_u32_e64 v0, v2
	s_cbranch_execz .LBB1172_5
; %bb.4:
	v_mov_b32_e32 v1, 0
	s_delay_alu instid0(VALU_DEP_1) | instskip(SKIP_1) | instid1(VALU_DEP_1)
	v_add_nc_u64_e32 v[2:3], s[2:3], v[0:1]
	s_wait_kmcnt 0x0
	v_lshl_add_u64 v[4:5], v[2:3], 2, s[4:5]
	v_lshl_add_u64 v[2:3], v[2:3], 3, s[6:7]
	flat_load_b32 v4, v[4:5]
	s_wait_loadcnt_dscnt 0x0
	v_ashrrev_i32_e32 v5, 31, v4
	flat_store_b64 v[2:3], v[4:5]
.LBB1172_5:
	s_wait_xcnt 0x0
	s_or_b32 exec_lo, exec_lo, s0
	s_cbranch_execnz .LBB1172_2
.LBB1172_6:
	v_mov_b32_e32 v1, 0
	s_delay_alu instid0(VALU_DEP_1) | instskip(SKIP_1) | instid1(VALU_DEP_1)
	v_add_nc_u64_e32 v[0:1], s[2:3], v[0:1]
	s_wait_kmcnt 0x0
	v_lshl_add_u64 v[2:3], v[0:1], 2, s[4:5]
	v_lshl_add_u64 v[0:1], v[0:1], 3, s[6:7]
	flat_load_b32 v2, v[2:3]
	s_wait_loadcnt_dscnt 0x0
	v_ashrrev_i32_e32 v3, 31, v2
	flat_store_b64 v[0:1], v[2:3]
	s_endpgm
	.section	.rodata,"a",@progbits
	.p2align	6, 0x0
	.amdhsa_kernel _ZN6thrust23THRUST_200600_302600_NS11hip_rocprim14__parallel_for6kernelILj256ENS1_11__transform17unary_transform_fINS0_7pointerIiNS1_3tagENS0_11use_defaultES8_EENS0_10device_ptrIyEENS4_14no_stencil_tagENS0_8identityIiEENS4_21always_true_predicateEEElLj1EEEvT0_T1_SI_
		.amdhsa_group_segment_fixed_size 0
		.amdhsa_private_segment_fixed_size 0
		.amdhsa_kernarg_size 40
		.amdhsa_user_sgpr_count 2
		.amdhsa_user_sgpr_dispatch_ptr 0
		.amdhsa_user_sgpr_queue_ptr 0
		.amdhsa_user_sgpr_kernarg_segment_ptr 1
		.amdhsa_user_sgpr_dispatch_id 0
		.amdhsa_user_sgpr_kernarg_preload_length 0
		.amdhsa_user_sgpr_kernarg_preload_offset 0
		.amdhsa_user_sgpr_private_segment_size 0
		.amdhsa_wavefront_size32 1
		.amdhsa_uses_dynamic_stack 0
		.amdhsa_enable_private_segment 0
		.amdhsa_system_sgpr_workgroup_id_x 1
		.amdhsa_system_sgpr_workgroup_id_y 0
		.amdhsa_system_sgpr_workgroup_id_z 0
		.amdhsa_system_sgpr_workgroup_info 0
		.amdhsa_system_vgpr_workitem_id 0
		.amdhsa_next_free_vgpr 6
		.amdhsa_next_free_sgpr 9
		.amdhsa_named_barrier_count 0
		.amdhsa_reserve_vcc 1
		.amdhsa_float_round_mode_32 0
		.amdhsa_float_round_mode_16_64 0
		.amdhsa_float_denorm_mode_32 3
		.amdhsa_float_denorm_mode_16_64 3
		.amdhsa_fp16_overflow 0
		.amdhsa_memory_ordered 1
		.amdhsa_forward_progress 1
		.amdhsa_inst_pref_size 3
		.amdhsa_round_robin_scheduling 0
		.amdhsa_exception_fp_ieee_invalid_op 0
		.amdhsa_exception_fp_denorm_src 0
		.amdhsa_exception_fp_ieee_div_zero 0
		.amdhsa_exception_fp_ieee_overflow 0
		.amdhsa_exception_fp_ieee_underflow 0
		.amdhsa_exception_fp_ieee_inexact 0
		.amdhsa_exception_int_div_zero 0
	.end_amdhsa_kernel
	.section	.text._ZN6thrust23THRUST_200600_302600_NS11hip_rocprim14__parallel_for6kernelILj256ENS1_11__transform17unary_transform_fINS0_7pointerIiNS1_3tagENS0_11use_defaultES8_EENS0_10device_ptrIyEENS4_14no_stencil_tagENS0_8identityIiEENS4_21always_true_predicateEEElLj1EEEvT0_T1_SI_,"axG",@progbits,_ZN6thrust23THRUST_200600_302600_NS11hip_rocprim14__parallel_for6kernelILj256ENS1_11__transform17unary_transform_fINS0_7pointerIiNS1_3tagENS0_11use_defaultES8_EENS0_10device_ptrIyEENS4_14no_stencil_tagENS0_8identityIiEENS4_21always_true_predicateEEElLj1EEEvT0_T1_SI_,comdat
.Lfunc_end1172:
	.size	_ZN6thrust23THRUST_200600_302600_NS11hip_rocprim14__parallel_for6kernelILj256ENS1_11__transform17unary_transform_fINS0_7pointerIiNS1_3tagENS0_11use_defaultES8_EENS0_10device_ptrIyEENS4_14no_stencil_tagENS0_8identityIiEENS4_21always_true_predicateEEElLj1EEEvT0_T1_SI_, .Lfunc_end1172-_ZN6thrust23THRUST_200600_302600_NS11hip_rocprim14__parallel_for6kernelILj256ENS1_11__transform17unary_transform_fINS0_7pointerIiNS1_3tagENS0_11use_defaultES8_EENS0_10device_ptrIyEENS4_14no_stencil_tagENS0_8identityIiEENS4_21always_true_predicateEEElLj1EEEvT0_T1_SI_
                                        ; -- End function
	.set _ZN6thrust23THRUST_200600_302600_NS11hip_rocprim14__parallel_for6kernelILj256ENS1_11__transform17unary_transform_fINS0_7pointerIiNS1_3tagENS0_11use_defaultES8_EENS0_10device_ptrIyEENS4_14no_stencil_tagENS0_8identityIiEENS4_21always_true_predicateEEElLj1EEEvT0_T1_SI_.num_vgpr, 6
	.set _ZN6thrust23THRUST_200600_302600_NS11hip_rocprim14__parallel_for6kernelILj256ENS1_11__transform17unary_transform_fINS0_7pointerIiNS1_3tagENS0_11use_defaultES8_EENS0_10device_ptrIyEENS4_14no_stencil_tagENS0_8identityIiEENS4_21always_true_predicateEEElLj1EEEvT0_T1_SI_.num_agpr, 0
	.set _ZN6thrust23THRUST_200600_302600_NS11hip_rocprim14__parallel_for6kernelILj256ENS1_11__transform17unary_transform_fINS0_7pointerIiNS1_3tagENS0_11use_defaultES8_EENS0_10device_ptrIyEENS4_14no_stencil_tagENS0_8identityIiEENS4_21always_true_predicateEEElLj1EEEvT0_T1_SI_.numbered_sgpr, 9
	.set _ZN6thrust23THRUST_200600_302600_NS11hip_rocprim14__parallel_for6kernelILj256ENS1_11__transform17unary_transform_fINS0_7pointerIiNS1_3tagENS0_11use_defaultES8_EENS0_10device_ptrIyEENS4_14no_stencil_tagENS0_8identityIiEENS4_21always_true_predicateEEElLj1EEEvT0_T1_SI_.num_named_barrier, 0
	.set _ZN6thrust23THRUST_200600_302600_NS11hip_rocprim14__parallel_for6kernelILj256ENS1_11__transform17unary_transform_fINS0_7pointerIiNS1_3tagENS0_11use_defaultES8_EENS0_10device_ptrIyEENS4_14no_stencil_tagENS0_8identityIiEENS4_21always_true_predicateEEElLj1EEEvT0_T1_SI_.private_seg_size, 0
	.set _ZN6thrust23THRUST_200600_302600_NS11hip_rocprim14__parallel_for6kernelILj256ENS1_11__transform17unary_transform_fINS0_7pointerIiNS1_3tagENS0_11use_defaultES8_EENS0_10device_ptrIyEENS4_14no_stencil_tagENS0_8identityIiEENS4_21always_true_predicateEEElLj1EEEvT0_T1_SI_.uses_vcc, 1
	.set _ZN6thrust23THRUST_200600_302600_NS11hip_rocprim14__parallel_for6kernelILj256ENS1_11__transform17unary_transform_fINS0_7pointerIiNS1_3tagENS0_11use_defaultES8_EENS0_10device_ptrIyEENS4_14no_stencil_tagENS0_8identityIiEENS4_21always_true_predicateEEElLj1EEEvT0_T1_SI_.uses_flat_scratch, 0
	.set _ZN6thrust23THRUST_200600_302600_NS11hip_rocprim14__parallel_for6kernelILj256ENS1_11__transform17unary_transform_fINS0_7pointerIiNS1_3tagENS0_11use_defaultES8_EENS0_10device_ptrIyEENS4_14no_stencil_tagENS0_8identityIiEENS4_21always_true_predicateEEElLj1EEEvT0_T1_SI_.has_dyn_sized_stack, 0
	.set _ZN6thrust23THRUST_200600_302600_NS11hip_rocprim14__parallel_for6kernelILj256ENS1_11__transform17unary_transform_fINS0_7pointerIiNS1_3tagENS0_11use_defaultES8_EENS0_10device_ptrIyEENS4_14no_stencil_tagENS0_8identityIiEENS4_21always_true_predicateEEElLj1EEEvT0_T1_SI_.has_recursion, 0
	.set _ZN6thrust23THRUST_200600_302600_NS11hip_rocprim14__parallel_for6kernelILj256ENS1_11__transform17unary_transform_fINS0_7pointerIiNS1_3tagENS0_11use_defaultES8_EENS0_10device_ptrIyEENS4_14no_stencil_tagENS0_8identityIiEENS4_21always_true_predicateEEElLj1EEEvT0_T1_SI_.has_indirect_call, 0
	.section	.AMDGPU.csdata,"",@progbits
; Kernel info:
; codeLenInByte = 288
; TotalNumSgprs: 11
; NumVgprs: 6
; ScratchSize: 0
; MemoryBound: 0
; FloatMode: 240
; IeeeMode: 1
; LDSByteSize: 0 bytes/workgroup (compile time only)
; SGPRBlocks: 0
; VGPRBlocks: 0
; NumSGPRsForWavesPerEU: 11
; NumVGPRsForWavesPerEU: 6
; NamedBarCnt: 0
; Occupancy: 16
; WaveLimiterHint : 0
; COMPUTE_PGM_RSRC2:SCRATCH_EN: 0
; COMPUTE_PGM_RSRC2:USER_SGPR: 2
; COMPUTE_PGM_RSRC2:TRAP_HANDLER: 0
; COMPUTE_PGM_RSRC2:TGID_X_EN: 1
; COMPUTE_PGM_RSRC2:TGID_Y_EN: 0
; COMPUTE_PGM_RSRC2:TGID_Z_EN: 0
; COMPUTE_PGM_RSRC2:TIDIG_COMP_CNT: 0
	.section	.text._ZN6thrust23THRUST_200600_302600_NS11hip_rocprim14__parallel_for6kernelILj256ENS1_20__uninitialized_fill7functorINS0_10device_ptrIyEEyEEmLj1EEEvT0_T1_SA_,"axG",@progbits,_ZN6thrust23THRUST_200600_302600_NS11hip_rocprim14__parallel_for6kernelILj256ENS1_20__uninitialized_fill7functorINS0_10device_ptrIyEEyEEmLj1EEEvT0_T1_SA_,comdat
	.protected	_ZN6thrust23THRUST_200600_302600_NS11hip_rocprim14__parallel_for6kernelILj256ENS1_20__uninitialized_fill7functorINS0_10device_ptrIyEEyEEmLj1EEEvT0_T1_SA_ ; -- Begin function _ZN6thrust23THRUST_200600_302600_NS11hip_rocprim14__parallel_for6kernelILj256ENS1_20__uninitialized_fill7functorINS0_10device_ptrIyEEyEEmLj1EEEvT0_T1_SA_
	.globl	_ZN6thrust23THRUST_200600_302600_NS11hip_rocprim14__parallel_for6kernelILj256ENS1_20__uninitialized_fill7functorINS0_10device_ptrIyEEyEEmLj1EEEvT0_T1_SA_
	.p2align	8
	.type	_ZN6thrust23THRUST_200600_302600_NS11hip_rocprim14__parallel_for6kernelILj256ENS1_20__uninitialized_fill7functorINS0_10device_ptrIyEEyEEmLj1EEEvT0_T1_SA_,@function
_ZN6thrust23THRUST_200600_302600_NS11hip_rocprim14__parallel_for6kernelILj256ENS1_20__uninitialized_fill7functorINS0_10device_ptrIyEEyEEmLj1EEEvT0_T1_SA_: ; @_ZN6thrust23THRUST_200600_302600_NS11hip_rocprim14__parallel_for6kernelILj256ENS1_20__uninitialized_fill7functorINS0_10device_ptrIyEEyEEmLj1EEEvT0_T1_SA_
; %bb.0:
	s_load_b256 s[4:11], s[0:1], 0x0
	s_wait_xcnt 0x0
	s_bfe_u32 s0, ttmp6, 0x4000c
	s_and_b32 s1, ttmp6, 15
	s_add_co_i32 s0, s0, 1
	s_getreg_b32 s2, hwreg(HW_REG_IB_STS2, 6, 4)
	s_mul_i32 s0, ttmp9, s0
	s_delay_alu instid0(SALU_CYCLE_1)
	s_add_co_i32 s1, s1, s0
	s_cmp_eq_u32 s2, 0
	s_cselect_b32 s0, ttmp9, s1
	s_mov_b32 s1, 0
	s_lshl_b32 s0, s0, 8
	s_wait_kmcnt 0x0
	s_add_nc_u64 s[0:1], s[10:11], s[0:1]
	s_delay_alu instid0(SALU_CYCLE_1) | instskip(NEXT) | instid1(SALU_CYCLE_1)
	s_sub_nc_u64 s[2:3], s[8:9], s[0:1]
	v_cmp_lt_u64_e64 s3, 0xff, s[2:3]
	s_and_b32 vcc_lo, exec_lo, s3
	s_mov_b32 s3, -1
	s_cbranch_vccz .LBB1173_3
; %bb.1:
	s_and_not1_b32 vcc_lo, exec_lo, s3
	s_cbranch_vccz .LBB1173_6
.LBB1173_2:
	s_endpgm
.LBB1173_3:
	v_cmp_gt_u32_e32 vcc_lo, s2, v0
	s_and_saveexec_b32 s2, vcc_lo
	s_cbranch_execz .LBB1173_5
; %bb.4:
	v_mov_b64_e32 v[2:3], s[6:7]
	s_lshl_b64 s[8:9], s[0:1], 3
	s_delay_alu instid0(SALU_CYCLE_1)
	s_add_nc_u64 s[8:9], s[4:5], s[8:9]
	flat_store_b64 v0, v[2:3], s[8:9] scale_offset
.LBB1173_5:
	s_wait_xcnt 0x0
	s_or_b32 exec_lo, exec_lo, s2
	s_cbranch_execnz .LBB1173_2
.LBB1173_6:
	v_mov_b64_e32 v[2:3], s[6:7]
	s_lshl_b64 s[0:1], s[0:1], 3
	s_delay_alu instid0(SALU_CYCLE_1)
	s_add_nc_u64 s[0:1], s[4:5], s[0:1]
	flat_store_b64 v0, v[2:3], s[0:1] scale_offset
	s_endpgm
	.section	.rodata,"a",@progbits
	.p2align	6, 0x0
	.amdhsa_kernel _ZN6thrust23THRUST_200600_302600_NS11hip_rocprim14__parallel_for6kernelILj256ENS1_20__uninitialized_fill7functorINS0_10device_ptrIyEEyEEmLj1EEEvT0_T1_SA_
		.amdhsa_group_segment_fixed_size 0
		.amdhsa_private_segment_fixed_size 0
		.amdhsa_kernarg_size 32
		.amdhsa_user_sgpr_count 2
		.amdhsa_user_sgpr_dispatch_ptr 0
		.amdhsa_user_sgpr_queue_ptr 0
		.amdhsa_user_sgpr_kernarg_segment_ptr 1
		.amdhsa_user_sgpr_dispatch_id 0
		.amdhsa_user_sgpr_kernarg_preload_length 0
		.amdhsa_user_sgpr_kernarg_preload_offset 0
		.amdhsa_user_sgpr_private_segment_size 0
		.amdhsa_wavefront_size32 1
		.amdhsa_uses_dynamic_stack 0
		.amdhsa_enable_private_segment 0
		.amdhsa_system_sgpr_workgroup_id_x 1
		.amdhsa_system_sgpr_workgroup_id_y 0
		.amdhsa_system_sgpr_workgroup_id_z 0
		.amdhsa_system_sgpr_workgroup_info 0
		.amdhsa_system_vgpr_workitem_id 0
		.amdhsa_next_free_vgpr 4
		.amdhsa_next_free_sgpr 12
		.amdhsa_named_barrier_count 0
		.amdhsa_reserve_vcc 1
		.amdhsa_float_round_mode_32 0
		.amdhsa_float_round_mode_16_64 0
		.amdhsa_float_denorm_mode_32 3
		.amdhsa_float_denorm_mode_16_64 3
		.amdhsa_fp16_overflow 0
		.amdhsa_memory_ordered 1
		.amdhsa_forward_progress 1
		.amdhsa_inst_pref_size 2
		.amdhsa_round_robin_scheduling 0
		.amdhsa_exception_fp_ieee_invalid_op 0
		.amdhsa_exception_fp_denorm_src 0
		.amdhsa_exception_fp_ieee_div_zero 0
		.amdhsa_exception_fp_ieee_overflow 0
		.amdhsa_exception_fp_ieee_underflow 0
		.amdhsa_exception_fp_ieee_inexact 0
		.amdhsa_exception_int_div_zero 0
	.end_amdhsa_kernel
	.section	.text._ZN6thrust23THRUST_200600_302600_NS11hip_rocprim14__parallel_for6kernelILj256ENS1_20__uninitialized_fill7functorINS0_10device_ptrIyEEyEEmLj1EEEvT0_T1_SA_,"axG",@progbits,_ZN6thrust23THRUST_200600_302600_NS11hip_rocprim14__parallel_for6kernelILj256ENS1_20__uninitialized_fill7functorINS0_10device_ptrIyEEyEEmLj1EEEvT0_T1_SA_,comdat
.Lfunc_end1173:
	.size	_ZN6thrust23THRUST_200600_302600_NS11hip_rocprim14__parallel_for6kernelILj256ENS1_20__uninitialized_fill7functorINS0_10device_ptrIyEEyEEmLj1EEEvT0_T1_SA_, .Lfunc_end1173-_ZN6thrust23THRUST_200600_302600_NS11hip_rocprim14__parallel_for6kernelILj256ENS1_20__uninitialized_fill7functorINS0_10device_ptrIyEEyEEmLj1EEEvT0_T1_SA_
                                        ; -- End function
	.set _ZN6thrust23THRUST_200600_302600_NS11hip_rocprim14__parallel_for6kernelILj256ENS1_20__uninitialized_fill7functorINS0_10device_ptrIyEEyEEmLj1EEEvT0_T1_SA_.num_vgpr, 4
	.set _ZN6thrust23THRUST_200600_302600_NS11hip_rocprim14__parallel_for6kernelILj256ENS1_20__uninitialized_fill7functorINS0_10device_ptrIyEEyEEmLj1EEEvT0_T1_SA_.num_agpr, 0
	.set _ZN6thrust23THRUST_200600_302600_NS11hip_rocprim14__parallel_for6kernelILj256ENS1_20__uninitialized_fill7functorINS0_10device_ptrIyEEyEEmLj1EEEvT0_T1_SA_.numbered_sgpr, 12
	.set _ZN6thrust23THRUST_200600_302600_NS11hip_rocprim14__parallel_for6kernelILj256ENS1_20__uninitialized_fill7functorINS0_10device_ptrIyEEyEEmLj1EEEvT0_T1_SA_.num_named_barrier, 0
	.set _ZN6thrust23THRUST_200600_302600_NS11hip_rocprim14__parallel_for6kernelILj256ENS1_20__uninitialized_fill7functorINS0_10device_ptrIyEEyEEmLj1EEEvT0_T1_SA_.private_seg_size, 0
	.set _ZN6thrust23THRUST_200600_302600_NS11hip_rocprim14__parallel_for6kernelILj256ENS1_20__uninitialized_fill7functorINS0_10device_ptrIyEEyEEmLj1EEEvT0_T1_SA_.uses_vcc, 1
	.set _ZN6thrust23THRUST_200600_302600_NS11hip_rocprim14__parallel_for6kernelILj256ENS1_20__uninitialized_fill7functorINS0_10device_ptrIyEEyEEmLj1EEEvT0_T1_SA_.uses_flat_scratch, 0
	.set _ZN6thrust23THRUST_200600_302600_NS11hip_rocprim14__parallel_for6kernelILj256ENS1_20__uninitialized_fill7functorINS0_10device_ptrIyEEyEEmLj1EEEvT0_T1_SA_.has_dyn_sized_stack, 0
	.set _ZN6thrust23THRUST_200600_302600_NS11hip_rocprim14__parallel_for6kernelILj256ENS1_20__uninitialized_fill7functorINS0_10device_ptrIyEEyEEmLj1EEEvT0_T1_SA_.has_recursion, 0
	.set _ZN6thrust23THRUST_200600_302600_NS11hip_rocprim14__parallel_for6kernelILj256ENS1_20__uninitialized_fill7functorINS0_10device_ptrIyEEyEEmLj1EEEvT0_T1_SA_.has_indirect_call, 0
	.section	.AMDGPU.csdata,"",@progbits
; Kernel info:
; codeLenInByte = 196
; TotalNumSgprs: 14
; NumVgprs: 4
; ScratchSize: 0
; MemoryBound: 0
; FloatMode: 240
; IeeeMode: 1
; LDSByteSize: 0 bytes/workgroup (compile time only)
; SGPRBlocks: 0
; VGPRBlocks: 0
; NumSGPRsForWavesPerEU: 14
; NumVGPRsForWavesPerEU: 4
; NamedBarCnt: 0
; Occupancy: 16
; WaveLimiterHint : 0
; COMPUTE_PGM_RSRC2:SCRATCH_EN: 0
; COMPUTE_PGM_RSRC2:USER_SGPR: 2
; COMPUTE_PGM_RSRC2:TRAP_HANDLER: 0
; COMPUTE_PGM_RSRC2:TGID_X_EN: 1
; COMPUTE_PGM_RSRC2:TGID_Y_EN: 0
; COMPUTE_PGM_RSRC2:TGID_Z_EN: 0
; COMPUTE_PGM_RSRC2:TIDIG_COMP_CNT: 0
	.section	.text._ZN7rocprim17ROCPRIM_400000_NS6detail30init_device_scan_by_key_kernelINS1_19lookback_scan_stateINS0_5tupleIJybEEELb0ELb0EEEN6thrust23THRUST_200600_302600_NS6detail15normal_iteratorINS8_10device_ptrIiEEEEjNS1_16block_id_wrapperIjLb0EEEEEvT_jjPNSG_10value_typeET0_PNSt15iterator_traitsISJ_E10value_typeEmT1_T2_,"axG",@progbits,_ZN7rocprim17ROCPRIM_400000_NS6detail30init_device_scan_by_key_kernelINS1_19lookback_scan_stateINS0_5tupleIJybEEELb0ELb0EEEN6thrust23THRUST_200600_302600_NS6detail15normal_iteratorINS8_10device_ptrIiEEEEjNS1_16block_id_wrapperIjLb0EEEEEvT_jjPNSG_10value_typeET0_PNSt15iterator_traitsISJ_E10value_typeEmT1_T2_,comdat
	.protected	_ZN7rocprim17ROCPRIM_400000_NS6detail30init_device_scan_by_key_kernelINS1_19lookback_scan_stateINS0_5tupleIJybEEELb0ELb0EEEN6thrust23THRUST_200600_302600_NS6detail15normal_iteratorINS8_10device_ptrIiEEEEjNS1_16block_id_wrapperIjLb0EEEEEvT_jjPNSG_10value_typeET0_PNSt15iterator_traitsISJ_E10value_typeEmT1_T2_ ; -- Begin function _ZN7rocprim17ROCPRIM_400000_NS6detail30init_device_scan_by_key_kernelINS1_19lookback_scan_stateINS0_5tupleIJybEEELb0ELb0EEEN6thrust23THRUST_200600_302600_NS6detail15normal_iteratorINS8_10device_ptrIiEEEEjNS1_16block_id_wrapperIjLb0EEEEEvT_jjPNSG_10value_typeET0_PNSt15iterator_traitsISJ_E10value_typeEmT1_T2_
	.globl	_ZN7rocprim17ROCPRIM_400000_NS6detail30init_device_scan_by_key_kernelINS1_19lookback_scan_stateINS0_5tupleIJybEEELb0ELb0EEEN6thrust23THRUST_200600_302600_NS6detail15normal_iteratorINS8_10device_ptrIiEEEEjNS1_16block_id_wrapperIjLb0EEEEEvT_jjPNSG_10value_typeET0_PNSt15iterator_traitsISJ_E10value_typeEmT1_T2_
	.p2align	8
	.type	_ZN7rocprim17ROCPRIM_400000_NS6detail30init_device_scan_by_key_kernelINS1_19lookback_scan_stateINS0_5tupleIJybEEELb0ELb0EEEN6thrust23THRUST_200600_302600_NS6detail15normal_iteratorINS8_10device_ptrIiEEEEjNS1_16block_id_wrapperIjLb0EEEEEvT_jjPNSG_10value_typeET0_PNSt15iterator_traitsISJ_E10value_typeEmT1_T2_,@function
_ZN7rocprim17ROCPRIM_400000_NS6detail30init_device_scan_by_key_kernelINS1_19lookback_scan_stateINS0_5tupleIJybEEELb0ELb0EEEN6thrust23THRUST_200600_302600_NS6detail15normal_iteratorINS8_10device_ptrIiEEEEjNS1_16block_id_wrapperIjLb0EEEEEvT_jjPNSG_10value_typeET0_PNSt15iterator_traitsISJ_E10value_typeEmT1_T2_: ; @_ZN7rocprim17ROCPRIM_400000_NS6detail30init_device_scan_by_key_kernelINS1_19lookback_scan_stateINS0_5tupleIJybEEELb0ELb0EEEN6thrust23THRUST_200600_302600_NS6detail15normal_iteratorINS8_10device_ptrIiEEEEjNS1_16block_id_wrapperIjLb0EEEEEvT_jjPNSG_10value_typeET0_PNSt15iterator_traitsISJ_E10value_typeEmT1_T2_
; %bb.0:
	s_clause 0x2
	s_load_b32 s2, s[0:1], 0x54
	s_load_b32 s18, s[0:1], 0x48
	s_load_b256 s[4:11], s[0:1], 0x10
	s_bfe_u32 s3, ttmp6, 0x4000c
	s_and_b32 s12, ttmp6, 15
	s_add_co_i32 s3, s3, 1
	s_getreg_b32 s13, hwreg(HW_REG_IB_STS2, 6, 4)
	s_mul_i32 s3, ttmp9, s3
	s_delay_alu instid0(SALU_CYCLE_1)
	s_add_co_i32 s12, s12, s3
	s_wait_kmcnt 0x0
	s_and_b32 s19, s2, 0xffff
	s_cmp_eq_u32 s13, 0
	s_cselect_b32 s2, ttmp9, s12
	s_cmp_eq_u64 s[8:9], 0
	v_mad_u32 v0, s2, s19, v0
	s_cbranch_scc1 .LBB1174_7
; %bb.1:
	s_cmp_lt_u32 s7, s6
	s_mov_b32 s20, exec_lo
	s_cselect_b32 s2, s7, 0
	s_delay_alu instid0(VALU_DEP_1) | instid1(SALU_CYCLE_1)
	v_cmpx_eq_u32_e64 s2, v0
	s_cbranch_execz .LBB1174_6
; %bb.2:
	s_add_co_i32 s2, s7, 32
	s_load_b128 s[12:15], s[0:1], 0x0
	v_mov_b32_e32 v1, s2
	s_mov_b32 s3, 0
	global_load_u8 v1, v1, s[4:5] scope:SCOPE_DEV
	s_wait_loadcnt 0x0
	v_and_b32_e32 v2, 0xffff, v1
	v_readfirstlane_b32 s7, v1
	s_delay_alu instid0(VALU_DEP_2)
	v_cmp_ne_u32_e32 vcc_lo, 0, v2
	s_cbranch_vccnz .LBB1174_5
; %bb.3:
	v_mov_b32_e32 v1, 0
	s_add_nc_u64 s[16:17], s[4:5], s[2:3]
.LBB1174_4:                             ; =>This Inner Loop Header: Depth=1
	global_load_u8 v2, v1, s[16:17] scope:SCOPE_DEV
	s_wait_loadcnt 0x0
	v_and_b32_e32 v3, 0xffff, v2
	v_readfirstlane_b32 s7, v2
	s_delay_alu instid0(VALU_DEP_2)
	v_cmp_eq_u32_e32 vcc_lo, 0, v3
	s_cbranch_vccnz .LBB1174_4
.LBB1174_5:
	s_and_b32 s7, 0xffff, s7
	v_mov_b32_e32 v1, 0
	s_cmp_eq_u32 s7, 1
	global_wb scope:SCOPE_DEV
	s_wait_storecnt 0x0
	global_inv scope:SCOPE_DEV
	s_wait_kmcnt 0x0
	s_cselect_b32 s13, s13, s15
	s_cselect_b32 s12, s12, s14
	s_lshl_b64 s[2:3], s[2:3], 4
	s_delay_alu instid0(SALU_CYCLE_1)
	s_add_nc_u64 s[2:3], s[12:13], s[2:3]
	s_clause 0x1
	global_load_b64 v[2:3], v1, s[2:3]
	global_load_u8 v4, v1, s[2:3] offset:8
	s_wait_loadcnt 0x1
	global_store_b64 v1, v[2:3], s[8:9]
	s_wait_loadcnt 0x0
	global_store_b8 v1, v4, s[8:9] offset:8
.LBB1174_6:
	s_wait_xcnt 0x0
	s_or_b32 exec_lo, exec_lo, s20
.LBB1174_7:
	s_delay_alu instid0(SALU_CYCLE_1) | instskip(NEXT) | instid1(VALU_DEP_1)
	s_mov_b32 s2, exec_lo
	v_cmpx_gt_u32_e64 s6, v0
	s_cbranch_execz .LBB1174_9
; %bb.8:
	v_dual_mov_b32 v2, 0 :: v_dual_add_nc_u32 v1, 32, v0
	global_store_b8 v1, v2, s[4:5]
.LBB1174_9:
	s_wait_xcnt 0x0
	s_or_b32 exec_lo, exec_lo, s2
	v_mov_b32_e32 v1, 0
	s_mov_b32 s2, exec_lo
	v_cmpx_gt_u32_e32 32, v0
	s_cbranch_execz .LBB1174_11
; %bb.10:
	s_delay_alu instid0(VALU_DEP_2)
	v_add_nc_u64_e32 v[2:3], s[4:5], v[0:1]
	v_mov_b32_e32 v4, 0xff
	global_store_b8 v[2:3], v4, off
.LBB1174_11:
	s_wait_xcnt 0x0
	s_or_b32 exec_lo, exec_lo, s2
	s_load_b64 s[2:3], s[0:1], 0x38
	s_mov_b32 s4, exec_lo
	s_wait_kmcnt 0x0
	v_cmpx_gt_u64_e64 s[2:3], v[0:1]
	s_cbranch_execz .LBB1174_14
; %bb.12:
	s_clause 0x1
	s_load_b32 s4, s[0:1], 0x40
	s_load_b64 s[6:7], s[0:1], 0x30
	s_mov_b32 s5, 0
	s_wait_xcnt 0x0
	s_mul_i32 s0, s18, s19
	s_mov_b32 s9, s5
	s_mov_b32 s1, s5
	s_wait_kmcnt 0x0
	v_mul_u64_e32 v[2:3], s[4:5], v[0:1]
	s_add_co_i32 s8, s4, -1
	v_lshl_add_u64 v[4:5], v[0:1], 2, s[6:7]
	s_lshl_b64 s[8:9], s[8:9], 2
	s_delay_alu instid0(SALU_CYCLE_1) | instskip(SKIP_1) | instid1(SALU_CYCLE_1)
	s_add_nc_u64 s[8:9], s[10:11], s[8:9]
	s_mul_u64 s[10:11], s[4:5], s[0:1]
	s_lshl_b64 s[6:7], s[10:11], 2
	s_delay_alu instid0(VALU_DEP_2)
	v_lshl_add_u64 v[2:3], v[2:3], 2, s[8:9]
	s_lshl_b64 s[8:9], s[0:1], 2
.LBB1174_13:                            ; =>This Inner Loop Header: Depth=1
	global_load_b32 v6, v[2:3], off
	v_add_nc_u64_e32 v[0:1], s[0:1], v[0:1]
	s_wait_xcnt 0x0
	v_add_nc_u64_e32 v[2:3], s[6:7], v[2:3]
	s_delay_alu instid0(VALU_DEP_2)
	v_cmp_le_u64_e32 vcc_lo, s[2:3], v[0:1]
	s_or_b32 s5, vcc_lo, s5
	s_wait_loadcnt 0x0
	global_store_b32 v[4:5], v6, off
	s_wait_xcnt 0x0
	v_add_nc_u64_e32 v[4:5], s[8:9], v[4:5]
	s_and_not1_b32 exec_lo, exec_lo, s5
	s_cbranch_execnz .LBB1174_13
.LBB1174_14:
	s_endpgm
	.section	.rodata,"a",@progbits
	.p2align	6, 0x0
	.amdhsa_kernel _ZN7rocprim17ROCPRIM_400000_NS6detail30init_device_scan_by_key_kernelINS1_19lookback_scan_stateINS0_5tupleIJybEEELb0ELb0EEEN6thrust23THRUST_200600_302600_NS6detail15normal_iteratorINS8_10device_ptrIiEEEEjNS1_16block_id_wrapperIjLb0EEEEEvT_jjPNSG_10value_typeET0_PNSt15iterator_traitsISJ_E10value_typeEmT1_T2_
		.amdhsa_group_segment_fixed_size 0
		.amdhsa_private_segment_fixed_size 0
		.amdhsa_kernarg_size 328
		.amdhsa_user_sgpr_count 2
		.amdhsa_user_sgpr_dispatch_ptr 0
		.amdhsa_user_sgpr_queue_ptr 0
		.amdhsa_user_sgpr_kernarg_segment_ptr 1
		.amdhsa_user_sgpr_dispatch_id 0
		.amdhsa_user_sgpr_kernarg_preload_length 0
		.amdhsa_user_sgpr_kernarg_preload_offset 0
		.amdhsa_user_sgpr_private_segment_size 0
		.amdhsa_wavefront_size32 1
		.amdhsa_uses_dynamic_stack 0
		.amdhsa_enable_private_segment 0
		.amdhsa_system_sgpr_workgroup_id_x 1
		.amdhsa_system_sgpr_workgroup_id_y 0
		.amdhsa_system_sgpr_workgroup_id_z 0
		.amdhsa_system_sgpr_workgroup_info 0
		.amdhsa_system_vgpr_workitem_id 0
		.amdhsa_next_free_vgpr 7
		.amdhsa_next_free_sgpr 21
		.amdhsa_named_barrier_count 0
		.amdhsa_reserve_vcc 1
		.amdhsa_float_round_mode_32 0
		.amdhsa_float_round_mode_16_64 0
		.amdhsa_float_denorm_mode_32 3
		.amdhsa_float_denorm_mode_16_64 3
		.amdhsa_fp16_overflow 0
		.amdhsa_memory_ordered 1
		.amdhsa_forward_progress 1
		.amdhsa_inst_pref_size 6
		.amdhsa_round_robin_scheduling 0
		.amdhsa_exception_fp_ieee_invalid_op 0
		.amdhsa_exception_fp_denorm_src 0
		.amdhsa_exception_fp_ieee_div_zero 0
		.amdhsa_exception_fp_ieee_overflow 0
		.amdhsa_exception_fp_ieee_underflow 0
		.amdhsa_exception_fp_ieee_inexact 0
		.amdhsa_exception_int_div_zero 0
	.end_amdhsa_kernel
	.section	.text._ZN7rocprim17ROCPRIM_400000_NS6detail30init_device_scan_by_key_kernelINS1_19lookback_scan_stateINS0_5tupleIJybEEELb0ELb0EEEN6thrust23THRUST_200600_302600_NS6detail15normal_iteratorINS8_10device_ptrIiEEEEjNS1_16block_id_wrapperIjLb0EEEEEvT_jjPNSG_10value_typeET0_PNSt15iterator_traitsISJ_E10value_typeEmT1_T2_,"axG",@progbits,_ZN7rocprim17ROCPRIM_400000_NS6detail30init_device_scan_by_key_kernelINS1_19lookback_scan_stateINS0_5tupleIJybEEELb0ELb0EEEN6thrust23THRUST_200600_302600_NS6detail15normal_iteratorINS8_10device_ptrIiEEEEjNS1_16block_id_wrapperIjLb0EEEEEvT_jjPNSG_10value_typeET0_PNSt15iterator_traitsISJ_E10value_typeEmT1_T2_,comdat
.Lfunc_end1174:
	.size	_ZN7rocprim17ROCPRIM_400000_NS6detail30init_device_scan_by_key_kernelINS1_19lookback_scan_stateINS0_5tupleIJybEEELb0ELb0EEEN6thrust23THRUST_200600_302600_NS6detail15normal_iteratorINS8_10device_ptrIiEEEEjNS1_16block_id_wrapperIjLb0EEEEEvT_jjPNSG_10value_typeET0_PNSt15iterator_traitsISJ_E10value_typeEmT1_T2_, .Lfunc_end1174-_ZN7rocprim17ROCPRIM_400000_NS6detail30init_device_scan_by_key_kernelINS1_19lookback_scan_stateINS0_5tupleIJybEEELb0ELb0EEEN6thrust23THRUST_200600_302600_NS6detail15normal_iteratorINS8_10device_ptrIiEEEEjNS1_16block_id_wrapperIjLb0EEEEEvT_jjPNSG_10value_typeET0_PNSt15iterator_traitsISJ_E10value_typeEmT1_T2_
                                        ; -- End function
	.set _ZN7rocprim17ROCPRIM_400000_NS6detail30init_device_scan_by_key_kernelINS1_19lookback_scan_stateINS0_5tupleIJybEEELb0ELb0EEEN6thrust23THRUST_200600_302600_NS6detail15normal_iteratorINS8_10device_ptrIiEEEEjNS1_16block_id_wrapperIjLb0EEEEEvT_jjPNSG_10value_typeET0_PNSt15iterator_traitsISJ_E10value_typeEmT1_T2_.num_vgpr, 7
	.set _ZN7rocprim17ROCPRIM_400000_NS6detail30init_device_scan_by_key_kernelINS1_19lookback_scan_stateINS0_5tupleIJybEEELb0ELb0EEEN6thrust23THRUST_200600_302600_NS6detail15normal_iteratorINS8_10device_ptrIiEEEEjNS1_16block_id_wrapperIjLb0EEEEEvT_jjPNSG_10value_typeET0_PNSt15iterator_traitsISJ_E10value_typeEmT1_T2_.num_agpr, 0
	.set _ZN7rocprim17ROCPRIM_400000_NS6detail30init_device_scan_by_key_kernelINS1_19lookback_scan_stateINS0_5tupleIJybEEELb0ELb0EEEN6thrust23THRUST_200600_302600_NS6detail15normal_iteratorINS8_10device_ptrIiEEEEjNS1_16block_id_wrapperIjLb0EEEEEvT_jjPNSG_10value_typeET0_PNSt15iterator_traitsISJ_E10value_typeEmT1_T2_.numbered_sgpr, 21
	.set _ZN7rocprim17ROCPRIM_400000_NS6detail30init_device_scan_by_key_kernelINS1_19lookback_scan_stateINS0_5tupleIJybEEELb0ELb0EEEN6thrust23THRUST_200600_302600_NS6detail15normal_iteratorINS8_10device_ptrIiEEEEjNS1_16block_id_wrapperIjLb0EEEEEvT_jjPNSG_10value_typeET0_PNSt15iterator_traitsISJ_E10value_typeEmT1_T2_.num_named_barrier, 0
	.set _ZN7rocprim17ROCPRIM_400000_NS6detail30init_device_scan_by_key_kernelINS1_19lookback_scan_stateINS0_5tupleIJybEEELb0ELb0EEEN6thrust23THRUST_200600_302600_NS6detail15normal_iteratorINS8_10device_ptrIiEEEEjNS1_16block_id_wrapperIjLb0EEEEEvT_jjPNSG_10value_typeET0_PNSt15iterator_traitsISJ_E10value_typeEmT1_T2_.private_seg_size, 0
	.set _ZN7rocprim17ROCPRIM_400000_NS6detail30init_device_scan_by_key_kernelINS1_19lookback_scan_stateINS0_5tupleIJybEEELb0ELb0EEEN6thrust23THRUST_200600_302600_NS6detail15normal_iteratorINS8_10device_ptrIiEEEEjNS1_16block_id_wrapperIjLb0EEEEEvT_jjPNSG_10value_typeET0_PNSt15iterator_traitsISJ_E10value_typeEmT1_T2_.uses_vcc, 1
	.set _ZN7rocprim17ROCPRIM_400000_NS6detail30init_device_scan_by_key_kernelINS1_19lookback_scan_stateINS0_5tupleIJybEEELb0ELb0EEEN6thrust23THRUST_200600_302600_NS6detail15normal_iteratorINS8_10device_ptrIiEEEEjNS1_16block_id_wrapperIjLb0EEEEEvT_jjPNSG_10value_typeET0_PNSt15iterator_traitsISJ_E10value_typeEmT1_T2_.uses_flat_scratch, 0
	.set _ZN7rocprim17ROCPRIM_400000_NS6detail30init_device_scan_by_key_kernelINS1_19lookback_scan_stateINS0_5tupleIJybEEELb0ELb0EEEN6thrust23THRUST_200600_302600_NS6detail15normal_iteratorINS8_10device_ptrIiEEEEjNS1_16block_id_wrapperIjLb0EEEEEvT_jjPNSG_10value_typeET0_PNSt15iterator_traitsISJ_E10value_typeEmT1_T2_.has_dyn_sized_stack, 0
	.set _ZN7rocprim17ROCPRIM_400000_NS6detail30init_device_scan_by_key_kernelINS1_19lookback_scan_stateINS0_5tupleIJybEEELb0ELb0EEEN6thrust23THRUST_200600_302600_NS6detail15normal_iteratorINS8_10device_ptrIiEEEEjNS1_16block_id_wrapperIjLb0EEEEEvT_jjPNSG_10value_typeET0_PNSt15iterator_traitsISJ_E10value_typeEmT1_T2_.has_recursion, 0
	.set _ZN7rocprim17ROCPRIM_400000_NS6detail30init_device_scan_by_key_kernelINS1_19lookback_scan_stateINS0_5tupleIJybEEELb0ELb0EEEN6thrust23THRUST_200600_302600_NS6detail15normal_iteratorINS8_10device_ptrIiEEEEjNS1_16block_id_wrapperIjLb0EEEEEvT_jjPNSG_10value_typeET0_PNSt15iterator_traitsISJ_E10value_typeEmT1_T2_.has_indirect_call, 0
	.section	.AMDGPU.csdata,"",@progbits
; Kernel info:
; codeLenInByte = 664
; TotalNumSgprs: 23
; NumVgprs: 7
; ScratchSize: 0
; MemoryBound: 0
; FloatMode: 240
; IeeeMode: 1
; LDSByteSize: 0 bytes/workgroup (compile time only)
; SGPRBlocks: 0
; VGPRBlocks: 0
; NumSGPRsForWavesPerEU: 23
; NumVGPRsForWavesPerEU: 7
; NamedBarCnt: 0
; Occupancy: 16
; WaveLimiterHint : 0
; COMPUTE_PGM_RSRC2:SCRATCH_EN: 0
; COMPUTE_PGM_RSRC2:USER_SGPR: 2
; COMPUTE_PGM_RSRC2:TRAP_HANDLER: 0
; COMPUTE_PGM_RSRC2:TGID_X_EN: 1
; COMPUTE_PGM_RSRC2:TGID_Y_EN: 0
; COMPUTE_PGM_RSRC2:TGID_Z_EN: 0
; COMPUTE_PGM_RSRC2:TIDIG_COMP_CNT: 0
	.section	.text._ZN7rocprim17ROCPRIM_400000_NS6detail30init_device_scan_by_key_kernelINS1_19lookback_scan_stateINS0_5tupleIJybEEELb0ELb0EEENS1_16block_id_wrapperIjLb0EEEEEvT_jjPNS9_10value_typeET0_,"axG",@progbits,_ZN7rocprim17ROCPRIM_400000_NS6detail30init_device_scan_by_key_kernelINS1_19lookback_scan_stateINS0_5tupleIJybEEELb0ELb0EEENS1_16block_id_wrapperIjLb0EEEEEvT_jjPNS9_10value_typeET0_,comdat
	.protected	_ZN7rocprim17ROCPRIM_400000_NS6detail30init_device_scan_by_key_kernelINS1_19lookback_scan_stateINS0_5tupleIJybEEELb0ELb0EEENS1_16block_id_wrapperIjLb0EEEEEvT_jjPNS9_10value_typeET0_ ; -- Begin function _ZN7rocprim17ROCPRIM_400000_NS6detail30init_device_scan_by_key_kernelINS1_19lookback_scan_stateINS0_5tupleIJybEEELb0ELb0EEENS1_16block_id_wrapperIjLb0EEEEEvT_jjPNS9_10value_typeET0_
	.globl	_ZN7rocprim17ROCPRIM_400000_NS6detail30init_device_scan_by_key_kernelINS1_19lookback_scan_stateINS0_5tupleIJybEEELb0ELb0EEENS1_16block_id_wrapperIjLb0EEEEEvT_jjPNS9_10value_typeET0_
	.p2align	8
	.type	_ZN7rocprim17ROCPRIM_400000_NS6detail30init_device_scan_by_key_kernelINS1_19lookback_scan_stateINS0_5tupleIJybEEELb0ELb0EEENS1_16block_id_wrapperIjLb0EEEEEvT_jjPNS9_10value_typeET0_,@function
_ZN7rocprim17ROCPRIM_400000_NS6detail30init_device_scan_by_key_kernelINS1_19lookback_scan_stateINS0_5tupleIJybEEELb0ELb0EEENS1_16block_id_wrapperIjLb0EEEEEvT_jjPNS9_10value_typeET0_: ; @_ZN7rocprim17ROCPRIM_400000_NS6detail30init_device_scan_by_key_kernelINS1_19lookback_scan_stateINS0_5tupleIJybEEELb0ELb0EEENS1_16block_id_wrapperIjLb0EEEEEvT_jjPNS9_10value_typeET0_
; %bb.0:
	s_clause 0x2
	s_load_b32 s8, s[0:1], 0x3c
	s_load_b128 s[4:7], s[0:1], 0x10
	s_load_b64 s[2:3], s[0:1], 0x20
	s_bfe_u32 s9, ttmp6, 0x4000c
	s_and_b32 s10, ttmp6, 15
	s_add_co_i32 s9, s9, 1
	s_getreg_b32 s11, hwreg(HW_REG_IB_STS2, 6, 4)
	s_mul_i32 s9, ttmp9, s9
	s_delay_alu instid0(SALU_CYCLE_1)
	s_add_co_i32 s10, s10, s9
	s_wait_kmcnt 0x0
	s_and_b32 s8, s8, 0xffff
	s_cmp_eq_u32 s11, 0
	s_cselect_b32 s9, ttmp9, s10
	s_cmp_eq_u64 s[2:3], 0
	v_mad_u32 v0, s9, s8, v0
	s_cbranch_scc1 .LBB1175_7
; %bb.1:
	s_cmp_lt_u32 s7, s6
	s_mov_b32 s14, exec_lo
	s_cselect_b32 s8, s7, 0
	s_delay_alu instid0(VALU_DEP_1) | instid1(SALU_CYCLE_1)
	v_cmpx_eq_u32_e64 s8, v0
	s_cbranch_execz .LBB1175_6
; %bb.2:
	s_add_co_i32 s12, s7, 32
	s_load_b128 s[8:11], s[0:1], 0x0
	v_mov_b32_e32 v1, s12
	s_mov_b32 s13, 0
	global_load_u8 v1, v1, s[4:5] scope:SCOPE_DEV
	s_wait_loadcnt 0x0
	v_and_b32_e32 v2, 0xffff, v1
	v_readfirstlane_b32 s7, v1
	s_delay_alu instid0(VALU_DEP_2)
	v_cmp_ne_u32_e32 vcc_lo, 0, v2
	s_cbranch_vccnz .LBB1175_5
; %bb.3:
	v_mov_b32_e32 v1, 0
	s_add_nc_u64 s[0:1], s[4:5], s[12:13]
.LBB1175_4:                             ; =>This Inner Loop Header: Depth=1
	global_load_u8 v2, v1, s[0:1] scope:SCOPE_DEV
	s_wait_loadcnt 0x0
	v_and_b32_e32 v3, 0xffff, v2
	v_readfirstlane_b32 s7, v2
	s_delay_alu instid0(VALU_DEP_2)
	v_cmp_eq_u32_e32 vcc_lo, 0, v3
	s_cbranch_vccnz .LBB1175_4
.LBB1175_5:
	s_and_b32 s0, 0xffff, s7
	v_mov_b32_e32 v1, 0
	s_cmp_eq_u32 s0, 1
	global_wb scope:SCOPE_DEV
	s_wait_storecnt 0x0
	global_inv scope:SCOPE_DEV
	s_wait_kmcnt 0x0
	s_cselect_b32 s1, s9, s11
	s_cselect_b32 s0, s8, s10
	s_lshl_b64 s[8:9], s[12:13], 4
	s_delay_alu instid0(SALU_CYCLE_1)
	s_add_nc_u64 s[0:1], s[0:1], s[8:9]
	s_clause 0x1
	global_load_b64 v[2:3], v1, s[0:1]
	global_load_u8 v4, v1, s[0:1] offset:8
	s_wait_loadcnt 0x1
	global_store_b64 v1, v[2:3], s[2:3]
	s_wait_loadcnt 0x0
	global_store_b8 v1, v4, s[2:3] offset:8
.LBB1175_6:
	s_wait_xcnt 0x0
	s_or_b32 exec_lo, exec_lo, s14
.LBB1175_7:
	s_delay_alu instid0(SALU_CYCLE_1) | instskip(NEXT) | instid1(VALU_DEP_1)
	s_mov_b32 s0, exec_lo
	v_cmpx_gt_u32_e64 s6, v0
	s_cbranch_execz .LBB1175_9
; %bb.8:
	v_dual_mov_b32 v2, 0 :: v_dual_add_nc_u32 v1, 32, v0
	global_store_b8 v1, v2, s[4:5]
.LBB1175_9:
	s_wait_xcnt 0x0
	s_or_b32 exec_lo, exec_lo, s0
	s_delay_alu instid0(SALU_CYCLE_1)
	s_mov_b32 s0, exec_lo
	v_cmpx_gt_u32_e32 32, v0
	s_cbranch_execz .LBB1175_11
; %bb.10:
	v_mov_b32_e32 v1, 0xff
	global_store_b8 v0, v1, s[4:5]
.LBB1175_11:
	s_endpgm
	.section	.rodata,"a",@progbits
	.p2align	6, 0x0
	.amdhsa_kernel _ZN7rocprim17ROCPRIM_400000_NS6detail30init_device_scan_by_key_kernelINS1_19lookback_scan_stateINS0_5tupleIJybEEELb0ELb0EEENS1_16block_id_wrapperIjLb0EEEEEvT_jjPNS9_10value_typeET0_
		.amdhsa_group_segment_fixed_size 0
		.amdhsa_private_segment_fixed_size 0
		.amdhsa_kernarg_size 304
		.amdhsa_user_sgpr_count 2
		.amdhsa_user_sgpr_dispatch_ptr 0
		.amdhsa_user_sgpr_queue_ptr 0
		.amdhsa_user_sgpr_kernarg_segment_ptr 1
		.amdhsa_user_sgpr_dispatch_id 0
		.amdhsa_user_sgpr_kernarg_preload_length 0
		.amdhsa_user_sgpr_kernarg_preload_offset 0
		.amdhsa_user_sgpr_private_segment_size 0
		.amdhsa_wavefront_size32 1
		.amdhsa_uses_dynamic_stack 0
		.amdhsa_enable_private_segment 0
		.amdhsa_system_sgpr_workgroup_id_x 1
		.amdhsa_system_sgpr_workgroup_id_y 0
		.amdhsa_system_sgpr_workgroup_id_z 0
		.amdhsa_system_sgpr_workgroup_info 0
		.amdhsa_system_vgpr_workitem_id 0
		.amdhsa_next_free_vgpr 5
		.amdhsa_next_free_sgpr 15
		.amdhsa_named_barrier_count 0
		.amdhsa_reserve_vcc 1
		.amdhsa_float_round_mode_32 0
		.amdhsa_float_round_mode_16_64 0
		.amdhsa_float_denorm_mode_32 3
		.amdhsa_float_denorm_mode_16_64 3
		.amdhsa_fp16_overflow 0
		.amdhsa_memory_ordered 1
		.amdhsa_forward_progress 1
		.amdhsa_inst_pref_size 4
		.amdhsa_round_robin_scheduling 0
		.amdhsa_exception_fp_ieee_invalid_op 0
		.amdhsa_exception_fp_denorm_src 0
		.amdhsa_exception_fp_ieee_div_zero 0
		.amdhsa_exception_fp_ieee_overflow 0
		.amdhsa_exception_fp_ieee_underflow 0
		.amdhsa_exception_fp_ieee_inexact 0
		.amdhsa_exception_int_div_zero 0
	.end_amdhsa_kernel
	.section	.text._ZN7rocprim17ROCPRIM_400000_NS6detail30init_device_scan_by_key_kernelINS1_19lookback_scan_stateINS0_5tupleIJybEEELb0ELb0EEENS1_16block_id_wrapperIjLb0EEEEEvT_jjPNS9_10value_typeET0_,"axG",@progbits,_ZN7rocprim17ROCPRIM_400000_NS6detail30init_device_scan_by_key_kernelINS1_19lookback_scan_stateINS0_5tupleIJybEEELb0ELb0EEENS1_16block_id_wrapperIjLb0EEEEEvT_jjPNS9_10value_typeET0_,comdat
.Lfunc_end1175:
	.size	_ZN7rocprim17ROCPRIM_400000_NS6detail30init_device_scan_by_key_kernelINS1_19lookback_scan_stateINS0_5tupleIJybEEELb0ELb0EEENS1_16block_id_wrapperIjLb0EEEEEvT_jjPNS9_10value_typeET0_, .Lfunc_end1175-_ZN7rocprim17ROCPRIM_400000_NS6detail30init_device_scan_by_key_kernelINS1_19lookback_scan_stateINS0_5tupleIJybEEELb0ELb0EEENS1_16block_id_wrapperIjLb0EEEEEvT_jjPNS9_10value_typeET0_
                                        ; -- End function
	.set _ZN7rocprim17ROCPRIM_400000_NS6detail30init_device_scan_by_key_kernelINS1_19lookback_scan_stateINS0_5tupleIJybEEELb0ELb0EEENS1_16block_id_wrapperIjLb0EEEEEvT_jjPNS9_10value_typeET0_.num_vgpr, 5
	.set _ZN7rocprim17ROCPRIM_400000_NS6detail30init_device_scan_by_key_kernelINS1_19lookback_scan_stateINS0_5tupleIJybEEELb0ELb0EEENS1_16block_id_wrapperIjLb0EEEEEvT_jjPNS9_10value_typeET0_.num_agpr, 0
	.set _ZN7rocprim17ROCPRIM_400000_NS6detail30init_device_scan_by_key_kernelINS1_19lookback_scan_stateINS0_5tupleIJybEEELb0ELb0EEENS1_16block_id_wrapperIjLb0EEEEEvT_jjPNS9_10value_typeET0_.numbered_sgpr, 15
	.set _ZN7rocprim17ROCPRIM_400000_NS6detail30init_device_scan_by_key_kernelINS1_19lookback_scan_stateINS0_5tupleIJybEEELb0ELb0EEENS1_16block_id_wrapperIjLb0EEEEEvT_jjPNS9_10value_typeET0_.num_named_barrier, 0
	.set _ZN7rocprim17ROCPRIM_400000_NS6detail30init_device_scan_by_key_kernelINS1_19lookback_scan_stateINS0_5tupleIJybEEELb0ELb0EEENS1_16block_id_wrapperIjLb0EEEEEvT_jjPNS9_10value_typeET0_.private_seg_size, 0
	.set _ZN7rocprim17ROCPRIM_400000_NS6detail30init_device_scan_by_key_kernelINS1_19lookback_scan_stateINS0_5tupleIJybEEELb0ELb0EEENS1_16block_id_wrapperIjLb0EEEEEvT_jjPNS9_10value_typeET0_.uses_vcc, 1
	.set _ZN7rocprim17ROCPRIM_400000_NS6detail30init_device_scan_by_key_kernelINS1_19lookback_scan_stateINS0_5tupleIJybEEELb0ELb0EEENS1_16block_id_wrapperIjLb0EEEEEvT_jjPNS9_10value_typeET0_.uses_flat_scratch, 0
	.set _ZN7rocprim17ROCPRIM_400000_NS6detail30init_device_scan_by_key_kernelINS1_19lookback_scan_stateINS0_5tupleIJybEEELb0ELb0EEENS1_16block_id_wrapperIjLb0EEEEEvT_jjPNS9_10value_typeET0_.has_dyn_sized_stack, 0
	.set _ZN7rocprim17ROCPRIM_400000_NS6detail30init_device_scan_by_key_kernelINS1_19lookback_scan_stateINS0_5tupleIJybEEELb0ELb0EEENS1_16block_id_wrapperIjLb0EEEEEvT_jjPNS9_10value_typeET0_.has_recursion, 0
	.set _ZN7rocprim17ROCPRIM_400000_NS6detail30init_device_scan_by_key_kernelINS1_19lookback_scan_stateINS0_5tupleIJybEEELb0ELb0EEENS1_16block_id_wrapperIjLb0EEEEEvT_jjPNS9_10value_typeET0_.has_indirect_call, 0
	.section	.AMDGPU.csdata,"",@progbits
; Kernel info:
; codeLenInByte = 456
; TotalNumSgprs: 17
; NumVgprs: 5
; ScratchSize: 0
; MemoryBound: 0
; FloatMode: 240
; IeeeMode: 1
; LDSByteSize: 0 bytes/workgroup (compile time only)
; SGPRBlocks: 0
; VGPRBlocks: 0
; NumSGPRsForWavesPerEU: 17
; NumVGPRsForWavesPerEU: 5
; NamedBarCnt: 0
; Occupancy: 16
; WaveLimiterHint : 0
; COMPUTE_PGM_RSRC2:SCRATCH_EN: 0
; COMPUTE_PGM_RSRC2:USER_SGPR: 2
; COMPUTE_PGM_RSRC2:TRAP_HANDLER: 0
; COMPUTE_PGM_RSRC2:TGID_X_EN: 1
; COMPUTE_PGM_RSRC2:TGID_Y_EN: 0
; COMPUTE_PGM_RSRC2:TGID_Z_EN: 0
; COMPUTE_PGM_RSRC2:TIDIG_COMP_CNT: 0
	.section	.text._ZN7rocprim17ROCPRIM_400000_NS6detail17trampoline_kernelINS0_14default_configENS1_27scan_by_key_config_selectorIiyEEZZNS1_16scan_by_key_implILNS1_25lookback_scan_determinismE0ELb0ES3_N6thrust23THRUST_200600_302600_NS6detail15normal_iteratorINS9_10device_ptrIiEEEENSB_INSC_IyEEEESG_yNS9_4plusIvEENS9_8equal_toIvEEyEE10hipError_tPvRmT2_T3_T4_T5_mT6_T7_P12ihipStream_tbENKUlT_T0_E_clISt17integral_constantIbLb0EES11_EEDaSW_SX_EUlSW_E_NS1_11comp_targetILNS1_3genE0ELNS1_11target_archE4294967295ELNS1_3gpuE0ELNS1_3repE0EEENS1_30default_config_static_selectorELNS0_4arch9wavefront6targetE0EEEvT1_,"axG",@progbits,_ZN7rocprim17ROCPRIM_400000_NS6detail17trampoline_kernelINS0_14default_configENS1_27scan_by_key_config_selectorIiyEEZZNS1_16scan_by_key_implILNS1_25lookback_scan_determinismE0ELb0ES3_N6thrust23THRUST_200600_302600_NS6detail15normal_iteratorINS9_10device_ptrIiEEEENSB_INSC_IyEEEESG_yNS9_4plusIvEENS9_8equal_toIvEEyEE10hipError_tPvRmT2_T3_T4_T5_mT6_T7_P12ihipStream_tbENKUlT_T0_E_clISt17integral_constantIbLb0EES11_EEDaSW_SX_EUlSW_E_NS1_11comp_targetILNS1_3genE0ELNS1_11target_archE4294967295ELNS1_3gpuE0ELNS1_3repE0EEENS1_30default_config_static_selectorELNS0_4arch9wavefront6targetE0EEEvT1_,comdat
	.protected	_ZN7rocprim17ROCPRIM_400000_NS6detail17trampoline_kernelINS0_14default_configENS1_27scan_by_key_config_selectorIiyEEZZNS1_16scan_by_key_implILNS1_25lookback_scan_determinismE0ELb0ES3_N6thrust23THRUST_200600_302600_NS6detail15normal_iteratorINS9_10device_ptrIiEEEENSB_INSC_IyEEEESG_yNS9_4plusIvEENS9_8equal_toIvEEyEE10hipError_tPvRmT2_T3_T4_T5_mT6_T7_P12ihipStream_tbENKUlT_T0_E_clISt17integral_constantIbLb0EES11_EEDaSW_SX_EUlSW_E_NS1_11comp_targetILNS1_3genE0ELNS1_11target_archE4294967295ELNS1_3gpuE0ELNS1_3repE0EEENS1_30default_config_static_selectorELNS0_4arch9wavefront6targetE0EEEvT1_ ; -- Begin function _ZN7rocprim17ROCPRIM_400000_NS6detail17trampoline_kernelINS0_14default_configENS1_27scan_by_key_config_selectorIiyEEZZNS1_16scan_by_key_implILNS1_25lookback_scan_determinismE0ELb0ES3_N6thrust23THRUST_200600_302600_NS6detail15normal_iteratorINS9_10device_ptrIiEEEENSB_INSC_IyEEEESG_yNS9_4plusIvEENS9_8equal_toIvEEyEE10hipError_tPvRmT2_T3_T4_T5_mT6_T7_P12ihipStream_tbENKUlT_T0_E_clISt17integral_constantIbLb0EES11_EEDaSW_SX_EUlSW_E_NS1_11comp_targetILNS1_3genE0ELNS1_11target_archE4294967295ELNS1_3gpuE0ELNS1_3repE0EEENS1_30default_config_static_selectorELNS0_4arch9wavefront6targetE0EEEvT1_
	.globl	_ZN7rocprim17ROCPRIM_400000_NS6detail17trampoline_kernelINS0_14default_configENS1_27scan_by_key_config_selectorIiyEEZZNS1_16scan_by_key_implILNS1_25lookback_scan_determinismE0ELb0ES3_N6thrust23THRUST_200600_302600_NS6detail15normal_iteratorINS9_10device_ptrIiEEEENSB_INSC_IyEEEESG_yNS9_4plusIvEENS9_8equal_toIvEEyEE10hipError_tPvRmT2_T3_T4_T5_mT6_T7_P12ihipStream_tbENKUlT_T0_E_clISt17integral_constantIbLb0EES11_EEDaSW_SX_EUlSW_E_NS1_11comp_targetILNS1_3genE0ELNS1_11target_archE4294967295ELNS1_3gpuE0ELNS1_3repE0EEENS1_30default_config_static_selectorELNS0_4arch9wavefront6targetE0EEEvT1_
	.p2align	8
	.type	_ZN7rocprim17ROCPRIM_400000_NS6detail17trampoline_kernelINS0_14default_configENS1_27scan_by_key_config_selectorIiyEEZZNS1_16scan_by_key_implILNS1_25lookback_scan_determinismE0ELb0ES3_N6thrust23THRUST_200600_302600_NS6detail15normal_iteratorINS9_10device_ptrIiEEEENSB_INSC_IyEEEESG_yNS9_4plusIvEENS9_8equal_toIvEEyEE10hipError_tPvRmT2_T3_T4_T5_mT6_T7_P12ihipStream_tbENKUlT_T0_E_clISt17integral_constantIbLb0EES11_EEDaSW_SX_EUlSW_E_NS1_11comp_targetILNS1_3genE0ELNS1_11target_archE4294967295ELNS1_3gpuE0ELNS1_3repE0EEENS1_30default_config_static_selectorELNS0_4arch9wavefront6targetE0EEEvT1_,@function
_ZN7rocprim17ROCPRIM_400000_NS6detail17trampoline_kernelINS0_14default_configENS1_27scan_by_key_config_selectorIiyEEZZNS1_16scan_by_key_implILNS1_25lookback_scan_determinismE0ELb0ES3_N6thrust23THRUST_200600_302600_NS6detail15normal_iteratorINS9_10device_ptrIiEEEENSB_INSC_IyEEEESG_yNS9_4plusIvEENS9_8equal_toIvEEyEE10hipError_tPvRmT2_T3_T4_T5_mT6_T7_P12ihipStream_tbENKUlT_T0_E_clISt17integral_constantIbLb0EES11_EEDaSW_SX_EUlSW_E_NS1_11comp_targetILNS1_3genE0ELNS1_11target_archE4294967295ELNS1_3gpuE0ELNS1_3repE0EEENS1_30default_config_static_selectorELNS0_4arch9wavefront6targetE0EEEvT1_: ; @_ZN7rocprim17ROCPRIM_400000_NS6detail17trampoline_kernelINS0_14default_configENS1_27scan_by_key_config_selectorIiyEEZZNS1_16scan_by_key_implILNS1_25lookback_scan_determinismE0ELb0ES3_N6thrust23THRUST_200600_302600_NS6detail15normal_iteratorINS9_10device_ptrIiEEEENSB_INSC_IyEEEESG_yNS9_4plusIvEENS9_8equal_toIvEEyEE10hipError_tPvRmT2_T3_T4_T5_mT6_T7_P12ihipStream_tbENKUlT_T0_E_clISt17integral_constantIbLb0EES11_EEDaSW_SX_EUlSW_E_NS1_11comp_targetILNS1_3genE0ELNS1_11target_archE4294967295ELNS1_3gpuE0ELNS1_3repE0EEENS1_30default_config_static_selectorELNS0_4arch9wavefront6targetE0EEEvT1_
; %bb.0:
	s_clause 0x3
	s_load_b256 s[12:19], s[0:1], 0x0
	s_load_b256 s[36:43], s[0:1], 0x60
	s_load_b96 s[28:30], s[0:1], 0x50
	s_load_b256 s[20:27], s[0:1], 0x30
	s_getreg_b32 s4, hwreg(HW_REG_IB_STS2, 6, 4)
	s_mov_b32 s3, 0
	s_barrier_signal -1
	s_barrier_wait -1
	s_wait_kmcnt 0x0
	s_lshl_b64 s[0:1], s[14:15], 2
	s_lshl_b64 s[34:35], s[14:15], 3
	s_cmp_lg_u64 s[40:41], 0
	s_mov_b32 s2, s30
	s_cselect_b32 s44, -1, 0
	s_bfe_u32 s5, ttmp6, 0x4000c
	s_and_b32 s6, ttmp6, 15
	s_add_co_i32 s5, s5, 1
	s_mov_b32 s41, s3
	s_mul_i32 s5, ttmp9, s5
	s_add_nc_u64 s[0:1], s[12:13], s[0:1]
	s_add_co_i32 s6, s6, s5
	s_cmp_eq_u32 s4, 0
	s_mul_u64 s[4:5], s[28:29], s[2:3]
	s_cselect_b32 s40, ttmp9, s6
	s_add_nc_u64 s[6:7], s[16:17], s[34:35]
	s_add_nc_u64 s[14:15], s[4:5], s[40:41]
	s_add_nc_u64 s[4:5], s[36:37], -1
	s_mul_i32 s2, s40, 0x500
	v_cmp_ge_u64_e64 s27, s[14:15], s[4:5]
	s_lshl_b64 s[8:9], s[2:3], 2
	s_lshl_b64 s[30:31], s[2:3], 3
	s_add_nc_u64 s[12:13], s[0:1], s[8:9]
	s_add_nc_u64 s[10:11], s[6:7], s[30:31]
	s_mul_i32 s33, s4, 0xfffffb00
	s_and_b32 vcc_lo, exec_lo, s27
	s_cbranch_vccz .LBB1176_24
; %bb.1:
	v_mov_b32_e32 v1, 0
	s_add_co_i32 s36, s33, s26
	s_delay_alu instid0(SALU_CYCLE_1)
	v_cmp_gt_u32_e64 s0, s36, v0
	flat_load_b32 v1, v1, s[12:13]
	s_wait_loadcnt_dscnt 0x0
	v_mov_b32_e32 v2, v1
	s_and_saveexec_b32 s1, s0
	s_cbranch_execz .LBB1176_3
; %bb.2:
	flat_load_b32 v2, v0, s[12:13] scale_offset
.LBB1176_3:
	s_wait_xcnt 0x0
	s_or_b32 exec_lo, exec_lo, s1
	v_or_b32_e32 v3, 0x80, v0
	s_delay_alu instid0(VALU_DEP_1)
	v_cmp_gt_u32_e64 s1, s36, v3
	v_mov_b32_e32 v3, v1
	s_and_saveexec_b32 s2, s1
	s_cbranch_execz .LBB1176_5
; %bb.4:
	flat_load_b32 v3, v0, s[12:13] offset:512 scale_offset
.LBB1176_5:
	s_wait_xcnt 0x0
	s_or_b32 exec_lo, exec_lo, s2
	v_or_b32_e32 v4, 0x100, v0
	s_delay_alu instid0(VALU_DEP_1)
	v_cmp_gt_u32_e64 s2, s36, v4
	v_mov_b32_e32 v4, v1
	s_and_saveexec_b32 s3, s2
	s_cbranch_execz .LBB1176_7
; %bb.6:
	flat_load_b32 v4, v0, s[12:13] offset:1024 scale_offset
.LBB1176_7:
	;; [unrolled: 11-line block ×8, first 2 shown]
	s_wait_xcnt 0x0
	s_or_b32 exec_lo, exec_lo, s9
	v_or_b32_e32 v11, 0x480, v0
	s_mov_b32 s16, exec_lo
	s_delay_alu instid0(VALU_DEP_1) | instskip(SKIP_2) | instid1(SALU_CYCLE_1)
	v_cmp_gt_u32_e64 s9, s36, v11
	v_cmpx_le_u32_e64 s36, v11
	s_xor_b32 s16, exec_lo, s16
	s_and_not1_saveexec_b32 s16, s16
	s_cbranch_execz .LBB1176_21
; %bb.20:
	flat_load_b32 v1, v0, s[12:13] offset:4608 scale_offset
.LBB1176_21:
	s_wait_xcnt 0x0
	s_or_b32 exec_lo, exec_lo, s16
	v_lshlrev_b32_e32 v11, 2, v0
	s_cmp_eq_u64 s[14:15], 0
	s_mov_b64 s[16:17], s[12:13]
	s_wait_loadcnt_dscnt 0x0
	ds_store_2addr_stride64_b32 v11, v2, v3 offset1:2
	ds_store_2addr_stride64_b32 v11, v4, v5 offset0:4 offset1:6
	ds_store_2addr_stride64_b32 v11, v6, v7 offset0:8 offset1:10
	;; [unrolled: 1-line block ×4, first 2 shown]
	v_mad_u32_u24 v1, v0, 36, v11
	s_wait_dscnt 0x0
	s_barrier_signal -1
	s_barrier_wait -1
	ds_load_2addr_b64 v[36:39], v1 offset1:1
	ds_load_2addr_b32 v[8:9], v1 offset0:1 offset1:2
	ds_load_2addr_b32 v[16:17], v1 offset0:3 offset1:4
	;; [unrolled: 1-line block ×3, first 2 shown]
	ds_load_b32 v48, v1 offset:36
	ds_load_2addr_b32 v[42:43], v1 offset0:5 offset1:6
	s_cbranch_scc1 .LBB1176_27
; %bb.22:
	s_and_not1_b32 vcc_lo, exec_lo, s44
	s_cbranch_vccnz .LBB1176_25
; %bb.23:
	s_lshl_b64 s[16:17], s[14:15], 2
	s_mov_b32 s37, 0
	s_add_nc_u64 s[16:17], s[42:43], s[16:17]
	s_delay_alu instid0(SALU_CYCLE_1)
	s_add_nc_u64 s[16:17], s[16:17], -4
	s_branch .LBB1176_26
.LBB1176_24:
                                        ; implicit-def: $sgpr5
                                        ; implicit-def: $vgpr51
                                        ; implicit-def: $vgpr46
                                        ; implicit-def: $vgpr49
                                        ; implicit-def: $vgpr50
                                        ; implicit-def: $vgpr16_vgpr17
                                        ; implicit-def: $vgpr26_vgpr27
                                        ; implicit-def: $vgpr30_vgpr31
                                        ; implicit-def: $vgpr34_vgpr35
                                        ; implicit-def: $vgpr4_vgpr5
                                        ; implicit-def: $vgpr58
                                        ; implicit-def: $vgpr59
                                        ; implicit-def: $vgpr63
                                        ; implicit-def: $vgpr54
                                        ; implicit-def: $vgpr55
                                        ; implicit-def: $vgpr47
                                        ; implicit-def: $vgpr56
                                        ; implicit-def: $vgpr57
                                        ; implicit-def: $vgpr53
                                        ; implicit-def: $vgpr22_vgpr23
                                        ; implicit-def: $vgpr44_vgpr45
                                        ; implicit-def: $vgpr18_vgpr19
                                        ; implicit-def: $vgpr20_vgpr21
                                        ; implicit-def: $vgpr10_vgpr11
                                        ; implicit-def: $vgpr12_vgpr13
                                        ; implicit-def: $vgpr6_vgpr7
                                        ; implicit-def: $vgpr1
	s_cbranch_execnz .LBB1176_59
	s_branch .LBB1176_76
.LBB1176_25:
	s_add_nc_u64 s[16:17], s[12:13], -4
	s_mov_b32 s37, -1
.LBB1176_26:
	s_delay_alu instid0(SALU_CYCLE_1)
	s_and_not1_b32 vcc_lo, exec_lo, s37
.LBB1176_27:
	v_mov_b32_e32 v2, 0
	v_mad_i32_i24 v1, 0xffffffdc, v0, v1
	flat_load_b32 v60, v2, s[16:17]
	s_wait_xcnt 0x0
	s_mov_b32 s16, exec_lo
	s_wait_dscnt 0x2
	ds_store_b32 v1, v48 offset:5120
	s_wait_loadcnt_dscnt 0x0
	s_barrier_signal -1
	s_barrier_wait -1
	v_cmpx_ne_u32_e32 0, v0
; %bb.28:
	ds_load_b32 v60, v1 offset:5116
; %bb.29:
	s_or_b32 exec_lo, exec_lo, s16
	s_wait_dscnt 0x0
	s_barrier_signal -1
	s_barrier_wait -1
                                        ; implicit-def: $vgpr2_vgpr3
	s_and_saveexec_b32 s16, s0
	s_cbranch_execnz .LBB1176_62
; %bb.30:
	s_or_b32 exec_lo, exec_lo, s16
                                        ; implicit-def: $vgpr4_vgpr5
	s_and_saveexec_b32 s0, s1
	s_cbranch_execnz .LBB1176_63
.LBB1176_31:
	s_or_b32 exec_lo, exec_lo, s0
                                        ; implicit-def: $vgpr6_vgpr7
	s_and_saveexec_b32 s0, s2
	s_cbranch_execnz .LBB1176_64
.LBB1176_32:
	s_or_b32 exec_lo, exec_lo, s0
                                        ; implicit-def: $vgpr10_vgpr11
	s_and_saveexec_b32 s0, s3
	s_cbranch_execnz .LBB1176_65
.LBB1176_33:
	s_or_b32 exec_lo, exec_lo, s0
                                        ; implicit-def: $vgpr12_vgpr13
	s_and_saveexec_b32 s0, s4
	s_cbranch_execnz .LBB1176_66
.LBB1176_34:
	s_or_b32 exec_lo, exec_lo, s0
                                        ; implicit-def: $vgpr14_vgpr15
	s_and_saveexec_b32 s0, s5
	s_cbranch_execnz .LBB1176_67
.LBB1176_35:
	s_or_b32 exec_lo, exec_lo, s0
                                        ; implicit-def: $vgpr18_vgpr19
	s_and_saveexec_b32 s0, s6
	s_cbranch_execnz .LBB1176_68
.LBB1176_36:
	s_or_b32 exec_lo, exec_lo, s0
                                        ; implicit-def: $vgpr20_vgpr21
	s_and_saveexec_b32 s0, s7
	s_cbranch_execnz .LBB1176_69
.LBB1176_37:
	s_or_b32 exec_lo, exec_lo, s0
                                        ; implicit-def: $vgpr22_vgpr23
	s_and_saveexec_b32 s0, s8
	s_cbranch_execnz .LBB1176_70
.LBB1176_38:
	s_or_b32 exec_lo, exec_lo, s0
                                        ; implicit-def: $vgpr24_vgpr25
	s_and_saveexec_b32 s0, s9
	s_cbranch_execz .LBB1176_40
.LBB1176_39:
	flat_load_b64 v[24:25], v0, s[10:11] offset:9216 scale_offset
.LBB1176_40:
	s_wait_xcnt 0x0
	s_or_b32 exec_lo, exec_lo, s0
	v_lshl_add_u32 v61, v0, 2, v1
	v_mul_u32_u24_e32 v52, 10, v0
	v_mov_b64_e32 v[26:27], 0
	v_mov_b64_e32 v[30:31], 0
	;; [unrolled: 1-line block ×3, first 2 shown]
	s_wait_loadcnt_dscnt 0x0
	ds_store_2addr_stride64_b64 v61, v[2:3], v[4:5] offset1:2
	ds_store_2addr_stride64_b64 v61, v[6:7], v[10:11] offset0:4 offset1:6
	ds_store_2addr_stride64_b64 v61, v[12:13], v[14:15] offset0:8 offset1:10
	;; [unrolled: 1-line block ×4, first 2 shown]
	v_mov_b64_e32 v[24:25], 0
	v_mov_b64_e32 v[34:35], 0
	;; [unrolled: 1-line block ×13, first 2 shown]
	v_cmp_gt_u32_e32 vcc_lo, s36, v52
	v_dual_mov_b32 v51, 0 :: v_dual_mov_b32 v46, 0
	v_dual_mov_b32 v49, 0 :: v_dual_mov_b32 v50, 0
	;; [unrolled: 1-line block ×7, first 2 shown]
	s_mov_b32 s4, 0
	s_mov_b32 s3, 0
	s_wait_dscnt 0x0
	s_barrier_signal -1
	s_barrier_wait -1
                                        ; implicit-def: $sgpr5
	s_and_saveexec_b32 s6, vcc_lo
	s_cbranch_execz .LBB1176_58
; %bb.41:
	v_mad_u32_u24 v1, 0x48, v0, v61
	v_dual_mov_b32 v51, 0 :: v_dual_bitop2_b32 v4, 1, v52 bitop3:0x54
	v_mov_b64_e32 v[26:27], 0
	v_mov_b64_e32 v[24:25], 0
	ds_load_b64 v[2:3], v1
	v_cmp_gt_u32_e64 s0, s36, v4
	v_mov_b64_e32 v[30:31], 0
	v_mov_b64_e32 v[28:29], 0
	;; [unrolled: 1-line block ×13, first 2 shown]
	v_dual_mov_b32 v46, 0 :: v_dual_mov_b32 v49, 0
	v_dual_mov_b32 v50, 0 :: v_dual_mov_b32 v59, 0
	;; [unrolled: 1-line block ×5, first 2 shown]
	s_mov_b32 s1, 0
	v_cmp_ne_u32_e32 vcc_lo, v60, v36
                                        ; implicit-def: $sgpr5
	s_and_saveexec_b32 s3, s0
	s_cbranch_execz .LBB1176_57
; %bb.42:
	v_mul_u32_u24_e32 v1, 0x48, v0
	v_cmp_ne_u32_e64 s0, v38, v16
	v_cmp_ne_u32_e64 s2, v37, v9
	v_mov_b64_e32 v[26:27], 0
	v_mov_b64_e32 v[24:25], 0
	v_dual_add_nc_u32 v16, v61, v1 :: v_dual_add_nc_u32 v5, 2, v52
	s_delay_alu instid0(VALU_DEP_4)
	v_cndmask_b32_e64 v4, 0, 1, s2
	v_cmp_ne_u32_e64 s2, v36, v8
	v_mov_b64_e32 v[30:31], 0
	ds_load_2addr_b64 v[6:9], v16 offset0:1 offset1:2
	v_mov_b64_e32 v[28:29], 0
	v_mov_b64_e32 v[34:35], 0
	;; [unrolled: 1-line block ×10, first 2 shown]
	v_cmp_ne_u32_e64 s1, v39, v17
	v_cndmask_b32_e64 v1, 0, 1, s2
	v_lshlrev_b16 v4, 8, v4
	v_cmp_gt_u32_e64 s2, s36, v5
	v_dual_mov_b32 v46, 0 :: v_dual_mov_b32 v49, 0
	v_dual_mov_b32 v50, 0 :: v_dual_mov_b32 v59, 0
	;; [unrolled: 1-line block ×5, first 2 shown]
	s_mov_b32 s8, 0
                                        ; implicit-def: $sgpr5
	s_and_saveexec_b32 s7, s2
	s_cbranch_execz .LBB1176_56
; %bb.43:
	v_cndmask_b32_e64 v5, 0, 1, s1
	v_cndmask_b32_e64 v10, 0, 1, s0
	v_and_b32_e32 v11, 0xffff, v4
	v_mov_b64_e32 v[26:27], 0
	v_mov_b64_e32 v[24:25], 0
	v_lshlrev_b16 v5, 8, v5
	v_mov_b32_e32 v50, 0
	v_mov_b64_e32 v[30:31], 0
	v_mov_b64_e32 v[28:29], 0
	;; [unrolled: 1-line block ×3, first 2 shown]
	v_or_b32_e32 v5, v10, v5
	v_mov_b64_e32 v[14:15], 0
	v_mov_b64_e32 v[22:23], 0
	;; [unrolled: 1-line block ×4, first 2 shown]
	v_dual_lshlrev_b32 v32, 16, v5 :: v_dual_mov_b32 v54, 0
	v_mov_b64_e32 v[20:21], 0
	v_dual_mov_b32 v49, 0 :: v_dual_add_nc_u32 v12, 3, v52
	s_delay_alu instid0(VALU_DEP_3) | instskip(SKIP_2) | instid1(VALU_DEP_3)
	v_dual_mov_b32 v55, 0 :: v_dual_bitop2_b32 v13, v11, v32 bitop3:0x54
	v_mov_b64_e32 v[10:11], 0
	v_dual_mov_b32 v59, 0 :: v_dual_mov_b32 v63, 0
	v_dual_mov_b32 v53, 0 :: v_dual_lshrrev_b32 v46, 8, v13
	s_mov_b32 s1, 0
	s_mov_b32 s8, exec_lo
                                        ; implicit-def: $sgpr5
	v_cmpx_gt_u32_e64 s36, v12
	s_cbranch_execz .LBB1176_55
; %bb.44:
	ds_load_2addr_b64 v[10:13], v16 offset0:3 offset1:4
	v_dual_add_nc_u32 v14, 4, v52 :: v_dual_mov_b32 v50, 0
	v_mov_b64_e32 v[26:27], 0
	v_mov_b64_e32 v[24:25], 0
	;; [unrolled: 1-line block ×3, first 2 shown]
	s_delay_alu instid0(VALU_DEP_4)
	v_cmp_gt_u32_e64 s0, s36, v14
	v_mov_b64_e32 v[28:29], 0
	v_mov_b64_e32 v[14:15], 0
	;; [unrolled: 1-line block ×6, first 2 shown]
	v_dual_mov_b32 v59, 0 :: v_dual_mov_b32 v63, 0
	v_dual_mov_b32 v54, 0 :: v_dual_mov_b32 v55, 0
                                        ; implicit-def: $sgpr5
	s_and_saveexec_b32 s9, s0
	s_cbranch_execz .LBB1176_54
; %bb.45:
	v_dual_mov_b32 v59, 0 :: v_dual_add_nc_u32 v14, 5, v52
	v_mov_b64_e32 v[26:27], 0
	v_mov_b64_e32 v[24:25], 0
	;; [unrolled: 1-line block ×3, first 2 shown]
	s_delay_alu instid0(VALU_DEP_4)
	v_cmp_gt_u32_e64 s0, s36, v14
	v_mov_b64_e32 v[14:15], 0
	v_mov_b64_e32 v[22:23], 0
	;; [unrolled: 1-line block ×4, first 2 shown]
	v_dual_mov_b32 v63, 0 :: v_dual_mov_b32 v54, 0
	v_mov_b32_e32 v55, 0
                                        ; implicit-def: $sgpr5
	s_and_saveexec_b32 s16, s0
	s_cbranch_execz .LBB1176_53
; %bb.46:
	ds_load_2addr_b64 v[18:21], v16 offset0:5 offset1:6
	v_cmp_ne_u32_e64 s0, v42, v43
	v_dual_add_nc_u32 v15, 6, v52 :: v_dual_mov_b32 v63, 0
	v_cmp_ne_u32_e64 s2, v17, v42
	v_mov_b64_e32 v[26:27], 0
	s_delay_alu instid0(VALU_DEP_4)
	v_cndmask_b32_e64 v14, 0, 1, s0
	v_mov_b64_e32 v[24:25], 0
	v_mov_b64_e32 v[22:23], 0
	v_cndmask_b32_e64 v29, 0, 1, s2
	v_cmp_gt_u32_e64 s2, s36, v15
	v_lshlrev_b16 v28, 8, v14
	v_mov_b64_e32 v[14:15], 0
	v_mov_b64_e32 v[44:45], 0
	v_cmp_ne_u32_e64 s0, v43, v40
	v_cmp_ne_u32_e64 s1, v40, v41
	v_dual_mov_b32 v54, 0 :: v_dual_mov_b32 v55, 0
	s_mov_b32 s37, 0
                                        ; implicit-def: $sgpr5
	s_and_saveexec_b32 s17, s2
	s_cbranch_execz .LBB1176_52
; %bb.47:
	v_cndmask_b32_e64 v14, 0, 1, s1
	v_cndmask_b32_e64 v15, 0, 1, s0
	v_mov_b64_e32 v[22:23], 0
	s_mov_b32 s2, 0
	s_mov_b32 s1, exec_lo
	v_lshlrev_b16 v14, 8, v14
                                        ; implicit-def: $sgpr5
	v_dual_mov_b32 v54, 0 :: v_dual_add_nc_u32 v17, 7, v52
	s_delay_alu instid0(VALU_DEP_2) | instskip(SKIP_1) | instid1(VALU_DEP_2)
	v_dual_mov_b32 v55, 0 :: v_dual_bitop2_b32 v26, v15, v14 bitop3:0x54
	v_and_b32_e32 v14, 0xffff, v28
	v_lshlrev_b32_e32 v27, 16, v26
	s_delay_alu instid0(VALU_DEP_1) | instskip(SKIP_1) | instid1(VALU_DEP_2)
	v_or_b32_e32 v24, v14, v27
	v_mov_b64_e32 v[14:15], 0
	v_lshrrev_b32_e32 v63, 8, v24
	v_cmpx_gt_u32_e64 s36, v17
	s_cbranch_execz .LBB1176_51
; %bb.48:
	ds_load_2addr_b64 v[22:25], v16 offset0:7 offset1:8
	v_mov_b64_e32 v[14:15], 0
	v_dual_add_nc_u32 v17, 8, v52 :: v_dual_mov_b32 v55, 0
	s_mov_b32 s37, exec_lo
                                        ; implicit-def: $sgpr5
	s_delay_alu instid0(VALU_DEP_1)
	v_cmpx_gt_u32_e64 s36, v17
	s_xor_b32 s37, exec_lo, s37
	s_cbranch_execz .LBB1176_50
; %bb.49:
	ds_load_b64 v[16:17], v16 offset:72
	v_dual_add_nc_u32 v14, 9, v52 :: v_dual_lshrrev_b32 v55, 24, v27
	v_cmp_ne_u32_e64 s5, v41, v48
	s_delay_alu instid0(VALU_DEP_2)
	v_cmp_gt_u32_e64 s0, s36, v14
	s_wait_dscnt 0x1
	v_mov_b64_e32 v[14:15], v[24:25]
	s_and_b32 s2, s0, exec_lo
.LBB1176_50:
	s_or_b32 exec_lo, exec_lo, s37
	v_mov_b32_e32 v54, v26
	s_and_b32 s2, s2, exec_lo
.LBB1176_51:
	s_or_b32 exec_lo, exec_lo, s1
	s_wait_dscnt 0x0
	v_mov_b64_e32 v[26:27], v[22:23]
	v_mov_b64_e32 v[24:25], v[20:21]
	;; [unrolled: 1-line block ×3, first 2 shown]
	s_and_b32 s37, s2, exec_lo
.LBB1176_52:
	s_or_b32 exec_lo, exec_lo, s17
	s_wait_dscnt 0x0
	v_mov_b64_e32 v[30:31], v[18:19]
	v_or_b32_e32 v59, v29, v28
	s_and_b32 s1, s37, exec_lo
.LBB1176_53:
	s_or_b32 exec_lo, exec_lo, s16
	s_wait_dscnt 0x0
	v_mov_b64_e32 v[28:29], v[12:13]
	v_mov_b64_e32 v[20:21], v[12:13]
	v_lshrrev_b32_e32 v50, 24, v32
	s_and_b32 s1, s1, exec_lo
.LBB1176_54:
	s_or_b32 exec_lo, exec_lo, s9
	s_wait_dscnt 0x0
	v_mov_b64_e32 v[34:35], v[10:11]
	v_dual_mov_b32 v49, v5 :: v_dual_mov_b32 v53, v50
	s_and_b32 s1, s1, exec_lo
.LBB1176_55:
	s_or_b32 exec_lo, exec_lo, s8
	s_wait_dscnt 0x0
	v_mov_b64_e32 v[32:33], v[8:9]
	v_mov_b64_e32 v[12:13], v[8:9]
	v_dual_mov_b32 v56, v46 :: v_dual_mov_b32 v57, v49
	s_and_b32 s8, s1, exec_lo
.LBB1176_56:
	s_or_b32 exec_lo, exec_lo, s7
	v_or_b32_e32 v51, v1, v4
	s_wait_dscnt 0x0
	v_mov_b64_e32 v[4:5], v[6:7]
	s_and_b32 s1, s8, exec_lo
.LBB1176_57:
	s_or_b32 exec_lo, exec_lo, s3
	v_cndmask_b32_e64 v58, 0, 1, vcc_lo
	v_mov_b32_e32 v47, v51
	s_and_b32 s3, s1, exec_lo
	s_delay_alu instid0(VALU_DEP_2)
	v_mov_b32_e32 v1, v58
.LBB1176_58:
	s_or_b32 exec_lo, exec_lo, s6
	s_delay_alu instid0(SALU_CYCLE_1)
	s_and_b32 vcc_lo, exec_lo, s4
	s_cbranch_vccz .LBB1176_76
.LBB1176_59:
	flat_load_b32 v1, v0, s[12:13] scale_offset
	s_wait_dscnt 0x1
	s_clause 0x8
	flat_load_b32 v2, v0, s[12:13] offset:512 scale_offset
	flat_load_b32 v3, v0, s[12:13] offset:1024 scale_offset
	;; [unrolled: 1-line block ×9, first 2 shown]
	v_lshlrev_b32_e32 v11, 2, v0
	s_cmp_eq_u64 s[14:15], 0
	s_wait_loadcnt_dscnt 0x808
	ds_store_2addr_stride64_b32 v11, v1, v2 offset1:2
	s_wait_loadcnt_dscnt 0x607
	ds_store_2addr_stride64_b32 v11, v3, v4 offset0:4 offset1:6
	s_wait_loadcnt_dscnt 0x406
	ds_store_2addr_stride64_b32 v11, v5, v6 offset0:8 offset1:10
	;; [unrolled: 2-line block ×4, first 2 shown]
	v_mov_b32_e32 v1, 0
	v_mad_u32_u24 v15, v0, 36, v11
	s_wait_dscnt 0x0
	s_barrier_signal -1
	s_barrier_wait -1
	ds_load_2addr_b64 v[6:9], v15 offset1:1
	ds_load_2addr_b32 v[4:5], v15 offset0:1 offset1:2
	ds_load_2addr_b32 v[2:3], v15 offset0:3 offset1:4
	;; [unrolled: 1-line block ×3, first 2 shown]
	ds_load_b32 v14, v15 offset:36
	ds_load_2addr_b32 v[12:13], v15 offset0:5 offset1:6
	s_cbranch_scc1 .LBB1176_73
; %bb.60:
	s_and_not1_b32 vcc_lo, exec_lo, s44
	s_cbranch_vccnz .LBB1176_71
; %bb.61:
	s_lshl_b64 s[0:1], s[14:15], 2
	s_delay_alu instid0(SALU_CYCLE_1) | instskip(NEXT) | instid1(SALU_CYCLE_1)
	s_add_nc_u64 s[0:1], s[42:43], s[0:1]
	s_add_nc_u64 s[12:13], s[0:1], -4
	s_mov_b32 s0, 0
	s_branch .LBB1176_72
.LBB1176_62:
	flat_load_b64 v[2:3], v0, s[10:11] scale_offset
	s_wait_xcnt 0x0
	s_or_b32 exec_lo, exec_lo, s16
                                        ; implicit-def: $vgpr4_vgpr5
	s_and_saveexec_b32 s0, s1
	s_cbranch_execz .LBB1176_31
.LBB1176_63:
	flat_load_b64 v[4:5], v0, s[10:11] offset:1024 scale_offset
	s_wait_xcnt 0x0
	s_or_b32 exec_lo, exec_lo, s0
                                        ; implicit-def: $vgpr6_vgpr7
	s_and_saveexec_b32 s0, s2
	s_cbranch_execz .LBB1176_32
.LBB1176_64:
	flat_load_b64 v[6:7], v0, s[10:11] offset:2048 scale_offset
	s_wait_xcnt 0x0
	s_or_b32 exec_lo, exec_lo, s0
                                        ; implicit-def: $vgpr10_vgpr11
	s_and_saveexec_b32 s0, s3
	s_cbranch_execz .LBB1176_33
.LBB1176_65:
	flat_load_b64 v[10:11], v0, s[10:11] offset:3072 scale_offset
	s_wait_xcnt 0x0
	s_or_b32 exec_lo, exec_lo, s0
                                        ; implicit-def: $vgpr12_vgpr13
	s_and_saveexec_b32 s0, s4
	s_cbranch_execz .LBB1176_34
.LBB1176_66:
	flat_load_b64 v[12:13], v0, s[10:11] offset:4096 scale_offset
	s_wait_xcnt 0x0
	s_or_b32 exec_lo, exec_lo, s0
                                        ; implicit-def: $vgpr14_vgpr15
	s_and_saveexec_b32 s0, s5
	s_cbranch_execz .LBB1176_35
.LBB1176_67:
	flat_load_b64 v[14:15], v0, s[10:11] offset:5120 scale_offset
	s_wait_xcnt 0x0
	s_or_b32 exec_lo, exec_lo, s0
                                        ; implicit-def: $vgpr18_vgpr19
	s_and_saveexec_b32 s0, s6
	s_cbranch_execz .LBB1176_36
.LBB1176_68:
	flat_load_b64 v[18:19], v0, s[10:11] offset:6144 scale_offset
	s_wait_xcnt 0x0
	s_or_b32 exec_lo, exec_lo, s0
                                        ; implicit-def: $vgpr20_vgpr21
	s_and_saveexec_b32 s0, s7
	s_cbranch_execz .LBB1176_37
.LBB1176_69:
	flat_load_b64 v[20:21], v0, s[10:11] offset:7168 scale_offset
	s_wait_xcnt 0x0
	s_or_b32 exec_lo, exec_lo, s0
                                        ; implicit-def: $vgpr22_vgpr23
	s_and_saveexec_b32 s0, s8
	s_cbranch_execz .LBB1176_38
.LBB1176_70:
	flat_load_b64 v[22:23], v0, s[10:11] offset:8192 scale_offset
	s_wait_xcnt 0x0
	s_or_b32 exec_lo, exec_lo, s0
                                        ; implicit-def: $vgpr24_vgpr25
	s_and_saveexec_b32 s0, s9
	s_cbranch_execnz .LBB1176_39
	s_branch .LBB1176_40
.LBB1176_71:
	s_add_nc_u64 s[12:13], s[12:13], -4
	s_mov_b32 s0, -1
.LBB1176_72:
	s_delay_alu instid0(SALU_CYCLE_1)
	s_and_not1_b32 vcc_lo, exec_lo, s0
.LBB1176_73:
	flat_load_b32 v1, v1, s[12:13]
	v_mad_i32_i24 v15, 0xffffffdc, v0, v15
	s_mov_b32 s0, exec_lo
	s_wait_dscnt 0x2
	ds_store_b32 v15, v14 offset:5120
	s_wait_loadcnt_dscnt 0x0
	s_barrier_signal -1
	s_barrier_wait -1
	v_cmpx_ne_u32_e32 0, v0
; %bb.74:
	ds_load_b32 v1, v15 offset:5116
; %bb.75:
	s_or_b32 exec_lo, exec_lo, s0
	s_wait_dscnt 0x0
	s_barrier_signal -1
	s_barrier_wait -1
	s_clause 0x9
	flat_load_b64 v[16:17], v0, s[10:11] scale_offset
	flat_load_b64 v[18:19], v0, s[10:11] offset:1024 scale_offset
	flat_load_b64 v[20:21], v0, s[10:11] offset:2048 scale_offset
	;; [unrolled: 1-line block ×9, first 2 shown]
	v_cmp_ne_u32_e32 vcc_lo, v12, v13
	v_cmp_ne_u32_e64 s5, v11, v14
	s_mov_b32 s3, -1
	v_cndmask_b32_e64 v14, 0, 1, vcc_lo
	v_cmp_ne_u32_e32 vcc_lo, v3, v12
	v_cndmask_b32_e64 v12, 0, 1, vcc_lo
	v_cmp_ne_u32_e32 vcc_lo, v10, v11
	;; [unrolled: 2-line block ×4, first 2 shown]
	v_lshl_add_u32 v7, v0, 2, v15
	s_wait_loadcnt_dscnt 0x808
	ds_store_2addr_stride64_b64 v7, v[16:17], v[18:19] offset1:2
	s_wait_loadcnt_dscnt 0x607
	ds_store_2addr_stride64_b64 v7, v[20:21], v[22:23] offset0:4 offset1:6
	s_wait_loadcnt_dscnt 0x406
	ds_store_2addr_stride64_b64 v7, v[24:25], v[26:27] offset0:8 offset1:10
	;; [unrolled: 2-line block ×4, first 2 shown]
	v_cndmask_b32_e64 v5, 0, 1, vcc_lo
	v_cmp_ne_u32_e32 vcc_lo, v6, v4
	s_wait_dscnt 0x0
	s_barrier_signal -1
	s_barrier_wait -1
	v_lshlrev_b16 v5, 8, v5
	v_cndmask_b32_e64 v4, 0, 1, vcc_lo
	v_cmp_ne_u32_e32 vcc_lo, v9, v3
	v_lshlrev_b16 v9, 8, v14
	v_cndmask_b32_e64 v3, 0, 1, vcc_lo
	v_cmp_ne_u32_e32 vcc_lo, v8, v2
	v_lshlrev_b16 v8, 8, v11
	v_mad_u32_u24 v11, 0x48, v0, v7
	ds_load_b128 v[28:31], v11 offset:32
	ds_load_b128 v[24:27], v11 offset:48
	v_cndmask_b32_e64 v2, 0, 1, vcc_lo
	v_lshlrev_b16 v3, 8, v3
	v_and_b32_e32 v7, 0xffff, v5
	v_cmp_ne_u32_e32 vcc_lo, v1, v6
	s_delay_alu instid0(VALU_DEP_3) | instskip(SKIP_3) | instid1(VALU_DEP_4)
	v_or_b32_e32 v49, v2, v3
	v_or_b32_e32 v54, v10, v8
	v_and_b32_e32 v8, 0xffff, v9
	v_cndmask_b32_e64 v58, 0, 1, vcc_lo
	v_lshlrev_b32_e32 v10, 16, v49
	s_delay_alu instid0(VALU_DEP_4)
	v_dual_lshlrev_b32 v13, 16, v54 :: v_dual_bitop2_b32 v51, v4, v5 bitop3:0x54
	ds_load_b128 v[2:5], v11
	ds_load_b128 v[32:35], v11 offset:16
	ds_load_b128 v[14:17], v11 offset:64
	v_dual_lshrrev_b32 v50, 24, v10 :: v_dual_bitop2_b32 v59, v12, v9 bitop3:0x54
	v_mov_b32_e32 v47, v51
	v_dual_mov_b32 v57, v49 :: v_dual_bitop2_b32 v1, v7, v10 bitop3:0x54
	v_dual_lshrrev_b32 v55, 24, v13 :: v_dual_bitop2_b32 v6, v8, v13 bitop3:0x54
	s_wait_dscnt 0x3
	v_mov_b64_e32 v[22:23], v[26:27]
	s_delay_alu instid0(VALU_DEP_3)
	v_lshrrev_b32_e32 v46, 8, v1
	v_mov_b64_e32 v[44:45], v[24:25]
	v_lshrrev_b32_e32 v63, 8, v6
	v_mov_b64_e32 v[18:19], v[30:31]
	v_mov_b64_e32 v[20:21], v[28:29]
	v_dual_mov_b32 v53, v50 :: v_dual_mov_b32 v56, v46
	v_mov_b32_e32 v1, v58
	s_wait_dscnt 0x2
	v_mov_b64_e32 v[6:7], v[4:5]
	s_wait_dscnt 0x1
	v_mov_b64_e32 v[10:11], v[34:35]
	v_mov_b64_e32 v[12:13], v[32:33]
.LBB1176_76:
	v_mov_b64_e32 v[8:9], 0
	v_mov_b32_e32 v48, 0
	s_and_saveexec_b32 s0, s3
	s_cbranch_execz .LBB1176_78
; %bb.77:
	v_mov_b64_e32 v[6:7], v[4:5]
	v_mov_b64_e32 v[12:13], v[32:33]
	;; [unrolled: 1-line block ×7, first 2 shown]
	s_wait_dscnt 0x0
	v_mov_b64_e32 v[8:9], v[16:17]
	v_cndmask_b32_e64 v48, 0, 1, s5
	v_dual_mov_b32 v1, v58 :: v_dual_mov_b32 v47, v51
	v_dual_mov_b32 v56, v46 :: v_dual_mov_b32 v57, v49
	v_mov_b32_e32 v53, v50
.LBB1176_78:
	s_or_b32 exec_lo, exec_lo, s0
	v_and_b32_e32 v51, 1, v59
	v_and_b32_e32 v50, 1, v55
	v_and_b32_e32 v49, 1, v48
	v_and_b32_e32 v52, 1, v56
	v_and_b32_e32 v58, 0xff, v53
	v_and_b32_e32 v60, 0xff, v57
	v_and_b32_e32 v61, 0xff, v56
	v_and_b32_e32 v62, 0xff, v47
	v_bitop3_b16 v53, v53, 0xff, v57 bitop3:0xc8
	v_and_b32_e32 v55, 0xff, v55
	v_and_b32_e32 v56, 0xff, v54
	v_and_b32_e32 v57, 0xff, v63
	v_and_b32_e32 v59, 0xff, v59
	v_cmp_eq_u32_e64 s10, 1, v51
	v_bitop3_b16 v54, v54, 0xff, v63 bitop3:0xc8
	v_cmp_eq_u32_e64 s11, 1, v50
	v_cmp_eq_u16_e64 s0, 0, v48
	v_cmp_eq_u32_e64 s9, 1, v49
	v_mbcnt_lo_u32_b32 v46, -1, 0
	s_cmp_lg_u32 s40, 0
	s_wait_dscnt 0x0
	v_cmp_eq_u32_e32 vcc_lo, 1, v52
	s_barrier_signal -1
	s_barrier_wait -1
	s_cbranch_scc0 .LBB1176_134
; %bb.79:
	v_cmp_eq_u16_e64 s1, 0, v62
	v_cmp_eq_u16_e64 s2, 0, v61
	;; [unrolled: 1-line block ×5, first 2 shown]
	v_dual_cndmask_b32 v5, 0, v3, s1 :: v_dual_cndmask_b32 v4, 0, v2, s1
	v_cmp_eq_u16_e64 s6, 0, v57
	v_cmp_eq_u16_e64 s7, 0, v56
	;; [unrolled: 1-line block ×3, first 2 shown]
	v_bitop3_b16 v16, v47, 0xff, v1 bitop3:0xc8
	v_add_nc_u64_e32 v[4:5], v[4:5], v[6:7]
	v_cmp_ne_u16_e64 s13, 0, v54
	v_cmp_ne_u16_e64 s12, 0, v53
	s_delay_alu instid0(VALU_DEP_4) | instskip(SKIP_4) | instid1(SALU_CYCLE_1)
	v_cmp_ne_u16_e64 s14, 0, v16
	s_or_b32 s11, s13, s11
	v_dual_cndmask_b32 v5, 0, v5, s2 :: v_dual_cndmask_b32 v4, 0, v4, s2
	s_or_b32 s10, s12, s10
	s_or_b32 s9, s9, s11
	s_or_b32 s9, s9, s10
	s_delay_alu instid0(VALU_DEP_1) | instskip(SKIP_1) | instid1(SALU_CYCLE_1)
	v_add_nc_u64_e32 v[4:5], v[4:5], v[12:13]
	s_or_b32 s10, s14, vcc_lo
	s_or_b32 s9, s9, s10
	s_mov_b32 s10, exec_lo
	s_delay_alu instid0(VALU_DEP_1) | instskip(NEXT) | instid1(VALU_DEP_1)
	v_dual_cndmask_b32 v5, 0, v5, s3 :: v_dual_cndmask_b32 v4, 0, v4, s3
	v_add_nc_u64_e32 v[4:5], v[4:5], v[10:11]
	s_delay_alu instid0(VALU_DEP_1) | instskip(NEXT) | instid1(VALU_DEP_1)
	v_dual_cndmask_b32 v5, 0, v5, s4 :: v_dual_cndmask_b32 v4, 0, v4, s4
	v_add_nc_u64_e32 v[4:5], v[4:5], v[20:21]
	;; [unrolled: 3-line block ×7, first 2 shown]
	v_cndmask_b32_e64 v4, 0, 1, s9
	v_and_b32_e32 v5, 15, v46
	s_delay_alu instid0(VALU_DEP_2) | instskip(NEXT) | instid1(VALU_DEP_4)
	v_mov_b32_dpp v24, v4 row_shr:1 row_mask:0xf bank_mask:0xf
	v_mov_b32_dpp v25, v16 row_shr:1 row_mask:0xf bank_mask:0xf
	;; [unrolled: 1-line block ×3, first 2 shown]
	s_delay_alu instid0(VALU_DEP_4)
	v_cmpx_ne_u32_e32 0, v5
; %bb.80:
	s_delay_alu instid0(VALU_DEP_2) | instskip(NEXT) | instid1(VALU_DEP_4)
	v_cndmask_b32_e64 v27, v26, 0, s9
	v_cndmask_b32_e64 v26, v25, 0, s9
	v_and_or_b32 v4, v24, 1, v4
	s_delay_alu instid0(VALU_DEP_2)
	v_add_nc_u64_e32 v[16:17], v[26:27], v[16:17]
; %bb.81:
	s_or_b32 exec_lo, exec_lo, s10
	s_delay_alu instid0(VALU_DEP_1) | instskip(NEXT) | instid1(VALU_DEP_2)
	v_mov_b32_dpp v25, v16 row_shr:2 row_mask:0xf bank_mask:0xf
	v_mov_b32_dpp v26, v17 row_shr:2 row_mask:0xf bank_mask:0xf
	v_mov_b32_dpp v24, v4 row_shr:2 row_mask:0xf bank_mask:0xf
	s_mov_b32 s9, exec_lo
	v_cmpx_lt_u32_e32 1, v5
; %bb.82:
	v_cmp_eq_u16_e32 vcc_lo, 0, v4
	s_delay_alu instid0(VALU_DEP_3) | instskip(SKIP_1) | instid1(VALU_DEP_1)
	v_bitop3_b32 v4, v24, 1, v4 bitop3:0xc8
	v_dual_cndmask_b32 v27, 0, v26 :: v_dual_cndmask_b32 v26, 0, v25
	v_add_nc_u64_e32 v[16:17], v[26:27], v[16:17]
; %bb.83:
	s_or_b32 exec_lo, exec_lo, s9
	s_delay_alu instid0(VALU_DEP_1) | instskip(NEXT) | instid1(VALU_DEP_2)
	v_mov_b32_dpp v25, v16 row_shr:4 row_mask:0xf bank_mask:0xf
	v_mov_b32_dpp v26, v17 row_shr:4 row_mask:0xf bank_mask:0xf
	v_mov_b32_dpp v24, v4 row_shr:4 row_mask:0xf bank_mask:0xf
	s_mov_b32 s9, exec_lo
	v_cmpx_lt_u32_e32 3, v5
; %bb.84:
	v_cmp_eq_u16_e32 vcc_lo, 0, v4
	s_delay_alu instid0(VALU_DEP_3) | instskip(SKIP_1) | instid1(VALU_DEP_1)
	v_bitop3_b32 v4, v24, 1, v4 bitop3:0xc8
	v_dual_cndmask_b32 v27, 0, v26 :: v_dual_cndmask_b32 v26, 0, v25
	;; [unrolled: 14-line block ×3, first 2 shown]
	v_add_nc_u64_e32 v[16:17], v[26:27], v[16:17]
; %bb.87:
	s_or_b32 exec_lo, exec_lo, s9
	ds_swizzle_b32 v5, v16 offset:swizzle(BROADCAST,32,15)
	ds_swizzle_b32 v25, v17 offset:swizzle(BROADCAST,32,15)
	;; [unrolled: 1-line block ×3, first 2 shown]
	v_and_b32_e32 v24, 16, v46
	s_delay_alu instid0(VALU_DEP_1)
	v_cmp_ne_u32_e32 vcc_lo, 0, v24
	v_mov_b32_e32 v24, v4
	s_and_saveexec_b32 s10, vcc_lo
	s_cbranch_execz .LBB1176_89
; %bb.88:
	v_cmp_eq_u16_e32 vcc_lo, 0, v4
	v_and_b32_e32 v4, 1, v4
	s_wait_dscnt 0x0
	v_dual_cndmask_b32 v24, 0, v5, vcc_lo :: v_dual_bitop2_b32 v26, 1, v26 bitop3:0x40
	v_cndmask_b32_e32 v25, 0, v25, vcc_lo
	s_delay_alu instid0(VALU_DEP_3) | instskip(NEXT) | instid1(VALU_DEP_3)
	v_cmp_eq_u32_e32 vcc_lo, 1, v4
	v_cmp_eq_u32_e64 s9, 1, v26
	s_delay_alu instid0(VALU_DEP_3) | instskip(SKIP_1) | instid1(SALU_CYCLE_1)
	v_add_nc_u64_e32 v[16:17], v[24:25], v[16:17]
	s_or_b32 s9, vcc_lo, s9
	v_cndmask_b32_e64 v4, 0, 1, s9
	v_cndmask_b32_e64 v24, 0, 1, s9
.LBB1176_89:
	s_or_b32 exec_lo, exec_lo, s10
	s_wait_dscnt 0x1
	v_dual_lshrrev_b32 v25, 5, v0 :: v_dual_bitop2_b32 v5, 31, v0 bitop3:0x54
	s_mov_b32 s9, exec_lo
	s_delay_alu instid0(VALU_DEP_1) | instskip(NEXT) | instid1(VALU_DEP_2)
	v_lshlrev_b32_e32 v25, 4, v25
	v_cmpx_eq_u32_e64 v0, v5
	s_cbranch_execz .LBB1176_91
; %bb.90:
	ds_store_b64 v25, v[16:17]
	ds_store_b8 v25, v4 offset:8
.LBB1176_91:
	s_or_b32 exec_lo, exec_lo, s9
	s_delay_alu instid0(SALU_CYCLE_1)
	s_mov_b32 s10, exec_lo
	s_wait_dscnt 0x0
	s_barrier_signal -1
	s_barrier_wait -1
	v_cmpx_gt_u32_e32 4, v0
	s_cbranch_execz .LBB1176_97
; %bb.92:
	v_dual_lshlrev_b32 v26, 4, v0 :: v_dual_bitop2_b32 v28, 3, v46 bitop3:0x40
	s_mov_b32 s9, exec_lo
	ds_load_b64 v[4:5], v26
	ds_load_b32 v27, v26 offset:8
	s_wait_dscnt 0x1
	v_mov_b32_dpp v32, v4 row_shr:1 row_mask:0xf bank_mask:0xf
	v_mov_b32_dpp v33, v5 row_shr:1 row_mask:0xf bank_mask:0xf
	s_wait_dscnt 0x0
	v_mov_b32_dpp v31, v27 row_shr:1 row_mask:0xf bank_mask:0xf
	v_dual_mov_b32 v30, v27 :: v_dual_mov_b32 v29, v27
	v_cmpx_ne_u32_e32 0, v28
	s_cbranch_execz .LBB1176_94
; %bb.93:
	v_and_b32_e32 v29, 0xff, v27
	v_or_b32_e32 v30, v31, v27
	s_delay_alu instid0(VALU_DEP_2) | instskip(SKIP_1) | instid1(VALU_DEP_3)
	v_cmp_eq_u16_e32 vcc_lo, 0, v29
	v_bitop3_b32 v29, v31, 1, v27 bitop3:0xc8
	v_dual_cndmask_b32 v33, 0, v33, vcc_lo :: v_dual_bitop2_b32 v30, 1, v30 bitop3:0x40
	v_cndmask_b32_e32 v32, 0, v32, vcc_lo
	s_delay_alu instid0(VALU_DEP_3) | instskip(NEXT) | instid1(VALU_DEP_2)
	v_and_or_b32 v27, 0xffffff00, v27, v29
	v_add_nc_u64_e32 v[4:5], v[32:33], v[4:5]
.LBB1176_94:
	s_or_b32 exec_lo, exec_lo, s9
	s_delay_alu instid0(VALU_DEP_1) | instskip(NEXT) | instid1(VALU_DEP_2)
	v_mov_b32_dpp v31, v4 row_shr:2 row_mask:0xf bank_mask:0xf
	v_mov_b32_dpp v32, v5 row_shr:2 row_mask:0xf bank_mask:0xf
	;; [unrolled: 1-line block ×3, first 2 shown]
	s_mov_b32 s11, exec_lo
	v_cmpx_lt_u32_e32 1, v28
	s_cbranch_execz .LBB1176_96
; %bb.95:
	v_and_b32_e32 v28, 0xff, v29
	v_and_b32_e32 v27, 1, v27
	s_delay_alu instid0(VALU_DEP_2) | instskip(SKIP_1) | instid1(VALU_DEP_3)
	v_cmp_eq_u16_e32 vcc_lo, 0, v28
	v_and_b32_e32 v30, 1, v29
	v_cmp_eq_u32_e64 s9, 1, v27
	v_dual_cndmask_b32 v29, 0, v32 :: v_dual_cndmask_b32 v28, 0, v31
	s_delay_alu instid0(VALU_DEP_3) | instskip(NEXT) | instid1(VALU_DEP_2)
	v_cmp_eq_u32_e32 vcc_lo, 1, v30
	v_add_nc_u64_e32 v[4:5], v[28:29], v[4:5]
	s_or_b32 s9, vcc_lo, s9
	s_delay_alu instid0(SALU_CYCLE_1)
	v_cndmask_b32_e64 v30, 0, 1, s9
.LBB1176_96:
	s_or_b32 exec_lo, exec_lo, s11
	ds_store_b64 v26, v[4:5]
	ds_store_b8 v26, v30 offset:8
.LBB1176_97:
	s_or_b32 exec_lo, exec_lo, s10
	v_mov_b64_e32 v[4:5], 0
	v_mov_b32_e32 v31, 0
	s_mov_b32 s10, exec_lo
	v_cmp_gt_u32_e32 vcc_lo, 32, v0
	s_wait_dscnt 0x0
	s_barrier_signal -1
	s_barrier_wait -1
	v_cmpx_lt_u32_e32 31, v0
	s_cbranch_execz .LBB1176_99
; %bb.98:
	v_dual_add_nc_u32 v4, -16, v25 :: v_dual_add_nc_u32 v25, -8, v25
	v_cmp_eq_u32_e64 s9, 0, v24
	ds_load_b64 v[4:5], v4
	ds_load_u8 v25, v25
	s_wait_dscnt 0x1
	v_dual_cndmask_b32 v27, 0, v5, s9 :: v_dual_cndmask_b32 v26, 0, v4, s9
	s_wait_dscnt 0x0
	v_or_b32_e32 v24, v25, v24
	v_and_b32_e32 v31, 1, v25
	s_delay_alu instid0(VALU_DEP_3) | instskip(NEXT) | instid1(VALU_DEP_3)
	v_add_nc_u64_e32 v[16:17], v[26:27], v[16:17]
	v_and_b32_e32 v24, 1, v24
.LBB1176_99:
	s_or_b32 exec_lo, exec_lo, s10
	v_sub_co_u32 v25, s9, v46, 1
	s_delay_alu instid0(VALU_DEP_1) | instskip(NEXT) | instid1(VALU_DEP_1)
	v_cmp_gt_i32_e64 s10, 0, v25
	v_cndmask_b32_e64 v25, v25, v46, s10
	s_delay_alu instid0(VALU_DEP_1)
	v_lshlrev_b32_e32 v25, 2, v25
	ds_bpermute_b32 v30, v25, v16
	ds_bpermute_b32 v32, v25, v17
	ds_bpermute_b32 v33, v25, v24
	s_and_saveexec_b32 s12, vcc_lo
	s_cbranch_execz .LBB1176_171
; %bb.100:
	v_mov_b32_e32 v27, 0
	ds_load_b64 v[16:17], v27 offset:48
	ds_load_u8 v34, v27 offset:56
	s_and_saveexec_b32 s10, s9
	s_cbranch_execz .LBB1176_102
; %bb.101:
	s_add_co_i32 s14, s40, 32
	s_mov_b32 s15, 0
	v_dual_mov_b32 v24, 1 :: v_dual_mov_b32 v25, s14
	s_lshl_b64 s[16:17], s[14:15], 4
	s_delay_alu instid0(SALU_CYCLE_1)
	s_add_nc_u64 s[14:15], s[20:21], s[16:17]
	s_wait_dscnt 0x1
	global_store_b64 v27, v[16:17], s[14:15]
	s_wait_dscnt 0x0
	global_store_b8 v27, v34, s[14:15] offset:8
	global_wb scope:SCOPE_DEV
	s_wait_storecnt 0x0
	global_inv scope:SCOPE_DEV
	s_wait_xcnt 0x0
	global_store_b8 v25, v24, s[24:25] scope:SCOPE_DEV
.LBB1176_102:
	s_wait_xcnt 0x0
	s_or_b32 exec_lo, exec_lo, s10
	v_xad_u32 v24, v46, -1, s40
	s_mov_b32 s11, 0
	s_mov_b32 s10, exec_lo
	s_delay_alu instid0(VALU_DEP_1)
	v_add_nc_u32_e32 v26, 32, v24
	global_load_u8 v35, v26, s[24:25] scope:SCOPE_DEV
	s_wait_loadcnt 0x0
	v_cmpx_eq_u16_e32 0, v35
	s_cbranch_execz .LBB1176_106
; %bb.103:
	v_add_nc_u64_e32 v[28:29], s[24:25], v[26:27]
.LBB1176_104:                           ; =>This Inner Loop Header: Depth=1
	global_load_u8 v35, v[28:29], off scope:SCOPE_DEV
	s_wait_loadcnt 0x0
	v_cmp_ne_u16_e32 vcc_lo, 0, v35
	s_or_b32 s11, vcc_lo, s11
	s_wait_xcnt 0x0
	s_and_not1_b32 exec_lo, exec_lo, s11
	s_cbranch_execnz .LBB1176_104
; %bb.105:
	s_or_b32 exec_lo, exec_lo, s11
.LBB1176_106:
	s_delay_alu instid0(SALU_CYCLE_1)
	s_or_b32 exec_lo, exec_lo, s10
	v_dual_mov_b32 v25, s21 :: v_dual_mov_b32 v28, s20
	v_cmp_eq_u16_e32 vcc_lo, 1, v35
	global_wb scope:SCOPE_DEV
	s_wait_storecnt_dscnt 0x0
	global_inv scope:SCOPE_DEV
	v_lshlrev_b32_e64 v37, v46, -1
	s_mov_b32 s10, exec_lo
	v_cndmask_b32_e32 v29, s23, v25, vcc_lo
	v_cndmask_b32_e32 v28, s22, v28, vcc_lo
	v_cmp_ne_u32_e32 vcc_lo, 31, v46
	v_add_co_ci_u32_e64 v25, null, 0, v46, vcc_lo
	v_cmp_eq_u16_e32 vcc_lo, 2, v35
	s_delay_alu instid0(VALU_DEP_2)
	v_lshlrev_b32_e32 v36, 2, v25
	v_lshl_add_u64 v[26:27], v[26:27], 4, v[28:29]
	s_clause 0x1
	global_load_u8 v66, v[26:27], off offset:8
	global_load_b64 v[28:29], v[26:27], off
	v_and_or_b32 v25, vcc_lo, v37, 0x80000000
	s_delay_alu instid0(VALU_DEP_1)
	v_ctz_i32_b32_e32 v25, v25
	s_wait_loadcnt 0x1
	s_wait_xcnt 0x0
	v_and_b32_e32 v26, 1, v66
	s_wait_loadcnt 0x0
	ds_bpermute_b32 v38, v36, v28
	ds_bpermute_b32 v39, v36, v29
	;; [unrolled: 1-line block ×3, first 2 shown]
	v_cmpx_lt_u32_e64 v46, v25
	s_cbranch_execz .LBB1176_108
; %bb.107:
	v_and_b32_e32 v26, 0xff, v66
	s_wait_dscnt 0x0
	v_bitop3_b16 v66, v27, v66, 1 bitop3:0xec
	s_delay_alu instid0(VALU_DEP_2) | instskip(NEXT) | instid1(VALU_DEP_2)
	v_cmp_eq_u16_e32 vcc_lo, 0, v26
	v_and_b32_e32 v26, 0xff, v66
	v_dual_cndmask_b32 v39, 0, v39 :: v_dual_cndmask_b32 v38, 0, v38
	s_delay_alu instid0(VALU_DEP_1)
	v_add_nc_u64_e32 v[28:29], v[38:39], v[28:29]
.LBB1176_108:
	s_or_b32 exec_lo, exec_lo, s10
	v_cmp_gt_u32_e32 vcc_lo, 30, v46
	s_wait_dscnt 0x1
	v_add_nc_u32_e32 v39, 2, v46
	s_mov_b32 s11, exec_lo
	s_wait_dscnt 0x0
	v_cndmask_b32_e64 v27, 0, 2, vcc_lo
	s_delay_alu instid0(VALU_DEP_1)
	v_add_lshl_u32 v38, v27, v46, 2
	ds_bpermute_b32 v27, v38, v28
	ds_bpermute_b32 v40, v38, v29
	ds_bpermute_b32 v41, v38, v26
	v_cmpx_le_u32_e64 v39, v25
	s_cbranch_execz .LBB1176_110
; %bb.109:
	v_and_b32_e32 v26, 0xff, v66
	s_delay_alu instid0(VALU_DEP_1) | instskip(SKIP_3) | instid1(VALU_DEP_2)
	v_cmp_eq_u16_e32 vcc_lo, 0, v26
	v_and_b32_e32 v42, 1, v66
	s_wait_dscnt 0x0
	v_dual_cndmask_b32 v41, 0, v40, vcc_lo :: v_dual_bitop2_b32 v26, 1, v41 bitop3:0x40
	v_cmp_eq_u32_e64 s10, 1, v42
	v_cndmask_b32_e32 v40, 0, v27, vcc_lo
	s_delay_alu instid0(VALU_DEP_3) | instskip(NEXT) | instid1(VALU_DEP_2)
	v_cmp_eq_u32_e32 vcc_lo, 1, v26
	v_add_nc_u64_e32 v[28:29], v[40:41], v[28:29]
	s_or_b32 s10, s10, vcc_lo
	s_delay_alu instid0(SALU_CYCLE_1)
	v_cndmask_b32_e64 v66, 0, 1, s10
	v_cndmask_b32_e64 v26, 0, 1, s10
.LBB1176_110:
	s_or_b32 exec_lo, exec_lo, s11
	v_cmp_gt_u32_e32 vcc_lo, 28, v46
	s_wait_dscnt 0x0
	v_add_nc_u32_e32 v41, 4, v46
	s_mov_b32 s13, exec_lo
	v_cndmask_b32_e64 v27, 0, 4, vcc_lo
	s_delay_alu instid0(VALU_DEP_1)
	v_add_lshl_u32 v40, v27, v46, 2
	ds_bpermute_b32 v27, v40, v28
	ds_bpermute_b32 v42, v40, v29
	;; [unrolled: 1-line block ×3, first 2 shown]
	v_cmpx_le_u32_e64 v41, v25
	s_cbranch_execz .LBB1176_112
; %bb.111:
	v_and_b32_e32 v26, 0xff, v66
	s_wait_dscnt 0x0
	v_and_b32_e32 v43, 1, v43
	s_delay_alu instid0(VALU_DEP_2) | instskip(SKIP_1) | instid1(VALU_DEP_3)
	v_cmp_eq_u16_e32 vcc_lo, 0, v26
	v_and_b32_e32 v63, 1, v66
	v_cmp_eq_u32_e64 s11, 1, v43
	v_dual_cndmask_b32 v43, 0, v42 :: v_dual_cndmask_b32 v42, 0, v27
	s_delay_alu instid0(VALU_DEP_3) | instskip(NEXT) | instid1(VALU_DEP_2)
	v_cmp_eq_u32_e64 s10, 1, v63
	v_add_nc_u64_e32 v[28:29], v[42:43], v[28:29]
	s_or_b32 s10, s10, s11
	s_delay_alu instid0(SALU_CYCLE_1)
	v_cndmask_b32_e64 v66, 0, 1, s10
	v_cndmask_b32_e64 v26, 0, 1, s10
.LBB1176_112:
	s_or_b32 exec_lo, exec_lo, s13
	v_cmp_gt_u32_e32 vcc_lo, 24, v46
	s_wait_dscnt 0x0
	v_add_nc_u32_e32 v43, 8, v46
	s_mov_b32 s11, exec_lo
	v_cndmask_b32_e64 v27, 0, 8, vcc_lo
	s_delay_alu instid0(VALU_DEP_1)
	v_add_lshl_u32 v42, v27, v46, 2
	ds_bpermute_b32 v27, v42, v28
	ds_bpermute_b32 v63, v42, v29
	ds_bpermute_b32 v64, v42, v26
	v_cmpx_le_u32_e64 v43, v25
	s_cbranch_execz .LBB1176_114
; %bb.113:
	v_and_b32_e32 v26, 0xff, v66
	s_delay_alu instid0(VALU_DEP_1) | instskip(SKIP_4) | instid1(VALU_DEP_3)
	v_cmp_eq_u16_e32 vcc_lo, 0, v26
	v_and_b32_e32 v66, 1, v66
	s_wait_dscnt 0x0
	v_dual_cndmask_b32 v64, 0, v27, vcc_lo :: v_dual_bitop2_b32 v26, 1, v64 bitop3:0x40
	v_cndmask_b32_e32 v65, 0, v63, vcc_lo
	v_cmp_eq_u32_e64 s10, 1, v66
	s_delay_alu instid0(VALU_DEP_3) | instskip(NEXT) | instid1(VALU_DEP_3)
	v_cmp_eq_u32_e32 vcc_lo, 1, v26
	v_add_nc_u64_e32 v[28:29], v[64:65], v[28:29]
	s_or_b32 s10, s10, vcc_lo
	s_delay_alu instid0(SALU_CYCLE_1)
	v_cndmask_b32_e64 v66, 0, 1, s10
	v_cndmask_b32_e64 v26, 0, 1, s10
.LBB1176_114:
	s_or_b32 exec_lo, exec_lo, s11
	s_wait_dscnt 0x1
	v_lshl_or_b32 v63, v46, 2, 64
	v_add_nc_u32_e32 v65, 16, v46
	s_mov_b32 s11, exec_lo
	ds_bpermute_b32 v27, v63, v28
	s_wait_dscnt 0x1
	ds_bpermute_b32 v64, v63, v29
	ds_bpermute_b32 v26, v63, v26
	v_cmpx_le_u32_e64 v65, v25
	s_cbranch_execz .LBB1176_116
; %bb.115:
	v_and_b32_e32 v25, 0xff, v66
	s_delay_alu instid0(VALU_DEP_1) | instskip(SKIP_4) | instid1(VALU_DEP_3)
	v_cmp_eq_u16_e32 vcc_lo, 0, v25
	v_and_b32_e32 v25, 1, v66
	s_wait_dscnt 0x0
	v_dual_cndmask_b32 v66, 0, v27, vcc_lo :: v_dual_bitop2_b32 v26, 1, v26 bitop3:0x40
	v_cndmask_b32_e32 v67, 0, v64, vcc_lo
	v_cmp_eq_u32_e32 vcc_lo, 1, v25
	s_delay_alu instid0(VALU_DEP_3) | instskip(NEXT) | instid1(VALU_DEP_3)
	v_cmp_eq_u32_e64 s10, 1, v26
	v_add_nc_u64_e32 v[28:29], v[66:67], v[28:29]
	s_or_b32 s10, vcc_lo, s10
	s_delay_alu instid0(SALU_CYCLE_1)
	v_cndmask_b32_e64 v66, 0, 1, s10
.LBB1176_116:
	s_or_b32 exec_lo, exec_lo, s11
	v_mov_b32_e32 v25, 0
	s_branch .LBB1176_119
.LBB1176_117:                           ;   in Loop: Header=BB1176_119 Depth=1
	s_or_b32 exec_lo, exec_lo, s13
	v_and_b32_e32 v66, 0xff, v64
	v_subrev_nc_u32_e32 v24, 32, v24
	s_delay_alu instid0(VALU_DEP_2) | instskip(SKIP_2) | instid1(VALU_DEP_2)
	v_cmp_eq_u16_e32 vcc_lo, 0, v66
	v_dual_cndmask_b32 v29, 0, v29, vcc_lo :: v_dual_bitop2_b32 v66, 1, v64 bitop3:0x40
	v_cndmask_b32_e32 v28, 0, v28, vcc_lo
	v_cmp_eq_u32_e32 vcc_lo, 1, v66
	s_delay_alu instid0(VALU_DEP_2) | instskip(SKIP_1) | instid1(SALU_CYCLE_1)
	v_add_nc_u64_e32 v[28:29], v[28:29], v[26:27]
	s_or_b32 s10, vcc_lo, s11
	v_cndmask_b32_e64 v66, 0, 1, s10
	s_mov_b32 s10, 0
.LBB1176_118:                           ;   in Loop: Header=BB1176_119 Depth=1
	s_delay_alu instid0(SALU_CYCLE_1)
	s_and_b32 vcc_lo, exec_lo, s10
	s_cbranch_vccnz .LBB1176_167
.LBB1176_119:                           ; =>This Loop Header: Depth=1
                                        ;     Child Loop BB1176_122 Depth 2
	s_wait_dscnt 0x0
	v_and_b32_e32 v26, 0xff, v35
	v_mov_b32_e32 v64, v66
	s_mov_b32 s10, -1
                                        ; implicit-def: $vgpr66
                                        ; implicit-def: $vgpr35
	s_delay_alu instid0(VALU_DEP_2)
	v_cmp_ne_u16_e32 vcc_lo, 2, v26
	v_mov_b64_e32 v[26:27], v[28:29]
                                        ; implicit-def: $vgpr28_vgpr29
	s_cmp_lg_u32 vcc_lo, exec_lo
	s_cbranch_scc1 .LBB1176_118
; %bb.120:                              ;   in Loop: Header=BB1176_119 Depth=1
	global_load_u8 v35, v24, s[24:25] scope:SCOPE_DEV
	s_mov_b32 s10, exec_lo
	s_wait_loadcnt 0x0
	v_cmpx_eq_u16_e32 0, v35
	s_cbranch_execz .LBB1176_124
; %bb.121:                              ;   in Loop: Header=BB1176_119 Depth=1
	v_add_nc_u64_e32 v[28:29], s[24:25], v[24:25]
	s_mov_b32 s11, 0
.LBB1176_122:                           ;   Parent Loop BB1176_119 Depth=1
                                        ; =>  This Inner Loop Header: Depth=2
	global_load_u8 v35, v[28:29], off scope:SCOPE_DEV
	s_wait_loadcnt 0x0
	v_cmp_ne_u16_e32 vcc_lo, 0, v35
	s_or_b32 s11, vcc_lo, s11
	s_delay_alu instid0(SALU_CYCLE_1)
	s_and_not1_b32 exec_lo, exec_lo, s11
	s_cbranch_execnz .LBB1176_122
; %bb.123:                              ;   in Loop: Header=BB1176_119 Depth=1
	s_or_b32 exec_lo, exec_lo, s11
.LBB1176_124:                           ;   in Loop: Header=BB1176_119 Depth=1
	s_delay_alu instid0(SALU_CYCLE_1)
	s_or_b32 exec_lo, exec_lo, s10
	v_dual_mov_b32 v28, s21 :: v_dual_mov_b32 v66, s20
	v_cmp_eq_u16_e32 vcc_lo, 1, v35
	global_wb scope:SCOPE_DEV
	s_wait_storecnt 0x0
	global_inv scope:SCOPE_DEV
	s_mov_b32 s10, exec_lo
	v_cndmask_b32_e32 v29, s23, v28, vcc_lo
	v_cndmask_b32_e32 v28, s22, v66, vcc_lo
	v_cmp_eq_u16_e32 vcc_lo, 2, v35
	s_delay_alu instid0(VALU_DEP_2)
	v_lshl_add_u64 v[68:69], v[24:25], 4, v[28:29]
	v_and_or_b32 v66, vcc_lo, v37, 0x80000000
	s_clause 0x1
	global_load_u8 v67, v[68:69], off offset:8
	global_load_b64 v[28:29], v[68:69], off
	v_ctz_i32_b32_e32 v66, v66
	s_wait_loadcnt 0x1
	s_wait_xcnt 0x0
	v_and_b32_e32 v68, 1, v67
	s_wait_loadcnt 0x0
	ds_bpermute_b32 v70, v36, v28
	ds_bpermute_b32 v71, v36, v29
	ds_bpermute_b32 v69, v36, v68
	v_cmpx_lt_u32_e64 v46, v66
	s_cbranch_execz .LBB1176_126
; %bb.125:                              ;   in Loop: Header=BB1176_119 Depth=1
	v_and_b32_e32 v68, 0xff, v67
	s_wait_dscnt 0x0
	v_bitop3_b16 v67, v69, v67, 1 bitop3:0xec
	s_delay_alu instid0(VALU_DEP_2) | instskip(NEXT) | instid1(VALU_DEP_2)
	v_cmp_eq_u16_e32 vcc_lo, 0, v68
	v_and_b32_e32 v68, 0xff, v67
	v_dual_cndmask_b32 v71, 0, v71 :: v_dual_cndmask_b32 v70, 0, v70
	s_delay_alu instid0(VALU_DEP_1)
	v_add_nc_u64_e32 v[28:29], v[70:71], v[28:29]
.LBB1176_126:                           ;   in Loop: Header=BB1176_119 Depth=1
	s_or_b32 exec_lo, exec_lo, s10
	s_wait_dscnt 0x0
	ds_bpermute_b32 v69, v38, v28
	ds_bpermute_b32 v70, v38, v29
	;; [unrolled: 1-line block ×3, first 2 shown]
	v_and_b32_e32 v72, 1, v67
	s_mov_b32 s10, exec_lo
	s_delay_alu instid0(VALU_DEP_1)
	v_cmp_eq_u32_e64 s11, 1, v72
	v_cmpx_le_u32_e64 v39, v66
	s_cbranch_execz .LBB1176_128
; %bb.127:                              ;   in Loop: Header=BB1176_119 Depth=1
	v_and_b32_e32 v67, 0xff, v67
	s_delay_alu instid0(VALU_DEP_1) | instskip(SKIP_3) | instid1(VALU_DEP_2)
	v_cmp_eq_u16_e32 vcc_lo, 0, v67
	s_wait_dscnt 0x0
	v_dual_cndmask_b32 v71, 0, v70, vcc_lo :: v_dual_bitop2_b32 v67, 1, v71 bitop3:0x40
	v_cndmask_b32_e32 v70, 0, v69, vcc_lo
	v_cmp_eq_u32_e32 vcc_lo, 1, v67
	s_delay_alu instid0(VALU_DEP_2)
	v_add_nc_u64_e32 v[28:29], v[70:71], v[28:29]
	s_or_b32 s13, s11, vcc_lo
	s_and_not1_b32 s11, s11, exec_lo
	v_cndmask_b32_e64 v67, 0, 1, s13
	v_cndmask_b32_e64 v68, 0, 1, s13
	s_and_b32 s13, s13, exec_lo
	s_delay_alu instid0(SALU_CYCLE_1)
	s_or_b32 s11, s11, s13
.LBB1176_128:                           ;   in Loop: Header=BB1176_119 Depth=1
	s_or_b32 exec_lo, exec_lo, s10
	s_wait_dscnt 0x2
	ds_bpermute_b32 v69, v40, v28
	s_wait_dscnt 0x2
	ds_bpermute_b32 v70, v40, v29
	;; [unrolled: 2-line block ×3, first 2 shown]
	s_mov_b32 s13, exec_lo
	v_cmpx_le_u32_e64 v41, v66
	s_cbranch_execz .LBB1176_130
; %bb.129:                              ;   in Loop: Header=BB1176_119 Depth=1
	v_and_b32_e32 v68, 0xff, v67
	s_and_not1_b32 s11, s11, exec_lo
	s_delay_alu instid0(VALU_DEP_1) | instskip(SKIP_3) | instid1(VALU_DEP_2)
	v_cmp_eq_u16_e32 vcc_lo, 0, v68
	v_and_b32_e32 v67, 1, v67
	s_wait_dscnt 0x0
	v_dual_cndmask_b32 v71, 0, v70, vcc_lo :: v_dual_bitop2_b32 v68, 1, v71 bitop3:0x40
	v_cmp_eq_u32_e64 s10, 1, v67
	v_cndmask_b32_e32 v70, 0, v69, vcc_lo
	s_delay_alu instid0(VALU_DEP_3) | instskip(NEXT) | instid1(VALU_DEP_2)
	v_cmp_eq_u32_e32 vcc_lo, 1, v68
	v_add_nc_u64_e32 v[28:29], v[70:71], v[28:29]
	s_or_b32 s10, s10, vcc_lo
	s_delay_alu instid0(SALU_CYCLE_1) | instskip(SKIP_2) | instid1(SALU_CYCLE_1)
	v_cndmask_b32_e64 v67, 0, 1, s10
	v_cndmask_b32_e64 v68, 0, 1, s10
	s_and_b32 s10, s10, exec_lo
	s_or_b32 s11, s11, s10
.LBB1176_130:                           ;   in Loop: Header=BB1176_119 Depth=1
	s_or_b32 exec_lo, exec_lo, s13
	s_wait_dscnt 0x2
	ds_bpermute_b32 v69, v42, v28
	s_wait_dscnt 0x2
	ds_bpermute_b32 v70, v42, v29
	;; [unrolled: 2-line block ×3, first 2 shown]
	s_mov_b32 s13, exec_lo
	v_cmpx_le_u32_e64 v43, v66
	s_cbranch_execz .LBB1176_132
; %bb.131:                              ;   in Loop: Header=BB1176_119 Depth=1
	v_and_b32_e32 v68, 0xff, v67
	s_and_not1_b32 s11, s11, exec_lo
	s_delay_alu instid0(VALU_DEP_1) | instskip(SKIP_3) | instid1(VALU_DEP_2)
	v_cmp_eq_u16_e32 vcc_lo, 0, v68
	v_and_b32_e32 v67, 1, v67
	s_wait_dscnt 0x0
	v_dual_cndmask_b32 v71, 0, v70, vcc_lo :: v_dual_bitop2_b32 v68, 1, v71 bitop3:0x40
	v_cmp_eq_u32_e64 s10, 1, v67
	v_cndmask_b32_e32 v70, 0, v69, vcc_lo
	s_delay_alu instid0(VALU_DEP_3) | instskip(NEXT) | instid1(VALU_DEP_2)
	v_cmp_eq_u32_e32 vcc_lo, 1, v68
	v_add_nc_u64_e32 v[28:29], v[70:71], v[28:29]
	s_or_b32 s10, s10, vcc_lo
	s_delay_alu instid0(SALU_CYCLE_1) | instskip(SKIP_2) | instid1(SALU_CYCLE_1)
	v_cndmask_b32_e64 v67, 0, 1, s10
	v_cndmask_b32_e64 v68, 0, 1, s10
	s_and_b32 s10, s10, exec_lo
	s_or_b32 s11, s11, s10
.LBB1176_132:                           ;   in Loop: Header=BB1176_119 Depth=1
	s_or_b32 exec_lo, exec_lo, s13
	s_wait_dscnt 0x2
	ds_bpermute_b32 v69, v63, v28
	s_wait_dscnt 0x2
	ds_bpermute_b32 v70, v63, v29
	ds_bpermute_b32 v68, v63, v68
	s_mov_b32 s13, exec_lo
	v_cmpx_le_u32_e64 v65, v66
	s_cbranch_execz .LBB1176_117
; %bb.133:                              ;   in Loop: Header=BB1176_119 Depth=1
	v_and_b32_e32 v66, 0xff, v67
	s_and_not1_b32 s11, s11, exec_lo
	s_delay_alu instid0(VALU_DEP_1)
	v_cmp_eq_u16_e32 vcc_lo, 0, v66
	s_wait_dscnt 0x3
	v_and_b32_e32 v71, 1, v67
	s_wait_dscnt 0x0
	v_dual_cndmask_b32 v66, 0, v69, vcc_lo :: v_dual_bitop2_b32 v68, 1, v68 bitop3:0x40
	v_cndmask_b32_e32 v67, 0, v70, vcc_lo
	s_delay_alu instid0(VALU_DEP_3) | instskip(NEXT) | instid1(VALU_DEP_3)
	v_cmp_eq_u32_e32 vcc_lo, 1, v71
	v_cmp_eq_u32_e64 s10, 1, v68
	s_delay_alu instid0(VALU_DEP_3) | instskip(SKIP_1) | instid1(SALU_CYCLE_1)
	v_add_nc_u64_e32 v[28:29], v[66:67], v[28:29]
	s_or_b32 s10, vcc_lo, s10
	s_and_b32 s10, s10, exec_lo
	s_delay_alu instid0(SALU_CYCLE_1)
	s_or_b32 s11, s11, s10
	s_branch .LBB1176_117
.LBB1176_134:
                                        ; implicit-def: $vgpr42_vgpr43
                                        ; implicit-def: $vgpr38_vgpr39
                                        ; implicit-def: $vgpr34_vgpr35
                                        ; implicit-def: $vgpr30_vgpr31
                                        ; implicit-def: $vgpr26_vgpr27
	s_cbranch_execnz .LBB1176_172
.LBB1176_135:
	s_add_nc_u64 s[0:1], s[18:19], s[34:35]
	s_and_b32 vcc_lo, exec_lo, s27
	s_add_nc_u64 s[0:1], s[0:1], s[30:31]
	s_cbranch_vccz .LBB1176_199
.LBB1176_136:
	v_mul_u32_u24_e32 v1, 10, v0
	s_add_co_i32 s33, s33, s26
	s_mov_b32 s2, exec_lo
	s_delay_alu instid0(VALU_DEP_1)
	v_cmpx_gt_u32_e64 s33, v1
	s_cbranch_execz .LBB1176_148
; %bb.137:
	v_or_b32_e32 v2, 1, v1
	s_mov_b32 s3, exec_lo
	s_delay_alu instid0(VALU_DEP_1)
	v_cmpx_gt_u32_e64 s33, v2
	s_cbranch_execz .LBB1176_147
; %bb.138:
	v_add_nc_u32_e32 v2, 2, v1
	s_mov_b32 s4, exec_lo
	s_delay_alu instid0(VALU_DEP_1)
	v_cmpx_gt_u32_e64 s33, v2
	s_cbranch_execz .LBB1176_146
; %bb.139:
	v_add_nc_u32_e32 v2, 3, v1
	;; [unrolled: 6-line block ×4, first 2 shown]
	s_mov_b32 s7, exec_lo
	s_delay_alu instid0(VALU_DEP_1)
	v_cmpx_gt_u32_e64 s33, v2
; %bb.142:
	v_add_nc_u32_e32 v2, 6, v1
	s_mov_b32 s8, exec_lo
	s_delay_alu instid0(VALU_DEP_1)
	v_cmpx_gt_u32_e64 s33, v2
	s_or_b32 exec_lo, exec_lo, s8
; %bb.143:
	s_delay_alu instid0(SALU_CYCLE_1)
	s_or_b32 exec_lo, exec_lo, s7
.LBB1176_144:
	s_delay_alu instid0(SALU_CYCLE_1)
	s_or_b32 exec_lo, exec_lo, s6
.LBB1176_145:
	s_delay_alu instid0(SALU_CYCLE_1)
	s_or_b32 exec_lo, exec_lo, s5
.LBB1176_146:
	s_delay_alu instid0(SALU_CYCLE_1)
	s_or_b32 exec_lo, exec_lo, s4
.LBB1176_147:
	s_delay_alu instid0(SALU_CYCLE_1)
	s_or_b32 exec_lo, exec_lo, s3
.LBB1176_148:
	s_delay_alu instid0(SALU_CYCLE_1)
	s_or_b32 exec_lo, exec_lo, s2
	v_dual_lshlrev_b32 v1, 3, v1 :: v_dual_mov_b32 v3, 0
	s_wait_storecnt 0x0
	s_wait_loadcnt_dscnt 0x0
	s_barrier_signal -1
	s_barrier_wait -1
	v_mad_i32_i24 v2, 0xffffffb8, v0, v1
	ds_store_b128 v1, v[24:27]
	ds_store_b128 v1, v[28:31] offset:16
	ds_store_b128 v1, v[32:35] offset:32
	ds_store_b128 v1, v[36:39] offset:48
	ds_store_b128 v1, v[40:43] offset:64
	s_wait_dscnt 0x0
	s_barrier_signal -1
	s_barrier_wait -1
	ds_load_2addr_stride64_b64 v[18:21], v2 offset0:2 offset1:4
	ds_load_2addr_stride64_b64 v[14:17], v2 offset0:6 offset1:8
	;; [unrolled: 1-line block ×4, first 2 shown]
	ds_load_b64 v[4:5], v2 offset:9216
	v_lshlrev_b32_e32 v2, 3, v0
	s_mov_b32 s2, exec_lo
	s_delay_alu instid0(VALU_DEP_1)
	v_add_nc_u64_e32 v[2:3], s[0:1], v[2:3]
	v_cmpx_gt_u32_e64 s33, v0
	s_cbranch_execz .LBB1176_150
; %bb.149:
	v_mul_i32_i24_e32 v22, 0xffffffb8, v0
	s_delay_alu instid0(VALU_DEP_1)
	v_add_nc_u32_e32 v1, v1, v22
	ds_load_b64 v[22:23], v1
	s_wait_dscnt 0x0
	flat_store_b64 v[2:3], v[22:23]
.LBB1176_150:
	s_wait_xcnt 0x0
	s_or_b32 exec_lo, exec_lo, s2
	v_or_b32_e32 v1, 0x80, v0
	s_mov_b32 s2, exec_lo
	s_delay_alu instid0(VALU_DEP_1)
	v_cmpx_gt_u32_e64 s33, v1
	s_cbranch_execz .LBB1176_152
; %bb.151:
	s_wait_dscnt 0x4
	flat_store_b64 v[2:3], v[18:19] offset:1024
.LBB1176_152:
	s_wait_xcnt 0x0
	s_or_b32 exec_lo, exec_lo, s2
	v_or_b32_e32 v1, 0x100, v0
	s_mov_b32 s2, exec_lo
	s_delay_alu instid0(VALU_DEP_1)
	v_cmpx_gt_u32_e64 s33, v1
	s_cbranch_execz .LBB1176_154
; %bb.153:
	s_wait_dscnt 0x4
	flat_store_b64 v[2:3], v[20:21] offset:2048
.LBB1176_154:
	s_wait_xcnt 0x0
	s_or_b32 exec_lo, exec_lo, s2
	v_or_b32_e32 v1, 0x180, v0
	s_mov_b32 s2, exec_lo
	s_delay_alu instid0(VALU_DEP_1)
	v_cmpx_gt_u32_e64 s33, v1
	s_cbranch_execz .LBB1176_156
; %bb.155:
	s_wait_dscnt 0x3
	flat_store_b64 v[2:3], v[14:15] offset:3072
.LBB1176_156:
	s_wait_xcnt 0x0
	s_or_b32 exec_lo, exec_lo, s2
	v_or_b32_e32 v1, 0x200, v0
	s_mov_b32 s2, exec_lo
	s_delay_alu instid0(VALU_DEP_1)
	v_cmpx_gt_u32_e64 s33, v1
	s_cbranch_execz .LBB1176_158
; %bb.157:
	s_wait_dscnt 0x3
	flat_store_b64 v[2:3], v[16:17] offset:4096
.LBB1176_158:
	s_wait_xcnt 0x0
	s_or_b32 exec_lo, exec_lo, s2
	v_or_b32_e32 v1, 0x280, v0
	s_mov_b32 s2, exec_lo
	s_delay_alu instid0(VALU_DEP_1)
	v_cmpx_gt_u32_e64 s33, v1
	s_cbranch_execz .LBB1176_160
; %bb.159:
	s_wait_dscnt 0x2
	flat_store_b64 v[2:3], v[10:11] offset:5120
.LBB1176_160:
	s_wait_xcnt 0x0
	s_or_b32 exec_lo, exec_lo, s2
	v_or_b32_e32 v1, 0x300, v0
	s_mov_b32 s2, exec_lo
	s_delay_alu instid0(VALU_DEP_1)
	v_cmpx_gt_u32_e64 s33, v1
	s_cbranch_execz .LBB1176_162
; %bb.161:
	s_wait_dscnt 0x2
	flat_store_b64 v[2:3], v[12:13] offset:6144
.LBB1176_162:
	s_wait_xcnt 0x0
	s_or_b32 exec_lo, exec_lo, s2
	v_or_b32_e32 v1, 0x380, v0
	s_mov_b32 s2, exec_lo
	s_delay_alu instid0(VALU_DEP_1)
	v_cmpx_gt_u32_e64 s33, v1
	s_cbranch_execz .LBB1176_164
; %bb.163:
	s_wait_dscnt 0x1
	flat_store_b64 v[2:3], v[6:7] offset:7168
.LBB1176_164:
	s_wait_xcnt 0x0
	s_or_b32 exec_lo, exec_lo, s2
	v_or_b32_e32 v1, 0x400, v0
	s_mov_b32 s2, exec_lo
	s_delay_alu instid0(VALU_DEP_1)
	v_cmpx_gt_u32_e64 s33, v1
	s_cbranch_execz .LBB1176_166
; %bb.165:
	s_wait_dscnt 0x1
	flat_store_b64 v[2:3], v[8:9] offset:8192
.LBB1176_166:
	s_wait_xcnt 0x0
	s_or_b32 exec_lo, exec_lo, s2
	v_or_b32_e32 v1, 0x480, v0
	s_delay_alu instid0(VALU_DEP_1)
	v_cmp_gt_u32_e64 s2, s33, v1
	s_branch .LBB1176_201
.LBB1176_167:
	s_and_saveexec_b32 s10, s9
	s_cbranch_execz .LBB1176_169
; %bb.168:
	v_and_b32_e32 v24, 0xff, v34
	s_add_co_i32 s14, s40, 32
	s_mov_b32 s15, 0
	v_mov_b32_e32 v29, s14
	v_bitop3_b16 v28, v34, 1, v64 bitop3:0xc8
	v_cmp_eq_u32_e32 vcc_lo, 0, v24
	s_lshl_b64 s[16:17], s[14:15], 4
	s_delay_alu instid0(SALU_CYCLE_1) | instskip(SKIP_1) | instid1(VALU_DEP_1)
	s_add_nc_u64 s[14:15], s[22:23], s[16:17]
	v_dual_cndmask_b32 v25, 0, v27 :: v_dual_cndmask_b32 v24, 0, v26
	v_add_nc_u64_e32 v[16:17], v[24:25], v[16:17]
	v_dual_mov_b32 v24, 0 :: v_dual_mov_b32 v25, 2
	s_clause 0x1
	global_store_b64 v24, v[16:17], s[14:15]
	global_store_b8 v24, v28, s[14:15] offset:8
	global_wb scope:SCOPE_DEV
	s_wait_storecnt_dscnt 0x0
	global_inv scope:SCOPE_DEV
	s_wait_xcnt 0x0
	global_store_b8 v29, v25, s[24:25] scope:SCOPE_DEV
.LBB1176_169:
	s_wait_xcnt 0x0
	s_or_b32 exec_lo, exec_lo, s10
	v_cmp_eq_u32_e32 vcc_lo, 0, v0
	s_and_b32 exec_lo, exec_lo, vcc_lo
	s_cbranch_execz .LBB1176_171
; %bb.170:
	v_mov_b32_e32 v16, 0
	ds_store_b64 v16, v[26:27] offset:48
	ds_store_b8 v16, v64 offset:56
.LBB1176_171:
	s_or_b32 exec_lo, exec_lo, s12
	s_wait_dscnt 0x0
	v_dual_cndmask_b32 v16, v33, v31, s9 :: v_dual_cndmask_b32 v5, v32, v5, s9
	v_dual_mov_b32 v24, 0 :: v_dual_bitop2_b32 v17, 1, v1 bitop3:0x40
	v_cndmask_b32_e64 v4, v30, v4, s9
	v_cmp_eq_u32_e64 s9, 0, v0
	s_delay_alu instid0(VALU_DEP_4) | instskip(NEXT) | instid1(VALU_DEP_4)
	v_and_b32_e32 v16, 1, v16
	v_cmp_eq_u32_e32 vcc_lo, 1, v17
	s_wait_loadcnt 0x0
	s_wait_storecnt 0x0
	s_barrier_signal -1
	s_barrier_wait -1
	v_cmp_eq_u32_e64 s10, 1, v16
	ds_load_b64 v[16:17], v24 offset:48
	v_and_b32_e32 v25, 0xff, v1
	s_or_b32 s10, vcc_lo, s10
	s_delay_alu instid0(SALU_CYCLE_1) | instskip(NEXT) | instid1(VALU_DEP_2)
	v_cndmask_b32_e64 v24, 0, 1, s10
	v_cmp_eq_u16_e32 vcc_lo, 0, v25
	s_delay_alu instid0(VALU_DEP_2) | instskip(SKIP_1) | instid1(VALU_DEP_2)
	v_cndmask_b32_e64 v24, v24, v1, s9
	v_dual_cndmask_b32 v5, 0, v5 :: v_dual_cndmask_b32 v4, 0, v4
	v_and_b32_e32 v24, 0xff, v24
	s_delay_alu instid0(VALU_DEP_2) | instskip(NEXT) | instid1(VALU_DEP_2)
	v_cndmask_b32_e64 v5, v5, 0, s9
	v_cmp_eq_u16_e32 vcc_lo, 0, v24
	s_wait_dscnt 0x0
	v_cndmask_b32_e32 v17, 0, v17, vcc_lo
	v_cndmask_b32_e64 v4, v4, 0, s9
	v_cndmask_b32_e32 v16, 0, v16, vcc_lo
	s_delay_alu instid0(VALU_DEP_2) | instskip(NEXT) | instid1(VALU_DEP_1)
	v_add_nc_u64_e32 v[4:5], v[4:5], v[2:3]
	v_add_nc_u64_e32 v[24:25], v[4:5], v[16:17]
	s_delay_alu instid0(VALU_DEP_1) | instskip(NEXT) | instid1(VALU_DEP_1)
	v_dual_cndmask_b32 v5, 0, v25, s1 :: v_dual_cndmask_b32 v4, 0, v24, s1
	v_add_nc_u64_e32 v[26:27], v[4:5], v[6:7]
	s_delay_alu instid0(VALU_DEP_1) | instskip(NEXT) | instid1(VALU_DEP_1)
	v_dual_cndmask_b32 v5, 0, v27, s2 :: v_dual_cndmask_b32 v4, 0, v26, s2
	;; [unrolled: 3-line block ×9, first 2 shown]
	v_add_nc_u64_e32 v[42:43], v[4:5], v[8:9]
	s_branch .LBB1176_135
.LBB1176_172:
	s_cmp_lg_u64 s[28:29], 0
	v_cmp_eq_u32_e32 vcc_lo, 0, v0
	s_cselect_b32 s1, -1, 0
	s_cmp_lg_u64 s[38:39], 0
	v_cmp_ne_u32_e64 s0, 0, v0
	s_cselect_b32 s2, -1, 0
	s_delay_alu instid0(SALU_CYCLE_1) | instskip(NEXT) | instid1(SALU_CYCLE_1)
	s_and_b32 s1, s1, s2
	s_and_b32 s1, vcc_lo, s1
	s_delay_alu instid0(SALU_CYCLE_1)
	s_and_saveexec_b32 s2, s1
	s_cbranch_execz .LBB1176_174
; %bb.173:
	v_mov_b32_e32 v16, 0
	s_clause 0x1
	global_load_b64 v[4:5], v16, s[38:39]
	global_load_u8 v17, v16, s[38:39] offset:8
	s_wait_xcnt 0x0
	v_and_b32_e32 v16, 0xff, v1
	s_delay_alu instid0(VALU_DEP_1) | instskip(SKIP_1) | instid1(VALU_DEP_1)
	v_cmp_eq_u16_e64 s1, 0, v16
	s_wait_loadcnt 0x1
	v_dual_cndmask_b32 v5, 0, v5, s1 :: v_dual_cndmask_b32 v4, 0, v4, s1
	s_wait_loadcnt 0x0
	v_bitop3_b16 v1, v1, 1, v17 bitop3:0xc8
	s_delay_alu instid0(VALU_DEP_2)
	v_add_nc_u64_e32 v[2:3], v[4:5], v[2:3]
.LBB1176_174:
	s_or_b32 exec_lo, exec_lo, s2
	v_cmp_eq_u16_e64 s1, 0, v62
	v_cmp_eq_u16_e64 s2, 0, v61
	;; [unrolled: 1-line block ×5, first 2 shown]
	v_dual_cndmask_b32 v5, 0, v3, s1 :: v_dual_cndmask_b32 v4, 0, v2, s1
	v_cmp_eq_u16_e64 s6, 0, v57
	v_cmp_eq_u16_e64 s7, 0, v56
	;; [unrolled: 1-line block ×3, first 2 shown]
	v_bitop3_b16 v16, v1, 0xff, v47 bitop3:0xc8
	v_add_nc_u64_e32 v[26:27], v[4:5], v[6:7]
	v_cmp_eq_u16_e64 s9, 0, v48
	v_cmp_ne_u16_e64 s11, 0, v53
	v_cmp_eq_u32_e64 s12, 1, v51
	v_cmp_ne_u16_e64 s13, 0, v54
	v_cmp_eq_u32_e64 s14, 1, v50
	v_cmp_eq_u32_e64 s15, 1, v49
	v_dual_cndmask_b32 v5, 0, v27, s2 :: v_dual_cndmask_b32 v4, 0, v26, s2
	v_cmp_eq_u32_e64 s10, 1, v52
	v_cmp_ne_u16_e64 s16, 0, v16
	s_or_b32 s11, s11, s12
	s_or_b32 s12, s13, s14
	v_add_nc_u64_e32 v[28:29], v[4:5], v[12:13]
	s_or_b32 s12, s15, s12
	s_or_b32 s10, s16, s10
	;; [unrolled: 1-line block ×3, first 2 shown]
	s_mov_b32 s12, exec_lo
	s_or_b32 s11, s11, s10
	s_delay_alu instid0(VALU_DEP_1) | instskip(SKIP_1) | instid1(VALU_DEP_2)
	v_dual_cndmask_b32 v5, 0, v29, s3 :: v_dual_cndmask_b32 v4, 0, v28, s3
	v_cndmask_b32_e64 v24, 0, 1, s11
	v_add_nc_u64_e32 v[30:31], v[4:5], v[10:11]
	s_delay_alu instid0(VALU_DEP_2) | instskip(NEXT) | instid1(VALU_DEP_2)
	v_mov_b32_dpp v47, v24 row_shr:1 row_mask:0xf bank_mask:0xf
	v_dual_cndmask_b32 v5, 0, v31, s4 :: v_dual_cndmask_b32 v4, 0, v30, s4
	s_delay_alu instid0(VALU_DEP_1) | instskip(NEXT) | instid1(VALU_DEP_1)
	v_add_nc_u64_e32 v[32:33], v[4:5], v[20:21]
	v_dual_cndmask_b32 v5, 0, v33, s5 :: v_dual_cndmask_b32 v4, 0, v32, s5
	s_delay_alu instid0(VALU_DEP_1) | instskip(NEXT) | instid1(VALU_DEP_1)
	v_add_nc_u64_e32 v[34:35], v[4:5], v[18:19]
	v_dual_cndmask_b32 v5, 0, v35, s6 :: v_dual_cndmask_b32 v4, 0, v34, s6
	s_delay_alu instid0(VALU_DEP_1) | instskip(NEXT) | instid1(VALU_DEP_1)
	v_add_nc_u64_e32 v[36:37], v[4:5], v[44:45]
	v_dual_cndmask_b32 v5, 0, v37, s7 :: v_dual_cndmask_b32 v4, 0, v36, s7
	s_delay_alu instid0(VALU_DEP_1) | instskip(NEXT) | instid1(VALU_DEP_1)
	v_add_nc_u64_e32 v[38:39], v[4:5], v[22:23]
	v_dual_cndmask_b32 v5, 0, v39, s8 :: v_dual_cndmask_b32 v4, 0, v38, s8
	s_delay_alu instid0(VALU_DEP_1) | instskip(NEXT) | instid1(VALU_DEP_1)
	v_add_nc_u64_e32 v[40:41], v[4:5], v[14:15]
	v_dual_cndmask_b32 v5, 0, v41, s9 :: v_dual_cndmask_b32 v4, 0, v40, s9
	s_delay_alu instid0(VALU_DEP_1) | instskip(NEXT) | instid1(VALU_DEP_1)
	v_add_nc_u64_e32 v[42:43], v[4:5], v[8:9]
	v_dual_mov_b32 v17, v43 :: v_dual_bitop2_b32 v25, 15, v46 bitop3:0x40
	s_delay_alu instid0(VALU_DEP_2)
	v_mov_b64_e32 v[4:5], v[42:43]
	v_mov_b32_dpp v48, v42 row_shr:1 row_mask:0xf bank_mask:0xf
	v_mov_b32_e32 v16, v42
	v_mov_b32_dpp v49, v43 row_shr:1 row_mask:0xf bank_mask:0xf
	v_cmpx_ne_u32_e32 0, v25
; %bb.175:
	s_delay_alu instid0(VALU_DEP_2) | instskip(SKIP_2) | instid1(VALU_DEP_2)
	v_cndmask_b32_e64 v5, v49, 0, s11
	v_cndmask_b32_e64 v4, v48, 0, s11
	v_and_or_b32 v24, v47, 1, v24
	v_add_nc_u64_e32 v[4:5], v[42:43], v[4:5]
	s_delay_alu instid0(VALU_DEP_1)
	v_dual_mov_b32 v17, v5 :: v_dual_mov_b32 v16, v4
; %bb.176:
	s_or_b32 exec_lo, exec_lo, s12
	s_delay_alu instid0(VALU_DEP_1) | instskip(NEXT) | instid1(VALU_DEP_2)
	v_mov_b32_dpp v48, v16 row_shr:2 row_mask:0xf bank_mask:0xf
	v_mov_b32_dpp v49, v17 row_shr:2 row_mask:0xf bank_mask:0xf
	;; [unrolled: 1-line block ×3, first 2 shown]
	s_mov_b32 s11, exec_lo
	v_cmpx_lt_u32_e32 1, v25
; %bb.177:
	v_cmp_eq_u16_e64 s10, 0, v24
	s_delay_alu instid0(VALU_DEP_3) | instskip(NEXT) | instid1(VALU_DEP_2)
	v_bitop3_b32 v24, v47, 1, v24 bitop3:0xc8
	v_dual_cndmask_b32 v17, 0, v49, s10 :: v_dual_cndmask_b32 v16, 0, v48, s10
	s_delay_alu instid0(VALU_DEP_1) | instskip(NEXT) | instid1(VALU_DEP_1)
	v_add_nc_u64_e32 v[16:17], v[16:17], v[4:5]
	v_mov_b64_e32 v[4:5], v[16:17]
; %bb.178:
	s_or_b32 exec_lo, exec_lo, s11
	v_mov_b32_dpp v48, v16 row_shr:4 row_mask:0xf bank_mask:0xf
	v_mov_b32_dpp v49, v17 row_shr:4 row_mask:0xf bank_mask:0xf
	;; [unrolled: 1-line block ×3, first 2 shown]
	s_mov_b32 s11, exec_lo
	v_cmpx_lt_u32_e32 3, v25
; %bb.179:
	v_cmp_eq_u16_e64 s10, 0, v24
	s_delay_alu instid0(VALU_DEP_3) | instskip(NEXT) | instid1(VALU_DEP_2)
	v_bitop3_b32 v24, v47, 1, v24 bitop3:0xc8
	v_dual_cndmask_b32 v17, 0, v49, s10 :: v_dual_cndmask_b32 v16, 0, v48, s10
	s_delay_alu instid0(VALU_DEP_1) | instskip(NEXT) | instid1(VALU_DEP_1)
	v_add_nc_u64_e32 v[16:17], v[16:17], v[4:5]
	v_mov_b64_e32 v[4:5], v[16:17]
; %bb.180:
	s_or_b32 exec_lo, exec_lo, s11
	v_mov_b32_dpp v48, v16 row_shr:8 row_mask:0xf bank_mask:0xf
	v_mov_b32_dpp v49, v17 row_shr:8 row_mask:0xf bank_mask:0xf
	;; [unrolled: 1-line block ×3, first 2 shown]
	s_mov_b32 s11, exec_lo
	v_cmpx_lt_u32_e32 7, v25
; %bb.181:
	v_cmp_eq_u16_e64 s10, 0, v24
	s_delay_alu instid0(VALU_DEP_3) | instskip(NEXT) | instid1(VALU_DEP_2)
	v_bitop3_b32 v24, v47, 1, v24 bitop3:0xc8
	v_dual_cndmask_b32 v17, 0, v49, s10 :: v_dual_cndmask_b32 v16, 0, v48, s10
	s_delay_alu instid0(VALU_DEP_1) | instskip(NEXT) | instid1(VALU_DEP_1)
	v_add_nc_u64_e32 v[4:5], v[16:17], v[4:5]
	v_dual_mov_b32 v17, v5 :: v_dual_mov_b32 v16, v4
; %bb.182:
	s_or_b32 exec_lo, exec_lo, s11
	ds_swizzle_b32 v16, v16 offset:swizzle(BROADCAST,32,15)
	ds_swizzle_b32 v17, v17 offset:swizzle(BROADCAST,32,15)
	ds_swizzle_b32 v47, v24 offset:swizzle(BROADCAST,32,15)
	v_and_b32_e32 v25, 16, v46
	s_delay_alu instid0(VALU_DEP_1)
	v_cmp_ne_u32_e64 s10, 0, v25
	v_mov_b32_e32 v25, v24
	s_and_saveexec_b32 s12, s10
	s_cbranch_execz .LBB1176_184
; %bb.183:
	v_cmp_eq_u16_e64 s10, 0, v24
	v_and_b32_e32 v24, 1, v24
	s_wait_dscnt 0x0
	s_delay_alu instid0(VALU_DEP_2) | instskip(SKIP_1) | instid1(VALU_DEP_3)
	v_dual_cndmask_b32 v16, 0, v16, s10 :: v_dual_bitop2_b32 v25, 1, v47 bitop3:0x40
	v_cndmask_b32_e64 v17, 0, v17, s10
	v_cmp_eq_u32_e64 s10, 1, v24
	s_delay_alu instid0(VALU_DEP_3) | instskip(NEXT) | instid1(VALU_DEP_3)
	v_cmp_eq_u32_e64 s11, 1, v25
	v_add_nc_u64_e32 v[4:5], v[16:17], v[4:5]
	s_or_b32 s10, s10, s11
	s_delay_alu instid0(SALU_CYCLE_1)
	v_cndmask_b32_e64 v24, 0, 1, s10
	v_cndmask_b32_e64 v25, 0, 1, s10
.LBB1176_184:
	s_or_b32 exec_lo, exec_lo, s12
	s_wait_dscnt 0x0
	v_dual_lshrrev_b32 v47, 5, v0 :: v_dual_bitop2_b32 v16, 31, v0 bitop3:0x54
	s_mov_b32 s11, exec_lo
	s_delay_alu instid0(VALU_DEP_1)
	v_cmpx_eq_u32_e64 v0, v16
	s_cbranch_execz .LBB1176_186
; %bb.185:
	s_delay_alu instid0(VALU_DEP_2)
	v_lshlrev_b32_e32 v16, 4, v47
	ds_store_b64 v16, v[4:5]
	ds_store_b8 v16, v24 offset:8
.LBB1176_186:
	s_or_b32 exec_lo, exec_lo, s11
	s_delay_alu instid0(SALU_CYCLE_1)
	s_mov_b32 s12, exec_lo
	s_wait_dscnt 0x0
	s_barrier_signal -1
	s_barrier_wait -1
	v_cmpx_gt_u32_e32 4, v0
	s_cbranch_execz .LBB1176_192
; %bb.187:
	v_dual_lshlrev_b32 v24, 4, v0 :: v_dual_bitop2_b32 v49, 3, v46 bitop3:0x40
	s_mov_b32 s11, exec_lo
	ds_load_b64 v[16:17], v24
	ds_load_b32 v48, v24 offset:8
	s_wait_dscnt 0x1
	v_mov_b32_dpp v53, v16 row_shr:1 row_mask:0xf bank_mask:0xf
	v_mov_b32_dpp v54, v17 row_shr:1 row_mask:0xf bank_mask:0xf
	s_wait_dscnt 0x0
	v_mov_b32_dpp v52, v48 row_shr:1 row_mask:0xf bank_mask:0xf
	v_dual_mov_b32 v51, v48 :: v_dual_mov_b32 v50, v48
	v_cmpx_ne_u32_e32 0, v49
	s_cbranch_execz .LBB1176_189
; %bb.188:
	v_and_b32_e32 v50, 0xff, v48
	v_or_b32_e32 v51, v52, v48
	s_delay_alu instid0(VALU_DEP_2) | instskip(SKIP_1) | instid1(VALU_DEP_2)
	v_cmp_eq_u16_e64 s10, 0, v50
	v_bitop3_b32 v50, v52, 1, v48 bitop3:0xc8
	v_dual_cndmask_b32 v55, 0, v54, s10 :: v_dual_bitop2_b32 v51, 1, v51 bitop3:0x40
	v_cndmask_b32_e64 v54, 0, v53, s10
	s_delay_alu instid0(VALU_DEP_3) | instskip(NEXT) | instid1(VALU_DEP_2)
	v_and_or_b32 v48, 0xffffff00, v48, v50
	v_add_nc_u64_e32 v[16:17], v[54:55], v[16:17]
.LBB1176_189:
	s_or_b32 exec_lo, exec_lo, s11
	s_delay_alu instid0(VALU_DEP_1) | instskip(NEXT) | instid1(VALU_DEP_2)
	v_mov_b32_dpp v52, v16 row_shr:2 row_mask:0xf bank_mask:0xf
	v_mov_b32_dpp v53, v17 row_shr:2 row_mask:0xf bank_mask:0xf
	;; [unrolled: 1-line block ×3, first 2 shown]
	s_mov_b32 s13, exec_lo
	v_cmpx_lt_u32_e32 1, v49
	s_cbranch_execz .LBB1176_191
; %bb.190:
	v_and_b32_e32 v49, 0xff, v50
	v_and_b32_e32 v51, 1, v48
	s_delay_alu instid0(VALU_DEP_2) | instskip(SKIP_1) | instid1(VALU_DEP_3)
	v_cmp_eq_u16_e64 s10, 0, v49
	v_and_b32_e32 v50, 1, v50
	v_cmp_eq_u32_e64 s11, 1, v51
	s_delay_alu instid0(VALU_DEP_3) | instskip(NEXT) | instid1(VALU_DEP_3)
	v_dual_cndmask_b32 v49, 0, v53, s10 :: v_dual_cndmask_b32 v48, 0, v52, s10
	v_cmp_eq_u32_e64 s10, 1, v50
	s_delay_alu instid0(VALU_DEP_2) | instskip(SKIP_1) | instid1(SALU_CYCLE_1)
	v_add_nc_u64_e32 v[16:17], v[48:49], v[16:17]
	s_or_b32 s10, s10, s11
	v_cndmask_b32_e64 v51, 0, 1, s10
.LBB1176_191:
	s_or_b32 exec_lo, exec_lo, s13
	ds_store_b64 v24, v[16:17]
	ds_store_b8 v24, v51 offset:8
.LBB1176_192:
	s_or_b32 exec_lo, exec_lo, s12
	v_mov_b64_e32 v[16:17], 0
	s_mov_b32 s11, exec_lo
	s_wait_dscnt 0x0
	s_barrier_signal -1
	s_barrier_wait -1
	v_cmpx_lt_u32_e32 31, v0
	s_cbranch_execz .LBB1176_194
; %bb.193:
	v_lshl_add_u32 v16, v47, 4, -16
	v_cmp_eq_u32_e64 s10, 0, v25
	ds_load_b64 v[16:17], v16
	s_wait_dscnt 0x0
	v_dual_cndmask_b32 v25, 0, v17, s10 :: v_dual_cndmask_b32 v24, 0, v16, s10
	s_delay_alu instid0(VALU_DEP_1)
	v_add_nc_u64_e32 v[4:5], v[24:25], v[4:5]
.LBB1176_194:
	s_or_b32 exec_lo, exec_lo, s11
	v_add_nc_u32_e32 v24, -1, v46
	s_delay_alu instid0(VALU_DEP_1) | instskip(NEXT) | instid1(VALU_DEP_1)
	v_cmp_gt_i32_e64 s10, 0, v24
	v_cndmask_b32_e64 v24, v24, v46, s10
	s_delay_alu instid0(VALU_DEP_1)
	v_lshlrev_b32_e32 v24, 2, v24
	ds_bpermute_b32 v4, v24, v4
	ds_bpermute_b32 v5, v24, v5
	s_and_saveexec_b32 s10, s0
	s_cbranch_execz .LBB1176_196
; %bb.195:
	v_cmp_eq_u32_e64 s0, 0, v46
	v_and_b32_e32 v1, 0xff, v1
	;;#ASMSTART
	;;#ASMEND
	s_wait_dscnt 0x0
	s_delay_alu instid0(VALU_DEP_2) | instskip(NEXT) | instid1(VALU_DEP_2)
	v_dual_cndmask_b32 v4, v4, v16, s0 :: v_dual_cndmask_b32 v5, v5, v17, s0
	v_cmp_eq_u16_e64 s0, 0, v1
	s_delay_alu instid0(VALU_DEP_1) | instskip(NEXT) | instid1(VALU_DEP_1)
	v_dual_cndmask_b32 v5, 0, v5, s0 :: v_dual_cndmask_b32 v4, 0, v4, s0
	v_add_nc_u64_e32 v[2:3], v[4:5], v[2:3]
	s_delay_alu instid0(VALU_DEP_1) | instskip(NEXT) | instid1(VALU_DEP_1)
	v_dual_cndmask_b32 v5, 0, v3, s1 :: v_dual_cndmask_b32 v4, 0, v2, s1
	v_add_nc_u64_e32 v[26:27], v[4:5], v[6:7]
	;; [unrolled: 3-line block ×10, first 2 shown]
.LBB1176_196:
	s_or_b32 exec_lo, exec_lo, s10
	s_and_saveexec_b32 s0, vcc_lo
	s_cbranch_execz .LBB1176_198
; %bb.197:
	v_dual_mov_b32 v1, 0 :: v_dual_mov_b32 v7, 2
	s_wait_dscnt 0x0
	ds_load_b64 v[4:5], v1 offset:48
	ds_load_u8 v6, v1 offset:56
	s_wait_dscnt 0x1
	global_store_b64 v1, v[4:5], s[22:23] offset:512
	s_wait_dscnt 0x0
	global_store_b8 v1, v6, s[22:23] offset:520
	global_wb scope:SCOPE_DEV
	s_wait_storecnt 0x0
	global_inv scope:SCOPE_DEV
	s_wait_xcnt 0x0
	global_store_b8 v1, v7, s[24:25] offset:32 scope:SCOPE_DEV
.LBB1176_198:
	s_wait_xcnt 0x0
	s_or_b32 exec_lo, exec_lo, s0
	v_mov_b64_e32 v[24:25], v[2:3]
	s_add_nc_u64 s[0:1], s[18:19], s[34:35]
	s_and_b32 vcc_lo, exec_lo, s27
	s_add_nc_u64 s[0:1], s[0:1], s[30:31]
	s_cbranch_vccnz .LBB1176_136
.LBB1176_199:
	s_mov_b32 s2, 0
                                        ; implicit-def: $vgpr4_vgpr5
	s_cbranch_execz .LBB1176_201
; %bb.200:
	v_mul_u32_u24_e32 v1, 0x50, v0
	v_mul_i32_i24_e32 v2, 0xffffffb8, v0
	s_wait_storecnt 0x0
	s_wait_loadcnt_dscnt 0x0
	s_barrier_signal -1
	s_barrier_wait -1
	ds_store_b128 v1, v[24:27]
	ds_store_b128 v1, v[28:31] offset:16
	ds_store_b128 v1, v[32:35] offset:32
	;; [unrolled: 1-line block ×4, first 2 shown]
	v_mad_u32_u24 v1, 0x50, v0, v2
	s_wait_dscnt 0x0
	s_barrier_signal -1
	s_barrier_wait -1
	ds_load_2addr_stride64_b64 v[6:9], v1 offset1:2
	ds_load_2addr_stride64_b64 v[10:13], v1 offset0:4 offset1:6
	ds_load_2addr_stride64_b64 v[14:17], v1 offset0:8 offset1:10
	;; [unrolled: 1-line block ×4, first 2 shown]
	s_or_b32 s2, s2, exec_lo
	s_wait_dscnt 0x4
	s_clause 0x1
	flat_store_b64 v0, v[6:7], s[0:1] scale_offset
	flat_store_b64 v0, v[8:9], s[0:1] offset:1024 scale_offset
	s_wait_dscnt 0x5
	s_clause 0x1
	flat_store_b64 v0, v[10:11], s[0:1] offset:2048 scale_offset
	flat_store_b64 v0, v[12:13], s[0:1] offset:3072 scale_offset
	s_wait_dscnt 0x6
	s_clause 0x1
	flat_store_b64 v0, v[14:15], s[0:1] offset:4096 scale_offset
	;; [unrolled: 4-line block ×3, first 2 shown]
	flat_store_b64 v0, v[20:21], s[0:1] offset:7168 scale_offset
	s_wait_dscnt 0x8
	flat_store_b64 v0, v[2:3], s[0:1] offset:8192 scale_offset
.LBB1176_201:
	s_wait_xcnt 0x0
	s_delay_alu instid0(VALU_DEP_1)
	s_and_saveexec_b32 s3, s2
	s_cbranch_execnz .LBB1176_203
; %bb.202:
	s_sendmsg sendmsg(MSG_DEALLOC_VGPRS)
	s_endpgm
.LBB1176_203:
	s_wait_dscnt 0x0
	flat_store_b64 v0, v[4:5], s[0:1] offset:9216 scale_offset
	s_sendmsg sendmsg(MSG_DEALLOC_VGPRS)
	s_endpgm
	.section	.rodata,"a",@progbits
	.p2align	6, 0x0
	.amdhsa_kernel _ZN7rocprim17ROCPRIM_400000_NS6detail17trampoline_kernelINS0_14default_configENS1_27scan_by_key_config_selectorIiyEEZZNS1_16scan_by_key_implILNS1_25lookback_scan_determinismE0ELb0ES3_N6thrust23THRUST_200600_302600_NS6detail15normal_iteratorINS9_10device_ptrIiEEEENSB_INSC_IyEEEESG_yNS9_4plusIvEENS9_8equal_toIvEEyEE10hipError_tPvRmT2_T3_T4_T5_mT6_T7_P12ihipStream_tbENKUlT_T0_E_clISt17integral_constantIbLb0EES11_EEDaSW_SX_EUlSW_E_NS1_11comp_targetILNS1_3genE0ELNS1_11target_archE4294967295ELNS1_3gpuE0ELNS1_3repE0EEENS1_30default_config_static_selectorELNS0_4arch9wavefront6targetE0EEEvT1_
		.amdhsa_group_segment_fixed_size 10240
		.amdhsa_private_segment_fixed_size 0
		.amdhsa_kernarg_size 136
		.amdhsa_user_sgpr_count 2
		.amdhsa_user_sgpr_dispatch_ptr 0
		.amdhsa_user_sgpr_queue_ptr 0
		.amdhsa_user_sgpr_kernarg_segment_ptr 1
		.amdhsa_user_sgpr_dispatch_id 0
		.amdhsa_user_sgpr_kernarg_preload_length 0
		.amdhsa_user_sgpr_kernarg_preload_offset 0
		.amdhsa_user_sgpr_private_segment_size 0
		.amdhsa_wavefront_size32 1
		.amdhsa_uses_dynamic_stack 0
		.amdhsa_enable_private_segment 0
		.amdhsa_system_sgpr_workgroup_id_x 1
		.amdhsa_system_sgpr_workgroup_id_y 0
		.amdhsa_system_sgpr_workgroup_id_z 0
		.amdhsa_system_sgpr_workgroup_info 0
		.amdhsa_system_vgpr_workitem_id 0
		.amdhsa_next_free_vgpr 73
		.amdhsa_next_free_sgpr 45
		.amdhsa_named_barrier_count 0
		.amdhsa_reserve_vcc 1
		.amdhsa_float_round_mode_32 0
		.amdhsa_float_round_mode_16_64 0
		.amdhsa_float_denorm_mode_32 3
		.amdhsa_float_denorm_mode_16_64 3
		.amdhsa_fp16_overflow 0
		.amdhsa_memory_ordered 1
		.amdhsa_forward_progress 1
		.amdhsa_inst_pref_size 88
		.amdhsa_round_robin_scheduling 0
		.amdhsa_exception_fp_ieee_invalid_op 0
		.amdhsa_exception_fp_denorm_src 0
		.amdhsa_exception_fp_ieee_div_zero 0
		.amdhsa_exception_fp_ieee_overflow 0
		.amdhsa_exception_fp_ieee_underflow 0
		.amdhsa_exception_fp_ieee_inexact 0
		.amdhsa_exception_int_div_zero 0
	.end_amdhsa_kernel
	.section	.text._ZN7rocprim17ROCPRIM_400000_NS6detail17trampoline_kernelINS0_14default_configENS1_27scan_by_key_config_selectorIiyEEZZNS1_16scan_by_key_implILNS1_25lookback_scan_determinismE0ELb0ES3_N6thrust23THRUST_200600_302600_NS6detail15normal_iteratorINS9_10device_ptrIiEEEENSB_INSC_IyEEEESG_yNS9_4plusIvEENS9_8equal_toIvEEyEE10hipError_tPvRmT2_T3_T4_T5_mT6_T7_P12ihipStream_tbENKUlT_T0_E_clISt17integral_constantIbLb0EES11_EEDaSW_SX_EUlSW_E_NS1_11comp_targetILNS1_3genE0ELNS1_11target_archE4294967295ELNS1_3gpuE0ELNS1_3repE0EEENS1_30default_config_static_selectorELNS0_4arch9wavefront6targetE0EEEvT1_,"axG",@progbits,_ZN7rocprim17ROCPRIM_400000_NS6detail17trampoline_kernelINS0_14default_configENS1_27scan_by_key_config_selectorIiyEEZZNS1_16scan_by_key_implILNS1_25lookback_scan_determinismE0ELb0ES3_N6thrust23THRUST_200600_302600_NS6detail15normal_iteratorINS9_10device_ptrIiEEEENSB_INSC_IyEEEESG_yNS9_4plusIvEENS9_8equal_toIvEEyEE10hipError_tPvRmT2_T3_T4_T5_mT6_T7_P12ihipStream_tbENKUlT_T0_E_clISt17integral_constantIbLb0EES11_EEDaSW_SX_EUlSW_E_NS1_11comp_targetILNS1_3genE0ELNS1_11target_archE4294967295ELNS1_3gpuE0ELNS1_3repE0EEENS1_30default_config_static_selectorELNS0_4arch9wavefront6targetE0EEEvT1_,comdat
.Lfunc_end1176:
	.size	_ZN7rocprim17ROCPRIM_400000_NS6detail17trampoline_kernelINS0_14default_configENS1_27scan_by_key_config_selectorIiyEEZZNS1_16scan_by_key_implILNS1_25lookback_scan_determinismE0ELb0ES3_N6thrust23THRUST_200600_302600_NS6detail15normal_iteratorINS9_10device_ptrIiEEEENSB_INSC_IyEEEESG_yNS9_4plusIvEENS9_8equal_toIvEEyEE10hipError_tPvRmT2_T3_T4_T5_mT6_T7_P12ihipStream_tbENKUlT_T0_E_clISt17integral_constantIbLb0EES11_EEDaSW_SX_EUlSW_E_NS1_11comp_targetILNS1_3genE0ELNS1_11target_archE4294967295ELNS1_3gpuE0ELNS1_3repE0EEENS1_30default_config_static_selectorELNS0_4arch9wavefront6targetE0EEEvT1_, .Lfunc_end1176-_ZN7rocprim17ROCPRIM_400000_NS6detail17trampoline_kernelINS0_14default_configENS1_27scan_by_key_config_selectorIiyEEZZNS1_16scan_by_key_implILNS1_25lookback_scan_determinismE0ELb0ES3_N6thrust23THRUST_200600_302600_NS6detail15normal_iteratorINS9_10device_ptrIiEEEENSB_INSC_IyEEEESG_yNS9_4plusIvEENS9_8equal_toIvEEyEE10hipError_tPvRmT2_T3_T4_T5_mT6_T7_P12ihipStream_tbENKUlT_T0_E_clISt17integral_constantIbLb0EES11_EEDaSW_SX_EUlSW_E_NS1_11comp_targetILNS1_3genE0ELNS1_11target_archE4294967295ELNS1_3gpuE0ELNS1_3repE0EEENS1_30default_config_static_selectorELNS0_4arch9wavefront6targetE0EEEvT1_
                                        ; -- End function
	.set _ZN7rocprim17ROCPRIM_400000_NS6detail17trampoline_kernelINS0_14default_configENS1_27scan_by_key_config_selectorIiyEEZZNS1_16scan_by_key_implILNS1_25lookback_scan_determinismE0ELb0ES3_N6thrust23THRUST_200600_302600_NS6detail15normal_iteratorINS9_10device_ptrIiEEEENSB_INSC_IyEEEESG_yNS9_4plusIvEENS9_8equal_toIvEEyEE10hipError_tPvRmT2_T3_T4_T5_mT6_T7_P12ihipStream_tbENKUlT_T0_E_clISt17integral_constantIbLb0EES11_EEDaSW_SX_EUlSW_E_NS1_11comp_targetILNS1_3genE0ELNS1_11target_archE4294967295ELNS1_3gpuE0ELNS1_3repE0EEENS1_30default_config_static_selectorELNS0_4arch9wavefront6targetE0EEEvT1_.num_vgpr, 73
	.set _ZN7rocprim17ROCPRIM_400000_NS6detail17trampoline_kernelINS0_14default_configENS1_27scan_by_key_config_selectorIiyEEZZNS1_16scan_by_key_implILNS1_25lookback_scan_determinismE0ELb0ES3_N6thrust23THRUST_200600_302600_NS6detail15normal_iteratorINS9_10device_ptrIiEEEENSB_INSC_IyEEEESG_yNS9_4plusIvEENS9_8equal_toIvEEyEE10hipError_tPvRmT2_T3_T4_T5_mT6_T7_P12ihipStream_tbENKUlT_T0_E_clISt17integral_constantIbLb0EES11_EEDaSW_SX_EUlSW_E_NS1_11comp_targetILNS1_3genE0ELNS1_11target_archE4294967295ELNS1_3gpuE0ELNS1_3repE0EEENS1_30default_config_static_selectorELNS0_4arch9wavefront6targetE0EEEvT1_.num_agpr, 0
	.set _ZN7rocprim17ROCPRIM_400000_NS6detail17trampoline_kernelINS0_14default_configENS1_27scan_by_key_config_selectorIiyEEZZNS1_16scan_by_key_implILNS1_25lookback_scan_determinismE0ELb0ES3_N6thrust23THRUST_200600_302600_NS6detail15normal_iteratorINS9_10device_ptrIiEEEENSB_INSC_IyEEEESG_yNS9_4plusIvEENS9_8equal_toIvEEyEE10hipError_tPvRmT2_T3_T4_T5_mT6_T7_P12ihipStream_tbENKUlT_T0_E_clISt17integral_constantIbLb0EES11_EEDaSW_SX_EUlSW_E_NS1_11comp_targetILNS1_3genE0ELNS1_11target_archE4294967295ELNS1_3gpuE0ELNS1_3repE0EEENS1_30default_config_static_selectorELNS0_4arch9wavefront6targetE0EEEvT1_.numbered_sgpr, 45
	.set _ZN7rocprim17ROCPRIM_400000_NS6detail17trampoline_kernelINS0_14default_configENS1_27scan_by_key_config_selectorIiyEEZZNS1_16scan_by_key_implILNS1_25lookback_scan_determinismE0ELb0ES3_N6thrust23THRUST_200600_302600_NS6detail15normal_iteratorINS9_10device_ptrIiEEEENSB_INSC_IyEEEESG_yNS9_4plusIvEENS9_8equal_toIvEEyEE10hipError_tPvRmT2_T3_T4_T5_mT6_T7_P12ihipStream_tbENKUlT_T0_E_clISt17integral_constantIbLb0EES11_EEDaSW_SX_EUlSW_E_NS1_11comp_targetILNS1_3genE0ELNS1_11target_archE4294967295ELNS1_3gpuE0ELNS1_3repE0EEENS1_30default_config_static_selectorELNS0_4arch9wavefront6targetE0EEEvT1_.num_named_barrier, 0
	.set _ZN7rocprim17ROCPRIM_400000_NS6detail17trampoline_kernelINS0_14default_configENS1_27scan_by_key_config_selectorIiyEEZZNS1_16scan_by_key_implILNS1_25lookback_scan_determinismE0ELb0ES3_N6thrust23THRUST_200600_302600_NS6detail15normal_iteratorINS9_10device_ptrIiEEEENSB_INSC_IyEEEESG_yNS9_4plusIvEENS9_8equal_toIvEEyEE10hipError_tPvRmT2_T3_T4_T5_mT6_T7_P12ihipStream_tbENKUlT_T0_E_clISt17integral_constantIbLb0EES11_EEDaSW_SX_EUlSW_E_NS1_11comp_targetILNS1_3genE0ELNS1_11target_archE4294967295ELNS1_3gpuE0ELNS1_3repE0EEENS1_30default_config_static_selectorELNS0_4arch9wavefront6targetE0EEEvT1_.private_seg_size, 0
	.set _ZN7rocprim17ROCPRIM_400000_NS6detail17trampoline_kernelINS0_14default_configENS1_27scan_by_key_config_selectorIiyEEZZNS1_16scan_by_key_implILNS1_25lookback_scan_determinismE0ELb0ES3_N6thrust23THRUST_200600_302600_NS6detail15normal_iteratorINS9_10device_ptrIiEEEENSB_INSC_IyEEEESG_yNS9_4plusIvEENS9_8equal_toIvEEyEE10hipError_tPvRmT2_T3_T4_T5_mT6_T7_P12ihipStream_tbENKUlT_T0_E_clISt17integral_constantIbLb0EES11_EEDaSW_SX_EUlSW_E_NS1_11comp_targetILNS1_3genE0ELNS1_11target_archE4294967295ELNS1_3gpuE0ELNS1_3repE0EEENS1_30default_config_static_selectorELNS0_4arch9wavefront6targetE0EEEvT1_.uses_vcc, 1
	.set _ZN7rocprim17ROCPRIM_400000_NS6detail17trampoline_kernelINS0_14default_configENS1_27scan_by_key_config_selectorIiyEEZZNS1_16scan_by_key_implILNS1_25lookback_scan_determinismE0ELb0ES3_N6thrust23THRUST_200600_302600_NS6detail15normal_iteratorINS9_10device_ptrIiEEEENSB_INSC_IyEEEESG_yNS9_4plusIvEENS9_8equal_toIvEEyEE10hipError_tPvRmT2_T3_T4_T5_mT6_T7_P12ihipStream_tbENKUlT_T0_E_clISt17integral_constantIbLb0EES11_EEDaSW_SX_EUlSW_E_NS1_11comp_targetILNS1_3genE0ELNS1_11target_archE4294967295ELNS1_3gpuE0ELNS1_3repE0EEENS1_30default_config_static_selectorELNS0_4arch9wavefront6targetE0EEEvT1_.uses_flat_scratch, 1
	.set _ZN7rocprim17ROCPRIM_400000_NS6detail17trampoline_kernelINS0_14default_configENS1_27scan_by_key_config_selectorIiyEEZZNS1_16scan_by_key_implILNS1_25lookback_scan_determinismE0ELb0ES3_N6thrust23THRUST_200600_302600_NS6detail15normal_iteratorINS9_10device_ptrIiEEEENSB_INSC_IyEEEESG_yNS9_4plusIvEENS9_8equal_toIvEEyEE10hipError_tPvRmT2_T3_T4_T5_mT6_T7_P12ihipStream_tbENKUlT_T0_E_clISt17integral_constantIbLb0EES11_EEDaSW_SX_EUlSW_E_NS1_11comp_targetILNS1_3genE0ELNS1_11target_archE4294967295ELNS1_3gpuE0ELNS1_3repE0EEENS1_30default_config_static_selectorELNS0_4arch9wavefront6targetE0EEEvT1_.has_dyn_sized_stack, 0
	.set _ZN7rocprim17ROCPRIM_400000_NS6detail17trampoline_kernelINS0_14default_configENS1_27scan_by_key_config_selectorIiyEEZZNS1_16scan_by_key_implILNS1_25lookback_scan_determinismE0ELb0ES3_N6thrust23THRUST_200600_302600_NS6detail15normal_iteratorINS9_10device_ptrIiEEEENSB_INSC_IyEEEESG_yNS9_4plusIvEENS9_8equal_toIvEEyEE10hipError_tPvRmT2_T3_T4_T5_mT6_T7_P12ihipStream_tbENKUlT_T0_E_clISt17integral_constantIbLb0EES11_EEDaSW_SX_EUlSW_E_NS1_11comp_targetILNS1_3genE0ELNS1_11target_archE4294967295ELNS1_3gpuE0ELNS1_3repE0EEENS1_30default_config_static_selectorELNS0_4arch9wavefront6targetE0EEEvT1_.has_recursion, 0
	.set _ZN7rocprim17ROCPRIM_400000_NS6detail17trampoline_kernelINS0_14default_configENS1_27scan_by_key_config_selectorIiyEEZZNS1_16scan_by_key_implILNS1_25lookback_scan_determinismE0ELb0ES3_N6thrust23THRUST_200600_302600_NS6detail15normal_iteratorINS9_10device_ptrIiEEEENSB_INSC_IyEEEESG_yNS9_4plusIvEENS9_8equal_toIvEEyEE10hipError_tPvRmT2_T3_T4_T5_mT6_T7_P12ihipStream_tbENKUlT_T0_E_clISt17integral_constantIbLb0EES11_EEDaSW_SX_EUlSW_E_NS1_11comp_targetILNS1_3genE0ELNS1_11target_archE4294967295ELNS1_3gpuE0ELNS1_3repE0EEENS1_30default_config_static_selectorELNS0_4arch9wavefront6targetE0EEEvT1_.has_indirect_call, 0
	.section	.AMDGPU.csdata,"",@progbits
; Kernel info:
; codeLenInByte = 11156
; TotalNumSgprs: 47
; NumVgprs: 73
; ScratchSize: 0
; MemoryBound: 0
; FloatMode: 240
; IeeeMode: 1
; LDSByteSize: 10240 bytes/workgroup (compile time only)
; SGPRBlocks: 0
; VGPRBlocks: 4
; NumSGPRsForWavesPerEU: 47
; NumVGPRsForWavesPerEU: 73
; NamedBarCnt: 0
; Occupancy: 12
; WaveLimiterHint : 1
; COMPUTE_PGM_RSRC2:SCRATCH_EN: 0
; COMPUTE_PGM_RSRC2:USER_SGPR: 2
; COMPUTE_PGM_RSRC2:TRAP_HANDLER: 0
; COMPUTE_PGM_RSRC2:TGID_X_EN: 1
; COMPUTE_PGM_RSRC2:TGID_Y_EN: 0
; COMPUTE_PGM_RSRC2:TGID_Z_EN: 0
; COMPUTE_PGM_RSRC2:TIDIG_COMP_CNT: 0
	.section	.text._ZN7rocprim17ROCPRIM_400000_NS6detail17trampoline_kernelINS0_14default_configENS1_27scan_by_key_config_selectorIiyEEZZNS1_16scan_by_key_implILNS1_25lookback_scan_determinismE0ELb0ES3_N6thrust23THRUST_200600_302600_NS6detail15normal_iteratorINS9_10device_ptrIiEEEENSB_INSC_IyEEEESG_yNS9_4plusIvEENS9_8equal_toIvEEyEE10hipError_tPvRmT2_T3_T4_T5_mT6_T7_P12ihipStream_tbENKUlT_T0_E_clISt17integral_constantIbLb0EES11_EEDaSW_SX_EUlSW_E_NS1_11comp_targetILNS1_3genE10ELNS1_11target_archE1201ELNS1_3gpuE5ELNS1_3repE0EEENS1_30default_config_static_selectorELNS0_4arch9wavefront6targetE0EEEvT1_,"axG",@progbits,_ZN7rocprim17ROCPRIM_400000_NS6detail17trampoline_kernelINS0_14default_configENS1_27scan_by_key_config_selectorIiyEEZZNS1_16scan_by_key_implILNS1_25lookback_scan_determinismE0ELb0ES3_N6thrust23THRUST_200600_302600_NS6detail15normal_iteratorINS9_10device_ptrIiEEEENSB_INSC_IyEEEESG_yNS9_4plusIvEENS9_8equal_toIvEEyEE10hipError_tPvRmT2_T3_T4_T5_mT6_T7_P12ihipStream_tbENKUlT_T0_E_clISt17integral_constantIbLb0EES11_EEDaSW_SX_EUlSW_E_NS1_11comp_targetILNS1_3genE10ELNS1_11target_archE1201ELNS1_3gpuE5ELNS1_3repE0EEENS1_30default_config_static_selectorELNS0_4arch9wavefront6targetE0EEEvT1_,comdat
	.protected	_ZN7rocprim17ROCPRIM_400000_NS6detail17trampoline_kernelINS0_14default_configENS1_27scan_by_key_config_selectorIiyEEZZNS1_16scan_by_key_implILNS1_25lookback_scan_determinismE0ELb0ES3_N6thrust23THRUST_200600_302600_NS6detail15normal_iteratorINS9_10device_ptrIiEEEENSB_INSC_IyEEEESG_yNS9_4plusIvEENS9_8equal_toIvEEyEE10hipError_tPvRmT2_T3_T4_T5_mT6_T7_P12ihipStream_tbENKUlT_T0_E_clISt17integral_constantIbLb0EES11_EEDaSW_SX_EUlSW_E_NS1_11comp_targetILNS1_3genE10ELNS1_11target_archE1201ELNS1_3gpuE5ELNS1_3repE0EEENS1_30default_config_static_selectorELNS0_4arch9wavefront6targetE0EEEvT1_ ; -- Begin function _ZN7rocprim17ROCPRIM_400000_NS6detail17trampoline_kernelINS0_14default_configENS1_27scan_by_key_config_selectorIiyEEZZNS1_16scan_by_key_implILNS1_25lookback_scan_determinismE0ELb0ES3_N6thrust23THRUST_200600_302600_NS6detail15normal_iteratorINS9_10device_ptrIiEEEENSB_INSC_IyEEEESG_yNS9_4plusIvEENS9_8equal_toIvEEyEE10hipError_tPvRmT2_T3_T4_T5_mT6_T7_P12ihipStream_tbENKUlT_T0_E_clISt17integral_constantIbLb0EES11_EEDaSW_SX_EUlSW_E_NS1_11comp_targetILNS1_3genE10ELNS1_11target_archE1201ELNS1_3gpuE5ELNS1_3repE0EEENS1_30default_config_static_selectorELNS0_4arch9wavefront6targetE0EEEvT1_
	.globl	_ZN7rocprim17ROCPRIM_400000_NS6detail17trampoline_kernelINS0_14default_configENS1_27scan_by_key_config_selectorIiyEEZZNS1_16scan_by_key_implILNS1_25lookback_scan_determinismE0ELb0ES3_N6thrust23THRUST_200600_302600_NS6detail15normal_iteratorINS9_10device_ptrIiEEEENSB_INSC_IyEEEESG_yNS9_4plusIvEENS9_8equal_toIvEEyEE10hipError_tPvRmT2_T3_T4_T5_mT6_T7_P12ihipStream_tbENKUlT_T0_E_clISt17integral_constantIbLb0EES11_EEDaSW_SX_EUlSW_E_NS1_11comp_targetILNS1_3genE10ELNS1_11target_archE1201ELNS1_3gpuE5ELNS1_3repE0EEENS1_30default_config_static_selectorELNS0_4arch9wavefront6targetE0EEEvT1_
	.p2align	8
	.type	_ZN7rocprim17ROCPRIM_400000_NS6detail17trampoline_kernelINS0_14default_configENS1_27scan_by_key_config_selectorIiyEEZZNS1_16scan_by_key_implILNS1_25lookback_scan_determinismE0ELb0ES3_N6thrust23THRUST_200600_302600_NS6detail15normal_iteratorINS9_10device_ptrIiEEEENSB_INSC_IyEEEESG_yNS9_4plusIvEENS9_8equal_toIvEEyEE10hipError_tPvRmT2_T3_T4_T5_mT6_T7_P12ihipStream_tbENKUlT_T0_E_clISt17integral_constantIbLb0EES11_EEDaSW_SX_EUlSW_E_NS1_11comp_targetILNS1_3genE10ELNS1_11target_archE1201ELNS1_3gpuE5ELNS1_3repE0EEENS1_30default_config_static_selectorELNS0_4arch9wavefront6targetE0EEEvT1_,@function
_ZN7rocprim17ROCPRIM_400000_NS6detail17trampoline_kernelINS0_14default_configENS1_27scan_by_key_config_selectorIiyEEZZNS1_16scan_by_key_implILNS1_25lookback_scan_determinismE0ELb0ES3_N6thrust23THRUST_200600_302600_NS6detail15normal_iteratorINS9_10device_ptrIiEEEENSB_INSC_IyEEEESG_yNS9_4plusIvEENS9_8equal_toIvEEyEE10hipError_tPvRmT2_T3_T4_T5_mT6_T7_P12ihipStream_tbENKUlT_T0_E_clISt17integral_constantIbLb0EES11_EEDaSW_SX_EUlSW_E_NS1_11comp_targetILNS1_3genE10ELNS1_11target_archE1201ELNS1_3gpuE5ELNS1_3repE0EEENS1_30default_config_static_selectorELNS0_4arch9wavefront6targetE0EEEvT1_: ; @_ZN7rocprim17ROCPRIM_400000_NS6detail17trampoline_kernelINS0_14default_configENS1_27scan_by_key_config_selectorIiyEEZZNS1_16scan_by_key_implILNS1_25lookback_scan_determinismE0ELb0ES3_N6thrust23THRUST_200600_302600_NS6detail15normal_iteratorINS9_10device_ptrIiEEEENSB_INSC_IyEEEESG_yNS9_4plusIvEENS9_8equal_toIvEEyEE10hipError_tPvRmT2_T3_T4_T5_mT6_T7_P12ihipStream_tbENKUlT_T0_E_clISt17integral_constantIbLb0EES11_EEDaSW_SX_EUlSW_E_NS1_11comp_targetILNS1_3genE10ELNS1_11target_archE1201ELNS1_3gpuE5ELNS1_3repE0EEENS1_30default_config_static_selectorELNS0_4arch9wavefront6targetE0EEEvT1_
; %bb.0:
	.section	.rodata,"a",@progbits
	.p2align	6, 0x0
	.amdhsa_kernel _ZN7rocprim17ROCPRIM_400000_NS6detail17trampoline_kernelINS0_14default_configENS1_27scan_by_key_config_selectorIiyEEZZNS1_16scan_by_key_implILNS1_25lookback_scan_determinismE0ELb0ES3_N6thrust23THRUST_200600_302600_NS6detail15normal_iteratorINS9_10device_ptrIiEEEENSB_INSC_IyEEEESG_yNS9_4plusIvEENS9_8equal_toIvEEyEE10hipError_tPvRmT2_T3_T4_T5_mT6_T7_P12ihipStream_tbENKUlT_T0_E_clISt17integral_constantIbLb0EES11_EEDaSW_SX_EUlSW_E_NS1_11comp_targetILNS1_3genE10ELNS1_11target_archE1201ELNS1_3gpuE5ELNS1_3repE0EEENS1_30default_config_static_selectorELNS0_4arch9wavefront6targetE0EEEvT1_
		.amdhsa_group_segment_fixed_size 0
		.amdhsa_private_segment_fixed_size 0
		.amdhsa_kernarg_size 136
		.amdhsa_user_sgpr_count 2
		.amdhsa_user_sgpr_dispatch_ptr 0
		.amdhsa_user_sgpr_queue_ptr 0
		.amdhsa_user_sgpr_kernarg_segment_ptr 1
		.amdhsa_user_sgpr_dispatch_id 0
		.amdhsa_user_sgpr_kernarg_preload_length 0
		.amdhsa_user_sgpr_kernarg_preload_offset 0
		.amdhsa_user_sgpr_private_segment_size 0
		.amdhsa_wavefront_size32 1
		.amdhsa_uses_dynamic_stack 0
		.amdhsa_enable_private_segment 0
		.amdhsa_system_sgpr_workgroup_id_x 1
		.amdhsa_system_sgpr_workgroup_id_y 0
		.amdhsa_system_sgpr_workgroup_id_z 0
		.amdhsa_system_sgpr_workgroup_info 0
		.amdhsa_system_vgpr_workitem_id 0
		.amdhsa_next_free_vgpr 1
		.amdhsa_next_free_sgpr 1
		.amdhsa_named_barrier_count 0
		.amdhsa_reserve_vcc 0
		.amdhsa_float_round_mode_32 0
		.amdhsa_float_round_mode_16_64 0
		.amdhsa_float_denorm_mode_32 3
		.amdhsa_float_denorm_mode_16_64 3
		.amdhsa_fp16_overflow 0
		.amdhsa_memory_ordered 1
		.amdhsa_forward_progress 1
		.amdhsa_inst_pref_size 0
		.amdhsa_round_robin_scheduling 0
		.amdhsa_exception_fp_ieee_invalid_op 0
		.amdhsa_exception_fp_denorm_src 0
		.amdhsa_exception_fp_ieee_div_zero 0
		.amdhsa_exception_fp_ieee_overflow 0
		.amdhsa_exception_fp_ieee_underflow 0
		.amdhsa_exception_fp_ieee_inexact 0
		.amdhsa_exception_int_div_zero 0
	.end_amdhsa_kernel
	.section	.text._ZN7rocprim17ROCPRIM_400000_NS6detail17trampoline_kernelINS0_14default_configENS1_27scan_by_key_config_selectorIiyEEZZNS1_16scan_by_key_implILNS1_25lookback_scan_determinismE0ELb0ES3_N6thrust23THRUST_200600_302600_NS6detail15normal_iteratorINS9_10device_ptrIiEEEENSB_INSC_IyEEEESG_yNS9_4plusIvEENS9_8equal_toIvEEyEE10hipError_tPvRmT2_T3_T4_T5_mT6_T7_P12ihipStream_tbENKUlT_T0_E_clISt17integral_constantIbLb0EES11_EEDaSW_SX_EUlSW_E_NS1_11comp_targetILNS1_3genE10ELNS1_11target_archE1201ELNS1_3gpuE5ELNS1_3repE0EEENS1_30default_config_static_selectorELNS0_4arch9wavefront6targetE0EEEvT1_,"axG",@progbits,_ZN7rocprim17ROCPRIM_400000_NS6detail17trampoline_kernelINS0_14default_configENS1_27scan_by_key_config_selectorIiyEEZZNS1_16scan_by_key_implILNS1_25lookback_scan_determinismE0ELb0ES3_N6thrust23THRUST_200600_302600_NS6detail15normal_iteratorINS9_10device_ptrIiEEEENSB_INSC_IyEEEESG_yNS9_4plusIvEENS9_8equal_toIvEEyEE10hipError_tPvRmT2_T3_T4_T5_mT6_T7_P12ihipStream_tbENKUlT_T0_E_clISt17integral_constantIbLb0EES11_EEDaSW_SX_EUlSW_E_NS1_11comp_targetILNS1_3genE10ELNS1_11target_archE1201ELNS1_3gpuE5ELNS1_3repE0EEENS1_30default_config_static_selectorELNS0_4arch9wavefront6targetE0EEEvT1_,comdat
.Lfunc_end1177:
	.size	_ZN7rocprim17ROCPRIM_400000_NS6detail17trampoline_kernelINS0_14default_configENS1_27scan_by_key_config_selectorIiyEEZZNS1_16scan_by_key_implILNS1_25lookback_scan_determinismE0ELb0ES3_N6thrust23THRUST_200600_302600_NS6detail15normal_iteratorINS9_10device_ptrIiEEEENSB_INSC_IyEEEESG_yNS9_4plusIvEENS9_8equal_toIvEEyEE10hipError_tPvRmT2_T3_T4_T5_mT6_T7_P12ihipStream_tbENKUlT_T0_E_clISt17integral_constantIbLb0EES11_EEDaSW_SX_EUlSW_E_NS1_11comp_targetILNS1_3genE10ELNS1_11target_archE1201ELNS1_3gpuE5ELNS1_3repE0EEENS1_30default_config_static_selectorELNS0_4arch9wavefront6targetE0EEEvT1_, .Lfunc_end1177-_ZN7rocprim17ROCPRIM_400000_NS6detail17trampoline_kernelINS0_14default_configENS1_27scan_by_key_config_selectorIiyEEZZNS1_16scan_by_key_implILNS1_25lookback_scan_determinismE0ELb0ES3_N6thrust23THRUST_200600_302600_NS6detail15normal_iteratorINS9_10device_ptrIiEEEENSB_INSC_IyEEEESG_yNS9_4plusIvEENS9_8equal_toIvEEyEE10hipError_tPvRmT2_T3_T4_T5_mT6_T7_P12ihipStream_tbENKUlT_T0_E_clISt17integral_constantIbLb0EES11_EEDaSW_SX_EUlSW_E_NS1_11comp_targetILNS1_3genE10ELNS1_11target_archE1201ELNS1_3gpuE5ELNS1_3repE0EEENS1_30default_config_static_selectorELNS0_4arch9wavefront6targetE0EEEvT1_
                                        ; -- End function
	.set _ZN7rocprim17ROCPRIM_400000_NS6detail17trampoline_kernelINS0_14default_configENS1_27scan_by_key_config_selectorIiyEEZZNS1_16scan_by_key_implILNS1_25lookback_scan_determinismE0ELb0ES3_N6thrust23THRUST_200600_302600_NS6detail15normal_iteratorINS9_10device_ptrIiEEEENSB_INSC_IyEEEESG_yNS9_4plusIvEENS9_8equal_toIvEEyEE10hipError_tPvRmT2_T3_T4_T5_mT6_T7_P12ihipStream_tbENKUlT_T0_E_clISt17integral_constantIbLb0EES11_EEDaSW_SX_EUlSW_E_NS1_11comp_targetILNS1_3genE10ELNS1_11target_archE1201ELNS1_3gpuE5ELNS1_3repE0EEENS1_30default_config_static_selectorELNS0_4arch9wavefront6targetE0EEEvT1_.num_vgpr, 0
	.set _ZN7rocprim17ROCPRIM_400000_NS6detail17trampoline_kernelINS0_14default_configENS1_27scan_by_key_config_selectorIiyEEZZNS1_16scan_by_key_implILNS1_25lookback_scan_determinismE0ELb0ES3_N6thrust23THRUST_200600_302600_NS6detail15normal_iteratorINS9_10device_ptrIiEEEENSB_INSC_IyEEEESG_yNS9_4plusIvEENS9_8equal_toIvEEyEE10hipError_tPvRmT2_T3_T4_T5_mT6_T7_P12ihipStream_tbENKUlT_T0_E_clISt17integral_constantIbLb0EES11_EEDaSW_SX_EUlSW_E_NS1_11comp_targetILNS1_3genE10ELNS1_11target_archE1201ELNS1_3gpuE5ELNS1_3repE0EEENS1_30default_config_static_selectorELNS0_4arch9wavefront6targetE0EEEvT1_.num_agpr, 0
	.set _ZN7rocprim17ROCPRIM_400000_NS6detail17trampoline_kernelINS0_14default_configENS1_27scan_by_key_config_selectorIiyEEZZNS1_16scan_by_key_implILNS1_25lookback_scan_determinismE0ELb0ES3_N6thrust23THRUST_200600_302600_NS6detail15normal_iteratorINS9_10device_ptrIiEEEENSB_INSC_IyEEEESG_yNS9_4plusIvEENS9_8equal_toIvEEyEE10hipError_tPvRmT2_T3_T4_T5_mT6_T7_P12ihipStream_tbENKUlT_T0_E_clISt17integral_constantIbLb0EES11_EEDaSW_SX_EUlSW_E_NS1_11comp_targetILNS1_3genE10ELNS1_11target_archE1201ELNS1_3gpuE5ELNS1_3repE0EEENS1_30default_config_static_selectorELNS0_4arch9wavefront6targetE0EEEvT1_.numbered_sgpr, 0
	.set _ZN7rocprim17ROCPRIM_400000_NS6detail17trampoline_kernelINS0_14default_configENS1_27scan_by_key_config_selectorIiyEEZZNS1_16scan_by_key_implILNS1_25lookback_scan_determinismE0ELb0ES3_N6thrust23THRUST_200600_302600_NS6detail15normal_iteratorINS9_10device_ptrIiEEEENSB_INSC_IyEEEESG_yNS9_4plusIvEENS9_8equal_toIvEEyEE10hipError_tPvRmT2_T3_T4_T5_mT6_T7_P12ihipStream_tbENKUlT_T0_E_clISt17integral_constantIbLb0EES11_EEDaSW_SX_EUlSW_E_NS1_11comp_targetILNS1_3genE10ELNS1_11target_archE1201ELNS1_3gpuE5ELNS1_3repE0EEENS1_30default_config_static_selectorELNS0_4arch9wavefront6targetE0EEEvT1_.num_named_barrier, 0
	.set _ZN7rocprim17ROCPRIM_400000_NS6detail17trampoline_kernelINS0_14default_configENS1_27scan_by_key_config_selectorIiyEEZZNS1_16scan_by_key_implILNS1_25lookback_scan_determinismE0ELb0ES3_N6thrust23THRUST_200600_302600_NS6detail15normal_iteratorINS9_10device_ptrIiEEEENSB_INSC_IyEEEESG_yNS9_4plusIvEENS9_8equal_toIvEEyEE10hipError_tPvRmT2_T3_T4_T5_mT6_T7_P12ihipStream_tbENKUlT_T0_E_clISt17integral_constantIbLb0EES11_EEDaSW_SX_EUlSW_E_NS1_11comp_targetILNS1_3genE10ELNS1_11target_archE1201ELNS1_3gpuE5ELNS1_3repE0EEENS1_30default_config_static_selectorELNS0_4arch9wavefront6targetE0EEEvT1_.private_seg_size, 0
	.set _ZN7rocprim17ROCPRIM_400000_NS6detail17trampoline_kernelINS0_14default_configENS1_27scan_by_key_config_selectorIiyEEZZNS1_16scan_by_key_implILNS1_25lookback_scan_determinismE0ELb0ES3_N6thrust23THRUST_200600_302600_NS6detail15normal_iteratorINS9_10device_ptrIiEEEENSB_INSC_IyEEEESG_yNS9_4plusIvEENS9_8equal_toIvEEyEE10hipError_tPvRmT2_T3_T4_T5_mT6_T7_P12ihipStream_tbENKUlT_T0_E_clISt17integral_constantIbLb0EES11_EEDaSW_SX_EUlSW_E_NS1_11comp_targetILNS1_3genE10ELNS1_11target_archE1201ELNS1_3gpuE5ELNS1_3repE0EEENS1_30default_config_static_selectorELNS0_4arch9wavefront6targetE0EEEvT1_.uses_vcc, 0
	.set _ZN7rocprim17ROCPRIM_400000_NS6detail17trampoline_kernelINS0_14default_configENS1_27scan_by_key_config_selectorIiyEEZZNS1_16scan_by_key_implILNS1_25lookback_scan_determinismE0ELb0ES3_N6thrust23THRUST_200600_302600_NS6detail15normal_iteratorINS9_10device_ptrIiEEEENSB_INSC_IyEEEESG_yNS9_4plusIvEENS9_8equal_toIvEEyEE10hipError_tPvRmT2_T3_T4_T5_mT6_T7_P12ihipStream_tbENKUlT_T0_E_clISt17integral_constantIbLb0EES11_EEDaSW_SX_EUlSW_E_NS1_11comp_targetILNS1_3genE10ELNS1_11target_archE1201ELNS1_3gpuE5ELNS1_3repE0EEENS1_30default_config_static_selectorELNS0_4arch9wavefront6targetE0EEEvT1_.uses_flat_scratch, 0
	.set _ZN7rocprim17ROCPRIM_400000_NS6detail17trampoline_kernelINS0_14default_configENS1_27scan_by_key_config_selectorIiyEEZZNS1_16scan_by_key_implILNS1_25lookback_scan_determinismE0ELb0ES3_N6thrust23THRUST_200600_302600_NS6detail15normal_iteratorINS9_10device_ptrIiEEEENSB_INSC_IyEEEESG_yNS9_4plusIvEENS9_8equal_toIvEEyEE10hipError_tPvRmT2_T3_T4_T5_mT6_T7_P12ihipStream_tbENKUlT_T0_E_clISt17integral_constantIbLb0EES11_EEDaSW_SX_EUlSW_E_NS1_11comp_targetILNS1_3genE10ELNS1_11target_archE1201ELNS1_3gpuE5ELNS1_3repE0EEENS1_30default_config_static_selectorELNS0_4arch9wavefront6targetE0EEEvT1_.has_dyn_sized_stack, 0
	.set _ZN7rocprim17ROCPRIM_400000_NS6detail17trampoline_kernelINS0_14default_configENS1_27scan_by_key_config_selectorIiyEEZZNS1_16scan_by_key_implILNS1_25lookback_scan_determinismE0ELb0ES3_N6thrust23THRUST_200600_302600_NS6detail15normal_iteratorINS9_10device_ptrIiEEEENSB_INSC_IyEEEESG_yNS9_4plusIvEENS9_8equal_toIvEEyEE10hipError_tPvRmT2_T3_T4_T5_mT6_T7_P12ihipStream_tbENKUlT_T0_E_clISt17integral_constantIbLb0EES11_EEDaSW_SX_EUlSW_E_NS1_11comp_targetILNS1_3genE10ELNS1_11target_archE1201ELNS1_3gpuE5ELNS1_3repE0EEENS1_30default_config_static_selectorELNS0_4arch9wavefront6targetE0EEEvT1_.has_recursion, 0
	.set _ZN7rocprim17ROCPRIM_400000_NS6detail17trampoline_kernelINS0_14default_configENS1_27scan_by_key_config_selectorIiyEEZZNS1_16scan_by_key_implILNS1_25lookback_scan_determinismE0ELb0ES3_N6thrust23THRUST_200600_302600_NS6detail15normal_iteratorINS9_10device_ptrIiEEEENSB_INSC_IyEEEESG_yNS9_4plusIvEENS9_8equal_toIvEEyEE10hipError_tPvRmT2_T3_T4_T5_mT6_T7_P12ihipStream_tbENKUlT_T0_E_clISt17integral_constantIbLb0EES11_EEDaSW_SX_EUlSW_E_NS1_11comp_targetILNS1_3genE10ELNS1_11target_archE1201ELNS1_3gpuE5ELNS1_3repE0EEENS1_30default_config_static_selectorELNS0_4arch9wavefront6targetE0EEEvT1_.has_indirect_call, 0
	.section	.AMDGPU.csdata,"",@progbits
; Kernel info:
; codeLenInByte = 0
; TotalNumSgprs: 0
; NumVgprs: 0
; ScratchSize: 0
; MemoryBound: 0
; FloatMode: 240
; IeeeMode: 1
; LDSByteSize: 0 bytes/workgroup (compile time only)
; SGPRBlocks: 0
; VGPRBlocks: 0
; NumSGPRsForWavesPerEU: 1
; NumVGPRsForWavesPerEU: 1
; NamedBarCnt: 0
; Occupancy: 16
; WaveLimiterHint : 0
; COMPUTE_PGM_RSRC2:SCRATCH_EN: 0
; COMPUTE_PGM_RSRC2:USER_SGPR: 2
; COMPUTE_PGM_RSRC2:TRAP_HANDLER: 0
; COMPUTE_PGM_RSRC2:TGID_X_EN: 1
; COMPUTE_PGM_RSRC2:TGID_Y_EN: 0
; COMPUTE_PGM_RSRC2:TGID_Z_EN: 0
; COMPUTE_PGM_RSRC2:TIDIG_COMP_CNT: 0
	.section	.text._ZN7rocprim17ROCPRIM_400000_NS6detail17trampoline_kernelINS0_14default_configENS1_27scan_by_key_config_selectorIiyEEZZNS1_16scan_by_key_implILNS1_25lookback_scan_determinismE0ELb0ES3_N6thrust23THRUST_200600_302600_NS6detail15normal_iteratorINS9_10device_ptrIiEEEENSB_INSC_IyEEEESG_yNS9_4plusIvEENS9_8equal_toIvEEyEE10hipError_tPvRmT2_T3_T4_T5_mT6_T7_P12ihipStream_tbENKUlT_T0_E_clISt17integral_constantIbLb0EES11_EEDaSW_SX_EUlSW_E_NS1_11comp_targetILNS1_3genE5ELNS1_11target_archE942ELNS1_3gpuE9ELNS1_3repE0EEENS1_30default_config_static_selectorELNS0_4arch9wavefront6targetE0EEEvT1_,"axG",@progbits,_ZN7rocprim17ROCPRIM_400000_NS6detail17trampoline_kernelINS0_14default_configENS1_27scan_by_key_config_selectorIiyEEZZNS1_16scan_by_key_implILNS1_25lookback_scan_determinismE0ELb0ES3_N6thrust23THRUST_200600_302600_NS6detail15normal_iteratorINS9_10device_ptrIiEEEENSB_INSC_IyEEEESG_yNS9_4plusIvEENS9_8equal_toIvEEyEE10hipError_tPvRmT2_T3_T4_T5_mT6_T7_P12ihipStream_tbENKUlT_T0_E_clISt17integral_constantIbLb0EES11_EEDaSW_SX_EUlSW_E_NS1_11comp_targetILNS1_3genE5ELNS1_11target_archE942ELNS1_3gpuE9ELNS1_3repE0EEENS1_30default_config_static_selectorELNS0_4arch9wavefront6targetE0EEEvT1_,comdat
	.protected	_ZN7rocprim17ROCPRIM_400000_NS6detail17trampoline_kernelINS0_14default_configENS1_27scan_by_key_config_selectorIiyEEZZNS1_16scan_by_key_implILNS1_25lookback_scan_determinismE0ELb0ES3_N6thrust23THRUST_200600_302600_NS6detail15normal_iteratorINS9_10device_ptrIiEEEENSB_INSC_IyEEEESG_yNS9_4plusIvEENS9_8equal_toIvEEyEE10hipError_tPvRmT2_T3_T4_T5_mT6_T7_P12ihipStream_tbENKUlT_T0_E_clISt17integral_constantIbLb0EES11_EEDaSW_SX_EUlSW_E_NS1_11comp_targetILNS1_3genE5ELNS1_11target_archE942ELNS1_3gpuE9ELNS1_3repE0EEENS1_30default_config_static_selectorELNS0_4arch9wavefront6targetE0EEEvT1_ ; -- Begin function _ZN7rocprim17ROCPRIM_400000_NS6detail17trampoline_kernelINS0_14default_configENS1_27scan_by_key_config_selectorIiyEEZZNS1_16scan_by_key_implILNS1_25lookback_scan_determinismE0ELb0ES3_N6thrust23THRUST_200600_302600_NS6detail15normal_iteratorINS9_10device_ptrIiEEEENSB_INSC_IyEEEESG_yNS9_4plusIvEENS9_8equal_toIvEEyEE10hipError_tPvRmT2_T3_T4_T5_mT6_T7_P12ihipStream_tbENKUlT_T0_E_clISt17integral_constantIbLb0EES11_EEDaSW_SX_EUlSW_E_NS1_11comp_targetILNS1_3genE5ELNS1_11target_archE942ELNS1_3gpuE9ELNS1_3repE0EEENS1_30default_config_static_selectorELNS0_4arch9wavefront6targetE0EEEvT1_
	.globl	_ZN7rocprim17ROCPRIM_400000_NS6detail17trampoline_kernelINS0_14default_configENS1_27scan_by_key_config_selectorIiyEEZZNS1_16scan_by_key_implILNS1_25lookback_scan_determinismE0ELb0ES3_N6thrust23THRUST_200600_302600_NS6detail15normal_iteratorINS9_10device_ptrIiEEEENSB_INSC_IyEEEESG_yNS9_4plusIvEENS9_8equal_toIvEEyEE10hipError_tPvRmT2_T3_T4_T5_mT6_T7_P12ihipStream_tbENKUlT_T0_E_clISt17integral_constantIbLb0EES11_EEDaSW_SX_EUlSW_E_NS1_11comp_targetILNS1_3genE5ELNS1_11target_archE942ELNS1_3gpuE9ELNS1_3repE0EEENS1_30default_config_static_selectorELNS0_4arch9wavefront6targetE0EEEvT1_
	.p2align	8
	.type	_ZN7rocprim17ROCPRIM_400000_NS6detail17trampoline_kernelINS0_14default_configENS1_27scan_by_key_config_selectorIiyEEZZNS1_16scan_by_key_implILNS1_25lookback_scan_determinismE0ELb0ES3_N6thrust23THRUST_200600_302600_NS6detail15normal_iteratorINS9_10device_ptrIiEEEENSB_INSC_IyEEEESG_yNS9_4plusIvEENS9_8equal_toIvEEyEE10hipError_tPvRmT2_T3_T4_T5_mT6_T7_P12ihipStream_tbENKUlT_T0_E_clISt17integral_constantIbLb0EES11_EEDaSW_SX_EUlSW_E_NS1_11comp_targetILNS1_3genE5ELNS1_11target_archE942ELNS1_3gpuE9ELNS1_3repE0EEENS1_30default_config_static_selectorELNS0_4arch9wavefront6targetE0EEEvT1_,@function
_ZN7rocprim17ROCPRIM_400000_NS6detail17trampoline_kernelINS0_14default_configENS1_27scan_by_key_config_selectorIiyEEZZNS1_16scan_by_key_implILNS1_25lookback_scan_determinismE0ELb0ES3_N6thrust23THRUST_200600_302600_NS6detail15normal_iteratorINS9_10device_ptrIiEEEENSB_INSC_IyEEEESG_yNS9_4plusIvEENS9_8equal_toIvEEyEE10hipError_tPvRmT2_T3_T4_T5_mT6_T7_P12ihipStream_tbENKUlT_T0_E_clISt17integral_constantIbLb0EES11_EEDaSW_SX_EUlSW_E_NS1_11comp_targetILNS1_3genE5ELNS1_11target_archE942ELNS1_3gpuE9ELNS1_3repE0EEENS1_30default_config_static_selectorELNS0_4arch9wavefront6targetE0EEEvT1_: ; @_ZN7rocprim17ROCPRIM_400000_NS6detail17trampoline_kernelINS0_14default_configENS1_27scan_by_key_config_selectorIiyEEZZNS1_16scan_by_key_implILNS1_25lookback_scan_determinismE0ELb0ES3_N6thrust23THRUST_200600_302600_NS6detail15normal_iteratorINS9_10device_ptrIiEEEENSB_INSC_IyEEEESG_yNS9_4plusIvEENS9_8equal_toIvEEyEE10hipError_tPvRmT2_T3_T4_T5_mT6_T7_P12ihipStream_tbENKUlT_T0_E_clISt17integral_constantIbLb0EES11_EEDaSW_SX_EUlSW_E_NS1_11comp_targetILNS1_3genE5ELNS1_11target_archE942ELNS1_3gpuE9ELNS1_3repE0EEENS1_30default_config_static_selectorELNS0_4arch9wavefront6targetE0EEEvT1_
; %bb.0:
	.section	.rodata,"a",@progbits
	.p2align	6, 0x0
	.amdhsa_kernel _ZN7rocprim17ROCPRIM_400000_NS6detail17trampoline_kernelINS0_14default_configENS1_27scan_by_key_config_selectorIiyEEZZNS1_16scan_by_key_implILNS1_25lookback_scan_determinismE0ELb0ES3_N6thrust23THRUST_200600_302600_NS6detail15normal_iteratorINS9_10device_ptrIiEEEENSB_INSC_IyEEEESG_yNS9_4plusIvEENS9_8equal_toIvEEyEE10hipError_tPvRmT2_T3_T4_T5_mT6_T7_P12ihipStream_tbENKUlT_T0_E_clISt17integral_constantIbLb0EES11_EEDaSW_SX_EUlSW_E_NS1_11comp_targetILNS1_3genE5ELNS1_11target_archE942ELNS1_3gpuE9ELNS1_3repE0EEENS1_30default_config_static_selectorELNS0_4arch9wavefront6targetE0EEEvT1_
		.amdhsa_group_segment_fixed_size 0
		.amdhsa_private_segment_fixed_size 0
		.amdhsa_kernarg_size 136
		.amdhsa_user_sgpr_count 2
		.amdhsa_user_sgpr_dispatch_ptr 0
		.amdhsa_user_sgpr_queue_ptr 0
		.amdhsa_user_sgpr_kernarg_segment_ptr 1
		.amdhsa_user_sgpr_dispatch_id 0
		.amdhsa_user_sgpr_kernarg_preload_length 0
		.amdhsa_user_sgpr_kernarg_preload_offset 0
		.amdhsa_user_sgpr_private_segment_size 0
		.amdhsa_wavefront_size32 1
		.amdhsa_uses_dynamic_stack 0
		.amdhsa_enable_private_segment 0
		.amdhsa_system_sgpr_workgroup_id_x 1
		.amdhsa_system_sgpr_workgroup_id_y 0
		.amdhsa_system_sgpr_workgroup_id_z 0
		.amdhsa_system_sgpr_workgroup_info 0
		.amdhsa_system_vgpr_workitem_id 0
		.amdhsa_next_free_vgpr 1
		.amdhsa_next_free_sgpr 1
		.amdhsa_named_barrier_count 0
		.amdhsa_reserve_vcc 0
		.amdhsa_float_round_mode_32 0
		.amdhsa_float_round_mode_16_64 0
		.amdhsa_float_denorm_mode_32 3
		.amdhsa_float_denorm_mode_16_64 3
		.amdhsa_fp16_overflow 0
		.amdhsa_memory_ordered 1
		.amdhsa_forward_progress 1
		.amdhsa_inst_pref_size 0
		.amdhsa_round_robin_scheduling 0
		.amdhsa_exception_fp_ieee_invalid_op 0
		.amdhsa_exception_fp_denorm_src 0
		.amdhsa_exception_fp_ieee_div_zero 0
		.amdhsa_exception_fp_ieee_overflow 0
		.amdhsa_exception_fp_ieee_underflow 0
		.amdhsa_exception_fp_ieee_inexact 0
		.amdhsa_exception_int_div_zero 0
	.end_amdhsa_kernel
	.section	.text._ZN7rocprim17ROCPRIM_400000_NS6detail17trampoline_kernelINS0_14default_configENS1_27scan_by_key_config_selectorIiyEEZZNS1_16scan_by_key_implILNS1_25lookback_scan_determinismE0ELb0ES3_N6thrust23THRUST_200600_302600_NS6detail15normal_iteratorINS9_10device_ptrIiEEEENSB_INSC_IyEEEESG_yNS9_4plusIvEENS9_8equal_toIvEEyEE10hipError_tPvRmT2_T3_T4_T5_mT6_T7_P12ihipStream_tbENKUlT_T0_E_clISt17integral_constantIbLb0EES11_EEDaSW_SX_EUlSW_E_NS1_11comp_targetILNS1_3genE5ELNS1_11target_archE942ELNS1_3gpuE9ELNS1_3repE0EEENS1_30default_config_static_selectorELNS0_4arch9wavefront6targetE0EEEvT1_,"axG",@progbits,_ZN7rocprim17ROCPRIM_400000_NS6detail17trampoline_kernelINS0_14default_configENS1_27scan_by_key_config_selectorIiyEEZZNS1_16scan_by_key_implILNS1_25lookback_scan_determinismE0ELb0ES3_N6thrust23THRUST_200600_302600_NS6detail15normal_iteratorINS9_10device_ptrIiEEEENSB_INSC_IyEEEESG_yNS9_4plusIvEENS9_8equal_toIvEEyEE10hipError_tPvRmT2_T3_T4_T5_mT6_T7_P12ihipStream_tbENKUlT_T0_E_clISt17integral_constantIbLb0EES11_EEDaSW_SX_EUlSW_E_NS1_11comp_targetILNS1_3genE5ELNS1_11target_archE942ELNS1_3gpuE9ELNS1_3repE0EEENS1_30default_config_static_selectorELNS0_4arch9wavefront6targetE0EEEvT1_,comdat
.Lfunc_end1178:
	.size	_ZN7rocprim17ROCPRIM_400000_NS6detail17trampoline_kernelINS0_14default_configENS1_27scan_by_key_config_selectorIiyEEZZNS1_16scan_by_key_implILNS1_25lookback_scan_determinismE0ELb0ES3_N6thrust23THRUST_200600_302600_NS6detail15normal_iteratorINS9_10device_ptrIiEEEENSB_INSC_IyEEEESG_yNS9_4plusIvEENS9_8equal_toIvEEyEE10hipError_tPvRmT2_T3_T4_T5_mT6_T7_P12ihipStream_tbENKUlT_T0_E_clISt17integral_constantIbLb0EES11_EEDaSW_SX_EUlSW_E_NS1_11comp_targetILNS1_3genE5ELNS1_11target_archE942ELNS1_3gpuE9ELNS1_3repE0EEENS1_30default_config_static_selectorELNS0_4arch9wavefront6targetE0EEEvT1_, .Lfunc_end1178-_ZN7rocprim17ROCPRIM_400000_NS6detail17trampoline_kernelINS0_14default_configENS1_27scan_by_key_config_selectorIiyEEZZNS1_16scan_by_key_implILNS1_25lookback_scan_determinismE0ELb0ES3_N6thrust23THRUST_200600_302600_NS6detail15normal_iteratorINS9_10device_ptrIiEEEENSB_INSC_IyEEEESG_yNS9_4plusIvEENS9_8equal_toIvEEyEE10hipError_tPvRmT2_T3_T4_T5_mT6_T7_P12ihipStream_tbENKUlT_T0_E_clISt17integral_constantIbLb0EES11_EEDaSW_SX_EUlSW_E_NS1_11comp_targetILNS1_3genE5ELNS1_11target_archE942ELNS1_3gpuE9ELNS1_3repE0EEENS1_30default_config_static_selectorELNS0_4arch9wavefront6targetE0EEEvT1_
                                        ; -- End function
	.set _ZN7rocprim17ROCPRIM_400000_NS6detail17trampoline_kernelINS0_14default_configENS1_27scan_by_key_config_selectorIiyEEZZNS1_16scan_by_key_implILNS1_25lookback_scan_determinismE0ELb0ES3_N6thrust23THRUST_200600_302600_NS6detail15normal_iteratorINS9_10device_ptrIiEEEENSB_INSC_IyEEEESG_yNS9_4plusIvEENS9_8equal_toIvEEyEE10hipError_tPvRmT2_T3_T4_T5_mT6_T7_P12ihipStream_tbENKUlT_T0_E_clISt17integral_constantIbLb0EES11_EEDaSW_SX_EUlSW_E_NS1_11comp_targetILNS1_3genE5ELNS1_11target_archE942ELNS1_3gpuE9ELNS1_3repE0EEENS1_30default_config_static_selectorELNS0_4arch9wavefront6targetE0EEEvT1_.num_vgpr, 0
	.set _ZN7rocprim17ROCPRIM_400000_NS6detail17trampoline_kernelINS0_14default_configENS1_27scan_by_key_config_selectorIiyEEZZNS1_16scan_by_key_implILNS1_25lookback_scan_determinismE0ELb0ES3_N6thrust23THRUST_200600_302600_NS6detail15normal_iteratorINS9_10device_ptrIiEEEENSB_INSC_IyEEEESG_yNS9_4plusIvEENS9_8equal_toIvEEyEE10hipError_tPvRmT2_T3_T4_T5_mT6_T7_P12ihipStream_tbENKUlT_T0_E_clISt17integral_constantIbLb0EES11_EEDaSW_SX_EUlSW_E_NS1_11comp_targetILNS1_3genE5ELNS1_11target_archE942ELNS1_3gpuE9ELNS1_3repE0EEENS1_30default_config_static_selectorELNS0_4arch9wavefront6targetE0EEEvT1_.num_agpr, 0
	.set _ZN7rocprim17ROCPRIM_400000_NS6detail17trampoline_kernelINS0_14default_configENS1_27scan_by_key_config_selectorIiyEEZZNS1_16scan_by_key_implILNS1_25lookback_scan_determinismE0ELb0ES3_N6thrust23THRUST_200600_302600_NS6detail15normal_iteratorINS9_10device_ptrIiEEEENSB_INSC_IyEEEESG_yNS9_4plusIvEENS9_8equal_toIvEEyEE10hipError_tPvRmT2_T3_T4_T5_mT6_T7_P12ihipStream_tbENKUlT_T0_E_clISt17integral_constantIbLb0EES11_EEDaSW_SX_EUlSW_E_NS1_11comp_targetILNS1_3genE5ELNS1_11target_archE942ELNS1_3gpuE9ELNS1_3repE0EEENS1_30default_config_static_selectorELNS0_4arch9wavefront6targetE0EEEvT1_.numbered_sgpr, 0
	.set _ZN7rocprim17ROCPRIM_400000_NS6detail17trampoline_kernelINS0_14default_configENS1_27scan_by_key_config_selectorIiyEEZZNS1_16scan_by_key_implILNS1_25lookback_scan_determinismE0ELb0ES3_N6thrust23THRUST_200600_302600_NS6detail15normal_iteratorINS9_10device_ptrIiEEEENSB_INSC_IyEEEESG_yNS9_4plusIvEENS9_8equal_toIvEEyEE10hipError_tPvRmT2_T3_T4_T5_mT6_T7_P12ihipStream_tbENKUlT_T0_E_clISt17integral_constantIbLb0EES11_EEDaSW_SX_EUlSW_E_NS1_11comp_targetILNS1_3genE5ELNS1_11target_archE942ELNS1_3gpuE9ELNS1_3repE0EEENS1_30default_config_static_selectorELNS0_4arch9wavefront6targetE0EEEvT1_.num_named_barrier, 0
	.set _ZN7rocprim17ROCPRIM_400000_NS6detail17trampoline_kernelINS0_14default_configENS1_27scan_by_key_config_selectorIiyEEZZNS1_16scan_by_key_implILNS1_25lookback_scan_determinismE0ELb0ES3_N6thrust23THRUST_200600_302600_NS6detail15normal_iteratorINS9_10device_ptrIiEEEENSB_INSC_IyEEEESG_yNS9_4plusIvEENS9_8equal_toIvEEyEE10hipError_tPvRmT2_T3_T4_T5_mT6_T7_P12ihipStream_tbENKUlT_T0_E_clISt17integral_constantIbLb0EES11_EEDaSW_SX_EUlSW_E_NS1_11comp_targetILNS1_3genE5ELNS1_11target_archE942ELNS1_3gpuE9ELNS1_3repE0EEENS1_30default_config_static_selectorELNS0_4arch9wavefront6targetE0EEEvT1_.private_seg_size, 0
	.set _ZN7rocprim17ROCPRIM_400000_NS6detail17trampoline_kernelINS0_14default_configENS1_27scan_by_key_config_selectorIiyEEZZNS1_16scan_by_key_implILNS1_25lookback_scan_determinismE0ELb0ES3_N6thrust23THRUST_200600_302600_NS6detail15normal_iteratorINS9_10device_ptrIiEEEENSB_INSC_IyEEEESG_yNS9_4plusIvEENS9_8equal_toIvEEyEE10hipError_tPvRmT2_T3_T4_T5_mT6_T7_P12ihipStream_tbENKUlT_T0_E_clISt17integral_constantIbLb0EES11_EEDaSW_SX_EUlSW_E_NS1_11comp_targetILNS1_3genE5ELNS1_11target_archE942ELNS1_3gpuE9ELNS1_3repE0EEENS1_30default_config_static_selectorELNS0_4arch9wavefront6targetE0EEEvT1_.uses_vcc, 0
	.set _ZN7rocprim17ROCPRIM_400000_NS6detail17trampoline_kernelINS0_14default_configENS1_27scan_by_key_config_selectorIiyEEZZNS1_16scan_by_key_implILNS1_25lookback_scan_determinismE0ELb0ES3_N6thrust23THRUST_200600_302600_NS6detail15normal_iteratorINS9_10device_ptrIiEEEENSB_INSC_IyEEEESG_yNS9_4plusIvEENS9_8equal_toIvEEyEE10hipError_tPvRmT2_T3_T4_T5_mT6_T7_P12ihipStream_tbENKUlT_T0_E_clISt17integral_constantIbLb0EES11_EEDaSW_SX_EUlSW_E_NS1_11comp_targetILNS1_3genE5ELNS1_11target_archE942ELNS1_3gpuE9ELNS1_3repE0EEENS1_30default_config_static_selectorELNS0_4arch9wavefront6targetE0EEEvT1_.uses_flat_scratch, 0
	.set _ZN7rocprim17ROCPRIM_400000_NS6detail17trampoline_kernelINS0_14default_configENS1_27scan_by_key_config_selectorIiyEEZZNS1_16scan_by_key_implILNS1_25lookback_scan_determinismE0ELb0ES3_N6thrust23THRUST_200600_302600_NS6detail15normal_iteratorINS9_10device_ptrIiEEEENSB_INSC_IyEEEESG_yNS9_4plusIvEENS9_8equal_toIvEEyEE10hipError_tPvRmT2_T3_T4_T5_mT6_T7_P12ihipStream_tbENKUlT_T0_E_clISt17integral_constantIbLb0EES11_EEDaSW_SX_EUlSW_E_NS1_11comp_targetILNS1_3genE5ELNS1_11target_archE942ELNS1_3gpuE9ELNS1_3repE0EEENS1_30default_config_static_selectorELNS0_4arch9wavefront6targetE0EEEvT1_.has_dyn_sized_stack, 0
	.set _ZN7rocprim17ROCPRIM_400000_NS6detail17trampoline_kernelINS0_14default_configENS1_27scan_by_key_config_selectorIiyEEZZNS1_16scan_by_key_implILNS1_25lookback_scan_determinismE0ELb0ES3_N6thrust23THRUST_200600_302600_NS6detail15normal_iteratorINS9_10device_ptrIiEEEENSB_INSC_IyEEEESG_yNS9_4plusIvEENS9_8equal_toIvEEyEE10hipError_tPvRmT2_T3_T4_T5_mT6_T7_P12ihipStream_tbENKUlT_T0_E_clISt17integral_constantIbLb0EES11_EEDaSW_SX_EUlSW_E_NS1_11comp_targetILNS1_3genE5ELNS1_11target_archE942ELNS1_3gpuE9ELNS1_3repE0EEENS1_30default_config_static_selectorELNS0_4arch9wavefront6targetE0EEEvT1_.has_recursion, 0
	.set _ZN7rocprim17ROCPRIM_400000_NS6detail17trampoline_kernelINS0_14default_configENS1_27scan_by_key_config_selectorIiyEEZZNS1_16scan_by_key_implILNS1_25lookback_scan_determinismE0ELb0ES3_N6thrust23THRUST_200600_302600_NS6detail15normal_iteratorINS9_10device_ptrIiEEEENSB_INSC_IyEEEESG_yNS9_4plusIvEENS9_8equal_toIvEEyEE10hipError_tPvRmT2_T3_T4_T5_mT6_T7_P12ihipStream_tbENKUlT_T0_E_clISt17integral_constantIbLb0EES11_EEDaSW_SX_EUlSW_E_NS1_11comp_targetILNS1_3genE5ELNS1_11target_archE942ELNS1_3gpuE9ELNS1_3repE0EEENS1_30default_config_static_selectorELNS0_4arch9wavefront6targetE0EEEvT1_.has_indirect_call, 0
	.section	.AMDGPU.csdata,"",@progbits
; Kernel info:
; codeLenInByte = 0
; TotalNumSgprs: 0
; NumVgprs: 0
; ScratchSize: 0
; MemoryBound: 0
; FloatMode: 240
; IeeeMode: 1
; LDSByteSize: 0 bytes/workgroup (compile time only)
; SGPRBlocks: 0
; VGPRBlocks: 0
; NumSGPRsForWavesPerEU: 1
; NumVGPRsForWavesPerEU: 1
; NamedBarCnt: 0
; Occupancy: 16
; WaveLimiterHint : 0
; COMPUTE_PGM_RSRC2:SCRATCH_EN: 0
; COMPUTE_PGM_RSRC2:USER_SGPR: 2
; COMPUTE_PGM_RSRC2:TRAP_HANDLER: 0
; COMPUTE_PGM_RSRC2:TGID_X_EN: 1
; COMPUTE_PGM_RSRC2:TGID_Y_EN: 0
; COMPUTE_PGM_RSRC2:TGID_Z_EN: 0
; COMPUTE_PGM_RSRC2:TIDIG_COMP_CNT: 0
	.section	.text._ZN7rocprim17ROCPRIM_400000_NS6detail17trampoline_kernelINS0_14default_configENS1_27scan_by_key_config_selectorIiyEEZZNS1_16scan_by_key_implILNS1_25lookback_scan_determinismE0ELb0ES3_N6thrust23THRUST_200600_302600_NS6detail15normal_iteratorINS9_10device_ptrIiEEEENSB_INSC_IyEEEESG_yNS9_4plusIvEENS9_8equal_toIvEEyEE10hipError_tPvRmT2_T3_T4_T5_mT6_T7_P12ihipStream_tbENKUlT_T0_E_clISt17integral_constantIbLb0EES11_EEDaSW_SX_EUlSW_E_NS1_11comp_targetILNS1_3genE4ELNS1_11target_archE910ELNS1_3gpuE8ELNS1_3repE0EEENS1_30default_config_static_selectorELNS0_4arch9wavefront6targetE0EEEvT1_,"axG",@progbits,_ZN7rocprim17ROCPRIM_400000_NS6detail17trampoline_kernelINS0_14default_configENS1_27scan_by_key_config_selectorIiyEEZZNS1_16scan_by_key_implILNS1_25lookback_scan_determinismE0ELb0ES3_N6thrust23THRUST_200600_302600_NS6detail15normal_iteratorINS9_10device_ptrIiEEEENSB_INSC_IyEEEESG_yNS9_4plusIvEENS9_8equal_toIvEEyEE10hipError_tPvRmT2_T3_T4_T5_mT6_T7_P12ihipStream_tbENKUlT_T0_E_clISt17integral_constantIbLb0EES11_EEDaSW_SX_EUlSW_E_NS1_11comp_targetILNS1_3genE4ELNS1_11target_archE910ELNS1_3gpuE8ELNS1_3repE0EEENS1_30default_config_static_selectorELNS0_4arch9wavefront6targetE0EEEvT1_,comdat
	.protected	_ZN7rocprim17ROCPRIM_400000_NS6detail17trampoline_kernelINS0_14default_configENS1_27scan_by_key_config_selectorIiyEEZZNS1_16scan_by_key_implILNS1_25lookback_scan_determinismE0ELb0ES3_N6thrust23THRUST_200600_302600_NS6detail15normal_iteratorINS9_10device_ptrIiEEEENSB_INSC_IyEEEESG_yNS9_4plusIvEENS9_8equal_toIvEEyEE10hipError_tPvRmT2_T3_T4_T5_mT6_T7_P12ihipStream_tbENKUlT_T0_E_clISt17integral_constantIbLb0EES11_EEDaSW_SX_EUlSW_E_NS1_11comp_targetILNS1_3genE4ELNS1_11target_archE910ELNS1_3gpuE8ELNS1_3repE0EEENS1_30default_config_static_selectorELNS0_4arch9wavefront6targetE0EEEvT1_ ; -- Begin function _ZN7rocprim17ROCPRIM_400000_NS6detail17trampoline_kernelINS0_14default_configENS1_27scan_by_key_config_selectorIiyEEZZNS1_16scan_by_key_implILNS1_25lookback_scan_determinismE0ELb0ES3_N6thrust23THRUST_200600_302600_NS6detail15normal_iteratorINS9_10device_ptrIiEEEENSB_INSC_IyEEEESG_yNS9_4plusIvEENS9_8equal_toIvEEyEE10hipError_tPvRmT2_T3_T4_T5_mT6_T7_P12ihipStream_tbENKUlT_T0_E_clISt17integral_constantIbLb0EES11_EEDaSW_SX_EUlSW_E_NS1_11comp_targetILNS1_3genE4ELNS1_11target_archE910ELNS1_3gpuE8ELNS1_3repE0EEENS1_30default_config_static_selectorELNS0_4arch9wavefront6targetE0EEEvT1_
	.globl	_ZN7rocprim17ROCPRIM_400000_NS6detail17trampoline_kernelINS0_14default_configENS1_27scan_by_key_config_selectorIiyEEZZNS1_16scan_by_key_implILNS1_25lookback_scan_determinismE0ELb0ES3_N6thrust23THRUST_200600_302600_NS6detail15normal_iteratorINS9_10device_ptrIiEEEENSB_INSC_IyEEEESG_yNS9_4plusIvEENS9_8equal_toIvEEyEE10hipError_tPvRmT2_T3_T4_T5_mT6_T7_P12ihipStream_tbENKUlT_T0_E_clISt17integral_constantIbLb0EES11_EEDaSW_SX_EUlSW_E_NS1_11comp_targetILNS1_3genE4ELNS1_11target_archE910ELNS1_3gpuE8ELNS1_3repE0EEENS1_30default_config_static_selectorELNS0_4arch9wavefront6targetE0EEEvT1_
	.p2align	8
	.type	_ZN7rocprim17ROCPRIM_400000_NS6detail17trampoline_kernelINS0_14default_configENS1_27scan_by_key_config_selectorIiyEEZZNS1_16scan_by_key_implILNS1_25lookback_scan_determinismE0ELb0ES3_N6thrust23THRUST_200600_302600_NS6detail15normal_iteratorINS9_10device_ptrIiEEEENSB_INSC_IyEEEESG_yNS9_4plusIvEENS9_8equal_toIvEEyEE10hipError_tPvRmT2_T3_T4_T5_mT6_T7_P12ihipStream_tbENKUlT_T0_E_clISt17integral_constantIbLb0EES11_EEDaSW_SX_EUlSW_E_NS1_11comp_targetILNS1_3genE4ELNS1_11target_archE910ELNS1_3gpuE8ELNS1_3repE0EEENS1_30default_config_static_selectorELNS0_4arch9wavefront6targetE0EEEvT1_,@function
_ZN7rocprim17ROCPRIM_400000_NS6detail17trampoline_kernelINS0_14default_configENS1_27scan_by_key_config_selectorIiyEEZZNS1_16scan_by_key_implILNS1_25lookback_scan_determinismE0ELb0ES3_N6thrust23THRUST_200600_302600_NS6detail15normal_iteratorINS9_10device_ptrIiEEEENSB_INSC_IyEEEESG_yNS9_4plusIvEENS9_8equal_toIvEEyEE10hipError_tPvRmT2_T3_T4_T5_mT6_T7_P12ihipStream_tbENKUlT_T0_E_clISt17integral_constantIbLb0EES11_EEDaSW_SX_EUlSW_E_NS1_11comp_targetILNS1_3genE4ELNS1_11target_archE910ELNS1_3gpuE8ELNS1_3repE0EEENS1_30default_config_static_selectorELNS0_4arch9wavefront6targetE0EEEvT1_: ; @_ZN7rocprim17ROCPRIM_400000_NS6detail17trampoline_kernelINS0_14default_configENS1_27scan_by_key_config_selectorIiyEEZZNS1_16scan_by_key_implILNS1_25lookback_scan_determinismE0ELb0ES3_N6thrust23THRUST_200600_302600_NS6detail15normal_iteratorINS9_10device_ptrIiEEEENSB_INSC_IyEEEESG_yNS9_4plusIvEENS9_8equal_toIvEEyEE10hipError_tPvRmT2_T3_T4_T5_mT6_T7_P12ihipStream_tbENKUlT_T0_E_clISt17integral_constantIbLb0EES11_EEDaSW_SX_EUlSW_E_NS1_11comp_targetILNS1_3genE4ELNS1_11target_archE910ELNS1_3gpuE8ELNS1_3repE0EEENS1_30default_config_static_selectorELNS0_4arch9wavefront6targetE0EEEvT1_
; %bb.0:
	.section	.rodata,"a",@progbits
	.p2align	6, 0x0
	.amdhsa_kernel _ZN7rocprim17ROCPRIM_400000_NS6detail17trampoline_kernelINS0_14default_configENS1_27scan_by_key_config_selectorIiyEEZZNS1_16scan_by_key_implILNS1_25lookback_scan_determinismE0ELb0ES3_N6thrust23THRUST_200600_302600_NS6detail15normal_iteratorINS9_10device_ptrIiEEEENSB_INSC_IyEEEESG_yNS9_4plusIvEENS9_8equal_toIvEEyEE10hipError_tPvRmT2_T3_T4_T5_mT6_T7_P12ihipStream_tbENKUlT_T0_E_clISt17integral_constantIbLb0EES11_EEDaSW_SX_EUlSW_E_NS1_11comp_targetILNS1_3genE4ELNS1_11target_archE910ELNS1_3gpuE8ELNS1_3repE0EEENS1_30default_config_static_selectorELNS0_4arch9wavefront6targetE0EEEvT1_
		.amdhsa_group_segment_fixed_size 0
		.amdhsa_private_segment_fixed_size 0
		.amdhsa_kernarg_size 136
		.amdhsa_user_sgpr_count 2
		.amdhsa_user_sgpr_dispatch_ptr 0
		.amdhsa_user_sgpr_queue_ptr 0
		.amdhsa_user_sgpr_kernarg_segment_ptr 1
		.amdhsa_user_sgpr_dispatch_id 0
		.amdhsa_user_sgpr_kernarg_preload_length 0
		.amdhsa_user_sgpr_kernarg_preload_offset 0
		.amdhsa_user_sgpr_private_segment_size 0
		.amdhsa_wavefront_size32 1
		.amdhsa_uses_dynamic_stack 0
		.amdhsa_enable_private_segment 0
		.amdhsa_system_sgpr_workgroup_id_x 1
		.amdhsa_system_sgpr_workgroup_id_y 0
		.amdhsa_system_sgpr_workgroup_id_z 0
		.amdhsa_system_sgpr_workgroup_info 0
		.amdhsa_system_vgpr_workitem_id 0
		.amdhsa_next_free_vgpr 1
		.amdhsa_next_free_sgpr 1
		.amdhsa_named_barrier_count 0
		.amdhsa_reserve_vcc 0
		.amdhsa_float_round_mode_32 0
		.amdhsa_float_round_mode_16_64 0
		.amdhsa_float_denorm_mode_32 3
		.amdhsa_float_denorm_mode_16_64 3
		.amdhsa_fp16_overflow 0
		.amdhsa_memory_ordered 1
		.amdhsa_forward_progress 1
		.amdhsa_inst_pref_size 0
		.amdhsa_round_robin_scheduling 0
		.amdhsa_exception_fp_ieee_invalid_op 0
		.amdhsa_exception_fp_denorm_src 0
		.amdhsa_exception_fp_ieee_div_zero 0
		.amdhsa_exception_fp_ieee_overflow 0
		.amdhsa_exception_fp_ieee_underflow 0
		.amdhsa_exception_fp_ieee_inexact 0
		.amdhsa_exception_int_div_zero 0
	.end_amdhsa_kernel
	.section	.text._ZN7rocprim17ROCPRIM_400000_NS6detail17trampoline_kernelINS0_14default_configENS1_27scan_by_key_config_selectorIiyEEZZNS1_16scan_by_key_implILNS1_25lookback_scan_determinismE0ELb0ES3_N6thrust23THRUST_200600_302600_NS6detail15normal_iteratorINS9_10device_ptrIiEEEENSB_INSC_IyEEEESG_yNS9_4plusIvEENS9_8equal_toIvEEyEE10hipError_tPvRmT2_T3_T4_T5_mT6_T7_P12ihipStream_tbENKUlT_T0_E_clISt17integral_constantIbLb0EES11_EEDaSW_SX_EUlSW_E_NS1_11comp_targetILNS1_3genE4ELNS1_11target_archE910ELNS1_3gpuE8ELNS1_3repE0EEENS1_30default_config_static_selectorELNS0_4arch9wavefront6targetE0EEEvT1_,"axG",@progbits,_ZN7rocprim17ROCPRIM_400000_NS6detail17trampoline_kernelINS0_14default_configENS1_27scan_by_key_config_selectorIiyEEZZNS1_16scan_by_key_implILNS1_25lookback_scan_determinismE0ELb0ES3_N6thrust23THRUST_200600_302600_NS6detail15normal_iteratorINS9_10device_ptrIiEEEENSB_INSC_IyEEEESG_yNS9_4plusIvEENS9_8equal_toIvEEyEE10hipError_tPvRmT2_T3_T4_T5_mT6_T7_P12ihipStream_tbENKUlT_T0_E_clISt17integral_constantIbLb0EES11_EEDaSW_SX_EUlSW_E_NS1_11comp_targetILNS1_3genE4ELNS1_11target_archE910ELNS1_3gpuE8ELNS1_3repE0EEENS1_30default_config_static_selectorELNS0_4arch9wavefront6targetE0EEEvT1_,comdat
.Lfunc_end1179:
	.size	_ZN7rocprim17ROCPRIM_400000_NS6detail17trampoline_kernelINS0_14default_configENS1_27scan_by_key_config_selectorIiyEEZZNS1_16scan_by_key_implILNS1_25lookback_scan_determinismE0ELb0ES3_N6thrust23THRUST_200600_302600_NS6detail15normal_iteratorINS9_10device_ptrIiEEEENSB_INSC_IyEEEESG_yNS9_4plusIvEENS9_8equal_toIvEEyEE10hipError_tPvRmT2_T3_T4_T5_mT6_T7_P12ihipStream_tbENKUlT_T0_E_clISt17integral_constantIbLb0EES11_EEDaSW_SX_EUlSW_E_NS1_11comp_targetILNS1_3genE4ELNS1_11target_archE910ELNS1_3gpuE8ELNS1_3repE0EEENS1_30default_config_static_selectorELNS0_4arch9wavefront6targetE0EEEvT1_, .Lfunc_end1179-_ZN7rocprim17ROCPRIM_400000_NS6detail17trampoline_kernelINS0_14default_configENS1_27scan_by_key_config_selectorIiyEEZZNS1_16scan_by_key_implILNS1_25lookback_scan_determinismE0ELb0ES3_N6thrust23THRUST_200600_302600_NS6detail15normal_iteratorINS9_10device_ptrIiEEEENSB_INSC_IyEEEESG_yNS9_4plusIvEENS9_8equal_toIvEEyEE10hipError_tPvRmT2_T3_T4_T5_mT6_T7_P12ihipStream_tbENKUlT_T0_E_clISt17integral_constantIbLb0EES11_EEDaSW_SX_EUlSW_E_NS1_11comp_targetILNS1_3genE4ELNS1_11target_archE910ELNS1_3gpuE8ELNS1_3repE0EEENS1_30default_config_static_selectorELNS0_4arch9wavefront6targetE0EEEvT1_
                                        ; -- End function
	.set _ZN7rocprim17ROCPRIM_400000_NS6detail17trampoline_kernelINS0_14default_configENS1_27scan_by_key_config_selectorIiyEEZZNS1_16scan_by_key_implILNS1_25lookback_scan_determinismE0ELb0ES3_N6thrust23THRUST_200600_302600_NS6detail15normal_iteratorINS9_10device_ptrIiEEEENSB_INSC_IyEEEESG_yNS9_4plusIvEENS9_8equal_toIvEEyEE10hipError_tPvRmT2_T3_T4_T5_mT6_T7_P12ihipStream_tbENKUlT_T0_E_clISt17integral_constantIbLb0EES11_EEDaSW_SX_EUlSW_E_NS1_11comp_targetILNS1_3genE4ELNS1_11target_archE910ELNS1_3gpuE8ELNS1_3repE0EEENS1_30default_config_static_selectorELNS0_4arch9wavefront6targetE0EEEvT1_.num_vgpr, 0
	.set _ZN7rocprim17ROCPRIM_400000_NS6detail17trampoline_kernelINS0_14default_configENS1_27scan_by_key_config_selectorIiyEEZZNS1_16scan_by_key_implILNS1_25lookback_scan_determinismE0ELb0ES3_N6thrust23THRUST_200600_302600_NS6detail15normal_iteratorINS9_10device_ptrIiEEEENSB_INSC_IyEEEESG_yNS9_4plusIvEENS9_8equal_toIvEEyEE10hipError_tPvRmT2_T3_T4_T5_mT6_T7_P12ihipStream_tbENKUlT_T0_E_clISt17integral_constantIbLb0EES11_EEDaSW_SX_EUlSW_E_NS1_11comp_targetILNS1_3genE4ELNS1_11target_archE910ELNS1_3gpuE8ELNS1_3repE0EEENS1_30default_config_static_selectorELNS0_4arch9wavefront6targetE0EEEvT1_.num_agpr, 0
	.set _ZN7rocprim17ROCPRIM_400000_NS6detail17trampoline_kernelINS0_14default_configENS1_27scan_by_key_config_selectorIiyEEZZNS1_16scan_by_key_implILNS1_25lookback_scan_determinismE0ELb0ES3_N6thrust23THRUST_200600_302600_NS6detail15normal_iteratorINS9_10device_ptrIiEEEENSB_INSC_IyEEEESG_yNS9_4plusIvEENS9_8equal_toIvEEyEE10hipError_tPvRmT2_T3_T4_T5_mT6_T7_P12ihipStream_tbENKUlT_T0_E_clISt17integral_constantIbLb0EES11_EEDaSW_SX_EUlSW_E_NS1_11comp_targetILNS1_3genE4ELNS1_11target_archE910ELNS1_3gpuE8ELNS1_3repE0EEENS1_30default_config_static_selectorELNS0_4arch9wavefront6targetE0EEEvT1_.numbered_sgpr, 0
	.set _ZN7rocprim17ROCPRIM_400000_NS6detail17trampoline_kernelINS0_14default_configENS1_27scan_by_key_config_selectorIiyEEZZNS1_16scan_by_key_implILNS1_25lookback_scan_determinismE0ELb0ES3_N6thrust23THRUST_200600_302600_NS6detail15normal_iteratorINS9_10device_ptrIiEEEENSB_INSC_IyEEEESG_yNS9_4plusIvEENS9_8equal_toIvEEyEE10hipError_tPvRmT2_T3_T4_T5_mT6_T7_P12ihipStream_tbENKUlT_T0_E_clISt17integral_constantIbLb0EES11_EEDaSW_SX_EUlSW_E_NS1_11comp_targetILNS1_3genE4ELNS1_11target_archE910ELNS1_3gpuE8ELNS1_3repE0EEENS1_30default_config_static_selectorELNS0_4arch9wavefront6targetE0EEEvT1_.num_named_barrier, 0
	.set _ZN7rocprim17ROCPRIM_400000_NS6detail17trampoline_kernelINS0_14default_configENS1_27scan_by_key_config_selectorIiyEEZZNS1_16scan_by_key_implILNS1_25lookback_scan_determinismE0ELb0ES3_N6thrust23THRUST_200600_302600_NS6detail15normal_iteratorINS9_10device_ptrIiEEEENSB_INSC_IyEEEESG_yNS9_4plusIvEENS9_8equal_toIvEEyEE10hipError_tPvRmT2_T3_T4_T5_mT6_T7_P12ihipStream_tbENKUlT_T0_E_clISt17integral_constantIbLb0EES11_EEDaSW_SX_EUlSW_E_NS1_11comp_targetILNS1_3genE4ELNS1_11target_archE910ELNS1_3gpuE8ELNS1_3repE0EEENS1_30default_config_static_selectorELNS0_4arch9wavefront6targetE0EEEvT1_.private_seg_size, 0
	.set _ZN7rocprim17ROCPRIM_400000_NS6detail17trampoline_kernelINS0_14default_configENS1_27scan_by_key_config_selectorIiyEEZZNS1_16scan_by_key_implILNS1_25lookback_scan_determinismE0ELb0ES3_N6thrust23THRUST_200600_302600_NS6detail15normal_iteratorINS9_10device_ptrIiEEEENSB_INSC_IyEEEESG_yNS9_4plusIvEENS9_8equal_toIvEEyEE10hipError_tPvRmT2_T3_T4_T5_mT6_T7_P12ihipStream_tbENKUlT_T0_E_clISt17integral_constantIbLb0EES11_EEDaSW_SX_EUlSW_E_NS1_11comp_targetILNS1_3genE4ELNS1_11target_archE910ELNS1_3gpuE8ELNS1_3repE0EEENS1_30default_config_static_selectorELNS0_4arch9wavefront6targetE0EEEvT1_.uses_vcc, 0
	.set _ZN7rocprim17ROCPRIM_400000_NS6detail17trampoline_kernelINS0_14default_configENS1_27scan_by_key_config_selectorIiyEEZZNS1_16scan_by_key_implILNS1_25lookback_scan_determinismE0ELb0ES3_N6thrust23THRUST_200600_302600_NS6detail15normal_iteratorINS9_10device_ptrIiEEEENSB_INSC_IyEEEESG_yNS9_4plusIvEENS9_8equal_toIvEEyEE10hipError_tPvRmT2_T3_T4_T5_mT6_T7_P12ihipStream_tbENKUlT_T0_E_clISt17integral_constantIbLb0EES11_EEDaSW_SX_EUlSW_E_NS1_11comp_targetILNS1_3genE4ELNS1_11target_archE910ELNS1_3gpuE8ELNS1_3repE0EEENS1_30default_config_static_selectorELNS0_4arch9wavefront6targetE0EEEvT1_.uses_flat_scratch, 0
	.set _ZN7rocprim17ROCPRIM_400000_NS6detail17trampoline_kernelINS0_14default_configENS1_27scan_by_key_config_selectorIiyEEZZNS1_16scan_by_key_implILNS1_25lookback_scan_determinismE0ELb0ES3_N6thrust23THRUST_200600_302600_NS6detail15normal_iteratorINS9_10device_ptrIiEEEENSB_INSC_IyEEEESG_yNS9_4plusIvEENS9_8equal_toIvEEyEE10hipError_tPvRmT2_T3_T4_T5_mT6_T7_P12ihipStream_tbENKUlT_T0_E_clISt17integral_constantIbLb0EES11_EEDaSW_SX_EUlSW_E_NS1_11comp_targetILNS1_3genE4ELNS1_11target_archE910ELNS1_3gpuE8ELNS1_3repE0EEENS1_30default_config_static_selectorELNS0_4arch9wavefront6targetE0EEEvT1_.has_dyn_sized_stack, 0
	.set _ZN7rocprim17ROCPRIM_400000_NS6detail17trampoline_kernelINS0_14default_configENS1_27scan_by_key_config_selectorIiyEEZZNS1_16scan_by_key_implILNS1_25lookback_scan_determinismE0ELb0ES3_N6thrust23THRUST_200600_302600_NS6detail15normal_iteratorINS9_10device_ptrIiEEEENSB_INSC_IyEEEESG_yNS9_4plusIvEENS9_8equal_toIvEEyEE10hipError_tPvRmT2_T3_T4_T5_mT6_T7_P12ihipStream_tbENKUlT_T0_E_clISt17integral_constantIbLb0EES11_EEDaSW_SX_EUlSW_E_NS1_11comp_targetILNS1_3genE4ELNS1_11target_archE910ELNS1_3gpuE8ELNS1_3repE0EEENS1_30default_config_static_selectorELNS0_4arch9wavefront6targetE0EEEvT1_.has_recursion, 0
	.set _ZN7rocprim17ROCPRIM_400000_NS6detail17trampoline_kernelINS0_14default_configENS1_27scan_by_key_config_selectorIiyEEZZNS1_16scan_by_key_implILNS1_25lookback_scan_determinismE0ELb0ES3_N6thrust23THRUST_200600_302600_NS6detail15normal_iteratorINS9_10device_ptrIiEEEENSB_INSC_IyEEEESG_yNS9_4plusIvEENS9_8equal_toIvEEyEE10hipError_tPvRmT2_T3_T4_T5_mT6_T7_P12ihipStream_tbENKUlT_T0_E_clISt17integral_constantIbLb0EES11_EEDaSW_SX_EUlSW_E_NS1_11comp_targetILNS1_3genE4ELNS1_11target_archE910ELNS1_3gpuE8ELNS1_3repE0EEENS1_30default_config_static_selectorELNS0_4arch9wavefront6targetE0EEEvT1_.has_indirect_call, 0
	.section	.AMDGPU.csdata,"",@progbits
; Kernel info:
; codeLenInByte = 0
; TotalNumSgprs: 0
; NumVgprs: 0
; ScratchSize: 0
; MemoryBound: 0
; FloatMode: 240
; IeeeMode: 1
; LDSByteSize: 0 bytes/workgroup (compile time only)
; SGPRBlocks: 0
; VGPRBlocks: 0
; NumSGPRsForWavesPerEU: 1
; NumVGPRsForWavesPerEU: 1
; NamedBarCnt: 0
; Occupancy: 16
; WaveLimiterHint : 0
; COMPUTE_PGM_RSRC2:SCRATCH_EN: 0
; COMPUTE_PGM_RSRC2:USER_SGPR: 2
; COMPUTE_PGM_RSRC2:TRAP_HANDLER: 0
; COMPUTE_PGM_RSRC2:TGID_X_EN: 1
; COMPUTE_PGM_RSRC2:TGID_Y_EN: 0
; COMPUTE_PGM_RSRC2:TGID_Z_EN: 0
; COMPUTE_PGM_RSRC2:TIDIG_COMP_CNT: 0
	.section	.text._ZN7rocprim17ROCPRIM_400000_NS6detail17trampoline_kernelINS0_14default_configENS1_27scan_by_key_config_selectorIiyEEZZNS1_16scan_by_key_implILNS1_25lookback_scan_determinismE0ELb0ES3_N6thrust23THRUST_200600_302600_NS6detail15normal_iteratorINS9_10device_ptrIiEEEENSB_INSC_IyEEEESG_yNS9_4plusIvEENS9_8equal_toIvEEyEE10hipError_tPvRmT2_T3_T4_T5_mT6_T7_P12ihipStream_tbENKUlT_T0_E_clISt17integral_constantIbLb0EES11_EEDaSW_SX_EUlSW_E_NS1_11comp_targetILNS1_3genE3ELNS1_11target_archE908ELNS1_3gpuE7ELNS1_3repE0EEENS1_30default_config_static_selectorELNS0_4arch9wavefront6targetE0EEEvT1_,"axG",@progbits,_ZN7rocprim17ROCPRIM_400000_NS6detail17trampoline_kernelINS0_14default_configENS1_27scan_by_key_config_selectorIiyEEZZNS1_16scan_by_key_implILNS1_25lookback_scan_determinismE0ELb0ES3_N6thrust23THRUST_200600_302600_NS6detail15normal_iteratorINS9_10device_ptrIiEEEENSB_INSC_IyEEEESG_yNS9_4plusIvEENS9_8equal_toIvEEyEE10hipError_tPvRmT2_T3_T4_T5_mT6_T7_P12ihipStream_tbENKUlT_T0_E_clISt17integral_constantIbLb0EES11_EEDaSW_SX_EUlSW_E_NS1_11comp_targetILNS1_3genE3ELNS1_11target_archE908ELNS1_3gpuE7ELNS1_3repE0EEENS1_30default_config_static_selectorELNS0_4arch9wavefront6targetE0EEEvT1_,comdat
	.protected	_ZN7rocprim17ROCPRIM_400000_NS6detail17trampoline_kernelINS0_14default_configENS1_27scan_by_key_config_selectorIiyEEZZNS1_16scan_by_key_implILNS1_25lookback_scan_determinismE0ELb0ES3_N6thrust23THRUST_200600_302600_NS6detail15normal_iteratorINS9_10device_ptrIiEEEENSB_INSC_IyEEEESG_yNS9_4plusIvEENS9_8equal_toIvEEyEE10hipError_tPvRmT2_T3_T4_T5_mT6_T7_P12ihipStream_tbENKUlT_T0_E_clISt17integral_constantIbLb0EES11_EEDaSW_SX_EUlSW_E_NS1_11comp_targetILNS1_3genE3ELNS1_11target_archE908ELNS1_3gpuE7ELNS1_3repE0EEENS1_30default_config_static_selectorELNS0_4arch9wavefront6targetE0EEEvT1_ ; -- Begin function _ZN7rocprim17ROCPRIM_400000_NS6detail17trampoline_kernelINS0_14default_configENS1_27scan_by_key_config_selectorIiyEEZZNS1_16scan_by_key_implILNS1_25lookback_scan_determinismE0ELb0ES3_N6thrust23THRUST_200600_302600_NS6detail15normal_iteratorINS9_10device_ptrIiEEEENSB_INSC_IyEEEESG_yNS9_4plusIvEENS9_8equal_toIvEEyEE10hipError_tPvRmT2_T3_T4_T5_mT6_T7_P12ihipStream_tbENKUlT_T0_E_clISt17integral_constantIbLb0EES11_EEDaSW_SX_EUlSW_E_NS1_11comp_targetILNS1_3genE3ELNS1_11target_archE908ELNS1_3gpuE7ELNS1_3repE0EEENS1_30default_config_static_selectorELNS0_4arch9wavefront6targetE0EEEvT1_
	.globl	_ZN7rocprim17ROCPRIM_400000_NS6detail17trampoline_kernelINS0_14default_configENS1_27scan_by_key_config_selectorIiyEEZZNS1_16scan_by_key_implILNS1_25lookback_scan_determinismE0ELb0ES3_N6thrust23THRUST_200600_302600_NS6detail15normal_iteratorINS9_10device_ptrIiEEEENSB_INSC_IyEEEESG_yNS9_4plusIvEENS9_8equal_toIvEEyEE10hipError_tPvRmT2_T3_T4_T5_mT6_T7_P12ihipStream_tbENKUlT_T0_E_clISt17integral_constantIbLb0EES11_EEDaSW_SX_EUlSW_E_NS1_11comp_targetILNS1_3genE3ELNS1_11target_archE908ELNS1_3gpuE7ELNS1_3repE0EEENS1_30default_config_static_selectorELNS0_4arch9wavefront6targetE0EEEvT1_
	.p2align	8
	.type	_ZN7rocprim17ROCPRIM_400000_NS6detail17trampoline_kernelINS0_14default_configENS1_27scan_by_key_config_selectorIiyEEZZNS1_16scan_by_key_implILNS1_25lookback_scan_determinismE0ELb0ES3_N6thrust23THRUST_200600_302600_NS6detail15normal_iteratorINS9_10device_ptrIiEEEENSB_INSC_IyEEEESG_yNS9_4plusIvEENS9_8equal_toIvEEyEE10hipError_tPvRmT2_T3_T4_T5_mT6_T7_P12ihipStream_tbENKUlT_T0_E_clISt17integral_constantIbLb0EES11_EEDaSW_SX_EUlSW_E_NS1_11comp_targetILNS1_3genE3ELNS1_11target_archE908ELNS1_3gpuE7ELNS1_3repE0EEENS1_30default_config_static_selectorELNS0_4arch9wavefront6targetE0EEEvT1_,@function
_ZN7rocprim17ROCPRIM_400000_NS6detail17trampoline_kernelINS0_14default_configENS1_27scan_by_key_config_selectorIiyEEZZNS1_16scan_by_key_implILNS1_25lookback_scan_determinismE0ELb0ES3_N6thrust23THRUST_200600_302600_NS6detail15normal_iteratorINS9_10device_ptrIiEEEENSB_INSC_IyEEEESG_yNS9_4plusIvEENS9_8equal_toIvEEyEE10hipError_tPvRmT2_T3_T4_T5_mT6_T7_P12ihipStream_tbENKUlT_T0_E_clISt17integral_constantIbLb0EES11_EEDaSW_SX_EUlSW_E_NS1_11comp_targetILNS1_3genE3ELNS1_11target_archE908ELNS1_3gpuE7ELNS1_3repE0EEENS1_30default_config_static_selectorELNS0_4arch9wavefront6targetE0EEEvT1_: ; @_ZN7rocprim17ROCPRIM_400000_NS6detail17trampoline_kernelINS0_14default_configENS1_27scan_by_key_config_selectorIiyEEZZNS1_16scan_by_key_implILNS1_25lookback_scan_determinismE0ELb0ES3_N6thrust23THRUST_200600_302600_NS6detail15normal_iteratorINS9_10device_ptrIiEEEENSB_INSC_IyEEEESG_yNS9_4plusIvEENS9_8equal_toIvEEyEE10hipError_tPvRmT2_T3_T4_T5_mT6_T7_P12ihipStream_tbENKUlT_T0_E_clISt17integral_constantIbLb0EES11_EEDaSW_SX_EUlSW_E_NS1_11comp_targetILNS1_3genE3ELNS1_11target_archE908ELNS1_3gpuE7ELNS1_3repE0EEENS1_30default_config_static_selectorELNS0_4arch9wavefront6targetE0EEEvT1_
; %bb.0:
	.section	.rodata,"a",@progbits
	.p2align	6, 0x0
	.amdhsa_kernel _ZN7rocprim17ROCPRIM_400000_NS6detail17trampoline_kernelINS0_14default_configENS1_27scan_by_key_config_selectorIiyEEZZNS1_16scan_by_key_implILNS1_25lookback_scan_determinismE0ELb0ES3_N6thrust23THRUST_200600_302600_NS6detail15normal_iteratorINS9_10device_ptrIiEEEENSB_INSC_IyEEEESG_yNS9_4plusIvEENS9_8equal_toIvEEyEE10hipError_tPvRmT2_T3_T4_T5_mT6_T7_P12ihipStream_tbENKUlT_T0_E_clISt17integral_constantIbLb0EES11_EEDaSW_SX_EUlSW_E_NS1_11comp_targetILNS1_3genE3ELNS1_11target_archE908ELNS1_3gpuE7ELNS1_3repE0EEENS1_30default_config_static_selectorELNS0_4arch9wavefront6targetE0EEEvT1_
		.amdhsa_group_segment_fixed_size 0
		.amdhsa_private_segment_fixed_size 0
		.amdhsa_kernarg_size 136
		.amdhsa_user_sgpr_count 2
		.amdhsa_user_sgpr_dispatch_ptr 0
		.amdhsa_user_sgpr_queue_ptr 0
		.amdhsa_user_sgpr_kernarg_segment_ptr 1
		.amdhsa_user_sgpr_dispatch_id 0
		.amdhsa_user_sgpr_kernarg_preload_length 0
		.amdhsa_user_sgpr_kernarg_preload_offset 0
		.amdhsa_user_sgpr_private_segment_size 0
		.amdhsa_wavefront_size32 1
		.amdhsa_uses_dynamic_stack 0
		.amdhsa_enable_private_segment 0
		.amdhsa_system_sgpr_workgroup_id_x 1
		.amdhsa_system_sgpr_workgroup_id_y 0
		.amdhsa_system_sgpr_workgroup_id_z 0
		.amdhsa_system_sgpr_workgroup_info 0
		.amdhsa_system_vgpr_workitem_id 0
		.amdhsa_next_free_vgpr 1
		.amdhsa_next_free_sgpr 1
		.amdhsa_named_barrier_count 0
		.amdhsa_reserve_vcc 0
		.amdhsa_float_round_mode_32 0
		.amdhsa_float_round_mode_16_64 0
		.amdhsa_float_denorm_mode_32 3
		.amdhsa_float_denorm_mode_16_64 3
		.amdhsa_fp16_overflow 0
		.amdhsa_memory_ordered 1
		.amdhsa_forward_progress 1
		.amdhsa_inst_pref_size 0
		.amdhsa_round_robin_scheduling 0
		.amdhsa_exception_fp_ieee_invalid_op 0
		.amdhsa_exception_fp_denorm_src 0
		.amdhsa_exception_fp_ieee_div_zero 0
		.amdhsa_exception_fp_ieee_overflow 0
		.amdhsa_exception_fp_ieee_underflow 0
		.amdhsa_exception_fp_ieee_inexact 0
		.amdhsa_exception_int_div_zero 0
	.end_amdhsa_kernel
	.section	.text._ZN7rocprim17ROCPRIM_400000_NS6detail17trampoline_kernelINS0_14default_configENS1_27scan_by_key_config_selectorIiyEEZZNS1_16scan_by_key_implILNS1_25lookback_scan_determinismE0ELb0ES3_N6thrust23THRUST_200600_302600_NS6detail15normal_iteratorINS9_10device_ptrIiEEEENSB_INSC_IyEEEESG_yNS9_4plusIvEENS9_8equal_toIvEEyEE10hipError_tPvRmT2_T3_T4_T5_mT6_T7_P12ihipStream_tbENKUlT_T0_E_clISt17integral_constantIbLb0EES11_EEDaSW_SX_EUlSW_E_NS1_11comp_targetILNS1_3genE3ELNS1_11target_archE908ELNS1_3gpuE7ELNS1_3repE0EEENS1_30default_config_static_selectorELNS0_4arch9wavefront6targetE0EEEvT1_,"axG",@progbits,_ZN7rocprim17ROCPRIM_400000_NS6detail17trampoline_kernelINS0_14default_configENS1_27scan_by_key_config_selectorIiyEEZZNS1_16scan_by_key_implILNS1_25lookback_scan_determinismE0ELb0ES3_N6thrust23THRUST_200600_302600_NS6detail15normal_iteratorINS9_10device_ptrIiEEEENSB_INSC_IyEEEESG_yNS9_4plusIvEENS9_8equal_toIvEEyEE10hipError_tPvRmT2_T3_T4_T5_mT6_T7_P12ihipStream_tbENKUlT_T0_E_clISt17integral_constantIbLb0EES11_EEDaSW_SX_EUlSW_E_NS1_11comp_targetILNS1_3genE3ELNS1_11target_archE908ELNS1_3gpuE7ELNS1_3repE0EEENS1_30default_config_static_selectorELNS0_4arch9wavefront6targetE0EEEvT1_,comdat
.Lfunc_end1180:
	.size	_ZN7rocprim17ROCPRIM_400000_NS6detail17trampoline_kernelINS0_14default_configENS1_27scan_by_key_config_selectorIiyEEZZNS1_16scan_by_key_implILNS1_25lookback_scan_determinismE0ELb0ES3_N6thrust23THRUST_200600_302600_NS6detail15normal_iteratorINS9_10device_ptrIiEEEENSB_INSC_IyEEEESG_yNS9_4plusIvEENS9_8equal_toIvEEyEE10hipError_tPvRmT2_T3_T4_T5_mT6_T7_P12ihipStream_tbENKUlT_T0_E_clISt17integral_constantIbLb0EES11_EEDaSW_SX_EUlSW_E_NS1_11comp_targetILNS1_3genE3ELNS1_11target_archE908ELNS1_3gpuE7ELNS1_3repE0EEENS1_30default_config_static_selectorELNS0_4arch9wavefront6targetE0EEEvT1_, .Lfunc_end1180-_ZN7rocprim17ROCPRIM_400000_NS6detail17trampoline_kernelINS0_14default_configENS1_27scan_by_key_config_selectorIiyEEZZNS1_16scan_by_key_implILNS1_25lookback_scan_determinismE0ELb0ES3_N6thrust23THRUST_200600_302600_NS6detail15normal_iteratorINS9_10device_ptrIiEEEENSB_INSC_IyEEEESG_yNS9_4plusIvEENS9_8equal_toIvEEyEE10hipError_tPvRmT2_T3_T4_T5_mT6_T7_P12ihipStream_tbENKUlT_T0_E_clISt17integral_constantIbLb0EES11_EEDaSW_SX_EUlSW_E_NS1_11comp_targetILNS1_3genE3ELNS1_11target_archE908ELNS1_3gpuE7ELNS1_3repE0EEENS1_30default_config_static_selectorELNS0_4arch9wavefront6targetE0EEEvT1_
                                        ; -- End function
	.set _ZN7rocprim17ROCPRIM_400000_NS6detail17trampoline_kernelINS0_14default_configENS1_27scan_by_key_config_selectorIiyEEZZNS1_16scan_by_key_implILNS1_25lookback_scan_determinismE0ELb0ES3_N6thrust23THRUST_200600_302600_NS6detail15normal_iteratorINS9_10device_ptrIiEEEENSB_INSC_IyEEEESG_yNS9_4plusIvEENS9_8equal_toIvEEyEE10hipError_tPvRmT2_T3_T4_T5_mT6_T7_P12ihipStream_tbENKUlT_T0_E_clISt17integral_constantIbLb0EES11_EEDaSW_SX_EUlSW_E_NS1_11comp_targetILNS1_3genE3ELNS1_11target_archE908ELNS1_3gpuE7ELNS1_3repE0EEENS1_30default_config_static_selectorELNS0_4arch9wavefront6targetE0EEEvT1_.num_vgpr, 0
	.set _ZN7rocprim17ROCPRIM_400000_NS6detail17trampoline_kernelINS0_14default_configENS1_27scan_by_key_config_selectorIiyEEZZNS1_16scan_by_key_implILNS1_25lookback_scan_determinismE0ELb0ES3_N6thrust23THRUST_200600_302600_NS6detail15normal_iteratorINS9_10device_ptrIiEEEENSB_INSC_IyEEEESG_yNS9_4plusIvEENS9_8equal_toIvEEyEE10hipError_tPvRmT2_T3_T4_T5_mT6_T7_P12ihipStream_tbENKUlT_T0_E_clISt17integral_constantIbLb0EES11_EEDaSW_SX_EUlSW_E_NS1_11comp_targetILNS1_3genE3ELNS1_11target_archE908ELNS1_3gpuE7ELNS1_3repE0EEENS1_30default_config_static_selectorELNS0_4arch9wavefront6targetE0EEEvT1_.num_agpr, 0
	.set _ZN7rocprim17ROCPRIM_400000_NS6detail17trampoline_kernelINS0_14default_configENS1_27scan_by_key_config_selectorIiyEEZZNS1_16scan_by_key_implILNS1_25lookback_scan_determinismE0ELb0ES3_N6thrust23THRUST_200600_302600_NS6detail15normal_iteratorINS9_10device_ptrIiEEEENSB_INSC_IyEEEESG_yNS9_4plusIvEENS9_8equal_toIvEEyEE10hipError_tPvRmT2_T3_T4_T5_mT6_T7_P12ihipStream_tbENKUlT_T0_E_clISt17integral_constantIbLb0EES11_EEDaSW_SX_EUlSW_E_NS1_11comp_targetILNS1_3genE3ELNS1_11target_archE908ELNS1_3gpuE7ELNS1_3repE0EEENS1_30default_config_static_selectorELNS0_4arch9wavefront6targetE0EEEvT1_.numbered_sgpr, 0
	.set _ZN7rocprim17ROCPRIM_400000_NS6detail17trampoline_kernelINS0_14default_configENS1_27scan_by_key_config_selectorIiyEEZZNS1_16scan_by_key_implILNS1_25lookback_scan_determinismE0ELb0ES3_N6thrust23THRUST_200600_302600_NS6detail15normal_iteratorINS9_10device_ptrIiEEEENSB_INSC_IyEEEESG_yNS9_4plusIvEENS9_8equal_toIvEEyEE10hipError_tPvRmT2_T3_T4_T5_mT6_T7_P12ihipStream_tbENKUlT_T0_E_clISt17integral_constantIbLb0EES11_EEDaSW_SX_EUlSW_E_NS1_11comp_targetILNS1_3genE3ELNS1_11target_archE908ELNS1_3gpuE7ELNS1_3repE0EEENS1_30default_config_static_selectorELNS0_4arch9wavefront6targetE0EEEvT1_.num_named_barrier, 0
	.set _ZN7rocprim17ROCPRIM_400000_NS6detail17trampoline_kernelINS0_14default_configENS1_27scan_by_key_config_selectorIiyEEZZNS1_16scan_by_key_implILNS1_25lookback_scan_determinismE0ELb0ES3_N6thrust23THRUST_200600_302600_NS6detail15normal_iteratorINS9_10device_ptrIiEEEENSB_INSC_IyEEEESG_yNS9_4plusIvEENS9_8equal_toIvEEyEE10hipError_tPvRmT2_T3_T4_T5_mT6_T7_P12ihipStream_tbENKUlT_T0_E_clISt17integral_constantIbLb0EES11_EEDaSW_SX_EUlSW_E_NS1_11comp_targetILNS1_3genE3ELNS1_11target_archE908ELNS1_3gpuE7ELNS1_3repE0EEENS1_30default_config_static_selectorELNS0_4arch9wavefront6targetE0EEEvT1_.private_seg_size, 0
	.set _ZN7rocprim17ROCPRIM_400000_NS6detail17trampoline_kernelINS0_14default_configENS1_27scan_by_key_config_selectorIiyEEZZNS1_16scan_by_key_implILNS1_25lookback_scan_determinismE0ELb0ES3_N6thrust23THRUST_200600_302600_NS6detail15normal_iteratorINS9_10device_ptrIiEEEENSB_INSC_IyEEEESG_yNS9_4plusIvEENS9_8equal_toIvEEyEE10hipError_tPvRmT2_T3_T4_T5_mT6_T7_P12ihipStream_tbENKUlT_T0_E_clISt17integral_constantIbLb0EES11_EEDaSW_SX_EUlSW_E_NS1_11comp_targetILNS1_3genE3ELNS1_11target_archE908ELNS1_3gpuE7ELNS1_3repE0EEENS1_30default_config_static_selectorELNS0_4arch9wavefront6targetE0EEEvT1_.uses_vcc, 0
	.set _ZN7rocprim17ROCPRIM_400000_NS6detail17trampoline_kernelINS0_14default_configENS1_27scan_by_key_config_selectorIiyEEZZNS1_16scan_by_key_implILNS1_25lookback_scan_determinismE0ELb0ES3_N6thrust23THRUST_200600_302600_NS6detail15normal_iteratorINS9_10device_ptrIiEEEENSB_INSC_IyEEEESG_yNS9_4plusIvEENS9_8equal_toIvEEyEE10hipError_tPvRmT2_T3_T4_T5_mT6_T7_P12ihipStream_tbENKUlT_T0_E_clISt17integral_constantIbLb0EES11_EEDaSW_SX_EUlSW_E_NS1_11comp_targetILNS1_3genE3ELNS1_11target_archE908ELNS1_3gpuE7ELNS1_3repE0EEENS1_30default_config_static_selectorELNS0_4arch9wavefront6targetE0EEEvT1_.uses_flat_scratch, 0
	.set _ZN7rocprim17ROCPRIM_400000_NS6detail17trampoline_kernelINS0_14default_configENS1_27scan_by_key_config_selectorIiyEEZZNS1_16scan_by_key_implILNS1_25lookback_scan_determinismE0ELb0ES3_N6thrust23THRUST_200600_302600_NS6detail15normal_iteratorINS9_10device_ptrIiEEEENSB_INSC_IyEEEESG_yNS9_4plusIvEENS9_8equal_toIvEEyEE10hipError_tPvRmT2_T3_T4_T5_mT6_T7_P12ihipStream_tbENKUlT_T0_E_clISt17integral_constantIbLb0EES11_EEDaSW_SX_EUlSW_E_NS1_11comp_targetILNS1_3genE3ELNS1_11target_archE908ELNS1_3gpuE7ELNS1_3repE0EEENS1_30default_config_static_selectorELNS0_4arch9wavefront6targetE0EEEvT1_.has_dyn_sized_stack, 0
	.set _ZN7rocprim17ROCPRIM_400000_NS6detail17trampoline_kernelINS0_14default_configENS1_27scan_by_key_config_selectorIiyEEZZNS1_16scan_by_key_implILNS1_25lookback_scan_determinismE0ELb0ES3_N6thrust23THRUST_200600_302600_NS6detail15normal_iteratorINS9_10device_ptrIiEEEENSB_INSC_IyEEEESG_yNS9_4plusIvEENS9_8equal_toIvEEyEE10hipError_tPvRmT2_T3_T4_T5_mT6_T7_P12ihipStream_tbENKUlT_T0_E_clISt17integral_constantIbLb0EES11_EEDaSW_SX_EUlSW_E_NS1_11comp_targetILNS1_3genE3ELNS1_11target_archE908ELNS1_3gpuE7ELNS1_3repE0EEENS1_30default_config_static_selectorELNS0_4arch9wavefront6targetE0EEEvT1_.has_recursion, 0
	.set _ZN7rocprim17ROCPRIM_400000_NS6detail17trampoline_kernelINS0_14default_configENS1_27scan_by_key_config_selectorIiyEEZZNS1_16scan_by_key_implILNS1_25lookback_scan_determinismE0ELb0ES3_N6thrust23THRUST_200600_302600_NS6detail15normal_iteratorINS9_10device_ptrIiEEEENSB_INSC_IyEEEESG_yNS9_4plusIvEENS9_8equal_toIvEEyEE10hipError_tPvRmT2_T3_T4_T5_mT6_T7_P12ihipStream_tbENKUlT_T0_E_clISt17integral_constantIbLb0EES11_EEDaSW_SX_EUlSW_E_NS1_11comp_targetILNS1_3genE3ELNS1_11target_archE908ELNS1_3gpuE7ELNS1_3repE0EEENS1_30default_config_static_selectorELNS0_4arch9wavefront6targetE0EEEvT1_.has_indirect_call, 0
	.section	.AMDGPU.csdata,"",@progbits
; Kernel info:
; codeLenInByte = 0
; TotalNumSgprs: 0
; NumVgprs: 0
; ScratchSize: 0
; MemoryBound: 0
; FloatMode: 240
; IeeeMode: 1
; LDSByteSize: 0 bytes/workgroup (compile time only)
; SGPRBlocks: 0
; VGPRBlocks: 0
; NumSGPRsForWavesPerEU: 1
; NumVGPRsForWavesPerEU: 1
; NamedBarCnt: 0
; Occupancy: 16
; WaveLimiterHint : 0
; COMPUTE_PGM_RSRC2:SCRATCH_EN: 0
; COMPUTE_PGM_RSRC2:USER_SGPR: 2
; COMPUTE_PGM_RSRC2:TRAP_HANDLER: 0
; COMPUTE_PGM_RSRC2:TGID_X_EN: 1
; COMPUTE_PGM_RSRC2:TGID_Y_EN: 0
; COMPUTE_PGM_RSRC2:TGID_Z_EN: 0
; COMPUTE_PGM_RSRC2:TIDIG_COMP_CNT: 0
	.section	.text._ZN7rocprim17ROCPRIM_400000_NS6detail17trampoline_kernelINS0_14default_configENS1_27scan_by_key_config_selectorIiyEEZZNS1_16scan_by_key_implILNS1_25lookback_scan_determinismE0ELb0ES3_N6thrust23THRUST_200600_302600_NS6detail15normal_iteratorINS9_10device_ptrIiEEEENSB_INSC_IyEEEESG_yNS9_4plusIvEENS9_8equal_toIvEEyEE10hipError_tPvRmT2_T3_T4_T5_mT6_T7_P12ihipStream_tbENKUlT_T0_E_clISt17integral_constantIbLb0EES11_EEDaSW_SX_EUlSW_E_NS1_11comp_targetILNS1_3genE2ELNS1_11target_archE906ELNS1_3gpuE6ELNS1_3repE0EEENS1_30default_config_static_selectorELNS0_4arch9wavefront6targetE0EEEvT1_,"axG",@progbits,_ZN7rocprim17ROCPRIM_400000_NS6detail17trampoline_kernelINS0_14default_configENS1_27scan_by_key_config_selectorIiyEEZZNS1_16scan_by_key_implILNS1_25lookback_scan_determinismE0ELb0ES3_N6thrust23THRUST_200600_302600_NS6detail15normal_iteratorINS9_10device_ptrIiEEEENSB_INSC_IyEEEESG_yNS9_4plusIvEENS9_8equal_toIvEEyEE10hipError_tPvRmT2_T3_T4_T5_mT6_T7_P12ihipStream_tbENKUlT_T0_E_clISt17integral_constantIbLb0EES11_EEDaSW_SX_EUlSW_E_NS1_11comp_targetILNS1_3genE2ELNS1_11target_archE906ELNS1_3gpuE6ELNS1_3repE0EEENS1_30default_config_static_selectorELNS0_4arch9wavefront6targetE0EEEvT1_,comdat
	.protected	_ZN7rocprim17ROCPRIM_400000_NS6detail17trampoline_kernelINS0_14default_configENS1_27scan_by_key_config_selectorIiyEEZZNS1_16scan_by_key_implILNS1_25lookback_scan_determinismE0ELb0ES3_N6thrust23THRUST_200600_302600_NS6detail15normal_iteratorINS9_10device_ptrIiEEEENSB_INSC_IyEEEESG_yNS9_4plusIvEENS9_8equal_toIvEEyEE10hipError_tPvRmT2_T3_T4_T5_mT6_T7_P12ihipStream_tbENKUlT_T0_E_clISt17integral_constantIbLb0EES11_EEDaSW_SX_EUlSW_E_NS1_11comp_targetILNS1_3genE2ELNS1_11target_archE906ELNS1_3gpuE6ELNS1_3repE0EEENS1_30default_config_static_selectorELNS0_4arch9wavefront6targetE0EEEvT1_ ; -- Begin function _ZN7rocprim17ROCPRIM_400000_NS6detail17trampoline_kernelINS0_14default_configENS1_27scan_by_key_config_selectorIiyEEZZNS1_16scan_by_key_implILNS1_25lookback_scan_determinismE0ELb0ES3_N6thrust23THRUST_200600_302600_NS6detail15normal_iteratorINS9_10device_ptrIiEEEENSB_INSC_IyEEEESG_yNS9_4plusIvEENS9_8equal_toIvEEyEE10hipError_tPvRmT2_T3_T4_T5_mT6_T7_P12ihipStream_tbENKUlT_T0_E_clISt17integral_constantIbLb0EES11_EEDaSW_SX_EUlSW_E_NS1_11comp_targetILNS1_3genE2ELNS1_11target_archE906ELNS1_3gpuE6ELNS1_3repE0EEENS1_30default_config_static_selectorELNS0_4arch9wavefront6targetE0EEEvT1_
	.globl	_ZN7rocprim17ROCPRIM_400000_NS6detail17trampoline_kernelINS0_14default_configENS1_27scan_by_key_config_selectorIiyEEZZNS1_16scan_by_key_implILNS1_25lookback_scan_determinismE0ELb0ES3_N6thrust23THRUST_200600_302600_NS6detail15normal_iteratorINS9_10device_ptrIiEEEENSB_INSC_IyEEEESG_yNS9_4plusIvEENS9_8equal_toIvEEyEE10hipError_tPvRmT2_T3_T4_T5_mT6_T7_P12ihipStream_tbENKUlT_T0_E_clISt17integral_constantIbLb0EES11_EEDaSW_SX_EUlSW_E_NS1_11comp_targetILNS1_3genE2ELNS1_11target_archE906ELNS1_3gpuE6ELNS1_3repE0EEENS1_30default_config_static_selectorELNS0_4arch9wavefront6targetE0EEEvT1_
	.p2align	8
	.type	_ZN7rocprim17ROCPRIM_400000_NS6detail17trampoline_kernelINS0_14default_configENS1_27scan_by_key_config_selectorIiyEEZZNS1_16scan_by_key_implILNS1_25lookback_scan_determinismE0ELb0ES3_N6thrust23THRUST_200600_302600_NS6detail15normal_iteratorINS9_10device_ptrIiEEEENSB_INSC_IyEEEESG_yNS9_4plusIvEENS9_8equal_toIvEEyEE10hipError_tPvRmT2_T3_T4_T5_mT6_T7_P12ihipStream_tbENKUlT_T0_E_clISt17integral_constantIbLb0EES11_EEDaSW_SX_EUlSW_E_NS1_11comp_targetILNS1_3genE2ELNS1_11target_archE906ELNS1_3gpuE6ELNS1_3repE0EEENS1_30default_config_static_selectorELNS0_4arch9wavefront6targetE0EEEvT1_,@function
_ZN7rocprim17ROCPRIM_400000_NS6detail17trampoline_kernelINS0_14default_configENS1_27scan_by_key_config_selectorIiyEEZZNS1_16scan_by_key_implILNS1_25lookback_scan_determinismE0ELb0ES3_N6thrust23THRUST_200600_302600_NS6detail15normal_iteratorINS9_10device_ptrIiEEEENSB_INSC_IyEEEESG_yNS9_4plusIvEENS9_8equal_toIvEEyEE10hipError_tPvRmT2_T3_T4_T5_mT6_T7_P12ihipStream_tbENKUlT_T0_E_clISt17integral_constantIbLb0EES11_EEDaSW_SX_EUlSW_E_NS1_11comp_targetILNS1_3genE2ELNS1_11target_archE906ELNS1_3gpuE6ELNS1_3repE0EEENS1_30default_config_static_selectorELNS0_4arch9wavefront6targetE0EEEvT1_: ; @_ZN7rocprim17ROCPRIM_400000_NS6detail17trampoline_kernelINS0_14default_configENS1_27scan_by_key_config_selectorIiyEEZZNS1_16scan_by_key_implILNS1_25lookback_scan_determinismE0ELb0ES3_N6thrust23THRUST_200600_302600_NS6detail15normal_iteratorINS9_10device_ptrIiEEEENSB_INSC_IyEEEESG_yNS9_4plusIvEENS9_8equal_toIvEEyEE10hipError_tPvRmT2_T3_T4_T5_mT6_T7_P12ihipStream_tbENKUlT_T0_E_clISt17integral_constantIbLb0EES11_EEDaSW_SX_EUlSW_E_NS1_11comp_targetILNS1_3genE2ELNS1_11target_archE906ELNS1_3gpuE6ELNS1_3repE0EEENS1_30default_config_static_selectorELNS0_4arch9wavefront6targetE0EEEvT1_
; %bb.0:
	.section	.rodata,"a",@progbits
	.p2align	6, 0x0
	.amdhsa_kernel _ZN7rocprim17ROCPRIM_400000_NS6detail17trampoline_kernelINS0_14default_configENS1_27scan_by_key_config_selectorIiyEEZZNS1_16scan_by_key_implILNS1_25lookback_scan_determinismE0ELb0ES3_N6thrust23THRUST_200600_302600_NS6detail15normal_iteratorINS9_10device_ptrIiEEEENSB_INSC_IyEEEESG_yNS9_4plusIvEENS9_8equal_toIvEEyEE10hipError_tPvRmT2_T3_T4_T5_mT6_T7_P12ihipStream_tbENKUlT_T0_E_clISt17integral_constantIbLb0EES11_EEDaSW_SX_EUlSW_E_NS1_11comp_targetILNS1_3genE2ELNS1_11target_archE906ELNS1_3gpuE6ELNS1_3repE0EEENS1_30default_config_static_selectorELNS0_4arch9wavefront6targetE0EEEvT1_
		.amdhsa_group_segment_fixed_size 0
		.amdhsa_private_segment_fixed_size 0
		.amdhsa_kernarg_size 136
		.amdhsa_user_sgpr_count 2
		.amdhsa_user_sgpr_dispatch_ptr 0
		.amdhsa_user_sgpr_queue_ptr 0
		.amdhsa_user_sgpr_kernarg_segment_ptr 1
		.amdhsa_user_sgpr_dispatch_id 0
		.amdhsa_user_sgpr_kernarg_preload_length 0
		.amdhsa_user_sgpr_kernarg_preload_offset 0
		.amdhsa_user_sgpr_private_segment_size 0
		.amdhsa_wavefront_size32 1
		.amdhsa_uses_dynamic_stack 0
		.amdhsa_enable_private_segment 0
		.amdhsa_system_sgpr_workgroup_id_x 1
		.amdhsa_system_sgpr_workgroup_id_y 0
		.amdhsa_system_sgpr_workgroup_id_z 0
		.amdhsa_system_sgpr_workgroup_info 0
		.amdhsa_system_vgpr_workitem_id 0
		.amdhsa_next_free_vgpr 1
		.amdhsa_next_free_sgpr 1
		.amdhsa_named_barrier_count 0
		.amdhsa_reserve_vcc 0
		.amdhsa_float_round_mode_32 0
		.amdhsa_float_round_mode_16_64 0
		.amdhsa_float_denorm_mode_32 3
		.amdhsa_float_denorm_mode_16_64 3
		.amdhsa_fp16_overflow 0
		.amdhsa_memory_ordered 1
		.amdhsa_forward_progress 1
		.amdhsa_inst_pref_size 0
		.amdhsa_round_robin_scheduling 0
		.amdhsa_exception_fp_ieee_invalid_op 0
		.amdhsa_exception_fp_denorm_src 0
		.amdhsa_exception_fp_ieee_div_zero 0
		.amdhsa_exception_fp_ieee_overflow 0
		.amdhsa_exception_fp_ieee_underflow 0
		.amdhsa_exception_fp_ieee_inexact 0
		.amdhsa_exception_int_div_zero 0
	.end_amdhsa_kernel
	.section	.text._ZN7rocprim17ROCPRIM_400000_NS6detail17trampoline_kernelINS0_14default_configENS1_27scan_by_key_config_selectorIiyEEZZNS1_16scan_by_key_implILNS1_25lookback_scan_determinismE0ELb0ES3_N6thrust23THRUST_200600_302600_NS6detail15normal_iteratorINS9_10device_ptrIiEEEENSB_INSC_IyEEEESG_yNS9_4plusIvEENS9_8equal_toIvEEyEE10hipError_tPvRmT2_T3_T4_T5_mT6_T7_P12ihipStream_tbENKUlT_T0_E_clISt17integral_constantIbLb0EES11_EEDaSW_SX_EUlSW_E_NS1_11comp_targetILNS1_3genE2ELNS1_11target_archE906ELNS1_3gpuE6ELNS1_3repE0EEENS1_30default_config_static_selectorELNS0_4arch9wavefront6targetE0EEEvT1_,"axG",@progbits,_ZN7rocprim17ROCPRIM_400000_NS6detail17trampoline_kernelINS0_14default_configENS1_27scan_by_key_config_selectorIiyEEZZNS1_16scan_by_key_implILNS1_25lookback_scan_determinismE0ELb0ES3_N6thrust23THRUST_200600_302600_NS6detail15normal_iteratorINS9_10device_ptrIiEEEENSB_INSC_IyEEEESG_yNS9_4plusIvEENS9_8equal_toIvEEyEE10hipError_tPvRmT2_T3_T4_T5_mT6_T7_P12ihipStream_tbENKUlT_T0_E_clISt17integral_constantIbLb0EES11_EEDaSW_SX_EUlSW_E_NS1_11comp_targetILNS1_3genE2ELNS1_11target_archE906ELNS1_3gpuE6ELNS1_3repE0EEENS1_30default_config_static_selectorELNS0_4arch9wavefront6targetE0EEEvT1_,comdat
.Lfunc_end1181:
	.size	_ZN7rocprim17ROCPRIM_400000_NS6detail17trampoline_kernelINS0_14default_configENS1_27scan_by_key_config_selectorIiyEEZZNS1_16scan_by_key_implILNS1_25lookback_scan_determinismE0ELb0ES3_N6thrust23THRUST_200600_302600_NS6detail15normal_iteratorINS9_10device_ptrIiEEEENSB_INSC_IyEEEESG_yNS9_4plusIvEENS9_8equal_toIvEEyEE10hipError_tPvRmT2_T3_T4_T5_mT6_T7_P12ihipStream_tbENKUlT_T0_E_clISt17integral_constantIbLb0EES11_EEDaSW_SX_EUlSW_E_NS1_11comp_targetILNS1_3genE2ELNS1_11target_archE906ELNS1_3gpuE6ELNS1_3repE0EEENS1_30default_config_static_selectorELNS0_4arch9wavefront6targetE0EEEvT1_, .Lfunc_end1181-_ZN7rocprim17ROCPRIM_400000_NS6detail17trampoline_kernelINS0_14default_configENS1_27scan_by_key_config_selectorIiyEEZZNS1_16scan_by_key_implILNS1_25lookback_scan_determinismE0ELb0ES3_N6thrust23THRUST_200600_302600_NS6detail15normal_iteratorINS9_10device_ptrIiEEEENSB_INSC_IyEEEESG_yNS9_4plusIvEENS9_8equal_toIvEEyEE10hipError_tPvRmT2_T3_T4_T5_mT6_T7_P12ihipStream_tbENKUlT_T0_E_clISt17integral_constantIbLb0EES11_EEDaSW_SX_EUlSW_E_NS1_11comp_targetILNS1_3genE2ELNS1_11target_archE906ELNS1_3gpuE6ELNS1_3repE0EEENS1_30default_config_static_selectorELNS0_4arch9wavefront6targetE0EEEvT1_
                                        ; -- End function
	.set _ZN7rocprim17ROCPRIM_400000_NS6detail17trampoline_kernelINS0_14default_configENS1_27scan_by_key_config_selectorIiyEEZZNS1_16scan_by_key_implILNS1_25lookback_scan_determinismE0ELb0ES3_N6thrust23THRUST_200600_302600_NS6detail15normal_iteratorINS9_10device_ptrIiEEEENSB_INSC_IyEEEESG_yNS9_4plusIvEENS9_8equal_toIvEEyEE10hipError_tPvRmT2_T3_T4_T5_mT6_T7_P12ihipStream_tbENKUlT_T0_E_clISt17integral_constantIbLb0EES11_EEDaSW_SX_EUlSW_E_NS1_11comp_targetILNS1_3genE2ELNS1_11target_archE906ELNS1_3gpuE6ELNS1_3repE0EEENS1_30default_config_static_selectorELNS0_4arch9wavefront6targetE0EEEvT1_.num_vgpr, 0
	.set _ZN7rocprim17ROCPRIM_400000_NS6detail17trampoline_kernelINS0_14default_configENS1_27scan_by_key_config_selectorIiyEEZZNS1_16scan_by_key_implILNS1_25lookback_scan_determinismE0ELb0ES3_N6thrust23THRUST_200600_302600_NS6detail15normal_iteratorINS9_10device_ptrIiEEEENSB_INSC_IyEEEESG_yNS9_4plusIvEENS9_8equal_toIvEEyEE10hipError_tPvRmT2_T3_T4_T5_mT6_T7_P12ihipStream_tbENKUlT_T0_E_clISt17integral_constantIbLb0EES11_EEDaSW_SX_EUlSW_E_NS1_11comp_targetILNS1_3genE2ELNS1_11target_archE906ELNS1_3gpuE6ELNS1_3repE0EEENS1_30default_config_static_selectorELNS0_4arch9wavefront6targetE0EEEvT1_.num_agpr, 0
	.set _ZN7rocprim17ROCPRIM_400000_NS6detail17trampoline_kernelINS0_14default_configENS1_27scan_by_key_config_selectorIiyEEZZNS1_16scan_by_key_implILNS1_25lookback_scan_determinismE0ELb0ES3_N6thrust23THRUST_200600_302600_NS6detail15normal_iteratorINS9_10device_ptrIiEEEENSB_INSC_IyEEEESG_yNS9_4plusIvEENS9_8equal_toIvEEyEE10hipError_tPvRmT2_T3_T4_T5_mT6_T7_P12ihipStream_tbENKUlT_T0_E_clISt17integral_constantIbLb0EES11_EEDaSW_SX_EUlSW_E_NS1_11comp_targetILNS1_3genE2ELNS1_11target_archE906ELNS1_3gpuE6ELNS1_3repE0EEENS1_30default_config_static_selectorELNS0_4arch9wavefront6targetE0EEEvT1_.numbered_sgpr, 0
	.set _ZN7rocprim17ROCPRIM_400000_NS6detail17trampoline_kernelINS0_14default_configENS1_27scan_by_key_config_selectorIiyEEZZNS1_16scan_by_key_implILNS1_25lookback_scan_determinismE0ELb0ES3_N6thrust23THRUST_200600_302600_NS6detail15normal_iteratorINS9_10device_ptrIiEEEENSB_INSC_IyEEEESG_yNS9_4plusIvEENS9_8equal_toIvEEyEE10hipError_tPvRmT2_T3_T4_T5_mT6_T7_P12ihipStream_tbENKUlT_T0_E_clISt17integral_constantIbLb0EES11_EEDaSW_SX_EUlSW_E_NS1_11comp_targetILNS1_3genE2ELNS1_11target_archE906ELNS1_3gpuE6ELNS1_3repE0EEENS1_30default_config_static_selectorELNS0_4arch9wavefront6targetE0EEEvT1_.num_named_barrier, 0
	.set _ZN7rocprim17ROCPRIM_400000_NS6detail17trampoline_kernelINS0_14default_configENS1_27scan_by_key_config_selectorIiyEEZZNS1_16scan_by_key_implILNS1_25lookback_scan_determinismE0ELb0ES3_N6thrust23THRUST_200600_302600_NS6detail15normal_iteratorINS9_10device_ptrIiEEEENSB_INSC_IyEEEESG_yNS9_4plusIvEENS9_8equal_toIvEEyEE10hipError_tPvRmT2_T3_T4_T5_mT6_T7_P12ihipStream_tbENKUlT_T0_E_clISt17integral_constantIbLb0EES11_EEDaSW_SX_EUlSW_E_NS1_11comp_targetILNS1_3genE2ELNS1_11target_archE906ELNS1_3gpuE6ELNS1_3repE0EEENS1_30default_config_static_selectorELNS0_4arch9wavefront6targetE0EEEvT1_.private_seg_size, 0
	.set _ZN7rocprim17ROCPRIM_400000_NS6detail17trampoline_kernelINS0_14default_configENS1_27scan_by_key_config_selectorIiyEEZZNS1_16scan_by_key_implILNS1_25lookback_scan_determinismE0ELb0ES3_N6thrust23THRUST_200600_302600_NS6detail15normal_iteratorINS9_10device_ptrIiEEEENSB_INSC_IyEEEESG_yNS9_4plusIvEENS9_8equal_toIvEEyEE10hipError_tPvRmT2_T3_T4_T5_mT6_T7_P12ihipStream_tbENKUlT_T0_E_clISt17integral_constantIbLb0EES11_EEDaSW_SX_EUlSW_E_NS1_11comp_targetILNS1_3genE2ELNS1_11target_archE906ELNS1_3gpuE6ELNS1_3repE0EEENS1_30default_config_static_selectorELNS0_4arch9wavefront6targetE0EEEvT1_.uses_vcc, 0
	.set _ZN7rocprim17ROCPRIM_400000_NS6detail17trampoline_kernelINS0_14default_configENS1_27scan_by_key_config_selectorIiyEEZZNS1_16scan_by_key_implILNS1_25lookback_scan_determinismE0ELb0ES3_N6thrust23THRUST_200600_302600_NS6detail15normal_iteratorINS9_10device_ptrIiEEEENSB_INSC_IyEEEESG_yNS9_4plusIvEENS9_8equal_toIvEEyEE10hipError_tPvRmT2_T3_T4_T5_mT6_T7_P12ihipStream_tbENKUlT_T0_E_clISt17integral_constantIbLb0EES11_EEDaSW_SX_EUlSW_E_NS1_11comp_targetILNS1_3genE2ELNS1_11target_archE906ELNS1_3gpuE6ELNS1_3repE0EEENS1_30default_config_static_selectorELNS0_4arch9wavefront6targetE0EEEvT1_.uses_flat_scratch, 0
	.set _ZN7rocprim17ROCPRIM_400000_NS6detail17trampoline_kernelINS0_14default_configENS1_27scan_by_key_config_selectorIiyEEZZNS1_16scan_by_key_implILNS1_25lookback_scan_determinismE0ELb0ES3_N6thrust23THRUST_200600_302600_NS6detail15normal_iteratorINS9_10device_ptrIiEEEENSB_INSC_IyEEEESG_yNS9_4plusIvEENS9_8equal_toIvEEyEE10hipError_tPvRmT2_T3_T4_T5_mT6_T7_P12ihipStream_tbENKUlT_T0_E_clISt17integral_constantIbLb0EES11_EEDaSW_SX_EUlSW_E_NS1_11comp_targetILNS1_3genE2ELNS1_11target_archE906ELNS1_3gpuE6ELNS1_3repE0EEENS1_30default_config_static_selectorELNS0_4arch9wavefront6targetE0EEEvT1_.has_dyn_sized_stack, 0
	.set _ZN7rocprim17ROCPRIM_400000_NS6detail17trampoline_kernelINS0_14default_configENS1_27scan_by_key_config_selectorIiyEEZZNS1_16scan_by_key_implILNS1_25lookback_scan_determinismE0ELb0ES3_N6thrust23THRUST_200600_302600_NS6detail15normal_iteratorINS9_10device_ptrIiEEEENSB_INSC_IyEEEESG_yNS9_4plusIvEENS9_8equal_toIvEEyEE10hipError_tPvRmT2_T3_T4_T5_mT6_T7_P12ihipStream_tbENKUlT_T0_E_clISt17integral_constantIbLb0EES11_EEDaSW_SX_EUlSW_E_NS1_11comp_targetILNS1_3genE2ELNS1_11target_archE906ELNS1_3gpuE6ELNS1_3repE0EEENS1_30default_config_static_selectorELNS0_4arch9wavefront6targetE0EEEvT1_.has_recursion, 0
	.set _ZN7rocprim17ROCPRIM_400000_NS6detail17trampoline_kernelINS0_14default_configENS1_27scan_by_key_config_selectorIiyEEZZNS1_16scan_by_key_implILNS1_25lookback_scan_determinismE0ELb0ES3_N6thrust23THRUST_200600_302600_NS6detail15normal_iteratorINS9_10device_ptrIiEEEENSB_INSC_IyEEEESG_yNS9_4plusIvEENS9_8equal_toIvEEyEE10hipError_tPvRmT2_T3_T4_T5_mT6_T7_P12ihipStream_tbENKUlT_T0_E_clISt17integral_constantIbLb0EES11_EEDaSW_SX_EUlSW_E_NS1_11comp_targetILNS1_3genE2ELNS1_11target_archE906ELNS1_3gpuE6ELNS1_3repE0EEENS1_30default_config_static_selectorELNS0_4arch9wavefront6targetE0EEEvT1_.has_indirect_call, 0
	.section	.AMDGPU.csdata,"",@progbits
; Kernel info:
; codeLenInByte = 0
; TotalNumSgprs: 0
; NumVgprs: 0
; ScratchSize: 0
; MemoryBound: 0
; FloatMode: 240
; IeeeMode: 1
; LDSByteSize: 0 bytes/workgroup (compile time only)
; SGPRBlocks: 0
; VGPRBlocks: 0
; NumSGPRsForWavesPerEU: 1
; NumVGPRsForWavesPerEU: 1
; NamedBarCnt: 0
; Occupancy: 16
; WaveLimiterHint : 0
; COMPUTE_PGM_RSRC2:SCRATCH_EN: 0
; COMPUTE_PGM_RSRC2:USER_SGPR: 2
; COMPUTE_PGM_RSRC2:TRAP_HANDLER: 0
; COMPUTE_PGM_RSRC2:TGID_X_EN: 1
; COMPUTE_PGM_RSRC2:TGID_Y_EN: 0
; COMPUTE_PGM_RSRC2:TGID_Z_EN: 0
; COMPUTE_PGM_RSRC2:TIDIG_COMP_CNT: 0
	.section	.text._ZN7rocprim17ROCPRIM_400000_NS6detail17trampoline_kernelINS0_14default_configENS1_27scan_by_key_config_selectorIiyEEZZNS1_16scan_by_key_implILNS1_25lookback_scan_determinismE0ELb0ES3_N6thrust23THRUST_200600_302600_NS6detail15normal_iteratorINS9_10device_ptrIiEEEENSB_INSC_IyEEEESG_yNS9_4plusIvEENS9_8equal_toIvEEyEE10hipError_tPvRmT2_T3_T4_T5_mT6_T7_P12ihipStream_tbENKUlT_T0_E_clISt17integral_constantIbLb0EES11_EEDaSW_SX_EUlSW_E_NS1_11comp_targetILNS1_3genE10ELNS1_11target_archE1200ELNS1_3gpuE4ELNS1_3repE0EEENS1_30default_config_static_selectorELNS0_4arch9wavefront6targetE0EEEvT1_,"axG",@progbits,_ZN7rocprim17ROCPRIM_400000_NS6detail17trampoline_kernelINS0_14default_configENS1_27scan_by_key_config_selectorIiyEEZZNS1_16scan_by_key_implILNS1_25lookback_scan_determinismE0ELb0ES3_N6thrust23THRUST_200600_302600_NS6detail15normal_iteratorINS9_10device_ptrIiEEEENSB_INSC_IyEEEESG_yNS9_4plusIvEENS9_8equal_toIvEEyEE10hipError_tPvRmT2_T3_T4_T5_mT6_T7_P12ihipStream_tbENKUlT_T0_E_clISt17integral_constantIbLb0EES11_EEDaSW_SX_EUlSW_E_NS1_11comp_targetILNS1_3genE10ELNS1_11target_archE1200ELNS1_3gpuE4ELNS1_3repE0EEENS1_30default_config_static_selectorELNS0_4arch9wavefront6targetE0EEEvT1_,comdat
	.protected	_ZN7rocprim17ROCPRIM_400000_NS6detail17trampoline_kernelINS0_14default_configENS1_27scan_by_key_config_selectorIiyEEZZNS1_16scan_by_key_implILNS1_25lookback_scan_determinismE0ELb0ES3_N6thrust23THRUST_200600_302600_NS6detail15normal_iteratorINS9_10device_ptrIiEEEENSB_INSC_IyEEEESG_yNS9_4plusIvEENS9_8equal_toIvEEyEE10hipError_tPvRmT2_T3_T4_T5_mT6_T7_P12ihipStream_tbENKUlT_T0_E_clISt17integral_constantIbLb0EES11_EEDaSW_SX_EUlSW_E_NS1_11comp_targetILNS1_3genE10ELNS1_11target_archE1200ELNS1_3gpuE4ELNS1_3repE0EEENS1_30default_config_static_selectorELNS0_4arch9wavefront6targetE0EEEvT1_ ; -- Begin function _ZN7rocprim17ROCPRIM_400000_NS6detail17trampoline_kernelINS0_14default_configENS1_27scan_by_key_config_selectorIiyEEZZNS1_16scan_by_key_implILNS1_25lookback_scan_determinismE0ELb0ES3_N6thrust23THRUST_200600_302600_NS6detail15normal_iteratorINS9_10device_ptrIiEEEENSB_INSC_IyEEEESG_yNS9_4plusIvEENS9_8equal_toIvEEyEE10hipError_tPvRmT2_T3_T4_T5_mT6_T7_P12ihipStream_tbENKUlT_T0_E_clISt17integral_constantIbLb0EES11_EEDaSW_SX_EUlSW_E_NS1_11comp_targetILNS1_3genE10ELNS1_11target_archE1200ELNS1_3gpuE4ELNS1_3repE0EEENS1_30default_config_static_selectorELNS0_4arch9wavefront6targetE0EEEvT1_
	.globl	_ZN7rocprim17ROCPRIM_400000_NS6detail17trampoline_kernelINS0_14default_configENS1_27scan_by_key_config_selectorIiyEEZZNS1_16scan_by_key_implILNS1_25lookback_scan_determinismE0ELb0ES3_N6thrust23THRUST_200600_302600_NS6detail15normal_iteratorINS9_10device_ptrIiEEEENSB_INSC_IyEEEESG_yNS9_4plusIvEENS9_8equal_toIvEEyEE10hipError_tPvRmT2_T3_T4_T5_mT6_T7_P12ihipStream_tbENKUlT_T0_E_clISt17integral_constantIbLb0EES11_EEDaSW_SX_EUlSW_E_NS1_11comp_targetILNS1_3genE10ELNS1_11target_archE1200ELNS1_3gpuE4ELNS1_3repE0EEENS1_30default_config_static_selectorELNS0_4arch9wavefront6targetE0EEEvT1_
	.p2align	8
	.type	_ZN7rocprim17ROCPRIM_400000_NS6detail17trampoline_kernelINS0_14default_configENS1_27scan_by_key_config_selectorIiyEEZZNS1_16scan_by_key_implILNS1_25lookback_scan_determinismE0ELb0ES3_N6thrust23THRUST_200600_302600_NS6detail15normal_iteratorINS9_10device_ptrIiEEEENSB_INSC_IyEEEESG_yNS9_4plusIvEENS9_8equal_toIvEEyEE10hipError_tPvRmT2_T3_T4_T5_mT6_T7_P12ihipStream_tbENKUlT_T0_E_clISt17integral_constantIbLb0EES11_EEDaSW_SX_EUlSW_E_NS1_11comp_targetILNS1_3genE10ELNS1_11target_archE1200ELNS1_3gpuE4ELNS1_3repE0EEENS1_30default_config_static_selectorELNS0_4arch9wavefront6targetE0EEEvT1_,@function
_ZN7rocprim17ROCPRIM_400000_NS6detail17trampoline_kernelINS0_14default_configENS1_27scan_by_key_config_selectorIiyEEZZNS1_16scan_by_key_implILNS1_25lookback_scan_determinismE0ELb0ES3_N6thrust23THRUST_200600_302600_NS6detail15normal_iteratorINS9_10device_ptrIiEEEENSB_INSC_IyEEEESG_yNS9_4plusIvEENS9_8equal_toIvEEyEE10hipError_tPvRmT2_T3_T4_T5_mT6_T7_P12ihipStream_tbENKUlT_T0_E_clISt17integral_constantIbLb0EES11_EEDaSW_SX_EUlSW_E_NS1_11comp_targetILNS1_3genE10ELNS1_11target_archE1200ELNS1_3gpuE4ELNS1_3repE0EEENS1_30default_config_static_selectorELNS0_4arch9wavefront6targetE0EEEvT1_: ; @_ZN7rocprim17ROCPRIM_400000_NS6detail17trampoline_kernelINS0_14default_configENS1_27scan_by_key_config_selectorIiyEEZZNS1_16scan_by_key_implILNS1_25lookback_scan_determinismE0ELb0ES3_N6thrust23THRUST_200600_302600_NS6detail15normal_iteratorINS9_10device_ptrIiEEEENSB_INSC_IyEEEESG_yNS9_4plusIvEENS9_8equal_toIvEEyEE10hipError_tPvRmT2_T3_T4_T5_mT6_T7_P12ihipStream_tbENKUlT_T0_E_clISt17integral_constantIbLb0EES11_EEDaSW_SX_EUlSW_E_NS1_11comp_targetILNS1_3genE10ELNS1_11target_archE1200ELNS1_3gpuE4ELNS1_3repE0EEENS1_30default_config_static_selectorELNS0_4arch9wavefront6targetE0EEEvT1_
; %bb.0:
	.section	.rodata,"a",@progbits
	.p2align	6, 0x0
	.amdhsa_kernel _ZN7rocprim17ROCPRIM_400000_NS6detail17trampoline_kernelINS0_14default_configENS1_27scan_by_key_config_selectorIiyEEZZNS1_16scan_by_key_implILNS1_25lookback_scan_determinismE0ELb0ES3_N6thrust23THRUST_200600_302600_NS6detail15normal_iteratorINS9_10device_ptrIiEEEENSB_INSC_IyEEEESG_yNS9_4plusIvEENS9_8equal_toIvEEyEE10hipError_tPvRmT2_T3_T4_T5_mT6_T7_P12ihipStream_tbENKUlT_T0_E_clISt17integral_constantIbLb0EES11_EEDaSW_SX_EUlSW_E_NS1_11comp_targetILNS1_3genE10ELNS1_11target_archE1200ELNS1_3gpuE4ELNS1_3repE0EEENS1_30default_config_static_selectorELNS0_4arch9wavefront6targetE0EEEvT1_
		.amdhsa_group_segment_fixed_size 0
		.amdhsa_private_segment_fixed_size 0
		.amdhsa_kernarg_size 136
		.amdhsa_user_sgpr_count 2
		.amdhsa_user_sgpr_dispatch_ptr 0
		.amdhsa_user_sgpr_queue_ptr 0
		.amdhsa_user_sgpr_kernarg_segment_ptr 1
		.amdhsa_user_sgpr_dispatch_id 0
		.amdhsa_user_sgpr_kernarg_preload_length 0
		.amdhsa_user_sgpr_kernarg_preload_offset 0
		.amdhsa_user_sgpr_private_segment_size 0
		.amdhsa_wavefront_size32 1
		.amdhsa_uses_dynamic_stack 0
		.amdhsa_enable_private_segment 0
		.amdhsa_system_sgpr_workgroup_id_x 1
		.amdhsa_system_sgpr_workgroup_id_y 0
		.amdhsa_system_sgpr_workgroup_id_z 0
		.amdhsa_system_sgpr_workgroup_info 0
		.amdhsa_system_vgpr_workitem_id 0
		.amdhsa_next_free_vgpr 1
		.amdhsa_next_free_sgpr 1
		.amdhsa_named_barrier_count 0
		.amdhsa_reserve_vcc 0
		.amdhsa_float_round_mode_32 0
		.amdhsa_float_round_mode_16_64 0
		.amdhsa_float_denorm_mode_32 3
		.amdhsa_float_denorm_mode_16_64 3
		.amdhsa_fp16_overflow 0
		.amdhsa_memory_ordered 1
		.amdhsa_forward_progress 1
		.amdhsa_inst_pref_size 0
		.amdhsa_round_robin_scheduling 0
		.amdhsa_exception_fp_ieee_invalid_op 0
		.amdhsa_exception_fp_denorm_src 0
		.amdhsa_exception_fp_ieee_div_zero 0
		.amdhsa_exception_fp_ieee_overflow 0
		.amdhsa_exception_fp_ieee_underflow 0
		.amdhsa_exception_fp_ieee_inexact 0
		.amdhsa_exception_int_div_zero 0
	.end_amdhsa_kernel
	.section	.text._ZN7rocprim17ROCPRIM_400000_NS6detail17trampoline_kernelINS0_14default_configENS1_27scan_by_key_config_selectorIiyEEZZNS1_16scan_by_key_implILNS1_25lookback_scan_determinismE0ELb0ES3_N6thrust23THRUST_200600_302600_NS6detail15normal_iteratorINS9_10device_ptrIiEEEENSB_INSC_IyEEEESG_yNS9_4plusIvEENS9_8equal_toIvEEyEE10hipError_tPvRmT2_T3_T4_T5_mT6_T7_P12ihipStream_tbENKUlT_T0_E_clISt17integral_constantIbLb0EES11_EEDaSW_SX_EUlSW_E_NS1_11comp_targetILNS1_3genE10ELNS1_11target_archE1200ELNS1_3gpuE4ELNS1_3repE0EEENS1_30default_config_static_selectorELNS0_4arch9wavefront6targetE0EEEvT1_,"axG",@progbits,_ZN7rocprim17ROCPRIM_400000_NS6detail17trampoline_kernelINS0_14default_configENS1_27scan_by_key_config_selectorIiyEEZZNS1_16scan_by_key_implILNS1_25lookback_scan_determinismE0ELb0ES3_N6thrust23THRUST_200600_302600_NS6detail15normal_iteratorINS9_10device_ptrIiEEEENSB_INSC_IyEEEESG_yNS9_4plusIvEENS9_8equal_toIvEEyEE10hipError_tPvRmT2_T3_T4_T5_mT6_T7_P12ihipStream_tbENKUlT_T0_E_clISt17integral_constantIbLb0EES11_EEDaSW_SX_EUlSW_E_NS1_11comp_targetILNS1_3genE10ELNS1_11target_archE1200ELNS1_3gpuE4ELNS1_3repE0EEENS1_30default_config_static_selectorELNS0_4arch9wavefront6targetE0EEEvT1_,comdat
.Lfunc_end1182:
	.size	_ZN7rocprim17ROCPRIM_400000_NS6detail17trampoline_kernelINS0_14default_configENS1_27scan_by_key_config_selectorIiyEEZZNS1_16scan_by_key_implILNS1_25lookback_scan_determinismE0ELb0ES3_N6thrust23THRUST_200600_302600_NS6detail15normal_iteratorINS9_10device_ptrIiEEEENSB_INSC_IyEEEESG_yNS9_4plusIvEENS9_8equal_toIvEEyEE10hipError_tPvRmT2_T3_T4_T5_mT6_T7_P12ihipStream_tbENKUlT_T0_E_clISt17integral_constantIbLb0EES11_EEDaSW_SX_EUlSW_E_NS1_11comp_targetILNS1_3genE10ELNS1_11target_archE1200ELNS1_3gpuE4ELNS1_3repE0EEENS1_30default_config_static_selectorELNS0_4arch9wavefront6targetE0EEEvT1_, .Lfunc_end1182-_ZN7rocprim17ROCPRIM_400000_NS6detail17trampoline_kernelINS0_14default_configENS1_27scan_by_key_config_selectorIiyEEZZNS1_16scan_by_key_implILNS1_25lookback_scan_determinismE0ELb0ES3_N6thrust23THRUST_200600_302600_NS6detail15normal_iteratorINS9_10device_ptrIiEEEENSB_INSC_IyEEEESG_yNS9_4plusIvEENS9_8equal_toIvEEyEE10hipError_tPvRmT2_T3_T4_T5_mT6_T7_P12ihipStream_tbENKUlT_T0_E_clISt17integral_constantIbLb0EES11_EEDaSW_SX_EUlSW_E_NS1_11comp_targetILNS1_3genE10ELNS1_11target_archE1200ELNS1_3gpuE4ELNS1_3repE0EEENS1_30default_config_static_selectorELNS0_4arch9wavefront6targetE0EEEvT1_
                                        ; -- End function
	.set _ZN7rocprim17ROCPRIM_400000_NS6detail17trampoline_kernelINS0_14default_configENS1_27scan_by_key_config_selectorIiyEEZZNS1_16scan_by_key_implILNS1_25lookback_scan_determinismE0ELb0ES3_N6thrust23THRUST_200600_302600_NS6detail15normal_iteratorINS9_10device_ptrIiEEEENSB_INSC_IyEEEESG_yNS9_4plusIvEENS9_8equal_toIvEEyEE10hipError_tPvRmT2_T3_T4_T5_mT6_T7_P12ihipStream_tbENKUlT_T0_E_clISt17integral_constantIbLb0EES11_EEDaSW_SX_EUlSW_E_NS1_11comp_targetILNS1_3genE10ELNS1_11target_archE1200ELNS1_3gpuE4ELNS1_3repE0EEENS1_30default_config_static_selectorELNS0_4arch9wavefront6targetE0EEEvT1_.num_vgpr, 0
	.set _ZN7rocprim17ROCPRIM_400000_NS6detail17trampoline_kernelINS0_14default_configENS1_27scan_by_key_config_selectorIiyEEZZNS1_16scan_by_key_implILNS1_25lookback_scan_determinismE0ELb0ES3_N6thrust23THRUST_200600_302600_NS6detail15normal_iteratorINS9_10device_ptrIiEEEENSB_INSC_IyEEEESG_yNS9_4plusIvEENS9_8equal_toIvEEyEE10hipError_tPvRmT2_T3_T4_T5_mT6_T7_P12ihipStream_tbENKUlT_T0_E_clISt17integral_constantIbLb0EES11_EEDaSW_SX_EUlSW_E_NS1_11comp_targetILNS1_3genE10ELNS1_11target_archE1200ELNS1_3gpuE4ELNS1_3repE0EEENS1_30default_config_static_selectorELNS0_4arch9wavefront6targetE0EEEvT1_.num_agpr, 0
	.set _ZN7rocprim17ROCPRIM_400000_NS6detail17trampoline_kernelINS0_14default_configENS1_27scan_by_key_config_selectorIiyEEZZNS1_16scan_by_key_implILNS1_25lookback_scan_determinismE0ELb0ES3_N6thrust23THRUST_200600_302600_NS6detail15normal_iteratorINS9_10device_ptrIiEEEENSB_INSC_IyEEEESG_yNS9_4plusIvEENS9_8equal_toIvEEyEE10hipError_tPvRmT2_T3_T4_T5_mT6_T7_P12ihipStream_tbENKUlT_T0_E_clISt17integral_constantIbLb0EES11_EEDaSW_SX_EUlSW_E_NS1_11comp_targetILNS1_3genE10ELNS1_11target_archE1200ELNS1_3gpuE4ELNS1_3repE0EEENS1_30default_config_static_selectorELNS0_4arch9wavefront6targetE0EEEvT1_.numbered_sgpr, 0
	.set _ZN7rocprim17ROCPRIM_400000_NS6detail17trampoline_kernelINS0_14default_configENS1_27scan_by_key_config_selectorIiyEEZZNS1_16scan_by_key_implILNS1_25lookback_scan_determinismE0ELb0ES3_N6thrust23THRUST_200600_302600_NS6detail15normal_iteratorINS9_10device_ptrIiEEEENSB_INSC_IyEEEESG_yNS9_4plusIvEENS9_8equal_toIvEEyEE10hipError_tPvRmT2_T3_T4_T5_mT6_T7_P12ihipStream_tbENKUlT_T0_E_clISt17integral_constantIbLb0EES11_EEDaSW_SX_EUlSW_E_NS1_11comp_targetILNS1_3genE10ELNS1_11target_archE1200ELNS1_3gpuE4ELNS1_3repE0EEENS1_30default_config_static_selectorELNS0_4arch9wavefront6targetE0EEEvT1_.num_named_barrier, 0
	.set _ZN7rocprim17ROCPRIM_400000_NS6detail17trampoline_kernelINS0_14default_configENS1_27scan_by_key_config_selectorIiyEEZZNS1_16scan_by_key_implILNS1_25lookback_scan_determinismE0ELb0ES3_N6thrust23THRUST_200600_302600_NS6detail15normal_iteratorINS9_10device_ptrIiEEEENSB_INSC_IyEEEESG_yNS9_4plusIvEENS9_8equal_toIvEEyEE10hipError_tPvRmT2_T3_T4_T5_mT6_T7_P12ihipStream_tbENKUlT_T0_E_clISt17integral_constantIbLb0EES11_EEDaSW_SX_EUlSW_E_NS1_11comp_targetILNS1_3genE10ELNS1_11target_archE1200ELNS1_3gpuE4ELNS1_3repE0EEENS1_30default_config_static_selectorELNS0_4arch9wavefront6targetE0EEEvT1_.private_seg_size, 0
	.set _ZN7rocprim17ROCPRIM_400000_NS6detail17trampoline_kernelINS0_14default_configENS1_27scan_by_key_config_selectorIiyEEZZNS1_16scan_by_key_implILNS1_25lookback_scan_determinismE0ELb0ES3_N6thrust23THRUST_200600_302600_NS6detail15normal_iteratorINS9_10device_ptrIiEEEENSB_INSC_IyEEEESG_yNS9_4plusIvEENS9_8equal_toIvEEyEE10hipError_tPvRmT2_T3_T4_T5_mT6_T7_P12ihipStream_tbENKUlT_T0_E_clISt17integral_constantIbLb0EES11_EEDaSW_SX_EUlSW_E_NS1_11comp_targetILNS1_3genE10ELNS1_11target_archE1200ELNS1_3gpuE4ELNS1_3repE0EEENS1_30default_config_static_selectorELNS0_4arch9wavefront6targetE0EEEvT1_.uses_vcc, 0
	.set _ZN7rocprim17ROCPRIM_400000_NS6detail17trampoline_kernelINS0_14default_configENS1_27scan_by_key_config_selectorIiyEEZZNS1_16scan_by_key_implILNS1_25lookback_scan_determinismE0ELb0ES3_N6thrust23THRUST_200600_302600_NS6detail15normal_iteratorINS9_10device_ptrIiEEEENSB_INSC_IyEEEESG_yNS9_4plusIvEENS9_8equal_toIvEEyEE10hipError_tPvRmT2_T3_T4_T5_mT6_T7_P12ihipStream_tbENKUlT_T0_E_clISt17integral_constantIbLb0EES11_EEDaSW_SX_EUlSW_E_NS1_11comp_targetILNS1_3genE10ELNS1_11target_archE1200ELNS1_3gpuE4ELNS1_3repE0EEENS1_30default_config_static_selectorELNS0_4arch9wavefront6targetE0EEEvT1_.uses_flat_scratch, 0
	.set _ZN7rocprim17ROCPRIM_400000_NS6detail17trampoline_kernelINS0_14default_configENS1_27scan_by_key_config_selectorIiyEEZZNS1_16scan_by_key_implILNS1_25lookback_scan_determinismE0ELb0ES3_N6thrust23THRUST_200600_302600_NS6detail15normal_iteratorINS9_10device_ptrIiEEEENSB_INSC_IyEEEESG_yNS9_4plusIvEENS9_8equal_toIvEEyEE10hipError_tPvRmT2_T3_T4_T5_mT6_T7_P12ihipStream_tbENKUlT_T0_E_clISt17integral_constantIbLb0EES11_EEDaSW_SX_EUlSW_E_NS1_11comp_targetILNS1_3genE10ELNS1_11target_archE1200ELNS1_3gpuE4ELNS1_3repE0EEENS1_30default_config_static_selectorELNS0_4arch9wavefront6targetE0EEEvT1_.has_dyn_sized_stack, 0
	.set _ZN7rocprim17ROCPRIM_400000_NS6detail17trampoline_kernelINS0_14default_configENS1_27scan_by_key_config_selectorIiyEEZZNS1_16scan_by_key_implILNS1_25lookback_scan_determinismE0ELb0ES3_N6thrust23THRUST_200600_302600_NS6detail15normal_iteratorINS9_10device_ptrIiEEEENSB_INSC_IyEEEESG_yNS9_4plusIvEENS9_8equal_toIvEEyEE10hipError_tPvRmT2_T3_T4_T5_mT6_T7_P12ihipStream_tbENKUlT_T0_E_clISt17integral_constantIbLb0EES11_EEDaSW_SX_EUlSW_E_NS1_11comp_targetILNS1_3genE10ELNS1_11target_archE1200ELNS1_3gpuE4ELNS1_3repE0EEENS1_30default_config_static_selectorELNS0_4arch9wavefront6targetE0EEEvT1_.has_recursion, 0
	.set _ZN7rocprim17ROCPRIM_400000_NS6detail17trampoline_kernelINS0_14default_configENS1_27scan_by_key_config_selectorIiyEEZZNS1_16scan_by_key_implILNS1_25lookback_scan_determinismE0ELb0ES3_N6thrust23THRUST_200600_302600_NS6detail15normal_iteratorINS9_10device_ptrIiEEEENSB_INSC_IyEEEESG_yNS9_4plusIvEENS9_8equal_toIvEEyEE10hipError_tPvRmT2_T3_T4_T5_mT6_T7_P12ihipStream_tbENKUlT_T0_E_clISt17integral_constantIbLb0EES11_EEDaSW_SX_EUlSW_E_NS1_11comp_targetILNS1_3genE10ELNS1_11target_archE1200ELNS1_3gpuE4ELNS1_3repE0EEENS1_30default_config_static_selectorELNS0_4arch9wavefront6targetE0EEEvT1_.has_indirect_call, 0
	.section	.AMDGPU.csdata,"",@progbits
; Kernel info:
; codeLenInByte = 0
; TotalNumSgprs: 0
; NumVgprs: 0
; ScratchSize: 0
; MemoryBound: 0
; FloatMode: 240
; IeeeMode: 1
; LDSByteSize: 0 bytes/workgroup (compile time only)
; SGPRBlocks: 0
; VGPRBlocks: 0
; NumSGPRsForWavesPerEU: 1
; NumVGPRsForWavesPerEU: 1
; NamedBarCnt: 0
; Occupancy: 16
; WaveLimiterHint : 0
; COMPUTE_PGM_RSRC2:SCRATCH_EN: 0
; COMPUTE_PGM_RSRC2:USER_SGPR: 2
; COMPUTE_PGM_RSRC2:TRAP_HANDLER: 0
; COMPUTE_PGM_RSRC2:TGID_X_EN: 1
; COMPUTE_PGM_RSRC2:TGID_Y_EN: 0
; COMPUTE_PGM_RSRC2:TGID_Z_EN: 0
; COMPUTE_PGM_RSRC2:TIDIG_COMP_CNT: 0
	.section	.text._ZN7rocprim17ROCPRIM_400000_NS6detail17trampoline_kernelINS0_14default_configENS1_27scan_by_key_config_selectorIiyEEZZNS1_16scan_by_key_implILNS1_25lookback_scan_determinismE0ELb0ES3_N6thrust23THRUST_200600_302600_NS6detail15normal_iteratorINS9_10device_ptrIiEEEENSB_INSC_IyEEEESG_yNS9_4plusIvEENS9_8equal_toIvEEyEE10hipError_tPvRmT2_T3_T4_T5_mT6_T7_P12ihipStream_tbENKUlT_T0_E_clISt17integral_constantIbLb0EES11_EEDaSW_SX_EUlSW_E_NS1_11comp_targetILNS1_3genE9ELNS1_11target_archE1100ELNS1_3gpuE3ELNS1_3repE0EEENS1_30default_config_static_selectorELNS0_4arch9wavefront6targetE0EEEvT1_,"axG",@progbits,_ZN7rocprim17ROCPRIM_400000_NS6detail17trampoline_kernelINS0_14default_configENS1_27scan_by_key_config_selectorIiyEEZZNS1_16scan_by_key_implILNS1_25lookback_scan_determinismE0ELb0ES3_N6thrust23THRUST_200600_302600_NS6detail15normal_iteratorINS9_10device_ptrIiEEEENSB_INSC_IyEEEESG_yNS9_4plusIvEENS9_8equal_toIvEEyEE10hipError_tPvRmT2_T3_T4_T5_mT6_T7_P12ihipStream_tbENKUlT_T0_E_clISt17integral_constantIbLb0EES11_EEDaSW_SX_EUlSW_E_NS1_11comp_targetILNS1_3genE9ELNS1_11target_archE1100ELNS1_3gpuE3ELNS1_3repE0EEENS1_30default_config_static_selectorELNS0_4arch9wavefront6targetE0EEEvT1_,comdat
	.protected	_ZN7rocprim17ROCPRIM_400000_NS6detail17trampoline_kernelINS0_14default_configENS1_27scan_by_key_config_selectorIiyEEZZNS1_16scan_by_key_implILNS1_25lookback_scan_determinismE0ELb0ES3_N6thrust23THRUST_200600_302600_NS6detail15normal_iteratorINS9_10device_ptrIiEEEENSB_INSC_IyEEEESG_yNS9_4plusIvEENS9_8equal_toIvEEyEE10hipError_tPvRmT2_T3_T4_T5_mT6_T7_P12ihipStream_tbENKUlT_T0_E_clISt17integral_constantIbLb0EES11_EEDaSW_SX_EUlSW_E_NS1_11comp_targetILNS1_3genE9ELNS1_11target_archE1100ELNS1_3gpuE3ELNS1_3repE0EEENS1_30default_config_static_selectorELNS0_4arch9wavefront6targetE0EEEvT1_ ; -- Begin function _ZN7rocprim17ROCPRIM_400000_NS6detail17trampoline_kernelINS0_14default_configENS1_27scan_by_key_config_selectorIiyEEZZNS1_16scan_by_key_implILNS1_25lookback_scan_determinismE0ELb0ES3_N6thrust23THRUST_200600_302600_NS6detail15normal_iteratorINS9_10device_ptrIiEEEENSB_INSC_IyEEEESG_yNS9_4plusIvEENS9_8equal_toIvEEyEE10hipError_tPvRmT2_T3_T4_T5_mT6_T7_P12ihipStream_tbENKUlT_T0_E_clISt17integral_constantIbLb0EES11_EEDaSW_SX_EUlSW_E_NS1_11comp_targetILNS1_3genE9ELNS1_11target_archE1100ELNS1_3gpuE3ELNS1_3repE0EEENS1_30default_config_static_selectorELNS0_4arch9wavefront6targetE0EEEvT1_
	.globl	_ZN7rocprim17ROCPRIM_400000_NS6detail17trampoline_kernelINS0_14default_configENS1_27scan_by_key_config_selectorIiyEEZZNS1_16scan_by_key_implILNS1_25lookback_scan_determinismE0ELb0ES3_N6thrust23THRUST_200600_302600_NS6detail15normal_iteratorINS9_10device_ptrIiEEEENSB_INSC_IyEEEESG_yNS9_4plusIvEENS9_8equal_toIvEEyEE10hipError_tPvRmT2_T3_T4_T5_mT6_T7_P12ihipStream_tbENKUlT_T0_E_clISt17integral_constantIbLb0EES11_EEDaSW_SX_EUlSW_E_NS1_11comp_targetILNS1_3genE9ELNS1_11target_archE1100ELNS1_3gpuE3ELNS1_3repE0EEENS1_30default_config_static_selectorELNS0_4arch9wavefront6targetE0EEEvT1_
	.p2align	8
	.type	_ZN7rocprim17ROCPRIM_400000_NS6detail17trampoline_kernelINS0_14default_configENS1_27scan_by_key_config_selectorIiyEEZZNS1_16scan_by_key_implILNS1_25lookback_scan_determinismE0ELb0ES3_N6thrust23THRUST_200600_302600_NS6detail15normal_iteratorINS9_10device_ptrIiEEEENSB_INSC_IyEEEESG_yNS9_4plusIvEENS9_8equal_toIvEEyEE10hipError_tPvRmT2_T3_T4_T5_mT6_T7_P12ihipStream_tbENKUlT_T0_E_clISt17integral_constantIbLb0EES11_EEDaSW_SX_EUlSW_E_NS1_11comp_targetILNS1_3genE9ELNS1_11target_archE1100ELNS1_3gpuE3ELNS1_3repE0EEENS1_30default_config_static_selectorELNS0_4arch9wavefront6targetE0EEEvT1_,@function
_ZN7rocprim17ROCPRIM_400000_NS6detail17trampoline_kernelINS0_14default_configENS1_27scan_by_key_config_selectorIiyEEZZNS1_16scan_by_key_implILNS1_25lookback_scan_determinismE0ELb0ES3_N6thrust23THRUST_200600_302600_NS6detail15normal_iteratorINS9_10device_ptrIiEEEENSB_INSC_IyEEEESG_yNS9_4plusIvEENS9_8equal_toIvEEyEE10hipError_tPvRmT2_T3_T4_T5_mT6_T7_P12ihipStream_tbENKUlT_T0_E_clISt17integral_constantIbLb0EES11_EEDaSW_SX_EUlSW_E_NS1_11comp_targetILNS1_3genE9ELNS1_11target_archE1100ELNS1_3gpuE3ELNS1_3repE0EEENS1_30default_config_static_selectorELNS0_4arch9wavefront6targetE0EEEvT1_: ; @_ZN7rocprim17ROCPRIM_400000_NS6detail17trampoline_kernelINS0_14default_configENS1_27scan_by_key_config_selectorIiyEEZZNS1_16scan_by_key_implILNS1_25lookback_scan_determinismE0ELb0ES3_N6thrust23THRUST_200600_302600_NS6detail15normal_iteratorINS9_10device_ptrIiEEEENSB_INSC_IyEEEESG_yNS9_4plusIvEENS9_8equal_toIvEEyEE10hipError_tPvRmT2_T3_T4_T5_mT6_T7_P12ihipStream_tbENKUlT_T0_E_clISt17integral_constantIbLb0EES11_EEDaSW_SX_EUlSW_E_NS1_11comp_targetILNS1_3genE9ELNS1_11target_archE1100ELNS1_3gpuE3ELNS1_3repE0EEENS1_30default_config_static_selectorELNS0_4arch9wavefront6targetE0EEEvT1_
; %bb.0:
	.section	.rodata,"a",@progbits
	.p2align	6, 0x0
	.amdhsa_kernel _ZN7rocprim17ROCPRIM_400000_NS6detail17trampoline_kernelINS0_14default_configENS1_27scan_by_key_config_selectorIiyEEZZNS1_16scan_by_key_implILNS1_25lookback_scan_determinismE0ELb0ES3_N6thrust23THRUST_200600_302600_NS6detail15normal_iteratorINS9_10device_ptrIiEEEENSB_INSC_IyEEEESG_yNS9_4plusIvEENS9_8equal_toIvEEyEE10hipError_tPvRmT2_T3_T4_T5_mT6_T7_P12ihipStream_tbENKUlT_T0_E_clISt17integral_constantIbLb0EES11_EEDaSW_SX_EUlSW_E_NS1_11comp_targetILNS1_3genE9ELNS1_11target_archE1100ELNS1_3gpuE3ELNS1_3repE0EEENS1_30default_config_static_selectorELNS0_4arch9wavefront6targetE0EEEvT1_
		.amdhsa_group_segment_fixed_size 0
		.amdhsa_private_segment_fixed_size 0
		.amdhsa_kernarg_size 136
		.amdhsa_user_sgpr_count 2
		.amdhsa_user_sgpr_dispatch_ptr 0
		.amdhsa_user_sgpr_queue_ptr 0
		.amdhsa_user_sgpr_kernarg_segment_ptr 1
		.amdhsa_user_sgpr_dispatch_id 0
		.amdhsa_user_sgpr_kernarg_preload_length 0
		.amdhsa_user_sgpr_kernarg_preload_offset 0
		.amdhsa_user_sgpr_private_segment_size 0
		.amdhsa_wavefront_size32 1
		.amdhsa_uses_dynamic_stack 0
		.amdhsa_enable_private_segment 0
		.amdhsa_system_sgpr_workgroup_id_x 1
		.amdhsa_system_sgpr_workgroup_id_y 0
		.amdhsa_system_sgpr_workgroup_id_z 0
		.amdhsa_system_sgpr_workgroup_info 0
		.amdhsa_system_vgpr_workitem_id 0
		.amdhsa_next_free_vgpr 1
		.amdhsa_next_free_sgpr 1
		.amdhsa_named_barrier_count 0
		.amdhsa_reserve_vcc 0
		.amdhsa_float_round_mode_32 0
		.amdhsa_float_round_mode_16_64 0
		.amdhsa_float_denorm_mode_32 3
		.amdhsa_float_denorm_mode_16_64 3
		.amdhsa_fp16_overflow 0
		.amdhsa_memory_ordered 1
		.amdhsa_forward_progress 1
		.amdhsa_inst_pref_size 0
		.amdhsa_round_robin_scheduling 0
		.amdhsa_exception_fp_ieee_invalid_op 0
		.amdhsa_exception_fp_denorm_src 0
		.amdhsa_exception_fp_ieee_div_zero 0
		.amdhsa_exception_fp_ieee_overflow 0
		.amdhsa_exception_fp_ieee_underflow 0
		.amdhsa_exception_fp_ieee_inexact 0
		.amdhsa_exception_int_div_zero 0
	.end_amdhsa_kernel
	.section	.text._ZN7rocprim17ROCPRIM_400000_NS6detail17trampoline_kernelINS0_14default_configENS1_27scan_by_key_config_selectorIiyEEZZNS1_16scan_by_key_implILNS1_25lookback_scan_determinismE0ELb0ES3_N6thrust23THRUST_200600_302600_NS6detail15normal_iteratorINS9_10device_ptrIiEEEENSB_INSC_IyEEEESG_yNS9_4plusIvEENS9_8equal_toIvEEyEE10hipError_tPvRmT2_T3_T4_T5_mT6_T7_P12ihipStream_tbENKUlT_T0_E_clISt17integral_constantIbLb0EES11_EEDaSW_SX_EUlSW_E_NS1_11comp_targetILNS1_3genE9ELNS1_11target_archE1100ELNS1_3gpuE3ELNS1_3repE0EEENS1_30default_config_static_selectorELNS0_4arch9wavefront6targetE0EEEvT1_,"axG",@progbits,_ZN7rocprim17ROCPRIM_400000_NS6detail17trampoline_kernelINS0_14default_configENS1_27scan_by_key_config_selectorIiyEEZZNS1_16scan_by_key_implILNS1_25lookback_scan_determinismE0ELb0ES3_N6thrust23THRUST_200600_302600_NS6detail15normal_iteratorINS9_10device_ptrIiEEEENSB_INSC_IyEEEESG_yNS9_4plusIvEENS9_8equal_toIvEEyEE10hipError_tPvRmT2_T3_T4_T5_mT6_T7_P12ihipStream_tbENKUlT_T0_E_clISt17integral_constantIbLb0EES11_EEDaSW_SX_EUlSW_E_NS1_11comp_targetILNS1_3genE9ELNS1_11target_archE1100ELNS1_3gpuE3ELNS1_3repE0EEENS1_30default_config_static_selectorELNS0_4arch9wavefront6targetE0EEEvT1_,comdat
.Lfunc_end1183:
	.size	_ZN7rocprim17ROCPRIM_400000_NS6detail17trampoline_kernelINS0_14default_configENS1_27scan_by_key_config_selectorIiyEEZZNS1_16scan_by_key_implILNS1_25lookback_scan_determinismE0ELb0ES3_N6thrust23THRUST_200600_302600_NS6detail15normal_iteratorINS9_10device_ptrIiEEEENSB_INSC_IyEEEESG_yNS9_4plusIvEENS9_8equal_toIvEEyEE10hipError_tPvRmT2_T3_T4_T5_mT6_T7_P12ihipStream_tbENKUlT_T0_E_clISt17integral_constantIbLb0EES11_EEDaSW_SX_EUlSW_E_NS1_11comp_targetILNS1_3genE9ELNS1_11target_archE1100ELNS1_3gpuE3ELNS1_3repE0EEENS1_30default_config_static_selectorELNS0_4arch9wavefront6targetE0EEEvT1_, .Lfunc_end1183-_ZN7rocprim17ROCPRIM_400000_NS6detail17trampoline_kernelINS0_14default_configENS1_27scan_by_key_config_selectorIiyEEZZNS1_16scan_by_key_implILNS1_25lookback_scan_determinismE0ELb0ES3_N6thrust23THRUST_200600_302600_NS6detail15normal_iteratorINS9_10device_ptrIiEEEENSB_INSC_IyEEEESG_yNS9_4plusIvEENS9_8equal_toIvEEyEE10hipError_tPvRmT2_T3_T4_T5_mT6_T7_P12ihipStream_tbENKUlT_T0_E_clISt17integral_constantIbLb0EES11_EEDaSW_SX_EUlSW_E_NS1_11comp_targetILNS1_3genE9ELNS1_11target_archE1100ELNS1_3gpuE3ELNS1_3repE0EEENS1_30default_config_static_selectorELNS0_4arch9wavefront6targetE0EEEvT1_
                                        ; -- End function
	.set _ZN7rocprim17ROCPRIM_400000_NS6detail17trampoline_kernelINS0_14default_configENS1_27scan_by_key_config_selectorIiyEEZZNS1_16scan_by_key_implILNS1_25lookback_scan_determinismE0ELb0ES3_N6thrust23THRUST_200600_302600_NS6detail15normal_iteratorINS9_10device_ptrIiEEEENSB_INSC_IyEEEESG_yNS9_4plusIvEENS9_8equal_toIvEEyEE10hipError_tPvRmT2_T3_T4_T5_mT6_T7_P12ihipStream_tbENKUlT_T0_E_clISt17integral_constantIbLb0EES11_EEDaSW_SX_EUlSW_E_NS1_11comp_targetILNS1_3genE9ELNS1_11target_archE1100ELNS1_3gpuE3ELNS1_3repE0EEENS1_30default_config_static_selectorELNS0_4arch9wavefront6targetE0EEEvT1_.num_vgpr, 0
	.set _ZN7rocprim17ROCPRIM_400000_NS6detail17trampoline_kernelINS0_14default_configENS1_27scan_by_key_config_selectorIiyEEZZNS1_16scan_by_key_implILNS1_25lookback_scan_determinismE0ELb0ES3_N6thrust23THRUST_200600_302600_NS6detail15normal_iteratorINS9_10device_ptrIiEEEENSB_INSC_IyEEEESG_yNS9_4plusIvEENS9_8equal_toIvEEyEE10hipError_tPvRmT2_T3_T4_T5_mT6_T7_P12ihipStream_tbENKUlT_T0_E_clISt17integral_constantIbLb0EES11_EEDaSW_SX_EUlSW_E_NS1_11comp_targetILNS1_3genE9ELNS1_11target_archE1100ELNS1_3gpuE3ELNS1_3repE0EEENS1_30default_config_static_selectorELNS0_4arch9wavefront6targetE0EEEvT1_.num_agpr, 0
	.set _ZN7rocprim17ROCPRIM_400000_NS6detail17trampoline_kernelINS0_14default_configENS1_27scan_by_key_config_selectorIiyEEZZNS1_16scan_by_key_implILNS1_25lookback_scan_determinismE0ELb0ES3_N6thrust23THRUST_200600_302600_NS6detail15normal_iteratorINS9_10device_ptrIiEEEENSB_INSC_IyEEEESG_yNS9_4plusIvEENS9_8equal_toIvEEyEE10hipError_tPvRmT2_T3_T4_T5_mT6_T7_P12ihipStream_tbENKUlT_T0_E_clISt17integral_constantIbLb0EES11_EEDaSW_SX_EUlSW_E_NS1_11comp_targetILNS1_3genE9ELNS1_11target_archE1100ELNS1_3gpuE3ELNS1_3repE0EEENS1_30default_config_static_selectorELNS0_4arch9wavefront6targetE0EEEvT1_.numbered_sgpr, 0
	.set _ZN7rocprim17ROCPRIM_400000_NS6detail17trampoline_kernelINS0_14default_configENS1_27scan_by_key_config_selectorIiyEEZZNS1_16scan_by_key_implILNS1_25lookback_scan_determinismE0ELb0ES3_N6thrust23THRUST_200600_302600_NS6detail15normal_iteratorINS9_10device_ptrIiEEEENSB_INSC_IyEEEESG_yNS9_4plusIvEENS9_8equal_toIvEEyEE10hipError_tPvRmT2_T3_T4_T5_mT6_T7_P12ihipStream_tbENKUlT_T0_E_clISt17integral_constantIbLb0EES11_EEDaSW_SX_EUlSW_E_NS1_11comp_targetILNS1_3genE9ELNS1_11target_archE1100ELNS1_3gpuE3ELNS1_3repE0EEENS1_30default_config_static_selectorELNS0_4arch9wavefront6targetE0EEEvT1_.num_named_barrier, 0
	.set _ZN7rocprim17ROCPRIM_400000_NS6detail17trampoline_kernelINS0_14default_configENS1_27scan_by_key_config_selectorIiyEEZZNS1_16scan_by_key_implILNS1_25lookback_scan_determinismE0ELb0ES3_N6thrust23THRUST_200600_302600_NS6detail15normal_iteratorINS9_10device_ptrIiEEEENSB_INSC_IyEEEESG_yNS9_4plusIvEENS9_8equal_toIvEEyEE10hipError_tPvRmT2_T3_T4_T5_mT6_T7_P12ihipStream_tbENKUlT_T0_E_clISt17integral_constantIbLb0EES11_EEDaSW_SX_EUlSW_E_NS1_11comp_targetILNS1_3genE9ELNS1_11target_archE1100ELNS1_3gpuE3ELNS1_3repE0EEENS1_30default_config_static_selectorELNS0_4arch9wavefront6targetE0EEEvT1_.private_seg_size, 0
	.set _ZN7rocprim17ROCPRIM_400000_NS6detail17trampoline_kernelINS0_14default_configENS1_27scan_by_key_config_selectorIiyEEZZNS1_16scan_by_key_implILNS1_25lookback_scan_determinismE0ELb0ES3_N6thrust23THRUST_200600_302600_NS6detail15normal_iteratorINS9_10device_ptrIiEEEENSB_INSC_IyEEEESG_yNS9_4plusIvEENS9_8equal_toIvEEyEE10hipError_tPvRmT2_T3_T4_T5_mT6_T7_P12ihipStream_tbENKUlT_T0_E_clISt17integral_constantIbLb0EES11_EEDaSW_SX_EUlSW_E_NS1_11comp_targetILNS1_3genE9ELNS1_11target_archE1100ELNS1_3gpuE3ELNS1_3repE0EEENS1_30default_config_static_selectorELNS0_4arch9wavefront6targetE0EEEvT1_.uses_vcc, 0
	.set _ZN7rocprim17ROCPRIM_400000_NS6detail17trampoline_kernelINS0_14default_configENS1_27scan_by_key_config_selectorIiyEEZZNS1_16scan_by_key_implILNS1_25lookback_scan_determinismE0ELb0ES3_N6thrust23THRUST_200600_302600_NS6detail15normal_iteratorINS9_10device_ptrIiEEEENSB_INSC_IyEEEESG_yNS9_4plusIvEENS9_8equal_toIvEEyEE10hipError_tPvRmT2_T3_T4_T5_mT6_T7_P12ihipStream_tbENKUlT_T0_E_clISt17integral_constantIbLb0EES11_EEDaSW_SX_EUlSW_E_NS1_11comp_targetILNS1_3genE9ELNS1_11target_archE1100ELNS1_3gpuE3ELNS1_3repE0EEENS1_30default_config_static_selectorELNS0_4arch9wavefront6targetE0EEEvT1_.uses_flat_scratch, 0
	.set _ZN7rocprim17ROCPRIM_400000_NS6detail17trampoline_kernelINS0_14default_configENS1_27scan_by_key_config_selectorIiyEEZZNS1_16scan_by_key_implILNS1_25lookback_scan_determinismE0ELb0ES3_N6thrust23THRUST_200600_302600_NS6detail15normal_iteratorINS9_10device_ptrIiEEEENSB_INSC_IyEEEESG_yNS9_4plusIvEENS9_8equal_toIvEEyEE10hipError_tPvRmT2_T3_T4_T5_mT6_T7_P12ihipStream_tbENKUlT_T0_E_clISt17integral_constantIbLb0EES11_EEDaSW_SX_EUlSW_E_NS1_11comp_targetILNS1_3genE9ELNS1_11target_archE1100ELNS1_3gpuE3ELNS1_3repE0EEENS1_30default_config_static_selectorELNS0_4arch9wavefront6targetE0EEEvT1_.has_dyn_sized_stack, 0
	.set _ZN7rocprim17ROCPRIM_400000_NS6detail17trampoline_kernelINS0_14default_configENS1_27scan_by_key_config_selectorIiyEEZZNS1_16scan_by_key_implILNS1_25lookback_scan_determinismE0ELb0ES3_N6thrust23THRUST_200600_302600_NS6detail15normal_iteratorINS9_10device_ptrIiEEEENSB_INSC_IyEEEESG_yNS9_4plusIvEENS9_8equal_toIvEEyEE10hipError_tPvRmT2_T3_T4_T5_mT6_T7_P12ihipStream_tbENKUlT_T0_E_clISt17integral_constantIbLb0EES11_EEDaSW_SX_EUlSW_E_NS1_11comp_targetILNS1_3genE9ELNS1_11target_archE1100ELNS1_3gpuE3ELNS1_3repE0EEENS1_30default_config_static_selectorELNS0_4arch9wavefront6targetE0EEEvT1_.has_recursion, 0
	.set _ZN7rocprim17ROCPRIM_400000_NS6detail17trampoline_kernelINS0_14default_configENS1_27scan_by_key_config_selectorIiyEEZZNS1_16scan_by_key_implILNS1_25lookback_scan_determinismE0ELb0ES3_N6thrust23THRUST_200600_302600_NS6detail15normal_iteratorINS9_10device_ptrIiEEEENSB_INSC_IyEEEESG_yNS9_4plusIvEENS9_8equal_toIvEEyEE10hipError_tPvRmT2_T3_T4_T5_mT6_T7_P12ihipStream_tbENKUlT_T0_E_clISt17integral_constantIbLb0EES11_EEDaSW_SX_EUlSW_E_NS1_11comp_targetILNS1_3genE9ELNS1_11target_archE1100ELNS1_3gpuE3ELNS1_3repE0EEENS1_30default_config_static_selectorELNS0_4arch9wavefront6targetE0EEEvT1_.has_indirect_call, 0
	.section	.AMDGPU.csdata,"",@progbits
; Kernel info:
; codeLenInByte = 0
; TotalNumSgprs: 0
; NumVgprs: 0
; ScratchSize: 0
; MemoryBound: 0
; FloatMode: 240
; IeeeMode: 1
; LDSByteSize: 0 bytes/workgroup (compile time only)
; SGPRBlocks: 0
; VGPRBlocks: 0
; NumSGPRsForWavesPerEU: 1
; NumVGPRsForWavesPerEU: 1
; NamedBarCnt: 0
; Occupancy: 16
; WaveLimiterHint : 0
; COMPUTE_PGM_RSRC2:SCRATCH_EN: 0
; COMPUTE_PGM_RSRC2:USER_SGPR: 2
; COMPUTE_PGM_RSRC2:TRAP_HANDLER: 0
; COMPUTE_PGM_RSRC2:TGID_X_EN: 1
; COMPUTE_PGM_RSRC2:TGID_Y_EN: 0
; COMPUTE_PGM_RSRC2:TGID_Z_EN: 0
; COMPUTE_PGM_RSRC2:TIDIG_COMP_CNT: 0
	.section	.text._ZN7rocprim17ROCPRIM_400000_NS6detail17trampoline_kernelINS0_14default_configENS1_27scan_by_key_config_selectorIiyEEZZNS1_16scan_by_key_implILNS1_25lookback_scan_determinismE0ELb0ES3_N6thrust23THRUST_200600_302600_NS6detail15normal_iteratorINS9_10device_ptrIiEEEENSB_INSC_IyEEEESG_yNS9_4plusIvEENS9_8equal_toIvEEyEE10hipError_tPvRmT2_T3_T4_T5_mT6_T7_P12ihipStream_tbENKUlT_T0_E_clISt17integral_constantIbLb0EES11_EEDaSW_SX_EUlSW_E_NS1_11comp_targetILNS1_3genE8ELNS1_11target_archE1030ELNS1_3gpuE2ELNS1_3repE0EEENS1_30default_config_static_selectorELNS0_4arch9wavefront6targetE0EEEvT1_,"axG",@progbits,_ZN7rocprim17ROCPRIM_400000_NS6detail17trampoline_kernelINS0_14default_configENS1_27scan_by_key_config_selectorIiyEEZZNS1_16scan_by_key_implILNS1_25lookback_scan_determinismE0ELb0ES3_N6thrust23THRUST_200600_302600_NS6detail15normal_iteratorINS9_10device_ptrIiEEEENSB_INSC_IyEEEESG_yNS9_4plusIvEENS9_8equal_toIvEEyEE10hipError_tPvRmT2_T3_T4_T5_mT6_T7_P12ihipStream_tbENKUlT_T0_E_clISt17integral_constantIbLb0EES11_EEDaSW_SX_EUlSW_E_NS1_11comp_targetILNS1_3genE8ELNS1_11target_archE1030ELNS1_3gpuE2ELNS1_3repE0EEENS1_30default_config_static_selectorELNS0_4arch9wavefront6targetE0EEEvT1_,comdat
	.protected	_ZN7rocprim17ROCPRIM_400000_NS6detail17trampoline_kernelINS0_14default_configENS1_27scan_by_key_config_selectorIiyEEZZNS1_16scan_by_key_implILNS1_25lookback_scan_determinismE0ELb0ES3_N6thrust23THRUST_200600_302600_NS6detail15normal_iteratorINS9_10device_ptrIiEEEENSB_INSC_IyEEEESG_yNS9_4plusIvEENS9_8equal_toIvEEyEE10hipError_tPvRmT2_T3_T4_T5_mT6_T7_P12ihipStream_tbENKUlT_T0_E_clISt17integral_constantIbLb0EES11_EEDaSW_SX_EUlSW_E_NS1_11comp_targetILNS1_3genE8ELNS1_11target_archE1030ELNS1_3gpuE2ELNS1_3repE0EEENS1_30default_config_static_selectorELNS0_4arch9wavefront6targetE0EEEvT1_ ; -- Begin function _ZN7rocprim17ROCPRIM_400000_NS6detail17trampoline_kernelINS0_14default_configENS1_27scan_by_key_config_selectorIiyEEZZNS1_16scan_by_key_implILNS1_25lookback_scan_determinismE0ELb0ES3_N6thrust23THRUST_200600_302600_NS6detail15normal_iteratorINS9_10device_ptrIiEEEENSB_INSC_IyEEEESG_yNS9_4plusIvEENS9_8equal_toIvEEyEE10hipError_tPvRmT2_T3_T4_T5_mT6_T7_P12ihipStream_tbENKUlT_T0_E_clISt17integral_constantIbLb0EES11_EEDaSW_SX_EUlSW_E_NS1_11comp_targetILNS1_3genE8ELNS1_11target_archE1030ELNS1_3gpuE2ELNS1_3repE0EEENS1_30default_config_static_selectorELNS0_4arch9wavefront6targetE0EEEvT1_
	.globl	_ZN7rocprim17ROCPRIM_400000_NS6detail17trampoline_kernelINS0_14default_configENS1_27scan_by_key_config_selectorIiyEEZZNS1_16scan_by_key_implILNS1_25lookback_scan_determinismE0ELb0ES3_N6thrust23THRUST_200600_302600_NS6detail15normal_iteratorINS9_10device_ptrIiEEEENSB_INSC_IyEEEESG_yNS9_4plusIvEENS9_8equal_toIvEEyEE10hipError_tPvRmT2_T3_T4_T5_mT6_T7_P12ihipStream_tbENKUlT_T0_E_clISt17integral_constantIbLb0EES11_EEDaSW_SX_EUlSW_E_NS1_11comp_targetILNS1_3genE8ELNS1_11target_archE1030ELNS1_3gpuE2ELNS1_3repE0EEENS1_30default_config_static_selectorELNS0_4arch9wavefront6targetE0EEEvT1_
	.p2align	8
	.type	_ZN7rocprim17ROCPRIM_400000_NS6detail17trampoline_kernelINS0_14default_configENS1_27scan_by_key_config_selectorIiyEEZZNS1_16scan_by_key_implILNS1_25lookback_scan_determinismE0ELb0ES3_N6thrust23THRUST_200600_302600_NS6detail15normal_iteratorINS9_10device_ptrIiEEEENSB_INSC_IyEEEESG_yNS9_4plusIvEENS9_8equal_toIvEEyEE10hipError_tPvRmT2_T3_T4_T5_mT6_T7_P12ihipStream_tbENKUlT_T0_E_clISt17integral_constantIbLb0EES11_EEDaSW_SX_EUlSW_E_NS1_11comp_targetILNS1_3genE8ELNS1_11target_archE1030ELNS1_3gpuE2ELNS1_3repE0EEENS1_30default_config_static_selectorELNS0_4arch9wavefront6targetE0EEEvT1_,@function
_ZN7rocprim17ROCPRIM_400000_NS6detail17trampoline_kernelINS0_14default_configENS1_27scan_by_key_config_selectorIiyEEZZNS1_16scan_by_key_implILNS1_25lookback_scan_determinismE0ELb0ES3_N6thrust23THRUST_200600_302600_NS6detail15normal_iteratorINS9_10device_ptrIiEEEENSB_INSC_IyEEEESG_yNS9_4plusIvEENS9_8equal_toIvEEyEE10hipError_tPvRmT2_T3_T4_T5_mT6_T7_P12ihipStream_tbENKUlT_T0_E_clISt17integral_constantIbLb0EES11_EEDaSW_SX_EUlSW_E_NS1_11comp_targetILNS1_3genE8ELNS1_11target_archE1030ELNS1_3gpuE2ELNS1_3repE0EEENS1_30default_config_static_selectorELNS0_4arch9wavefront6targetE0EEEvT1_: ; @_ZN7rocprim17ROCPRIM_400000_NS6detail17trampoline_kernelINS0_14default_configENS1_27scan_by_key_config_selectorIiyEEZZNS1_16scan_by_key_implILNS1_25lookback_scan_determinismE0ELb0ES3_N6thrust23THRUST_200600_302600_NS6detail15normal_iteratorINS9_10device_ptrIiEEEENSB_INSC_IyEEEESG_yNS9_4plusIvEENS9_8equal_toIvEEyEE10hipError_tPvRmT2_T3_T4_T5_mT6_T7_P12ihipStream_tbENKUlT_T0_E_clISt17integral_constantIbLb0EES11_EEDaSW_SX_EUlSW_E_NS1_11comp_targetILNS1_3genE8ELNS1_11target_archE1030ELNS1_3gpuE2ELNS1_3repE0EEENS1_30default_config_static_selectorELNS0_4arch9wavefront6targetE0EEEvT1_
; %bb.0:
	.section	.rodata,"a",@progbits
	.p2align	6, 0x0
	.amdhsa_kernel _ZN7rocprim17ROCPRIM_400000_NS6detail17trampoline_kernelINS0_14default_configENS1_27scan_by_key_config_selectorIiyEEZZNS1_16scan_by_key_implILNS1_25lookback_scan_determinismE0ELb0ES3_N6thrust23THRUST_200600_302600_NS6detail15normal_iteratorINS9_10device_ptrIiEEEENSB_INSC_IyEEEESG_yNS9_4plusIvEENS9_8equal_toIvEEyEE10hipError_tPvRmT2_T3_T4_T5_mT6_T7_P12ihipStream_tbENKUlT_T0_E_clISt17integral_constantIbLb0EES11_EEDaSW_SX_EUlSW_E_NS1_11comp_targetILNS1_3genE8ELNS1_11target_archE1030ELNS1_3gpuE2ELNS1_3repE0EEENS1_30default_config_static_selectorELNS0_4arch9wavefront6targetE0EEEvT1_
		.amdhsa_group_segment_fixed_size 0
		.amdhsa_private_segment_fixed_size 0
		.amdhsa_kernarg_size 136
		.amdhsa_user_sgpr_count 2
		.amdhsa_user_sgpr_dispatch_ptr 0
		.amdhsa_user_sgpr_queue_ptr 0
		.amdhsa_user_sgpr_kernarg_segment_ptr 1
		.amdhsa_user_sgpr_dispatch_id 0
		.amdhsa_user_sgpr_kernarg_preload_length 0
		.amdhsa_user_sgpr_kernarg_preload_offset 0
		.amdhsa_user_sgpr_private_segment_size 0
		.amdhsa_wavefront_size32 1
		.amdhsa_uses_dynamic_stack 0
		.amdhsa_enable_private_segment 0
		.amdhsa_system_sgpr_workgroup_id_x 1
		.amdhsa_system_sgpr_workgroup_id_y 0
		.amdhsa_system_sgpr_workgroup_id_z 0
		.amdhsa_system_sgpr_workgroup_info 0
		.amdhsa_system_vgpr_workitem_id 0
		.amdhsa_next_free_vgpr 1
		.amdhsa_next_free_sgpr 1
		.amdhsa_named_barrier_count 0
		.amdhsa_reserve_vcc 0
		.amdhsa_float_round_mode_32 0
		.amdhsa_float_round_mode_16_64 0
		.amdhsa_float_denorm_mode_32 3
		.amdhsa_float_denorm_mode_16_64 3
		.amdhsa_fp16_overflow 0
		.amdhsa_memory_ordered 1
		.amdhsa_forward_progress 1
		.amdhsa_inst_pref_size 0
		.amdhsa_round_robin_scheduling 0
		.amdhsa_exception_fp_ieee_invalid_op 0
		.amdhsa_exception_fp_denorm_src 0
		.amdhsa_exception_fp_ieee_div_zero 0
		.amdhsa_exception_fp_ieee_overflow 0
		.amdhsa_exception_fp_ieee_underflow 0
		.amdhsa_exception_fp_ieee_inexact 0
		.amdhsa_exception_int_div_zero 0
	.end_amdhsa_kernel
	.section	.text._ZN7rocprim17ROCPRIM_400000_NS6detail17trampoline_kernelINS0_14default_configENS1_27scan_by_key_config_selectorIiyEEZZNS1_16scan_by_key_implILNS1_25lookback_scan_determinismE0ELb0ES3_N6thrust23THRUST_200600_302600_NS6detail15normal_iteratorINS9_10device_ptrIiEEEENSB_INSC_IyEEEESG_yNS9_4plusIvEENS9_8equal_toIvEEyEE10hipError_tPvRmT2_T3_T4_T5_mT6_T7_P12ihipStream_tbENKUlT_T0_E_clISt17integral_constantIbLb0EES11_EEDaSW_SX_EUlSW_E_NS1_11comp_targetILNS1_3genE8ELNS1_11target_archE1030ELNS1_3gpuE2ELNS1_3repE0EEENS1_30default_config_static_selectorELNS0_4arch9wavefront6targetE0EEEvT1_,"axG",@progbits,_ZN7rocprim17ROCPRIM_400000_NS6detail17trampoline_kernelINS0_14default_configENS1_27scan_by_key_config_selectorIiyEEZZNS1_16scan_by_key_implILNS1_25lookback_scan_determinismE0ELb0ES3_N6thrust23THRUST_200600_302600_NS6detail15normal_iteratorINS9_10device_ptrIiEEEENSB_INSC_IyEEEESG_yNS9_4plusIvEENS9_8equal_toIvEEyEE10hipError_tPvRmT2_T3_T4_T5_mT6_T7_P12ihipStream_tbENKUlT_T0_E_clISt17integral_constantIbLb0EES11_EEDaSW_SX_EUlSW_E_NS1_11comp_targetILNS1_3genE8ELNS1_11target_archE1030ELNS1_3gpuE2ELNS1_3repE0EEENS1_30default_config_static_selectorELNS0_4arch9wavefront6targetE0EEEvT1_,comdat
.Lfunc_end1184:
	.size	_ZN7rocprim17ROCPRIM_400000_NS6detail17trampoline_kernelINS0_14default_configENS1_27scan_by_key_config_selectorIiyEEZZNS1_16scan_by_key_implILNS1_25lookback_scan_determinismE0ELb0ES3_N6thrust23THRUST_200600_302600_NS6detail15normal_iteratorINS9_10device_ptrIiEEEENSB_INSC_IyEEEESG_yNS9_4plusIvEENS9_8equal_toIvEEyEE10hipError_tPvRmT2_T3_T4_T5_mT6_T7_P12ihipStream_tbENKUlT_T0_E_clISt17integral_constantIbLb0EES11_EEDaSW_SX_EUlSW_E_NS1_11comp_targetILNS1_3genE8ELNS1_11target_archE1030ELNS1_3gpuE2ELNS1_3repE0EEENS1_30default_config_static_selectorELNS0_4arch9wavefront6targetE0EEEvT1_, .Lfunc_end1184-_ZN7rocprim17ROCPRIM_400000_NS6detail17trampoline_kernelINS0_14default_configENS1_27scan_by_key_config_selectorIiyEEZZNS1_16scan_by_key_implILNS1_25lookback_scan_determinismE0ELb0ES3_N6thrust23THRUST_200600_302600_NS6detail15normal_iteratorINS9_10device_ptrIiEEEENSB_INSC_IyEEEESG_yNS9_4plusIvEENS9_8equal_toIvEEyEE10hipError_tPvRmT2_T3_T4_T5_mT6_T7_P12ihipStream_tbENKUlT_T0_E_clISt17integral_constantIbLb0EES11_EEDaSW_SX_EUlSW_E_NS1_11comp_targetILNS1_3genE8ELNS1_11target_archE1030ELNS1_3gpuE2ELNS1_3repE0EEENS1_30default_config_static_selectorELNS0_4arch9wavefront6targetE0EEEvT1_
                                        ; -- End function
	.set _ZN7rocprim17ROCPRIM_400000_NS6detail17trampoline_kernelINS0_14default_configENS1_27scan_by_key_config_selectorIiyEEZZNS1_16scan_by_key_implILNS1_25lookback_scan_determinismE0ELb0ES3_N6thrust23THRUST_200600_302600_NS6detail15normal_iteratorINS9_10device_ptrIiEEEENSB_INSC_IyEEEESG_yNS9_4plusIvEENS9_8equal_toIvEEyEE10hipError_tPvRmT2_T3_T4_T5_mT6_T7_P12ihipStream_tbENKUlT_T0_E_clISt17integral_constantIbLb0EES11_EEDaSW_SX_EUlSW_E_NS1_11comp_targetILNS1_3genE8ELNS1_11target_archE1030ELNS1_3gpuE2ELNS1_3repE0EEENS1_30default_config_static_selectorELNS0_4arch9wavefront6targetE0EEEvT1_.num_vgpr, 0
	.set _ZN7rocprim17ROCPRIM_400000_NS6detail17trampoline_kernelINS0_14default_configENS1_27scan_by_key_config_selectorIiyEEZZNS1_16scan_by_key_implILNS1_25lookback_scan_determinismE0ELb0ES3_N6thrust23THRUST_200600_302600_NS6detail15normal_iteratorINS9_10device_ptrIiEEEENSB_INSC_IyEEEESG_yNS9_4plusIvEENS9_8equal_toIvEEyEE10hipError_tPvRmT2_T3_T4_T5_mT6_T7_P12ihipStream_tbENKUlT_T0_E_clISt17integral_constantIbLb0EES11_EEDaSW_SX_EUlSW_E_NS1_11comp_targetILNS1_3genE8ELNS1_11target_archE1030ELNS1_3gpuE2ELNS1_3repE0EEENS1_30default_config_static_selectorELNS0_4arch9wavefront6targetE0EEEvT1_.num_agpr, 0
	.set _ZN7rocprim17ROCPRIM_400000_NS6detail17trampoline_kernelINS0_14default_configENS1_27scan_by_key_config_selectorIiyEEZZNS1_16scan_by_key_implILNS1_25lookback_scan_determinismE0ELb0ES3_N6thrust23THRUST_200600_302600_NS6detail15normal_iteratorINS9_10device_ptrIiEEEENSB_INSC_IyEEEESG_yNS9_4plusIvEENS9_8equal_toIvEEyEE10hipError_tPvRmT2_T3_T4_T5_mT6_T7_P12ihipStream_tbENKUlT_T0_E_clISt17integral_constantIbLb0EES11_EEDaSW_SX_EUlSW_E_NS1_11comp_targetILNS1_3genE8ELNS1_11target_archE1030ELNS1_3gpuE2ELNS1_3repE0EEENS1_30default_config_static_selectorELNS0_4arch9wavefront6targetE0EEEvT1_.numbered_sgpr, 0
	.set _ZN7rocprim17ROCPRIM_400000_NS6detail17trampoline_kernelINS0_14default_configENS1_27scan_by_key_config_selectorIiyEEZZNS1_16scan_by_key_implILNS1_25lookback_scan_determinismE0ELb0ES3_N6thrust23THRUST_200600_302600_NS6detail15normal_iteratorINS9_10device_ptrIiEEEENSB_INSC_IyEEEESG_yNS9_4plusIvEENS9_8equal_toIvEEyEE10hipError_tPvRmT2_T3_T4_T5_mT6_T7_P12ihipStream_tbENKUlT_T0_E_clISt17integral_constantIbLb0EES11_EEDaSW_SX_EUlSW_E_NS1_11comp_targetILNS1_3genE8ELNS1_11target_archE1030ELNS1_3gpuE2ELNS1_3repE0EEENS1_30default_config_static_selectorELNS0_4arch9wavefront6targetE0EEEvT1_.num_named_barrier, 0
	.set _ZN7rocprim17ROCPRIM_400000_NS6detail17trampoline_kernelINS0_14default_configENS1_27scan_by_key_config_selectorIiyEEZZNS1_16scan_by_key_implILNS1_25lookback_scan_determinismE0ELb0ES3_N6thrust23THRUST_200600_302600_NS6detail15normal_iteratorINS9_10device_ptrIiEEEENSB_INSC_IyEEEESG_yNS9_4plusIvEENS9_8equal_toIvEEyEE10hipError_tPvRmT2_T3_T4_T5_mT6_T7_P12ihipStream_tbENKUlT_T0_E_clISt17integral_constantIbLb0EES11_EEDaSW_SX_EUlSW_E_NS1_11comp_targetILNS1_3genE8ELNS1_11target_archE1030ELNS1_3gpuE2ELNS1_3repE0EEENS1_30default_config_static_selectorELNS0_4arch9wavefront6targetE0EEEvT1_.private_seg_size, 0
	.set _ZN7rocprim17ROCPRIM_400000_NS6detail17trampoline_kernelINS0_14default_configENS1_27scan_by_key_config_selectorIiyEEZZNS1_16scan_by_key_implILNS1_25lookback_scan_determinismE0ELb0ES3_N6thrust23THRUST_200600_302600_NS6detail15normal_iteratorINS9_10device_ptrIiEEEENSB_INSC_IyEEEESG_yNS9_4plusIvEENS9_8equal_toIvEEyEE10hipError_tPvRmT2_T3_T4_T5_mT6_T7_P12ihipStream_tbENKUlT_T0_E_clISt17integral_constantIbLb0EES11_EEDaSW_SX_EUlSW_E_NS1_11comp_targetILNS1_3genE8ELNS1_11target_archE1030ELNS1_3gpuE2ELNS1_3repE0EEENS1_30default_config_static_selectorELNS0_4arch9wavefront6targetE0EEEvT1_.uses_vcc, 0
	.set _ZN7rocprim17ROCPRIM_400000_NS6detail17trampoline_kernelINS0_14default_configENS1_27scan_by_key_config_selectorIiyEEZZNS1_16scan_by_key_implILNS1_25lookback_scan_determinismE0ELb0ES3_N6thrust23THRUST_200600_302600_NS6detail15normal_iteratorINS9_10device_ptrIiEEEENSB_INSC_IyEEEESG_yNS9_4plusIvEENS9_8equal_toIvEEyEE10hipError_tPvRmT2_T3_T4_T5_mT6_T7_P12ihipStream_tbENKUlT_T0_E_clISt17integral_constantIbLb0EES11_EEDaSW_SX_EUlSW_E_NS1_11comp_targetILNS1_3genE8ELNS1_11target_archE1030ELNS1_3gpuE2ELNS1_3repE0EEENS1_30default_config_static_selectorELNS0_4arch9wavefront6targetE0EEEvT1_.uses_flat_scratch, 0
	.set _ZN7rocprim17ROCPRIM_400000_NS6detail17trampoline_kernelINS0_14default_configENS1_27scan_by_key_config_selectorIiyEEZZNS1_16scan_by_key_implILNS1_25lookback_scan_determinismE0ELb0ES3_N6thrust23THRUST_200600_302600_NS6detail15normal_iteratorINS9_10device_ptrIiEEEENSB_INSC_IyEEEESG_yNS9_4plusIvEENS9_8equal_toIvEEyEE10hipError_tPvRmT2_T3_T4_T5_mT6_T7_P12ihipStream_tbENKUlT_T0_E_clISt17integral_constantIbLb0EES11_EEDaSW_SX_EUlSW_E_NS1_11comp_targetILNS1_3genE8ELNS1_11target_archE1030ELNS1_3gpuE2ELNS1_3repE0EEENS1_30default_config_static_selectorELNS0_4arch9wavefront6targetE0EEEvT1_.has_dyn_sized_stack, 0
	.set _ZN7rocprim17ROCPRIM_400000_NS6detail17trampoline_kernelINS0_14default_configENS1_27scan_by_key_config_selectorIiyEEZZNS1_16scan_by_key_implILNS1_25lookback_scan_determinismE0ELb0ES3_N6thrust23THRUST_200600_302600_NS6detail15normal_iteratorINS9_10device_ptrIiEEEENSB_INSC_IyEEEESG_yNS9_4plusIvEENS9_8equal_toIvEEyEE10hipError_tPvRmT2_T3_T4_T5_mT6_T7_P12ihipStream_tbENKUlT_T0_E_clISt17integral_constantIbLb0EES11_EEDaSW_SX_EUlSW_E_NS1_11comp_targetILNS1_3genE8ELNS1_11target_archE1030ELNS1_3gpuE2ELNS1_3repE0EEENS1_30default_config_static_selectorELNS0_4arch9wavefront6targetE0EEEvT1_.has_recursion, 0
	.set _ZN7rocprim17ROCPRIM_400000_NS6detail17trampoline_kernelINS0_14default_configENS1_27scan_by_key_config_selectorIiyEEZZNS1_16scan_by_key_implILNS1_25lookback_scan_determinismE0ELb0ES3_N6thrust23THRUST_200600_302600_NS6detail15normal_iteratorINS9_10device_ptrIiEEEENSB_INSC_IyEEEESG_yNS9_4plusIvEENS9_8equal_toIvEEyEE10hipError_tPvRmT2_T3_T4_T5_mT6_T7_P12ihipStream_tbENKUlT_T0_E_clISt17integral_constantIbLb0EES11_EEDaSW_SX_EUlSW_E_NS1_11comp_targetILNS1_3genE8ELNS1_11target_archE1030ELNS1_3gpuE2ELNS1_3repE0EEENS1_30default_config_static_selectorELNS0_4arch9wavefront6targetE0EEEvT1_.has_indirect_call, 0
	.section	.AMDGPU.csdata,"",@progbits
; Kernel info:
; codeLenInByte = 0
; TotalNumSgprs: 0
; NumVgprs: 0
; ScratchSize: 0
; MemoryBound: 0
; FloatMode: 240
; IeeeMode: 1
; LDSByteSize: 0 bytes/workgroup (compile time only)
; SGPRBlocks: 0
; VGPRBlocks: 0
; NumSGPRsForWavesPerEU: 1
; NumVGPRsForWavesPerEU: 1
; NamedBarCnt: 0
; Occupancy: 16
; WaveLimiterHint : 0
; COMPUTE_PGM_RSRC2:SCRATCH_EN: 0
; COMPUTE_PGM_RSRC2:USER_SGPR: 2
; COMPUTE_PGM_RSRC2:TRAP_HANDLER: 0
; COMPUTE_PGM_RSRC2:TGID_X_EN: 1
; COMPUTE_PGM_RSRC2:TGID_Y_EN: 0
; COMPUTE_PGM_RSRC2:TGID_Z_EN: 0
; COMPUTE_PGM_RSRC2:TIDIG_COMP_CNT: 0
	.section	.text._ZN7rocprim17ROCPRIM_400000_NS6detail30init_device_scan_by_key_kernelINS1_19lookback_scan_stateINS0_5tupleIJybEEELb1ELb0EEEN6thrust23THRUST_200600_302600_NS6detail15normal_iteratorINS8_10device_ptrIiEEEEjNS1_16block_id_wrapperIjLb1EEEEEvT_jjPNSG_10value_typeET0_PNSt15iterator_traitsISJ_E10value_typeEmT1_T2_,"axG",@progbits,_ZN7rocprim17ROCPRIM_400000_NS6detail30init_device_scan_by_key_kernelINS1_19lookback_scan_stateINS0_5tupleIJybEEELb1ELb0EEEN6thrust23THRUST_200600_302600_NS6detail15normal_iteratorINS8_10device_ptrIiEEEEjNS1_16block_id_wrapperIjLb1EEEEEvT_jjPNSG_10value_typeET0_PNSt15iterator_traitsISJ_E10value_typeEmT1_T2_,comdat
	.protected	_ZN7rocprim17ROCPRIM_400000_NS6detail30init_device_scan_by_key_kernelINS1_19lookback_scan_stateINS0_5tupleIJybEEELb1ELb0EEEN6thrust23THRUST_200600_302600_NS6detail15normal_iteratorINS8_10device_ptrIiEEEEjNS1_16block_id_wrapperIjLb1EEEEEvT_jjPNSG_10value_typeET0_PNSt15iterator_traitsISJ_E10value_typeEmT1_T2_ ; -- Begin function _ZN7rocprim17ROCPRIM_400000_NS6detail30init_device_scan_by_key_kernelINS1_19lookback_scan_stateINS0_5tupleIJybEEELb1ELb0EEEN6thrust23THRUST_200600_302600_NS6detail15normal_iteratorINS8_10device_ptrIiEEEEjNS1_16block_id_wrapperIjLb1EEEEEvT_jjPNSG_10value_typeET0_PNSt15iterator_traitsISJ_E10value_typeEmT1_T2_
	.globl	_ZN7rocprim17ROCPRIM_400000_NS6detail30init_device_scan_by_key_kernelINS1_19lookback_scan_stateINS0_5tupleIJybEEELb1ELb0EEEN6thrust23THRUST_200600_302600_NS6detail15normal_iteratorINS8_10device_ptrIiEEEEjNS1_16block_id_wrapperIjLb1EEEEEvT_jjPNSG_10value_typeET0_PNSt15iterator_traitsISJ_E10value_typeEmT1_T2_
	.p2align	8
	.type	_ZN7rocprim17ROCPRIM_400000_NS6detail30init_device_scan_by_key_kernelINS1_19lookback_scan_stateINS0_5tupleIJybEEELb1ELb0EEEN6thrust23THRUST_200600_302600_NS6detail15normal_iteratorINS8_10device_ptrIiEEEEjNS1_16block_id_wrapperIjLb1EEEEEvT_jjPNSG_10value_typeET0_PNSt15iterator_traitsISJ_E10value_typeEmT1_T2_,@function
_ZN7rocprim17ROCPRIM_400000_NS6detail30init_device_scan_by_key_kernelINS1_19lookback_scan_stateINS0_5tupleIJybEEELb1ELb0EEEN6thrust23THRUST_200600_302600_NS6detail15normal_iteratorINS8_10device_ptrIiEEEEjNS1_16block_id_wrapperIjLb1EEEEEvT_jjPNSG_10value_typeET0_PNSt15iterator_traitsISJ_E10value_typeEmT1_T2_: ; @_ZN7rocprim17ROCPRIM_400000_NS6detail30init_device_scan_by_key_kernelINS1_19lookback_scan_stateINS0_5tupleIJybEEELb1ELb0EEEN6thrust23THRUST_200600_302600_NS6detail15normal_iteratorINS8_10device_ptrIiEEEEjNS1_16block_id_wrapperIjLb1EEEEEvT_jjPNSG_10value_typeET0_PNSt15iterator_traitsISJ_E10value_typeEmT1_T2_
; %bb.0:
	s_clause 0x2
	s_load_b32 s2, s[0:1], 0x5c
	s_load_b32 s18, s[0:1], 0x50
	s_load_b256 s[4:11], s[0:1], 0x10
	s_bfe_u32 s3, ttmp6, 0x4000c
	s_and_b32 s12, ttmp6, 15
	s_add_co_i32 s3, s3, 1
	s_getreg_b32 s13, hwreg(HW_REG_IB_STS2, 6, 4)
	s_mul_i32 s3, ttmp9, s3
	s_delay_alu instid0(SALU_CYCLE_1)
	s_add_co_i32 s12, s12, s3
	s_wait_kmcnt 0x0
	s_and_b32 s19, s2, 0xffff
	s_cmp_eq_u32 s13, 0
	s_cselect_b32 s2, ttmp9, s12
	s_cmp_eq_u64 s[8:9], 0
	v_mad_u32 v0, s2, s19, v0
	s_cbranch_scc1 .LBB1185_9
; %bb.1:
	s_cmp_lt_u32 s7, s6
	s_mov_b32 s20, exec_lo
	s_cselect_b32 s2, s7, 0
	s_delay_alu instid0(VALU_DEP_1) | instid1(SALU_CYCLE_1)
	v_cmpx_eq_u32_e64 s2, v0
	s_cbranch_execz .LBB1185_8
; %bb.2:
	s_add_co_i32 s2, s7, 32
	s_load_b128 s[12:15], s[0:1], 0x0
	v_mov_b32_e32 v1, s2
	s_mov_b32 s3, 0
	global_load_u8 v1, v1, s[4:5] scope:SCOPE_DEV
	s_wait_loadcnt 0x0
	v_and_b32_e32 v2, 0xffff, v1
	v_readfirstlane_b32 s21, v1
	s_delay_alu instid0(VALU_DEP_2)
	v_cmp_ne_u32_e32 vcc_lo, 0, v2
	s_cbranch_vccnz .LBB1185_7
; %bb.3:
	v_mov_b32_e32 v1, 0
	s_add_nc_u64 s[16:17], s[4:5], s[2:3]
	s_mov_b32 s7, 1
.LBB1185_4:                             ; =>This Loop Header: Depth=1
                                        ;     Child Loop BB1185_5 Depth 2
	s_delay_alu instid0(SALU_CYCLE_1)
	s_mov_b32 s21, s7
.LBB1185_5:                             ;   Parent Loop BB1185_4 Depth=1
                                        ; =>  This Inner Loop Header: Depth=2
	s_delay_alu instid0(SALU_CYCLE_1)
	s_add_co_i32 s21, s21, -1
	s_sleep 1
	s_cmp_eq_u32 s21, 0
	s_cbranch_scc0 .LBB1185_5
; %bb.6:                                ;   in Loop: Header=BB1185_4 Depth=1
	global_load_u8 v2, v1, s[16:17] scope:SCOPE_DEV
	s_cmp_lt_u32 s7, 32
	s_cselect_b32 s21, -1, 0
	s_delay_alu instid0(SALU_CYCLE_1) | instskip(SKIP_4) | instid1(VALU_DEP_2)
	s_cmp_lg_u32 s21, 0
	s_add_co_ci_u32 s7, s7, 0
	s_wait_loadcnt 0x0
	v_and_b32_e32 v3, 0xffff, v2
	v_readfirstlane_b32 s21, v2
	v_cmp_ne_u32_e32 vcc_lo, 0, v3
	s_cbranch_vccz .LBB1185_4
.LBB1185_7:
	s_and_b32 s7, 0xffff, s21
	v_mov_b32_e32 v1, 0
	s_cmp_eq_u32 s7, 1
	global_wb scope:SCOPE_DEV
	s_wait_storecnt 0x0
	global_inv scope:SCOPE_DEV
	s_wait_kmcnt 0x0
	s_cselect_b32 s13, s13, s15
	s_cselect_b32 s12, s12, s14
	s_lshl_b64 s[2:3], s[2:3], 4
	s_delay_alu instid0(SALU_CYCLE_1)
	s_add_nc_u64 s[2:3], s[12:13], s[2:3]
	s_clause 0x1
	global_load_b64 v[2:3], v1, s[2:3]
	global_load_u8 v4, v1, s[2:3] offset:8
	s_wait_loadcnt 0x1
	global_store_b64 v1, v[2:3], s[8:9]
	s_wait_loadcnt 0x0
	global_store_b8 v1, v4, s[8:9] offset:8
.LBB1185_8:
	s_wait_xcnt 0x0
	s_or_b32 exec_lo, exec_lo, s20
.LBB1185_9:
	s_delay_alu instid0(SALU_CYCLE_1) | instskip(NEXT) | instid1(VALU_DEP_1)
	s_mov_b32 s2, exec_lo
	v_cmpx_eq_u32_e32 0, v0
	s_cbranch_execz .LBB1185_11
; %bb.10:
	s_load_b64 s[8:9], s[0:1], 0x48
	v_mov_b32_e32 v1, 0
	s_wait_kmcnt 0x0
	global_store_b32 v1, v1, s[8:9]
.LBB1185_11:
	s_wait_xcnt 0x0
	s_or_b32 exec_lo, exec_lo, s2
	s_delay_alu instid0(SALU_CYCLE_1)
	s_mov_b32 s2, exec_lo
	v_cmpx_gt_u32_e64 s6, v0
	s_cbranch_execz .LBB1185_13
; %bb.12:
	v_dual_mov_b32 v2, 0 :: v_dual_add_nc_u32 v1, 32, v0
	global_store_b8 v1, v2, s[4:5]
.LBB1185_13:
	s_wait_xcnt 0x0
	s_or_b32 exec_lo, exec_lo, s2
	v_mov_b32_e32 v1, 0
	s_mov_b32 s2, exec_lo
	v_cmpx_gt_u32_e32 32, v0
	s_cbranch_execz .LBB1185_15
; %bb.14:
	s_delay_alu instid0(VALU_DEP_2)
	v_add_nc_u64_e32 v[2:3], s[4:5], v[0:1]
	v_mov_b32_e32 v4, 0xff
	global_store_b8 v[2:3], v4, off
.LBB1185_15:
	s_wait_xcnt 0x0
	s_or_b32 exec_lo, exec_lo, s2
	s_load_b64 s[2:3], s[0:1], 0x38
	s_mov_b32 s4, exec_lo
	s_wait_kmcnt 0x0
	v_cmpx_gt_u64_e64 s[2:3], v[0:1]
	s_cbranch_execz .LBB1185_18
; %bb.16:
	s_clause 0x1
	s_load_b32 s4, s[0:1], 0x40
	s_load_b64 s[6:7], s[0:1], 0x30
	s_mov_b32 s5, 0
	s_wait_xcnt 0x0
	s_mul_i32 s0, s18, s19
	s_mov_b32 s9, s5
	s_mov_b32 s1, s5
	s_wait_kmcnt 0x0
	v_mul_u64_e32 v[2:3], s[4:5], v[0:1]
	s_add_co_i32 s8, s4, -1
	v_lshl_add_u64 v[4:5], v[0:1], 2, s[6:7]
	s_lshl_b64 s[8:9], s[8:9], 2
	s_delay_alu instid0(SALU_CYCLE_1) | instskip(SKIP_1) | instid1(SALU_CYCLE_1)
	s_add_nc_u64 s[8:9], s[10:11], s[8:9]
	s_mul_u64 s[10:11], s[4:5], s[0:1]
	s_lshl_b64 s[6:7], s[10:11], 2
	s_delay_alu instid0(VALU_DEP_2)
	v_lshl_add_u64 v[2:3], v[2:3], 2, s[8:9]
	s_lshl_b64 s[8:9], s[0:1], 2
.LBB1185_17:                            ; =>This Inner Loop Header: Depth=1
	global_load_b32 v6, v[2:3], off
	v_add_nc_u64_e32 v[0:1], s[0:1], v[0:1]
	s_wait_xcnt 0x0
	v_add_nc_u64_e32 v[2:3], s[6:7], v[2:3]
	s_delay_alu instid0(VALU_DEP_2)
	v_cmp_le_u64_e32 vcc_lo, s[2:3], v[0:1]
	s_or_b32 s5, vcc_lo, s5
	s_wait_loadcnt 0x0
	global_store_b32 v[4:5], v6, off
	s_wait_xcnt 0x0
	v_add_nc_u64_e32 v[4:5], s[8:9], v[4:5]
	s_and_not1_b32 exec_lo, exec_lo, s5
	s_cbranch_execnz .LBB1185_17
.LBB1185_18:
	s_endpgm
	.section	.rodata,"a",@progbits
	.p2align	6, 0x0
	.amdhsa_kernel _ZN7rocprim17ROCPRIM_400000_NS6detail30init_device_scan_by_key_kernelINS1_19lookback_scan_stateINS0_5tupleIJybEEELb1ELb0EEEN6thrust23THRUST_200600_302600_NS6detail15normal_iteratorINS8_10device_ptrIiEEEEjNS1_16block_id_wrapperIjLb1EEEEEvT_jjPNSG_10value_typeET0_PNSt15iterator_traitsISJ_E10value_typeEmT1_T2_
		.amdhsa_group_segment_fixed_size 0
		.amdhsa_private_segment_fixed_size 0
		.amdhsa_kernarg_size 336
		.amdhsa_user_sgpr_count 2
		.amdhsa_user_sgpr_dispatch_ptr 0
		.amdhsa_user_sgpr_queue_ptr 0
		.amdhsa_user_sgpr_kernarg_segment_ptr 1
		.amdhsa_user_sgpr_dispatch_id 0
		.amdhsa_user_sgpr_kernarg_preload_length 0
		.amdhsa_user_sgpr_kernarg_preload_offset 0
		.amdhsa_user_sgpr_private_segment_size 0
		.amdhsa_wavefront_size32 1
		.amdhsa_uses_dynamic_stack 0
		.amdhsa_enable_private_segment 0
		.amdhsa_system_sgpr_workgroup_id_x 1
		.amdhsa_system_sgpr_workgroup_id_y 0
		.amdhsa_system_sgpr_workgroup_id_z 0
		.amdhsa_system_sgpr_workgroup_info 0
		.amdhsa_system_vgpr_workitem_id 0
		.amdhsa_next_free_vgpr 7
		.amdhsa_next_free_sgpr 22
		.amdhsa_named_barrier_count 0
		.amdhsa_reserve_vcc 1
		.amdhsa_float_round_mode_32 0
		.amdhsa_float_round_mode_16_64 0
		.amdhsa_float_denorm_mode_32 3
		.amdhsa_float_denorm_mode_16_64 3
		.amdhsa_fp16_overflow 0
		.amdhsa_memory_ordered 1
		.amdhsa_forward_progress 1
		.amdhsa_inst_pref_size 6
		.amdhsa_round_robin_scheduling 0
		.amdhsa_exception_fp_ieee_invalid_op 0
		.amdhsa_exception_fp_denorm_src 0
		.amdhsa_exception_fp_ieee_div_zero 0
		.amdhsa_exception_fp_ieee_overflow 0
		.amdhsa_exception_fp_ieee_underflow 0
		.amdhsa_exception_fp_ieee_inexact 0
		.amdhsa_exception_int_div_zero 0
	.end_amdhsa_kernel
	.section	.text._ZN7rocprim17ROCPRIM_400000_NS6detail30init_device_scan_by_key_kernelINS1_19lookback_scan_stateINS0_5tupleIJybEEELb1ELb0EEEN6thrust23THRUST_200600_302600_NS6detail15normal_iteratorINS8_10device_ptrIiEEEEjNS1_16block_id_wrapperIjLb1EEEEEvT_jjPNSG_10value_typeET0_PNSt15iterator_traitsISJ_E10value_typeEmT1_T2_,"axG",@progbits,_ZN7rocprim17ROCPRIM_400000_NS6detail30init_device_scan_by_key_kernelINS1_19lookback_scan_stateINS0_5tupleIJybEEELb1ELb0EEEN6thrust23THRUST_200600_302600_NS6detail15normal_iteratorINS8_10device_ptrIiEEEEjNS1_16block_id_wrapperIjLb1EEEEEvT_jjPNSG_10value_typeET0_PNSt15iterator_traitsISJ_E10value_typeEmT1_T2_,comdat
.Lfunc_end1185:
	.size	_ZN7rocprim17ROCPRIM_400000_NS6detail30init_device_scan_by_key_kernelINS1_19lookback_scan_stateINS0_5tupleIJybEEELb1ELb0EEEN6thrust23THRUST_200600_302600_NS6detail15normal_iteratorINS8_10device_ptrIiEEEEjNS1_16block_id_wrapperIjLb1EEEEEvT_jjPNSG_10value_typeET0_PNSt15iterator_traitsISJ_E10value_typeEmT1_T2_, .Lfunc_end1185-_ZN7rocprim17ROCPRIM_400000_NS6detail30init_device_scan_by_key_kernelINS1_19lookback_scan_stateINS0_5tupleIJybEEELb1ELb0EEEN6thrust23THRUST_200600_302600_NS6detail15normal_iteratorINS8_10device_ptrIiEEEEjNS1_16block_id_wrapperIjLb1EEEEEvT_jjPNSG_10value_typeET0_PNSt15iterator_traitsISJ_E10value_typeEmT1_T2_
                                        ; -- End function
	.set _ZN7rocprim17ROCPRIM_400000_NS6detail30init_device_scan_by_key_kernelINS1_19lookback_scan_stateINS0_5tupleIJybEEELb1ELb0EEEN6thrust23THRUST_200600_302600_NS6detail15normal_iteratorINS8_10device_ptrIiEEEEjNS1_16block_id_wrapperIjLb1EEEEEvT_jjPNSG_10value_typeET0_PNSt15iterator_traitsISJ_E10value_typeEmT1_T2_.num_vgpr, 7
	.set _ZN7rocprim17ROCPRIM_400000_NS6detail30init_device_scan_by_key_kernelINS1_19lookback_scan_stateINS0_5tupleIJybEEELb1ELb0EEEN6thrust23THRUST_200600_302600_NS6detail15normal_iteratorINS8_10device_ptrIiEEEEjNS1_16block_id_wrapperIjLb1EEEEEvT_jjPNSG_10value_typeET0_PNSt15iterator_traitsISJ_E10value_typeEmT1_T2_.num_agpr, 0
	.set _ZN7rocprim17ROCPRIM_400000_NS6detail30init_device_scan_by_key_kernelINS1_19lookback_scan_stateINS0_5tupleIJybEEELb1ELb0EEEN6thrust23THRUST_200600_302600_NS6detail15normal_iteratorINS8_10device_ptrIiEEEEjNS1_16block_id_wrapperIjLb1EEEEEvT_jjPNSG_10value_typeET0_PNSt15iterator_traitsISJ_E10value_typeEmT1_T2_.numbered_sgpr, 22
	.set _ZN7rocprim17ROCPRIM_400000_NS6detail30init_device_scan_by_key_kernelINS1_19lookback_scan_stateINS0_5tupleIJybEEELb1ELb0EEEN6thrust23THRUST_200600_302600_NS6detail15normal_iteratorINS8_10device_ptrIiEEEEjNS1_16block_id_wrapperIjLb1EEEEEvT_jjPNSG_10value_typeET0_PNSt15iterator_traitsISJ_E10value_typeEmT1_T2_.num_named_barrier, 0
	.set _ZN7rocprim17ROCPRIM_400000_NS6detail30init_device_scan_by_key_kernelINS1_19lookback_scan_stateINS0_5tupleIJybEEELb1ELb0EEEN6thrust23THRUST_200600_302600_NS6detail15normal_iteratorINS8_10device_ptrIiEEEEjNS1_16block_id_wrapperIjLb1EEEEEvT_jjPNSG_10value_typeET0_PNSt15iterator_traitsISJ_E10value_typeEmT1_T2_.private_seg_size, 0
	.set _ZN7rocprim17ROCPRIM_400000_NS6detail30init_device_scan_by_key_kernelINS1_19lookback_scan_stateINS0_5tupleIJybEEELb1ELb0EEEN6thrust23THRUST_200600_302600_NS6detail15normal_iteratorINS8_10device_ptrIiEEEEjNS1_16block_id_wrapperIjLb1EEEEEvT_jjPNSG_10value_typeET0_PNSt15iterator_traitsISJ_E10value_typeEmT1_T2_.uses_vcc, 1
	.set _ZN7rocprim17ROCPRIM_400000_NS6detail30init_device_scan_by_key_kernelINS1_19lookback_scan_stateINS0_5tupleIJybEEELb1ELb0EEEN6thrust23THRUST_200600_302600_NS6detail15normal_iteratorINS8_10device_ptrIiEEEEjNS1_16block_id_wrapperIjLb1EEEEEvT_jjPNSG_10value_typeET0_PNSt15iterator_traitsISJ_E10value_typeEmT1_T2_.uses_flat_scratch, 0
	.set _ZN7rocprim17ROCPRIM_400000_NS6detail30init_device_scan_by_key_kernelINS1_19lookback_scan_stateINS0_5tupleIJybEEELb1ELb0EEEN6thrust23THRUST_200600_302600_NS6detail15normal_iteratorINS8_10device_ptrIiEEEEjNS1_16block_id_wrapperIjLb1EEEEEvT_jjPNSG_10value_typeET0_PNSt15iterator_traitsISJ_E10value_typeEmT1_T2_.has_dyn_sized_stack, 0
	.set _ZN7rocprim17ROCPRIM_400000_NS6detail30init_device_scan_by_key_kernelINS1_19lookback_scan_stateINS0_5tupleIJybEEELb1ELb0EEEN6thrust23THRUST_200600_302600_NS6detail15normal_iteratorINS8_10device_ptrIiEEEEjNS1_16block_id_wrapperIjLb1EEEEEvT_jjPNSG_10value_typeET0_PNSt15iterator_traitsISJ_E10value_typeEmT1_T2_.has_recursion, 0
	.set _ZN7rocprim17ROCPRIM_400000_NS6detail30init_device_scan_by_key_kernelINS1_19lookback_scan_stateINS0_5tupleIJybEEELb1ELb0EEEN6thrust23THRUST_200600_302600_NS6detail15normal_iteratorINS8_10device_ptrIiEEEEjNS1_16block_id_wrapperIjLb1EEEEEvT_jjPNSG_10value_typeET0_PNSt15iterator_traitsISJ_E10value_typeEmT1_T2_.has_indirect_call, 0
	.section	.AMDGPU.csdata,"",@progbits
; Kernel info:
; codeLenInByte = 764
; TotalNumSgprs: 24
; NumVgprs: 7
; ScratchSize: 0
; MemoryBound: 0
; FloatMode: 240
; IeeeMode: 1
; LDSByteSize: 0 bytes/workgroup (compile time only)
; SGPRBlocks: 0
; VGPRBlocks: 0
; NumSGPRsForWavesPerEU: 24
; NumVGPRsForWavesPerEU: 7
; NamedBarCnt: 0
; Occupancy: 16
; WaveLimiterHint : 0
; COMPUTE_PGM_RSRC2:SCRATCH_EN: 0
; COMPUTE_PGM_RSRC2:USER_SGPR: 2
; COMPUTE_PGM_RSRC2:TRAP_HANDLER: 0
; COMPUTE_PGM_RSRC2:TGID_X_EN: 1
; COMPUTE_PGM_RSRC2:TGID_Y_EN: 0
; COMPUTE_PGM_RSRC2:TGID_Z_EN: 0
; COMPUTE_PGM_RSRC2:TIDIG_COMP_CNT: 0
	.section	.text._ZN7rocprim17ROCPRIM_400000_NS6detail30init_device_scan_by_key_kernelINS1_19lookback_scan_stateINS0_5tupleIJybEEELb1ELb0EEENS1_16block_id_wrapperIjLb1EEEEEvT_jjPNS9_10value_typeET0_,"axG",@progbits,_ZN7rocprim17ROCPRIM_400000_NS6detail30init_device_scan_by_key_kernelINS1_19lookback_scan_stateINS0_5tupleIJybEEELb1ELb0EEENS1_16block_id_wrapperIjLb1EEEEEvT_jjPNS9_10value_typeET0_,comdat
	.protected	_ZN7rocprim17ROCPRIM_400000_NS6detail30init_device_scan_by_key_kernelINS1_19lookback_scan_stateINS0_5tupleIJybEEELb1ELb0EEENS1_16block_id_wrapperIjLb1EEEEEvT_jjPNS9_10value_typeET0_ ; -- Begin function _ZN7rocprim17ROCPRIM_400000_NS6detail30init_device_scan_by_key_kernelINS1_19lookback_scan_stateINS0_5tupleIJybEEELb1ELb0EEENS1_16block_id_wrapperIjLb1EEEEEvT_jjPNS9_10value_typeET0_
	.globl	_ZN7rocprim17ROCPRIM_400000_NS6detail30init_device_scan_by_key_kernelINS1_19lookback_scan_stateINS0_5tupleIJybEEELb1ELb0EEENS1_16block_id_wrapperIjLb1EEEEEvT_jjPNS9_10value_typeET0_
	.p2align	8
	.type	_ZN7rocprim17ROCPRIM_400000_NS6detail30init_device_scan_by_key_kernelINS1_19lookback_scan_stateINS0_5tupleIJybEEELb1ELb0EEENS1_16block_id_wrapperIjLb1EEEEEvT_jjPNS9_10value_typeET0_,@function
_ZN7rocprim17ROCPRIM_400000_NS6detail30init_device_scan_by_key_kernelINS1_19lookback_scan_stateINS0_5tupleIJybEEELb1ELb0EEENS1_16block_id_wrapperIjLb1EEEEEvT_jjPNS9_10value_typeET0_: ; @_ZN7rocprim17ROCPRIM_400000_NS6detail30init_device_scan_by_key_kernelINS1_19lookback_scan_stateINS0_5tupleIJybEEELb1ELb0EEENS1_16block_id_wrapperIjLb1EEEEEvT_jjPNS9_10value_typeET0_
; %bb.0:
	s_clause 0x1
	s_load_b32 s2, s[0:1], 0x3c
	s_load_b256 s[4:11], s[0:1], 0x10
	s_bfe_u32 s3, ttmp6, 0x4000c
	s_and_b32 s12, ttmp6, 15
	s_add_co_i32 s3, s3, 1
	s_getreg_b32 s13, hwreg(HW_REG_IB_STS2, 6, 4)
	s_mul_i32 s3, ttmp9, s3
	s_delay_alu instid0(SALU_CYCLE_1)
	s_add_co_i32 s12, s12, s3
	s_wait_kmcnt 0x0
	s_and_b32 s2, s2, 0xffff
	s_cmp_eq_u32 s13, 0
	s_cselect_b32 s3, ttmp9, s12
	s_cmp_eq_u64 s[8:9], 0
	v_mad_u32 v0, s3, s2, v0
	s_cbranch_scc1 .LBB1186_9
; %bb.1:
	s_cmp_lt_u32 s7, s6
	s_mov_b32 s16, exec_lo
	s_cselect_b32 s2, s7, 0
	s_delay_alu instid0(VALU_DEP_1) | instid1(SALU_CYCLE_1)
	v_cmpx_eq_u32_e64 s2, v0
	s_cbranch_execz .LBB1186_8
; %bb.2:
	s_add_co_i32 s2, s7, 32
	s_load_b128 s[12:15], s[0:1], 0x0
	v_mov_b32_e32 v1, s2
	s_mov_b32 s3, 0
	global_load_u8 v1, v1, s[4:5] scope:SCOPE_DEV
	s_wait_loadcnt 0x0
	v_and_b32_e32 v2, 0xffff, v1
	v_readfirstlane_b32 s17, v1
	s_delay_alu instid0(VALU_DEP_2)
	v_cmp_ne_u32_e32 vcc_lo, 0, v2
	s_cbranch_vccnz .LBB1186_7
; %bb.3:
	v_mov_b32_e32 v1, 0
	s_add_nc_u64 s[0:1], s[4:5], s[2:3]
	s_mov_b32 s7, 1
.LBB1186_4:                             ; =>This Loop Header: Depth=1
                                        ;     Child Loop BB1186_5 Depth 2
	s_delay_alu instid0(SALU_CYCLE_1)
	s_mov_b32 s17, s7
.LBB1186_5:                             ;   Parent Loop BB1186_4 Depth=1
                                        ; =>  This Inner Loop Header: Depth=2
	s_delay_alu instid0(SALU_CYCLE_1)
	s_add_co_i32 s17, s17, -1
	s_sleep 1
	s_cmp_eq_u32 s17, 0
	s_cbranch_scc0 .LBB1186_5
; %bb.6:                                ;   in Loop: Header=BB1186_4 Depth=1
	global_load_u8 v2, v1, s[0:1] scope:SCOPE_DEV
	s_cmp_lt_u32 s7, 32
	s_cselect_b32 s17, -1, 0
	s_delay_alu instid0(SALU_CYCLE_1) | instskip(SKIP_4) | instid1(VALU_DEP_2)
	s_cmp_lg_u32 s17, 0
	s_add_co_ci_u32 s7, s7, 0
	s_wait_loadcnt 0x0
	v_and_b32_e32 v3, 0xffff, v2
	v_readfirstlane_b32 s17, v2
	v_cmp_ne_u32_e32 vcc_lo, 0, v3
	s_cbranch_vccz .LBB1186_4
.LBB1186_7:
	s_and_b32 s0, 0xffff, s17
	v_mov_b32_e32 v1, 0
	s_cmp_eq_u32 s0, 1
	global_wb scope:SCOPE_DEV
	s_wait_storecnt 0x0
	global_inv scope:SCOPE_DEV
	s_wait_kmcnt 0x0
	s_cselect_b32 s1, s13, s15
	s_cselect_b32 s0, s12, s14
	s_lshl_b64 s[2:3], s[2:3], 4
	s_delay_alu instid0(SALU_CYCLE_1)
	s_add_nc_u64 s[0:1], s[0:1], s[2:3]
	s_clause 0x1
	global_load_b64 v[2:3], v1, s[0:1]
	global_load_u8 v4, v1, s[0:1] offset:8
	s_wait_loadcnt 0x1
	global_store_b64 v1, v[2:3], s[8:9]
	s_wait_loadcnt 0x0
	global_store_b8 v1, v4, s[8:9] offset:8
.LBB1186_8:
	s_wait_xcnt 0x0
	s_or_b32 exec_lo, exec_lo, s16
.LBB1186_9:
	s_delay_alu instid0(SALU_CYCLE_1) | instskip(NEXT) | instid1(VALU_DEP_1)
	s_mov_b32 s0, exec_lo
	v_cmpx_eq_u32_e32 0, v0
	s_cbranch_execz .LBB1186_11
; %bb.10:
	v_mov_b32_e32 v1, 0
	global_store_b32 v1, v1, s[10:11]
.LBB1186_11:
	s_wait_xcnt 0x0
	s_or_b32 exec_lo, exec_lo, s0
	s_delay_alu instid0(SALU_CYCLE_1)
	s_mov_b32 s0, exec_lo
	v_cmpx_gt_u32_e64 s6, v0
	s_cbranch_execz .LBB1186_13
; %bb.12:
	v_dual_mov_b32 v2, 0 :: v_dual_add_nc_u32 v1, 32, v0
	global_store_b8 v1, v2, s[4:5]
.LBB1186_13:
	s_wait_xcnt 0x0
	s_or_b32 exec_lo, exec_lo, s0
	s_delay_alu instid0(SALU_CYCLE_1)
	s_mov_b32 s0, exec_lo
	v_cmpx_gt_u32_e32 32, v0
	s_cbranch_execz .LBB1186_15
; %bb.14:
	v_mov_b32_e32 v1, 0xff
	global_store_b8 v0, v1, s[4:5]
.LBB1186_15:
	s_endpgm
	.section	.rodata,"a",@progbits
	.p2align	6, 0x0
	.amdhsa_kernel _ZN7rocprim17ROCPRIM_400000_NS6detail30init_device_scan_by_key_kernelINS1_19lookback_scan_stateINS0_5tupleIJybEEELb1ELb0EEENS1_16block_id_wrapperIjLb1EEEEEvT_jjPNS9_10value_typeET0_
		.amdhsa_group_segment_fixed_size 0
		.amdhsa_private_segment_fixed_size 0
		.amdhsa_kernarg_size 304
		.amdhsa_user_sgpr_count 2
		.amdhsa_user_sgpr_dispatch_ptr 0
		.amdhsa_user_sgpr_queue_ptr 0
		.amdhsa_user_sgpr_kernarg_segment_ptr 1
		.amdhsa_user_sgpr_dispatch_id 0
		.amdhsa_user_sgpr_kernarg_preload_length 0
		.amdhsa_user_sgpr_kernarg_preload_offset 0
		.amdhsa_user_sgpr_private_segment_size 0
		.amdhsa_wavefront_size32 1
		.amdhsa_uses_dynamic_stack 0
		.amdhsa_enable_private_segment 0
		.amdhsa_system_sgpr_workgroup_id_x 1
		.amdhsa_system_sgpr_workgroup_id_y 0
		.amdhsa_system_sgpr_workgroup_id_z 0
		.amdhsa_system_sgpr_workgroup_info 0
		.amdhsa_system_vgpr_workitem_id 0
		.amdhsa_next_free_vgpr 5
		.amdhsa_next_free_sgpr 18
		.amdhsa_named_barrier_count 0
		.amdhsa_reserve_vcc 1
		.amdhsa_float_round_mode_32 0
		.amdhsa_float_round_mode_16_64 0
		.amdhsa_float_denorm_mode_32 3
		.amdhsa_float_denorm_mode_16_64 3
		.amdhsa_fp16_overflow 0
		.amdhsa_memory_ordered 1
		.amdhsa_forward_progress 1
		.amdhsa_inst_pref_size 5
		.amdhsa_round_robin_scheduling 0
		.amdhsa_exception_fp_ieee_invalid_op 0
		.amdhsa_exception_fp_denorm_src 0
		.amdhsa_exception_fp_ieee_div_zero 0
		.amdhsa_exception_fp_ieee_overflow 0
		.amdhsa_exception_fp_ieee_underflow 0
		.amdhsa_exception_fp_ieee_inexact 0
		.amdhsa_exception_int_div_zero 0
	.end_amdhsa_kernel
	.section	.text._ZN7rocprim17ROCPRIM_400000_NS6detail30init_device_scan_by_key_kernelINS1_19lookback_scan_stateINS0_5tupleIJybEEELb1ELb0EEENS1_16block_id_wrapperIjLb1EEEEEvT_jjPNS9_10value_typeET0_,"axG",@progbits,_ZN7rocprim17ROCPRIM_400000_NS6detail30init_device_scan_by_key_kernelINS1_19lookback_scan_stateINS0_5tupleIJybEEELb1ELb0EEENS1_16block_id_wrapperIjLb1EEEEEvT_jjPNS9_10value_typeET0_,comdat
.Lfunc_end1186:
	.size	_ZN7rocprim17ROCPRIM_400000_NS6detail30init_device_scan_by_key_kernelINS1_19lookback_scan_stateINS0_5tupleIJybEEELb1ELb0EEENS1_16block_id_wrapperIjLb1EEEEEvT_jjPNS9_10value_typeET0_, .Lfunc_end1186-_ZN7rocprim17ROCPRIM_400000_NS6detail30init_device_scan_by_key_kernelINS1_19lookback_scan_stateINS0_5tupleIJybEEELb1ELb0EEENS1_16block_id_wrapperIjLb1EEEEEvT_jjPNS9_10value_typeET0_
                                        ; -- End function
	.set _ZN7rocprim17ROCPRIM_400000_NS6detail30init_device_scan_by_key_kernelINS1_19lookback_scan_stateINS0_5tupleIJybEEELb1ELb0EEENS1_16block_id_wrapperIjLb1EEEEEvT_jjPNS9_10value_typeET0_.num_vgpr, 5
	.set _ZN7rocprim17ROCPRIM_400000_NS6detail30init_device_scan_by_key_kernelINS1_19lookback_scan_stateINS0_5tupleIJybEEELb1ELb0EEENS1_16block_id_wrapperIjLb1EEEEEvT_jjPNS9_10value_typeET0_.num_agpr, 0
	.set _ZN7rocprim17ROCPRIM_400000_NS6detail30init_device_scan_by_key_kernelINS1_19lookback_scan_stateINS0_5tupleIJybEEELb1ELb0EEENS1_16block_id_wrapperIjLb1EEEEEvT_jjPNS9_10value_typeET0_.numbered_sgpr, 18
	.set _ZN7rocprim17ROCPRIM_400000_NS6detail30init_device_scan_by_key_kernelINS1_19lookback_scan_stateINS0_5tupleIJybEEELb1ELb0EEENS1_16block_id_wrapperIjLb1EEEEEvT_jjPNS9_10value_typeET0_.num_named_barrier, 0
	.set _ZN7rocprim17ROCPRIM_400000_NS6detail30init_device_scan_by_key_kernelINS1_19lookback_scan_stateINS0_5tupleIJybEEELb1ELb0EEENS1_16block_id_wrapperIjLb1EEEEEvT_jjPNS9_10value_typeET0_.private_seg_size, 0
	.set _ZN7rocprim17ROCPRIM_400000_NS6detail30init_device_scan_by_key_kernelINS1_19lookback_scan_stateINS0_5tupleIJybEEELb1ELb0EEENS1_16block_id_wrapperIjLb1EEEEEvT_jjPNS9_10value_typeET0_.uses_vcc, 1
	.set _ZN7rocprim17ROCPRIM_400000_NS6detail30init_device_scan_by_key_kernelINS1_19lookback_scan_stateINS0_5tupleIJybEEELb1ELb0EEENS1_16block_id_wrapperIjLb1EEEEEvT_jjPNS9_10value_typeET0_.uses_flat_scratch, 0
	.set _ZN7rocprim17ROCPRIM_400000_NS6detail30init_device_scan_by_key_kernelINS1_19lookback_scan_stateINS0_5tupleIJybEEELb1ELb0EEENS1_16block_id_wrapperIjLb1EEEEEvT_jjPNS9_10value_typeET0_.has_dyn_sized_stack, 0
	.set _ZN7rocprim17ROCPRIM_400000_NS6detail30init_device_scan_by_key_kernelINS1_19lookback_scan_stateINS0_5tupleIJybEEELb1ELb0EEENS1_16block_id_wrapperIjLb1EEEEEvT_jjPNS9_10value_typeET0_.has_recursion, 0
	.set _ZN7rocprim17ROCPRIM_400000_NS6detail30init_device_scan_by_key_kernelINS1_19lookback_scan_stateINS0_5tupleIJybEEELb1ELb0EEENS1_16block_id_wrapperIjLb1EEEEEvT_jjPNS9_10value_typeET0_.has_indirect_call, 0
	.section	.AMDGPU.csdata,"",@progbits
; Kernel info:
; codeLenInByte = 536
; TotalNumSgprs: 20
; NumVgprs: 5
; ScratchSize: 0
; MemoryBound: 0
; FloatMode: 240
; IeeeMode: 1
; LDSByteSize: 0 bytes/workgroup (compile time only)
; SGPRBlocks: 0
; VGPRBlocks: 0
; NumSGPRsForWavesPerEU: 20
; NumVGPRsForWavesPerEU: 5
; NamedBarCnt: 0
; Occupancy: 16
; WaveLimiterHint : 0
; COMPUTE_PGM_RSRC2:SCRATCH_EN: 0
; COMPUTE_PGM_RSRC2:USER_SGPR: 2
; COMPUTE_PGM_RSRC2:TRAP_HANDLER: 0
; COMPUTE_PGM_RSRC2:TGID_X_EN: 1
; COMPUTE_PGM_RSRC2:TGID_Y_EN: 0
; COMPUTE_PGM_RSRC2:TGID_Z_EN: 0
; COMPUTE_PGM_RSRC2:TIDIG_COMP_CNT: 0
	.section	.text._ZN7rocprim17ROCPRIM_400000_NS6detail17trampoline_kernelINS0_14default_configENS1_27scan_by_key_config_selectorIiyEEZZNS1_16scan_by_key_implILNS1_25lookback_scan_determinismE0ELb0ES3_N6thrust23THRUST_200600_302600_NS6detail15normal_iteratorINS9_10device_ptrIiEEEENSB_INSC_IyEEEESG_yNS9_4plusIvEENS9_8equal_toIvEEyEE10hipError_tPvRmT2_T3_T4_T5_mT6_T7_P12ihipStream_tbENKUlT_T0_E_clISt17integral_constantIbLb1EES11_EEDaSW_SX_EUlSW_E_NS1_11comp_targetILNS1_3genE0ELNS1_11target_archE4294967295ELNS1_3gpuE0ELNS1_3repE0EEENS1_30default_config_static_selectorELNS0_4arch9wavefront6targetE0EEEvT1_,"axG",@progbits,_ZN7rocprim17ROCPRIM_400000_NS6detail17trampoline_kernelINS0_14default_configENS1_27scan_by_key_config_selectorIiyEEZZNS1_16scan_by_key_implILNS1_25lookback_scan_determinismE0ELb0ES3_N6thrust23THRUST_200600_302600_NS6detail15normal_iteratorINS9_10device_ptrIiEEEENSB_INSC_IyEEEESG_yNS9_4plusIvEENS9_8equal_toIvEEyEE10hipError_tPvRmT2_T3_T4_T5_mT6_T7_P12ihipStream_tbENKUlT_T0_E_clISt17integral_constantIbLb1EES11_EEDaSW_SX_EUlSW_E_NS1_11comp_targetILNS1_3genE0ELNS1_11target_archE4294967295ELNS1_3gpuE0ELNS1_3repE0EEENS1_30default_config_static_selectorELNS0_4arch9wavefront6targetE0EEEvT1_,comdat
	.protected	_ZN7rocprim17ROCPRIM_400000_NS6detail17trampoline_kernelINS0_14default_configENS1_27scan_by_key_config_selectorIiyEEZZNS1_16scan_by_key_implILNS1_25lookback_scan_determinismE0ELb0ES3_N6thrust23THRUST_200600_302600_NS6detail15normal_iteratorINS9_10device_ptrIiEEEENSB_INSC_IyEEEESG_yNS9_4plusIvEENS9_8equal_toIvEEyEE10hipError_tPvRmT2_T3_T4_T5_mT6_T7_P12ihipStream_tbENKUlT_T0_E_clISt17integral_constantIbLb1EES11_EEDaSW_SX_EUlSW_E_NS1_11comp_targetILNS1_3genE0ELNS1_11target_archE4294967295ELNS1_3gpuE0ELNS1_3repE0EEENS1_30default_config_static_selectorELNS0_4arch9wavefront6targetE0EEEvT1_ ; -- Begin function _ZN7rocprim17ROCPRIM_400000_NS6detail17trampoline_kernelINS0_14default_configENS1_27scan_by_key_config_selectorIiyEEZZNS1_16scan_by_key_implILNS1_25lookback_scan_determinismE0ELb0ES3_N6thrust23THRUST_200600_302600_NS6detail15normal_iteratorINS9_10device_ptrIiEEEENSB_INSC_IyEEEESG_yNS9_4plusIvEENS9_8equal_toIvEEyEE10hipError_tPvRmT2_T3_T4_T5_mT6_T7_P12ihipStream_tbENKUlT_T0_E_clISt17integral_constantIbLb1EES11_EEDaSW_SX_EUlSW_E_NS1_11comp_targetILNS1_3genE0ELNS1_11target_archE4294967295ELNS1_3gpuE0ELNS1_3repE0EEENS1_30default_config_static_selectorELNS0_4arch9wavefront6targetE0EEEvT1_
	.globl	_ZN7rocprim17ROCPRIM_400000_NS6detail17trampoline_kernelINS0_14default_configENS1_27scan_by_key_config_selectorIiyEEZZNS1_16scan_by_key_implILNS1_25lookback_scan_determinismE0ELb0ES3_N6thrust23THRUST_200600_302600_NS6detail15normal_iteratorINS9_10device_ptrIiEEEENSB_INSC_IyEEEESG_yNS9_4plusIvEENS9_8equal_toIvEEyEE10hipError_tPvRmT2_T3_T4_T5_mT6_T7_P12ihipStream_tbENKUlT_T0_E_clISt17integral_constantIbLb1EES11_EEDaSW_SX_EUlSW_E_NS1_11comp_targetILNS1_3genE0ELNS1_11target_archE4294967295ELNS1_3gpuE0ELNS1_3repE0EEENS1_30default_config_static_selectorELNS0_4arch9wavefront6targetE0EEEvT1_
	.p2align	8
	.type	_ZN7rocprim17ROCPRIM_400000_NS6detail17trampoline_kernelINS0_14default_configENS1_27scan_by_key_config_selectorIiyEEZZNS1_16scan_by_key_implILNS1_25lookback_scan_determinismE0ELb0ES3_N6thrust23THRUST_200600_302600_NS6detail15normal_iteratorINS9_10device_ptrIiEEEENSB_INSC_IyEEEESG_yNS9_4plusIvEENS9_8equal_toIvEEyEE10hipError_tPvRmT2_T3_T4_T5_mT6_T7_P12ihipStream_tbENKUlT_T0_E_clISt17integral_constantIbLb1EES11_EEDaSW_SX_EUlSW_E_NS1_11comp_targetILNS1_3genE0ELNS1_11target_archE4294967295ELNS1_3gpuE0ELNS1_3repE0EEENS1_30default_config_static_selectorELNS0_4arch9wavefront6targetE0EEEvT1_,@function
_ZN7rocprim17ROCPRIM_400000_NS6detail17trampoline_kernelINS0_14default_configENS1_27scan_by_key_config_selectorIiyEEZZNS1_16scan_by_key_implILNS1_25lookback_scan_determinismE0ELb0ES3_N6thrust23THRUST_200600_302600_NS6detail15normal_iteratorINS9_10device_ptrIiEEEENSB_INSC_IyEEEESG_yNS9_4plusIvEENS9_8equal_toIvEEyEE10hipError_tPvRmT2_T3_T4_T5_mT6_T7_P12ihipStream_tbENKUlT_T0_E_clISt17integral_constantIbLb1EES11_EEDaSW_SX_EUlSW_E_NS1_11comp_targetILNS1_3genE0ELNS1_11target_archE4294967295ELNS1_3gpuE0ELNS1_3repE0EEENS1_30default_config_static_selectorELNS0_4arch9wavefront6targetE0EEEvT1_: ; @_ZN7rocprim17ROCPRIM_400000_NS6detail17trampoline_kernelINS0_14default_configENS1_27scan_by_key_config_selectorIiyEEZZNS1_16scan_by_key_implILNS1_25lookback_scan_determinismE0ELb0ES3_N6thrust23THRUST_200600_302600_NS6detail15normal_iteratorINS9_10device_ptrIiEEEENSB_INSC_IyEEEESG_yNS9_4plusIvEENS9_8equal_toIvEEyEE10hipError_tPvRmT2_T3_T4_T5_mT6_T7_P12ihipStream_tbENKUlT_T0_E_clISt17integral_constantIbLb1EES11_EEDaSW_SX_EUlSW_E_NS1_11comp_targetILNS1_3genE0ELNS1_11target_archE4294967295ELNS1_3gpuE0ELNS1_3repE0EEENS1_30default_config_static_selectorELNS0_4arch9wavefront6targetE0EEEvT1_
; %bb.0:
	s_endpgm
	.section	.rodata,"a",@progbits
	.p2align	6, 0x0
	.amdhsa_kernel _ZN7rocprim17ROCPRIM_400000_NS6detail17trampoline_kernelINS0_14default_configENS1_27scan_by_key_config_selectorIiyEEZZNS1_16scan_by_key_implILNS1_25lookback_scan_determinismE0ELb0ES3_N6thrust23THRUST_200600_302600_NS6detail15normal_iteratorINS9_10device_ptrIiEEEENSB_INSC_IyEEEESG_yNS9_4plusIvEENS9_8equal_toIvEEyEE10hipError_tPvRmT2_T3_T4_T5_mT6_T7_P12ihipStream_tbENKUlT_T0_E_clISt17integral_constantIbLb1EES11_EEDaSW_SX_EUlSW_E_NS1_11comp_targetILNS1_3genE0ELNS1_11target_archE4294967295ELNS1_3gpuE0ELNS1_3repE0EEENS1_30default_config_static_selectorELNS0_4arch9wavefront6targetE0EEEvT1_
		.amdhsa_group_segment_fixed_size 0
		.amdhsa_private_segment_fixed_size 0
		.amdhsa_kernarg_size 136
		.amdhsa_user_sgpr_count 2
		.amdhsa_user_sgpr_dispatch_ptr 0
		.amdhsa_user_sgpr_queue_ptr 0
		.amdhsa_user_sgpr_kernarg_segment_ptr 1
		.amdhsa_user_sgpr_dispatch_id 0
		.amdhsa_user_sgpr_kernarg_preload_length 0
		.amdhsa_user_sgpr_kernarg_preload_offset 0
		.amdhsa_user_sgpr_private_segment_size 0
		.amdhsa_wavefront_size32 1
		.amdhsa_uses_dynamic_stack 0
		.amdhsa_enable_private_segment 0
		.amdhsa_system_sgpr_workgroup_id_x 1
		.amdhsa_system_sgpr_workgroup_id_y 0
		.amdhsa_system_sgpr_workgroup_id_z 0
		.amdhsa_system_sgpr_workgroup_info 0
		.amdhsa_system_vgpr_workitem_id 0
		.amdhsa_next_free_vgpr 1
		.amdhsa_next_free_sgpr 1
		.amdhsa_named_barrier_count 0
		.amdhsa_reserve_vcc 0
		.amdhsa_float_round_mode_32 0
		.amdhsa_float_round_mode_16_64 0
		.amdhsa_float_denorm_mode_32 3
		.amdhsa_float_denorm_mode_16_64 3
		.amdhsa_fp16_overflow 0
		.amdhsa_memory_ordered 1
		.amdhsa_forward_progress 1
		.amdhsa_inst_pref_size 1
		.amdhsa_round_robin_scheduling 0
		.amdhsa_exception_fp_ieee_invalid_op 0
		.amdhsa_exception_fp_denorm_src 0
		.amdhsa_exception_fp_ieee_div_zero 0
		.amdhsa_exception_fp_ieee_overflow 0
		.amdhsa_exception_fp_ieee_underflow 0
		.amdhsa_exception_fp_ieee_inexact 0
		.amdhsa_exception_int_div_zero 0
	.end_amdhsa_kernel
	.section	.text._ZN7rocprim17ROCPRIM_400000_NS6detail17trampoline_kernelINS0_14default_configENS1_27scan_by_key_config_selectorIiyEEZZNS1_16scan_by_key_implILNS1_25lookback_scan_determinismE0ELb0ES3_N6thrust23THRUST_200600_302600_NS6detail15normal_iteratorINS9_10device_ptrIiEEEENSB_INSC_IyEEEESG_yNS9_4plusIvEENS9_8equal_toIvEEyEE10hipError_tPvRmT2_T3_T4_T5_mT6_T7_P12ihipStream_tbENKUlT_T0_E_clISt17integral_constantIbLb1EES11_EEDaSW_SX_EUlSW_E_NS1_11comp_targetILNS1_3genE0ELNS1_11target_archE4294967295ELNS1_3gpuE0ELNS1_3repE0EEENS1_30default_config_static_selectorELNS0_4arch9wavefront6targetE0EEEvT1_,"axG",@progbits,_ZN7rocprim17ROCPRIM_400000_NS6detail17trampoline_kernelINS0_14default_configENS1_27scan_by_key_config_selectorIiyEEZZNS1_16scan_by_key_implILNS1_25lookback_scan_determinismE0ELb0ES3_N6thrust23THRUST_200600_302600_NS6detail15normal_iteratorINS9_10device_ptrIiEEEENSB_INSC_IyEEEESG_yNS9_4plusIvEENS9_8equal_toIvEEyEE10hipError_tPvRmT2_T3_T4_T5_mT6_T7_P12ihipStream_tbENKUlT_T0_E_clISt17integral_constantIbLb1EES11_EEDaSW_SX_EUlSW_E_NS1_11comp_targetILNS1_3genE0ELNS1_11target_archE4294967295ELNS1_3gpuE0ELNS1_3repE0EEENS1_30default_config_static_selectorELNS0_4arch9wavefront6targetE0EEEvT1_,comdat
.Lfunc_end1187:
	.size	_ZN7rocprim17ROCPRIM_400000_NS6detail17trampoline_kernelINS0_14default_configENS1_27scan_by_key_config_selectorIiyEEZZNS1_16scan_by_key_implILNS1_25lookback_scan_determinismE0ELb0ES3_N6thrust23THRUST_200600_302600_NS6detail15normal_iteratorINS9_10device_ptrIiEEEENSB_INSC_IyEEEESG_yNS9_4plusIvEENS9_8equal_toIvEEyEE10hipError_tPvRmT2_T3_T4_T5_mT6_T7_P12ihipStream_tbENKUlT_T0_E_clISt17integral_constantIbLb1EES11_EEDaSW_SX_EUlSW_E_NS1_11comp_targetILNS1_3genE0ELNS1_11target_archE4294967295ELNS1_3gpuE0ELNS1_3repE0EEENS1_30default_config_static_selectorELNS0_4arch9wavefront6targetE0EEEvT1_, .Lfunc_end1187-_ZN7rocprim17ROCPRIM_400000_NS6detail17trampoline_kernelINS0_14default_configENS1_27scan_by_key_config_selectorIiyEEZZNS1_16scan_by_key_implILNS1_25lookback_scan_determinismE0ELb0ES3_N6thrust23THRUST_200600_302600_NS6detail15normal_iteratorINS9_10device_ptrIiEEEENSB_INSC_IyEEEESG_yNS9_4plusIvEENS9_8equal_toIvEEyEE10hipError_tPvRmT2_T3_T4_T5_mT6_T7_P12ihipStream_tbENKUlT_T0_E_clISt17integral_constantIbLb1EES11_EEDaSW_SX_EUlSW_E_NS1_11comp_targetILNS1_3genE0ELNS1_11target_archE4294967295ELNS1_3gpuE0ELNS1_3repE0EEENS1_30default_config_static_selectorELNS0_4arch9wavefront6targetE0EEEvT1_
                                        ; -- End function
	.set _ZN7rocprim17ROCPRIM_400000_NS6detail17trampoline_kernelINS0_14default_configENS1_27scan_by_key_config_selectorIiyEEZZNS1_16scan_by_key_implILNS1_25lookback_scan_determinismE0ELb0ES3_N6thrust23THRUST_200600_302600_NS6detail15normal_iteratorINS9_10device_ptrIiEEEENSB_INSC_IyEEEESG_yNS9_4plusIvEENS9_8equal_toIvEEyEE10hipError_tPvRmT2_T3_T4_T5_mT6_T7_P12ihipStream_tbENKUlT_T0_E_clISt17integral_constantIbLb1EES11_EEDaSW_SX_EUlSW_E_NS1_11comp_targetILNS1_3genE0ELNS1_11target_archE4294967295ELNS1_3gpuE0ELNS1_3repE0EEENS1_30default_config_static_selectorELNS0_4arch9wavefront6targetE0EEEvT1_.num_vgpr, 0
	.set _ZN7rocprim17ROCPRIM_400000_NS6detail17trampoline_kernelINS0_14default_configENS1_27scan_by_key_config_selectorIiyEEZZNS1_16scan_by_key_implILNS1_25lookback_scan_determinismE0ELb0ES3_N6thrust23THRUST_200600_302600_NS6detail15normal_iteratorINS9_10device_ptrIiEEEENSB_INSC_IyEEEESG_yNS9_4plusIvEENS9_8equal_toIvEEyEE10hipError_tPvRmT2_T3_T4_T5_mT6_T7_P12ihipStream_tbENKUlT_T0_E_clISt17integral_constantIbLb1EES11_EEDaSW_SX_EUlSW_E_NS1_11comp_targetILNS1_3genE0ELNS1_11target_archE4294967295ELNS1_3gpuE0ELNS1_3repE0EEENS1_30default_config_static_selectorELNS0_4arch9wavefront6targetE0EEEvT1_.num_agpr, 0
	.set _ZN7rocprim17ROCPRIM_400000_NS6detail17trampoline_kernelINS0_14default_configENS1_27scan_by_key_config_selectorIiyEEZZNS1_16scan_by_key_implILNS1_25lookback_scan_determinismE0ELb0ES3_N6thrust23THRUST_200600_302600_NS6detail15normal_iteratorINS9_10device_ptrIiEEEENSB_INSC_IyEEEESG_yNS9_4plusIvEENS9_8equal_toIvEEyEE10hipError_tPvRmT2_T3_T4_T5_mT6_T7_P12ihipStream_tbENKUlT_T0_E_clISt17integral_constantIbLb1EES11_EEDaSW_SX_EUlSW_E_NS1_11comp_targetILNS1_3genE0ELNS1_11target_archE4294967295ELNS1_3gpuE0ELNS1_3repE0EEENS1_30default_config_static_selectorELNS0_4arch9wavefront6targetE0EEEvT1_.numbered_sgpr, 0
	.set _ZN7rocprim17ROCPRIM_400000_NS6detail17trampoline_kernelINS0_14default_configENS1_27scan_by_key_config_selectorIiyEEZZNS1_16scan_by_key_implILNS1_25lookback_scan_determinismE0ELb0ES3_N6thrust23THRUST_200600_302600_NS6detail15normal_iteratorINS9_10device_ptrIiEEEENSB_INSC_IyEEEESG_yNS9_4plusIvEENS9_8equal_toIvEEyEE10hipError_tPvRmT2_T3_T4_T5_mT6_T7_P12ihipStream_tbENKUlT_T0_E_clISt17integral_constantIbLb1EES11_EEDaSW_SX_EUlSW_E_NS1_11comp_targetILNS1_3genE0ELNS1_11target_archE4294967295ELNS1_3gpuE0ELNS1_3repE0EEENS1_30default_config_static_selectorELNS0_4arch9wavefront6targetE0EEEvT1_.num_named_barrier, 0
	.set _ZN7rocprim17ROCPRIM_400000_NS6detail17trampoline_kernelINS0_14default_configENS1_27scan_by_key_config_selectorIiyEEZZNS1_16scan_by_key_implILNS1_25lookback_scan_determinismE0ELb0ES3_N6thrust23THRUST_200600_302600_NS6detail15normal_iteratorINS9_10device_ptrIiEEEENSB_INSC_IyEEEESG_yNS9_4plusIvEENS9_8equal_toIvEEyEE10hipError_tPvRmT2_T3_T4_T5_mT6_T7_P12ihipStream_tbENKUlT_T0_E_clISt17integral_constantIbLb1EES11_EEDaSW_SX_EUlSW_E_NS1_11comp_targetILNS1_3genE0ELNS1_11target_archE4294967295ELNS1_3gpuE0ELNS1_3repE0EEENS1_30default_config_static_selectorELNS0_4arch9wavefront6targetE0EEEvT1_.private_seg_size, 0
	.set _ZN7rocprim17ROCPRIM_400000_NS6detail17trampoline_kernelINS0_14default_configENS1_27scan_by_key_config_selectorIiyEEZZNS1_16scan_by_key_implILNS1_25lookback_scan_determinismE0ELb0ES3_N6thrust23THRUST_200600_302600_NS6detail15normal_iteratorINS9_10device_ptrIiEEEENSB_INSC_IyEEEESG_yNS9_4plusIvEENS9_8equal_toIvEEyEE10hipError_tPvRmT2_T3_T4_T5_mT6_T7_P12ihipStream_tbENKUlT_T0_E_clISt17integral_constantIbLb1EES11_EEDaSW_SX_EUlSW_E_NS1_11comp_targetILNS1_3genE0ELNS1_11target_archE4294967295ELNS1_3gpuE0ELNS1_3repE0EEENS1_30default_config_static_selectorELNS0_4arch9wavefront6targetE0EEEvT1_.uses_vcc, 0
	.set _ZN7rocprim17ROCPRIM_400000_NS6detail17trampoline_kernelINS0_14default_configENS1_27scan_by_key_config_selectorIiyEEZZNS1_16scan_by_key_implILNS1_25lookback_scan_determinismE0ELb0ES3_N6thrust23THRUST_200600_302600_NS6detail15normal_iteratorINS9_10device_ptrIiEEEENSB_INSC_IyEEEESG_yNS9_4plusIvEENS9_8equal_toIvEEyEE10hipError_tPvRmT2_T3_T4_T5_mT6_T7_P12ihipStream_tbENKUlT_T0_E_clISt17integral_constantIbLb1EES11_EEDaSW_SX_EUlSW_E_NS1_11comp_targetILNS1_3genE0ELNS1_11target_archE4294967295ELNS1_3gpuE0ELNS1_3repE0EEENS1_30default_config_static_selectorELNS0_4arch9wavefront6targetE0EEEvT1_.uses_flat_scratch, 0
	.set _ZN7rocprim17ROCPRIM_400000_NS6detail17trampoline_kernelINS0_14default_configENS1_27scan_by_key_config_selectorIiyEEZZNS1_16scan_by_key_implILNS1_25lookback_scan_determinismE0ELb0ES3_N6thrust23THRUST_200600_302600_NS6detail15normal_iteratorINS9_10device_ptrIiEEEENSB_INSC_IyEEEESG_yNS9_4plusIvEENS9_8equal_toIvEEyEE10hipError_tPvRmT2_T3_T4_T5_mT6_T7_P12ihipStream_tbENKUlT_T0_E_clISt17integral_constantIbLb1EES11_EEDaSW_SX_EUlSW_E_NS1_11comp_targetILNS1_3genE0ELNS1_11target_archE4294967295ELNS1_3gpuE0ELNS1_3repE0EEENS1_30default_config_static_selectorELNS0_4arch9wavefront6targetE0EEEvT1_.has_dyn_sized_stack, 0
	.set _ZN7rocprim17ROCPRIM_400000_NS6detail17trampoline_kernelINS0_14default_configENS1_27scan_by_key_config_selectorIiyEEZZNS1_16scan_by_key_implILNS1_25lookback_scan_determinismE0ELb0ES3_N6thrust23THRUST_200600_302600_NS6detail15normal_iteratorINS9_10device_ptrIiEEEENSB_INSC_IyEEEESG_yNS9_4plusIvEENS9_8equal_toIvEEyEE10hipError_tPvRmT2_T3_T4_T5_mT6_T7_P12ihipStream_tbENKUlT_T0_E_clISt17integral_constantIbLb1EES11_EEDaSW_SX_EUlSW_E_NS1_11comp_targetILNS1_3genE0ELNS1_11target_archE4294967295ELNS1_3gpuE0ELNS1_3repE0EEENS1_30default_config_static_selectorELNS0_4arch9wavefront6targetE0EEEvT1_.has_recursion, 0
	.set _ZN7rocprim17ROCPRIM_400000_NS6detail17trampoline_kernelINS0_14default_configENS1_27scan_by_key_config_selectorIiyEEZZNS1_16scan_by_key_implILNS1_25lookback_scan_determinismE0ELb0ES3_N6thrust23THRUST_200600_302600_NS6detail15normal_iteratorINS9_10device_ptrIiEEEENSB_INSC_IyEEEESG_yNS9_4plusIvEENS9_8equal_toIvEEyEE10hipError_tPvRmT2_T3_T4_T5_mT6_T7_P12ihipStream_tbENKUlT_T0_E_clISt17integral_constantIbLb1EES11_EEDaSW_SX_EUlSW_E_NS1_11comp_targetILNS1_3genE0ELNS1_11target_archE4294967295ELNS1_3gpuE0ELNS1_3repE0EEENS1_30default_config_static_selectorELNS0_4arch9wavefront6targetE0EEEvT1_.has_indirect_call, 0
	.section	.AMDGPU.csdata,"",@progbits
; Kernel info:
; codeLenInByte = 4
; TotalNumSgprs: 0
; NumVgprs: 0
; ScratchSize: 0
; MemoryBound: 0
; FloatMode: 240
; IeeeMode: 1
; LDSByteSize: 0 bytes/workgroup (compile time only)
; SGPRBlocks: 0
; VGPRBlocks: 0
; NumSGPRsForWavesPerEU: 1
; NumVGPRsForWavesPerEU: 1
; NamedBarCnt: 0
; Occupancy: 16
; WaveLimiterHint : 0
; COMPUTE_PGM_RSRC2:SCRATCH_EN: 0
; COMPUTE_PGM_RSRC2:USER_SGPR: 2
; COMPUTE_PGM_RSRC2:TRAP_HANDLER: 0
; COMPUTE_PGM_RSRC2:TGID_X_EN: 1
; COMPUTE_PGM_RSRC2:TGID_Y_EN: 0
; COMPUTE_PGM_RSRC2:TGID_Z_EN: 0
; COMPUTE_PGM_RSRC2:TIDIG_COMP_CNT: 0
	.section	.text._ZN7rocprim17ROCPRIM_400000_NS6detail17trampoline_kernelINS0_14default_configENS1_27scan_by_key_config_selectorIiyEEZZNS1_16scan_by_key_implILNS1_25lookback_scan_determinismE0ELb0ES3_N6thrust23THRUST_200600_302600_NS6detail15normal_iteratorINS9_10device_ptrIiEEEENSB_INSC_IyEEEESG_yNS9_4plusIvEENS9_8equal_toIvEEyEE10hipError_tPvRmT2_T3_T4_T5_mT6_T7_P12ihipStream_tbENKUlT_T0_E_clISt17integral_constantIbLb1EES11_EEDaSW_SX_EUlSW_E_NS1_11comp_targetILNS1_3genE10ELNS1_11target_archE1201ELNS1_3gpuE5ELNS1_3repE0EEENS1_30default_config_static_selectorELNS0_4arch9wavefront6targetE0EEEvT1_,"axG",@progbits,_ZN7rocprim17ROCPRIM_400000_NS6detail17trampoline_kernelINS0_14default_configENS1_27scan_by_key_config_selectorIiyEEZZNS1_16scan_by_key_implILNS1_25lookback_scan_determinismE0ELb0ES3_N6thrust23THRUST_200600_302600_NS6detail15normal_iteratorINS9_10device_ptrIiEEEENSB_INSC_IyEEEESG_yNS9_4plusIvEENS9_8equal_toIvEEyEE10hipError_tPvRmT2_T3_T4_T5_mT6_T7_P12ihipStream_tbENKUlT_T0_E_clISt17integral_constantIbLb1EES11_EEDaSW_SX_EUlSW_E_NS1_11comp_targetILNS1_3genE10ELNS1_11target_archE1201ELNS1_3gpuE5ELNS1_3repE0EEENS1_30default_config_static_selectorELNS0_4arch9wavefront6targetE0EEEvT1_,comdat
	.protected	_ZN7rocprim17ROCPRIM_400000_NS6detail17trampoline_kernelINS0_14default_configENS1_27scan_by_key_config_selectorIiyEEZZNS1_16scan_by_key_implILNS1_25lookback_scan_determinismE0ELb0ES3_N6thrust23THRUST_200600_302600_NS6detail15normal_iteratorINS9_10device_ptrIiEEEENSB_INSC_IyEEEESG_yNS9_4plusIvEENS9_8equal_toIvEEyEE10hipError_tPvRmT2_T3_T4_T5_mT6_T7_P12ihipStream_tbENKUlT_T0_E_clISt17integral_constantIbLb1EES11_EEDaSW_SX_EUlSW_E_NS1_11comp_targetILNS1_3genE10ELNS1_11target_archE1201ELNS1_3gpuE5ELNS1_3repE0EEENS1_30default_config_static_selectorELNS0_4arch9wavefront6targetE0EEEvT1_ ; -- Begin function _ZN7rocprim17ROCPRIM_400000_NS6detail17trampoline_kernelINS0_14default_configENS1_27scan_by_key_config_selectorIiyEEZZNS1_16scan_by_key_implILNS1_25lookback_scan_determinismE0ELb0ES3_N6thrust23THRUST_200600_302600_NS6detail15normal_iteratorINS9_10device_ptrIiEEEENSB_INSC_IyEEEESG_yNS9_4plusIvEENS9_8equal_toIvEEyEE10hipError_tPvRmT2_T3_T4_T5_mT6_T7_P12ihipStream_tbENKUlT_T0_E_clISt17integral_constantIbLb1EES11_EEDaSW_SX_EUlSW_E_NS1_11comp_targetILNS1_3genE10ELNS1_11target_archE1201ELNS1_3gpuE5ELNS1_3repE0EEENS1_30default_config_static_selectorELNS0_4arch9wavefront6targetE0EEEvT1_
	.globl	_ZN7rocprim17ROCPRIM_400000_NS6detail17trampoline_kernelINS0_14default_configENS1_27scan_by_key_config_selectorIiyEEZZNS1_16scan_by_key_implILNS1_25lookback_scan_determinismE0ELb0ES3_N6thrust23THRUST_200600_302600_NS6detail15normal_iteratorINS9_10device_ptrIiEEEENSB_INSC_IyEEEESG_yNS9_4plusIvEENS9_8equal_toIvEEyEE10hipError_tPvRmT2_T3_T4_T5_mT6_T7_P12ihipStream_tbENKUlT_T0_E_clISt17integral_constantIbLb1EES11_EEDaSW_SX_EUlSW_E_NS1_11comp_targetILNS1_3genE10ELNS1_11target_archE1201ELNS1_3gpuE5ELNS1_3repE0EEENS1_30default_config_static_selectorELNS0_4arch9wavefront6targetE0EEEvT1_
	.p2align	8
	.type	_ZN7rocprim17ROCPRIM_400000_NS6detail17trampoline_kernelINS0_14default_configENS1_27scan_by_key_config_selectorIiyEEZZNS1_16scan_by_key_implILNS1_25lookback_scan_determinismE0ELb0ES3_N6thrust23THRUST_200600_302600_NS6detail15normal_iteratorINS9_10device_ptrIiEEEENSB_INSC_IyEEEESG_yNS9_4plusIvEENS9_8equal_toIvEEyEE10hipError_tPvRmT2_T3_T4_T5_mT6_T7_P12ihipStream_tbENKUlT_T0_E_clISt17integral_constantIbLb1EES11_EEDaSW_SX_EUlSW_E_NS1_11comp_targetILNS1_3genE10ELNS1_11target_archE1201ELNS1_3gpuE5ELNS1_3repE0EEENS1_30default_config_static_selectorELNS0_4arch9wavefront6targetE0EEEvT1_,@function
_ZN7rocprim17ROCPRIM_400000_NS6detail17trampoline_kernelINS0_14default_configENS1_27scan_by_key_config_selectorIiyEEZZNS1_16scan_by_key_implILNS1_25lookback_scan_determinismE0ELb0ES3_N6thrust23THRUST_200600_302600_NS6detail15normal_iteratorINS9_10device_ptrIiEEEENSB_INSC_IyEEEESG_yNS9_4plusIvEENS9_8equal_toIvEEyEE10hipError_tPvRmT2_T3_T4_T5_mT6_T7_P12ihipStream_tbENKUlT_T0_E_clISt17integral_constantIbLb1EES11_EEDaSW_SX_EUlSW_E_NS1_11comp_targetILNS1_3genE10ELNS1_11target_archE1201ELNS1_3gpuE5ELNS1_3repE0EEENS1_30default_config_static_selectorELNS0_4arch9wavefront6targetE0EEEvT1_: ; @_ZN7rocprim17ROCPRIM_400000_NS6detail17trampoline_kernelINS0_14default_configENS1_27scan_by_key_config_selectorIiyEEZZNS1_16scan_by_key_implILNS1_25lookback_scan_determinismE0ELb0ES3_N6thrust23THRUST_200600_302600_NS6detail15normal_iteratorINS9_10device_ptrIiEEEENSB_INSC_IyEEEESG_yNS9_4plusIvEENS9_8equal_toIvEEyEE10hipError_tPvRmT2_T3_T4_T5_mT6_T7_P12ihipStream_tbENKUlT_T0_E_clISt17integral_constantIbLb1EES11_EEDaSW_SX_EUlSW_E_NS1_11comp_targetILNS1_3genE10ELNS1_11target_archE1201ELNS1_3gpuE5ELNS1_3repE0EEENS1_30default_config_static_selectorELNS0_4arch9wavefront6targetE0EEEvT1_
; %bb.0:
	.section	.rodata,"a",@progbits
	.p2align	6, 0x0
	.amdhsa_kernel _ZN7rocprim17ROCPRIM_400000_NS6detail17trampoline_kernelINS0_14default_configENS1_27scan_by_key_config_selectorIiyEEZZNS1_16scan_by_key_implILNS1_25lookback_scan_determinismE0ELb0ES3_N6thrust23THRUST_200600_302600_NS6detail15normal_iteratorINS9_10device_ptrIiEEEENSB_INSC_IyEEEESG_yNS9_4plusIvEENS9_8equal_toIvEEyEE10hipError_tPvRmT2_T3_T4_T5_mT6_T7_P12ihipStream_tbENKUlT_T0_E_clISt17integral_constantIbLb1EES11_EEDaSW_SX_EUlSW_E_NS1_11comp_targetILNS1_3genE10ELNS1_11target_archE1201ELNS1_3gpuE5ELNS1_3repE0EEENS1_30default_config_static_selectorELNS0_4arch9wavefront6targetE0EEEvT1_
		.amdhsa_group_segment_fixed_size 0
		.amdhsa_private_segment_fixed_size 0
		.amdhsa_kernarg_size 136
		.amdhsa_user_sgpr_count 2
		.amdhsa_user_sgpr_dispatch_ptr 0
		.amdhsa_user_sgpr_queue_ptr 0
		.amdhsa_user_sgpr_kernarg_segment_ptr 1
		.amdhsa_user_sgpr_dispatch_id 0
		.amdhsa_user_sgpr_kernarg_preload_length 0
		.amdhsa_user_sgpr_kernarg_preload_offset 0
		.amdhsa_user_sgpr_private_segment_size 0
		.amdhsa_wavefront_size32 1
		.amdhsa_uses_dynamic_stack 0
		.amdhsa_enable_private_segment 0
		.amdhsa_system_sgpr_workgroup_id_x 1
		.amdhsa_system_sgpr_workgroup_id_y 0
		.amdhsa_system_sgpr_workgroup_id_z 0
		.amdhsa_system_sgpr_workgroup_info 0
		.amdhsa_system_vgpr_workitem_id 0
		.amdhsa_next_free_vgpr 1
		.amdhsa_next_free_sgpr 1
		.amdhsa_named_barrier_count 0
		.amdhsa_reserve_vcc 0
		.amdhsa_float_round_mode_32 0
		.amdhsa_float_round_mode_16_64 0
		.amdhsa_float_denorm_mode_32 3
		.amdhsa_float_denorm_mode_16_64 3
		.amdhsa_fp16_overflow 0
		.amdhsa_memory_ordered 1
		.amdhsa_forward_progress 1
		.amdhsa_inst_pref_size 0
		.amdhsa_round_robin_scheduling 0
		.amdhsa_exception_fp_ieee_invalid_op 0
		.amdhsa_exception_fp_denorm_src 0
		.amdhsa_exception_fp_ieee_div_zero 0
		.amdhsa_exception_fp_ieee_overflow 0
		.amdhsa_exception_fp_ieee_underflow 0
		.amdhsa_exception_fp_ieee_inexact 0
		.amdhsa_exception_int_div_zero 0
	.end_amdhsa_kernel
	.section	.text._ZN7rocprim17ROCPRIM_400000_NS6detail17trampoline_kernelINS0_14default_configENS1_27scan_by_key_config_selectorIiyEEZZNS1_16scan_by_key_implILNS1_25lookback_scan_determinismE0ELb0ES3_N6thrust23THRUST_200600_302600_NS6detail15normal_iteratorINS9_10device_ptrIiEEEENSB_INSC_IyEEEESG_yNS9_4plusIvEENS9_8equal_toIvEEyEE10hipError_tPvRmT2_T3_T4_T5_mT6_T7_P12ihipStream_tbENKUlT_T0_E_clISt17integral_constantIbLb1EES11_EEDaSW_SX_EUlSW_E_NS1_11comp_targetILNS1_3genE10ELNS1_11target_archE1201ELNS1_3gpuE5ELNS1_3repE0EEENS1_30default_config_static_selectorELNS0_4arch9wavefront6targetE0EEEvT1_,"axG",@progbits,_ZN7rocprim17ROCPRIM_400000_NS6detail17trampoline_kernelINS0_14default_configENS1_27scan_by_key_config_selectorIiyEEZZNS1_16scan_by_key_implILNS1_25lookback_scan_determinismE0ELb0ES3_N6thrust23THRUST_200600_302600_NS6detail15normal_iteratorINS9_10device_ptrIiEEEENSB_INSC_IyEEEESG_yNS9_4plusIvEENS9_8equal_toIvEEyEE10hipError_tPvRmT2_T3_T4_T5_mT6_T7_P12ihipStream_tbENKUlT_T0_E_clISt17integral_constantIbLb1EES11_EEDaSW_SX_EUlSW_E_NS1_11comp_targetILNS1_3genE10ELNS1_11target_archE1201ELNS1_3gpuE5ELNS1_3repE0EEENS1_30default_config_static_selectorELNS0_4arch9wavefront6targetE0EEEvT1_,comdat
.Lfunc_end1188:
	.size	_ZN7rocprim17ROCPRIM_400000_NS6detail17trampoline_kernelINS0_14default_configENS1_27scan_by_key_config_selectorIiyEEZZNS1_16scan_by_key_implILNS1_25lookback_scan_determinismE0ELb0ES3_N6thrust23THRUST_200600_302600_NS6detail15normal_iteratorINS9_10device_ptrIiEEEENSB_INSC_IyEEEESG_yNS9_4plusIvEENS9_8equal_toIvEEyEE10hipError_tPvRmT2_T3_T4_T5_mT6_T7_P12ihipStream_tbENKUlT_T0_E_clISt17integral_constantIbLb1EES11_EEDaSW_SX_EUlSW_E_NS1_11comp_targetILNS1_3genE10ELNS1_11target_archE1201ELNS1_3gpuE5ELNS1_3repE0EEENS1_30default_config_static_selectorELNS0_4arch9wavefront6targetE0EEEvT1_, .Lfunc_end1188-_ZN7rocprim17ROCPRIM_400000_NS6detail17trampoline_kernelINS0_14default_configENS1_27scan_by_key_config_selectorIiyEEZZNS1_16scan_by_key_implILNS1_25lookback_scan_determinismE0ELb0ES3_N6thrust23THRUST_200600_302600_NS6detail15normal_iteratorINS9_10device_ptrIiEEEENSB_INSC_IyEEEESG_yNS9_4plusIvEENS9_8equal_toIvEEyEE10hipError_tPvRmT2_T3_T4_T5_mT6_T7_P12ihipStream_tbENKUlT_T0_E_clISt17integral_constantIbLb1EES11_EEDaSW_SX_EUlSW_E_NS1_11comp_targetILNS1_3genE10ELNS1_11target_archE1201ELNS1_3gpuE5ELNS1_3repE0EEENS1_30default_config_static_selectorELNS0_4arch9wavefront6targetE0EEEvT1_
                                        ; -- End function
	.set _ZN7rocprim17ROCPRIM_400000_NS6detail17trampoline_kernelINS0_14default_configENS1_27scan_by_key_config_selectorIiyEEZZNS1_16scan_by_key_implILNS1_25lookback_scan_determinismE0ELb0ES3_N6thrust23THRUST_200600_302600_NS6detail15normal_iteratorINS9_10device_ptrIiEEEENSB_INSC_IyEEEESG_yNS9_4plusIvEENS9_8equal_toIvEEyEE10hipError_tPvRmT2_T3_T4_T5_mT6_T7_P12ihipStream_tbENKUlT_T0_E_clISt17integral_constantIbLb1EES11_EEDaSW_SX_EUlSW_E_NS1_11comp_targetILNS1_3genE10ELNS1_11target_archE1201ELNS1_3gpuE5ELNS1_3repE0EEENS1_30default_config_static_selectorELNS0_4arch9wavefront6targetE0EEEvT1_.num_vgpr, 0
	.set _ZN7rocprim17ROCPRIM_400000_NS6detail17trampoline_kernelINS0_14default_configENS1_27scan_by_key_config_selectorIiyEEZZNS1_16scan_by_key_implILNS1_25lookback_scan_determinismE0ELb0ES3_N6thrust23THRUST_200600_302600_NS6detail15normal_iteratorINS9_10device_ptrIiEEEENSB_INSC_IyEEEESG_yNS9_4plusIvEENS9_8equal_toIvEEyEE10hipError_tPvRmT2_T3_T4_T5_mT6_T7_P12ihipStream_tbENKUlT_T0_E_clISt17integral_constantIbLb1EES11_EEDaSW_SX_EUlSW_E_NS1_11comp_targetILNS1_3genE10ELNS1_11target_archE1201ELNS1_3gpuE5ELNS1_3repE0EEENS1_30default_config_static_selectorELNS0_4arch9wavefront6targetE0EEEvT1_.num_agpr, 0
	.set _ZN7rocprim17ROCPRIM_400000_NS6detail17trampoline_kernelINS0_14default_configENS1_27scan_by_key_config_selectorIiyEEZZNS1_16scan_by_key_implILNS1_25lookback_scan_determinismE0ELb0ES3_N6thrust23THRUST_200600_302600_NS6detail15normal_iteratorINS9_10device_ptrIiEEEENSB_INSC_IyEEEESG_yNS9_4plusIvEENS9_8equal_toIvEEyEE10hipError_tPvRmT2_T3_T4_T5_mT6_T7_P12ihipStream_tbENKUlT_T0_E_clISt17integral_constantIbLb1EES11_EEDaSW_SX_EUlSW_E_NS1_11comp_targetILNS1_3genE10ELNS1_11target_archE1201ELNS1_3gpuE5ELNS1_3repE0EEENS1_30default_config_static_selectorELNS0_4arch9wavefront6targetE0EEEvT1_.numbered_sgpr, 0
	.set _ZN7rocprim17ROCPRIM_400000_NS6detail17trampoline_kernelINS0_14default_configENS1_27scan_by_key_config_selectorIiyEEZZNS1_16scan_by_key_implILNS1_25lookback_scan_determinismE0ELb0ES3_N6thrust23THRUST_200600_302600_NS6detail15normal_iteratorINS9_10device_ptrIiEEEENSB_INSC_IyEEEESG_yNS9_4plusIvEENS9_8equal_toIvEEyEE10hipError_tPvRmT2_T3_T4_T5_mT6_T7_P12ihipStream_tbENKUlT_T0_E_clISt17integral_constantIbLb1EES11_EEDaSW_SX_EUlSW_E_NS1_11comp_targetILNS1_3genE10ELNS1_11target_archE1201ELNS1_3gpuE5ELNS1_3repE0EEENS1_30default_config_static_selectorELNS0_4arch9wavefront6targetE0EEEvT1_.num_named_barrier, 0
	.set _ZN7rocprim17ROCPRIM_400000_NS6detail17trampoline_kernelINS0_14default_configENS1_27scan_by_key_config_selectorIiyEEZZNS1_16scan_by_key_implILNS1_25lookback_scan_determinismE0ELb0ES3_N6thrust23THRUST_200600_302600_NS6detail15normal_iteratorINS9_10device_ptrIiEEEENSB_INSC_IyEEEESG_yNS9_4plusIvEENS9_8equal_toIvEEyEE10hipError_tPvRmT2_T3_T4_T5_mT6_T7_P12ihipStream_tbENKUlT_T0_E_clISt17integral_constantIbLb1EES11_EEDaSW_SX_EUlSW_E_NS1_11comp_targetILNS1_3genE10ELNS1_11target_archE1201ELNS1_3gpuE5ELNS1_3repE0EEENS1_30default_config_static_selectorELNS0_4arch9wavefront6targetE0EEEvT1_.private_seg_size, 0
	.set _ZN7rocprim17ROCPRIM_400000_NS6detail17trampoline_kernelINS0_14default_configENS1_27scan_by_key_config_selectorIiyEEZZNS1_16scan_by_key_implILNS1_25lookback_scan_determinismE0ELb0ES3_N6thrust23THRUST_200600_302600_NS6detail15normal_iteratorINS9_10device_ptrIiEEEENSB_INSC_IyEEEESG_yNS9_4plusIvEENS9_8equal_toIvEEyEE10hipError_tPvRmT2_T3_T4_T5_mT6_T7_P12ihipStream_tbENKUlT_T0_E_clISt17integral_constantIbLb1EES11_EEDaSW_SX_EUlSW_E_NS1_11comp_targetILNS1_3genE10ELNS1_11target_archE1201ELNS1_3gpuE5ELNS1_3repE0EEENS1_30default_config_static_selectorELNS0_4arch9wavefront6targetE0EEEvT1_.uses_vcc, 0
	.set _ZN7rocprim17ROCPRIM_400000_NS6detail17trampoline_kernelINS0_14default_configENS1_27scan_by_key_config_selectorIiyEEZZNS1_16scan_by_key_implILNS1_25lookback_scan_determinismE0ELb0ES3_N6thrust23THRUST_200600_302600_NS6detail15normal_iteratorINS9_10device_ptrIiEEEENSB_INSC_IyEEEESG_yNS9_4plusIvEENS9_8equal_toIvEEyEE10hipError_tPvRmT2_T3_T4_T5_mT6_T7_P12ihipStream_tbENKUlT_T0_E_clISt17integral_constantIbLb1EES11_EEDaSW_SX_EUlSW_E_NS1_11comp_targetILNS1_3genE10ELNS1_11target_archE1201ELNS1_3gpuE5ELNS1_3repE0EEENS1_30default_config_static_selectorELNS0_4arch9wavefront6targetE0EEEvT1_.uses_flat_scratch, 0
	.set _ZN7rocprim17ROCPRIM_400000_NS6detail17trampoline_kernelINS0_14default_configENS1_27scan_by_key_config_selectorIiyEEZZNS1_16scan_by_key_implILNS1_25lookback_scan_determinismE0ELb0ES3_N6thrust23THRUST_200600_302600_NS6detail15normal_iteratorINS9_10device_ptrIiEEEENSB_INSC_IyEEEESG_yNS9_4plusIvEENS9_8equal_toIvEEyEE10hipError_tPvRmT2_T3_T4_T5_mT6_T7_P12ihipStream_tbENKUlT_T0_E_clISt17integral_constantIbLb1EES11_EEDaSW_SX_EUlSW_E_NS1_11comp_targetILNS1_3genE10ELNS1_11target_archE1201ELNS1_3gpuE5ELNS1_3repE0EEENS1_30default_config_static_selectorELNS0_4arch9wavefront6targetE0EEEvT1_.has_dyn_sized_stack, 0
	.set _ZN7rocprim17ROCPRIM_400000_NS6detail17trampoline_kernelINS0_14default_configENS1_27scan_by_key_config_selectorIiyEEZZNS1_16scan_by_key_implILNS1_25lookback_scan_determinismE0ELb0ES3_N6thrust23THRUST_200600_302600_NS6detail15normal_iteratorINS9_10device_ptrIiEEEENSB_INSC_IyEEEESG_yNS9_4plusIvEENS9_8equal_toIvEEyEE10hipError_tPvRmT2_T3_T4_T5_mT6_T7_P12ihipStream_tbENKUlT_T0_E_clISt17integral_constantIbLb1EES11_EEDaSW_SX_EUlSW_E_NS1_11comp_targetILNS1_3genE10ELNS1_11target_archE1201ELNS1_3gpuE5ELNS1_3repE0EEENS1_30default_config_static_selectorELNS0_4arch9wavefront6targetE0EEEvT1_.has_recursion, 0
	.set _ZN7rocprim17ROCPRIM_400000_NS6detail17trampoline_kernelINS0_14default_configENS1_27scan_by_key_config_selectorIiyEEZZNS1_16scan_by_key_implILNS1_25lookback_scan_determinismE0ELb0ES3_N6thrust23THRUST_200600_302600_NS6detail15normal_iteratorINS9_10device_ptrIiEEEENSB_INSC_IyEEEESG_yNS9_4plusIvEENS9_8equal_toIvEEyEE10hipError_tPvRmT2_T3_T4_T5_mT6_T7_P12ihipStream_tbENKUlT_T0_E_clISt17integral_constantIbLb1EES11_EEDaSW_SX_EUlSW_E_NS1_11comp_targetILNS1_3genE10ELNS1_11target_archE1201ELNS1_3gpuE5ELNS1_3repE0EEENS1_30default_config_static_selectorELNS0_4arch9wavefront6targetE0EEEvT1_.has_indirect_call, 0
	.section	.AMDGPU.csdata,"",@progbits
; Kernel info:
; codeLenInByte = 0
; TotalNumSgprs: 0
; NumVgprs: 0
; ScratchSize: 0
; MemoryBound: 0
; FloatMode: 240
; IeeeMode: 1
; LDSByteSize: 0 bytes/workgroup (compile time only)
; SGPRBlocks: 0
; VGPRBlocks: 0
; NumSGPRsForWavesPerEU: 1
; NumVGPRsForWavesPerEU: 1
; NamedBarCnt: 0
; Occupancy: 16
; WaveLimiterHint : 0
; COMPUTE_PGM_RSRC2:SCRATCH_EN: 0
; COMPUTE_PGM_RSRC2:USER_SGPR: 2
; COMPUTE_PGM_RSRC2:TRAP_HANDLER: 0
; COMPUTE_PGM_RSRC2:TGID_X_EN: 1
; COMPUTE_PGM_RSRC2:TGID_Y_EN: 0
; COMPUTE_PGM_RSRC2:TGID_Z_EN: 0
; COMPUTE_PGM_RSRC2:TIDIG_COMP_CNT: 0
	.section	.text._ZN7rocprim17ROCPRIM_400000_NS6detail17trampoline_kernelINS0_14default_configENS1_27scan_by_key_config_selectorIiyEEZZNS1_16scan_by_key_implILNS1_25lookback_scan_determinismE0ELb0ES3_N6thrust23THRUST_200600_302600_NS6detail15normal_iteratorINS9_10device_ptrIiEEEENSB_INSC_IyEEEESG_yNS9_4plusIvEENS9_8equal_toIvEEyEE10hipError_tPvRmT2_T3_T4_T5_mT6_T7_P12ihipStream_tbENKUlT_T0_E_clISt17integral_constantIbLb1EES11_EEDaSW_SX_EUlSW_E_NS1_11comp_targetILNS1_3genE5ELNS1_11target_archE942ELNS1_3gpuE9ELNS1_3repE0EEENS1_30default_config_static_selectorELNS0_4arch9wavefront6targetE0EEEvT1_,"axG",@progbits,_ZN7rocprim17ROCPRIM_400000_NS6detail17trampoline_kernelINS0_14default_configENS1_27scan_by_key_config_selectorIiyEEZZNS1_16scan_by_key_implILNS1_25lookback_scan_determinismE0ELb0ES3_N6thrust23THRUST_200600_302600_NS6detail15normal_iteratorINS9_10device_ptrIiEEEENSB_INSC_IyEEEESG_yNS9_4plusIvEENS9_8equal_toIvEEyEE10hipError_tPvRmT2_T3_T4_T5_mT6_T7_P12ihipStream_tbENKUlT_T0_E_clISt17integral_constantIbLb1EES11_EEDaSW_SX_EUlSW_E_NS1_11comp_targetILNS1_3genE5ELNS1_11target_archE942ELNS1_3gpuE9ELNS1_3repE0EEENS1_30default_config_static_selectorELNS0_4arch9wavefront6targetE0EEEvT1_,comdat
	.protected	_ZN7rocprim17ROCPRIM_400000_NS6detail17trampoline_kernelINS0_14default_configENS1_27scan_by_key_config_selectorIiyEEZZNS1_16scan_by_key_implILNS1_25lookback_scan_determinismE0ELb0ES3_N6thrust23THRUST_200600_302600_NS6detail15normal_iteratorINS9_10device_ptrIiEEEENSB_INSC_IyEEEESG_yNS9_4plusIvEENS9_8equal_toIvEEyEE10hipError_tPvRmT2_T3_T4_T5_mT6_T7_P12ihipStream_tbENKUlT_T0_E_clISt17integral_constantIbLb1EES11_EEDaSW_SX_EUlSW_E_NS1_11comp_targetILNS1_3genE5ELNS1_11target_archE942ELNS1_3gpuE9ELNS1_3repE0EEENS1_30default_config_static_selectorELNS0_4arch9wavefront6targetE0EEEvT1_ ; -- Begin function _ZN7rocprim17ROCPRIM_400000_NS6detail17trampoline_kernelINS0_14default_configENS1_27scan_by_key_config_selectorIiyEEZZNS1_16scan_by_key_implILNS1_25lookback_scan_determinismE0ELb0ES3_N6thrust23THRUST_200600_302600_NS6detail15normal_iteratorINS9_10device_ptrIiEEEENSB_INSC_IyEEEESG_yNS9_4plusIvEENS9_8equal_toIvEEyEE10hipError_tPvRmT2_T3_T4_T5_mT6_T7_P12ihipStream_tbENKUlT_T0_E_clISt17integral_constantIbLb1EES11_EEDaSW_SX_EUlSW_E_NS1_11comp_targetILNS1_3genE5ELNS1_11target_archE942ELNS1_3gpuE9ELNS1_3repE0EEENS1_30default_config_static_selectorELNS0_4arch9wavefront6targetE0EEEvT1_
	.globl	_ZN7rocprim17ROCPRIM_400000_NS6detail17trampoline_kernelINS0_14default_configENS1_27scan_by_key_config_selectorIiyEEZZNS1_16scan_by_key_implILNS1_25lookback_scan_determinismE0ELb0ES3_N6thrust23THRUST_200600_302600_NS6detail15normal_iteratorINS9_10device_ptrIiEEEENSB_INSC_IyEEEESG_yNS9_4plusIvEENS9_8equal_toIvEEyEE10hipError_tPvRmT2_T3_T4_T5_mT6_T7_P12ihipStream_tbENKUlT_T0_E_clISt17integral_constantIbLb1EES11_EEDaSW_SX_EUlSW_E_NS1_11comp_targetILNS1_3genE5ELNS1_11target_archE942ELNS1_3gpuE9ELNS1_3repE0EEENS1_30default_config_static_selectorELNS0_4arch9wavefront6targetE0EEEvT1_
	.p2align	8
	.type	_ZN7rocprim17ROCPRIM_400000_NS6detail17trampoline_kernelINS0_14default_configENS1_27scan_by_key_config_selectorIiyEEZZNS1_16scan_by_key_implILNS1_25lookback_scan_determinismE0ELb0ES3_N6thrust23THRUST_200600_302600_NS6detail15normal_iteratorINS9_10device_ptrIiEEEENSB_INSC_IyEEEESG_yNS9_4plusIvEENS9_8equal_toIvEEyEE10hipError_tPvRmT2_T3_T4_T5_mT6_T7_P12ihipStream_tbENKUlT_T0_E_clISt17integral_constantIbLb1EES11_EEDaSW_SX_EUlSW_E_NS1_11comp_targetILNS1_3genE5ELNS1_11target_archE942ELNS1_3gpuE9ELNS1_3repE0EEENS1_30default_config_static_selectorELNS0_4arch9wavefront6targetE0EEEvT1_,@function
_ZN7rocprim17ROCPRIM_400000_NS6detail17trampoline_kernelINS0_14default_configENS1_27scan_by_key_config_selectorIiyEEZZNS1_16scan_by_key_implILNS1_25lookback_scan_determinismE0ELb0ES3_N6thrust23THRUST_200600_302600_NS6detail15normal_iteratorINS9_10device_ptrIiEEEENSB_INSC_IyEEEESG_yNS9_4plusIvEENS9_8equal_toIvEEyEE10hipError_tPvRmT2_T3_T4_T5_mT6_T7_P12ihipStream_tbENKUlT_T0_E_clISt17integral_constantIbLb1EES11_EEDaSW_SX_EUlSW_E_NS1_11comp_targetILNS1_3genE5ELNS1_11target_archE942ELNS1_3gpuE9ELNS1_3repE0EEENS1_30default_config_static_selectorELNS0_4arch9wavefront6targetE0EEEvT1_: ; @_ZN7rocprim17ROCPRIM_400000_NS6detail17trampoline_kernelINS0_14default_configENS1_27scan_by_key_config_selectorIiyEEZZNS1_16scan_by_key_implILNS1_25lookback_scan_determinismE0ELb0ES3_N6thrust23THRUST_200600_302600_NS6detail15normal_iteratorINS9_10device_ptrIiEEEENSB_INSC_IyEEEESG_yNS9_4plusIvEENS9_8equal_toIvEEyEE10hipError_tPvRmT2_T3_T4_T5_mT6_T7_P12ihipStream_tbENKUlT_T0_E_clISt17integral_constantIbLb1EES11_EEDaSW_SX_EUlSW_E_NS1_11comp_targetILNS1_3genE5ELNS1_11target_archE942ELNS1_3gpuE9ELNS1_3repE0EEENS1_30default_config_static_selectorELNS0_4arch9wavefront6targetE0EEEvT1_
; %bb.0:
	.section	.rodata,"a",@progbits
	.p2align	6, 0x0
	.amdhsa_kernel _ZN7rocprim17ROCPRIM_400000_NS6detail17trampoline_kernelINS0_14default_configENS1_27scan_by_key_config_selectorIiyEEZZNS1_16scan_by_key_implILNS1_25lookback_scan_determinismE0ELb0ES3_N6thrust23THRUST_200600_302600_NS6detail15normal_iteratorINS9_10device_ptrIiEEEENSB_INSC_IyEEEESG_yNS9_4plusIvEENS9_8equal_toIvEEyEE10hipError_tPvRmT2_T3_T4_T5_mT6_T7_P12ihipStream_tbENKUlT_T0_E_clISt17integral_constantIbLb1EES11_EEDaSW_SX_EUlSW_E_NS1_11comp_targetILNS1_3genE5ELNS1_11target_archE942ELNS1_3gpuE9ELNS1_3repE0EEENS1_30default_config_static_selectorELNS0_4arch9wavefront6targetE0EEEvT1_
		.amdhsa_group_segment_fixed_size 0
		.amdhsa_private_segment_fixed_size 0
		.amdhsa_kernarg_size 136
		.amdhsa_user_sgpr_count 2
		.amdhsa_user_sgpr_dispatch_ptr 0
		.amdhsa_user_sgpr_queue_ptr 0
		.amdhsa_user_sgpr_kernarg_segment_ptr 1
		.amdhsa_user_sgpr_dispatch_id 0
		.amdhsa_user_sgpr_kernarg_preload_length 0
		.amdhsa_user_sgpr_kernarg_preload_offset 0
		.amdhsa_user_sgpr_private_segment_size 0
		.amdhsa_wavefront_size32 1
		.amdhsa_uses_dynamic_stack 0
		.amdhsa_enable_private_segment 0
		.amdhsa_system_sgpr_workgroup_id_x 1
		.amdhsa_system_sgpr_workgroup_id_y 0
		.amdhsa_system_sgpr_workgroup_id_z 0
		.amdhsa_system_sgpr_workgroup_info 0
		.amdhsa_system_vgpr_workitem_id 0
		.amdhsa_next_free_vgpr 1
		.amdhsa_next_free_sgpr 1
		.amdhsa_named_barrier_count 0
		.amdhsa_reserve_vcc 0
		.amdhsa_float_round_mode_32 0
		.amdhsa_float_round_mode_16_64 0
		.amdhsa_float_denorm_mode_32 3
		.amdhsa_float_denorm_mode_16_64 3
		.amdhsa_fp16_overflow 0
		.amdhsa_memory_ordered 1
		.amdhsa_forward_progress 1
		.amdhsa_inst_pref_size 0
		.amdhsa_round_robin_scheduling 0
		.amdhsa_exception_fp_ieee_invalid_op 0
		.amdhsa_exception_fp_denorm_src 0
		.amdhsa_exception_fp_ieee_div_zero 0
		.amdhsa_exception_fp_ieee_overflow 0
		.amdhsa_exception_fp_ieee_underflow 0
		.amdhsa_exception_fp_ieee_inexact 0
		.amdhsa_exception_int_div_zero 0
	.end_amdhsa_kernel
	.section	.text._ZN7rocprim17ROCPRIM_400000_NS6detail17trampoline_kernelINS0_14default_configENS1_27scan_by_key_config_selectorIiyEEZZNS1_16scan_by_key_implILNS1_25lookback_scan_determinismE0ELb0ES3_N6thrust23THRUST_200600_302600_NS6detail15normal_iteratorINS9_10device_ptrIiEEEENSB_INSC_IyEEEESG_yNS9_4plusIvEENS9_8equal_toIvEEyEE10hipError_tPvRmT2_T3_T4_T5_mT6_T7_P12ihipStream_tbENKUlT_T0_E_clISt17integral_constantIbLb1EES11_EEDaSW_SX_EUlSW_E_NS1_11comp_targetILNS1_3genE5ELNS1_11target_archE942ELNS1_3gpuE9ELNS1_3repE0EEENS1_30default_config_static_selectorELNS0_4arch9wavefront6targetE0EEEvT1_,"axG",@progbits,_ZN7rocprim17ROCPRIM_400000_NS6detail17trampoline_kernelINS0_14default_configENS1_27scan_by_key_config_selectorIiyEEZZNS1_16scan_by_key_implILNS1_25lookback_scan_determinismE0ELb0ES3_N6thrust23THRUST_200600_302600_NS6detail15normal_iteratorINS9_10device_ptrIiEEEENSB_INSC_IyEEEESG_yNS9_4plusIvEENS9_8equal_toIvEEyEE10hipError_tPvRmT2_T3_T4_T5_mT6_T7_P12ihipStream_tbENKUlT_T0_E_clISt17integral_constantIbLb1EES11_EEDaSW_SX_EUlSW_E_NS1_11comp_targetILNS1_3genE5ELNS1_11target_archE942ELNS1_3gpuE9ELNS1_3repE0EEENS1_30default_config_static_selectorELNS0_4arch9wavefront6targetE0EEEvT1_,comdat
.Lfunc_end1189:
	.size	_ZN7rocprim17ROCPRIM_400000_NS6detail17trampoline_kernelINS0_14default_configENS1_27scan_by_key_config_selectorIiyEEZZNS1_16scan_by_key_implILNS1_25lookback_scan_determinismE0ELb0ES3_N6thrust23THRUST_200600_302600_NS6detail15normal_iteratorINS9_10device_ptrIiEEEENSB_INSC_IyEEEESG_yNS9_4plusIvEENS9_8equal_toIvEEyEE10hipError_tPvRmT2_T3_T4_T5_mT6_T7_P12ihipStream_tbENKUlT_T0_E_clISt17integral_constantIbLb1EES11_EEDaSW_SX_EUlSW_E_NS1_11comp_targetILNS1_3genE5ELNS1_11target_archE942ELNS1_3gpuE9ELNS1_3repE0EEENS1_30default_config_static_selectorELNS0_4arch9wavefront6targetE0EEEvT1_, .Lfunc_end1189-_ZN7rocprim17ROCPRIM_400000_NS6detail17trampoline_kernelINS0_14default_configENS1_27scan_by_key_config_selectorIiyEEZZNS1_16scan_by_key_implILNS1_25lookback_scan_determinismE0ELb0ES3_N6thrust23THRUST_200600_302600_NS6detail15normal_iteratorINS9_10device_ptrIiEEEENSB_INSC_IyEEEESG_yNS9_4plusIvEENS9_8equal_toIvEEyEE10hipError_tPvRmT2_T3_T4_T5_mT6_T7_P12ihipStream_tbENKUlT_T0_E_clISt17integral_constantIbLb1EES11_EEDaSW_SX_EUlSW_E_NS1_11comp_targetILNS1_3genE5ELNS1_11target_archE942ELNS1_3gpuE9ELNS1_3repE0EEENS1_30default_config_static_selectorELNS0_4arch9wavefront6targetE0EEEvT1_
                                        ; -- End function
	.set _ZN7rocprim17ROCPRIM_400000_NS6detail17trampoline_kernelINS0_14default_configENS1_27scan_by_key_config_selectorIiyEEZZNS1_16scan_by_key_implILNS1_25lookback_scan_determinismE0ELb0ES3_N6thrust23THRUST_200600_302600_NS6detail15normal_iteratorINS9_10device_ptrIiEEEENSB_INSC_IyEEEESG_yNS9_4plusIvEENS9_8equal_toIvEEyEE10hipError_tPvRmT2_T3_T4_T5_mT6_T7_P12ihipStream_tbENKUlT_T0_E_clISt17integral_constantIbLb1EES11_EEDaSW_SX_EUlSW_E_NS1_11comp_targetILNS1_3genE5ELNS1_11target_archE942ELNS1_3gpuE9ELNS1_3repE0EEENS1_30default_config_static_selectorELNS0_4arch9wavefront6targetE0EEEvT1_.num_vgpr, 0
	.set _ZN7rocprim17ROCPRIM_400000_NS6detail17trampoline_kernelINS0_14default_configENS1_27scan_by_key_config_selectorIiyEEZZNS1_16scan_by_key_implILNS1_25lookback_scan_determinismE0ELb0ES3_N6thrust23THRUST_200600_302600_NS6detail15normal_iteratorINS9_10device_ptrIiEEEENSB_INSC_IyEEEESG_yNS9_4plusIvEENS9_8equal_toIvEEyEE10hipError_tPvRmT2_T3_T4_T5_mT6_T7_P12ihipStream_tbENKUlT_T0_E_clISt17integral_constantIbLb1EES11_EEDaSW_SX_EUlSW_E_NS1_11comp_targetILNS1_3genE5ELNS1_11target_archE942ELNS1_3gpuE9ELNS1_3repE0EEENS1_30default_config_static_selectorELNS0_4arch9wavefront6targetE0EEEvT1_.num_agpr, 0
	.set _ZN7rocprim17ROCPRIM_400000_NS6detail17trampoline_kernelINS0_14default_configENS1_27scan_by_key_config_selectorIiyEEZZNS1_16scan_by_key_implILNS1_25lookback_scan_determinismE0ELb0ES3_N6thrust23THRUST_200600_302600_NS6detail15normal_iteratorINS9_10device_ptrIiEEEENSB_INSC_IyEEEESG_yNS9_4plusIvEENS9_8equal_toIvEEyEE10hipError_tPvRmT2_T3_T4_T5_mT6_T7_P12ihipStream_tbENKUlT_T0_E_clISt17integral_constantIbLb1EES11_EEDaSW_SX_EUlSW_E_NS1_11comp_targetILNS1_3genE5ELNS1_11target_archE942ELNS1_3gpuE9ELNS1_3repE0EEENS1_30default_config_static_selectorELNS0_4arch9wavefront6targetE0EEEvT1_.numbered_sgpr, 0
	.set _ZN7rocprim17ROCPRIM_400000_NS6detail17trampoline_kernelINS0_14default_configENS1_27scan_by_key_config_selectorIiyEEZZNS1_16scan_by_key_implILNS1_25lookback_scan_determinismE0ELb0ES3_N6thrust23THRUST_200600_302600_NS6detail15normal_iteratorINS9_10device_ptrIiEEEENSB_INSC_IyEEEESG_yNS9_4plusIvEENS9_8equal_toIvEEyEE10hipError_tPvRmT2_T3_T4_T5_mT6_T7_P12ihipStream_tbENKUlT_T0_E_clISt17integral_constantIbLb1EES11_EEDaSW_SX_EUlSW_E_NS1_11comp_targetILNS1_3genE5ELNS1_11target_archE942ELNS1_3gpuE9ELNS1_3repE0EEENS1_30default_config_static_selectorELNS0_4arch9wavefront6targetE0EEEvT1_.num_named_barrier, 0
	.set _ZN7rocprim17ROCPRIM_400000_NS6detail17trampoline_kernelINS0_14default_configENS1_27scan_by_key_config_selectorIiyEEZZNS1_16scan_by_key_implILNS1_25lookback_scan_determinismE0ELb0ES3_N6thrust23THRUST_200600_302600_NS6detail15normal_iteratorINS9_10device_ptrIiEEEENSB_INSC_IyEEEESG_yNS9_4plusIvEENS9_8equal_toIvEEyEE10hipError_tPvRmT2_T3_T4_T5_mT6_T7_P12ihipStream_tbENKUlT_T0_E_clISt17integral_constantIbLb1EES11_EEDaSW_SX_EUlSW_E_NS1_11comp_targetILNS1_3genE5ELNS1_11target_archE942ELNS1_3gpuE9ELNS1_3repE0EEENS1_30default_config_static_selectorELNS0_4arch9wavefront6targetE0EEEvT1_.private_seg_size, 0
	.set _ZN7rocprim17ROCPRIM_400000_NS6detail17trampoline_kernelINS0_14default_configENS1_27scan_by_key_config_selectorIiyEEZZNS1_16scan_by_key_implILNS1_25lookback_scan_determinismE0ELb0ES3_N6thrust23THRUST_200600_302600_NS6detail15normal_iteratorINS9_10device_ptrIiEEEENSB_INSC_IyEEEESG_yNS9_4plusIvEENS9_8equal_toIvEEyEE10hipError_tPvRmT2_T3_T4_T5_mT6_T7_P12ihipStream_tbENKUlT_T0_E_clISt17integral_constantIbLb1EES11_EEDaSW_SX_EUlSW_E_NS1_11comp_targetILNS1_3genE5ELNS1_11target_archE942ELNS1_3gpuE9ELNS1_3repE0EEENS1_30default_config_static_selectorELNS0_4arch9wavefront6targetE0EEEvT1_.uses_vcc, 0
	.set _ZN7rocprim17ROCPRIM_400000_NS6detail17trampoline_kernelINS0_14default_configENS1_27scan_by_key_config_selectorIiyEEZZNS1_16scan_by_key_implILNS1_25lookback_scan_determinismE0ELb0ES3_N6thrust23THRUST_200600_302600_NS6detail15normal_iteratorINS9_10device_ptrIiEEEENSB_INSC_IyEEEESG_yNS9_4plusIvEENS9_8equal_toIvEEyEE10hipError_tPvRmT2_T3_T4_T5_mT6_T7_P12ihipStream_tbENKUlT_T0_E_clISt17integral_constantIbLb1EES11_EEDaSW_SX_EUlSW_E_NS1_11comp_targetILNS1_3genE5ELNS1_11target_archE942ELNS1_3gpuE9ELNS1_3repE0EEENS1_30default_config_static_selectorELNS0_4arch9wavefront6targetE0EEEvT1_.uses_flat_scratch, 0
	.set _ZN7rocprim17ROCPRIM_400000_NS6detail17trampoline_kernelINS0_14default_configENS1_27scan_by_key_config_selectorIiyEEZZNS1_16scan_by_key_implILNS1_25lookback_scan_determinismE0ELb0ES3_N6thrust23THRUST_200600_302600_NS6detail15normal_iteratorINS9_10device_ptrIiEEEENSB_INSC_IyEEEESG_yNS9_4plusIvEENS9_8equal_toIvEEyEE10hipError_tPvRmT2_T3_T4_T5_mT6_T7_P12ihipStream_tbENKUlT_T0_E_clISt17integral_constantIbLb1EES11_EEDaSW_SX_EUlSW_E_NS1_11comp_targetILNS1_3genE5ELNS1_11target_archE942ELNS1_3gpuE9ELNS1_3repE0EEENS1_30default_config_static_selectorELNS0_4arch9wavefront6targetE0EEEvT1_.has_dyn_sized_stack, 0
	.set _ZN7rocprim17ROCPRIM_400000_NS6detail17trampoline_kernelINS0_14default_configENS1_27scan_by_key_config_selectorIiyEEZZNS1_16scan_by_key_implILNS1_25lookback_scan_determinismE0ELb0ES3_N6thrust23THRUST_200600_302600_NS6detail15normal_iteratorINS9_10device_ptrIiEEEENSB_INSC_IyEEEESG_yNS9_4plusIvEENS9_8equal_toIvEEyEE10hipError_tPvRmT2_T3_T4_T5_mT6_T7_P12ihipStream_tbENKUlT_T0_E_clISt17integral_constantIbLb1EES11_EEDaSW_SX_EUlSW_E_NS1_11comp_targetILNS1_3genE5ELNS1_11target_archE942ELNS1_3gpuE9ELNS1_3repE0EEENS1_30default_config_static_selectorELNS0_4arch9wavefront6targetE0EEEvT1_.has_recursion, 0
	.set _ZN7rocprim17ROCPRIM_400000_NS6detail17trampoline_kernelINS0_14default_configENS1_27scan_by_key_config_selectorIiyEEZZNS1_16scan_by_key_implILNS1_25lookback_scan_determinismE0ELb0ES3_N6thrust23THRUST_200600_302600_NS6detail15normal_iteratorINS9_10device_ptrIiEEEENSB_INSC_IyEEEESG_yNS9_4plusIvEENS9_8equal_toIvEEyEE10hipError_tPvRmT2_T3_T4_T5_mT6_T7_P12ihipStream_tbENKUlT_T0_E_clISt17integral_constantIbLb1EES11_EEDaSW_SX_EUlSW_E_NS1_11comp_targetILNS1_3genE5ELNS1_11target_archE942ELNS1_3gpuE9ELNS1_3repE0EEENS1_30default_config_static_selectorELNS0_4arch9wavefront6targetE0EEEvT1_.has_indirect_call, 0
	.section	.AMDGPU.csdata,"",@progbits
; Kernel info:
; codeLenInByte = 0
; TotalNumSgprs: 0
; NumVgprs: 0
; ScratchSize: 0
; MemoryBound: 0
; FloatMode: 240
; IeeeMode: 1
; LDSByteSize: 0 bytes/workgroup (compile time only)
; SGPRBlocks: 0
; VGPRBlocks: 0
; NumSGPRsForWavesPerEU: 1
; NumVGPRsForWavesPerEU: 1
; NamedBarCnt: 0
; Occupancy: 16
; WaveLimiterHint : 0
; COMPUTE_PGM_RSRC2:SCRATCH_EN: 0
; COMPUTE_PGM_RSRC2:USER_SGPR: 2
; COMPUTE_PGM_RSRC2:TRAP_HANDLER: 0
; COMPUTE_PGM_RSRC2:TGID_X_EN: 1
; COMPUTE_PGM_RSRC2:TGID_Y_EN: 0
; COMPUTE_PGM_RSRC2:TGID_Z_EN: 0
; COMPUTE_PGM_RSRC2:TIDIG_COMP_CNT: 0
	.section	.text._ZN7rocprim17ROCPRIM_400000_NS6detail17trampoline_kernelINS0_14default_configENS1_27scan_by_key_config_selectorIiyEEZZNS1_16scan_by_key_implILNS1_25lookback_scan_determinismE0ELb0ES3_N6thrust23THRUST_200600_302600_NS6detail15normal_iteratorINS9_10device_ptrIiEEEENSB_INSC_IyEEEESG_yNS9_4plusIvEENS9_8equal_toIvEEyEE10hipError_tPvRmT2_T3_T4_T5_mT6_T7_P12ihipStream_tbENKUlT_T0_E_clISt17integral_constantIbLb1EES11_EEDaSW_SX_EUlSW_E_NS1_11comp_targetILNS1_3genE4ELNS1_11target_archE910ELNS1_3gpuE8ELNS1_3repE0EEENS1_30default_config_static_selectorELNS0_4arch9wavefront6targetE0EEEvT1_,"axG",@progbits,_ZN7rocprim17ROCPRIM_400000_NS6detail17trampoline_kernelINS0_14default_configENS1_27scan_by_key_config_selectorIiyEEZZNS1_16scan_by_key_implILNS1_25lookback_scan_determinismE0ELb0ES3_N6thrust23THRUST_200600_302600_NS6detail15normal_iteratorINS9_10device_ptrIiEEEENSB_INSC_IyEEEESG_yNS9_4plusIvEENS9_8equal_toIvEEyEE10hipError_tPvRmT2_T3_T4_T5_mT6_T7_P12ihipStream_tbENKUlT_T0_E_clISt17integral_constantIbLb1EES11_EEDaSW_SX_EUlSW_E_NS1_11comp_targetILNS1_3genE4ELNS1_11target_archE910ELNS1_3gpuE8ELNS1_3repE0EEENS1_30default_config_static_selectorELNS0_4arch9wavefront6targetE0EEEvT1_,comdat
	.protected	_ZN7rocprim17ROCPRIM_400000_NS6detail17trampoline_kernelINS0_14default_configENS1_27scan_by_key_config_selectorIiyEEZZNS1_16scan_by_key_implILNS1_25lookback_scan_determinismE0ELb0ES3_N6thrust23THRUST_200600_302600_NS6detail15normal_iteratorINS9_10device_ptrIiEEEENSB_INSC_IyEEEESG_yNS9_4plusIvEENS9_8equal_toIvEEyEE10hipError_tPvRmT2_T3_T4_T5_mT6_T7_P12ihipStream_tbENKUlT_T0_E_clISt17integral_constantIbLb1EES11_EEDaSW_SX_EUlSW_E_NS1_11comp_targetILNS1_3genE4ELNS1_11target_archE910ELNS1_3gpuE8ELNS1_3repE0EEENS1_30default_config_static_selectorELNS0_4arch9wavefront6targetE0EEEvT1_ ; -- Begin function _ZN7rocprim17ROCPRIM_400000_NS6detail17trampoline_kernelINS0_14default_configENS1_27scan_by_key_config_selectorIiyEEZZNS1_16scan_by_key_implILNS1_25lookback_scan_determinismE0ELb0ES3_N6thrust23THRUST_200600_302600_NS6detail15normal_iteratorINS9_10device_ptrIiEEEENSB_INSC_IyEEEESG_yNS9_4plusIvEENS9_8equal_toIvEEyEE10hipError_tPvRmT2_T3_T4_T5_mT6_T7_P12ihipStream_tbENKUlT_T0_E_clISt17integral_constantIbLb1EES11_EEDaSW_SX_EUlSW_E_NS1_11comp_targetILNS1_3genE4ELNS1_11target_archE910ELNS1_3gpuE8ELNS1_3repE0EEENS1_30default_config_static_selectorELNS0_4arch9wavefront6targetE0EEEvT1_
	.globl	_ZN7rocprim17ROCPRIM_400000_NS6detail17trampoline_kernelINS0_14default_configENS1_27scan_by_key_config_selectorIiyEEZZNS1_16scan_by_key_implILNS1_25lookback_scan_determinismE0ELb0ES3_N6thrust23THRUST_200600_302600_NS6detail15normal_iteratorINS9_10device_ptrIiEEEENSB_INSC_IyEEEESG_yNS9_4plusIvEENS9_8equal_toIvEEyEE10hipError_tPvRmT2_T3_T4_T5_mT6_T7_P12ihipStream_tbENKUlT_T0_E_clISt17integral_constantIbLb1EES11_EEDaSW_SX_EUlSW_E_NS1_11comp_targetILNS1_3genE4ELNS1_11target_archE910ELNS1_3gpuE8ELNS1_3repE0EEENS1_30default_config_static_selectorELNS0_4arch9wavefront6targetE0EEEvT1_
	.p2align	8
	.type	_ZN7rocprim17ROCPRIM_400000_NS6detail17trampoline_kernelINS0_14default_configENS1_27scan_by_key_config_selectorIiyEEZZNS1_16scan_by_key_implILNS1_25lookback_scan_determinismE0ELb0ES3_N6thrust23THRUST_200600_302600_NS6detail15normal_iteratorINS9_10device_ptrIiEEEENSB_INSC_IyEEEESG_yNS9_4plusIvEENS9_8equal_toIvEEyEE10hipError_tPvRmT2_T3_T4_T5_mT6_T7_P12ihipStream_tbENKUlT_T0_E_clISt17integral_constantIbLb1EES11_EEDaSW_SX_EUlSW_E_NS1_11comp_targetILNS1_3genE4ELNS1_11target_archE910ELNS1_3gpuE8ELNS1_3repE0EEENS1_30default_config_static_selectorELNS0_4arch9wavefront6targetE0EEEvT1_,@function
_ZN7rocprim17ROCPRIM_400000_NS6detail17trampoline_kernelINS0_14default_configENS1_27scan_by_key_config_selectorIiyEEZZNS1_16scan_by_key_implILNS1_25lookback_scan_determinismE0ELb0ES3_N6thrust23THRUST_200600_302600_NS6detail15normal_iteratorINS9_10device_ptrIiEEEENSB_INSC_IyEEEESG_yNS9_4plusIvEENS9_8equal_toIvEEyEE10hipError_tPvRmT2_T3_T4_T5_mT6_T7_P12ihipStream_tbENKUlT_T0_E_clISt17integral_constantIbLb1EES11_EEDaSW_SX_EUlSW_E_NS1_11comp_targetILNS1_3genE4ELNS1_11target_archE910ELNS1_3gpuE8ELNS1_3repE0EEENS1_30default_config_static_selectorELNS0_4arch9wavefront6targetE0EEEvT1_: ; @_ZN7rocprim17ROCPRIM_400000_NS6detail17trampoline_kernelINS0_14default_configENS1_27scan_by_key_config_selectorIiyEEZZNS1_16scan_by_key_implILNS1_25lookback_scan_determinismE0ELb0ES3_N6thrust23THRUST_200600_302600_NS6detail15normal_iteratorINS9_10device_ptrIiEEEENSB_INSC_IyEEEESG_yNS9_4plusIvEENS9_8equal_toIvEEyEE10hipError_tPvRmT2_T3_T4_T5_mT6_T7_P12ihipStream_tbENKUlT_T0_E_clISt17integral_constantIbLb1EES11_EEDaSW_SX_EUlSW_E_NS1_11comp_targetILNS1_3genE4ELNS1_11target_archE910ELNS1_3gpuE8ELNS1_3repE0EEENS1_30default_config_static_selectorELNS0_4arch9wavefront6targetE0EEEvT1_
; %bb.0:
	.section	.rodata,"a",@progbits
	.p2align	6, 0x0
	.amdhsa_kernel _ZN7rocprim17ROCPRIM_400000_NS6detail17trampoline_kernelINS0_14default_configENS1_27scan_by_key_config_selectorIiyEEZZNS1_16scan_by_key_implILNS1_25lookback_scan_determinismE0ELb0ES3_N6thrust23THRUST_200600_302600_NS6detail15normal_iteratorINS9_10device_ptrIiEEEENSB_INSC_IyEEEESG_yNS9_4plusIvEENS9_8equal_toIvEEyEE10hipError_tPvRmT2_T3_T4_T5_mT6_T7_P12ihipStream_tbENKUlT_T0_E_clISt17integral_constantIbLb1EES11_EEDaSW_SX_EUlSW_E_NS1_11comp_targetILNS1_3genE4ELNS1_11target_archE910ELNS1_3gpuE8ELNS1_3repE0EEENS1_30default_config_static_selectorELNS0_4arch9wavefront6targetE0EEEvT1_
		.amdhsa_group_segment_fixed_size 0
		.amdhsa_private_segment_fixed_size 0
		.amdhsa_kernarg_size 136
		.amdhsa_user_sgpr_count 2
		.amdhsa_user_sgpr_dispatch_ptr 0
		.amdhsa_user_sgpr_queue_ptr 0
		.amdhsa_user_sgpr_kernarg_segment_ptr 1
		.amdhsa_user_sgpr_dispatch_id 0
		.amdhsa_user_sgpr_kernarg_preload_length 0
		.amdhsa_user_sgpr_kernarg_preload_offset 0
		.amdhsa_user_sgpr_private_segment_size 0
		.amdhsa_wavefront_size32 1
		.amdhsa_uses_dynamic_stack 0
		.amdhsa_enable_private_segment 0
		.amdhsa_system_sgpr_workgroup_id_x 1
		.amdhsa_system_sgpr_workgroup_id_y 0
		.amdhsa_system_sgpr_workgroup_id_z 0
		.amdhsa_system_sgpr_workgroup_info 0
		.amdhsa_system_vgpr_workitem_id 0
		.amdhsa_next_free_vgpr 1
		.amdhsa_next_free_sgpr 1
		.amdhsa_named_barrier_count 0
		.amdhsa_reserve_vcc 0
		.amdhsa_float_round_mode_32 0
		.amdhsa_float_round_mode_16_64 0
		.amdhsa_float_denorm_mode_32 3
		.amdhsa_float_denorm_mode_16_64 3
		.amdhsa_fp16_overflow 0
		.amdhsa_memory_ordered 1
		.amdhsa_forward_progress 1
		.amdhsa_inst_pref_size 0
		.amdhsa_round_robin_scheduling 0
		.amdhsa_exception_fp_ieee_invalid_op 0
		.amdhsa_exception_fp_denorm_src 0
		.amdhsa_exception_fp_ieee_div_zero 0
		.amdhsa_exception_fp_ieee_overflow 0
		.amdhsa_exception_fp_ieee_underflow 0
		.amdhsa_exception_fp_ieee_inexact 0
		.amdhsa_exception_int_div_zero 0
	.end_amdhsa_kernel
	.section	.text._ZN7rocprim17ROCPRIM_400000_NS6detail17trampoline_kernelINS0_14default_configENS1_27scan_by_key_config_selectorIiyEEZZNS1_16scan_by_key_implILNS1_25lookback_scan_determinismE0ELb0ES3_N6thrust23THRUST_200600_302600_NS6detail15normal_iteratorINS9_10device_ptrIiEEEENSB_INSC_IyEEEESG_yNS9_4plusIvEENS9_8equal_toIvEEyEE10hipError_tPvRmT2_T3_T4_T5_mT6_T7_P12ihipStream_tbENKUlT_T0_E_clISt17integral_constantIbLb1EES11_EEDaSW_SX_EUlSW_E_NS1_11comp_targetILNS1_3genE4ELNS1_11target_archE910ELNS1_3gpuE8ELNS1_3repE0EEENS1_30default_config_static_selectorELNS0_4arch9wavefront6targetE0EEEvT1_,"axG",@progbits,_ZN7rocprim17ROCPRIM_400000_NS6detail17trampoline_kernelINS0_14default_configENS1_27scan_by_key_config_selectorIiyEEZZNS1_16scan_by_key_implILNS1_25lookback_scan_determinismE0ELb0ES3_N6thrust23THRUST_200600_302600_NS6detail15normal_iteratorINS9_10device_ptrIiEEEENSB_INSC_IyEEEESG_yNS9_4plusIvEENS9_8equal_toIvEEyEE10hipError_tPvRmT2_T3_T4_T5_mT6_T7_P12ihipStream_tbENKUlT_T0_E_clISt17integral_constantIbLb1EES11_EEDaSW_SX_EUlSW_E_NS1_11comp_targetILNS1_3genE4ELNS1_11target_archE910ELNS1_3gpuE8ELNS1_3repE0EEENS1_30default_config_static_selectorELNS0_4arch9wavefront6targetE0EEEvT1_,comdat
.Lfunc_end1190:
	.size	_ZN7rocprim17ROCPRIM_400000_NS6detail17trampoline_kernelINS0_14default_configENS1_27scan_by_key_config_selectorIiyEEZZNS1_16scan_by_key_implILNS1_25lookback_scan_determinismE0ELb0ES3_N6thrust23THRUST_200600_302600_NS6detail15normal_iteratorINS9_10device_ptrIiEEEENSB_INSC_IyEEEESG_yNS9_4plusIvEENS9_8equal_toIvEEyEE10hipError_tPvRmT2_T3_T4_T5_mT6_T7_P12ihipStream_tbENKUlT_T0_E_clISt17integral_constantIbLb1EES11_EEDaSW_SX_EUlSW_E_NS1_11comp_targetILNS1_3genE4ELNS1_11target_archE910ELNS1_3gpuE8ELNS1_3repE0EEENS1_30default_config_static_selectorELNS0_4arch9wavefront6targetE0EEEvT1_, .Lfunc_end1190-_ZN7rocprim17ROCPRIM_400000_NS6detail17trampoline_kernelINS0_14default_configENS1_27scan_by_key_config_selectorIiyEEZZNS1_16scan_by_key_implILNS1_25lookback_scan_determinismE0ELb0ES3_N6thrust23THRUST_200600_302600_NS6detail15normal_iteratorINS9_10device_ptrIiEEEENSB_INSC_IyEEEESG_yNS9_4plusIvEENS9_8equal_toIvEEyEE10hipError_tPvRmT2_T3_T4_T5_mT6_T7_P12ihipStream_tbENKUlT_T0_E_clISt17integral_constantIbLb1EES11_EEDaSW_SX_EUlSW_E_NS1_11comp_targetILNS1_3genE4ELNS1_11target_archE910ELNS1_3gpuE8ELNS1_3repE0EEENS1_30default_config_static_selectorELNS0_4arch9wavefront6targetE0EEEvT1_
                                        ; -- End function
	.set _ZN7rocprim17ROCPRIM_400000_NS6detail17trampoline_kernelINS0_14default_configENS1_27scan_by_key_config_selectorIiyEEZZNS1_16scan_by_key_implILNS1_25lookback_scan_determinismE0ELb0ES3_N6thrust23THRUST_200600_302600_NS6detail15normal_iteratorINS9_10device_ptrIiEEEENSB_INSC_IyEEEESG_yNS9_4plusIvEENS9_8equal_toIvEEyEE10hipError_tPvRmT2_T3_T4_T5_mT6_T7_P12ihipStream_tbENKUlT_T0_E_clISt17integral_constantIbLb1EES11_EEDaSW_SX_EUlSW_E_NS1_11comp_targetILNS1_3genE4ELNS1_11target_archE910ELNS1_3gpuE8ELNS1_3repE0EEENS1_30default_config_static_selectorELNS0_4arch9wavefront6targetE0EEEvT1_.num_vgpr, 0
	.set _ZN7rocprim17ROCPRIM_400000_NS6detail17trampoline_kernelINS0_14default_configENS1_27scan_by_key_config_selectorIiyEEZZNS1_16scan_by_key_implILNS1_25lookback_scan_determinismE0ELb0ES3_N6thrust23THRUST_200600_302600_NS6detail15normal_iteratorINS9_10device_ptrIiEEEENSB_INSC_IyEEEESG_yNS9_4plusIvEENS9_8equal_toIvEEyEE10hipError_tPvRmT2_T3_T4_T5_mT6_T7_P12ihipStream_tbENKUlT_T0_E_clISt17integral_constantIbLb1EES11_EEDaSW_SX_EUlSW_E_NS1_11comp_targetILNS1_3genE4ELNS1_11target_archE910ELNS1_3gpuE8ELNS1_3repE0EEENS1_30default_config_static_selectorELNS0_4arch9wavefront6targetE0EEEvT1_.num_agpr, 0
	.set _ZN7rocprim17ROCPRIM_400000_NS6detail17trampoline_kernelINS0_14default_configENS1_27scan_by_key_config_selectorIiyEEZZNS1_16scan_by_key_implILNS1_25lookback_scan_determinismE0ELb0ES3_N6thrust23THRUST_200600_302600_NS6detail15normal_iteratorINS9_10device_ptrIiEEEENSB_INSC_IyEEEESG_yNS9_4plusIvEENS9_8equal_toIvEEyEE10hipError_tPvRmT2_T3_T4_T5_mT6_T7_P12ihipStream_tbENKUlT_T0_E_clISt17integral_constantIbLb1EES11_EEDaSW_SX_EUlSW_E_NS1_11comp_targetILNS1_3genE4ELNS1_11target_archE910ELNS1_3gpuE8ELNS1_3repE0EEENS1_30default_config_static_selectorELNS0_4arch9wavefront6targetE0EEEvT1_.numbered_sgpr, 0
	.set _ZN7rocprim17ROCPRIM_400000_NS6detail17trampoline_kernelINS0_14default_configENS1_27scan_by_key_config_selectorIiyEEZZNS1_16scan_by_key_implILNS1_25lookback_scan_determinismE0ELb0ES3_N6thrust23THRUST_200600_302600_NS6detail15normal_iteratorINS9_10device_ptrIiEEEENSB_INSC_IyEEEESG_yNS9_4plusIvEENS9_8equal_toIvEEyEE10hipError_tPvRmT2_T3_T4_T5_mT6_T7_P12ihipStream_tbENKUlT_T0_E_clISt17integral_constantIbLb1EES11_EEDaSW_SX_EUlSW_E_NS1_11comp_targetILNS1_3genE4ELNS1_11target_archE910ELNS1_3gpuE8ELNS1_3repE0EEENS1_30default_config_static_selectorELNS0_4arch9wavefront6targetE0EEEvT1_.num_named_barrier, 0
	.set _ZN7rocprim17ROCPRIM_400000_NS6detail17trampoline_kernelINS0_14default_configENS1_27scan_by_key_config_selectorIiyEEZZNS1_16scan_by_key_implILNS1_25lookback_scan_determinismE0ELb0ES3_N6thrust23THRUST_200600_302600_NS6detail15normal_iteratorINS9_10device_ptrIiEEEENSB_INSC_IyEEEESG_yNS9_4plusIvEENS9_8equal_toIvEEyEE10hipError_tPvRmT2_T3_T4_T5_mT6_T7_P12ihipStream_tbENKUlT_T0_E_clISt17integral_constantIbLb1EES11_EEDaSW_SX_EUlSW_E_NS1_11comp_targetILNS1_3genE4ELNS1_11target_archE910ELNS1_3gpuE8ELNS1_3repE0EEENS1_30default_config_static_selectorELNS0_4arch9wavefront6targetE0EEEvT1_.private_seg_size, 0
	.set _ZN7rocprim17ROCPRIM_400000_NS6detail17trampoline_kernelINS0_14default_configENS1_27scan_by_key_config_selectorIiyEEZZNS1_16scan_by_key_implILNS1_25lookback_scan_determinismE0ELb0ES3_N6thrust23THRUST_200600_302600_NS6detail15normal_iteratorINS9_10device_ptrIiEEEENSB_INSC_IyEEEESG_yNS9_4plusIvEENS9_8equal_toIvEEyEE10hipError_tPvRmT2_T3_T4_T5_mT6_T7_P12ihipStream_tbENKUlT_T0_E_clISt17integral_constantIbLb1EES11_EEDaSW_SX_EUlSW_E_NS1_11comp_targetILNS1_3genE4ELNS1_11target_archE910ELNS1_3gpuE8ELNS1_3repE0EEENS1_30default_config_static_selectorELNS0_4arch9wavefront6targetE0EEEvT1_.uses_vcc, 0
	.set _ZN7rocprim17ROCPRIM_400000_NS6detail17trampoline_kernelINS0_14default_configENS1_27scan_by_key_config_selectorIiyEEZZNS1_16scan_by_key_implILNS1_25lookback_scan_determinismE0ELb0ES3_N6thrust23THRUST_200600_302600_NS6detail15normal_iteratorINS9_10device_ptrIiEEEENSB_INSC_IyEEEESG_yNS9_4plusIvEENS9_8equal_toIvEEyEE10hipError_tPvRmT2_T3_T4_T5_mT6_T7_P12ihipStream_tbENKUlT_T0_E_clISt17integral_constantIbLb1EES11_EEDaSW_SX_EUlSW_E_NS1_11comp_targetILNS1_3genE4ELNS1_11target_archE910ELNS1_3gpuE8ELNS1_3repE0EEENS1_30default_config_static_selectorELNS0_4arch9wavefront6targetE0EEEvT1_.uses_flat_scratch, 0
	.set _ZN7rocprim17ROCPRIM_400000_NS6detail17trampoline_kernelINS0_14default_configENS1_27scan_by_key_config_selectorIiyEEZZNS1_16scan_by_key_implILNS1_25lookback_scan_determinismE0ELb0ES3_N6thrust23THRUST_200600_302600_NS6detail15normal_iteratorINS9_10device_ptrIiEEEENSB_INSC_IyEEEESG_yNS9_4plusIvEENS9_8equal_toIvEEyEE10hipError_tPvRmT2_T3_T4_T5_mT6_T7_P12ihipStream_tbENKUlT_T0_E_clISt17integral_constantIbLb1EES11_EEDaSW_SX_EUlSW_E_NS1_11comp_targetILNS1_3genE4ELNS1_11target_archE910ELNS1_3gpuE8ELNS1_3repE0EEENS1_30default_config_static_selectorELNS0_4arch9wavefront6targetE0EEEvT1_.has_dyn_sized_stack, 0
	.set _ZN7rocprim17ROCPRIM_400000_NS6detail17trampoline_kernelINS0_14default_configENS1_27scan_by_key_config_selectorIiyEEZZNS1_16scan_by_key_implILNS1_25lookback_scan_determinismE0ELb0ES3_N6thrust23THRUST_200600_302600_NS6detail15normal_iteratorINS9_10device_ptrIiEEEENSB_INSC_IyEEEESG_yNS9_4plusIvEENS9_8equal_toIvEEyEE10hipError_tPvRmT2_T3_T4_T5_mT6_T7_P12ihipStream_tbENKUlT_T0_E_clISt17integral_constantIbLb1EES11_EEDaSW_SX_EUlSW_E_NS1_11comp_targetILNS1_3genE4ELNS1_11target_archE910ELNS1_3gpuE8ELNS1_3repE0EEENS1_30default_config_static_selectorELNS0_4arch9wavefront6targetE0EEEvT1_.has_recursion, 0
	.set _ZN7rocprim17ROCPRIM_400000_NS6detail17trampoline_kernelINS0_14default_configENS1_27scan_by_key_config_selectorIiyEEZZNS1_16scan_by_key_implILNS1_25lookback_scan_determinismE0ELb0ES3_N6thrust23THRUST_200600_302600_NS6detail15normal_iteratorINS9_10device_ptrIiEEEENSB_INSC_IyEEEESG_yNS9_4plusIvEENS9_8equal_toIvEEyEE10hipError_tPvRmT2_T3_T4_T5_mT6_T7_P12ihipStream_tbENKUlT_T0_E_clISt17integral_constantIbLb1EES11_EEDaSW_SX_EUlSW_E_NS1_11comp_targetILNS1_3genE4ELNS1_11target_archE910ELNS1_3gpuE8ELNS1_3repE0EEENS1_30default_config_static_selectorELNS0_4arch9wavefront6targetE0EEEvT1_.has_indirect_call, 0
	.section	.AMDGPU.csdata,"",@progbits
; Kernel info:
; codeLenInByte = 0
; TotalNumSgprs: 0
; NumVgprs: 0
; ScratchSize: 0
; MemoryBound: 0
; FloatMode: 240
; IeeeMode: 1
; LDSByteSize: 0 bytes/workgroup (compile time only)
; SGPRBlocks: 0
; VGPRBlocks: 0
; NumSGPRsForWavesPerEU: 1
; NumVGPRsForWavesPerEU: 1
; NamedBarCnt: 0
; Occupancy: 16
; WaveLimiterHint : 0
; COMPUTE_PGM_RSRC2:SCRATCH_EN: 0
; COMPUTE_PGM_RSRC2:USER_SGPR: 2
; COMPUTE_PGM_RSRC2:TRAP_HANDLER: 0
; COMPUTE_PGM_RSRC2:TGID_X_EN: 1
; COMPUTE_PGM_RSRC2:TGID_Y_EN: 0
; COMPUTE_PGM_RSRC2:TGID_Z_EN: 0
; COMPUTE_PGM_RSRC2:TIDIG_COMP_CNT: 0
	.section	.text._ZN7rocprim17ROCPRIM_400000_NS6detail17trampoline_kernelINS0_14default_configENS1_27scan_by_key_config_selectorIiyEEZZNS1_16scan_by_key_implILNS1_25lookback_scan_determinismE0ELb0ES3_N6thrust23THRUST_200600_302600_NS6detail15normal_iteratorINS9_10device_ptrIiEEEENSB_INSC_IyEEEESG_yNS9_4plusIvEENS9_8equal_toIvEEyEE10hipError_tPvRmT2_T3_T4_T5_mT6_T7_P12ihipStream_tbENKUlT_T0_E_clISt17integral_constantIbLb1EES11_EEDaSW_SX_EUlSW_E_NS1_11comp_targetILNS1_3genE3ELNS1_11target_archE908ELNS1_3gpuE7ELNS1_3repE0EEENS1_30default_config_static_selectorELNS0_4arch9wavefront6targetE0EEEvT1_,"axG",@progbits,_ZN7rocprim17ROCPRIM_400000_NS6detail17trampoline_kernelINS0_14default_configENS1_27scan_by_key_config_selectorIiyEEZZNS1_16scan_by_key_implILNS1_25lookback_scan_determinismE0ELb0ES3_N6thrust23THRUST_200600_302600_NS6detail15normal_iteratorINS9_10device_ptrIiEEEENSB_INSC_IyEEEESG_yNS9_4plusIvEENS9_8equal_toIvEEyEE10hipError_tPvRmT2_T3_T4_T5_mT6_T7_P12ihipStream_tbENKUlT_T0_E_clISt17integral_constantIbLb1EES11_EEDaSW_SX_EUlSW_E_NS1_11comp_targetILNS1_3genE3ELNS1_11target_archE908ELNS1_3gpuE7ELNS1_3repE0EEENS1_30default_config_static_selectorELNS0_4arch9wavefront6targetE0EEEvT1_,comdat
	.protected	_ZN7rocprim17ROCPRIM_400000_NS6detail17trampoline_kernelINS0_14default_configENS1_27scan_by_key_config_selectorIiyEEZZNS1_16scan_by_key_implILNS1_25lookback_scan_determinismE0ELb0ES3_N6thrust23THRUST_200600_302600_NS6detail15normal_iteratorINS9_10device_ptrIiEEEENSB_INSC_IyEEEESG_yNS9_4plusIvEENS9_8equal_toIvEEyEE10hipError_tPvRmT2_T3_T4_T5_mT6_T7_P12ihipStream_tbENKUlT_T0_E_clISt17integral_constantIbLb1EES11_EEDaSW_SX_EUlSW_E_NS1_11comp_targetILNS1_3genE3ELNS1_11target_archE908ELNS1_3gpuE7ELNS1_3repE0EEENS1_30default_config_static_selectorELNS0_4arch9wavefront6targetE0EEEvT1_ ; -- Begin function _ZN7rocprim17ROCPRIM_400000_NS6detail17trampoline_kernelINS0_14default_configENS1_27scan_by_key_config_selectorIiyEEZZNS1_16scan_by_key_implILNS1_25lookback_scan_determinismE0ELb0ES3_N6thrust23THRUST_200600_302600_NS6detail15normal_iteratorINS9_10device_ptrIiEEEENSB_INSC_IyEEEESG_yNS9_4plusIvEENS9_8equal_toIvEEyEE10hipError_tPvRmT2_T3_T4_T5_mT6_T7_P12ihipStream_tbENKUlT_T0_E_clISt17integral_constantIbLb1EES11_EEDaSW_SX_EUlSW_E_NS1_11comp_targetILNS1_3genE3ELNS1_11target_archE908ELNS1_3gpuE7ELNS1_3repE0EEENS1_30default_config_static_selectorELNS0_4arch9wavefront6targetE0EEEvT1_
	.globl	_ZN7rocprim17ROCPRIM_400000_NS6detail17trampoline_kernelINS0_14default_configENS1_27scan_by_key_config_selectorIiyEEZZNS1_16scan_by_key_implILNS1_25lookback_scan_determinismE0ELb0ES3_N6thrust23THRUST_200600_302600_NS6detail15normal_iteratorINS9_10device_ptrIiEEEENSB_INSC_IyEEEESG_yNS9_4plusIvEENS9_8equal_toIvEEyEE10hipError_tPvRmT2_T3_T4_T5_mT6_T7_P12ihipStream_tbENKUlT_T0_E_clISt17integral_constantIbLb1EES11_EEDaSW_SX_EUlSW_E_NS1_11comp_targetILNS1_3genE3ELNS1_11target_archE908ELNS1_3gpuE7ELNS1_3repE0EEENS1_30default_config_static_selectorELNS0_4arch9wavefront6targetE0EEEvT1_
	.p2align	8
	.type	_ZN7rocprim17ROCPRIM_400000_NS6detail17trampoline_kernelINS0_14default_configENS1_27scan_by_key_config_selectorIiyEEZZNS1_16scan_by_key_implILNS1_25lookback_scan_determinismE0ELb0ES3_N6thrust23THRUST_200600_302600_NS6detail15normal_iteratorINS9_10device_ptrIiEEEENSB_INSC_IyEEEESG_yNS9_4plusIvEENS9_8equal_toIvEEyEE10hipError_tPvRmT2_T3_T4_T5_mT6_T7_P12ihipStream_tbENKUlT_T0_E_clISt17integral_constantIbLb1EES11_EEDaSW_SX_EUlSW_E_NS1_11comp_targetILNS1_3genE3ELNS1_11target_archE908ELNS1_3gpuE7ELNS1_3repE0EEENS1_30default_config_static_selectorELNS0_4arch9wavefront6targetE0EEEvT1_,@function
_ZN7rocprim17ROCPRIM_400000_NS6detail17trampoline_kernelINS0_14default_configENS1_27scan_by_key_config_selectorIiyEEZZNS1_16scan_by_key_implILNS1_25lookback_scan_determinismE0ELb0ES3_N6thrust23THRUST_200600_302600_NS6detail15normal_iteratorINS9_10device_ptrIiEEEENSB_INSC_IyEEEESG_yNS9_4plusIvEENS9_8equal_toIvEEyEE10hipError_tPvRmT2_T3_T4_T5_mT6_T7_P12ihipStream_tbENKUlT_T0_E_clISt17integral_constantIbLb1EES11_EEDaSW_SX_EUlSW_E_NS1_11comp_targetILNS1_3genE3ELNS1_11target_archE908ELNS1_3gpuE7ELNS1_3repE0EEENS1_30default_config_static_selectorELNS0_4arch9wavefront6targetE0EEEvT1_: ; @_ZN7rocprim17ROCPRIM_400000_NS6detail17trampoline_kernelINS0_14default_configENS1_27scan_by_key_config_selectorIiyEEZZNS1_16scan_by_key_implILNS1_25lookback_scan_determinismE0ELb0ES3_N6thrust23THRUST_200600_302600_NS6detail15normal_iteratorINS9_10device_ptrIiEEEENSB_INSC_IyEEEESG_yNS9_4plusIvEENS9_8equal_toIvEEyEE10hipError_tPvRmT2_T3_T4_T5_mT6_T7_P12ihipStream_tbENKUlT_T0_E_clISt17integral_constantIbLb1EES11_EEDaSW_SX_EUlSW_E_NS1_11comp_targetILNS1_3genE3ELNS1_11target_archE908ELNS1_3gpuE7ELNS1_3repE0EEENS1_30default_config_static_selectorELNS0_4arch9wavefront6targetE0EEEvT1_
; %bb.0:
	.section	.rodata,"a",@progbits
	.p2align	6, 0x0
	.amdhsa_kernel _ZN7rocprim17ROCPRIM_400000_NS6detail17trampoline_kernelINS0_14default_configENS1_27scan_by_key_config_selectorIiyEEZZNS1_16scan_by_key_implILNS1_25lookback_scan_determinismE0ELb0ES3_N6thrust23THRUST_200600_302600_NS6detail15normal_iteratorINS9_10device_ptrIiEEEENSB_INSC_IyEEEESG_yNS9_4plusIvEENS9_8equal_toIvEEyEE10hipError_tPvRmT2_T3_T4_T5_mT6_T7_P12ihipStream_tbENKUlT_T0_E_clISt17integral_constantIbLb1EES11_EEDaSW_SX_EUlSW_E_NS1_11comp_targetILNS1_3genE3ELNS1_11target_archE908ELNS1_3gpuE7ELNS1_3repE0EEENS1_30default_config_static_selectorELNS0_4arch9wavefront6targetE0EEEvT1_
		.amdhsa_group_segment_fixed_size 0
		.amdhsa_private_segment_fixed_size 0
		.amdhsa_kernarg_size 136
		.amdhsa_user_sgpr_count 2
		.amdhsa_user_sgpr_dispatch_ptr 0
		.amdhsa_user_sgpr_queue_ptr 0
		.amdhsa_user_sgpr_kernarg_segment_ptr 1
		.amdhsa_user_sgpr_dispatch_id 0
		.amdhsa_user_sgpr_kernarg_preload_length 0
		.amdhsa_user_sgpr_kernarg_preload_offset 0
		.amdhsa_user_sgpr_private_segment_size 0
		.amdhsa_wavefront_size32 1
		.amdhsa_uses_dynamic_stack 0
		.amdhsa_enable_private_segment 0
		.amdhsa_system_sgpr_workgroup_id_x 1
		.amdhsa_system_sgpr_workgroup_id_y 0
		.amdhsa_system_sgpr_workgroup_id_z 0
		.amdhsa_system_sgpr_workgroup_info 0
		.amdhsa_system_vgpr_workitem_id 0
		.amdhsa_next_free_vgpr 1
		.amdhsa_next_free_sgpr 1
		.amdhsa_named_barrier_count 0
		.amdhsa_reserve_vcc 0
		.amdhsa_float_round_mode_32 0
		.amdhsa_float_round_mode_16_64 0
		.amdhsa_float_denorm_mode_32 3
		.amdhsa_float_denorm_mode_16_64 3
		.amdhsa_fp16_overflow 0
		.amdhsa_memory_ordered 1
		.amdhsa_forward_progress 1
		.amdhsa_inst_pref_size 0
		.amdhsa_round_robin_scheduling 0
		.amdhsa_exception_fp_ieee_invalid_op 0
		.amdhsa_exception_fp_denorm_src 0
		.amdhsa_exception_fp_ieee_div_zero 0
		.amdhsa_exception_fp_ieee_overflow 0
		.amdhsa_exception_fp_ieee_underflow 0
		.amdhsa_exception_fp_ieee_inexact 0
		.amdhsa_exception_int_div_zero 0
	.end_amdhsa_kernel
	.section	.text._ZN7rocprim17ROCPRIM_400000_NS6detail17trampoline_kernelINS0_14default_configENS1_27scan_by_key_config_selectorIiyEEZZNS1_16scan_by_key_implILNS1_25lookback_scan_determinismE0ELb0ES3_N6thrust23THRUST_200600_302600_NS6detail15normal_iteratorINS9_10device_ptrIiEEEENSB_INSC_IyEEEESG_yNS9_4plusIvEENS9_8equal_toIvEEyEE10hipError_tPvRmT2_T3_T4_T5_mT6_T7_P12ihipStream_tbENKUlT_T0_E_clISt17integral_constantIbLb1EES11_EEDaSW_SX_EUlSW_E_NS1_11comp_targetILNS1_3genE3ELNS1_11target_archE908ELNS1_3gpuE7ELNS1_3repE0EEENS1_30default_config_static_selectorELNS0_4arch9wavefront6targetE0EEEvT1_,"axG",@progbits,_ZN7rocprim17ROCPRIM_400000_NS6detail17trampoline_kernelINS0_14default_configENS1_27scan_by_key_config_selectorIiyEEZZNS1_16scan_by_key_implILNS1_25lookback_scan_determinismE0ELb0ES3_N6thrust23THRUST_200600_302600_NS6detail15normal_iteratorINS9_10device_ptrIiEEEENSB_INSC_IyEEEESG_yNS9_4plusIvEENS9_8equal_toIvEEyEE10hipError_tPvRmT2_T3_T4_T5_mT6_T7_P12ihipStream_tbENKUlT_T0_E_clISt17integral_constantIbLb1EES11_EEDaSW_SX_EUlSW_E_NS1_11comp_targetILNS1_3genE3ELNS1_11target_archE908ELNS1_3gpuE7ELNS1_3repE0EEENS1_30default_config_static_selectorELNS0_4arch9wavefront6targetE0EEEvT1_,comdat
.Lfunc_end1191:
	.size	_ZN7rocprim17ROCPRIM_400000_NS6detail17trampoline_kernelINS0_14default_configENS1_27scan_by_key_config_selectorIiyEEZZNS1_16scan_by_key_implILNS1_25lookback_scan_determinismE0ELb0ES3_N6thrust23THRUST_200600_302600_NS6detail15normal_iteratorINS9_10device_ptrIiEEEENSB_INSC_IyEEEESG_yNS9_4plusIvEENS9_8equal_toIvEEyEE10hipError_tPvRmT2_T3_T4_T5_mT6_T7_P12ihipStream_tbENKUlT_T0_E_clISt17integral_constantIbLb1EES11_EEDaSW_SX_EUlSW_E_NS1_11comp_targetILNS1_3genE3ELNS1_11target_archE908ELNS1_3gpuE7ELNS1_3repE0EEENS1_30default_config_static_selectorELNS0_4arch9wavefront6targetE0EEEvT1_, .Lfunc_end1191-_ZN7rocprim17ROCPRIM_400000_NS6detail17trampoline_kernelINS0_14default_configENS1_27scan_by_key_config_selectorIiyEEZZNS1_16scan_by_key_implILNS1_25lookback_scan_determinismE0ELb0ES3_N6thrust23THRUST_200600_302600_NS6detail15normal_iteratorINS9_10device_ptrIiEEEENSB_INSC_IyEEEESG_yNS9_4plusIvEENS9_8equal_toIvEEyEE10hipError_tPvRmT2_T3_T4_T5_mT6_T7_P12ihipStream_tbENKUlT_T0_E_clISt17integral_constantIbLb1EES11_EEDaSW_SX_EUlSW_E_NS1_11comp_targetILNS1_3genE3ELNS1_11target_archE908ELNS1_3gpuE7ELNS1_3repE0EEENS1_30default_config_static_selectorELNS0_4arch9wavefront6targetE0EEEvT1_
                                        ; -- End function
	.set _ZN7rocprim17ROCPRIM_400000_NS6detail17trampoline_kernelINS0_14default_configENS1_27scan_by_key_config_selectorIiyEEZZNS1_16scan_by_key_implILNS1_25lookback_scan_determinismE0ELb0ES3_N6thrust23THRUST_200600_302600_NS6detail15normal_iteratorINS9_10device_ptrIiEEEENSB_INSC_IyEEEESG_yNS9_4plusIvEENS9_8equal_toIvEEyEE10hipError_tPvRmT2_T3_T4_T5_mT6_T7_P12ihipStream_tbENKUlT_T0_E_clISt17integral_constantIbLb1EES11_EEDaSW_SX_EUlSW_E_NS1_11comp_targetILNS1_3genE3ELNS1_11target_archE908ELNS1_3gpuE7ELNS1_3repE0EEENS1_30default_config_static_selectorELNS0_4arch9wavefront6targetE0EEEvT1_.num_vgpr, 0
	.set _ZN7rocprim17ROCPRIM_400000_NS6detail17trampoline_kernelINS0_14default_configENS1_27scan_by_key_config_selectorIiyEEZZNS1_16scan_by_key_implILNS1_25lookback_scan_determinismE0ELb0ES3_N6thrust23THRUST_200600_302600_NS6detail15normal_iteratorINS9_10device_ptrIiEEEENSB_INSC_IyEEEESG_yNS9_4plusIvEENS9_8equal_toIvEEyEE10hipError_tPvRmT2_T3_T4_T5_mT6_T7_P12ihipStream_tbENKUlT_T0_E_clISt17integral_constantIbLb1EES11_EEDaSW_SX_EUlSW_E_NS1_11comp_targetILNS1_3genE3ELNS1_11target_archE908ELNS1_3gpuE7ELNS1_3repE0EEENS1_30default_config_static_selectorELNS0_4arch9wavefront6targetE0EEEvT1_.num_agpr, 0
	.set _ZN7rocprim17ROCPRIM_400000_NS6detail17trampoline_kernelINS0_14default_configENS1_27scan_by_key_config_selectorIiyEEZZNS1_16scan_by_key_implILNS1_25lookback_scan_determinismE0ELb0ES3_N6thrust23THRUST_200600_302600_NS6detail15normal_iteratorINS9_10device_ptrIiEEEENSB_INSC_IyEEEESG_yNS9_4plusIvEENS9_8equal_toIvEEyEE10hipError_tPvRmT2_T3_T4_T5_mT6_T7_P12ihipStream_tbENKUlT_T0_E_clISt17integral_constantIbLb1EES11_EEDaSW_SX_EUlSW_E_NS1_11comp_targetILNS1_3genE3ELNS1_11target_archE908ELNS1_3gpuE7ELNS1_3repE0EEENS1_30default_config_static_selectorELNS0_4arch9wavefront6targetE0EEEvT1_.numbered_sgpr, 0
	.set _ZN7rocprim17ROCPRIM_400000_NS6detail17trampoline_kernelINS0_14default_configENS1_27scan_by_key_config_selectorIiyEEZZNS1_16scan_by_key_implILNS1_25lookback_scan_determinismE0ELb0ES3_N6thrust23THRUST_200600_302600_NS6detail15normal_iteratorINS9_10device_ptrIiEEEENSB_INSC_IyEEEESG_yNS9_4plusIvEENS9_8equal_toIvEEyEE10hipError_tPvRmT2_T3_T4_T5_mT6_T7_P12ihipStream_tbENKUlT_T0_E_clISt17integral_constantIbLb1EES11_EEDaSW_SX_EUlSW_E_NS1_11comp_targetILNS1_3genE3ELNS1_11target_archE908ELNS1_3gpuE7ELNS1_3repE0EEENS1_30default_config_static_selectorELNS0_4arch9wavefront6targetE0EEEvT1_.num_named_barrier, 0
	.set _ZN7rocprim17ROCPRIM_400000_NS6detail17trampoline_kernelINS0_14default_configENS1_27scan_by_key_config_selectorIiyEEZZNS1_16scan_by_key_implILNS1_25lookback_scan_determinismE0ELb0ES3_N6thrust23THRUST_200600_302600_NS6detail15normal_iteratorINS9_10device_ptrIiEEEENSB_INSC_IyEEEESG_yNS9_4plusIvEENS9_8equal_toIvEEyEE10hipError_tPvRmT2_T3_T4_T5_mT6_T7_P12ihipStream_tbENKUlT_T0_E_clISt17integral_constantIbLb1EES11_EEDaSW_SX_EUlSW_E_NS1_11comp_targetILNS1_3genE3ELNS1_11target_archE908ELNS1_3gpuE7ELNS1_3repE0EEENS1_30default_config_static_selectorELNS0_4arch9wavefront6targetE0EEEvT1_.private_seg_size, 0
	.set _ZN7rocprim17ROCPRIM_400000_NS6detail17trampoline_kernelINS0_14default_configENS1_27scan_by_key_config_selectorIiyEEZZNS1_16scan_by_key_implILNS1_25lookback_scan_determinismE0ELb0ES3_N6thrust23THRUST_200600_302600_NS6detail15normal_iteratorINS9_10device_ptrIiEEEENSB_INSC_IyEEEESG_yNS9_4plusIvEENS9_8equal_toIvEEyEE10hipError_tPvRmT2_T3_T4_T5_mT6_T7_P12ihipStream_tbENKUlT_T0_E_clISt17integral_constantIbLb1EES11_EEDaSW_SX_EUlSW_E_NS1_11comp_targetILNS1_3genE3ELNS1_11target_archE908ELNS1_3gpuE7ELNS1_3repE0EEENS1_30default_config_static_selectorELNS0_4arch9wavefront6targetE0EEEvT1_.uses_vcc, 0
	.set _ZN7rocprim17ROCPRIM_400000_NS6detail17trampoline_kernelINS0_14default_configENS1_27scan_by_key_config_selectorIiyEEZZNS1_16scan_by_key_implILNS1_25lookback_scan_determinismE0ELb0ES3_N6thrust23THRUST_200600_302600_NS6detail15normal_iteratorINS9_10device_ptrIiEEEENSB_INSC_IyEEEESG_yNS9_4plusIvEENS9_8equal_toIvEEyEE10hipError_tPvRmT2_T3_T4_T5_mT6_T7_P12ihipStream_tbENKUlT_T0_E_clISt17integral_constantIbLb1EES11_EEDaSW_SX_EUlSW_E_NS1_11comp_targetILNS1_3genE3ELNS1_11target_archE908ELNS1_3gpuE7ELNS1_3repE0EEENS1_30default_config_static_selectorELNS0_4arch9wavefront6targetE0EEEvT1_.uses_flat_scratch, 0
	.set _ZN7rocprim17ROCPRIM_400000_NS6detail17trampoline_kernelINS0_14default_configENS1_27scan_by_key_config_selectorIiyEEZZNS1_16scan_by_key_implILNS1_25lookback_scan_determinismE0ELb0ES3_N6thrust23THRUST_200600_302600_NS6detail15normal_iteratorINS9_10device_ptrIiEEEENSB_INSC_IyEEEESG_yNS9_4plusIvEENS9_8equal_toIvEEyEE10hipError_tPvRmT2_T3_T4_T5_mT6_T7_P12ihipStream_tbENKUlT_T0_E_clISt17integral_constantIbLb1EES11_EEDaSW_SX_EUlSW_E_NS1_11comp_targetILNS1_3genE3ELNS1_11target_archE908ELNS1_3gpuE7ELNS1_3repE0EEENS1_30default_config_static_selectorELNS0_4arch9wavefront6targetE0EEEvT1_.has_dyn_sized_stack, 0
	.set _ZN7rocprim17ROCPRIM_400000_NS6detail17trampoline_kernelINS0_14default_configENS1_27scan_by_key_config_selectorIiyEEZZNS1_16scan_by_key_implILNS1_25lookback_scan_determinismE0ELb0ES3_N6thrust23THRUST_200600_302600_NS6detail15normal_iteratorINS9_10device_ptrIiEEEENSB_INSC_IyEEEESG_yNS9_4plusIvEENS9_8equal_toIvEEyEE10hipError_tPvRmT2_T3_T4_T5_mT6_T7_P12ihipStream_tbENKUlT_T0_E_clISt17integral_constantIbLb1EES11_EEDaSW_SX_EUlSW_E_NS1_11comp_targetILNS1_3genE3ELNS1_11target_archE908ELNS1_3gpuE7ELNS1_3repE0EEENS1_30default_config_static_selectorELNS0_4arch9wavefront6targetE0EEEvT1_.has_recursion, 0
	.set _ZN7rocprim17ROCPRIM_400000_NS6detail17trampoline_kernelINS0_14default_configENS1_27scan_by_key_config_selectorIiyEEZZNS1_16scan_by_key_implILNS1_25lookback_scan_determinismE0ELb0ES3_N6thrust23THRUST_200600_302600_NS6detail15normal_iteratorINS9_10device_ptrIiEEEENSB_INSC_IyEEEESG_yNS9_4plusIvEENS9_8equal_toIvEEyEE10hipError_tPvRmT2_T3_T4_T5_mT6_T7_P12ihipStream_tbENKUlT_T0_E_clISt17integral_constantIbLb1EES11_EEDaSW_SX_EUlSW_E_NS1_11comp_targetILNS1_3genE3ELNS1_11target_archE908ELNS1_3gpuE7ELNS1_3repE0EEENS1_30default_config_static_selectorELNS0_4arch9wavefront6targetE0EEEvT1_.has_indirect_call, 0
	.section	.AMDGPU.csdata,"",@progbits
; Kernel info:
; codeLenInByte = 0
; TotalNumSgprs: 0
; NumVgprs: 0
; ScratchSize: 0
; MemoryBound: 0
; FloatMode: 240
; IeeeMode: 1
; LDSByteSize: 0 bytes/workgroup (compile time only)
; SGPRBlocks: 0
; VGPRBlocks: 0
; NumSGPRsForWavesPerEU: 1
; NumVGPRsForWavesPerEU: 1
; NamedBarCnt: 0
; Occupancy: 16
; WaveLimiterHint : 0
; COMPUTE_PGM_RSRC2:SCRATCH_EN: 0
; COMPUTE_PGM_RSRC2:USER_SGPR: 2
; COMPUTE_PGM_RSRC2:TRAP_HANDLER: 0
; COMPUTE_PGM_RSRC2:TGID_X_EN: 1
; COMPUTE_PGM_RSRC2:TGID_Y_EN: 0
; COMPUTE_PGM_RSRC2:TGID_Z_EN: 0
; COMPUTE_PGM_RSRC2:TIDIG_COMP_CNT: 0
	.section	.text._ZN7rocprim17ROCPRIM_400000_NS6detail17trampoline_kernelINS0_14default_configENS1_27scan_by_key_config_selectorIiyEEZZNS1_16scan_by_key_implILNS1_25lookback_scan_determinismE0ELb0ES3_N6thrust23THRUST_200600_302600_NS6detail15normal_iteratorINS9_10device_ptrIiEEEENSB_INSC_IyEEEESG_yNS9_4plusIvEENS9_8equal_toIvEEyEE10hipError_tPvRmT2_T3_T4_T5_mT6_T7_P12ihipStream_tbENKUlT_T0_E_clISt17integral_constantIbLb1EES11_EEDaSW_SX_EUlSW_E_NS1_11comp_targetILNS1_3genE2ELNS1_11target_archE906ELNS1_3gpuE6ELNS1_3repE0EEENS1_30default_config_static_selectorELNS0_4arch9wavefront6targetE0EEEvT1_,"axG",@progbits,_ZN7rocprim17ROCPRIM_400000_NS6detail17trampoline_kernelINS0_14default_configENS1_27scan_by_key_config_selectorIiyEEZZNS1_16scan_by_key_implILNS1_25lookback_scan_determinismE0ELb0ES3_N6thrust23THRUST_200600_302600_NS6detail15normal_iteratorINS9_10device_ptrIiEEEENSB_INSC_IyEEEESG_yNS9_4plusIvEENS9_8equal_toIvEEyEE10hipError_tPvRmT2_T3_T4_T5_mT6_T7_P12ihipStream_tbENKUlT_T0_E_clISt17integral_constantIbLb1EES11_EEDaSW_SX_EUlSW_E_NS1_11comp_targetILNS1_3genE2ELNS1_11target_archE906ELNS1_3gpuE6ELNS1_3repE0EEENS1_30default_config_static_selectorELNS0_4arch9wavefront6targetE0EEEvT1_,comdat
	.protected	_ZN7rocprim17ROCPRIM_400000_NS6detail17trampoline_kernelINS0_14default_configENS1_27scan_by_key_config_selectorIiyEEZZNS1_16scan_by_key_implILNS1_25lookback_scan_determinismE0ELb0ES3_N6thrust23THRUST_200600_302600_NS6detail15normal_iteratorINS9_10device_ptrIiEEEENSB_INSC_IyEEEESG_yNS9_4plusIvEENS9_8equal_toIvEEyEE10hipError_tPvRmT2_T3_T4_T5_mT6_T7_P12ihipStream_tbENKUlT_T0_E_clISt17integral_constantIbLb1EES11_EEDaSW_SX_EUlSW_E_NS1_11comp_targetILNS1_3genE2ELNS1_11target_archE906ELNS1_3gpuE6ELNS1_3repE0EEENS1_30default_config_static_selectorELNS0_4arch9wavefront6targetE0EEEvT1_ ; -- Begin function _ZN7rocprim17ROCPRIM_400000_NS6detail17trampoline_kernelINS0_14default_configENS1_27scan_by_key_config_selectorIiyEEZZNS1_16scan_by_key_implILNS1_25lookback_scan_determinismE0ELb0ES3_N6thrust23THRUST_200600_302600_NS6detail15normal_iteratorINS9_10device_ptrIiEEEENSB_INSC_IyEEEESG_yNS9_4plusIvEENS9_8equal_toIvEEyEE10hipError_tPvRmT2_T3_T4_T5_mT6_T7_P12ihipStream_tbENKUlT_T0_E_clISt17integral_constantIbLb1EES11_EEDaSW_SX_EUlSW_E_NS1_11comp_targetILNS1_3genE2ELNS1_11target_archE906ELNS1_3gpuE6ELNS1_3repE0EEENS1_30default_config_static_selectorELNS0_4arch9wavefront6targetE0EEEvT1_
	.globl	_ZN7rocprim17ROCPRIM_400000_NS6detail17trampoline_kernelINS0_14default_configENS1_27scan_by_key_config_selectorIiyEEZZNS1_16scan_by_key_implILNS1_25lookback_scan_determinismE0ELb0ES3_N6thrust23THRUST_200600_302600_NS6detail15normal_iteratorINS9_10device_ptrIiEEEENSB_INSC_IyEEEESG_yNS9_4plusIvEENS9_8equal_toIvEEyEE10hipError_tPvRmT2_T3_T4_T5_mT6_T7_P12ihipStream_tbENKUlT_T0_E_clISt17integral_constantIbLb1EES11_EEDaSW_SX_EUlSW_E_NS1_11comp_targetILNS1_3genE2ELNS1_11target_archE906ELNS1_3gpuE6ELNS1_3repE0EEENS1_30default_config_static_selectorELNS0_4arch9wavefront6targetE0EEEvT1_
	.p2align	8
	.type	_ZN7rocprim17ROCPRIM_400000_NS6detail17trampoline_kernelINS0_14default_configENS1_27scan_by_key_config_selectorIiyEEZZNS1_16scan_by_key_implILNS1_25lookback_scan_determinismE0ELb0ES3_N6thrust23THRUST_200600_302600_NS6detail15normal_iteratorINS9_10device_ptrIiEEEENSB_INSC_IyEEEESG_yNS9_4plusIvEENS9_8equal_toIvEEyEE10hipError_tPvRmT2_T3_T4_T5_mT6_T7_P12ihipStream_tbENKUlT_T0_E_clISt17integral_constantIbLb1EES11_EEDaSW_SX_EUlSW_E_NS1_11comp_targetILNS1_3genE2ELNS1_11target_archE906ELNS1_3gpuE6ELNS1_3repE0EEENS1_30default_config_static_selectorELNS0_4arch9wavefront6targetE0EEEvT1_,@function
_ZN7rocprim17ROCPRIM_400000_NS6detail17trampoline_kernelINS0_14default_configENS1_27scan_by_key_config_selectorIiyEEZZNS1_16scan_by_key_implILNS1_25lookback_scan_determinismE0ELb0ES3_N6thrust23THRUST_200600_302600_NS6detail15normal_iteratorINS9_10device_ptrIiEEEENSB_INSC_IyEEEESG_yNS9_4plusIvEENS9_8equal_toIvEEyEE10hipError_tPvRmT2_T3_T4_T5_mT6_T7_P12ihipStream_tbENKUlT_T0_E_clISt17integral_constantIbLb1EES11_EEDaSW_SX_EUlSW_E_NS1_11comp_targetILNS1_3genE2ELNS1_11target_archE906ELNS1_3gpuE6ELNS1_3repE0EEENS1_30default_config_static_selectorELNS0_4arch9wavefront6targetE0EEEvT1_: ; @_ZN7rocprim17ROCPRIM_400000_NS6detail17trampoline_kernelINS0_14default_configENS1_27scan_by_key_config_selectorIiyEEZZNS1_16scan_by_key_implILNS1_25lookback_scan_determinismE0ELb0ES3_N6thrust23THRUST_200600_302600_NS6detail15normal_iteratorINS9_10device_ptrIiEEEENSB_INSC_IyEEEESG_yNS9_4plusIvEENS9_8equal_toIvEEyEE10hipError_tPvRmT2_T3_T4_T5_mT6_T7_P12ihipStream_tbENKUlT_T0_E_clISt17integral_constantIbLb1EES11_EEDaSW_SX_EUlSW_E_NS1_11comp_targetILNS1_3genE2ELNS1_11target_archE906ELNS1_3gpuE6ELNS1_3repE0EEENS1_30default_config_static_selectorELNS0_4arch9wavefront6targetE0EEEvT1_
; %bb.0:
	.section	.rodata,"a",@progbits
	.p2align	6, 0x0
	.amdhsa_kernel _ZN7rocprim17ROCPRIM_400000_NS6detail17trampoline_kernelINS0_14default_configENS1_27scan_by_key_config_selectorIiyEEZZNS1_16scan_by_key_implILNS1_25lookback_scan_determinismE0ELb0ES3_N6thrust23THRUST_200600_302600_NS6detail15normal_iteratorINS9_10device_ptrIiEEEENSB_INSC_IyEEEESG_yNS9_4plusIvEENS9_8equal_toIvEEyEE10hipError_tPvRmT2_T3_T4_T5_mT6_T7_P12ihipStream_tbENKUlT_T0_E_clISt17integral_constantIbLb1EES11_EEDaSW_SX_EUlSW_E_NS1_11comp_targetILNS1_3genE2ELNS1_11target_archE906ELNS1_3gpuE6ELNS1_3repE0EEENS1_30default_config_static_selectorELNS0_4arch9wavefront6targetE0EEEvT1_
		.amdhsa_group_segment_fixed_size 0
		.amdhsa_private_segment_fixed_size 0
		.amdhsa_kernarg_size 136
		.amdhsa_user_sgpr_count 2
		.amdhsa_user_sgpr_dispatch_ptr 0
		.amdhsa_user_sgpr_queue_ptr 0
		.amdhsa_user_sgpr_kernarg_segment_ptr 1
		.amdhsa_user_sgpr_dispatch_id 0
		.amdhsa_user_sgpr_kernarg_preload_length 0
		.amdhsa_user_sgpr_kernarg_preload_offset 0
		.amdhsa_user_sgpr_private_segment_size 0
		.amdhsa_wavefront_size32 1
		.amdhsa_uses_dynamic_stack 0
		.amdhsa_enable_private_segment 0
		.amdhsa_system_sgpr_workgroup_id_x 1
		.amdhsa_system_sgpr_workgroup_id_y 0
		.amdhsa_system_sgpr_workgroup_id_z 0
		.amdhsa_system_sgpr_workgroup_info 0
		.amdhsa_system_vgpr_workitem_id 0
		.amdhsa_next_free_vgpr 1
		.amdhsa_next_free_sgpr 1
		.amdhsa_named_barrier_count 0
		.amdhsa_reserve_vcc 0
		.amdhsa_float_round_mode_32 0
		.amdhsa_float_round_mode_16_64 0
		.amdhsa_float_denorm_mode_32 3
		.amdhsa_float_denorm_mode_16_64 3
		.amdhsa_fp16_overflow 0
		.amdhsa_memory_ordered 1
		.amdhsa_forward_progress 1
		.amdhsa_inst_pref_size 0
		.amdhsa_round_robin_scheduling 0
		.amdhsa_exception_fp_ieee_invalid_op 0
		.amdhsa_exception_fp_denorm_src 0
		.amdhsa_exception_fp_ieee_div_zero 0
		.amdhsa_exception_fp_ieee_overflow 0
		.amdhsa_exception_fp_ieee_underflow 0
		.amdhsa_exception_fp_ieee_inexact 0
		.amdhsa_exception_int_div_zero 0
	.end_amdhsa_kernel
	.section	.text._ZN7rocprim17ROCPRIM_400000_NS6detail17trampoline_kernelINS0_14default_configENS1_27scan_by_key_config_selectorIiyEEZZNS1_16scan_by_key_implILNS1_25lookback_scan_determinismE0ELb0ES3_N6thrust23THRUST_200600_302600_NS6detail15normal_iteratorINS9_10device_ptrIiEEEENSB_INSC_IyEEEESG_yNS9_4plusIvEENS9_8equal_toIvEEyEE10hipError_tPvRmT2_T3_T4_T5_mT6_T7_P12ihipStream_tbENKUlT_T0_E_clISt17integral_constantIbLb1EES11_EEDaSW_SX_EUlSW_E_NS1_11comp_targetILNS1_3genE2ELNS1_11target_archE906ELNS1_3gpuE6ELNS1_3repE0EEENS1_30default_config_static_selectorELNS0_4arch9wavefront6targetE0EEEvT1_,"axG",@progbits,_ZN7rocprim17ROCPRIM_400000_NS6detail17trampoline_kernelINS0_14default_configENS1_27scan_by_key_config_selectorIiyEEZZNS1_16scan_by_key_implILNS1_25lookback_scan_determinismE0ELb0ES3_N6thrust23THRUST_200600_302600_NS6detail15normal_iteratorINS9_10device_ptrIiEEEENSB_INSC_IyEEEESG_yNS9_4plusIvEENS9_8equal_toIvEEyEE10hipError_tPvRmT2_T3_T4_T5_mT6_T7_P12ihipStream_tbENKUlT_T0_E_clISt17integral_constantIbLb1EES11_EEDaSW_SX_EUlSW_E_NS1_11comp_targetILNS1_3genE2ELNS1_11target_archE906ELNS1_3gpuE6ELNS1_3repE0EEENS1_30default_config_static_selectorELNS0_4arch9wavefront6targetE0EEEvT1_,comdat
.Lfunc_end1192:
	.size	_ZN7rocprim17ROCPRIM_400000_NS6detail17trampoline_kernelINS0_14default_configENS1_27scan_by_key_config_selectorIiyEEZZNS1_16scan_by_key_implILNS1_25lookback_scan_determinismE0ELb0ES3_N6thrust23THRUST_200600_302600_NS6detail15normal_iteratorINS9_10device_ptrIiEEEENSB_INSC_IyEEEESG_yNS9_4plusIvEENS9_8equal_toIvEEyEE10hipError_tPvRmT2_T3_T4_T5_mT6_T7_P12ihipStream_tbENKUlT_T0_E_clISt17integral_constantIbLb1EES11_EEDaSW_SX_EUlSW_E_NS1_11comp_targetILNS1_3genE2ELNS1_11target_archE906ELNS1_3gpuE6ELNS1_3repE0EEENS1_30default_config_static_selectorELNS0_4arch9wavefront6targetE0EEEvT1_, .Lfunc_end1192-_ZN7rocprim17ROCPRIM_400000_NS6detail17trampoline_kernelINS0_14default_configENS1_27scan_by_key_config_selectorIiyEEZZNS1_16scan_by_key_implILNS1_25lookback_scan_determinismE0ELb0ES3_N6thrust23THRUST_200600_302600_NS6detail15normal_iteratorINS9_10device_ptrIiEEEENSB_INSC_IyEEEESG_yNS9_4plusIvEENS9_8equal_toIvEEyEE10hipError_tPvRmT2_T3_T4_T5_mT6_T7_P12ihipStream_tbENKUlT_T0_E_clISt17integral_constantIbLb1EES11_EEDaSW_SX_EUlSW_E_NS1_11comp_targetILNS1_3genE2ELNS1_11target_archE906ELNS1_3gpuE6ELNS1_3repE0EEENS1_30default_config_static_selectorELNS0_4arch9wavefront6targetE0EEEvT1_
                                        ; -- End function
	.set _ZN7rocprim17ROCPRIM_400000_NS6detail17trampoline_kernelINS0_14default_configENS1_27scan_by_key_config_selectorIiyEEZZNS1_16scan_by_key_implILNS1_25lookback_scan_determinismE0ELb0ES3_N6thrust23THRUST_200600_302600_NS6detail15normal_iteratorINS9_10device_ptrIiEEEENSB_INSC_IyEEEESG_yNS9_4plusIvEENS9_8equal_toIvEEyEE10hipError_tPvRmT2_T3_T4_T5_mT6_T7_P12ihipStream_tbENKUlT_T0_E_clISt17integral_constantIbLb1EES11_EEDaSW_SX_EUlSW_E_NS1_11comp_targetILNS1_3genE2ELNS1_11target_archE906ELNS1_3gpuE6ELNS1_3repE0EEENS1_30default_config_static_selectorELNS0_4arch9wavefront6targetE0EEEvT1_.num_vgpr, 0
	.set _ZN7rocprim17ROCPRIM_400000_NS6detail17trampoline_kernelINS0_14default_configENS1_27scan_by_key_config_selectorIiyEEZZNS1_16scan_by_key_implILNS1_25lookback_scan_determinismE0ELb0ES3_N6thrust23THRUST_200600_302600_NS6detail15normal_iteratorINS9_10device_ptrIiEEEENSB_INSC_IyEEEESG_yNS9_4plusIvEENS9_8equal_toIvEEyEE10hipError_tPvRmT2_T3_T4_T5_mT6_T7_P12ihipStream_tbENKUlT_T0_E_clISt17integral_constantIbLb1EES11_EEDaSW_SX_EUlSW_E_NS1_11comp_targetILNS1_3genE2ELNS1_11target_archE906ELNS1_3gpuE6ELNS1_3repE0EEENS1_30default_config_static_selectorELNS0_4arch9wavefront6targetE0EEEvT1_.num_agpr, 0
	.set _ZN7rocprim17ROCPRIM_400000_NS6detail17trampoline_kernelINS0_14default_configENS1_27scan_by_key_config_selectorIiyEEZZNS1_16scan_by_key_implILNS1_25lookback_scan_determinismE0ELb0ES3_N6thrust23THRUST_200600_302600_NS6detail15normal_iteratorINS9_10device_ptrIiEEEENSB_INSC_IyEEEESG_yNS9_4plusIvEENS9_8equal_toIvEEyEE10hipError_tPvRmT2_T3_T4_T5_mT6_T7_P12ihipStream_tbENKUlT_T0_E_clISt17integral_constantIbLb1EES11_EEDaSW_SX_EUlSW_E_NS1_11comp_targetILNS1_3genE2ELNS1_11target_archE906ELNS1_3gpuE6ELNS1_3repE0EEENS1_30default_config_static_selectorELNS0_4arch9wavefront6targetE0EEEvT1_.numbered_sgpr, 0
	.set _ZN7rocprim17ROCPRIM_400000_NS6detail17trampoline_kernelINS0_14default_configENS1_27scan_by_key_config_selectorIiyEEZZNS1_16scan_by_key_implILNS1_25lookback_scan_determinismE0ELb0ES3_N6thrust23THRUST_200600_302600_NS6detail15normal_iteratorINS9_10device_ptrIiEEEENSB_INSC_IyEEEESG_yNS9_4plusIvEENS9_8equal_toIvEEyEE10hipError_tPvRmT2_T3_T4_T5_mT6_T7_P12ihipStream_tbENKUlT_T0_E_clISt17integral_constantIbLb1EES11_EEDaSW_SX_EUlSW_E_NS1_11comp_targetILNS1_3genE2ELNS1_11target_archE906ELNS1_3gpuE6ELNS1_3repE0EEENS1_30default_config_static_selectorELNS0_4arch9wavefront6targetE0EEEvT1_.num_named_barrier, 0
	.set _ZN7rocprim17ROCPRIM_400000_NS6detail17trampoline_kernelINS0_14default_configENS1_27scan_by_key_config_selectorIiyEEZZNS1_16scan_by_key_implILNS1_25lookback_scan_determinismE0ELb0ES3_N6thrust23THRUST_200600_302600_NS6detail15normal_iteratorINS9_10device_ptrIiEEEENSB_INSC_IyEEEESG_yNS9_4plusIvEENS9_8equal_toIvEEyEE10hipError_tPvRmT2_T3_T4_T5_mT6_T7_P12ihipStream_tbENKUlT_T0_E_clISt17integral_constantIbLb1EES11_EEDaSW_SX_EUlSW_E_NS1_11comp_targetILNS1_3genE2ELNS1_11target_archE906ELNS1_3gpuE6ELNS1_3repE0EEENS1_30default_config_static_selectorELNS0_4arch9wavefront6targetE0EEEvT1_.private_seg_size, 0
	.set _ZN7rocprim17ROCPRIM_400000_NS6detail17trampoline_kernelINS0_14default_configENS1_27scan_by_key_config_selectorIiyEEZZNS1_16scan_by_key_implILNS1_25lookback_scan_determinismE0ELb0ES3_N6thrust23THRUST_200600_302600_NS6detail15normal_iteratorINS9_10device_ptrIiEEEENSB_INSC_IyEEEESG_yNS9_4plusIvEENS9_8equal_toIvEEyEE10hipError_tPvRmT2_T3_T4_T5_mT6_T7_P12ihipStream_tbENKUlT_T0_E_clISt17integral_constantIbLb1EES11_EEDaSW_SX_EUlSW_E_NS1_11comp_targetILNS1_3genE2ELNS1_11target_archE906ELNS1_3gpuE6ELNS1_3repE0EEENS1_30default_config_static_selectorELNS0_4arch9wavefront6targetE0EEEvT1_.uses_vcc, 0
	.set _ZN7rocprim17ROCPRIM_400000_NS6detail17trampoline_kernelINS0_14default_configENS1_27scan_by_key_config_selectorIiyEEZZNS1_16scan_by_key_implILNS1_25lookback_scan_determinismE0ELb0ES3_N6thrust23THRUST_200600_302600_NS6detail15normal_iteratorINS9_10device_ptrIiEEEENSB_INSC_IyEEEESG_yNS9_4plusIvEENS9_8equal_toIvEEyEE10hipError_tPvRmT2_T3_T4_T5_mT6_T7_P12ihipStream_tbENKUlT_T0_E_clISt17integral_constantIbLb1EES11_EEDaSW_SX_EUlSW_E_NS1_11comp_targetILNS1_3genE2ELNS1_11target_archE906ELNS1_3gpuE6ELNS1_3repE0EEENS1_30default_config_static_selectorELNS0_4arch9wavefront6targetE0EEEvT1_.uses_flat_scratch, 0
	.set _ZN7rocprim17ROCPRIM_400000_NS6detail17trampoline_kernelINS0_14default_configENS1_27scan_by_key_config_selectorIiyEEZZNS1_16scan_by_key_implILNS1_25lookback_scan_determinismE0ELb0ES3_N6thrust23THRUST_200600_302600_NS6detail15normal_iteratorINS9_10device_ptrIiEEEENSB_INSC_IyEEEESG_yNS9_4plusIvEENS9_8equal_toIvEEyEE10hipError_tPvRmT2_T3_T4_T5_mT6_T7_P12ihipStream_tbENKUlT_T0_E_clISt17integral_constantIbLb1EES11_EEDaSW_SX_EUlSW_E_NS1_11comp_targetILNS1_3genE2ELNS1_11target_archE906ELNS1_3gpuE6ELNS1_3repE0EEENS1_30default_config_static_selectorELNS0_4arch9wavefront6targetE0EEEvT1_.has_dyn_sized_stack, 0
	.set _ZN7rocprim17ROCPRIM_400000_NS6detail17trampoline_kernelINS0_14default_configENS1_27scan_by_key_config_selectorIiyEEZZNS1_16scan_by_key_implILNS1_25lookback_scan_determinismE0ELb0ES3_N6thrust23THRUST_200600_302600_NS6detail15normal_iteratorINS9_10device_ptrIiEEEENSB_INSC_IyEEEESG_yNS9_4plusIvEENS9_8equal_toIvEEyEE10hipError_tPvRmT2_T3_T4_T5_mT6_T7_P12ihipStream_tbENKUlT_T0_E_clISt17integral_constantIbLb1EES11_EEDaSW_SX_EUlSW_E_NS1_11comp_targetILNS1_3genE2ELNS1_11target_archE906ELNS1_3gpuE6ELNS1_3repE0EEENS1_30default_config_static_selectorELNS0_4arch9wavefront6targetE0EEEvT1_.has_recursion, 0
	.set _ZN7rocprim17ROCPRIM_400000_NS6detail17trampoline_kernelINS0_14default_configENS1_27scan_by_key_config_selectorIiyEEZZNS1_16scan_by_key_implILNS1_25lookback_scan_determinismE0ELb0ES3_N6thrust23THRUST_200600_302600_NS6detail15normal_iteratorINS9_10device_ptrIiEEEENSB_INSC_IyEEEESG_yNS9_4plusIvEENS9_8equal_toIvEEyEE10hipError_tPvRmT2_T3_T4_T5_mT6_T7_P12ihipStream_tbENKUlT_T0_E_clISt17integral_constantIbLb1EES11_EEDaSW_SX_EUlSW_E_NS1_11comp_targetILNS1_3genE2ELNS1_11target_archE906ELNS1_3gpuE6ELNS1_3repE0EEENS1_30default_config_static_selectorELNS0_4arch9wavefront6targetE0EEEvT1_.has_indirect_call, 0
	.section	.AMDGPU.csdata,"",@progbits
; Kernel info:
; codeLenInByte = 0
; TotalNumSgprs: 0
; NumVgprs: 0
; ScratchSize: 0
; MemoryBound: 0
; FloatMode: 240
; IeeeMode: 1
; LDSByteSize: 0 bytes/workgroup (compile time only)
; SGPRBlocks: 0
; VGPRBlocks: 0
; NumSGPRsForWavesPerEU: 1
; NumVGPRsForWavesPerEU: 1
; NamedBarCnt: 0
; Occupancy: 16
; WaveLimiterHint : 0
; COMPUTE_PGM_RSRC2:SCRATCH_EN: 0
; COMPUTE_PGM_RSRC2:USER_SGPR: 2
; COMPUTE_PGM_RSRC2:TRAP_HANDLER: 0
; COMPUTE_PGM_RSRC2:TGID_X_EN: 1
; COMPUTE_PGM_RSRC2:TGID_Y_EN: 0
; COMPUTE_PGM_RSRC2:TGID_Z_EN: 0
; COMPUTE_PGM_RSRC2:TIDIG_COMP_CNT: 0
	.section	.text._ZN7rocprim17ROCPRIM_400000_NS6detail17trampoline_kernelINS0_14default_configENS1_27scan_by_key_config_selectorIiyEEZZNS1_16scan_by_key_implILNS1_25lookback_scan_determinismE0ELb0ES3_N6thrust23THRUST_200600_302600_NS6detail15normal_iteratorINS9_10device_ptrIiEEEENSB_INSC_IyEEEESG_yNS9_4plusIvEENS9_8equal_toIvEEyEE10hipError_tPvRmT2_T3_T4_T5_mT6_T7_P12ihipStream_tbENKUlT_T0_E_clISt17integral_constantIbLb1EES11_EEDaSW_SX_EUlSW_E_NS1_11comp_targetILNS1_3genE10ELNS1_11target_archE1200ELNS1_3gpuE4ELNS1_3repE0EEENS1_30default_config_static_selectorELNS0_4arch9wavefront6targetE0EEEvT1_,"axG",@progbits,_ZN7rocprim17ROCPRIM_400000_NS6detail17trampoline_kernelINS0_14default_configENS1_27scan_by_key_config_selectorIiyEEZZNS1_16scan_by_key_implILNS1_25lookback_scan_determinismE0ELb0ES3_N6thrust23THRUST_200600_302600_NS6detail15normal_iteratorINS9_10device_ptrIiEEEENSB_INSC_IyEEEESG_yNS9_4plusIvEENS9_8equal_toIvEEyEE10hipError_tPvRmT2_T3_T4_T5_mT6_T7_P12ihipStream_tbENKUlT_T0_E_clISt17integral_constantIbLb1EES11_EEDaSW_SX_EUlSW_E_NS1_11comp_targetILNS1_3genE10ELNS1_11target_archE1200ELNS1_3gpuE4ELNS1_3repE0EEENS1_30default_config_static_selectorELNS0_4arch9wavefront6targetE0EEEvT1_,comdat
	.protected	_ZN7rocprim17ROCPRIM_400000_NS6detail17trampoline_kernelINS0_14default_configENS1_27scan_by_key_config_selectorIiyEEZZNS1_16scan_by_key_implILNS1_25lookback_scan_determinismE0ELb0ES3_N6thrust23THRUST_200600_302600_NS6detail15normal_iteratorINS9_10device_ptrIiEEEENSB_INSC_IyEEEESG_yNS9_4plusIvEENS9_8equal_toIvEEyEE10hipError_tPvRmT2_T3_T4_T5_mT6_T7_P12ihipStream_tbENKUlT_T0_E_clISt17integral_constantIbLb1EES11_EEDaSW_SX_EUlSW_E_NS1_11comp_targetILNS1_3genE10ELNS1_11target_archE1200ELNS1_3gpuE4ELNS1_3repE0EEENS1_30default_config_static_selectorELNS0_4arch9wavefront6targetE0EEEvT1_ ; -- Begin function _ZN7rocprim17ROCPRIM_400000_NS6detail17trampoline_kernelINS0_14default_configENS1_27scan_by_key_config_selectorIiyEEZZNS1_16scan_by_key_implILNS1_25lookback_scan_determinismE0ELb0ES3_N6thrust23THRUST_200600_302600_NS6detail15normal_iteratorINS9_10device_ptrIiEEEENSB_INSC_IyEEEESG_yNS9_4plusIvEENS9_8equal_toIvEEyEE10hipError_tPvRmT2_T3_T4_T5_mT6_T7_P12ihipStream_tbENKUlT_T0_E_clISt17integral_constantIbLb1EES11_EEDaSW_SX_EUlSW_E_NS1_11comp_targetILNS1_3genE10ELNS1_11target_archE1200ELNS1_3gpuE4ELNS1_3repE0EEENS1_30default_config_static_selectorELNS0_4arch9wavefront6targetE0EEEvT1_
	.globl	_ZN7rocprim17ROCPRIM_400000_NS6detail17trampoline_kernelINS0_14default_configENS1_27scan_by_key_config_selectorIiyEEZZNS1_16scan_by_key_implILNS1_25lookback_scan_determinismE0ELb0ES3_N6thrust23THRUST_200600_302600_NS6detail15normal_iteratorINS9_10device_ptrIiEEEENSB_INSC_IyEEEESG_yNS9_4plusIvEENS9_8equal_toIvEEyEE10hipError_tPvRmT2_T3_T4_T5_mT6_T7_P12ihipStream_tbENKUlT_T0_E_clISt17integral_constantIbLb1EES11_EEDaSW_SX_EUlSW_E_NS1_11comp_targetILNS1_3genE10ELNS1_11target_archE1200ELNS1_3gpuE4ELNS1_3repE0EEENS1_30default_config_static_selectorELNS0_4arch9wavefront6targetE0EEEvT1_
	.p2align	8
	.type	_ZN7rocprim17ROCPRIM_400000_NS6detail17trampoline_kernelINS0_14default_configENS1_27scan_by_key_config_selectorIiyEEZZNS1_16scan_by_key_implILNS1_25lookback_scan_determinismE0ELb0ES3_N6thrust23THRUST_200600_302600_NS6detail15normal_iteratorINS9_10device_ptrIiEEEENSB_INSC_IyEEEESG_yNS9_4plusIvEENS9_8equal_toIvEEyEE10hipError_tPvRmT2_T3_T4_T5_mT6_T7_P12ihipStream_tbENKUlT_T0_E_clISt17integral_constantIbLb1EES11_EEDaSW_SX_EUlSW_E_NS1_11comp_targetILNS1_3genE10ELNS1_11target_archE1200ELNS1_3gpuE4ELNS1_3repE0EEENS1_30default_config_static_selectorELNS0_4arch9wavefront6targetE0EEEvT1_,@function
_ZN7rocprim17ROCPRIM_400000_NS6detail17trampoline_kernelINS0_14default_configENS1_27scan_by_key_config_selectorIiyEEZZNS1_16scan_by_key_implILNS1_25lookback_scan_determinismE0ELb0ES3_N6thrust23THRUST_200600_302600_NS6detail15normal_iteratorINS9_10device_ptrIiEEEENSB_INSC_IyEEEESG_yNS9_4plusIvEENS9_8equal_toIvEEyEE10hipError_tPvRmT2_T3_T4_T5_mT6_T7_P12ihipStream_tbENKUlT_T0_E_clISt17integral_constantIbLb1EES11_EEDaSW_SX_EUlSW_E_NS1_11comp_targetILNS1_3genE10ELNS1_11target_archE1200ELNS1_3gpuE4ELNS1_3repE0EEENS1_30default_config_static_selectorELNS0_4arch9wavefront6targetE0EEEvT1_: ; @_ZN7rocprim17ROCPRIM_400000_NS6detail17trampoline_kernelINS0_14default_configENS1_27scan_by_key_config_selectorIiyEEZZNS1_16scan_by_key_implILNS1_25lookback_scan_determinismE0ELb0ES3_N6thrust23THRUST_200600_302600_NS6detail15normal_iteratorINS9_10device_ptrIiEEEENSB_INSC_IyEEEESG_yNS9_4plusIvEENS9_8equal_toIvEEyEE10hipError_tPvRmT2_T3_T4_T5_mT6_T7_P12ihipStream_tbENKUlT_T0_E_clISt17integral_constantIbLb1EES11_EEDaSW_SX_EUlSW_E_NS1_11comp_targetILNS1_3genE10ELNS1_11target_archE1200ELNS1_3gpuE4ELNS1_3repE0EEENS1_30default_config_static_selectorELNS0_4arch9wavefront6targetE0EEEvT1_
; %bb.0:
	.section	.rodata,"a",@progbits
	.p2align	6, 0x0
	.amdhsa_kernel _ZN7rocprim17ROCPRIM_400000_NS6detail17trampoline_kernelINS0_14default_configENS1_27scan_by_key_config_selectorIiyEEZZNS1_16scan_by_key_implILNS1_25lookback_scan_determinismE0ELb0ES3_N6thrust23THRUST_200600_302600_NS6detail15normal_iteratorINS9_10device_ptrIiEEEENSB_INSC_IyEEEESG_yNS9_4plusIvEENS9_8equal_toIvEEyEE10hipError_tPvRmT2_T3_T4_T5_mT6_T7_P12ihipStream_tbENKUlT_T0_E_clISt17integral_constantIbLb1EES11_EEDaSW_SX_EUlSW_E_NS1_11comp_targetILNS1_3genE10ELNS1_11target_archE1200ELNS1_3gpuE4ELNS1_3repE0EEENS1_30default_config_static_selectorELNS0_4arch9wavefront6targetE0EEEvT1_
		.amdhsa_group_segment_fixed_size 0
		.amdhsa_private_segment_fixed_size 0
		.amdhsa_kernarg_size 136
		.amdhsa_user_sgpr_count 2
		.amdhsa_user_sgpr_dispatch_ptr 0
		.amdhsa_user_sgpr_queue_ptr 0
		.amdhsa_user_sgpr_kernarg_segment_ptr 1
		.amdhsa_user_sgpr_dispatch_id 0
		.amdhsa_user_sgpr_kernarg_preload_length 0
		.amdhsa_user_sgpr_kernarg_preload_offset 0
		.amdhsa_user_sgpr_private_segment_size 0
		.amdhsa_wavefront_size32 1
		.amdhsa_uses_dynamic_stack 0
		.amdhsa_enable_private_segment 0
		.amdhsa_system_sgpr_workgroup_id_x 1
		.amdhsa_system_sgpr_workgroup_id_y 0
		.amdhsa_system_sgpr_workgroup_id_z 0
		.amdhsa_system_sgpr_workgroup_info 0
		.amdhsa_system_vgpr_workitem_id 0
		.amdhsa_next_free_vgpr 1
		.amdhsa_next_free_sgpr 1
		.amdhsa_named_barrier_count 0
		.amdhsa_reserve_vcc 0
		.amdhsa_float_round_mode_32 0
		.amdhsa_float_round_mode_16_64 0
		.amdhsa_float_denorm_mode_32 3
		.amdhsa_float_denorm_mode_16_64 3
		.amdhsa_fp16_overflow 0
		.amdhsa_memory_ordered 1
		.amdhsa_forward_progress 1
		.amdhsa_inst_pref_size 0
		.amdhsa_round_robin_scheduling 0
		.amdhsa_exception_fp_ieee_invalid_op 0
		.amdhsa_exception_fp_denorm_src 0
		.amdhsa_exception_fp_ieee_div_zero 0
		.amdhsa_exception_fp_ieee_overflow 0
		.amdhsa_exception_fp_ieee_underflow 0
		.amdhsa_exception_fp_ieee_inexact 0
		.amdhsa_exception_int_div_zero 0
	.end_amdhsa_kernel
	.section	.text._ZN7rocprim17ROCPRIM_400000_NS6detail17trampoline_kernelINS0_14default_configENS1_27scan_by_key_config_selectorIiyEEZZNS1_16scan_by_key_implILNS1_25lookback_scan_determinismE0ELb0ES3_N6thrust23THRUST_200600_302600_NS6detail15normal_iteratorINS9_10device_ptrIiEEEENSB_INSC_IyEEEESG_yNS9_4plusIvEENS9_8equal_toIvEEyEE10hipError_tPvRmT2_T3_T4_T5_mT6_T7_P12ihipStream_tbENKUlT_T0_E_clISt17integral_constantIbLb1EES11_EEDaSW_SX_EUlSW_E_NS1_11comp_targetILNS1_3genE10ELNS1_11target_archE1200ELNS1_3gpuE4ELNS1_3repE0EEENS1_30default_config_static_selectorELNS0_4arch9wavefront6targetE0EEEvT1_,"axG",@progbits,_ZN7rocprim17ROCPRIM_400000_NS6detail17trampoline_kernelINS0_14default_configENS1_27scan_by_key_config_selectorIiyEEZZNS1_16scan_by_key_implILNS1_25lookback_scan_determinismE0ELb0ES3_N6thrust23THRUST_200600_302600_NS6detail15normal_iteratorINS9_10device_ptrIiEEEENSB_INSC_IyEEEESG_yNS9_4plusIvEENS9_8equal_toIvEEyEE10hipError_tPvRmT2_T3_T4_T5_mT6_T7_P12ihipStream_tbENKUlT_T0_E_clISt17integral_constantIbLb1EES11_EEDaSW_SX_EUlSW_E_NS1_11comp_targetILNS1_3genE10ELNS1_11target_archE1200ELNS1_3gpuE4ELNS1_3repE0EEENS1_30default_config_static_selectorELNS0_4arch9wavefront6targetE0EEEvT1_,comdat
.Lfunc_end1193:
	.size	_ZN7rocprim17ROCPRIM_400000_NS6detail17trampoline_kernelINS0_14default_configENS1_27scan_by_key_config_selectorIiyEEZZNS1_16scan_by_key_implILNS1_25lookback_scan_determinismE0ELb0ES3_N6thrust23THRUST_200600_302600_NS6detail15normal_iteratorINS9_10device_ptrIiEEEENSB_INSC_IyEEEESG_yNS9_4plusIvEENS9_8equal_toIvEEyEE10hipError_tPvRmT2_T3_T4_T5_mT6_T7_P12ihipStream_tbENKUlT_T0_E_clISt17integral_constantIbLb1EES11_EEDaSW_SX_EUlSW_E_NS1_11comp_targetILNS1_3genE10ELNS1_11target_archE1200ELNS1_3gpuE4ELNS1_3repE0EEENS1_30default_config_static_selectorELNS0_4arch9wavefront6targetE0EEEvT1_, .Lfunc_end1193-_ZN7rocprim17ROCPRIM_400000_NS6detail17trampoline_kernelINS0_14default_configENS1_27scan_by_key_config_selectorIiyEEZZNS1_16scan_by_key_implILNS1_25lookback_scan_determinismE0ELb0ES3_N6thrust23THRUST_200600_302600_NS6detail15normal_iteratorINS9_10device_ptrIiEEEENSB_INSC_IyEEEESG_yNS9_4plusIvEENS9_8equal_toIvEEyEE10hipError_tPvRmT2_T3_T4_T5_mT6_T7_P12ihipStream_tbENKUlT_T0_E_clISt17integral_constantIbLb1EES11_EEDaSW_SX_EUlSW_E_NS1_11comp_targetILNS1_3genE10ELNS1_11target_archE1200ELNS1_3gpuE4ELNS1_3repE0EEENS1_30default_config_static_selectorELNS0_4arch9wavefront6targetE0EEEvT1_
                                        ; -- End function
	.set _ZN7rocprim17ROCPRIM_400000_NS6detail17trampoline_kernelINS0_14default_configENS1_27scan_by_key_config_selectorIiyEEZZNS1_16scan_by_key_implILNS1_25lookback_scan_determinismE0ELb0ES3_N6thrust23THRUST_200600_302600_NS6detail15normal_iteratorINS9_10device_ptrIiEEEENSB_INSC_IyEEEESG_yNS9_4plusIvEENS9_8equal_toIvEEyEE10hipError_tPvRmT2_T3_T4_T5_mT6_T7_P12ihipStream_tbENKUlT_T0_E_clISt17integral_constantIbLb1EES11_EEDaSW_SX_EUlSW_E_NS1_11comp_targetILNS1_3genE10ELNS1_11target_archE1200ELNS1_3gpuE4ELNS1_3repE0EEENS1_30default_config_static_selectorELNS0_4arch9wavefront6targetE0EEEvT1_.num_vgpr, 0
	.set _ZN7rocprim17ROCPRIM_400000_NS6detail17trampoline_kernelINS0_14default_configENS1_27scan_by_key_config_selectorIiyEEZZNS1_16scan_by_key_implILNS1_25lookback_scan_determinismE0ELb0ES3_N6thrust23THRUST_200600_302600_NS6detail15normal_iteratorINS9_10device_ptrIiEEEENSB_INSC_IyEEEESG_yNS9_4plusIvEENS9_8equal_toIvEEyEE10hipError_tPvRmT2_T3_T4_T5_mT6_T7_P12ihipStream_tbENKUlT_T0_E_clISt17integral_constantIbLb1EES11_EEDaSW_SX_EUlSW_E_NS1_11comp_targetILNS1_3genE10ELNS1_11target_archE1200ELNS1_3gpuE4ELNS1_3repE0EEENS1_30default_config_static_selectorELNS0_4arch9wavefront6targetE0EEEvT1_.num_agpr, 0
	.set _ZN7rocprim17ROCPRIM_400000_NS6detail17trampoline_kernelINS0_14default_configENS1_27scan_by_key_config_selectorIiyEEZZNS1_16scan_by_key_implILNS1_25lookback_scan_determinismE0ELb0ES3_N6thrust23THRUST_200600_302600_NS6detail15normal_iteratorINS9_10device_ptrIiEEEENSB_INSC_IyEEEESG_yNS9_4plusIvEENS9_8equal_toIvEEyEE10hipError_tPvRmT2_T3_T4_T5_mT6_T7_P12ihipStream_tbENKUlT_T0_E_clISt17integral_constantIbLb1EES11_EEDaSW_SX_EUlSW_E_NS1_11comp_targetILNS1_3genE10ELNS1_11target_archE1200ELNS1_3gpuE4ELNS1_3repE0EEENS1_30default_config_static_selectorELNS0_4arch9wavefront6targetE0EEEvT1_.numbered_sgpr, 0
	.set _ZN7rocprim17ROCPRIM_400000_NS6detail17trampoline_kernelINS0_14default_configENS1_27scan_by_key_config_selectorIiyEEZZNS1_16scan_by_key_implILNS1_25lookback_scan_determinismE0ELb0ES3_N6thrust23THRUST_200600_302600_NS6detail15normal_iteratorINS9_10device_ptrIiEEEENSB_INSC_IyEEEESG_yNS9_4plusIvEENS9_8equal_toIvEEyEE10hipError_tPvRmT2_T3_T4_T5_mT6_T7_P12ihipStream_tbENKUlT_T0_E_clISt17integral_constantIbLb1EES11_EEDaSW_SX_EUlSW_E_NS1_11comp_targetILNS1_3genE10ELNS1_11target_archE1200ELNS1_3gpuE4ELNS1_3repE0EEENS1_30default_config_static_selectorELNS0_4arch9wavefront6targetE0EEEvT1_.num_named_barrier, 0
	.set _ZN7rocprim17ROCPRIM_400000_NS6detail17trampoline_kernelINS0_14default_configENS1_27scan_by_key_config_selectorIiyEEZZNS1_16scan_by_key_implILNS1_25lookback_scan_determinismE0ELb0ES3_N6thrust23THRUST_200600_302600_NS6detail15normal_iteratorINS9_10device_ptrIiEEEENSB_INSC_IyEEEESG_yNS9_4plusIvEENS9_8equal_toIvEEyEE10hipError_tPvRmT2_T3_T4_T5_mT6_T7_P12ihipStream_tbENKUlT_T0_E_clISt17integral_constantIbLb1EES11_EEDaSW_SX_EUlSW_E_NS1_11comp_targetILNS1_3genE10ELNS1_11target_archE1200ELNS1_3gpuE4ELNS1_3repE0EEENS1_30default_config_static_selectorELNS0_4arch9wavefront6targetE0EEEvT1_.private_seg_size, 0
	.set _ZN7rocprim17ROCPRIM_400000_NS6detail17trampoline_kernelINS0_14default_configENS1_27scan_by_key_config_selectorIiyEEZZNS1_16scan_by_key_implILNS1_25lookback_scan_determinismE0ELb0ES3_N6thrust23THRUST_200600_302600_NS6detail15normal_iteratorINS9_10device_ptrIiEEEENSB_INSC_IyEEEESG_yNS9_4plusIvEENS9_8equal_toIvEEyEE10hipError_tPvRmT2_T3_T4_T5_mT6_T7_P12ihipStream_tbENKUlT_T0_E_clISt17integral_constantIbLb1EES11_EEDaSW_SX_EUlSW_E_NS1_11comp_targetILNS1_3genE10ELNS1_11target_archE1200ELNS1_3gpuE4ELNS1_3repE0EEENS1_30default_config_static_selectorELNS0_4arch9wavefront6targetE0EEEvT1_.uses_vcc, 0
	.set _ZN7rocprim17ROCPRIM_400000_NS6detail17trampoline_kernelINS0_14default_configENS1_27scan_by_key_config_selectorIiyEEZZNS1_16scan_by_key_implILNS1_25lookback_scan_determinismE0ELb0ES3_N6thrust23THRUST_200600_302600_NS6detail15normal_iteratorINS9_10device_ptrIiEEEENSB_INSC_IyEEEESG_yNS9_4plusIvEENS9_8equal_toIvEEyEE10hipError_tPvRmT2_T3_T4_T5_mT6_T7_P12ihipStream_tbENKUlT_T0_E_clISt17integral_constantIbLb1EES11_EEDaSW_SX_EUlSW_E_NS1_11comp_targetILNS1_3genE10ELNS1_11target_archE1200ELNS1_3gpuE4ELNS1_3repE0EEENS1_30default_config_static_selectorELNS0_4arch9wavefront6targetE0EEEvT1_.uses_flat_scratch, 0
	.set _ZN7rocprim17ROCPRIM_400000_NS6detail17trampoline_kernelINS0_14default_configENS1_27scan_by_key_config_selectorIiyEEZZNS1_16scan_by_key_implILNS1_25lookback_scan_determinismE0ELb0ES3_N6thrust23THRUST_200600_302600_NS6detail15normal_iteratorINS9_10device_ptrIiEEEENSB_INSC_IyEEEESG_yNS9_4plusIvEENS9_8equal_toIvEEyEE10hipError_tPvRmT2_T3_T4_T5_mT6_T7_P12ihipStream_tbENKUlT_T0_E_clISt17integral_constantIbLb1EES11_EEDaSW_SX_EUlSW_E_NS1_11comp_targetILNS1_3genE10ELNS1_11target_archE1200ELNS1_3gpuE4ELNS1_3repE0EEENS1_30default_config_static_selectorELNS0_4arch9wavefront6targetE0EEEvT1_.has_dyn_sized_stack, 0
	.set _ZN7rocprim17ROCPRIM_400000_NS6detail17trampoline_kernelINS0_14default_configENS1_27scan_by_key_config_selectorIiyEEZZNS1_16scan_by_key_implILNS1_25lookback_scan_determinismE0ELb0ES3_N6thrust23THRUST_200600_302600_NS6detail15normal_iteratorINS9_10device_ptrIiEEEENSB_INSC_IyEEEESG_yNS9_4plusIvEENS9_8equal_toIvEEyEE10hipError_tPvRmT2_T3_T4_T5_mT6_T7_P12ihipStream_tbENKUlT_T0_E_clISt17integral_constantIbLb1EES11_EEDaSW_SX_EUlSW_E_NS1_11comp_targetILNS1_3genE10ELNS1_11target_archE1200ELNS1_3gpuE4ELNS1_3repE0EEENS1_30default_config_static_selectorELNS0_4arch9wavefront6targetE0EEEvT1_.has_recursion, 0
	.set _ZN7rocprim17ROCPRIM_400000_NS6detail17trampoline_kernelINS0_14default_configENS1_27scan_by_key_config_selectorIiyEEZZNS1_16scan_by_key_implILNS1_25lookback_scan_determinismE0ELb0ES3_N6thrust23THRUST_200600_302600_NS6detail15normal_iteratorINS9_10device_ptrIiEEEENSB_INSC_IyEEEESG_yNS9_4plusIvEENS9_8equal_toIvEEyEE10hipError_tPvRmT2_T3_T4_T5_mT6_T7_P12ihipStream_tbENKUlT_T0_E_clISt17integral_constantIbLb1EES11_EEDaSW_SX_EUlSW_E_NS1_11comp_targetILNS1_3genE10ELNS1_11target_archE1200ELNS1_3gpuE4ELNS1_3repE0EEENS1_30default_config_static_selectorELNS0_4arch9wavefront6targetE0EEEvT1_.has_indirect_call, 0
	.section	.AMDGPU.csdata,"",@progbits
; Kernel info:
; codeLenInByte = 0
; TotalNumSgprs: 0
; NumVgprs: 0
; ScratchSize: 0
; MemoryBound: 0
; FloatMode: 240
; IeeeMode: 1
; LDSByteSize: 0 bytes/workgroup (compile time only)
; SGPRBlocks: 0
; VGPRBlocks: 0
; NumSGPRsForWavesPerEU: 1
; NumVGPRsForWavesPerEU: 1
; NamedBarCnt: 0
; Occupancy: 16
; WaveLimiterHint : 0
; COMPUTE_PGM_RSRC2:SCRATCH_EN: 0
; COMPUTE_PGM_RSRC2:USER_SGPR: 2
; COMPUTE_PGM_RSRC2:TRAP_HANDLER: 0
; COMPUTE_PGM_RSRC2:TGID_X_EN: 1
; COMPUTE_PGM_RSRC2:TGID_Y_EN: 0
; COMPUTE_PGM_RSRC2:TGID_Z_EN: 0
; COMPUTE_PGM_RSRC2:TIDIG_COMP_CNT: 0
	.section	.text._ZN7rocprim17ROCPRIM_400000_NS6detail17trampoline_kernelINS0_14default_configENS1_27scan_by_key_config_selectorIiyEEZZNS1_16scan_by_key_implILNS1_25lookback_scan_determinismE0ELb0ES3_N6thrust23THRUST_200600_302600_NS6detail15normal_iteratorINS9_10device_ptrIiEEEENSB_INSC_IyEEEESG_yNS9_4plusIvEENS9_8equal_toIvEEyEE10hipError_tPvRmT2_T3_T4_T5_mT6_T7_P12ihipStream_tbENKUlT_T0_E_clISt17integral_constantIbLb1EES11_EEDaSW_SX_EUlSW_E_NS1_11comp_targetILNS1_3genE9ELNS1_11target_archE1100ELNS1_3gpuE3ELNS1_3repE0EEENS1_30default_config_static_selectorELNS0_4arch9wavefront6targetE0EEEvT1_,"axG",@progbits,_ZN7rocprim17ROCPRIM_400000_NS6detail17trampoline_kernelINS0_14default_configENS1_27scan_by_key_config_selectorIiyEEZZNS1_16scan_by_key_implILNS1_25lookback_scan_determinismE0ELb0ES3_N6thrust23THRUST_200600_302600_NS6detail15normal_iteratorINS9_10device_ptrIiEEEENSB_INSC_IyEEEESG_yNS9_4plusIvEENS9_8equal_toIvEEyEE10hipError_tPvRmT2_T3_T4_T5_mT6_T7_P12ihipStream_tbENKUlT_T0_E_clISt17integral_constantIbLb1EES11_EEDaSW_SX_EUlSW_E_NS1_11comp_targetILNS1_3genE9ELNS1_11target_archE1100ELNS1_3gpuE3ELNS1_3repE0EEENS1_30default_config_static_selectorELNS0_4arch9wavefront6targetE0EEEvT1_,comdat
	.protected	_ZN7rocprim17ROCPRIM_400000_NS6detail17trampoline_kernelINS0_14default_configENS1_27scan_by_key_config_selectorIiyEEZZNS1_16scan_by_key_implILNS1_25lookback_scan_determinismE0ELb0ES3_N6thrust23THRUST_200600_302600_NS6detail15normal_iteratorINS9_10device_ptrIiEEEENSB_INSC_IyEEEESG_yNS9_4plusIvEENS9_8equal_toIvEEyEE10hipError_tPvRmT2_T3_T4_T5_mT6_T7_P12ihipStream_tbENKUlT_T0_E_clISt17integral_constantIbLb1EES11_EEDaSW_SX_EUlSW_E_NS1_11comp_targetILNS1_3genE9ELNS1_11target_archE1100ELNS1_3gpuE3ELNS1_3repE0EEENS1_30default_config_static_selectorELNS0_4arch9wavefront6targetE0EEEvT1_ ; -- Begin function _ZN7rocprim17ROCPRIM_400000_NS6detail17trampoline_kernelINS0_14default_configENS1_27scan_by_key_config_selectorIiyEEZZNS1_16scan_by_key_implILNS1_25lookback_scan_determinismE0ELb0ES3_N6thrust23THRUST_200600_302600_NS6detail15normal_iteratorINS9_10device_ptrIiEEEENSB_INSC_IyEEEESG_yNS9_4plusIvEENS9_8equal_toIvEEyEE10hipError_tPvRmT2_T3_T4_T5_mT6_T7_P12ihipStream_tbENKUlT_T0_E_clISt17integral_constantIbLb1EES11_EEDaSW_SX_EUlSW_E_NS1_11comp_targetILNS1_3genE9ELNS1_11target_archE1100ELNS1_3gpuE3ELNS1_3repE0EEENS1_30default_config_static_selectorELNS0_4arch9wavefront6targetE0EEEvT1_
	.globl	_ZN7rocprim17ROCPRIM_400000_NS6detail17trampoline_kernelINS0_14default_configENS1_27scan_by_key_config_selectorIiyEEZZNS1_16scan_by_key_implILNS1_25lookback_scan_determinismE0ELb0ES3_N6thrust23THRUST_200600_302600_NS6detail15normal_iteratorINS9_10device_ptrIiEEEENSB_INSC_IyEEEESG_yNS9_4plusIvEENS9_8equal_toIvEEyEE10hipError_tPvRmT2_T3_T4_T5_mT6_T7_P12ihipStream_tbENKUlT_T0_E_clISt17integral_constantIbLb1EES11_EEDaSW_SX_EUlSW_E_NS1_11comp_targetILNS1_3genE9ELNS1_11target_archE1100ELNS1_3gpuE3ELNS1_3repE0EEENS1_30default_config_static_selectorELNS0_4arch9wavefront6targetE0EEEvT1_
	.p2align	8
	.type	_ZN7rocprim17ROCPRIM_400000_NS6detail17trampoline_kernelINS0_14default_configENS1_27scan_by_key_config_selectorIiyEEZZNS1_16scan_by_key_implILNS1_25lookback_scan_determinismE0ELb0ES3_N6thrust23THRUST_200600_302600_NS6detail15normal_iteratorINS9_10device_ptrIiEEEENSB_INSC_IyEEEESG_yNS9_4plusIvEENS9_8equal_toIvEEyEE10hipError_tPvRmT2_T3_T4_T5_mT6_T7_P12ihipStream_tbENKUlT_T0_E_clISt17integral_constantIbLb1EES11_EEDaSW_SX_EUlSW_E_NS1_11comp_targetILNS1_3genE9ELNS1_11target_archE1100ELNS1_3gpuE3ELNS1_3repE0EEENS1_30default_config_static_selectorELNS0_4arch9wavefront6targetE0EEEvT1_,@function
_ZN7rocprim17ROCPRIM_400000_NS6detail17trampoline_kernelINS0_14default_configENS1_27scan_by_key_config_selectorIiyEEZZNS1_16scan_by_key_implILNS1_25lookback_scan_determinismE0ELb0ES3_N6thrust23THRUST_200600_302600_NS6detail15normal_iteratorINS9_10device_ptrIiEEEENSB_INSC_IyEEEESG_yNS9_4plusIvEENS9_8equal_toIvEEyEE10hipError_tPvRmT2_T3_T4_T5_mT6_T7_P12ihipStream_tbENKUlT_T0_E_clISt17integral_constantIbLb1EES11_EEDaSW_SX_EUlSW_E_NS1_11comp_targetILNS1_3genE9ELNS1_11target_archE1100ELNS1_3gpuE3ELNS1_3repE0EEENS1_30default_config_static_selectorELNS0_4arch9wavefront6targetE0EEEvT1_: ; @_ZN7rocprim17ROCPRIM_400000_NS6detail17trampoline_kernelINS0_14default_configENS1_27scan_by_key_config_selectorIiyEEZZNS1_16scan_by_key_implILNS1_25lookback_scan_determinismE0ELb0ES3_N6thrust23THRUST_200600_302600_NS6detail15normal_iteratorINS9_10device_ptrIiEEEENSB_INSC_IyEEEESG_yNS9_4plusIvEENS9_8equal_toIvEEyEE10hipError_tPvRmT2_T3_T4_T5_mT6_T7_P12ihipStream_tbENKUlT_T0_E_clISt17integral_constantIbLb1EES11_EEDaSW_SX_EUlSW_E_NS1_11comp_targetILNS1_3genE9ELNS1_11target_archE1100ELNS1_3gpuE3ELNS1_3repE0EEENS1_30default_config_static_selectorELNS0_4arch9wavefront6targetE0EEEvT1_
; %bb.0:
	.section	.rodata,"a",@progbits
	.p2align	6, 0x0
	.amdhsa_kernel _ZN7rocprim17ROCPRIM_400000_NS6detail17trampoline_kernelINS0_14default_configENS1_27scan_by_key_config_selectorIiyEEZZNS1_16scan_by_key_implILNS1_25lookback_scan_determinismE0ELb0ES3_N6thrust23THRUST_200600_302600_NS6detail15normal_iteratorINS9_10device_ptrIiEEEENSB_INSC_IyEEEESG_yNS9_4plusIvEENS9_8equal_toIvEEyEE10hipError_tPvRmT2_T3_T4_T5_mT6_T7_P12ihipStream_tbENKUlT_T0_E_clISt17integral_constantIbLb1EES11_EEDaSW_SX_EUlSW_E_NS1_11comp_targetILNS1_3genE9ELNS1_11target_archE1100ELNS1_3gpuE3ELNS1_3repE0EEENS1_30default_config_static_selectorELNS0_4arch9wavefront6targetE0EEEvT1_
		.amdhsa_group_segment_fixed_size 0
		.amdhsa_private_segment_fixed_size 0
		.amdhsa_kernarg_size 136
		.amdhsa_user_sgpr_count 2
		.amdhsa_user_sgpr_dispatch_ptr 0
		.amdhsa_user_sgpr_queue_ptr 0
		.amdhsa_user_sgpr_kernarg_segment_ptr 1
		.amdhsa_user_sgpr_dispatch_id 0
		.amdhsa_user_sgpr_kernarg_preload_length 0
		.amdhsa_user_sgpr_kernarg_preload_offset 0
		.amdhsa_user_sgpr_private_segment_size 0
		.amdhsa_wavefront_size32 1
		.amdhsa_uses_dynamic_stack 0
		.amdhsa_enable_private_segment 0
		.amdhsa_system_sgpr_workgroup_id_x 1
		.amdhsa_system_sgpr_workgroup_id_y 0
		.amdhsa_system_sgpr_workgroup_id_z 0
		.amdhsa_system_sgpr_workgroup_info 0
		.amdhsa_system_vgpr_workitem_id 0
		.amdhsa_next_free_vgpr 1
		.amdhsa_next_free_sgpr 1
		.amdhsa_named_barrier_count 0
		.amdhsa_reserve_vcc 0
		.amdhsa_float_round_mode_32 0
		.amdhsa_float_round_mode_16_64 0
		.amdhsa_float_denorm_mode_32 3
		.amdhsa_float_denorm_mode_16_64 3
		.amdhsa_fp16_overflow 0
		.amdhsa_memory_ordered 1
		.amdhsa_forward_progress 1
		.amdhsa_inst_pref_size 0
		.amdhsa_round_robin_scheduling 0
		.amdhsa_exception_fp_ieee_invalid_op 0
		.amdhsa_exception_fp_denorm_src 0
		.amdhsa_exception_fp_ieee_div_zero 0
		.amdhsa_exception_fp_ieee_overflow 0
		.amdhsa_exception_fp_ieee_underflow 0
		.amdhsa_exception_fp_ieee_inexact 0
		.amdhsa_exception_int_div_zero 0
	.end_amdhsa_kernel
	.section	.text._ZN7rocprim17ROCPRIM_400000_NS6detail17trampoline_kernelINS0_14default_configENS1_27scan_by_key_config_selectorIiyEEZZNS1_16scan_by_key_implILNS1_25lookback_scan_determinismE0ELb0ES3_N6thrust23THRUST_200600_302600_NS6detail15normal_iteratorINS9_10device_ptrIiEEEENSB_INSC_IyEEEESG_yNS9_4plusIvEENS9_8equal_toIvEEyEE10hipError_tPvRmT2_T3_T4_T5_mT6_T7_P12ihipStream_tbENKUlT_T0_E_clISt17integral_constantIbLb1EES11_EEDaSW_SX_EUlSW_E_NS1_11comp_targetILNS1_3genE9ELNS1_11target_archE1100ELNS1_3gpuE3ELNS1_3repE0EEENS1_30default_config_static_selectorELNS0_4arch9wavefront6targetE0EEEvT1_,"axG",@progbits,_ZN7rocprim17ROCPRIM_400000_NS6detail17trampoline_kernelINS0_14default_configENS1_27scan_by_key_config_selectorIiyEEZZNS1_16scan_by_key_implILNS1_25lookback_scan_determinismE0ELb0ES3_N6thrust23THRUST_200600_302600_NS6detail15normal_iteratorINS9_10device_ptrIiEEEENSB_INSC_IyEEEESG_yNS9_4plusIvEENS9_8equal_toIvEEyEE10hipError_tPvRmT2_T3_T4_T5_mT6_T7_P12ihipStream_tbENKUlT_T0_E_clISt17integral_constantIbLb1EES11_EEDaSW_SX_EUlSW_E_NS1_11comp_targetILNS1_3genE9ELNS1_11target_archE1100ELNS1_3gpuE3ELNS1_3repE0EEENS1_30default_config_static_selectorELNS0_4arch9wavefront6targetE0EEEvT1_,comdat
.Lfunc_end1194:
	.size	_ZN7rocprim17ROCPRIM_400000_NS6detail17trampoline_kernelINS0_14default_configENS1_27scan_by_key_config_selectorIiyEEZZNS1_16scan_by_key_implILNS1_25lookback_scan_determinismE0ELb0ES3_N6thrust23THRUST_200600_302600_NS6detail15normal_iteratorINS9_10device_ptrIiEEEENSB_INSC_IyEEEESG_yNS9_4plusIvEENS9_8equal_toIvEEyEE10hipError_tPvRmT2_T3_T4_T5_mT6_T7_P12ihipStream_tbENKUlT_T0_E_clISt17integral_constantIbLb1EES11_EEDaSW_SX_EUlSW_E_NS1_11comp_targetILNS1_3genE9ELNS1_11target_archE1100ELNS1_3gpuE3ELNS1_3repE0EEENS1_30default_config_static_selectorELNS0_4arch9wavefront6targetE0EEEvT1_, .Lfunc_end1194-_ZN7rocprim17ROCPRIM_400000_NS6detail17trampoline_kernelINS0_14default_configENS1_27scan_by_key_config_selectorIiyEEZZNS1_16scan_by_key_implILNS1_25lookback_scan_determinismE0ELb0ES3_N6thrust23THRUST_200600_302600_NS6detail15normal_iteratorINS9_10device_ptrIiEEEENSB_INSC_IyEEEESG_yNS9_4plusIvEENS9_8equal_toIvEEyEE10hipError_tPvRmT2_T3_T4_T5_mT6_T7_P12ihipStream_tbENKUlT_T0_E_clISt17integral_constantIbLb1EES11_EEDaSW_SX_EUlSW_E_NS1_11comp_targetILNS1_3genE9ELNS1_11target_archE1100ELNS1_3gpuE3ELNS1_3repE0EEENS1_30default_config_static_selectorELNS0_4arch9wavefront6targetE0EEEvT1_
                                        ; -- End function
	.set _ZN7rocprim17ROCPRIM_400000_NS6detail17trampoline_kernelINS0_14default_configENS1_27scan_by_key_config_selectorIiyEEZZNS1_16scan_by_key_implILNS1_25lookback_scan_determinismE0ELb0ES3_N6thrust23THRUST_200600_302600_NS6detail15normal_iteratorINS9_10device_ptrIiEEEENSB_INSC_IyEEEESG_yNS9_4plusIvEENS9_8equal_toIvEEyEE10hipError_tPvRmT2_T3_T4_T5_mT6_T7_P12ihipStream_tbENKUlT_T0_E_clISt17integral_constantIbLb1EES11_EEDaSW_SX_EUlSW_E_NS1_11comp_targetILNS1_3genE9ELNS1_11target_archE1100ELNS1_3gpuE3ELNS1_3repE0EEENS1_30default_config_static_selectorELNS0_4arch9wavefront6targetE0EEEvT1_.num_vgpr, 0
	.set _ZN7rocprim17ROCPRIM_400000_NS6detail17trampoline_kernelINS0_14default_configENS1_27scan_by_key_config_selectorIiyEEZZNS1_16scan_by_key_implILNS1_25lookback_scan_determinismE0ELb0ES3_N6thrust23THRUST_200600_302600_NS6detail15normal_iteratorINS9_10device_ptrIiEEEENSB_INSC_IyEEEESG_yNS9_4plusIvEENS9_8equal_toIvEEyEE10hipError_tPvRmT2_T3_T4_T5_mT6_T7_P12ihipStream_tbENKUlT_T0_E_clISt17integral_constantIbLb1EES11_EEDaSW_SX_EUlSW_E_NS1_11comp_targetILNS1_3genE9ELNS1_11target_archE1100ELNS1_3gpuE3ELNS1_3repE0EEENS1_30default_config_static_selectorELNS0_4arch9wavefront6targetE0EEEvT1_.num_agpr, 0
	.set _ZN7rocprim17ROCPRIM_400000_NS6detail17trampoline_kernelINS0_14default_configENS1_27scan_by_key_config_selectorIiyEEZZNS1_16scan_by_key_implILNS1_25lookback_scan_determinismE0ELb0ES3_N6thrust23THRUST_200600_302600_NS6detail15normal_iteratorINS9_10device_ptrIiEEEENSB_INSC_IyEEEESG_yNS9_4plusIvEENS9_8equal_toIvEEyEE10hipError_tPvRmT2_T3_T4_T5_mT6_T7_P12ihipStream_tbENKUlT_T0_E_clISt17integral_constantIbLb1EES11_EEDaSW_SX_EUlSW_E_NS1_11comp_targetILNS1_3genE9ELNS1_11target_archE1100ELNS1_3gpuE3ELNS1_3repE0EEENS1_30default_config_static_selectorELNS0_4arch9wavefront6targetE0EEEvT1_.numbered_sgpr, 0
	.set _ZN7rocprim17ROCPRIM_400000_NS6detail17trampoline_kernelINS0_14default_configENS1_27scan_by_key_config_selectorIiyEEZZNS1_16scan_by_key_implILNS1_25lookback_scan_determinismE0ELb0ES3_N6thrust23THRUST_200600_302600_NS6detail15normal_iteratorINS9_10device_ptrIiEEEENSB_INSC_IyEEEESG_yNS9_4plusIvEENS9_8equal_toIvEEyEE10hipError_tPvRmT2_T3_T4_T5_mT6_T7_P12ihipStream_tbENKUlT_T0_E_clISt17integral_constantIbLb1EES11_EEDaSW_SX_EUlSW_E_NS1_11comp_targetILNS1_3genE9ELNS1_11target_archE1100ELNS1_3gpuE3ELNS1_3repE0EEENS1_30default_config_static_selectorELNS0_4arch9wavefront6targetE0EEEvT1_.num_named_barrier, 0
	.set _ZN7rocprim17ROCPRIM_400000_NS6detail17trampoline_kernelINS0_14default_configENS1_27scan_by_key_config_selectorIiyEEZZNS1_16scan_by_key_implILNS1_25lookback_scan_determinismE0ELb0ES3_N6thrust23THRUST_200600_302600_NS6detail15normal_iteratorINS9_10device_ptrIiEEEENSB_INSC_IyEEEESG_yNS9_4plusIvEENS9_8equal_toIvEEyEE10hipError_tPvRmT2_T3_T4_T5_mT6_T7_P12ihipStream_tbENKUlT_T0_E_clISt17integral_constantIbLb1EES11_EEDaSW_SX_EUlSW_E_NS1_11comp_targetILNS1_3genE9ELNS1_11target_archE1100ELNS1_3gpuE3ELNS1_3repE0EEENS1_30default_config_static_selectorELNS0_4arch9wavefront6targetE0EEEvT1_.private_seg_size, 0
	.set _ZN7rocprim17ROCPRIM_400000_NS6detail17trampoline_kernelINS0_14default_configENS1_27scan_by_key_config_selectorIiyEEZZNS1_16scan_by_key_implILNS1_25lookback_scan_determinismE0ELb0ES3_N6thrust23THRUST_200600_302600_NS6detail15normal_iteratorINS9_10device_ptrIiEEEENSB_INSC_IyEEEESG_yNS9_4plusIvEENS9_8equal_toIvEEyEE10hipError_tPvRmT2_T3_T4_T5_mT6_T7_P12ihipStream_tbENKUlT_T0_E_clISt17integral_constantIbLb1EES11_EEDaSW_SX_EUlSW_E_NS1_11comp_targetILNS1_3genE9ELNS1_11target_archE1100ELNS1_3gpuE3ELNS1_3repE0EEENS1_30default_config_static_selectorELNS0_4arch9wavefront6targetE0EEEvT1_.uses_vcc, 0
	.set _ZN7rocprim17ROCPRIM_400000_NS6detail17trampoline_kernelINS0_14default_configENS1_27scan_by_key_config_selectorIiyEEZZNS1_16scan_by_key_implILNS1_25lookback_scan_determinismE0ELb0ES3_N6thrust23THRUST_200600_302600_NS6detail15normal_iteratorINS9_10device_ptrIiEEEENSB_INSC_IyEEEESG_yNS9_4plusIvEENS9_8equal_toIvEEyEE10hipError_tPvRmT2_T3_T4_T5_mT6_T7_P12ihipStream_tbENKUlT_T0_E_clISt17integral_constantIbLb1EES11_EEDaSW_SX_EUlSW_E_NS1_11comp_targetILNS1_3genE9ELNS1_11target_archE1100ELNS1_3gpuE3ELNS1_3repE0EEENS1_30default_config_static_selectorELNS0_4arch9wavefront6targetE0EEEvT1_.uses_flat_scratch, 0
	.set _ZN7rocprim17ROCPRIM_400000_NS6detail17trampoline_kernelINS0_14default_configENS1_27scan_by_key_config_selectorIiyEEZZNS1_16scan_by_key_implILNS1_25lookback_scan_determinismE0ELb0ES3_N6thrust23THRUST_200600_302600_NS6detail15normal_iteratorINS9_10device_ptrIiEEEENSB_INSC_IyEEEESG_yNS9_4plusIvEENS9_8equal_toIvEEyEE10hipError_tPvRmT2_T3_T4_T5_mT6_T7_P12ihipStream_tbENKUlT_T0_E_clISt17integral_constantIbLb1EES11_EEDaSW_SX_EUlSW_E_NS1_11comp_targetILNS1_3genE9ELNS1_11target_archE1100ELNS1_3gpuE3ELNS1_3repE0EEENS1_30default_config_static_selectorELNS0_4arch9wavefront6targetE0EEEvT1_.has_dyn_sized_stack, 0
	.set _ZN7rocprim17ROCPRIM_400000_NS6detail17trampoline_kernelINS0_14default_configENS1_27scan_by_key_config_selectorIiyEEZZNS1_16scan_by_key_implILNS1_25lookback_scan_determinismE0ELb0ES3_N6thrust23THRUST_200600_302600_NS6detail15normal_iteratorINS9_10device_ptrIiEEEENSB_INSC_IyEEEESG_yNS9_4plusIvEENS9_8equal_toIvEEyEE10hipError_tPvRmT2_T3_T4_T5_mT6_T7_P12ihipStream_tbENKUlT_T0_E_clISt17integral_constantIbLb1EES11_EEDaSW_SX_EUlSW_E_NS1_11comp_targetILNS1_3genE9ELNS1_11target_archE1100ELNS1_3gpuE3ELNS1_3repE0EEENS1_30default_config_static_selectorELNS0_4arch9wavefront6targetE0EEEvT1_.has_recursion, 0
	.set _ZN7rocprim17ROCPRIM_400000_NS6detail17trampoline_kernelINS0_14default_configENS1_27scan_by_key_config_selectorIiyEEZZNS1_16scan_by_key_implILNS1_25lookback_scan_determinismE0ELb0ES3_N6thrust23THRUST_200600_302600_NS6detail15normal_iteratorINS9_10device_ptrIiEEEENSB_INSC_IyEEEESG_yNS9_4plusIvEENS9_8equal_toIvEEyEE10hipError_tPvRmT2_T3_T4_T5_mT6_T7_P12ihipStream_tbENKUlT_T0_E_clISt17integral_constantIbLb1EES11_EEDaSW_SX_EUlSW_E_NS1_11comp_targetILNS1_3genE9ELNS1_11target_archE1100ELNS1_3gpuE3ELNS1_3repE0EEENS1_30default_config_static_selectorELNS0_4arch9wavefront6targetE0EEEvT1_.has_indirect_call, 0
	.section	.AMDGPU.csdata,"",@progbits
; Kernel info:
; codeLenInByte = 0
; TotalNumSgprs: 0
; NumVgprs: 0
; ScratchSize: 0
; MemoryBound: 0
; FloatMode: 240
; IeeeMode: 1
; LDSByteSize: 0 bytes/workgroup (compile time only)
; SGPRBlocks: 0
; VGPRBlocks: 0
; NumSGPRsForWavesPerEU: 1
; NumVGPRsForWavesPerEU: 1
; NamedBarCnt: 0
; Occupancy: 16
; WaveLimiterHint : 0
; COMPUTE_PGM_RSRC2:SCRATCH_EN: 0
; COMPUTE_PGM_RSRC2:USER_SGPR: 2
; COMPUTE_PGM_RSRC2:TRAP_HANDLER: 0
; COMPUTE_PGM_RSRC2:TGID_X_EN: 1
; COMPUTE_PGM_RSRC2:TGID_Y_EN: 0
; COMPUTE_PGM_RSRC2:TGID_Z_EN: 0
; COMPUTE_PGM_RSRC2:TIDIG_COMP_CNT: 0
	.section	.text._ZN7rocprim17ROCPRIM_400000_NS6detail17trampoline_kernelINS0_14default_configENS1_27scan_by_key_config_selectorIiyEEZZNS1_16scan_by_key_implILNS1_25lookback_scan_determinismE0ELb0ES3_N6thrust23THRUST_200600_302600_NS6detail15normal_iteratorINS9_10device_ptrIiEEEENSB_INSC_IyEEEESG_yNS9_4plusIvEENS9_8equal_toIvEEyEE10hipError_tPvRmT2_T3_T4_T5_mT6_T7_P12ihipStream_tbENKUlT_T0_E_clISt17integral_constantIbLb1EES11_EEDaSW_SX_EUlSW_E_NS1_11comp_targetILNS1_3genE8ELNS1_11target_archE1030ELNS1_3gpuE2ELNS1_3repE0EEENS1_30default_config_static_selectorELNS0_4arch9wavefront6targetE0EEEvT1_,"axG",@progbits,_ZN7rocprim17ROCPRIM_400000_NS6detail17trampoline_kernelINS0_14default_configENS1_27scan_by_key_config_selectorIiyEEZZNS1_16scan_by_key_implILNS1_25lookback_scan_determinismE0ELb0ES3_N6thrust23THRUST_200600_302600_NS6detail15normal_iteratorINS9_10device_ptrIiEEEENSB_INSC_IyEEEESG_yNS9_4plusIvEENS9_8equal_toIvEEyEE10hipError_tPvRmT2_T3_T4_T5_mT6_T7_P12ihipStream_tbENKUlT_T0_E_clISt17integral_constantIbLb1EES11_EEDaSW_SX_EUlSW_E_NS1_11comp_targetILNS1_3genE8ELNS1_11target_archE1030ELNS1_3gpuE2ELNS1_3repE0EEENS1_30default_config_static_selectorELNS0_4arch9wavefront6targetE0EEEvT1_,comdat
	.protected	_ZN7rocprim17ROCPRIM_400000_NS6detail17trampoline_kernelINS0_14default_configENS1_27scan_by_key_config_selectorIiyEEZZNS1_16scan_by_key_implILNS1_25lookback_scan_determinismE0ELb0ES3_N6thrust23THRUST_200600_302600_NS6detail15normal_iteratorINS9_10device_ptrIiEEEENSB_INSC_IyEEEESG_yNS9_4plusIvEENS9_8equal_toIvEEyEE10hipError_tPvRmT2_T3_T4_T5_mT6_T7_P12ihipStream_tbENKUlT_T0_E_clISt17integral_constantIbLb1EES11_EEDaSW_SX_EUlSW_E_NS1_11comp_targetILNS1_3genE8ELNS1_11target_archE1030ELNS1_3gpuE2ELNS1_3repE0EEENS1_30default_config_static_selectorELNS0_4arch9wavefront6targetE0EEEvT1_ ; -- Begin function _ZN7rocprim17ROCPRIM_400000_NS6detail17trampoline_kernelINS0_14default_configENS1_27scan_by_key_config_selectorIiyEEZZNS1_16scan_by_key_implILNS1_25lookback_scan_determinismE0ELb0ES3_N6thrust23THRUST_200600_302600_NS6detail15normal_iteratorINS9_10device_ptrIiEEEENSB_INSC_IyEEEESG_yNS9_4plusIvEENS9_8equal_toIvEEyEE10hipError_tPvRmT2_T3_T4_T5_mT6_T7_P12ihipStream_tbENKUlT_T0_E_clISt17integral_constantIbLb1EES11_EEDaSW_SX_EUlSW_E_NS1_11comp_targetILNS1_3genE8ELNS1_11target_archE1030ELNS1_3gpuE2ELNS1_3repE0EEENS1_30default_config_static_selectorELNS0_4arch9wavefront6targetE0EEEvT1_
	.globl	_ZN7rocprim17ROCPRIM_400000_NS6detail17trampoline_kernelINS0_14default_configENS1_27scan_by_key_config_selectorIiyEEZZNS1_16scan_by_key_implILNS1_25lookback_scan_determinismE0ELb0ES3_N6thrust23THRUST_200600_302600_NS6detail15normal_iteratorINS9_10device_ptrIiEEEENSB_INSC_IyEEEESG_yNS9_4plusIvEENS9_8equal_toIvEEyEE10hipError_tPvRmT2_T3_T4_T5_mT6_T7_P12ihipStream_tbENKUlT_T0_E_clISt17integral_constantIbLb1EES11_EEDaSW_SX_EUlSW_E_NS1_11comp_targetILNS1_3genE8ELNS1_11target_archE1030ELNS1_3gpuE2ELNS1_3repE0EEENS1_30default_config_static_selectorELNS0_4arch9wavefront6targetE0EEEvT1_
	.p2align	8
	.type	_ZN7rocprim17ROCPRIM_400000_NS6detail17trampoline_kernelINS0_14default_configENS1_27scan_by_key_config_selectorIiyEEZZNS1_16scan_by_key_implILNS1_25lookback_scan_determinismE0ELb0ES3_N6thrust23THRUST_200600_302600_NS6detail15normal_iteratorINS9_10device_ptrIiEEEENSB_INSC_IyEEEESG_yNS9_4plusIvEENS9_8equal_toIvEEyEE10hipError_tPvRmT2_T3_T4_T5_mT6_T7_P12ihipStream_tbENKUlT_T0_E_clISt17integral_constantIbLb1EES11_EEDaSW_SX_EUlSW_E_NS1_11comp_targetILNS1_3genE8ELNS1_11target_archE1030ELNS1_3gpuE2ELNS1_3repE0EEENS1_30default_config_static_selectorELNS0_4arch9wavefront6targetE0EEEvT1_,@function
_ZN7rocprim17ROCPRIM_400000_NS6detail17trampoline_kernelINS0_14default_configENS1_27scan_by_key_config_selectorIiyEEZZNS1_16scan_by_key_implILNS1_25lookback_scan_determinismE0ELb0ES3_N6thrust23THRUST_200600_302600_NS6detail15normal_iteratorINS9_10device_ptrIiEEEENSB_INSC_IyEEEESG_yNS9_4plusIvEENS9_8equal_toIvEEyEE10hipError_tPvRmT2_T3_T4_T5_mT6_T7_P12ihipStream_tbENKUlT_T0_E_clISt17integral_constantIbLb1EES11_EEDaSW_SX_EUlSW_E_NS1_11comp_targetILNS1_3genE8ELNS1_11target_archE1030ELNS1_3gpuE2ELNS1_3repE0EEENS1_30default_config_static_selectorELNS0_4arch9wavefront6targetE0EEEvT1_: ; @_ZN7rocprim17ROCPRIM_400000_NS6detail17trampoline_kernelINS0_14default_configENS1_27scan_by_key_config_selectorIiyEEZZNS1_16scan_by_key_implILNS1_25lookback_scan_determinismE0ELb0ES3_N6thrust23THRUST_200600_302600_NS6detail15normal_iteratorINS9_10device_ptrIiEEEENSB_INSC_IyEEEESG_yNS9_4plusIvEENS9_8equal_toIvEEyEE10hipError_tPvRmT2_T3_T4_T5_mT6_T7_P12ihipStream_tbENKUlT_T0_E_clISt17integral_constantIbLb1EES11_EEDaSW_SX_EUlSW_E_NS1_11comp_targetILNS1_3genE8ELNS1_11target_archE1030ELNS1_3gpuE2ELNS1_3repE0EEENS1_30default_config_static_selectorELNS0_4arch9wavefront6targetE0EEEvT1_
; %bb.0:
	.section	.rodata,"a",@progbits
	.p2align	6, 0x0
	.amdhsa_kernel _ZN7rocprim17ROCPRIM_400000_NS6detail17trampoline_kernelINS0_14default_configENS1_27scan_by_key_config_selectorIiyEEZZNS1_16scan_by_key_implILNS1_25lookback_scan_determinismE0ELb0ES3_N6thrust23THRUST_200600_302600_NS6detail15normal_iteratorINS9_10device_ptrIiEEEENSB_INSC_IyEEEESG_yNS9_4plusIvEENS9_8equal_toIvEEyEE10hipError_tPvRmT2_T3_T4_T5_mT6_T7_P12ihipStream_tbENKUlT_T0_E_clISt17integral_constantIbLb1EES11_EEDaSW_SX_EUlSW_E_NS1_11comp_targetILNS1_3genE8ELNS1_11target_archE1030ELNS1_3gpuE2ELNS1_3repE0EEENS1_30default_config_static_selectorELNS0_4arch9wavefront6targetE0EEEvT1_
		.amdhsa_group_segment_fixed_size 0
		.amdhsa_private_segment_fixed_size 0
		.amdhsa_kernarg_size 136
		.amdhsa_user_sgpr_count 2
		.amdhsa_user_sgpr_dispatch_ptr 0
		.amdhsa_user_sgpr_queue_ptr 0
		.amdhsa_user_sgpr_kernarg_segment_ptr 1
		.amdhsa_user_sgpr_dispatch_id 0
		.amdhsa_user_sgpr_kernarg_preload_length 0
		.amdhsa_user_sgpr_kernarg_preload_offset 0
		.amdhsa_user_sgpr_private_segment_size 0
		.amdhsa_wavefront_size32 1
		.amdhsa_uses_dynamic_stack 0
		.amdhsa_enable_private_segment 0
		.amdhsa_system_sgpr_workgroup_id_x 1
		.amdhsa_system_sgpr_workgroup_id_y 0
		.amdhsa_system_sgpr_workgroup_id_z 0
		.amdhsa_system_sgpr_workgroup_info 0
		.amdhsa_system_vgpr_workitem_id 0
		.amdhsa_next_free_vgpr 1
		.amdhsa_next_free_sgpr 1
		.amdhsa_named_barrier_count 0
		.amdhsa_reserve_vcc 0
		.amdhsa_float_round_mode_32 0
		.amdhsa_float_round_mode_16_64 0
		.amdhsa_float_denorm_mode_32 3
		.amdhsa_float_denorm_mode_16_64 3
		.amdhsa_fp16_overflow 0
		.amdhsa_memory_ordered 1
		.amdhsa_forward_progress 1
		.amdhsa_inst_pref_size 0
		.amdhsa_round_robin_scheduling 0
		.amdhsa_exception_fp_ieee_invalid_op 0
		.amdhsa_exception_fp_denorm_src 0
		.amdhsa_exception_fp_ieee_div_zero 0
		.amdhsa_exception_fp_ieee_overflow 0
		.amdhsa_exception_fp_ieee_underflow 0
		.amdhsa_exception_fp_ieee_inexact 0
		.amdhsa_exception_int_div_zero 0
	.end_amdhsa_kernel
	.section	.text._ZN7rocprim17ROCPRIM_400000_NS6detail17trampoline_kernelINS0_14default_configENS1_27scan_by_key_config_selectorIiyEEZZNS1_16scan_by_key_implILNS1_25lookback_scan_determinismE0ELb0ES3_N6thrust23THRUST_200600_302600_NS6detail15normal_iteratorINS9_10device_ptrIiEEEENSB_INSC_IyEEEESG_yNS9_4plusIvEENS9_8equal_toIvEEyEE10hipError_tPvRmT2_T3_T4_T5_mT6_T7_P12ihipStream_tbENKUlT_T0_E_clISt17integral_constantIbLb1EES11_EEDaSW_SX_EUlSW_E_NS1_11comp_targetILNS1_3genE8ELNS1_11target_archE1030ELNS1_3gpuE2ELNS1_3repE0EEENS1_30default_config_static_selectorELNS0_4arch9wavefront6targetE0EEEvT1_,"axG",@progbits,_ZN7rocprim17ROCPRIM_400000_NS6detail17trampoline_kernelINS0_14default_configENS1_27scan_by_key_config_selectorIiyEEZZNS1_16scan_by_key_implILNS1_25lookback_scan_determinismE0ELb0ES3_N6thrust23THRUST_200600_302600_NS6detail15normal_iteratorINS9_10device_ptrIiEEEENSB_INSC_IyEEEESG_yNS9_4plusIvEENS9_8equal_toIvEEyEE10hipError_tPvRmT2_T3_T4_T5_mT6_T7_P12ihipStream_tbENKUlT_T0_E_clISt17integral_constantIbLb1EES11_EEDaSW_SX_EUlSW_E_NS1_11comp_targetILNS1_3genE8ELNS1_11target_archE1030ELNS1_3gpuE2ELNS1_3repE0EEENS1_30default_config_static_selectorELNS0_4arch9wavefront6targetE0EEEvT1_,comdat
.Lfunc_end1195:
	.size	_ZN7rocprim17ROCPRIM_400000_NS6detail17trampoline_kernelINS0_14default_configENS1_27scan_by_key_config_selectorIiyEEZZNS1_16scan_by_key_implILNS1_25lookback_scan_determinismE0ELb0ES3_N6thrust23THRUST_200600_302600_NS6detail15normal_iteratorINS9_10device_ptrIiEEEENSB_INSC_IyEEEESG_yNS9_4plusIvEENS9_8equal_toIvEEyEE10hipError_tPvRmT2_T3_T4_T5_mT6_T7_P12ihipStream_tbENKUlT_T0_E_clISt17integral_constantIbLb1EES11_EEDaSW_SX_EUlSW_E_NS1_11comp_targetILNS1_3genE8ELNS1_11target_archE1030ELNS1_3gpuE2ELNS1_3repE0EEENS1_30default_config_static_selectorELNS0_4arch9wavefront6targetE0EEEvT1_, .Lfunc_end1195-_ZN7rocprim17ROCPRIM_400000_NS6detail17trampoline_kernelINS0_14default_configENS1_27scan_by_key_config_selectorIiyEEZZNS1_16scan_by_key_implILNS1_25lookback_scan_determinismE0ELb0ES3_N6thrust23THRUST_200600_302600_NS6detail15normal_iteratorINS9_10device_ptrIiEEEENSB_INSC_IyEEEESG_yNS9_4plusIvEENS9_8equal_toIvEEyEE10hipError_tPvRmT2_T3_T4_T5_mT6_T7_P12ihipStream_tbENKUlT_T0_E_clISt17integral_constantIbLb1EES11_EEDaSW_SX_EUlSW_E_NS1_11comp_targetILNS1_3genE8ELNS1_11target_archE1030ELNS1_3gpuE2ELNS1_3repE0EEENS1_30default_config_static_selectorELNS0_4arch9wavefront6targetE0EEEvT1_
                                        ; -- End function
	.set _ZN7rocprim17ROCPRIM_400000_NS6detail17trampoline_kernelINS0_14default_configENS1_27scan_by_key_config_selectorIiyEEZZNS1_16scan_by_key_implILNS1_25lookback_scan_determinismE0ELb0ES3_N6thrust23THRUST_200600_302600_NS6detail15normal_iteratorINS9_10device_ptrIiEEEENSB_INSC_IyEEEESG_yNS9_4plusIvEENS9_8equal_toIvEEyEE10hipError_tPvRmT2_T3_T4_T5_mT6_T7_P12ihipStream_tbENKUlT_T0_E_clISt17integral_constantIbLb1EES11_EEDaSW_SX_EUlSW_E_NS1_11comp_targetILNS1_3genE8ELNS1_11target_archE1030ELNS1_3gpuE2ELNS1_3repE0EEENS1_30default_config_static_selectorELNS0_4arch9wavefront6targetE0EEEvT1_.num_vgpr, 0
	.set _ZN7rocprim17ROCPRIM_400000_NS6detail17trampoline_kernelINS0_14default_configENS1_27scan_by_key_config_selectorIiyEEZZNS1_16scan_by_key_implILNS1_25lookback_scan_determinismE0ELb0ES3_N6thrust23THRUST_200600_302600_NS6detail15normal_iteratorINS9_10device_ptrIiEEEENSB_INSC_IyEEEESG_yNS9_4plusIvEENS9_8equal_toIvEEyEE10hipError_tPvRmT2_T3_T4_T5_mT6_T7_P12ihipStream_tbENKUlT_T0_E_clISt17integral_constantIbLb1EES11_EEDaSW_SX_EUlSW_E_NS1_11comp_targetILNS1_3genE8ELNS1_11target_archE1030ELNS1_3gpuE2ELNS1_3repE0EEENS1_30default_config_static_selectorELNS0_4arch9wavefront6targetE0EEEvT1_.num_agpr, 0
	.set _ZN7rocprim17ROCPRIM_400000_NS6detail17trampoline_kernelINS0_14default_configENS1_27scan_by_key_config_selectorIiyEEZZNS1_16scan_by_key_implILNS1_25lookback_scan_determinismE0ELb0ES3_N6thrust23THRUST_200600_302600_NS6detail15normal_iteratorINS9_10device_ptrIiEEEENSB_INSC_IyEEEESG_yNS9_4plusIvEENS9_8equal_toIvEEyEE10hipError_tPvRmT2_T3_T4_T5_mT6_T7_P12ihipStream_tbENKUlT_T0_E_clISt17integral_constantIbLb1EES11_EEDaSW_SX_EUlSW_E_NS1_11comp_targetILNS1_3genE8ELNS1_11target_archE1030ELNS1_3gpuE2ELNS1_3repE0EEENS1_30default_config_static_selectorELNS0_4arch9wavefront6targetE0EEEvT1_.numbered_sgpr, 0
	.set _ZN7rocprim17ROCPRIM_400000_NS6detail17trampoline_kernelINS0_14default_configENS1_27scan_by_key_config_selectorIiyEEZZNS1_16scan_by_key_implILNS1_25lookback_scan_determinismE0ELb0ES3_N6thrust23THRUST_200600_302600_NS6detail15normal_iteratorINS9_10device_ptrIiEEEENSB_INSC_IyEEEESG_yNS9_4plusIvEENS9_8equal_toIvEEyEE10hipError_tPvRmT2_T3_T4_T5_mT6_T7_P12ihipStream_tbENKUlT_T0_E_clISt17integral_constantIbLb1EES11_EEDaSW_SX_EUlSW_E_NS1_11comp_targetILNS1_3genE8ELNS1_11target_archE1030ELNS1_3gpuE2ELNS1_3repE0EEENS1_30default_config_static_selectorELNS0_4arch9wavefront6targetE0EEEvT1_.num_named_barrier, 0
	.set _ZN7rocprim17ROCPRIM_400000_NS6detail17trampoline_kernelINS0_14default_configENS1_27scan_by_key_config_selectorIiyEEZZNS1_16scan_by_key_implILNS1_25lookback_scan_determinismE0ELb0ES3_N6thrust23THRUST_200600_302600_NS6detail15normal_iteratorINS9_10device_ptrIiEEEENSB_INSC_IyEEEESG_yNS9_4plusIvEENS9_8equal_toIvEEyEE10hipError_tPvRmT2_T3_T4_T5_mT6_T7_P12ihipStream_tbENKUlT_T0_E_clISt17integral_constantIbLb1EES11_EEDaSW_SX_EUlSW_E_NS1_11comp_targetILNS1_3genE8ELNS1_11target_archE1030ELNS1_3gpuE2ELNS1_3repE0EEENS1_30default_config_static_selectorELNS0_4arch9wavefront6targetE0EEEvT1_.private_seg_size, 0
	.set _ZN7rocprim17ROCPRIM_400000_NS6detail17trampoline_kernelINS0_14default_configENS1_27scan_by_key_config_selectorIiyEEZZNS1_16scan_by_key_implILNS1_25lookback_scan_determinismE0ELb0ES3_N6thrust23THRUST_200600_302600_NS6detail15normal_iteratorINS9_10device_ptrIiEEEENSB_INSC_IyEEEESG_yNS9_4plusIvEENS9_8equal_toIvEEyEE10hipError_tPvRmT2_T3_T4_T5_mT6_T7_P12ihipStream_tbENKUlT_T0_E_clISt17integral_constantIbLb1EES11_EEDaSW_SX_EUlSW_E_NS1_11comp_targetILNS1_3genE8ELNS1_11target_archE1030ELNS1_3gpuE2ELNS1_3repE0EEENS1_30default_config_static_selectorELNS0_4arch9wavefront6targetE0EEEvT1_.uses_vcc, 0
	.set _ZN7rocprim17ROCPRIM_400000_NS6detail17trampoline_kernelINS0_14default_configENS1_27scan_by_key_config_selectorIiyEEZZNS1_16scan_by_key_implILNS1_25lookback_scan_determinismE0ELb0ES3_N6thrust23THRUST_200600_302600_NS6detail15normal_iteratorINS9_10device_ptrIiEEEENSB_INSC_IyEEEESG_yNS9_4plusIvEENS9_8equal_toIvEEyEE10hipError_tPvRmT2_T3_T4_T5_mT6_T7_P12ihipStream_tbENKUlT_T0_E_clISt17integral_constantIbLb1EES11_EEDaSW_SX_EUlSW_E_NS1_11comp_targetILNS1_3genE8ELNS1_11target_archE1030ELNS1_3gpuE2ELNS1_3repE0EEENS1_30default_config_static_selectorELNS0_4arch9wavefront6targetE0EEEvT1_.uses_flat_scratch, 0
	.set _ZN7rocprim17ROCPRIM_400000_NS6detail17trampoline_kernelINS0_14default_configENS1_27scan_by_key_config_selectorIiyEEZZNS1_16scan_by_key_implILNS1_25lookback_scan_determinismE0ELb0ES3_N6thrust23THRUST_200600_302600_NS6detail15normal_iteratorINS9_10device_ptrIiEEEENSB_INSC_IyEEEESG_yNS9_4plusIvEENS9_8equal_toIvEEyEE10hipError_tPvRmT2_T3_T4_T5_mT6_T7_P12ihipStream_tbENKUlT_T0_E_clISt17integral_constantIbLb1EES11_EEDaSW_SX_EUlSW_E_NS1_11comp_targetILNS1_3genE8ELNS1_11target_archE1030ELNS1_3gpuE2ELNS1_3repE0EEENS1_30default_config_static_selectorELNS0_4arch9wavefront6targetE0EEEvT1_.has_dyn_sized_stack, 0
	.set _ZN7rocprim17ROCPRIM_400000_NS6detail17trampoline_kernelINS0_14default_configENS1_27scan_by_key_config_selectorIiyEEZZNS1_16scan_by_key_implILNS1_25lookback_scan_determinismE0ELb0ES3_N6thrust23THRUST_200600_302600_NS6detail15normal_iteratorINS9_10device_ptrIiEEEENSB_INSC_IyEEEESG_yNS9_4plusIvEENS9_8equal_toIvEEyEE10hipError_tPvRmT2_T3_T4_T5_mT6_T7_P12ihipStream_tbENKUlT_T0_E_clISt17integral_constantIbLb1EES11_EEDaSW_SX_EUlSW_E_NS1_11comp_targetILNS1_3genE8ELNS1_11target_archE1030ELNS1_3gpuE2ELNS1_3repE0EEENS1_30default_config_static_selectorELNS0_4arch9wavefront6targetE0EEEvT1_.has_recursion, 0
	.set _ZN7rocprim17ROCPRIM_400000_NS6detail17trampoline_kernelINS0_14default_configENS1_27scan_by_key_config_selectorIiyEEZZNS1_16scan_by_key_implILNS1_25lookback_scan_determinismE0ELb0ES3_N6thrust23THRUST_200600_302600_NS6detail15normal_iteratorINS9_10device_ptrIiEEEENSB_INSC_IyEEEESG_yNS9_4plusIvEENS9_8equal_toIvEEyEE10hipError_tPvRmT2_T3_T4_T5_mT6_T7_P12ihipStream_tbENKUlT_T0_E_clISt17integral_constantIbLb1EES11_EEDaSW_SX_EUlSW_E_NS1_11comp_targetILNS1_3genE8ELNS1_11target_archE1030ELNS1_3gpuE2ELNS1_3repE0EEENS1_30default_config_static_selectorELNS0_4arch9wavefront6targetE0EEEvT1_.has_indirect_call, 0
	.section	.AMDGPU.csdata,"",@progbits
; Kernel info:
; codeLenInByte = 0
; TotalNumSgprs: 0
; NumVgprs: 0
; ScratchSize: 0
; MemoryBound: 0
; FloatMode: 240
; IeeeMode: 1
; LDSByteSize: 0 bytes/workgroup (compile time only)
; SGPRBlocks: 0
; VGPRBlocks: 0
; NumSGPRsForWavesPerEU: 1
; NumVGPRsForWavesPerEU: 1
; NamedBarCnt: 0
; Occupancy: 16
; WaveLimiterHint : 0
; COMPUTE_PGM_RSRC2:SCRATCH_EN: 0
; COMPUTE_PGM_RSRC2:USER_SGPR: 2
; COMPUTE_PGM_RSRC2:TRAP_HANDLER: 0
; COMPUTE_PGM_RSRC2:TGID_X_EN: 1
; COMPUTE_PGM_RSRC2:TGID_Y_EN: 0
; COMPUTE_PGM_RSRC2:TGID_Z_EN: 0
; COMPUTE_PGM_RSRC2:TIDIG_COMP_CNT: 0
	.section	.text._ZN7rocprim17ROCPRIM_400000_NS6detail30init_device_scan_by_key_kernelINS1_19lookback_scan_stateINS0_5tupleIJybEEELb1ELb0EEEN6thrust23THRUST_200600_302600_NS6detail15normal_iteratorINS8_10device_ptrIiEEEEjNS1_16block_id_wrapperIjLb0EEEEEvT_jjPNSG_10value_typeET0_PNSt15iterator_traitsISJ_E10value_typeEmT1_T2_,"axG",@progbits,_ZN7rocprim17ROCPRIM_400000_NS6detail30init_device_scan_by_key_kernelINS1_19lookback_scan_stateINS0_5tupleIJybEEELb1ELb0EEEN6thrust23THRUST_200600_302600_NS6detail15normal_iteratorINS8_10device_ptrIiEEEEjNS1_16block_id_wrapperIjLb0EEEEEvT_jjPNSG_10value_typeET0_PNSt15iterator_traitsISJ_E10value_typeEmT1_T2_,comdat
	.protected	_ZN7rocprim17ROCPRIM_400000_NS6detail30init_device_scan_by_key_kernelINS1_19lookback_scan_stateINS0_5tupleIJybEEELb1ELb0EEEN6thrust23THRUST_200600_302600_NS6detail15normal_iteratorINS8_10device_ptrIiEEEEjNS1_16block_id_wrapperIjLb0EEEEEvT_jjPNSG_10value_typeET0_PNSt15iterator_traitsISJ_E10value_typeEmT1_T2_ ; -- Begin function _ZN7rocprim17ROCPRIM_400000_NS6detail30init_device_scan_by_key_kernelINS1_19lookback_scan_stateINS0_5tupleIJybEEELb1ELb0EEEN6thrust23THRUST_200600_302600_NS6detail15normal_iteratorINS8_10device_ptrIiEEEEjNS1_16block_id_wrapperIjLb0EEEEEvT_jjPNSG_10value_typeET0_PNSt15iterator_traitsISJ_E10value_typeEmT1_T2_
	.globl	_ZN7rocprim17ROCPRIM_400000_NS6detail30init_device_scan_by_key_kernelINS1_19lookback_scan_stateINS0_5tupleIJybEEELb1ELb0EEEN6thrust23THRUST_200600_302600_NS6detail15normal_iteratorINS8_10device_ptrIiEEEEjNS1_16block_id_wrapperIjLb0EEEEEvT_jjPNSG_10value_typeET0_PNSt15iterator_traitsISJ_E10value_typeEmT1_T2_
	.p2align	8
	.type	_ZN7rocprim17ROCPRIM_400000_NS6detail30init_device_scan_by_key_kernelINS1_19lookback_scan_stateINS0_5tupleIJybEEELb1ELb0EEEN6thrust23THRUST_200600_302600_NS6detail15normal_iteratorINS8_10device_ptrIiEEEEjNS1_16block_id_wrapperIjLb0EEEEEvT_jjPNSG_10value_typeET0_PNSt15iterator_traitsISJ_E10value_typeEmT1_T2_,@function
_ZN7rocprim17ROCPRIM_400000_NS6detail30init_device_scan_by_key_kernelINS1_19lookback_scan_stateINS0_5tupleIJybEEELb1ELb0EEEN6thrust23THRUST_200600_302600_NS6detail15normal_iteratorINS8_10device_ptrIiEEEEjNS1_16block_id_wrapperIjLb0EEEEEvT_jjPNSG_10value_typeET0_PNSt15iterator_traitsISJ_E10value_typeEmT1_T2_: ; @_ZN7rocprim17ROCPRIM_400000_NS6detail30init_device_scan_by_key_kernelINS1_19lookback_scan_stateINS0_5tupleIJybEEELb1ELb0EEEN6thrust23THRUST_200600_302600_NS6detail15normal_iteratorINS8_10device_ptrIiEEEEjNS1_16block_id_wrapperIjLb0EEEEEvT_jjPNSG_10value_typeET0_PNSt15iterator_traitsISJ_E10value_typeEmT1_T2_
; %bb.0:
	s_clause 0x2
	s_load_b32 s2, s[0:1], 0x54
	s_load_b32 s18, s[0:1], 0x48
	s_load_b256 s[4:11], s[0:1], 0x10
	s_bfe_u32 s3, ttmp6, 0x4000c
	s_and_b32 s12, ttmp6, 15
	s_add_co_i32 s3, s3, 1
	s_getreg_b32 s13, hwreg(HW_REG_IB_STS2, 6, 4)
	s_mul_i32 s3, ttmp9, s3
	s_delay_alu instid0(SALU_CYCLE_1)
	s_add_co_i32 s12, s12, s3
	s_wait_kmcnt 0x0
	s_and_b32 s19, s2, 0xffff
	s_cmp_eq_u32 s13, 0
	s_cselect_b32 s2, ttmp9, s12
	s_cmp_eq_u64 s[8:9], 0
	v_mad_u32 v0, s2, s19, v0
	s_cbranch_scc1 .LBB1196_9
; %bb.1:
	s_cmp_lt_u32 s7, s6
	s_mov_b32 s20, exec_lo
	s_cselect_b32 s2, s7, 0
	s_delay_alu instid0(VALU_DEP_1) | instid1(SALU_CYCLE_1)
	v_cmpx_eq_u32_e64 s2, v0
	s_cbranch_execz .LBB1196_8
; %bb.2:
	s_add_co_i32 s2, s7, 32
	s_load_b128 s[12:15], s[0:1], 0x0
	v_mov_b32_e32 v1, s2
	s_mov_b32 s3, 0
	global_load_u8 v1, v1, s[4:5] scope:SCOPE_DEV
	s_wait_loadcnt 0x0
	v_and_b32_e32 v2, 0xffff, v1
	v_readfirstlane_b32 s21, v1
	s_delay_alu instid0(VALU_DEP_2)
	v_cmp_ne_u32_e32 vcc_lo, 0, v2
	s_cbranch_vccnz .LBB1196_7
; %bb.3:
	v_mov_b32_e32 v1, 0
	s_add_nc_u64 s[16:17], s[4:5], s[2:3]
	s_mov_b32 s7, 1
.LBB1196_4:                             ; =>This Loop Header: Depth=1
                                        ;     Child Loop BB1196_5 Depth 2
	s_delay_alu instid0(SALU_CYCLE_1)
	s_mov_b32 s21, s7
.LBB1196_5:                             ;   Parent Loop BB1196_4 Depth=1
                                        ; =>  This Inner Loop Header: Depth=2
	s_delay_alu instid0(SALU_CYCLE_1)
	s_add_co_i32 s21, s21, -1
	s_sleep 1
	s_cmp_eq_u32 s21, 0
	s_cbranch_scc0 .LBB1196_5
; %bb.6:                                ;   in Loop: Header=BB1196_4 Depth=1
	global_load_u8 v2, v1, s[16:17] scope:SCOPE_DEV
	s_cmp_lt_u32 s7, 32
	s_cselect_b32 s21, -1, 0
	s_delay_alu instid0(SALU_CYCLE_1) | instskip(SKIP_4) | instid1(VALU_DEP_2)
	s_cmp_lg_u32 s21, 0
	s_add_co_ci_u32 s7, s7, 0
	s_wait_loadcnt 0x0
	v_and_b32_e32 v3, 0xffff, v2
	v_readfirstlane_b32 s21, v2
	v_cmp_ne_u32_e32 vcc_lo, 0, v3
	s_cbranch_vccz .LBB1196_4
.LBB1196_7:
	s_and_b32 s7, 0xffff, s21
	v_mov_b32_e32 v1, 0
	s_cmp_eq_u32 s7, 1
	global_wb scope:SCOPE_DEV
	s_wait_storecnt 0x0
	global_inv scope:SCOPE_DEV
	s_wait_kmcnt 0x0
	s_cselect_b32 s13, s13, s15
	s_cselect_b32 s12, s12, s14
	s_lshl_b64 s[2:3], s[2:3], 4
	s_delay_alu instid0(SALU_CYCLE_1)
	s_add_nc_u64 s[2:3], s[12:13], s[2:3]
	s_clause 0x1
	global_load_b64 v[2:3], v1, s[2:3]
	global_load_u8 v4, v1, s[2:3] offset:8
	s_wait_loadcnt 0x1
	global_store_b64 v1, v[2:3], s[8:9]
	s_wait_loadcnt 0x0
	global_store_b8 v1, v4, s[8:9] offset:8
.LBB1196_8:
	s_wait_xcnt 0x0
	s_or_b32 exec_lo, exec_lo, s20
.LBB1196_9:
	s_delay_alu instid0(SALU_CYCLE_1) | instskip(NEXT) | instid1(VALU_DEP_1)
	s_mov_b32 s2, exec_lo
	v_cmpx_gt_u32_e64 s6, v0
	s_cbranch_execz .LBB1196_11
; %bb.10:
	v_dual_mov_b32 v2, 0 :: v_dual_add_nc_u32 v1, 32, v0
	global_store_b8 v1, v2, s[4:5]
.LBB1196_11:
	s_wait_xcnt 0x0
	s_or_b32 exec_lo, exec_lo, s2
	v_mov_b32_e32 v1, 0
	s_mov_b32 s2, exec_lo
	v_cmpx_gt_u32_e32 32, v0
	s_cbranch_execz .LBB1196_13
; %bb.12:
	s_delay_alu instid0(VALU_DEP_2)
	v_add_nc_u64_e32 v[2:3], s[4:5], v[0:1]
	v_mov_b32_e32 v4, 0xff
	global_store_b8 v[2:3], v4, off
.LBB1196_13:
	s_wait_xcnt 0x0
	s_or_b32 exec_lo, exec_lo, s2
	s_load_b64 s[2:3], s[0:1], 0x38
	s_mov_b32 s4, exec_lo
	s_wait_kmcnt 0x0
	v_cmpx_gt_u64_e64 s[2:3], v[0:1]
	s_cbranch_execz .LBB1196_16
; %bb.14:
	s_clause 0x1
	s_load_b32 s4, s[0:1], 0x40
	s_load_b64 s[6:7], s[0:1], 0x30
	s_mov_b32 s5, 0
	s_wait_xcnt 0x0
	s_mul_i32 s0, s18, s19
	s_mov_b32 s9, s5
	s_mov_b32 s1, s5
	s_wait_kmcnt 0x0
	v_mul_u64_e32 v[2:3], s[4:5], v[0:1]
	s_add_co_i32 s8, s4, -1
	v_lshl_add_u64 v[4:5], v[0:1], 2, s[6:7]
	s_lshl_b64 s[8:9], s[8:9], 2
	s_delay_alu instid0(SALU_CYCLE_1) | instskip(SKIP_1) | instid1(SALU_CYCLE_1)
	s_add_nc_u64 s[8:9], s[10:11], s[8:9]
	s_mul_u64 s[10:11], s[4:5], s[0:1]
	s_lshl_b64 s[6:7], s[10:11], 2
	s_delay_alu instid0(VALU_DEP_2)
	v_lshl_add_u64 v[2:3], v[2:3], 2, s[8:9]
	s_lshl_b64 s[8:9], s[0:1], 2
.LBB1196_15:                            ; =>This Inner Loop Header: Depth=1
	global_load_b32 v6, v[2:3], off
	v_add_nc_u64_e32 v[0:1], s[0:1], v[0:1]
	s_wait_xcnt 0x0
	v_add_nc_u64_e32 v[2:3], s[6:7], v[2:3]
	s_delay_alu instid0(VALU_DEP_2)
	v_cmp_le_u64_e32 vcc_lo, s[2:3], v[0:1]
	s_or_b32 s5, vcc_lo, s5
	s_wait_loadcnt 0x0
	global_store_b32 v[4:5], v6, off
	s_wait_xcnt 0x0
	v_add_nc_u64_e32 v[4:5], s[8:9], v[4:5]
	s_and_not1_b32 exec_lo, exec_lo, s5
	s_cbranch_execnz .LBB1196_15
.LBB1196_16:
	s_endpgm
	.section	.rodata,"a",@progbits
	.p2align	6, 0x0
	.amdhsa_kernel _ZN7rocprim17ROCPRIM_400000_NS6detail30init_device_scan_by_key_kernelINS1_19lookback_scan_stateINS0_5tupleIJybEEELb1ELb0EEEN6thrust23THRUST_200600_302600_NS6detail15normal_iteratorINS8_10device_ptrIiEEEEjNS1_16block_id_wrapperIjLb0EEEEEvT_jjPNSG_10value_typeET0_PNSt15iterator_traitsISJ_E10value_typeEmT1_T2_
		.amdhsa_group_segment_fixed_size 0
		.amdhsa_private_segment_fixed_size 0
		.amdhsa_kernarg_size 328
		.amdhsa_user_sgpr_count 2
		.amdhsa_user_sgpr_dispatch_ptr 0
		.amdhsa_user_sgpr_queue_ptr 0
		.amdhsa_user_sgpr_kernarg_segment_ptr 1
		.amdhsa_user_sgpr_dispatch_id 0
		.amdhsa_user_sgpr_kernarg_preload_length 0
		.amdhsa_user_sgpr_kernarg_preload_offset 0
		.amdhsa_user_sgpr_private_segment_size 0
		.amdhsa_wavefront_size32 1
		.amdhsa_uses_dynamic_stack 0
		.amdhsa_enable_private_segment 0
		.amdhsa_system_sgpr_workgroup_id_x 1
		.amdhsa_system_sgpr_workgroup_id_y 0
		.amdhsa_system_sgpr_workgroup_id_z 0
		.amdhsa_system_sgpr_workgroup_info 0
		.amdhsa_system_vgpr_workitem_id 0
		.amdhsa_next_free_vgpr 7
		.amdhsa_next_free_sgpr 22
		.amdhsa_named_barrier_count 0
		.amdhsa_reserve_vcc 1
		.amdhsa_float_round_mode_32 0
		.amdhsa_float_round_mode_16_64 0
		.amdhsa_float_denorm_mode_32 3
		.amdhsa_float_denorm_mode_16_64 3
		.amdhsa_fp16_overflow 0
		.amdhsa_memory_ordered 1
		.amdhsa_forward_progress 1
		.amdhsa_inst_pref_size 6
		.amdhsa_round_robin_scheduling 0
		.amdhsa_exception_fp_ieee_invalid_op 0
		.amdhsa_exception_fp_denorm_src 0
		.amdhsa_exception_fp_ieee_div_zero 0
		.amdhsa_exception_fp_ieee_overflow 0
		.amdhsa_exception_fp_ieee_underflow 0
		.amdhsa_exception_fp_ieee_inexact 0
		.amdhsa_exception_int_div_zero 0
	.end_amdhsa_kernel
	.section	.text._ZN7rocprim17ROCPRIM_400000_NS6detail30init_device_scan_by_key_kernelINS1_19lookback_scan_stateINS0_5tupleIJybEEELb1ELb0EEEN6thrust23THRUST_200600_302600_NS6detail15normal_iteratorINS8_10device_ptrIiEEEEjNS1_16block_id_wrapperIjLb0EEEEEvT_jjPNSG_10value_typeET0_PNSt15iterator_traitsISJ_E10value_typeEmT1_T2_,"axG",@progbits,_ZN7rocprim17ROCPRIM_400000_NS6detail30init_device_scan_by_key_kernelINS1_19lookback_scan_stateINS0_5tupleIJybEEELb1ELb0EEEN6thrust23THRUST_200600_302600_NS6detail15normal_iteratorINS8_10device_ptrIiEEEEjNS1_16block_id_wrapperIjLb0EEEEEvT_jjPNSG_10value_typeET0_PNSt15iterator_traitsISJ_E10value_typeEmT1_T2_,comdat
.Lfunc_end1196:
	.size	_ZN7rocprim17ROCPRIM_400000_NS6detail30init_device_scan_by_key_kernelINS1_19lookback_scan_stateINS0_5tupleIJybEEELb1ELb0EEEN6thrust23THRUST_200600_302600_NS6detail15normal_iteratorINS8_10device_ptrIiEEEEjNS1_16block_id_wrapperIjLb0EEEEEvT_jjPNSG_10value_typeET0_PNSt15iterator_traitsISJ_E10value_typeEmT1_T2_, .Lfunc_end1196-_ZN7rocprim17ROCPRIM_400000_NS6detail30init_device_scan_by_key_kernelINS1_19lookback_scan_stateINS0_5tupleIJybEEELb1ELb0EEEN6thrust23THRUST_200600_302600_NS6detail15normal_iteratorINS8_10device_ptrIiEEEEjNS1_16block_id_wrapperIjLb0EEEEEvT_jjPNSG_10value_typeET0_PNSt15iterator_traitsISJ_E10value_typeEmT1_T2_
                                        ; -- End function
	.set _ZN7rocprim17ROCPRIM_400000_NS6detail30init_device_scan_by_key_kernelINS1_19lookback_scan_stateINS0_5tupleIJybEEELb1ELb0EEEN6thrust23THRUST_200600_302600_NS6detail15normal_iteratorINS8_10device_ptrIiEEEEjNS1_16block_id_wrapperIjLb0EEEEEvT_jjPNSG_10value_typeET0_PNSt15iterator_traitsISJ_E10value_typeEmT1_T2_.num_vgpr, 7
	.set _ZN7rocprim17ROCPRIM_400000_NS6detail30init_device_scan_by_key_kernelINS1_19lookback_scan_stateINS0_5tupleIJybEEELb1ELb0EEEN6thrust23THRUST_200600_302600_NS6detail15normal_iteratorINS8_10device_ptrIiEEEEjNS1_16block_id_wrapperIjLb0EEEEEvT_jjPNSG_10value_typeET0_PNSt15iterator_traitsISJ_E10value_typeEmT1_T2_.num_agpr, 0
	.set _ZN7rocprim17ROCPRIM_400000_NS6detail30init_device_scan_by_key_kernelINS1_19lookback_scan_stateINS0_5tupleIJybEEELb1ELb0EEEN6thrust23THRUST_200600_302600_NS6detail15normal_iteratorINS8_10device_ptrIiEEEEjNS1_16block_id_wrapperIjLb0EEEEEvT_jjPNSG_10value_typeET0_PNSt15iterator_traitsISJ_E10value_typeEmT1_T2_.numbered_sgpr, 22
	.set _ZN7rocprim17ROCPRIM_400000_NS6detail30init_device_scan_by_key_kernelINS1_19lookback_scan_stateINS0_5tupleIJybEEELb1ELb0EEEN6thrust23THRUST_200600_302600_NS6detail15normal_iteratorINS8_10device_ptrIiEEEEjNS1_16block_id_wrapperIjLb0EEEEEvT_jjPNSG_10value_typeET0_PNSt15iterator_traitsISJ_E10value_typeEmT1_T2_.num_named_barrier, 0
	.set _ZN7rocprim17ROCPRIM_400000_NS6detail30init_device_scan_by_key_kernelINS1_19lookback_scan_stateINS0_5tupleIJybEEELb1ELb0EEEN6thrust23THRUST_200600_302600_NS6detail15normal_iteratorINS8_10device_ptrIiEEEEjNS1_16block_id_wrapperIjLb0EEEEEvT_jjPNSG_10value_typeET0_PNSt15iterator_traitsISJ_E10value_typeEmT1_T2_.private_seg_size, 0
	.set _ZN7rocprim17ROCPRIM_400000_NS6detail30init_device_scan_by_key_kernelINS1_19lookback_scan_stateINS0_5tupleIJybEEELb1ELb0EEEN6thrust23THRUST_200600_302600_NS6detail15normal_iteratorINS8_10device_ptrIiEEEEjNS1_16block_id_wrapperIjLb0EEEEEvT_jjPNSG_10value_typeET0_PNSt15iterator_traitsISJ_E10value_typeEmT1_T2_.uses_vcc, 1
	.set _ZN7rocprim17ROCPRIM_400000_NS6detail30init_device_scan_by_key_kernelINS1_19lookback_scan_stateINS0_5tupleIJybEEELb1ELb0EEEN6thrust23THRUST_200600_302600_NS6detail15normal_iteratorINS8_10device_ptrIiEEEEjNS1_16block_id_wrapperIjLb0EEEEEvT_jjPNSG_10value_typeET0_PNSt15iterator_traitsISJ_E10value_typeEmT1_T2_.uses_flat_scratch, 0
	.set _ZN7rocprim17ROCPRIM_400000_NS6detail30init_device_scan_by_key_kernelINS1_19lookback_scan_stateINS0_5tupleIJybEEELb1ELb0EEEN6thrust23THRUST_200600_302600_NS6detail15normal_iteratorINS8_10device_ptrIiEEEEjNS1_16block_id_wrapperIjLb0EEEEEvT_jjPNSG_10value_typeET0_PNSt15iterator_traitsISJ_E10value_typeEmT1_T2_.has_dyn_sized_stack, 0
	.set _ZN7rocprim17ROCPRIM_400000_NS6detail30init_device_scan_by_key_kernelINS1_19lookback_scan_stateINS0_5tupleIJybEEELb1ELb0EEEN6thrust23THRUST_200600_302600_NS6detail15normal_iteratorINS8_10device_ptrIiEEEEjNS1_16block_id_wrapperIjLb0EEEEEvT_jjPNSG_10value_typeET0_PNSt15iterator_traitsISJ_E10value_typeEmT1_T2_.has_recursion, 0
	.set _ZN7rocprim17ROCPRIM_400000_NS6detail30init_device_scan_by_key_kernelINS1_19lookback_scan_stateINS0_5tupleIJybEEELb1ELb0EEEN6thrust23THRUST_200600_302600_NS6detail15normal_iteratorINS8_10device_ptrIiEEEEjNS1_16block_id_wrapperIjLb0EEEEEvT_jjPNSG_10value_typeET0_PNSt15iterator_traitsISJ_E10value_typeEmT1_T2_.has_indirect_call, 0
	.section	.AMDGPU.csdata,"",@progbits
; Kernel info:
; codeLenInByte = 712
; TotalNumSgprs: 24
; NumVgprs: 7
; ScratchSize: 0
; MemoryBound: 0
; FloatMode: 240
; IeeeMode: 1
; LDSByteSize: 0 bytes/workgroup (compile time only)
; SGPRBlocks: 0
; VGPRBlocks: 0
; NumSGPRsForWavesPerEU: 24
; NumVGPRsForWavesPerEU: 7
; NamedBarCnt: 0
; Occupancy: 16
; WaveLimiterHint : 0
; COMPUTE_PGM_RSRC2:SCRATCH_EN: 0
; COMPUTE_PGM_RSRC2:USER_SGPR: 2
; COMPUTE_PGM_RSRC2:TRAP_HANDLER: 0
; COMPUTE_PGM_RSRC2:TGID_X_EN: 1
; COMPUTE_PGM_RSRC2:TGID_Y_EN: 0
; COMPUTE_PGM_RSRC2:TGID_Z_EN: 0
; COMPUTE_PGM_RSRC2:TIDIG_COMP_CNT: 0
	.section	.text._ZN7rocprim17ROCPRIM_400000_NS6detail30init_device_scan_by_key_kernelINS1_19lookback_scan_stateINS0_5tupleIJybEEELb1ELb0EEENS1_16block_id_wrapperIjLb0EEEEEvT_jjPNS9_10value_typeET0_,"axG",@progbits,_ZN7rocprim17ROCPRIM_400000_NS6detail30init_device_scan_by_key_kernelINS1_19lookback_scan_stateINS0_5tupleIJybEEELb1ELb0EEENS1_16block_id_wrapperIjLb0EEEEEvT_jjPNS9_10value_typeET0_,comdat
	.protected	_ZN7rocprim17ROCPRIM_400000_NS6detail30init_device_scan_by_key_kernelINS1_19lookback_scan_stateINS0_5tupleIJybEEELb1ELb0EEENS1_16block_id_wrapperIjLb0EEEEEvT_jjPNS9_10value_typeET0_ ; -- Begin function _ZN7rocprim17ROCPRIM_400000_NS6detail30init_device_scan_by_key_kernelINS1_19lookback_scan_stateINS0_5tupleIJybEEELb1ELb0EEENS1_16block_id_wrapperIjLb0EEEEEvT_jjPNS9_10value_typeET0_
	.globl	_ZN7rocprim17ROCPRIM_400000_NS6detail30init_device_scan_by_key_kernelINS1_19lookback_scan_stateINS0_5tupleIJybEEELb1ELb0EEENS1_16block_id_wrapperIjLb0EEEEEvT_jjPNS9_10value_typeET0_
	.p2align	8
	.type	_ZN7rocprim17ROCPRIM_400000_NS6detail30init_device_scan_by_key_kernelINS1_19lookback_scan_stateINS0_5tupleIJybEEELb1ELb0EEENS1_16block_id_wrapperIjLb0EEEEEvT_jjPNS9_10value_typeET0_,@function
_ZN7rocprim17ROCPRIM_400000_NS6detail30init_device_scan_by_key_kernelINS1_19lookback_scan_stateINS0_5tupleIJybEEELb1ELb0EEENS1_16block_id_wrapperIjLb0EEEEEvT_jjPNS9_10value_typeET0_: ; @_ZN7rocprim17ROCPRIM_400000_NS6detail30init_device_scan_by_key_kernelINS1_19lookback_scan_stateINS0_5tupleIJybEEELb1ELb0EEENS1_16block_id_wrapperIjLb0EEEEEvT_jjPNS9_10value_typeET0_
; %bb.0:
	s_clause 0x2
	s_load_b32 s8, s[0:1], 0x3c
	s_load_b128 s[4:7], s[0:1], 0x10
	s_load_b64 s[2:3], s[0:1], 0x20
	s_bfe_u32 s9, ttmp6, 0x4000c
	s_and_b32 s10, ttmp6, 15
	s_add_co_i32 s9, s9, 1
	s_getreg_b32 s11, hwreg(HW_REG_IB_STS2, 6, 4)
	s_mul_i32 s9, ttmp9, s9
	s_delay_alu instid0(SALU_CYCLE_1)
	s_add_co_i32 s10, s10, s9
	s_wait_kmcnt 0x0
	s_and_b32 s8, s8, 0xffff
	s_cmp_eq_u32 s11, 0
	s_cselect_b32 s9, ttmp9, s10
	s_cmp_eq_u64 s[2:3], 0
	v_mad_u32 v0, s9, s8, v0
	s_cbranch_scc1 .LBB1197_9
; %bb.1:
	s_cmp_lt_u32 s7, s6
	s_mov_b32 s14, exec_lo
	s_cselect_b32 s8, s7, 0
	s_delay_alu instid0(VALU_DEP_1) | instid1(SALU_CYCLE_1)
	v_cmpx_eq_u32_e64 s8, v0
	s_cbranch_execz .LBB1197_8
; %bb.2:
	s_add_co_i32 s12, s7, 32
	s_load_b128 s[8:11], s[0:1], 0x0
	v_mov_b32_e32 v1, s12
	s_mov_b32 s13, 0
	global_load_u8 v1, v1, s[4:5] scope:SCOPE_DEV
	s_wait_loadcnt 0x0
	v_and_b32_e32 v2, 0xffff, v1
	v_readfirstlane_b32 s15, v1
	s_delay_alu instid0(VALU_DEP_2)
	v_cmp_ne_u32_e32 vcc_lo, 0, v2
	s_cbranch_vccnz .LBB1197_7
; %bb.3:
	v_mov_b32_e32 v1, 0
	s_add_nc_u64 s[0:1], s[4:5], s[12:13]
	s_mov_b32 s7, 1
.LBB1197_4:                             ; =>This Loop Header: Depth=1
                                        ;     Child Loop BB1197_5 Depth 2
	s_delay_alu instid0(SALU_CYCLE_1)
	s_mov_b32 s15, s7
.LBB1197_5:                             ;   Parent Loop BB1197_4 Depth=1
                                        ; =>  This Inner Loop Header: Depth=2
	s_delay_alu instid0(SALU_CYCLE_1)
	s_add_co_i32 s15, s15, -1
	s_sleep 1
	s_cmp_eq_u32 s15, 0
	s_cbranch_scc0 .LBB1197_5
; %bb.6:                                ;   in Loop: Header=BB1197_4 Depth=1
	global_load_u8 v2, v1, s[0:1] scope:SCOPE_DEV
	s_cmp_lt_u32 s7, 32
	s_cselect_b32 s15, -1, 0
	s_delay_alu instid0(SALU_CYCLE_1) | instskip(SKIP_4) | instid1(VALU_DEP_2)
	s_cmp_lg_u32 s15, 0
	s_add_co_ci_u32 s7, s7, 0
	s_wait_loadcnt 0x0
	v_and_b32_e32 v3, 0xffff, v2
	v_readfirstlane_b32 s15, v2
	v_cmp_ne_u32_e32 vcc_lo, 0, v3
	s_cbranch_vccz .LBB1197_4
.LBB1197_7:
	s_and_b32 s0, 0xffff, s15
	v_mov_b32_e32 v1, 0
	s_cmp_eq_u32 s0, 1
	global_wb scope:SCOPE_DEV
	s_wait_storecnt 0x0
	global_inv scope:SCOPE_DEV
	s_wait_kmcnt 0x0
	s_cselect_b32 s1, s9, s11
	s_cselect_b32 s0, s8, s10
	s_lshl_b64 s[8:9], s[12:13], 4
	s_delay_alu instid0(SALU_CYCLE_1)
	s_add_nc_u64 s[0:1], s[0:1], s[8:9]
	s_clause 0x1
	global_load_b64 v[2:3], v1, s[0:1]
	global_load_u8 v4, v1, s[0:1] offset:8
	s_wait_loadcnt 0x1
	global_store_b64 v1, v[2:3], s[2:3]
	s_wait_loadcnt 0x0
	global_store_b8 v1, v4, s[2:3] offset:8
.LBB1197_8:
	s_wait_xcnt 0x0
	s_or_b32 exec_lo, exec_lo, s14
.LBB1197_9:
	s_delay_alu instid0(SALU_CYCLE_1) | instskip(NEXT) | instid1(VALU_DEP_1)
	s_mov_b32 s0, exec_lo
	v_cmpx_gt_u32_e64 s6, v0
	s_cbranch_execz .LBB1197_11
; %bb.10:
	v_dual_mov_b32 v2, 0 :: v_dual_add_nc_u32 v1, 32, v0
	global_store_b8 v1, v2, s[4:5]
.LBB1197_11:
	s_wait_xcnt 0x0
	s_or_b32 exec_lo, exec_lo, s0
	s_delay_alu instid0(SALU_CYCLE_1)
	s_mov_b32 s0, exec_lo
	v_cmpx_gt_u32_e32 32, v0
	s_cbranch_execz .LBB1197_13
; %bb.12:
	v_mov_b32_e32 v1, 0xff
	global_store_b8 v0, v1, s[4:5]
.LBB1197_13:
	s_endpgm
	.section	.rodata,"a",@progbits
	.p2align	6, 0x0
	.amdhsa_kernel _ZN7rocprim17ROCPRIM_400000_NS6detail30init_device_scan_by_key_kernelINS1_19lookback_scan_stateINS0_5tupleIJybEEELb1ELb0EEENS1_16block_id_wrapperIjLb0EEEEEvT_jjPNS9_10value_typeET0_
		.amdhsa_group_segment_fixed_size 0
		.amdhsa_private_segment_fixed_size 0
		.amdhsa_kernarg_size 304
		.amdhsa_user_sgpr_count 2
		.amdhsa_user_sgpr_dispatch_ptr 0
		.amdhsa_user_sgpr_queue_ptr 0
		.amdhsa_user_sgpr_kernarg_segment_ptr 1
		.amdhsa_user_sgpr_dispatch_id 0
		.amdhsa_user_sgpr_kernarg_preload_length 0
		.amdhsa_user_sgpr_kernarg_preload_offset 0
		.amdhsa_user_sgpr_private_segment_size 0
		.amdhsa_wavefront_size32 1
		.amdhsa_uses_dynamic_stack 0
		.amdhsa_enable_private_segment 0
		.amdhsa_system_sgpr_workgroup_id_x 1
		.amdhsa_system_sgpr_workgroup_id_y 0
		.amdhsa_system_sgpr_workgroup_id_z 0
		.amdhsa_system_sgpr_workgroup_info 0
		.amdhsa_system_vgpr_workitem_id 0
		.amdhsa_next_free_vgpr 5
		.amdhsa_next_free_sgpr 16
		.amdhsa_named_barrier_count 0
		.amdhsa_reserve_vcc 1
		.amdhsa_float_round_mode_32 0
		.amdhsa_float_round_mode_16_64 0
		.amdhsa_float_denorm_mode_32 3
		.amdhsa_float_denorm_mode_16_64 3
		.amdhsa_fp16_overflow 0
		.amdhsa_memory_ordered 1
		.amdhsa_forward_progress 1
		.amdhsa_inst_pref_size 4
		.amdhsa_round_robin_scheduling 0
		.amdhsa_exception_fp_ieee_invalid_op 0
		.amdhsa_exception_fp_denorm_src 0
		.amdhsa_exception_fp_ieee_div_zero 0
		.amdhsa_exception_fp_ieee_overflow 0
		.amdhsa_exception_fp_ieee_underflow 0
		.amdhsa_exception_fp_ieee_inexact 0
		.amdhsa_exception_int_div_zero 0
	.end_amdhsa_kernel
	.section	.text._ZN7rocprim17ROCPRIM_400000_NS6detail30init_device_scan_by_key_kernelINS1_19lookback_scan_stateINS0_5tupleIJybEEELb1ELb0EEENS1_16block_id_wrapperIjLb0EEEEEvT_jjPNS9_10value_typeET0_,"axG",@progbits,_ZN7rocprim17ROCPRIM_400000_NS6detail30init_device_scan_by_key_kernelINS1_19lookback_scan_stateINS0_5tupleIJybEEELb1ELb0EEENS1_16block_id_wrapperIjLb0EEEEEvT_jjPNS9_10value_typeET0_,comdat
.Lfunc_end1197:
	.size	_ZN7rocprim17ROCPRIM_400000_NS6detail30init_device_scan_by_key_kernelINS1_19lookback_scan_stateINS0_5tupleIJybEEELb1ELb0EEENS1_16block_id_wrapperIjLb0EEEEEvT_jjPNS9_10value_typeET0_, .Lfunc_end1197-_ZN7rocprim17ROCPRIM_400000_NS6detail30init_device_scan_by_key_kernelINS1_19lookback_scan_stateINS0_5tupleIJybEEELb1ELb0EEENS1_16block_id_wrapperIjLb0EEEEEvT_jjPNS9_10value_typeET0_
                                        ; -- End function
	.set _ZN7rocprim17ROCPRIM_400000_NS6detail30init_device_scan_by_key_kernelINS1_19lookback_scan_stateINS0_5tupleIJybEEELb1ELb0EEENS1_16block_id_wrapperIjLb0EEEEEvT_jjPNS9_10value_typeET0_.num_vgpr, 5
	.set _ZN7rocprim17ROCPRIM_400000_NS6detail30init_device_scan_by_key_kernelINS1_19lookback_scan_stateINS0_5tupleIJybEEELb1ELb0EEENS1_16block_id_wrapperIjLb0EEEEEvT_jjPNS9_10value_typeET0_.num_agpr, 0
	.set _ZN7rocprim17ROCPRIM_400000_NS6detail30init_device_scan_by_key_kernelINS1_19lookback_scan_stateINS0_5tupleIJybEEELb1ELb0EEENS1_16block_id_wrapperIjLb0EEEEEvT_jjPNS9_10value_typeET0_.numbered_sgpr, 16
	.set _ZN7rocprim17ROCPRIM_400000_NS6detail30init_device_scan_by_key_kernelINS1_19lookback_scan_stateINS0_5tupleIJybEEELb1ELb0EEENS1_16block_id_wrapperIjLb0EEEEEvT_jjPNS9_10value_typeET0_.num_named_barrier, 0
	.set _ZN7rocprim17ROCPRIM_400000_NS6detail30init_device_scan_by_key_kernelINS1_19lookback_scan_stateINS0_5tupleIJybEEELb1ELb0EEENS1_16block_id_wrapperIjLb0EEEEEvT_jjPNS9_10value_typeET0_.private_seg_size, 0
	.set _ZN7rocprim17ROCPRIM_400000_NS6detail30init_device_scan_by_key_kernelINS1_19lookback_scan_stateINS0_5tupleIJybEEELb1ELb0EEENS1_16block_id_wrapperIjLb0EEEEEvT_jjPNS9_10value_typeET0_.uses_vcc, 1
	.set _ZN7rocprim17ROCPRIM_400000_NS6detail30init_device_scan_by_key_kernelINS1_19lookback_scan_stateINS0_5tupleIJybEEELb1ELb0EEENS1_16block_id_wrapperIjLb0EEEEEvT_jjPNS9_10value_typeET0_.uses_flat_scratch, 0
	.set _ZN7rocprim17ROCPRIM_400000_NS6detail30init_device_scan_by_key_kernelINS1_19lookback_scan_stateINS0_5tupleIJybEEELb1ELb0EEENS1_16block_id_wrapperIjLb0EEEEEvT_jjPNS9_10value_typeET0_.has_dyn_sized_stack, 0
	.set _ZN7rocprim17ROCPRIM_400000_NS6detail30init_device_scan_by_key_kernelINS1_19lookback_scan_stateINS0_5tupleIJybEEELb1ELb0EEENS1_16block_id_wrapperIjLb0EEEEEvT_jjPNS9_10value_typeET0_.has_recursion, 0
	.set _ZN7rocprim17ROCPRIM_400000_NS6detail30init_device_scan_by_key_kernelINS1_19lookback_scan_stateINS0_5tupleIJybEEELb1ELb0EEENS1_16block_id_wrapperIjLb0EEEEEvT_jjPNS9_10value_typeET0_.has_indirect_call, 0
	.section	.AMDGPU.csdata,"",@progbits
; Kernel info:
; codeLenInByte = 504
; TotalNumSgprs: 18
; NumVgprs: 5
; ScratchSize: 0
; MemoryBound: 0
; FloatMode: 240
; IeeeMode: 1
; LDSByteSize: 0 bytes/workgroup (compile time only)
; SGPRBlocks: 0
; VGPRBlocks: 0
; NumSGPRsForWavesPerEU: 18
; NumVGPRsForWavesPerEU: 5
; NamedBarCnt: 0
; Occupancy: 16
; WaveLimiterHint : 0
; COMPUTE_PGM_RSRC2:SCRATCH_EN: 0
; COMPUTE_PGM_RSRC2:USER_SGPR: 2
; COMPUTE_PGM_RSRC2:TRAP_HANDLER: 0
; COMPUTE_PGM_RSRC2:TGID_X_EN: 1
; COMPUTE_PGM_RSRC2:TGID_Y_EN: 0
; COMPUTE_PGM_RSRC2:TGID_Z_EN: 0
; COMPUTE_PGM_RSRC2:TIDIG_COMP_CNT: 0
	.section	.text._ZN7rocprim17ROCPRIM_400000_NS6detail17trampoline_kernelINS0_14default_configENS1_27scan_by_key_config_selectorIiyEEZZNS1_16scan_by_key_implILNS1_25lookback_scan_determinismE0ELb0ES3_N6thrust23THRUST_200600_302600_NS6detail15normal_iteratorINS9_10device_ptrIiEEEENSB_INSC_IyEEEESG_yNS9_4plusIvEENS9_8equal_toIvEEyEE10hipError_tPvRmT2_T3_T4_T5_mT6_T7_P12ihipStream_tbENKUlT_T0_E_clISt17integral_constantIbLb1EES10_IbLb0EEEEDaSW_SX_EUlSW_E_NS1_11comp_targetILNS1_3genE0ELNS1_11target_archE4294967295ELNS1_3gpuE0ELNS1_3repE0EEENS1_30default_config_static_selectorELNS0_4arch9wavefront6targetE0EEEvT1_,"axG",@progbits,_ZN7rocprim17ROCPRIM_400000_NS6detail17trampoline_kernelINS0_14default_configENS1_27scan_by_key_config_selectorIiyEEZZNS1_16scan_by_key_implILNS1_25lookback_scan_determinismE0ELb0ES3_N6thrust23THRUST_200600_302600_NS6detail15normal_iteratorINS9_10device_ptrIiEEEENSB_INSC_IyEEEESG_yNS9_4plusIvEENS9_8equal_toIvEEyEE10hipError_tPvRmT2_T3_T4_T5_mT6_T7_P12ihipStream_tbENKUlT_T0_E_clISt17integral_constantIbLb1EES10_IbLb0EEEEDaSW_SX_EUlSW_E_NS1_11comp_targetILNS1_3genE0ELNS1_11target_archE4294967295ELNS1_3gpuE0ELNS1_3repE0EEENS1_30default_config_static_selectorELNS0_4arch9wavefront6targetE0EEEvT1_,comdat
	.protected	_ZN7rocprim17ROCPRIM_400000_NS6detail17trampoline_kernelINS0_14default_configENS1_27scan_by_key_config_selectorIiyEEZZNS1_16scan_by_key_implILNS1_25lookback_scan_determinismE0ELb0ES3_N6thrust23THRUST_200600_302600_NS6detail15normal_iteratorINS9_10device_ptrIiEEEENSB_INSC_IyEEEESG_yNS9_4plusIvEENS9_8equal_toIvEEyEE10hipError_tPvRmT2_T3_T4_T5_mT6_T7_P12ihipStream_tbENKUlT_T0_E_clISt17integral_constantIbLb1EES10_IbLb0EEEEDaSW_SX_EUlSW_E_NS1_11comp_targetILNS1_3genE0ELNS1_11target_archE4294967295ELNS1_3gpuE0ELNS1_3repE0EEENS1_30default_config_static_selectorELNS0_4arch9wavefront6targetE0EEEvT1_ ; -- Begin function _ZN7rocprim17ROCPRIM_400000_NS6detail17trampoline_kernelINS0_14default_configENS1_27scan_by_key_config_selectorIiyEEZZNS1_16scan_by_key_implILNS1_25lookback_scan_determinismE0ELb0ES3_N6thrust23THRUST_200600_302600_NS6detail15normal_iteratorINS9_10device_ptrIiEEEENSB_INSC_IyEEEESG_yNS9_4plusIvEENS9_8equal_toIvEEyEE10hipError_tPvRmT2_T3_T4_T5_mT6_T7_P12ihipStream_tbENKUlT_T0_E_clISt17integral_constantIbLb1EES10_IbLb0EEEEDaSW_SX_EUlSW_E_NS1_11comp_targetILNS1_3genE0ELNS1_11target_archE4294967295ELNS1_3gpuE0ELNS1_3repE0EEENS1_30default_config_static_selectorELNS0_4arch9wavefront6targetE0EEEvT1_
	.globl	_ZN7rocprim17ROCPRIM_400000_NS6detail17trampoline_kernelINS0_14default_configENS1_27scan_by_key_config_selectorIiyEEZZNS1_16scan_by_key_implILNS1_25lookback_scan_determinismE0ELb0ES3_N6thrust23THRUST_200600_302600_NS6detail15normal_iteratorINS9_10device_ptrIiEEEENSB_INSC_IyEEEESG_yNS9_4plusIvEENS9_8equal_toIvEEyEE10hipError_tPvRmT2_T3_T4_T5_mT6_T7_P12ihipStream_tbENKUlT_T0_E_clISt17integral_constantIbLb1EES10_IbLb0EEEEDaSW_SX_EUlSW_E_NS1_11comp_targetILNS1_3genE0ELNS1_11target_archE4294967295ELNS1_3gpuE0ELNS1_3repE0EEENS1_30default_config_static_selectorELNS0_4arch9wavefront6targetE0EEEvT1_
	.p2align	8
	.type	_ZN7rocprim17ROCPRIM_400000_NS6detail17trampoline_kernelINS0_14default_configENS1_27scan_by_key_config_selectorIiyEEZZNS1_16scan_by_key_implILNS1_25lookback_scan_determinismE0ELb0ES3_N6thrust23THRUST_200600_302600_NS6detail15normal_iteratorINS9_10device_ptrIiEEEENSB_INSC_IyEEEESG_yNS9_4plusIvEENS9_8equal_toIvEEyEE10hipError_tPvRmT2_T3_T4_T5_mT6_T7_P12ihipStream_tbENKUlT_T0_E_clISt17integral_constantIbLb1EES10_IbLb0EEEEDaSW_SX_EUlSW_E_NS1_11comp_targetILNS1_3genE0ELNS1_11target_archE4294967295ELNS1_3gpuE0ELNS1_3repE0EEENS1_30default_config_static_selectorELNS0_4arch9wavefront6targetE0EEEvT1_,@function
_ZN7rocprim17ROCPRIM_400000_NS6detail17trampoline_kernelINS0_14default_configENS1_27scan_by_key_config_selectorIiyEEZZNS1_16scan_by_key_implILNS1_25lookback_scan_determinismE0ELb0ES3_N6thrust23THRUST_200600_302600_NS6detail15normal_iteratorINS9_10device_ptrIiEEEENSB_INSC_IyEEEESG_yNS9_4plusIvEENS9_8equal_toIvEEyEE10hipError_tPvRmT2_T3_T4_T5_mT6_T7_P12ihipStream_tbENKUlT_T0_E_clISt17integral_constantIbLb1EES10_IbLb0EEEEDaSW_SX_EUlSW_E_NS1_11comp_targetILNS1_3genE0ELNS1_11target_archE4294967295ELNS1_3gpuE0ELNS1_3repE0EEENS1_30default_config_static_selectorELNS0_4arch9wavefront6targetE0EEEvT1_: ; @_ZN7rocprim17ROCPRIM_400000_NS6detail17trampoline_kernelINS0_14default_configENS1_27scan_by_key_config_selectorIiyEEZZNS1_16scan_by_key_implILNS1_25lookback_scan_determinismE0ELb0ES3_N6thrust23THRUST_200600_302600_NS6detail15normal_iteratorINS9_10device_ptrIiEEEENSB_INSC_IyEEEESG_yNS9_4plusIvEENS9_8equal_toIvEEyEE10hipError_tPvRmT2_T3_T4_T5_mT6_T7_P12ihipStream_tbENKUlT_T0_E_clISt17integral_constantIbLb1EES10_IbLb0EEEEDaSW_SX_EUlSW_E_NS1_11comp_targetILNS1_3genE0ELNS1_11target_archE4294967295ELNS1_3gpuE0ELNS1_3repE0EEENS1_30default_config_static_selectorELNS0_4arch9wavefront6targetE0EEEvT1_
; %bb.0:
	s_endpgm
	.section	.rodata,"a",@progbits
	.p2align	6, 0x0
	.amdhsa_kernel _ZN7rocprim17ROCPRIM_400000_NS6detail17trampoline_kernelINS0_14default_configENS1_27scan_by_key_config_selectorIiyEEZZNS1_16scan_by_key_implILNS1_25lookback_scan_determinismE0ELb0ES3_N6thrust23THRUST_200600_302600_NS6detail15normal_iteratorINS9_10device_ptrIiEEEENSB_INSC_IyEEEESG_yNS9_4plusIvEENS9_8equal_toIvEEyEE10hipError_tPvRmT2_T3_T4_T5_mT6_T7_P12ihipStream_tbENKUlT_T0_E_clISt17integral_constantIbLb1EES10_IbLb0EEEEDaSW_SX_EUlSW_E_NS1_11comp_targetILNS1_3genE0ELNS1_11target_archE4294967295ELNS1_3gpuE0ELNS1_3repE0EEENS1_30default_config_static_selectorELNS0_4arch9wavefront6targetE0EEEvT1_
		.amdhsa_group_segment_fixed_size 0
		.amdhsa_private_segment_fixed_size 0
		.amdhsa_kernarg_size 136
		.amdhsa_user_sgpr_count 2
		.amdhsa_user_sgpr_dispatch_ptr 0
		.amdhsa_user_sgpr_queue_ptr 0
		.amdhsa_user_sgpr_kernarg_segment_ptr 1
		.amdhsa_user_sgpr_dispatch_id 0
		.amdhsa_user_sgpr_kernarg_preload_length 0
		.amdhsa_user_sgpr_kernarg_preload_offset 0
		.amdhsa_user_sgpr_private_segment_size 0
		.amdhsa_wavefront_size32 1
		.amdhsa_uses_dynamic_stack 0
		.amdhsa_enable_private_segment 0
		.amdhsa_system_sgpr_workgroup_id_x 1
		.amdhsa_system_sgpr_workgroup_id_y 0
		.amdhsa_system_sgpr_workgroup_id_z 0
		.amdhsa_system_sgpr_workgroup_info 0
		.amdhsa_system_vgpr_workitem_id 0
		.amdhsa_next_free_vgpr 1
		.amdhsa_next_free_sgpr 1
		.amdhsa_named_barrier_count 0
		.amdhsa_reserve_vcc 0
		.amdhsa_float_round_mode_32 0
		.amdhsa_float_round_mode_16_64 0
		.amdhsa_float_denorm_mode_32 3
		.amdhsa_float_denorm_mode_16_64 3
		.amdhsa_fp16_overflow 0
		.amdhsa_memory_ordered 1
		.amdhsa_forward_progress 1
		.amdhsa_inst_pref_size 1
		.amdhsa_round_robin_scheduling 0
		.amdhsa_exception_fp_ieee_invalid_op 0
		.amdhsa_exception_fp_denorm_src 0
		.amdhsa_exception_fp_ieee_div_zero 0
		.amdhsa_exception_fp_ieee_overflow 0
		.amdhsa_exception_fp_ieee_underflow 0
		.amdhsa_exception_fp_ieee_inexact 0
		.amdhsa_exception_int_div_zero 0
	.end_amdhsa_kernel
	.section	.text._ZN7rocprim17ROCPRIM_400000_NS6detail17trampoline_kernelINS0_14default_configENS1_27scan_by_key_config_selectorIiyEEZZNS1_16scan_by_key_implILNS1_25lookback_scan_determinismE0ELb0ES3_N6thrust23THRUST_200600_302600_NS6detail15normal_iteratorINS9_10device_ptrIiEEEENSB_INSC_IyEEEESG_yNS9_4plusIvEENS9_8equal_toIvEEyEE10hipError_tPvRmT2_T3_T4_T5_mT6_T7_P12ihipStream_tbENKUlT_T0_E_clISt17integral_constantIbLb1EES10_IbLb0EEEEDaSW_SX_EUlSW_E_NS1_11comp_targetILNS1_3genE0ELNS1_11target_archE4294967295ELNS1_3gpuE0ELNS1_3repE0EEENS1_30default_config_static_selectorELNS0_4arch9wavefront6targetE0EEEvT1_,"axG",@progbits,_ZN7rocprim17ROCPRIM_400000_NS6detail17trampoline_kernelINS0_14default_configENS1_27scan_by_key_config_selectorIiyEEZZNS1_16scan_by_key_implILNS1_25lookback_scan_determinismE0ELb0ES3_N6thrust23THRUST_200600_302600_NS6detail15normal_iteratorINS9_10device_ptrIiEEEENSB_INSC_IyEEEESG_yNS9_4plusIvEENS9_8equal_toIvEEyEE10hipError_tPvRmT2_T3_T4_T5_mT6_T7_P12ihipStream_tbENKUlT_T0_E_clISt17integral_constantIbLb1EES10_IbLb0EEEEDaSW_SX_EUlSW_E_NS1_11comp_targetILNS1_3genE0ELNS1_11target_archE4294967295ELNS1_3gpuE0ELNS1_3repE0EEENS1_30default_config_static_selectorELNS0_4arch9wavefront6targetE0EEEvT1_,comdat
.Lfunc_end1198:
	.size	_ZN7rocprim17ROCPRIM_400000_NS6detail17trampoline_kernelINS0_14default_configENS1_27scan_by_key_config_selectorIiyEEZZNS1_16scan_by_key_implILNS1_25lookback_scan_determinismE0ELb0ES3_N6thrust23THRUST_200600_302600_NS6detail15normal_iteratorINS9_10device_ptrIiEEEENSB_INSC_IyEEEESG_yNS9_4plusIvEENS9_8equal_toIvEEyEE10hipError_tPvRmT2_T3_T4_T5_mT6_T7_P12ihipStream_tbENKUlT_T0_E_clISt17integral_constantIbLb1EES10_IbLb0EEEEDaSW_SX_EUlSW_E_NS1_11comp_targetILNS1_3genE0ELNS1_11target_archE4294967295ELNS1_3gpuE0ELNS1_3repE0EEENS1_30default_config_static_selectorELNS0_4arch9wavefront6targetE0EEEvT1_, .Lfunc_end1198-_ZN7rocprim17ROCPRIM_400000_NS6detail17trampoline_kernelINS0_14default_configENS1_27scan_by_key_config_selectorIiyEEZZNS1_16scan_by_key_implILNS1_25lookback_scan_determinismE0ELb0ES3_N6thrust23THRUST_200600_302600_NS6detail15normal_iteratorINS9_10device_ptrIiEEEENSB_INSC_IyEEEESG_yNS9_4plusIvEENS9_8equal_toIvEEyEE10hipError_tPvRmT2_T3_T4_T5_mT6_T7_P12ihipStream_tbENKUlT_T0_E_clISt17integral_constantIbLb1EES10_IbLb0EEEEDaSW_SX_EUlSW_E_NS1_11comp_targetILNS1_3genE0ELNS1_11target_archE4294967295ELNS1_3gpuE0ELNS1_3repE0EEENS1_30default_config_static_selectorELNS0_4arch9wavefront6targetE0EEEvT1_
                                        ; -- End function
	.set _ZN7rocprim17ROCPRIM_400000_NS6detail17trampoline_kernelINS0_14default_configENS1_27scan_by_key_config_selectorIiyEEZZNS1_16scan_by_key_implILNS1_25lookback_scan_determinismE0ELb0ES3_N6thrust23THRUST_200600_302600_NS6detail15normal_iteratorINS9_10device_ptrIiEEEENSB_INSC_IyEEEESG_yNS9_4plusIvEENS9_8equal_toIvEEyEE10hipError_tPvRmT2_T3_T4_T5_mT6_T7_P12ihipStream_tbENKUlT_T0_E_clISt17integral_constantIbLb1EES10_IbLb0EEEEDaSW_SX_EUlSW_E_NS1_11comp_targetILNS1_3genE0ELNS1_11target_archE4294967295ELNS1_3gpuE0ELNS1_3repE0EEENS1_30default_config_static_selectorELNS0_4arch9wavefront6targetE0EEEvT1_.num_vgpr, 0
	.set _ZN7rocprim17ROCPRIM_400000_NS6detail17trampoline_kernelINS0_14default_configENS1_27scan_by_key_config_selectorIiyEEZZNS1_16scan_by_key_implILNS1_25lookback_scan_determinismE0ELb0ES3_N6thrust23THRUST_200600_302600_NS6detail15normal_iteratorINS9_10device_ptrIiEEEENSB_INSC_IyEEEESG_yNS9_4plusIvEENS9_8equal_toIvEEyEE10hipError_tPvRmT2_T3_T4_T5_mT6_T7_P12ihipStream_tbENKUlT_T0_E_clISt17integral_constantIbLb1EES10_IbLb0EEEEDaSW_SX_EUlSW_E_NS1_11comp_targetILNS1_3genE0ELNS1_11target_archE4294967295ELNS1_3gpuE0ELNS1_3repE0EEENS1_30default_config_static_selectorELNS0_4arch9wavefront6targetE0EEEvT1_.num_agpr, 0
	.set _ZN7rocprim17ROCPRIM_400000_NS6detail17trampoline_kernelINS0_14default_configENS1_27scan_by_key_config_selectorIiyEEZZNS1_16scan_by_key_implILNS1_25lookback_scan_determinismE0ELb0ES3_N6thrust23THRUST_200600_302600_NS6detail15normal_iteratorINS9_10device_ptrIiEEEENSB_INSC_IyEEEESG_yNS9_4plusIvEENS9_8equal_toIvEEyEE10hipError_tPvRmT2_T3_T4_T5_mT6_T7_P12ihipStream_tbENKUlT_T0_E_clISt17integral_constantIbLb1EES10_IbLb0EEEEDaSW_SX_EUlSW_E_NS1_11comp_targetILNS1_3genE0ELNS1_11target_archE4294967295ELNS1_3gpuE0ELNS1_3repE0EEENS1_30default_config_static_selectorELNS0_4arch9wavefront6targetE0EEEvT1_.numbered_sgpr, 0
	.set _ZN7rocprim17ROCPRIM_400000_NS6detail17trampoline_kernelINS0_14default_configENS1_27scan_by_key_config_selectorIiyEEZZNS1_16scan_by_key_implILNS1_25lookback_scan_determinismE0ELb0ES3_N6thrust23THRUST_200600_302600_NS6detail15normal_iteratorINS9_10device_ptrIiEEEENSB_INSC_IyEEEESG_yNS9_4plusIvEENS9_8equal_toIvEEyEE10hipError_tPvRmT2_T3_T4_T5_mT6_T7_P12ihipStream_tbENKUlT_T0_E_clISt17integral_constantIbLb1EES10_IbLb0EEEEDaSW_SX_EUlSW_E_NS1_11comp_targetILNS1_3genE0ELNS1_11target_archE4294967295ELNS1_3gpuE0ELNS1_3repE0EEENS1_30default_config_static_selectorELNS0_4arch9wavefront6targetE0EEEvT1_.num_named_barrier, 0
	.set _ZN7rocprim17ROCPRIM_400000_NS6detail17trampoline_kernelINS0_14default_configENS1_27scan_by_key_config_selectorIiyEEZZNS1_16scan_by_key_implILNS1_25lookback_scan_determinismE0ELb0ES3_N6thrust23THRUST_200600_302600_NS6detail15normal_iteratorINS9_10device_ptrIiEEEENSB_INSC_IyEEEESG_yNS9_4plusIvEENS9_8equal_toIvEEyEE10hipError_tPvRmT2_T3_T4_T5_mT6_T7_P12ihipStream_tbENKUlT_T0_E_clISt17integral_constantIbLb1EES10_IbLb0EEEEDaSW_SX_EUlSW_E_NS1_11comp_targetILNS1_3genE0ELNS1_11target_archE4294967295ELNS1_3gpuE0ELNS1_3repE0EEENS1_30default_config_static_selectorELNS0_4arch9wavefront6targetE0EEEvT1_.private_seg_size, 0
	.set _ZN7rocprim17ROCPRIM_400000_NS6detail17trampoline_kernelINS0_14default_configENS1_27scan_by_key_config_selectorIiyEEZZNS1_16scan_by_key_implILNS1_25lookback_scan_determinismE0ELb0ES3_N6thrust23THRUST_200600_302600_NS6detail15normal_iteratorINS9_10device_ptrIiEEEENSB_INSC_IyEEEESG_yNS9_4plusIvEENS9_8equal_toIvEEyEE10hipError_tPvRmT2_T3_T4_T5_mT6_T7_P12ihipStream_tbENKUlT_T0_E_clISt17integral_constantIbLb1EES10_IbLb0EEEEDaSW_SX_EUlSW_E_NS1_11comp_targetILNS1_3genE0ELNS1_11target_archE4294967295ELNS1_3gpuE0ELNS1_3repE0EEENS1_30default_config_static_selectorELNS0_4arch9wavefront6targetE0EEEvT1_.uses_vcc, 0
	.set _ZN7rocprim17ROCPRIM_400000_NS6detail17trampoline_kernelINS0_14default_configENS1_27scan_by_key_config_selectorIiyEEZZNS1_16scan_by_key_implILNS1_25lookback_scan_determinismE0ELb0ES3_N6thrust23THRUST_200600_302600_NS6detail15normal_iteratorINS9_10device_ptrIiEEEENSB_INSC_IyEEEESG_yNS9_4plusIvEENS9_8equal_toIvEEyEE10hipError_tPvRmT2_T3_T4_T5_mT6_T7_P12ihipStream_tbENKUlT_T0_E_clISt17integral_constantIbLb1EES10_IbLb0EEEEDaSW_SX_EUlSW_E_NS1_11comp_targetILNS1_3genE0ELNS1_11target_archE4294967295ELNS1_3gpuE0ELNS1_3repE0EEENS1_30default_config_static_selectorELNS0_4arch9wavefront6targetE0EEEvT1_.uses_flat_scratch, 0
	.set _ZN7rocprim17ROCPRIM_400000_NS6detail17trampoline_kernelINS0_14default_configENS1_27scan_by_key_config_selectorIiyEEZZNS1_16scan_by_key_implILNS1_25lookback_scan_determinismE0ELb0ES3_N6thrust23THRUST_200600_302600_NS6detail15normal_iteratorINS9_10device_ptrIiEEEENSB_INSC_IyEEEESG_yNS9_4plusIvEENS9_8equal_toIvEEyEE10hipError_tPvRmT2_T3_T4_T5_mT6_T7_P12ihipStream_tbENKUlT_T0_E_clISt17integral_constantIbLb1EES10_IbLb0EEEEDaSW_SX_EUlSW_E_NS1_11comp_targetILNS1_3genE0ELNS1_11target_archE4294967295ELNS1_3gpuE0ELNS1_3repE0EEENS1_30default_config_static_selectorELNS0_4arch9wavefront6targetE0EEEvT1_.has_dyn_sized_stack, 0
	.set _ZN7rocprim17ROCPRIM_400000_NS6detail17trampoline_kernelINS0_14default_configENS1_27scan_by_key_config_selectorIiyEEZZNS1_16scan_by_key_implILNS1_25lookback_scan_determinismE0ELb0ES3_N6thrust23THRUST_200600_302600_NS6detail15normal_iteratorINS9_10device_ptrIiEEEENSB_INSC_IyEEEESG_yNS9_4plusIvEENS9_8equal_toIvEEyEE10hipError_tPvRmT2_T3_T4_T5_mT6_T7_P12ihipStream_tbENKUlT_T0_E_clISt17integral_constantIbLb1EES10_IbLb0EEEEDaSW_SX_EUlSW_E_NS1_11comp_targetILNS1_3genE0ELNS1_11target_archE4294967295ELNS1_3gpuE0ELNS1_3repE0EEENS1_30default_config_static_selectorELNS0_4arch9wavefront6targetE0EEEvT1_.has_recursion, 0
	.set _ZN7rocprim17ROCPRIM_400000_NS6detail17trampoline_kernelINS0_14default_configENS1_27scan_by_key_config_selectorIiyEEZZNS1_16scan_by_key_implILNS1_25lookback_scan_determinismE0ELb0ES3_N6thrust23THRUST_200600_302600_NS6detail15normal_iteratorINS9_10device_ptrIiEEEENSB_INSC_IyEEEESG_yNS9_4plusIvEENS9_8equal_toIvEEyEE10hipError_tPvRmT2_T3_T4_T5_mT6_T7_P12ihipStream_tbENKUlT_T0_E_clISt17integral_constantIbLb1EES10_IbLb0EEEEDaSW_SX_EUlSW_E_NS1_11comp_targetILNS1_3genE0ELNS1_11target_archE4294967295ELNS1_3gpuE0ELNS1_3repE0EEENS1_30default_config_static_selectorELNS0_4arch9wavefront6targetE0EEEvT1_.has_indirect_call, 0
	.section	.AMDGPU.csdata,"",@progbits
; Kernel info:
; codeLenInByte = 4
; TotalNumSgprs: 0
; NumVgprs: 0
; ScratchSize: 0
; MemoryBound: 0
; FloatMode: 240
; IeeeMode: 1
; LDSByteSize: 0 bytes/workgroup (compile time only)
; SGPRBlocks: 0
; VGPRBlocks: 0
; NumSGPRsForWavesPerEU: 1
; NumVGPRsForWavesPerEU: 1
; NamedBarCnt: 0
; Occupancy: 16
; WaveLimiterHint : 0
; COMPUTE_PGM_RSRC2:SCRATCH_EN: 0
; COMPUTE_PGM_RSRC2:USER_SGPR: 2
; COMPUTE_PGM_RSRC2:TRAP_HANDLER: 0
; COMPUTE_PGM_RSRC2:TGID_X_EN: 1
; COMPUTE_PGM_RSRC2:TGID_Y_EN: 0
; COMPUTE_PGM_RSRC2:TGID_Z_EN: 0
; COMPUTE_PGM_RSRC2:TIDIG_COMP_CNT: 0
	.section	.text._ZN7rocprim17ROCPRIM_400000_NS6detail17trampoline_kernelINS0_14default_configENS1_27scan_by_key_config_selectorIiyEEZZNS1_16scan_by_key_implILNS1_25lookback_scan_determinismE0ELb0ES3_N6thrust23THRUST_200600_302600_NS6detail15normal_iteratorINS9_10device_ptrIiEEEENSB_INSC_IyEEEESG_yNS9_4plusIvEENS9_8equal_toIvEEyEE10hipError_tPvRmT2_T3_T4_T5_mT6_T7_P12ihipStream_tbENKUlT_T0_E_clISt17integral_constantIbLb1EES10_IbLb0EEEEDaSW_SX_EUlSW_E_NS1_11comp_targetILNS1_3genE10ELNS1_11target_archE1201ELNS1_3gpuE5ELNS1_3repE0EEENS1_30default_config_static_selectorELNS0_4arch9wavefront6targetE0EEEvT1_,"axG",@progbits,_ZN7rocprim17ROCPRIM_400000_NS6detail17trampoline_kernelINS0_14default_configENS1_27scan_by_key_config_selectorIiyEEZZNS1_16scan_by_key_implILNS1_25lookback_scan_determinismE0ELb0ES3_N6thrust23THRUST_200600_302600_NS6detail15normal_iteratorINS9_10device_ptrIiEEEENSB_INSC_IyEEEESG_yNS9_4plusIvEENS9_8equal_toIvEEyEE10hipError_tPvRmT2_T3_T4_T5_mT6_T7_P12ihipStream_tbENKUlT_T0_E_clISt17integral_constantIbLb1EES10_IbLb0EEEEDaSW_SX_EUlSW_E_NS1_11comp_targetILNS1_3genE10ELNS1_11target_archE1201ELNS1_3gpuE5ELNS1_3repE0EEENS1_30default_config_static_selectorELNS0_4arch9wavefront6targetE0EEEvT1_,comdat
	.protected	_ZN7rocprim17ROCPRIM_400000_NS6detail17trampoline_kernelINS0_14default_configENS1_27scan_by_key_config_selectorIiyEEZZNS1_16scan_by_key_implILNS1_25lookback_scan_determinismE0ELb0ES3_N6thrust23THRUST_200600_302600_NS6detail15normal_iteratorINS9_10device_ptrIiEEEENSB_INSC_IyEEEESG_yNS9_4plusIvEENS9_8equal_toIvEEyEE10hipError_tPvRmT2_T3_T4_T5_mT6_T7_P12ihipStream_tbENKUlT_T0_E_clISt17integral_constantIbLb1EES10_IbLb0EEEEDaSW_SX_EUlSW_E_NS1_11comp_targetILNS1_3genE10ELNS1_11target_archE1201ELNS1_3gpuE5ELNS1_3repE0EEENS1_30default_config_static_selectorELNS0_4arch9wavefront6targetE0EEEvT1_ ; -- Begin function _ZN7rocprim17ROCPRIM_400000_NS6detail17trampoline_kernelINS0_14default_configENS1_27scan_by_key_config_selectorIiyEEZZNS1_16scan_by_key_implILNS1_25lookback_scan_determinismE0ELb0ES3_N6thrust23THRUST_200600_302600_NS6detail15normal_iteratorINS9_10device_ptrIiEEEENSB_INSC_IyEEEESG_yNS9_4plusIvEENS9_8equal_toIvEEyEE10hipError_tPvRmT2_T3_T4_T5_mT6_T7_P12ihipStream_tbENKUlT_T0_E_clISt17integral_constantIbLb1EES10_IbLb0EEEEDaSW_SX_EUlSW_E_NS1_11comp_targetILNS1_3genE10ELNS1_11target_archE1201ELNS1_3gpuE5ELNS1_3repE0EEENS1_30default_config_static_selectorELNS0_4arch9wavefront6targetE0EEEvT1_
	.globl	_ZN7rocprim17ROCPRIM_400000_NS6detail17trampoline_kernelINS0_14default_configENS1_27scan_by_key_config_selectorIiyEEZZNS1_16scan_by_key_implILNS1_25lookback_scan_determinismE0ELb0ES3_N6thrust23THRUST_200600_302600_NS6detail15normal_iteratorINS9_10device_ptrIiEEEENSB_INSC_IyEEEESG_yNS9_4plusIvEENS9_8equal_toIvEEyEE10hipError_tPvRmT2_T3_T4_T5_mT6_T7_P12ihipStream_tbENKUlT_T0_E_clISt17integral_constantIbLb1EES10_IbLb0EEEEDaSW_SX_EUlSW_E_NS1_11comp_targetILNS1_3genE10ELNS1_11target_archE1201ELNS1_3gpuE5ELNS1_3repE0EEENS1_30default_config_static_selectorELNS0_4arch9wavefront6targetE0EEEvT1_
	.p2align	8
	.type	_ZN7rocprim17ROCPRIM_400000_NS6detail17trampoline_kernelINS0_14default_configENS1_27scan_by_key_config_selectorIiyEEZZNS1_16scan_by_key_implILNS1_25lookback_scan_determinismE0ELb0ES3_N6thrust23THRUST_200600_302600_NS6detail15normal_iteratorINS9_10device_ptrIiEEEENSB_INSC_IyEEEESG_yNS9_4plusIvEENS9_8equal_toIvEEyEE10hipError_tPvRmT2_T3_T4_T5_mT6_T7_P12ihipStream_tbENKUlT_T0_E_clISt17integral_constantIbLb1EES10_IbLb0EEEEDaSW_SX_EUlSW_E_NS1_11comp_targetILNS1_3genE10ELNS1_11target_archE1201ELNS1_3gpuE5ELNS1_3repE0EEENS1_30default_config_static_selectorELNS0_4arch9wavefront6targetE0EEEvT1_,@function
_ZN7rocprim17ROCPRIM_400000_NS6detail17trampoline_kernelINS0_14default_configENS1_27scan_by_key_config_selectorIiyEEZZNS1_16scan_by_key_implILNS1_25lookback_scan_determinismE0ELb0ES3_N6thrust23THRUST_200600_302600_NS6detail15normal_iteratorINS9_10device_ptrIiEEEENSB_INSC_IyEEEESG_yNS9_4plusIvEENS9_8equal_toIvEEyEE10hipError_tPvRmT2_T3_T4_T5_mT6_T7_P12ihipStream_tbENKUlT_T0_E_clISt17integral_constantIbLb1EES10_IbLb0EEEEDaSW_SX_EUlSW_E_NS1_11comp_targetILNS1_3genE10ELNS1_11target_archE1201ELNS1_3gpuE5ELNS1_3repE0EEENS1_30default_config_static_selectorELNS0_4arch9wavefront6targetE0EEEvT1_: ; @_ZN7rocprim17ROCPRIM_400000_NS6detail17trampoline_kernelINS0_14default_configENS1_27scan_by_key_config_selectorIiyEEZZNS1_16scan_by_key_implILNS1_25lookback_scan_determinismE0ELb0ES3_N6thrust23THRUST_200600_302600_NS6detail15normal_iteratorINS9_10device_ptrIiEEEENSB_INSC_IyEEEESG_yNS9_4plusIvEENS9_8equal_toIvEEyEE10hipError_tPvRmT2_T3_T4_T5_mT6_T7_P12ihipStream_tbENKUlT_T0_E_clISt17integral_constantIbLb1EES10_IbLb0EEEEDaSW_SX_EUlSW_E_NS1_11comp_targetILNS1_3genE10ELNS1_11target_archE1201ELNS1_3gpuE5ELNS1_3repE0EEENS1_30default_config_static_selectorELNS0_4arch9wavefront6targetE0EEEvT1_
; %bb.0:
	.section	.rodata,"a",@progbits
	.p2align	6, 0x0
	.amdhsa_kernel _ZN7rocprim17ROCPRIM_400000_NS6detail17trampoline_kernelINS0_14default_configENS1_27scan_by_key_config_selectorIiyEEZZNS1_16scan_by_key_implILNS1_25lookback_scan_determinismE0ELb0ES3_N6thrust23THRUST_200600_302600_NS6detail15normal_iteratorINS9_10device_ptrIiEEEENSB_INSC_IyEEEESG_yNS9_4plusIvEENS9_8equal_toIvEEyEE10hipError_tPvRmT2_T3_T4_T5_mT6_T7_P12ihipStream_tbENKUlT_T0_E_clISt17integral_constantIbLb1EES10_IbLb0EEEEDaSW_SX_EUlSW_E_NS1_11comp_targetILNS1_3genE10ELNS1_11target_archE1201ELNS1_3gpuE5ELNS1_3repE0EEENS1_30default_config_static_selectorELNS0_4arch9wavefront6targetE0EEEvT1_
		.amdhsa_group_segment_fixed_size 0
		.amdhsa_private_segment_fixed_size 0
		.amdhsa_kernarg_size 136
		.amdhsa_user_sgpr_count 2
		.amdhsa_user_sgpr_dispatch_ptr 0
		.amdhsa_user_sgpr_queue_ptr 0
		.amdhsa_user_sgpr_kernarg_segment_ptr 1
		.amdhsa_user_sgpr_dispatch_id 0
		.amdhsa_user_sgpr_kernarg_preload_length 0
		.amdhsa_user_sgpr_kernarg_preload_offset 0
		.amdhsa_user_sgpr_private_segment_size 0
		.amdhsa_wavefront_size32 1
		.amdhsa_uses_dynamic_stack 0
		.amdhsa_enable_private_segment 0
		.amdhsa_system_sgpr_workgroup_id_x 1
		.amdhsa_system_sgpr_workgroup_id_y 0
		.amdhsa_system_sgpr_workgroup_id_z 0
		.amdhsa_system_sgpr_workgroup_info 0
		.amdhsa_system_vgpr_workitem_id 0
		.amdhsa_next_free_vgpr 1
		.amdhsa_next_free_sgpr 1
		.amdhsa_named_barrier_count 0
		.amdhsa_reserve_vcc 0
		.amdhsa_float_round_mode_32 0
		.amdhsa_float_round_mode_16_64 0
		.amdhsa_float_denorm_mode_32 3
		.amdhsa_float_denorm_mode_16_64 3
		.amdhsa_fp16_overflow 0
		.amdhsa_memory_ordered 1
		.amdhsa_forward_progress 1
		.amdhsa_inst_pref_size 0
		.amdhsa_round_robin_scheduling 0
		.amdhsa_exception_fp_ieee_invalid_op 0
		.amdhsa_exception_fp_denorm_src 0
		.amdhsa_exception_fp_ieee_div_zero 0
		.amdhsa_exception_fp_ieee_overflow 0
		.amdhsa_exception_fp_ieee_underflow 0
		.amdhsa_exception_fp_ieee_inexact 0
		.amdhsa_exception_int_div_zero 0
	.end_amdhsa_kernel
	.section	.text._ZN7rocprim17ROCPRIM_400000_NS6detail17trampoline_kernelINS0_14default_configENS1_27scan_by_key_config_selectorIiyEEZZNS1_16scan_by_key_implILNS1_25lookback_scan_determinismE0ELb0ES3_N6thrust23THRUST_200600_302600_NS6detail15normal_iteratorINS9_10device_ptrIiEEEENSB_INSC_IyEEEESG_yNS9_4plusIvEENS9_8equal_toIvEEyEE10hipError_tPvRmT2_T3_T4_T5_mT6_T7_P12ihipStream_tbENKUlT_T0_E_clISt17integral_constantIbLb1EES10_IbLb0EEEEDaSW_SX_EUlSW_E_NS1_11comp_targetILNS1_3genE10ELNS1_11target_archE1201ELNS1_3gpuE5ELNS1_3repE0EEENS1_30default_config_static_selectorELNS0_4arch9wavefront6targetE0EEEvT1_,"axG",@progbits,_ZN7rocprim17ROCPRIM_400000_NS6detail17trampoline_kernelINS0_14default_configENS1_27scan_by_key_config_selectorIiyEEZZNS1_16scan_by_key_implILNS1_25lookback_scan_determinismE0ELb0ES3_N6thrust23THRUST_200600_302600_NS6detail15normal_iteratorINS9_10device_ptrIiEEEENSB_INSC_IyEEEESG_yNS9_4plusIvEENS9_8equal_toIvEEyEE10hipError_tPvRmT2_T3_T4_T5_mT6_T7_P12ihipStream_tbENKUlT_T0_E_clISt17integral_constantIbLb1EES10_IbLb0EEEEDaSW_SX_EUlSW_E_NS1_11comp_targetILNS1_3genE10ELNS1_11target_archE1201ELNS1_3gpuE5ELNS1_3repE0EEENS1_30default_config_static_selectorELNS0_4arch9wavefront6targetE0EEEvT1_,comdat
.Lfunc_end1199:
	.size	_ZN7rocprim17ROCPRIM_400000_NS6detail17trampoline_kernelINS0_14default_configENS1_27scan_by_key_config_selectorIiyEEZZNS1_16scan_by_key_implILNS1_25lookback_scan_determinismE0ELb0ES3_N6thrust23THRUST_200600_302600_NS6detail15normal_iteratorINS9_10device_ptrIiEEEENSB_INSC_IyEEEESG_yNS9_4plusIvEENS9_8equal_toIvEEyEE10hipError_tPvRmT2_T3_T4_T5_mT6_T7_P12ihipStream_tbENKUlT_T0_E_clISt17integral_constantIbLb1EES10_IbLb0EEEEDaSW_SX_EUlSW_E_NS1_11comp_targetILNS1_3genE10ELNS1_11target_archE1201ELNS1_3gpuE5ELNS1_3repE0EEENS1_30default_config_static_selectorELNS0_4arch9wavefront6targetE0EEEvT1_, .Lfunc_end1199-_ZN7rocprim17ROCPRIM_400000_NS6detail17trampoline_kernelINS0_14default_configENS1_27scan_by_key_config_selectorIiyEEZZNS1_16scan_by_key_implILNS1_25lookback_scan_determinismE0ELb0ES3_N6thrust23THRUST_200600_302600_NS6detail15normal_iteratorINS9_10device_ptrIiEEEENSB_INSC_IyEEEESG_yNS9_4plusIvEENS9_8equal_toIvEEyEE10hipError_tPvRmT2_T3_T4_T5_mT6_T7_P12ihipStream_tbENKUlT_T0_E_clISt17integral_constantIbLb1EES10_IbLb0EEEEDaSW_SX_EUlSW_E_NS1_11comp_targetILNS1_3genE10ELNS1_11target_archE1201ELNS1_3gpuE5ELNS1_3repE0EEENS1_30default_config_static_selectorELNS0_4arch9wavefront6targetE0EEEvT1_
                                        ; -- End function
	.set _ZN7rocprim17ROCPRIM_400000_NS6detail17trampoline_kernelINS0_14default_configENS1_27scan_by_key_config_selectorIiyEEZZNS1_16scan_by_key_implILNS1_25lookback_scan_determinismE0ELb0ES3_N6thrust23THRUST_200600_302600_NS6detail15normal_iteratorINS9_10device_ptrIiEEEENSB_INSC_IyEEEESG_yNS9_4plusIvEENS9_8equal_toIvEEyEE10hipError_tPvRmT2_T3_T4_T5_mT6_T7_P12ihipStream_tbENKUlT_T0_E_clISt17integral_constantIbLb1EES10_IbLb0EEEEDaSW_SX_EUlSW_E_NS1_11comp_targetILNS1_3genE10ELNS1_11target_archE1201ELNS1_3gpuE5ELNS1_3repE0EEENS1_30default_config_static_selectorELNS0_4arch9wavefront6targetE0EEEvT1_.num_vgpr, 0
	.set _ZN7rocprim17ROCPRIM_400000_NS6detail17trampoline_kernelINS0_14default_configENS1_27scan_by_key_config_selectorIiyEEZZNS1_16scan_by_key_implILNS1_25lookback_scan_determinismE0ELb0ES3_N6thrust23THRUST_200600_302600_NS6detail15normal_iteratorINS9_10device_ptrIiEEEENSB_INSC_IyEEEESG_yNS9_4plusIvEENS9_8equal_toIvEEyEE10hipError_tPvRmT2_T3_T4_T5_mT6_T7_P12ihipStream_tbENKUlT_T0_E_clISt17integral_constantIbLb1EES10_IbLb0EEEEDaSW_SX_EUlSW_E_NS1_11comp_targetILNS1_3genE10ELNS1_11target_archE1201ELNS1_3gpuE5ELNS1_3repE0EEENS1_30default_config_static_selectorELNS0_4arch9wavefront6targetE0EEEvT1_.num_agpr, 0
	.set _ZN7rocprim17ROCPRIM_400000_NS6detail17trampoline_kernelINS0_14default_configENS1_27scan_by_key_config_selectorIiyEEZZNS1_16scan_by_key_implILNS1_25lookback_scan_determinismE0ELb0ES3_N6thrust23THRUST_200600_302600_NS6detail15normal_iteratorINS9_10device_ptrIiEEEENSB_INSC_IyEEEESG_yNS9_4plusIvEENS9_8equal_toIvEEyEE10hipError_tPvRmT2_T3_T4_T5_mT6_T7_P12ihipStream_tbENKUlT_T0_E_clISt17integral_constantIbLb1EES10_IbLb0EEEEDaSW_SX_EUlSW_E_NS1_11comp_targetILNS1_3genE10ELNS1_11target_archE1201ELNS1_3gpuE5ELNS1_3repE0EEENS1_30default_config_static_selectorELNS0_4arch9wavefront6targetE0EEEvT1_.numbered_sgpr, 0
	.set _ZN7rocprim17ROCPRIM_400000_NS6detail17trampoline_kernelINS0_14default_configENS1_27scan_by_key_config_selectorIiyEEZZNS1_16scan_by_key_implILNS1_25lookback_scan_determinismE0ELb0ES3_N6thrust23THRUST_200600_302600_NS6detail15normal_iteratorINS9_10device_ptrIiEEEENSB_INSC_IyEEEESG_yNS9_4plusIvEENS9_8equal_toIvEEyEE10hipError_tPvRmT2_T3_T4_T5_mT6_T7_P12ihipStream_tbENKUlT_T0_E_clISt17integral_constantIbLb1EES10_IbLb0EEEEDaSW_SX_EUlSW_E_NS1_11comp_targetILNS1_3genE10ELNS1_11target_archE1201ELNS1_3gpuE5ELNS1_3repE0EEENS1_30default_config_static_selectorELNS0_4arch9wavefront6targetE0EEEvT1_.num_named_barrier, 0
	.set _ZN7rocprim17ROCPRIM_400000_NS6detail17trampoline_kernelINS0_14default_configENS1_27scan_by_key_config_selectorIiyEEZZNS1_16scan_by_key_implILNS1_25lookback_scan_determinismE0ELb0ES3_N6thrust23THRUST_200600_302600_NS6detail15normal_iteratorINS9_10device_ptrIiEEEENSB_INSC_IyEEEESG_yNS9_4plusIvEENS9_8equal_toIvEEyEE10hipError_tPvRmT2_T3_T4_T5_mT6_T7_P12ihipStream_tbENKUlT_T0_E_clISt17integral_constantIbLb1EES10_IbLb0EEEEDaSW_SX_EUlSW_E_NS1_11comp_targetILNS1_3genE10ELNS1_11target_archE1201ELNS1_3gpuE5ELNS1_3repE0EEENS1_30default_config_static_selectorELNS0_4arch9wavefront6targetE0EEEvT1_.private_seg_size, 0
	.set _ZN7rocprim17ROCPRIM_400000_NS6detail17trampoline_kernelINS0_14default_configENS1_27scan_by_key_config_selectorIiyEEZZNS1_16scan_by_key_implILNS1_25lookback_scan_determinismE0ELb0ES3_N6thrust23THRUST_200600_302600_NS6detail15normal_iteratorINS9_10device_ptrIiEEEENSB_INSC_IyEEEESG_yNS9_4plusIvEENS9_8equal_toIvEEyEE10hipError_tPvRmT2_T3_T4_T5_mT6_T7_P12ihipStream_tbENKUlT_T0_E_clISt17integral_constantIbLb1EES10_IbLb0EEEEDaSW_SX_EUlSW_E_NS1_11comp_targetILNS1_3genE10ELNS1_11target_archE1201ELNS1_3gpuE5ELNS1_3repE0EEENS1_30default_config_static_selectorELNS0_4arch9wavefront6targetE0EEEvT1_.uses_vcc, 0
	.set _ZN7rocprim17ROCPRIM_400000_NS6detail17trampoline_kernelINS0_14default_configENS1_27scan_by_key_config_selectorIiyEEZZNS1_16scan_by_key_implILNS1_25lookback_scan_determinismE0ELb0ES3_N6thrust23THRUST_200600_302600_NS6detail15normal_iteratorINS9_10device_ptrIiEEEENSB_INSC_IyEEEESG_yNS9_4plusIvEENS9_8equal_toIvEEyEE10hipError_tPvRmT2_T3_T4_T5_mT6_T7_P12ihipStream_tbENKUlT_T0_E_clISt17integral_constantIbLb1EES10_IbLb0EEEEDaSW_SX_EUlSW_E_NS1_11comp_targetILNS1_3genE10ELNS1_11target_archE1201ELNS1_3gpuE5ELNS1_3repE0EEENS1_30default_config_static_selectorELNS0_4arch9wavefront6targetE0EEEvT1_.uses_flat_scratch, 0
	.set _ZN7rocprim17ROCPRIM_400000_NS6detail17trampoline_kernelINS0_14default_configENS1_27scan_by_key_config_selectorIiyEEZZNS1_16scan_by_key_implILNS1_25lookback_scan_determinismE0ELb0ES3_N6thrust23THRUST_200600_302600_NS6detail15normal_iteratorINS9_10device_ptrIiEEEENSB_INSC_IyEEEESG_yNS9_4plusIvEENS9_8equal_toIvEEyEE10hipError_tPvRmT2_T3_T4_T5_mT6_T7_P12ihipStream_tbENKUlT_T0_E_clISt17integral_constantIbLb1EES10_IbLb0EEEEDaSW_SX_EUlSW_E_NS1_11comp_targetILNS1_3genE10ELNS1_11target_archE1201ELNS1_3gpuE5ELNS1_3repE0EEENS1_30default_config_static_selectorELNS0_4arch9wavefront6targetE0EEEvT1_.has_dyn_sized_stack, 0
	.set _ZN7rocprim17ROCPRIM_400000_NS6detail17trampoline_kernelINS0_14default_configENS1_27scan_by_key_config_selectorIiyEEZZNS1_16scan_by_key_implILNS1_25lookback_scan_determinismE0ELb0ES3_N6thrust23THRUST_200600_302600_NS6detail15normal_iteratorINS9_10device_ptrIiEEEENSB_INSC_IyEEEESG_yNS9_4plusIvEENS9_8equal_toIvEEyEE10hipError_tPvRmT2_T3_T4_T5_mT6_T7_P12ihipStream_tbENKUlT_T0_E_clISt17integral_constantIbLb1EES10_IbLb0EEEEDaSW_SX_EUlSW_E_NS1_11comp_targetILNS1_3genE10ELNS1_11target_archE1201ELNS1_3gpuE5ELNS1_3repE0EEENS1_30default_config_static_selectorELNS0_4arch9wavefront6targetE0EEEvT1_.has_recursion, 0
	.set _ZN7rocprim17ROCPRIM_400000_NS6detail17trampoline_kernelINS0_14default_configENS1_27scan_by_key_config_selectorIiyEEZZNS1_16scan_by_key_implILNS1_25lookback_scan_determinismE0ELb0ES3_N6thrust23THRUST_200600_302600_NS6detail15normal_iteratorINS9_10device_ptrIiEEEENSB_INSC_IyEEEESG_yNS9_4plusIvEENS9_8equal_toIvEEyEE10hipError_tPvRmT2_T3_T4_T5_mT6_T7_P12ihipStream_tbENKUlT_T0_E_clISt17integral_constantIbLb1EES10_IbLb0EEEEDaSW_SX_EUlSW_E_NS1_11comp_targetILNS1_3genE10ELNS1_11target_archE1201ELNS1_3gpuE5ELNS1_3repE0EEENS1_30default_config_static_selectorELNS0_4arch9wavefront6targetE0EEEvT1_.has_indirect_call, 0
	.section	.AMDGPU.csdata,"",@progbits
; Kernel info:
; codeLenInByte = 0
; TotalNumSgprs: 0
; NumVgprs: 0
; ScratchSize: 0
; MemoryBound: 0
; FloatMode: 240
; IeeeMode: 1
; LDSByteSize: 0 bytes/workgroup (compile time only)
; SGPRBlocks: 0
; VGPRBlocks: 0
; NumSGPRsForWavesPerEU: 1
; NumVGPRsForWavesPerEU: 1
; NamedBarCnt: 0
; Occupancy: 16
; WaveLimiterHint : 0
; COMPUTE_PGM_RSRC2:SCRATCH_EN: 0
; COMPUTE_PGM_RSRC2:USER_SGPR: 2
; COMPUTE_PGM_RSRC2:TRAP_HANDLER: 0
; COMPUTE_PGM_RSRC2:TGID_X_EN: 1
; COMPUTE_PGM_RSRC2:TGID_Y_EN: 0
; COMPUTE_PGM_RSRC2:TGID_Z_EN: 0
; COMPUTE_PGM_RSRC2:TIDIG_COMP_CNT: 0
	.section	.text._ZN7rocprim17ROCPRIM_400000_NS6detail17trampoline_kernelINS0_14default_configENS1_27scan_by_key_config_selectorIiyEEZZNS1_16scan_by_key_implILNS1_25lookback_scan_determinismE0ELb0ES3_N6thrust23THRUST_200600_302600_NS6detail15normal_iteratorINS9_10device_ptrIiEEEENSB_INSC_IyEEEESG_yNS9_4plusIvEENS9_8equal_toIvEEyEE10hipError_tPvRmT2_T3_T4_T5_mT6_T7_P12ihipStream_tbENKUlT_T0_E_clISt17integral_constantIbLb1EES10_IbLb0EEEEDaSW_SX_EUlSW_E_NS1_11comp_targetILNS1_3genE5ELNS1_11target_archE942ELNS1_3gpuE9ELNS1_3repE0EEENS1_30default_config_static_selectorELNS0_4arch9wavefront6targetE0EEEvT1_,"axG",@progbits,_ZN7rocprim17ROCPRIM_400000_NS6detail17trampoline_kernelINS0_14default_configENS1_27scan_by_key_config_selectorIiyEEZZNS1_16scan_by_key_implILNS1_25lookback_scan_determinismE0ELb0ES3_N6thrust23THRUST_200600_302600_NS6detail15normal_iteratorINS9_10device_ptrIiEEEENSB_INSC_IyEEEESG_yNS9_4plusIvEENS9_8equal_toIvEEyEE10hipError_tPvRmT2_T3_T4_T5_mT6_T7_P12ihipStream_tbENKUlT_T0_E_clISt17integral_constantIbLb1EES10_IbLb0EEEEDaSW_SX_EUlSW_E_NS1_11comp_targetILNS1_3genE5ELNS1_11target_archE942ELNS1_3gpuE9ELNS1_3repE0EEENS1_30default_config_static_selectorELNS0_4arch9wavefront6targetE0EEEvT1_,comdat
	.protected	_ZN7rocprim17ROCPRIM_400000_NS6detail17trampoline_kernelINS0_14default_configENS1_27scan_by_key_config_selectorIiyEEZZNS1_16scan_by_key_implILNS1_25lookback_scan_determinismE0ELb0ES3_N6thrust23THRUST_200600_302600_NS6detail15normal_iteratorINS9_10device_ptrIiEEEENSB_INSC_IyEEEESG_yNS9_4plusIvEENS9_8equal_toIvEEyEE10hipError_tPvRmT2_T3_T4_T5_mT6_T7_P12ihipStream_tbENKUlT_T0_E_clISt17integral_constantIbLb1EES10_IbLb0EEEEDaSW_SX_EUlSW_E_NS1_11comp_targetILNS1_3genE5ELNS1_11target_archE942ELNS1_3gpuE9ELNS1_3repE0EEENS1_30default_config_static_selectorELNS0_4arch9wavefront6targetE0EEEvT1_ ; -- Begin function _ZN7rocprim17ROCPRIM_400000_NS6detail17trampoline_kernelINS0_14default_configENS1_27scan_by_key_config_selectorIiyEEZZNS1_16scan_by_key_implILNS1_25lookback_scan_determinismE0ELb0ES3_N6thrust23THRUST_200600_302600_NS6detail15normal_iteratorINS9_10device_ptrIiEEEENSB_INSC_IyEEEESG_yNS9_4plusIvEENS9_8equal_toIvEEyEE10hipError_tPvRmT2_T3_T4_T5_mT6_T7_P12ihipStream_tbENKUlT_T0_E_clISt17integral_constantIbLb1EES10_IbLb0EEEEDaSW_SX_EUlSW_E_NS1_11comp_targetILNS1_3genE5ELNS1_11target_archE942ELNS1_3gpuE9ELNS1_3repE0EEENS1_30default_config_static_selectorELNS0_4arch9wavefront6targetE0EEEvT1_
	.globl	_ZN7rocprim17ROCPRIM_400000_NS6detail17trampoline_kernelINS0_14default_configENS1_27scan_by_key_config_selectorIiyEEZZNS1_16scan_by_key_implILNS1_25lookback_scan_determinismE0ELb0ES3_N6thrust23THRUST_200600_302600_NS6detail15normal_iteratorINS9_10device_ptrIiEEEENSB_INSC_IyEEEESG_yNS9_4plusIvEENS9_8equal_toIvEEyEE10hipError_tPvRmT2_T3_T4_T5_mT6_T7_P12ihipStream_tbENKUlT_T0_E_clISt17integral_constantIbLb1EES10_IbLb0EEEEDaSW_SX_EUlSW_E_NS1_11comp_targetILNS1_3genE5ELNS1_11target_archE942ELNS1_3gpuE9ELNS1_3repE0EEENS1_30default_config_static_selectorELNS0_4arch9wavefront6targetE0EEEvT1_
	.p2align	8
	.type	_ZN7rocprim17ROCPRIM_400000_NS6detail17trampoline_kernelINS0_14default_configENS1_27scan_by_key_config_selectorIiyEEZZNS1_16scan_by_key_implILNS1_25lookback_scan_determinismE0ELb0ES3_N6thrust23THRUST_200600_302600_NS6detail15normal_iteratorINS9_10device_ptrIiEEEENSB_INSC_IyEEEESG_yNS9_4plusIvEENS9_8equal_toIvEEyEE10hipError_tPvRmT2_T3_T4_T5_mT6_T7_P12ihipStream_tbENKUlT_T0_E_clISt17integral_constantIbLb1EES10_IbLb0EEEEDaSW_SX_EUlSW_E_NS1_11comp_targetILNS1_3genE5ELNS1_11target_archE942ELNS1_3gpuE9ELNS1_3repE0EEENS1_30default_config_static_selectorELNS0_4arch9wavefront6targetE0EEEvT1_,@function
_ZN7rocprim17ROCPRIM_400000_NS6detail17trampoline_kernelINS0_14default_configENS1_27scan_by_key_config_selectorIiyEEZZNS1_16scan_by_key_implILNS1_25lookback_scan_determinismE0ELb0ES3_N6thrust23THRUST_200600_302600_NS6detail15normal_iteratorINS9_10device_ptrIiEEEENSB_INSC_IyEEEESG_yNS9_4plusIvEENS9_8equal_toIvEEyEE10hipError_tPvRmT2_T3_T4_T5_mT6_T7_P12ihipStream_tbENKUlT_T0_E_clISt17integral_constantIbLb1EES10_IbLb0EEEEDaSW_SX_EUlSW_E_NS1_11comp_targetILNS1_3genE5ELNS1_11target_archE942ELNS1_3gpuE9ELNS1_3repE0EEENS1_30default_config_static_selectorELNS0_4arch9wavefront6targetE0EEEvT1_: ; @_ZN7rocprim17ROCPRIM_400000_NS6detail17trampoline_kernelINS0_14default_configENS1_27scan_by_key_config_selectorIiyEEZZNS1_16scan_by_key_implILNS1_25lookback_scan_determinismE0ELb0ES3_N6thrust23THRUST_200600_302600_NS6detail15normal_iteratorINS9_10device_ptrIiEEEENSB_INSC_IyEEEESG_yNS9_4plusIvEENS9_8equal_toIvEEyEE10hipError_tPvRmT2_T3_T4_T5_mT6_T7_P12ihipStream_tbENKUlT_T0_E_clISt17integral_constantIbLb1EES10_IbLb0EEEEDaSW_SX_EUlSW_E_NS1_11comp_targetILNS1_3genE5ELNS1_11target_archE942ELNS1_3gpuE9ELNS1_3repE0EEENS1_30default_config_static_selectorELNS0_4arch9wavefront6targetE0EEEvT1_
; %bb.0:
	.section	.rodata,"a",@progbits
	.p2align	6, 0x0
	.amdhsa_kernel _ZN7rocprim17ROCPRIM_400000_NS6detail17trampoline_kernelINS0_14default_configENS1_27scan_by_key_config_selectorIiyEEZZNS1_16scan_by_key_implILNS1_25lookback_scan_determinismE0ELb0ES3_N6thrust23THRUST_200600_302600_NS6detail15normal_iteratorINS9_10device_ptrIiEEEENSB_INSC_IyEEEESG_yNS9_4plusIvEENS9_8equal_toIvEEyEE10hipError_tPvRmT2_T3_T4_T5_mT6_T7_P12ihipStream_tbENKUlT_T0_E_clISt17integral_constantIbLb1EES10_IbLb0EEEEDaSW_SX_EUlSW_E_NS1_11comp_targetILNS1_3genE5ELNS1_11target_archE942ELNS1_3gpuE9ELNS1_3repE0EEENS1_30default_config_static_selectorELNS0_4arch9wavefront6targetE0EEEvT1_
		.amdhsa_group_segment_fixed_size 0
		.amdhsa_private_segment_fixed_size 0
		.amdhsa_kernarg_size 136
		.amdhsa_user_sgpr_count 2
		.amdhsa_user_sgpr_dispatch_ptr 0
		.amdhsa_user_sgpr_queue_ptr 0
		.amdhsa_user_sgpr_kernarg_segment_ptr 1
		.amdhsa_user_sgpr_dispatch_id 0
		.amdhsa_user_sgpr_kernarg_preload_length 0
		.amdhsa_user_sgpr_kernarg_preload_offset 0
		.amdhsa_user_sgpr_private_segment_size 0
		.amdhsa_wavefront_size32 1
		.amdhsa_uses_dynamic_stack 0
		.amdhsa_enable_private_segment 0
		.amdhsa_system_sgpr_workgroup_id_x 1
		.amdhsa_system_sgpr_workgroup_id_y 0
		.amdhsa_system_sgpr_workgroup_id_z 0
		.amdhsa_system_sgpr_workgroup_info 0
		.amdhsa_system_vgpr_workitem_id 0
		.amdhsa_next_free_vgpr 1
		.amdhsa_next_free_sgpr 1
		.amdhsa_named_barrier_count 0
		.amdhsa_reserve_vcc 0
		.amdhsa_float_round_mode_32 0
		.amdhsa_float_round_mode_16_64 0
		.amdhsa_float_denorm_mode_32 3
		.amdhsa_float_denorm_mode_16_64 3
		.amdhsa_fp16_overflow 0
		.amdhsa_memory_ordered 1
		.amdhsa_forward_progress 1
		.amdhsa_inst_pref_size 0
		.amdhsa_round_robin_scheduling 0
		.amdhsa_exception_fp_ieee_invalid_op 0
		.amdhsa_exception_fp_denorm_src 0
		.amdhsa_exception_fp_ieee_div_zero 0
		.amdhsa_exception_fp_ieee_overflow 0
		.amdhsa_exception_fp_ieee_underflow 0
		.amdhsa_exception_fp_ieee_inexact 0
		.amdhsa_exception_int_div_zero 0
	.end_amdhsa_kernel
	.section	.text._ZN7rocprim17ROCPRIM_400000_NS6detail17trampoline_kernelINS0_14default_configENS1_27scan_by_key_config_selectorIiyEEZZNS1_16scan_by_key_implILNS1_25lookback_scan_determinismE0ELb0ES3_N6thrust23THRUST_200600_302600_NS6detail15normal_iteratorINS9_10device_ptrIiEEEENSB_INSC_IyEEEESG_yNS9_4plusIvEENS9_8equal_toIvEEyEE10hipError_tPvRmT2_T3_T4_T5_mT6_T7_P12ihipStream_tbENKUlT_T0_E_clISt17integral_constantIbLb1EES10_IbLb0EEEEDaSW_SX_EUlSW_E_NS1_11comp_targetILNS1_3genE5ELNS1_11target_archE942ELNS1_3gpuE9ELNS1_3repE0EEENS1_30default_config_static_selectorELNS0_4arch9wavefront6targetE0EEEvT1_,"axG",@progbits,_ZN7rocprim17ROCPRIM_400000_NS6detail17trampoline_kernelINS0_14default_configENS1_27scan_by_key_config_selectorIiyEEZZNS1_16scan_by_key_implILNS1_25lookback_scan_determinismE0ELb0ES3_N6thrust23THRUST_200600_302600_NS6detail15normal_iteratorINS9_10device_ptrIiEEEENSB_INSC_IyEEEESG_yNS9_4plusIvEENS9_8equal_toIvEEyEE10hipError_tPvRmT2_T3_T4_T5_mT6_T7_P12ihipStream_tbENKUlT_T0_E_clISt17integral_constantIbLb1EES10_IbLb0EEEEDaSW_SX_EUlSW_E_NS1_11comp_targetILNS1_3genE5ELNS1_11target_archE942ELNS1_3gpuE9ELNS1_3repE0EEENS1_30default_config_static_selectorELNS0_4arch9wavefront6targetE0EEEvT1_,comdat
.Lfunc_end1200:
	.size	_ZN7rocprim17ROCPRIM_400000_NS6detail17trampoline_kernelINS0_14default_configENS1_27scan_by_key_config_selectorIiyEEZZNS1_16scan_by_key_implILNS1_25lookback_scan_determinismE0ELb0ES3_N6thrust23THRUST_200600_302600_NS6detail15normal_iteratorINS9_10device_ptrIiEEEENSB_INSC_IyEEEESG_yNS9_4plusIvEENS9_8equal_toIvEEyEE10hipError_tPvRmT2_T3_T4_T5_mT6_T7_P12ihipStream_tbENKUlT_T0_E_clISt17integral_constantIbLb1EES10_IbLb0EEEEDaSW_SX_EUlSW_E_NS1_11comp_targetILNS1_3genE5ELNS1_11target_archE942ELNS1_3gpuE9ELNS1_3repE0EEENS1_30default_config_static_selectorELNS0_4arch9wavefront6targetE0EEEvT1_, .Lfunc_end1200-_ZN7rocprim17ROCPRIM_400000_NS6detail17trampoline_kernelINS0_14default_configENS1_27scan_by_key_config_selectorIiyEEZZNS1_16scan_by_key_implILNS1_25lookback_scan_determinismE0ELb0ES3_N6thrust23THRUST_200600_302600_NS6detail15normal_iteratorINS9_10device_ptrIiEEEENSB_INSC_IyEEEESG_yNS9_4plusIvEENS9_8equal_toIvEEyEE10hipError_tPvRmT2_T3_T4_T5_mT6_T7_P12ihipStream_tbENKUlT_T0_E_clISt17integral_constantIbLb1EES10_IbLb0EEEEDaSW_SX_EUlSW_E_NS1_11comp_targetILNS1_3genE5ELNS1_11target_archE942ELNS1_3gpuE9ELNS1_3repE0EEENS1_30default_config_static_selectorELNS0_4arch9wavefront6targetE0EEEvT1_
                                        ; -- End function
	.set _ZN7rocprim17ROCPRIM_400000_NS6detail17trampoline_kernelINS0_14default_configENS1_27scan_by_key_config_selectorIiyEEZZNS1_16scan_by_key_implILNS1_25lookback_scan_determinismE0ELb0ES3_N6thrust23THRUST_200600_302600_NS6detail15normal_iteratorINS9_10device_ptrIiEEEENSB_INSC_IyEEEESG_yNS9_4plusIvEENS9_8equal_toIvEEyEE10hipError_tPvRmT2_T3_T4_T5_mT6_T7_P12ihipStream_tbENKUlT_T0_E_clISt17integral_constantIbLb1EES10_IbLb0EEEEDaSW_SX_EUlSW_E_NS1_11comp_targetILNS1_3genE5ELNS1_11target_archE942ELNS1_3gpuE9ELNS1_3repE0EEENS1_30default_config_static_selectorELNS0_4arch9wavefront6targetE0EEEvT1_.num_vgpr, 0
	.set _ZN7rocprim17ROCPRIM_400000_NS6detail17trampoline_kernelINS0_14default_configENS1_27scan_by_key_config_selectorIiyEEZZNS1_16scan_by_key_implILNS1_25lookback_scan_determinismE0ELb0ES3_N6thrust23THRUST_200600_302600_NS6detail15normal_iteratorINS9_10device_ptrIiEEEENSB_INSC_IyEEEESG_yNS9_4plusIvEENS9_8equal_toIvEEyEE10hipError_tPvRmT2_T3_T4_T5_mT6_T7_P12ihipStream_tbENKUlT_T0_E_clISt17integral_constantIbLb1EES10_IbLb0EEEEDaSW_SX_EUlSW_E_NS1_11comp_targetILNS1_3genE5ELNS1_11target_archE942ELNS1_3gpuE9ELNS1_3repE0EEENS1_30default_config_static_selectorELNS0_4arch9wavefront6targetE0EEEvT1_.num_agpr, 0
	.set _ZN7rocprim17ROCPRIM_400000_NS6detail17trampoline_kernelINS0_14default_configENS1_27scan_by_key_config_selectorIiyEEZZNS1_16scan_by_key_implILNS1_25lookback_scan_determinismE0ELb0ES3_N6thrust23THRUST_200600_302600_NS6detail15normal_iteratorINS9_10device_ptrIiEEEENSB_INSC_IyEEEESG_yNS9_4plusIvEENS9_8equal_toIvEEyEE10hipError_tPvRmT2_T3_T4_T5_mT6_T7_P12ihipStream_tbENKUlT_T0_E_clISt17integral_constantIbLb1EES10_IbLb0EEEEDaSW_SX_EUlSW_E_NS1_11comp_targetILNS1_3genE5ELNS1_11target_archE942ELNS1_3gpuE9ELNS1_3repE0EEENS1_30default_config_static_selectorELNS0_4arch9wavefront6targetE0EEEvT1_.numbered_sgpr, 0
	.set _ZN7rocprim17ROCPRIM_400000_NS6detail17trampoline_kernelINS0_14default_configENS1_27scan_by_key_config_selectorIiyEEZZNS1_16scan_by_key_implILNS1_25lookback_scan_determinismE0ELb0ES3_N6thrust23THRUST_200600_302600_NS6detail15normal_iteratorINS9_10device_ptrIiEEEENSB_INSC_IyEEEESG_yNS9_4plusIvEENS9_8equal_toIvEEyEE10hipError_tPvRmT2_T3_T4_T5_mT6_T7_P12ihipStream_tbENKUlT_T0_E_clISt17integral_constantIbLb1EES10_IbLb0EEEEDaSW_SX_EUlSW_E_NS1_11comp_targetILNS1_3genE5ELNS1_11target_archE942ELNS1_3gpuE9ELNS1_3repE0EEENS1_30default_config_static_selectorELNS0_4arch9wavefront6targetE0EEEvT1_.num_named_barrier, 0
	.set _ZN7rocprim17ROCPRIM_400000_NS6detail17trampoline_kernelINS0_14default_configENS1_27scan_by_key_config_selectorIiyEEZZNS1_16scan_by_key_implILNS1_25lookback_scan_determinismE0ELb0ES3_N6thrust23THRUST_200600_302600_NS6detail15normal_iteratorINS9_10device_ptrIiEEEENSB_INSC_IyEEEESG_yNS9_4plusIvEENS9_8equal_toIvEEyEE10hipError_tPvRmT2_T3_T4_T5_mT6_T7_P12ihipStream_tbENKUlT_T0_E_clISt17integral_constantIbLb1EES10_IbLb0EEEEDaSW_SX_EUlSW_E_NS1_11comp_targetILNS1_3genE5ELNS1_11target_archE942ELNS1_3gpuE9ELNS1_3repE0EEENS1_30default_config_static_selectorELNS0_4arch9wavefront6targetE0EEEvT1_.private_seg_size, 0
	.set _ZN7rocprim17ROCPRIM_400000_NS6detail17trampoline_kernelINS0_14default_configENS1_27scan_by_key_config_selectorIiyEEZZNS1_16scan_by_key_implILNS1_25lookback_scan_determinismE0ELb0ES3_N6thrust23THRUST_200600_302600_NS6detail15normal_iteratorINS9_10device_ptrIiEEEENSB_INSC_IyEEEESG_yNS9_4plusIvEENS9_8equal_toIvEEyEE10hipError_tPvRmT2_T3_T4_T5_mT6_T7_P12ihipStream_tbENKUlT_T0_E_clISt17integral_constantIbLb1EES10_IbLb0EEEEDaSW_SX_EUlSW_E_NS1_11comp_targetILNS1_3genE5ELNS1_11target_archE942ELNS1_3gpuE9ELNS1_3repE0EEENS1_30default_config_static_selectorELNS0_4arch9wavefront6targetE0EEEvT1_.uses_vcc, 0
	.set _ZN7rocprim17ROCPRIM_400000_NS6detail17trampoline_kernelINS0_14default_configENS1_27scan_by_key_config_selectorIiyEEZZNS1_16scan_by_key_implILNS1_25lookback_scan_determinismE0ELb0ES3_N6thrust23THRUST_200600_302600_NS6detail15normal_iteratorINS9_10device_ptrIiEEEENSB_INSC_IyEEEESG_yNS9_4plusIvEENS9_8equal_toIvEEyEE10hipError_tPvRmT2_T3_T4_T5_mT6_T7_P12ihipStream_tbENKUlT_T0_E_clISt17integral_constantIbLb1EES10_IbLb0EEEEDaSW_SX_EUlSW_E_NS1_11comp_targetILNS1_3genE5ELNS1_11target_archE942ELNS1_3gpuE9ELNS1_3repE0EEENS1_30default_config_static_selectorELNS0_4arch9wavefront6targetE0EEEvT1_.uses_flat_scratch, 0
	.set _ZN7rocprim17ROCPRIM_400000_NS6detail17trampoline_kernelINS0_14default_configENS1_27scan_by_key_config_selectorIiyEEZZNS1_16scan_by_key_implILNS1_25lookback_scan_determinismE0ELb0ES3_N6thrust23THRUST_200600_302600_NS6detail15normal_iteratorINS9_10device_ptrIiEEEENSB_INSC_IyEEEESG_yNS9_4plusIvEENS9_8equal_toIvEEyEE10hipError_tPvRmT2_T3_T4_T5_mT6_T7_P12ihipStream_tbENKUlT_T0_E_clISt17integral_constantIbLb1EES10_IbLb0EEEEDaSW_SX_EUlSW_E_NS1_11comp_targetILNS1_3genE5ELNS1_11target_archE942ELNS1_3gpuE9ELNS1_3repE0EEENS1_30default_config_static_selectorELNS0_4arch9wavefront6targetE0EEEvT1_.has_dyn_sized_stack, 0
	.set _ZN7rocprim17ROCPRIM_400000_NS6detail17trampoline_kernelINS0_14default_configENS1_27scan_by_key_config_selectorIiyEEZZNS1_16scan_by_key_implILNS1_25lookback_scan_determinismE0ELb0ES3_N6thrust23THRUST_200600_302600_NS6detail15normal_iteratorINS9_10device_ptrIiEEEENSB_INSC_IyEEEESG_yNS9_4plusIvEENS9_8equal_toIvEEyEE10hipError_tPvRmT2_T3_T4_T5_mT6_T7_P12ihipStream_tbENKUlT_T0_E_clISt17integral_constantIbLb1EES10_IbLb0EEEEDaSW_SX_EUlSW_E_NS1_11comp_targetILNS1_3genE5ELNS1_11target_archE942ELNS1_3gpuE9ELNS1_3repE0EEENS1_30default_config_static_selectorELNS0_4arch9wavefront6targetE0EEEvT1_.has_recursion, 0
	.set _ZN7rocprim17ROCPRIM_400000_NS6detail17trampoline_kernelINS0_14default_configENS1_27scan_by_key_config_selectorIiyEEZZNS1_16scan_by_key_implILNS1_25lookback_scan_determinismE0ELb0ES3_N6thrust23THRUST_200600_302600_NS6detail15normal_iteratorINS9_10device_ptrIiEEEENSB_INSC_IyEEEESG_yNS9_4plusIvEENS9_8equal_toIvEEyEE10hipError_tPvRmT2_T3_T4_T5_mT6_T7_P12ihipStream_tbENKUlT_T0_E_clISt17integral_constantIbLb1EES10_IbLb0EEEEDaSW_SX_EUlSW_E_NS1_11comp_targetILNS1_3genE5ELNS1_11target_archE942ELNS1_3gpuE9ELNS1_3repE0EEENS1_30default_config_static_selectorELNS0_4arch9wavefront6targetE0EEEvT1_.has_indirect_call, 0
	.section	.AMDGPU.csdata,"",@progbits
; Kernel info:
; codeLenInByte = 0
; TotalNumSgprs: 0
; NumVgprs: 0
; ScratchSize: 0
; MemoryBound: 0
; FloatMode: 240
; IeeeMode: 1
; LDSByteSize: 0 bytes/workgroup (compile time only)
; SGPRBlocks: 0
; VGPRBlocks: 0
; NumSGPRsForWavesPerEU: 1
; NumVGPRsForWavesPerEU: 1
; NamedBarCnt: 0
; Occupancy: 16
; WaveLimiterHint : 0
; COMPUTE_PGM_RSRC2:SCRATCH_EN: 0
; COMPUTE_PGM_RSRC2:USER_SGPR: 2
; COMPUTE_PGM_RSRC2:TRAP_HANDLER: 0
; COMPUTE_PGM_RSRC2:TGID_X_EN: 1
; COMPUTE_PGM_RSRC2:TGID_Y_EN: 0
; COMPUTE_PGM_RSRC2:TGID_Z_EN: 0
; COMPUTE_PGM_RSRC2:TIDIG_COMP_CNT: 0
	.section	.text._ZN7rocprim17ROCPRIM_400000_NS6detail17trampoline_kernelINS0_14default_configENS1_27scan_by_key_config_selectorIiyEEZZNS1_16scan_by_key_implILNS1_25lookback_scan_determinismE0ELb0ES3_N6thrust23THRUST_200600_302600_NS6detail15normal_iteratorINS9_10device_ptrIiEEEENSB_INSC_IyEEEESG_yNS9_4plusIvEENS9_8equal_toIvEEyEE10hipError_tPvRmT2_T3_T4_T5_mT6_T7_P12ihipStream_tbENKUlT_T0_E_clISt17integral_constantIbLb1EES10_IbLb0EEEEDaSW_SX_EUlSW_E_NS1_11comp_targetILNS1_3genE4ELNS1_11target_archE910ELNS1_3gpuE8ELNS1_3repE0EEENS1_30default_config_static_selectorELNS0_4arch9wavefront6targetE0EEEvT1_,"axG",@progbits,_ZN7rocprim17ROCPRIM_400000_NS6detail17trampoline_kernelINS0_14default_configENS1_27scan_by_key_config_selectorIiyEEZZNS1_16scan_by_key_implILNS1_25lookback_scan_determinismE0ELb0ES3_N6thrust23THRUST_200600_302600_NS6detail15normal_iteratorINS9_10device_ptrIiEEEENSB_INSC_IyEEEESG_yNS9_4plusIvEENS9_8equal_toIvEEyEE10hipError_tPvRmT2_T3_T4_T5_mT6_T7_P12ihipStream_tbENKUlT_T0_E_clISt17integral_constantIbLb1EES10_IbLb0EEEEDaSW_SX_EUlSW_E_NS1_11comp_targetILNS1_3genE4ELNS1_11target_archE910ELNS1_3gpuE8ELNS1_3repE0EEENS1_30default_config_static_selectorELNS0_4arch9wavefront6targetE0EEEvT1_,comdat
	.protected	_ZN7rocprim17ROCPRIM_400000_NS6detail17trampoline_kernelINS0_14default_configENS1_27scan_by_key_config_selectorIiyEEZZNS1_16scan_by_key_implILNS1_25lookback_scan_determinismE0ELb0ES3_N6thrust23THRUST_200600_302600_NS6detail15normal_iteratorINS9_10device_ptrIiEEEENSB_INSC_IyEEEESG_yNS9_4plusIvEENS9_8equal_toIvEEyEE10hipError_tPvRmT2_T3_T4_T5_mT6_T7_P12ihipStream_tbENKUlT_T0_E_clISt17integral_constantIbLb1EES10_IbLb0EEEEDaSW_SX_EUlSW_E_NS1_11comp_targetILNS1_3genE4ELNS1_11target_archE910ELNS1_3gpuE8ELNS1_3repE0EEENS1_30default_config_static_selectorELNS0_4arch9wavefront6targetE0EEEvT1_ ; -- Begin function _ZN7rocprim17ROCPRIM_400000_NS6detail17trampoline_kernelINS0_14default_configENS1_27scan_by_key_config_selectorIiyEEZZNS1_16scan_by_key_implILNS1_25lookback_scan_determinismE0ELb0ES3_N6thrust23THRUST_200600_302600_NS6detail15normal_iteratorINS9_10device_ptrIiEEEENSB_INSC_IyEEEESG_yNS9_4plusIvEENS9_8equal_toIvEEyEE10hipError_tPvRmT2_T3_T4_T5_mT6_T7_P12ihipStream_tbENKUlT_T0_E_clISt17integral_constantIbLb1EES10_IbLb0EEEEDaSW_SX_EUlSW_E_NS1_11comp_targetILNS1_3genE4ELNS1_11target_archE910ELNS1_3gpuE8ELNS1_3repE0EEENS1_30default_config_static_selectorELNS0_4arch9wavefront6targetE0EEEvT1_
	.globl	_ZN7rocprim17ROCPRIM_400000_NS6detail17trampoline_kernelINS0_14default_configENS1_27scan_by_key_config_selectorIiyEEZZNS1_16scan_by_key_implILNS1_25lookback_scan_determinismE0ELb0ES3_N6thrust23THRUST_200600_302600_NS6detail15normal_iteratorINS9_10device_ptrIiEEEENSB_INSC_IyEEEESG_yNS9_4plusIvEENS9_8equal_toIvEEyEE10hipError_tPvRmT2_T3_T4_T5_mT6_T7_P12ihipStream_tbENKUlT_T0_E_clISt17integral_constantIbLb1EES10_IbLb0EEEEDaSW_SX_EUlSW_E_NS1_11comp_targetILNS1_3genE4ELNS1_11target_archE910ELNS1_3gpuE8ELNS1_3repE0EEENS1_30default_config_static_selectorELNS0_4arch9wavefront6targetE0EEEvT1_
	.p2align	8
	.type	_ZN7rocprim17ROCPRIM_400000_NS6detail17trampoline_kernelINS0_14default_configENS1_27scan_by_key_config_selectorIiyEEZZNS1_16scan_by_key_implILNS1_25lookback_scan_determinismE0ELb0ES3_N6thrust23THRUST_200600_302600_NS6detail15normal_iteratorINS9_10device_ptrIiEEEENSB_INSC_IyEEEESG_yNS9_4plusIvEENS9_8equal_toIvEEyEE10hipError_tPvRmT2_T3_T4_T5_mT6_T7_P12ihipStream_tbENKUlT_T0_E_clISt17integral_constantIbLb1EES10_IbLb0EEEEDaSW_SX_EUlSW_E_NS1_11comp_targetILNS1_3genE4ELNS1_11target_archE910ELNS1_3gpuE8ELNS1_3repE0EEENS1_30default_config_static_selectorELNS0_4arch9wavefront6targetE0EEEvT1_,@function
_ZN7rocprim17ROCPRIM_400000_NS6detail17trampoline_kernelINS0_14default_configENS1_27scan_by_key_config_selectorIiyEEZZNS1_16scan_by_key_implILNS1_25lookback_scan_determinismE0ELb0ES3_N6thrust23THRUST_200600_302600_NS6detail15normal_iteratorINS9_10device_ptrIiEEEENSB_INSC_IyEEEESG_yNS9_4plusIvEENS9_8equal_toIvEEyEE10hipError_tPvRmT2_T3_T4_T5_mT6_T7_P12ihipStream_tbENKUlT_T0_E_clISt17integral_constantIbLb1EES10_IbLb0EEEEDaSW_SX_EUlSW_E_NS1_11comp_targetILNS1_3genE4ELNS1_11target_archE910ELNS1_3gpuE8ELNS1_3repE0EEENS1_30default_config_static_selectorELNS0_4arch9wavefront6targetE0EEEvT1_: ; @_ZN7rocprim17ROCPRIM_400000_NS6detail17trampoline_kernelINS0_14default_configENS1_27scan_by_key_config_selectorIiyEEZZNS1_16scan_by_key_implILNS1_25lookback_scan_determinismE0ELb0ES3_N6thrust23THRUST_200600_302600_NS6detail15normal_iteratorINS9_10device_ptrIiEEEENSB_INSC_IyEEEESG_yNS9_4plusIvEENS9_8equal_toIvEEyEE10hipError_tPvRmT2_T3_T4_T5_mT6_T7_P12ihipStream_tbENKUlT_T0_E_clISt17integral_constantIbLb1EES10_IbLb0EEEEDaSW_SX_EUlSW_E_NS1_11comp_targetILNS1_3genE4ELNS1_11target_archE910ELNS1_3gpuE8ELNS1_3repE0EEENS1_30default_config_static_selectorELNS0_4arch9wavefront6targetE0EEEvT1_
; %bb.0:
	.section	.rodata,"a",@progbits
	.p2align	6, 0x0
	.amdhsa_kernel _ZN7rocprim17ROCPRIM_400000_NS6detail17trampoline_kernelINS0_14default_configENS1_27scan_by_key_config_selectorIiyEEZZNS1_16scan_by_key_implILNS1_25lookback_scan_determinismE0ELb0ES3_N6thrust23THRUST_200600_302600_NS6detail15normal_iteratorINS9_10device_ptrIiEEEENSB_INSC_IyEEEESG_yNS9_4plusIvEENS9_8equal_toIvEEyEE10hipError_tPvRmT2_T3_T4_T5_mT6_T7_P12ihipStream_tbENKUlT_T0_E_clISt17integral_constantIbLb1EES10_IbLb0EEEEDaSW_SX_EUlSW_E_NS1_11comp_targetILNS1_3genE4ELNS1_11target_archE910ELNS1_3gpuE8ELNS1_3repE0EEENS1_30default_config_static_selectorELNS0_4arch9wavefront6targetE0EEEvT1_
		.amdhsa_group_segment_fixed_size 0
		.amdhsa_private_segment_fixed_size 0
		.amdhsa_kernarg_size 136
		.amdhsa_user_sgpr_count 2
		.amdhsa_user_sgpr_dispatch_ptr 0
		.amdhsa_user_sgpr_queue_ptr 0
		.amdhsa_user_sgpr_kernarg_segment_ptr 1
		.amdhsa_user_sgpr_dispatch_id 0
		.amdhsa_user_sgpr_kernarg_preload_length 0
		.amdhsa_user_sgpr_kernarg_preload_offset 0
		.amdhsa_user_sgpr_private_segment_size 0
		.amdhsa_wavefront_size32 1
		.amdhsa_uses_dynamic_stack 0
		.amdhsa_enable_private_segment 0
		.amdhsa_system_sgpr_workgroup_id_x 1
		.amdhsa_system_sgpr_workgroup_id_y 0
		.amdhsa_system_sgpr_workgroup_id_z 0
		.amdhsa_system_sgpr_workgroup_info 0
		.amdhsa_system_vgpr_workitem_id 0
		.amdhsa_next_free_vgpr 1
		.amdhsa_next_free_sgpr 1
		.amdhsa_named_barrier_count 0
		.amdhsa_reserve_vcc 0
		.amdhsa_float_round_mode_32 0
		.amdhsa_float_round_mode_16_64 0
		.amdhsa_float_denorm_mode_32 3
		.amdhsa_float_denorm_mode_16_64 3
		.amdhsa_fp16_overflow 0
		.amdhsa_memory_ordered 1
		.amdhsa_forward_progress 1
		.amdhsa_inst_pref_size 0
		.amdhsa_round_robin_scheduling 0
		.amdhsa_exception_fp_ieee_invalid_op 0
		.amdhsa_exception_fp_denorm_src 0
		.amdhsa_exception_fp_ieee_div_zero 0
		.amdhsa_exception_fp_ieee_overflow 0
		.amdhsa_exception_fp_ieee_underflow 0
		.amdhsa_exception_fp_ieee_inexact 0
		.amdhsa_exception_int_div_zero 0
	.end_amdhsa_kernel
	.section	.text._ZN7rocprim17ROCPRIM_400000_NS6detail17trampoline_kernelINS0_14default_configENS1_27scan_by_key_config_selectorIiyEEZZNS1_16scan_by_key_implILNS1_25lookback_scan_determinismE0ELb0ES3_N6thrust23THRUST_200600_302600_NS6detail15normal_iteratorINS9_10device_ptrIiEEEENSB_INSC_IyEEEESG_yNS9_4plusIvEENS9_8equal_toIvEEyEE10hipError_tPvRmT2_T3_T4_T5_mT6_T7_P12ihipStream_tbENKUlT_T0_E_clISt17integral_constantIbLb1EES10_IbLb0EEEEDaSW_SX_EUlSW_E_NS1_11comp_targetILNS1_3genE4ELNS1_11target_archE910ELNS1_3gpuE8ELNS1_3repE0EEENS1_30default_config_static_selectorELNS0_4arch9wavefront6targetE0EEEvT1_,"axG",@progbits,_ZN7rocprim17ROCPRIM_400000_NS6detail17trampoline_kernelINS0_14default_configENS1_27scan_by_key_config_selectorIiyEEZZNS1_16scan_by_key_implILNS1_25lookback_scan_determinismE0ELb0ES3_N6thrust23THRUST_200600_302600_NS6detail15normal_iteratorINS9_10device_ptrIiEEEENSB_INSC_IyEEEESG_yNS9_4plusIvEENS9_8equal_toIvEEyEE10hipError_tPvRmT2_T3_T4_T5_mT6_T7_P12ihipStream_tbENKUlT_T0_E_clISt17integral_constantIbLb1EES10_IbLb0EEEEDaSW_SX_EUlSW_E_NS1_11comp_targetILNS1_3genE4ELNS1_11target_archE910ELNS1_3gpuE8ELNS1_3repE0EEENS1_30default_config_static_selectorELNS0_4arch9wavefront6targetE0EEEvT1_,comdat
.Lfunc_end1201:
	.size	_ZN7rocprim17ROCPRIM_400000_NS6detail17trampoline_kernelINS0_14default_configENS1_27scan_by_key_config_selectorIiyEEZZNS1_16scan_by_key_implILNS1_25lookback_scan_determinismE0ELb0ES3_N6thrust23THRUST_200600_302600_NS6detail15normal_iteratorINS9_10device_ptrIiEEEENSB_INSC_IyEEEESG_yNS9_4plusIvEENS9_8equal_toIvEEyEE10hipError_tPvRmT2_T3_T4_T5_mT6_T7_P12ihipStream_tbENKUlT_T0_E_clISt17integral_constantIbLb1EES10_IbLb0EEEEDaSW_SX_EUlSW_E_NS1_11comp_targetILNS1_3genE4ELNS1_11target_archE910ELNS1_3gpuE8ELNS1_3repE0EEENS1_30default_config_static_selectorELNS0_4arch9wavefront6targetE0EEEvT1_, .Lfunc_end1201-_ZN7rocprim17ROCPRIM_400000_NS6detail17trampoline_kernelINS0_14default_configENS1_27scan_by_key_config_selectorIiyEEZZNS1_16scan_by_key_implILNS1_25lookback_scan_determinismE0ELb0ES3_N6thrust23THRUST_200600_302600_NS6detail15normal_iteratorINS9_10device_ptrIiEEEENSB_INSC_IyEEEESG_yNS9_4plusIvEENS9_8equal_toIvEEyEE10hipError_tPvRmT2_T3_T4_T5_mT6_T7_P12ihipStream_tbENKUlT_T0_E_clISt17integral_constantIbLb1EES10_IbLb0EEEEDaSW_SX_EUlSW_E_NS1_11comp_targetILNS1_3genE4ELNS1_11target_archE910ELNS1_3gpuE8ELNS1_3repE0EEENS1_30default_config_static_selectorELNS0_4arch9wavefront6targetE0EEEvT1_
                                        ; -- End function
	.set _ZN7rocprim17ROCPRIM_400000_NS6detail17trampoline_kernelINS0_14default_configENS1_27scan_by_key_config_selectorIiyEEZZNS1_16scan_by_key_implILNS1_25lookback_scan_determinismE0ELb0ES3_N6thrust23THRUST_200600_302600_NS6detail15normal_iteratorINS9_10device_ptrIiEEEENSB_INSC_IyEEEESG_yNS9_4plusIvEENS9_8equal_toIvEEyEE10hipError_tPvRmT2_T3_T4_T5_mT6_T7_P12ihipStream_tbENKUlT_T0_E_clISt17integral_constantIbLb1EES10_IbLb0EEEEDaSW_SX_EUlSW_E_NS1_11comp_targetILNS1_3genE4ELNS1_11target_archE910ELNS1_3gpuE8ELNS1_3repE0EEENS1_30default_config_static_selectorELNS0_4arch9wavefront6targetE0EEEvT1_.num_vgpr, 0
	.set _ZN7rocprim17ROCPRIM_400000_NS6detail17trampoline_kernelINS0_14default_configENS1_27scan_by_key_config_selectorIiyEEZZNS1_16scan_by_key_implILNS1_25lookback_scan_determinismE0ELb0ES3_N6thrust23THRUST_200600_302600_NS6detail15normal_iteratorINS9_10device_ptrIiEEEENSB_INSC_IyEEEESG_yNS9_4plusIvEENS9_8equal_toIvEEyEE10hipError_tPvRmT2_T3_T4_T5_mT6_T7_P12ihipStream_tbENKUlT_T0_E_clISt17integral_constantIbLb1EES10_IbLb0EEEEDaSW_SX_EUlSW_E_NS1_11comp_targetILNS1_3genE4ELNS1_11target_archE910ELNS1_3gpuE8ELNS1_3repE0EEENS1_30default_config_static_selectorELNS0_4arch9wavefront6targetE0EEEvT1_.num_agpr, 0
	.set _ZN7rocprim17ROCPRIM_400000_NS6detail17trampoline_kernelINS0_14default_configENS1_27scan_by_key_config_selectorIiyEEZZNS1_16scan_by_key_implILNS1_25lookback_scan_determinismE0ELb0ES3_N6thrust23THRUST_200600_302600_NS6detail15normal_iteratorINS9_10device_ptrIiEEEENSB_INSC_IyEEEESG_yNS9_4plusIvEENS9_8equal_toIvEEyEE10hipError_tPvRmT2_T3_T4_T5_mT6_T7_P12ihipStream_tbENKUlT_T0_E_clISt17integral_constantIbLb1EES10_IbLb0EEEEDaSW_SX_EUlSW_E_NS1_11comp_targetILNS1_3genE4ELNS1_11target_archE910ELNS1_3gpuE8ELNS1_3repE0EEENS1_30default_config_static_selectorELNS0_4arch9wavefront6targetE0EEEvT1_.numbered_sgpr, 0
	.set _ZN7rocprim17ROCPRIM_400000_NS6detail17trampoline_kernelINS0_14default_configENS1_27scan_by_key_config_selectorIiyEEZZNS1_16scan_by_key_implILNS1_25lookback_scan_determinismE0ELb0ES3_N6thrust23THRUST_200600_302600_NS6detail15normal_iteratorINS9_10device_ptrIiEEEENSB_INSC_IyEEEESG_yNS9_4plusIvEENS9_8equal_toIvEEyEE10hipError_tPvRmT2_T3_T4_T5_mT6_T7_P12ihipStream_tbENKUlT_T0_E_clISt17integral_constantIbLb1EES10_IbLb0EEEEDaSW_SX_EUlSW_E_NS1_11comp_targetILNS1_3genE4ELNS1_11target_archE910ELNS1_3gpuE8ELNS1_3repE0EEENS1_30default_config_static_selectorELNS0_4arch9wavefront6targetE0EEEvT1_.num_named_barrier, 0
	.set _ZN7rocprim17ROCPRIM_400000_NS6detail17trampoline_kernelINS0_14default_configENS1_27scan_by_key_config_selectorIiyEEZZNS1_16scan_by_key_implILNS1_25lookback_scan_determinismE0ELb0ES3_N6thrust23THRUST_200600_302600_NS6detail15normal_iteratorINS9_10device_ptrIiEEEENSB_INSC_IyEEEESG_yNS9_4plusIvEENS9_8equal_toIvEEyEE10hipError_tPvRmT2_T3_T4_T5_mT6_T7_P12ihipStream_tbENKUlT_T0_E_clISt17integral_constantIbLb1EES10_IbLb0EEEEDaSW_SX_EUlSW_E_NS1_11comp_targetILNS1_3genE4ELNS1_11target_archE910ELNS1_3gpuE8ELNS1_3repE0EEENS1_30default_config_static_selectorELNS0_4arch9wavefront6targetE0EEEvT1_.private_seg_size, 0
	.set _ZN7rocprim17ROCPRIM_400000_NS6detail17trampoline_kernelINS0_14default_configENS1_27scan_by_key_config_selectorIiyEEZZNS1_16scan_by_key_implILNS1_25lookback_scan_determinismE0ELb0ES3_N6thrust23THRUST_200600_302600_NS6detail15normal_iteratorINS9_10device_ptrIiEEEENSB_INSC_IyEEEESG_yNS9_4plusIvEENS9_8equal_toIvEEyEE10hipError_tPvRmT2_T3_T4_T5_mT6_T7_P12ihipStream_tbENKUlT_T0_E_clISt17integral_constantIbLb1EES10_IbLb0EEEEDaSW_SX_EUlSW_E_NS1_11comp_targetILNS1_3genE4ELNS1_11target_archE910ELNS1_3gpuE8ELNS1_3repE0EEENS1_30default_config_static_selectorELNS0_4arch9wavefront6targetE0EEEvT1_.uses_vcc, 0
	.set _ZN7rocprim17ROCPRIM_400000_NS6detail17trampoline_kernelINS0_14default_configENS1_27scan_by_key_config_selectorIiyEEZZNS1_16scan_by_key_implILNS1_25lookback_scan_determinismE0ELb0ES3_N6thrust23THRUST_200600_302600_NS6detail15normal_iteratorINS9_10device_ptrIiEEEENSB_INSC_IyEEEESG_yNS9_4plusIvEENS9_8equal_toIvEEyEE10hipError_tPvRmT2_T3_T4_T5_mT6_T7_P12ihipStream_tbENKUlT_T0_E_clISt17integral_constantIbLb1EES10_IbLb0EEEEDaSW_SX_EUlSW_E_NS1_11comp_targetILNS1_3genE4ELNS1_11target_archE910ELNS1_3gpuE8ELNS1_3repE0EEENS1_30default_config_static_selectorELNS0_4arch9wavefront6targetE0EEEvT1_.uses_flat_scratch, 0
	.set _ZN7rocprim17ROCPRIM_400000_NS6detail17trampoline_kernelINS0_14default_configENS1_27scan_by_key_config_selectorIiyEEZZNS1_16scan_by_key_implILNS1_25lookback_scan_determinismE0ELb0ES3_N6thrust23THRUST_200600_302600_NS6detail15normal_iteratorINS9_10device_ptrIiEEEENSB_INSC_IyEEEESG_yNS9_4plusIvEENS9_8equal_toIvEEyEE10hipError_tPvRmT2_T3_T4_T5_mT6_T7_P12ihipStream_tbENKUlT_T0_E_clISt17integral_constantIbLb1EES10_IbLb0EEEEDaSW_SX_EUlSW_E_NS1_11comp_targetILNS1_3genE4ELNS1_11target_archE910ELNS1_3gpuE8ELNS1_3repE0EEENS1_30default_config_static_selectorELNS0_4arch9wavefront6targetE0EEEvT1_.has_dyn_sized_stack, 0
	.set _ZN7rocprim17ROCPRIM_400000_NS6detail17trampoline_kernelINS0_14default_configENS1_27scan_by_key_config_selectorIiyEEZZNS1_16scan_by_key_implILNS1_25lookback_scan_determinismE0ELb0ES3_N6thrust23THRUST_200600_302600_NS6detail15normal_iteratorINS9_10device_ptrIiEEEENSB_INSC_IyEEEESG_yNS9_4plusIvEENS9_8equal_toIvEEyEE10hipError_tPvRmT2_T3_T4_T5_mT6_T7_P12ihipStream_tbENKUlT_T0_E_clISt17integral_constantIbLb1EES10_IbLb0EEEEDaSW_SX_EUlSW_E_NS1_11comp_targetILNS1_3genE4ELNS1_11target_archE910ELNS1_3gpuE8ELNS1_3repE0EEENS1_30default_config_static_selectorELNS0_4arch9wavefront6targetE0EEEvT1_.has_recursion, 0
	.set _ZN7rocprim17ROCPRIM_400000_NS6detail17trampoline_kernelINS0_14default_configENS1_27scan_by_key_config_selectorIiyEEZZNS1_16scan_by_key_implILNS1_25lookback_scan_determinismE0ELb0ES3_N6thrust23THRUST_200600_302600_NS6detail15normal_iteratorINS9_10device_ptrIiEEEENSB_INSC_IyEEEESG_yNS9_4plusIvEENS9_8equal_toIvEEyEE10hipError_tPvRmT2_T3_T4_T5_mT6_T7_P12ihipStream_tbENKUlT_T0_E_clISt17integral_constantIbLb1EES10_IbLb0EEEEDaSW_SX_EUlSW_E_NS1_11comp_targetILNS1_3genE4ELNS1_11target_archE910ELNS1_3gpuE8ELNS1_3repE0EEENS1_30default_config_static_selectorELNS0_4arch9wavefront6targetE0EEEvT1_.has_indirect_call, 0
	.section	.AMDGPU.csdata,"",@progbits
; Kernel info:
; codeLenInByte = 0
; TotalNumSgprs: 0
; NumVgprs: 0
; ScratchSize: 0
; MemoryBound: 0
; FloatMode: 240
; IeeeMode: 1
; LDSByteSize: 0 bytes/workgroup (compile time only)
; SGPRBlocks: 0
; VGPRBlocks: 0
; NumSGPRsForWavesPerEU: 1
; NumVGPRsForWavesPerEU: 1
; NamedBarCnt: 0
; Occupancy: 16
; WaveLimiterHint : 0
; COMPUTE_PGM_RSRC2:SCRATCH_EN: 0
; COMPUTE_PGM_RSRC2:USER_SGPR: 2
; COMPUTE_PGM_RSRC2:TRAP_HANDLER: 0
; COMPUTE_PGM_RSRC2:TGID_X_EN: 1
; COMPUTE_PGM_RSRC2:TGID_Y_EN: 0
; COMPUTE_PGM_RSRC2:TGID_Z_EN: 0
; COMPUTE_PGM_RSRC2:TIDIG_COMP_CNT: 0
	.section	.text._ZN7rocprim17ROCPRIM_400000_NS6detail17trampoline_kernelINS0_14default_configENS1_27scan_by_key_config_selectorIiyEEZZNS1_16scan_by_key_implILNS1_25lookback_scan_determinismE0ELb0ES3_N6thrust23THRUST_200600_302600_NS6detail15normal_iteratorINS9_10device_ptrIiEEEENSB_INSC_IyEEEESG_yNS9_4plusIvEENS9_8equal_toIvEEyEE10hipError_tPvRmT2_T3_T4_T5_mT6_T7_P12ihipStream_tbENKUlT_T0_E_clISt17integral_constantIbLb1EES10_IbLb0EEEEDaSW_SX_EUlSW_E_NS1_11comp_targetILNS1_3genE3ELNS1_11target_archE908ELNS1_3gpuE7ELNS1_3repE0EEENS1_30default_config_static_selectorELNS0_4arch9wavefront6targetE0EEEvT1_,"axG",@progbits,_ZN7rocprim17ROCPRIM_400000_NS6detail17trampoline_kernelINS0_14default_configENS1_27scan_by_key_config_selectorIiyEEZZNS1_16scan_by_key_implILNS1_25lookback_scan_determinismE0ELb0ES3_N6thrust23THRUST_200600_302600_NS6detail15normal_iteratorINS9_10device_ptrIiEEEENSB_INSC_IyEEEESG_yNS9_4plusIvEENS9_8equal_toIvEEyEE10hipError_tPvRmT2_T3_T4_T5_mT6_T7_P12ihipStream_tbENKUlT_T0_E_clISt17integral_constantIbLb1EES10_IbLb0EEEEDaSW_SX_EUlSW_E_NS1_11comp_targetILNS1_3genE3ELNS1_11target_archE908ELNS1_3gpuE7ELNS1_3repE0EEENS1_30default_config_static_selectorELNS0_4arch9wavefront6targetE0EEEvT1_,comdat
	.protected	_ZN7rocprim17ROCPRIM_400000_NS6detail17trampoline_kernelINS0_14default_configENS1_27scan_by_key_config_selectorIiyEEZZNS1_16scan_by_key_implILNS1_25lookback_scan_determinismE0ELb0ES3_N6thrust23THRUST_200600_302600_NS6detail15normal_iteratorINS9_10device_ptrIiEEEENSB_INSC_IyEEEESG_yNS9_4plusIvEENS9_8equal_toIvEEyEE10hipError_tPvRmT2_T3_T4_T5_mT6_T7_P12ihipStream_tbENKUlT_T0_E_clISt17integral_constantIbLb1EES10_IbLb0EEEEDaSW_SX_EUlSW_E_NS1_11comp_targetILNS1_3genE3ELNS1_11target_archE908ELNS1_3gpuE7ELNS1_3repE0EEENS1_30default_config_static_selectorELNS0_4arch9wavefront6targetE0EEEvT1_ ; -- Begin function _ZN7rocprim17ROCPRIM_400000_NS6detail17trampoline_kernelINS0_14default_configENS1_27scan_by_key_config_selectorIiyEEZZNS1_16scan_by_key_implILNS1_25lookback_scan_determinismE0ELb0ES3_N6thrust23THRUST_200600_302600_NS6detail15normal_iteratorINS9_10device_ptrIiEEEENSB_INSC_IyEEEESG_yNS9_4plusIvEENS9_8equal_toIvEEyEE10hipError_tPvRmT2_T3_T4_T5_mT6_T7_P12ihipStream_tbENKUlT_T0_E_clISt17integral_constantIbLb1EES10_IbLb0EEEEDaSW_SX_EUlSW_E_NS1_11comp_targetILNS1_3genE3ELNS1_11target_archE908ELNS1_3gpuE7ELNS1_3repE0EEENS1_30default_config_static_selectorELNS0_4arch9wavefront6targetE0EEEvT1_
	.globl	_ZN7rocprim17ROCPRIM_400000_NS6detail17trampoline_kernelINS0_14default_configENS1_27scan_by_key_config_selectorIiyEEZZNS1_16scan_by_key_implILNS1_25lookback_scan_determinismE0ELb0ES3_N6thrust23THRUST_200600_302600_NS6detail15normal_iteratorINS9_10device_ptrIiEEEENSB_INSC_IyEEEESG_yNS9_4plusIvEENS9_8equal_toIvEEyEE10hipError_tPvRmT2_T3_T4_T5_mT6_T7_P12ihipStream_tbENKUlT_T0_E_clISt17integral_constantIbLb1EES10_IbLb0EEEEDaSW_SX_EUlSW_E_NS1_11comp_targetILNS1_3genE3ELNS1_11target_archE908ELNS1_3gpuE7ELNS1_3repE0EEENS1_30default_config_static_selectorELNS0_4arch9wavefront6targetE0EEEvT1_
	.p2align	8
	.type	_ZN7rocprim17ROCPRIM_400000_NS6detail17trampoline_kernelINS0_14default_configENS1_27scan_by_key_config_selectorIiyEEZZNS1_16scan_by_key_implILNS1_25lookback_scan_determinismE0ELb0ES3_N6thrust23THRUST_200600_302600_NS6detail15normal_iteratorINS9_10device_ptrIiEEEENSB_INSC_IyEEEESG_yNS9_4plusIvEENS9_8equal_toIvEEyEE10hipError_tPvRmT2_T3_T4_T5_mT6_T7_P12ihipStream_tbENKUlT_T0_E_clISt17integral_constantIbLb1EES10_IbLb0EEEEDaSW_SX_EUlSW_E_NS1_11comp_targetILNS1_3genE3ELNS1_11target_archE908ELNS1_3gpuE7ELNS1_3repE0EEENS1_30default_config_static_selectorELNS0_4arch9wavefront6targetE0EEEvT1_,@function
_ZN7rocprim17ROCPRIM_400000_NS6detail17trampoline_kernelINS0_14default_configENS1_27scan_by_key_config_selectorIiyEEZZNS1_16scan_by_key_implILNS1_25lookback_scan_determinismE0ELb0ES3_N6thrust23THRUST_200600_302600_NS6detail15normal_iteratorINS9_10device_ptrIiEEEENSB_INSC_IyEEEESG_yNS9_4plusIvEENS9_8equal_toIvEEyEE10hipError_tPvRmT2_T3_T4_T5_mT6_T7_P12ihipStream_tbENKUlT_T0_E_clISt17integral_constantIbLb1EES10_IbLb0EEEEDaSW_SX_EUlSW_E_NS1_11comp_targetILNS1_3genE3ELNS1_11target_archE908ELNS1_3gpuE7ELNS1_3repE0EEENS1_30default_config_static_selectorELNS0_4arch9wavefront6targetE0EEEvT1_: ; @_ZN7rocprim17ROCPRIM_400000_NS6detail17trampoline_kernelINS0_14default_configENS1_27scan_by_key_config_selectorIiyEEZZNS1_16scan_by_key_implILNS1_25lookback_scan_determinismE0ELb0ES3_N6thrust23THRUST_200600_302600_NS6detail15normal_iteratorINS9_10device_ptrIiEEEENSB_INSC_IyEEEESG_yNS9_4plusIvEENS9_8equal_toIvEEyEE10hipError_tPvRmT2_T3_T4_T5_mT6_T7_P12ihipStream_tbENKUlT_T0_E_clISt17integral_constantIbLb1EES10_IbLb0EEEEDaSW_SX_EUlSW_E_NS1_11comp_targetILNS1_3genE3ELNS1_11target_archE908ELNS1_3gpuE7ELNS1_3repE0EEENS1_30default_config_static_selectorELNS0_4arch9wavefront6targetE0EEEvT1_
; %bb.0:
	.section	.rodata,"a",@progbits
	.p2align	6, 0x0
	.amdhsa_kernel _ZN7rocprim17ROCPRIM_400000_NS6detail17trampoline_kernelINS0_14default_configENS1_27scan_by_key_config_selectorIiyEEZZNS1_16scan_by_key_implILNS1_25lookback_scan_determinismE0ELb0ES3_N6thrust23THRUST_200600_302600_NS6detail15normal_iteratorINS9_10device_ptrIiEEEENSB_INSC_IyEEEESG_yNS9_4plusIvEENS9_8equal_toIvEEyEE10hipError_tPvRmT2_T3_T4_T5_mT6_T7_P12ihipStream_tbENKUlT_T0_E_clISt17integral_constantIbLb1EES10_IbLb0EEEEDaSW_SX_EUlSW_E_NS1_11comp_targetILNS1_3genE3ELNS1_11target_archE908ELNS1_3gpuE7ELNS1_3repE0EEENS1_30default_config_static_selectorELNS0_4arch9wavefront6targetE0EEEvT1_
		.amdhsa_group_segment_fixed_size 0
		.amdhsa_private_segment_fixed_size 0
		.amdhsa_kernarg_size 136
		.amdhsa_user_sgpr_count 2
		.amdhsa_user_sgpr_dispatch_ptr 0
		.amdhsa_user_sgpr_queue_ptr 0
		.amdhsa_user_sgpr_kernarg_segment_ptr 1
		.amdhsa_user_sgpr_dispatch_id 0
		.amdhsa_user_sgpr_kernarg_preload_length 0
		.amdhsa_user_sgpr_kernarg_preload_offset 0
		.amdhsa_user_sgpr_private_segment_size 0
		.amdhsa_wavefront_size32 1
		.amdhsa_uses_dynamic_stack 0
		.amdhsa_enable_private_segment 0
		.amdhsa_system_sgpr_workgroup_id_x 1
		.amdhsa_system_sgpr_workgroup_id_y 0
		.amdhsa_system_sgpr_workgroup_id_z 0
		.amdhsa_system_sgpr_workgroup_info 0
		.amdhsa_system_vgpr_workitem_id 0
		.amdhsa_next_free_vgpr 1
		.amdhsa_next_free_sgpr 1
		.amdhsa_named_barrier_count 0
		.amdhsa_reserve_vcc 0
		.amdhsa_float_round_mode_32 0
		.amdhsa_float_round_mode_16_64 0
		.amdhsa_float_denorm_mode_32 3
		.amdhsa_float_denorm_mode_16_64 3
		.amdhsa_fp16_overflow 0
		.amdhsa_memory_ordered 1
		.amdhsa_forward_progress 1
		.amdhsa_inst_pref_size 0
		.amdhsa_round_robin_scheduling 0
		.amdhsa_exception_fp_ieee_invalid_op 0
		.amdhsa_exception_fp_denorm_src 0
		.amdhsa_exception_fp_ieee_div_zero 0
		.amdhsa_exception_fp_ieee_overflow 0
		.amdhsa_exception_fp_ieee_underflow 0
		.amdhsa_exception_fp_ieee_inexact 0
		.amdhsa_exception_int_div_zero 0
	.end_amdhsa_kernel
	.section	.text._ZN7rocprim17ROCPRIM_400000_NS6detail17trampoline_kernelINS0_14default_configENS1_27scan_by_key_config_selectorIiyEEZZNS1_16scan_by_key_implILNS1_25lookback_scan_determinismE0ELb0ES3_N6thrust23THRUST_200600_302600_NS6detail15normal_iteratorINS9_10device_ptrIiEEEENSB_INSC_IyEEEESG_yNS9_4plusIvEENS9_8equal_toIvEEyEE10hipError_tPvRmT2_T3_T4_T5_mT6_T7_P12ihipStream_tbENKUlT_T0_E_clISt17integral_constantIbLb1EES10_IbLb0EEEEDaSW_SX_EUlSW_E_NS1_11comp_targetILNS1_3genE3ELNS1_11target_archE908ELNS1_3gpuE7ELNS1_3repE0EEENS1_30default_config_static_selectorELNS0_4arch9wavefront6targetE0EEEvT1_,"axG",@progbits,_ZN7rocprim17ROCPRIM_400000_NS6detail17trampoline_kernelINS0_14default_configENS1_27scan_by_key_config_selectorIiyEEZZNS1_16scan_by_key_implILNS1_25lookback_scan_determinismE0ELb0ES3_N6thrust23THRUST_200600_302600_NS6detail15normal_iteratorINS9_10device_ptrIiEEEENSB_INSC_IyEEEESG_yNS9_4plusIvEENS9_8equal_toIvEEyEE10hipError_tPvRmT2_T3_T4_T5_mT6_T7_P12ihipStream_tbENKUlT_T0_E_clISt17integral_constantIbLb1EES10_IbLb0EEEEDaSW_SX_EUlSW_E_NS1_11comp_targetILNS1_3genE3ELNS1_11target_archE908ELNS1_3gpuE7ELNS1_3repE0EEENS1_30default_config_static_selectorELNS0_4arch9wavefront6targetE0EEEvT1_,comdat
.Lfunc_end1202:
	.size	_ZN7rocprim17ROCPRIM_400000_NS6detail17trampoline_kernelINS0_14default_configENS1_27scan_by_key_config_selectorIiyEEZZNS1_16scan_by_key_implILNS1_25lookback_scan_determinismE0ELb0ES3_N6thrust23THRUST_200600_302600_NS6detail15normal_iteratorINS9_10device_ptrIiEEEENSB_INSC_IyEEEESG_yNS9_4plusIvEENS9_8equal_toIvEEyEE10hipError_tPvRmT2_T3_T4_T5_mT6_T7_P12ihipStream_tbENKUlT_T0_E_clISt17integral_constantIbLb1EES10_IbLb0EEEEDaSW_SX_EUlSW_E_NS1_11comp_targetILNS1_3genE3ELNS1_11target_archE908ELNS1_3gpuE7ELNS1_3repE0EEENS1_30default_config_static_selectorELNS0_4arch9wavefront6targetE0EEEvT1_, .Lfunc_end1202-_ZN7rocprim17ROCPRIM_400000_NS6detail17trampoline_kernelINS0_14default_configENS1_27scan_by_key_config_selectorIiyEEZZNS1_16scan_by_key_implILNS1_25lookback_scan_determinismE0ELb0ES3_N6thrust23THRUST_200600_302600_NS6detail15normal_iteratorINS9_10device_ptrIiEEEENSB_INSC_IyEEEESG_yNS9_4plusIvEENS9_8equal_toIvEEyEE10hipError_tPvRmT2_T3_T4_T5_mT6_T7_P12ihipStream_tbENKUlT_T0_E_clISt17integral_constantIbLb1EES10_IbLb0EEEEDaSW_SX_EUlSW_E_NS1_11comp_targetILNS1_3genE3ELNS1_11target_archE908ELNS1_3gpuE7ELNS1_3repE0EEENS1_30default_config_static_selectorELNS0_4arch9wavefront6targetE0EEEvT1_
                                        ; -- End function
	.set _ZN7rocprim17ROCPRIM_400000_NS6detail17trampoline_kernelINS0_14default_configENS1_27scan_by_key_config_selectorIiyEEZZNS1_16scan_by_key_implILNS1_25lookback_scan_determinismE0ELb0ES3_N6thrust23THRUST_200600_302600_NS6detail15normal_iteratorINS9_10device_ptrIiEEEENSB_INSC_IyEEEESG_yNS9_4plusIvEENS9_8equal_toIvEEyEE10hipError_tPvRmT2_T3_T4_T5_mT6_T7_P12ihipStream_tbENKUlT_T0_E_clISt17integral_constantIbLb1EES10_IbLb0EEEEDaSW_SX_EUlSW_E_NS1_11comp_targetILNS1_3genE3ELNS1_11target_archE908ELNS1_3gpuE7ELNS1_3repE0EEENS1_30default_config_static_selectorELNS0_4arch9wavefront6targetE0EEEvT1_.num_vgpr, 0
	.set _ZN7rocprim17ROCPRIM_400000_NS6detail17trampoline_kernelINS0_14default_configENS1_27scan_by_key_config_selectorIiyEEZZNS1_16scan_by_key_implILNS1_25lookback_scan_determinismE0ELb0ES3_N6thrust23THRUST_200600_302600_NS6detail15normal_iteratorINS9_10device_ptrIiEEEENSB_INSC_IyEEEESG_yNS9_4plusIvEENS9_8equal_toIvEEyEE10hipError_tPvRmT2_T3_T4_T5_mT6_T7_P12ihipStream_tbENKUlT_T0_E_clISt17integral_constantIbLb1EES10_IbLb0EEEEDaSW_SX_EUlSW_E_NS1_11comp_targetILNS1_3genE3ELNS1_11target_archE908ELNS1_3gpuE7ELNS1_3repE0EEENS1_30default_config_static_selectorELNS0_4arch9wavefront6targetE0EEEvT1_.num_agpr, 0
	.set _ZN7rocprim17ROCPRIM_400000_NS6detail17trampoline_kernelINS0_14default_configENS1_27scan_by_key_config_selectorIiyEEZZNS1_16scan_by_key_implILNS1_25lookback_scan_determinismE0ELb0ES3_N6thrust23THRUST_200600_302600_NS6detail15normal_iteratorINS9_10device_ptrIiEEEENSB_INSC_IyEEEESG_yNS9_4plusIvEENS9_8equal_toIvEEyEE10hipError_tPvRmT2_T3_T4_T5_mT6_T7_P12ihipStream_tbENKUlT_T0_E_clISt17integral_constantIbLb1EES10_IbLb0EEEEDaSW_SX_EUlSW_E_NS1_11comp_targetILNS1_3genE3ELNS1_11target_archE908ELNS1_3gpuE7ELNS1_3repE0EEENS1_30default_config_static_selectorELNS0_4arch9wavefront6targetE0EEEvT1_.numbered_sgpr, 0
	.set _ZN7rocprim17ROCPRIM_400000_NS6detail17trampoline_kernelINS0_14default_configENS1_27scan_by_key_config_selectorIiyEEZZNS1_16scan_by_key_implILNS1_25lookback_scan_determinismE0ELb0ES3_N6thrust23THRUST_200600_302600_NS6detail15normal_iteratorINS9_10device_ptrIiEEEENSB_INSC_IyEEEESG_yNS9_4plusIvEENS9_8equal_toIvEEyEE10hipError_tPvRmT2_T3_T4_T5_mT6_T7_P12ihipStream_tbENKUlT_T0_E_clISt17integral_constantIbLb1EES10_IbLb0EEEEDaSW_SX_EUlSW_E_NS1_11comp_targetILNS1_3genE3ELNS1_11target_archE908ELNS1_3gpuE7ELNS1_3repE0EEENS1_30default_config_static_selectorELNS0_4arch9wavefront6targetE0EEEvT1_.num_named_barrier, 0
	.set _ZN7rocprim17ROCPRIM_400000_NS6detail17trampoline_kernelINS0_14default_configENS1_27scan_by_key_config_selectorIiyEEZZNS1_16scan_by_key_implILNS1_25lookback_scan_determinismE0ELb0ES3_N6thrust23THRUST_200600_302600_NS6detail15normal_iteratorINS9_10device_ptrIiEEEENSB_INSC_IyEEEESG_yNS9_4plusIvEENS9_8equal_toIvEEyEE10hipError_tPvRmT2_T3_T4_T5_mT6_T7_P12ihipStream_tbENKUlT_T0_E_clISt17integral_constantIbLb1EES10_IbLb0EEEEDaSW_SX_EUlSW_E_NS1_11comp_targetILNS1_3genE3ELNS1_11target_archE908ELNS1_3gpuE7ELNS1_3repE0EEENS1_30default_config_static_selectorELNS0_4arch9wavefront6targetE0EEEvT1_.private_seg_size, 0
	.set _ZN7rocprim17ROCPRIM_400000_NS6detail17trampoline_kernelINS0_14default_configENS1_27scan_by_key_config_selectorIiyEEZZNS1_16scan_by_key_implILNS1_25lookback_scan_determinismE0ELb0ES3_N6thrust23THRUST_200600_302600_NS6detail15normal_iteratorINS9_10device_ptrIiEEEENSB_INSC_IyEEEESG_yNS9_4plusIvEENS9_8equal_toIvEEyEE10hipError_tPvRmT2_T3_T4_T5_mT6_T7_P12ihipStream_tbENKUlT_T0_E_clISt17integral_constantIbLb1EES10_IbLb0EEEEDaSW_SX_EUlSW_E_NS1_11comp_targetILNS1_3genE3ELNS1_11target_archE908ELNS1_3gpuE7ELNS1_3repE0EEENS1_30default_config_static_selectorELNS0_4arch9wavefront6targetE0EEEvT1_.uses_vcc, 0
	.set _ZN7rocprim17ROCPRIM_400000_NS6detail17trampoline_kernelINS0_14default_configENS1_27scan_by_key_config_selectorIiyEEZZNS1_16scan_by_key_implILNS1_25lookback_scan_determinismE0ELb0ES3_N6thrust23THRUST_200600_302600_NS6detail15normal_iteratorINS9_10device_ptrIiEEEENSB_INSC_IyEEEESG_yNS9_4plusIvEENS9_8equal_toIvEEyEE10hipError_tPvRmT2_T3_T4_T5_mT6_T7_P12ihipStream_tbENKUlT_T0_E_clISt17integral_constantIbLb1EES10_IbLb0EEEEDaSW_SX_EUlSW_E_NS1_11comp_targetILNS1_3genE3ELNS1_11target_archE908ELNS1_3gpuE7ELNS1_3repE0EEENS1_30default_config_static_selectorELNS0_4arch9wavefront6targetE0EEEvT1_.uses_flat_scratch, 0
	.set _ZN7rocprim17ROCPRIM_400000_NS6detail17trampoline_kernelINS0_14default_configENS1_27scan_by_key_config_selectorIiyEEZZNS1_16scan_by_key_implILNS1_25lookback_scan_determinismE0ELb0ES3_N6thrust23THRUST_200600_302600_NS6detail15normal_iteratorINS9_10device_ptrIiEEEENSB_INSC_IyEEEESG_yNS9_4plusIvEENS9_8equal_toIvEEyEE10hipError_tPvRmT2_T3_T4_T5_mT6_T7_P12ihipStream_tbENKUlT_T0_E_clISt17integral_constantIbLb1EES10_IbLb0EEEEDaSW_SX_EUlSW_E_NS1_11comp_targetILNS1_3genE3ELNS1_11target_archE908ELNS1_3gpuE7ELNS1_3repE0EEENS1_30default_config_static_selectorELNS0_4arch9wavefront6targetE0EEEvT1_.has_dyn_sized_stack, 0
	.set _ZN7rocprim17ROCPRIM_400000_NS6detail17trampoline_kernelINS0_14default_configENS1_27scan_by_key_config_selectorIiyEEZZNS1_16scan_by_key_implILNS1_25lookback_scan_determinismE0ELb0ES3_N6thrust23THRUST_200600_302600_NS6detail15normal_iteratorINS9_10device_ptrIiEEEENSB_INSC_IyEEEESG_yNS9_4plusIvEENS9_8equal_toIvEEyEE10hipError_tPvRmT2_T3_T4_T5_mT6_T7_P12ihipStream_tbENKUlT_T0_E_clISt17integral_constantIbLb1EES10_IbLb0EEEEDaSW_SX_EUlSW_E_NS1_11comp_targetILNS1_3genE3ELNS1_11target_archE908ELNS1_3gpuE7ELNS1_3repE0EEENS1_30default_config_static_selectorELNS0_4arch9wavefront6targetE0EEEvT1_.has_recursion, 0
	.set _ZN7rocprim17ROCPRIM_400000_NS6detail17trampoline_kernelINS0_14default_configENS1_27scan_by_key_config_selectorIiyEEZZNS1_16scan_by_key_implILNS1_25lookback_scan_determinismE0ELb0ES3_N6thrust23THRUST_200600_302600_NS6detail15normal_iteratorINS9_10device_ptrIiEEEENSB_INSC_IyEEEESG_yNS9_4plusIvEENS9_8equal_toIvEEyEE10hipError_tPvRmT2_T3_T4_T5_mT6_T7_P12ihipStream_tbENKUlT_T0_E_clISt17integral_constantIbLb1EES10_IbLb0EEEEDaSW_SX_EUlSW_E_NS1_11comp_targetILNS1_3genE3ELNS1_11target_archE908ELNS1_3gpuE7ELNS1_3repE0EEENS1_30default_config_static_selectorELNS0_4arch9wavefront6targetE0EEEvT1_.has_indirect_call, 0
	.section	.AMDGPU.csdata,"",@progbits
; Kernel info:
; codeLenInByte = 0
; TotalNumSgprs: 0
; NumVgprs: 0
; ScratchSize: 0
; MemoryBound: 0
; FloatMode: 240
; IeeeMode: 1
; LDSByteSize: 0 bytes/workgroup (compile time only)
; SGPRBlocks: 0
; VGPRBlocks: 0
; NumSGPRsForWavesPerEU: 1
; NumVGPRsForWavesPerEU: 1
; NamedBarCnt: 0
; Occupancy: 16
; WaveLimiterHint : 0
; COMPUTE_PGM_RSRC2:SCRATCH_EN: 0
; COMPUTE_PGM_RSRC2:USER_SGPR: 2
; COMPUTE_PGM_RSRC2:TRAP_HANDLER: 0
; COMPUTE_PGM_RSRC2:TGID_X_EN: 1
; COMPUTE_PGM_RSRC2:TGID_Y_EN: 0
; COMPUTE_PGM_RSRC2:TGID_Z_EN: 0
; COMPUTE_PGM_RSRC2:TIDIG_COMP_CNT: 0
	.section	.text._ZN7rocprim17ROCPRIM_400000_NS6detail17trampoline_kernelINS0_14default_configENS1_27scan_by_key_config_selectorIiyEEZZNS1_16scan_by_key_implILNS1_25lookback_scan_determinismE0ELb0ES3_N6thrust23THRUST_200600_302600_NS6detail15normal_iteratorINS9_10device_ptrIiEEEENSB_INSC_IyEEEESG_yNS9_4plusIvEENS9_8equal_toIvEEyEE10hipError_tPvRmT2_T3_T4_T5_mT6_T7_P12ihipStream_tbENKUlT_T0_E_clISt17integral_constantIbLb1EES10_IbLb0EEEEDaSW_SX_EUlSW_E_NS1_11comp_targetILNS1_3genE2ELNS1_11target_archE906ELNS1_3gpuE6ELNS1_3repE0EEENS1_30default_config_static_selectorELNS0_4arch9wavefront6targetE0EEEvT1_,"axG",@progbits,_ZN7rocprim17ROCPRIM_400000_NS6detail17trampoline_kernelINS0_14default_configENS1_27scan_by_key_config_selectorIiyEEZZNS1_16scan_by_key_implILNS1_25lookback_scan_determinismE0ELb0ES3_N6thrust23THRUST_200600_302600_NS6detail15normal_iteratorINS9_10device_ptrIiEEEENSB_INSC_IyEEEESG_yNS9_4plusIvEENS9_8equal_toIvEEyEE10hipError_tPvRmT2_T3_T4_T5_mT6_T7_P12ihipStream_tbENKUlT_T0_E_clISt17integral_constantIbLb1EES10_IbLb0EEEEDaSW_SX_EUlSW_E_NS1_11comp_targetILNS1_3genE2ELNS1_11target_archE906ELNS1_3gpuE6ELNS1_3repE0EEENS1_30default_config_static_selectorELNS0_4arch9wavefront6targetE0EEEvT1_,comdat
	.protected	_ZN7rocprim17ROCPRIM_400000_NS6detail17trampoline_kernelINS0_14default_configENS1_27scan_by_key_config_selectorIiyEEZZNS1_16scan_by_key_implILNS1_25lookback_scan_determinismE0ELb0ES3_N6thrust23THRUST_200600_302600_NS6detail15normal_iteratorINS9_10device_ptrIiEEEENSB_INSC_IyEEEESG_yNS9_4plusIvEENS9_8equal_toIvEEyEE10hipError_tPvRmT2_T3_T4_T5_mT6_T7_P12ihipStream_tbENKUlT_T0_E_clISt17integral_constantIbLb1EES10_IbLb0EEEEDaSW_SX_EUlSW_E_NS1_11comp_targetILNS1_3genE2ELNS1_11target_archE906ELNS1_3gpuE6ELNS1_3repE0EEENS1_30default_config_static_selectorELNS0_4arch9wavefront6targetE0EEEvT1_ ; -- Begin function _ZN7rocprim17ROCPRIM_400000_NS6detail17trampoline_kernelINS0_14default_configENS1_27scan_by_key_config_selectorIiyEEZZNS1_16scan_by_key_implILNS1_25lookback_scan_determinismE0ELb0ES3_N6thrust23THRUST_200600_302600_NS6detail15normal_iteratorINS9_10device_ptrIiEEEENSB_INSC_IyEEEESG_yNS9_4plusIvEENS9_8equal_toIvEEyEE10hipError_tPvRmT2_T3_T4_T5_mT6_T7_P12ihipStream_tbENKUlT_T0_E_clISt17integral_constantIbLb1EES10_IbLb0EEEEDaSW_SX_EUlSW_E_NS1_11comp_targetILNS1_3genE2ELNS1_11target_archE906ELNS1_3gpuE6ELNS1_3repE0EEENS1_30default_config_static_selectorELNS0_4arch9wavefront6targetE0EEEvT1_
	.globl	_ZN7rocprim17ROCPRIM_400000_NS6detail17trampoline_kernelINS0_14default_configENS1_27scan_by_key_config_selectorIiyEEZZNS1_16scan_by_key_implILNS1_25lookback_scan_determinismE0ELb0ES3_N6thrust23THRUST_200600_302600_NS6detail15normal_iteratorINS9_10device_ptrIiEEEENSB_INSC_IyEEEESG_yNS9_4plusIvEENS9_8equal_toIvEEyEE10hipError_tPvRmT2_T3_T4_T5_mT6_T7_P12ihipStream_tbENKUlT_T0_E_clISt17integral_constantIbLb1EES10_IbLb0EEEEDaSW_SX_EUlSW_E_NS1_11comp_targetILNS1_3genE2ELNS1_11target_archE906ELNS1_3gpuE6ELNS1_3repE0EEENS1_30default_config_static_selectorELNS0_4arch9wavefront6targetE0EEEvT1_
	.p2align	8
	.type	_ZN7rocprim17ROCPRIM_400000_NS6detail17trampoline_kernelINS0_14default_configENS1_27scan_by_key_config_selectorIiyEEZZNS1_16scan_by_key_implILNS1_25lookback_scan_determinismE0ELb0ES3_N6thrust23THRUST_200600_302600_NS6detail15normal_iteratorINS9_10device_ptrIiEEEENSB_INSC_IyEEEESG_yNS9_4plusIvEENS9_8equal_toIvEEyEE10hipError_tPvRmT2_T3_T4_T5_mT6_T7_P12ihipStream_tbENKUlT_T0_E_clISt17integral_constantIbLb1EES10_IbLb0EEEEDaSW_SX_EUlSW_E_NS1_11comp_targetILNS1_3genE2ELNS1_11target_archE906ELNS1_3gpuE6ELNS1_3repE0EEENS1_30default_config_static_selectorELNS0_4arch9wavefront6targetE0EEEvT1_,@function
_ZN7rocprim17ROCPRIM_400000_NS6detail17trampoline_kernelINS0_14default_configENS1_27scan_by_key_config_selectorIiyEEZZNS1_16scan_by_key_implILNS1_25lookback_scan_determinismE0ELb0ES3_N6thrust23THRUST_200600_302600_NS6detail15normal_iteratorINS9_10device_ptrIiEEEENSB_INSC_IyEEEESG_yNS9_4plusIvEENS9_8equal_toIvEEyEE10hipError_tPvRmT2_T3_T4_T5_mT6_T7_P12ihipStream_tbENKUlT_T0_E_clISt17integral_constantIbLb1EES10_IbLb0EEEEDaSW_SX_EUlSW_E_NS1_11comp_targetILNS1_3genE2ELNS1_11target_archE906ELNS1_3gpuE6ELNS1_3repE0EEENS1_30default_config_static_selectorELNS0_4arch9wavefront6targetE0EEEvT1_: ; @_ZN7rocprim17ROCPRIM_400000_NS6detail17trampoline_kernelINS0_14default_configENS1_27scan_by_key_config_selectorIiyEEZZNS1_16scan_by_key_implILNS1_25lookback_scan_determinismE0ELb0ES3_N6thrust23THRUST_200600_302600_NS6detail15normal_iteratorINS9_10device_ptrIiEEEENSB_INSC_IyEEEESG_yNS9_4plusIvEENS9_8equal_toIvEEyEE10hipError_tPvRmT2_T3_T4_T5_mT6_T7_P12ihipStream_tbENKUlT_T0_E_clISt17integral_constantIbLb1EES10_IbLb0EEEEDaSW_SX_EUlSW_E_NS1_11comp_targetILNS1_3genE2ELNS1_11target_archE906ELNS1_3gpuE6ELNS1_3repE0EEENS1_30default_config_static_selectorELNS0_4arch9wavefront6targetE0EEEvT1_
; %bb.0:
	.section	.rodata,"a",@progbits
	.p2align	6, 0x0
	.amdhsa_kernel _ZN7rocprim17ROCPRIM_400000_NS6detail17trampoline_kernelINS0_14default_configENS1_27scan_by_key_config_selectorIiyEEZZNS1_16scan_by_key_implILNS1_25lookback_scan_determinismE0ELb0ES3_N6thrust23THRUST_200600_302600_NS6detail15normal_iteratorINS9_10device_ptrIiEEEENSB_INSC_IyEEEESG_yNS9_4plusIvEENS9_8equal_toIvEEyEE10hipError_tPvRmT2_T3_T4_T5_mT6_T7_P12ihipStream_tbENKUlT_T0_E_clISt17integral_constantIbLb1EES10_IbLb0EEEEDaSW_SX_EUlSW_E_NS1_11comp_targetILNS1_3genE2ELNS1_11target_archE906ELNS1_3gpuE6ELNS1_3repE0EEENS1_30default_config_static_selectorELNS0_4arch9wavefront6targetE0EEEvT1_
		.amdhsa_group_segment_fixed_size 0
		.amdhsa_private_segment_fixed_size 0
		.amdhsa_kernarg_size 136
		.amdhsa_user_sgpr_count 2
		.amdhsa_user_sgpr_dispatch_ptr 0
		.amdhsa_user_sgpr_queue_ptr 0
		.amdhsa_user_sgpr_kernarg_segment_ptr 1
		.amdhsa_user_sgpr_dispatch_id 0
		.amdhsa_user_sgpr_kernarg_preload_length 0
		.amdhsa_user_sgpr_kernarg_preload_offset 0
		.amdhsa_user_sgpr_private_segment_size 0
		.amdhsa_wavefront_size32 1
		.amdhsa_uses_dynamic_stack 0
		.amdhsa_enable_private_segment 0
		.amdhsa_system_sgpr_workgroup_id_x 1
		.amdhsa_system_sgpr_workgroup_id_y 0
		.amdhsa_system_sgpr_workgroup_id_z 0
		.amdhsa_system_sgpr_workgroup_info 0
		.amdhsa_system_vgpr_workitem_id 0
		.amdhsa_next_free_vgpr 1
		.amdhsa_next_free_sgpr 1
		.amdhsa_named_barrier_count 0
		.amdhsa_reserve_vcc 0
		.amdhsa_float_round_mode_32 0
		.amdhsa_float_round_mode_16_64 0
		.amdhsa_float_denorm_mode_32 3
		.amdhsa_float_denorm_mode_16_64 3
		.amdhsa_fp16_overflow 0
		.amdhsa_memory_ordered 1
		.amdhsa_forward_progress 1
		.amdhsa_inst_pref_size 0
		.amdhsa_round_robin_scheduling 0
		.amdhsa_exception_fp_ieee_invalid_op 0
		.amdhsa_exception_fp_denorm_src 0
		.amdhsa_exception_fp_ieee_div_zero 0
		.amdhsa_exception_fp_ieee_overflow 0
		.amdhsa_exception_fp_ieee_underflow 0
		.amdhsa_exception_fp_ieee_inexact 0
		.amdhsa_exception_int_div_zero 0
	.end_amdhsa_kernel
	.section	.text._ZN7rocprim17ROCPRIM_400000_NS6detail17trampoline_kernelINS0_14default_configENS1_27scan_by_key_config_selectorIiyEEZZNS1_16scan_by_key_implILNS1_25lookback_scan_determinismE0ELb0ES3_N6thrust23THRUST_200600_302600_NS6detail15normal_iteratorINS9_10device_ptrIiEEEENSB_INSC_IyEEEESG_yNS9_4plusIvEENS9_8equal_toIvEEyEE10hipError_tPvRmT2_T3_T4_T5_mT6_T7_P12ihipStream_tbENKUlT_T0_E_clISt17integral_constantIbLb1EES10_IbLb0EEEEDaSW_SX_EUlSW_E_NS1_11comp_targetILNS1_3genE2ELNS1_11target_archE906ELNS1_3gpuE6ELNS1_3repE0EEENS1_30default_config_static_selectorELNS0_4arch9wavefront6targetE0EEEvT1_,"axG",@progbits,_ZN7rocprim17ROCPRIM_400000_NS6detail17trampoline_kernelINS0_14default_configENS1_27scan_by_key_config_selectorIiyEEZZNS1_16scan_by_key_implILNS1_25lookback_scan_determinismE0ELb0ES3_N6thrust23THRUST_200600_302600_NS6detail15normal_iteratorINS9_10device_ptrIiEEEENSB_INSC_IyEEEESG_yNS9_4plusIvEENS9_8equal_toIvEEyEE10hipError_tPvRmT2_T3_T4_T5_mT6_T7_P12ihipStream_tbENKUlT_T0_E_clISt17integral_constantIbLb1EES10_IbLb0EEEEDaSW_SX_EUlSW_E_NS1_11comp_targetILNS1_3genE2ELNS1_11target_archE906ELNS1_3gpuE6ELNS1_3repE0EEENS1_30default_config_static_selectorELNS0_4arch9wavefront6targetE0EEEvT1_,comdat
.Lfunc_end1203:
	.size	_ZN7rocprim17ROCPRIM_400000_NS6detail17trampoline_kernelINS0_14default_configENS1_27scan_by_key_config_selectorIiyEEZZNS1_16scan_by_key_implILNS1_25lookback_scan_determinismE0ELb0ES3_N6thrust23THRUST_200600_302600_NS6detail15normal_iteratorINS9_10device_ptrIiEEEENSB_INSC_IyEEEESG_yNS9_4plusIvEENS9_8equal_toIvEEyEE10hipError_tPvRmT2_T3_T4_T5_mT6_T7_P12ihipStream_tbENKUlT_T0_E_clISt17integral_constantIbLb1EES10_IbLb0EEEEDaSW_SX_EUlSW_E_NS1_11comp_targetILNS1_3genE2ELNS1_11target_archE906ELNS1_3gpuE6ELNS1_3repE0EEENS1_30default_config_static_selectorELNS0_4arch9wavefront6targetE0EEEvT1_, .Lfunc_end1203-_ZN7rocprim17ROCPRIM_400000_NS6detail17trampoline_kernelINS0_14default_configENS1_27scan_by_key_config_selectorIiyEEZZNS1_16scan_by_key_implILNS1_25lookback_scan_determinismE0ELb0ES3_N6thrust23THRUST_200600_302600_NS6detail15normal_iteratorINS9_10device_ptrIiEEEENSB_INSC_IyEEEESG_yNS9_4plusIvEENS9_8equal_toIvEEyEE10hipError_tPvRmT2_T3_T4_T5_mT6_T7_P12ihipStream_tbENKUlT_T0_E_clISt17integral_constantIbLb1EES10_IbLb0EEEEDaSW_SX_EUlSW_E_NS1_11comp_targetILNS1_3genE2ELNS1_11target_archE906ELNS1_3gpuE6ELNS1_3repE0EEENS1_30default_config_static_selectorELNS0_4arch9wavefront6targetE0EEEvT1_
                                        ; -- End function
	.set _ZN7rocprim17ROCPRIM_400000_NS6detail17trampoline_kernelINS0_14default_configENS1_27scan_by_key_config_selectorIiyEEZZNS1_16scan_by_key_implILNS1_25lookback_scan_determinismE0ELb0ES3_N6thrust23THRUST_200600_302600_NS6detail15normal_iteratorINS9_10device_ptrIiEEEENSB_INSC_IyEEEESG_yNS9_4plusIvEENS9_8equal_toIvEEyEE10hipError_tPvRmT2_T3_T4_T5_mT6_T7_P12ihipStream_tbENKUlT_T0_E_clISt17integral_constantIbLb1EES10_IbLb0EEEEDaSW_SX_EUlSW_E_NS1_11comp_targetILNS1_3genE2ELNS1_11target_archE906ELNS1_3gpuE6ELNS1_3repE0EEENS1_30default_config_static_selectorELNS0_4arch9wavefront6targetE0EEEvT1_.num_vgpr, 0
	.set _ZN7rocprim17ROCPRIM_400000_NS6detail17trampoline_kernelINS0_14default_configENS1_27scan_by_key_config_selectorIiyEEZZNS1_16scan_by_key_implILNS1_25lookback_scan_determinismE0ELb0ES3_N6thrust23THRUST_200600_302600_NS6detail15normal_iteratorINS9_10device_ptrIiEEEENSB_INSC_IyEEEESG_yNS9_4plusIvEENS9_8equal_toIvEEyEE10hipError_tPvRmT2_T3_T4_T5_mT6_T7_P12ihipStream_tbENKUlT_T0_E_clISt17integral_constantIbLb1EES10_IbLb0EEEEDaSW_SX_EUlSW_E_NS1_11comp_targetILNS1_3genE2ELNS1_11target_archE906ELNS1_3gpuE6ELNS1_3repE0EEENS1_30default_config_static_selectorELNS0_4arch9wavefront6targetE0EEEvT1_.num_agpr, 0
	.set _ZN7rocprim17ROCPRIM_400000_NS6detail17trampoline_kernelINS0_14default_configENS1_27scan_by_key_config_selectorIiyEEZZNS1_16scan_by_key_implILNS1_25lookback_scan_determinismE0ELb0ES3_N6thrust23THRUST_200600_302600_NS6detail15normal_iteratorINS9_10device_ptrIiEEEENSB_INSC_IyEEEESG_yNS9_4plusIvEENS9_8equal_toIvEEyEE10hipError_tPvRmT2_T3_T4_T5_mT6_T7_P12ihipStream_tbENKUlT_T0_E_clISt17integral_constantIbLb1EES10_IbLb0EEEEDaSW_SX_EUlSW_E_NS1_11comp_targetILNS1_3genE2ELNS1_11target_archE906ELNS1_3gpuE6ELNS1_3repE0EEENS1_30default_config_static_selectorELNS0_4arch9wavefront6targetE0EEEvT1_.numbered_sgpr, 0
	.set _ZN7rocprim17ROCPRIM_400000_NS6detail17trampoline_kernelINS0_14default_configENS1_27scan_by_key_config_selectorIiyEEZZNS1_16scan_by_key_implILNS1_25lookback_scan_determinismE0ELb0ES3_N6thrust23THRUST_200600_302600_NS6detail15normal_iteratorINS9_10device_ptrIiEEEENSB_INSC_IyEEEESG_yNS9_4plusIvEENS9_8equal_toIvEEyEE10hipError_tPvRmT2_T3_T4_T5_mT6_T7_P12ihipStream_tbENKUlT_T0_E_clISt17integral_constantIbLb1EES10_IbLb0EEEEDaSW_SX_EUlSW_E_NS1_11comp_targetILNS1_3genE2ELNS1_11target_archE906ELNS1_3gpuE6ELNS1_3repE0EEENS1_30default_config_static_selectorELNS0_4arch9wavefront6targetE0EEEvT1_.num_named_barrier, 0
	.set _ZN7rocprim17ROCPRIM_400000_NS6detail17trampoline_kernelINS0_14default_configENS1_27scan_by_key_config_selectorIiyEEZZNS1_16scan_by_key_implILNS1_25lookback_scan_determinismE0ELb0ES3_N6thrust23THRUST_200600_302600_NS6detail15normal_iteratorINS9_10device_ptrIiEEEENSB_INSC_IyEEEESG_yNS9_4plusIvEENS9_8equal_toIvEEyEE10hipError_tPvRmT2_T3_T4_T5_mT6_T7_P12ihipStream_tbENKUlT_T0_E_clISt17integral_constantIbLb1EES10_IbLb0EEEEDaSW_SX_EUlSW_E_NS1_11comp_targetILNS1_3genE2ELNS1_11target_archE906ELNS1_3gpuE6ELNS1_3repE0EEENS1_30default_config_static_selectorELNS0_4arch9wavefront6targetE0EEEvT1_.private_seg_size, 0
	.set _ZN7rocprim17ROCPRIM_400000_NS6detail17trampoline_kernelINS0_14default_configENS1_27scan_by_key_config_selectorIiyEEZZNS1_16scan_by_key_implILNS1_25lookback_scan_determinismE0ELb0ES3_N6thrust23THRUST_200600_302600_NS6detail15normal_iteratorINS9_10device_ptrIiEEEENSB_INSC_IyEEEESG_yNS9_4plusIvEENS9_8equal_toIvEEyEE10hipError_tPvRmT2_T3_T4_T5_mT6_T7_P12ihipStream_tbENKUlT_T0_E_clISt17integral_constantIbLb1EES10_IbLb0EEEEDaSW_SX_EUlSW_E_NS1_11comp_targetILNS1_3genE2ELNS1_11target_archE906ELNS1_3gpuE6ELNS1_3repE0EEENS1_30default_config_static_selectorELNS0_4arch9wavefront6targetE0EEEvT1_.uses_vcc, 0
	.set _ZN7rocprim17ROCPRIM_400000_NS6detail17trampoline_kernelINS0_14default_configENS1_27scan_by_key_config_selectorIiyEEZZNS1_16scan_by_key_implILNS1_25lookback_scan_determinismE0ELb0ES3_N6thrust23THRUST_200600_302600_NS6detail15normal_iteratorINS9_10device_ptrIiEEEENSB_INSC_IyEEEESG_yNS9_4plusIvEENS9_8equal_toIvEEyEE10hipError_tPvRmT2_T3_T4_T5_mT6_T7_P12ihipStream_tbENKUlT_T0_E_clISt17integral_constantIbLb1EES10_IbLb0EEEEDaSW_SX_EUlSW_E_NS1_11comp_targetILNS1_3genE2ELNS1_11target_archE906ELNS1_3gpuE6ELNS1_3repE0EEENS1_30default_config_static_selectorELNS0_4arch9wavefront6targetE0EEEvT1_.uses_flat_scratch, 0
	.set _ZN7rocprim17ROCPRIM_400000_NS6detail17trampoline_kernelINS0_14default_configENS1_27scan_by_key_config_selectorIiyEEZZNS1_16scan_by_key_implILNS1_25lookback_scan_determinismE0ELb0ES3_N6thrust23THRUST_200600_302600_NS6detail15normal_iteratorINS9_10device_ptrIiEEEENSB_INSC_IyEEEESG_yNS9_4plusIvEENS9_8equal_toIvEEyEE10hipError_tPvRmT2_T3_T4_T5_mT6_T7_P12ihipStream_tbENKUlT_T0_E_clISt17integral_constantIbLb1EES10_IbLb0EEEEDaSW_SX_EUlSW_E_NS1_11comp_targetILNS1_3genE2ELNS1_11target_archE906ELNS1_3gpuE6ELNS1_3repE0EEENS1_30default_config_static_selectorELNS0_4arch9wavefront6targetE0EEEvT1_.has_dyn_sized_stack, 0
	.set _ZN7rocprim17ROCPRIM_400000_NS6detail17trampoline_kernelINS0_14default_configENS1_27scan_by_key_config_selectorIiyEEZZNS1_16scan_by_key_implILNS1_25lookback_scan_determinismE0ELb0ES3_N6thrust23THRUST_200600_302600_NS6detail15normal_iteratorINS9_10device_ptrIiEEEENSB_INSC_IyEEEESG_yNS9_4plusIvEENS9_8equal_toIvEEyEE10hipError_tPvRmT2_T3_T4_T5_mT6_T7_P12ihipStream_tbENKUlT_T0_E_clISt17integral_constantIbLb1EES10_IbLb0EEEEDaSW_SX_EUlSW_E_NS1_11comp_targetILNS1_3genE2ELNS1_11target_archE906ELNS1_3gpuE6ELNS1_3repE0EEENS1_30default_config_static_selectorELNS0_4arch9wavefront6targetE0EEEvT1_.has_recursion, 0
	.set _ZN7rocprim17ROCPRIM_400000_NS6detail17trampoline_kernelINS0_14default_configENS1_27scan_by_key_config_selectorIiyEEZZNS1_16scan_by_key_implILNS1_25lookback_scan_determinismE0ELb0ES3_N6thrust23THRUST_200600_302600_NS6detail15normal_iteratorINS9_10device_ptrIiEEEENSB_INSC_IyEEEESG_yNS9_4plusIvEENS9_8equal_toIvEEyEE10hipError_tPvRmT2_T3_T4_T5_mT6_T7_P12ihipStream_tbENKUlT_T0_E_clISt17integral_constantIbLb1EES10_IbLb0EEEEDaSW_SX_EUlSW_E_NS1_11comp_targetILNS1_3genE2ELNS1_11target_archE906ELNS1_3gpuE6ELNS1_3repE0EEENS1_30default_config_static_selectorELNS0_4arch9wavefront6targetE0EEEvT1_.has_indirect_call, 0
	.section	.AMDGPU.csdata,"",@progbits
; Kernel info:
; codeLenInByte = 0
; TotalNumSgprs: 0
; NumVgprs: 0
; ScratchSize: 0
; MemoryBound: 0
; FloatMode: 240
; IeeeMode: 1
; LDSByteSize: 0 bytes/workgroup (compile time only)
; SGPRBlocks: 0
; VGPRBlocks: 0
; NumSGPRsForWavesPerEU: 1
; NumVGPRsForWavesPerEU: 1
; NamedBarCnt: 0
; Occupancy: 16
; WaveLimiterHint : 0
; COMPUTE_PGM_RSRC2:SCRATCH_EN: 0
; COMPUTE_PGM_RSRC2:USER_SGPR: 2
; COMPUTE_PGM_RSRC2:TRAP_HANDLER: 0
; COMPUTE_PGM_RSRC2:TGID_X_EN: 1
; COMPUTE_PGM_RSRC2:TGID_Y_EN: 0
; COMPUTE_PGM_RSRC2:TGID_Z_EN: 0
; COMPUTE_PGM_RSRC2:TIDIG_COMP_CNT: 0
	.section	.text._ZN7rocprim17ROCPRIM_400000_NS6detail17trampoline_kernelINS0_14default_configENS1_27scan_by_key_config_selectorIiyEEZZNS1_16scan_by_key_implILNS1_25lookback_scan_determinismE0ELb0ES3_N6thrust23THRUST_200600_302600_NS6detail15normal_iteratorINS9_10device_ptrIiEEEENSB_INSC_IyEEEESG_yNS9_4plusIvEENS9_8equal_toIvEEyEE10hipError_tPvRmT2_T3_T4_T5_mT6_T7_P12ihipStream_tbENKUlT_T0_E_clISt17integral_constantIbLb1EES10_IbLb0EEEEDaSW_SX_EUlSW_E_NS1_11comp_targetILNS1_3genE10ELNS1_11target_archE1200ELNS1_3gpuE4ELNS1_3repE0EEENS1_30default_config_static_selectorELNS0_4arch9wavefront6targetE0EEEvT1_,"axG",@progbits,_ZN7rocprim17ROCPRIM_400000_NS6detail17trampoline_kernelINS0_14default_configENS1_27scan_by_key_config_selectorIiyEEZZNS1_16scan_by_key_implILNS1_25lookback_scan_determinismE0ELb0ES3_N6thrust23THRUST_200600_302600_NS6detail15normal_iteratorINS9_10device_ptrIiEEEENSB_INSC_IyEEEESG_yNS9_4plusIvEENS9_8equal_toIvEEyEE10hipError_tPvRmT2_T3_T4_T5_mT6_T7_P12ihipStream_tbENKUlT_T0_E_clISt17integral_constantIbLb1EES10_IbLb0EEEEDaSW_SX_EUlSW_E_NS1_11comp_targetILNS1_3genE10ELNS1_11target_archE1200ELNS1_3gpuE4ELNS1_3repE0EEENS1_30default_config_static_selectorELNS0_4arch9wavefront6targetE0EEEvT1_,comdat
	.protected	_ZN7rocprim17ROCPRIM_400000_NS6detail17trampoline_kernelINS0_14default_configENS1_27scan_by_key_config_selectorIiyEEZZNS1_16scan_by_key_implILNS1_25lookback_scan_determinismE0ELb0ES3_N6thrust23THRUST_200600_302600_NS6detail15normal_iteratorINS9_10device_ptrIiEEEENSB_INSC_IyEEEESG_yNS9_4plusIvEENS9_8equal_toIvEEyEE10hipError_tPvRmT2_T3_T4_T5_mT6_T7_P12ihipStream_tbENKUlT_T0_E_clISt17integral_constantIbLb1EES10_IbLb0EEEEDaSW_SX_EUlSW_E_NS1_11comp_targetILNS1_3genE10ELNS1_11target_archE1200ELNS1_3gpuE4ELNS1_3repE0EEENS1_30default_config_static_selectorELNS0_4arch9wavefront6targetE0EEEvT1_ ; -- Begin function _ZN7rocprim17ROCPRIM_400000_NS6detail17trampoline_kernelINS0_14default_configENS1_27scan_by_key_config_selectorIiyEEZZNS1_16scan_by_key_implILNS1_25lookback_scan_determinismE0ELb0ES3_N6thrust23THRUST_200600_302600_NS6detail15normal_iteratorINS9_10device_ptrIiEEEENSB_INSC_IyEEEESG_yNS9_4plusIvEENS9_8equal_toIvEEyEE10hipError_tPvRmT2_T3_T4_T5_mT6_T7_P12ihipStream_tbENKUlT_T0_E_clISt17integral_constantIbLb1EES10_IbLb0EEEEDaSW_SX_EUlSW_E_NS1_11comp_targetILNS1_3genE10ELNS1_11target_archE1200ELNS1_3gpuE4ELNS1_3repE0EEENS1_30default_config_static_selectorELNS0_4arch9wavefront6targetE0EEEvT1_
	.globl	_ZN7rocprim17ROCPRIM_400000_NS6detail17trampoline_kernelINS0_14default_configENS1_27scan_by_key_config_selectorIiyEEZZNS1_16scan_by_key_implILNS1_25lookback_scan_determinismE0ELb0ES3_N6thrust23THRUST_200600_302600_NS6detail15normal_iteratorINS9_10device_ptrIiEEEENSB_INSC_IyEEEESG_yNS9_4plusIvEENS9_8equal_toIvEEyEE10hipError_tPvRmT2_T3_T4_T5_mT6_T7_P12ihipStream_tbENKUlT_T0_E_clISt17integral_constantIbLb1EES10_IbLb0EEEEDaSW_SX_EUlSW_E_NS1_11comp_targetILNS1_3genE10ELNS1_11target_archE1200ELNS1_3gpuE4ELNS1_3repE0EEENS1_30default_config_static_selectorELNS0_4arch9wavefront6targetE0EEEvT1_
	.p2align	8
	.type	_ZN7rocprim17ROCPRIM_400000_NS6detail17trampoline_kernelINS0_14default_configENS1_27scan_by_key_config_selectorIiyEEZZNS1_16scan_by_key_implILNS1_25lookback_scan_determinismE0ELb0ES3_N6thrust23THRUST_200600_302600_NS6detail15normal_iteratorINS9_10device_ptrIiEEEENSB_INSC_IyEEEESG_yNS9_4plusIvEENS9_8equal_toIvEEyEE10hipError_tPvRmT2_T3_T4_T5_mT6_T7_P12ihipStream_tbENKUlT_T0_E_clISt17integral_constantIbLb1EES10_IbLb0EEEEDaSW_SX_EUlSW_E_NS1_11comp_targetILNS1_3genE10ELNS1_11target_archE1200ELNS1_3gpuE4ELNS1_3repE0EEENS1_30default_config_static_selectorELNS0_4arch9wavefront6targetE0EEEvT1_,@function
_ZN7rocprim17ROCPRIM_400000_NS6detail17trampoline_kernelINS0_14default_configENS1_27scan_by_key_config_selectorIiyEEZZNS1_16scan_by_key_implILNS1_25lookback_scan_determinismE0ELb0ES3_N6thrust23THRUST_200600_302600_NS6detail15normal_iteratorINS9_10device_ptrIiEEEENSB_INSC_IyEEEESG_yNS9_4plusIvEENS9_8equal_toIvEEyEE10hipError_tPvRmT2_T3_T4_T5_mT6_T7_P12ihipStream_tbENKUlT_T0_E_clISt17integral_constantIbLb1EES10_IbLb0EEEEDaSW_SX_EUlSW_E_NS1_11comp_targetILNS1_3genE10ELNS1_11target_archE1200ELNS1_3gpuE4ELNS1_3repE0EEENS1_30default_config_static_selectorELNS0_4arch9wavefront6targetE0EEEvT1_: ; @_ZN7rocprim17ROCPRIM_400000_NS6detail17trampoline_kernelINS0_14default_configENS1_27scan_by_key_config_selectorIiyEEZZNS1_16scan_by_key_implILNS1_25lookback_scan_determinismE0ELb0ES3_N6thrust23THRUST_200600_302600_NS6detail15normal_iteratorINS9_10device_ptrIiEEEENSB_INSC_IyEEEESG_yNS9_4plusIvEENS9_8equal_toIvEEyEE10hipError_tPvRmT2_T3_T4_T5_mT6_T7_P12ihipStream_tbENKUlT_T0_E_clISt17integral_constantIbLb1EES10_IbLb0EEEEDaSW_SX_EUlSW_E_NS1_11comp_targetILNS1_3genE10ELNS1_11target_archE1200ELNS1_3gpuE4ELNS1_3repE0EEENS1_30default_config_static_selectorELNS0_4arch9wavefront6targetE0EEEvT1_
; %bb.0:
	.section	.rodata,"a",@progbits
	.p2align	6, 0x0
	.amdhsa_kernel _ZN7rocprim17ROCPRIM_400000_NS6detail17trampoline_kernelINS0_14default_configENS1_27scan_by_key_config_selectorIiyEEZZNS1_16scan_by_key_implILNS1_25lookback_scan_determinismE0ELb0ES3_N6thrust23THRUST_200600_302600_NS6detail15normal_iteratorINS9_10device_ptrIiEEEENSB_INSC_IyEEEESG_yNS9_4plusIvEENS9_8equal_toIvEEyEE10hipError_tPvRmT2_T3_T4_T5_mT6_T7_P12ihipStream_tbENKUlT_T0_E_clISt17integral_constantIbLb1EES10_IbLb0EEEEDaSW_SX_EUlSW_E_NS1_11comp_targetILNS1_3genE10ELNS1_11target_archE1200ELNS1_3gpuE4ELNS1_3repE0EEENS1_30default_config_static_selectorELNS0_4arch9wavefront6targetE0EEEvT1_
		.amdhsa_group_segment_fixed_size 0
		.amdhsa_private_segment_fixed_size 0
		.amdhsa_kernarg_size 136
		.amdhsa_user_sgpr_count 2
		.amdhsa_user_sgpr_dispatch_ptr 0
		.amdhsa_user_sgpr_queue_ptr 0
		.amdhsa_user_sgpr_kernarg_segment_ptr 1
		.amdhsa_user_sgpr_dispatch_id 0
		.amdhsa_user_sgpr_kernarg_preload_length 0
		.amdhsa_user_sgpr_kernarg_preload_offset 0
		.amdhsa_user_sgpr_private_segment_size 0
		.amdhsa_wavefront_size32 1
		.amdhsa_uses_dynamic_stack 0
		.amdhsa_enable_private_segment 0
		.amdhsa_system_sgpr_workgroup_id_x 1
		.amdhsa_system_sgpr_workgroup_id_y 0
		.amdhsa_system_sgpr_workgroup_id_z 0
		.amdhsa_system_sgpr_workgroup_info 0
		.amdhsa_system_vgpr_workitem_id 0
		.amdhsa_next_free_vgpr 1
		.amdhsa_next_free_sgpr 1
		.amdhsa_named_barrier_count 0
		.amdhsa_reserve_vcc 0
		.amdhsa_float_round_mode_32 0
		.amdhsa_float_round_mode_16_64 0
		.amdhsa_float_denorm_mode_32 3
		.amdhsa_float_denorm_mode_16_64 3
		.amdhsa_fp16_overflow 0
		.amdhsa_memory_ordered 1
		.amdhsa_forward_progress 1
		.amdhsa_inst_pref_size 0
		.amdhsa_round_robin_scheduling 0
		.amdhsa_exception_fp_ieee_invalid_op 0
		.amdhsa_exception_fp_denorm_src 0
		.amdhsa_exception_fp_ieee_div_zero 0
		.amdhsa_exception_fp_ieee_overflow 0
		.amdhsa_exception_fp_ieee_underflow 0
		.amdhsa_exception_fp_ieee_inexact 0
		.amdhsa_exception_int_div_zero 0
	.end_amdhsa_kernel
	.section	.text._ZN7rocprim17ROCPRIM_400000_NS6detail17trampoline_kernelINS0_14default_configENS1_27scan_by_key_config_selectorIiyEEZZNS1_16scan_by_key_implILNS1_25lookback_scan_determinismE0ELb0ES3_N6thrust23THRUST_200600_302600_NS6detail15normal_iteratorINS9_10device_ptrIiEEEENSB_INSC_IyEEEESG_yNS9_4plusIvEENS9_8equal_toIvEEyEE10hipError_tPvRmT2_T3_T4_T5_mT6_T7_P12ihipStream_tbENKUlT_T0_E_clISt17integral_constantIbLb1EES10_IbLb0EEEEDaSW_SX_EUlSW_E_NS1_11comp_targetILNS1_3genE10ELNS1_11target_archE1200ELNS1_3gpuE4ELNS1_3repE0EEENS1_30default_config_static_selectorELNS0_4arch9wavefront6targetE0EEEvT1_,"axG",@progbits,_ZN7rocprim17ROCPRIM_400000_NS6detail17trampoline_kernelINS0_14default_configENS1_27scan_by_key_config_selectorIiyEEZZNS1_16scan_by_key_implILNS1_25lookback_scan_determinismE0ELb0ES3_N6thrust23THRUST_200600_302600_NS6detail15normal_iteratorINS9_10device_ptrIiEEEENSB_INSC_IyEEEESG_yNS9_4plusIvEENS9_8equal_toIvEEyEE10hipError_tPvRmT2_T3_T4_T5_mT6_T7_P12ihipStream_tbENKUlT_T0_E_clISt17integral_constantIbLb1EES10_IbLb0EEEEDaSW_SX_EUlSW_E_NS1_11comp_targetILNS1_3genE10ELNS1_11target_archE1200ELNS1_3gpuE4ELNS1_3repE0EEENS1_30default_config_static_selectorELNS0_4arch9wavefront6targetE0EEEvT1_,comdat
.Lfunc_end1204:
	.size	_ZN7rocprim17ROCPRIM_400000_NS6detail17trampoline_kernelINS0_14default_configENS1_27scan_by_key_config_selectorIiyEEZZNS1_16scan_by_key_implILNS1_25lookback_scan_determinismE0ELb0ES3_N6thrust23THRUST_200600_302600_NS6detail15normal_iteratorINS9_10device_ptrIiEEEENSB_INSC_IyEEEESG_yNS9_4plusIvEENS9_8equal_toIvEEyEE10hipError_tPvRmT2_T3_T4_T5_mT6_T7_P12ihipStream_tbENKUlT_T0_E_clISt17integral_constantIbLb1EES10_IbLb0EEEEDaSW_SX_EUlSW_E_NS1_11comp_targetILNS1_3genE10ELNS1_11target_archE1200ELNS1_3gpuE4ELNS1_3repE0EEENS1_30default_config_static_selectorELNS0_4arch9wavefront6targetE0EEEvT1_, .Lfunc_end1204-_ZN7rocprim17ROCPRIM_400000_NS6detail17trampoline_kernelINS0_14default_configENS1_27scan_by_key_config_selectorIiyEEZZNS1_16scan_by_key_implILNS1_25lookback_scan_determinismE0ELb0ES3_N6thrust23THRUST_200600_302600_NS6detail15normal_iteratorINS9_10device_ptrIiEEEENSB_INSC_IyEEEESG_yNS9_4plusIvEENS9_8equal_toIvEEyEE10hipError_tPvRmT2_T3_T4_T5_mT6_T7_P12ihipStream_tbENKUlT_T0_E_clISt17integral_constantIbLb1EES10_IbLb0EEEEDaSW_SX_EUlSW_E_NS1_11comp_targetILNS1_3genE10ELNS1_11target_archE1200ELNS1_3gpuE4ELNS1_3repE0EEENS1_30default_config_static_selectorELNS0_4arch9wavefront6targetE0EEEvT1_
                                        ; -- End function
	.set _ZN7rocprim17ROCPRIM_400000_NS6detail17trampoline_kernelINS0_14default_configENS1_27scan_by_key_config_selectorIiyEEZZNS1_16scan_by_key_implILNS1_25lookback_scan_determinismE0ELb0ES3_N6thrust23THRUST_200600_302600_NS6detail15normal_iteratorINS9_10device_ptrIiEEEENSB_INSC_IyEEEESG_yNS9_4plusIvEENS9_8equal_toIvEEyEE10hipError_tPvRmT2_T3_T4_T5_mT6_T7_P12ihipStream_tbENKUlT_T0_E_clISt17integral_constantIbLb1EES10_IbLb0EEEEDaSW_SX_EUlSW_E_NS1_11comp_targetILNS1_3genE10ELNS1_11target_archE1200ELNS1_3gpuE4ELNS1_3repE0EEENS1_30default_config_static_selectorELNS0_4arch9wavefront6targetE0EEEvT1_.num_vgpr, 0
	.set _ZN7rocprim17ROCPRIM_400000_NS6detail17trampoline_kernelINS0_14default_configENS1_27scan_by_key_config_selectorIiyEEZZNS1_16scan_by_key_implILNS1_25lookback_scan_determinismE0ELb0ES3_N6thrust23THRUST_200600_302600_NS6detail15normal_iteratorINS9_10device_ptrIiEEEENSB_INSC_IyEEEESG_yNS9_4plusIvEENS9_8equal_toIvEEyEE10hipError_tPvRmT2_T3_T4_T5_mT6_T7_P12ihipStream_tbENKUlT_T0_E_clISt17integral_constantIbLb1EES10_IbLb0EEEEDaSW_SX_EUlSW_E_NS1_11comp_targetILNS1_3genE10ELNS1_11target_archE1200ELNS1_3gpuE4ELNS1_3repE0EEENS1_30default_config_static_selectorELNS0_4arch9wavefront6targetE0EEEvT1_.num_agpr, 0
	.set _ZN7rocprim17ROCPRIM_400000_NS6detail17trampoline_kernelINS0_14default_configENS1_27scan_by_key_config_selectorIiyEEZZNS1_16scan_by_key_implILNS1_25lookback_scan_determinismE0ELb0ES3_N6thrust23THRUST_200600_302600_NS6detail15normal_iteratorINS9_10device_ptrIiEEEENSB_INSC_IyEEEESG_yNS9_4plusIvEENS9_8equal_toIvEEyEE10hipError_tPvRmT2_T3_T4_T5_mT6_T7_P12ihipStream_tbENKUlT_T0_E_clISt17integral_constantIbLb1EES10_IbLb0EEEEDaSW_SX_EUlSW_E_NS1_11comp_targetILNS1_3genE10ELNS1_11target_archE1200ELNS1_3gpuE4ELNS1_3repE0EEENS1_30default_config_static_selectorELNS0_4arch9wavefront6targetE0EEEvT1_.numbered_sgpr, 0
	.set _ZN7rocprim17ROCPRIM_400000_NS6detail17trampoline_kernelINS0_14default_configENS1_27scan_by_key_config_selectorIiyEEZZNS1_16scan_by_key_implILNS1_25lookback_scan_determinismE0ELb0ES3_N6thrust23THRUST_200600_302600_NS6detail15normal_iteratorINS9_10device_ptrIiEEEENSB_INSC_IyEEEESG_yNS9_4plusIvEENS9_8equal_toIvEEyEE10hipError_tPvRmT2_T3_T4_T5_mT6_T7_P12ihipStream_tbENKUlT_T0_E_clISt17integral_constantIbLb1EES10_IbLb0EEEEDaSW_SX_EUlSW_E_NS1_11comp_targetILNS1_3genE10ELNS1_11target_archE1200ELNS1_3gpuE4ELNS1_3repE0EEENS1_30default_config_static_selectorELNS0_4arch9wavefront6targetE0EEEvT1_.num_named_barrier, 0
	.set _ZN7rocprim17ROCPRIM_400000_NS6detail17trampoline_kernelINS0_14default_configENS1_27scan_by_key_config_selectorIiyEEZZNS1_16scan_by_key_implILNS1_25lookback_scan_determinismE0ELb0ES3_N6thrust23THRUST_200600_302600_NS6detail15normal_iteratorINS9_10device_ptrIiEEEENSB_INSC_IyEEEESG_yNS9_4plusIvEENS9_8equal_toIvEEyEE10hipError_tPvRmT2_T3_T4_T5_mT6_T7_P12ihipStream_tbENKUlT_T0_E_clISt17integral_constantIbLb1EES10_IbLb0EEEEDaSW_SX_EUlSW_E_NS1_11comp_targetILNS1_3genE10ELNS1_11target_archE1200ELNS1_3gpuE4ELNS1_3repE0EEENS1_30default_config_static_selectorELNS0_4arch9wavefront6targetE0EEEvT1_.private_seg_size, 0
	.set _ZN7rocprim17ROCPRIM_400000_NS6detail17trampoline_kernelINS0_14default_configENS1_27scan_by_key_config_selectorIiyEEZZNS1_16scan_by_key_implILNS1_25lookback_scan_determinismE0ELb0ES3_N6thrust23THRUST_200600_302600_NS6detail15normal_iteratorINS9_10device_ptrIiEEEENSB_INSC_IyEEEESG_yNS9_4plusIvEENS9_8equal_toIvEEyEE10hipError_tPvRmT2_T3_T4_T5_mT6_T7_P12ihipStream_tbENKUlT_T0_E_clISt17integral_constantIbLb1EES10_IbLb0EEEEDaSW_SX_EUlSW_E_NS1_11comp_targetILNS1_3genE10ELNS1_11target_archE1200ELNS1_3gpuE4ELNS1_3repE0EEENS1_30default_config_static_selectorELNS0_4arch9wavefront6targetE0EEEvT1_.uses_vcc, 0
	.set _ZN7rocprim17ROCPRIM_400000_NS6detail17trampoline_kernelINS0_14default_configENS1_27scan_by_key_config_selectorIiyEEZZNS1_16scan_by_key_implILNS1_25lookback_scan_determinismE0ELb0ES3_N6thrust23THRUST_200600_302600_NS6detail15normal_iteratorINS9_10device_ptrIiEEEENSB_INSC_IyEEEESG_yNS9_4plusIvEENS9_8equal_toIvEEyEE10hipError_tPvRmT2_T3_T4_T5_mT6_T7_P12ihipStream_tbENKUlT_T0_E_clISt17integral_constantIbLb1EES10_IbLb0EEEEDaSW_SX_EUlSW_E_NS1_11comp_targetILNS1_3genE10ELNS1_11target_archE1200ELNS1_3gpuE4ELNS1_3repE0EEENS1_30default_config_static_selectorELNS0_4arch9wavefront6targetE0EEEvT1_.uses_flat_scratch, 0
	.set _ZN7rocprim17ROCPRIM_400000_NS6detail17trampoline_kernelINS0_14default_configENS1_27scan_by_key_config_selectorIiyEEZZNS1_16scan_by_key_implILNS1_25lookback_scan_determinismE0ELb0ES3_N6thrust23THRUST_200600_302600_NS6detail15normal_iteratorINS9_10device_ptrIiEEEENSB_INSC_IyEEEESG_yNS9_4plusIvEENS9_8equal_toIvEEyEE10hipError_tPvRmT2_T3_T4_T5_mT6_T7_P12ihipStream_tbENKUlT_T0_E_clISt17integral_constantIbLb1EES10_IbLb0EEEEDaSW_SX_EUlSW_E_NS1_11comp_targetILNS1_3genE10ELNS1_11target_archE1200ELNS1_3gpuE4ELNS1_3repE0EEENS1_30default_config_static_selectorELNS0_4arch9wavefront6targetE0EEEvT1_.has_dyn_sized_stack, 0
	.set _ZN7rocprim17ROCPRIM_400000_NS6detail17trampoline_kernelINS0_14default_configENS1_27scan_by_key_config_selectorIiyEEZZNS1_16scan_by_key_implILNS1_25lookback_scan_determinismE0ELb0ES3_N6thrust23THRUST_200600_302600_NS6detail15normal_iteratorINS9_10device_ptrIiEEEENSB_INSC_IyEEEESG_yNS9_4plusIvEENS9_8equal_toIvEEyEE10hipError_tPvRmT2_T3_T4_T5_mT6_T7_P12ihipStream_tbENKUlT_T0_E_clISt17integral_constantIbLb1EES10_IbLb0EEEEDaSW_SX_EUlSW_E_NS1_11comp_targetILNS1_3genE10ELNS1_11target_archE1200ELNS1_3gpuE4ELNS1_3repE0EEENS1_30default_config_static_selectorELNS0_4arch9wavefront6targetE0EEEvT1_.has_recursion, 0
	.set _ZN7rocprim17ROCPRIM_400000_NS6detail17trampoline_kernelINS0_14default_configENS1_27scan_by_key_config_selectorIiyEEZZNS1_16scan_by_key_implILNS1_25lookback_scan_determinismE0ELb0ES3_N6thrust23THRUST_200600_302600_NS6detail15normal_iteratorINS9_10device_ptrIiEEEENSB_INSC_IyEEEESG_yNS9_4plusIvEENS9_8equal_toIvEEyEE10hipError_tPvRmT2_T3_T4_T5_mT6_T7_P12ihipStream_tbENKUlT_T0_E_clISt17integral_constantIbLb1EES10_IbLb0EEEEDaSW_SX_EUlSW_E_NS1_11comp_targetILNS1_3genE10ELNS1_11target_archE1200ELNS1_3gpuE4ELNS1_3repE0EEENS1_30default_config_static_selectorELNS0_4arch9wavefront6targetE0EEEvT1_.has_indirect_call, 0
	.section	.AMDGPU.csdata,"",@progbits
; Kernel info:
; codeLenInByte = 0
; TotalNumSgprs: 0
; NumVgprs: 0
; ScratchSize: 0
; MemoryBound: 0
; FloatMode: 240
; IeeeMode: 1
; LDSByteSize: 0 bytes/workgroup (compile time only)
; SGPRBlocks: 0
; VGPRBlocks: 0
; NumSGPRsForWavesPerEU: 1
; NumVGPRsForWavesPerEU: 1
; NamedBarCnt: 0
; Occupancy: 16
; WaveLimiterHint : 0
; COMPUTE_PGM_RSRC2:SCRATCH_EN: 0
; COMPUTE_PGM_RSRC2:USER_SGPR: 2
; COMPUTE_PGM_RSRC2:TRAP_HANDLER: 0
; COMPUTE_PGM_RSRC2:TGID_X_EN: 1
; COMPUTE_PGM_RSRC2:TGID_Y_EN: 0
; COMPUTE_PGM_RSRC2:TGID_Z_EN: 0
; COMPUTE_PGM_RSRC2:TIDIG_COMP_CNT: 0
	.section	.text._ZN7rocprim17ROCPRIM_400000_NS6detail17trampoline_kernelINS0_14default_configENS1_27scan_by_key_config_selectorIiyEEZZNS1_16scan_by_key_implILNS1_25lookback_scan_determinismE0ELb0ES3_N6thrust23THRUST_200600_302600_NS6detail15normal_iteratorINS9_10device_ptrIiEEEENSB_INSC_IyEEEESG_yNS9_4plusIvEENS9_8equal_toIvEEyEE10hipError_tPvRmT2_T3_T4_T5_mT6_T7_P12ihipStream_tbENKUlT_T0_E_clISt17integral_constantIbLb1EES10_IbLb0EEEEDaSW_SX_EUlSW_E_NS1_11comp_targetILNS1_3genE9ELNS1_11target_archE1100ELNS1_3gpuE3ELNS1_3repE0EEENS1_30default_config_static_selectorELNS0_4arch9wavefront6targetE0EEEvT1_,"axG",@progbits,_ZN7rocprim17ROCPRIM_400000_NS6detail17trampoline_kernelINS0_14default_configENS1_27scan_by_key_config_selectorIiyEEZZNS1_16scan_by_key_implILNS1_25lookback_scan_determinismE0ELb0ES3_N6thrust23THRUST_200600_302600_NS6detail15normal_iteratorINS9_10device_ptrIiEEEENSB_INSC_IyEEEESG_yNS9_4plusIvEENS9_8equal_toIvEEyEE10hipError_tPvRmT2_T3_T4_T5_mT6_T7_P12ihipStream_tbENKUlT_T0_E_clISt17integral_constantIbLb1EES10_IbLb0EEEEDaSW_SX_EUlSW_E_NS1_11comp_targetILNS1_3genE9ELNS1_11target_archE1100ELNS1_3gpuE3ELNS1_3repE0EEENS1_30default_config_static_selectorELNS0_4arch9wavefront6targetE0EEEvT1_,comdat
	.protected	_ZN7rocprim17ROCPRIM_400000_NS6detail17trampoline_kernelINS0_14default_configENS1_27scan_by_key_config_selectorIiyEEZZNS1_16scan_by_key_implILNS1_25lookback_scan_determinismE0ELb0ES3_N6thrust23THRUST_200600_302600_NS6detail15normal_iteratorINS9_10device_ptrIiEEEENSB_INSC_IyEEEESG_yNS9_4plusIvEENS9_8equal_toIvEEyEE10hipError_tPvRmT2_T3_T4_T5_mT6_T7_P12ihipStream_tbENKUlT_T0_E_clISt17integral_constantIbLb1EES10_IbLb0EEEEDaSW_SX_EUlSW_E_NS1_11comp_targetILNS1_3genE9ELNS1_11target_archE1100ELNS1_3gpuE3ELNS1_3repE0EEENS1_30default_config_static_selectorELNS0_4arch9wavefront6targetE0EEEvT1_ ; -- Begin function _ZN7rocprim17ROCPRIM_400000_NS6detail17trampoline_kernelINS0_14default_configENS1_27scan_by_key_config_selectorIiyEEZZNS1_16scan_by_key_implILNS1_25lookback_scan_determinismE0ELb0ES3_N6thrust23THRUST_200600_302600_NS6detail15normal_iteratorINS9_10device_ptrIiEEEENSB_INSC_IyEEEESG_yNS9_4plusIvEENS9_8equal_toIvEEyEE10hipError_tPvRmT2_T3_T4_T5_mT6_T7_P12ihipStream_tbENKUlT_T0_E_clISt17integral_constantIbLb1EES10_IbLb0EEEEDaSW_SX_EUlSW_E_NS1_11comp_targetILNS1_3genE9ELNS1_11target_archE1100ELNS1_3gpuE3ELNS1_3repE0EEENS1_30default_config_static_selectorELNS0_4arch9wavefront6targetE0EEEvT1_
	.globl	_ZN7rocprim17ROCPRIM_400000_NS6detail17trampoline_kernelINS0_14default_configENS1_27scan_by_key_config_selectorIiyEEZZNS1_16scan_by_key_implILNS1_25lookback_scan_determinismE0ELb0ES3_N6thrust23THRUST_200600_302600_NS6detail15normal_iteratorINS9_10device_ptrIiEEEENSB_INSC_IyEEEESG_yNS9_4plusIvEENS9_8equal_toIvEEyEE10hipError_tPvRmT2_T3_T4_T5_mT6_T7_P12ihipStream_tbENKUlT_T0_E_clISt17integral_constantIbLb1EES10_IbLb0EEEEDaSW_SX_EUlSW_E_NS1_11comp_targetILNS1_3genE9ELNS1_11target_archE1100ELNS1_3gpuE3ELNS1_3repE0EEENS1_30default_config_static_selectorELNS0_4arch9wavefront6targetE0EEEvT1_
	.p2align	8
	.type	_ZN7rocprim17ROCPRIM_400000_NS6detail17trampoline_kernelINS0_14default_configENS1_27scan_by_key_config_selectorIiyEEZZNS1_16scan_by_key_implILNS1_25lookback_scan_determinismE0ELb0ES3_N6thrust23THRUST_200600_302600_NS6detail15normal_iteratorINS9_10device_ptrIiEEEENSB_INSC_IyEEEESG_yNS9_4plusIvEENS9_8equal_toIvEEyEE10hipError_tPvRmT2_T3_T4_T5_mT6_T7_P12ihipStream_tbENKUlT_T0_E_clISt17integral_constantIbLb1EES10_IbLb0EEEEDaSW_SX_EUlSW_E_NS1_11comp_targetILNS1_3genE9ELNS1_11target_archE1100ELNS1_3gpuE3ELNS1_3repE0EEENS1_30default_config_static_selectorELNS0_4arch9wavefront6targetE0EEEvT1_,@function
_ZN7rocprim17ROCPRIM_400000_NS6detail17trampoline_kernelINS0_14default_configENS1_27scan_by_key_config_selectorIiyEEZZNS1_16scan_by_key_implILNS1_25lookback_scan_determinismE0ELb0ES3_N6thrust23THRUST_200600_302600_NS6detail15normal_iteratorINS9_10device_ptrIiEEEENSB_INSC_IyEEEESG_yNS9_4plusIvEENS9_8equal_toIvEEyEE10hipError_tPvRmT2_T3_T4_T5_mT6_T7_P12ihipStream_tbENKUlT_T0_E_clISt17integral_constantIbLb1EES10_IbLb0EEEEDaSW_SX_EUlSW_E_NS1_11comp_targetILNS1_3genE9ELNS1_11target_archE1100ELNS1_3gpuE3ELNS1_3repE0EEENS1_30default_config_static_selectorELNS0_4arch9wavefront6targetE0EEEvT1_: ; @_ZN7rocprim17ROCPRIM_400000_NS6detail17trampoline_kernelINS0_14default_configENS1_27scan_by_key_config_selectorIiyEEZZNS1_16scan_by_key_implILNS1_25lookback_scan_determinismE0ELb0ES3_N6thrust23THRUST_200600_302600_NS6detail15normal_iteratorINS9_10device_ptrIiEEEENSB_INSC_IyEEEESG_yNS9_4plusIvEENS9_8equal_toIvEEyEE10hipError_tPvRmT2_T3_T4_T5_mT6_T7_P12ihipStream_tbENKUlT_T0_E_clISt17integral_constantIbLb1EES10_IbLb0EEEEDaSW_SX_EUlSW_E_NS1_11comp_targetILNS1_3genE9ELNS1_11target_archE1100ELNS1_3gpuE3ELNS1_3repE0EEENS1_30default_config_static_selectorELNS0_4arch9wavefront6targetE0EEEvT1_
; %bb.0:
	.section	.rodata,"a",@progbits
	.p2align	6, 0x0
	.amdhsa_kernel _ZN7rocprim17ROCPRIM_400000_NS6detail17trampoline_kernelINS0_14default_configENS1_27scan_by_key_config_selectorIiyEEZZNS1_16scan_by_key_implILNS1_25lookback_scan_determinismE0ELb0ES3_N6thrust23THRUST_200600_302600_NS6detail15normal_iteratorINS9_10device_ptrIiEEEENSB_INSC_IyEEEESG_yNS9_4plusIvEENS9_8equal_toIvEEyEE10hipError_tPvRmT2_T3_T4_T5_mT6_T7_P12ihipStream_tbENKUlT_T0_E_clISt17integral_constantIbLb1EES10_IbLb0EEEEDaSW_SX_EUlSW_E_NS1_11comp_targetILNS1_3genE9ELNS1_11target_archE1100ELNS1_3gpuE3ELNS1_3repE0EEENS1_30default_config_static_selectorELNS0_4arch9wavefront6targetE0EEEvT1_
		.amdhsa_group_segment_fixed_size 0
		.amdhsa_private_segment_fixed_size 0
		.amdhsa_kernarg_size 136
		.amdhsa_user_sgpr_count 2
		.amdhsa_user_sgpr_dispatch_ptr 0
		.amdhsa_user_sgpr_queue_ptr 0
		.amdhsa_user_sgpr_kernarg_segment_ptr 1
		.amdhsa_user_sgpr_dispatch_id 0
		.amdhsa_user_sgpr_kernarg_preload_length 0
		.amdhsa_user_sgpr_kernarg_preload_offset 0
		.amdhsa_user_sgpr_private_segment_size 0
		.amdhsa_wavefront_size32 1
		.amdhsa_uses_dynamic_stack 0
		.amdhsa_enable_private_segment 0
		.amdhsa_system_sgpr_workgroup_id_x 1
		.amdhsa_system_sgpr_workgroup_id_y 0
		.amdhsa_system_sgpr_workgroup_id_z 0
		.amdhsa_system_sgpr_workgroup_info 0
		.amdhsa_system_vgpr_workitem_id 0
		.amdhsa_next_free_vgpr 1
		.amdhsa_next_free_sgpr 1
		.amdhsa_named_barrier_count 0
		.amdhsa_reserve_vcc 0
		.amdhsa_float_round_mode_32 0
		.amdhsa_float_round_mode_16_64 0
		.amdhsa_float_denorm_mode_32 3
		.amdhsa_float_denorm_mode_16_64 3
		.amdhsa_fp16_overflow 0
		.amdhsa_memory_ordered 1
		.amdhsa_forward_progress 1
		.amdhsa_inst_pref_size 0
		.amdhsa_round_robin_scheduling 0
		.amdhsa_exception_fp_ieee_invalid_op 0
		.amdhsa_exception_fp_denorm_src 0
		.amdhsa_exception_fp_ieee_div_zero 0
		.amdhsa_exception_fp_ieee_overflow 0
		.amdhsa_exception_fp_ieee_underflow 0
		.amdhsa_exception_fp_ieee_inexact 0
		.amdhsa_exception_int_div_zero 0
	.end_amdhsa_kernel
	.section	.text._ZN7rocprim17ROCPRIM_400000_NS6detail17trampoline_kernelINS0_14default_configENS1_27scan_by_key_config_selectorIiyEEZZNS1_16scan_by_key_implILNS1_25lookback_scan_determinismE0ELb0ES3_N6thrust23THRUST_200600_302600_NS6detail15normal_iteratorINS9_10device_ptrIiEEEENSB_INSC_IyEEEESG_yNS9_4plusIvEENS9_8equal_toIvEEyEE10hipError_tPvRmT2_T3_T4_T5_mT6_T7_P12ihipStream_tbENKUlT_T0_E_clISt17integral_constantIbLb1EES10_IbLb0EEEEDaSW_SX_EUlSW_E_NS1_11comp_targetILNS1_3genE9ELNS1_11target_archE1100ELNS1_3gpuE3ELNS1_3repE0EEENS1_30default_config_static_selectorELNS0_4arch9wavefront6targetE0EEEvT1_,"axG",@progbits,_ZN7rocprim17ROCPRIM_400000_NS6detail17trampoline_kernelINS0_14default_configENS1_27scan_by_key_config_selectorIiyEEZZNS1_16scan_by_key_implILNS1_25lookback_scan_determinismE0ELb0ES3_N6thrust23THRUST_200600_302600_NS6detail15normal_iteratorINS9_10device_ptrIiEEEENSB_INSC_IyEEEESG_yNS9_4plusIvEENS9_8equal_toIvEEyEE10hipError_tPvRmT2_T3_T4_T5_mT6_T7_P12ihipStream_tbENKUlT_T0_E_clISt17integral_constantIbLb1EES10_IbLb0EEEEDaSW_SX_EUlSW_E_NS1_11comp_targetILNS1_3genE9ELNS1_11target_archE1100ELNS1_3gpuE3ELNS1_3repE0EEENS1_30default_config_static_selectorELNS0_4arch9wavefront6targetE0EEEvT1_,comdat
.Lfunc_end1205:
	.size	_ZN7rocprim17ROCPRIM_400000_NS6detail17trampoline_kernelINS0_14default_configENS1_27scan_by_key_config_selectorIiyEEZZNS1_16scan_by_key_implILNS1_25lookback_scan_determinismE0ELb0ES3_N6thrust23THRUST_200600_302600_NS6detail15normal_iteratorINS9_10device_ptrIiEEEENSB_INSC_IyEEEESG_yNS9_4plusIvEENS9_8equal_toIvEEyEE10hipError_tPvRmT2_T3_T4_T5_mT6_T7_P12ihipStream_tbENKUlT_T0_E_clISt17integral_constantIbLb1EES10_IbLb0EEEEDaSW_SX_EUlSW_E_NS1_11comp_targetILNS1_3genE9ELNS1_11target_archE1100ELNS1_3gpuE3ELNS1_3repE0EEENS1_30default_config_static_selectorELNS0_4arch9wavefront6targetE0EEEvT1_, .Lfunc_end1205-_ZN7rocprim17ROCPRIM_400000_NS6detail17trampoline_kernelINS0_14default_configENS1_27scan_by_key_config_selectorIiyEEZZNS1_16scan_by_key_implILNS1_25lookback_scan_determinismE0ELb0ES3_N6thrust23THRUST_200600_302600_NS6detail15normal_iteratorINS9_10device_ptrIiEEEENSB_INSC_IyEEEESG_yNS9_4plusIvEENS9_8equal_toIvEEyEE10hipError_tPvRmT2_T3_T4_T5_mT6_T7_P12ihipStream_tbENKUlT_T0_E_clISt17integral_constantIbLb1EES10_IbLb0EEEEDaSW_SX_EUlSW_E_NS1_11comp_targetILNS1_3genE9ELNS1_11target_archE1100ELNS1_3gpuE3ELNS1_3repE0EEENS1_30default_config_static_selectorELNS0_4arch9wavefront6targetE0EEEvT1_
                                        ; -- End function
	.set _ZN7rocprim17ROCPRIM_400000_NS6detail17trampoline_kernelINS0_14default_configENS1_27scan_by_key_config_selectorIiyEEZZNS1_16scan_by_key_implILNS1_25lookback_scan_determinismE0ELb0ES3_N6thrust23THRUST_200600_302600_NS6detail15normal_iteratorINS9_10device_ptrIiEEEENSB_INSC_IyEEEESG_yNS9_4plusIvEENS9_8equal_toIvEEyEE10hipError_tPvRmT2_T3_T4_T5_mT6_T7_P12ihipStream_tbENKUlT_T0_E_clISt17integral_constantIbLb1EES10_IbLb0EEEEDaSW_SX_EUlSW_E_NS1_11comp_targetILNS1_3genE9ELNS1_11target_archE1100ELNS1_3gpuE3ELNS1_3repE0EEENS1_30default_config_static_selectorELNS0_4arch9wavefront6targetE0EEEvT1_.num_vgpr, 0
	.set _ZN7rocprim17ROCPRIM_400000_NS6detail17trampoline_kernelINS0_14default_configENS1_27scan_by_key_config_selectorIiyEEZZNS1_16scan_by_key_implILNS1_25lookback_scan_determinismE0ELb0ES3_N6thrust23THRUST_200600_302600_NS6detail15normal_iteratorINS9_10device_ptrIiEEEENSB_INSC_IyEEEESG_yNS9_4plusIvEENS9_8equal_toIvEEyEE10hipError_tPvRmT2_T3_T4_T5_mT6_T7_P12ihipStream_tbENKUlT_T0_E_clISt17integral_constantIbLb1EES10_IbLb0EEEEDaSW_SX_EUlSW_E_NS1_11comp_targetILNS1_3genE9ELNS1_11target_archE1100ELNS1_3gpuE3ELNS1_3repE0EEENS1_30default_config_static_selectorELNS0_4arch9wavefront6targetE0EEEvT1_.num_agpr, 0
	.set _ZN7rocprim17ROCPRIM_400000_NS6detail17trampoline_kernelINS0_14default_configENS1_27scan_by_key_config_selectorIiyEEZZNS1_16scan_by_key_implILNS1_25lookback_scan_determinismE0ELb0ES3_N6thrust23THRUST_200600_302600_NS6detail15normal_iteratorINS9_10device_ptrIiEEEENSB_INSC_IyEEEESG_yNS9_4plusIvEENS9_8equal_toIvEEyEE10hipError_tPvRmT2_T3_T4_T5_mT6_T7_P12ihipStream_tbENKUlT_T0_E_clISt17integral_constantIbLb1EES10_IbLb0EEEEDaSW_SX_EUlSW_E_NS1_11comp_targetILNS1_3genE9ELNS1_11target_archE1100ELNS1_3gpuE3ELNS1_3repE0EEENS1_30default_config_static_selectorELNS0_4arch9wavefront6targetE0EEEvT1_.numbered_sgpr, 0
	.set _ZN7rocprim17ROCPRIM_400000_NS6detail17trampoline_kernelINS0_14default_configENS1_27scan_by_key_config_selectorIiyEEZZNS1_16scan_by_key_implILNS1_25lookback_scan_determinismE0ELb0ES3_N6thrust23THRUST_200600_302600_NS6detail15normal_iteratorINS9_10device_ptrIiEEEENSB_INSC_IyEEEESG_yNS9_4plusIvEENS9_8equal_toIvEEyEE10hipError_tPvRmT2_T3_T4_T5_mT6_T7_P12ihipStream_tbENKUlT_T0_E_clISt17integral_constantIbLb1EES10_IbLb0EEEEDaSW_SX_EUlSW_E_NS1_11comp_targetILNS1_3genE9ELNS1_11target_archE1100ELNS1_3gpuE3ELNS1_3repE0EEENS1_30default_config_static_selectorELNS0_4arch9wavefront6targetE0EEEvT1_.num_named_barrier, 0
	.set _ZN7rocprim17ROCPRIM_400000_NS6detail17trampoline_kernelINS0_14default_configENS1_27scan_by_key_config_selectorIiyEEZZNS1_16scan_by_key_implILNS1_25lookback_scan_determinismE0ELb0ES3_N6thrust23THRUST_200600_302600_NS6detail15normal_iteratorINS9_10device_ptrIiEEEENSB_INSC_IyEEEESG_yNS9_4plusIvEENS9_8equal_toIvEEyEE10hipError_tPvRmT2_T3_T4_T5_mT6_T7_P12ihipStream_tbENKUlT_T0_E_clISt17integral_constantIbLb1EES10_IbLb0EEEEDaSW_SX_EUlSW_E_NS1_11comp_targetILNS1_3genE9ELNS1_11target_archE1100ELNS1_3gpuE3ELNS1_3repE0EEENS1_30default_config_static_selectorELNS0_4arch9wavefront6targetE0EEEvT1_.private_seg_size, 0
	.set _ZN7rocprim17ROCPRIM_400000_NS6detail17trampoline_kernelINS0_14default_configENS1_27scan_by_key_config_selectorIiyEEZZNS1_16scan_by_key_implILNS1_25lookback_scan_determinismE0ELb0ES3_N6thrust23THRUST_200600_302600_NS6detail15normal_iteratorINS9_10device_ptrIiEEEENSB_INSC_IyEEEESG_yNS9_4plusIvEENS9_8equal_toIvEEyEE10hipError_tPvRmT2_T3_T4_T5_mT6_T7_P12ihipStream_tbENKUlT_T0_E_clISt17integral_constantIbLb1EES10_IbLb0EEEEDaSW_SX_EUlSW_E_NS1_11comp_targetILNS1_3genE9ELNS1_11target_archE1100ELNS1_3gpuE3ELNS1_3repE0EEENS1_30default_config_static_selectorELNS0_4arch9wavefront6targetE0EEEvT1_.uses_vcc, 0
	.set _ZN7rocprim17ROCPRIM_400000_NS6detail17trampoline_kernelINS0_14default_configENS1_27scan_by_key_config_selectorIiyEEZZNS1_16scan_by_key_implILNS1_25lookback_scan_determinismE0ELb0ES3_N6thrust23THRUST_200600_302600_NS6detail15normal_iteratorINS9_10device_ptrIiEEEENSB_INSC_IyEEEESG_yNS9_4plusIvEENS9_8equal_toIvEEyEE10hipError_tPvRmT2_T3_T4_T5_mT6_T7_P12ihipStream_tbENKUlT_T0_E_clISt17integral_constantIbLb1EES10_IbLb0EEEEDaSW_SX_EUlSW_E_NS1_11comp_targetILNS1_3genE9ELNS1_11target_archE1100ELNS1_3gpuE3ELNS1_3repE0EEENS1_30default_config_static_selectorELNS0_4arch9wavefront6targetE0EEEvT1_.uses_flat_scratch, 0
	.set _ZN7rocprim17ROCPRIM_400000_NS6detail17trampoline_kernelINS0_14default_configENS1_27scan_by_key_config_selectorIiyEEZZNS1_16scan_by_key_implILNS1_25lookback_scan_determinismE0ELb0ES3_N6thrust23THRUST_200600_302600_NS6detail15normal_iteratorINS9_10device_ptrIiEEEENSB_INSC_IyEEEESG_yNS9_4plusIvEENS9_8equal_toIvEEyEE10hipError_tPvRmT2_T3_T4_T5_mT6_T7_P12ihipStream_tbENKUlT_T0_E_clISt17integral_constantIbLb1EES10_IbLb0EEEEDaSW_SX_EUlSW_E_NS1_11comp_targetILNS1_3genE9ELNS1_11target_archE1100ELNS1_3gpuE3ELNS1_3repE0EEENS1_30default_config_static_selectorELNS0_4arch9wavefront6targetE0EEEvT1_.has_dyn_sized_stack, 0
	.set _ZN7rocprim17ROCPRIM_400000_NS6detail17trampoline_kernelINS0_14default_configENS1_27scan_by_key_config_selectorIiyEEZZNS1_16scan_by_key_implILNS1_25lookback_scan_determinismE0ELb0ES3_N6thrust23THRUST_200600_302600_NS6detail15normal_iteratorINS9_10device_ptrIiEEEENSB_INSC_IyEEEESG_yNS9_4plusIvEENS9_8equal_toIvEEyEE10hipError_tPvRmT2_T3_T4_T5_mT6_T7_P12ihipStream_tbENKUlT_T0_E_clISt17integral_constantIbLb1EES10_IbLb0EEEEDaSW_SX_EUlSW_E_NS1_11comp_targetILNS1_3genE9ELNS1_11target_archE1100ELNS1_3gpuE3ELNS1_3repE0EEENS1_30default_config_static_selectorELNS0_4arch9wavefront6targetE0EEEvT1_.has_recursion, 0
	.set _ZN7rocprim17ROCPRIM_400000_NS6detail17trampoline_kernelINS0_14default_configENS1_27scan_by_key_config_selectorIiyEEZZNS1_16scan_by_key_implILNS1_25lookback_scan_determinismE0ELb0ES3_N6thrust23THRUST_200600_302600_NS6detail15normal_iteratorINS9_10device_ptrIiEEEENSB_INSC_IyEEEESG_yNS9_4plusIvEENS9_8equal_toIvEEyEE10hipError_tPvRmT2_T3_T4_T5_mT6_T7_P12ihipStream_tbENKUlT_T0_E_clISt17integral_constantIbLb1EES10_IbLb0EEEEDaSW_SX_EUlSW_E_NS1_11comp_targetILNS1_3genE9ELNS1_11target_archE1100ELNS1_3gpuE3ELNS1_3repE0EEENS1_30default_config_static_selectorELNS0_4arch9wavefront6targetE0EEEvT1_.has_indirect_call, 0
	.section	.AMDGPU.csdata,"",@progbits
; Kernel info:
; codeLenInByte = 0
; TotalNumSgprs: 0
; NumVgprs: 0
; ScratchSize: 0
; MemoryBound: 0
; FloatMode: 240
; IeeeMode: 1
; LDSByteSize: 0 bytes/workgroup (compile time only)
; SGPRBlocks: 0
; VGPRBlocks: 0
; NumSGPRsForWavesPerEU: 1
; NumVGPRsForWavesPerEU: 1
; NamedBarCnt: 0
; Occupancy: 16
; WaveLimiterHint : 0
; COMPUTE_PGM_RSRC2:SCRATCH_EN: 0
; COMPUTE_PGM_RSRC2:USER_SGPR: 2
; COMPUTE_PGM_RSRC2:TRAP_HANDLER: 0
; COMPUTE_PGM_RSRC2:TGID_X_EN: 1
; COMPUTE_PGM_RSRC2:TGID_Y_EN: 0
; COMPUTE_PGM_RSRC2:TGID_Z_EN: 0
; COMPUTE_PGM_RSRC2:TIDIG_COMP_CNT: 0
	.section	.text._ZN7rocprim17ROCPRIM_400000_NS6detail17trampoline_kernelINS0_14default_configENS1_27scan_by_key_config_selectorIiyEEZZNS1_16scan_by_key_implILNS1_25lookback_scan_determinismE0ELb0ES3_N6thrust23THRUST_200600_302600_NS6detail15normal_iteratorINS9_10device_ptrIiEEEENSB_INSC_IyEEEESG_yNS9_4plusIvEENS9_8equal_toIvEEyEE10hipError_tPvRmT2_T3_T4_T5_mT6_T7_P12ihipStream_tbENKUlT_T0_E_clISt17integral_constantIbLb1EES10_IbLb0EEEEDaSW_SX_EUlSW_E_NS1_11comp_targetILNS1_3genE8ELNS1_11target_archE1030ELNS1_3gpuE2ELNS1_3repE0EEENS1_30default_config_static_selectorELNS0_4arch9wavefront6targetE0EEEvT1_,"axG",@progbits,_ZN7rocprim17ROCPRIM_400000_NS6detail17trampoline_kernelINS0_14default_configENS1_27scan_by_key_config_selectorIiyEEZZNS1_16scan_by_key_implILNS1_25lookback_scan_determinismE0ELb0ES3_N6thrust23THRUST_200600_302600_NS6detail15normal_iteratorINS9_10device_ptrIiEEEENSB_INSC_IyEEEESG_yNS9_4plusIvEENS9_8equal_toIvEEyEE10hipError_tPvRmT2_T3_T4_T5_mT6_T7_P12ihipStream_tbENKUlT_T0_E_clISt17integral_constantIbLb1EES10_IbLb0EEEEDaSW_SX_EUlSW_E_NS1_11comp_targetILNS1_3genE8ELNS1_11target_archE1030ELNS1_3gpuE2ELNS1_3repE0EEENS1_30default_config_static_selectorELNS0_4arch9wavefront6targetE0EEEvT1_,comdat
	.protected	_ZN7rocprim17ROCPRIM_400000_NS6detail17trampoline_kernelINS0_14default_configENS1_27scan_by_key_config_selectorIiyEEZZNS1_16scan_by_key_implILNS1_25lookback_scan_determinismE0ELb0ES3_N6thrust23THRUST_200600_302600_NS6detail15normal_iteratorINS9_10device_ptrIiEEEENSB_INSC_IyEEEESG_yNS9_4plusIvEENS9_8equal_toIvEEyEE10hipError_tPvRmT2_T3_T4_T5_mT6_T7_P12ihipStream_tbENKUlT_T0_E_clISt17integral_constantIbLb1EES10_IbLb0EEEEDaSW_SX_EUlSW_E_NS1_11comp_targetILNS1_3genE8ELNS1_11target_archE1030ELNS1_3gpuE2ELNS1_3repE0EEENS1_30default_config_static_selectorELNS0_4arch9wavefront6targetE0EEEvT1_ ; -- Begin function _ZN7rocprim17ROCPRIM_400000_NS6detail17trampoline_kernelINS0_14default_configENS1_27scan_by_key_config_selectorIiyEEZZNS1_16scan_by_key_implILNS1_25lookback_scan_determinismE0ELb0ES3_N6thrust23THRUST_200600_302600_NS6detail15normal_iteratorINS9_10device_ptrIiEEEENSB_INSC_IyEEEESG_yNS9_4plusIvEENS9_8equal_toIvEEyEE10hipError_tPvRmT2_T3_T4_T5_mT6_T7_P12ihipStream_tbENKUlT_T0_E_clISt17integral_constantIbLb1EES10_IbLb0EEEEDaSW_SX_EUlSW_E_NS1_11comp_targetILNS1_3genE8ELNS1_11target_archE1030ELNS1_3gpuE2ELNS1_3repE0EEENS1_30default_config_static_selectorELNS0_4arch9wavefront6targetE0EEEvT1_
	.globl	_ZN7rocprim17ROCPRIM_400000_NS6detail17trampoline_kernelINS0_14default_configENS1_27scan_by_key_config_selectorIiyEEZZNS1_16scan_by_key_implILNS1_25lookback_scan_determinismE0ELb0ES3_N6thrust23THRUST_200600_302600_NS6detail15normal_iteratorINS9_10device_ptrIiEEEENSB_INSC_IyEEEESG_yNS9_4plusIvEENS9_8equal_toIvEEyEE10hipError_tPvRmT2_T3_T4_T5_mT6_T7_P12ihipStream_tbENKUlT_T0_E_clISt17integral_constantIbLb1EES10_IbLb0EEEEDaSW_SX_EUlSW_E_NS1_11comp_targetILNS1_3genE8ELNS1_11target_archE1030ELNS1_3gpuE2ELNS1_3repE0EEENS1_30default_config_static_selectorELNS0_4arch9wavefront6targetE0EEEvT1_
	.p2align	8
	.type	_ZN7rocprim17ROCPRIM_400000_NS6detail17trampoline_kernelINS0_14default_configENS1_27scan_by_key_config_selectorIiyEEZZNS1_16scan_by_key_implILNS1_25lookback_scan_determinismE0ELb0ES3_N6thrust23THRUST_200600_302600_NS6detail15normal_iteratorINS9_10device_ptrIiEEEENSB_INSC_IyEEEESG_yNS9_4plusIvEENS9_8equal_toIvEEyEE10hipError_tPvRmT2_T3_T4_T5_mT6_T7_P12ihipStream_tbENKUlT_T0_E_clISt17integral_constantIbLb1EES10_IbLb0EEEEDaSW_SX_EUlSW_E_NS1_11comp_targetILNS1_3genE8ELNS1_11target_archE1030ELNS1_3gpuE2ELNS1_3repE0EEENS1_30default_config_static_selectorELNS0_4arch9wavefront6targetE0EEEvT1_,@function
_ZN7rocprim17ROCPRIM_400000_NS6detail17trampoline_kernelINS0_14default_configENS1_27scan_by_key_config_selectorIiyEEZZNS1_16scan_by_key_implILNS1_25lookback_scan_determinismE0ELb0ES3_N6thrust23THRUST_200600_302600_NS6detail15normal_iteratorINS9_10device_ptrIiEEEENSB_INSC_IyEEEESG_yNS9_4plusIvEENS9_8equal_toIvEEyEE10hipError_tPvRmT2_T3_T4_T5_mT6_T7_P12ihipStream_tbENKUlT_T0_E_clISt17integral_constantIbLb1EES10_IbLb0EEEEDaSW_SX_EUlSW_E_NS1_11comp_targetILNS1_3genE8ELNS1_11target_archE1030ELNS1_3gpuE2ELNS1_3repE0EEENS1_30default_config_static_selectorELNS0_4arch9wavefront6targetE0EEEvT1_: ; @_ZN7rocprim17ROCPRIM_400000_NS6detail17trampoline_kernelINS0_14default_configENS1_27scan_by_key_config_selectorIiyEEZZNS1_16scan_by_key_implILNS1_25lookback_scan_determinismE0ELb0ES3_N6thrust23THRUST_200600_302600_NS6detail15normal_iteratorINS9_10device_ptrIiEEEENSB_INSC_IyEEEESG_yNS9_4plusIvEENS9_8equal_toIvEEyEE10hipError_tPvRmT2_T3_T4_T5_mT6_T7_P12ihipStream_tbENKUlT_T0_E_clISt17integral_constantIbLb1EES10_IbLb0EEEEDaSW_SX_EUlSW_E_NS1_11comp_targetILNS1_3genE8ELNS1_11target_archE1030ELNS1_3gpuE2ELNS1_3repE0EEENS1_30default_config_static_selectorELNS0_4arch9wavefront6targetE0EEEvT1_
; %bb.0:
	.section	.rodata,"a",@progbits
	.p2align	6, 0x0
	.amdhsa_kernel _ZN7rocprim17ROCPRIM_400000_NS6detail17trampoline_kernelINS0_14default_configENS1_27scan_by_key_config_selectorIiyEEZZNS1_16scan_by_key_implILNS1_25lookback_scan_determinismE0ELb0ES3_N6thrust23THRUST_200600_302600_NS6detail15normal_iteratorINS9_10device_ptrIiEEEENSB_INSC_IyEEEESG_yNS9_4plusIvEENS9_8equal_toIvEEyEE10hipError_tPvRmT2_T3_T4_T5_mT6_T7_P12ihipStream_tbENKUlT_T0_E_clISt17integral_constantIbLb1EES10_IbLb0EEEEDaSW_SX_EUlSW_E_NS1_11comp_targetILNS1_3genE8ELNS1_11target_archE1030ELNS1_3gpuE2ELNS1_3repE0EEENS1_30default_config_static_selectorELNS0_4arch9wavefront6targetE0EEEvT1_
		.amdhsa_group_segment_fixed_size 0
		.amdhsa_private_segment_fixed_size 0
		.amdhsa_kernarg_size 136
		.amdhsa_user_sgpr_count 2
		.amdhsa_user_sgpr_dispatch_ptr 0
		.amdhsa_user_sgpr_queue_ptr 0
		.amdhsa_user_sgpr_kernarg_segment_ptr 1
		.amdhsa_user_sgpr_dispatch_id 0
		.amdhsa_user_sgpr_kernarg_preload_length 0
		.amdhsa_user_sgpr_kernarg_preload_offset 0
		.amdhsa_user_sgpr_private_segment_size 0
		.amdhsa_wavefront_size32 1
		.amdhsa_uses_dynamic_stack 0
		.amdhsa_enable_private_segment 0
		.amdhsa_system_sgpr_workgroup_id_x 1
		.amdhsa_system_sgpr_workgroup_id_y 0
		.amdhsa_system_sgpr_workgroup_id_z 0
		.amdhsa_system_sgpr_workgroup_info 0
		.amdhsa_system_vgpr_workitem_id 0
		.amdhsa_next_free_vgpr 1
		.amdhsa_next_free_sgpr 1
		.amdhsa_named_barrier_count 0
		.amdhsa_reserve_vcc 0
		.amdhsa_float_round_mode_32 0
		.amdhsa_float_round_mode_16_64 0
		.amdhsa_float_denorm_mode_32 3
		.amdhsa_float_denorm_mode_16_64 3
		.amdhsa_fp16_overflow 0
		.amdhsa_memory_ordered 1
		.amdhsa_forward_progress 1
		.amdhsa_inst_pref_size 0
		.amdhsa_round_robin_scheduling 0
		.amdhsa_exception_fp_ieee_invalid_op 0
		.amdhsa_exception_fp_denorm_src 0
		.amdhsa_exception_fp_ieee_div_zero 0
		.amdhsa_exception_fp_ieee_overflow 0
		.amdhsa_exception_fp_ieee_underflow 0
		.amdhsa_exception_fp_ieee_inexact 0
		.amdhsa_exception_int_div_zero 0
	.end_amdhsa_kernel
	.section	.text._ZN7rocprim17ROCPRIM_400000_NS6detail17trampoline_kernelINS0_14default_configENS1_27scan_by_key_config_selectorIiyEEZZNS1_16scan_by_key_implILNS1_25lookback_scan_determinismE0ELb0ES3_N6thrust23THRUST_200600_302600_NS6detail15normal_iteratorINS9_10device_ptrIiEEEENSB_INSC_IyEEEESG_yNS9_4plusIvEENS9_8equal_toIvEEyEE10hipError_tPvRmT2_T3_T4_T5_mT6_T7_P12ihipStream_tbENKUlT_T0_E_clISt17integral_constantIbLb1EES10_IbLb0EEEEDaSW_SX_EUlSW_E_NS1_11comp_targetILNS1_3genE8ELNS1_11target_archE1030ELNS1_3gpuE2ELNS1_3repE0EEENS1_30default_config_static_selectorELNS0_4arch9wavefront6targetE0EEEvT1_,"axG",@progbits,_ZN7rocprim17ROCPRIM_400000_NS6detail17trampoline_kernelINS0_14default_configENS1_27scan_by_key_config_selectorIiyEEZZNS1_16scan_by_key_implILNS1_25lookback_scan_determinismE0ELb0ES3_N6thrust23THRUST_200600_302600_NS6detail15normal_iteratorINS9_10device_ptrIiEEEENSB_INSC_IyEEEESG_yNS9_4plusIvEENS9_8equal_toIvEEyEE10hipError_tPvRmT2_T3_T4_T5_mT6_T7_P12ihipStream_tbENKUlT_T0_E_clISt17integral_constantIbLb1EES10_IbLb0EEEEDaSW_SX_EUlSW_E_NS1_11comp_targetILNS1_3genE8ELNS1_11target_archE1030ELNS1_3gpuE2ELNS1_3repE0EEENS1_30default_config_static_selectorELNS0_4arch9wavefront6targetE0EEEvT1_,comdat
.Lfunc_end1206:
	.size	_ZN7rocprim17ROCPRIM_400000_NS6detail17trampoline_kernelINS0_14default_configENS1_27scan_by_key_config_selectorIiyEEZZNS1_16scan_by_key_implILNS1_25lookback_scan_determinismE0ELb0ES3_N6thrust23THRUST_200600_302600_NS6detail15normal_iteratorINS9_10device_ptrIiEEEENSB_INSC_IyEEEESG_yNS9_4plusIvEENS9_8equal_toIvEEyEE10hipError_tPvRmT2_T3_T4_T5_mT6_T7_P12ihipStream_tbENKUlT_T0_E_clISt17integral_constantIbLb1EES10_IbLb0EEEEDaSW_SX_EUlSW_E_NS1_11comp_targetILNS1_3genE8ELNS1_11target_archE1030ELNS1_3gpuE2ELNS1_3repE0EEENS1_30default_config_static_selectorELNS0_4arch9wavefront6targetE0EEEvT1_, .Lfunc_end1206-_ZN7rocprim17ROCPRIM_400000_NS6detail17trampoline_kernelINS0_14default_configENS1_27scan_by_key_config_selectorIiyEEZZNS1_16scan_by_key_implILNS1_25lookback_scan_determinismE0ELb0ES3_N6thrust23THRUST_200600_302600_NS6detail15normal_iteratorINS9_10device_ptrIiEEEENSB_INSC_IyEEEESG_yNS9_4plusIvEENS9_8equal_toIvEEyEE10hipError_tPvRmT2_T3_T4_T5_mT6_T7_P12ihipStream_tbENKUlT_T0_E_clISt17integral_constantIbLb1EES10_IbLb0EEEEDaSW_SX_EUlSW_E_NS1_11comp_targetILNS1_3genE8ELNS1_11target_archE1030ELNS1_3gpuE2ELNS1_3repE0EEENS1_30default_config_static_selectorELNS0_4arch9wavefront6targetE0EEEvT1_
                                        ; -- End function
	.set _ZN7rocprim17ROCPRIM_400000_NS6detail17trampoline_kernelINS0_14default_configENS1_27scan_by_key_config_selectorIiyEEZZNS1_16scan_by_key_implILNS1_25lookback_scan_determinismE0ELb0ES3_N6thrust23THRUST_200600_302600_NS6detail15normal_iteratorINS9_10device_ptrIiEEEENSB_INSC_IyEEEESG_yNS9_4plusIvEENS9_8equal_toIvEEyEE10hipError_tPvRmT2_T3_T4_T5_mT6_T7_P12ihipStream_tbENKUlT_T0_E_clISt17integral_constantIbLb1EES10_IbLb0EEEEDaSW_SX_EUlSW_E_NS1_11comp_targetILNS1_3genE8ELNS1_11target_archE1030ELNS1_3gpuE2ELNS1_3repE0EEENS1_30default_config_static_selectorELNS0_4arch9wavefront6targetE0EEEvT1_.num_vgpr, 0
	.set _ZN7rocprim17ROCPRIM_400000_NS6detail17trampoline_kernelINS0_14default_configENS1_27scan_by_key_config_selectorIiyEEZZNS1_16scan_by_key_implILNS1_25lookback_scan_determinismE0ELb0ES3_N6thrust23THRUST_200600_302600_NS6detail15normal_iteratorINS9_10device_ptrIiEEEENSB_INSC_IyEEEESG_yNS9_4plusIvEENS9_8equal_toIvEEyEE10hipError_tPvRmT2_T3_T4_T5_mT6_T7_P12ihipStream_tbENKUlT_T0_E_clISt17integral_constantIbLb1EES10_IbLb0EEEEDaSW_SX_EUlSW_E_NS1_11comp_targetILNS1_3genE8ELNS1_11target_archE1030ELNS1_3gpuE2ELNS1_3repE0EEENS1_30default_config_static_selectorELNS0_4arch9wavefront6targetE0EEEvT1_.num_agpr, 0
	.set _ZN7rocprim17ROCPRIM_400000_NS6detail17trampoline_kernelINS0_14default_configENS1_27scan_by_key_config_selectorIiyEEZZNS1_16scan_by_key_implILNS1_25lookback_scan_determinismE0ELb0ES3_N6thrust23THRUST_200600_302600_NS6detail15normal_iteratorINS9_10device_ptrIiEEEENSB_INSC_IyEEEESG_yNS9_4plusIvEENS9_8equal_toIvEEyEE10hipError_tPvRmT2_T3_T4_T5_mT6_T7_P12ihipStream_tbENKUlT_T0_E_clISt17integral_constantIbLb1EES10_IbLb0EEEEDaSW_SX_EUlSW_E_NS1_11comp_targetILNS1_3genE8ELNS1_11target_archE1030ELNS1_3gpuE2ELNS1_3repE0EEENS1_30default_config_static_selectorELNS0_4arch9wavefront6targetE0EEEvT1_.numbered_sgpr, 0
	.set _ZN7rocprim17ROCPRIM_400000_NS6detail17trampoline_kernelINS0_14default_configENS1_27scan_by_key_config_selectorIiyEEZZNS1_16scan_by_key_implILNS1_25lookback_scan_determinismE0ELb0ES3_N6thrust23THRUST_200600_302600_NS6detail15normal_iteratorINS9_10device_ptrIiEEEENSB_INSC_IyEEEESG_yNS9_4plusIvEENS9_8equal_toIvEEyEE10hipError_tPvRmT2_T3_T4_T5_mT6_T7_P12ihipStream_tbENKUlT_T0_E_clISt17integral_constantIbLb1EES10_IbLb0EEEEDaSW_SX_EUlSW_E_NS1_11comp_targetILNS1_3genE8ELNS1_11target_archE1030ELNS1_3gpuE2ELNS1_3repE0EEENS1_30default_config_static_selectorELNS0_4arch9wavefront6targetE0EEEvT1_.num_named_barrier, 0
	.set _ZN7rocprim17ROCPRIM_400000_NS6detail17trampoline_kernelINS0_14default_configENS1_27scan_by_key_config_selectorIiyEEZZNS1_16scan_by_key_implILNS1_25lookback_scan_determinismE0ELb0ES3_N6thrust23THRUST_200600_302600_NS6detail15normal_iteratorINS9_10device_ptrIiEEEENSB_INSC_IyEEEESG_yNS9_4plusIvEENS9_8equal_toIvEEyEE10hipError_tPvRmT2_T3_T4_T5_mT6_T7_P12ihipStream_tbENKUlT_T0_E_clISt17integral_constantIbLb1EES10_IbLb0EEEEDaSW_SX_EUlSW_E_NS1_11comp_targetILNS1_3genE8ELNS1_11target_archE1030ELNS1_3gpuE2ELNS1_3repE0EEENS1_30default_config_static_selectorELNS0_4arch9wavefront6targetE0EEEvT1_.private_seg_size, 0
	.set _ZN7rocprim17ROCPRIM_400000_NS6detail17trampoline_kernelINS0_14default_configENS1_27scan_by_key_config_selectorIiyEEZZNS1_16scan_by_key_implILNS1_25lookback_scan_determinismE0ELb0ES3_N6thrust23THRUST_200600_302600_NS6detail15normal_iteratorINS9_10device_ptrIiEEEENSB_INSC_IyEEEESG_yNS9_4plusIvEENS9_8equal_toIvEEyEE10hipError_tPvRmT2_T3_T4_T5_mT6_T7_P12ihipStream_tbENKUlT_T0_E_clISt17integral_constantIbLb1EES10_IbLb0EEEEDaSW_SX_EUlSW_E_NS1_11comp_targetILNS1_3genE8ELNS1_11target_archE1030ELNS1_3gpuE2ELNS1_3repE0EEENS1_30default_config_static_selectorELNS0_4arch9wavefront6targetE0EEEvT1_.uses_vcc, 0
	.set _ZN7rocprim17ROCPRIM_400000_NS6detail17trampoline_kernelINS0_14default_configENS1_27scan_by_key_config_selectorIiyEEZZNS1_16scan_by_key_implILNS1_25lookback_scan_determinismE0ELb0ES3_N6thrust23THRUST_200600_302600_NS6detail15normal_iteratorINS9_10device_ptrIiEEEENSB_INSC_IyEEEESG_yNS9_4plusIvEENS9_8equal_toIvEEyEE10hipError_tPvRmT2_T3_T4_T5_mT6_T7_P12ihipStream_tbENKUlT_T0_E_clISt17integral_constantIbLb1EES10_IbLb0EEEEDaSW_SX_EUlSW_E_NS1_11comp_targetILNS1_3genE8ELNS1_11target_archE1030ELNS1_3gpuE2ELNS1_3repE0EEENS1_30default_config_static_selectorELNS0_4arch9wavefront6targetE0EEEvT1_.uses_flat_scratch, 0
	.set _ZN7rocprim17ROCPRIM_400000_NS6detail17trampoline_kernelINS0_14default_configENS1_27scan_by_key_config_selectorIiyEEZZNS1_16scan_by_key_implILNS1_25lookback_scan_determinismE0ELb0ES3_N6thrust23THRUST_200600_302600_NS6detail15normal_iteratorINS9_10device_ptrIiEEEENSB_INSC_IyEEEESG_yNS9_4plusIvEENS9_8equal_toIvEEyEE10hipError_tPvRmT2_T3_T4_T5_mT6_T7_P12ihipStream_tbENKUlT_T0_E_clISt17integral_constantIbLb1EES10_IbLb0EEEEDaSW_SX_EUlSW_E_NS1_11comp_targetILNS1_3genE8ELNS1_11target_archE1030ELNS1_3gpuE2ELNS1_3repE0EEENS1_30default_config_static_selectorELNS0_4arch9wavefront6targetE0EEEvT1_.has_dyn_sized_stack, 0
	.set _ZN7rocprim17ROCPRIM_400000_NS6detail17trampoline_kernelINS0_14default_configENS1_27scan_by_key_config_selectorIiyEEZZNS1_16scan_by_key_implILNS1_25lookback_scan_determinismE0ELb0ES3_N6thrust23THRUST_200600_302600_NS6detail15normal_iteratorINS9_10device_ptrIiEEEENSB_INSC_IyEEEESG_yNS9_4plusIvEENS9_8equal_toIvEEyEE10hipError_tPvRmT2_T3_T4_T5_mT6_T7_P12ihipStream_tbENKUlT_T0_E_clISt17integral_constantIbLb1EES10_IbLb0EEEEDaSW_SX_EUlSW_E_NS1_11comp_targetILNS1_3genE8ELNS1_11target_archE1030ELNS1_3gpuE2ELNS1_3repE0EEENS1_30default_config_static_selectorELNS0_4arch9wavefront6targetE0EEEvT1_.has_recursion, 0
	.set _ZN7rocprim17ROCPRIM_400000_NS6detail17trampoline_kernelINS0_14default_configENS1_27scan_by_key_config_selectorIiyEEZZNS1_16scan_by_key_implILNS1_25lookback_scan_determinismE0ELb0ES3_N6thrust23THRUST_200600_302600_NS6detail15normal_iteratorINS9_10device_ptrIiEEEENSB_INSC_IyEEEESG_yNS9_4plusIvEENS9_8equal_toIvEEyEE10hipError_tPvRmT2_T3_T4_T5_mT6_T7_P12ihipStream_tbENKUlT_T0_E_clISt17integral_constantIbLb1EES10_IbLb0EEEEDaSW_SX_EUlSW_E_NS1_11comp_targetILNS1_3genE8ELNS1_11target_archE1030ELNS1_3gpuE2ELNS1_3repE0EEENS1_30default_config_static_selectorELNS0_4arch9wavefront6targetE0EEEvT1_.has_indirect_call, 0
	.section	.AMDGPU.csdata,"",@progbits
; Kernel info:
; codeLenInByte = 0
; TotalNumSgprs: 0
; NumVgprs: 0
; ScratchSize: 0
; MemoryBound: 0
; FloatMode: 240
; IeeeMode: 1
; LDSByteSize: 0 bytes/workgroup (compile time only)
; SGPRBlocks: 0
; VGPRBlocks: 0
; NumSGPRsForWavesPerEU: 1
; NumVGPRsForWavesPerEU: 1
; NamedBarCnt: 0
; Occupancy: 16
; WaveLimiterHint : 0
; COMPUTE_PGM_RSRC2:SCRATCH_EN: 0
; COMPUTE_PGM_RSRC2:USER_SGPR: 2
; COMPUTE_PGM_RSRC2:TRAP_HANDLER: 0
; COMPUTE_PGM_RSRC2:TGID_X_EN: 1
; COMPUTE_PGM_RSRC2:TGID_Y_EN: 0
; COMPUTE_PGM_RSRC2:TGID_Z_EN: 0
; COMPUTE_PGM_RSRC2:TIDIG_COMP_CNT: 0
	.section	.text._ZN7rocprim17ROCPRIM_400000_NS6detail30init_device_scan_by_key_kernelINS1_19lookback_scan_stateINS0_5tupleIJybEEELb0ELb0EEEN6thrust23THRUST_200600_302600_NS6detail15normal_iteratorINS8_10device_ptrIiEEEEjNS1_16block_id_wrapperIjLb1EEEEEvT_jjPNSG_10value_typeET0_PNSt15iterator_traitsISJ_E10value_typeEmT1_T2_,"axG",@progbits,_ZN7rocprim17ROCPRIM_400000_NS6detail30init_device_scan_by_key_kernelINS1_19lookback_scan_stateINS0_5tupleIJybEEELb0ELb0EEEN6thrust23THRUST_200600_302600_NS6detail15normal_iteratorINS8_10device_ptrIiEEEEjNS1_16block_id_wrapperIjLb1EEEEEvT_jjPNSG_10value_typeET0_PNSt15iterator_traitsISJ_E10value_typeEmT1_T2_,comdat
	.protected	_ZN7rocprim17ROCPRIM_400000_NS6detail30init_device_scan_by_key_kernelINS1_19lookback_scan_stateINS0_5tupleIJybEEELb0ELb0EEEN6thrust23THRUST_200600_302600_NS6detail15normal_iteratorINS8_10device_ptrIiEEEEjNS1_16block_id_wrapperIjLb1EEEEEvT_jjPNSG_10value_typeET0_PNSt15iterator_traitsISJ_E10value_typeEmT1_T2_ ; -- Begin function _ZN7rocprim17ROCPRIM_400000_NS6detail30init_device_scan_by_key_kernelINS1_19lookback_scan_stateINS0_5tupleIJybEEELb0ELb0EEEN6thrust23THRUST_200600_302600_NS6detail15normal_iteratorINS8_10device_ptrIiEEEEjNS1_16block_id_wrapperIjLb1EEEEEvT_jjPNSG_10value_typeET0_PNSt15iterator_traitsISJ_E10value_typeEmT1_T2_
	.globl	_ZN7rocprim17ROCPRIM_400000_NS6detail30init_device_scan_by_key_kernelINS1_19lookback_scan_stateINS0_5tupleIJybEEELb0ELb0EEEN6thrust23THRUST_200600_302600_NS6detail15normal_iteratorINS8_10device_ptrIiEEEEjNS1_16block_id_wrapperIjLb1EEEEEvT_jjPNSG_10value_typeET0_PNSt15iterator_traitsISJ_E10value_typeEmT1_T2_
	.p2align	8
	.type	_ZN7rocprim17ROCPRIM_400000_NS6detail30init_device_scan_by_key_kernelINS1_19lookback_scan_stateINS0_5tupleIJybEEELb0ELb0EEEN6thrust23THRUST_200600_302600_NS6detail15normal_iteratorINS8_10device_ptrIiEEEEjNS1_16block_id_wrapperIjLb1EEEEEvT_jjPNSG_10value_typeET0_PNSt15iterator_traitsISJ_E10value_typeEmT1_T2_,@function
_ZN7rocprim17ROCPRIM_400000_NS6detail30init_device_scan_by_key_kernelINS1_19lookback_scan_stateINS0_5tupleIJybEEELb0ELb0EEEN6thrust23THRUST_200600_302600_NS6detail15normal_iteratorINS8_10device_ptrIiEEEEjNS1_16block_id_wrapperIjLb1EEEEEvT_jjPNSG_10value_typeET0_PNSt15iterator_traitsISJ_E10value_typeEmT1_T2_: ; @_ZN7rocprim17ROCPRIM_400000_NS6detail30init_device_scan_by_key_kernelINS1_19lookback_scan_stateINS0_5tupleIJybEEELb0ELb0EEEN6thrust23THRUST_200600_302600_NS6detail15normal_iteratorINS8_10device_ptrIiEEEEjNS1_16block_id_wrapperIjLb1EEEEEvT_jjPNSG_10value_typeET0_PNSt15iterator_traitsISJ_E10value_typeEmT1_T2_
; %bb.0:
	s_clause 0x2
	s_load_b32 s2, s[0:1], 0x5c
	s_load_b32 s18, s[0:1], 0x50
	s_load_b256 s[4:11], s[0:1], 0x10
	s_bfe_u32 s3, ttmp6, 0x4000c
	s_and_b32 s12, ttmp6, 15
	s_add_co_i32 s3, s3, 1
	s_getreg_b32 s13, hwreg(HW_REG_IB_STS2, 6, 4)
	s_mul_i32 s3, ttmp9, s3
	s_delay_alu instid0(SALU_CYCLE_1)
	s_add_co_i32 s12, s12, s3
	s_wait_kmcnt 0x0
	s_and_b32 s19, s2, 0xffff
	s_cmp_eq_u32 s13, 0
	s_cselect_b32 s2, ttmp9, s12
	s_cmp_eq_u64 s[8:9], 0
	v_mad_u32 v0, s2, s19, v0
	s_cbranch_scc1 .LBB1207_7
; %bb.1:
	s_cmp_lt_u32 s7, s6
	s_mov_b32 s20, exec_lo
	s_cselect_b32 s2, s7, 0
	s_delay_alu instid0(VALU_DEP_1) | instid1(SALU_CYCLE_1)
	v_cmpx_eq_u32_e64 s2, v0
	s_cbranch_execz .LBB1207_6
; %bb.2:
	s_add_co_i32 s2, s7, 32
	s_load_b128 s[12:15], s[0:1], 0x0
	v_mov_b32_e32 v1, s2
	s_mov_b32 s3, 0
	global_load_u8 v1, v1, s[4:5] scope:SCOPE_DEV
	s_wait_loadcnt 0x0
	v_and_b32_e32 v2, 0xffff, v1
	v_readfirstlane_b32 s7, v1
	s_delay_alu instid0(VALU_DEP_2)
	v_cmp_ne_u32_e32 vcc_lo, 0, v2
	s_cbranch_vccnz .LBB1207_5
; %bb.3:
	v_mov_b32_e32 v1, 0
	s_add_nc_u64 s[16:17], s[4:5], s[2:3]
.LBB1207_4:                             ; =>This Inner Loop Header: Depth=1
	global_load_u8 v2, v1, s[16:17] scope:SCOPE_DEV
	s_wait_loadcnt 0x0
	v_and_b32_e32 v3, 0xffff, v2
	v_readfirstlane_b32 s7, v2
	s_delay_alu instid0(VALU_DEP_2)
	v_cmp_eq_u32_e32 vcc_lo, 0, v3
	s_cbranch_vccnz .LBB1207_4
.LBB1207_5:
	s_and_b32 s7, 0xffff, s7
	v_mov_b32_e32 v1, 0
	s_cmp_eq_u32 s7, 1
	global_wb scope:SCOPE_DEV
	s_wait_storecnt 0x0
	global_inv scope:SCOPE_DEV
	s_wait_kmcnt 0x0
	s_cselect_b32 s13, s13, s15
	s_cselect_b32 s12, s12, s14
	s_lshl_b64 s[2:3], s[2:3], 4
	s_delay_alu instid0(SALU_CYCLE_1)
	s_add_nc_u64 s[2:3], s[12:13], s[2:3]
	s_clause 0x1
	global_load_b64 v[2:3], v1, s[2:3]
	global_load_u8 v4, v1, s[2:3] offset:8
	s_wait_loadcnt 0x1
	global_store_b64 v1, v[2:3], s[8:9]
	s_wait_loadcnt 0x0
	global_store_b8 v1, v4, s[8:9] offset:8
.LBB1207_6:
	s_wait_xcnt 0x0
	s_or_b32 exec_lo, exec_lo, s20
.LBB1207_7:
	s_delay_alu instid0(SALU_CYCLE_1) | instskip(NEXT) | instid1(VALU_DEP_1)
	s_mov_b32 s2, exec_lo
	v_cmpx_eq_u32_e32 0, v0
	s_cbranch_execz .LBB1207_9
; %bb.8:
	s_load_b64 s[8:9], s[0:1], 0x48
	v_mov_b32_e32 v1, 0
	s_wait_kmcnt 0x0
	global_store_b32 v1, v1, s[8:9]
.LBB1207_9:
	s_wait_xcnt 0x0
	s_or_b32 exec_lo, exec_lo, s2
	s_delay_alu instid0(SALU_CYCLE_1)
	s_mov_b32 s2, exec_lo
	v_cmpx_gt_u32_e64 s6, v0
	s_cbranch_execz .LBB1207_11
; %bb.10:
	v_dual_mov_b32 v2, 0 :: v_dual_add_nc_u32 v1, 32, v0
	global_store_b8 v1, v2, s[4:5]
.LBB1207_11:
	s_wait_xcnt 0x0
	s_or_b32 exec_lo, exec_lo, s2
	v_mov_b32_e32 v1, 0
	s_mov_b32 s2, exec_lo
	v_cmpx_gt_u32_e32 32, v0
	s_cbranch_execz .LBB1207_13
; %bb.12:
	s_delay_alu instid0(VALU_DEP_2)
	v_add_nc_u64_e32 v[2:3], s[4:5], v[0:1]
	v_mov_b32_e32 v4, 0xff
	global_store_b8 v[2:3], v4, off
.LBB1207_13:
	s_wait_xcnt 0x0
	s_or_b32 exec_lo, exec_lo, s2
	s_load_b64 s[2:3], s[0:1], 0x38
	s_mov_b32 s4, exec_lo
	s_wait_kmcnt 0x0
	v_cmpx_gt_u64_e64 s[2:3], v[0:1]
	s_cbranch_execz .LBB1207_16
; %bb.14:
	s_clause 0x1
	s_load_b32 s4, s[0:1], 0x40
	s_load_b64 s[6:7], s[0:1], 0x30
	s_mov_b32 s5, 0
	s_wait_xcnt 0x0
	s_mul_i32 s0, s18, s19
	s_mov_b32 s9, s5
	s_mov_b32 s1, s5
	s_wait_kmcnt 0x0
	v_mul_u64_e32 v[2:3], s[4:5], v[0:1]
	s_add_co_i32 s8, s4, -1
	v_lshl_add_u64 v[4:5], v[0:1], 2, s[6:7]
	s_lshl_b64 s[8:9], s[8:9], 2
	s_delay_alu instid0(SALU_CYCLE_1) | instskip(SKIP_1) | instid1(SALU_CYCLE_1)
	s_add_nc_u64 s[8:9], s[10:11], s[8:9]
	s_mul_u64 s[10:11], s[4:5], s[0:1]
	s_lshl_b64 s[6:7], s[10:11], 2
	s_delay_alu instid0(VALU_DEP_2)
	v_lshl_add_u64 v[2:3], v[2:3], 2, s[8:9]
	s_lshl_b64 s[8:9], s[0:1], 2
.LBB1207_15:                            ; =>This Inner Loop Header: Depth=1
	global_load_b32 v6, v[2:3], off
	v_add_nc_u64_e32 v[0:1], s[0:1], v[0:1]
	s_wait_xcnt 0x0
	v_add_nc_u64_e32 v[2:3], s[6:7], v[2:3]
	s_delay_alu instid0(VALU_DEP_2)
	v_cmp_le_u64_e32 vcc_lo, s[2:3], v[0:1]
	s_or_b32 s5, vcc_lo, s5
	s_wait_loadcnt 0x0
	global_store_b32 v[4:5], v6, off
	s_wait_xcnt 0x0
	v_add_nc_u64_e32 v[4:5], s[8:9], v[4:5]
	s_and_not1_b32 exec_lo, exec_lo, s5
	s_cbranch_execnz .LBB1207_15
.LBB1207_16:
	s_endpgm
	.section	.rodata,"a",@progbits
	.p2align	6, 0x0
	.amdhsa_kernel _ZN7rocprim17ROCPRIM_400000_NS6detail30init_device_scan_by_key_kernelINS1_19lookback_scan_stateINS0_5tupleIJybEEELb0ELb0EEEN6thrust23THRUST_200600_302600_NS6detail15normal_iteratorINS8_10device_ptrIiEEEEjNS1_16block_id_wrapperIjLb1EEEEEvT_jjPNSG_10value_typeET0_PNSt15iterator_traitsISJ_E10value_typeEmT1_T2_
		.amdhsa_group_segment_fixed_size 0
		.amdhsa_private_segment_fixed_size 0
		.amdhsa_kernarg_size 336
		.amdhsa_user_sgpr_count 2
		.amdhsa_user_sgpr_dispatch_ptr 0
		.amdhsa_user_sgpr_queue_ptr 0
		.amdhsa_user_sgpr_kernarg_segment_ptr 1
		.amdhsa_user_sgpr_dispatch_id 0
		.amdhsa_user_sgpr_kernarg_preload_length 0
		.amdhsa_user_sgpr_kernarg_preload_offset 0
		.amdhsa_user_sgpr_private_segment_size 0
		.amdhsa_wavefront_size32 1
		.amdhsa_uses_dynamic_stack 0
		.amdhsa_enable_private_segment 0
		.amdhsa_system_sgpr_workgroup_id_x 1
		.amdhsa_system_sgpr_workgroup_id_y 0
		.amdhsa_system_sgpr_workgroup_id_z 0
		.amdhsa_system_sgpr_workgroup_info 0
		.amdhsa_system_vgpr_workitem_id 0
		.amdhsa_next_free_vgpr 7
		.amdhsa_next_free_sgpr 21
		.amdhsa_named_barrier_count 0
		.amdhsa_reserve_vcc 1
		.amdhsa_float_round_mode_32 0
		.amdhsa_float_round_mode_16_64 0
		.amdhsa_float_denorm_mode_32 3
		.amdhsa_float_denorm_mode_16_64 3
		.amdhsa_fp16_overflow 0
		.amdhsa_memory_ordered 1
		.amdhsa_forward_progress 1
		.amdhsa_inst_pref_size 6
		.amdhsa_round_robin_scheduling 0
		.amdhsa_exception_fp_ieee_invalid_op 0
		.amdhsa_exception_fp_denorm_src 0
		.amdhsa_exception_fp_ieee_div_zero 0
		.amdhsa_exception_fp_ieee_overflow 0
		.amdhsa_exception_fp_ieee_underflow 0
		.amdhsa_exception_fp_ieee_inexact 0
		.amdhsa_exception_int_div_zero 0
	.end_amdhsa_kernel
	.section	.text._ZN7rocprim17ROCPRIM_400000_NS6detail30init_device_scan_by_key_kernelINS1_19lookback_scan_stateINS0_5tupleIJybEEELb0ELb0EEEN6thrust23THRUST_200600_302600_NS6detail15normal_iteratorINS8_10device_ptrIiEEEEjNS1_16block_id_wrapperIjLb1EEEEEvT_jjPNSG_10value_typeET0_PNSt15iterator_traitsISJ_E10value_typeEmT1_T2_,"axG",@progbits,_ZN7rocprim17ROCPRIM_400000_NS6detail30init_device_scan_by_key_kernelINS1_19lookback_scan_stateINS0_5tupleIJybEEELb0ELb0EEEN6thrust23THRUST_200600_302600_NS6detail15normal_iteratorINS8_10device_ptrIiEEEEjNS1_16block_id_wrapperIjLb1EEEEEvT_jjPNSG_10value_typeET0_PNSt15iterator_traitsISJ_E10value_typeEmT1_T2_,comdat
.Lfunc_end1207:
	.size	_ZN7rocprim17ROCPRIM_400000_NS6detail30init_device_scan_by_key_kernelINS1_19lookback_scan_stateINS0_5tupleIJybEEELb0ELb0EEEN6thrust23THRUST_200600_302600_NS6detail15normal_iteratorINS8_10device_ptrIiEEEEjNS1_16block_id_wrapperIjLb1EEEEEvT_jjPNSG_10value_typeET0_PNSt15iterator_traitsISJ_E10value_typeEmT1_T2_, .Lfunc_end1207-_ZN7rocprim17ROCPRIM_400000_NS6detail30init_device_scan_by_key_kernelINS1_19lookback_scan_stateINS0_5tupleIJybEEELb0ELb0EEEN6thrust23THRUST_200600_302600_NS6detail15normal_iteratorINS8_10device_ptrIiEEEEjNS1_16block_id_wrapperIjLb1EEEEEvT_jjPNSG_10value_typeET0_PNSt15iterator_traitsISJ_E10value_typeEmT1_T2_
                                        ; -- End function
	.set _ZN7rocprim17ROCPRIM_400000_NS6detail30init_device_scan_by_key_kernelINS1_19lookback_scan_stateINS0_5tupleIJybEEELb0ELb0EEEN6thrust23THRUST_200600_302600_NS6detail15normal_iteratorINS8_10device_ptrIiEEEEjNS1_16block_id_wrapperIjLb1EEEEEvT_jjPNSG_10value_typeET0_PNSt15iterator_traitsISJ_E10value_typeEmT1_T2_.num_vgpr, 7
	.set _ZN7rocprim17ROCPRIM_400000_NS6detail30init_device_scan_by_key_kernelINS1_19lookback_scan_stateINS0_5tupleIJybEEELb0ELb0EEEN6thrust23THRUST_200600_302600_NS6detail15normal_iteratorINS8_10device_ptrIiEEEEjNS1_16block_id_wrapperIjLb1EEEEEvT_jjPNSG_10value_typeET0_PNSt15iterator_traitsISJ_E10value_typeEmT1_T2_.num_agpr, 0
	.set _ZN7rocprim17ROCPRIM_400000_NS6detail30init_device_scan_by_key_kernelINS1_19lookback_scan_stateINS0_5tupleIJybEEELb0ELb0EEEN6thrust23THRUST_200600_302600_NS6detail15normal_iteratorINS8_10device_ptrIiEEEEjNS1_16block_id_wrapperIjLb1EEEEEvT_jjPNSG_10value_typeET0_PNSt15iterator_traitsISJ_E10value_typeEmT1_T2_.numbered_sgpr, 21
	.set _ZN7rocprim17ROCPRIM_400000_NS6detail30init_device_scan_by_key_kernelINS1_19lookback_scan_stateINS0_5tupleIJybEEELb0ELb0EEEN6thrust23THRUST_200600_302600_NS6detail15normal_iteratorINS8_10device_ptrIiEEEEjNS1_16block_id_wrapperIjLb1EEEEEvT_jjPNSG_10value_typeET0_PNSt15iterator_traitsISJ_E10value_typeEmT1_T2_.num_named_barrier, 0
	.set _ZN7rocprim17ROCPRIM_400000_NS6detail30init_device_scan_by_key_kernelINS1_19lookback_scan_stateINS0_5tupleIJybEEELb0ELb0EEEN6thrust23THRUST_200600_302600_NS6detail15normal_iteratorINS8_10device_ptrIiEEEEjNS1_16block_id_wrapperIjLb1EEEEEvT_jjPNSG_10value_typeET0_PNSt15iterator_traitsISJ_E10value_typeEmT1_T2_.private_seg_size, 0
	.set _ZN7rocprim17ROCPRIM_400000_NS6detail30init_device_scan_by_key_kernelINS1_19lookback_scan_stateINS0_5tupleIJybEEELb0ELb0EEEN6thrust23THRUST_200600_302600_NS6detail15normal_iteratorINS8_10device_ptrIiEEEEjNS1_16block_id_wrapperIjLb1EEEEEvT_jjPNSG_10value_typeET0_PNSt15iterator_traitsISJ_E10value_typeEmT1_T2_.uses_vcc, 1
	.set _ZN7rocprim17ROCPRIM_400000_NS6detail30init_device_scan_by_key_kernelINS1_19lookback_scan_stateINS0_5tupleIJybEEELb0ELb0EEEN6thrust23THRUST_200600_302600_NS6detail15normal_iteratorINS8_10device_ptrIiEEEEjNS1_16block_id_wrapperIjLb1EEEEEvT_jjPNSG_10value_typeET0_PNSt15iterator_traitsISJ_E10value_typeEmT1_T2_.uses_flat_scratch, 0
	.set _ZN7rocprim17ROCPRIM_400000_NS6detail30init_device_scan_by_key_kernelINS1_19lookback_scan_stateINS0_5tupleIJybEEELb0ELb0EEEN6thrust23THRUST_200600_302600_NS6detail15normal_iteratorINS8_10device_ptrIiEEEEjNS1_16block_id_wrapperIjLb1EEEEEvT_jjPNSG_10value_typeET0_PNSt15iterator_traitsISJ_E10value_typeEmT1_T2_.has_dyn_sized_stack, 0
	.set _ZN7rocprim17ROCPRIM_400000_NS6detail30init_device_scan_by_key_kernelINS1_19lookback_scan_stateINS0_5tupleIJybEEELb0ELb0EEEN6thrust23THRUST_200600_302600_NS6detail15normal_iteratorINS8_10device_ptrIiEEEEjNS1_16block_id_wrapperIjLb1EEEEEvT_jjPNSG_10value_typeET0_PNSt15iterator_traitsISJ_E10value_typeEmT1_T2_.has_recursion, 0
	.set _ZN7rocprim17ROCPRIM_400000_NS6detail30init_device_scan_by_key_kernelINS1_19lookback_scan_stateINS0_5tupleIJybEEELb0ELb0EEEN6thrust23THRUST_200600_302600_NS6detail15normal_iteratorINS8_10device_ptrIiEEEEjNS1_16block_id_wrapperIjLb1EEEEEvT_jjPNSG_10value_typeET0_PNSt15iterator_traitsISJ_E10value_typeEmT1_T2_.has_indirect_call, 0
	.section	.AMDGPU.csdata,"",@progbits
; Kernel info:
; codeLenInByte = 716
; TotalNumSgprs: 23
; NumVgprs: 7
; ScratchSize: 0
; MemoryBound: 0
; FloatMode: 240
; IeeeMode: 1
; LDSByteSize: 0 bytes/workgroup (compile time only)
; SGPRBlocks: 0
; VGPRBlocks: 0
; NumSGPRsForWavesPerEU: 23
; NumVGPRsForWavesPerEU: 7
; NamedBarCnt: 0
; Occupancy: 16
; WaveLimiterHint : 0
; COMPUTE_PGM_RSRC2:SCRATCH_EN: 0
; COMPUTE_PGM_RSRC2:USER_SGPR: 2
; COMPUTE_PGM_RSRC2:TRAP_HANDLER: 0
; COMPUTE_PGM_RSRC2:TGID_X_EN: 1
; COMPUTE_PGM_RSRC2:TGID_Y_EN: 0
; COMPUTE_PGM_RSRC2:TGID_Z_EN: 0
; COMPUTE_PGM_RSRC2:TIDIG_COMP_CNT: 0
	.section	.text._ZN7rocprim17ROCPRIM_400000_NS6detail30init_device_scan_by_key_kernelINS1_19lookback_scan_stateINS0_5tupleIJybEEELb0ELb0EEENS1_16block_id_wrapperIjLb1EEEEEvT_jjPNS9_10value_typeET0_,"axG",@progbits,_ZN7rocprim17ROCPRIM_400000_NS6detail30init_device_scan_by_key_kernelINS1_19lookback_scan_stateINS0_5tupleIJybEEELb0ELb0EEENS1_16block_id_wrapperIjLb1EEEEEvT_jjPNS9_10value_typeET0_,comdat
	.protected	_ZN7rocprim17ROCPRIM_400000_NS6detail30init_device_scan_by_key_kernelINS1_19lookback_scan_stateINS0_5tupleIJybEEELb0ELb0EEENS1_16block_id_wrapperIjLb1EEEEEvT_jjPNS9_10value_typeET0_ ; -- Begin function _ZN7rocprim17ROCPRIM_400000_NS6detail30init_device_scan_by_key_kernelINS1_19lookback_scan_stateINS0_5tupleIJybEEELb0ELb0EEENS1_16block_id_wrapperIjLb1EEEEEvT_jjPNS9_10value_typeET0_
	.globl	_ZN7rocprim17ROCPRIM_400000_NS6detail30init_device_scan_by_key_kernelINS1_19lookback_scan_stateINS0_5tupleIJybEEELb0ELb0EEENS1_16block_id_wrapperIjLb1EEEEEvT_jjPNS9_10value_typeET0_
	.p2align	8
	.type	_ZN7rocprim17ROCPRIM_400000_NS6detail30init_device_scan_by_key_kernelINS1_19lookback_scan_stateINS0_5tupleIJybEEELb0ELb0EEENS1_16block_id_wrapperIjLb1EEEEEvT_jjPNS9_10value_typeET0_,@function
_ZN7rocprim17ROCPRIM_400000_NS6detail30init_device_scan_by_key_kernelINS1_19lookback_scan_stateINS0_5tupleIJybEEELb0ELb0EEENS1_16block_id_wrapperIjLb1EEEEEvT_jjPNS9_10value_typeET0_: ; @_ZN7rocprim17ROCPRIM_400000_NS6detail30init_device_scan_by_key_kernelINS1_19lookback_scan_stateINS0_5tupleIJybEEELb0ELb0EEENS1_16block_id_wrapperIjLb1EEEEEvT_jjPNS9_10value_typeET0_
; %bb.0:
	s_clause 0x1
	s_load_b32 s2, s[0:1], 0x3c
	s_load_b256 s[4:11], s[0:1], 0x10
	s_bfe_u32 s3, ttmp6, 0x4000c
	s_and_b32 s12, ttmp6, 15
	s_add_co_i32 s3, s3, 1
	s_getreg_b32 s13, hwreg(HW_REG_IB_STS2, 6, 4)
	s_mul_i32 s3, ttmp9, s3
	s_delay_alu instid0(SALU_CYCLE_1)
	s_add_co_i32 s12, s12, s3
	s_wait_kmcnt 0x0
	s_and_b32 s2, s2, 0xffff
	s_cmp_eq_u32 s13, 0
	s_cselect_b32 s3, ttmp9, s12
	s_cmp_eq_u64 s[8:9], 0
	v_mad_u32 v0, s3, s2, v0
	s_cbranch_scc1 .LBB1208_7
; %bb.1:
	s_cmp_lt_u32 s7, s6
	s_mov_b32 s16, exec_lo
	s_cselect_b32 s2, s7, 0
	s_delay_alu instid0(VALU_DEP_1) | instid1(SALU_CYCLE_1)
	v_cmpx_eq_u32_e64 s2, v0
	s_cbranch_execz .LBB1208_6
; %bb.2:
	s_add_co_i32 s2, s7, 32
	s_load_b128 s[12:15], s[0:1], 0x0
	v_mov_b32_e32 v1, s2
	s_mov_b32 s3, 0
	global_load_u8 v1, v1, s[4:5] scope:SCOPE_DEV
	s_wait_loadcnt 0x0
	v_and_b32_e32 v2, 0xffff, v1
	v_readfirstlane_b32 s7, v1
	s_delay_alu instid0(VALU_DEP_2)
	v_cmp_ne_u32_e32 vcc_lo, 0, v2
	s_cbranch_vccnz .LBB1208_5
; %bb.3:
	v_mov_b32_e32 v1, 0
	s_add_nc_u64 s[0:1], s[4:5], s[2:3]
.LBB1208_4:                             ; =>This Inner Loop Header: Depth=1
	global_load_u8 v2, v1, s[0:1] scope:SCOPE_DEV
	s_wait_loadcnt 0x0
	v_and_b32_e32 v3, 0xffff, v2
	v_readfirstlane_b32 s7, v2
	s_delay_alu instid0(VALU_DEP_2)
	v_cmp_eq_u32_e32 vcc_lo, 0, v3
	s_cbranch_vccnz .LBB1208_4
.LBB1208_5:
	s_and_b32 s0, 0xffff, s7
	v_mov_b32_e32 v1, 0
	s_cmp_eq_u32 s0, 1
	global_wb scope:SCOPE_DEV
	s_wait_storecnt 0x0
	global_inv scope:SCOPE_DEV
	s_wait_kmcnt 0x0
	s_cselect_b32 s1, s13, s15
	s_cselect_b32 s0, s12, s14
	s_lshl_b64 s[2:3], s[2:3], 4
	s_delay_alu instid0(SALU_CYCLE_1)
	s_add_nc_u64 s[0:1], s[0:1], s[2:3]
	s_clause 0x1
	global_load_b64 v[2:3], v1, s[0:1]
	global_load_u8 v4, v1, s[0:1] offset:8
	s_wait_loadcnt 0x1
	global_store_b64 v1, v[2:3], s[8:9]
	s_wait_loadcnt 0x0
	global_store_b8 v1, v4, s[8:9] offset:8
.LBB1208_6:
	s_wait_xcnt 0x0
	s_or_b32 exec_lo, exec_lo, s16
.LBB1208_7:
	s_delay_alu instid0(SALU_CYCLE_1) | instskip(NEXT) | instid1(VALU_DEP_1)
	s_mov_b32 s0, exec_lo
	v_cmpx_eq_u32_e32 0, v0
	s_cbranch_execz .LBB1208_9
; %bb.8:
	v_mov_b32_e32 v1, 0
	global_store_b32 v1, v1, s[10:11]
.LBB1208_9:
	s_wait_xcnt 0x0
	s_or_b32 exec_lo, exec_lo, s0
	s_delay_alu instid0(SALU_CYCLE_1)
	s_mov_b32 s0, exec_lo
	v_cmpx_gt_u32_e64 s6, v0
	s_cbranch_execz .LBB1208_11
; %bb.10:
	v_dual_mov_b32 v2, 0 :: v_dual_add_nc_u32 v1, 32, v0
	global_store_b8 v1, v2, s[4:5]
.LBB1208_11:
	s_wait_xcnt 0x0
	s_or_b32 exec_lo, exec_lo, s0
	s_delay_alu instid0(SALU_CYCLE_1)
	s_mov_b32 s0, exec_lo
	v_cmpx_gt_u32_e32 32, v0
	s_cbranch_execz .LBB1208_13
; %bb.12:
	v_mov_b32_e32 v1, 0xff
	global_store_b8 v0, v1, s[4:5]
.LBB1208_13:
	s_endpgm
	.section	.rodata,"a",@progbits
	.p2align	6, 0x0
	.amdhsa_kernel _ZN7rocprim17ROCPRIM_400000_NS6detail30init_device_scan_by_key_kernelINS1_19lookback_scan_stateINS0_5tupleIJybEEELb0ELb0EEENS1_16block_id_wrapperIjLb1EEEEEvT_jjPNS9_10value_typeET0_
		.amdhsa_group_segment_fixed_size 0
		.amdhsa_private_segment_fixed_size 0
		.amdhsa_kernarg_size 304
		.amdhsa_user_sgpr_count 2
		.amdhsa_user_sgpr_dispatch_ptr 0
		.amdhsa_user_sgpr_queue_ptr 0
		.amdhsa_user_sgpr_kernarg_segment_ptr 1
		.amdhsa_user_sgpr_dispatch_id 0
		.amdhsa_user_sgpr_kernarg_preload_length 0
		.amdhsa_user_sgpr_kernarg_preload_offset 0
		.amdhsa_user_sgpr_private_segment_size 0
		.amdhsa_wavefront_size32 1
		.amdhsa_uses_dynamic_stack 0
		.amdhsa_enable_private_segment 0
		.amdhsa_system_sgpr_workgroup_id_x 1
		.amdhsa_system_sgpr_workgroup_id_y 0
		.amdhsa_system_sgpr_workgroup_id_z 0
		.amdhsa_system_sgpr_workgroup_info 0
		.amdhsa_system_vgpr_workitem_id 0
		.amdhsa_next_free_vgpr 5
		.amdhsa_next_free_sgpr 17
		.amdhsa_named_barrier_count 0
		.amdhsa_reserve_vcc 1
		.amdhsa_float_round_mode_32 0
		.amdhsa_float_round_mode_16_64 0
		.amdhsa_float_denorm_mode_32 3
		.amdhsa_float_denorm_mode_16_64 3
		.amdhsa_fp16_overflow 0
		.amdhsa_memory_ordered 1
		.amdhsa_forward_progress 1
		.amdhsa_inst_pref_size 4
		.amdhsa_round_robin_scheduling 0
		.amdhsa_exception_fp_ieee_invalid_op 0
		.amdhsa_exception_fp_denorm_src 0
		.amdhsa_exception_fp_ieee_div_zero 0
		.amdhsa_exception_fp_ieee_overflow 0
		.amdhsa_exception_fp_ieee_underflow 0
		.amdhsa_exception_fp_ieee_inexact 0
		.amdhsa_exception_int_div_zero 0
	.end_amdhsa_kernel
	.section	.text._ZN7rocprim17ROCPRIM_400000_NS6detail30init_device_scan_by_key_kernelINS1_19lookback_scan_stateINS0_5tupleIJybEEELb0ELb0EEENS1_16block_id_wrapperIjLb1EEEEEvT_jjPNS9_10value_typeET0_,"axG",@progbits,_ZN7rocprim17ROCPRIM_400000_NS6detail30init_device_scan_by_key_kernelINS1_19lookback_scan_stateINS0_5tupleIJybEEELb0ELb0EEENS1_16block_id_wrapperIjLb1EEEEEvT_jjPNS9_10value_typeET0_,comdat
.Lfunc_end1208:
	.size	_ZN7rocprim17ROCPRIM_400000_NS6detail30init_device_scan_by_key_kernelINS1_19lookback_scan_stateINS0_5tupleIJybEEELb0ELb0EEENS1_16block_id_wrapperIjLb1EEEEEvT_jjPNS9_10value_typeET0_, .Lfunc_end1208-_ZN7rocprim17ROCPRIM_400000_NS6detail30init_device_scan_by_key_kernelINS1_19lookback_scan_stateINS0_5tupleIJybEEELb0ELb0EEENS1_16block_id_wrapperIjLb1EEEEEvT_jjPNS9_10value_typeET0_
                                        ; -- End function
	.set _ZN7rocprim17ROCPRIM_400000_NS6detail30init_device_scan_by_key_kernelINS1_19lookback_scan_stateINS0_5tupleIJybEEELb0ELb0EEENS1_16block_id_wrapperIjLb1EEEEEvT_jjPNS9_10value_typeET0_.num_vgpr, 5
	.set _ZN7rocprim17ROCPRIM_400000_NS6detail30init_device_scan_by_key_kernelINS1_19lookback_scan_stateINS0_5tupleIJybEEELb0ELb0EEENS1_16block_id_wrapperIjLb1EEEEEvT_jjPNS9_10value_typeET0_.num_agpr, 0
	.set _ZN7rocprim17ROCPRIM_400000_NS6detail30init_device_scan_by_key_kernelINS1_19lookback_scan_stateINS0_5tupleIJybEEELb0ELb0EEENS1_16block_id_wrapperIjLb1EEEEEvT_jjPNS9_10value_typeET0_.numbered_sgpr, 17
	.set _ZN7rocprim17ROCPRIM_400000_NS6detail30init_device_scan_by_key_kernelINS1_19lookback_scan_stateINS0_5tupleIJybEEELb0ELb0EEENS1_16block_id_wrapperIjLb1EEEEEvT_jjPNS9_10value_typeET0_.num_named_barrier, 0
	.set _ZN7rocprim17ROCPRIM_400000_NS6detail30init_device_scan_by_key_kernelINS1_19lookback_scan_stateINS0_5tupleIJybEEELb0ELb0EEENS1_16block_id_wrapperIjLb1EEEEEvT_jjPNS9_10value_typeET0_.private_seg_size, 0
	.set _ZN7rocprim17ROCPRIM_400000_NS6detail30init_device_scan_by_key_kernelINS1_19lookback_scan_stateINS0_5tupleIJybEEELb0ELb0EEENS1_16block_id_wrapperIjLb1EEEEEvT_jjPNS9_10value_typeET0_.uses_vcc, 1
	.set _ZN7rocprim17ROCPRIM_400000_NS6detail30init_device_scan_by_key_kernelINS1_19lookback_scan_stateINS0_5tupleIJybEEELb0ELb0EEENS1_16block_id_wrapperIjLb1EEEEEvT_jjPNS9_10value_typeET0_.uses_flat_scratch, 0
	.set _ZN7rocprim17ROCPRIM_400000_NS6detail30init_device_scan_by_key_kernelINS1_19lookback_scan_stateINS0_5tupleIJybEEELb0ELb0EEENS1_16block_id_wrapperIjLb1EEEEEvT_jjPNS9_10value_typeET0_.has_dyn_sized_stack, 0
	.set _ZN7rocprim17ROCPRIM_400000_NS6detail30init_device_scan_by_key_kernelINS1_19lookback_scan_stateINS0_5tupleIJybEEELb0ELb0EEENS1_16block_id_wrapperIjLb1EEEEEvT_jjPNS9_10value_typeET0_.has_recursion, 0
	.set _ZN7rocprim17ROCPRIM_400000_NS6detail30init_device_scan_by_key_kernelINS1_19lookback_scan_stateINS0_5tupleIJybEEELb0ELb0EEENS1_16block_id_wrapperIjLb1EEEEEvT_jjPNS9_10value_typeET0_.has_indirect_call, 0
	.section	.AMDGPU.csdata,"",@progbits
; Kernel info:
; codeLenInByte = 488
; TotalNumSgprs: 19
; NumVgprs: 5
; ScratchSize: 0
; MemoryBound: 0
; FloatMode: 240
; IeeeMode: 1
; LDSByteSize: 0 bytes/workgroup (compile time only)
; SGPRBlocks: 0
; VGPRBlocks: 0
; NumSGPRsForWavesPerEU: 19
; NumVGPRsForWavesPerEU: 5
; NamedBarCnt: 0
; Occupancy: 16
; WaveLimiterHint : 0
; COMPUTE_PGM_RSRC2:SCRATCH_EN: 0
; COMPUTE_PGM_RSRC2:USER_SGPR: 2
; COMPUTE_PGM_RSRC2:TRAP_HANDLER: 0
; COMPUTE_PGM_RSRC2:TGID_X_EN: 1
; COMPUTE_PGM_RSRC2:TGID_Y_EN: 0
; COMPUTE_PGM_RSRC2:TGID_Z_EN: 0
; COMPUTE_PGM_RSRC2:TIDIG_COMP_CNT: 0
	.section	.text._ZN7rocprim17ROCPRIM_400000_NS6detail17trampoline_kernelINS0_14default_configENS1_27scan_by_key_config_selectorIiyEEZZNS1_16scan_by_key_implILNS1_25lookback_scan_determinismE0ELb0ES3_N6thrust23THRUST_200600_302600_NS6detail15normal_iteratorINS9_10device_ptrIiEEEENSB_INSC_IyEEEESG_yNS9_4plusIvEENS9_8equal_toIvEEyEE10hipError_tPvRmT2_T3_T4_T5_mT6_T7_P12ihipStream_tbENKUlT_T0_E_clISt17integral_constantIbLb0EES10_IbLb1EEEEDaSW_SX_EUlSW_E_NS1_11comp_targetILNS1_3genE0ELNS1_11target_archE4294967295ELNS1_3gpuE0ELNS1_3repE0EEENS1_30default_config_static_selectorELNS0_4arch9wavefront6targetE0EEEvT1_,"axG",@progbits,_ZN7rocprim17ROCPRIM_400000_NS6detail17trampoline_kernelINS0_14default_configENS1_27scan_by_key_config_selectorIiyEEZZNS1_16scan_by_key_implILNS1_25lookback_scan_determinismE0ELb0ES3_N6thrust23THRUST_200600_302600_NS6detail15normal_iteratorINS9_10device_ptrIiEEEENSB_INSC_IyEEEESG_yNS9_4plusIvEENS9_8equal_toIvEEyEE10hipError_tPvRmT2_T3_T4_T5_mT6_T7_P12ihipStream_tbENKUlT_T0_E_clISt17integral_constantIbLb0EES10_IbLb1EEEEDaSW_SX_EUlSW_E_NS1_11comp_targetILNS1_3genE0ELNS1_11target_archE4294967295ELNS1_3gpuE0ELNS1_3repE0EEENS1_30default_config_static_selectorELNS0_4arch9wavefront6targetE0EEEvT1_,comdat
	.protected	_ZN7rocprim17ROCPRIM_400000_NS6detail17trampoline_kernelINS0_14default_configENS1_27scan_by_key_config_selectorIiyEEZZNS1_16scan_by_key_implILNS1_25lookback_scan_determinismE0ELb0ES3_N6thrust23THRUST_200600_302600_NS6detail15normal_iteratorINS9_10device_ptrIiEEEENSB_INSC_IyEEEESG_yNS9_4plusIvEENS9_8equal_toIvEEyEE10hipError_tPvRmT2_T3_T4_T5_mT6_T7_P12ihipStream_tbENKUlT_T0_E_clISt17integral_constantIbLb0EES10_IbLb1EEEEDaSW_SX_EUlSW_E_NS1_11comp_targetILNS1_3genE0ELNS1_11target_archE4294967295ELNS1_3gpuE0ELNS1_3repE0EEENS1_30default_config_static_selectorELNS0_4arch9wavefront6targetE0EEEvT1_ ; -- Begin function _ZN7rocprim17ROCPRIM_400000_NS6detail17trampoline_kernelINS0_14default_configENS1_27scan_by_key_config_selectorIiyEEZZNS1_16scan_by_key_implILNS1_25lookback_scan_determinismE0ELb0ES3_N6thrust23THRUST_200600_302600_NS6detail15normal_iteratorINS9_10device_ptrIiEEEENSB_INSC_IyEEEESG_yNS9_4plusIvEENS9_8equal_toIvEEyEE10hipError_tPvRmT2_T3_T4_T5_mT6_T7_P12ihipStream_tbENKUlT_T0_E_clISt17integral_constantIbLb0EES10_IbLb1EEEEDaSW_SX_EUlSW_E_NS1_11comp_targetILNS1_3genE0ELNS1_11target_archE4294967295ELNS1_3gpuE0ELNS1_3repE0EEENS1_30default_config_static_selectorELNS0_4arch9wavefront6targetE0EEEvT1_
	.globl	_ZN7rocprim17ROCPRIM_400000_NS6detail17trampoline_kernelINS0_14default_configENS1_27scan_by_key_config_selectorIiyEEZZNS1_16scan_by_key_implILNS1_25lookback_scan_determinismE0ELb0ES3_N6thrust23THRUST_200600_302600_NS6detail15normal_iteratorINS9_10device_ptrIiEEEENSB_INSC_IyEEEESG_yNS9_4plusIvEENS9_8equal_toIvEEyEE10hipError_tPvRmT2_T3_T4_T5_mT6_T7_P12ihipStream_tbENKUlT_T0_E_clISt17integral_constantIbLb0EES10_IbLb1EEEEDaSW_SX_EUlSW_E_NS1_11comp_targetILNS1_3genE0ELNS1_11target_archE4294967295ELNS1_3gpuE0ELNS1_3repE0EEENS1_30default_config_static_selectorELNS0_4arch9wavefront6targetE0EEEvT1_
	.p2align	8
	.type	_ZN7rocprim17ROCPRIM_400000_NS6detail17trampoline_kernelINS0_14default_configENS1_27scan_by_key_config_selectorIiyEEZZNS1_16scan_by_key_implILNS1_25lookback_scan_determinismE0ELb0ES3_N6thrust23THRUST_200600_302600_NS6detail15normal_iteratorINS9_10device_ptrIiEEEENSB_INSC_IyEEEESG_yNS9_4plusIvEENS9_8equal_toIvEEyEE10hipError_tPvRmT2_T3_T4_T5_mT6_T7_P12ihipStream_tbENKUlT_T0_E_clISt17integral_constantIbLb0EES10_IbLb1EEEEDaSW_SX_EUlSW_E_NS1_11comp_targetILNS1_3genE0ELNS1_11target_archE4294967295ELNS1_3gpuE0ELNS1_3repE0EEENS1_30default_config_static_selectorELNS0_4arch9wavefront6targetE0EEEvT1_,@function
_ZN7rocprim17ROCPRIM_400000_NS6detail17trampoline_kernelINS0_14default_configENS1_27scan_by_key_config_selectorIiyEEZZNS1_16scan_by_key_implILNS1_25lookback_scan_determinismE0ELb0ES3_N6thrust23THRUST_200600_302600_NS6detail15normal_iteratorINS9_10device_ptrIiEEEENSB_INSC_IyEEEESG_yNS9_4plusIvEENS9_8equal_toIvEEyEE10hipError_tPvRmT2_T3_T4_T5_mT6_T7_P12ihipStream_tbENKUlT_T0_E_clISt17integral_constantIbLb0EES10_IbLb1EEEEDaSW_SX_EUlSW_E_NS1_11comp_targetILNS1_3genE0ELNS1_11target_archE4294967295ELNS1_3gpuE0ELNS1_3repE0EEENS1_30default_config_static_selectorELNS0_4arch9wavefront6targetE0EEEvT1_: ; @_ZN7rocprim17ROCPRIM_400000_NS6detail17trampoline_kernelINS0_14default_configENS1_27scan_by_key_config_selectorIiyEEZZNS1_16scan_by_key_implILNS1_25lookback_scan_determinismE0ELb0ES3_N6thrust23THRUST_200600_302600_NS6detail15normal_iteratorINS9_10device_ptrIiEEEENSB_INSC_IyEEEESG_yNS9_4plusIvEENS9_8equal_toIvEEyEE10hipError_tPvRmT2_T3_T4_T5_mT6_T7_P12ihipStream_tbENKUlT_T0_E_clISt17integral_constantIbLb0EES10_IbLb1EEEEDaSW_SX_EUlSW_E_NS1_11comp_targetILNS1_3genE0ELNS1_11target_archE4294967295ELNS1_3gpuE0ELNS1_3repE0EEENS1_30default_config_static_selectorELNS0_4arch9wavefront6targetE0EEEvT1_
; %bb.0:
	s_clause 0x1
	s_load_b256 s[20:27], s[0:1], 0x30
	s_load_b64 s[34:35], s[0:1], 0x50
	v_cmp_ne_u32_e64 s3, 0, v0
	v_cmp_eq_u32_e64 s2, 0, v0
	s_and_saveexec_b32 s4, s2
	s_cbranch_execz .LBB1209_4
; %bb.1:
	s_mov_b32 s6, exec_lo
	s_mov_b32 s5, exec_lo
	v_mbcnt_lo_u32_b32 v1, s6, 0
                                        ; implicit-def: $vgpr2
	s_delay_alu instid0(VALU_DEP_1)
	v_cmpx_eq_u32_e32 0, v1
	s_cbranch_execz .LBB1209_3
; %bb.2:
	s_load_b64 s[8:9], s[0:1], 0x80
	s_bcnt1_i32_b32 s6, s6
	s_delay_alu instid0(SALU_CYCLE_1)
	v_dual_mov_b32 v2, 0 :: v_dual_mov_b32 v3, s6
	s_wait_xcnt 0x0
	s_wait_kmcnt 0x0
	global_atomic_add_u32 v2, v2, v3, s[8:9] th:TH_ATOMIC_RETURN scope:SCOPE_DEV
.LBB1209_3:
	s_wait_xcnt 0x0
	s_or_b32 exec_lo, exec_lo, s5
	s_wait_loadcnt 0x0
	v_readfirstlane_b32 s5, v2
	s_delay_alu instid0(VALU_DEP_1)
	v_dual_mov_b32 v2, 0 :: v_dual_add_nc_u32 v1, s5, v1
	ds_store_b32 v2, v1
.LBB1209_4:
	s_or_b32 exec_lo, exec_lo, s4
	v_mov_b32_e32 v1, 0
	s_clause 0x2
	s_load_b256 s[12:19], s[0:1], 0x0
	s_load_b32 s44, s[0:1], 0x58
	s_load_b256 s[36:43], s[0:1], 0x60
	s_wait_dscnt 0x0
	s_barrier_signal -1
	s_barrier_wait -1
	ds_load_b32 v2, v1
	s_mov_b32 s45, 0
	s_wait_dscnt 0x0
	s_mov_b32 s9, s45
	s_barrier_signal -1
	s_barrier_wait -1
	s_barrier_signal -1
	s_barrier_wait -1
	s_wait_kmcnt 0x0
	s_lshl_b64 s[28:29], s[14:15], 3
	s_mul_u64 s[6:7], s[34:35], s[44:45]
	s_add_nc_u64 s[4:5], s[16:17], s[28:29]
	s_lshl_b64 s[0:1], s[14:15], 2
	s_cmp_lg_u64 s[40:41], 0
	s_add_nc_u64 s[0:1], s[12:13], s[0:1]
	s_cselect_b32 s40, -1, 0
	v_readfirstlane_b32 s44, v2
	s_add_nc_u64 s[16:17], s[6:7], s[44:45]
	s_add_nc_u64 s[6:7], s[36:37], -1
	s_mul_i32 s8, s44, 0x500
	v_cmp_ge_u64_e64 s27, s[16:17], s[6:7]
	s_lshl_b64 s[10:11], s[8:9], 2
	s_lshl_b64 s[30:31], s[8:9], 3
	s_add_nc_u64 s[14:15], s[0:1], s[10:11]
	s_add_nc_u64 s[12:13], s[4:5], s[30:31]
	s_mul_i32 s33, s6, 0xfffffb00
	s_and_b32 vcc_lo, exec_lo, s27
	s_cbranch_vccz .LBB1209_28
; %bb.5:
	flat_load_b32 v1, v1, s[14:15]
	s_add_co_i32 s41, s33, s26
	s_delay_alu instid0(SALU_CYCLE_1)
	v_cmp_gt_u32_e64 s0, s41, v0
	s_wait_loadcnt_dscnt 0x0
	v_mov_b32_e32 v2, v1
	s_and_saveexec_b32 s1, s0
	s_cbranch_execz .LBB1209_7
; %bb.6:
	flat_load_b32 v2, v0, s[14:15] scale_offset
.LBB1209_7:
	s_wait_xcnt 0x0
	s_or_b32 exec_lo, exec_lo, s1
	v_or_b32_e32 v3, 0x80, v0
	s_delay_alu instid0(VALU_DEP_1)
	v_cmp_gt_u32_e64 s1, s41, v3
	v_mov_b32_e32 v3, v1
	s_and_saveexec_b32 s4, s1
	s_cbranch_execz .LBB1209_9
; %bb.8:
	flat_load_b32 v3, v0, s[14:15] offset:512 scale_offset
.LBB1209_9:
	s_wait_xcnt 0x0
	s_or_b32 exec_lo, exec_lo, s4
	v_or_b32_e32 v4, 0x100, v0
	s_delay_alu instid0(VALU_DEP_1)
	v_cmp_gt_u32_e64 s4, s41, v4
	v_mov_b32_e32 v4, v1
	s_and_saveexec_b32 s5, s4
	s_cbranch_execz .LBB1209_11
; %bb.10:
	flat_load_b32 v4, v0, s[14:15] offset:1024 scale_offset
.LBB1209_11:
	;; [unrolled: 11-line block ×8, first 2 shown]
	s_wait_xcnt 0x0
	s_or_b32 exec_lo, exec_lo, s11
	v_or_b32_e32 v11, 0x480, v0
	s_mov_b32 s36, exec_lo
	s_delay_alu instid0(VALU_DEP_1) | instskip(SKIP_2) | instid1(SALU_CYCLE_1)
	v_cmp_gt_u32_e64 s11, s41, v11
	v_cmpx_le_u32_e64 s41, v11
	s_xor_b32 s36, exec_lo, s36
	s_and_not1_saveexec_b32 s36, s36
	s_cbranch_execz .LBB1209_25
; %bb.24:
	flat_load_b32 v1, v0, s[14:15] offset:4608 scale_offset
.LBB1209_25:
	s_wait_xcnt 0x0
	s_or_b32 exec_lo, exec_lo, s36
	v_lshlrev_b32_e32 v11, 2, v0
	s_cmp_eq_u64 s[16:17], 0
	s_mov_b64 s[36:37], s[14:15]
	s_wait_loadcnt_dscnt 0x0
	ds_store_2addr_stride64_b32 v11, v2, v3 offset1:2
	ds_store_2addr_stride64_b32 v11, v4, v5 offset0:4 offset1:6
	ds_store_2addr_stride64_b32 v11, v6, v7 offset0:8 offset1:10
	;; [unrolled: 1-line block ×4, first 2 shown]
	v_mad_u32_u24 v1, v0, 36, v11
	s_wait_dscnt 0x0
	s_barrier_signal -1
	s_barrier_wait -1
	ds_load_2addr_b64 v[36:39], v1 offset1:1
	ds_load_2addr_b32 v[8:9], v1 offset0:1 offset1:2
	ds_load_2addr_b32 v[16:17], v1 offset0:3 offset1:4
	;; [unrolled: 1-line block ×3, first 2 shown]
	ds_load_b32 v48, v1 offset:36
	ds_load_2addr_b32 v[42:43], v1 offset0:5 offset1:6
	s_cbranch_scc1 .LBB1209_31
; %bb.26:
	s_and_not1_b32 vcc_lo, exec_lo, s40
	s_cbranch_vccnz .LBB1209_29
; %bb.27:
	s_lshl_b64 s[36:37], s[16:17], 2
	s_delay_alu instid0(SALU_CYCLE_1) | instskip(NEXT) | instid1(SALU_CYCLE_1)
	s_add_nc_u64 s[36:37], s[42:43], s[36:37]
	s_add_nc_u64 s[36:37], s[36:37], -4
	s_branch .LBB1209_30
.LBB1209_28:
                                        ; implicit-def: $sgpr6
                                        ; implicit-def: $vgpr51
                                        ; implicit-def: $vgpr46
                                        ; implicit-def: $vgpr49
                                        ; implicit-def: $vgpr50
                                        ; implicit-def: $vgpr16_vgpr17
                                        ; implicit-def: $vgpr26_vgpr27
                                        ; implicit-def: $vgpr30_vgpr31
                                        ; implicit-def: $vgpr34_vgpr35
                                        ; implicit-def: $vgpr4_vgpr5
                                        ; implicit-def: $vgpr58
                                        ; implicit-def: $vgpr59
                                        ; implicit-def: $vgpr63
                                        ; implicit-def: $vgpr54
                                        ; implicit-def: $vgpr55
                                        ; implicit-def: $vgpr47
                                        ; implicit-def: $vgpr56
                                        ; implicit-def: $vgpr57
                                        ; implicit-def: $vgpr53
                                        ; implicit-def: $vgpr22_vgpr23
                                        ; implicit-def: $vgpr44_vgpr45
                                        ; implicit-def: $vgpr18_vgpr19
                                        ; implicit-def: $vgpr20_vgpr21
                                        ; implicit-def: $vgpr10_vgpr11
                                        ; implicit-def: $vgpr12_vgpr13
                                        ; implicit-def: $vgpr6_vgpr7
                                        ; implicit-def: $vgpr1
	s_cbranch_execnz .LBB1209_63
	s_branch .LBB1209_80
.LBB1209_29:
	s_add_nc_u64 s[36:37], s[14:15], -4
	s_mov_b32 s45, -1
.LBB1209_30:
	s_delay_alu instid0(SALU_CYCLE_1)
	s_and_not1_b32 vcc_lo, exec_lo, s45
.LBB1209_31:
	v_mov_b32_e32 v2, 0
	v_mad_i32_i24 v1, 0xffffffdc, v0, v1
	flat_load_b32 v60, v2, s[36:37]
	s_wait_dscnt 0x2
	ds_store_b32 v1, v48 offset:5120
	s_wait_loadcnt_dscnt 0x0
	s_barrier_signal -1
	s_barrier_wait -1
	s_and_saveexec_b32 s36, s3
; %bb.32:
	ds_load_b32 v60, v1 offset:5116
; %bb.33:
	s_or_b32 exec_lo, exec_lo, s36
	s_wait_dscnt 0x0
	s_barrier_signal -1
	s_barrier_wait -1
                                        ; implicit-def: $vgpr2_vgpr3
	s_and_saveexec_b32 s36, s0
	s_cbranch_execnz .LBB1209_66
; %bb.34:
	s_or_b32 exec_lo, exec_lo, s36
                                        ; implicit-def: $vgpr4_vgpr5
	s_and_saveexec_b32 s0, s1
	s_cbranch_execnz .LBB1209_67
.LBB1209_35:
	s_or_b32 exec_lo, exec_lo, s0
                                        ; implicit-def: $vgpr6_vgpr7
	s_and_saveexec_b32 s0, s4
	s_cbranch_execnz .LBB1209_68
.LBB1209_36:
	s_or_b32 exec_lo, exec_lo, s0
                                        ; implicit-def: $vgpr10_vgpr11
	s_and_saveexec_b32 s0, s5
	s_cbranch_execnz .LBB1209_69
.LBB1209_37:
	s_or_b32 exec_lo, exec_lo, s0
                                        ; implicit-def: $vgpr12_vgpr13
	s_and_saveexec_b32 s0, s6
	s_cbranch_execnz .LBB1209_70
.LBB1209_38:
	s_or_b32 exec_lo, exec_lo, s0
                                        ; implicit-def: $vgpr14_vgpr15
	s_and_saveexec_b32 s0, s7
	s_cbranch_execnz .LBB1209_71
.LBB1209_39:
	s_or_b32 exec_lo, exec_lo, s0
                                        ; implicit-def: $vgpr18_vgpr19
	s_and_saveexec_b32 s0, s8
	s_cbranch_execnz .LBB1209_72
.LBB1209_40:
	s_or_b32 exec_lo, exec_lo, s0
                                        ; implicit-def: $vgpr20_vgpr21
	s_and_saveexec_b32 s0, s9
	s_cbranch_execnz .LBB1209_73
.LBB1209_41:
	s_or_b32 exec_lo, exec_lo, s0
                                        ; implicit-def: $vgpr22_vgpr23
	s_and_saveexec_b32 s0, s10
	s_cbranch_execnz .LBB1209_74
.LBB1209_42:
	s_or_b32 exec_lo, exec_lo, s0
                                        ; implicit-def: $vgpr24_vgpr25
	s_and_saveexec_b32 s0, s11
	s_cbranch_execz .LBB1209_44
.LBB1209_43:
	flat_load_b64 v[24:25], v0, s[12:13] offset:9216 scale_offset
.LBB1209_44:
	s_wait_xcnt 0x0
	s_or_b32 exec_lo, exec_lo, s0
	v_lshl_add_u32 v61, v0, 2, v1
	v_mul_u32_u24_e32 v52, 10, v0
	v_mov_b64_e32 v[26:27], 0
	v_mov_b64_e32 v[30:31], 0
	;; [unrolled: 1-line block ×3, first 2 shown]
	s_wait_loadcnt_dscnt 0x0
	ds_store_2addr_stride64_b64 v61, v[2:3], v[4:5] offset1:2
	ds_store_2addr_stride64_b64 v61, v[6:7], v[10:11] offset0:4 offset1:6
	ds_store_2addr_stride64_b64 v61, v[12:13], v[14:15] offset0:8 offset1:10
	;; [unrolled: 1-line block ×4, first 2 shown]
	v_mov_b64_e32 v[24:25], 0
	v_mov_b64_e32 v[34:35], 0
	;; [unrolled: 1-line block ×13, first 2 shown]
	v_cmp_gt_u32_e32 vcc_lo, s41, v52
	v_dual_mov_b32 v51, 0 :: v_dual_mov_b32 v46, 0
	v_dual_mov_b32 v49, 0 :: v_dual_mov_b32 v50, 0
	;; [unrolled: 1-line block ×7, first 2 shown]
	s_mov_b32 s5, 0
	s_mov_b32 s45, 0
	s_wait_dscnt 0x0
	s_barrier_signal -1
	s_barrier_wait -1
                                        ; implicit-def: $sgpr6
	s_and_saveexec_b32 s7, vcc_lo
	s_cbranch_execz .LBB1209_62
; %bb.45:
	v_mad_u32_u24 v1, 0x48, v0, v61
	v_dual_mov_b32 v51, 0 :: v_dual_bitop2_b32 v4, 1, v52 bitop3:0x54
	v_mov_b64_e32 v[26:27], 0
	v_mov_b64_e32 v[24:25], 0
	ds_load_b64 v[2:3], v1
	v_cmp_gt_u32_e64 s0, s41, v4
	v_mov_b64_e32 v[30:31], 0
	v_mov_b64_e32 v[28:29], 0
	;; [unrolled: 1-line block ×13, first 2 shown]
	v_dual_mov_b32 v46, 0 :: v_dual_mov_b32 v49, 0
	v_dual_mov_b32 v50, 0 :: v_dual_mov_b32 v59, 0
	;; [unrolled: 1-line block ×5, first 2 shown]
	s_mov_b32 s1, 0
	v_cmp_ne_u32_e32 vcc_lo, v60, v36
                                        ; implicit-def: $sgpr6
	s_and_saveexec_b32 s8, s0
	s_cbranch_execz .LBB1209_61
; %bb.46:
	v_mul_u32_u24_e32 v1, 0x48, v0
	v_cmp_ne_u32_e64 s0, v38, v16
	v_cmp_ne_u32_e64 s4, v37, v9
	v_mov_b64_e32 v[26:27], 0
	v_mov_b64_e32 v[24:25], 0
	v_dual_add_nc_u32 v16, v61, v1 :: v_dual_add_nc_u32 v5, 2, v52
	s_delay_alu instid0(VALU_DEP_4)
	v_cndmask_b32_e64 v4, 0, 1, s4
	v_cmp_ne_u32_e64 s4, v36, v8
	v_mov_b64_e32 v[30:31], 0
	ds_load_2addr_b64 v[6:9], v16 offset0:1 offset1:2
	v_mov_b64_e32 v[28:29], 0
	v_mov_b64_e32 v[34:35], 0
	;; [unrolled: 1-line block ×10, first 2 shown]
	v_cmp_ne_u32_e64 s1, v39, v17
	v_cndmask_b32_e64 v1, 0, 1, s4
	v_lshlrev_b16 v4, 8, v4
	v_cmp_gt_u32_e64 s4, s41, v5
	v_dual_mov_b32 v46, 0 :: v_dual_mov_b32 v49, 0
	v_dual_mov_b32 v50, 0 :: v_dual_mov_b32 v59, 0
	;; [unrolled: 1-line block ×5, first 2 shown]
	s_mov_b32 s10, 0
                                        ; implicit-def: $sgpr6
	s_and_saveexec_b32 s9, s4
	s_cbranch_execz .LBB1209_60
; %bb.47:
	v_cndmask_b32_e64 v5, 0, 1, s1
	v_cndmask_b32_e64 v10, 0, 1, s0
	v_and_b32_e32 v11, 0xffff, v4
	v_mov_b64_e32 v[26:27], 0
	v_mov_b64_e32 v[24:25], 0
	v_lshlrev_b16 v5, 8, v5
	v_mov_b32_e32 v50, 0
	v_mov_b64_e32 v[30:31], 0
	v_mov_b64_e32 v[28:29], 0
	;; [unrolled: 1-line block ×3, first 2 shown]
	v_or_b32_e32 v5, v10, v5
	v_mov_b64_e32 v[14:15], 0
	v_mov_b64_e32 v[22:23], 0
	;; [unrolled: 1-line block ×4, first 2 shown]
	v_dual_lshlrev_b32 v32, 16, v5 :: v_dual_mov_b32 v54, 0
	v_mov_b64_e32 v[20:21], 0
	v_dual_mov_b32 v49, 0 :: v_dual_add_nc_u32 v12, 3, v52
	s_delay_alu instid0(VALU_DEP_3) | instskip(SKIP_2) | instid1(VALU_DEP_3)
	v_dual_mov_b32 v55, 0 :: v_dual_bitop2_b32 v13, v11, v32 bitop3:0x54
	v_mov_b64_e32 v[10:11], 0
	v_dual_mov_b32 v59, 0 :: v_dual_mov_b32 v63, 0
	v_dual_mov_b32 v53, 0 :: v_dual_lshrrev_b32 v46, 8, v13
	s_mov_b32 s1, 0
	s_mov_b32 s10, exec_lo
                                        ; implicit-def: $sgpr6
	v_cmpx_gt_u32_e64 s41, v12
	s_cbranch_execz .LBB1209_59
; %bb.48:
	ds_load_2addr_b64 v[10:13], v16 offset0:3 offset1:4
	v_dual_add_nc_u32 v14, 4, v52 :: v_dual_mov_b32 v50, 0
	v_mov_b64_e32 v[26:27], 0
	v_mov_b64_e32 v[24:25], 0
	;; [unrolled: 1-line block ×3, first 2 shown]
	s_delay_alu instid0(VALU_DEP_4)
	v_cmp_gt_u32_e64 s0, s41, v14
	v_mov_b64_e32 v[28:29], 0
	v_mov_b64_e32 v[14:15], 0
	;; [unrolled: 1-line block ×6, first 2 shown]
	v_dual_mov_b32 v59, 0 :: v_dual_mov_b32 v63, 0
	v_dual_mov_b32 v54, 0 :: v_dual_mov_b32 v55, 0
                                        ; implicit-def: $sgpr6
	s_and_saveexec_b32 s11, s0
	s_cbranch_execz .LBB1209_58
; %bb.49:
	v_dual_mov_b32 v59, 0 :: v_dual_add_nc_u32 v14, 5, v52
	v_mov_b64_e32 v[26:27], 0
	v_mov_b64_e32 v[24:25], 0
	;; [unrolled: 1-line block ×3, first 2 shown]
	s_delay_alu instid0(VALU_DEP_4)
	v_cmp_gt_u32_e64 s0, s41, v14
	v_mov_b64_e32 v[14:15], 0
	v_mov_b64_e32 v[22:23], 0
	;; [unrolled: 1-line block ×4, first 2 shown]
	v_dual_mov_b32 v63, 0 :: v_dual_mov_b32 v54, 0
	v_mov_b32_e32 v55, 0
                                        ; implicit-def: $sgpr6
	s_and_saveexec_b32 s36, s0
	s_cbranch_execz .LBB1209_57
; %bb.50:
	ds_load_2addr_b64 v[18:21], v16 offset0:5 offset1:6
	v_cmp_ne_u32_e64 s0, v42, v43
	v_dual_add_nc_u32 v15, 6, v52 :: v_dual_mov_b32 v63, 0
	v_cmp_ne_u32_e64 s4, v17, v42
	v_mov_b64_e32 v[26:27], 0
	s_delay_alu instid0(VALU_DEP_4)
	v_cndmask_b32_e64 v14, 0, 1, s0
	v_mov_b64_e32 v[24:25], 0
	v_mov_b64_e32 v[22:23], 0
	v_cndmask_b32_e64 v29, 0, 1, s4
	v_cmp_gt_u32_e64 s4, s41, v15
	v_lshlrev_b16 v28, 8, v14
	v_mov_b64_e32 v[14:15], 0
	v_mov_b64_e32 v[44:45], 0
	v_cmp_ne_u32_e64 s0, v43, v40
	v_cmp_ne_u32_e64 s1, v40, v41
	v_dual_mov_b32 v54, 0 :: v_dual_mov_b32 v55, 0
                                        ; implicit-def: $sgpr6
	s_and_saveexec_b32 s37, s4
	s_cbranch_execz .LBB1209_56
; %bb.51:
	v_cndmask_b32_e64 v14, 0, 1, s1
	v_cndmask_b32_e64 v15, 0, 1, s0
	v_mov_b64_e32 v[22:23], 0
	s_mov_b32 s4, 0
	s_mov_b32 s1, exec_lo
	v_lshlrev_b16 v14, 8, v14
                                        ; implicit-def: $sgpr6
	v_dual_mov_b32 v54, 0 :: v_dual_add_nc_u32 v17, 7, v52
	s_delay_alu instid0(VALU_DEP_2) | instskip(SKIP_1) | instid1(VALU_DEP_2)
	v_dual_mov_b32 v55, 0 :: v_dual_bitop2_b32 v26, v15, v14 bitop3:0x54
	v_and_b32_e32 v14, 0xffff, v28
	v_lshlrev_b32_e32 v27, 16, v26
	s_delay_alu instid0(VALU_DEP_1) | instskip(SKIP_1) | instid1(VALU_DEP_2)
	v_or_b32_e32 v24, v14, v27
	v_mov_b64_e32 v[14:15], 0
	v_lshrrev_b32_e32 v63, 8, v24
	v_cmpx_gt_u32_e64 s41, v17
	s_cbranch_execz .LBB1209_55
; %bb.52:
	ds_load_2addr_b64 v[22:25], v16 offset0:7 offset1:8
	v_mov_b64_e32 v[14:15], 0
	v_dual_add_nc_u32 v17, 8, v52 :: v_dual_mov_b32 v55, 0
	s_mov_b32 s45, exec_lo
                                        ; implicit-def: $sgpr6
	s_delay_alu instid0(VALU_DEP_1)
	v_cmpx_gt_u32_e64 s41, v17
	s_xor_b32 s45, exec_lo, s45
	s_cbranch_execz .LBB1209_54
; %bb.53:
	ds_load_b64 v[16:17], v16 offset:72
	v_dual_add_nc_u32 v14, 9, v52 :: v_dual_lshrrev_b32 v55, 24, v27
	v_cmp_ne_u32_e64 s6, v41, v48
	s_delay_alu instid0(VALU_DEP_2)
	v_cmp_gt_u32_e64 s0, s41, v14
	s_wait_dscnt 0x1
	v_mov_b64_e32 v[14:15], v[24:25]
	s_and_b32 s4, s0, exec_lo
.LBB1209_54:
	s_or_b32 exec_lo, exec_lo, s45
	v_mov_b32_e32 v54, v26
	s_and_b32 s4, s4, exec_lo
.LBB1209_55:
	s_or_b32 exec_lo, exec_lo, s1
	s_wait_dscnt 0x0
	v_mov_b64_e32 v[26:27], v[22:23]
	v_mov_b64_e32 v[24:25], v[20:21]
	;; [unrolled: 1-line block ×3, first 2 shown]
	s_and_b32 s45, s4, exec_lo
.LBB1209_56:
	s_or_b32 exec_lo, exec_lo, s37
	s_wait_dscnt 0x0
	v_mov_b64_e32 v[30:31], v[18:19]
	v_or_b32_e32 v59, v29, v28
	s_and_b32 s1, s45, exec_lo
.LBB1209_57:
	s_or_b32 exec_lo, exec_lo, s36
	s_wait_dscnt 0x0
	v_mov_b64_e32 v[28:29], v[12:13]
	v_mov_b64_e32 v[20:21], v[12:13]
	v_lshrrev_b32_e32 v50, 24, v32
	s_and_b32 s1, s1, exec_lo
.LBB1209_58:
	s_or_b32 exec_lo, exec_lo, s11
	s_wait_dscnt 0x0
	v_mov_b64_e32 v[34:35], v[10:11]
	v_dual_mov_b32 v49, v5 :: v_dual_mov_b32 v53, v50
	s_and_b32 s1, s1, exec_lo
.LBB1209_59:
	s_or_b32 exec_lo, exec_lo, s10
	s_wait_dscnt 0x0
	v_mov_b64_e32 v[32:33], v[8:9]
	v_mov_b64_e32 v[12:13], v[8:9]
	v_dual_mov_b32 v56, v46 :: v_dual_mov_b32 v57, v49
	s_and_b32 s10, s1, exec_lo
.LBB1209_60:
	s_or_b32 exec_lo, exec_lo, s9
	v_or_b32_e32 v51, v1, v4
	s_wait_dscnt 0x0
	v_mov_b64_e32 v[4:5], v[6:7]
	s_and_b32 s1, s10, exec_lo
.LBB1209_61:
	s_or_b32 exec_lo, exec_lo, s8
	v_cndmask_b32_e64 v58, 0, 1, vcc_lo
	v_mov_b32_e32 v47, v51
	s_and_b32 s45, s1, exec_lo
	s_delay_alu instid0(VALU_DEP_2)
	v_mov_b32_e32 v1, v58
.LBB1209_62:
	s_or_b32 exec_lo, exec_lo, s7
	s_delay_alu instid0(SALU_CYCLE_1)
	s_and_b32 vcc_lo, exec_lo, s5
	s_cbranch_vccz .LBB1209_80
.LBB1209_63:
	flat_load_b32 v1, v0, s[14:15] scale_offset
	s_wait_dscnt 0x1
	s_clause 0x8
	flat_load_b32 v2, v0, s[14:15] offset:512 scale_offset
	flat_load_b32 v3, v0, s[14:15] offset:1024 scale_offset
	flat_load_b32 v4, v0, s[14:15] offset:1536 scale_offset
	flat_load_b32 v5, v0, s[14:15] offset:2048 scale_offset
	flat_load_b32 v6, v0, s[14:15] offset:2560 scale_offset
	flat_load_b32 v7, v0, s[14:15] offset:3072 scale_offset
	flat_load_b32 v8, v0, s[14:15] offset:3584 scale_offset
	flat_load_b32 v9, v0, s[14:15] offset:4096 scale_offset
	flat_load_b32 v10, v0, s[14:15] offset:4608 scale_offset
	v_lshlrev_b32_e32 v11, 2, v0
	s_cmp_eq_u64 s[16:17], 0
	s_wait_loadcnt_dscnt 0x808
	ds_store_2addr_stride64_b32 v11, v1, v2 offset1:2
	s_wait_loadcnt_dscnt 0x607
	ds_store_2addr_stride64_b32 v11, v3, v4 offset0:4 offset1:6
	s_wait_loadcnt_dscnt 0x406
	ds_store_2addr_stride64_b32 v11, v5, v6 offset0:8 offset1:10
	;; [unrolled: 2-line block ×4, first 2 shown]
	v_mov_b32_e32 v1, 0
	v_mad_u32_u24 v15, v0, 36, v11
	s_wait_dscnt 0x0
	s_barrier_signal -1
	s_barrier_wait -1
	ds_load_2addr_b64 v[6:9], v15 offset1:1
	ds_load_2addr_b32 v[4:5], v15 offset0:1 offset1:2
	ds_load_2addr_b32 v[2:3], v15 offset0:3 offset1:4
	;; [unrolled: 1-line block ×3, first 2 shown]
	ds_load_b32 v14, v15 offset:36
	ds_load_2addr_b32 v[12:13], v15 offset0:5 offset1:6
	s_cbranch_scc1 .LBB1209_77
; %bb.64:
	s_and_not1_b32 vcc_lo, exec_lo, s40
	s_cbranch_vccnz .LBB1209_75
; %bb.65:
	s_lshl_b64 s[0:1], s[16:17], 2
	s_delay_alu instid0(SALU_CYCLE_1) | instskip(NEXT) | instid1(SALU_CYCLE_1)
	s_add_nc_u64 s[0:1], s[42:43], s[0:1]
	s_add_nc_u64 s[14:15], s[0:1], -4
	s_mov_b32 s0, 0
	s_branch .LBB1209_76
.LBB1209_66:
	flat_load_b64 v[2:3], v0, s[12:13] scale_offset
	s_wait_xcnt 0x0
	s_or_b32 exec_lo, exec_lo, s36
                                        ; implicit-def: $vgpr4_vgpr5
	s_and_saveexec_b32 s0, s1
	s_cbranch_execz .LBB1209_35
.LBB1209_67:
	flat_load_b64 v[4:5], v0, s[12:13] offset:1024 scale_offset
	s_wait_xcnt 0x0
	s_or_b32 exec_lo, exec_lo, s0
                                        ; implicit-def: $vgpr6_vgpr7
	s_and_saveexec_b32 s0, s4
	s_cbranch_execz .LBB1209_36
.LBB1209_68:
	flat_load_b64 v[6:7], v0, s[12:13] offset:2048 scale_offset
	s_wait_xcnt 0x0
	s_or_b32 exec_lo, exec_lo, s0
                                        ; implicit-def: $vgpr10_vgpr11
	s_and_saveexec_b32 s0, s5
	s_cbranch_execz .LBB1209_37
.LBB1209_69:
	flat_load_b64 v[10:11], v0, s[12:13] offset:3072 scale_offset
	s_wait_xcnt 0x0
	s_or_b32 exec_lo, exec_lo, s0
                                        ; implicit-def: $vgpr12_vgpr13
	s_and_saveexec_b32 s0, s6
	s_cbranch_execz .LBB1209_38
.LBB1209_70:
	flat_load_b64 v[12:13], v0, s[12:13] offset:4096 scale_offset
	s_wait_xcnt 0x0
	s_or_b32 exec_lo, exec_lo, s0
                                        ; implicit-def: $vgpr14_vgpr15
	s_and_saveexec_b32 s0, s7
	s_cbranch_execz .LBB1209_39
.LBB1209_71:
	flat_load_b64 v[14:15], v0, s[12:13] offset:5120 scale_offset
	s_wait_xcnt 0x0
	s_or_b32 exec_lo, exec_lo, s0
                                        ; implicit-def: $vgpr18_vgpr19
	s_and_saveexec_b32 s0, s8
	s_cbranch_execz .LBB1209_40
.LBB1209_72:
	flat_load_b64 v[18:19], v0, s[12:13] offset:6144 scale_offset
	s_wait_xcnt 0x0
	s_or_b32 exec_lo, exec_lo, s0
                                        ; implicit-def: $vgpr20_vgpr21
	s_and_saveexec_b32 s0, s9
	s_cbranch_execz .LBB1209_41
.LBB1209_73:
	flat_load_b64 v[20:21], v0, s[12:13] offset:7168 scale_offset
	s_wait_xcnt 0x0
	s_or_b32 exec_lo, exec_lo, s0
                                        ; implicit-def: $vgpr22_vgpr23
	s_and_saveexec_b32 s0, s10
	s_cbranch_execz .LBB1209_42
.LBB1209_74:
	flat_load_b64 v[22:23], v0, s[12:13] offset:8192 scale_offset
	s_wait_xcnt 0x0
	s_or_b32 exec_lo, exec_lo, s0
                                        ; implicit-def: $vgpr24_vgpr25
	s_and_saveexec_b32 s0, s11
	s_cbranch_execnz .LBB1209_43
	s_branch .LBB1209_44
.LBB1209_75:
	s_add_nc_u64 s[14:15], s[14:15], -4
	s_mov_b32 s0, -1
.LBB1209_76:
	s_delay_alu instid0(SALU_CYCLE_1)
	s_and_not1_b32 vcc_lo, exec_lo, s0
.LBB1209_77:
	flat_load_b32 v1, v1, s[14:15]
	v_mad_i32_i24 v15, 0xffffffdc, v0, v15
	s_wait_dscnt 0x2
	ds_store_b32 v15, v14 offset:5120
	s_wait_loadcnt_dscnt 0x0
	s_barrier_signal -1
	s_barrier_wait -1
	s_and_saveexec_b32 s0, s3
; %bb.78:
	ds_load_b32 v1, v15 offset:5116
; %bb.79:
	s_or_b32 exec_lo, exec_lo, s0
	s_wait_dscnt 0x0
	s_barrier_signal -1
	s_barrier_wait -1
	s_clause 0x9
	flat_load_b64 v[16:17], v0, s[12:13] scale_offset
	flat_load_b64 v[18:19], v0, s[12:13] offset:1024 scale_offset
	flat_load_b64 v[20:21], v0, s[12:13] offset:2048 scale_offset
	;; [unrolled: 1-line block ×9, first 2 shown]
	v_cmp_ne_u32_e32 vcc_lo, v12, v13
	v_cmp_ne_u32_e64 s6, v11, v14
	s_mov_b32 s45, -1
	v_cndmask_b32_e64 v14, 0, 1, vcc_lo
	v_cmp_ne_u32_e32 vcc_lo, v3, v12
	v_cndmask_b32_e64 v12, 0, 1, vcc_lo
	v_cmp_ne_u32_e32 vcc_lo, v10, v11
	;; [unrolled: 2-line block ×4, first 2 shown]
	v_lshl_add_u32 v7, v0, 2, v15
	s_wait_loadcnt_dscnt 0x808
	ds_store_2addr_stride64_b64 v7, v[16:17], v[18:19] offset1:2
	s_wait_loadcnt_dscnt 0x607
	ds_store_2addr_stride64_b64 v7, v[20:21], v[22:23] offset0:4 offset1:6
	s_wait_loadcnt_dscnt 0x406
	ds_store_2addr_stride64_b64 v7, v[24:25], v[26:27] offset0:8 offset1:10
	;; [unrolled: 2-line block ×4, first 2 shown]
	v_cndmask_b32_e64 v5, 0, 1, vcc_lo
	v_cmp_ne_u32_e32 vcc_lo, v6, v4
	s_wait_dscnt 0x0
	s_barrier_signal -1
	s_barrier_wait -1
	v_lshlrev_b16 v5, 8, v5
	v_cndmask_b32_e64 v4, 0, 1, vcc_lo
	v_cmp_ne_u32_e32 vcc_lo, v9, v3
	v_lshlrev_b16 v9, 8, v14
	v_cndmask_b32_e64 v3, 0, 1, vcc_lo
	v_cmp_ne_u32_e32 vcc_lo, v8, v2
	v_lshlrev_b16 v8, 8, v11
	v_mad_u32_u24 v11, 0x48, v0, v7
	ds_load_b128 v[28:31], v11 offset:32
	ds_load_b128 v[24:27], v11 offset:48
	v_cndmask_b32_e64 v2, 0, 1, vcc_lo
	v_lshlrev_b16 v3, 8, v3
	v_and_b32_e32 v7, 0xffff, v5
	v_cmp_ne_u32_e32 vcc_lo, v1, v6
	s_delay_alu instid0(VALU_DEP_3) | instskip(SKIP_3) | instid1(VALU_DEP_4)
	v_or_b32_e32 v49, v2, v3
	v_or_b32_e32 v54, v10, v8
	v_and_b32_e32 v8, 0xffff, v9
	v_cndmask_b32_e64 v58, 0, 1, vcc_lo
	v_lshlrev_b32_e32 v10, 16, v49
	s_delay_alu instid0(VALU_DEP_4)
	v_dual_lshlrev_b32 v13, 16, v54 :: v_dual_bitop2_b32 v51, v4, v5 bitop3:0x54
	ds_load_b128 v[2:5], v11
	ds_load_b128 v[32:35], v11 offset:16
	ds_load_b128 v[14:17], v11 offset:64
	v_dual_lshrrev_b32 v50, 24, v10 :: v_dual_bitop2_b32 v59, v12, v9 bitop3:0x54
	v_mov_b32_e32 v47, v51
	v_dual_mov_b32 v57, v49 :: v_dual_bitop2_b32 v1, v7, v10 bitop3:0x54
	v_dual_lshrrev_b32 v55, 24, v13 :: v_dual_bitop2_b32 v6, v8, v13 bitop3:0x54
	s_wait_dscnt 0x3
	v_mov_b64_e32 v[22:23], v[26:27]
	s_delay_alu instid0(VALU_DEP_3)
	v_lshrrev_b32_e32 v46, 8, v1
	v_mov_b64_e32 v[44:45], v[24:25]
	v_lshrrev_b32_e32 v63, 8, v6
	v_mov_b64_e32 v[18:19], v[30:31]
	v_mov_b64_e32 v[20:21], v[28:29]
	v_dual_mov_b32 v53, v50 :: v_dual_mov_b32 v56, v46
	v_mov_b32_e32 v1, v58
	s_wait_dscnt 0x2
	v_mov_b64_e32 v[6:7], v[4:5]
	s_wait_dscnt 0x1
	v_mov_b64_e32 v[10:11], v[34:35]
	v_mov_b64_e32 v[12:13], v[32:33]
.LBB1209_80:
	v_mov_b64_e32 v[8:9], 0
	v_mov_b32_e32 v48, 0
	s_and_saveexec_b32 s0, s45
	s_cbranch_execz .LBB1209_82
; %bb.81:
	v_mov_b64_e32 v[6:7], v[4:5]
	v_mov_b64_e32 v[12:13], v[32:33]
	;; [unrolled: 1-line block ×7, first 2 shown]
	s_wait_dscnt 0x0
	v_mov_b64_e32 v[8:9], v[16:17]
	v_cndmask_b32_e64 v48, 0, 1, s6
	v_dual_mov_b32 v1, v58 :: v_dual_mov_b32 v47, v51
	v_dual_mov_b32 v56, v46 :: v_dual_mov_b32 v57, v49
	v_mov_b32_e32 v53, v50
.LBB1209_82:
	s_or_b32 exec_lo, exec_lo, s0
	v_and_b32_e32 v51, 1, v59
	v_and_b32_e32 v50, 1, v55
	;; [unrolled: 1-line block ×8, first 2 shown]
	v_bitop3_b16 v53, v53, 0xff, v57 bitop3:0xc8
	v_and_b32_e32 v55, 0xff, v55
	v_and_b32_e32 v56, 0xff, v54
	;; [unrolled: 1-line block ×4, first 2 shown]
	v_cmp_eq_u32_e64 s12, 1, v51
	v_bitop3_b16 v54, v54, 0xff, v63 bitop3:0xc8
	v_cmp_eq_u32_e64 s13, 1, v50
	v_cmp_eq_u16_e64 s0, 0, v48
	v_cmp_eq_u32_e64 s11, 1, v49
	v_mbcnt_lo_u32_b32 v46, -1, 0
	s_cmp_lg_u32 s44, 0
	s_wait_dscnt 0x0
	v_cmp_eq_u32_e32 vcc_lo, 1, v52
	s_barrier_signal -1
	s_barrier_wait -1
	s_cbranch_scc0 .LBB1209_138
; %bb.83:
	v_cmp_eq_u16_e64 s1, 0, v62
	v_cmp_eq_u16_e64 s4, 0, v61
	;; [unrolled: 1-line block ×5, first 2 shown]
	v_dual_cndmask_b32 v5, 0, v3, s1 :: v_dual_cndmask_b32 v4, 0, v2, s1
	v_cmp_eq_u16_e64 s8, 0, v57
	v_cmp_eq_u16_e64 s9, 0, v56
	v_cmp_eq_u16_e64 s10, 0, v55
	v_bitop3_b16 v16, v47, 0xff, v1 bitop3:0xc8
	v_add_nc_u64_e32 v[4:5], v[4:5], v[6:7]
	v_cmp_ne_u16_e64 s15, 0, v54
	v_cmp_ne_u16_e64 s14, 0, v53
	s_delay_alu instid0(VALU_DEP_4) | instskip(SKIP_4) | instid1(SALU_CYCLE_1)
	v_cmp_ne_u16_e64 s16, 0, v16
	s_or_b32 s13, s15, s13
	v_dual_cndmask_b32 v5, 0, v5, s4 :: v_dual_cndmask_b32 v4, 0, v4, s4
	s_or_b32 s12, s14, s12
	s_or_b32 s11, s11, s13
	s_or_b32 s11, s11, s12
	s_delay_alu instid0(VALU_DEP_1) | instskip(SKIP_1) | instid1(SALU_CYCLE_1)
	v_add_nc_u64_e32 v[4:5], v[4:5], v[12:13]
	s_or_b32 s12, s16, vcc_lo
	s_or_b32 s11, s11, s12
	s_mov_b32 s12, exec_lo
	s_delay_alu instid0(VALU_DEP_1) | instskip(NEXT) | instid1(VALU_DEP_1)
	v_dual_cndmask_b32 v5, 0, v5, s5 :: v_dual_cndmask_b32 v4, 0, v4, s5
	v_add_nc_u64_e32 v[4:5], v[4:5], v[10:11]
	s_delay_alu instid0(VALU_DEP_1) | instskip(NEXT) | instid1(VALU_DEP_1)
	v_dual_cndmask_b32 v5, 0, v5, s6 :: v_dual_cndmask_b32 v4, 0, v4, s6
	v_add_nc_u64_e32 v[4:5], v[4:5], v[20:21]
	;; [unrolled: 3-line block ×7, first 2 shown]
	v_cndmask_b32_e64 v4, 0, 1, s11
	v_and_b32_e32 v5, 15, v46
	s_delay_alu instid0(VALU_DEP_2) | instskip(NEXT) | instid1(VALU_DEP_4)
	v_mov_b32_dpp v24, v4 row_shr:1 row_mask:0xf bank_mask:0xf
	v_mov_b32_dpp v25, v16 row_shr:1 row_mask:0xf bank_mask:0xf
	;; [unrolled: 1-line block ×3, first 2 shown]
	s_delay_alu instid0(VALU_DEP_4)
	v_cmpx_ne_u32_e32 0, v5
; %bb.84:
	s_delay_alu instid0(VALU_DEP_2) | instskip(NEXT) | instid1(VALU_DEP_4)
	v_cndmask_b32_e64 v27, v26, 0, s11
	v_cndmask_b32_e64 v26, v25, 0, s11
	v_and_or_b32 v4, v24, 1, v4
	s_delay_alu instid0(VALU_DEP_2)
	v_add_nc_u64_e32 v[16:17], v[26:27], v[16:17]
; %bb.85:
	s_or_b32 exec_lo, exec_lo, s12
	s_delay_alu instid0(VALU_DEP_1) | instskip(NEXT) | instid1(VALU_DEP_2)
	v_mov_b32_dpp v25, v16 row_shr:2 row_mask:0xf bank_mask:0xf
	v_mov_b32_dpp v26, v17 row_shr:2 row_mask:0xf bank_mask:0xf
	v_mov_b32_dpp v24, v4 row_shr:2 row_mask:0xf bank_mask:0xf
	s_mov_b32 s11, exec_lo
	v_cmpx_lt_u32_e32 1, v5
; %bb.86:
	v_cmp_eq_u16_e32 vcc_lo, 0, v4
	s_delay_alu instid0(VALU_DEP_3) | instskip(SKIP_1) | instid1(VALU_DEP_1)
	v_bitop3_b32 v4, v24, 1, v4 bitop3:0xc8
	v_dual_cndmask_b32 v27, 0, v26 :: v_dual_cndmask_b32 v26, 0, v25
	v_add_nc_u64_e32 v[16:17], v[26:27], v[16:17]
; %bb.87:
	s_or_b32 exec_lo, exec_lo, s11
	s_delay_alu instid0(VALU_DEP_1) | instskip(NEXT) | instid1(VALU_DEP_2)
	v_mov_b32_dpp v25, v16 row_shr:4 row_mask:0xf bank_mask:0xf
	v_mov_b32_dpp v26, v17 row_shr:4 row_mask:0xf bank_mask:0xf
	v_mov_b32_dpp v24, v4 row_shr:4 row_mask:0xf bank_mask:0xf
	s_mov_b32 s11, exec_lo
	v_cmpx_lt_u32_e32 3, v5
; %bb.88:
	v_cmp_eq_u16_e32 vcc_lo, 0, v4
	s_delay_alu instid0(VALU_DEP_3) | instskip(SKIP_1) | instid1(VALU_DEP_1)
	v_bitop3_b32 v4, v24, 1, v4 bitop3:0xc8
	v_dual_cndmask_b32 v27, 0, v26 :: v_dual_cndmask_b32 v26, 0, v25
	;; [unrolled: 14-line block ×3, first 2 shown]
	v_add_nc_u64_e32 v[16:17], v[26:27], v[16:17]
; %bb.91:
	s_or_b32 exec_lo, exec_lo, s11
	ds_swizzle_b32 v5, v16 offset:swizzle(BROADCAST,32,15)
	ds_swizzle_b32 v25, v17 offset:swizzle(BROADCAST,32,15)
	;; [unrolled: 1-line block ×3, first 2 shown]
	v_and_b32_e32 v24, 16, v46
	s_delay_alu instid0(VALU_DEP_1)
	v_cmp_ne_u32_e32 vcc_lo, 0, v24
	v_mov_b32_e32 v24, v4
	s_and_saveexec_b32 s12, vcc_lo
	s_cbranch_execz .LBB1209_93
; %bb.92:
	v_cmp_eq_u16_e32 vcc_lo, 0, v4
	v_and_b32_e32 v4, 1, v4
	s_wait_dscnt 0x0
	v_dual_cndmask_b32 v24, 0, v5, vcc_lo :: v_dual_bitop2_b32 v26, 1, v26 bitop3:0x40
	v_cndmask_b32_e32 v25, 0, v25, vcc_lo
	s_delay_alu instid0(VALU_DEP_3) | instskip(NEXT) | instid1(VALU_DEP_3)
	v_cmp_eq_u32_e32 vcc_lo, 1, v4
	v_cmp_eq_u32_e64 s11, 1, v26
	s_delay_alu instid0(VALU_DEP_3) | instskip(SKIP_1) | instid1(SALU_CYCLE_1)
	v_add_nc_u64_e32 v[16:17], v[24:25], v[16:17]
	s_or_b32 s11, vcc_lo, s11
	v_cndmask_b32_e64 v4, 0, 1, s11
	v_cndmask_b32_e64 v24, 0, 1, s11
.LBB1209_93:
	s_or_b32 exec_lo, exec_lo, s12
	s_wait_dscnt 0x1
	v_dual_lshrrev_b32 v25, 5, v0 :: v_dual_bitop2_b32 v5, 31, v0 bitop3:0x54
	s_mov_b32 s11, exec_lo
	s_delay_alu instid0(VALU_DEP_1) | instskip(NEXT) | instid1(VALU_DEP_2)
	v_lshlrev_b32_e32 v25, 4, v25
	v_cmpx_eq_u32_e64 v0, v5
	s_cbranch_execz .LBB1209_95
; %bb.94:
	ds_store_b64 v25, v[16:17]
	ds_store_b8 v25, v4 offset:8
.LBB1209_95:
	s_or_b32 exec_lo, exec_lo, s11
	s_delay_alu instid0(SALU_CYCLE_1)
	s_mov_b32 s12, exec_lo
	s_wait_dscnt 0x0
	s_barrier_signal -1
	s_barrier_wait -1
	v_cmpx_gt_u32_e32 4, v0
	s_cbranch_execz .LBB1209_101
; %bb.96:
	v_dual_lshlrev_b32 v26, 4, v0 :: v_dual_bitop2_b32 v28, 3, v46 bitop3:0x40
	s_mov_b32 s11, exec_lo
	ds_load_b64 v[4:5], v26
	ds_load_b32 v27, v26 offset:8
	s_wait_dscnt 0x1
	v_mov_b32_dpp v32, v4 row_shr:1 row_mask:0xf bank_mask:0xf
	v_mov_b32_dpp v33, v5 row_shr:1 row_mask:0xf bank_mask:0xf
	s_wait_dscnt 0x0
	v_mov_b32_dpp v31, v27 row_shr:1 row_mask:0xf bank_mask:0xf
	v_dual_mov_b32 v30, v27 :: v_dual_mov_b32 v29, v27
	v_cmpx_ne_u32_e32 0, v28
	s_cbranch_execz .LBB1209_98
; %bb.97:
	v_and_b32_e32 v29, 0xff, v27
	v_or_b32_e32 v30, v31, v27
	s_delay_alu instid0(VALU_DEP_2) | instskip(SKIP_1) | instid1(VALU_DEP_3)
	v_cmp_eq_u16_e32 vcc_lo, 0, v29
	v_bitop3_b32 v29, v31, 1, v27 bitop3:0xc8
	v_dual_cndmask_b32 v33, 0, v33, vcc_lo :: v_dual_bitop2_b32 v30, 1, v30 bitop3:0x40
	v_cndmask_b32_e32 v32, 0, v32, vcc_lo
	s_delay_alu instid0(VALU_DEP_3) | instskip(NEXT) | instid1(VALU_DEP_2)
	v_and_or_b32 v27, 0xffffff00, v27, v29
	v_add_nc_u64_e32 v[4:5], v[32:33], v[4:5]
.LBB1209_98:
	s_or_b32 exec_lo, exec_lo, s11
	s_delay_alu instid0(VALU_DEP_1) | instskip(NEXT) | instid1(VALU_DEP_2)
	v_mov_b32_dpp v31, v4 row_shr:2 row_mask:0xf bank_mask:0xf
	v_mov_b32_dpp v32, v5 row_shr:2 row_mask:0xf bank_mask:0xf
	;; [unrolled: 1-line block ×3, first 2 shown]
	s_mov_b32 s13, exec_lo
	v_cmpx_lt_u32_e32 1, v28
	s_cbranch_execz .LBB1209_100
; %bb.99:
	v_and_b32_e32 v28, 0xff, v29
	v_and_b32_e32 v27, 1, v27
	s_delay_alu instid0(VALU_DEP_2) | instskip(SKIP_1) | instid1(VALU_DEP_3)
	v_cmp_eq_u16_e32 vcc_lo, 0, v28
	v_and_b32_e32 v30, 1, v29
	v_cmp_eq_u32_e64 s11, 1, v27
	v_dual_cndmask_b32 v29, 0, v32 :: v_dual_cndmask_b32 v28, 0, v31
	s_delay_alu instid0(VALU_DEP_3) | instskip(NEXT) | instid1(VALU_DEP_2)
	v_cmp_eq_u32_e32 vcc_lo, 1, v30
	v_add_nc_u64_e32 v[4:5], v[28:29], v[4:5]
	s_or_b32 s11, vcc_lo, s11
	s_delay_alu instid0(SALU_CYCLE_1)
	v_cndmask_b32_e64 v30, 0, 1, s11
.LBB1209_100:
	s_or_b32 exec_lo, exec_lo, s13
	ds_store_b64 v26, v[4:5]
	ds_store_b8 v26, v30 offset:8
.LBB1209_101:
	s_or_b32 exec_lo, exec_lo, s12
	v_mov_b64_e32 v[4:5], 0
	v_mov_b32_e32 v31, 0
	s_mov_b32 s12, exec_lo
	v_cmp_gt_u32_e32 vcc_lo, 32, v0
	s_wait_dscnt 0x0
	s_barrier_signal -1
	s_barrier_wait -1
	v_cmpx_lt_u32_e32 31, v0
	s_cbranch_execz .LBB1209_103
; %bb.102:
	v_dual_add_nc_u32 v4, -16, v25 :: v_dual_add_nc_u32 v25, -8, v25
	v_cmp_eq_u32_e64 s11, 0, v24
	ds_load_b64 v[4:5], v4
	ds_load_u8 v25, v25
	s_wait_dscnt 0x1
	v_dual_cndmask_b32 v27, 0, v5, s11 :: v_dual_cndmask_b32 v26, 0, v4, s11
	s_wait_dscnt 0x0
	v_or_b32_e32 v24, v25, v24
	v_and_b32_e32 v31, 1, v25
	s_delay_alu instid0(VALU_DEP_3) | instskip(NEXT) | instid1(VALU_DEP_3)
	v_add_nc_u64_e32 v[16:17], v[26:27], v[16:17]
	v_and_b32_e32 v24, 1, v24
.LBB1209_103:
	s_or_b32 exec_lo, exec_lo, s12
	v_sub_co_u32 v25, s11, v46, 1
	s_delay_alu instid0(VALU_DEP_1) | instskip(NEXT) | instid1(VALU_DEP_1)
	v_cmp_gt_i32_e64 s12, 0, v25
	v_cndmask_b32_e64 v25, v25, v46, s12
	s_delay_alu instid0(VALU_DEP_1)
	v_lshlrev_b32_e32 v25, 2, v25
	ds_bpermute_b32 v30, v25, v16
	ds_bpermute_b32 v32, v25, v17
	;; [unrolled: 1-line block ×3, first 2 shown]
	s_and_saveexec_b32 s14, vcc_lo
	s_cbranch_execz .LBB1209_175
; %bb.104:
	v_mov_b32_e32 v27, 0
	ds_load_b64 v[16:17], v27 offset:48
	ds_load_u8 v34, v27 offset:56
	s_and_saveexec_b32 s12, s11
	s_cbranch_execz .LBB1209_106
; %bb.105:
	s_add_co_i32 s16, s44, 32
	s_mov_b32 s17, 0
	v_dual_mov_b32 v24, 1 :: v_dual_mov_b32 v25, s16
	s_lshl_b64 s[36:37], s[16:17], 4
	s_delay_alu instid0(SALU_CYCLE_1)
	s_add_nc_u64 s[16:17], s[20:21], s[36:37]
	s_wait_dscnt 0x1
	global_store_b64 v27, v[16:17], s[16:17]
	s_wait_dscnt 0x0
	global_store_b8 v27, v34, s[16:17] offset:8
	global_wb scope:SCOPE_DEV
	s_wait_storecnt 0x0
	global_inv scope:SCOPE_DEV
	s_wait_xcnt 0x0
	global_store_b8 v25, v24, s[24:25] scope:SCOPE_DEV
.LBB1209_106:
	s_wait_xcnt 0x0
	s_or_b32 exec_lo, exec_lo, s12
	v_xad_u32 v24, v46, -1, s44
	s_mov_b32 s13, 0
	s_mov_b32 s12, exec_lo
	s_delay_alu instid0(VALU_DEP_1)
	v_add_nc_u32_e32 v26, 32, v24
	global_load_u8 v35, v26, s[24:25] scope:SCOPE_DEV
	s_wait_loadcnt 0x0
	v_cmpx_eq_u16_e32 0, v35
	s_cbranch_execz .LBB1209_110
; %bb.107:
	v_add_nc_u64_e32 v[28:29], s[24:25], v[26:27]
.LBB1209_108:                           ; =>This Inner Loop Header: Depth=1
	global_load_u8 v35, v[28:29], off scope:SCOPE_DEV
	s_wait_loadcnt 0x0
	v_cmp_ne_u16_e32 vcc_lo, 0, v35
	s_or_b32 s13, vcc_lo, s13
	s_wait_xcnt 0x0
	s_and_not1_b32 exec_lo, exec_lo, s13
	s_cbranch_execnz .LBB1209_108
; %bb.109:
	s_or_b32 exec_lo, exec_lo, s13
.LBB1209_110:
	s_delay_alu instid0(SALU_CYCLE_1)
	s_or_b32 exec_lo, exec_lo, s12
	v_dual_mov_b32 v25, s21 :: v_dual_mov_b32 v28, s20
	v_cmp_eq_u16_e32 vcc_lo, 1, v35
	global_wb scope:SCOPE_DEV
	s_wait_storecnt_dscnt 0x0
	global_inv scope:SCOPE_DEV
	v_lshlrev_b32_e64 v37, v46, -1
	s_mov_b32 s12, exec_lo
	v_cndmask_b32_e32 v29, s23, v25, vcc_lo
	v_cndmask_b32_e32 v28, s22, v28, vcc_lo
	v_cmp_ne_u32_e32 vcc_lo, 31, v46
	v_add_co_ci_u32_e64 v25, null, 0, v46, vcc_lo
	v_cmp_eq_u16_e32 vcc_lo, 2, v35
	s_delay_alu instid0(VALU_DEP_2)
	v_lshlrev_b32_e32 v36, 2, v25
	v_lshl_add_u64 v[26:27], v[26:27], 4, v[28:29]
	s_clause 0x1
	global_load_u8 v66, v[26:27], off offset:8
	global_load_b64 v[28:29], v[26:27], off
	v_and_or_b32 v25, vcc_lo, v37, 0x80000000
	s_delay_alu instid0(VALU_DEP_1)
	v_ctz_i32_b32_e32 v25, v25
	s_wait_loadcnt 0x1
	s_wait_xcnt 0x0
	v_and_b32_e32 v26, 1, v66
	s_wait_loadcnt 0x0
	ds_bpermute_b32 v38, v36, v28
	ds_bpermute_b32 v39, v36, v29
	ds_bpermute_b32 v27, v36, v26
	v_cmpx_lt_u32_e64 v46, v25
	s_cbranch_execz .LBB1209_112
; %bb.111:
	v_and_b32_e32 v26, 0xff, v66
	s_wait_dscnt 0x0
	v_bitop3_b16 v66, v27, v66, 1 bitop3:0xec
	s_delay_alu instid0(VALU_DEP_2) | instskip(NEXT) | instid1(VALU_DEP_2)
	v_cmp_eq_u16_e32 vcc_lo, 0, v26
	v_and_b32_e32 v26, 0xff, v66
	v_dual_cndmask_b32 v39, 0, v39 :: v_dual_cndmask_b32 v38, 0, v38
	s_delay_alu instid0(VALU_DEP_1)
	v_add_nc_u64_e32 v[28:29], v[38:39], v[28:29]
.LBB1209_112:
	s_or_b32 exec_lo, exec_lo, s12
	v_cmp_gt_u32_e32 vcc_lo, 30, v46
	s_wait_dscnt 0x1
	v_add_nc_u32_e32 v39, 2, v46
	s_mov_b32 s13, exec_lo
	s_wait_dscnt 0x0
	v_cndmask_b32_e64 v27, 0, 2, vcc_lo
	s_delay_alu instid0(VALU_DEP_1)
	v_add_lshl_u32 v38, v27, v46, 2
	ds_bpermute_b32 v27, v38, v28
	ds_bpermute_b32 v40, v38, v29
	;; [unrolled: 1-line block ×3, first 2 shown]
	v_cmpx_le_u32_e64 v39, v25
	s_cbranch_execz .LBB1209_114
; %bb.113:
	v_and_b32_e32 v26, 0xff, v66
	s_delay_alu instid0(VALU_DEP_1) | instskip(SKIP_3) | instid1(VALU_DEP_2)
	v_cmp_eq_u16_e32 vcc_lo, 0, v26
	v_and_b32_e32 v42, 1, v66
	s_wait_dscnt 0x0
	v_dual_cndmask_b32 v41, 0, v40, vcc_lo :: v_dual_bitop2_b32 v26, 1, v41 bitop3:0x40
	v_cmp_eq_u32_e64 s12, 1, v42
	v_cndmask_b32_e32 v40, 0, v27, vcc_lo
	s_delay_alu instid0(VALU_DEP_3) | instskip(NEXT) | instid1(VALU_DEP_2)
	v_cmp_eq_u32_e32 vcc_lo, 1, v26
	v_add_nc_u64_e32 v[28:29], v[40:41], v[28:29]
	s_or_b32 s12, s12, vcc_lo
	s_delay_alu instid0(SALU_CYCLE_1)
	v_cndmask_b32_e64 v66, 0, 1, s12
	v_cndmask_b32_e64 v26, 0, 1, s12
.LBB1209_114:
	s_or_b32 exec_lo, exec_lo, s13
	v_cmp_gt_u32_e32 vcc_lo, 28, v46
	s_wait_dscnt 0x0
	v_add_nc_u32_e32 v41, 4, v46
	s_mov_b32 s15, exec_lo
	v_cndmask_b32_e64 v27, 0, 4, vcc_lo
	s_delay_alu instid0(VALU_DEP_1)
	v_add_lshl_u32 v40, v27, v46, 2
	ds_bpermute_b32 v27, v40, v28
	ds_bpermute_b32 v42, v40, v29
	;; [unrolled: 1-line block ×3, first 2 shown]
	v_cmpx_le_u32_e64 v41, v25
	s_cbranch_execz .LBB1209_116
; %bb.115:
	v_and_b32_e32 v26, 0xff, v66
	s_wait_dscnt 0x0
	v_and_b32_e32 v43, 1, v43
	s_delay_alu instid0(VALU_DEP_2) | instskip(SKIP_1) | instid1(VALU_DEP_3)
	v_cmp_eq_u16_e32 vcc_lo, 0, v26
	v_and_b32_e32 v63, 1, v66
	v_cmp_eq_u32_e64 s13, 1, v43
	v_dual_cndmask_b32 v43, 0, v42 :: v_dual_cndmask_b32 v42, 0, v27
	s_delay_alu instid0(VALU_DEP_3) | instskip(NEXT) | instid1(VALU_DEP_2)
	v_cmp_eq_u32_e64 s12, 1, v63
	v_add_nc_u64_e32 v[28:29], v[42:43], v[28:29]
	s_or_b32 s12, s12, s13
	s_delay_alu instid0(SALU_CYCLE_1)
	v_cndmask_b32_e64 v66, 0, 1, s12
	v_cndmask_b32_e64 v26, 0, 1, s12
.LBB1209_116:
	s_or_b32 exec_lo, exec_lo, s15
	v_cmp_gt_u32_e32 vcc_lo, 24, v46
	s_wait_dscnt 0x0
	v_add_nc_u32_e32 v43, 8, v46
	s_mov_b32 s13, exec_lo
	v_cndmask_b32_e64 v27, 0, 8, vcc_lo
	s_delay_alu instid0(VALU_DEP_1)
	v_add_lshl_u32 v42, v27, v46, 2
	ds_bpermute_b32 v27, v42, v28
	ds_bpermute_b32 v63, v42, v29
	;; [unrolled: 1-line block ×3, first 2 shown]
	v_cmpx_le_u32_e64 v43, v25
	s_cbranch_execz .LBB1209_118
; %bb.117:
	v_and_b32_e32 v26, 0xff, v66
	s_delay_alu instid0(VALU_DEP_1) | instskip(SKIP_4) | instid1(VALU_DEP_3)
	v_cmp_eq_u16_e32 vcc_lo, 0, v26
	v_and_b32_e32 v66, 1, v66
	s_wait_dscnt 0x0
	v_dual_cndmask_b32 v64, 0, v27, vcc_lo :: v_dual_bitop2_b32 v26, 1, v64 bitop3:0x40
	v_cndmask_b32_e32 v65, 0, v63, vcc_lo
	v_cmp_eq_u32_e64 s12, 1, v66
	s_delay_alu instid0(VALU_DEP_3) | instskip(NEXT) | instid1(VALU_DEP_3)
	v_cmp_eq_u32_e32 vcc_lo, 1, v26
	v_add_nc_u64_e32 v[28:29], v[64:65], v[28:29]
	s_or_b32 s12, s12, vcc_lo
	s_delay_alu instid0(SALU_CYCLE_1)
	v_cndmask_b32_e64 v66, 0, 1, s12
	v_cndmask_b32_e64 v26, 0, 1, s12
.LBB1209_118:
	s_or_b32 exec_lo, exec_lo, s13
	s_wait_dscnt 0x1
	v_lshl_or_b32 v63, v46, 2, 64
	v_add_nc_u32_e32 v65, 16, v46
	s_mov_b32 s13, exec_lo
	ds_bpermute_b32 v27, v63, v28
	s_wait_dscnt 0x1
	ds_bpermute_b32 v64, v63, v29
	ds_bpermute_b32 v26, v63, v26
	v_cmpx_le_u32_e64 v65, v25
	s_cbranch_execz .LBB1209_120
; %bb.119:
	v_and_b32_e32 v25, 0xff, v66
	s_delay_alu instid0(VALU_DEP_1) | instskip(SKIP_4) | instid1(VALU_DEP_3)
	v_cmp_eq_u16_e32 vcc_lo, 0, v25
	v_and_b32_e32 v25, 1, v66
	s_wait_dscnt 0x0
	v_dual_cndmask_b32 v66, 0, v27, vcc_lo :: v_dual_bitop2_b32 v26, 1, v26 bitop3:0x40
	v_cndmask_b32_e32 v67, 0, v64, vcc_lo
	v_cmp_eq_u32_e32 vcc_lo, 1, v25
	s_delay_alu instid0(VALU_DEP_3) | instskip(NEXT) | instid1(VALU_DEP_3)
	v_cmp_eq_u32_e64 s12, 1, v26
	v_add_nc_u64_e32 v[28:29], v[66:67], v[28:29]
	s_or_b32 s12, vcc_lo, s12
	s_delay_alu instid0(SALU_CYCLE_1)
	v_cndmask_b32_e64 v66, 0, 1, s12
.LBB1209_120:
	s_or_b32 exec_lo, exec_lo, s13
	v_mov_b32_e32 v25, 0
	s_branch .LBB1209_123
.LBB1209_121:                           ;   in Loop: Header=BB1209_123 Depth=1
	s_or_b32 exec_lo, exec_lo, s15
	v_and_b32_e32 v66, 0xff, v64
	v_subrev_nc_u32_e32 v24, 32, v24
	s_delay_alu instid0(VALU_DEP_2) | instskip(SKIP_2) | instid1(VALU_DEP_2)
	v_cmp_eq_u16_e32 vcc_lo, 0, v66
	v_dual_cndmask_b32 v29, 0, v29, vcc_lo :: v_dual_bitop2_b32 v66, 1, v64 bitop3:0x40
	v_cndmask_b32_e32 v28, 0, v28, vcc_lo
	v_cmp_eq_u32_e32 vcc_lo, 1, v66
	s_delay_alu instid0(VALU_DEP_2) | instskip(SKIP_1) | instid1(SALU_CYCLE_1)
	v_add_nc_u64_e32 v[28:29], v[28:29], v[26:27]
	s_or_b32 s12, vcc_lo, s13
	v_cndmask_b32_e64 v66, 0, 1, s12
	s_mov_b32 s12, 0
.LBB1209_122:                           ;   in Loop: Header=BB1209_123 Depth=1
	s_delay_alu instid0(SALU_CYCLE_1)
	s_and_b32 vcc_lo, exec_lo, s12
	s_cbranch_vccnz .LBB1209_171
.LBB1209_123:                           ; =>This Loop Header: Depth=1
                                        ;     Child Loop BB1209_126 Depth 2
	s_wait_dscnt 0x0
	v_and_b32_e32 v26, 0xff, v35
	v_mov_b32_e32 v64, v66
	s_mov_b32 s12, -1
                                        ; implicit-def: $vgpr66
                                        ; implicit-def: $vgpr35
	s_delay_alu instid0(VALU_DEP_2)
	v_cmp_ne_u16_e32 vcc_lo, 2, v26
	v_mov_b64_e32 v[26:27], v[28:29]
                                        ; implicit-def: $vgpr28_vgpr29
	s_cmp_lg_u32 vcc_lo, exec_lo
	s_cbranch_scc1 .LBB1209_122
; %bb.124:                              ;   in Loop: Header=BB1209_123 Depth=1
	global_load_u8 v35, v24, s[24:25] scope:SCOPE_DEV
	s_mov_b32 s12, exec_lo
	s_wait_loadcnt 0x0
	v_cmpx_eq_u16_e32 0, v35
	s_cbranch_execz .LBB1209_128
; %bb.125:                              ;   in Loop: Header=BB1209_123 Depth=1
	v_add_nc_u64_e32 v[28:29], s[24:25], v[24:25]
	s_mov_b32 s13, 0
.LBB1209_126:                           ;   Parent Loop BB1209_123 Depth=1
                                        ; =>  This Inner Loop Header: Depth=2
	global_load_u8 v35, v[28:29], off scope:SCOPE_DEV
	s_wait_loadcnt 0x0
	v_cmp_ne_u16_e32 vcc_lo, 0, v35
	s_or_b32 s13, vcc_lo, s13
	s_delay_alu instid0(SALU_CYCLE_1)
	s_and_not1_b32 exec_lo, exec_lo, s13
	s_cbranch_execnz .LBB1209_126
; %bb.127:                              ;   in Loop: Header=BB1209_123 Depth=1
	s_or_b32 exec_lo, exec_lo, s13
.LBB1209_128:                           ;   in Loop: Header=BB1209_123 Depth=1
	s_delay_alu instid0(SALU_CYCLE_1)
	s_or_b32 exec_lo, exec_lo, s12
	v_dual_mov_b32 v28, s21 :: v_dual_mov_b32 v66, s20
	v_cmp_eq_u16_e32 vcc_lo, 1, v35
	global_wb scope:SCOPE_DEV
	s_wait_storecnt 0x0
	global_inv scope:SCOPE_DEV
	s_mov_b32 s12, exec_lo
	v_cndmask_b32_e32 v29, s23, v28, vcc_lo
	v_cndmask_b32_e32 v28, s22, v66, vcc_lo
	v_cmp_eq_u16_e32 vcc_lo, 2, v35
	s_delay_alu instid0(VALU_DEP_2)
	v_lshl_add_u64 v[68:69], v[24:25], 4, v[28:29]
	v_and_or_b32 v66, vcc_lo, v37, 0x80000000
	s_clause 0x1
	global_load_u8 v67, v[68:69], off offset:8
	global_load_b64 v[28:29], v[68:69], off
	v_ctz_i32_b32_e32 v66, v66
	s_wait_loadcnt 0x1
	s_wait_xcnt 0x0
	v_and_b32_e32 v68, 1, v67
	s_wait_loadcnt 0x0
	ds_bpermute_b32 v70, v36, v28
	ds_bpermute_b32 v71, v36, v29
	;; [unrolled: 1-line block ×3, first 2 shown]
	v_cmpx_lt_u32_e64 v46, v66
	s_cbranch_execz .LBB1209_130
; %bb.129:                              ;   in Loop: Header=BB1209_123 Depth=1
	v_and_b32_e32 v68, 0xff, v67
	s_wait_dscnt 0x0
	v_bitop3_b16 v67, v69, v67, 1 bitop3:0xec
	s_delay_alu instid0(VALU_DEP_2) | instskip(NEXT) | instid1(VALU_DEP_2)
	v_cmp_eq_u16_e32 vcc_lo, 0, v68
	v_and_b32_e32 v68, 0xff, v67
	v_dual_cndmask_b32 v71, 0, v71 :: v_dual_cndmask_b32 v70, 0, v70
	s_delay_alu instid0(VALU_DEP_1)
	v_add_nc_u64_e32 v[28:29], v[70:71], v[28:29]
.LBB1209_130:                           ;   in Loop: Header=BB1209_123 Depth=1
	s_or_b32 exec_lo, exec_lo, s12
	s_wait_dscnt 0x0
	ds_bpermute_b32 v69, v38, v28
	ds_bpermute_b32 v70, v38, v29
	;; [unrolled: 1-line block ×3, first 2 shown]
	v_and_b32_e32 v72, 1, v67
	s_mov_b32 s12, exec_lo
	s_delay_alu instid0(VALU_DEP_1)
	v_cmp_eq_u32_e64 s13, 1, v72
	v_cmpx_le_u32_e64 v39, v66
	s_cbranch_execz .LBB1209_132
; %bb.131:                              ;   in Loop: Header=BB1209_123 Depth=1
	v_and_b32_e32 v67, 0xff, v67
	s_delay_alu instid0(VALU_DEP_1) | instskip(SKIP_3) | instid1(VALU_DEP_2)
	v_cmp_eq_u16_e32 vcc_lo, 0, v67
	s_wait_dscnt 0x0
	v_dual_cndmask_b32 v71, 0, v70, vcc_lo :: v_dual_bitop2_b32 v67, 1, v71 bitop3:0x40
	v_cndmask_b32_e32 v70, 0, v69, vcc_lo
	v_cmp_eq_u32_e32 vcc_lo, 1, v67
	s_delay_alu instid0(VALU_DEP_2)
	v_add_nc_u64_e32 v[28:29], v[70:71], v[28:29]
	s_or_b32 s15, s13, vcc_lo
	s_and_not1_b32 s13, s13, exec_lo
	v_cndmask_b32_e64 v67, 0, 1, s15
	v_cndmask_b32_e64 v68, 0, 1, s15
	s_and_b32 s15, s15, exec_lo
	s_delay_alu instid0(SALU_CYCLE_1)
	s_or_b32 s13, s13, s15
.LBB1209_132:                           ;   in Loop: Header=BB1209_123 Depth=1
	s_or_b32 exec_lo, exec_lo, s12
	s_wait_dscnt 0x2
	ds_bpermute_b32 v69, v40, v28
	s_wait_dscnt 0x2
	ds_bpermute_b32 v70, v40, v29
	;; [unrolled: 2-line block ×3, first 2 shown]
	s_mov_b32 s15, exec_lo
	v_cmpx_le_u32_e64 v41, v66
	s_cbranch_execz .LBB1209_134
; %bb.133:                              ;   in Loop: Header=BB1209_123 Depth=1
	v_and_b32_e32 v68, 0xff, v67
	s_and_not1_b32 s13, s13, exec_lo
	s_delay_alu instid0(VALU_DEP_1) | instskip(SKIP_3) | instid1(VALU_DEP_2)
	v_cmp_eq_u16_e32 vcc_lo, 0, v68
	v_and_b32_e32 v67, 1, v67
	s_wait_dscnt 0x0
	v_dual_cndmask_b32 v71, 0, v70, vcc_lo :: v_dual_bitop2_b32 v68, 1, v71 bitop3:0x40
	v_cmp_eq_u32_e64 s12, 1, v67
	v_cndmask_b32_e32 v70, 0, v69, vcc_lo
	s_delay_alu instid0(VALU_DEP_3) | instskip(NEXT) | instid1(VALU_DEP_2)
	v_cmp_eq_u32_e32 vcc_lo, 1, v68
	v_add_nc_u64_e32 v[28:29], v[70:71], v[28:29]
	s_or_b32 s12, s12, vcc_lo
	s_delay_alu instid0(SALU_CYCLE_1) | instskip(SKIP_2) | instid1(SALU_CYCLE_1)
	v_cndmask_b32_e64 v67, 0, 1, s12
	v_cndmask_b32_e64 v68, 0, 1, s12
	s_and_b32 s12, s12, exec_lo
	s_or_b32 s13, s13, s12
.LBB1209_134:                           ;   in Loop: Header=BB1209_123 Depth=1
	s_or_b32 exec_lo, exec_lo, s15
	s_wait_dscnt 0x2
	ds_bpermute_b32 v69, v42, v28
	s_wait_dscnt 0x2
	ds_bpermute_b32 v70, v42, v29
	;; [unrolled: 2-line block ×3, first 2 shown]
	s_mov_b32 s15, exec_lo
	v_cmpx_le_u32_e64 v43, v66
	s_cbranch_execz .LBB1209_136
; %bb.135:                              ;   in Loop: Header=BB1209_123 Depth=1
	v_and_b32_e32 v68, 0xff, v67
	s_and_not1_b32 s13, s13, exec_lo
	s_delay_alu instid0(VALU_DEP_1) | instskip(SKIP_3) | instid1(VALU_DEP_2)
	v_cmp_eq_u16_e32 vcc_lo, 0, v68
	v_and_b32_e32 v67, 1, v67
	s_wait_dscnt 0x0
	v_dual_cndmask_b32 v71, 0, v70, vcc_lo :: v_dual_bitop2_b32 v68, 1, v71 bitop3:0x40
	v_cmp_eq_u32_e64 s12, 1, v67
	v_cndmask_b32_e32 v70, 0, v69, vcc_lo
	s_delay_alu instid0(VALU_DEP_3) | instskip(NEXT) | instid1(VALU_DEP_2)
	v_cmp_eq_u32_e32 vcc_lo, 1, v68
	v_add_nc_u64_e32 v[28:29], v[70:71], v[28:29]
	s_or_b32 s12, s12, vcc_lo
	s_delay_alu instid0(SALU_CYCLE_1) | instskip(SKIP_2) | instid1(SALU_CYCLE_1)
	v_cndmask_b32_e64 v67, 0, 1, s12
	v_cndmask_b32_e64 v68, 0, 1, s12
	s_and_b32 s12, s12, exec_lo
	s_or_b32 s13, s13, s12
.LBB1209_136:                           ;   in Loop: Header=BB1209_123 Depth=1
	s_or_b32 exec_lo, exec_lo, s15
	s_wait_dscnt 0x2
	ds_bpermute_b32 v69, v63, v28
	s_wait_dscnt 0x2
	ds_bpermute_b32 v70, v63, v29
	ds_bpermute_b32 v68, v63, v68
	s_mov_b32 s15, exec_lo
	v_cmpx_le_u32_e64 v65, v66
	s_cbranch_execz .LBB1209_121
; %bb.137:                              ;   in Loop: Header=BB1209_123 Depth=1
	v_and_b32_e32 v66, 0xff, v67
	s_and_not1_b32 s13, s13, exec_lo
	s_delay_alu instid0(VALU_DEP_1)
	v_cmp_eq_u16_e32 vcc_lo, 0, v66
	s_wait_dscnt 0x3
	v_and_b32_e32 v71, 1, v67
	s_wait_dscnt 0x0
	v_dual_cndmask_b32 v66, 0, v69, vcc_lo :: v_dual_bitop2_b32 v68, 1, v68 bitop3:0x40
	v_cndmask_b32_e32 v67, 0, v70, vcc_lo
	s_delay_alu instid0(VALU_DEP_3) | instskip(NEXT) | instid1(VALU_DEP_3)
	v_cmp_eq_u32_e32 vcc_lo, 1, v71
	v_cmp_eq_u32_e64 s12, 1, v68
	s_delay_alu instid0(VALU_DEP_3) | instskip(SKIP_1) | instid1(SALU_CYCLE_1)
	v_add_nc_u64_e32 v[28:29], v[66:67], v[28:29]
	s_or_b32 s12, vcc_lo, s12
	s_and_b32 s12, s12, exec_lo
	s_delay_alu instid0(SALU_CYCLE_1)
	s_or_b32 s13, s13, s12
	s_branch .LBB1209_121
.LBB1209_138:
                                        ; implicit-def: $vgpr42_vgpr43
                                        ; implicit-def: $vgpr38_vgpr39
                                        ; implicit-def: $vgpr34_vgpr35
                                        ; implicit-def: $vgpr30_vgpr31
                                        ; implicit-def: $vgpr26_vgpr27
	s_cbranch_execnz .LBB1209_176
.LBB1209_139:
	s_add_nc_u64 s[0:1], s[18:19], s[28:29]
	s_and_b32 vcc_lo, exec_lo, s27
	s_add_nc_u64 s[0:1], s[0:1], s[30:31]
	s_cbranch_vccz .LBB1209_203
.LBB1209_140:
	v_mul_u32_u24_e32 v1, 10, v0
	s_add_co_i32 s33, s33, s26
	s_mov_b32 s2, exec_lo
	s_delay_alu instid0(VALU_DEP_1)
	v_cmpx_gt_u32_e64 s33, v1
	s_cbranch_execz .LBB1209_152
; %bb.141:
	v_or_b32_e32 v2, 1, v1
	s_mov_b32 s3, exec_lo
	s_delay_alu instid0(VALU_DEP_1)
	v_cmpx_gt_u32_e64 s33, v2
	s_cbranch_execz .LBB1209_151
; %bb.142:
	v_add_nc_u32_e32 v2, 2, v1
	s_mov_b32 s4, exec_lo
	s_delay_alu instid0(VALU_DEP_1)
	v_cmpx_gt_u32_e64 s33, v2
	s_cbranch_execz .LBB1209_150
; %bb.143:
	v_add_nc_u32_e32 v2, 3, v1
	;; [unrolled: 6-line block ×4, first 2 shown]
	s_mov_b32 s7, exec_lo
	s_delay_alu instid0(VALU_DEP_1)
	v_cmpx_gt_u32_e64 s33, v2
; %bb.146:
	v_add_nc_u32_e32 v2, 6, v1
	s_mov_b32 s8, exec_lo
	s_delay_alu instid0(VALU_DEP_1)
	v_cmpx_gt_u32_e64 s33, v2
	s_or_b32 exec_lo, exec_lo, s8
; %bb.147:
	s_delay_alu instid0(SALU_CYCLE_1)
	s_or_b32 exec_lo, exec_lo, s7
.LBB1209_148:
	s_delay_alu instid0(SALU_CYCLE_1)
	s_or_b32 exec_lo, exec_lo, s6
.LBB1209_149:
	s_delay_alu instid0(SALU_CYCLE_1)
	s_or_b32 exec_lo, exec_lo, s5
.LBB1209_150:
	s_delay_alu instid0(SALU_CYCLE_1)
	s_or_b32 exec_lo, exec_lo, s4
.LBB1209_151:
	s_delay_alu instid0(SALU_CYCLE_1)
	s_or_b32 exec_lo, exec_lo, s3
.LBB1209_152:
	s_delay_alu instid0(SALU_CYCLE_1)
	s_or_b32 exec_lo, exec_lo, s2
	v_dual_lshlrev_b32 v1, 3, v1 :: v_dual_mov_b32 v3, 0
	s_wait_storecnt 0x0
	s_wait_loadcnt_dscnt 0x0
	s_barrier_signal -1
	s_barrier_wait -1
	v_mad_i32_i24 v2, 0xffffffb8, v0, v1
	ds_store_b128 v1, v[24:27]
	ds_store_b128 v1, v[28:31] offset:16
	ds_store_b128 v1, v[32:35] offset:32
	;; [unrolled: 1-line block ×4, first 2 shown]
	s_wait_dscnt 0x0
	s_barrier_signal -1
	s_barrier_wait -1
	ds_load_2addr_stride64_b64 v[18:21], v2 offset0:2 offset1:4
	ds_load_2addr_stride64_b64 v[14:17], v2 offset0:6 offset1:8
	;; [unrolled: 1-line block ×4, first 2 shown]
	ds_load_b64 v[4:5], v2 offset:9216
	v_lshlrev_b32_e32 v2, 3, v0
	s_mov_b32 s2, exec_lo
	s_delay_alu instid0(VALU_DEP_1)
	v_add_nc_u64_e32 v[2:3], s[0:1], v[2:3]
	v_cmpx_gt_u32_e64 s33, v0
	s_cbranch_execz .LBB1209_154
; %bb.153:
	v_mul_i32_i24_e32 v22, 0xffffffb8, v0
	s_delay_alu instid0(VALU_DEP_1)
	v_add_nc_u32_e32 v1, v1, v22
	ds_load_b64 v[22:23], v1
	s_wait_dscnt 0x0
	flat_store_b64 v[2:3], v[22:23]
.LBB1209_154:
	s_wait_xcnt 0x0
	s_or_b32 exec_lo, exec_lo, s2
	v_or_b32_e32 v1, 0x80, v0
	s_mov_b32 s2, exec_lo
	s_delay_alu instid0(VALU_DEP_1)
	v_cmpx_gt_u32_e64 s33, v1
	s_cbranch_execz .LBB1209_156
; %bb.155:
	s_wait_dscnt 0x4
	flat_store_b64 v[2:3], v[18:19] offset:1024
.LBB1209_156:
	s_wait_xcnt 0x0
	s_or_b32 exec_lo, exec_lo, s2
	v_or_b32_e32 v1, 0x100, v0
	s_mov_b32 s2, exec_lo
	s_delay_alu instid0(VALU_DEP_1)
	v_cmpx_gt_u32_e64 s33, v1
	s_cbranch_execz .LBB1209_158
; %bb.157:
	s_wait_dscnt 0x4
	flat_store_b64 v[2:3], v[20:21] offset:2048
.LBB1209_158:
	;; [unrolled: 11-line block ×8, first 2 shown]
	s_wait_xcnt 0x0
	s_or_b32 exec_lo, exec_lo, s2
	v_or_b32_e32 v1, 0x480, v0
	s_delay_alu instid0(VALU_DEP_1)
	v_cmp_gt_u32_e64 s2, s33, v1
	s_branch .LBB1209_205
.LBB1209_171:
	s_and_saveexec_b32 s12, s11
	s_cbranch_execz .LBB1209_173
; %bb.172:
	v_and_b32_e32 v24, 0xff, v34
	s_add_co_i32 s16, s44, 32
	s_mov_b32 s17, 0
	v_mov_b32_e32 v29, s16
	v_bitop3_b16 v28, v34, 1, v64 bitop3:0xc8
	v_cmp_eq_u32_e32 vcc_lo, 0, v24
	s_lshl_b64 s[20:21], s[16:17], 4
	s_delay_alu instid0(SALU_CYCLE_1) | instskip(SKIP_1) | instid1(VALU_DEP_1)
	s_add_nc_u64 s[16:17], s[22:23], s[20:21]
	v_dual_cndmask_b32 v25, 0, v27 :: v_dual_cndmask_b32 v24, 0, v26
	v_add_nc_u64_e32 v[16:17], v[24:25], v[16:17]
	v_dual_mov_b32 v24, 0 :: v_dual_mov_b32 v25, 2
	s_clause 0x1
	global_store_b64 v24, v[16:17], s[16:17]
	global_store_b8 v24, v28, s[16:17] offset:8
	global_wb scope:SCOPE_DEV
	s_wait_storecnt_dscnt 0x0
	global_inv scope:SCOPE_DEV
	s_wait_xcnt 0x0
	global_store_b8 v29, v25, s[24:25] scope:SCOPE_DEV
.LBB1209_173:
	s_wait_xcnt 0x0
	s_or_b32 exec_lo, exec_lo, s12
	s_delay_alu instid0(SALU_CYCLE_1)
	s_and_b32 exec_lo, exec_lo, s2
	s_cbranch_execz .LBB1209_175
; %bb.174:
	v_mov_b32_e32 v16, 0
	ds_store_b64 v16, v[26:27] offset:48
	ds_store_b8 v16, v64 offset:56
.LBB1209_175:
	s_or_b32 exec_lo, exec_lo, s14
	s_wait_dscnt 0x0
	v_dual_cndmask_b32 v16, v33, v31, s11 :: v_dual_bitop2_b32 v17, 1, v1 bitop3:0x40
	s_wait_loadcnt 0x0
	s_wait_storecnt 0x0
	s_barrier_signal -1
	s_barrier_wait -1
	v_dual_mov_b32 v24, 0 :: v_dual_bitop2_b32 v16, 1, v16 bitop3:0x40
	v_cmp_eq_u32_e32 vcc_lo, 1, v17
	v_and_b32_e32 v25, 0xff, v1
	s_delay_alu instid0(VALU_DEP_3)
	v_cmp_eq_u32_e64 s12, 1, v16
	ds_load_b64 v[16:17], v24 offset:48
	v_dual_cndmask_b32 v5, v32, v5, s11 :: v_dual_cndmask_b32 v4, v30, v4, s11
	s_or_b32 s12, vcc_lo, s12
	v_cmp_eq_u16_e32 vcc_lo, 0, v25
	v_cndmask_b32_e64 v24, 0, 1, s12
	s_delay_alu instid0(VALU_DEP_3) | instskip(NEXT) | instid1(VALU_DEP_2)
	v_cndmask_b32_e32 v5, 0, v5, vcc_lo
	v_dual_cndmask_b32 v24, v24, v1, s2 :: v_dual_cndmask_b32 v4, 0, v4, vcc_lo
	s_delay_alu instid0(VALU_DEP_1) | instskip(NEXT) | instid1(VALU_DEP_2)
	v_and_b32_e32 v24, 0xff, v24
	v_cndmask_b32_e64 v4, v4, 0, s2
	s_delay_alu instid0(VALU_DEP_2) | instskip(SKIP_4) | instid1(VALU_DEP_2)
	v_cmp_eq_u16_e32 vcc_lo, 0, v24
	s_wait_dscnt 0x0
	v_cndmask_b32_e32 v16, 0, v16, vcc_lo
	v_cndmask_b32_e64 v5, v5, 0, s2
	v_cndmask_b32_e32 v17, 0, v17, vcc_lo
	v_add_nc_u64_e32 v[4:5], v[4:5], v[2:3]
	s_delay_alu instid0(VALU_DEP_1) | instskip(NEXT) | instid1(VALU_DEP_1)
	v_add_nc_u64_e32 v[24:25], v[4:5], v[16:17]
	v_dual_cndmask_b32 v5, 0, v25, s1 :: v_dual_cndmask_b32 v4, 0, v24, s1
	s_delay_alu instid0(VALU_DEP_1) | instskip(NEXT) | instid1(VALU_DEP_1)
	v_add_nc_u64_e32 v[26:27], v[4:5], v[6:7]
	v_dual_cndmask_b32 v5, 0, v27, s4 :: v_dual_cndmask_b32 v4, 0, v26, s4
	;; [unrolled: 3-line block ×9, first 2 shown]
	s_delay_alu instid0(VALU_DEP_1)
	v_add_nc_u64_e32 v[42:43], v[4:5], v[8:9]
	s_branch .LBB1209_139
.LBB1209_176:
	s_cmp_lg_u64 s[34:35], 0
	s_cselect_b32 s0, -1, 0
	s_cmp_lg_u64 s[38:39], 0
	s_cselect_b32 s1, -1, 0
	s_delay_alu instid0(SALU_CYCLE_1) | instskip(NEXT) | instid1(SALU_CYCLE_1)
	s_and_b32 s0, s0, s1
	s_and_b32 s1, s2, s0
	s_delay_alu instid0(SALU_CYCLE_1)
	s_and_saveexec_b32 s0, s1
	s_cbranch_execz .LBB1209_178
; %bb.177:
	v_mov_b32_e32 v16, 0
	s_clause 0x1
	global_load_b64 v[4:5], v16, s[38:39]
	global_load_u8 v17, v16, s[38:39] offset:8
	s_wait_xcnt 0x0
	v_and_b32_e32 v16, 0xff, v1
	s_delay_alu instid0(VALU_DEP_1) | instskip(SKIP_4) | instid1(VALU_DEP_2)
	v_cmp_eq_u16_e32 vcc_lo, 0, v16
	s_wait_loadcnt 0x1
	v_dual_cndmask_b32 v5, 0, v5 :: v_dual_cndmask_b32 v4, 0, v4
	s_wait_loadcnt 0x0
	v_bitop3_b16 v1, v1, 1, v17 bitop3:0xc8
	v_add_nc_u64_e32 v[2:3], v[4:5], v[2:3]
.LBB1209_178:
	s_or_b32 exec_lo, exec_lo, s0
	v_cmp_eq_u16_e32 vcc_lo, 0, v62
	v_cmp_eq_u16_e64 s0, 0, v61
	v_cmp_eq_u16_e64 s1, 0, v60
	;; [unrolled: 1-line block ×4, first 2 shown]
	v_dual_cndmask_b32 v5, 0, v3 :: v_dual_cndmask_b32 v4, 0, v2
	v_cmp_eq_u16_e64 s6, 0, v57
	v_cmp_eq_u16_e64 s7, 0, v56
	v_cmp_eq_u16_e64 s8, 0, v55
	v_bitop3_b16 v16, v1, 0xff, v47 bitop3:0xc8
	v_add_nc_u64_e32 v[26:27], v[4:5], v[6:7]
	v_cmp_eq_u16_e64 s9, 0, v48
	v_cmp_ne_u16_e64 s11, 0, v53
	v_cmp_eq_u32_e64 s12, 1, v51
	v_cmp_ne_u16_e64 s13, 0, v54
	v_cmp_eq_u32_e64 s14, 1, v50
	v_cmp_eq_u32_e64 s15, 1, v49
	v_dual_cndmask_b32 v5, 0, v27, s0 :: v_dual_cndmask_b32 v4, 0, v26, s0
	v_cmp_eq_u32_e64 s10, 1, v52
	v_cmp_ne_u16_e64 s16, 0, v16
	s_or_b32 s11, s11, s12
	s_or_b32 s12, s13, s14
	v_add_nc_u64_e32 v[28:29], v[4:5], v[12:13]
	s_or_b32 s12, s15, s12
	s_or_b32 s10, s16, s10
	;; [unrolled: 1-line block ×3, first 2 shown]
	s_mov_b32 s12, exec_lo
	s_or_b32 s11, s11, s10
	s_delay_alu instid0(VALU_DEP_1) | instskip(SKIP_1) | instid1(VALU_DEP_2)
	v_dual_cndmask_b32 v5, 0, v29, s1 :: v_dual_cndmask_b32 v4, 0, v28, s1
	v_cndmask_b32_e64 v24, 0, 1, s11
	v_add_nc_u64_e32 v[30:31], v[4:5], v[10:11]
	s_delay_alu instid0(VALU_DEP_2) | instskip(NEXT) | instid1(VALU_DEP_2)
	v_mov_b32_dpp v47, v24 row_shr:1 row_mask:0xf bank_mask:0xf
	v_dual_cndmask_b32 v5, 0, v31, s4 :: v_dual_cndmask_b32 v4, 0, v30, s4
	s_delay_alu instid0(VALU_DEP_1) | instskip(NEXT) | instid1(VALU_DEP_1)
	v_add_nc_u64_e32 v[32:33], v[4:5], v[20:21]
	v_dual_cndmask_b32 v5, 0, v33, s5 :: v_dual_cndmask_b32 v4, 0, v32, s5
	s_delay_alu instid0(VALU_DEP_1) | instskip(NEXT) | instid1(VALU_DEP_1)
	v_add_nc_u64_e32 v[34:35], v[4:5], v[18:19]
	;; [unrolled: 3-line block ×6, first 2 shown]
	v_dual_mov_b32 v17, v43 :: v_dual_bitop2_b32 v25, 15, v46 bitop3:0x40
	s_delay_alu instid0(VALU_DEP_2)
	v_mov_b64_e32 v[4:5], v[42:43]
	v_mov_b32_dpp v48, v42 row_shr:1 row_mask:0xf bank_mask:0xf
	v_mov_b32_e32 v16, v42
	v_mov_b32_dpp v49, v43 row_shr:1 row_mask:0xf bank_mask:0xf
	v_cmpx_ne_u32_e32 0, v25
; %bb.179:
	s_delay_alu instid0(VALU_DEP_2) | instskip(SKIP_2) | instid1(VALU_DEP_2)
	v_cndmask_b32_e64 v5, v49, 0, s11
	v_cndmask_b32_e64 v4, v48, 0, s11
	v_and_or_b32 v24, v47, 1, v24
	v_add_nc_u64_e32 v[4:5], v[42:43], v[4:5]
	s_delay_alu instid0(VALU_DEP_1)
	v_dual_mov_b32 v17, v5 :: v_dual_mov_b32 v16, v4
; %bb.180:
	s_or_b32 exec_lo, exec_lo, s12
	s_delay_alu instid0(VALU_DEP_1) | instskip(NEXT) | instid1(VALU_DEP_2)
	v_mov_b32_dpp v48, v16 row_shr:2 row_mask:0xf bank_mask:0xf
	v_mov_b32_dpp v49, v17 row_shr:2 row_mask:0xf bank_mask:0xf
	;; [unrolled: 1-line block ×3, first 2 shown]
	s_mov_b32 s11, exec_lo
	v_cmpx_lt_u32_e32 1, v25
; %bb.181:
	v_cmp_eq_u16_e64 s10, 0, v24
	s_delay_alu instid0(VALU_DEP_3) | instskip(NEXT) | instid1(VALU_DEP_2)
	v_bitop3_b32 v24, v47, 1, v24 bitop3:0xc8
	v_dual_cndmask_b32 v17, 0, v49, s10 :: v_dual_cndmask_b32 v16, 0, v48, s10
	s_delay_alu instid0(VALU_DEP_1) | instskip(NEXT) | instid1(VALU_DEP_1)
	v_add_nc_u64_e32 v[16:17], v[16:17], v[4:5]
	v_mov_b64_e32 v[4:5], v[16:17]
; %bb.182:
	s_or_b32 exec_lo, exec_lo, s11
	v_mov_b32_dpp v48, v16 row_shr:4 row_mask:0xf bank_mask:0xf
	v_mov_b32_dpp v49, v17 row_shr:4 row_mask:0xf bank_mask:0xf
	;; [unrolled: 1-line block ×3, first 2 shown]
	s_mov_b32 s11, exec_lo
	v_cmpx_lt_u32_e32 3, v25
; %bb.183:
	v_cmp_eq_u16_e64 s10, 0, v24
	s_delay_alu instid0(VALU_DEP_3) | instskip(NEXT) | instid1(VALU_DEP_2)
	v_bitop3_b32 v24, v47, 1, v24 bitop3:0xc8
	v_dual_cndmask_b32 v17, 0, v49, s10 :: v_dual_cndmask_b32 v16, 0, v48, s10
	s_delay_alu instid0(VALU_DEP_1) | instskip(NEXT) | instid1(VALU_DEP_1)
	v_add_nc_u64_e32 v[16:17], v[16:17], v[4:5]
	v_mov_b64_e32 v[4:5], v[16:17]
; %bb.184:
	s_or_b32 exec_lo, exec_lo, s11
	v_mov_b32_dpp v48, v16 row_shr:8 row_mask:0xf bank_mask:0xf
	v_mov_b32_dpp v49, v17 row_shr:8 row_mask:0xf bank_mask:0xf
	;; [unrolled: 1-line block ×3, first 2 shown]
	s_mov_b32 s11, exec_lo
	v_cmpx_lt_u32_e32 7, v25
; %bb.185:
	v_cmp_eq_u16_e64 s10, 0, v24
	s_delay_alu instid0(VALU_DEP_3) | instskip(NEXT) | instid1(VALU_DEP_2)
	v_bitop3_b32 v24, v47, 1, v24 bitop3:0xc8
	v_dual_cndmask_b32 v17, 0, v49, s10 :: v_dual_cndmask_b32 v16, 0, v48, s10
	s_delay_alu instid0(VALU_DEP_1) | instskip(NEXT) | instid1(VALU_DEP_1)
	v_add_nc_u64_e32 v[4:5], v[16:17], v[4:5]
	v_dual_mov_b32 v17, v5 :: v_dual_mov_b32 v16, v4
; %bb.186:
	s_or_b32 exec_lo, exec_lo, s11
	ds_swizzle_b32 v16, v16 offset:swizzle(BROADCAST,32,15)
	ds_swizzle_b32 v17, v17 offset:swizzle(BROADCAST,32,15)
	;; [unrolled: 1-line block ×3, first 2 shown]
	v_and_b32_e32 v25, 16, v46
	s_delay_alu instid0(VALU_DEP_1)
	v_cmp_ne_u32_e64 s10, 0, v25
	v_mov_b32_e32 v25, v24
	s_and_saveexec_b32 s12, s10
	s_cbranch_execz .LBB1209_188
; %bb.187:
	v_cmp_eq_u16_e64 s10, 0, v24
	v_and_b32_e32 v24, 1, v24
	s_wait_dscnt 0x0
	s_delay_alu instid0(VALU_DEP_2) | instskip(SKIP_1) | instid1(VALU_DEP_3)
	v_dual_cndmask_b32 v16, 0, v16, s10 :: v_dual_bitop2_b32 v25, 1, v47 bitop3:0x40
	v_cndmask_b32_e64 v17, 0, v17, s10
	v_cmp_eq_u32_e64 s10, 1, v24
	s_delay_alu instid0(VALU_DEP_3) | instskip(NEXT) | instid1(VALU_DEP_3)
	v_cmp_eq_u32_e64 s11, 1, v25
	v_add_nc_u64_e32 v[4:5], v[16:17], v[4:5]
	s_or_b32 s10, s10, s11
	s_delay_alu instid0(SALU_CYCLE_1)
	v_cndmask_b32_e64 v24, 0, 1, s10
	v_cndmask_b32_e64 v25, 0, 1, s10
.LBB1209_188:
	s_or_b32 exec_lo, exec_lo, s12
	s_wait_dscnt 0x0
	v_dual_lshrrev_b32 v47, 5, v0 :: v_dual_bitop2_b32 v16, 31, v0 bitop3:0x54
	s_mov_b32 s11, exec_lo
	s_delay_alu instid0(VALU_DEP_1)
	v_cmpx_eq_u32_e64 v0, v16
	s_cbranch_execz .LBB1209_190
; %bb.189:
	s_delay_alu instid0(VALU_DEP_2)
	v_lshlrev_b32_e32 v16, 4, v47
	ds_store_b64 v16, v[4:5]
	ds_store_b8 v16, v24 offset:8
.LBB1209_190:
	s_or_b32 exec_lo, exec_lo, s11
	s_delay_alu instid0(SALU_CYCLE_1)
	s_mov_b32 s12, exec_lo
	s_wait_dscnt 0x0
	s_barrier_signal -1
	s_barrier_wait -1
	v_cmpx_gt_u32_e32 4, v0
	s_cbranch_execz .LBB1209_196
; %bb.191:
	v_dual_lshlrev_b32 v24, 4, v0 :: v_dual_bitop2_b32 v49, 3, v46 bitop3:0x40
	s_mov_b32 s11, exec_lo
	ds_load_b64 v[16:17], v24
	ds_load_b32 v48, v24 offset:8
	s_wait_dscnt 0x1
	v_mov_b32_dpp v53, v16 row_shr:1 row_mask:0xf bank_mask:0xf
	v_mov_b32_dpp v54, v17 row_shr:1 row_mask:0xf bank_mask:0xf
	s_wait_dscnt 0x0
	v_mov_b32_dpp v52, v48 row_shr:1 row_mask:0xf bank_mask:0xf
	v_dual_mov_b32 v51, v48 :: v_dual_mov_b32 v50, v48
	v_cmpx_ne_u32_e32 0, v49
	s_cbranch_execz .LBB1209_193
; %bb.192:
	v_and_b32_e32 v50, 0xff, v48
	v_or_b32_e32 v51, v52, v48
	s_delay_alu instid0(VALU_DEP_2) | instskip(SKIP_1) | instid1(VALU_DEP_2)
	v_cmp_eq_u16_e64 s10, 0, v50
	v_bitop3_b32 v50, v52, 1, v48 bitop3:0xc8
	v_dual_cndmask_b32 v55, 0, v54, s10 :: v_dual_bitop2_b32 v51, 1, v51 bitop3:0x40
	v_cndmask_b32_e64 v54, 0, v53, s10
	s_delay_alu instid0(VALU_DEP_3) | instskip(NEXT) | instid1(VALU_DEP_2)
	v_and_or_b32 v48, 0xffffff00, v48, v50
	v_add_nc_u64_e32 v[16:17], v[54:55], v[16:17]
.LBB1209_193:
	s_or_b32 exec_lo, exec_lo, s11
	s_delay_alu instid0(VALU_DEP_1) | instskip(NEXT) | instid1(VALU_DEP_2)
	v_mov_b32_dpp v52, v16 row_shr:2 row_mask:0xf bank_mask:0xf
	v_mov_b32_dpp v53, v17 row_shr:2 row_mask:0xf bank_mask:0xf
	;; [unrolled: 1-line block ×3, first 2 shown]
	s_mov_b32 s13, exec_lo
	v_cmpx_lt_u32_e32 1, v49
	s_cbranch_execz .LBB1209_195
; %bb.194:
	v_and_b32_e32 v49, 0xff, v50
	v_and_b32_e32 v51, 1, v48
	s_delay_alu instid0(VALU_DEP_2) | instskip(SKIP_1) | instid1(VALU_DEP_3)
	v_cmp_eq_u16_e64 s10, 0, v49
	v_and_b32_e32 v50, 1, v50
	v_cmp_eq_u32_e64 s11, 1, v51
	s_delay_alu instid0(VALU_DEP_3) | instskip(NEXT) | instid1(VALU_DEP_3)
	v_dual_cndmask_b32 v49, 0, v53, s10 :: v_dual_cndmask_b32 v48, 0, v52, s10
	v_cmp_eq_u32_e64 s10, 1, v50
	s_delay_alu instid0(VALU_DEP_2) | instskip(SKIP_1) | instid1(SALU_CYCLE_1)
	v_add_nc_u64_e32 v[16:17], v[48:49], v[16:17]
	s_or_b32 s10, s10, s11
	v_cndmask_b32_e64 v51, 0, 1, s10
.LBB1209_195:
	s_or_b32 exec_lo, exec_lo, s13
	ds_store_b64 v24, v[16:17]
	ds_store_b8 v24, v51 offset:8
.LBB1209_196:
	s_or_b32 exec_lo, exec_lo, s12
	v_mov_b64_e32 v[16:17], 0
	s_mov_b32 s11, exec_lo
	s_wait_dscnt 0x0
	s_barrier_signal -1
	s_barrier_wait -1
	v_cmpx_lt_u32_e32 31, v0
	s_cbranch_execz .LBB1209_198
; %bb.197:
	v_lshl_add_u32 v16, v47, 4, -16
	v_cmp_eq_u32_e64 s10, 0, v25
	ds_load_b64 v[16:17], v16
	s_wait_dscnt 0x0
	v_dual_cndmask_b32 v25, 0, v17, s10 :: v_dual_cndmask_b32 v24, 0, v16, s10
	s_delay_alu instid0(VALU_DEP_1)
	v_add_nc_u64_e32 v[4:5], v[24:25], v[4:5]
.LBB1209_198:
	s_or_b32 exec_lo, exec_lo, s11
	v_add_nc_u32_e32 v24, -1, v46
	s_delay_alu instid0(VALU_DEP_1) | instskip(NEXT) | instid1(VALU_DEP_1)
	v_cmp_gt_i32_e64 s10, 0, v24
	v_cndmask_b32_e64 v24, v24, v46, s10
	s_delay_alu instid0(VALU_DEP_1)
	v_lshlrev_b32_e32 v24, 2, v24
	ds_bpermute_b32 v4, v24, v4
	ds_bpermute_b32 v5, v24, v5
	s_and_saveexec_b32 s10, s3
	s_cbranch_execz .LBB1209_200
; %bb.199:
	v_cmp_eq_u32_e64 s3, 0, v46
	v_and_b32_e32 v1, 0xff, v1
	;;#ASMSTART
	;;#ASMEND
	s_wait_dscnt 0x0
	s_delay_alu instid0(VALU_DEP_2) | instskip(NEXT) | instid1(VALU_DEP_2)
	v_dual_cndmask_b32 v4, v4, v16, s3 :: v_dual_cndmask_b32 v5, v5, v17, s3
	v_cmp_eq_u16_e64 s3, 0, v1
	s_delay_alu instid0(VALU_DEP_1) | instskip(NEXT) | instid1(VALU_DEP_1)
	v_dual_cndmask_b32 v5, 0, v5, s3 :: v_dual_cndmask_b32 v4, 0, v4, s3
	v_add_nc_u64_e32 v[2:3], v[4:5], v[2:3]
	s_delay_alu instid0(VALU_DEP_1) | instskip(NEXT) | instid1(VALU_DEP_1)
	v_dual_cndmask_b32 v5, 0, v3 :: v_dual_cndmask_b32 v4, 0, v2
	v_add_nc_u64_e32 v[26:27], v[4:5], v[6:7]
	s_delay_alu instid0(VALU_DEP_1) | instskip(NEXT) | instid1(VALU_DEP_1)
	v_dual_cndmask_b32 v5, 0, v27, s0 :: v_dual_cndmask_b32 v4, 0, v26, s0
	v_add_nc_u64_e32 v[28:29], v[4:5], v[12:13]
	s_delay_alu instid0(VALU_DEP_1) | instskip(NEXT) | instid1(VALU_DEP_1)
	v_dual_cndmask_b32 v5, 0, v29, s1 :: v_dual_cndmask_b32 v4, 0, v28, s1
	;; [unrolled: 3-line block ×8, first 2 shown]
	v_add_nc_u64_e32 v[42:43], v[4:5], v[8:9]
.LBB1209_200:
	s_or_b32 exec_lo, exec_lo, s10
	s_and_saveexec_b32 s0, s2
	s_cbranch_execz .LBB1209_202
; %bb.201:
	v_dual_mov_b32 v1, 0 :: v_dual_mov_b32 v7, 2
	s_wait_dscnt 0x0
	ds_load_b64 v[4:5], v1 offset:48
	ds_load_u8 v6, v1 offset:56
	s_wait_dscnt 0x1
	global_store_b64 v1, v[4:5], s[22:23] offset:512
	s_wait_dscnt 0x0
	global_store_b8 v1, v6, s[22:23] offset:520
	global_wb scope:SCOPE_DEV
	s_wait_storecnt 0x0
	global_inv scope:SCOPE_DEV
	s_wait_xcnt 0x0
	global_store_b8 v1, v7, s[24:25] offset:32 scope:SCOPE_DEV
.LBB1209_202:
	s_wait_xcnt 0x0
	s_or_b32 exec_lo, exec_lo, s0
	v_mov_b64_e32 v[24:25], v[2:3]
	s_add_nc_u64 s[0:1], s[18:19], s[28:29]
	s_and_b32 vcc_lo, exec_lo, s27
	s_add_nc_u64 s[0:1], s[0:1], s[30:31]
	s_cbranch_vccnz .LBB1209_140
.LBB1209_203:
	s_mov_b32 s2, 0
                                        ; implicit-def: $vgpr4_vgpr5
	s_cbranch_execz .LBB1209_205
; %bb.204:
	v_mul_u32_u24_e32 v1, 0x50, v0
	v_mul_i32_i24_e32 v2, 0xffffffb8, v0
	s_wait_storecnt 0x0
	s_wait_loadcnt_dscnt 0x0
	s_barrier_signal -1
	s_barrier_wait -1
	ds_store_b128 v1, v[24:27]
	ds_store_b128 v1, v[28:31] offset:16
	ds_store_b128 v1, v[32:35] offset:32
	;; [unrolled: 1-line block ×4, first 2 shown]
	v_mad_u32_u24 v1, 0x50, v0, v2
	s_wait_dscnt 0x0
	s_barrier_signal -1
	s_barrier_wait -1
	ds_load_2addr_stride64_b64 v[6:9], v1 offset1:2
	ds_load_2addr_stride64_b64 v[10:13], v1 offset0:4 offset1:6
	ds_load_2addr_stride64_b64 v[14:17], v1 offset0:8 offset1:10
	;; [unrolled: 1-line block ×4, first 2 shown]
	s_or_b32 s2, s2, exec_lo
	s_wait_dscnt 0x4
	s_clause 0x1
	flat_store_b64 v0, v[6:7], s[0:1] scale_offset
	flat_store_b64 v0, v[8:9], s[0:1] offset:1024 scale_offset
	s_wait_dscnt 0x5
	s_clause 0x1
	flat_store_b64 v0, v[10:11], s[0:1] offset:2048 scale_offset
	flat_store_b64 v0, v[12:13], s[0:1] offset:3072 scale_offset
	s_wait_dscnt 0x6
	s_clause 0x1
	flat_store_b64 v0, v[14:15], s[0:1] offset:4096 scale_offset
	;; [unrolled: 4-line block ×3, first 2 shown]
	flat_store_b64 v0, v[20:21], s[0:1] offset:7168 scale_offset
	s_wait_dscnt 0x8
	flat_store_b64 v0, v[2:3], s[0:1] offset:8192 scale_offset
.LBB1209_205:
	s_wait_xcnt 0x0
	s_delay_alu instid0(VALU_DEP_1)
	s_and_saveexec_b32 s3, s2
	s_cbranch_execnz .LBB1209_207
; %bb.206:
	s_sendmsg sendmsg(MSG_DEALLOC_VGPRS)
	s_endpgm
.LBB1209_207:
	s_wait_dscnt 0x0
	flat_store_b64 v0, v[4:5], s[0:1] offset:9216 scale_offset
	s_sendmsg sendmsg(MSG_DEALLOC_VGPRS)
	s_endpgm
	.section	.rodata,"a",@progbits
	.p2align	6, 0x0
	.amdhsa_kernel _ZN7rocprim17ROCPRIM_400000_NS6detail17trampoline_kernelINS0_14default_configENS1_27scan_by_key_config_selectorIiyEEZZNS1_16scan_by_key_implILNS1_25lookback_scan_determinismE0ELb0ES3_N6thrust23THRUST_200600_302600_NS6detail15normal_iteratorINS9_10device_ptrIiEEEENSB_INSC_IyEEEESG_yNS9_4plusIvEENS9_8equal_toIvEEyEE10hipError_tPvRmT2_T3_T4_T5_mT6_T7_P12ihipStream_tbENKUlT_T0_E_clISt17integral_constantIbLb0EES10_IbLb1EEEEDaSW_SX_EUlSW_E_NS1_11comp_targetILNS1_3genE0ELNS1_11target_archE4294967295ELNS1_3gpuE0ELNS1_3repE0EEENS1_30default_config_static_selectorELNS0_4arch9wavefront6targetE0EEEvT1_
		.amdhsa_group_segment_fixed_size 10240
		.amdhsa_private_segment_fixed_size 0
		.amdhsa_kernarg_size 136
		.amdhsa_user_sgpr_count 2
		.amdhsa_user_sgpr_dispatch_ptr 0
		.amdhsa_user_sgpr_queue_ptr 0
		.amdhsa_user_sgpr_kernarg_segment_ptr 1
		.amdhsa_user_sgpr_dispatch_id 0
		.amdhsa_user_sgpr_kernarg_preload_length 0
		.amdhsa_user_sgpr_kernarg_preload_offset 0
		.amdhsa_user_sgpr_private_segment_size 0
		.amdhsa_wavefront_size32 1
		.amdhsa_uses_dynamic_stack 0
		.amdhsa_enable_private_segment 0
		.amdhsa_system_sgpr_workgroup_id_x 1
		.amdhsa_system_sgpr_workgroup_id_y 0
		.amdhsa_system_sgpr_workgroup_id_z 0
		.amdhsa_system_sgpr_workgroup_info 0
		.amdhsa_system_vgpr_workitem_id 0
		.amdhsa_next_free_vgpr 73
		.amdhsa_next_free_sgpr 46
		.amdhsa_named_barrier_count 0
		.amdhsa_reserve_vcc 1
		.amdhsa_float_round_mode_32 0
		.amdhsa_float_round_mode_16_64 0
		.amdhsa_float_denorm_mode_32 3
		.amdhsa_float_denorm_mode_16_64 3
		.amdhsa_fp16_overflow 0
		.amdhsa_memory_ordered 1
		.amdhsa_forward_progress 1
		.amdhsa_inst_pref_size 88
		.amdhsa_round_robin_scheduling 0
		.amdhsa_exception_fp_ieee_invalid_op 0
		.amdhsa_exception_fp_denorm_src 0
		.amdhsa_exception_fp_ieee_div_zero 0
		.amdhsa_exception_fp_ieee_overflow 0
		.amdhsa_exception_fp_ieee_underflow 0
		.amdhsa_exception_fp_ieee_inexact 0
		.amdhsa_exception_int_div_zero 0
	.end_amdhsa_kernel
	.section	.text._ZN7rocprim17ROCPRIM_400000_NS6detail17trampoline_kernelINS0_14default_configENS1_27scan_by_key_config_selectorIiyEEZZNS1_16scan_by_key_implILNS1_25lookback_scan_determinismE0ELb0ES3_N6thrust23THRUST_200600_302600_NS6detail15normal_iteratorINS9_10device_ptrIiEEEENSB_INSC_IyEEEESG_yNS9_4plusIvEENS9_8equal_toIvEEyEE10hipError_tPvRmT2_T3_T4_T5_mT6_T7_P12ihipStream_tbENKUlT_T0_E_clISt17integral_constantIbLb0EES10_IbLb1EEEEDaSW_SX_EUlSW_E_NS1_11comp_targetILNS1_3genE0ELNS1_11target_archE4294967295ELNS1_3gpuE0ELNS1_3repE0EEENS1_30default_config_static_selectorELNS0_4arch9wavefront6targetE0EEEvT1_,"axG",@progbits,_ZN7rocprim17ROCPRIM_400000_NS6detail17trampoline_kernelINS0_14default_configENS1_27scan_by_key_config_selectorIiyEEZZNS1_16scan_by_key_implILNS1_25lookback_scan_determinismE0ELb0ES3_N6thrust23THRUST_200600_302600_NS6detail15normal_iteratorINS9_10device_ptrIiEEEENSB_INSC_IyEEEESG_yNS9_4plusIvEENS9_8equal_toIvEEyEE10hipError_tPvRmT2_T3_T4_T5_mT6_T7_P12ihipStream_tbENKUlT_T0_E_clISt17integral_constantIbLb0EES10_IbLb1EEEEDaSW_SX_EUlSW_E_NS1_11comp_targetILNS1_3genE0ELNS1_11target_archE4294967295ELNS1_3gpuE0ELNS1_3repE0EEENS1_30default_config_static_selectorELNS0_4arch9wavefront6targetE0EEEvT1_,comdat
.Lfunc_end1209:
	.size	_ZN7rocprim17ROCPRIM_400000_NS6detail17trampoline_kernelINS0_14default_configENS1_27scan_by_key_config_selectorIiyEEZZNS1_16scan_by_key_implILNS1_25lookback_scan_determinismE0ELb0ES3_N6thrust23THRUST_200600_302600_NS6detail15normal_iteratorINS9_10device_ptrIiEEEENSB_INSC_IyEEEESG_yNS9_4plusIvEENS9_8equal_toIvEEyEE10hipError_tPvRmT2_T3_T4_T5_mT6_T7_P12ihipStream_tbENKUlT_T0_E_clISt17integral_constantIbLb0EES10_IbLb1EEEEDaSW_SX_EUlSW_E_NS1_11comp_targetILNS1_3genE0ELNS1_11target_archE4294967295ELNS1_3gpuE0ELNS1_3repE0EEENS1_30default_config_static_selectorELNS0_4arch9wavefront6targetE0EEEvT1_, .Lfunc_end1209-_ZN7rocprim17ROCPRIM_400000_NS6detail17trampoline_kernelINS0_14default_configENS1_27scan_by_key_config_selectorIiyEEZZNS1_16scan_by_key_implILNS1_25lookback_scan_determinismE0ELb0ES3_N6thrust23THRUST_200600_302600_NS6detail15normal_iteratorINS9_10device_ptrIiEEEENSB_INSC_IyEEEESG_yNS9_4plusIvEENS9_8equal_toIvEEyEE10hipError_tPvRmT2_T3_T4_T5_mT6_T7_P12ihipStream_tbENKUlT_T0_E_clISt17integral_constantIbLb0EES10_IbLb1EEEEDaSW_SX_EUlSW_E_NS1_11comp_targetILNS1_3genE0ELNS1_11target_archE4294967295ELNS1_3gpuE0ELNS1_3repE0EEENS1_30default_config_static_selectorELNS0_4arch9wavefront6targetE0EEEvT1_
                                        ; -- End function
	.set _ZN7rocprim17ROCPRIM_400000_NS6detail17trampoline_kernelINS0_14default_configENS1_27scan_by_key_config_selectorIiyEEZZNS1_16scan_by_key_implILNS1_25lookback_scan_determinismE0ELb0ES3_N6thrust23THRUST_200600_302600_NS6detail15normal_iteratorINS9_10device_ptrIiEEEENSB_INSC_IyEEEESG_yNS9_4plusIvEENS9_8equal_toIvEEyEE10hipError_tPvRmT2_T3_T4_T5_mT6_T7_P12ihipStream_tbENKUlT_T0_E_clISt17integral_constantIbLb0EES10_IbLb1EEEEDaSW_SX_EUlSW_E_NS1_11comp_targetILNS1_3genE0ELNS1_11target_archE4294967295ELNS1_3gpuE0ELNS1_3repE0EEENS1_30default_config_static_selectorELNS0_4arch9wavefront6targetE0EEEvT1_.num_vgpr, 73
	.set _ZN7rocprim17ROCPRIM_400000_NS6detail17trampoline_kernelINS0_14default_configENS1_27scan_by_key_config_selectorIiyEEZZNS1_16scan_by_key_implILNS1_25lookback_scan_determinismE0ELb0ES3_N6thrust23THRUST_200600_302600_NS6detail15normal_iteratorINS9_10device_ptrIiEEEENSB_INSC_IyEEEESG_yNS9_4plusIvEENS9_8equal_toIvEEyEE10hipError_tPvRmT2_T3_T4_T5_mT6_T7_P12ihipStream_tbENKUlT_T0_E_clISt17integral_constantIbLb0EES10_IbLb1EEEEDaSW_SX_EUlSW_E_NS1_11comp_targetILNS1_3genE0ELNS1_11target_archE4294967295ELNS1_3gpuE0ELNS1_3repE0EEENS1_30default_config_static_selectorELNS0_4arch9wavefront6targetE0EEEvT1_.num_agpr, 0
	.set _ZN7rocprim17ROCPRIM_400000_NS6detail17trampoline_kernelINS0_14default_configENS1_27scan_by_key_config_selectorIiyEEZZNS1_16scan_by_key_implILNS1_25lookback_scan_determinismE0ELb0ES3_N6thrust23THRUST_200600_302600_NS6detail15normal_iteratorINS9_10device_ptrIiEEEENSB_INSC_IyEEEESG_yNS9_4plusIvEENS9_8equal_toIvEEyEE10hipError_tPvRmT2_T3_T4_T5_mT6_T7_P12ihipStream_tbENKUlT_T0_E_clISt17integral_constantIbLb0EES10_IbLb1EEEEDaSW_SX_EUlSW_E_NS1_11comp_targetILNS1_3genE0ELNS1_11target_archE4294967295ELNS1_3gpuE0ELNS1_3repE0EEENS1_30default_config_static_selectorELNS0_4arch9wavefront6targetE0EEEvT1_.numbered_sgpr, 46
	.set _ZN7rocprim17ROCPRIM_400000_NS6detail17trampoline_kernelINS0_14default_configENS1_27scan_by_key_config_selectorIiyEEZZNS1_16scan_by_key_implILNS1_25lookback_scan_determinismE0ELb0ES3_N6thrust23THRUST_200600_302600_NS6detail15normal_iteratorINS9_10device_ptrIiEEEENSB_INSC_IyEEEESG_yNS9_4plusIvEENS9_8equal_toIvEEyEE10hipError_tPvRmT2_T3_T4_T5_mT6_T7_P12ihipStream_tbENKUlT_T0_E_clISt17integral_constantIbLb0EES10_IbLb1EEEEDaSW_SX_EUlSW_E_NS1_11comp_targetILNS1_3genE0ELNS1_11target_archE4294967295ELNS1_3gpuE0ELNS1_3repE0EEENS1_30default_config_static_selectorELNS0_4arch9wavefront6targetE0EEEvT1_.num_named_barrier, 0
	.set _ZN7rocprim17ROCPRIM_400000_NS6detail17trampoline_kernelINS0_14default_configENS1_27scan_by_key_config_selectorIiyEEZZNS1_16scan_by_key_implILNS1_25lookback_scan_determinismE0ELb0ES3_N6thrust23THRUST_200600_302600_NS6detail15normal_iteratorINS9_10device_ptrIiEEEENSB_INSC_IyEEEESG_yNS9_4plusIvEENS9_8equal_toIvEEyEE10hipError_tPvRmT2_T3_T4_T5_mT6_T7_P12ihipStream_tbENKUlT_T0_E_clISt17integral_constantIbLb0EES10_IbLb1EEEEDaSW_SX_EUlSW_E_NS1_11comp_targetILNS1_3genE0ELNS1_11target_archE4294967295ELNS1_3gpuE0ELNS1_3repE0EEENS1_30default_config_static_selectorELNS0_4arch9wavefront6targetE0EEEvT1_.private_seg_size, 0
	.set _ZN7rocprim17ROCPRIM_400000_NS6detail17trampoline_kernelINS0_14default_configENS1_27scan_by_key_config_selectorIiyEEZZNS1_16scan_by_key_implILNS1_25lookback_scan_determinismE0ELb0ES3_N6thrust23THRUST_200600_302600_NS6detail15normal_iteratorINS9_10device_ptrIiEEEENSB_INSC_IyEEEESG_yNS9_4plusIvEENS9_8equal_toIvEEyEE10hipError_tPvRmT2_T3_T4_T5_mT6_T7_P12ihipStream_tbENKUlT_T0_E_clISt17integral_constantIbLb0EES10_IbLb1EEEEDaSW_SX_EUlSW_E_NS1_11comp_targetILNS1_3genE0ELNS1_11target_archE4294967295ELNS1_3gpuE0ELNS1_3repE0EEENS1_30default_config_static_selectorELNS0_4arch9wavefront6targetE0EEEvT1_.uses_vcc, 1
	.set _ZN7rocprim17ROCPRIM_400000_NS6detail17trampoline_kernelINS0_14default_configENS1_27scan_by_key_config_selectorIiyEEZZNS1_16scan_by_key_implILNS1_25lookback_scan_determinismE0ELb0ES3_N6thrust23THRUST_200600_302600_NS6detail15normal_iteratorINS9_10device_ptrIiEEEENSB_INSC_IyEEEESG_yNS9_4plusIvEENS9_8equal_toIvEEyEE10hipError_tPvRmT2_T3_T4_T5_mT6_T7_P12ihipStream_tbENKUlT_T0_E_clISt17integral_constantIbLb0EES10_IbLb1EEEEDaSW_SX_EUlSW_E_NS1_11comp_targetILNS1_3genE0ELNS1_11target_archE4294967295ELNS1_3gpuE0ELNS1_3repE0EEENS1_30default_config_static_selectorELNS0_4arch9wavefront6targetE0EEEvT1_.uses_flat_scratch, 1
	.set _ZN7rocprim17ROCPRIM_400000_NS6detail17trampoline_kernelINS0_14default_configENS1_27scan_by_key_config_selectorIiyEEZZNS1_16scan_by_key_implILNS1_25lookback_scan_determinismE0ELb0ES3_N6thrust23THRUST_200600_302600_NS6detail15normal_iteratorINS9_10device_ptrIiEEEENSB_INSC_IyEEEESG_yNS9_4plusIvEENS9_8equal_toIvEEyEE10hipError_tPvRmT2_T3_T4_T5_mT6_T7_P12ihipStream_tbENKUlT_T0_E_clISt17integral_constantIbLb0EES10_IbLb1EEEEDaSW_SX_EUlSW_E_NS1_11comp_targetILNS1_3genE0ELNS1_11target_archE4294967295ELNS1_3gpuE0ELNS1_3repE0EEENS1_30default_config_static_selectorELNS0_4arch9wavefront6targetE0EEEvT1_.has_dyn_sized_stack, 0
	.set _ZN7rocprim17ROCPRIM_400000_NS6detail17trampoline_kernelINS0_14default_configENS1_27scan_by_key_config_selectorIiyEEZZNS1_16scan_by_key_implILNS1_25lookback_scan_determinismE0ELb0ES3_N6thrust23THRUST_200600_302600_NS6detail15normal_iteratorINS9_10device_ptrIiEEEENSB_INSC_IyEEEESG_yNS9_4plusIvEENS9_8equal_toIvEEyEE10hipError_tPvRmT2_T3_T4_T5_mT6_T7_P12ihipStream_tbENKUlT_T0_E_clISt17integral_constantIbLb0EES10_IbLb1EEEEDaSW_SX_EUlSW_E_NS1_11comp_targetILNS1_3genE0ELNS1_11target_archE4294967295ELNS1_3gpuE0ELNS1_3repE0EEENS1_30default_config_static_selectorELNS0_4arch9wavefront6targetE0EEEvT1_.has_recursion, 0
	.set _ZN7rocprim17ROCPRIM_400000_NS6detail17trampoline_kernelINS0_14default_configENS1_27scan_by_key_config_selectorIiyEEZZNS1_16scan_by_key_implILNS1_25lookback_scan_determinismE0ELb0ES3_N6thrust23THRUST_200600_302600_NS6detail15normal_iteratorINS9_10device_ptrIiEEEENSB_INSC_IyEEEESG_yNS9_4plusIvEENS9_8equal_toIvEEyEE10hipError_tPvRmT2_T3_T4_T5_mT6_T7_P12ihipStream_tbENKUlT_T0_E_clISt17integral_constantIbLb0EES10_IbLb1EEEEDaSW_SX_EUlSW_E_NS1_11comp_targetILNS1_3genE0ELNS1_11target_archE4294967295ELNS1_3gpuE0ELNS1_3repE0EEENS1_30default_config_static_selectorELNS0_4arch9wavefront6targetE0EEEvT1_.has_indirect_call, 0
	.section	.AMDGPU.csdata,"",@progbits
; Kernel info:
; codeLenInByte = 11236
; TotalNumSgprs: 48
; NumVgprs: 73
; ScratchSize: 0
; MemoryBound: 0
; FloatMode: 240
; IeeeMode: 1
; LDSByteSize: 10240 bytes/workgroup (compile time only)
; SGPRBlocks: 0
; VGPRBlocks: 4
; NumSGPRsForWavesPerEU: 48
; NumVGPRsForWavesPerEU: 73
; NamedBarCnt: 0
; Occupancy: 12
; WaveLimiterHint : 1
; COMPUTE_PGM_RSRC2:SCRATCH_EN: 0
; COMPUTE_PGM_RSRC2:USER_SGPR: 2
; COMPUTE_PGM_RSRC2:TRAP_HANDLER: 0
; COMPUTE_PGM_RSRC2:TGID_X_EN: 1
; COMPUTE_PGM_RSRC2:TGID_Y_EN: 0
; COMPUTE_PGM_RSRC2:TGID_Z_EN: 0
; COMPUTE_PGM_RSRC2:TIDIG_COMP_CNT: 0
	.section	.text._ZN7rocprim17ROCPRIM_400000_NS6detail17trampoline_kernelINS0_14default_configENS1_27scan_by_key_config_selectorIiyEEZZNS1_16scan_by_key_implILNS1_25lookback_scan_determinismE0ELb0ES3_N6thrust23THRUST_200600_302600_NS6detail15normal_iteratorINS9_10device_ptrIiEEEENSB_INSC_IyEEEESG_yNS9_4plusIvEENS9_8equal_toIvEEyEE10hipError_tPvRmT2_T3_T4_T5_mT6_T7_P12ihipStream_tbENKUlT_T0_E_clISt17integral_constantIbLb0EES10_IbLb1EEEEDaSW_SX_EUlSW_E_NS1_11comp_targetILNS1_3genE10ELNS1_11target_archE1201ELNS1_3gpuE5ELNS1_3repE0EEENS1_30default_config_static_selectorELNS0_4arch9wavefront6targetE0EEEvT1_,"axG",@progbits,_ZN7rocprim17ROCPRIM_400000_NS6detail17trampoline_kernelINS0_14default_configENS1_27scan_by_key_config_selectorIiyEEZZNS1_16scan_by_key_implILNS1_25lookback_scan_determinismE0ELb0ES3_N6thrust23THRUST_200600_302600_NS6detail15normal_iteratorINS9_10device_ptrIiEEEENSB_INSC_IyEEEESG_yNS9_4plusIvEENS9_8equal_toIvEEyEE10hipError_tPvRmT2_T3_T4_T5_mT6_T7_P12ihipStream_tbENKUlT_T0_E_clISt17integral_constantIbLb0EES10_IbLb1EEEEDaSW_SX_EUlSW_E_NS1_11comp_targetILNS1_3genE10ELNS1_11target_archE1201ELNS1_3gpuE5ELNS1_3repE0EEENS1_30default_config_static_selectorELNS0_4arch9wavefront6targetE0EEEvT1_,comdat
	.protected	_ZN7rocprim17ROCPRIM_400000_NS6detail17trampoline_kernelINS0_14default_configENS1_27scan_by_key_config_selectorIiyEEZZNS1_16scan_by_key_implILNS1_25lookback_scan_determinismE0ELb0ES3_N6thrust23THRUST_200600_302600_NS6detail15normal_iteratorINS9_10device_ptrIiEEEENSB_INSC_IyEEEESG_yNS9_4plusIvEENS9_8equal_toIvEEyEE10hipError_tPvRmT2_T3_T4_T5_mT6_T7_P12ihipStream_tbENKUlT_T0_E_clISt17integral_constantIbLb0EES10_IbLb1EEEEDaSW_SX_EUlSW_E_NS1_11comp_targetILNS1_3genE10ELNS1_11target_archE1201ELNS1_3gpuE5ELNS1_3repE0EEENS1_30default_config_static_selectorELNS0_4arch9wavefront6targetE0EEEvT1_ ; -- Begin function _ZN7rocprim17ROCPRIM_400000_NS6detail17trampoline_kernelINS0_14default_configENS1_27scan_by_key_config_selectorIiyEEZZNS1_16scan_by_key_implILNS1_25lookback_scan_determinismE0ELb0ES3_N6thrust23THRUST_200600_302600_NS6detail15normal_iteratorINS9_10device_ptrIiEEEENSB_INSC_IyEEEESG_yNS9_4plusIvEENS9_8equal_toIvEEyEE10hipError_tPvRmT2_T3_T4_T5_mT6_T7_P12ihipStream_tbENKUlT_T0_E_clISt17integral_constantIbLb0EES10_IbLb1EEEEDaSW_SX_EUlSW_E_NS1_11comp_targetILNS1_3genE10ELNS1_11target_archE1201ELNS1_3gpuE5ELNS1_3repE0EEENS1_30default_config_static_selectorELNS0_4arch9wavefront6targetE0EEEvT1_
	.globl	_ZN7rocprim17ROCPRIM_400000_NS6detail17trampoline_kernelINS0_14default_configENS1_27scan_by_key_config_selectorIiyEEZZNS1_16scan_by_key_implILNS1_25lookback_scan_determinismE0ELb0ES3_N6thrust23THRUST_200600_302600_NS6detail15normal_iteratorINS9_10device_ptrIiEEEENSB_INSC_IyEEEESG_yNS9_4plusIvEENS9_8equal_toIvEEyEE10hipError_tPvRmT2_T3_T4_T5_mT6_T7_P12ihipStream_tbENKUlT_T0_E_clISt17integral_constantIbLb0EES10_IbLb1EEEEDaSW_SX_EUlSW_E_NS1_11comp_targetILNS1_3genE10ELNS1_11target_archE1201ELNS1_3gpuE5ELNS1_3repE0EEENS1_30default_config_static_selectorELNS0_4arch9wavefront6targetE0EEEvT1_
	.p2align	8
	.type	_ZN7rocprim17ROCPRIM_400000_NS6detail17trampoline_kernelINS0_14default_configENS1_27scan_by_key_config_selectorIiyEEZZNS1_16scan_by_key_implILNS1_25lookback_scan_determinismE0ELb0ES3_N6thrust23THRUST_200600_302600_NS6detail15normal_iteratorINS9_10device_ptrIiEEEENSB_INSC_IyEEEESG_yNS9_4plusIvEENS9_8equal_toIvEEyEE10hipError_tPvRmT2_T3_T4_T5_mT6_T7_P12ihipStream_tbENKUlT_T0_E_clISt17integral_constantIbLb0EES10_IbLb1EEEEDaSW_SX_EUlSW_E_NS1_11comp_targetILNS1_3genE10ELNS1_11target_archE1201ELNS1_3gpuE5ELNS1_3repE0EEENS1_30default_config_static_selectorELNS0_4arch9wavefront6targetE0EEEvT1_,@function
_ZN7rocprim17ROCPRIM_400000_NS6detail17trampoline_kernelINS0_14default_configENS1_27scan_by_key_config_selectorIiyEEZZNS1_16scan_by_key_implILNS1_25lookback_scan_determinismE0ELb0ES3_N6thrust23THRUST_200600_302600_NS6detail15normal_iteratorINS9_10device_ptrIiEEEENSB_INSC_IyEEEESG_yNS9_4plusIvEENS9_8equal_toIvEEyEE10hipError_tPvRmT2_T3_T4_T5_mT6_T7_P12ihipStream_tbENKUlT_T0_E_clISt17integral_constantIbLb0EES10_IbLb1EEEEDaSW_SX_EUlSW_E_NS1_11comp_targetILNS1_3genE10ELNS1_11target_archE1201ELNS1_3gpuE5ELNS1_3repE0EEENS1_30default_config_static_selectorELNS0_4arch9wavefront6targetE0EEEvT1_: ; @_ZN7rocprim17ROCPRIM_400000_NS6detail17trampoline_kernelINS0_14default_configENS1_27scan_by_key_config_selectorIiyEEZZNS1_16scan_by_key_implILNS1_25lookback_scan_determinismE0ELb0ES3_N6thrust23THRUST_200600_302600_NS6detail15normal_iteratorINS9_10device_ptrIiEEEENSB_INSC_IyEEEESG_yNS9_4plusIvEENS9_8equal_toIvEEyEE10hipError_tPvRmT2_T3_T4_T5_mT6_T7_P12ihipStream_tbENKUlT_T0_E_clISt17integral_constantIbLb0EES10_IbLb1EEEEDaSW_SX_EUlSW_E_NS1_11comp_targetILNS1_3genE10ELNS1_11target_archE1201ELNS1_3gpuE5ELNS1_3repE0EEENS1_30default_config_static_selectorELNS0_4arch9wavefront6targetE0EEEvT1_
; %bb.0:
	.section	.rodata,"a",@progbits
	.p2align	6, 0x0
	.amdhsa_kernel _ZN7rocprim17ROCPRIM_400000_NS6detail17trampoline_kernelINS0_14default_configENS1_27scan_by_key_config_selectorIiyEEZZNS1_16scan_by_key_implILNS1_25lookback_scan_determinismE0ELb0ES3_N6thrust23THRUST_200600_302600_NS6detail15normal_iteratorINS9_10device_ptrIiEEEENSB_INSC_IyEEEESG_yNS9_4plusIvEENS9_8equal_toIvEEyEE10hipError_tPvRmT2_T3_T4_T5_mT6_T7_P12ihipStream_tbENKUlT_T0_E_clISt17integral_constantIbLb0EES10_IbLb1EEEEDaSW_SX_EUlSW_E_NS1_11comp_targetILNS1_3genE10ELNS1_11target_archE1201ELNS1_3gpuE5ELNS1_3repE0EEENS1_30default_config_static_selectorELNS0_4arch9wavefront6targetE0EEEvT1_
		.amdhsa_group_segment_fixed_size 0
		.amdhsa_private_segment_fixed_size 0
		.amdhsa_kernarg_size 136
		.amdhsa_user_sgpr_count 2
		.amdhsa_user_sgpr_dispatch_ptr 0
		.amdhsa_user_sgpr_queue_ptr 0
		.amdhsa_user_sgpr_kernarg_segment_ptr 1
		.amdhsa_user_sgpr_dispatch_id 0
		.amdhsa_user_sgpr_kernarg_preload_length 0
		.amdhsa_user_sgpr_kernarg_preload_offset 0
		.amdhsa_user_sgpr_private_segment_size 0
		.amdhsa_wavefront_size32 1
		.amdhsa_uses_dynamic_stack 0
		.amdhsa_enable_private_segment 0
		.amdhsa_system_sgpr_workgroup_id_x 1
		.amdhsa_system_sgpr_workgroup_id_y 0
		.amdhsa_system_sgpr_workgroup_id_z 0
		.amdhsa_system_sgpr_workgroup_info 0
		.amdhsa_system_vgpr_workitem_id 0
		.amdhsa_next_free_vgpr 1
		.amdhsa_next_free_sgpr 1
		.amdhsa_named_barrier_count 0
		.amdhsa_reserve_vcc 0
		.amdhsa_float_round_mode_32 0
		.amdhsa_float_round_mode_16_64 0
		.amdhsa_float_denorm_mode_32 3
		.amdhsa_float_denorm_mode_16_64 3
		.amdhsa_fp16_overflow 0
		.amdhsa_memory_ordered 1
		.amdhsa_forward_progress 1
		.amdhsa_inst_pref_size 0
		.amdhsa_round_robin_scheduling 0
		.amdhsa_exception_fp_ieee_invalid_op 0
		.amdhsa_exception_fp_denorm_src 0
		.amdhsa_exception_fp_ieee_div_zero 0
		.amdhsa_exception_fp_ieee_overflow 0
		.amdhsa_exception_fp_ieee_underflow 0
		.amdhsa_exception_fp_ieee_inexact 0
		.amdhsa_exception_int_div_zero 0
	.end_amdhsa_kernel
	.section	.text._ZN7rocprim17ROCPRIM_400000_NS6detail17trampoline_kernelINS0_14default_configENS1_27scan_by_key_config_selectorIiyEEZZNS1_16scan_by_key_implILNS1_25lookback_scan_determinismE0ELb0ES3_N6thrust23THRUST_200600_302600_NS6detail15normal_iteratorINS9_10device_ptrIiEEEENSB_INSC_IyEEEESG_yNS9_4plusIvEENS9_8equal_toIvEEyEE10hipError_tPvRmT2_T3_T4_T5_mT6_T7_P12ihipStream_tbENKUlT_T0_E_clISt17integral_constantIbLb0EES10_IbLb1EEEEDaSW_SX_EUlSW_E_NS1_11comp_targetILNS1_3genE10ELNS1_11target_archE1201ELNS1_3gpuE5ELNS1_3repE0EEENS1_30default_config_static_selectorELNS0_4arch9wavefront6targetE0EEEvT1_,"axG",@progbits,_ZN7rocprim17ROCPRIM_400000_NS6detail17trampoline_kernelINS0_14default_configENS1_27scan_by_key_config_selectorIiyEEZZNS1_16scan_by_key_implILNS1_25lookback_scan_determinismE0ELb0ES3_N6thrust23THRUST_200600_302600_NS6detail15normal_iteratorINS9_10device_ptrIiEEEENSB_INSC_IyEEEESG_yNS9_4plusIvEENS9_8equal_toIvEEyEE10hipError_tPvRmT2_T3_T4_T5_mT6_T7_P12ihipStream_tbENKUlT_T0_E_clISt17integral_constantIbLb0EES10_IbLb1EEEEDaSW_SX_EUlSW_E_NS1_11comp_targetILNS1_3genE10ELNS1_11target_archE1201ELNS1_3gpuE5ELNS1_3repE0EEENS1_30default_config_static_selectorELNS0_4arch9wavefront6targetE0EEEvT1_,comdat
.Lfunc_end1210:
	.size	_ZN7rocprim17ROCPRIM_400000_NS6detail17trampoline_kernelINS0_14default_configENS1_27scan_by_key_config_selectorIiyEEZZNS1_16scan_by_key_implILNS1_25lookback_scan_determinismE0ELb0ES3_N6thrust23THRUST_200600_302600_NS6detail15normal_iteratorINS9_10device_ptrIiEEEENSB_INSC_IyEEEESG_yNS9_4plusIvEENS9_8equal_toIvEEyEE10hipError_tPvRmT2_T3_T4_T5_mT6_T7_P12ihipStream_tbENKUlT_T0_E_clISt17integral_constantIbLb0EES10_IbLb1EEEEDaSW_SX_EUlSW_E_NS1_11comp_targetILNS1_3genE10ELNS1_11target_archE1201ELNS1_3gpuE5ELNS1_3repE0EEENS1_30default_config_static_selectorELNS0_4arch9wavefront6targetE0EEEvT1_, .Lfunc_end1210-_ZN7rocprim17ROCPRIM_400000_NS6detail17trampoline_kernelINS0_14default_configENS1_27scan_by_key_config_selectorIiyEEZZNS1_16scan_by_key_implILNS1_25lookback_scan_determinismE0ELb0ES3_N6thrust23THRUST_200600_302600_NS6detail15normal_iteratorINS9_10device_ptrIiEEEENSB_INSC_IyEEEESG_yNS9_4plusIvEENS9_8equal_toIvEEyEE10hipError_tPvRmT2_T3_T4_T5_mT6_T7_P12ihipStream_tbENKUlT_T0_E_clISt17integral_constantIbLb0EES10_IbLb1EEEEDaSW_SX_EUlSW_E_NS1_11comp_targetILNS1_3genE10ELNS1_11target_archE1201ELNS1_3gpuE5ELNS1_3repE0EEENS1_30default_config_static_selectorELNS0_4arch9wavefront6targetE0EEEvT1_
                                        ; -- End function
	.set _ZN7rocprim17ROCPRIM_400000_NS6detail17trampoline_kernelINS0_14default_configENS1_27scan_by_key_config_selectorIiyEEZZNS1_16scan_by_key_implILNS1_25lookback_scan_determinismE0ELb0ES3_N6thrust23THRUST_200600_302600_NS6detail15normal_iteratorINS9_10device_ptrIiEEEENSB_INSC_IyEEEESG_yNS9_4plusIvEENS9_8equal_toIvEEyEE10hipError_tPvRmT2_T3_T4_T5_mT6_T7_P12ihipStream_tbENKUlT_T0_E_clISt17integral_constantIbLb0EES10_IbLb1EEEEDaSW_SX_EUlSW_E_NS1_11comp_targetILNS1_3genE10ELNS1_11target_archE1201ELNS1_3gpuE5ELNS1_3repE0EEENS1_30default_config_static_selectorELNS0_4arch9wavefront6targetE0EEEvT1_.num_vgpr, 0
	.set _ZN7rocprim17ROCPRIM_400000_NS6detail17trampoline_kernelINS0_14default_configENS1_27scan_by_key_config_selectorIiyEEZZNS1_16scan_by_key_implILNS1_25lookback_scan_determinismE0ELb0ES3_N6thrust23THRUST_200600_302600_NS6detail15normal_iteratorINS9_10device_ptrIiEEEENSB_INSC_IyEEEESG_yNS9_4plusIvEENS9_8equal_toIvEEyEE10hipError_tPvRmT2_T3_T4_T5_mT6_T7_P12ihipStream_tbENKUlT_T0_E_clISt17integral_constantIbLb0EES10_IbLb1EEEEDaSW_SX_EUlSW_E_NS1_11comp_targetILNS1_3genE10ELNS1_11target_archE1201ELNS1_3gpuE5ELNS1_3repE0EEENS1_30default_config_static_selectorELNS0_4arch9wavefront6targetE0EEEvT1_.num_agpr, 0
	.set _ZN7rocprim17ROCPRIM_400000_NS6detail17trampoline_kernelINS0_14default_configENS1_27scan_by_key_config_selectorIiyEEZZNS1_16scan_by_key_implILNS1_25lookback_scan_determinismE0ELb0ES3_N6thrust23THRUST_200600_302600_NS6detail15normal_iteratorINS9_10device_ptrIiEEEENSB_INSC_IyEEEESG_yNS9_4plusIvEENS9_8equal_toIvEEyEE10hipError_tPvRmT2_T3_T4_T5_mT6_T7_P12ihipStream_tbENKUlT_T0_E_clISt17integral_constantIbLb0EES10_IbLb1EEEEDaSW_SX_EUlSW_E_NS1_11comp_targetILNS1_3genE10ELNS1_11target_archE1201ELNS1_3gpuE5ELNS1_3repE0EEENS1_30default_config_static_selectorELNS0_4arch9wavefront6targetE0EEEvT1_.numbered_sgpr, 0
	.set _ZN7rocprim17ROCPRIM_400000_NS6detail17trampoline_kernelINS0_14default_configENS1_27scan_by_key_config_selectorIiyEEZZNS1_16scan_by_key_implILNS1_25lookback_scan_determinismE0ELb0ES3_N6thrust23THRUST_200600_302600_NS6detail15normal_iteratorINS9_10device_ptrIiEEEENSB_INSC_IyEEEESG_yNS9_4plusIvEENS9_8equal_toIvEEyEE10hipError_tPvRmT2_T3_T4_T5_mT6_T7_P12ihipStream_tbENKUlT_T0_E_clISt17integral_constantIbLb0EES10_IbLb1EEEEDaSW_SX_EUlSW_E_NS1_11comp_targetILNS1_3genE10ELNS1_11target_archE1201ELNS1_3gpuE5ELNS1_3repE0EEENS1_30default_config_static_selectorELNS0_4arch9wavefront6targetE0EEEvT1_.num_named_barrier, 0
	.set _ZN7rocprim17ROCPRIM_400000_NS6detail17trampoline_kernelINS0_14default_configENS1_27scan_by_key_config_selectorIiyEEZZNS1_16scan_by_key_implILNS1_25lookback_scan_determinismE0ELb0ES3_N6thrust23THRUST_200600_302600_NS6detail15normal_iteratorINS9_10device_ptrIiEEEENSB_INSC_IyEEEESG_yNS9_4plusIvEENS9_8equal_toIvEEyEE10hipError_tPvRmT2_T3_T4_T5_mT6_T7_P12ihipStream_tbENKUlT_T0_E_clISt17integral_constantIbLb0EES10_IbLb1EEEEDaSW_SX_EUlSW_E_NS1_11comp_targetILNS1_3genE10ELNS1_11target_archE1201ELNS1_3gpuE5ELNS1_3repE0EEENS1_30default_config_static_selectorELNS0_4arch9wavefront6targetE0EEEvT1_.private_seg_size, 0
	.set _ZN7rocprim17ROCPRIM_400000_NS6detail17trampoline_kernelINS0_14default_configENS1_27scan_by_key_config_selectorIiyEEZZNS1_16scan_by_key_implILNS1_25lookback_scan_determinismE0ELb0ES3_N6thrust23THRUST_200600_302600_NS6detail15normal_iteratorINS9_10device_ptrIiEEEENSB_INSC_IyEEEESG_yNS9_4plusIvEENS9_8equal_toIvEEyEE10hipError_tPvRmT2_T3_T4_T5_mT6_T7_P12ihipStream_tbENKUlT_T0_E_clISt17integral_constantIbLb0EES10_IbLb1EEEEDaSW_SX_EUlSW_E_NS1_11comp_targetILNS1_3genE10ELNS1_11target_archE1201ELNS1_3gpuE5ELNS1_3repE0EEENS1_30default_config_static_selectorELNS0_4arch9wavefront6targetE0EEEvT1_.uses_vcc, 0
	.set _ZN7rocprim17ROCPRIM_400000_NS6detail17trampoline_kernelINS0_14default_configENS1_27scan_by_key_config_selectorIiyEEZZNS1_16scan_by_key_implILNS1_25lookback_scan_determinismE0ELb0ES3_N6thrust23THRUST_200600_302600_NS6detail15normal_iteratorINS9_10device_ptrIiEEEENSB_INSC_IyEEEESG_yNS9_4plusIvEENS9_8equal_toIvEEyEE10hipError_tPvRmT2_T3_T4_T5_mT6_T7_P12ihipStream_tbENKUlT_T0_E_clISt17integral_constantIbLb0EES10_IbLb1EEEEDaSW_SX_EUlSW_E_NS1_11comp_targetILNS1_3genE10ELNS1_11target_archE1201ELNS1_3gpuE5ELNS1_3repE0EEENS1_30default_config_static_selectorELNS0_4arch9wavefront6targetE0EEEvT1_.uses_flat_scratch, 0
	.set _ZN7rocprim17ROCPRIM_400000_NS6detail17trampoline_kernelINS0_14default_configENS1_27scan_by_key_config_selectorIiyEEZZNS1_16scan_by_key_implILNS1_25lookback_scan_determinismE0ELb0ES3_N6thrust23THRUST_200600_302600_NS6detail15normal_iteratorINS9_10device_ptrIiEEEENSB_INSC_IyEEEESG_yNS9_4plusIvEENS9_8equal_toIvEEyEE10hipError_tPvRmT2_T3_T4_T5_mT6_T7_P12ihipStream_tbENKUlT_T0_E_clISt17integral_constantIbLb0EES10_IbLb1EEEEDaSW_SX_EUlSW_E_NS1_11comp_targetILNS1_3genE10ELNS1_11target_archE1201ELNS1_3gpuE5ELNS1_3repE0EEENS1_30default_config_static_selectorELNS0_4arch9wavefront6targetE0EEEvT1_.has_dyn_sized_stack, 0
	.set _ZN7rocprim17ROCPRIM_400000_NS6detail17trampoline_kernelINS0_14default_configENS1_27scan_by_key_config_selectorIiyEEZZNS1_16scan_by_key_implILNS1_25lookback_scan_determinismE0ELb0ES3_N6thrust23THRUST_200600_302600_NS6detail15normal_iteratorINS9_10device_ptrIiEEEENSB_INSC_IyEEEESG_yNS9_4plusIvEENS9_8equal_toIvEEyEE10hipError_tPvRmT2_T3_T4_T5_mT6_T7_P12ihipStream_tbENKUlT_T0_E_clISt17integral_constantIbLb0EES10_IbLb1EEEEDaSW_SX_EUlSW_E_NS1_11comp_targetILNS1_3genE10ELNS1_11target_archE1201ELNS1_3gpuE5ELNS1_3repE0EEENS1_30default_config_static_selectorELNS0_4arch9wavefront6targetE0EEEvT1_.has_recursion, 0
	.set _ZN7rocprim17ROCPRIM_400000_NS6detail17trampoline_kernelINS0_14default_configENS1_27scan_by_key_config_selectorIiyEEZZNS1_16scan_by_key_implILNS1_25lookback_scan_determinismE0ELb0ES3_N6thrust23THRUST_200600_302600_NS6detail15normal_iteratorINS9_10device_ptrIiEEEENSB_INSC_IyEEEESG_yNS9_4plusIvEENS9_8equal_toIvEEyEE10hipError_tPvRmT2_T3_T4_T5_mT6_T7_P12ihipStream_tbENKUlT_T0_E_clISt17integral_constantIbLb0EES10_IbLb1EEEEDaSW_SX_EUlSW_E_NS1_11comp_targetILNS1_3genE10ELNS1_11target_archE1201ELNS1_3gpuE5ELNS1_3repE0EEENS1_30default_config_static_selectorELNS0_4arch9wavefront6targetE0EEEvT1_.has_indirect_call, 0
	.section	.AMDGPU.csdata,"",@progbits
; Kernel info:
; codeLenInByte = 0
; TotalNumSgprs: 0
; NumVgprs: 0
; ScratchSize: 0
; MemoryBound: 0
; FloatMode: 240
; IeeeMode: 1
; LDSByteSize: 0 bytes/workgroup (compile time only)
; SGPRBlocks: 0
; VGPRBlocks: 0
; NumSGPRsForWavesPerEU: 1
; NumVGPRsForWavesPerEU: 1
; NamedBarCnt: 0
; Occupancy: 16
; WaveLimiterHint : 0
; COMPUTE_PGM_RSRC2:SCRATCH_EN: 0
; COMPUTE_PGM_RSRC2:USER_SGPR: 2
; COMPUTE_PGM_RSRC2:TRAP_HANDLER: 0
; COMPUTE_PGM_RSRC2:TGID_X_EN: 1
; COMPUTE_PGM_RSRC2:TGID_Y_EN: 0
; COMPUTE_PGM_RSRC2:TGID_Z_EN: 0
; COMPUTE_PGM_RSRC2:TIDIG_COMP_CNT: 0
	.section	.text._ZN7rocprim17ROCPRIM_400000_NS6detail17trampoline_kernelINS0_14default_configENS1_27scan_by_key_config_selectorIiyEEZZNS1_16scan_by_key_implILNS1_25lookback_scan_determinismE0ELb0ES3_N6thrust23THRUST_200600_302600_NS6detail15normal_iteratorINS9_10device_ptrIiEEEENSB_INSC_IyEEEESG_yNS9_4plusIvEENS9_8equal_toIvEEyEE10hipError_tPvRmT2_T3_T4_T5_mT6_T7_P12ihipStream_tbENKUlT_T0_E_clISt17integral_constantIbLb0EES10_IbLb1EEEEDaSW_SX_EUlSW_E_NS1_11comp_targetILNS1_3genE5ELNS1_11target_archE942ELNS1_3gpuE9ELNS1_3repE0EEENS1_30default_config_static_selectorELNS0_4arch9wavefront6targetE0EEEvT1_,"axG",@progbits,_ZN7rocprim17ROCPRIM_400000_NS6detail17trampoline_kernelINS0_14default_configENS1_27scan_by_key_config_selectorIiyEEZZNS1_16scan_by_key_implILNS1_25lookback_scan_determinismE0ELb0ES3_N6thrust23THRUST_200600_302600_NS6detail15normal_iteratorINS9_10device_ptrIiEEEENSB_INSC_IyEEEESG_yNS9_4plusIvEENS9_8equal_toIvEEyEE10hipError_tPvRmT2_T3_T4_T5_mT6_T7_P12ihipStream_tbENKUlT_T0_E_clISt17integral_constantIbLb0EES10_IbLb1EEEEDaSW_SX_EUlSW_E_NS1_11comp_targetILNS1_3genE5ELNS1_11target_archE942ELNS1_3gpuE9ELNS1_3repE0EEENS1_30default_config_static_selectorELNS0_4arch9wavefront6targetE0EEEvT1_,comdat
	.protected	_ZN7rocprim17ROCPRIM_400000_NS6detail17trampoline_kernelINS0_14default_configENS1_27scan_by_key_config_selectorIiyEEZZNS1_16scan_by_key_implILNS1_25lookback_scan_determinismE0ELb0ES3_N6thrust23THRUST_200600_302600_NS6detail15normal_iteratorINS9_10device_ptrIiEEEENSB_INSC_IyEEEESG_yNS9_4plusIvEENS9_8equal_toIvEEyEE10hipError_tPvRmT2_T3_T4_T5_mT6_T7_P12ihipStream_tbENKUlT_T0_E_clISt17integral_constantIbLb0EES10_IbLb1EEEEDaSW_SX_EUlSW_E_NS1_11comp_targetILNS1_3genE5ELNS1_11target_archE942ELNS1_3gpuE9ELNS1_3repE0EEENS1_30default_config_static_selectorELNS0_4arch9wavefront6targetE0EEEvT1_ ; -- Begin function _ZN7rocprim17ROCPRIM_400000_NS6detail17trampoline_kernelINS0_14default_configENS1_27scan_by_key_config_selectorIiyEEZZNS1_16scan_by_key_implILNS1_25lookback_scan_determinismE0ELb0ES3_N6thrust23THRUST_200600_302600_NS6detail15normal_iteratorINS9_10device_ptrIiEEEENSB_INSC_IyEEEESG_yNS9_4plusIvEENS9_8equal_toIvEEyEE10hipError_tPvRmT2_T3_T4_T5_mT6_T7_P12ihipStream_tbENKUlT_T0_E_clISt17integral_constantIbLb0EES10_IbLb1EEEEDaSW_SX_EUlSW_E_NS1_11comp_targetILNS1_3genE5ELNS1_11target_archE942ELNS1_3gpuE9ELNS1_3repE0EEENS1_30default_config_static_selectorELNS0_4arch9wavefront6targetE0EEEvT1_
	.globl	_ZN7rocprim17ROCPRIM_400000_NS6detail17trampoline_kernelINS0_14default_configENS1_27scan_by_key_config_selectorIiyEEZZNS1_16scan_by_key_implILNS1_25lookback_scan_determinismE0ELb0ES3_N6thrust23THRUST_200600_302600_NS6detail15normal_iteratorINS9_10device_ptrIiEEEENSB_INSC_IyEEEESG_yNS9_4plusIvEENS9_8equal_toIvEEyEE10hipError_tPvRmT2_T3_T4_T5_mT6_T7_P12ihipStream_tbENKUlT_T0_E_clISt17integral_constantIbLb0EES10_IbLb1EEEEDaSW_SX_EUlSW_E_NS1_11comp_targetILNS1_3genE5ELNS1_11target_archE942ELNS1_3gpuE9ELNS1_3repE0EEENS1_30default_config_static_selectorELNS0_4arch9wavefront6targetE0EEEvT1_
	.p2align	8
	.type	_ZN7rocprim17ROCPRIM_400000_NS6detail17trampoline_kernelINS0_14default_configENS1_27scan_by_key_config_selectorIiyEEZZNS1_16scan_by_key_implILNS1_25lookback_scan_determinismE0ELb0ES3_N6thrust23THRUST_200600_302600_NS6detail15normal_iteratorINS9_10device_ptrIiEEEENSB_INSC_IyEEEESG_yNS9_4plusIvEENS9_8equal_toIvEEyEE10hipError_tPvRmT2_T3_T4_T5_mT6_T7_P12ihipStream_tbENKUlT_T0_E_clISt17integral_constantIbLb0EES10_IbLb1EEEEDaSW_SX_EUlSW_E_NS1_11comp_targetILNS1_3genE5ELNS1_11target_archE942ELNS1_3gpuE9ELNS1_3repE0EEENS1_30default_config_static_selectorELNS0_4arch9wavefront6targetE0EEEvT1_,@function
_ZN7rocprim17ROCPRIM_400000_NS6detail17trampoline_kernelINS0_14default_configENS1_27scan_by_key_config_selectorIiyEEZZNS1_16scan_by_key_implILNS1_25lookback_scan_determinismE0ELb0ES3_N6thrust23THRUST_200600_302600_NS6detail15normal_iteratorINS9_10device_ptrIiEEEENSB_INSC_IyEEEESG_yNS9_4plusIvEENS9_8equal_toIvEEyEE10hipError_tPvRmT2_T3_T4_T5_mT6_T7_P12ihipStream_tbENKUlT_T0_E_clISt17integral_constantIbLb0EES10_IbLb1EEEEDaSW_SX_EUlSW_E_NS1_11comp_targetILNS1_3genE5ELNS1_11target_archE942ELNS1_3gpuE9ELNS1_3repE0EEENS1_30default_config_static_selectorELNS0_4arch9wavefront6targetE0EEEvT1_: ; @_ZN7rocprim17ROCPRIM_400000_NS6detail17trampoline_kernelINS0_14default_configENS1_27scan_by_key_config_selectorIiyEEZZNS1_16scan_by_key_implILNS1_25lookback_scan_determinismE0ELb0ES3_N6thrust23THRUST_200600_302600_NS6detail15normal_iteratorINS9_10device_ptrIiEEEENSB_INSC_IyEEEESG_yNS9_4plusIvEENS9_8equal_toIvEEyEE10hipError_tPvRmT2_T3_T4_T5_mT6_T7_P12ihipStream_tbENKUlT_T0_E_clISt17integral_constantIbLb0EES10_IbLb1EEEEDaSW_SX_EUlSW_E_NS1_11comp_targetILNS1_3genE5ELNS1_11target_archE942ELNS1_3gpuE9ELNS1_3repE0EEENS1_30default_config_static_selectorELNS0_4arch9wavefront6targetE0EEEvT1_
; %bb.0:
	.section	.rodata,"a",@progbits
	.p2align	6, 0x0
	.amdhsa_kernel _ZN7rocprim17ROCPRIM_400000_NS6detail17trampoline_kernelINS0_14default_configENS1_27scan_by_key_config_selectorIiyEEZZNS1_16scan_by_key_implILNS1_25lookback_scan_determinismE0ELb0ES3_N6thrust23THRUST_200600_302600_NS6detail15normal_iteratorINS9_10device_ptrIiEEEENSB_INSC_IyEEEESG_yNS9_4plusIvEENS9_8equal_toIvEEyEE10hipError_tPvRmT2_T3_T4_T5_mT6_T7_P12ihipStream_tbENKUlT_T0_E_clISt17integral_constantIbLb0EES10_IbLb1EEEEDaSW_SX_EUlSW_E_NS1_11comp_targetILNS1_3genE5ELNS1_11target_archE942ELNS1_3gpuE9ELNS1_3repE0EEENS1_30default_config_static_selectorELNS0_4arch9wavefront6targetE0EEEvT1_
		.amdhsa_group_segment_fixed_size 0
		.amdhsa_private_segment_fixed_size 0
		.amdhsa_kernarg_size 136
		.amdhsa_user_sgpr_count 2
		.amdhsa_user_sgpr_dispatch_ptr 0
		.amdhsa_user_sgpr_queue_ptr 0
		.amdhsa_user_sgpr_kernarg_segment_ptr 1
		.amdhsa_user_sgpr_dispatch_id 0
		.amdhsa_user_sgpr_kernarg_preload_length 0
		.amdhsa_user_sgpr_kernarg_preload_offset 0
		.amdhsa_user_sgpr_private_segment_size 0
		.amdhsa_wavefront_size32 1
		.amdhsa_uses_dynamic_stack 0
		.amdhsa_enable_private_segment 0
		.amdhsa_system_sgpr_workgroup_id_x 1
		.amdhsa_system_sgpr_workgroup_id_y 0
		.amdhsa_system_sgpr_workgroup_id_z 0
		.amdhsa_system_sgpr_workgroup_info 0
		.amdhsa_system_vgpr_workitem_id 0
		.amdhsa_next_free_vgpr 1
		.amdhsa_next_free_sgpr 1
		.amdhsa_named_barrier_count 0
		.amdhsa_reserve_vcc 0
		.amdhsa_float_round_mode_32 0
		.amdhsa_float_round_mode_16_64 0
		.amdhsa_float_denorm_mode_32 3
		.amdhsa_float_denorm_mode_16_64 3
		.amdhsa_fp16_overflow 0
		.amdhsa_memory_ordered 1
		.amdhsa_forward_progress 1
		.amdhsa_inst_pref_size 0
		.amdhsa_round_robin_scheduling 0
		.amdhsa_exception_fp_ieee_invalid_op 0
		.amdhsa_exception_fp_denorm_src 0
		.amdhsa_exception_fp_ieee_div_zero 0
		.amdhsa_exception_fp_ieee_overflow 0
		.amdhsa_exception_fp_ieee_underflow 0
		.amdhsa_exception_fp_ieee_inexact 0
		.amdhsa_exception_int_div_zero 0
	.end_amdhsa_kernel
	.section	.text._ZN7rocprim17ROCPRIM_400000_NS6detail17trampoline_kernelINS0_14default_configENS1_27scan_by_key_config_selectorIiyEEZZNS1_16scan_by_key_implILNS1_25lookback_scan_determinismE0ELb0ES3_N6thrust23THRUST_200600_302600_NS6detail15normal_iteratorINS9_10device_ptrIiEEEENSB_INSC_IyEEEESG_yNS9_4plusIvEENS9_8equal_toIvEEyEE10hipError_tPvRmT2_T3_T4_T5_mT6_T7_P12ihipStream_tbENKUlT_T0_E_clISt17integral_constantIbLb0EES10_IbLb1EEEEDaSW_SX_EUlSW_E_NS1_11comp_targetILNS1_3genE5ELNS1_11target_archE942ELNS1_3gpuE9ELNS1_3repE0EEENS1_30default_config_static_selectorELNS0_4arch9wavefront6targetE0EEEvT1_,"axG",@progbits,_ZN7rocprim17ROCPRIM_400000_NS6detail17trampoline_kernelINS0_14default_configENS1_27scan_by_key_config_selectorIiyEEZZNS1_16scan_by_key_implILNS1_25lookback_scan_determinismE0ELb0ES3_N6thrust23THRUST_200600_302600_NS6detail15normal_iteratorINS9_10device_ptrIiEEEENSB_INSC_IyEEEESG_yNS9_4plusIvEENS9_8equal_toIvEEyEE10hipError_tPvRmT2_T3_T4_T5_mT6_T7_P12ihipStream_tbENKUlT_T0_E_clISt17integral_constantIbLb0EES10_IbLb1EEEEDaSW_SX_EUlSW_E_NS1_11comp_targetILNS1_3genE5ELNS1_11target_archE942ELNS1_3gpuE9ELNS1_3repE0EEENS1_30default_config_static_selectorELNS0_4arch9wavefront6targetE0EEEvT1_,comdat
.Lfunc_end1211:
	.size	_ZN7rocprim17ROCPRIM_400000_NS6detail17trampoline_kernelINS0_14default_configENS1_27scan_by_key_config_selectorIiyEEZZNS1_16scan_by_key_implILNS1_25lookback_scan_determinismE0ELb0ES3_N6thrust23THRUST_200600_302600_NS6detail15normal_iteratorINS9_10device_ptrIiEEEENSB_INSC_IyEEEESG_yNS9_4plusIvEENS9_8equal_toIvEEyEE10hipError_tPvRmT2_T3_T4_T5_mT6_T7_P12ihipStream_tbENKUlT_T0_E_clISt17integral_constantIbLb0EES10_IbLb1EEEEDaSW_SX_EUlSW_E_NS1_11comp_targetILNS1_3genE5ELNS1_11target_archE942ELNS1_3gpuE9ELNS1_3repE0EEENS1_30default_config_static_selectorELNS0_4arch9wavefront6targetE0EEEvT1_, .Lfunc_end1211-_ZN7rocprim17ROCPRIM_400000_NS6detail17trampoline_kernelINS0_14default_configENS1_27scan_by_key_config_selectorIiyEEZZNS1_16scan_by_key_implILNS1_25lookback_scan_determinismE0ELb0ES3_N6thrust23THRUST_200600_302600_NS6detail15normal_iteratorINS9_10device_ptrIiEEEENSB_INSC_IyEEEESG_yNS9_4plusIvEENS9_8equal_toIvEEyEE10hipError_tPvRmT2_T3_T4_T5_mT6_T7_P12ihipStream_tbENKUlT_T0_E_clISt17integral_constantIbLb0EES10_IbLb1EEEEDaSW_SX_EUlSW_E_NS1_11comp_targetILNS1_3genE5ELNS1_11target_archE942ELNS1_3gpuE9ELNS1_3repE0EEENS1_30default_config_static_selectorELNS0_4arch9wavefront6targetE0EEEvT1_
                                        ; -- End function
	.set _ZN7rocprim17ROCPRIM_400000_NS6detail17trampoline_kernelINS0_14default_configENS1_27scan_by_key_config_selectorIiyEEZZNS1_16scan_by_key_implILNS1_25lookback_scan_determinismE0ELb0ES3_N6thrust23THRUST_200600_302600_NS6detail15normal_iteratorINS9_10device_ptrIiEEEENSB_INSC_IyEEEESG_yNS9_4plusIvEENS9_8equal_toIvEEyEE10hipError_tPvRmT2_T3_T4_T5_mT6_T7_P12ihipStream_tbENKUlT_T0_E_clISt17integral_constantIbLb0EES10_IbLb1EEEEDaSW_SX_EUlSW_E_NS1_11comp_targetILNS1_3genE5ELNS1_11target_archE942ELNS1_3gpuE9ELNS1_3repE0EEENS1_30default_config_static_selectorELNS0_4arch9wavefront6targetE0EEEvT1_.num_vgpr, 0
	.set _ZN7rocprim17ROCPRIM_400000_NS6detail17trampoline_kernelINS0_14default_configENS1_27scan_by_key_config_selectorIiyEEZZNS1_16scan_by_key_implILNS1_25lookback_scan_determinismE0ELb0ES3_N6thrust23THRUST_200600_302600_NS6detail15normal_iteratorINS9_10device_ptrIiEEEENSB_INSC_IyEEEESG_yNS9_4plusIvEENS9_8equal_toIvEEyEE10hipError_tPvRmT2_T3_T4_T5_mT6_T7_P12ihipStream_tbENKUlT_T0_E_clISt17integral_constantIbLb0EES10_IbLb1EEEEDaSW_SX_EUlSW_E_NS1_11comp_targetILNS1_3genE5ELNS1_11target_archE942ELNS1_3gpuE9ELNS1_3repE0EEENS1_30default_config_static_selectorELNS0_4arch9wavefront6targetE0EEEvT1_.num_agpr, 0
	.set _ZN7rocprim17ROCPRIM_400000_NS6detail17trampoline_kernelINS0_14default_configENS1_27scan_by_key_config_selectorIiyEEZZNS1_16scan_by_key_implILNS1_25lookback_scan_determinismE0ELb0ES3_N6thrust23THRUST_200600_302600_NS6detail15normal_iteratorINS9_10device_ptrIiEEEENSB_INSC_IyEEEESG_yNS9_4plusIvEENS9_8equal_toIvEEyEE10hipError_tPvRmT2_T3_T4_T5_mT6_T7_P12ihipStream_tbENKUlT_T0_E_clISt17integral_constantIbLb0EES10_IbLb1EEEEDaSW_SX_EUlSW_E_NS1_11comp_targetILNS1_3genE5ELNS1_11target_archE942ELNS1_3gpuE9ELNS1_3repE0EEENS1_30default_config_static_selectorELNS0_4arch9wavefront6targetE0EEEvT1_.numbered_sgpr, 0
	.set _ZN7rocprim17ROCPRIM_400000_NS6detail17trampoline_kernelINS0_14default_configENS1_27scan_by_key_config_selectorIiyEEZZNS1_16scan_by_key_implILNS1_25lookback_scan_determinismE0ELb0ES3_N6thrust23THRUST_200600_302600_NS6detail15normal_iteratorINS9_10device_ptrIiEEEENSB_INSC_IyEEEESG_yNS9_4plusIvEENS9_8equal_toIvEEyEE10hipError_tPvRmT2_T3_T4_T5_mT6_T7_P12ihipStream_tbENKUlT_T0_E_clISt17integral_constantIbLb0EES10_IbLb1EEEEDaSW_SX_EUlSW_E_NS1_11comp_targetILNS1_3genE5ELNS1_11target_archE942ELNS1_3gpuE9ELNS1_3repE0EEENS1_30default_config_static_selectorELNS0_4arch9wavefront6targetE0EEEvT1_.num_named_barrier, 0
	.set _ZN7rocprim17ROCPRIM_400000_NS6detail17trampoline_kernelINS0_14default_configENS1_27scan_by_key_config_selectorIiyEEZZNS1_16scan_by_key_implILNS1_25lookback_scan_determinismE0ELb0ES3_N6thrust23THRUST_200600_302600_NS6detail15normal_iteratorINS9_10device_ptrIiEEEENSB_INSC_IyEEEESG_yNS9_4plusIvEENS9_8equal_toIvEEyEE10hipError_tPvRmT2_T3_T4_T5_mT6_T7_P12ihipStream_tbENKUlT_T0_E_clISt17integral_constantIbLb0EES10_IbLb1EEEEDaSW_SX_EUlSW_E_NS1_11comp_targetILNS1_3genE5ELNS1_11target_archE942ELNS1_3gpuE9ELNS1_3repE0EEENS1_30default_config_static_selectorELNS0_4arch9wavefront6targetE0EEEvT1_.private_seg_size, 0
	.set _ZN7rocprim17ROCPRIM_400000_NS6detail17trampoline_kernelINS0_14default_configENS1_27scan_by_key_config_selectorIiyEEZZNS1_16scan_by_key_implILNS1_25lookback_scan_determinismE0ELb0ES3_N6thrust23THRUST_200600_302600_NS6detail15normal_iteratorINS9_10device_ptrIiEEEENSB_INSC_IyEEEESG_yNS9_4plusIvEENS9_8equal_toIvEEyEE10hipError_tPvRmT2_T3_T4_T5_mT6_T7_P12ihipStream_tbENKUlT_T0_E_clISt17integral_constantIbLb0EES10_IbLb1EEEEDaSW_SX_EUlSW_E_NS1_11comp_targetILNS1_3genE5ELNS1_11target_archE942ELNS1_3gpuE9ELNS1_3repE0EEENS1_30default_config_static_selectorELNS0_4arch9wavefront6targetE0EEEvT1_.uses_vcc, 0
	.set _ZN7rocprim17ROCPRIM_400000_NS6detail17trampoline_kernelINS0_14default_configENS1_27scan_by_key_config_selectorIiyEEZZNS1_16scan_by_key_implILNS1_25lookback_scan_determinismE0ELb0ES3_N6thrust23THRUST_200600_302600_NS6detail15normal_iteratorINS9_10device_ptrIiEEEENSB_INSC_IyEEEESG_yNS9_4plusIvEENS9_8equal_toIvEEyEE10hipError_tPvRmT2_T3_T4_T5_mT6_T7_P12ihipStream_tbENKUlT_T0_E_clISt17integral_constantIbLb0EES10_IbLb1EEEEDaSW_SX_EUlSW_E_NS1_11comp_targetILNS1_3genE5ELNS1_11target_archE942ELNS1_3gpuE9ELNS1_3repE0EEENS1_30default_config_static_selectorELNS0_4arch9wavefront6targetE0EEEvT1_.uses_flat_scratch, 0
	.set _ZN7rocprim17ROCPRIM_400000_NS6detail17trampoline_kernelINS0_14default_configENS1_27scan_by_key_config_selectorIiyEEZZNS1_16scan_by_key_implILNS1_25lookback_scan_determinismE0ELb0ES3_N6thrust23THRUST_200600_302600_NS6detail15normal_iteratorINS9_10device_ptrIiEEEENSB_INSC_IyEEEESG_yNS9_4plusIvEENS9_8equal_toIvEEyEE10hipError_tPvRmT2_T3_T4_T5_mT6_T7_P12ihipStream_tbENKUlT_T0_E_clISt17integral_constantIbLb0EES10_IbLb1EEEEDaSW_SX_EUlSW_E_NS1_11comp_targetILNS1_3genE5ELNS1_11target_archE942ELNS1_3gpuE9ELNS1_3repE0EEENS1_30default_config_static_selectorELNS0_4arch9wavefront6targetE0EEEvT1_.has_dyn_sized_stack, 0
	.set _ZN7rocprim17ROCPRIM_400000_NS6detail17trampoline_kernelINS0_14default_configENS1_27scan_by_key_config_selectorIiyEEZZNS1_16scan_by_key_implILNS1_25lookback_scan_determinismE0ELb0ES3_N6thrust23THRUST_200600_302600_NS6detail15normal_iteratorINS9_10device_ptrIiEEEENSB_INSC_IyEEEESG_yNS9_4plusIvEENS9_8equal_toIvEEyEE10hipError_tPvRmT2_T3_T4_T5_mT6_T7_P12ihipStream_tbENKUlT_T0_E_clISt17integral_constantIbLb0EES10_IbLb1EEEEDaSW_SX_EUlSW_E_NS1_11comp_targetILNS1_3genE5ELNS1_11target_archE942ELNS1_3gpuE9ELNS1_3repE0EEENS1_30default_config_static_selectorELNS0_4arch9wavefront6targetE0EEEvT1_.has_recursion, 0
	.set _ZN7rocprim17ROCPRIM_400000_NS6detail17trampoline_kernelINS0_14default_configENS1_27scan_by_key_config_selectorIiyEEZZNS1_16scan_by_key_implILNS1_25lookback_scan_determinismE0ELb0ES3_N6thrust23THRUST_200600_302600_NS6detail15normal_iteratorINS9_10device_ptrIiEEEENSB_INSC_IyEEEESG_yNS9_4plusIvEENS9_8equal_toIvEEyEE10hipError_tPvRmT2_T3_T4_T5_mT6_T7_P12ihipStream_tbENKUlT_T0_E_clISt17integral_constantIbLb0EES10_IbLb1EEEEDaSW_SX_EUlSW_E_NS1_11comp_targetILNS1_3genE5ELNS1_11target_archE942ELNS1_3gpuE9ELNS1_3repE0EEENS1_30default_config_static_selectorELNS0_4arch9wavefront6targetE0EEEvT1_.has_indirect_call, 0
	.section	.AMDGPU.csdata,"",@progbits
; Kernel info:
; codeLenInByte = 0
; TotalNumSgprs: 0
; NumVgprs: 0
; ScratchSize: 0
; MemoryBound: 0
; FloatMode: 240
; IeeeMode: 1
; LDSByteSize: 0 bytes/workgroup (compile time only)
; SGPRBlocks: 0
; VGPRBlocks: 0
; NumSGPRsForWavesPerEU: 1
; NumVGPRsForWavesPerEU: 1
; NamedBarCnt: 0
; Occupancy: 16
; WaveLimiterHint : 0
; COMPUTE_PGM_RSRC2:SCRATCH_EN: 0
; COMPUTE_PGM_RSRC2:USER_SGPR: 2
; COMPUTE_PGM_RSRC2:TRAP_HANDLER: 0
; COMPUTE_PGM_RSRC2:TGID_X_EN: 1
; COMPUTE_PGM_RSRC2:TGID_Y_EN: 0
; COMPUTE_PGM_RSRC2:TGID_Z_EN: 0
; COMPUTE_PGM_RSRC2:TIDIG_COMP_CNT: 0
	.section	.text._ZN7rocprim17ROCPRIM_400000_NS6detail17trampoline_kernelINS0_14default_configENS1_27scan_by_key_config_selectorIiyEEZZNS1_16scan_by_key_implILNS1_25lookback_scan_determinismE0ELb0ES3_N6thrust23THRUST_200600_302600_NS6detail15normal_iteratorINS9_10device_ptrIiEEEENSB_INSC_IyEEEESG_yNS9_4plusIvEENS9_8equal_toIvEEyEE10hipError_tPvRmT2_T3_T4_T5_mT6_T7_P12ihipStream_tbENKUlT_T0_E_clISt17integral_constantIbLb0EES10_IbLb1EEEEDaSW_SX_EUlSW_E_NS1_11comp_targetILNS1_3genE4ELNS1_11target_archE910ELNS1_3gpuE8ELNS1_3repE0EEENS1_30default_config_static_selectorELNS0_4arch9wavefront6targetE0EEEvT1_,"axG",@progbits,_ZN7rocprim17ROCPRIM_400000_NS6detail17trampoline_kernelINS0_14default_configENS1_27scan_by_key_config_selectorIiyEEZZNS1_16scan_by_key_implILNS1_25lookback_scan_determinismE0ELb0ES3_N6thrust23THRUST_200600_302600_NS6detail15normal_iteratorINS9_10device_ptrIiEEEENSB_INSC_IyEEEESG_yNS9_4plusIvEENS9_8equal_toIvEEyEE10hipError_tPvRmT2_T3_T4_T5_mT6_T7_P12ihipStream_tbENKUlT_T0_E_clISt17integral_constantIbLb0EES10_IbLb1EEEEDaSW_SX_EUlSW_E_NS1_11comp_targetILNS1_3genE4ELNS1_11target_archE910ELNS1_3gpuE8ELNS1_3repE0EEENS1_30default_config_static_selectorELNS0_4arch9wavefront6targetE0EEEvT1_,comdat
	.protected	_ZN7rocprim17ROCPRIM_400000_NS6detail17trampoline_kernelINS0_14default_configENS1_27scan_by_key_config_selectorIiyEEZZNS1_16scan_by_key_implILNS1_25lookback_scan_determinismE0ELb0ES3_N6thrust23THRUST_200600_302600_NS6detail15normal_iteratorINS9_10device_ptrIiEEEENSB_INSC_IyEEEESG_yNS9_4plusIvEENS9_8equal_toIvEEyEE10hipError_tPvRmT2_T3_T4_T5_mT6_T7_P12ihipStream_tbENKUlT_T0_E_clISt17integral_constantIbLb0EES10_IbLb1EEEEDaSW_SX_EUlSW_E_NS1_11comp_targetILNS1_3genE4ELNS1_11target_archE910ELNS1_3gpuE8ELNS1_3repE0EEENS1_30default_config_static_selectorELNS0_4arch9wavefront6targetE0EEEvT1_ ; -- Begin function _ZN7rocprim17ROCPRIM_400000_NS6detail17trampoline_kernelINS0_14default_configENS1_27scan_by_key_config_selectorIiyEEZZNS1_16scan_by_key_implILNS1_25lookback_scan_determinismE0ELb0ES3_N6thrust23THRUST_200600_302600_NS6detail15normal_iteratorINS9_10device_ptrIiEEEENSB_INSC_IyEEEESG_yNS9_4plusIvEENS9_8equal_toIvEEyEE10hipError_tPvRmT2_T3_T4_T5_mT6_T7_P12ihipStream_tbENKUlT_T0_E_clISt17integral_constantIbLb0EES10_IbLb1EEEEDaSW_SX_EUlSW_E_NS1_11comp_targetILNS1_3genE4ELNS1_11target_archE910ELNS1_3gpuE8ELNS1_3repE0EEENS1_30default_config_static_selectorELNS0_4arch9wavefront6targetE0EEEvT1_
	.globl	_ZN7rocprim17ROCPRIM_400000_NS6detail17trampoline_kernelINS0_14default_configENS1_27scan_by_key_config_selectorIiyEEZZNS1_16scan_by_key_implILNS1_25lookback_scan_determinismE0ELb0ES3_N6thrust23THRUST_200600_302600_NS6detail15normal_iteratorINS9_10device_ptrIiEEEENSB_INSC_IyEEEESG_yNS9_4plusIvEENS9_8equal_toIvEEyEE10hipError_tPvRmT2_T3_T4_T5_mT6_T7_P12ihipStream_tbENKUlT_T0_E_clISt17integral_constantIbLb0EES10_IbLb1EEEEDaSW_SX_EUlSW_E_NS1_11comp_targetILNS1_3genE4ELNS1_11target_archE910ELNS1_3gpuE8ELNS1_3repE0EEENS1_30default_config_static_selectorELNS0_4arch9wavefront6targetE0EEEvT1_
	.p2align	8
	.type	_ZN7rocprim17ROCPRIM_400000_NS6detail17trampoline_kernelINS0_14default_configENS1_27scan_by_key_config_selectorIiyEEZZNS1_16scan_by_key_implILNS1_25lookback_scan_determinismE0ELb0ES3_N6thrust23THRUST_200600_302600_NS6detail15normal_iteratorINS9_10device_ptrIiEEEENSB_INSC_IyEEEESG_yNS9_4plusIvEENS9_8equal_toIvEEyEE10hipError_tPvRmT2_T3_T4_T5_mT6_T7_P12ihipStream_tbENKUlT_T0_E_clISt17integral_constantIbLb0EES10_IbLb1EEEEDaSW_SX_EUlSW_E_NS1_11comp_targetILNS1_3genE4ELNS1_11target_archE910ELNS1_3gpuE8ELNS1_3repE0EEENS1_30default_config_static_selectorELNS0_4arch9wavefront6targetE0EEEvT1_,@function
_ZN7rocprim17ROCPRIM_400000_NS6detail17trampoline_kernelINS0_14default_configENS1_27scan_by_key_config_selectorIiyEEZZNS1_16scan_by_key_implILNS1_25lookback_scan_determinismE0ELb0ES3_N6thrust23THRUST_200600_302600_NS6detail15normal_iteratorINS9_10device_ptrIiEEEENSB_INSC_IyEEEESG_yNS9_4plusIvEENS9_8equal_toIvEEyEE10hipError_tPvRmT2_T3_T4_T5_mT6_T7_P12ihipStream_tbENKUlT_T0_E_clISt17integral_constantIbLb0EES10_IbLb1EEEEDaSW_SX_EUlSW_E_NS1_11comp_targetILNS1_3genE4ELNS1_11target_archE910ELNS1_3gpuE8ELNS1_3repE0EEENS1_30default_config_static_selectorELNS0_4arch9wavefront6targetE0EEEvT1_: ; @_ZN7rocprim17ROCPRIM_400000_NS6detail17trampoline_kernelINS0_14default_configENS1_27scan_by_key_config_selectorIiyEEZZNS1_16scan_by_key_implILNS1_25lookback_scan_determinismE0ELb0ES3_N6thrust23THRUST_200600_302600_NS6detail15normal_iteratorINS9_10device_ptrIiEEEENSB_INSC_IyEEEESG_yNS9_4plusIvEENS9_8equal_toIvEEyEE10hipError_tPvRmT2_T3_T4_T5_mT6_T7_P12ihipStream_tbENKUlT_T0_E_clISt17integral_constantIbLb0EES10_IbLb1EEEEDaSW_SX_EUlSW_E_NS1_11comp_targetILNS1_3genE4ELNS1_11target_archE910ELNS1_3gpuE8ELNS1_3repE0EEENS1_30default_config_static_selectorELNS0_4arch9wavefront6targetE0EEEvT1_
; %bb.0:
	.section	.rodata,"a",@progbits
	.p2align	6, 0x0
	.amdhsa_kernel _ZN7rocprim17ROCPRIM_400000_NS6detail17trampoline_kernelINS0_14default_configENS1_27scan_by_key_config_selectorIiyEEZZNS1_16scan_by_key_implILNS1_25lookback_scan_determinismE0ELb0ES3_N6thrust23THRUST_200600_302600_NS6detail15normal_iteratorINS9_10device_ptrIiEEEENSB_INSC_IyEEEESG_yNS9_4plusIvEENS9_8equal_toIvEEyEE10hipError_tPvRmT2_T3_T4_T5_mT6_T7_P12ihipStream_tbENKUlT_T0_E_clISt17integral_constantIbLb0EES10_IbLb1EEEEDaSW_SX_EUlSW_E_NS1_11comp_targetILNS1_3genE4ELNS1_11target_archE910ELNS1_3gpuE8ELNS1_3repE0EEENS1_30default_config_static_selectorELNS0_4arch9wavefront6targetE0EEEvT1_
		.amdhsa_group_segment_fixed_size 0
		.amdhsa_private_segment_fixed_size 0
		.amdhsa_kernarg_size 136
		.amdhsa_user_sgpr_count 2
		.amdhsa_user_sgpr_dispatch_ptr 0
		.amdhsa_user_sgpr_queue_ptr 0
		.amdhsa_user_sgpr_kernarg_segment_ptr 1
		.amdhsa_user_sgpr_dispatch_id 0
		.amdhsa_user_sgpr_kernarg_preload_length 0
		.amdhsa_user_sgpr_kernarg_preload_offset 0
		.amdhsa_user_sgpr_private_segment_size 0
		.amdhsa_wavefront_size32 1
		.amdhsa_uses_dynamic_stack 0
		.amdhsa_enable_private_segment 0
		.amdhsa_system_sgpr_workgroup_id_x 1
		.amdhsa_system_sgpr_workgroup_id_y 0
		.amdhsa_system_sgpr_workgroup_id_z 0
		.amdhsa_system_sgpr_workgroup_info 0
		.amdhsa_system_vgpr_workitem_id 0
		.amdhsa_next_free_vgpr 1
		.amdhsa_next_free_sgpr 1
		.amdhsa_named_barrier_count 0
		.amdhsa_reserve_vcc 0
		.amdhsa_float_round_mode_32 0
		.amdhsa_float_round_mode_16_64 0
		.amdhsa_float_denorm_mode_32 3
		.amdhsa_float_denorm_mode_16_64 3
		.amdhsa_fp16_overflow 0
		.amdhsa_memory_ordered 1
		.amdhsa_forward_progress 1
		.amdhsa_inst_pref_size 0
		.amdhsa_round_robin_scheduling 0
		.amdhsa_exception_fp_ieee_invalid_op 0
		.amdhsa_exception_fp_denorm_src 0
		.amdhsa_exception_fp_ieee_div_zero 0
		.amdhsa_exception_fp_ieee_overflow 0
		.amdhsa_exception_fp_ieee_underflow 0
		.amdhsa_exception_fp_ieee_inexact 0
		.amdhsa_exception_int_div_zero 0
	.end_amdhsa_kernel
	.section	.text._ZN7rocprim17ROCPRIM_400000_NS6detail17trampoline_kernelINS0_14default_configENS1_27scan_by_key_config_selectorIiyEEZZNS1_16scan_by_key_implILNS1_25lookback_scan_determinismE0ELb0ES3_N6thrust23THRUST_200600_302600_NS6detail15normal_iteratorINS9_10device_ptrIiEEEENSB_INSC_IyEEEESG_yNS9_4plusIvEENS9_8equal_toIvEEyEE10hipError_tPvRmT2_T3_T4_T5_mT6_T7_P12ihipStream_tbENKUlT_T0_E_clISt17integral_constantIbLb0EES10_IbLb1EEEEDaSW_SX_EUlSW_E_NS1_11comp_targetILNS1_3genE4ELNS1_11target_archE910ELNS1_3gpuE8ELNS1_3repE0EEENS1_30default_config_static_selectorELNS0_4arch9wavefront6targetE0EEEvT1_,"axG",@progbits,_ZN7rocprim17ROCPRIM_400000_NS6detail17trampoline_kernelINS0_14default_configENS1_27scan_by_key_config_selectorIiyEEZZNS1_16scan_by_key_implILNS1_25lookback_scan_determinismE0ELb0ES3_N6thrust23THRUST_200600_302600_NS6detail15normal_iteratorINS9_10device_ptrIiEEEENSB_INSC_IyEEEESG_yNS9_4plusIvEENS9_8equal_toIvEEyEE10hipError_tPvRmT2_T3_T4_T5_mT6_T7_P12ihipStream_tbENKUlT_T0_E_clISt17integral_constantIbLb0EES10_IbLb1EEEEDaSW_SX_EUlSW_E_NS1_11comp_targetILNS1_3genE4ELNS1_11target_archE910ELNS1_3gpuE8ELNS1_3repE0EEENS1_30default_config_static_selectorELNS0_4arch9wavefront6targetE0EEEvT1_,comdat
.Lfunc_end1212:
	.size	_ZN7rocprim17ROCPRIM_400000_NS6detail17trampoline_kernelINS0_14default_configENS1_27scan_by_key_config_selectorIiyEEZZNS1_16scan_by_key_implILNS1_25lookback_scan_determinismE0ELb0ES3_N6thrust23THRUST_200600_302600_NS6detail15normal_iteratorINS9_10device_ptrIiEEEENSB_INSC_IyEEEESG_yNS9_4plusIvEENS9_8equal_toIvEEyEE10hipError_tPvRmT2_T3_T4_T5_mT6_T7_P12ihipStream_tbENKUlT_T0_E_clISt17integral_constantIbLb0EES10_IbLb1EEEEDaSW_SX_EUlSW_E_NS1_11comp_targetILNS1_3genE4ELNS1_11target_archE910ELNS1_3gpuE8ELNS1_3repE0EEENS1_30default_config_static_selectorELNS0_4arch9wavefront6targetE0EEEvT1_, .Lfunc_end1212-_ZN7rocprim17ROCPRIM_400000_NS6detail17trampoline_kernelINS0_14default_configENS1_27scan_by_key_config_selectorIiyEEZZNS1_16scan_by_key_implILNS1_25lookback_scan_determinismE0ELb0ES3_N6thrust23THRUST_200600_302600_NS6detail15normal_iteratorINS9_10device_ptrIiEEEENSB_INSC_IyEEEESG_yNS9_4plusIvEENS9_8equal_toIvEEyEE10hipError_tPvRmT2_T3_T4_T5_mT6_T7_P12ihipStream_tbENKUlT_T0_E_clISt17integral_constantIbLb0EES10_IbLb1EEEEDaSW_SX_EUlSW_E_NS1_11comp_targetILNS1_3genE4ELNS1_11target_archE910ELNS1_3gpuE8ELNS1_3repE0EEENS1_30default_config_static_selectorELNS0_4arch9wavefront6targetE0EEEvT1_
                                        ; -- End function
	.set _ZN7rocprim17ROCPRIM_400000_NS6detail17trampoline_kernelINS0_14default_configENS1_27scan_by_key_config_selectorIiyEEZZNS1_16scan_by_key_implILNS1_25lookback_scan_determinismE0ELb0ES3_N6thrust23THRUST_200600_302600_NS6detail15normal_iteratorINS9_10device_ptrIiEEEENSB_INSC_IyEEEESG_yNS9_4plusIvEENS9_8equal_toIvEEyEE10hipError_tPvRmT2_T3_T4_T5_mT6_T7_P12ihipStream_tbENKUlT_T0_E_clISt17integral_constantIbLb0EES10_IbLb1EEEEDaSW_SX_EUlSW_E_NS1_11comp_targetILNS1_3genE4ELNS1_11target_archE910ELNS1_3gpuE8ELNS1_3repE0EEENS1_30default_config_static_selectorELNS0_4arch9wavefront6targetE0EEEvT1_.num_vgpr, 0
	.set _ZN7rocprim17ROCPRIM_400000_NS6detail17trampoline_kernelINS0_14default_configENS1_27scan_by_key_config_selectorIiyEEZZNS1_16scan_by_key_implILNS1_25lookback_scan_determinismE0ELb0ES3_N6thrust23THRUST_200600_302600_NS6detail15normal_iteratorINS9_10device_ptrIiEEEENSB_INSC_IyEEEESG_yNS9_4plusIvEENS9_8equal_toIvEEyEE10hipError_tPvRmT2_T3_T4_T5_mT6_T7_P12ihipStream_tbENKUlT_T0_E_clISt17integral_constantIbLb0EES10_IbLb1EEEEDaSW_SX_EUlSW_E_NS1_11comp_targetILNS1_3genE4ELNS1_11target_archE910ELNS1_3gpuE8ELNS1_3repE0EEENS1_30default_config_static_selectorELNS0_4arch9wavefront6targetE0EEEvT1_.num_agpr, 0
	.set _ZN7rocprim17ROCPRIM_400000_NS6detail17trampoline_kernelINS0_14default_configENS1_27scan_by_key_config_selectorIiyEEZZNS1_16scan_by_key_implILNS1_25lookback_scan_determinismE0ELb0ES3_N6thrust23THRUST_200600_302600_NS6detail15normal_iteratorINS9_10device_ptrIiEEEENSB_INSC_IyEEEESG_yNS9_4plusIvEENS9_8equal_toIvEEyEE10hipError_tPvRmT2_T3_T4_T5_mT6_T7_P12ihipStream_tbENKUlT_T0_E_clISt17integral_constantIbLb0EES10_IbLb1EEEEDaSW_SX_EUlSW_E_NS1_11comp_targetILNS1_3genE4ELNS1_11target_archE910ELNS1_3gpuE8ELNS1_3repE0EEENS1_30default_config_static_selectorELNS0_4arch9wavefront6targetE0EEEvT1_.numbered_sgpr, 0
	.set _ZN7rocprim17ROCPRIM_400000_NS6detail17trampoline_kernelINS0_14default_configENS1_27scan_by_key_config_selectorIiyEEZZNS1_16scan_by_key_implILNS1_25lookback_scan_determinismE0ELb0ES3_N6thrust23THRUST_200600_302600_NS6detail15normal_iteratorINS9_10device_ptrIiEEEENSB_INSC_IyEEEESG_yNS9_4plusIvEENS9_8equal_toIvEEyEE10hipError_tPvRmT2_T3_T4_T5_mT6_T7_P12ihipStream_tbENKUlT_T0_E_clISt17integral_constantIbLb0EES10_IbLb1EEEEDaSW_SX_EUlSW_E_NS1_11comp_targetILNS1_3genE4ELNS1_11target_archE910ELNS1_3gpuE8ELNS1_3repE0EEENS1_30default_config_static_selectorELNS0_4arch9wavefront6targetE0EEEvT1_.num_named_barrier, 0
	.set _ZN7rocprim17ROCPRIM_400000_NS6detail17trampoline_kernelINS0_14default_configENS1_27scan_by_key_config_selectorIiyEEZZNS1_16scan_by_key_implILNS1_25lookback_scan_determinismE0ELb0ES3_N6thrust23THRUST_200600_302600_NS6detail15normal_iteratorINS9_10device_ptrIiEEEENSB_INSC_IyEEEESG_yNS9_4plusIvEENS9_8equal_toIvEEyEE10hipError_tPvRmT2_T3_T4_T5_mT6_T7_P12ihipStream_tbENKUlT_T0_E_clISt17integral_constantIbLb0EES10_IbLb1EEEEDaSW_SX_EUlSW_E_NS1_11comp_targetILNS1_3genE4ELNS1_11target_archE910ELNS1_3gpuE8ELNS1_3repE0EEENS1_30default_config_static_selectorELNS0_4arch9wavefront6targetE0EEEvT1_.private_seg_size, 0
	.set _ZN7rocprim17ROCPRIM_400000_NS6detail17trampoline_kernelINS0_14default_configENS1_27scan_by_key_config_selectorIiyEEZZNS1_16scan_by_key_implILNS1_25lookback_scan_determinismE0ELb0ES3_N6thrust23THRUST_200600_302600_NS6detail15normal_iteratorINS9_10device_ptrIiEEEENSB_INSC_IyEEEESG_yNS9_4plusIvEENS9_8equal_toIvEEyEE10hipError_tPvRmT2_T3_T4_T5_mT6_T7_P12ihipStream_tbENKUlT_T0_E_clISt17integral_constantIbLb0EES10_IbLb1EEEEDaSW_SX_EUlSW_E_NS1_11comp_targetILNS1_3genE4ELNS1_11target_archE910ELNS1_3gpuE8ELNS1_3repE0EEENS1_30default_config_static_selectorELNS0_4arch9wavefront6targetE0EEEvT1_.uses_vcc, 0
	.set _ZN7rocprim17ROCPRIM_400000_NS6detail17trampoline_kernelINS0_14default_configENS1_27scan_by_key_config_selectorIiyEEZZNS1_16scan_by_key_implILNS1_25lookback_scan_determinismE0ELb0ES3_N6thrust23THRUST_200600_302600_NS6detail15normal_iteratorINS9_10device_ptrIiEEEENSB_INSC_IyEEEESG_yNS9_4plusIvEENS9_8equal_toIvEEyEE10hipError_tPvRmT2_T3_T4_T5_mT6_T7_P12ihipStream_tbENKUlT_T0_E_clISt17integral_constantIbLb0EES10_IbLb1EEEEDaSW_SX_EUlSW_E_NS1_11comp_targetILNS1_3genE4ELNS1_11target_archE910ELNS1_3gpuE8ELNS1_3repE0EEENS1_30default_config_static_selectorELNS0_4arch9wavefront6targetE0EEEvT1_.uses_flat_scratch, 0
	.set _ZN7rocprim17ROCPRIM_400000_NS6detail17trampoline_kernelINS0_14default_configENS1_27scan_by_key_config_selectorIiyEEZZNS1_16scan_by_key_implILNS1_25lookback_scan_determinismE0ELb0ES3_N6thrust23THRUST_200600_302600_NS6detail15normal_iteratorINS9_10device_ptrIiEEEENSB_INSC_IyEEEESG_yNS9_4plusIvEENS9_8equal_toIvEEyEE10hipError_tPvRmT2_T3_T4_T5_mT6_T7_P12ihipStream_tbENKUlT_T0_E_clISt17integral_constantIbLb0EES10_IbLb1EEEEDaSW_SX_EUlSW_E_NS1_11comp_targetILNS1_3genE4ELNS1_11target_archE910ELNS1_3gpuE8ELNS1_3repE0EEENS1_30default_config_static_selectorELNS0_4arch9wavefront6targetE0EEEvT1_.has_dyn_sized_stack, 0
	.set _ZN7rocprim17ROCPRIM_400000_NS6detail17trampoline_kernelINS0_14default_configENS1_27scan_by_key_config_selectorIiyEEZZNS1_16scan_by_key_implILNS1_25lookback_scan_determinismE0ELb0ES3_N6thrust23THRUST_200600_302600_NS6detail15normal_iteratorINS9_10device_ptrIiEEEENSB_INSC_IyEEEESG_yNS9_4plusIvEENS9_8equal_toIvEEyEE10hipError_tPvRmT2_T3_T4_T5_mT6_T7_P12ihipStream_tbENKUlT_T0_E_clISt17integral_constantIbLb0EES10_IbLb1EEEEDaSW_SX_EUlSW_E_NS1_11comp_targetILNS1_3genE4ELNS1_11target_archE910ELNS1_3gpuE8ELNS1_3repE0EEENS1_30default_config_static_selectorELNS0_4arch9wavefront6targetE0EEEvT1_.has_recursion, 0
	.set _ZN7rocprim17ROCPRIM_400000_NS6detail17trampoline_kernelINS0_14default_configENS1_27scan_by_key_config_selectorIiyEEZZNS1_16scan_by_key_implILNS1_25lookback_scan_determinismE0ELb0ES3_N6thrust23THRUST_200600_302600_NS6detail15normal_iteratorINS9_10device_ptrIiEEEENSB_INSC_IyEEEESG_yNS9_4plusIvEENS9_8equal_toIvEEyEE10hipError_tPvRmT2_T3_T4_T5_mT6_T7_P12ihipStream_tbENKUlT_T0_E_clISt17integral_constantIbLb0EES10_IbLb1EEEEDaSW_SX_EUlSW_E_NS1_11comp_targetILNS1_3genE4ELNS1_11target_archE910ELNS1_3gpuE8ELNS1_3repE0EEENS1_30default_config_static_selectorELNS0_4arch9wavefront6targetE0EEEvT1_.has_indirect_call, 0
	.section	.AMDGPU.csdata,"",@progbits
; Kernel info:
; codeLenInByte = 0
; TotalNumSgprs: 0
; NumVgprs: 0
; ScratchSize: 0
; MemoryBound: 0
; FloatMode: 240
; IeeeMode: 1
; LDSByteSize: 0 bytes/workgroup (compile time only)
; SGPRBlocks: 0
; VGPRBlocks: 0
; NumSGPRsForWavesPerEU: 1
; NumVGPRsForWavesPerEU: 1
; NamedBarCnt: 0
; Occupancy: 16
; WaveLimiterHint : 0
; COMPUTE_PGM_RSRC2:SCRATCH_EN: 0
; COMPUTE_PGM_RSRC2:USER_SGPR: 2
; COMPUTE_PGM_RSRC2:TRAP_HANDLER: 0
; COMPUTE_PGM_RSRC2:TGID_X_EN: 1
; COMPUTE_PGM_RSRC2:TGID_Y_EN: 0
; COMPUTE_PGM_RSRC2:TGID_Z_EN: 0
; COMPUTE_PGM_RSRC2:TIDIG_COMP_CNT: 0
	.section	.text._ZN7rocprim17ROCPRIM_400000_NS6detail17trampoline_kernelINS0_14default_configENS1_27scan_by_key_config_selectorIiyEEZZNS1_16scan_by_key_implILNS1_25lookback_scan_determinismE0ELb0ES3_N6thrust23THRUST_200600_302600_NS6detail15normal_iteratorINS9_10device_ptrIiEEEENSB_INSC_IyEEEESG_yNS9_4plusIvEENS9_8equal_toIvEEyEE10hipError_tPvRmT2_T3_T4_T5_mT6_T7_P12ihipStream_tbENKUlT_T0_E_clISt17integral_constantIbLb0EES10_IbLb1EEEEDaSW_SX_EUlSW_E_NS1_11comp_targetILNS1_3genE3ELNS1_11target_archE908ELNS1_3gpuE7ELNS1_3repE0EEENS1_30default_config_static_selectorELNS0_4arch9wavefront6targetE0EEEvT1_,"axG",@progbits,_ZN7rocprim17ROCPRIM_400000_NS6detail17trampoline_kernelINS0_14default_configENS1_27scan_by_key_config_selectorIiyEEZZNS1_16scan_by_key_implILNS1_25lookback_scan_determinismE0ELb0ES3_N6thrust23THRUST_200600_302600_NS6detail15normal_iteratorINS9_10device_ptrIiEEEENSB_INSC_IyEEEESG_yNS9_4plusIvEENS9_8equal_toIvEEyEE10hipError_tPvRmT2_T3_T4_T5_mT6_T7_P12ihipStream_tbENKUlT_T0_E_clISt17integral_constantIbLb0EES10_IbLb1EEEEDaSW_SX_EUlSW_E_NS1_11comp_targetILNS1_3genE3ELNS1_11target_archE908ELNS1_3gpuE7ELNS1_3repE0EEENS1_30default_config_static_selectorELNS0_4arch9wavefront6targetE0EEEvT1_,comdat
	.protected	_ZN7rocprim17ROCPRIM_400000_NS6detail17trampoline_kernelINS0_14default_configENS1_27scan_by_key_config_selectorIiyEEZZNS1_16scan_by_key_implILNS1_25lookback_scan_determinismE0ELb0ES3_N6thrust23THRUST_200600_302600_NS6detail15normal_iteratorINS9_10device_ptrIiEEEENSB_INSC_IyEEEESG_yNS9_4plusIvEENS9_8equal_toIvEEyEE10hipError_tPvRmT2_T3_T4_T5_mT6_T7_P12ihipStream_tbENKUlT_T0_E_clISt17integral_constantIbLb0EES10_IbLb1EEEEDaSW_SX_EUlSW_E_NS1_11comp_targetILNS1_3genE3ELNS1_11target_archE908ELNS1_3gpuE7ELNS1_3repE0EEENS1_30default_config_static_selectorELNS0_4arch9wavefront6targetE0EEEvT1_ ; -- Begin function _ZN7rocprim17ROCPRIM_400000_NS6detail17trampoline_kernelINS0_14default_configENS1_27scan_by_key_config_selectorIiyEEZZNS1_16scan_by_key_implILNS1_25lookback_scan_determinismE0ELb0ES3_N6thrust23THRUST_200600_302600_NS6detail15normal_iteratorINS9_10device_ptrIiEEEENSB_INSC_IyEEEESG_yNS9_4plusIvEENS9_8equal_toIvEEyEE10hipError_tPvRmT2_T3_T4_T5_mT6_T7_P12ihipStream_tbENKUlT_T0_E_clISt17integral_constantIbLb0EES10_IbLb1EEEEDaSW_SX_EUlSW_E_NS1_11comp_targetILNS1_3genE3ELNS1_11target_archE908ELNS1_3gpuE7ELNS1_3repE0EEENS1_30default_config_static_selectorELNS0_4arch9wavefront6targetE0EEEvT1_
	.globl	_ZN7rocprim17ROCPRIM_400000_NS6detail17trampoline_kernelINS0_14default_configENS1_27scan_by_key_config_selectorIiyEEZZNS1_16scan_by_key_implILNS1_25lookback_scan_determinismE0ELb0ES3_N6thrust23THRUST_200600_302600_NS6detail15normal_iteratorINS9_10device_ptrIiEEEENSB_INSC_IyEEEESG_yNS9_4plusIvEENS9_8equal_toIvEEyEE10hipError_tPvRmT2_T3_T4_T5_mT6_T7_P12ihipStream_tbENKUlT_T0_E_clISt17integral_constantIbLb0EES10_IbLb1EEEEDaSW_SX_EUlSW_E_NS1_11comp_targetILNS1_3genE3ELNS1_11target_archE908ELNS1_3gpuE7ELNS1_3repE0EEENS1_30default_config_static_selectorELNS0_4arch9wavefront6targetE0EEEvT1_
	.p2align	8
	.type	_ZN7rocprim17ROCPRIM_400000_NS6detail17trampoline_kernelINS0_14default_configENS1_27scan_by_key_config_selectorIiyEEZZNS1_16scan_by_key_implILNS1_25lookback_scan_determinismE0ELb0ES3_N6thrust23THRUST_200600_302600_NS6detail15normal_iteratorINS9_10device_ptrIiEEEENSB_INSC_IyEEEESG_yNS9_4plusIvEENS9_8equal_toIvEEyEE10hipError_tPvRmT2_T3_T4_T5_mT6_T7_P12ihipStream_tbENKUlT_T0_E_clISt17integral_constantIbLb0EES10_IbLb1EEEEDaSW_SX_EUlSW_E_NS1_11comp_targetILNS1_3genE3ELNS1_11target_archE908ELNS1_3gpuE7ELNS1_3repE0EEENS1_30default_config_static_selectorELNS0_4arch9wavefront6targetE0EEEvT1_,@function
_ZN7rocprim17ROCPRIM_400000_NS6detail17trampoline_kernelINS0_14default_configENS1_27scan_by_key_config_selectorIiyEEZZNS1_16scan_by_key_implILNS1_25lookback_scan_determinismE0ELb0ES3_N6thrust23THRUST_200600_302600_NS6detail15normal_iteratorINS9_10device_ptrIiEEEENSB_INSC_IyEEEESG_yNS9_4plusIvEENS9_8equal_toIvEEyEE10hipError_tPvRmT2_T3_T4_T5_mT6_T7_P12ihipStream_tbENKUlT_T0_E_clISt17integral_constantIbLb0EES10_IbLb1EEEEDaSW_SX_EUlSW_E_NS1_11comp_targetILNS1_3genE3ELNS1_11target_archE908ELNS1_3gpuE7ELNS1_3repE0EEENS1_30default_config_static_selectorELNS0_4arch9wavefront6targetE0EEEvT1_: ; @_ZN7rocprim17ROCPRIM_400000_NS6detail17trampoline_kernelINS0_14default_configENS1_27scan_by_key_config_selectorIiyEEZZNS1_16scan_by_key_implILNS1_25lookback_scan_determinismE0ELb0ES3_N6thrust23THRUST_200600_302600_NS6detail15normal_iteratorINS9_10device_ptrIiEEEENSB_INSC_IyEEEESG_yNS9_4plusIvEENS9_8equal_toIvEEyEE10hipError_tPvRmT2_T3_T4_T5_mT6_T7_P12ihipStream_tbENKUlT_T0_E_clISt17integral_constantIbLb0EES10_IbLb1EEEEDaSW_SX_EUlSW_E_NS1_11comp_targetILNS1_3genE3ELNS1_11target_archE908ELNS1_3gpuE7ELNS1_3repE0EEENS1_30default_config_static_selectorELNS0_4arch9wavefront6targetE0EEEvT1_
; %bb.0:
	.section	.rodata,"a",@progbits
	.p2align	6, 0x0
	.amdhsa_kernel _ZN7rocprim17ROCPRIM_400000_NS6detail17trampoline_kernelINS0_14default_configENS1_27scan_by_key_config_selectorIiyEEZZNS1_16scan_by_key_implILNS1_25lookback_scan_determinismE0ELb0ES3_N6thrust23THRUST_200600_302600_NS6detail15normal_iteratorINS9_10device_ptrIiEEEENSB_INSC_IyEEEESG_yNS9_4plusIvEENS9_8equal_toIvEEyEE10hipError_tPvRmT2_T3_T4_T5_mT6_T7_P12ihipStream_tbENKUlT_T0_E_clISt17integral_constantIbLb0EES10_IbLb1EEEEDaSW_SX_EUlSW_E_NS1_11comp_targetILNS1_3genE3ELNS1_11target_archE908ELNS1_3gpuE7ELNS1_3repE0EEENS1_30default_config_static_selectorELNS0_4arch9wavefront6targetE0EEEvT1_
		.amdhsa_group_segment_fixed_size 0
		.amdhsa_private_segment_fixed_size 0
		.amdhsa_kernarg_size 136
		.amdhsa_user_sgpr_count 2
		.amdhsa_user_sgpr_dispatch_ptr 0
		.amdhsa_user_sgpr_queue_ptr 0
		.amdhsa_user_sgpr_kernarg_segment_ptr 1
		.amdhsa_user_sgpr_dispatch_id 0
		.amdhsa_user_sgpr_kernarg_preload_length 0
		.amdhsa_user_sgpr_kernarg_preload_offset 0
		.amdhsa_user_sgpr_private_segment_size 0
		.amdhsa_wavefront_size32 1
		.amdhsa_uses_dynamic_stack 0
		.amdhsa_enable_private_segment 0
		.amdhsa_system_sgpr_workgroup_id_x 1
		.amdhsa_system_sgpr_workgroup_id_y 0
		.amdhsa_system_sgpr_workgroup_id_z 0
		.amdhsa_system_sgpr_workgroup_info 0
		.amdhsa_system_vgpr_workitem_id 0
		.amdhsa_next_free_vgpr 1
		.amdhsa_next_free_sgpr 1
		.amdhsa_named_barrier_count 0
		.amdhsa_reserve_vcc 0
		.amdhsa_float_round_mode_32 0
		.amdhsa_float_round_mode_16_64 0
		.amdhsa_float_denorm_mode_32 3
		.amdhsa_float_denorm_mode_16_64 3
		.amdhsa_fp16_overflow 0
		.amdhsa_memory_ordered 1
		.amdhsa_forward_progress 1
		.amdhsa_inst_pref_size 0
		.amdhsa_round_robin_scheduling 0
		.amdhsa_exception_fp_ieee_invalid_op 0
		.amdhsa_exception_fp_denorm_src 0
		.amdhsa_exception_fp_ieee_div_zero 0
		.amdhsa_exception_fp_ieee_overflow 0
		.amdhsa_exception_fp_ieee_underflow 0
		.amdhsa_exception_fp_ieee_inexact 0
		.amdhsa_exception_int_div_zero 0
	.end_amdhsa_kernel
	.section	.text._ZN7rocprim17ROCPRIM_400000_NS6detail17trampoline_kernelINS0_14default_configENS1_27scan_by_key_config_selectorIiyEEZZNS1_16scan_by_key_implILNS1_25lookback_scan_determinismE0ELb0ES3_N6thrust23THRUST_200600_302600_NS6detail15normal_iteratorINS9_10device_ptrIiEEEENSB_INSC_IyEEEESG_yNS9_4plusIvEENS9_8equal_toIvEEyEE10hipError_tPvRmT2_T3_T4_T5_mT6_T7_P12ihipStream_tbENKUlT_T0_E_clISt17integral_constantIbLb0EES10_IbLb1EEEEDaSW_SX_EUlSW_E_NS1_11comp_targetILNS1_3genE3ELNS1_11target_archE908ELNS1_3gpuE7ELNS1_3repE0EEENS1_30default_config_static_selectorELNS0_4arch9wavefront6targetE0EEEvT1_,"axG",@progbits,_ZN7rocprim17ROCPRIM_400000_NS6detail17trampoline_kernelINS0_14default_configENS1_27scan_by_key_config_selectorIiyEEZZNS1_16scan_by_key_implILNS1_25lookback_scan_determinismE0ELb0ES3_N6thrust23THRUST_200600_302600_NS6detail15normal_iteratorINS9_10device_ptrIiEEEENSB_INSC_IyEEEESG_yNS9_4plusIvEENS9_8equal_toIvEEyEE10hipError_tPvRmT2_T3_T4_T5_mT6_T7_P12ihipStream_tbENKUlT_T0_E_clISt17integral_constantIbLb0EES10_IbLb1EEEEDaSW_SX_EUlSW_E_NS1_11comp_targetILNS1_3genE3ELNS1_11target_archE908ELNS1_3gpuE7ELNS1_3repE0EEENS1_30default_config_static_selectorELNS0_4arch9wavefront6targetE0EEEvT1_,comdat
.Lfunc_end1213:
	.size	_ZN7rocprim17ROCPRIM_400000_NS6detail17trampoline_kernelINS0_14default_configENS1_27scan_by_key_config_selectorIiyEEZZNS1_16scan_by_key_implILNS1_25lookback_scan_determinismE0ELb0ES3_N6thrust23THRUST_200600_302600_NS6detail15normal_iteratorINS9_10device_ptrIiEEEENSB_INSC_IyEEEESG_yNS9_4plusIvEENS9_8equal_toIvEEyEE10hipError_tPvRmT2_T3_T4_T5_mT6_T7_P12ihipStream_tbENKUlT_T0_E_clISt17integral_constantIbLb0EES10_IbLb1EEEEDaSW_SX_EUlSW_E_NS1_11comp_targetILNS1_3genE3ELNS1_11target_archE908ELNS1_3gpuE7ELNS1_3repE0EEENS1_30default_config_static_selectorELNS0_4arch9wavefront6targetE0EEEvT1_, .Lfunc_end1213-_ZN7rocprim17ROCPRIM_400000_NS6detail17trampoline_kernelINS0_14default_configENS1_27scan_by_key_config_selectorIiyEEZZNS1_16scan_by_key_implILNS1_25lookback_scan_determinismE0ELb0ES3_N6thrust23THRUST_200600_302600_NS6detail15normal_iteratorINS9_10device_ptrIiEEEENSB_INSC_IyEEEESG_yNS9_4plusIvEENS9_8equal_toIvEEyEE10hipError_tPvRmT2_T3_T4_T5_mT6_T7_P12ihipStream_tbENKUlT_T0_E_clISt17integral_constantIbLb0EES10_IbLb1EEEEDaSW_SX_EUlSW_E_NS1_11comp_targetILNS1_3genE3ELNS1_11target_archE908ELNS1_3gpuE7ELNS1_3repE0EEENS1_30default_config_static_selectorELNS0_4arch9wavefront6targetE0EEEvT1_
                                        ; -- End function
	.set _ZN7rocprim17ROCPRIM_400000_NS6detail17trampoline_kernelINS0_14default_configENS1_27scan_by_key_config_selectorIiyEEZZNS1_16scan_by_key_implILNS1_25lookback_scan_determinismE0ELb0ES3_N6thrust23THRUST_200600_302600_NS6detail15normal_iteratorINS9_10device_ptrIiEEEENSB_INSC_IyEEEESG_yNS9_4plusIvEENS9_8equal_toIvEEyEE10hipError_tPvRmT2_T3_T4_T5_mT6_T7_P12ihipStream_tbENKUlT_T0_E_clISt17integral_constantIbLb0EES10_IbLb1EEEEDaSW_SX_EUlSW_E_NS1_11comp_targetILNS1_3genE3ELNS1_11target_archE908ELNS1_3gpuE7ELNS1_3repE0EEENS1_30default_config_static_selectorELNS0_4arch9wavefront6targetE0EEEvT1_.num_vgpr, 0
	.set _ZN7rocprim17ROCPRIM_400000_NS6detail17trampoline_kernelINS0_14default_configENS1_27scan_by_key_config_selectorIiyEEZZNS1_16scan_by_key_implILNS1_25lookback_scan_determinismE0ELb0ES3_N6thrust23THRUST_200600_302600_NS6detail15normal_iteratorINS9_10device_ptrIiEEEENSB_INSC_IyEEEESG_yNS9_4plusIvEENS9_8equal_toIvEEyEE10hipError_tPvRmT2_T3_T4_T5_mT6_T7_P12ihipStream_tbENKUlT_T0_E_clISt17integral_constantIbLb0EES10_IbLb1EEEEDaSW_SX_EUlSW_E_NS1_11comp_targetILNS1_3genE3ELNS1_11target_archE908ELNS1_3gpuE7ELNS1_3repE0EEENS1_30default_config_static_selectorELNS0_4arch9wavefront6targetE0EEEvT1_.num_agpr, 0
	.set _ZN7rocprim17ROCPRIM_400000_NS6detail17trampoline_kernelINS0_14default_configENS1_27scan_by_key_config_selectorIiyEEZZNS1_16scan_by_key_implILNS1_25lookback_scan_determinismE0ELb0ES3_N6thrust23THRUST_200600_302600_NS6detail15normal_iteratorINS9_10device_ptrIiEEEENSB_INSC_IyEEEESG_yNS9_4plusIvEENS9_8equal_toIvEEyEE10hipError_tPvRmT2_T3_T4_T5_mT6_T7_P12ihipStream_tbENKUlT_T0_E_clISt17integral_constantIbLb0EES10_IbLb1EEEEDaSW_SX_EUlSW_E_NS1_11comp_targetILNS1_3genE3ELNS1_11target_archE908ELNS1_3gpuE7ELNS1_3repE0EEENS1_30default_config_static_selectorELNS0_4arch9wavefront6targetE0EEEvT1_.numbered_sgpr, 0
	.set _ZN7rocprim17ROCPRIM_400000_NS6detail17trampoline_kernelINS0_14default_configENS1_27scan_by_key_config_selectorIiyEEZZNS1_16scan_by_key_implILNS1_25lookback_scan_determinismE0ELb0ES3_N6thrust23THRUST_200600_302600_NS6detail15normal_iteratorINS9_10device_ptrIiEEEENSB_INSC_IyEEEESG_yNS9_4plusIvEENS9_8equal_toIvEEyEE10hipError_tPvRmT2_T3_T4_T5_mT6_T7_P12ihipStream_tbENKUlT_T0_E_clISt17integral_constantIbLb0EES10_IbLb1EEEEDaSW_SX_EUlSW_E_NS1_11comp_targetILNS1_3genE3ELNS1_11target_archE908ELNS1_3gpuE7ELNS1_3repE0EEENS1_30default_config_static_selectorELNS0_4arch9wavefront6targetE0EEEvT1_.num_named_barrier, 0
	.set _ZN7rocprim17ROCPRIM_400000_NS6detail17trampoline_kernelINS0_14default_configENS1_27scan_by_key_config_selectorIiyEEZZNS1_16scan_by_key_implILNS1_25lookback_scan_determinismE0ELb0ES3_N6thrust23THRUST_200600_302600_NS6detail15normal_iteratorINS9_10device_ptrIiEEEENSB_INSC_IyEEEESG_yNS9_4plusIvEENS9_8equal_toIvEEyEE10hipError_tPvRmT2_T3_T4_T5_mT6_T7_P12ihipStream_tbENKUlT_T0_E_clISt17integral_constantIbLb0EES10_IbLb1EEEEDaSW_SX_EUlSW_E_NS1_11comp_targetILNS1_3genE3ELNS1_11target_archE908ELNS1_3gpuE7ELNS1_3repE0EEENS1_30default_config_static_selectorELNS0_4arch9wavefront6targetE0EEEvT1_.private_seg_size, 0
	.set _ZN7rocprim17ROCPRIM_400000_NS6detail17trampoline_kernelINS0_14default_configENS1_27scan_by_key_config_selectorIiyEEZZNS1_16scan_by_key_implILNS1_25lookback_scan_determinismE0ELb0ES3_N6thrust23THRUST_200600_302600_NS6detail15normal_iteratorINS9_10device_ptrIiEEEENSB_INSC_IyEEEESG_yNS9_4plusIvEENS9_8equal_toIvEEyEE10hipError_tPvRmT2_T3_T4_T5_mT6_T7_P12ihipStream_tbENKUlT_T0_E_clISt17integral_constantIbLb0EES10_IbLb1EEEEDaSW_SX_EUlSW_E_NS1_11comp_targetILNS1_3genE3ELNS1_11target_archE908ELNS1_3gpuE7ELNS1_3repE0EEENS1_30default_config_static_selectorELNS0_4arch9wavefront6targetE0EEEvT1_.uses_vcc, 0
	.set _ZN7rocprim17ROCPRIM_400000_NS6detail17trampoline_kernelINS0_14default_configENS1_27scan_by_key_config_selectorIiyEEZZNS1_16scan_by_key_implILNS1_25lookback_scan_determinismE0ELb0ES3_N6thrust23THRUST_200600_302600_NS6detail15normal_iteratorINS9_10device_ptrIiEEEENSB_INSC_IyEEEESG_yNS9_4plusIvEENS9_8equal_toIvEEyEE10hipError_tPvRmT2_T3_T4_T5_mT6_T7_P12ihipStream_tbENKUlT_T0_E_clISt17integral_constantIbLb0EES10_IbLb1EEEEDaSW_SX_EUlSW_E_NS1_11comp_targetILNS1_3genE3ELNS1_11target_archE908ELNS1_3gpuE7ELNS1_3repE0EEENS1_30default_config_static_selectorELNS0_4arch9wavefront6targetE0EEEvT1_.uses_flat_scratch, 0
	.set _ZN7rocprim17ROCPRIM_400000_NS6detail17trampoline_kernelINS0_14default_configENS1_27scan_by_key_config_selectorIiyEEZZNS1_16scan_by_key_implILNS1_25lookback_scan_determinismE0ELb0ES3_N6thrust23THRUST_200600_302600_NS6detail15normal_iteratorINS9_10device_ptrIiEEEENSB_INSC_IyEEEESG_yNS9_4plusIvEENS9_8equal_toIvEEyEE10hipError_tPvRmT2_T3_T4_T5_mT6_T7_P12ihipStream_tbENKUlT_T0_E_clISt17integral_constantIbLb0EES10_IbLb1EEEEDaSW_SX_EUlSW_E_NS1_11comp_targetILNS1_3genE3ELNS1_11target_archE908ELNS1_3gpuE7ELNS1_3repE0EEENS1_30default_config_static_selectorELNS0_4arch9wavefront6targetE0EEEvT1_.has_dyn_sized_stack, 0
	.set _ZN7rocprim17ROCPRIM_400000_NS6detail17trampoline_kernelINS0_14default_configENS1_27scan_by_key_config_selectorIiyEEZZNS1_16scan_by_key_implILNS1_25lookback_scan_determinismE0ELb0ES3_N6thrust23THRUST_200600_302600_NS6detail15normal_iteratorINS9_10device_ptrIiEEEENSB_INSC_IyEEEESG_yNS9_4plusIvEENS9_8equal_toIvEEyEE10hipError_tPvRmT2_T3_T4_T5_mT6_T7_P12ihipStream_tbENKUlT_T0_E_clISt17integral_constantIbLb0EES10_IbLb1EEEEDaSW_SX_EUlSW_E_NS1_11comp_targetILNS1_3genE3ELNS1_11target_archE908ELNS1_3gpuE7ELNS1_3repE0EEENS1_30default_config_static_selectorELNS0_4arch9wavefront6targetE0EEEvT1_.has_recursion, 0
	.set _ZN7rocprim17ROCPRIM_400000_NS6detail17trampoline_kernelINS0_14default_configENS1_27scan_by_key_config_selectorIiyEEZZNS1_16scan_by_key_implILNS1_25lookback_scan_determinismE0ELb0ES3_N6thrust23THRUST_200600_302600_NS6detail15normal_iteratorINS9_10device_ptrIiEEEENSB_INSC_IyEEEESG_yNS9_4plusIvEENS9_8equal_toIvEEyEE10hipError_tPvRmT2_T3_T4_T5_mT6_T7_P12ihipStream_tbENKUlT_T0_E_clISt17integral_constantIbLb0EES10_IbLb1EEEEDaSW_SX_EUlSW_E_NS1_11comp_targetILNS1_3genE3ELNS1_11target_archE908ELNS1_3gpuE7ELNS1_3repE0EEENS1_30default_config_static_selectorELNS0_4arch9wavefront6targetE0EEEvT1_.has_indirect_call, 0
	.section	.AMDGPU.csdata,"",@progbits
; Kernel info:
; codeLenInByte = 0
; TotalNumSgprs: 0
; NumVgprs: 0
; ScratchSize: 0
; MemoryBound: 0
; FloatMode: 240
; IeeeMode: 1
; LDSByteSize: 0 bytes/workgroup (compile time only)
; SGPRBlocks: 0
; VGPRBlocks: 0
; NumSGPRsForWavesPerEU: 1
; NumVGPRsForWavesPerEU: 1
; NamedBarCnt: 0
; Occupancy: 16
; WaveLimiterHint : 0
; COMPUTE_PGM_RSRC2:SCRATCH_EN: 0
; COMPUTE_PGM_RSRC2:USER_SGPR: 2
; COMPUTE_PGM_RSRC2:TRAP_HANDLER: 0
; COMPUTE_PGM_RSRC2:TGID_X_EN: 1
; COMPUTE_PGM_RSRC2:TGID_Y_EN: 0
; COMPUTE_PGM_RSRC2:TGID_Z_EN: 0
; COMPUTE_PGM_RSRC2:TIDIG_COMP_CNT: 0
	.section	.text._ZN7rocprim17ROCPRIM_400000_NS6detail17trampoline_kernelINS0_14default_configENS1_27scan_by_key_config_selectorIiyEEZZNS1_16scan_by_key_implILNS1_25lookback_scan_determinismE0ELb0ES3_N6thrust23THRUST_200600_302600_NS6detail15normal_iteratorINS9_10device_ptrIiEEEENSB_INSC_IyEEEESG_yNS9_4plusIvEENS9_8equal_toIvEEyEE10hipError_tPvRmT2_T3_T4_T5_mT6_T7_P12ihipStream_tbENKUlT_T0_E_clISt17integral_constantIbLb0EES10_IbLb1EEEEDaSW_SX_EUlSW_E_NS1_11comp_targetILNS1_3genE2ELNS1_11target_archE906ELNS1_3gpuE6ELNS1_3repE0EEENS1_30default_config_static_selectorELNS0_4arch9wavefront6targetE0EEEvT1_,"axG",@progbits,_ZN7rocprim17ROCPRIM_400000_NS6detail17trampoline_kernelINS0_14default_configENS1_27scan_by_key_config_selectorIiyEEZZNS1_16scan_by_key_implILNS1_25lookback_scan_determinismE0ELb0ES3_N6thrust23THRUST_200600_302600_NS6detail15normal_iteratorINS9_10device_ptrIiEEEENSB_INSC_IyEEEESG_yNS9_4plusIvEENS9_8equal_toIvEEyEE10hipError_tPvRmT2_T3_T4_T5_mT6_T7_P12ihipStream_tbENKUlT_T0_E_clISt17integral_constantIbLb0EES10_IbLb1EEEEDaSW_SX_EUlSW_E_NS1_11comp_targetILNS1_3genE2ELNS1_11target_archE906ELNS1_3gpuE6ELNS1_3repE0EEENS1_30default_config_static_selectorELNS0_4arch9wavefront6targetE0EEEvT1_,comdat
	.protected	_ZN7rocprim17ROCPRIM_400000_NS6detail17trampoline_kernelINS0_14default_configENS1_27scan_by_key_config_selectorIiyEEZZNS1_16scan_by_key_implILNS1_25lookback_scan_determinismE0ELb0ES3_N6thrust23THRUST_200600_302600_NS6detail15normal_iteratorINS9_10device_ptrIiEEEENSB_INSC_IyEEEESG_yNS9_4plusIvEENS9_8equal_toIvEEyEE10hipError_tPvRmT2_T3_T4_T5_mT6_T7_P12ihipStream_tbENKUlT_T0_E_clISt17integral_constantIbLb0EES10_IbLb1EEEEDaSW_SX_EUlSW_E_NS1_11comp_targetILNS1_3genE2ELNS1_11target_archE906ELNS1_3gpuE6ELNS1_3repE0EEENS1_30default_config_static_selectorELNS0_4arch9wavefront6targetE0EEEvT1_ ; -- Begin function _ZN7rocprim17ROCPRIM_400000_NS6detail17trampoline_kernelINS0_14default_configENS1_27scan_by_key_config_selectorIiyEEZZNS1_16scan_by_key_implILNS1_25lookback_scan_determinismE0ELb0ES3_N6thrust23THRUST_200600_302600_NS6detail15normal_iteratorINS9_10device_ptrIiEEEENSB_INSC_IyEEEESG_yNS9_4plusIvEENS9_8equal_toIvEEyEE10hipError_tPvRmT2_T3_T4_T5_mT6_T7_P12ihipStream_tbENKUlT_T0_E_clISt17integral_constantIbLb0EES10_IbLb1EEEEDaSW_SX_EUlSW_E_NS1_11comp_targetILNS1_3genE2ELNS1_11target_archE906ELNS1_3gpuE6ELNS1_3repE0EEENS1_30default_config_static_selectorELNS0_4arch9wavefront6targetE0EEEvT1_
	.globl	_ZN7rocprim17ROCPRIM_400000_NS6detail17trampoline_kernelINS0_14default_configENS1_27scan_by_key_config_selectorIiyEEZZNS1_16scan_by_key_implILNS1_25lookback_scan_determinismE0ELb0ES3_N6thrust23THRUST_200600_302600_NS6detail15normal_iteratorINS9_10device_ptrIiEEEENSB_INSC_IyEEEESG_yNS9_4plusIvEENS9_8equal_toIvEEyEE10hipError_tPvRmT2_T3_T4_T5_mT6_T7_P12ihipStream_tbENKUlT_T0_E_clISt17integral_constantIbLb0EES10_IbLb1EEEEDaSW_SX_EUlSW_E_NS1_11comp_targetILNS1_3genE2ELNS1_11target_archE906ELNS1_3gpuE6ELNS1_3repE0EEENS1_30default_config_static_selectorELNS0_4arch9wavefront6targetE0EEEvT1_
	.p2align	8
	.type	_ZN7rocprim17ROCPRIM_400000_NS6detail17trampoline_kernelINS0_14default_configENS1_27scan_by_key_config_selectorIiyEEZZNS1_16scan_by_key_implILNS1_25lookback_scan_determinismE0ELb0ES3_N6thrust23THRUST_200600_302600_NS6detail15normal_iteratorINS9_10device_ptrIiEEEENSB_INSC_IyEEEESG_yNS9_4plusIvEENS9_8equal_toIvEEyEE10hipError_tPvRmT2_T3_T4_T5_mT6_T7_P12ihipStream_tbENKUlT_T0_E_clISt17integral_constantIbLb0EES10_IbLb1EEEEDaSW_SX_EUlSW_E_NS1_11comp_targetILNS1_3genE2ELNS1_11target_archE906ELNS1_3gpuE6ELNS1_3repE0EEENS1_30default_config_static_selectorELNS0_4arch9wavefront6targetE0EEEvT1_,@function
_ZN7rocprim17ROCPRIM_400000_NS6detail17trampoline_kernelINS0_14default_configENS1_27scan_by_key_config_selectorIiyEEZZNS1_16scan_by_key_implILNS1_25lookback_scan_determinismE0ELb0ES3_N6thrust23THRUST_200600_302600_NS6detail15normal_iteratorINS9_10device_ptrIiEEEENSB_INSC_IyEEEESG_yNS9_4plusIvEENS9_8equal_toIvEEyEE10hipError_tPvRmT2_T3_T4_T5_mT6_T7_P12ihipStream_tbENKUlT_T0_E_clISt17integral_constantIbLb0EES10_IbLb1EEEEDaSW_SX_EUlSW_E_NS1_11comp_targetILNS1_3genE2ELNS1_11target_archE906ELNS1_3gpuE6ELNS1_3repE0EEENS1_30default_config_static_selectorELNS0_4arch9wavefront6targetE0EEEvT1_: ; @_ZN7rocprim17ROCPRIM_400000_NS6detail17trampoline_kernelINS0_14default_configENS1_27scan_by_key_config_selectorIiyEEZZNS1_16scan_by_key_implILNS1_25lookback_scan_determinismE0ELb0ES3_N6thrust23THRUST_200600_302600_NS6detail15normal_iteratorINS9_10device_ptrIiEEEENSB_INSC_IyEEEESG_yNS9_4plusIvEENS9_8equal_toIvEEyEE10hipError_tPvRmT2_T3_T4_T5_mT6_T7_P12ihipStream_tbENKUlT_T0_E_clISt17integral_constantIbLb0EES10_IbLb1EEEEDaSW_SX_EUlSW_E_NS1_11comp_targetILNS1_3genE2ELNS1_11target_archE906ELNS1_3gpuE6ELNS1_3repE0EEENS1_30default_config_static_selectorELNS0_4arch9wavefront6targetE0EEEvT1_
; %bb.0:
	.section	.rodata,"a",@progbits
	.p2align	6, 0x0
	.amdhsa_kernel _ZN7rocprim17ROCPRIM_400000_NS6detail17trampoline_kernelINS0_14default_configENS1_27scan_by_key_config_selectorIiyEEZZNS1_16scan_by_key_implILNS1_25lookback_scan_determinismE0ELb0ES3_N6thrust23THRUST_200600_302600_NS6detail15normal_iteratorINS9_10device_ptrIiEEEENSB_INSC_IyEEEESG_yNS9_4plusIvEENS9_8equal_toIvEEyEE10hipError_tPvRmT2_T3_T4_T5_mT6_T7_P12ihipStream_tbENKUlT_T0_E_clISt17integral_constantIbLb0EES10_IbLb1EEEEDaSW_SX_EUlSW_E_NS1_11comp_targetILNS1_3genE2ELNS1_11target_archE906ELNS1_3gpuE6ELNS1_3repE0EEENS1_30default_config_static_selectorELNS0_4arch9wavefront6targetE0EEEvT1_
		.amdhsa_group_segment_fixed_size 0
		.amdhsa_private_segment_fixed_size 0
		.amdhsa_kernarg_size 136
		.amdhsa_user_sgpr_count 2
		.amdhsa_user_sgpr_dispatch_ptr 0
		.amdhsa_user_sgpr_queue_ptr 0
		.amdhsa_user_sgpr_kernarg_segment_ptr 1
		.amdhsa_user_sgpr_dispatch_id 0
		.amdhsa_user_sgpr_kernarg_preload_length 0
		.amdhsa_user_sgpr_kernarg_preload_offset 0
		.amdhsa_user_sgpr_private_segment_size 0
		.amdhsa_wavefront_size32 1
		.amdhsa_uses_dynamic_stack 0
		.amdhsa_enable_private_segment 0
		.amdhsa_system_sgpr_workgroup_id_x 1
		.amdhsa_system_sgpr_workgroup_id_y 0
		.amdhsa_system_sgpr_workgroup_id_z 0
		.amdhsa_system_sgpr_workgroup_info 0
		.amdhsa_system_vgpr_workitem_id 0
		.amdhsa_next_free_vgpr 1
		.amdhsa_next_free_sgpr 1
		.amdhsa_named_barrier_count 0
		.amdhsa_reserve_vcc 0
		.amdhsa_float_round_mode_32 0
		.amdhsa_float_round_mode_16_64 0
		.amdhsa_float_denorm_mode_32 3
		.amdhsa_float_denorm_mode_16_64 3
		.amdhsa_fp16_overflow 0
		.amdhsa_memory_ordered 1
		.amdhsa_forward_progress 1
		.amdhsa_inst_pref_size 0
		.amdhsa_round_robin_scheduling 0
		.amdhsa_exception_fp_ieee_invalid_op 0
		.amdhsa_exception_fp_denorm_src 0
		.amdhsa_exception_fp_ieee_div_zero 0
		.amdhsa_exception_fp_ieee_overflow 0
		.amdhsa_exception_fp_ieee_underflow 0
		.amdhsa_exception_fp_ieee_inexact 0
		.amdhsa_exception_int_div_zero 0
	.end_amdhsa_kernel
	.section	.text._ZN7rocprim17ROCPRIM_400000_NS6detail17trampoline_kernelINS0_14default_configENS1_27scan_by_key_config_selectorIiyEEZZNS1_16scan_by_key_implILNS1_25lookback_scan_determinismE0ELb0ES3_N6thrust23THRUST_200600_302600_NS6detail15normal_iteratorINS9_10device_ptrIiEEEENSB_INSC_IyEEEESG_yNS9_4plusIvEENS9_8equal_toIvEEyEE10hipError_tPvRmT2_T3_T4_T5_mT6_T7_P12ihipStream_tbENKUlT_T0_E_clISt17integral_constantIbLb0EES10_IbLb1EEEEDaSW_SX_EUlSW_E_NS1_11comp_targetILNS1_3genE2ELNS1_11target_archE906ELNS1_3gpuE6ELNS1_3repE0EEENS1_30default_config_static_selectorELNS0_4arch9wavefront6targetE0EEEvT1_,"axG",@progbits,_ZN7rocprim17ROCPRIM_400000_NS6detail17trampoline_kernelINS0_14default_configENS1_27scan_by_key_config_selectorIiyEEZZNS1_16scan_by_key_implILNS1_25lookback_scan_determinismE0ELb0ES3_N6thrust23THRUST_200600_302600_NS6detail15normal_iteratorINS9_10device_ptrIiEEEENSB_INSC_IyEEEESG_yNS9_4plusIvEENS9_8equal_toIvEEyEE10hipError_tPvRmT2_T3_T4_T5_mT6_T7_P12ihipStream_tbENKUlT_T0_E_clISt17integral_constantIbLb0EES10_IbLb1EEEEDaSW_SX_EUlSW_E_NS1_11comp_targetILNS1_3genE2ELNS1_11target_archE906ELNS1_3gpuE6ELNS1_3repE0EEENS1_30default_config_static_selectorELNS0_4arch9wavefront6targetE0EEEvT1_,comdat
.Lfunc_end1214:
	.size	_ZN7rocprim17ROCPRIM_400000_NS6detail17trampoline_kernelINS0_14default_configENS1_27scan_by_key_config_selectorIiyEEZZNS1_16scan_by_key_implILNS1_25lookback_scan_determinismE0ELb0ES3_N6thrust23THRUST_200600_302600_NS6detail15normal_iteratorINS9_10device_ptrIiEEEENSB_INSC_IyEEEESG_yNS9_4plusIvEENS9_8equal_toIvEEyEE10hipError_tPvRmT2_T3_T4_T5_mT6_T7_P12ihipStream_tbENKUlT_T0_E_clISt17integral_constantIbLb0EES10_IbLb1EEEEDaSW_SX_EUlSW_E_NS1_11comp_targetILNS1_3genE2ELNS1_11target_archE906ELNS1_3gpuE6ELNS1_3repE0EEENS1_30default_config_static_selectorELNS0_4arch9wavefront6targetE0EEEvT1_, .Lfunc_end1214-_ZN7rocprim17ROCPRIM_400000_NS6detail17trampoline_kernelINS0_14default_configENS1_27scan_by_key_config_selectorIiyEEZZNS1_16scan_by_key_implILNS1_25lookback_scan_determinismE0ELb0ES3_N6thrust23THRUST_200600_302600_NS6detail15normal_iteratorINS9_10device_ptrIiEEEENSB_INSC_IyEEEESG_yNS9_4plusIvEENS9_8equal_toIvEEyEE10hipError_tPvRmT2_T3_T4_T5_mT6_T7_P12ihipStream_tbENKUlT_T0_E_clISt17integral_constantIbLb0EES10_IbLb1EEEEDaSW_SX_EUlSW_E_NS1_11comp_targetILNS1_3genE2ELNS1_11target_archE906ELNS1_3gpuE6ELNS1_3repE0EEENS1_30default_config_static_selectorELNS0_4arch9wavefront6targetE0EEEvT1_
                                        ; -- End function
	.set _ZN7rocprim17ROCPRIM_400000_NS6detail17trampoline_kernelINS0_14default_configENS1_27scan_by_key_config_selectorIiyEEZZNS1_16scan_by_key_implILNS1_25lookback_scan_determinismE0ELb0ES3_N6thrust23THRUST_200600_302600_NS6detail15normal_iteratorINS9_10device_ptrIiEEEENSB_INSC_IyEEEESG_yNS9_4plusIvEENS9_8equal_toIvEEyEE10hipError_tPvRmT2_T3_T4_T5_mT6_T7_P12ihipStream_tbENKUlT_T0_E_clISt17integral_constantIbLb0EES10_IbLb1EEEEDaSW_SX_EUlSW_E_NS1_11comp_targetILNS1_3genE2ELNS1_11target_archE906ELNS1_3gpuE6ELNS1_3repE0EEENS1_30default_config_static_selectorELNS0_4arch9wavefront6targetE0EEEvT1_.num_vgpr, 0
	.set _ZN7rocprim17ROCPRIM_400000_NS6detail17trampoline_kernelINS0_14default_configENS1_27scan_by_key_config_selectorIiyEEZZNS1_16scan_by_key_implILNS1_25lookback_scan_determinismE0ELb0ES3_N6thrust23THRUST_200600_302600_NS6detail15normal_iteratorINS9_10device_ptrIiEEEENSB_INSC_IyEEEESG_yNS9_4plusIvEENS9_8equal_toIvEEyEE10hipError_tPvRmT2_T3_T4_T5_mT6_T7_P12ihipStream_tbENKUlT_T0_E_clISt17integral_constantIbLb0EES10_IbLb1EEEEDaSW_SX_EUlSW_E_NS1_11comp_targetILNS1_3genE2ELNS1_11target_archE906ELNS1_3gpuE6ELNS1_3repE0EEENS1_30default_config_static_selectorELNS0_4arch9wavefront6targetE0EEEvT1_.num_agpr, 0
	.set _ZN7rocprim17ROCPRIM_400000_NS6detail17trampoline_kernelINS0_14default_configENS1_27scan_by_key_config_selectorIiyEEZZNS1_16scan_by_key_implILNS1_25lookback_scan_determinismE0ELb0ES3_N6thrust23THRUST_200600_302600_NS6detail15normal_iteratorINS9_10device_ptrIiEEEENSB_INSC_IyEEEESG_yNS9_4plusIvEENS9_8equal_toIvEEyEE10hipError_tPvRmT2_T3_T4_T5_mT6_T7_P12ihipStream_tbENKUlT_T0_E_clISt17integral_constantIbLb0EES10_IbLb1EEEEDaSW_SX_EUlSW_E_NS1_11comp_targetILNS1_3genE2ELNS1_11target_archE906ELNS1_3gpuE6ELNS1_3repE0EEENS1_30default_config_static_selectorELNS0_4arch9wavefront6targetE0EEEvT1_.numbered_sgpr, 0
	.set _ZN7rocprim17ROCPRIM_400000_NS6detail17trampoline_kernelINS0_14default_configENS1_27scan_by_key_config_selectorIiyEEZZNS1_16scan_by_key_implILNS1_25lookback_scan_determinismE0ELb0ES3_N6thrust23THRUST_200600_302600_NS6detail15normal_iteratorINS9_10device_ptrIiEEEENSB_INSC_IyEEEESG_yNS9_4plusIvEENS9_8equal_toIvEEyEE10hipError_tPvRmT2_T3_T4_T5_mT6_T7_P12ihipStream_tbENKUlT_T0_E_clISt17integral_constantIbLb0EES10_IbLb1EEEEDaSW_SX_EUlSW_E_NS1_11comp_targetILNS1_3genE2ELNS1_11target_archE906ELNS1_3gpuE6ELNS1_3repE0EEENS1_30default_config_static_selectorELNS0_4arch9wavefront6targetE0EEEvT1_.num_named_barrier, 0
	.set _ZN7rocprim17ROCPRIM_400000_NS6detail17trampoline_kernelINS0_14default_configENS1_27scan_by_key_config_selectorIiyEEZZNS1_16scan_by_key_implILNS1_25lookback_scan_determinismE0ELb0ES3_N6thrust23THRUST_200600_302600_NS6detail15normal_iteratorINS9_10device_ptrIiEEEENSB_INSC_IyEEEESG_yNS9_4plusIvEENS9_8equal_toIvEEyEE10hipError_tPvRmT2_T3_T4_T5_mT6_T7_P12ihipStream_tbENKUlT_T0_E_clISt17integral_constantIbLb0EES10_IbLb1EEEEDaSW_SX_EUlSW_E_NS1_11comp_targetILNS1_3genE2ELNS1_11target_archE906ELNS1_3gpuE6ELNS1_3repE0EEENS1_30default_config_static_selectorELNS0_4arch9wavefront6targetE0EEEvT1_.private_seg_size, 0
	.set _ZN7rocprim17ROCPRIM_400000_NS6detail17trampoline_kernelINS0_14default_configENS1_27scan_by_key_config_selectorIiyEEZZNS1_16scan_by_key_implILNS1_25lookback_scan_determinismE0ELb0ES3_N6thrust23THRUST_200600_302600_NS6detail15normal_iteratorINS9_10device_ptrIiEEEENSB_INSC_IyEEEESG_yNS9_4plusIvEENS9_8equal_toIvEEyEE10hipError_tPvRmT2_T3_T4_T5_mT6_T7_P12ihipStream_tbENKUlT_T0_E_clISt17integral_constantIbLb0EES10_IbLb1EEEEDaSW_SX_EUlSW_E_NS1_11comp_targetILNS1_3genE2ELNS1_11target_archE906ELNS1_3gpuE6ELNS1_3repE0EEENS1_30default_config_static_selectorELNS0_4arch9wavefront6targetE0EEEvT1_.uses_vcc, 0
	.set _ZN7rocprim17ROCPRIM_400000_NS6detail17trampoline_kernelINS0_14default_configENS1_27scan_by_key_config_selectorIiyEEZZNS1_16scan_by_key_implILNS1_25lookback_scan_determinismE0ELb0ES3_N6thrust23THRUST_200600_302600_NS6detail15normal_iteratorINS9_10device_ptrIiEEEENSB_INSC_IyEEEESG_yNS9_4plusIvEENS9_8equal_toIvEEyEE10hipError_tPvRmT2_T3_T4_T5_mT6_T7_P12ihipStream_tbENKUlT_T0_E_clISt17integral_constantIbLb0EES10_IbLb1EEEEDaSW_SX_EUlSW_E_NS1_11comp_targetILNS1_3genE2ELNS1_11target_archE906ELNS1_3gpuE6ELNS1_3repE0EEENS1_30default_config_static_selectorELNS0_4arch9wavefront6targetE0EEEvT1_.uses_flat_scratch, 0
	.set _ZN7rocprim17ROCPRIM_400000_NS6detail17trampoline_kernelINS0_14default_configENS1_27scan_by_key_config_selectorIiyEEZZNS1_16scan_by_key_implILNS1_25lookback_scan_determinismE0ELb0ES3_N6thrust23THRUST_200600_302600_NS6detail15normal_iteratorINS9_10device_ptrIiEEEENSB_INSC_IyEEEESG_yNS9_4plusIvEENS9_8equal_toIvEEyEE10hipError_tPvRmT2_T3_T4_T5_mT6_T7_P12ihipStream_tbENKUlT_T0_E_clISt17integral_constantIbLb0EES10_IbLb1EEEEDaSW_SX_EUlSW_E_NS1_11comp_targetILNS1_3genE2ELNS1_11target_archE906ELNS1_3gpuE6ELNS1_3repE0EEENS1_30default_config_static_selectorELNS0_4arch9wavefront6targetE0EEEvT1_.has_dyn_sized_stack, 0
	.set _ZN7rocprim17ROCPRIM_400000_NS6detail17trampoline_kernelINS0_14default_configENS1_27scan_by_key_config_selectorIiyEEZZNS1_16scan_by_key_implILNS1_25lookback_scan_determinismE0ELb0ES3_N6thrust23THRUST_200600_302600_NS6detail15normal_iteratorINS9_10device_ptrIiEEEENSB_INSC_IyEEEESG_yNS9_4plusIvEENS9_8equal_toIvEEyEE10hipError_tPvRmT2_T3_T4_T5_mT6_T7_P12ihipStream_tbENKUlT_T0_E_clISt17integral_constantIbLb0EES10_IbLb1EEEEDaSW_SX_EUlSW_E_NS1_11comp_targetILNS1_3genE2ELNS1_11target_archE906ELNS1_3gpuE6ELNS1_3repE0EEENS1_30default_config_static_selectorELNS0_4arch9wavefront6targetE0EEEvT1_.has_recursion, 0
	.set _ZN7rocprim17ROCPRIM_400000_NS6detail17trampoline_kernelINS0_14default_configENS1_27scan_by_key_config_selectorIiyEEZZNS1_16scan_by_key_implILNS1_25lookback_scan_determinismE0ELb0ES3_N6thrust23THRUST_200600_302600_NS6detail15normal_iteratorINS9_10device_ptrIiEEEENSB_INSC_IyEEEESG_yNS9_4plusIvEENS9_8equal_toIvEEyEE10hipError_tPvRmT2_T3_T4_T5_mT6_T7_P12ihipStream_tbENKUlT_T0_E_clISt17integral_constantIbLb0EES10_IbLb1EEEEDaSW_SX_EUlSW_E_NS1_11comp_targetILNS1_3genE2ELNS1_11target_archE906ELNS1_3gpuE6ELNS1_3repE0EEENS1_30default_config_static_selectorELNS0_4arch9wavefront6targetE0EEEvT1_.has_indirect_call, 0
	.section	.AMDGPU.csdata,"",@progbits
; Kernel info:
; codeLenInByte = 0
; TotalNumSgprs: 0
; NumVgprs: 0
; ScratchSize: 0
; MemoryBound: 0
; FloatMode: 240
; IeeeMode: 1
; LDSByteSize: 0 bytes/workgroup (compile time only)
; SGPRBlocks: 0
; VGPRBlocks: 0
; NumSGPRsForWavesPerEU: 1
; NumVGPRsForWavesPerEU: 1
; NamedBarCnt: 0
; Occupancy: 16
; WaveLimiterHint : 0
; COMPUTE_PGM_RSRC2:SCRATCH_EN: 0
; COMPUTE_PGM_RSRC2:USER_SGPR: 2
; COMPUTE_PGM_RSRC2:TRAP_HANDLER: 0
; COMPUTE_PGM_RSRC2:TGID_X_EN: 1
; COMPUTE_PGM_RSRC2:TGID_Y_EN: 0
; COMPUTE_PGM_RSRC2:TGID_Z_EN: 0
; COMPUTE_PGM_RSRC2:TIDIG_COMP_CNT: 0
	.section	.text._ZN7rocprim17ROCPRIM_400000_NS6detail17trampoline_kernelINS0_14default_configENS1_27scan_by_key_config_selectorIiyEEZZNS1_16scan_by_key_implILNS1_25lookback_scan_determinismE0ELb0ES3_N6thrust23THRUST_200600_302600_NS6detail15normal_iteratorINS9_10device_ptrIiEEEENSB_INSC_IyEEEESG_yNS9_4plusIvEENS9_8equal_toIvEEyEE10hipError_tPvRmT2_T3_T4_T5_mT6_T7_P12ihipStream_tbENKUlT_T0_E_clISt17integral_constantIbLb0EES10_IbLb1EEEEDaSW_SX_EUlSW_E_NS1_11comp_targetILNS1_3genE10ELNS1_11target_archE1200ELNS1_3gpuE4ELNS1_3repE0EEENS1_30default_config_static_selectorELNS0_4arch9wavefront6targetE0EEEvT1_,"axG",@progbits,_ZN7rocprim17ROCPRIM_400000_NS6detail17trampoline_kernelINS0_14default_configENS1_27scan_by_key_config_selectorIiyEEZZNS1_16scan_by_key_implILNS1_25lookback_scan_determinismE0ELb0ES3_N6thrust23THRUST_200600_302600_NS6detail15normal_iteratorINS9_10device_ptrIiEEEENSB_INSC_IyEEEESG_yNS9_4plusIvEENS9_8equal_toIvEEyEE10hipError_tPvRmT2_T3_T4_T5_mT6_T7_P12ihipStream_tbENKUlT_T0_E_clISt17integral_constantIbLb0EES10_IbLb1EEEEDaSW_SX_EUlSW_E_NS1_11comp_targetILNS1_3genE10ELNS1_11target_archE1200ELNS1_3gpuE4ELNS1_3repE0EEENS1_30default_config_static_selectorELNS0_4arch9wavefront6targetE0EEEvT1_,comdat
	.protected	_ZN7rocprim17ROCPRIM_400000_NS6detail17trampoline_kernelINS0_14default_configENS1_27scan_by_key_config_selectorIiyEEZZNS1_16scan_by_key_implILNS1_25lookback_scan_determinismE0ELb0ES3_N6thrust23THRUST_200600_302600_NS6detail15normal_iteratorINS9_10device_ptrIiEEEENSB_INSC_IyEEEESG_yNS9_4plusIvEENS9_8equal_toIvEEyEE10hipError_tPvRmT2_T3_T4_T5_mT6_T7_P12ihipStream_tbENKUlT_T0_E_clISt17integral_constantIbLb0EES10_IbLb1EEEEDaSW_SX_EUlSW_E_NS1_11comp_targetILNS1_3genE10ELNS1_11target_archE1200ELNS1_3gpuE4ELNS1_3repE0EEENS1_30default_config_static_selectorELNS0_4arch9wavefront6targetE0EEEvT1_ ; -- Begin function _ZN7rocprim17ROCPRIM_400000_NS6detail17trampoline_kernelINS0_14default_configENS1_27scan_by_key_config_selectorIiyEEZZNS1_16scan_by_key_implILNS1_25lookback_scan_determinismE0ELb0ES3_N6thrust23THRUST_200600_302600_NS6detail15normal_iteratorINS9_10device_ptrIiEEEENSB_INSC_IyEEEESG_yNS9_4plusIvEENS9_8equal_toIvEEyEE10hipError_tPvRmT2_T3_T4_T5_mT6_T7_P12ihipStream_tbENKUlT_T0_E_clISt17integral_constantIbLb0EES10_IbLb1EEEEDaSW_SX_EUlSW_E_NS1_11comp_targetILNS1_3genE10ELNS1_11target_archE1200ELNS1_3gpuE4ELNS1_3repE0EEENS1_30default_config_static_selectorELNS0_4arch9wavefront6targetE0EEEvT1_
	.globl	_ZN7rocprim17ROCPRIM_400000_NS6detail17trampoline_kernelINS0_14default_configENS1_27scan_by_key_config_selectorIiyEEZZNS1_16scan_by_key_implILNS1_25lookback_scan_determinismE0ELb0ES3_N6thrust23THRUST_200600_302600_NS6detail15normal_iteratorINS9_10device_ptrIiEEEENSB_INSC_IyEEEESG_yNS9_4plusIvEENS9_8equal_toIvEEyEE10hipError_tPvRmT2_T3_T4_T5_mT6_T7_P12ihipStream_tbENKUlT_T0_E_clISt17integral_constantIbLb0EES10_IbLb1EEEEDaSW_SX_EUlSW_E_NS1_11comp_targetILNS1_3genE10ELNS1_11target_archE1200ELNS1_3gpuE4ELNS1_3repE0EEENS1_30default_config_static_selectorELNS0_4arch9wavefront6targetE0EEEvT1_
	.p2align	8
	.type	_ZN7rocprim17ROCPRIM_400000_NS6detail17trampoline_kernelINS0_14default_configENS1_27scan_by_key_config_selectorIiyEEZZNS1_16scan_by_key_implILNS1_25lookback_scan_determinismE0ELb0ES3_N6thrust23THRUST_200600_302600_NS6detail15normal_iteratorINS9_10device_ptrIiEEEENSB_INSC_IyEEEESG_yNS9_4plusIvEENS9_8equal_toIvEEyEE10hipError_tPvRmT2_T3_T4_T5_mT6_T7_P12ihipStream_tbENKUlT_T0_E_clISt17integral_constantIbLb0EES10_IbLb1EEEEDaSW_SX_EUlSW_E_NS1_11comp_targetILNS1_3genE10ELNS1_11target_archE1200ELNS1_3gpuE4ELNS1_3repE0EEENS1_30default_config_static_selectorELNS0_4arch9wavefront6targetE0EEEvT1_,@function
_ZN7rocprim17ROCPRIM_400000_NS6detail17trampoline_kernelINS0_14default_configENS1_27scan_by_key_config_selectorIiyEEZZNS1_16scan_by_key_implILNS1_25lookback_scan_determinismE0ELb0ES3_N6thrust23THRUST_200600_302600_NS6detail15normal_iteratorINS9_10device_ptrIiEEEENSB_INSC_IyEEEESG_yNS9_4plusIvEENS9_8equal_toIvEEyEE10hipError_tPvRmT2_T3_T4_T5_mT6_T7_P12ihipStream_tbENKUlT_T0_E_clISt17integral_constantIbLb0EES10_IbLb1EEEEDaSW_SX_EUlSW_E_NS1_11comp_targetILNS1_3genE10ELNS1_11target_archE1200ELNS1_3gpuE4ELNS1_3repE0EEENS1_30default_config_static_selectorELNS0_4arch9wavefront6targetE0EEEvT1_: ; @_ZN7rocprim17ROCPRIM_400000_NS6detail17trampoline_kernelINS0_14default_configENS1_27scan_by_key_config_selectorIiyEEZZNS1_16scan_by_key_implILNS1_25lookback_scan_determinismE0ELb0ES3_N6thrust23THRUST_200600_302600_NS6detail15normal_iteratorINS9_10device_ptrIiEEEENSB_INSC_IyEEEESG_yNS9_4plusIvEENS9_8equal_toIvEEyEE10hipError_tPvRmT2_T3_T4_T5_mT6_T7_P12ihipStream_tbENKUlT_T0_E_clISt17integral_constantIbLb0EES10_IbLb1EEEEDaSW_SX_EUlSW_E_NS1_11comp_targetILNS1_3genE10ELNS1_11target_archE1200ELNS1_3gpuE4ELNS1_3repE0EEENS1_30default_config_static_selectorELNS0_4arch9wavefront6targetE0EEEvT1_
; %bb.0:
	.section	.rodata,"a",@progbits
	.p2align	6, 0x0
	.amdhsa_kernel _ZN7rocprim17ROCPRIM_400000_NS6detail17trampoline_kernelINS0_14default_configENS1_27scan_by_key_config_selectorIiyEEZZNS1_16scan_by_key_implILNS1_25lookback_scan_determinismE0ELb0ES3_N6thrust23THRUST_200600_302600_NS6detail15normal_iteratorINS9_10device_ptrIiEEEENSB_INSC_IyEEEESG_yNS9_4plusIvEENS9_8equal_toIvEEyEE10hipError_tPvRmT2_T3_T4_T5_mT6_T7_P12ihipStream_tbENKUlT_T0_E_clISt17integral_constantIbLb0EES10_IbLb1EEEEDaSW_SX_EUlSW_E_NS1_11comp_targetILNS1_3genE10ELNS1_11target_archE1200ELNS1_3gpuE4ELNS1_3repE0EEENS1_30default_config_static_selectorELNS0_4arch9wavefront6targetE0EEEvT1_
		.amdhsa_group_segment_fixed_size 0
		.amdhsa_private_segment_fixed_size 0
		.amdhsa_kernarg_size 136
		.amdhsa_user_sgpr_count 2
		.amdhsa_user_sgpr_dispatch_ptr 0
		.amdhsa_user_sgpr_queue_ptr 0
		.amdhsa_user_sgpr_kernarg_segment_ptr 1
		.amdhsa_user_sgpr_dispatch_id 0
		.amdhsa_user_sgpr_kernarg_preload_length 0
		.amdhsa_user_sgpr_kernarg_preload_offset 0
		.amdhsa_user_sgpr_private_segment_size 0
		.amdhsa_wavefront_size32 1
		.amdhsa_uses_dynamic_stack 0
		.amdhsa_enable_private_segment 0
		.amdhsa_system_sgpr_workgroup_id_x 1
		.amdhsa_system_sgpr_workgroup_id_y 0
		.amdhsa_system_sgpr_workgroup_id_z 0
		.amdhsa_system_sgpr_workgroup_info 0
		.amdhsa_system_vgpr_workitem_id 0
		.amdhsa_next_free_vgpr 1
		.amdhsa_next_free_sgpr 1
		.amdhsa_named_barrier_count 0
		.amdhsa_reserve_vcc 0
		.amdhsa_float_round_mode_32 0
		.amdhsa_float_round_mode_16_64 0
		.amdhsa_float_denorm_mode_32 3
		.amdhsa_float_denorm_mode_16_64 3
		.amdhsa_fp16_overflow 0
		.amdhsa_memory_ordered 1
		.amdhsa_forward_progress 1
		.amdhsa_inst_pref_size 0
		.amdhsa_round_robin_scheduling 0
		.amdhsa_exception_fp_ieee_invalid_op 0
		.amdhsa_exception_fp_denorm_src 0
		.amdhsa_exception_fp_ieee_div_zero 0
		.amdhsa_exception_fp_ieee_overflow 0
		.amdhsa_exception_fp_ieee_underflow 0
		.amdhsa_exception_fp_ieee_inexact 0
		.amdhsa_exception_int_div_zero 0
	.end_amdhsa_kernel
	.section	.text._ZN7rocprim17ROCPRIM_400000_NS6detail17trampoline_kernelINS0_14default_configENS1_27scan_by_key_config_selectorIiyEEZZNS1_16scan_by_key_implILNS1_25lookback_scan_determinismE0ELb0ES3_N6thrust23THRUST_200600_302600_NS6detail15normal_iteratorINS9_10device_ptrIiEEEENSB_INSC_IyEEEESG_yNS9_4plusIvEENS9_8equal_toIvEEyEE10hipError_tPvRmT2_T3_T4_T5_mT6_T7_P12ihipStream_tbENKUlT_T0_E_clISt17integral_constantIbLb0EES10_IbLb1EEEEDaSW_SX_EUlSW_E_NS1_11comp_targetILNS1_3genE10ELNS1_11target_archE1200ELNS1_3gpuE4ELNS1_3repE0EEENS1_30default_config_static_selectorELNS0_4arch9wavefront6targetE0EEEvT1_,"axG",@progbits,_ZN7rocprim17ROCPRIM_400000_NS6detail17trampoline_kernelINS0_14default_configENS1_27scan_by_key_config_selectorIiyEEZZNS1_16scan_by_key_implILNS1_25lookback_scan_determinismE0ELb0ES3_N6thrust23THRUST_200600_302600_NS6detail15normal_iteratorINS9_10device_ptrIiEEEENSB_INSC_IyEEEESG_yNS9_4plusIvEENS9_8equal_toIvEEyEE10hipError_tPvRmT2_T3_T4_T5_mT6_T7_P12ihipStream_tbENKUlT_T0_E_clISt17integral_constantIbLb0EES10_IbLb1EEEEDaSW_SX_EUlSW_E_NS1_11comp_targetILNS1_3genE10ELNS1_11target_archE1200ELNS1_3gpuE4ELNS1_3repE0EEENS1_30default_config_static_selectorELNS0_4arch9wavefront6targetE0EEEvT1_,comdat
.Lfunc_end1215:
	.size	_ZN7rocprim17ROCPRIM_400000_NS6detail17trampoline_kernelINS0_14default_configENS1_27scan_by_key_config_selectorIiyEEZZNS1_16scan_by_key_implILNS1_25lookback_scan_determinismE0ELb0ES3_N6thrust23THRUST_200600_302600_NS6detail15normal_iteratorINS9_10device_ptrIiEEEENSB_INSC_IyEEEESG_yNS9_4plusIvEENS9_8equal_toIvEEyEE10hipError_tPvRmT2_T3_T4_T5_mT6_T7_P12ihipStream_tbENKUlT_T0_E_clISt17integral_constantIbLb0EES10_IbLb1EEEEDaSW_SX_EUlSW_E_NS1_11comp_targetILNS1_3genE10ELNS1_11target_archE1200ELNS1_3gpuE4ELNS1_3repE0EEENS1_30default_config_static_selectorELNS0_4arch9wavefront6targetE0EEEvT1_, .Lfunc_end1215-_ZN7rocprim17ROCPRIM_400000_NS6detail17trampoline_kernelINS0_14default_configENS1_27scan_by_key_config_selectorIiyEEZZNS1_16scan_by_key_implILNS1_25lookback_scan_determinismE0ELb0ES3_N6thrust23THRUST_200600_302600_NS6detail15normal_iteratorINS9_10device_ptrIiEEEENSB_INSC_IyEEEESG_yNS9_4plusIvEENS9_8equal_toIvEEyEE10hipError_tPvRmT2_T3_T4_T5_mT6_T7_P12ihipStream_tbENKUlT_T0_E_clISt17integral_constantIbLb0EES10_IbLb1EEEEDaSW_SX_EUlSW_E_NS1_11comp_targetILNS1_3genE10ELNS1_11target_archE1200ELNS1_3gpuE4ELNS1_3repE0EEENS1_30default_config_static_selectorELNS0_4arch9wavefront6targetE0EEEvT1_
                                        ; -- End function
	.set _ZN7rocprim17ROCPRIM_400000_NS6detail17trampoline_kernelINS0_14default_configENS1_27scan_by_key_config_selectorIiyEEZZNS1_16scan_by_key_implILNS1_25lookback_scan_determinismE0ELb0ES3_N6thrust23THRUST_200600_302600_NS6detail15normal_iteratorINS9_10device_ptrIiEEEENSB_INSC_IyEEEESG_yNS9_4plusIvEENS9_8equal_toIvEEyEE10hipError_tPvRmT2_T3_T4_T5_mT6_T7_P12ihipStream_tbENKUlT_T0_E_clISt17integral_constantIbLb0EES10_IbLb1EEEEDaSW_SX_EUlSW_E_NS1_11comp_targetILNS1_3genE10ELNS1_11target_archE1200ELNS1_3gpuE4ELNS1_3repE0EEENS1_30default_config_static_selectorELNS0_4arch9wavefront6targetE0EEEvT1_.num_vgpr, 0
	.set _ZN7rocprim17ROCPRIM_400000_NS6detail17trampoline_kernelINS0_14default_configENS1_27scan_by_key_config_selectorIiyEEZZNS1_16scan_by_key_implILNS1_25lookback_scan_determinismE0ELb0ES3_N6thrust23THRUST_200600_302600_NS6detail15normal_iteratorINS9_10device_ptrIiEEEENSB_INSC_IyEEEESG_yNS9_4plusIvEENS9_8equal_toIvEEyEE10hipError_tPvRmT2_T3_T4_T5_mT6_T7_P12ihipStream_tbENKUlT_T0_E_clISt17integral_constantIbLb0EES10_IbLb1EEEEDaSW_SX_EUlSW_E_NS1_11comp_targetILNS1_3genE10ELNS1_11target_archE1200ELNS1_3gpuE4ELNS1_3repE0EEENS1_30default_config_static_selectorELNS0_4arch9wavefront6targetE0EEEvT1_.num_agpr, 0
	.set _ZN7rocprim17ROCPRIM_400000_NS6detail17trampoline_kernelINS0_14default_configENS1_27scan_by_key_config_selectorIiyEEZZNS1_16scan_by_key_implILNS1_25lookback_scan_determinismE0ELb0ES3_N6thrust23THRUST_200600_302600_NS6detail15normal_iteratorINS9_10device_ptrIiEEEENSB_INSC_IyEEEESG_yNS9_4plusIvEENS9_8equal_toIvEEyEE10hipError_tPvRmT2_T3_T4_T5_mT6_T7_P12ihipStream_tbENKUlT_T0_E_clISt17integral_constantIbLb0EES10_IbLb1EEEEDaSW_SX_EUlSW_E_NS1_11comp_targetILNS1_3genE10ELNS1_11target_archE1200ELNS1_3gpuE4ELNS1_3repE0EEENS1_30default_config_static_selectorELNS0_4arch9wavefront6targetE0EEEvT1_.numbered_sgpr, 0
	.set _ZN7rocprim17ROCPRIM_400000_NS6detail17trampoline_kernelINS0_14default_configENS1_27scan_by_key_config_selectorIiyEEZZNS1_16scan_by_key_implILNS1_25lookback_scan_determinismE0ELb0ES3_N6thrust23THRUST_200600_302600_NS6detail15normal_iteratorINS9_10device_ptrIiEEEENSB_INSC_IyEEEESG_yNS9_4plusIvEENS9_8equal_toIvEEyEE10hipError_tPvRmT2_T3_T4_T5_mT6_T7_P12ihipStream_tbENKUlT_T0_E_clISt17integral_constantIbLb0EES10_IbLb1EEEEDaSW_SX_EUlSW_E_NS1_11comp_targetILNS1_3genE10ELNS1_11target_archE1200ELNS1_3gpuE4ELNS1_3repE0EEENS1_30default_config_static_selectorELNS0_4arch9wavefront6targetE0EEEvT1_.num_named_barrier, 0
	.set _ZN7rocprim17ROCPRIM_400000_NS6detail17trampoline_kernelINS0_14default_configENS1_27scan_by_key_config_selectorIiyEEZZNS1_16scan_by_key_implILNS1_25lookback_scan_determinismE0ELb0ES3_N6thrust23THRUST_200600_302600_NS6detail15normal_iteratorINS9_10device_ptrIiEEEENSB_INSC_IyEEEESG_yNS9_4plusIvEENS9_8equal_toIvEEyEE10hipError_tPvRmT2_T3_T4_T5_mT6_T7_P12ihipStream_tbENKUlT_T0_E_clISt17integral_constantIbLb0EES10_IbLb1EEEEDaSW_SX_EUlSW_E_NS1_11comp_targetILNS1_3genE10ELNS1_11target_archE1200ELNS1_3gpuE4ELNS1_3repE0EEENS1_30default_config_static_selectorELNS0_4arch9wavefront6targetE0EEEvT1_.private_seg_size, 0
	.set _ZN7rocprim17ROCPRIM_400000_NS6detail17trampoline_kernelINS0_14default_configENS1_27scan_by_key_config_selectorIiyEEZZNS1_16scan_by_key_implILNS1_25lookback_scan_determinismE0ELb0ES3_N6thrust23THRUST_200600_302600_NS6detail15normal_iteratorINS9_10device_ptrIiEEEENSB_INSC_IyEEEESG_yNS9_4plusIvEENS9_8equal_toIvEEyEE10hipError_tPvRmT2_T3_T4_T5_mT6_T7_P12ihipStream_tbENKUlT_T0_E_clISt17integral_constantIbLb0EES10_IbLb1EEEEDaSW_SX_EUlSW_E_NS1_11comp_targetILNS1_3genE10ELNS1_11target_archE1200ELNS1_3gpuE4ELNS1_3repE0EEENS1_30default_config_static_selectorELNS0_4arch9wavefront6targetE0EEEvT1_.uses_vcc, 0
	.set _ZN7rocprim17ROCPRIM_400000_NS6detail17trampoline_kernelINS0_14default_configENS1_27scan_by_key_config_selectorIiyEEZZNS1_16scan_by_key_implILNS1_25lookback_scan_determinismE0ELb0ES3_N6thrust23THRUST_200600_302600_NS6detail15normal_iteratorINS9_10device_ptrIiEEEENSB_INSC_IyEEEESG_yNS9_4plusIvEENS9_8equal_toIvEEyEE10hipError_tPvRmT2_T3_T4_T5_mT6_T7_P12ihipStream_tbENKUlT_T0_E_clISt17integral_constantIbLb0EES10_IbLb1EEEEDaSW_SX_EUlSW_E_NS1_11comp_targetILNS1_3genE10ELNS1_11target_archE1200ELNS1_3gpuE4ELNS1_3repE0EEENS1_30default_config_static_selectorELNS0_4arch9wavefront6targetE0EEEvT1_.uses_flat_scratch, 0
	.set _ZN7rocprim17ROCPRIM_400000_NS6detail17trampoline_kernelINS0_14default_configENS1_27scan_by_key_config_selectorIiyEEZZNS1_16scan_by_key_implILNS1_25lookback_scan_determinismE0ELb0ES3_N6thrust23THRUST_200600_302600_NS6detail15normal_iteratorINS9_10device_ptrIiEEEENSB_INSC_IyEEEESG_yNS9_4plusIvEENS9_8equal_toIvEEyEE10hipError_tPvRmT2_T3_T4_T5_mT6_T7_P12ihipStream_tbENKUlT_T0_E_clISt17integral_constantIbLb0EES10_IbLb1EEEEDaSW_SX_EUlSW_E_NS1_11comp_targetILNS1_3genE10ELNS1_11target_archE1200ELNS1_3gpuE4ELNS1_3repE0EEENS1_30default_config_static_selectorELNS0_4arch9wavefront6targetE0EEEvT1_.has_dyn_sized_stack, 0
	.set _ZN7rocprim17ROCPRIM_400000_NS6detail17trampoline_kernelINS0_14default_configENS1_27scan_by_key_config_selectorIiyEEZZNS1_16scan_by_key_implILNS1_25lookback_scan_determinismE0ELb0ES3_N6thrust23THRUST_200600_302600_NS6detail15normal_iteratorINS9_10device_ptrIiEEEENSB_INSC_IyEEEESG_yNS9_4plusIvEENS9_8equal_toIvEEyEE10hipError_tPvRmT2_T3_T4_T5_mT6_T7_P12ihipStream_tbENKUlT_T0_E_clISt17integral_constantIbLb0EES10_IbLb1EEEEDaSW_SX_EUlSW_E_NS1_11comp_targetILNS1_3genE10ELNS1_11target_archE1200ELNS1_3gpuE4ELNS1_3repE0EEENS1_30default_config_static_selectorELNS0_4arch9wavefront6targetE0EEEvT1_.has_recursion, 0
	.set _ZN7rocprim17ROCPRIM_400000_NS6detail17trampoline_kernelINS0_14default_configENS1_27scan_by_key_config_selectorIiyEEZZNS1_16scan_by_key_implILNS1_25lookback_scan_determinismE0ELb0ES3_N6thrust23THRUST_200600_302600_NS6detail15normal_iteratorINS9_10device_ptrIiEEEENSB_INSC_IyEEEESG_yNS9_4plusIvEENS9_8equal_toIvEEyEE10hipError_tPvRmT2_T3_T4_T5_mT6_T7_P12ihipStream_tbENKUlT_T0_E_clISt17integral_constantIbLb0EES10_IbLb1EEEEDaSW_SX_EUlSW_E_NS1_11comp_targetILNS1_3genE10ELNS1_11target_archE1200ELNS1_3gpuE4ELNS1_3repE0EEENS1_30default_config_static_selectorELNS0_4arch9wavefront6targetE0EEEvT1_.has_indirect_call, 0
	.section	.AMDGPU.csdata,"",@progbits
; Kernel info:
; codeLenInByte = 0
; TotalNumSgprs: 0
; NumVgprs: 0
; ScratchSize: 0
; MemoryBound: 0
; FloatMode: 240
; IeeeMode: 1
; LDSByteSize: 0 bytes/workgroup (compile time only)
; SGPRBlocks: 0
; VGPRBlocks: 0
; NumSGPRsForWavesPerEU: 1
; NumVGPRsForWavesPerEU: 1
; NamedBarCnt: 0
; Occupancy: 16
; WaveLimiterHint : 0
; COMPUTE_PGM_RSRC2:SCRATCH_EN: 0
; COMPUTE_PGM_RSRC2:USER_SGPR: 2
; COMPUTE_PGM_RSRC2:TRAP_HANDLER: 0
; COMPUTE_PGM_RSRC2:TGID_X_EN: 1
; COMPUTE_PGM_RSRC2:TGID_Y_EN: 0
; COMPUTE_PGM_RSRC2:TGID_Z_EN: 0
; COMPUTE_PGM_RSRC2:TIDIG_COMP_CNT: 0
	.section	.text._ZN7rocprim17ROCPRIM_400000_NS6detail17trampoline_kernelINS0_14default_configENS1_27scan_by_key_config_selectorIiyEEZZNS1_16scan_by_key_implILNS1_25lookback_scan_determinismE0ELb0ES3_N6thrust23THRUST_200600_302600_NS6detail15normal_iteratorINS9_10device_ptrIiEEEENSB_INSC_IyEEEESG_yNS9_4plusIvEENS9_8equal_toIvEEyEE10hipError_tPvRmT2_T3_T4_T5_mT6_T7_P12ihipStream_tbENKUlT_T0_E_clISt17integral_constantIbLb0EES10_IbLb1EEEEDaSW_SX_EUlSW_E_NS1_11comp_targetILNS1_3genE9ELNS1_11target_archE1100ELNS1_3gpuE3ELNS1_3repE0EEENS1_30default_config_static_selectorELNS0_4arch9wavefront6targetE0EEEvT1_,"axG",@progbits,_ZN7rocprim17ROCPRIM_400000_NS6detail17trampoline_kernelINS0_14default_configENS1_27scan_by_key_config_selectorIiyEEZZNS1_16scan_by_key_implILNS1_25lookback_scan_determinismE0ELb0ES3_N6thrust23THRUST_200600_302600_NS6detail15normal_iteratorINS9_10device_ptrIiEEEENSB_INSC_IyEEEESG_yNS9_4plusIvEENS9_8equal_toIvEEyEE10hipError_tPvRmT2_T3_T4_T5_mT6_T7_P12ihipStream_tbENKUlT_T0_E_clISt17integral_constantIbLb0EES10_IbLb1EEEEDaSW_SX_EUlSW_E_NS1_11comp_targetILNS1_3genE9ELNS1_11target_archE1100ELNS1_3gpuE3ELNS1_3repE0EEENS1_30default_config_static_selectorELNS0_4arch9wavefront6targetE0EEEvT1_,comdat
	.protected	_ZN7rocprim17ROCPRIM_400000_NS6detail17trampoline_kernelINS0_14default_configENS1_27scan_by_key_config_selectorIiyEEZZNS1_16scan_by_key_implILNS1_25lookback_scan_determinismE0ELb0ES3_N6thrust23THRUST_200600_302600_NS6detail15normal_iteratorINS9_10device_ptrIiEEEENSB_INSC_IyEEEESG_yNS9_4plusIvEENS9_8equal_toIvEEyEE10hipError_tPvRmT2_T3_T4_T5_mT6_T7_P12ihipStream_tbENKUlT_T0_E_clISt17integral_constantIbLb0EES10_IbLb1EEEEDaSW_SX_EUlSW_E_NS1_11comp_targetILNS1_3genE9ELNS1_11target_archE1100ELNS1_3gpuE3ELNS1_3repE0EEENS1_30default_config_static_selectorELNS0_4arch9wavefront6targetE0EEEvT1_ ; -- Begin function _ZN7rocprim17ROCPRIM_400000_NS6detail17trampoline_kernelINS0_14default_configENS1_27scan_by_key_config_selectorIiyEEZZNS1_16scan_by_key_implILNS1_25lookback_scan_determinismE0ELb0ES3_N6thrust23THRUST_200600_302600_NS6detail15normal_iteratorINS9_10device_ptrIiEEEENSB_INSC_IyEEEESG_yNS9_4plusIvEENS9_8equal_toIvEEyEE10hipError_tPvRmT2_T3_T4_T5_mT6_T7_P12ihipStream_tbENKUlT_T0_E_clISt17integral_constantIbLb0EES10_IbLb1EEEEDaSW_SX_EUlSW_E_NS1_11comp_targetILNS1_3genE9ELNS1_11target_archE1100ELNS1_3gpuE3ELNS1_3repE0EEENS1_30default_config_static_selectorELNS0_4arch9wavefront6targetE0EEEvT1_
	.globl	_ZN7rocprim17ROCPRIM_400000_NS6detail17trampoline_kernelINS0_14default_configENS1_27scan_by_key_config_selectorIiyEEZZNS1_16scan_by_key_implILNS1_25lookback_scan_determinismE0ELb0ES3_N6thrust23THRUST_200600_302600_NS6detail15normal_iteratorINS9_10device_ptrIiEEEENSB_INSC_IyEEEESG_yNS9_4plusIvEENS9_8equal_toIvEEyEE10hipError_tPvRmT2_T3_T4_T5_mT6_T7_P12ihipStream_tbENKUlT_T0_E_clISt17integral_constantIbLb0EES10_IbLb1EEEEDaSW_SX_EUlSW_E_NS1_11comp_targetILNS1_3genE9ELNS1_11target_archE1100ELNS1_3gpuE3ELNS1_3repE0EEENS1_30default_config_static_selectorELNS0_4arch9wavefront6targetE0EEEvT1_
	.p2align	8
	.type	_ZN7rocprim17ROCPRIM_400000_NS6detail17trampoline_kernelINS0_14default_configENS1_27scan_by_key_config_selectorIiyEEZZNS1_16scan_by_key_implILNS1_25lookback_scan_determinismE0ELb0ES3_N6thrust23THRUST_200600_302600_NS6detail15normal_iteratorINS9_10device_ptrIiEEEENSB_INSC_IyEEEESG_yNS9_4plusIvEENS9_8equal_toIvEEyEE10hipError_tPvRmT2_T3_T4_T5_mT6_T7_P12ihipStream_tbENKUlT_T0_E_clISt17integral_constantIbLb0EES10_IbLb1EEEEDaSW_SX_EUlSW_E_NS1_11comp_targetILNS1_3genE9ELNS1_11target_archE1100ELNS1_3gpuE3ELNS1_3repE0EEENS1_30default_config_static_selectorELNS0_4arch9wavefront6targetE0EEEvT1_,@function
_ZN7rocprim17ROCPRIM_400000_NS6detail17trampoline_kernelINS0_14default_configENS1_27scan_by_key_config_selectorIiyEEZZNS1_16scan_by_key_implILNS1_25lookback_scan_determinismE0ELb0ES3_N6thrust23THRUST_200600_302600_NS6detail15normal_iteratorINS9_10device_ptrIiEEEENSB_INSC_IyEEEESG_yNS9_4plusIvEENS9_8equal_toIvEEyEE10hipError_tPvRmT2_T3_T4_T5_mT6_T7_P12ihipStream_tbENKUlT_T0_E_clISt17integral_constantIbLb0EES10_IbLb1EEEEDaSW_SX_EUlSW_E_NS1_11comp_targetILNS1_3genE9ELNS1_11target_archE1100ELNS1_3gpuE3ELNS1_3repE0EEENS1_30default_config_static_selectorELNS0_4arch9wavefront6targetE0EEEvT1_: ; @_ZN7rocprim17ROCPRIM_400000_NS6detail17trampoline_kernelINS0_14default_configENS1_27scan_by_key_config_selectorIiyEEZZNS1_16scan_by_key_implILNS1_25lookback_scan_determinismE0ELb0ES3_N6thrust23THRUST_200600_302600_NS6detail15normal_iteratorINS9_10device_ptrIiEEEENSB_INSC_IyEEEESG_yNS9_4plusIvEENS9_8equal_toIvEEyEE10hipError_tPvRmT2_T3_T4_T5_mT6_T7_P12ihipStream_tbENKUlT_T0_E_clISt17integral_constantIbLb0EES10_IbLb1EEEEDaSW_SX_EUlSW_E_NS1_11comp_targetILNS1_3genE9ELNS1_11target_archE1100ELNS1_3gpuE3ELNS1_3repE0EEENS1_30default_config_static_selectorELNS0_4arch9wavefront6targetE0EEEvT1_
; %bb.0:
	.section	.rodata,"a",@progbits
	.p2align	6, 0x0
	.amdhsa_kernel _ZN7rocprim17ROCPRIM_400000_NS6detail17trampoline_kernelINS0_14default_configENS1_27scan_by_key_config_selectorIiyEEZZNS1_16scan_by_key_implILNS1_25lookback_scan_determinismE0ELb0ES3_N6thrust23THRUST_200600_302600_NS6detail15normal_iteratorINS9_10device_ptrIiEEEENSB_INSC_IyEEEESG_yNS9_4plusIvEENS9_8equal_toIvEEyEE10hipError_tPvRmT2_T3_T4_T5_mT6_T7_P12ihipStream_tbENKUlT_T0_E_clISt17integral_constantIbLb0EES10_IbLb1EEEEDaSW_SX_EUlSW_E_NS1_11comp_targetILNS1_3genE9ELNS1_11target_archE1100ELNS1_3gpuE3ELNS1_3repE0EEENS1_30default_config_static_selectorELNS0_4arch9wavefront6targetE0EEEvT1_
		.amdhsa_group_segment_fixed_size 0
		.amdhsa_private_segment_fixed_size 0
		.amdhsa_kernarg_size 136
		.amdhsa_user_sgpr_count 2
		.amdhsa_user_sgpr_dispatch_ptr 0
		.amdhsa_user_sgpr_queue_ptr 0
		.amdhsa_user_sgpr_kernarg_segment_ptr 1
		.amdhsa_user_sgpr_dispatch_id 0
		.amdhsa_user_sgpr_kernarg_preload_length 0
		.amdhsa_user_sgpr_kernarg_preload_offset 0
		.amdhsa_user_sgpr_private_segment_size 0
		.amdhsa_wavefront_size32 1
		.amdhsa_uses_dynamic_stack 0
		.amdhsa_enable_private_segment 0
		.amdhsa_system_sgpr_workgroup_id_x 1
		.amdhsa_system_sgpr_workgroup_id_y 0
		.amdhsa_system_sgpr_workgroup_id_z 0
		.amdhsa_system_sgpr_workgroup_info 0
		.amdhsa_system_vgpr_workitem_id 0
		.amdhsa_next_free_vgpr 1
		.amdhsa_next_free_sgpr 1
		.amdhsa_named_barrier_count 0
		.amdhsa_reserve_vcc 0
		.amdhsa_float_round_mode_32 0
		.amdhsa_float_round_mode_16_64 0
		.amdhsa_float_denorm_mode_32 3
		.amdhsa_float_denorm_mode_16_64 3
		.amdhsa_fp16_overflow 0
		.amdhsa_memory_ordered 1
		.amdhsa_forward_progress 1
		.amdhsa_inst_pref_size 0
		.amdhsa_round_robin_scheduling 0
		.amdhsa_exception_fp_ieee_invalid_op 0
		.amdhsa_exception_fp_denorm_src 0
		.amdhsa_exception_fp_ieee_div_zero 0
		.amdhsa_exception_fp_ieee_overflow 0
		.amdhsa_exception_fp_ieee_underflow 0
		.amdhsa_exception_fp_ieee_inexact 0
		.amdhsa_exception_int_div_zero 0
	.end_amdhsa_kernel
	.section	.text._ZN7rocprim17ROCPRIM_400000_NS6detail17trampoline_kernelINS0_14default_configENS1_27scan_by_key_config_selectorIiyEEZZNS1_16scan_by_key_implILNS1_25lookback_scan_determinismE0ELb0ES3_N6thrust23THRUST_200600_302600_NS6detail15normal_iteratorINS9_10device_ptrIiEEEENSB_INSC_IyEEEESG_yNS9_4plusIvEENS9_8equal_toIvEEyEE10hipError_tPvRmT2_T3_T4_T5_mT6_T7_P12ihipStream_tbENKUlT_T0_E_clISt17integral_constantIbLb0EES10_IbLb1EEEEDaSW_SX_EUlSW_E_NS1_11comp_targetILNS1_3genE9ELNS1_11target_archE1100ELNS1_3gpuE3ELNS1_3repE0EEENS1_30default_config_static_selectorELNS0_4arch9wavefront6targetE0EEEvT1_,"axG",@progbits,_ZN7rocprim17ROCPRIM_400000_NS6detail17trampoline_kernelINS0_14default_configENS1_27scan_by_key_config_selectorIiyEEZZNS1_16scan_by_key_implILNS1_25lookback_scan_determinismE0ELb0ES3_N6thrust23THRUST_200600_302600_NS6detail15normal_iteratorINS9_10device_ptrIiEEEENSB_INSC_IyEEEESG_yNS9_4plusIvEENS9_8equal_toIvEEyEE10hipError_tPvRmT2_T3_T4_T5_mT6_T7_P12ihipStream_tbENKUlT_T0_E_clISt17integral_constantIbLb0EES10_IbLb1EEEEDaSW_SX_EUlSW_E_NS1_11comp_targetILNS1_3genE9ELNS1_11target_archE1100ELNS1_3gpuE3ELNS1_3repE0EEENS1_30default_config_static_selectorELNS0_4arch9wavefront6targetE0EEEvT1_,comdat
.Lfunc_end1216:
	.size	_ZN7rocprim17ROCPRIM_400000_NS6detail17trampoline_kernelINS0_14default_configENS1_27scan_by_key_config_selectorIiyEEZZNS1_16scan_by_key_implILNS1_25lookback_scan_determinismE0ELb0ES3_N6thrust23THRUST_200600_302600_NS6detail15normal_iteratorINS9_10device_ptrIiEEEENSB_INSC_IyEEEESG_yNS9_4plusIvEENS9_8equal_toIvEEyEE10hipError_tPvRmT2_T3_T4_T5_mT6_T7_P12ihipStream_tbENKUlT_T0_E_clISt17integral_constantIbLb0EES10_IbLb1EEEEDaSW_SX_EUlSW_E_NS1_11comp_targetILNS1_3genE9ELNS1_11target_archE1100ELNS1_3gpuE3ELNS1_3repE0EEENS1_30default_config_static_selectorELNS0_4arch9wavefront6targetE0EEEvT1_, .Lfunc_end1216-_ZN7rocprim17ROCPRIM_400000_NS6detail17trampoline_kernelINS0_14default_configENS1_27scan_by_key_config_selectorIiyEEZZNS1_16scan_by_key_implILNS1_25lookback_scan_determinismE0ELb0ES3_N6thrust23THRUST_200600_302600_NS6detail15normal_iteratorINS9_10device_ptrIiEEEENSB_INSC_IyEEEESG_yNS9_4plusIvEENS9_8equal_toIvEEyEE10hipError_tPvRmT2_T3_T4_T5_mT6_T7_P12ihipStream_tbENKUlT_T0_E_clISt17integral_constantIbLb0EES10_IbLb1EEEEDaSW_SX_EUlSW_E_NS1_11comp_targetILNS1_3genE9ELNS1_11target_archE1100ELNS1_3gpuE3ELNS1_3repE0EEENS1_30default_config_static_selectorELNS0_4arch9wavefront6targetE0EEEvT1_
                                        ; -- End function
	.set _ZN7rocprim17ROCPRIM_400000_NS6detail17trampoline_kernelINS0_14default_configENS1_27scan_by_key_config_selectorIiyEEZZNS1_16scan_by_key_implILNS1_25lookback_scan_determinismE0ELb0ES3_N6thrust23THRUST_200600_302600_NS6detail15normal_iteratorINS9_10device_ptrIiEEEENSB_INSC_IyEEEESG_yNS9_4plusIvEENS9_8equal_toIvEEyEE10hipError_tPvRmT2_T3_T4_T5_mT6_T7_P12ihipStream_tbENKUlT_T0_E_clISt17integral_constantIbLb0EES10_IbLb1EEEEDaSW_SX_EUlSW_E_NS1_11comp_targetILNS1_3genE9ELNS1_11target_archE1100ELNS1_3gpuE3ELNS1_3repE0EEENS1_30default_config_static_selectorELNS0_4arch9wavefront6targetE0EEEvT1_.num_vgpr, 0
	.set _ZN7rocprim17ROCPRIM_400000_NS6detail17trampoline_kernelINS0_14default_configENS1_27scan_by_key_config_selectorIiyEEZZNS1_16scan_by_key_implILNS1_25lookback_scan_determinismE0ELb0ES3_N6thrust23THRUST_200600_302600_NS6detail15normal_iteratorINS9_10device_ptrIiEEEENSB_INSC_IyEEEESG_yNS9_4plusIvEENS9_8equal_toIvEEyEE10hipError_tPvRmT2_T3_T4_T5_mT6_T7_P12ihipStream_tbENKUlT_T0_E_clISt17integral_constantIbLb0EES10_IbLb1EEEEDaSW_SX_EUlSW_E_NS1_11comp_targetILNS1_3genE9ELNS1_11target_archE1100ELNS1_3gpuE3ELNS1_3repE0EEENS1_30default_config_static_selectorELNS0_4arch9wavefront6targetE0EEEvT1_.num_agpr, 0
	.set _ZN7rocprim17ROCPRIM_400000_NS6detail17trampoline_kernelINS0_14default_configENS1_27scan_by_key_config_selectorIiyEEZZNS1_16scan_by_key_implILNS1_25lookback_scan_determinismE0ELb0ES3_N6thrust23THRUST_200600_302600_NS6detail15normal_iteratorINS9_10device_ptrIiEEEENSB_INSC_IyEEEESG_yNS9_4plusIvEENS9_8equal_toIvEEyEE10hipError_tPvRmT2_T3_T4_T5_mT6_T7_P12ihipStream_tbENKUlT_T0_E_clISt17integral_constantIbLb0EES10_IbLb1EEEEDaSW_SX_EUlSW_E_NS1_11comp_targetILNS1_3genE9ELNS1_11target_archE1100ELNS1_3gpuE3ELNS1_3repE0EEENS1_30default_config_static_selectorELNS0_4arch9wavefront6targetE0EEEvT1_.numbered_sgpr, 0
	.set _ZN7rocprim17ROCPRIM_400000_NS6detail17trampoline_kernelINS0_14default_configENS1_27scan_by_key_config_selectorIiyEEZZNS1_16scan_by_key_implILNS1_25lookback_scan_determinismE0ELb0ES3_N6thrust23THRUST_200600_302600_NS6detail15normal_iteratorINS9_10device_ptrIiEEEENSB_INSC_IyEEEESG_yNS9_4plusIvEENS9_8equal_toIvEEyEE10hipError_tPvRmT2_T3_T4_T5_mT6_T7_P12ihipStream_tbENKUlT_T0_E_clISt17integral_constantIbLb0EES10_IbLb1EEEEDaSW_SX_EUlSW_E_NS1_11comp_targetILNS1_3genE9ELNS1_11target_archE1100ELNS1_3gpuE3ELNS1_3repE0EEENS1_30default_config_static_selectorELNS0_4arch9wavefront6targetE0EEEvT1_.num_named_barrier, 0
	.set _ZN7rocprim17ROCPRIM_400000_NS6detail17trampoline_kernelINS0_14default_configENS1_27scan_by_key_config_selectorIiyEEZZNS1_16scan_by_key_implILNS1_25lookback_scan_determinismE0ELb0ES3_N6thrust23THRUST_200600_302600_NS6detail15normal_iteratorINS9_10device_ptrIiEEEENSB_INSC_IyEEEESG_yNS9_4plusIvEENS9_8equal_toIvEEyEE10hipError_tPvRmT2_T3_T4_T5_mT6_T7_P12ihipStream_tbENKUlT_T0_E_clISt17integral_constantIbLb0EES10_IbLb1EEEEDaSW_SX_EUlSW_E_NS1_11comp_targetILNS1_3genE9ELNS1_11target_archE1100ELNS1_3gpuE3ELNS1_3repE0EEENS1_30default_config_static_selectorELNS0_4arch9wavefront6targetE0EEEvT1_.private_seg_size, 0
	.set _ZN7rocprim17ROCPRIM_400000_NS6detail17trampoline_kernelINS0_14default_configENS1_27scan_by_key_config_selectorIiyEEZZNS1_16scan_by_key_implILNS1_25lookback_scan_determinismE0ELb0ES3_N6thrust23THRUST_200600_302600_NS6detail15normal_iteratorINS9_10device_ptrIiEEEENSB_INSC_IyEEEESG_yNS9_4plusIvEENS9_8equal_toIvEEyEE10hipError_tPvRmT2_T3_T4_T5_mT6_T7_P12ihipStream_tbENKUlT_T0_E_clISt17integral_constantIbLb0EES10_IbLb1EEEEDaSW_SX_EUlSW_E_NS1_11comp_targetILNS1_3genE9ELNS1_11target_archE1100ELNS1_3gpuE3ELNS1_3repE0EEENS1_30default_config_static_selectorELNS0_4arch9wavefront6targetE0EEEvT1_.uses_vcc, 0
	.set _ZN7rocprim17ROCPRIM_400000_NS6detail17trampoline_kernelINS0_14default_configENS1_27scan_by_key_config_selectorIiyEEZZNS1_16scan_by_key_implILNS1_25lookback_scan_determinismE0ELb0ES3_N6thrust23THRUST_200600_302600_NS6detail15normal_iteratorINS9_10device_ptrIiEEEENSB_INSC_IyEEEESG_yNS9_4plusIvEENS9_8equal_toIvEEyEE10hipError_tPvRmT2_T3_T4_T5_mT6_T7_P12ihipStream_tbENKUlT_T0_E_clISt17integral_constantIbLb0EES10_IbLb1EEEEDaSW_SX_EUlSW_E_NS1_11comp_targetILNS1_3genE9ELNS1_11target_archE1100ELNS1_3gpuE3ELNS1_3repE0EEENS1_30default_config_static_selectorELNS0_4arch9wavefront6targetE0EEEvT1_.uses_flat_scratch, 0
	.set _ZN7rocprim17ROCPRIM_400000_NS6detail17trampoline_kernelINS0_14default_configENS1_27scan_by_key_config_selectorIiyEEZZNS1_16scan_by_key_implILNS1_25lookback_scan_determinismE0ELb0ES3_N6thrust23THRUST_200600_302600_NS6detail15normal_iteratorINS9_10device_ptrIiEEEENSB_INSC_IyEEEESG_yNS9_4plusIvEENS9_8equal_toIvEEyEE10hipError_tPvRmT2_T3_T4_T5_mT6_T7_P12ihipStream_tbENKUlT_T0_E_clISt17integral_constantIbLb0EES10_IbLb1EEEEDaSW_SX_EUlSW_E_NS1_11comp_targetILNS1_3genE9ELNS1_11target_archE1100ELNS1_3gpuE3ELNS1_3repE0EEENS1_30default_config_static_selectorELNS0_4arch9wavefront6targetE0EEEvT1_.has_dyn_sized_stack, 0
	.set _ZN7rocprim17ROCPRIM_400000_NS6detail17trampoline_kernelINS0_14default_configENS1_27scan_by_key_config_selectorIiyEEZZNS1_16scan_by_key_implILNS1_25lookback_scan_determinismE0ELb0ES3_N6thrust23THRUST_200600_302600_NS6detail15normal_iteratorINS9_10device_ptrIiEEEENSB_INSC_IyEEEESG_yNS9_4plusIvEENS9_8equal_toIvEEyEE10hipError_tPvRmT2_T3_T4_T5_mT6_T7_P12ihipStream_tbENKUlT_T0_E_clISt17integral_constantIbLb0EES10_IbLb1EEEEDaSW_SX_EUlSW_E_NS1_11comp_targetILNS1_3genE9ELNS1_11target_archE1100ELNS1_3gpuE3ELNS1_3repE0EEENS1_30default_config_static_selectorELNS0_4arch9wavefront6targetE0EEEvT1_.has_recursion, 0
	.set _ZN7rocprim17ROCPRIM_400000_NS6detail17trampoline_kernelINS0_14default_configENS1_27scan_by_key_config_selectorIiyEEZZNS1_16scan_by_key_implILNS1_25lookback_scan_determinismE0ELb0ES3_N6thrust23THRUST_200600_302600_NS6detail15normal_iteratorINS9_10device_ptrIiEEEENSB_INSC_IyEEEESG_yNS9_4plusIvEENS9_8equal_toIvEEyEE10hipError_tPvRmT2_T3_T4_T5_mT6_T7_P12ihipStream_tbENKUlT_T0_E_clISt17integral_constantIbLb0EES10_IbLb1EEEEDaSW_SX_EUlSW_E_NS1_11comp_targetILNS1_3genE9ELNS1_11target_archE1100ELNS1_3gpuE3ELNS1_3repE0EEENS1_30default_config_static_selectorELNS0_4arch9wavefront6targetE0EEEvT1_.has_indirect_call, 0
	.section	.AMDGPU.csdata,"",@progbits
; Kernel info:
; codeLenInByte = 0
; TotalNumSgprs: 0
; NumVgprs: 0
; ScratchSize: 0
; MemoryBound: 0
; FloatMode: 240
; IeeeMode: 1
; LDSByteSize: 0 bytes/workgroup (compile time only)
; SGPRBlocks: 0
; VGPRBlocks: 0
; NumSGPRsForWavesPerEU: 1
; NumVGPRsForWavesPerEU: 1
; NamedBarCnt: 0
; Occupancy: 16
; WaveLimiterHint : 0
; COMPUTE_PGM_RSRC2:SCRATCH_EN: 0
; COMPUTE_PGM_RSRC2:USER_SGPR: 2
; COMPUTE_PGM_RSRC2:TRAP_HANDLER: 0
; COMPUTE_PGM_RSRC2:TGID_X_EN: 1
; COMPUTE_PGM_RSRC2:TGID_Y_EN: 0
; COMPUTE_PGM_RSRC2:TGID_Z_EN: 0
; COMPUTE_PGM_RSRC2:TIDIG_COMP_CNT: 0
	.section	.text._ZN7rocprim17ROCPRIM_400000_NS6detail17trampoline_kernelINS0_14default_configENS1_27scan_by_key_config_selectorIiyEEZZNS1_16scan_by_key_implILNS1_25lookback_scan_determinismE0ELb0ES3_N6thrust23THRUST_200600_302600_NS6detail15normal_iteratorINS9_10device_ptrIiEEEENSB_INSC_IyEEEESG_yNS9_4plusIvEENS9_8equal_toIvEEyEE10hipError_tPvRmT2_T3_T4_T5_mT6_T7_P12ihipStream_tbENKUlT_T0_E_clISt17integral_constantIbLb0EES10_IbLb1EEEEDaSW_SX_EUlSW_E_NS1_11comp_targetILNS1_3genE8ELNS1_11target_archE1030ELNS1_3gpuE2ELNS1_3repE0EEENS1_30default_config_static_selectorELNS0_4arch9wavefront6targetE0EEEvT1_,"axG",@progbits,_ZN7rocprim17ROCPRIM_400000_NS6detail17trampoline_kernelINS0_14default_configENS1_27scan_by_key_config_selectorIiyEEZZNS1_16scan_by_key_implILNS1_25lookback_scan_determinismE0ELb0ES3_N6thrust23THRUST_200600_302600_NS6detail15normal_iteratorINS9_10device_ptrIiEEEENSB_INSC_IyEEEESG_yNS9_4plusIvEENS9_8equal_toIvEEyEE10hipError_tPvRmT2_T3_T4_T5_mT6_T7_P12ihipStream_tbENKUlT_T0_E_clISt17integral_constantIbLb0EES10_IbLb1EEEEDaSW_SX_EUlSW_E_NS1_11comp_targetILNS1_3genE8ELNS1_11target_archE1030ELNS1_3gpuE2ELNS1_3repE0EEENS1_30default_config_static_selectorELNS0_4arch9wavefront6targetE0EEEvT1_,comdat
	.protected	_ZN7rocprim17ROCPRIM_400000_NS6detail17trampoline_kernelINS0_14default_configENS1_27scan_by_key_config_selectorIiyEEZZNS1_16scan_by_key_implILNS1_25lookback_scan_determinismE0ELb0ES3_N6thrust23THRUST_200600_302600_NS6detail15normal_iteratorINS9_10device_ptrIiEEEENSB_INSC_IyEEEESG_yNS9_4plusIvEENS9_8equal_toIvEEyEE10hipError_tPvRmT2_T3_T4_T5_mT6_T7_P12ihipStream_tbENKUlT_T0_E_clISt17integral_constantIbLb0EES10_IbLb1EEEEDaSW_SX_EUlSW_E_NS1_11comp_targetILNS1_3genE8ELNS1_11target_archE1030ELNS1_3gpuE2ELNS1_3repE0EEENS1_30default_config_static_selectorELNS0_4arch9wavefront6targetE0EEEvT1_ ; -- Begin function _ZN7rocprim17ROCPRIM_400000_NS6detail17trampoline_kernelINS0_14default_configENS1_27scan_by_key_config_selectorIiyEEZZNS1_16scan_by_key_implILNS1_25lookback_scan_determinismE0ELb0ES3_N6thrust23THRUST_200600_302600_NS6detail15normal_iteratorINS9_10device_ptrIiEEEENSB_INSC_IyEEEESG_yNS9_4plusIvEENS9_8equal_toIvEEyEE10hipError_tPvRmT2_T3_T4_T5_mT6_T7_P12ihipStream_tbENKUlT_T0_E_clISt17integral_constantIbLb0EES10_IbLb1EEEEDaSW_SX_EUlSW_E_NS1_11comp_targetILNS1_3genE8ELNS1_11target_archE1030ELNS1_3gpuE2ELNS1_3repE0EEENS1_30default_config_static_selectorELNS0_4arch9wavefront6targetE0EEEvT1_
	.globl	_ZN7rocprim17ROCPRIM_400000_NS6detail17trampoline_kernelINS0_14default_configENS1_27scan_by_key_config_selectorIiyEEZZNS1_16scan_by_key_implILNS1_25lookback_scan_determinismE0ELb0ES3_N6thrust23THRUST_200600_302600_NS6detail15normal_iteratorINS9_10device_ptrIiEEEENSB_INSC_IyEEEESG_yNS9_4plusIvEENS9_8equal_toIvEEyEE10hipError_tPvRmT2_T3_T4_T5_mT6_T7_P12ihipStream_tbENKUlT_T0_E_clISt17integral_constantIbLb0EES10_IbLb1EEEEDaSW_SX_EUlSW_E_NS1_11comp_targetILNS1_3genE8ELNS1_11target_archE1030ELNS1_3gpuE2ELNS1_3repE0EEENS1_30default_config_static_selectorELNS0_4arch9wavefront6targetE0EEEvT1_
	.p2align	8
	.type	_ZN7rocprim17ROCPRIM_400000_NS6detail17trampoline_kernelINS0_14default_configENS1_27scan_by_key_config_selectorIiyEEZZNS1_16scan_by_key_implILNS1_25lookback_scan_determinismE0ELb0ES3_N6thrust23THRUST_200600_302600_NS6detail15normal_iteratorINS9_10device_ptrIiEEEENSB_INSC_IyEEEESG_yNS9_4plusIvEENS9_8equal_toIvEEyEE10hipError_tPvRmT2_T3_T4_T5_mT6_T7_P12ihipStream_tbENKUlT_T0_E_clISt17integral_constantIbLb0EES10_IbLb1EEEEDaSW_SX_EUlSW_E_NS1_11comp_targetILNS1_3genE8ELNS1_11target_archE1030ELNS1_3gpuE2ELNS1_3repE0EEENS1_30default_config_static_selectorELNS0_4arch9wavefront6targetE0EEEvT1_,@function
_ZN7rocprim17ROCPRIM_400000_NS6detail17trampoline_kernelINS0_14default_configENS1_27scan_by_key_config_selectorIiyEEZZNS1_16scan_by_key_implILNS1_25lookback_scan_determinismE0ELb0ES3_N6thrust23THRUST_200600_302600_NS6detail15normal_iteratorINS9_10device_ptrIiEEEENSB_INSC_IyEEEESG_yNS9_4plusIvEENS9_8equal_toIvEEyEE10hipError_tPvRmT2_T3_T4_T5_mT6_T7_P12ihipStream_tbENKUlT_T0_E_clISt17integral_constantIbLb0EES10_IbLb1EEEEDaSW_SX_EUlSW_E_NS1_11comp_targetILNS1_3genE8ELNS1_11target_archE1030ELNS1_3gpuE2ELNS1_3repE0EEENS1_30default_config_static_selectorELNS0_4arch9wavefront6targetE0EEEvT1_: ; @_ZN7rocprim17ROCPRIM_400000_NS6detail17trampoline_kernelINS0_14default_configENS1_27scan_by_key_config_selectorIiyEEZZNS1_16scan_by_key_implILNS1_25lookback_scan_determinismE0ELb0ES3_N6thrust23THRUST_200600_302600_NS6detail15normal_iteratorINS9_10device_ptrIiEEEENSB_INSC_IyEEEESG_yNS9_4plusIvEENS9_8equal_toIvEEyEE10hipError_tPvRmT2_T3_T4_T5_mT6_T7_P12ihipStream_tbENKUlT_T0_E_clISt17integral_constantIbLb0EES10_IbLb1EEEEDaSW_SX_EUlSW_E_NS1_11comp_targetILNS1_3genE8ELNS1_11target_archE1030ELNS1_3gpuE2ELNS1_3repE0EEENS1_30default_config_static_selectorELNS0_4arch9wavefront6targetE0EEEvT1_
; %bb.0:
	.section	.rodata,"a",@progbits
	.p2align	6, 0x0
	.amdhsa_kernel _ZN7rocprim17ROCPRIM_400000_NS6detail17trampoline_kernelINS0_14default_configENS1_27scan_by_key_config_selectorIiyEEZZNS1_16scan_by_key_implILNS1_25lookback_scan_determinismE0ELb0ES3_N6thrust23THRUST_200600_302600_NS6detail15normal_iteratorINS9_10device_ptrIiEEEENSB_INSC_IyEEEESG_yNS9_4plusIvEENS9_8equal_toIvEEyEE10hipError_tPvRmT2_T3_T4_T5_mT6_T7_P12ihipStream_tbENKUlT_T0_E_clISt17integral_constantIbLb0EES10_IbLb1EEEEDaSW_SX_EUlSW_E_NS1_11comp_targetILNS1_3genE8ELNS1_11target_archE1030ELNS1_3gpuE2ELNS1_3repE0EEENS1_30default_config_static_selectorELNS0_4arch9wavefront6targetE0EEEvT1_
		.amdhsa_group_segment_fixed_size 0
		.amdhsa_private_segment_fixed_size 0
		.amdhsa_kernarg_size 136
		.amdhsa_user_sgpr_count 2
		.amdhsa_user_sgpr_dispatch_ptr 0
		.amdhsa_user_sgpr_queue_ptr 0
		.amdhsa_user_sgpr_kernarg_segment_ptr 1
		.amdhsa_user_sgpr_dispatch_id 0
		.amdhsa_user_sgpr_kernarg_preload_length 0
		.amdhsa_user_sgpr_kernarg_preload_offset 0
		.amdhsa_user_sgpr_private_segment_size 0
		.amdhsa_wavefront_size32 1
		.amdhsa_uses_dynamic_stack 0
		.amdhsa_enable_private_segment 0
		.amdhsa_system_sgpr_workgroup_id_x 1
		.amdhsa_system_sgpr_workgroup_id_y 0
		.amdhsa_system_sgpr_workgroup_id_z 0
		.amdhsa_system_sgpr_workgroup_info 0
		.amdhsa_system_vgpr_workitem_id 0
		.amdhsa_next_free_vgpr 1
		.amdhsa_next_free_sgpr 1
		.amdhsa_named_barrier_count 0
		.amdhsa_reserve_vcc 0
		.amdhsa_float_round_mode_32 0
		.amdhsa_float_round_mode_16_64 0
		.amdhsa_float_denorm_mode_32 3
		.amdhsa_float_denorm_mode_16_64 3
		.amdhsa_fp16_overflow 0
		.amdhsa_memory_ordered 1
		.amdhsa_forward_progress 1
		.amdhsa_inst_pref_size 0
		.amdhsa_round_robin_scheduling 0
		.amdhsa_exception_fp_ieee_invalid_op 0
		.amdhsa_exception_fp_denorm_src 0
		.amdhsa_exception_fp_ieee_div_zero 0
		.amdhsa_exception_fp_ieee_overflow 0
		.amdhsa_exception_fp_ieee_underflow 0
		.amdhsa_exception_fp_ieee_inexact 0
		.amdhsa_exception_int_div_zero 0
	.end_amdhsa_kernel
	.section	.text._ZN7rocprim17ROCPRIM_400000_NS6detail17trampoline_kernelINS0_14default_configENS1_27scan_by_key_config_selectorIiyEEZZNS1_16scan_by_key_implILNS1_25lookback_scan_determinismE0ELb0ES3_N6thrust23THRUST_200600_302600_NS6detail15normal_iteratorINS9_10device_ptrIiEEEENSB_INSC_IyEEEESG_yNS9_4plusIvEENS9_8equal_toIvEEyEE10hipError_tPvRmT2_T3_T4_T5_mT6_T7_P12ihipStream_tbENKUlT_T0_E_clISt17integral_constantIbLb0EES10_IbLb1EEEEDaSW_SX_EUlSW_E_NS1_11comp_targetILNS1_3genE8ELNS1_11target_archE1030ELNS1_3gpuE2ELNS1_3repE0EEENS1_30default_config_static_selectorELNS0_4arch9wavefront6targetE0EEEvT1_,"axG",@progbits,_ZN7rocprim17ROCPRIM_400000_NS6detail17trampoline_kernelINS0_14default_configENS1_27scan_by_key_config_selectorIiyEEZZNS1_16scan_by_key_implILNS1_25lookback_scan_determinismE0ELb0ES3_N6thrust23THRUST_200600_302600_NS6detail15normal_iteratorINS9_10device_ptrIiEEEENSB_INSC_IyEEEESG_yNS9_4plusIvEENS9_8equal_toIvEEyEE10hipError_tPvRmT2_T3_T4_T5_mT6_T7_P12ihipStream_tbENKUlT_T0_E_clISt17integral_constantIbLb0EES10_IbLb1EEEEDaSW_SX_EUlSW_E_NS1_11comp_targetILNS1_3genE8ELNS1_11target_archE1030ELNS1_3gpuE2ELNS1_3repE0EEENS1_30default_config_static_selectorELNS0_4arch9wavefront6targetE0EEEvT1_,comdat
.Lfunc_end1217:
	.size	_ZN7rocprim17ROCPRIM_400000_NS6detail17trampoline_kernelINS0_14default_configENS1_27scan_by_key_config_selectorIiyEEZZNS1_16scan_by_key_implILNS1_25lookback_scan_determinismE0ELb0ES3_N6thrust23THRUST_200600_302600_NS6detail15normal_iteratorINS9_10device_ptrIiEEEENSB_INSC_IyEEEESG_yNS9_4plusIvEENS9_8equal_toIvEEyEE10hipError_tPvRmT2_T3_T4_T5_mT6_T7_P12ihipStream_tbENKUlT_T0_E_clISt17integral_constantIbLb0EES10_IbLb1EEEEDaSW_SX_EUlSW_E_NS1_11comp_targetILNS1_3genE8ELNS1_11target_archE1030ELNS1_3gpuE2ELNS1_3repE0EEENS1_30default_config_static_selectorELNS0_4arch9wavefront6targetE0EEEvT1_, .Lfunc_end1217-_ZN7rocprim17ROCPRIM_400000_NS6detail17trampoline_kernelINS0_14default_configENS1_27scan_by_key_config_selectorIiyEEZZNS1_16scan_by_key_implILNS1_25lookback_scan_determinismE0ELb0ES3_N6thrust23THRUST_200600_302600_NS6detail15normal_iteratorINS9_10device_ptrIiEEEENSB_INSC_IyEEEESG_yNS9_4plusIvEENS9_8equal_toIvEEyEE10hipError_tPvRmT2_T3_T4_T5_mT6_T7_P12ihipStream_tbENKUlT_T0_E_clISt17integral_constantIbLb0EES10_IbLb1EEEEDaSW_SX_EUlSW_E_NS1_11comp_targetILNS1_3genE8ELNS1_11target_archE1030ELNS1_3gpuE2ELNS1_3repE0EEENS1_30default_config_static_selectorELNS0_4arch9wavefront6targetE0EEEvT1_
                                        ; -- End function
	.set _ZN7rocprim17ROCPRIM_400000_NS6detail17trampoline_kernelINS0_14default_configENS1_27scan_by_key_config_selectorIiyEEZZNS1_16scan_by_key_implILNS1_25lookback_scan_determinismE0ELb0ES3_N6thrust23THRUST_200600_302600_NS6detail15normal_iteratorINS9_10device_ptrIiEEEENSB_INSC_IyEEEESG_yNS9_4plusIvEENS9_8equal_toIvEEyEE10hipError_tPvRmT2_T3_T4_T5_mT6_T7_P12ihipStream_tbENKUlT_T0_E_clISt17integral_constantIbLb0EES10_IbLb1EEEEDaSW_SX_EUlSW_E_NS1_11comp_targetILNS1_3genE8ELNS1_11target_archE1030ELNS1_3gpuE2ELNS1_3repE0EEENS1_30default_config_static_selectorELNS0_4arch9wavefront6targetE0EEEvT1_.num_vgpr, 0
	.set _ZN7rocprim17ROCPRIM_400000_NS6detail17trampoline_kernelINS0_14default_configENS1_27scan_by_key_config_selectorIiyEEZZNS1_16scan_by_key_implILNS1_25lookback_scan_determinismE0ELb0ES3_N6thrust23THRUST_200600_302600_NS6detail15normal_iteratorINS9_10device_ptrIiEEEENSB_INSC_IyEEEESG_yNS9_4plusIvEENS9_8equal_toIvEEyEE10hipError_tPvRmT2_T3_T4_T5_mT6_T7_P12ihipStream_tbENKUlT_T0_E_clISt17integral_constantIbLb0EES10_IbLb1EEEEDaSW_SX_EUlSW_E_NS1_11comp_targetILNS1_3genE8ELNS1_11target_archE1030ELNS1_3gpuE2ELNS1_3repE0EEENS1_30default_config_static_selectorELNS0_4arch9wavefront6targetE0EEEvT1_.num_agpr, 0
	.set _ZN7rocprim17ROCPRIM_400000_NS6detail17trampoline_kernelINS0_14default_configENS1_27scan_by_key_config_selectorIiyEEZZNS1_16scan_by_key_implILNS1_25lookback_scan_determinismE0ELb0ES3_N6thrust23THRUST_200600_302600_NS6detail15normal_iteratorINS9_10device_ptrIiEEEENSB_INSC_IyEEEESG_yNS9_4plusIvEENS9_8equal_toIvEEyEE10hipError_tPvRmT2_T3_T4_T5_mT6_T7_P12ihipStream_tbENKUlT_T0_E_clISt17integral_constantIbLb0EES10_IbLb1EEEEDaSW_SX_EUlSW_E_NS1_11comp_targetILNS1_3genE8ELNS1_11target_archE1030ELNS1_3gpuE2ELNS1_3repE0EEENS1_30default_config_static_selectorELNS0_4arch9wavefront6targetE0EEEvT1_.numbered_sgpr, 0
	.set _ZN7rocprim17ROCPRIM_400000_NS6detail17trampoline_kernelINS0_14default_configENS1_27scan_by_key_config_selectorIiyEEZZNS1_16scan_by_key_implILNS1_25lookback_scan_determinismE0ELb0ES3_N6thrust23THRUST_200600_302600_NS6detail15normal_iteratorINS9_10device_ptrIiEEEENSB_INSC_IyEEEESG_yNS9_4plusIvEENS9_8equal_toIvEEyEE10hipError_tPvRmT2_T3_T4_T5_mT6_T7_P12ihipStream_tbENKUlT_T0_E_clISt17integral_constantIbLb0EES10_IbLb1EEEEDaSW_SX_EUlSW_E_NS1_11comp_targetILNS1_3genE8ELNS1_11target_archE1030ELNS1_3gpuE2ELNS1_3repE0EEENS1_30default_config_static_selectorELNS0_4arch9wavefront6targetE0EEEvT1_.num_named_barrier, 0
	.set _ZN7rocprim17ROCPRIM_400000_NS6detail17trampoline_kernelINS0_14default_configENS1_27scan_by_key_config_selectorIiyEEZZNS1_16scan_by_key_implILNS1_25lookback_scan_determinismE0ELb0ES3_N6thrust23THRUST_200600_302600_NS6detail15normal_iteratorINS9_10device_ptrIiEEEENSB_INSC_IyEEEESG_yNS9_4plusIvEENS9_8equal_toIvEEyEE10hipError_tPvRmT2_T3_T4_T5_mT6_T7_P12ihipStream_tbENKUlT_T0_E_clISt17integral_constantIbLb0EES10_IbLb1EEEEDaSW_SX_EUlSW_E_NS1_11comp_targetILNS1_3genE8ELNS1_11target_archE1030ELNS1_3gpuE2ELNS1_3repE0EEENS1_30default_config_static_selectorELNS0_4arch9wavefront6targetE0EEEvT1_.private_seg_size, 0
	.set _ZN7rocprim17ROCPRIM_400000_NS6detail17trampoline_kernelINS0_14default_configENS1_27scan_by_key_config_selectorIiyEEZZNS1_16scan_by_key_implILNS1_25lookback_scan_determinismE0ELb0ES3_N6thrust23THRUST_200600_302600_NS6detail15normal_iteratorINS9_10device_ptrIiEEEENSB_INSC_IyEEEESG_yNS9_4plusIvEENS9_8equal_toIvEEyEE10hipError_tPvRmT2_T3_T4_T5_mT6_T7_P12ihipStream_tbENKUlT_T0_E_clISt17integral_constantIbLb0EES10_IbLb1EEEEDaSW_SX_EUlSW_E_NS1_11comp_targetILNS1_3genE8ELNS1_11target_archE1030ELNS1_3gpuE2ELNS1_3repE0EEENS1_30default_config_static_selectorELNS0_4arch9wavefront6targetE0EEEvT1_.uses_vcc, 0
	.set _ZN7rocprim17ROCPRIM_400000_NS6detail17trampoline_kernelINS0_14default_configENS1_27scan_by_key_config_selectorIiyEEZZNS1_16scan_by_key_implILNS1_25lookback_scan_determinismE0ELb0ES3_N6thrust23THRUST_200600_302600_NS6detail15normal_iteratorINS9_10device_ptrIiEEEENSB_INSC_IyEEEESG_yNS9_4plusIvEENS9_8equal_toIvEEyEE10hipError_tPvRmT2_T3_T4_T5_mT6_T7_P12ihipStream_tbENKUlT_T0_E_clISt17integral_constantIbLb0EES10_IbLb1EEEEDaSW_SX_EUlSW_E_NS1_11comp_targetILNS1_3genE8ELNS1_11target_archE1030ELNS1_3gpuE2ELNS1_3repE0EEENS1_30default_config_static_selectorELNS0_4arch9wavefront6targetE0EEEvT1_.uses_flat_scratch, 0
	.set _ZN7rocprim17ROCPRIM_400000_NS6detail17trampoline_kernelINS0_14default_configENS1_27scan_by_key_config_selectorIiyEEZZNS1_16scan_by_key_implILNS1_25lookback_scan_determinismE0ELb0ES3_N6thrust23THRUST_200600_302600_NS6detail15normal_iteratorINS9_10device_ptrIiEEEENSB_INSC_IyEEEESG_yNS9_4plusIvEENS9_8equal_toIvEEyEE10hipError_tPvRmT2_T3_T4_T5_mT6_T7_P12ihipStream_tbENKUlT_T0_E_clISt17integral_constantIbLb0EES10_IbLb1EEEEDaSW_SX_EUlSW_E_NS1_11comp_targetILNS1_3genE8ELNS1_11target_archE1030ELNS1_3gpuE2ELNS1_3repE0EEENS1_30default_config_static_selectorELNS0_4arch9wavefront6targetE0EEEvT1_.has_dyn_sized_stack, 0
	.set _ZN7rocprim17ROCPRIM_400000_NS6detail17trampoline_kernelINS0_14default_configENS1_27scan_by_key_config_selectorIiyEEZZNS1_16scan_by_key_implILNS1_25lookback_scan_determinismE0ELb0ES3_N6thrust23THRUST_200600_302600_NS6detail15normal_iteratorINS9_10device_ptrIiEEEENSB_INSC_IyEEEESG_yNS9_4plusIvEENS9_8equal_toIvEEyEE10hipError_tPvRmT2_T3_T4_T5_mT6_T7_P12ihipStream_tbENKUlT_T0_E_clISt17integral_constantIbLb0EES10_IbLb1EEEEDaSW_SX_EUlSW_E_NS1_11comp_targetILNS1_3genE8ELNS1_11target_archE1030ELNS1_3gpuE2ELNS1_3repE0EEENS1_30default_config_static_selectorELNS0_4arch9wavefront6targetE0EEEvT1_.has_recursion, 0
	.set _ZN7rocprim17ROCPRIM_400000_NS6detail17trampoline_kernelINS0_14default_configENS1_27scan_by_key_config_selectorIiyEEZZNS1_16scan_by_key_implILNS1_25lookback_scan_determinismE0ELb0ES3_N6thrust23THRUST_200600_302600_NS6detail15normal_iteratorINS9_10device_ptrIiEEEENSB_INSC_IyEEEESG_yNS9_4plusIvEENS9_8equal_toIvEEyEE10hipError_tPvRmT2_T3_T4_T5_mT6_T7_P12ihipStream_tbENKUlT_T0_E_clISt17integral_constantIbLb0EES10_IbLb1EEEEDaSW_SX_EUlSW_E_NS1_11comp_targetILNS1_3genE8ELNS1_11target_archE1030ELNS1_3gpuE2ELNS1_3repE0EEENS1_30default_config_static_selectorELNS0_4arch9wavefront6targetE0EEEvT1_.has_indirect_call, 0
	.section	.AMDGPU.csdata,"",@progbits
; Kernel info:
; codeLenInByte = 0
; TotalNumSgprs: 0
; NumVgprs: 0
; ScratchSize: 0
; MemoryBound: 0
; FloatMode: 240
; IeeeMode: 1
; LDSByteSize: 0 bytes/workgroup (compile time only)
; SGPRBlocks: 0
; VGPRBlocks: 0
; NumSGPRsForWavesPerEU: 1
; NumVGPRsForWavesPerEU: 1
; NamedBarCnt: 0
; Occupancy: 16
; WaveLimiterHint : 0
; COMPUTE_PGM_RSRC2:SCRATCH_EN: 0
; COMPUTE_PGM_RSRC2:USER_SGPR: 2
; COMPUTE_PGM_RSRC2:TRAP_HANDLER: 0
; COMPUTE_PGM_RSRC2:TGID_X_EN: 1
; COMPUTE_PGM_RSRC2:TGID_Y_EN: 0
; COMPUTE_PGM_RSRC2:TGID_Z_EN: 0
; COMPUTE_PGM_RSRC2:TIDIG_COMP_CNT: 0
	.section	.text._ZN6thrust23THRUST_200600_302600_NS11hip_rocprim14__parallel_for6kernelILj256ENS1_20__uninitialized_fill7functorINS0_10device_ptrIjEEjEEmLj1EEEvT0_T1_SA_,"axG",@progbits,_ZN6thrust23THRUST_200600_302600_NS11hip_rocprim14__parallel_for6kernelILj256ENS1_20__uninitialized_fill7functorINS0_10device_ptrIjEEjEEmLj1EEEvT0_T1_SA_,comdat
	.protected	_ZN6thrust23THRUST_200600_302600_NS11hip_rocprim14__parallel_for6kernelILj256ENS1_20__uninitialized_fill7functorINS0_10device_ptrIjEEjEEmLj1EEEvT0_T1_SA_ ; -- Begin function _ZN6thrust23THRUST_200600_302600_NS11hip_rocprim14__parallel_for6kernelILj256ENS1_20__uninitialized_fill7functorINS0_10device_ptrIjEEjEEmLj1EEEvT0_T1_SA_
	.globl	_ZN6thrust23THRUST_200600_302600_NS11hip_rocprim14__parallel_for6kernelILj256ENS1_20__uninitialized_fill7functorINS0_10device_ptrIjEEjEEmLj1EEEvT0_T1_SA_
	.p2align	8
	.type	_ZN6thrust23THRUST_200600_302600_NS11hip_rocprim14__parallel_for6kernelILj256ENS1_20__uninitialized_fill7functorINS0_10device_ptrIjEEjEEmLj1EEEvT0_T1_SA_,@function
_ZN6thrust23THRUST_200600_302600_NS11hip_rocprim14__parallel_for6kernelILj256ENS1_20__uninitialized_fill7functorINS0_10device_ptrIjEEjEEmLj1EEEvT0_T1_SA_: ; @_ZN6thrust23THRUST_200600_302600_NS11hip_rocprim14__parallel_for6kernelILj256ENS1_20__uninitialized_fill7functorINS0_10device_ptrIjEEjEEmLj1EEEvT0_T1_SA_
; %bb.0:
	s_load_b128 s[8:11], s[0:1], 0x10
	s_bfe_u32 s2, ttmp6, 0x4000c
	s_and_b32 s3, ttmp6, 15
	s_add_co_i32 s2, s2, 1
	s_getreg_b32 s4, hwreg(HW_REG_IB_STS2, 6, 4)
	s_mul_i32 s2, ttmp9, s2
	s_delay_alu instid0(SALU_CYCLE_1)
	s_add_co_i32 s3, s3, s2
	s_cmp_eq_u32 s4, 0
	s_load_b96 s[4:6], s[0:1], 0x0
	s_wait_xcnt 0x0
	s_cselect_b32 s0, ttmp9, s3
	s_mov_b32 s1, 0
	s_lshl_b32 s0, s0, 8
	s_wait_kmcnt 0x0
	s_add_nc_u64 s[0:1], s[10:11], s[0:1]
	s_delay_alu instid0(SALU_CYCLE_1) | instskip(NEXT) | instid1(SALU_CYCLE_1)
	s_sub_nc_u64 s[2:3], s[8:9], s[0:1]
	v_cmp_lt_u64_e64 s3, 0xff, s[2:3]
	s_and_b32 vcc_lo, exec_lo, s3
	s_mov_b32 s3, -1
	s_cbranch_vccz .LBB1218_3
; %bb.1:
	s_and_not1_b32 vcc_lo, exec_lo, s3
	s_cbranch_vccz .LBB1218_6
.LBB1218_2:
	s_endpgm
.LBB1218_3:
	v_cmp_gt_u32_e32 vcc_lo, s2, v0
	s_and_saveexec_b32 s2, vcc_lo
	s_cbranch_execz .LBB1218_5
; %bb.4:
	v_mov_b32_e32 v1, s6
	s_lshl_b64 s[8:9], s[0:1], 2
	s_delay_alu instid0(SALU_CYCLE_1)
	s_add_nc_u64 s[8:9], s[4:5], s[8:9]
	flat_store_b32 v0, v1, s[8:9] scale_offset
.LBB1218_5:
	s_wait_xcnt 0x0
	s_or_b32 exec_lo, exec_lo, s2
	s_cbranch_execnz .LBB1218_2
.LBB1218_6:
	v_mov_b32_e32 v1, s6
	s_lshl_b64 s[0:1], s[0:1], 2
	s_delay_alu instid0(SALU_CYCLE_1)
	s_add_nc_u64 s[0:1], s[4:5], s[0:1]
	flat_store_b32 v0, v1, s[0:1] scale_offset
	s_endpgm
	.section	.rodata,"a",@progbits
	.p2align	6, 0x0
	.amdhsa_kernel _ZN6thrust23THRUST_200600_302600_NS11hip_rocprim14__parallel_for6kernelILj256ENS1_20__uninitialized_fill7functorINS0_10device_ptrIjEEjEEmLj1EEEvT0_T1_SA_
		.amdhsa_group_segment_fixed_size 0
		.amdhsa_private_segment_fixed_size 0
		.amdhsa_kernarg_size 32
		.amdhsa_user_sgpr_count 2
		.amdhsa_user_sgpr_dispatch_ptr 0
		.amdhsa_user_sgpr_queue_ptr 0
		.amdhsa_user_sgpr_kernarg_segment_ptr 1
		.amdhsa_user_sgpr_dispatch_id 0
		.amdhsa_user_sgpr_kernarg_preload_length 0
		.amdhsa_user_sgpr_kernarg_preload_offset 0
		.amdhsa_user_sgpr_private_segment_size 0
		.amdhsa_wavefront_size32 1
		.amdhsa_uses_dynamic_stack 0
		.amdhsa_enable_private_segment 0
		.amdhsa_system_sgpr_workgroup_id_x 1
		.amdhsa_system_sgpr_workgroup_id_y 0
		.amdhsa_system_sgpr_workgroup_id_z 0
		.amdhsa_system_sgpr_workgroup_info 0
		.amdhsa_system_vgpr_workitem_id 0
		.amdhsa_next_free_vgpr 2
		.amdhsa_next_free_sgpr 12
		.amdhsa_named_barrier_count 0
		.amdhsa_reserve_vcc 1
		.amdhsa_float_round_mode_32 0
		.amdhsa_float_round_mode_16_64 0
		.amdhsa_float_denorm_mode_32 3
		.amdhsa_float_denorm_mode_16_64 3
		.amdhsa_fp16_overflow 0
		.amdhsa_memory_ordered 1
		.amdhsa_forward_progress 1
		.amdhsa_inst_pref_size 2
		.amdhsa_round_robin_scheduling 0
		.amdhsa_exception_fp_ieee_invalid_op 0
		.amdhsa_exception_fp_denorm_src 0
		.amdhsa_exception_fp_ieee_div_zero 0
		.amdhsa_exception_fp_ieee_overflow 0
		.amdhsa_exception_fp_ieee_underflow 0
		.amdhsa_exception_fp_ieee_inexact 0
		.amdhsa_exception_int_div_zero 0
	.end_amdhsa_kernel
	.section	.text._ZN6thrust23THRUST_200600_302600_NS11hip_rocprim14__parallel_for6kernelILj256ENS1_20__uninitialized_fill7functorINS0_10device_ptrIjEEjEEmLj1EEEvT0_T1_SA_,"axG",@progbits,_ZN6thrust23THRUST_200600_302600_NS11hip_rocprim14__parallel_for6kernelILj256ENS1_20__uninitialized_fill7functorINS0_10device_ptrIjEEjEEmLj1EEEvT0_T1_SA_,comdat
.Lfunc_end1218:
	.size	_ZN6thrust23THRUST_200600_302600_NS11hip_rocprim14__parallel_for6kernelILj256ENS1_20__uninitialized_fill7functorINS0_10device_ptrIjEEjEEmLj1EEEvT0_T1_SA_, .Lfunc_end1218-_ZN6thrust23THRUST_200600_302600_NS11hip_rocprim14__parallel_for6kernelILj256ENS1_20__uninitialized_fill7functorINS0_10device_ptrIjEEjEEmLj1EEEvT0_T1_SA_
                                        ; -- End function
	.set _ZN6thrust23THRUST_200600_302600_NS11hip_rocprim14__parallel_for6kernelILj256ENS1_20__uninitialized_fill7functorINS0_10device_ptrIjEEjEEmLj1EEEvT0_T1_SA_.num_vgpr, 2
	.set _ZN6thrust23THRUST_200600_302600_NS11hip_rocprim14__parallel_for6kernelILj256ENS1_20__uninitialized_fill7functorINS0_10device_ptrIjEEjEEmLj1EEEvT0_T1_SA_.num_agpr, 0
	.set _ZN6thrust23THRUST_200600_302600_NS11hip_rocprim14__parallel_for6kernelILj256ENS1_20__uninitialized_fill7functorINS0_10device_ptrIjEEjEEmLj1EEEvT0_T1_SA_.numbered_sgpr, 12
	.set _ZN6thrust23THRUST_200600_302600_NS11hip_rocprim14__parallel_for6kernelILj256ENS1_20__uninitialized_fill7functorINS0_10device_ptrIjEEjEEmLj1EEEvT0_T1_SA_.num_named_barrier, 0
	.set _ZN6thrust23THRUST_200600_302600_NS11hip_rocprim14__parallel_for6kernelILj256ENS1_20__uninitialized_fill7functorINS0_10device_ptrIjEEjEEmLj1EEEvT0_T1_SA_.private_seg_size, 0
	.set _ZN6thrust23THRUST_200600_302600_NS11hip_rocprim14__parallel_for6kernelILj256ENS1_20__uninitialized_fill7functorINS0_10device_ptrIjEEjEEmLj1EEEvT0_T1_SA_.uses_vcc, 1
	.set _ZN6thrust23THRUST_200600_302600_NS11hip_rocprim14__parallel_for6kernelILj256ENS1_20__uninitialized_fill7functorINS0_10device_ptrIjEEjEEmLj1EEEvT0_T1_SA_.uses_flat_scratch, 0
	.set _ZN6thrust23THRUST_200600_302600_NS11hip_rocprim14__parallel_for6kernelILj256ENS1_20__uninitialized_fill7functorINS0_10device_ptrIjEEjEEmLj1EEEvT0_T1_SA_.has_dyn_sized_stack, 0
	.set _ZN6thrust23THRUST_200600_302600_NS11hip_rocprim14__parallel_for6kernelILj256ENS1_20__uninitialized_fill7functorINS0_10device_ptrIjEEjEEmLj1EEEvT0_T1_SA_.has_recursion, 0
	.set _ZN6thrust23THRUST_200600_302600_NS11hip_rocprim14__parallel_for6kernelILj256ENS1_20__uninitialized_fill7functorINS0_10device_ptrIjEEjEEmLj1EEEvT0_T1_SA_.has_indirect_call, 0
	.section	.AMDGPU.csdata,"",@progbits
; Kernel info:
; codeLenInByte = 204
; TotalNumSgprs: 14
; NumVgprs: 2
; ScratchSize: 0
; MemoryBound: 0
; FloatMode: 240
; IeeeMode: 1
; LDSByteSize: 0 bytes/workgroup (compile time only)
; SGPRBlocks: 0
; VGPRBlocks: 0
; NumSGPRsForWavesPerEU: 14
; NumVGPRsForWavesPerEU: 2
; NamedBarCnt: 0
; Occupancy: 16
; WaveLimiterHint : 0
; COMPUTE_PGM_RSRC2:SCRATCH_EN: 0
; COMPUTE_PGM_RSRC2:USER_SGPR: 2
; COMPUTE_PGM_RSRC2:TRAP_HANDLER: 0
; COMPUTE_PGM_RSRC2:TGID_X_EN: 1
; COMPUTE_PGM_RSRC2:TGID_Y_EN: 0
; COMPUTE_PGM_RSRC2:TGID_Z_EN: 0
; COMPUTE_PGM_RSRC2:TIDIG_COMP_CNT: 0
	.section	.text._ZN7rocprim17ROCPRIM_400000_NS6detail30init_device_scan_by_key_kernelINS1_19lookback_scan_stateINS0_5tupleIJjbEEELb0ELb1EEEN6thrust23THRUST_200600_302600_NS6detail15normal_iteratorINS8_10device_ptrIiEEEEjNS1_16block_id_wrapperIjLb0EEEEEvT_jjPNSG_10value_typeET0_PNSt15iterator_traitsISJ_E10value_typeEmT1_T2_,"axG",@progbits,_ZN7rocprim17ROCPRIM_400000_NS6detail30init_device_scan_by_key_kernelINS1_19lookback_scan_stateINS0_5tupleIJjbEEELb0ELb1EEEN6thrust23THRUST_200600_302600_NS6detail15normal_iteratorINS8_10device_ptrIiEEEEjNS1_16block_id_wrapperIjLb0EEEEEvT_jjPNSG_10value_typeET0_PNSt15iterator_traitsISJ_E10value_typeEmT1_T2_,comdat
	.protected	_ZN7rocprim17ROCPRIM_400000_NS6detail30init_device_scan_by_key_kernelINS1_19lookback_scan_stateINS0_5tupleIJjbEEELb0ELb1EEEN6thrust23THRUST_200600_302600_NS6detail15normal_iteratorINS8_10device_ptrIiEEEEjNS1_16block_id_wrapperIjLb0EEEEEvT_jjPNSG_10value_typeET0_PNSt15iterator_traitsISJ_E10value_typeEmT1_T2_ ; -- Begin function _ZN7rocprim17ROCPRIM_400000_NS6detail30init_device_scan_by_key_kernelINS1_19lookback_scan_stateINS0_5tupleIJjbEEELb0ELb1EEEN6thrust23THRUST_200600_302600_NS6detail15normal_iteratorINS8_10device_ptrIiEEEEjNS1_16block_id_wrapperIjLb0EEEEEvT_jjPNSG_10value_typeET0_PNSt15iterator_traitsISJ_E10value_typeEmT1_T2_
	.globl	_ZN7rocprim17ROCPRIM_400000_NS6detail30init_device_scan_by_key_kernelINS1_19lookback_scan_stateINS0_5tupleIJjbEEELb0ELb1EEEN6thrust23THRUST_200600_302600_NS6detail15normal_iteratorINS8_10device_ptrIiEEEEjNS1_16block_id_wrapperIjLb0EEEEEvT_jjPNSG_10value_typeET0_PNSt15iterator_traitsISJ_E10value_typeEmT1_T2_
	.p2align	8
	.type	_ZN7rocprim17ROCPRIM_400000_NS6detail30init_device_scan_by_key_kernelINS1_19lookback_scan_stateINS0_5tupleIJjbEEELb0ELb1EEEN6thrust23THRUST_200600_302600_NS6detail15normal_iteratorINS8_10device_ptrIiEEEEjNS1_16block_id_wrapperIjLb0EEEEEvT_jjPNSG_10value_typeET0_PNSt15iterator_traitsISJ_E10value_typeEmT1_T2_,@function
_ZN7rocprim17ROCPRIM_400000_NS6detail30init_device_scan_by_key_kernelINS1_19lookback_scan_stateINS0_5tupleIJjbEEELb0ELb1EEEN6thrust23THRUST_200600_302600_NS6detail15normal_iteratorINS8_10device_ptrIiEEEEjNS1_16block_id_wrapperIjLb0EEEEEvT_jjPNSG_10value_typeET0_PNSt15iterator_traitsISJ_E10value_typeEmT1_T2_: ; @_ZN7rocprim17ROCPRIM_400000_NS6detail30init_device_scan_by_key_kernelINS1_19lookback_scan_stateINS0_5tupleIJjbEEELb0ELb1EEEN6thrust23THRUST_200600_302600_NS6detail15normal_iteratorINS8_10device_ptrIiEEEEjNS1_16block_id_wrapperIjLb0EEEEEvT_jjPNSG_10value_typeET0_PNSt15iterator_traitsISJ_E10value_typeEmT1_T2_
; %bb.0:
	s_clause 0x2
	s_load_b32 s2, s[0:1], 0x44
	s_load_b32 s14, s[0:1], 0x38
	s_load_b256 s[4:11], s[0:1], 0x0
	s_bfe_u32 s3, ttmp6, 0x4000c
	s_and_b32 s12, ttmp6, 15
	s_add_co_i32 s3, s3, 1
	s_getreg_b32 s13, hwreg(HW_REG_IB_STS2, 6, 4)
	s_mul_i32 s3, ttmp9, s3
	s_delay_alu instid0(SALU_CYCLE_1)
	s_add_co_i32 s12, s12, s3
	s_wait_kmcnt 0x0
	s_and_b32 s15, s2, 0xffff
	s_cmp_eq_u32 s13, 0
	s_cselect_b32 s2, ttmp9, s12
	s_cmp_eq_u64 s[8:9], 0
	v_mad_u32 v4, s2, s15, v0
	s_cbranch_scc1 .LBB1219_8
; %bb.1:
	s_cmp_lt_u32 s7, s6
	s_mov_b32 s16, exec_lo
	s_cselect_b32 s2, s7, 0
	s_delay_alu instid0(VALU_DEP_1) | instid1(SALU_CYCLE_1)
	v_cmpx_eq_u32_e64 s2, v4
	s_cbranch_execz .LBB1219_7
; %bb.2:
	s_add_co_i32 s2, s7, 32
	s_mov_b32 s3, 0
	v_mov_b32_e32 v7, 0
	s_lshl_b64 s[12:13], s[2:3], 4
	s_mov_b32 s2, exec_lo
	s_add_nc_u64 s[12:13], s[4:5], s[12:13]
	s_delay_alu instid0(SALU_CYCLE_1) | instskip(SKIP_2) | instid1(VALU_DEP_1)
	v_mov_b64_e32 v[0:1], s[12:13]
	;;#ASMSTART
	global_load_b128 v[0:3], v[0:1] off scope:SCOPE_DEV	
s_wait_loadcnt 0x0
	;;#ASMEND
	v_and_b32_e32 v6, 0xff, v2
	v_cmpx_eq_u64_e32 0, v[6:7]
	s_cbranch_execz .LBB1219_6
; %bb.3:
	v_mov_b64_e32 v[8:9], s[12:13]
.LBB1219_4:                             ; =>This Inner Loop Header: Depth=1
	;;#ASMSTART
	global_load_b128 v[0:3], v[8:9] off scope:SCOPE_DEV	
s_wait_loadcnt 0x0
	;;#ASMEND
	v_and_b32_e32 v6, 0xff, v2
	s_delay_alu instid0(VALU_DEP_1) | instskip(SKIP_1) | instid1(SALU_CYCLE_1)
	v_cmp_ne_u64_e32 vcc_lo, 0, v[6:7]
	s_or_b32 s3, vcc_lo, s3
	s_and_not1_b32 exec_lo, exec_lo, s3
	s_cbranch_execnz .LBB1219_4
; %bb.5:
	s_or_b32 exec_lo, exec_lo, s3
.LBB1219_6:
	s_delay_alu instid0(SALU_CYCLE_1)
	s_or_b32 exec_lo, exec_lo, s2
	v_mov_b32_e32 v2, 0
	s_clause 0x1
	global_store_b32 v2, v0, s[8:9]
	global_store_b8 v2, v1, s[8:9] offset:4
.LBB1219_7:
	s_wait_xcnt 0x0
	s_or_b32 exec_lo, exec_lo, s16
.LBB1219_8:
	s_delay_alu instid0(SALU_CYCLE_1) | instskip(NEXT) | instid1(VALU_DEP_1)
	s_mov_b32 s2, exec_lo
	v_cmpx_gt_u32_e64 s6, v4
	s_cbranch_execz .LBB1219_10
; %bb.9:
	v_dual_mov_b32 v0, 0 :: v_dual_add_nc_u32 v5, 32, v4
	s_delay_alu instid0(VALU_DEP_1)
	v_dual_mov_b32 v1, v0 :: v_dual_mov_b32 v2, v0
	v_mov_b32_e32 v3, v0
	global_store_b128 v5, v[0:3], s[4:5] scale_offset
.LBB1219_10:
	s_wait_xcnt 0x0
	s_or_b32 exec_lo, exec_lo, s2
	v_mov_b32_e32 v5, 0
	s_mov_b32 s2, exec_lo
	v_cmpx_gt_u32_e32 32, v4
	s_cbranch_execz .LBB1219_12
; %bb.11:
	s_delay_alu instid0(VALU_DEP_2)
	v_lshl_add_u64 v[6:7], v[4:5], 4, s[4:5]
	v_dual_mov_b32 v2, 0xff :: v_dual_mov_b32 v1, v5
	v_dual_mov_b32 v0, v5 :: v_dual_mov_b32 v3, v5
	global_store_b128 v[6:7], v[0:3], off
.LBB1219_12:
	s_wait_xcnt 0x0
	s_or_b32 exec_lo, exec_lo, s2
	s_load_b64 s[2:3], s[0:1], 0x28
	s_mov_b32 s4, exec_lo
	s_wait_kmcnt 0x0
	v_cmpx_gt_u64_e64 s[2:3], v[4:5]
	s_cbranch_execz .LBB1219_15
; %bb.13:
	s_clause 0x1
	s_load_b32 s4, s[0:1], 0x30
	s_load_b64 s[6:7], s[0:1], 0x20
	s_mov_b32 s5, 0
	s_wait_xcnt 0x0
	s_mul_i32 s0, s14, s15
	s_mov_b32 s9, s5
	s_mov_b32 s1, s5
	s_wait_kmcnt 0x0
	v_mul_u64_e32 v[0:1], s[4:5], v[4:5]
	s_add_co_i32 s8, s4, -1
	v_lshl_add_u64 v[2:3], v[4:5], 2, s[6:7]
	s_lshl_b64 s[8:9], s[8:9], 2
	s_delay_alu instid0(SALU_CYCLE_1) | instskip(SKIP_1) | instid1(SALU_CYCLE_1)
	s_add_nc_u64 s[8:9], s[10:11], s[8:9]
	s_mul_u64 s[10:11], s[4:5], s[0:1]
	s_lshl_b64 s[6:7], s[10:11], 2
	s_delay_alu instid0(VALU_DEP_2)
	v_lshl_add_u64 v[0:1], v[0:1], 2, s[8:9]
	s_lshl_b64 s[8:9], s[0:1], 2
.LBB1219_14:                            ; =>This Inner Loop Header: Depth=1
	global_load_b32 v6, v[0:1], off
	v_add_nc_u64_e32 v[4:5], s[0:1], v[4:5]
	s_wait_xcnt 0x0
	v_add_nc_u64_e32 v[0:1], s[6:7], v[0:1]
	s_delay_alu instid0(VALU_DEP_2)
	v_cmp_le_u64_e32 vcc_lo, s[2:3], v[4:5]
	s_or_b32 s5, vcc_lo, s5
	s_wait_loadcnt 0x0
	global_store_b32 v[2:3], v6, off
	s_wait_xcnt 0x0
	v_add_nc_u64_e32 v[2:3], s[8:9], v[2:3]
	s_and_not1_b32 exec_lo, exec_lo, s5
	s_cbranch_execnz .LBB1219_14
.LBB1219_15:
	s_endpgm
	.section	.rodata,"a",@progbits
	.p2align	6, 0x0
	.amdhsa_kernel _ZN7rocprim17ROCPRIM_400000_NS6detail30init_device_scan_by_key_kernelINS1_19lookback_scan_stateINS0_5tupleIJjbEEELb0ELb1EEEN6thrust23THRUST_200600_302600_NS6detail15normal_iteratorINS8_10device_ptrIiEEEEjNS1_16block_id_wrapperIjLb0EEEEEvT_jjPNSG_10value_typeET0_PNSt15iterator_traitsISJ_E10value_typeEmT1_T2_
		.amdhsa_group_segment_fixed_size 0
		.amdhsa_private_segment_fixed_size 0
		.amdhsa_kernarg_size 312
		.amdhsa_user_sgpr_count 2
		.amdhsa_user_sgpr_dispatch_ptr 0
		.amdhsa_user_sgpr_queue_ptr 0
		.amdhsa_user_sgpr_kernarg_segment_ptr 1
		.amdhsa_user_sgpr_dispatch_id 0
		.amdhsa_user_sgpr_kernarg_preload_length 0
		.amdhsa_user_sgpr_kernarg_preload_offset 0
		.amdhsa_user_sgpr_private_segment_size 0
		.amdhsa_wavefront_size32 1
		.amdhsa_uses_dynamic_stack 0
		.amdhsa_enable_private_segment 0
		.amdhsa_system_sgpr_workgroup_id_x 1
		.amdhsa_system_sgpr_workgroup_id_y 0
		.amdhsa_system_sgpr_workgroup_id_z 0
		.amdhsa_system_sgpr_workgroup_info 0
		.amdhsa_system_vgpr_workitem_id 0
		.amdhsa_next_free_vgpr 10
		.amdhsa_next_free_sgpr 17
		.amdhsa_named_barrier_count 0
		.amdhsa_reserve_vcc 1
		.amdhsa_float_round_mode_32 0
		.amdhsa_float_round_mode_16_64 0
		.amdhsa_float_denorm_mode_32 3
		.amdhsa_float_denorm_mode_16_64 3
		.amdhsa_fp16_overflow 0
		.amdhsa_memory_ordered 1
		.amdhsa_forward_progress 1
		.amdhsa_inst_pref_size 5
		.amdhsa_round_robin_scheduling 0
		.amdhsa_exception_fp_ieee_invalid_op 0
		.amdhsa_exception_fp_denorm_src 0
		.amdhsa_exception_fp_ieee_div_zero 0
		.amdhsa_exception_fp_ieee_overflow 0
		.amdhsa_exception_fp_ieee_underflow 0
		.amdhsa_exception_fp_ieee_inexact 0
		.amdhsa_exception_int_div_zero 0
	.end_amdhsa_kernel
	.section	.text._ZN7rocprim17ROCPRIM_400000_NS6detail30init_device_scan_by_key_kernelINS1_19lookback_scan_stateINS0_5tupleIJjbEEELb0ELb1EEEN6thrust23THRUST_200600_302600_NS6detail15normal_iteratorINS8_10device_ptrIiEEEEjNS1_16block_id_wrapperIjLb0EEEEEvT_jjPNSG_10value_typeET0_PNSt15iterator_traitsISJ_E10value_typeEmT1_T2_,"axG",@progbits,_ZN7rocprim17ROCPRIM_400000_NS6detail30init_device_scan_by_key_kernelINS1_19lookback_scan_stateINS0_5tupleIJjbEEELb0ELb1EEEN6thrust23THRUST_200600_302600_NS6detail15normal_iteratorINS8_10device_ptrIiEEEEjNS1_16block_id_wrapperIjLb0EEEEEvT_jjPNSG_10value_typeET0_PNSt15iterator_traitsISJ_E10value_typeEmT1_T2_,comdat
.Lfunc_end1219:
	.size	_ZN7rocprim17ROCPRIM_400000_NS6detail30init_device_scan_by_key_kernelINS1_19lookback_scan_stateINS0_5tupleIJjbEEELb0ELb1EEEN6thrust23THRUST_200600_302600_NS6detail15normal_iteratorINS8_10device_ptrIiEEEEjNS1_16block_id_wrapperIjLb0EEEEEvT_jjPNSG_10value_typeET0_PNSt15iterator_traitsISJ_E10value_typeEmT1_T2_, .Lfunc_end1219-_ZN7rocprim17ROCPRIM_400000_NS6detail30init_device_scan_by_key_kernelINS1_19lookback_scan_stateINS0_5tupleIJjbEEELb0ELb1EEEN6thrust23THRUST_200600_302600_NS6detail15normal_iteratorINS8_10device_ptrIiEEEEjNS1_16block_id_wrapperIjLb0EEEEEvT_jjPNSG_10value_typeET0_PNSt15iterator_traitsISJ_E10value_typeEmT1_T2_
                                        ; -- End function
	.set _ZN7rocprim17ROCPRIM_400000_NS6detail30init_device_scan_by_key_kernelINS1_19lookback_scan_stateINS0_5tupleIJjbEEELb0ELb1EEEN6thrust23THRUST_200600_302600_NS6detail15normal_iteratorINS8_10device_ptrIiEEEEjNS1_16block_id_wrapperIjLb0EEEEEvT_jjPNSG_10value_typeET0_PNSt15iterator_traitsISJ_E10value_typeEmT1_T2_.num_vgpr, 10
	.set _ZN7rocprim17ROCPRIM_400000_NS6detail30init_device_scan_by_key_kernelINS1_19lookback_scan_stateINS0_5tupleIJjbEEELb0ELb1EEEN6thrust23THRUST_200600_302600_NS6detail15normal_iteratorINS8_10device_ptrIiEEEEjNS1_16block_id_wrapperIjLb0EEEEEvT_jjPNSG_10value_typeET0_PNSt15iterator_traitsISJ_E10value_typeEmT1_T2_.num_agpr, 0
	.set _ZN7rocprim17ROCPRIM_400000_NS6detail30init_device_scan_by_key_kernelINS1_19lookback_scan_stateINS0_5tupleIJjbEEELb0ELb1EEEN6thrust23THRUST_200600_302600_NS6detail15normal_iteratorINS8_10device_ptrIiEEEEjNS1_16block_id_wrapperIjLb0EEEEEvT_jjPNSG_10value_typeET0_PNSt15iterator_traitsISJ_E10value_typeEmT1_T2_.numbered_sgpr, 17
	.set _ZN7rocprim17ROCPRIM_400000_NS6detail30init_device_scan_by_key_kernelINS1_19lookback_scan_stateINS0_5tupleIJjbEEELb0ELb1EEEN6thrust23THRUST_200600_302600_NS6detail15normal_iteratorINS8_10device_ptrIiEEEEjNS1_16block_id_wrapperIjLb0EEEEEvT_jjPNSG_10value_typeET0_PNSt15iterator_traitsISJ_E10value_typeEmT1_T2_.num_named_barrier, 0
	.set _ZN7rocprim17ROCPRIM_400000_NS6detail30init_device_scan_by_key_kernelINS1_19lookback_scan_stateINS0_5tupleIJjbEEELb0ELb1EEEN6thrust23THRUST_200600_302600_NS6detail15normal_iteratorINS8_10device_ptrIiEEEEjNS1_16block_id_wrapperIjLb0EEEEEvT_jjPNSG_10value_typeET0_PNSt15iterator_traitsISJ_E10value_typeEmT1_T2_.private_seg_size, 0
	.set _ZN7rocprim17ROCPRIM_400000_NS6detail30init_device_scan_by_key_kernelINS1_19lookback_scan_stateINS0_5tupleIJjbEEELb0ELb1EEEN6thrust23THRUST_200600_302600_NS6detail15normal_iteratorINS8_10device_ptrIiEEEEjNS1_16block_id_wrapperIjLb0EEEEEvT_jjPNSG_10value_typeET0_PNSt15iterator_traitsISJ_E10value_typeEmT1_T2_.uses_vcc, 1
	.set _ZN7rocprim17ROCPRIM_400000_NS6detail30init_device_scan_by_key_kernelINS1_19lookback_scan_stateINS0_5tupleIJjbEEELb0ELb1EEEN6thrust23THRUST_200600_302600_NS6detail15normal_iteratorINS8_10device_ptrIiEEEEjNS1_16block_id_wrapperIjLb0EEEEEvT_jjPNSG_10value_typeET0_PNSt15iterator_traitsISJ_E10value_typeEmT1_T2_.uses_flat_scratch, 0
	.set _ZN7rocprim17ROCPRIM_400000_NS6detail30init_device_scan_by_key_kernelINS1_19lookback_scan_stateINS0_5tupleIJjbEEELb0ELb1EEEN6thrust23THRUST_200600_302600_NS6detail15normal_iteratorINS8_10device_ptrIiEEEEjNS1_16block_id_wrapperIjLb0EEEEEvT_jjPNSG_10value_typeET0_PNSt15iterator_traitsISJ_E10value_typeEmT1_T2_.has_dyn_sized_stack, 0
	.set _ZN7rocprim17ROCPRIM_400000_NS6detail30init_device_scan_by_key_kernelINS1_19lookback_scan_stateINS0_5tupleIJjbEEELb0ELb1EEEN6thrust23THRUST_200600_302600_NS6detail15normal_iteratorINS8_10device_ptrIiEEEEjNS1_16block_id_wrapperIjLb0EEEEEvT_jjPNSG_10value_typeET0_PNSt15iterator_traitsISJ_E10value_typeEmT1_T2_.has_recursion, 0
	.set _ZN7rocprim17ROCPRIM_400000_NS6detail30init_device_scan_by_key_kernelINS1_19lookback_scan_stateINS0_5tupleIJjbEEELb0ELb1EEEN6thrust23THRUST_200600_302600_NS6detail15normal_iteratorINS8_10device_ptrIiEEEEjNS1_16block_id_wrapperIjLb0EEEEEvT_jjPNSG_10value_typeET0_PNSt15iterator_traitsISJ_E10value_typeEmT1_T2_.has_indirect_call, 0
	.section	.AMDGPU.csdata,"",@progbits
; Kernel info:
; codeLenInByte = 584
; TotalNumSgprs: 19
; NumVgprs: 10
; ScratchSize: 0
; MemoryBound: 0
; FloatMode: 240
; IeeeMode: 1
; LDSByteSize: 0 bytes/workgroup (compile time only)
; SGPRBlocks: 0
; VGPRBlocks: 0
; NumSGPRsForWavesPerEU: 19
; NumVGPRsForWavesPerEU: 10
; NamedBarCnt: 0
; Occupancy: 16
; WaveLimiterHint : 0
; COMPUTE_PGM_RSRC2:SCRATCH_EN: 0
; COMPUTE_PGM_RSRC2:USER_SGPR: 2
; COMPUTE_PGM_RSRC2:TRAP_HANDLER: 0
; COMPUTE_PGM_RSRC2:TGID_X_EN: 1
; COMPUTE_PGM_RSRC2:TGID_Y_EN: 0
; COMPUTE_PGM_RSRC2:TGID_Z_EN: 0
; COMPUTE_PGM_RSRC2:TIDIG_COMP_CNT: 0
	.section	.text._ZN7rocprim17ROCPRIM_400000_NS6detail30init_device_scan_by_key_kernelINS1_19lookback_scan_stateINS0_5tupleIJjbEEELb0ELb1EEENS1_16block_id_wrapperIjLb0EEEEEvT_jjPNS9_10value_typeET0_,"axG",@progbits,_ZN7rocprim17ROCPRIM_400000_NS6detail30init_device_scan_by_key_kernelINS1_19lookback_scan_stateINS0_5tupleIJjbEEELb0ELb1EEENS1_16block_id_wrapperIjLb0EEEEEvT_jjPNS9_10value_typeET0_,comdat
	.protected	_ZN7rocprim17ROCPRIM_400000_NS6detail30init_device_scan_by_key_kernelINS1_19lookback_scan_stateINS0_5tupleIJjbEEELb0ELb1EEENS1_16block_id_wrapperIjLb0EEEEEvT_jjPNS9_10value_typeET0_ ; -- Begin function _ZN7rocprim17ROCPRIM_400000_NS6detail30init_device_scan_by_key_kernelINS1_19lookback_scan_stateINS0_5tupleIJjbEEELb0ELb1EEENS1_16block_id_wrapperIjLb0EEEEEvT_jjPNS9_10value_typeET0_
	.globl	_ZN7rocprim17ROCPRIM_400000_NS6detail30init_device_scan_by_key_kernelINS1_19lookback_scan_stateINS0_5tupleIJjbEEELb0ELb1EEENS1_16block_id_wrapperIjLb0EEEEEvT_jjPNS9_10value_typeET0_
	.p2align	8
	.type	_ZN7rocprim17ROCPRIM_400000_NS6detail30init_device_scan_by_key_kernelINS1_19lookback_scan_stateINS0_5tupleIJjbEEELb0ELb1EEENS1_16block_id_wrapperIjLb0EEEEEvT_jjPNS9_10value_typeET0_,@function
_ZN7rocprim17ROCPRIM_400000_NS6detail30init_device_scan_by_key_kernelINS1_19lookback_scan_stateINS0_5tupleIJjbEEELb0ELb1EEENS1_16block_id_wrapperIjLb0EEEEEvT_jjPNS9_10value_typeET0_: ; @_ZN7rocprim17ROCPRIM_400000_NS6detail30init_device_scan_by_key_kernelINS1_19lookback_scan_stateINS0_5tupleIJjbEEELb0ELb1EEENS1_16block_id_wrapperIjLb0EEEEEvT_jjPNS9_10value_typeET0_
; %bb.0:
	s_clause 0x2
	s_load_b32 s8, s[0:1], 0x2c
	s_load_b128 s[4:7], s[0:1], 0x0
	s_load_b64 s[2:3], s[0:1], 0x10
	s_wait_xcnt 0x0
	s_bfe_u32 s0, ttmp6, 0x4000c
	s_and_b32 s1, ttmp6, 15
	s_add_co_i32 s0, s0, 1
	s_getreg_b32 s9, hwreg(HW_REG_IB_STS2, 6, 4)
	s_mul_i32 s0, ttmp9, s0
	s_delay_alu instid0(SALU_CYCLE_1)
	s_add_co_i32 s1, s1, s0
	s_wait_kmcnt 0x0
	s_and_b32 s8, s8, 0xffff
	s_cmp_eq_u32 s9, 0
	s_cselect_b32 s0, ttmp9, s1
	s_cmp_eq_u64 s[2:3], 0
	v_mad_u32 v8, s0, s8, v0
	s_cbranch_scc1 .LBB1220_8
; %bb.1:
	s_cmp_lt_u32 s7, s6
	s_mov_b32 s10, exec_lo
	s_cselect_b32 s0, s7, 0
	s_delay_alu instid0(VALU_DEP_1) | instid1(SALU_CYCLE_1)
	v_cmpx_eq_u32_e64 s0, v8
	s_cbranch_execz .LBB1220_7
; %bb.2:
	s_add_co_i32 s0, s7, 32
	s_mov_b32 s1, 0
	v_mov_b32_e32 v5, 0
	s_lshl_b64 s[8:9], s[0:1], 4
	s_mov_b32 s0, exec_lo
	s_add_nc_u64 s[8:9], s[4:5], s[8:9]
	s_delay_alu instid0(SALU_CYCLE_1) | instskip(SKIP_2) | instid1(VALU_DEP_1)
	v_mov_b64_e32 v[0:1], s[8:9]
	;;#ASMSTART
	global_load_b128 v[0:3], v[0:1] off scope:SCOPE_DEV	
s_wait_loadcnt 0x0
	;;#ASMEND
	v_and_b32_e32 v4, 0xff, v2
	v_cmpx_eq_u64_e32 0, v[4:5]
	s_cbranch_execz .LBB1220_6
; %bb.3:
	v_mov_b64_e32 v[6:7], s[8:9]
.LBB1220_4:                             ; =>This Inner Loop Header: Depth=1
	;;#ASMSTART
	global_load_b128 v[0:3], v[6:7] off scope:SCOPE_DEV	
s_wait_loadcnt 0x0
	;;#ASMEND
	v_and_b32_e32 v4, 0xff, v2
	s_delay_alu instid0(VALU_DEP_1) | instskip(SKIP_1) | instid1(SALU_CYCLE_1)
	v_cmp_ne_u64_e32 vcc_lo, 0, v[4:5]
	s_or_b32 s1, vcc_lo, s1
	s_and_not1_b32 exec_lo, exec_lo, s1
	s_cbranch_execnz .LBB1220_4
; %bb.5:
	s_or_b32 exec_lo, exec_lo, s1
.LBB1220_6:
	s_delay_alu instid0(SALU_CYCLE_1)
	s_or_b32 exec_lo, exec_lo, s0
	v_mov_b32_e32 v2, 0
	s_clause 0x1
	global_store_b32 v2, v0, s[2:3]
	global_store_b8 v2, v1, s[2:3] offset:4
.LBB1220_7:
	s_wait_xcnt 0x0
	s_or_b32 exec_lo, exec_lo, s10
.LBB1220_8:
	s_delay_alu instid0(SALU_CYCLE_1) | instskip(NEXT) | instid1(VALU_DEP_1)
	s_mov_b32 s0, exec_lo
	v_cmpx_gt_u32_e64 s6, v8
	s_cbranch_execz .LBB1220_10
; %bb.9:
	v_dual_mov_b32 v0, 0 :: v_dual_add_nc_u32 v4, 32, v8
	s_delay_alu instid0(VALU_DEP_1)
	v_dual_mov_b32 v1, v0 :: v_dual_mov_b32 v2, v0
	v_mov_b32_e32 v3, v0
	global_store_b128 v4, v[0:3], s[4:5] scale_offset
.LBB1220_10:
	s_wait_xcnt 0x0
	s_or_b32 exec_lo, exec_lo, s0
	s_delay_alu instid0(SALU_CYCLE_1)
	s_mov_b32 s0, exec_lo
	v_cmpx_gt_u32_e32 32, v8
	s_cbranch_execz .LBB1220_12
; %bb.11:
	v_mov_b32_e32 v0, 0
	s_delay_alu instid0(VALU_DEP_1)
	v_dual_mov_b32 v2, 0xff :: v_dual_mov_b32 v1, v0
	v_mov_b32_e32 v3, v0
	global_store_b128 v8, v[0:3], s[4:5] scale_offset
.LBB1220_12:
	s_endpgm
	.section	.rodata,"a",@progbits
	.p2align	6, 0x0
	.amdhsa_kernel _ZN7rocprim17ROCPRIM_400000_NS6detail30init_device_scan_by_key_kernelINS1_19lookback_scan_stateINS0_5tupleIJjbEEELb0ELb1EEENS1_16block_id_wrapperIjLb0EEEEEvT_jjPNS9_10value_typeET0_
		.amdhsa_group_segment_fixed_size 0
		.amdhsa_private_segment_fixed_size 0
		.amdhsa_kernarg_size 288
		.amdhsa_user_sgpr_count 2
		.amdhsa_user_sgpr_dispatch_ptr 0
		.amdhsa_user_sgpr_queue_ptr 0
		.amdhsa_user_sgpr_kernarg_segment_ptr 1
		.amdhsa_user_sgpr_dispatch_id 0
		.amdhsa_user_sgpr_kernarg_preload_length 0
		.amdhsa_user_sgpr_kernarg_preload_offset 0
		.amdhsa_user_sgpr_private_segment_size 0
		.amdhsa_wavefront_size32 1
		.amdhsa_uses_dynamic_stack 0
		.amdhsa_enable_private_segment 0
		.amdhsa_system_sgpr_workgroup_id_x 1
		.amdhsa_system_sgpr_workgroup_id_y 0
		.amdhsa_system_sgpr_workgroup_id_z 0
		.amdhsa_system_sgpr_workgroup_info 0
		.amdhsa_system_vgpr_workitem_id 0
		.amdhsa_next_free_vgpr 9
		.amdhsa_next_free_sgpr 11
		.amdhsa_named_barrier_count 0
		.amdhsa_reserve_vcc 1
		.amdhsa_float_round_mode_32 0
		.amdhsa_float_round_mode_16_64 0
		.amdhsa_float_denorm_mode_32 3
		.amdhsa_float_denorm_mode_16_64 3
		.amdhsa_fp16_overflow 0
		.amdhsa_memory_ordered 1
		.amdhsa_forward_progress 1
		.amdhsa_inst_pref_size 3
		.amdhsa_round_robin_scheduling 0
		.amdhsa_exception_fp_ieee_invalid_op 0
		.amdhsa_exception_fp_denorm_src 0
		.amdhsa_exception_fp_ieee_div_zero 0
		.amdhsa_exception_fp_ieee_overflow 0
		.amdhsa_exception_fp_ieee_underflow 0
		.amdhsa_exception_fp_ieee_inexact 0
		.amdhsa_exception_int_div_zero 0
	.end_amdhsa_kernel
	.section	.text._ZN7rocprim17ROCPRIM_400000_NS6detail30init_device_scan_by_key_kernelINS1_19lookback_scan_stateINS0_5tupleIJjbEEELb0ELb1EEENS1_16block_id_wrapperIjLb0EEEEEvT_jjPNS9_10value_typeET0_,"axG",@progbits,_ZN7rocprim17ROCPRIM_400000_NS6detail30init_device_scan_by_key_kernelINS1_19lookback_scan_stateINS0_5tupleIJjbEEELb0ELb1EEENS1_16block_id_wrapperIjLb0EEEEEvT_jjPNS9_10value_typeET0_,comdat
.Lfunc_end1220:
	.size	_ZN7rocprim17ROCPRIM_400000_NS6detail30init_device_scan_by_key_kernelINS1_19lookback_scan_stateINS0_5tupleIJjbEEELb0ELb1EEENS1_16block_id_wrapperIjLb0EEEEEvT_jjPNS9_10value_typeET0_, .Lfunc_end1220-_ZN7rocprim17ROCPRIM_400000_NS6detail30init_device_scan_by_key_kernelINS1_19lookback_scan_stateINS0_5tupleIJjbEEELb0ELb1EEENS1_16block_id_wrapperIjLb0EEEEEvT_jjPNS9_10value_typeET0_
                                        ; -- End function
	.set _ZN7rocprim17ROCPRIM_400000_NS6detail30init_device_scan_by_key_kernelINS1_19lookback_scan_stateINS0_5tupleIJjbEEELb0ELb1EEENS1_16block_id_wrapperIjLb0EEEEEvT_jjPNS9_10value_typeET0_.num_vgpr, 9
	.set _ZN7rocprim17ROCPRIM_400000_NS6detail30init_device_scan_by_key_kernelINS1_19lookback_scan_stateINS0_5tupleIJjbEEELb0ELb1EEENS1_16block_id_wrapperIjLb0EEEEEvT_jjPNS9_10value_typeET0_.num_agpr, 0
	.set _ZN7rocprim17ROCPRIM_400000_NS6detail30init_device_scan_by_key_kernelINS1_19lookback_scan_stateINS0_5tupleIJjbEEELb0ELb1EEENS1_16block_id_wrapperIjLb0EEEEEvT_jjPNS9_10value_typeET0_.numbered_sgpr, 11
	.set _ZN7rocprim17ROCPRIM_400000_NS6detail30init_device_scan_by_key_kernelINS1_19lookback_scan_stateINS0_5tupleIJjbEEELb0ELb1EEENS1_16block_id_wrapperIjLb0EEEEEvT_jjPNS9_10value_typeET0_.num_named_barrier, 0
	.set _ZN7rocprim17ROCPRIM_400000_NS6detail30init_device_scan_by_key_kernelINS1_19lookback_scan_stateINS0_5tupleIJjbEEELb0ELb1EEENS1_16block_id_wrapperIjLb0EEEEEvT_jjPNS9_10value_typeET0_.private_seg_size, 0
	.set _ZN7rocprim17ROCPRIM_400000_NS6detail30init_device_scan_by_key_kernelINS1_19lookback_scan_stateINS0_5tupleIJjbEEELb0ELb1EEENS1_16block_id_wrapperIjLb0EEEEEvT_jjPNS9_10value_typeET0_.uses_vcc, 1
	.set _ZN7rocprim17ROCPRIM_400000_NS6detail30init_device_scan_by_key_kernelINS1_19lookback_scan_stateINS0_5tupleIJjbEEELb0ELb1EEENS1_16block_id_wrapperIjLb0EEEEEvT_jjPNS9_10value_typeET0_.uses_flat_scratch, 0
	.set _ZN7rocprim17ROCPRIM_400000_NS6detail30init_device_scan_by_key_kernelINS1_19lookback_scan_stateINS0_5tupleIJjbEEELb0ELb1EEENS1_16block_id_wrapperIjLb0EEEEEvT_jjPNS9_10value_typeET0_.has_dyn_sized_stack, 0
	.set _ZN7rocprim17ROCPRIM_400000_NS6detail30init_device_scan_by_key_kernelINS1_19lookback_scan_stateINS0_5tupleIJjbEEELb0ELb1EEENS1_16block_id_wrapperIjLb0EEEEEvT_jjPNS9_10value_typeET0_.has_recursion, 0
	.set _ZN7rocprim17ROCPRIM_400000_NS6detail30init_device_scan_by_key_kernelINS1_19lookback_scan_stateINS0_5tupleIJjbEEELb0ELb1EEENS1_16block_id_wrapperIjLb0EEEEEvT_jjPNS9_10value_typeET0_.has_indirect_call, 0
	.section	.AMDGPU.csdata,"",@progbits
; Kernel info:
; codeLenInByte = 384
; TotalNumSgprs: 13
; NumVgprs: 9
; ScratchSize: 0
; MemoryBound: 0
; FloatMode: 240
; IeeeMode: 1
; LDSByteSize: 0 bytes/workgroup (compile time only)
; SGPRBlocks: 0
; VGPRBlocks: 0
; NumSGPRsForWavesPerEU: 13
; NumVGPRsForWavesPerEU: 9
; NamedBarCnt: 0
; Occupancy: 16
; WaveLimiterHint : 0
; COMPUTE_PGM_RSRC2:SCRATCH_EN: 0
; COMPUTE_PGM_RSRC2:USER_SGPR: 2
; COMPUTE_PGM_RSRC2:TRAP_HANDLER: 0
; COMPUTE_PGM_RSRC2:TGID_X_EN: 1
; COMPUTE_PGM_RSRC2:TGID_Y_EN: 0
; COMPUTE_PGM_RSRC2:TGID_Z_EN: 0
; COMPUTE_PGM_RSRC2:TIDIG_COMP_CNT: 0
	.section	.text._ZN7rocprim17ROCPRIM_400000_NS6detail17trampoline_kernelINS0_14default_configENS1_27scan_by_key_config_selectorIijEEZZNS1_16scan_by_key_implILNS1_25lookback_scan_determinismE0ELb0ES3_N6thrust23THRUST_200600_302600_NS6detail15normal_iteratorINS9_10device_ptrIiEEEENSB_INSC_IjEEEESG_jNS9_4plusIvEENS9_8equal_toIvEEjEE10hipError_tPvRmT2_T3_T4_T5_mT6_T7_P12ihipStream_tbENKUlT_T0_E_clISt17integral_constantIbLb0EES11_EEDaSW_SX_EUlSW_E_NS1_11comp_targetILNS1_3genE0ELNS1_11target_archE4294967295ELNS1_3gpuE0ELNS1_3repE0EEENS1_30default_config_static_selectorELNS0_4arch9wavefront6targetE0EEEvT1_,"axG",@progbits,_ZN7rocprim17ROCPRIM_400000_NS6detail17trampoline_kernelINS0_14default_configENS1_27scan_by_key_config_selectorIijEEZZNS1_16scan_by_key_implILNS1_25lookback_scan_determinismE0ELb0ES3_N6thrust23THRUST_200600_302600_NS6detail15normal_iteratorINS9_10device_ptrIiEEEENSB_INSC_IjEEEESG_jNS9_4plusIvEENS9_8equal_toIvEEjEE10hipError_tPvRmT2_T3_T4_T5_mT6_T7_P12ihipStream_tbENKUlT_T0_E_clISt17integral_constantIbLb0EES11_EEDaSW_SX_EUlSW_E_NS1_11comp_targetILNS1_3genE0ELNS1_11target_archE4294967295ELNS1_3gpuE0ELNS1_3repE0EEENS1_30default_config_static_selectorELNS0_4arch9wavefront6targetE0EEEvT1_,comdat
	.protected	_ZN7rocprim17ROCPRIM_400000_NS6detail17trampoline_kernelINS0_14default_configENS1_27scan_by_key_config_selectorIijEEZZNS1_16scan_by_key_implILNS1_25lookback_scan_determinismE0ELb0ES3_N6thrust23THRUST_200600_302600_NS6detail15normal_iteratorINS9_10device_ptrIiEEEENSB_INSC_IjEEEESG_jNS9_4plusIvEENS9_8equal_toIvEEjEE10hipError_tPvRmT2_T3_T4_T5_mT6_T7_P12ihipStream_tbENKUlT_T0_E_clISt17integral_constantIbLb0EES11_EEDaSW_SX_EUlSW_E_NS1_11comp_targetILNS1_3genE0ELNS1_11target_archE4294967295ELNS1_3gpuE0ELNS1_3repE0EEENS1_30default_config_static_selectorELNS0_4arch9wavefront6targetE0EEEvT1_ ; -- Begin function _ZN7rocprim17ROCPRIM_400000_NS6detail17trampoline_kernelINS0_14default_configENS1_27scan_by_key_config_selectorIijEEZZNS1_16scan_by_key_implILNS1_25lookback_scan_determinismE0ELb0ES3_N6thrust23THRUST_200600_302600_NS6detail15normal_iteratorINS9_10device_ptrIiEEEENSB_INSC_IjEEEESG_jNS9_4plusIvEENS9_8equal_toIvEEjEE10hipError_tPvRmT2_T3_T4_T5_mT6_T7_P12ihipStream_tbENKUlT_T0_E_clISt17integral_constantIbLb0EES11_EEDaSW_SX_EUlSW_E_NS1_11comp_targetILNS1_3genE0ELNS1_11target_archE4294967295ELNS1_3gpuE0ELNS1_3repE0EEENS1_30default_config_static_selectorELNS0_4arch9wavefront6targetE0EEEvT1_
	.globl	_ZN7rocprim17ROCPRIM_400000_NS6detail17trampoline_kernelINS0_14default_configENS1_27scan_by_key_config_selectorIijEEZZNS1_16scan_by_key_implILNS1_25lookback_scan_determinismE0ELb0ES3_N6thrust23THRUST_200600_302600_NS6detail15normal_iteratorINS9_10device_ptrIiEEEENSB_INSC_IjEEEESG_jNS9_4plusIvEENS9_8equal_toIvEEjEE10hipError_tPvRmT2_T3_T4_T5_mT6_T7_P12ihipStream_tbENKUlT_T0_E_clISt17integral_constantIbLb0EES11_EEDaSW_SX_EUlSW_E_NS1_11comp_targetILNS1_3genE0ELNS1_11target_archE4294967295ELNS1_3gpuE0ELNS1_3repE0EEENS1_30default_config_static_selectorELNS0_4arch9wavefront6targetE0EEEvT1_
	.p2align	8
	.type	_ZN7rocprim17ROCPRIM_400000_NS6detail17trampoline_kernelINS0_14default_configENS1_27scan_by_key_config_selectorIijEEZZNS1_16scan_by_key_implILNS1_25lookback_scan_determinismE0ELb0ES3_N6thrust23THRUST_200600_302600_NS6detail15normal_iteratorINS9_10device_ptrIiEEEENSB_INSC_IjEEEESG_jNS9_4plusIvEENS9_8equal_toIvEEjEE10hipError_tPvRmT2_T3_T4_T5_mT6_T7_P12ihipStream_tbENKUlT_T0_E_clISt17integral_constantIbLb0EES11_EEDaSW_SX_EUlSW_E_NS1_11comp_targetILNS1_3genE0ELNS1_11target_archE4294967295ELNS1_3gpuE0ELNS1_3repE0EEENS1_30default_config_static_selectorELNS0_4arch9wavefront6targetE0EEEvT1_,@function
_ZN7rocprim17ROCPRIM_400000_NS6detail17trampoline_kernelINS0_14default_configENS1_27scan_by_key_config_selectorIijEEZZNS1_16scan_by_key_implILNS1_25lookback_scan_determinismE0ELb0ES3_N6thrust23THRUST_200600_302600_NS6detail15normal_iteratorINS9_10device_ptrIiEEEENSB_INSC_IjEEEESG_jNS9_4plusIvEENS9_8equal_toIvEEjEE10hipError_tPvRmT2_T3_T4_T5_mT6_T7_P12ihipStream_tbENKUlT_T0_E_clISt17integral_constantIbLb0EES11_EEDaSW_SX_EUlSW_E_NS1_11comp_targetILNS1_3genE0ELNS1_11target_archE4294967295ELNS1_3gpuE0ELNS1_3repE0EEENS1_30default_config_static_selectorELNS0_4arch9wavefront6targetE0EEEvT1_: ; @_ZN7rocprim17ROCPRIM_400000_NS6detail17trampoline_kernelINS0_14default_configENS1_27scan_by_key_config_selectorIijEEZZNS1_16scan_by_key_implILNS1_25lookback_scan_determinismE0ELb0ES3_N6thrust23THRUST_200600_302600_NS6detail15normal_iteratorINS9_10device_ptrIiEEEENSB_INSC_IjEEEESG_jNS9_4plusIvEENS9_8equal_toIvEEjEE10hipError_tPvRmT2_T3_T4_T5_mT6_T7_P12ihipStream_tbENKUlT_T0_E_clISt17integral_constantIbLb0EES11_EEDaSW_SX_EUlSW_E_NS1_11comp_targetILNS1_3genE0ELNS1_11target_archE4294967295ELNS1_3gpuE0ELNS1_3repE0EEENS1_30default_config_static_selectorELNS0_4arch9wavefront6targetE0EEEvT1_
; %bb.0:
	s_clause 0x3
	s_load_b256 s[8:15], s[0:1], 0x0
	s_load_b256 s[16:23], s[0:1], 0x48
	s_load_b96 s[28:30], s[0:1], 0x38
	s_load_b128 s[24:27], s[0:1], 0x28
	s_getreg_b32 s4, hwreg(HW_REG_IB_STS2, 6, 4)
	s_wait_xcnt 0x0
	s_mov_b32 s1, 0
	s_barrier_signal -1
	s_barrier_wait -1
	s_wait_kmcnt 0x0
	s_lshl_b64 s[34:35], s[10:11], 2
	s_cmp_lg_u64 s[20:21], 0
	s_mov_b32 s0, s30
	s_cselect_b32 s33, -1, 0
	s_bfe_u32 s2, ttmp6, 0x4000c
	s_and_b32 s5, ttmp6, 15
	s_add_co_i32 s2, s2, 1
	s_mov_b32 s21, s1
	s_mul_i32 s6, ttmp9, s2
	s_add_nc_u64 s[2:3], s[8:9], s[34:35]
	s_add_co_i32 s6, s5, s6
	s_cmp_eq_u32 s4, 0
	s_mul_u64 s[4:5], s[28:29], s[0:1]
	s_cselect_b32 s20, ttmp9, s6
	s_add_nc_u64 s[6:7], s[12:13], s[34:35]
	s_add_nc_u64 s[36:37], s[4:5], s[20:21]
	s_add_nc_u64 s[4:5], s[16:17], -1
	s_mul_i32 s0, s20, 0xc00
	v_cmp_ge_u64_e64 s21, s[36:37], s[4:5]
	s_lshl_b64 s[16:17], s[0:1], 2
	s_mul_i32 s27, s4, 0xfffff400
	s_add_nc_u64 s[30:31], s[2:3], s[16:17]
	s_add_nc_u64 s[12:13], s[6:7], s[16:17]
	s_and_b32 vcc_lo, exec_lo, s21
	s_cbranch_vccz .LBB1221_28
; %bb.1:
	v_mov_b32_e32 v1, 0
	s_add_co_i32 s40, s27, s26
	s_delay_alu instid0(SALU_CYCLE_1)
	v_cmp_gt_u32_e64 s0, s40, v0
	flat_load_b32 v1, v1, s[30:31]
	s_wait_loadcnt_dscnt 0x0
	v_mov_b32_e32 v2, v1
	s_and_saveexec_b32 s1, s0
	s_cbranch_execz .LBB1221_3
; %bb.2:
	flat_load_b32 v2, v0, s[30:31] scale_offset
.LBB1221_3:
	s_wait_xcnt 0x0
	s_or_b32 exec_lo, exec_lo, s1
	v_or_b32_e32 v3, 0x100, v0
	v_mov_b32_e32 v4, v1
	s_delay_alu instid0(VALU_DEP_2)
	v_cmp_gt_u32_e64 s1, s40, v3
	s_and_saveexec_b32 s2, s1
	s_cbranch_execz .LBB1221_5
; %bb.4:
	flat_load_b32 v4, v0, s[30:31] offset:1024 scale_offset
.LBB1221_5:
	s_wait_xcnt 0x0
	s_or_b32 exec_lo, exec_lo, s2
	v_or_b32_e32 v3, 0x200, v0
	v_mov_b32_e32 v5, v1
	s_delay_alu instid0(VALU_DEP_2)
	v_cmp_gt_u32_e64 s2, s40, v3
	s_and_saveexec_b32 s3, s2
	s_cbranch_execz .LBB1221_7
; %bb.6:
	flat_load_b32 v5, v0, s[30:31] offset:2048 scale_offset
.LBB1221_7:
	;; [unrolled: 11-line block ×10, first 2 shown]
	s_wait_xcnt 0x0
	s_or_b32 exec_lo, exec_lo, s11
	v_or_b32_e32 v3, 0xb00, v0
	s_mov_b32 s38, exec_lo
	s_delay_alu instid0(VALU_DEP_1) | instskip(SKIP_2) | instid1(SALU_CYCLE_1)
	v_cmp_gt_u32_e64 s11, s40, v3
	v_cmpx_le_u32_e64 s40, v3
	s_xor_b32 s38, exec_lo, s38
	s_and_not1_saveexec_b32 s38, s38
	s_cbranch_execz .LBB1221_25
; %bb.24:
	flat_load_b32 v1, v0, s[30:31] offset:11264 scale_offset
.LBB1221_25:
	s_wait_xcnt 0x0
	s_or_b32 exec_lo, exec_lo, s38
	v_lshlrev_b32_e32 v3, 2, v0
	s_cmp_eq_u64 s[36:37], 0
	s_mov_b64 s[38:39], s[30:31]
	s_wait_loadcnt_dscnt 0x0
	ds_store_2addr_stride64_b32 v3, v2, v4 offset1:4
	ds_store_2addr_stride64_b32 v3, v5, v6 offset0:8 offset1:12
	ds_store_2addr_stride64_b32 v3, v7, v8 offset0:16 offset1:20
	;; [unrolled: 1-line block ×5, first 2 shown]
	v_mad_u32_u24 v1, v0, 44, v3
	s_wait_dscnt 0x0
	s_barrier_signal -1
	s_barrier_wait -1
	ds_load_b128 v[14:17], v1
	ds_load_b128 v[10:13], v1 offset:16
	ds_load_b128 v[6:9], v1 offset:32
	s_cbranch_scc1 .LBB1221_31
; %bb.26:
	s_and_not1_b32 vcc_lo, exec_lo, s33
	s_cbranch_vccnz .LBB1221_29
; %bb.27:
	s_lshl_b64 s[38:39], s[36:37], 2
	s_mov_b32 s41, 0
	s_add_nc_u64 s[38:39], s[22:23], s[38:39]
	s_delay_alu instid0(SALU_CYCLE_1)
	s_add_nc_u64 s[38:39], s[38:39], -4
	s_branch .LBB1221_30
.LBB1221_28:
                                        ; implicit-def: $sgpr3
                                        ; implicit-def: $vgpr5
                                        ; implicit-def: $vgpr18_vgpr19
                                        ; implicit-def: $vgpr42_vgpr43
                                        ; implicit-def: $vgpr46_vgpr47
                                        ; implicit-def: $vgpr44_vgpr45
                                        ; implicit-def: $vgpr48_vgpr49
                                        ; implicit-def: $vgpr50_vgpr51
                                        ; implicit-def: $vgpr52_vgpr53
                                        ; implicit-def: $vgpr54_vgpr55
                                        ; implicit-def: $vgpr56_vgpr57
                                        ; implicit-def: $vgpr58_vgpr59
                                        ; implicit-def: $vgpr38_vgpr39
                                        ; implicit-def: $vgpr36_vgpr37
                                        ; implicit-def: $vgpr34_vgpr35
                                        ; implicit-def: $vgpr32_vgpr33
                                        ; implicit-def: $vgpr30_vgpr31
                                        ; implicit-def: $vgpr28_vgpr29
                                        ; implicit-def: $vgpr26_vgpr27
                                        ; implicit-def: $vgpr24_vgpr25
                                        ; implicit-def: $vgpr22_vgpr23
                                        ; implicit-def: $vgpr20_vgpr21
	v_lshlrev_b32_e32 v16, 2, v0
	s_cbranch_execnz .LBB1221_69
	s_branch .LBB1221_88
.LBB1221_29:
	s_add_nc_u64 s[38:39], s[30:31], -4
	s_mov_b32 s41, -1
.LBB1221_30:
	s_delay_alu instid0(SALU_CYCLE_1)
	s_and_not1_b32 vcc_lo, exec_lo, s41
.LBB1221_31:
	v_mov_b32_e32 v2, 0
	v_mad_i32_i24 v4, 0xffffffd4, v0, v1
	flat_load_b32 v2, v2, s[38:39]
	s_wait_xcnt 0x0
	s_mov_b32 s38, exec_lo
	s_wait_dscnt 0x1
	ds_store_b32 v4, v9 offset:12288
	s_wait_loadcnt_dscnt 0x0
	s_barrier_signal -1
	s_barrier_wait -1
	v_cmpx_ne_u32_e32 0, v0
; %bb.32:
	v_mul_i32_i24_e32 v2, 0xffffffd4, v0
	s_delay_alu instid0(VALU_DEP_1)
	v_add_nc_u32_e32 v2, v1, v2
	ds_load_b32 v2, v2 offset:12284
; %bb.33:
	s_or_b32 exec_lo, exec_lo, s38
	s_wait_dscnt 0x0
	s_barrier_signal -1
	s_barrier_wait -1
                                        ; implicit-def: $vgpr5
	s_and_saveexec_b32 s38, s0
	s_cbranch_execnz .LBB1221_72
; %bb.34:
	s_or_b32 exec_lo, exec_lo, s38
                                        ; implicit-def: $vgpr18
	s_and_saveexec_b32 s0, s1
	s_cbranch_execnz .LBB1221_73
.LBB1221_35:
	s_or_b32 exec_lo, exec_lo, s0
                                        ; implicit-def: $vgpr19
	s_and_saveexec_b32 s0, s2
	s_cbranch_execnz .LBB1221_74
.LBB1221_36:
	s_or_b32 exec_lo, exec_lo, s0
                                        ; implicit-def: $vgpr20
	s_and_saveexec_b32 s0, s3
	s_cbranch_execnz .LBB1221_75
.LBB1221_37:
	s_or_b32 exec_lo, exec_lo, s0
                                        ; implicit-def: $vgpr21
	s_and_saveexec_b32 s0, s4
	s_cbranch_execnz .LBB1221_76
.LBB1221_38:
	s_or_b32 exec_lo, exec_lo, s0
                                        ; implicit-def: $vgpr22
	s_and_saveexec_b32 s0, s5
	s_cbranch_execnz .LBB1221_77
.LBB1221_39:
	s_or_b32 exec_lo, exec_lo, s0
                                        ; implicit-def: $vgpr23
	s_and_saveexec_b32 s0, s6
	s_cbranch_execnz .LBB1221_78
.LBB1221_40:
	s_or_b32 exec_lo, exec_lo, s0
                                        ; implicit-def: $vgpr24
	s_and_saveexec_b32 s0, s7
	s_cbranch_execnz .LBB1221_79
.LBB1221_41:
	s_or_b32 exec_lo, exec_lo, s0
                                        ; implicit-def: $vgpr25
	s_and_saveexec_b32 s0, s8
	s_cbranch_execnz .LBB1221_80
.LBB1221_42:
	s_or_b32 exec_lo, exec_lo, s0
                                        ; implicit-def: $vgpr26
	s_and_saveexec_b32 s0, s9
	s_cbranch_execnz .LBB1221_81
.LBB1221_43:
	s_or_b32 exec_lo, exec_lo, s0
                                        ; implicit-def: $vgpr27
	s_and_saveexec_b32 s0, s10
	s_cbranch_execnz .LBB1221_82
.LBB1221_44:
	s_or_b32 exec_lo, exec_lo, s0
                                        ; implicit-def: $vgpr28
	s_and_saveexec_b32 s0, s11
	s_cbranch_execz .LBB1221_46
.LBB1221_45:
	flat_load_b32 v28, v0, s[12:13] offset:11264 scale_offset
.LBB1221_46:
	s_wait_xcnt 0x0
	s_or_b32 exec_lo, exec_lo, s0
	s_wait_loadcnt_dscnt 0x0
	ds_store_2addr_stride64_b32 v3, v5, v18 offset1:4
	ds_store_2addr_stride64_b32 v3, v19, v20 offset0:8 offset1:12
	ds_store_2addr_stride64_b32 v3, v21, v22 offset0:16 offset1:20
	;; [unrolled: 1-line block ×5, first 2 shown]
	v_mov_b64_e32 v[18:19], 0
	v_mov_b64_e32 v[42:43], 0
	v_mov_b64_e32 v[46:47], 0
	v_mov_b64_e32 v[44:45], 0
	v_mov_b64_e32 v[48:49], 0
	v_mov_b64_e32 v[50:51], 0
	v_mov_b64_e32 v[52:53], 0
	v_mov_b64_e32 v[54:55], 0
	v_mov_b64_e32 v[56:57], 0
	v_mov_b64_e32 v[58:59], 0
	v_mov_b64_e32 v[38:39], 0
	v_mov_b64_e32 v[36:37], 0
	v_mov_b64_e32 v[34:35], 0
	v_mov_b64_e32 v[32:33], 0
	v_mov_b64_e32 v[30:31], 0
	v_mov_b64_e32 v[28:29], 0
	v_mov_b64_e32 v[26:27], 0
	v_mov_b64_e32 v[24:25], 0
	v_mov_b64_e32 v[22:23], 0
	v_mov_b64_e32 v[20:21], 0
	v_mul_u32_u24_e32 v4, 12, v0
	s_mov_b32 s2, 0
	s_mov_b32 s1, 0
	s_mov_b32 s4, exec_lo
	s_wait_dscnt 0x0
	s_barrier_signal -1
	s_barrier_wait -1
                                        ; implicit-def: $sgpr3
                                        ; implicit-def: $vgpr5
	v_cmpx_gt_u32_e64 s40, v4
	s_cbranch_execz .LBB1221_68
; %bb.47:
	ds_load_b32 v18, v1
	v_cmp_ne_u32_e32 vcc_lo, v2, v14
	v_mov_b64_e32 v[42:43], 0
	v_mov_b64_e32 v[46:47], 0
	;; [unrolled: 1-line block ×18, first 2 shown]
	v_or_b32_e32 v3, 1, v4
	v_cndmask_b32_e64 v19, 0, 1, vcc_lo
	s_mov_b32 s0, 0
	s_mov_b32 s1, exec_lo
                                        ; implicit-def: $sgpr3
                                        ; implicit-def: $vgpr5
	s_delay_alu instid0(VALU_DEP_2)
	v_cmpx_gt_u32_e64 s40, v3
	s_cbranch_execz .LBB1221_67
; %bb.48:
	ds_load_2addr_b32 v[42:43], v1 offset0:1 offset1:2
	v_cmp_ne_u32_e32 vcc_lo, v14, v15
	v_mov_b64_e32 v[46:47], 0
	v_mov_b64_e32 v[44:45], 0
	v_mov_b64_e32 v[48:49], 0
	v_mov_b64_e32 v[50:51], 0
	v_mov_b64_e32 v[52:53], 0
	v_mov_b64_e32 v[54:55], 0
	v_mov_b64_e32 v[56:57], 0
	v_mov_b64_e32 v[58:59], 0
	v_mov_b64_e32 v[34:35], 0
	v_mov_b64_e32 v[32:33], 0
	v_mov_b64_e32 v[30:31], 0
	v_mov_b64_e32 v[28:29], 0
	v_mov_b64_e32 v[26:27], 0
	v_mov_b64_e32 v[24:25], 0
	v_mov_b64_e32 v[22:23], 0
	v_mov_b64_e32 v[20:21], 0
	v_or_b32_e32 v3, 2, v4
	v_cndmask_b32_e64 v2, 0, 1, vcc_lo
	s_mov_b32 s5, exec_lo
                                        ; implicit-def: $sgpr3
                                        ; implicit-def: $vgpr5
	s_delay_alu instid0(VALU_DEP_2)
	v_cmpx_gt_u32_e64 s40, v3
	s_cbranch_execz .LBB1221_66
; %bb.49:
	v_cmp_ne_u32_e32 vcc_lo, v15, v16
	v_mov_b64_e32 v[44:45], 0
	v_mov_b64_e32 v[48:49], 0
	;; [unrolled: 1-line block ×14, first 2 shown]
	v_or_b32_e32 v3, 3, v4
	v_cndmask_b32_e64 v47, 0, 1, vcc_lo
	s_mov_b32 s6, exec_lo
                                        ; implicit-def: $sgpr3
                                        ; implicit-def: $vgpr5
	s_delay_alu instid0(VALU_DEP_2)
	v_cmpx_gt_u32_e64 s40, v3
	s_cbranch_execz .LBB1221_65
; %bb.50:
	ds_load_2addr_b32 v[44:45], v1 offset0:3 offset1:4
	v_add_nc_u32_e32 v5, 4, v4
	v_cmp_ne_u32_e32 vcc_lo, v16, v17
	v_mov_b64_e32 v[48:49], 0
	v_mov_b64_e32 v[50:51], 0
	;; [unrolled: 1-line block ×12, first 2 shown]
	v_cndmask_b32_e64 v3, 0, 1, vcc_lo
	v_cmp_gt_u32_e32 vcc_lo, s40, v5
                                        ; implicit-def: $sgpr3
                                        ; implicit-def: $vgpr5
	s_and_saveexec_b32 s7, vcc_lo
	s_cbranch_execz .LBB1221_64
; %bb.51:
	v_add_nc_u32_e32 v5, 5, v4
	v_cmp_ne_u32_e32 vcc_lo, v17, v10
	v_mov_b64_e32 v[50:51], 0
	v_mov_b64_e32 v[52:53], 0
	;; [unrolled: 1-line block ×10, first 2 shown]
	v_cndmask_b32_e64 v49, 0, 1, vcc_lo
	v_cmp_gt_u32_e32 vcc_lo, s40, v5
                                        ; implicit-def: $sgpr3
                                        ; implicit-def: $vgpr5
	s_and_saveexec_b32 s8, vcc_lo
	s_cbranch_execz .LBB1221_63
; %bb.52:
	ds_load_2addr_b32 v[50:51], v1 offset0:5 offset1:6
	v_add_nc_u32_e32 v5, 6, v4
	v_cmp_ne_u32_e32 vcc_lo, v10, v11
	v_mov_b64_e32 v[52:53], 0
	v_mov_b64_e32 v[54:55], 0
	;; [unrolled: 1-line block ×8, first 2 shown]
	v_cndmask_b32_e64 v10, 0, 1, vcc_lo
	v_cmp_gt_u32_e32 vcc_lo, s40, v5
                                        ; implicit-def: $sgpr3
                                        ; implicit-def: $vgpr5
	s_and_saveexec_b32 s9, vcc_lo
	s_cbranch_execz .LBB1221_62
; %bb.53:
	v_add_nc_u32_e32 v5, 7, v4
	v_cmp_ne_u32_e32 vcc_lo, v11, v12
	v_mov_b64_e32 v[54:55], 0
	v_mov_b64_e32 v[56:57], 0
	;; [unrolled: 1-line block ×6, first 2 shown]
	v_cndmask_b32_e64 v53, 0, 1, vcc_lo
	v_cmp_gt_u32_e32 vcc_lo, s40, v5
                                        ; implicit-def: $sgpr3
                                        ; implicit-def: $vgpr5
	s_and_saveexec_b32 s10, vcc_lo
	s_cbranch_execz .LBB1221_61
; %bb.54:
	ds_load_2addr_b32 v[54:55], v1 offset0:7 offset1:8
	v_add_nc_u32_e32 v5, 8, v4
	v_cmp_ne_u32_e32 vcc_lo, v12, v13
	v_mov_b64_e32 v[56:57], 0
	v_mov_b64_e32 v[58:59], 0
	;; [unrolled: 1-line block ×4, first 2 shown]
	v_cndmask_b32_e64 v11, 0, 1, vcc_lo
	v_cmp_gt_u32_e32 vcc_lo, s40, v5
                                        ; implicit-def: $sgpr3
                                        ; implicit-def: $vgpr5
	s_and_saveexec_b32 s11, vcc_lo
	s_cbranch_execz .LBB1221_60
; %bb.55:
	v_add_nc_u32_e32 v5, 9, v4
	v_cmp_ne_u32_e32 vcc_lo, v13, v6
	v_mov_b64_e32 v[58:59], 0
	v_mov_b64_e32 v[20:21], 0
                                        ; implicit-def: $sgpr3
	v_cndmask_b32_e64 v57, 0, 1, vcc_lo
	v_cmp_gt_u32_e32 vcc_lo, s40, v5
                                        ; implicit-def: $vgpr5
	s_and_saveexec_b32 s38, vcc_lo
	s_cbranch_execz .LBB1221_59
; %bb.56:
	ds_load_2addr_b32 v[58:59], v1 offset0:9 offset1:10
	v_add_nc_u32_e32 v5, 10, v4
	v_cmp_ne_u32_e32 vcc_lo, v6, v7
	v_mov_b64_e32 v[20:21], 0
                                        ; implicit-def: $sgpr3
	v_cndmask_b32_e64 v6, 0, 1, vcc_lo
	s_delay_alu instid0(VALU_DEP_4) | instskip(SKIP_1) | instid1(SALU_CYCLE_1)
	v_cmp_gt_u32_e32 vcc_lo, s40, v5
                                        ; implicit-def: $vgpr5
	s_and_saveexec_b32 s39, vcc_lo
	s_xor_b32 s39, exec_lo, s39
	s_cbranch_execz .LBB1221_58
; %bb.57:
	ds_load_b32 v5, v1 offset:44
	s_wait_dscnt 0x1
	v_dual_mov_b32 v20, v59 :: v_dual_add_nc_u32 v1, 11, v4
	v_cmp_ne_u32_e64 s0, v7, v8
	v_cmp_ne_u32_e64 s3, v8, v9
	s_delay_alu instid0(VALU_DEP_3) | instskip(NEXT) | instid1(VALU_DEP_3)
	v_cmp_gt_u32_e32 vcc_lo, s40, v1
	v_cndmask_b32_e64 v21, 0, 1, s0
	s_and_b32 s0, vcc_lo, exec_lo
.LBB1221_58:
	s_or_b32 exec_lo, exec_lo, s39
	s_wait_dscnt 0x0
	v_mov_b32_e32 v59, v6
	s_and_b32 s0, s0, exec_lo
.LBB1221_59:
	s_or_b32 exec_lo, exec_lo, s38
	s_delay_alu instid0(VALU_DEP_1)
	v_mov_b64_e32 v[22:23], v[58:59]
	s_wait_dscnt 0x0
	v_mov_b32_e32 v56, v55
	s_and_b32 s0, s0, exec_lo
.LBB1221_60:
	s_or_b32 exec_lo, exec_lo, s11
	s_delay_alu instid0(VALU_DEP_1)
	v_mov_b64_e32 v[24:25], v[56:57]
	s_wait_dscnt 0x0
	v_mov_b32_e32 v55, v11
	s_and_b32 s0, s0, exec_lo
.LBB1221_61:
	s_or_b32 exec_lo, exec_lo, s10
	s_delay_alu instid0(VALU_DEP_1)
	v_mov_b64_e32 v[26:27], v[54:55]
	s_wait_dscnt 0x0
	v_mov_b32_e32 v52, v51
	s_and_b32 s0, s0, exec_lo
.LBB1221_62:
	s_or_b32 exec_lo, exec_lo, s9
	s_delay_alu instid0(VALU_DEP_1)
	v_mov_b64_e32 v[28:29], v[52:53]
	s_wait_dscnt 0x0
	v_mov_b32_e32 v51, v10
	s_and_b32 s0, s0, exec_lo
.LBB1221_63:
	s_or_b32 exec_lo, exec_lo, s8
	s_delay_alu instid0(VALU_DEP_1)
	v_mov_b64_e32 v[30:31], v[50:51]
	s_wait_dscnt 0x0
	v_mov_b32_e32 v48, v45
	s_and_b32 s0, s0, exec_lo
.LBB1221_64:
	s_or_b32 exec_lo, exec_lo, s7
	s_delay_alu instid0(VALU_DEP_1)
	v_mov_b64_e32 v[32:33], v[48:49]
	s_wait_dscnt 0x0
	v_mov_b32_e32 v45, v3
	s_and_b32 s0, s0, exec_lo
.LBB1221_65:
	s_or_b32 exec_lo, exec_lo, s6
	s_delay_alu instid0(VALU_DEP_1)
	v_mov_b64_e32 v[34:35], v[44:45]
	s_wait_dscnt 0x0
	v_mov_b32_e32 v46, v43
	s_and_b32 s0, s0, exec_lo
.LBB1221_66:
	s_or_b32 exec_lo, exec_lo, s5
	s_delay_alu instid0(VALU_DEP_1)
	v_mov_b64_e32 v[36:37], v[46:47]
	s_wait_dscnt 0x0
	v_mov_b32_e32 v43, v2
	s_and_b32 s0, s0, exec_lo
.LBB1221_67:
	s_or_b32 exec_lo, exec_lo, s1
	s_delay_alu instid0(VALU_DEP_1)
	v_mov_b64_e32 v[38:39], v[42:43]
	s_and_b32 s1, s0, exec_lo
.LBB1221_68:
	s_or_b32 exec_lo, exec_lo, s4
	v_lshlrev_b32_e32 v16, 2, v0
	s_and_b32 vcc_lo, exec_lo, s2
	s_cbranch_vccz .LBB1221_88
.LBB1221_69:
	s_clause 0xb
	flat_load_b32 v2, v0, s[30:31] scale_offset
	flat_load_b32 v3, v0, s[30:31] offset:1024 scale_offset
	flat_load_b32 v4, v0, s[30:31] offset:2048 scale_offset
	;; [unrolled: 1-line block ×11, first 2 shown]
	v_mad_u32_u24 v1, v0, 44, v16
	v_mov_b32_e32 v14, 0
	s_cmp_eq_u64 s[36:37], 0
	s_wait_loadcnt_dscnt 0xa0a
	ds_store_2addr_stride64_b32 v16, v2, v3 offset1:4
	s_wait_loadcnt_dscnt 0x809
	ds_store_2addr_stride64_b32 v16, v4, v5 offset0:8 offset1:12
	s_wait_loadcnt_dscnt 0x608
	ds_store_2addr_stride64_b32 v16, v6, v7 offset0:16 offset1:20
	;; [unrolled: 2-line block ×5, first 2 shown]
	s_wait_dscnt 0x0
	s_barrier_signal -1
	s_barrier_wait -1
	ds_load_b128 v[2:5], v1
	ds_load_b128 v[10:13], v1 offset:16
	ds_load_b128 v[6:9], v1 offset:32
	s_cbranch_scc1 .LBB1221_85
; %bb.70:
	s_and_not1_b32 vcc_lo, exec_lo, s33
	s_cbranch_vccnz .LBB1221_83
; %bb.71:
	s_lshl_b64 s[0:1], s[36:37], 2
	s_delay_alu instid0(SALU_CYCLE_1) | instskip(NEXT) | instid1(SALU_CYCLE_1)
	s_add_nc_u64 s[0:1], s[22:23], s[0:1]
	s_add_nc_u64 s[30:31], s[0:1], -4
	s_mov_b32 s0, 0
	s_branch .LBB1221_84
.LBB1221_72:
	flat_load_b32 v5, v0, s[12:13] scale_offset
	s_wait_xcnt 0x0
	s_or_b32 exec_lo, exec_lo, s38
                                        ; implicit-def: $vgpr18
	s_and_saveexec_b32 s0, s1
	s_cbranch_execz .LBB1221_35
.LBB1221_73:
	flat_load_b32 v18, v0, s[12:13] offset:1024 scale_offset
	s_wait_xcnt 0x0
	s_or_b32 exec_lo, exec_lo, s0
                                        ; implicit-def: $vgpr19
	s_and_saveexec_b32 s0, s2
	s_cbranch_execz .LBB1221_36
.LBB1221_74:
	flat_load_b32 v19, v0, s[12:13] offset:2048 scale_offset
	s_wait_xcnt 0x0
	s_or_b32 exec_lo, exec_lo, s0
                                        ; implicit-def: $vgpr20
	s_and_saveexec_b32 s0, s3
	s_cbranch_execz .LBB1221_37
.LBB1221_75:
	flat_load_b32 v20, v0, s[12:13] offset:3072 scale_offset
	s_wait_xcnt 0x0
	s_or_b32 exec_lo, exec_lo, s0
                                        ; implicit-def: $vgpr21
	s_and_saveexec_b32 s0, s4
	s_cbranch_execz .LBB1221_38
.LBB1221_76:
	flat_load_b32 v21, v0, s[12:13] offset:4096 scale_offset
	s_wait_xcnt 0x0
	s_or_b32 exec_lo, exec_lo, s0
                                        ; implicit-def: $vgpr22
	s_and_saveexec_b32 s0, s5
	s_cbranch_execz .LBB1221_39
.LBB1221_77:
	flat_load_b32 v22, v0, s[12:13] offset:5120 scale_offset
	s_wait_xcnt 0x0
	s_or_b32 exec_lo, exec_lo, s0
                                        ; implicit-def: $vgpr23
	s_and_saveexec_b32 s0, s6
	s_cbranch_execz .LBB1221_40
.LBB1221_78:
	flat_load_b32 v23, v0, s[12:13] offset:6144 scale_offset
	s_wait_xcnt 0x0
	s_or_b32 exec_lo, exec_lo, s0
                                        ; implicit-def: $vgpr24
	s_and_saveexec_b32 s0, s7
	s_cbranch_execz .LBB1221_41
.LBB1221_79:
	flat_load_b32 v24, v0, s[12:13] offset:7168 scale_offset
	s_wait_xcnt 0x0
	s_or_b32 exec_lo, exec_lo, s0
                                        ; implicit-def: $vgpr25
	s_and_saveexec_b32 s0, s8
	s_cbranch_execz .LBB1221_42
.LBB1221_80:
	flat_load_b32 v25, v0, s[12:13] offset:8192 scale_offset
	s_wait_xcnt 0x0
	s_or_b32 exec_lo, exec_lo, s0
                                        ; implicit-def: $vgpr26
	s_and_saveexec_b32 s0, s9
	s_cbranch_execz .LBB1221_43
.LBB1221_81:
	flat_load_b32 v26, v0, s[12:13] offset:9216 scale_offset
	s_wait_xcnt 0x0
	s_or_b32 exec_lo, exec_lo, s0
                                        ; implicit-def: $vgpr27
	s_and_saveexec_b32 s0, s10
	s_cbranch_execz .LBB1221_44
.LBB1221_82:
	flat_load_b32 v27, v0, s[12:13] offset:10240 scale_offset
	s_wait_xcnt 0x0
	s_or_b32 exec_lo, exec_lo, s0
                                        ; implicit-def: $vgpr28
	s_and_saveexec_b32 s0, s11
	s_cbranch_execnz .LBB1221_45
	s_branch .LBB1221_46
.LBB1221_83:
	s_add_nc_u64 s[30:31], s[30:31], -4
	s_mov_b32 s0, -1
.LBB1221_84:
	s_delay_alu instid0(SALU_CYCLE_1)
	s_and_not1_b32 vcc_lo, exec_lo, s0
.LBB1221_85:
	flat_load_b32 v14, v14, s[30:31]
	v_mad_i32_i24 v15, 0xffffffd4, v0, v1
	s_mov_b32 s0, exec_lo
	s_wait_dscnt 0x1
	ds_store_b32 v15, v9 offset:12288
	s_wait_loadcnt_dscnt 0x0
	s_barrier_signal -1
	s_barrier_wait -1
	v_cmpx_ne_u32_e32 0, v0
; %bb.86:
	v_mul_i32_i24_e32 v14, 0xffffffd4, v0
	s_delay_alu instid0(VALU_DEP_1)
	v_add_nc_u32_e32 v14, v1, v14
	ds_load_b32 v14, v14 offset:12284
; %bb.87:
	s_or_b32 exec_lo, exec_lo, s0
	s_wait_dscnt 0x0
	s_barrier_signal -1
	s_barrier_wait -1
	s_clause 0xb
	flat_load_b32 v15, v0, s[12:13] scale_offset
	flat_load_b32 v17, v0, s[12:13] offset:1024 scale_offset
	flat_load_b32 v18, v0, s[12:13] offset:2048 scale_offset
	;; [unrolled: 1-line block ×11, first 2 shown]
	v_cmp_ne_u32_e32 vcc_lo, v14, v2
	v_cmp_ne_u32_e64 s3, v8, v9
	s_mov_b32 s1, -1
	s_wait_loadcnt_dscnt 0xa0a
	ds_store_2addr_stride64_b32 v16, v15, v17 offset1:4
	s_wait_loadcnt_dscnt 0x809
	ds_store_2addr_stride64_b32 v16, v18, v20 offset0:8 offset1:12
	s_wait_loadcnt_dscnt 0x608
	ds_store_2addr_stride64_b32 v16, v21, v22 offset0:16 offset1:20
	;; [unrolled: 2-line block ×5, first 2 shown]
	v_cndmask_b32_e64 v19, 0, 1, vcc_lo
	v_cmp_ne_u32_e32 vcc_lo, v2, v3
	s_wait_dscnt 0x0
	s_barrier_signal -1
	s_barrier_wait -1
	v_cndmask_b32_e64 v43, 0, 1, vcc_lo
	v_cmp_ne_u32_e32 vcc_lo, v3, v4
	ds_load_b128 v[22:25], v1
	ds_load_b128 v[26:29], v1 offset:16
	v_cndmask_b32_e64 v47, 0, 1, vcc_lo
	v_cmp_ne_u32_e32 vcc_lo, v4, v5
	v_cndmask_b32_e64 v45, 0, 1, vcc_lo
	v_cmp_ne_u32_e32 vcc_lo, v5, v10
	ds_load_b128 v[2:5], v1 offset:32
	v_cndmask_b32_e64 v49, 0, 1, vcc_lo
	v_cmp_ne_u32_e32 vcc_lo, v10, v11
	s_wait_dscnt 0x2
	v_dual_mov_b32 v18, v22 :: v_dual_mov_b32 v42, v23
	v_cndmask_b32_e64 v51, 0, 1, vcc_lo
	v_cmp_ne_u32_e32 vcc_lo, v11, v12
	v_dual_mov_b32 v46, v24 :: v_dual_mov_b32 v44, v25
	s_wait_dscnt 0x1
	v_dual_mov_b32 v48, v26 :: v_dual_mov_b32 v50, v27
	v_cndmask_b32_e64 v53, 0, 1, vcc_lo
	v_cmp_ne_u32_e32 vcc_lo, v12, v13
	v_dual_mov_b32 v52, v28 :: v_dual_mov_b32 v54, v29
	s_wait_dscnt 0x0
	v_dual_mov_b32 v56, v2 :: v_dual_mov_b32 v58, v3
	v_cndmask_b32_e64 v55, 0, 1, vcc_lo
	v_cmp_ne_u32_e32 vcc_lo, v13, v6
	v_mov_b64_e32 v[38:39], v[42:43]
	v_mov_b64_e32 v[36:37], v[46:47]
	;; [unrolled: 1-line block ×4, first 2 shown]
	v_cndmask_b32_e64 v57, 0, 1, vcc_lo
	v_cmp_ne_u32_e32 vcc_lo, v6, v7
	v_mov_b64_e32 v[30:31], v[50:51]
	v_mov_b64_e32 v[28:29], v[52:53]
	;; [unrolled: 1-line block ×4, first 2 shown]
	v_cndmask_b32_e64 v59, 0, 1, vcc_lo
	v_cmp_ne_u32_e32 vcc_lo, v7, v8
	v_mov_b32_e32 v20, v4
	s_delay_alu instid0(VALU_DEP_3)
	v_mov_b64_e32 v[22:23], v[58:59]
	v_cndmask_b32_e64 v21, 0, 1, vcc_lo
.LBB1221_88:
	v_mov_b64_e32 v[40:41], 0
	s_and_saveexec_b32 s0, s1
	s_cbranch_execz .LBB1221_90
; %bb.89:
	v_mov_b64_e32 v[22:23], v[58:59]
	v_mov_b64_e32 v[24:25], v[56:57]
	;; [unrolled: 1-line block ×9, first 2 shown]
	v_cndmask_b32_e64 v41, 0, 1, s3
	v_mov_b32_e32 v40, v5
.LBB1221_90:
	s_or_b32 exec_lo, exec_lo, s0
	v_dual_lshrrev_b32 v1, 2, v0 :: v_dual_bitop2_b32 v42, v27, v25 bitop3:0x54
	v_or_b32_e32 v17, v23, v21
	s_cmp_lg_u32 s20, 0
	s_wait_dscnt 0x0
	v_cmp_gt_u32_e32 vcc_lo, 32, v0
	s_barrier_signal -1
	s_barrier_wait -1
	s_cbranch_scc0 .LBB1221_118
; %bb.91:
	s_mov_b64 s[10:11], 0x100000000
	v_or3_b32 v3, v42, v29, v31
	v_cmp_gt_u64_e64 s0, s[10:11], v[38:39]
	v_cmp_gt_u64_e64 s1, s[10:11], v[36:37]
	;; [unrolled: 1-line block ×7, first 2 shown]
	v_dual_cndmask_b32 v2, 0, v18, s0 :: v_dual_bitop2_b32 v5, 56, v1 bitop3:0x40
	v_cmp_gt_u64_e64 s7, s[10:11], v[24:25]
	v_cmp_gt_u64_e64 s8, s[10:11], v[22:23]
	;; [unrolled: 1-line block ×4, first 2 shown]
	v_add_nc_u32_e32 v2, v2, v38
	v_or3_b32 v3, v3, v33, v35
	v_lshl_add_u32 v5, v0, 3, v5
	s_delay_alu instid0(VALU_DEP_3) | instskip(NEXT) | instid1(VALU_DEP_3)
	v_cndmask_b32_e64 v2, 0, v2, s1
	v_or3_b32 v3, v3, v37, v39
	s_delay_alu instid0(VALU_DEP_2) | instskip(NEXT) | instid1(VALU_DEP_2)
	v_add_nc_u32_e32 v2, v2, v36
	v_or3_b32 v3, v41, v17, v3
	s_delay_alu instid0(VALU_DEP_2) | instskip(NEXT) | instid1(VALU_DEP_2)
	v_cndmask_b32_e64 v2, 0, v2, s2
	v_and_b32_e32 v3, 0xff, v3
	s_delay_alu instid0(VALU_DEP_2) | instskip(NEXT) | instid1(VALU_DEP_1)
	v_add_nc_u32_e32 v2, v2, v34
	v_cndmask_b32_e64 v2, 0, v2, s3
	s_delay_alu instid0(VALU_DEP_1) | instskip(NEXT) | instid1(VALU_DEP_1)
	v_add_nc_u32_e32 v2, v2, v32
	v_cndmask_b32_e64 v2, 0, v2, s4
	s_delay_alu instid0(VALU_DEP_1) | instskip(NEXT) | instid1(VALU_DEP_1)
	;; [unrolled: 3-line block ×7, first 2 shown]
	v_dual_add_nc_u32 v4, v2, v20 :: v_dual_mov_b32 v2, 0
	v_cndmask_b32_e64 v4, 0, v4, s10
	s_delay_alu instid0(VALU_DEP_2) | instskip(NEXT) | instid1(VALU_DEP_1)
	v_cmp_eq_u64_e64 s11, 0, v[2:3]
	v_dual_add_nc_u32 v12, v4, v40 :: v_dual_cndmask_b32 v13, 1, v19, s11
	ds_store_b32 v5, v12
	ds_store_b8 v5, v13 offset:4
	s_wait_dscnt 0x0
	s_barrier_signal -1
	s_barrier_wait -1
	s_and_saveexec_b32 s12, vcc_lo
	s_cbranch_execz .LBB1221_101
; %bb.92:
	v_dual_lshlrev_b32 v2, 1, v0 :: v_dual_lshlrev_b32 v3, 6, v0
	s_mov_b32 s13, exec_lo
	s_delay_alu instid0(VALU_DEP_1) | instskip(NEXT) | instid1(VALU_DEP_1)
	v_and_b32_e32 v2, 0x1f8, v2
	v_add_nc_u32_e32 v4, v2, v3
	ds_load_u8 v5, v4 offset:12
	ds_load_b64 v[2:3], v4
	ds_load_2addr_b32 v[6:7], v4 offset0:2 offset1:4
	ds_load_u8 v10, v4 offset:20
	ds_load_u8 v11, v4 offset:28
	;; [unrolled: 1-line block ×5, first 2 shown]
	ds_load_b32 v44, v4 offset:56
	s_wait_dscnt 0x8
	v_cmp_eq_u16_e64 s11, 0, v5
	s_wait_dscnt 0x5
	s_delay_alu instid0(VALU_DEP_1)
	v_dual_cndmask_b32 v45, 0, v2, s11 :: v_dual_bitop2_b32 v5, v10, v5 bitop3:0x54
	ds_load_2addr_b32 v[8:9], v4 offset0:6 offset1:8
	v_cmp_eq_u16_e64 s11, 0, v10
	s_wait_dscnt 0x4
	v_bitop3_b16 v5, v5, v14, v11 bitop3:0xfe
	v_add_nc_u32_e32 v6, v45, v6
	s_delay_alu instid0(VALU_DEP_1) | instskip(SKIP_1) | instid1(VALU_DEP_2)
	v_cndmask_b32_e64 v6, 0, v6, s11
	v_cmp_eq_u16_e64 s11, 0, v11
	v_add_nc_u32_e32 v6, v6, v7
	s_delay_alu instid0(VALU_DEP_1)
	v_cndmask_b32_e64 v45, 0, v6, s11
	ds_load_2addr_b32 v[6:7], v4 offset0:10 offset1:12
	v_cmp_eq_u16_e64 s11, 0, v14
	s_wait_dscnt 0x1
	v_add_nc_u32_e32 v8, v45, v8
	ds_load_u8 v45, v4 offset:60
	v_cndmask_b32_e64 v8, 0, v8, s11
	v_cmp_eq_u16_e64 s11, 0, v15
	s_delay_alu instid0(VALU_DEP_2) | instskip(SKIP_1) | instid1(VALU_DEP_2)
	v_add_nc_u32_e32 v8, v8, v9
	v_bitop3_b16 v9, v5, v43, v15 bitop3:0xfe
	v_dual_cndmask_b32 v8, 0, v8, s11 :: v_dual_bitop2_b32 v5, 1, v3 bitop3:0x40
	s_delay_alu instid0(VALU_DEP_2) | instskip(SKIP_1) | instid1(VALU_DEP_2)
	v_cmp_eq_u16_e64 s11, 0, v9
	s_wait_dscnt 0x0
	v_dual_add_nc_u32 v6, v8, v6 :: v_dual_bitop2_b32 v8, 1, v45 bitop3:0x40
	s_delay_alu instid0(VALU_DEP_2) | instskip(SKIP_1) | instid1(VALU_DEP_1)
	v_cndmask_b32_e64 v9, 1, v5, s11
	v_cmp_eq_u16_e64 s11, 0, v43
	v_cndmask_b32_e64 v6, 0, v6, s11
	s_delay_alu instid0(VALU_DEP_4) | instskip(SKIP_1) | instid1(VALU_DEP_2)
	v_cmp_eq_u32_e64 s11, 1, v8
	v_mbcnt_lo_u32_b32 v8, -1, 0
	v_cndmask_b32_e64 v9, v9, 1, s11
	v_cmp_eq_u16_e64 s11, 0, v45
	s_delay_alu instid0(VALU_DEP_2) | instskip(SKIP_2) | instid1(VALU_DEP_1)
	v_and_b32_e32 v10, 0xffff, v9
	v_add_nc_u32_e32 v7, v6, v7
	v_and_b32_e32 v6, 0xffffff00, v3
	v_dual_cndmask_b32 v7, 0, v7, s11 :: v_dual_bitop2_b32 v11, v6, v10 bitop3:0x54
	v_and_b32_e32 v10, 15, v8
	s_delay_alu instid0(VALU_DEP_2) | instskip(NEXT) | instid1(VALU_DEP_3)
	v_mov_b32_dpp v15, v11 row_shr:1 row_mask:0xf bank_mask:0xf
	v_add_nc_u32_e32 v7, v7, v44
	s_delay_alu instid0(VALU_DEP_1) | instskip(NEXT) | instid1(VALU_DEP_4)
	v_mov_b32_dpp v14, v7 row_shr:1 row_mask:0xf bank_mask:0xf
	v_cmpx_ne_u32_e32 0, v10
	s_cbranch_execz .LBB1221_94
; %bb.93:
	v_and_b32_e32 v11, 1, v9
	v_and_b32_e32 v15, 1, v15
	s_delay_alu instid0(VALU_DEP_2) | instskip(NEXT) | instid1(VALU_DEP_1)
	v_cmp_eq_u32_e64 s11, 1, v11
	v_cndmask_b32_e64 v15, v15, 1, s11
	v_cmp_eq_u16_e64 s11, 0, v9
	s_delay_alu instid0(VALU_DEP_2) | instskip(NEXT) | instid1(VALU_DEP_1)
	v_and_b32_e32 v11, 0xffff, v15
	v_dual_cndmask_b32 v9, 0, v14, s11 :: v_dual_bitop2_b32 v11, v6, v11 bitop3:0x54
	s_delay_alu instid0(VALU_DEP_1)
	v_dual_add_nc_u32 v7, v9, v7 :: v_dual_mov_b32 v9, v15
.LBB1221_94:
	s_or_b32 exec_lo, exec_lo, s13
	s_delay_alu instid0(VALU_DEP_1) | instskip(NEXT) | instid1(VALU_DEP_3)
	v_mov_b32_dpp v14, v7 row_shr:2 row_mask:0xf bank_mask:0xf
	v_mov_b32_dpp v15, v11 row_shr:2 row_mask:0xf bank_mask:0xf
	s_mov_b32 s13, exec_lo
	v_cmpx_lt_u32_e32 1, v10
	s_cbranch_execz .LBB1221_96
; %bb.95:
	v_and_b32_e32 v11, 1, v9
	v_and_b32_e32 v15, 1, v15
	s_delay_alu instid0(VALU_DEP_2) | instskip(NEXT) | instid1(VALU_DEP_1)
	v_cmp_eq_u32_e64 s11, 1, v11
	v_cndmask_b32_e64 v15, v15, 1, s11
	v_cmp_eq_u16_e64 s11, 0, v9
	s_delay_alu instid0(VALU_DEP_2) | instskip(NEXT) | instid1(VALU_DEP_1)
	v_and_b32_e32 v11, 0xffff, v15
	v_dual_cndmask_b32 v9, 0, v14, s11 :: v_dual_bitop2_b32 v11, v6, v11 bitop3:0x54
	s_delay_alu instid0(VALU_DEP_1)
	v_dual_add_nc_u32 v7, v9, v7 :: v_dual_mov_b32 v9, v15
.LBB1221_96:
	s_or_b32 exec_lo, exec_lo, s13
	s_delay_alu instid0(VALU_DEP_1) | instskip(NEXT) | instid1(VALU_DEP_3)
	v_mov_b32_dpp v14, v7 row_shr:4 row_mask:0xf bank_mask:0xf
	v_mov_b32_dpp v15, v11 row_shr:4 row_mask:0xf bank_mask:0xf
	s_mov_b32 s13, exec_lo
	v_cmpx_lt_u32_e32 3, v10
	;; [unrolled: 20-line block ×3, first 2 shown]
	s_cbranch_execz .LBB1221_100
; %bb.99:
	v_and_b32_e32 v10, 1, v9
	v_and_b32_e32 v11, 1, v15
	s_delay_alu instid0(VALU_DEP_2) | instskip(NEXT) | instid1(VALU_DEP_1)
	v_cmp_eq_u32_e64 s11, 1, v10
	v_cndmask_b32_e64 v10, v11, 1, s11
	v_cmp_eq_u16_e64 s11, 0, v9
	s_delay_alu instid0(VALU_DEP_2) | instskip(NEXT) | instid1(VALU_DEP_1)
	v_and_b32_e32 v11, 0xffff, v10
	v_dual_cndmask_b32 v9, 0, v14, s11 :: v_dual_bitop2_b32 v11, v6, v11 bitop3:0x54
	s_delay_alu instid0(VALU_DEP_1)
	v_dual_add_nc_u32 v7, v9, v7 :: v_dual_mov_b32 v9, v10
.LBB1221_100:
	s_or_b32 exec_lo, exec_lo, s13
	ds_swizzle_b32 v10, v11 offset:swizzle(BROADCAST,32,15)
	ds_swizzle_b32 v11, v7 offset:swizzle(BROADCAST,32,15)
	v_and_b32_e32 v14, 1, v9
	v_bfe_i32 v43, v8, 4, 1
	v_and_b32_e32 v3, 0xff, v3
	; wave barrier
	s_delay_alu instid0(VALU_DEP_3) | instskip(SKIP_2) | instid1(VALU_DEP_1)
	v_cmp_eq_u32_e64 s11, 1, v14
	s_wait_dscnt 0x1
	v_dual_add_nc_u32 v14, -1, v8 :: v_dual_bitop2_b32 v10, 1, v10 bitop3:0x40
	v_cndmask_b32_e64 v10, v10, 1, s11
	v_and_b32_e32 v15, 16, v8
	v_cmp_eq_u16_e64 s11, 0, v9
	s_wait_dscnt 0x0
	s_delay_alu instid0(VALU_DEP_1) | instskip(NEXT) | instid1(VALU_DEP_3)
	v_cndmask_b32_e64 v11, 0, v11, s11
	v_cmp_eq_u32_e64 s11, 0, v15
	s_delay_alu instid0(VALU_DEP_1) | instskip(SKIP_1) | instid1(VALU_DEP_4)
	v_cndmask_b32_e64 v9, v10, v9, s11
	v_cmp_gt_i32_e64 s11, 0, v14
	v_and_b32_e32 v10, v43, v11
	s_delay_alu instid0(VALU_DEP_3) | instskip(NEXT) | instid1(VALU_DEP_3)
	v_and_b32_e32 v9, 0xffff, v9
	v_cndmask_b32_e64 v8, v14, v8, s11
	s_delay_alu instid0(VALU_DEP_3) | instskip(SKIP_1) | instid1(VALU_DEP_3)
	v_add_nc_u32_e32 v7, v10, v7
	v_cmp_eq_u16_e64 s11, 0, v3
	v_lshlrev_b32_e32 v8, 2, v8
	ds_bpermute_b32 v7, v8, v7
	s_wait_dscnt 0x0
	v_dual_cndmask_b32 v3, 0, v7, s11 :: v_dual_bitop2_b32 v6, v6, v9 bitop3:0x54
	ds_bpermute_b32 v6, v8, v6
	v_cmp_eq_u32_e64 s11, 1, v5
	v_add_nc_u32_e32 v2, v3, v2
	s_wait_dscnt 0x0
	v_and_b32_e32 v6, 1, v6
	s_delay_alu instid0(VALU_DEP_1) | instskip(SKIP_1) | instid1(VALU_DEP_1)
	v_cndmask_b32_e64 v3, v6, 1, s11
	v_cmp_eq_u32_e64 s11, 0, v0
	v_dual_cndmask_b32 v8, v3, v13, s11 :: v_dual_cndmask_b32 v5, v2, v12, s11
	ds_store_b32 v4, v5
	ds_store_b8 v4, v8 offset:4
	; wave barrier
	ds_load_u8 v9, v4 offset:12
	ds_load_2addr_b32 v[2:3], v4 offset0:2 offset1:4
	ds_load_u8 v10, v4 offset:20
	ds_load_u8 v11, v4 offset:28
	;; [unrolled: 1-line block ×5, first 2 shown]
	ds_load_b32 v44, v4 offset:56
	ds_load_u8 v45, v4 offset:60
	ds_load_2addr_b32 v[6:7], v4 offset0:6 offset1:8
	s_wait_dscnt 0x9
	v_cmp_eq_u16_e64 s11, 0, v9
	v_and_b32_e32 v9, 1, v9
	s_delay_alu instid0(VALU_DEP_2) | instskip(SKIP_2) | instid1(VALU_DEP_2)
	v_cndmask_b32_e64 v5, 0, v5, s11
	s_wait_dscnt 0x7
	v_cmp_eq_u16_e64 s11, 0, v10
	v_add_nc_u32_e32 v5, v5, v2
	s_delay_alu instid0(VALU_DEP_1) | instskip(SKIP_2) | instid1(VALU_DEP_2)
	v_cndmask_b32_e64 v2, 0, v5, s11
	s_wait_dscnt 0x6
	v_cmp_eq_u16_e64 s11, 0, v11
	v_add_nc_u32_e32 v46, v2, v3
	ds_load_2addr_b32 v[2:3], v4 offset0:10 offset1:12
	v_cndmask_b32_e64 v47, 0, v46, s11
	s_wait_dscnt 0x6
	v_cmp_eq_u16_e64 s11, 0, v14
	ds_store_2addr_b32 v4, v5, v46 offset0:2 offset1:4
	s_wait_dscnt 0x2
	v_add_nc_u32_e32 v6, v47, v6
	s_delay_alu instid0(VALU_DEP_1) | instskip(SKIP_3) | instid1(VALU_DEP_4)
	v_cndmask_b32_e64 v47, 0, v6, s11
	v_and_b32_e32 v10, 1, v10
	v_cmp_eq_u32_e64 s11, 1, v9
	v_and_b32_e32 v9, 1, v11
	v_dual_add_nc_u32 v7, v47, v7 :: v_dual_bitop2_b32 v11, 1, v14 bitop3:0x40
	s_delay_alu instid0(VALU_DEP_3) | instskip(SKIP_1) | instid1(VALU_DEP_1)
	v_cndmask_b32_e64 v8, v8, 1, s11
	v_cmp_eq_u32_e64 s11, 1, v10
	v_cndmask_b32_e64 v10, v8, 1, s11
	v_cmp_eq_u16_e64 s11, 0, v15
	s_delay_alu instid0(VALU_DEP_1) | instskip(SKIP_2) | instid1(VALU_DEP_2)
	v_cndmask_b32_e64 v14, 0, v7, s11
	v_cmp_eq_u32_e64 s11, 1, v9
	s_wait_dscnt 0x1
	v_dual_add_nc_u32 v2, v14, v2 :: v_dual_bitop2_b32 v15, 1, v15 bitop3:0x40
	s_delay_alu instid0(VALU_DEP_2) | instskip(SKIP_1) | instid1(VALU_DEP_1)
	v_cndmask_b32_e64 v9, v10, 1, s11
	v_cmp_eq_u32_e64 s11, 1, v11
	v_cndmask_b32_e64 v11, v9, 1, s11
	v_cmp_eq_u16_e64 s11, 0, v43
	s_delay_alu instid0(VALU_DEP_1) | instskip(SKIP_1) | instid1(VALU_DEP_2)
	v_dual_cndmask_b32 v43, 0, v2, s11 :: v_dual_bitop2_b32 v14, 1, v43 bitop3:0x40
	v_cmp_eq_u32_e64 s11, 1, v15
	v_add_nc_u32_e32 v3, v43, v3
	s_delay_alu instid0(VALU_DEP_2) | instskip(NEXT) | instid1(VALU_DEP_4)
	v_cndmask_b32_e64 v15, v11, 1, s11
	v_cmp_eq_u32_e64 s11, 1, v14
	ds_store_2addr_b32 v4, v6, v7 offset0:6 offset1:8
	ds_store_2addr_b32 v4, v2, v3 offset0:10 offset1:12
	v_cndmask_b32_e64 v14, v15, 1, s11
	v_cmp_eq_u16_e64 s11, 0, v45
	s_delay_alu instid0(VALU_DEP_1) | instskip(NEXT) | instid1(VALU_DEP_1)
	v_dual_cndmask_b32 v5, 0, v3, s11 :: v_dual_bitop2_b32 v47, 1, v45 bitop3:0x40
	v_cmp_eq_u32_e64 s11, 1, v47
	s_delay_alu instid0(VALU_DEP_2) | instskip(NEXT) | instid1(VALU_DEP_2)
	v_add_nc_u32_e32 v2, v5, v44
	v_cndmask_b32_e64 v43, v14, 1, s11
	ds_store_b8 v4, v8 offset:12
	ds_store_b8 v4, v10 offset:20
	;; [unrolled: 1-line block ×6, first 2 shown]
	ds_store_b32 v4, v2 offset:56
	ds_store_b8 v4, v43 offset:60
.LBB1221_101:
	s_or_b32 exec_lo, exec_lo, s12
	v_cmp_eq_u32_e64 s11, 0, v0
	s_mov_b32 s13, exec_lo
	s_wait_dscnt 0x0
	s_barrier_signal -1
	s_barrier_wait -1
	v_cmpx_ne_u32_e32 0, v0
	s_cbranch_execz .LBB1221_103
; %bb.102:
	v_add_nc_u32_e32 v2, -1, v0
	s_delay_alu instid0(VALU_DEP_1) | instskip(NEXT) | instid1(VALU_DEP_1)
	v_lshrrev_b32_e32 v3, 2, v2
	v_and_b32_e32 v3, 0x3ffffff8, v3
	s_delay_alu instid0(VALU_DEP_1)
	v_lshl_add_u32 v2, v2, 3, v3
	ds_load_b32 v12, v2
	ds_load_u8 v13, v2 offset:4
.LBB1221_103:
	s_or_b32 exec_lo, exec_lo, s13
	s_and_saveexec_b32 s30, vcc_lo
	s_cbranch_execz .LBB1221_163
; %bb.104:
	v_mov_b32_e32 v5, 0
	v_mbcnt_lo_u32_b32 v14, -1, 0
	s_mov_b32 s23, 0
	ds_load_b64 v[2:3], v5 offset:2096
	v_cmp_eq_u32_e64 s12, 0, v14
	s_and_saveexec_b32 s13, s12
	s_cbranch_execz .LBB1221_106
; %bb.105:
	s_add_co_i32 s22, s20, 32
	v_mov_b32_e32 v4, 1
	s_lshl_b64 s[22:23], s[22:23], 4
	s_delay_alu instid0(SALU_CYCLE_1) | instskip(NEXT) | instid1(SALU_CYCLE_1)
	s_add_nc_u64 s[22:23], s[24:25], s[22:23]
	v_mov_b64_e32 v[6:7], s[22:23]
	s_wait_dscnt 0x0
	;;#ASMSTART
	global_store_b128 v[6:7], v[2:5] off scope:SCOPE_DEV	
s_wait_storecnt 0x0
	;;#ASMEND
.LBB1221_106:
	s_or_b32 exec_lo, exec_lo, s13
	v_xad_u32 v8, v14, -1, s20
	s_mov_b32 s13, exec_lo
	s_delay_alu instid0(VALU_DEP_1) | instskip(NEXT) | instid1(VALU_DEP_1)
	v_add_nc_u32_e32 v4, 32, v8
	v_lshl_add_u64 v[10:11], v[4:5], 4, s[24:25]
	;;#ASMSTART
	global_load_b128 v[4:7], v[10:11] off scope:SCOPE_DEV	
s_wait_loadcnt 0x0
	;;#ASMEND
	v_and_b32_e32 v7, 0xff, v6
	v_and_b32_e32 v5, 0xff, v5
	s_delay_alu instid0(VALU_DEP_2)
	v_cmpx_eq_u16_e32 0, v7
	s_cbranch_execz .LBB1221_110
; %bb.107:
	s_mov_b32 s22, 0
.LBB1221_108:                           ; =>This Inner Loop Header: Depth=1
	;;#ASMSTART
	global_load_b128 v[4:7], v[10:11] off scope:SCOPE_DEV	
s_wait_loadcnt 0x0
	;;#ASMEND
	v_and_b32_e32 v7, 0xff, v6
	s_delay_alu instid0(VALU_DEP_1) | instskip(SKIP_1) | instid1(SALU_CYCLE_1)
	v_cmp_ne_u16_e32 vcc_lo, 0, v7
	s_or_b32 s22, vcc_lo, s22
	s_and_not1_b32 exec_lo, exec_lo, s22
	s_cbranch_execnz .LBB1221_108
; %bb.109:
	s_or_b32 exec_lo, exec_lo, s22
	v_and_b32_e32 v5, 0xff, v5
.LBB1221_110:
	s_or_b32 exec_lo, exec_lo, s13
	v_cmp_ne_u32_e32 vcc_lo, 31, v14
	v_and_b32_e32 v9, 0xff, v6
	v_lshlrev_b32_e64 v43, v14, -1
	s_mov_b64 s[22:23], 0x100000000
	v_lshl_or_b32 v52, v14, 2, 64
	v_add_co_ci_u32_e64 v7, null, 0, v14, vcc_lo
	v_cmp_eq_u16_e32 vcc_lo, 2, v9
	v_cmp_gt_u64_e64 s13, s[22:23], v[4:5]
	s_delay_alu instid0(VALU_DEP_3) | instskip(SKIP_1) | instid1(VALU_DEP_2)
	v_dual_lshlrev_b32 v15, 2, v7 :: v_dual_bitop2_b32 v10, 1, v5 bitop3:0x40
	v_and_or_b32 v9, vcc_lo, v43, 0x80000000
	v_cmp_eq_u32_e32 vcc_lo, 1, v10
	ds_bpermute_b32 v7, v15, v5
	ds_bpermute_b32 v10, v15, v4
	v_ctz_i32_b32_e32 v9, v9
	s_wait_dscnt 0x1
	v_and_b32_e32 v7, 1, v7
	s_delay_alu instid0(VALU_DEP_1) | instskip(SKIP_1) | instid1(VALU_DEP_2)
	v_cndmask_b32_e64 v7, v7, 1, vcc_lo
	v_cmp_gt_u32_e32 vcc_lo, 30, v14
	v_and_b32_e32 v45, 0xffff, v7
	v_cndmask_b32_e64 v11, 0, 2, vcc_lo
	v_cmp_lt_u32_e32 vcc_lo, v14, v9
	s_delay_alu instid0(VALU_DEP_2) | instskip(NEXT) | instid1(VALU_DEP_4)
	v_add_lshl_u32 v44, v11, v14, 2
	v_dual_cndmask_b32 v11, v5, v45, vcc_lo :: v_dual_cndmask_b32 v7, v5, v7, vcc_lo
	s_and_b32 vcc_lo, vcc_lo, s13
	v_add_nc_u32_e32 v45, 2, v14
	s_wait_dscnt 0x0
	v_cndmask_b32_e32 v10, 0, v10, vcc_lo
	ds_bpermute_b32 v5, v44, v11
	v_and_b32_e32 v46, 1, v7
	v_and_b32_e32 v48, 0xff, v7
	v_add_nc_u32_e32 v4, v10, v4
	s_delay_alu instid0(VALU_DEP_3) | instskip(NEXT) | instid1(VALU_DEP_3)
	v_cmp_eq_u32_e32 vcc_lo, 1, v46
	v_cmp_eq_u16_e64 s13, 0, v48
	ds_bpermute_b32 v10, v44, v4
	s_wait_dscnt 0x1
	v_and_b32_e32 v5, 1, v5
	s_delay_alu instid0(VALU_DEP_1) | instskip(SKIP_3) | instid1(VALU_DEP_3)
	v_cndmask_b32_e64 v5, v5, 1, vcc_lo
	v_cmp_gt_u32_e32 vcc_lo, 28, v14
	s_wait_dscnt 0x0
	v_cndmask_b32_e64 v10, 0, v10, s13
	v_and_b32_e32 v47, 0xffff, v5
	v_cndmask_b32_e64 v46, 0, 4, vcc_lo
	v_cmp_gt_u32_e32 vcc_lo, v45, v9
	s_delay_alu instid0(VALU_DEP_2) | instskip(SKIP_3) | instid1(VALU_DEP_2)
	v_add_lshl_u32 v46, v46, v14, 2
	v_cndmask_b32_e32 v5, v5, v7, vcc_lo
	v_cndmask_b32_e64 v10, v10, 0, vcc_lo
	v_dual_cndmask_b32 v7, v47, v11, vcc_lo :: v_dual_add_nc_u32 v47, 4, v14
	v_dual_add_nc_u32 v4, v10, v4 :: v_dual_bitop2_b32 v48, 1, v5 bitop3:0x40
	ds_bpermute_b32 v11, v46, v7
	v_cmp_eq_u32_e32 vcc_lo, 1, v48
	ds_bpermute_b32 v10, v46, v4
	v_and_b32_e32 v48, 0xff, v5
	s_delay_alu instid0(VALU_DEP_1) | instskip(SKIP_1) | instid1(VALU_DEP_1)
	v_cmp_eq_u16_e64 s13, 0, v48
	s_wait_dscnt 0x0
	v_dual_cndmask_b32 v10, 0, v10, s13 :: v_dual_bitop2_b32 v11, 1, v11 bitop3:0x40
	s_delay_alu instid0(VALU_DEP_1) | instskip(SKIP_1) | instid1(VALU_DEP_2)
	v_cndmask_b32_e64 v11, v11, 1, vcc_lo
	v_cmp_gt_u32_e32 vcc_lo, 24, v14
	v_and_b32_e32 v50, 0xffff, v11
	v_cndmask_b32_e64 v49, 0, 8, vcc_lo
	v_cmp_gt_u32_e32 vcc_lo, v47, v9
	s_delay_alu instid0(VALU_DEP_2) | instskip(NEXT) | instid1(VALU_DEP_4)
	v_add_lshl_u32 v48, v49, v14, 2
	v_dual_cndmask_b32 v5, v11, v5, vcc_lo :: v_dual_cndmask_b32 v7, v50, v7, vcc_lo
	v_cndmask_b32_e64 v10, v10, 0, vcc_lo
	s_delay_alu instid0(VALU_DEP_2)
	v_dual_add_nc_u32 v49, 8, v14 :: v_dual_bitop2_b32 v50, 1, v5 bitop3:0x40
	ds_bpermute_b32 v11, v48, v7
	v_add_nc_u32_e32 v4, v10, v4
	v_and_b32_e32 v51, 0xff, v5
	v_cmp_eq_u32_e32 vcc_lo, 1, v50
	ds_bpermute_b32 v10, v48, v4
	s_wait_dscnt 0x1
	v_and_b32_e32 v11, 1, v11
	s_delay_alu instid0(VALU_DEP_1) | instskip(SKIP_1) | instid1(VALU_DEP_2)
	v_cndmask_b32_e64 v11, v11, 1, vcc_lo
	v_cmp_eq_u16_e32 vcc_lo, 0, v51
	v_and_b32_e32 v50, 0xffff, v11
	s_wait_dscnt 0x0
	v_cndmask_b32_e32 v10, 0, v10, vcc_lo
	v_cmp_gt_u32_e32 vcc_lo, v49, v9
	s_delay_alu instid0(VALU_DEP_3) | instskip(NEXT) | instid1(VALU_DEP_3)
	v_dual_cndmask_b32 v5, v11, v5, vcc_lo :: v_dual_cndmask_b32 v7, v50, v7, vcc_lo
	v_cndmask_b32_e64 v10, v10, 0, vcc_lo
	s_delay_alu instid0(VALU_DEP_2) | instskip(SKIP_3) | instid1(VALU_DEP_1)
	v_and_b32_e32 v50, 1, v5
	ds_bpermute_b32 v7, v52, v7
	v_add_nc_u32_e32 v4, v10, v4
	v_and_b32_e32 v11, 0xff, v5
	v_cmp_eq_u16_e32 vcc_lo, 0, v11
	s_wait_dscnt 0x0
	v_and_b32_e32 v7, 1, v7
	ds_bpermute_b32 v10, v52, v4
	s_wait_dscnt 0x0
	v_cndmask_b32_e32 v10, 0, v10, vcc_lo
	v_cmp_eq_u32_e32 vcc_lo, 1, v50
	v_cndmask_b32_e64 v7, v7, 1, vcc_lo
	v_add_nc_u32_e32 v53, 16, v14
	s_delay_alu instid0(VALU_DEP_1) | instskip(NEXT) | instid1(VALU_DEP_3)
	v_cmp_gt_u32_e32 vcc_lo, v53, v9
	v_dual_mov_b32 v9, 0 :: v_dual_cndmask_b32 v5, v7, v5, vcc_lo
	v_cndmask_b32_e64 v7, v10, 0, vcc_lo
	s_delay_alu instid0(VALU_DEP_1)
	v_add_nc_u32_e32 v4, v7, v4
	s_branch .LBB1221_114
.LBB1221_111:                           ;   in Loop: Header=BB1221_114 Depth=1
	s_or_b32 exec_lo, exec_lo, s31
	v_and_b32_e32 v5, 0xff, v5
.LBB1221_112:                           ;   in Loop: Header=BB1221_114 Depth=1
	s_or_b32 exec_lo, exec_lo, s13
	ds_bpermute_b32 v7, v15, v5
	v_and_b32_e32 v10, 0xff, v6
	v_cmp_gt_u64_e64 s13, s[22:23], v[4:5]
	v_subrev_nc_u32_e32 v8, 32, v8
	s_delay_alu instid0(VALU_DEP_3) | instskip(SKIP_2) | instid1(VALU_DEP_2)
	v_cmp_eq_u16_e32 vcc_lo, 2, v10
	v_and_b32_e32 v10, 1, v5
	v_and_or_b32 v11, vcc_lo, v43, 0x80000000
	v_cmp_eq_u32_e32 vcc_lo, 1, v10
	s_delay_alu instid0(VALU_DEP_2) | instskip(SKIP_3) | instid1(VALU_DEP_1)
	v_ctz_i32_b32_e32 v10, v11
	ds_bpermute_b32 v11, v15, v4
	s_wait_dscnt 0x1
	v_and_b32_e32 v7, 1, v7
	v_cndmask_b32_e64 v7, v7, 1, vcc_lo
	v_cmp_lt_u32_e32 vcc_lo, v14, v10
	s_delay_alu instid0(VALU_DEP_2) | instskip(NEXT) | instid1(VALU_DEP_1)
	v_and_b32_e32 v54, 0xffff, v7
	v_dual_cndmask_b32 v7, v5, v7 :: v_dual_cndmask_b32 v54, v5, v54
	s_and_b32 vcc_lo, vcc_lo, s13
	s_delay_alu instid0(VALU_DEP_1)
	v_and_b32_e32 v56, 0xff, v7
	v_and_b32_e32 v55, 1, v7
	ds_bpermute_b32 v5, v44, v54
	s_wait_dscnt 0x1
	v_cndmask_b32_e32 v11, 0, v11, vcc_lo
	v_cmp_eq_u16_e64 s13, 0, v56
	v_cmp_eq_u32_e32 vcc_lo, 1, v55
	s_wait_dscnt 0x0
	s_delay_alu instid0(VALU_DEP_3) | instskip(NEXT) | instid1(VALU_DEP_1)
	v_dual_add_nc_u32 v4, v11, v4 :: v_dual_bitop2_b32 v5, 1, v5 bitop3:0x40
	v_cndmask_b32_e64 v5, v5, 1, vcc_lo
	ds_bpermute_b32 v11, v44, v4
	v_cmp_gt_u32_e32 vcc_lo, v45, v10
	v_and_b32_e32 v55, 0xffff, v5
	s_delay_alu instid0(VALU_DEP_1) | instskip(NEXT) | instid1(VALU_DEP_1)
	v_dual_cndmask_b32 v5, v5, v7, vcc_lo :: v_dual_cndmask_b32 v7, v55, v54, vcc_lo
	v_and_b32_e32 v55, 1, v5
	ds_bpermute_b32 v54, v46, v7
	s_wait_dscnt 0x1
	v_cndmask_b32_e64 v11, 0, v11, s13
	s_delay_alu instid0(VALU_DEP_1) | instskip(SKIP_2) | instid1(VALU_DEP_3)
	v_cndmask_b32_e64 v11, v11, 0, vcc_lo
	v_cmp_eq_u32_e32 vcc_lo, 1, v55
	v_and_b32_e32 v55, 0xff, v5
	v_add_nc_u32_e32 v4, v11, v4
	s_delay_alu instid0(VALU_DEP_2)
	v_cmp_eq_u16_e64 s13, 0, v55
	s_wait_dscnt 0x0
	v_and_b32_e32 v54, 1, v54
	ds_bpermute_b32 v11, v46, v4
	v_cndmask_b32_e64 v54, v54, 1, vcc_lo
	v_cmp_gt_u32_e32 vcc_lo, v47, v10
	s_delay_alu instid0(VALU_DEP_2) | instskip(SKIP_3) | instid1(VALU_DEP_1)
	v_and_b32_e32 v56, 0xffff, v54
	s_wait_dscnt 0x0
	v_dual_cndmask_b32 v5, v54, v5, vcc_lo :: v_dual_cndmask_b32 v11, 0, v11, s13
	s_mov_b32 s13, 0
	v_cndmask_b32_e64 v11, v11, 0, vcc_lo
	v_cndmask_b32_e32 v7, v56, v7, vcc_lo
	s_delay_alu instid0(VALU_DEP_3) | instskip(NEXT) | instid1(VALU_DEP_3)
	v_and_b32_e32 v56, 0xff, v5
	v_add_nc_u32_e32 v4, v11, v4
	ds_bpermute_b32 v54, v48, v7
	ds_bpermute_b32 v11, v48, v4
	v_and_b32_e32 v55, 1, v5
	s_delay_alu instid0(VALU_DEP_1) | instskip(SKIP_2) | instid1(VALU_DEP_1)
	v_cmp_eq_u32_e32 vcc_lo, 1, v55
	s_wait_dscnt 0x1
	v_and_b32_e32 v54, 1, v54
	v_cndmask_b32_e64 v54, v54, 1, vcc_lo
	v_cmp_eq_u16_e32 vcc_lo, 0, v56
	s_delay_alu instid0(VALU_DEP_2) | instskip(SKIP_3) | instid1(VALU_DEP_2)
	v_and_b32_e32 v55, 0xffff, v54
	s_wait_dscnt 0x0
	v_cndmask_b32_e32 v11, 0, v11, vcc_lo
	v_cmp_gt_u32_e32 vcc_lo, v49, v10
	v_cndmask_b32_e64 v11, v11, 0, vcc_lo
	v_dual_cndmask_b32 v7, v55, v7, vcc_lo :: v_dual_cndmask_b32 v5, v54, v5, vcc_lo
	s_delay_alu instid0(VALU_DEP_2) | instskip(SKIP_4) | instid1(VALU_DEP_1)
	v_add_nc_u32_e32 v4, v11, v4
	ds_bpermute_b32 v7, v52, v7
	v_and_b32_e32 v55, 0xff, v5
	ds_bpermute_b32 v11, v52, v4
	v_and_b32_e32 v54, 1, v5
	v_cmp_eq_u32_e32 vcc_lo, 1, v54
	s_wait_dscnt 0x1
	v_cndmask_b32_e64 v7, v7, 1, vcc_lo
	v_cmp_eq_u16_e32 vcc_lo, 0, v55
	s_wait_dscnt 0x0
	v_cndmask_b32_e32 v11, 0, v11, vcc_lo
	v_cmp_gt_u32_e32 vcc_lo, v53, v10
	v_and_b32_e32 v10, 0xff, v50
	v_cndmask_b32_e32 v5, v7, v5, vcc_lo
	s_delay_alu instid0(VALU_DEP_4) | instskip(NEXT) | instid1(VALU_DEP_3)
	v_cndmask_b32_e64 v7, v11, 0, vcc_lo
	v_cmp_eq_u16_e32 vcc_lo, 0, v10
	s_delay_alu instid0(VALU_DEP_2) | instskip(NEXT) | instid1(VALU_DEP_1)
	v_dual_add_nc_u32 v4, v7, v4 :: v_dual_bitop2_b32 v7, 1, v50 bitop3:0x40
	v_dual_cndmask_b32 v4, 0, v4, vcc_lo :: v_dual_bitop2_b32 v5, 1, v5 bitop3:0x40
	s_delay_alu instid0(VALU_DEP_2) | instskip(NEXT) | instid1(VALU_DEP_2)
	v_cmp_eq_u32_e32 vcc_lo, 1, v7
	v_add_nc_u32_e32 v4, v4, v51
	s_delay_alu instid0(VALU_DEP_3)
	v_cndmask_b32_e64 v5, v5, 1, vcc_lo
.LBB1221_113:                           ;   in Loop: Header=BB1221_114 Depth=1
	s_and_b32 vcc_lo, exec_lo, s13
	s_cbranch_vccnz .LBB1221_159
.LBB1221_114:                           ; =>This Loop Header: Depth=1
                                        ;     Child Loop BB1221_117 Depth 2
	v_and_b32_e32 v6, 0xff, v6
	s_delay_alu instid0(VALU_DEP_2) | instskip(SKIP_1) | instid1(VALU_DEP_2)
	v_dual_mov_b32 v50, v5 :: v_dual_mov_b32 v51, v4
	s_mov_b32 s13, -1
                                        ; implicit-def: $vgpr5
                                        ; implicit-def: $vgpr4
	v_cmp_ne_u16_e32 vcc_lo, 2, v6
                                        ; implicit-def: $vgpr6
	s_cmp_lg_u32 vcc_lo, exec_lo
	s_cbranch_scc1 .LBB1221_113
; %bb.115:                              ;   in Loop: Header=BB1221_114 Depth=1
	v_lshl_add_u64 v[10:11], v[8:9], 4, s[24:25]
	;;#ASMSTART
	global_load_b128 v[4:7], v[10:11] off scope:SCOPE_DEV	
s_wait_loadcnt 0x0
	;;#ASMEND
	v_and_b32_e32 v7, 0xff, v6
	v_and_b32_e32 v5, 0xff, v5
	s_mov_b32 s13, exec_lo
	s_delay_alu instid0(VALU_DEP_2)
	v_cmpx_eq_u16_e32 0, v7
	s_cbranch_execz .LBB1221_112
; %bb.116:                              ;   in Loop: Header=BB1221_114 Depth=1
	s_mov_b32 s31, 0
.LBB1221_117:                           ;   Parent Loop BB1221_114 Depth=1
                                        ; =>  This Inner Loop Header: Depth=2
	;;#ASMSTART
	global_load_b128 v[4:7], v[10:11] off scope:SCOPE_DEV	
s_wait_loadcnt 0x0
	;;#ASMEND
	v_and_b32_e32 v7, 0xff, v6
	s_delay_alu instid0(VALU_DEP_1) | instskip(SKIP_1) | instid1(SALU_CYCLE_1)
	v_cmp_ne_u16_e32 vcc_lo, 0, v7
	s_or_b32 s31, vcc_lo, s31
	s_and_not1_b32 exec_lo, exec_lo, s31
	s_cbranch_execnz .LBB1221_117
	s_branch .LBB1221_111
.LBB1221_118:
                                        ; implicit-def: $vgpr13
                                        ; implicit-def: $vgpr5
                                        ; implicit-def: $vgpr9
                                        ; implicit-def: $vgpr14_vgpr15
	s_cbranch_execnz .LBB1221_164
.LBB1221_119:
	s_add_nc_u64 s[0:1], s[14:15], s[34:35]
	s_and_b32 vcc_lo, exec_lo, s21
	s_add_nc_u64 s[0:1], s[0:1], s[16:17]
	s_cbranch_vccz .LBB1221_181
.LBB1221_120:
	v_mul_u32_u24_e32 v1, 12, v0
	s_add_co_i32 s27, s27, s26
	s_mov_b32 s2, exec_lo
	s_delay_alu instid0(VALU_DEP_1)
	v_cmpx_gt_u32_e64 s27, v1
	s_cbranch_execz .LBB1221_136
; %bb.121:
	v_or_b32_e32 v17, 1, v1
	s_mov_b32 s3, exec_lo
	s_delay_alu instid0(VALU_DEP_1)
	v_cmpx_gt_u32_e64 s27, v17
	s_cbranch_execz .LBB1221_135
; %bb.122:
	v_or_b32_e32 v17, 2, v1
	;; [unrolled: 6-line block ×3, first 2 shown]
	s_mov_b32 s5, exec_lo
	s_delay_alu instid0(VALU_DEP_1)
	v_cmpx_gt_u32_e64 s27, v17
	s_cbranch_execz .LBB1221_133
; %bb.124:
	v_add_nc_u32_e32 v17, 4, v1
	s_mov_b32 s6, exec_lo
	s_delay_alu instid0(VALU_DEP_1)
	v_cmpx_gt_u32_e64 s27, v17
	s_cbranch_execz .LBB1221_132
; %bb.125:
	v_add_nc_u32_e32 v17, 5, v1
	s_mov_b32 s7, exec_lo
	s_delay_alu instid0(VALU_DEP_1)
	v_cmpx_gt_u32_e64 s27, v17
	s_cbranch_execz .LBB1221_131
; %bb.126:
	v_add_nc_u32_e32 v17, 6, v1
	s_mov_b32 s8, exec_lo
	s_delay_alu instid0(VALU_DEP_1)
	v_cmpx_gt_u32_e64 s27, v17
	s_cbranch_execz .LBB1221_130
; %bb.127:
	v_add_nc_u32_e32 v17, 7, v1
	s_mov_b32 s9, exec_lo
	s_delay_alu instid0(VALU_DEP_1)
	v_cmpx_gt_u32_e64 s27, v17
; %bb.128:
	v_add_nc_u32_e32 v17, 8, v1
	s_mov_b32 s10, exec_lo
	s_delay_alu instid0(VALU_DEP_1)
	v_cmpx_gt_u32_e64 s27, v17
	s_or_b32 exec_lo, exec_lo, s10
; %bb.129:
	s_delay_alu instid0(SALU_CYCLE_1)
	s_or_b32 exec_lo, exec_lo, s9
.LBB1221_130:
	s_delay_alu instid0(SALU_CYCLE_1)
	s_or_b32 exec_lo, exec_lo, s8
.LBB1221_131:
	s_delay_alu instid0(SALU_CYCLE_1)
	s_or_b32 exec_lo, exec_lo, s7
.LBB1221_132:
	s_delay_alu instid0(SALU_CYCLE_1)
	s_or_b32 exec_lo, exec_lo, s6
.LBB1221_133:
	s_delay_alu instid0(SALU_CYCLE_1)
	s_or_b32 exec_lo, exec_lo, s5
.LBB1221_134:
	s_delay_alu instid0(SALU_CYCLE_1)
	s_or_b32 exec_lo, exec_lo, s4
.LBB1221_135:
	s_delay_alu instid0(SALU_CYCLE_1)
	s_or_b32 exec_lo, exec_lo, s3
.LBB1221_136:
	s_delay_alu instid0(SALU_CYCLE_1)
	s_or_b32 exec_lo, exec_lo, s2
	v_dual_lshlrev_b32 v1, 2, v1 :: v_dual_mov_b32 v17, 0
	s_barrier_signal -1
	s_barrier_wait -1
	ds_store_b128 v1, v[6:9]
	ds_store_b128 v1, v[2:5] offset:16
	ds_store_b128 v1, v[10:13] offset:32
	v_mad_i32_i24 v6, 0xffffffd4, v0, v1
	s_wait_dscnt 0x0
	s_barrier_signal -1
	s_barrier_wait -1
	ds_load_2addr_stride64_b32 v[26:27], v6 offset0:4 offset1:8
	ds_load_2addr_stride64_b32 v[24:25], v6 offset0:12 offset1:16
	ds_load_2addr_stride64_b32 v[22:23], v6 offset0:20 offset1:24
	ds_load_2addr_stride64_b32 v[20:21], v6 offset0:28 offset1:32
	ds_load_2addr_stride64_b32 v[18:19], v6 offset0:36 offset1:40
	ds_load_b32 v7, v6 offset:11264
	v_add_nc_u64_e32 v[16:17], s[0:1], v[16:17]
	s_mov_b32 s2, exec_lo
	v_cmpx_gt_u32_e64 s27, v0
	s_cbranch_execz .LBB1221_138
; %bb.137:
	v_mul_i32_i24_e32 v6, 0xffffffd4, v0
	s_delay_alu instid0(VALU_DEP_1)
	v_add_nc_u32_e32 v1, v1, v6
	ds_load_b32 v1, v1
	s_wait_dscnt 0x0
	flat_store_b32 v[16:17], v1
.LBB1221_138:
	s_wait_xcnt 0x0
	s_or_b32 exec_lo, exec_lo, s2
	v_or_b32_e32 v1, 0x100, v0
	s_mov_b32 s2, exec_lo
	s_delay_alu instid0(VALU_DEP_1)
	v_cmpx_gt_u32_e64 s27, v1
	s_cbranch_execz .LBB1221_140
; %bb.139:
	s_wait_dscnt 0x5
	flat_store_b32 v[16:17], v26 offset:1024
.LBB1221_140:
	s_wait_xcnt 0x0
	s_or_b32 exec_lo, exec_lo, s2
	v_or_b32_e32 v1, 0x200, v0
	s_mov_b32 s2, exec_lo
	s_delay_alu instid0(VALU_DEP_1)
	v_cmpx_gt_u32_e64 s27, v1
	s_cbranch_execz .LBB1221_142
; %bb.141:
	s_wait_dscnt 0x5
	flat_store_b32 v[16:17], v27 offset:2048
.LBB1221_142:
	;; [unrolled: 11-line block ×10, first 2 shown]
	s_wait_xcnt 0x0
	s_or_b32 exec_lo, exec_lo, s2
	v_or_b32_e32 v1, 0xb00, v0
	s_delay_alu instid0(VALU_DEP_1)
	v_cmp_gt_u32_e64 s2, s27, v1
	s_branch .LBB1221_183
.LBB1221_159:
	s_and_saveexec_b32 s13, s12
	s_cbranch_execz .LBB1221_161
; %bb.160:
	v_and_b32_e32 v4, 0xff, v3
	s_mov_b32 s23, 0
	s_add_co_i32 s22, s20, 32
	v_and_b32_e32 v5, 1, v50
	s_lshl_b64 s[22:23], s[22:23], 4
	v_cmp_eq_u32_e32 vcc_lo, 0, v4
	s_add_nc_u64 s[22:23], s[24:25], s[22:23]
	s_delay_alu instid0(SALU_CYCLE_1) | instskip(SKIP_1) | instid1(VALU_DEP_1)
	v_mov_b64_e32 v[6:7], s[22:23]
	v_cndmask_b32_e32 v4, 0, v51, vcc_lo
	v_dual_add_nc_u32 v2, v4, v2 :: v_dual_bitop2_b32 v3, 1, v3 bitop3:0x40
	s_delay_alu instid0(VALU_DEP_1)
	v_cmp_eq_u32_e32 vcc_lo, 1, v3
	v_mov_b32_e32 v4, 2
	v_cndmask_b32_e64 v3, v5, 1, vcc_lo
	v_mov_b32_e32 v5, 0
	;;#ASMSTART
	global_store_b128 v[6:7], v[2:5] off scope:SCOPE_DEV	
s_wait_storecnt 0x0
	;;#ASMEND
.LBB1221_161:
	s_or_b32 exec_lo, exec_lo, s13
	s_delay_alu instid0(SALU_CYCLE_1)
	s_and_b32 exec_lo, exec_lo, s11
	s_cbranch_execz .LBB1221_163
; %bb.162:
	v_mov_b32_e32 v2, 0
	ds_store_b32 v2, v51
	ds_store_b8 v2, v50 offset:4
.LBB1221_163:
	s_or_b32 exec_lo, exec_lo, s30
	v_dual_mov_b32 v2, 0 :: v_dual_bitop2_b32 v3, 1, v19 bitop3:0x40
	s_wait_dscnt 0x0
	s_barrier_signal -1
	s_barrier_wait -1
	s_delay_alu instid0(VALU_DEP_1) | instskip(SKIP_4) | instid1(VALU_DEP_2)
	v_cmp_eq_u32_e32 vcc_lo, 1, v3
	ds_load_b32 v2, v2
	s_mov_b64 s[12:13], 0x100000000
	v_cndmask_b32_e64 v3, v13, 1, vcc_lo
	v_cmp_gt_u64_e32 vcc_lo, s[12:13], v[18:19]
	v_dual_cndmask_b32 v3, v3, v19, s11 :: v_dual_cndmask_b32 v4, 0, v12, vcc_lo
	s_delay_alu instid0(VALU_DEP_1) | instskip(NEXT) | instid1(VALU_DEP_2)
	v_and_b32_e32 v3, 0xff, v3
	v_cndmask_b32_e64 v4, v4, 0, s11
	s_delay_alu instid0(VALU_DEP_2) | instskip(SKIP_2) | instid1(VALU_DEP_1)
	v_cmp_eq_u16_e32 vcc_lo, 0, v3
	s_wait_dscnt 0x0
	v_cndmask_b32_e32 v2, 0, v2, vcc_lo
	v_add3_u32 v6, v4, v18, v2
	s_delay_alu instid0(VALU_DEP_1) | instskip(NEXT) | instid1(VALU_DEP_1)
	v_cndmask_b32_e64 v2, 0, v6, s0
	v_add_nc_u32_e32 v7, v2, v38
	s_delay_alu instid0(VALU_DEP_1) | instskip(NEXT) | instid1(VALU_DEP_1)
	v_cndmask_b32_e64 v2, 0, v7, s1
	v_add_nc_u32_e32 v8, v2, v36
	v_mov_b64_e32 v[14:15], v[6:7]
	s_delay_alu instid0(VALU_DEP_2) | instskip(NEXT) | instid1(VALU_DEP_1)
	v_cndmask_b32_e64 v2, 0, v8, s2
	v_add_nc_u32_e32 v9, v2, v34
	s_delay_alu instid0(VALU_DEP_1) | instskip(NEXT) | instid1(VALU_DEP_1)
	v_cndmask_b32_e64 v2, 0, v9, s3
	v_add_nc_u32_e32 v2, v2, v32
	s_delay_alu instid0(VALU_DEP_1) | instskip(NEXT) | instid1(VALU_DEP_1)
	;; [unrolled: 3-line block ×8, first 2 shown]
	v_cndmask_b32_e64 v13, 0, v12, s10
	v_add_nc_u32_e32 v13, v13, v40
	s_branch .LBB1221_119
.LBB1221_164:
	s_cmp_lg_u64 s[28:29], 0
	v_cmp_eq_u32_e32 vcc_lo, 0, v0
	s_cselect_b32 s1, -1, 0
	s_cmp_lg_u64 s[18:19], 0
	v_cmp_ne_u32_e64 s0, 0, v0
	s_cselect_b32 s2, -1, 0
	s_delay_alu instid0(SALU_CYCLE_1) | instskip(NEXT) | instid1(SALU_CYCLE_1)
	s_and_b32 s1, s1, s2
	s_and_b32 s1, vcc_lo, s1
	s_delay_alu instid0(SALU_CYCLE_1)
	s_and_saveexec_b32 s2, s1
	s_cbranch_execz .LBB1221_166
; %bb.165:
	s_mov_b64 s[4:5], 0x100000000
	s_delay_alu instid0(SALU_CYCLE_1)
	v_cmp_gt_u64_e64 s1, s[4:5], v[18:19]
	v_mov_b32_e32 v2, 0
	s_clause 0x1
	global_load_b32 v3, v2, s[18:19]
	global_load_u8 v4, v2, s[18:19] offset:4
	s_wait_loadcnt 0x1
	v_cndmask_b32_e64 v5, 0, v3, s1
	v_and_b32_e32 v3, 1, v19
	s_wait_loadcnt 0x0
	s_delay_alu instid0(VALU_DEP_2) | instskip(NEXT) | instid1(VALU_DEP_2)
	v_dual_add_nc_u32 v18, v5, v18 :: v_dual_bitop2_b32 v4, 1, v4 bitop3:0x40
	v_cmp_eq_u64_e64 s1, 0, v[2:3]
	s_delay_alu instid0(VALU_DEP_1)
	v_cndmask_b32_e64 v19, 1, v4, s1
.LBB1221_166:
	s_or_b32 exec_lo, exec_lo, s2
	s_mov_b64 s[12:13], 0x100000000
	v_or3_b32 v12, v42, v29, v31
	v_cmp_gt_u64_e64 s1, s[12:13], v[38:39]
	v_cmp_gt_u64_e64 s6, s[12:13], v[28:29]
	;; [unrolled: 1-line block ×7, first 2 shown]
	v_cndmask_b32_e64 v2, 0, v18, s1
	v_cmp_gt_u64_e64 s8, s[12:13], v[24:25]
	v_cmp_gt_u64_e64 s10, s[12:13], v[20:21]
	;; [unrolled: 1-line block ×3, first 2 shown]
	v_dual_mov_b32 v14, 0 :: v_dual_bitop2_b32 v1, 56, v1 bitop3:0x40
	v_add_nc_u32_e32 v7, v2, v38
	v_cmp_gt_u64_e64 s11, s[12:13], v[40:41]
	s_mov_b32 s13, exec_lo
	v_lshl_add_u32 v1, v0, 3, v1
	v_cndmask_b32_e64 v2, 0, v7, s2
	s_delay_alu instid0(VALU_DEP_1) | instskip(NEXT) | instid1(VALU_DEP_1)
	v_add_nc_u32_e32 v8, v2, v36
	v_cndmask_b32_e64 v2, 0, v8, s3
	s_delay_alu instid0(VALU_DEP_1) | instskip(NEXT) | instid1(VALU_DEP_1)
	v_add_nc_u32_e32 v9, v2, v34
	;; [unrolled: 3-line block ×7, first 2 shown]
	v_cndmask_b32_e64 v6, 0, v10, s9
	s_delay_alu instid0(VALU_DEP_1) | instskip(SKIP_1) | instid1(VALU_DEP_2)
	v_add_nc_u32_e32 v11, v6, v22
	v_or3_b32 v6, v12, v33, v35
	v_cndmask_b32_e64 v12, 0, v11, s10
	s_delay_alu instid0(VALU_DEP_2) | instskip(NEXT) | instid1(VALU_DEP_2)
	v_or3_b32 v6, v6, v37, v39
	v_add_nc_u32_e32 v12, v12, v20
	s_delay_alu instid0(VALU_DEP_2) | instskip(NEXT) | instid1(VALU_DEP_1)
	v_or3_b32 v6, v41, v17, v6
	v_and_b32_e32 v15, 0xff, v6
	s_delay_alu instid0(VALU_DEP_1) | instskip(NEXT) | instid1(VALU_DEP_1)
	v_cmp_eq_u64_e64 s12, 0, v[14:15]
	v_dual_cndmask_b32 v13, 0, v12, s11 :: v_dual_cndmask_b32 v6, 1, v19, s12
	s_delay_alu instid0(VALU_DEP_1)
	v_add_nc_u32_e32 v13, v13, v40
	ds_store_b32 v1, v13
	ds_store_b8 v1, v6 offset:4
	s_wait_dscnt 0x0
	s_barrier_signal -1
	s_barrier_wait -1
	v_cmpx_gt_u32_e32 32, v0
	s_cbranch_execz .LBB1221_176
; %bb.167:
	v_dual_lshlrev_b32 v1, 1, v0 :: v_dual_lshlrev_b32 v14, 6, v0
	s_mov_b32 s18, exec_lo
	s_delay_alu instid0(VALU_DEP_1) | instskip(NEXT) | instid1(VALU_DEP_1)
	v_and_b32_e32 v1, 0x1f8, v1
	v_add_nc_u32_e32 v1, v1, v14
	ds_load_u8 v17, v1 offset:12
	ds_load_b64 v[14:15], v1
	ds_load_2addr_b32 v[42:43], v1 offset0:2 offset1:4
	ds_load_u8 v21, v1 offset:20
	ds_load_u8 v23, v1 offset:28
	;; [unrolled: 1-line block ×5, first 2 shown]
	ds_load_b32 v33, v1 offset:56
	s_wait_dscnt 0x8
	v_cmp_eq_u16_e64 s12, 0, v17
	s_wait_dscnt 0x5
	s_delay_alu instid0(VALU_DEP_1)
	v_dual_cndmask_b32 v31, 0, v14, s12 :: v_dual_bitop2_b32 v17, v21, v17 bitop3:0x54
	ds_load_2addr_b32 v[44:45], v1 offset0:6 offset1:8
	v_cmp_eq_u16_e64 s12, 0, v21
	ds_load_u8 v35, v1 offset:60
	s_wait_dscnt 0x5
	v_bitop3_b16 v17, v17, v25, v23 bitop3:0xfe
	v_add_nc_u32_e32 v31, v31, v42
	s_delay_alu instid0(VALU_DEP_1)
	v_cndmask_b32_e64 v31, 0, v31, s12
	v_cmp_eq_u16_e64 s12, 0, v23
	s_wait_dscnt 0x3
	v_bitop3_b16 v23, v17, v29, v27 bitop3:0xfe
	v_and_b32_e32 v17, 1, v15
	v_add_nc_u32_e32 v31, v31, v43
	ds_load_2addr_b32 v[42:43], v1 offset0:10 offset1:12
	v_cndmask_b32_e64 v31, 0, v31, s12
	v_cmp_eq_u16_e64 s12, 0, v25
	s_wait_dscnt 0x1
	s_delay_alu instid0(VALU_DEP_2) | instskip(NEXT) | instid1(VALU_DEP_1)
	v_dual_add_nc_u32 v31, v31, v44 :: v_dual_bitop2_b32 v25, 1, v35 bitop3:0x40
	v_cndmask_b32_e64 v31, 0, v31, s12
	v_cmp_eq_u16_e64 s12, 0, v27
	s_delay_alu instid0(VALU_DEP_2) | instskip(NEXT) | instid1(VALU_DEP_1)
	v_add_nc_u32_e32 v21, v31, v45
	v_cndmask_b32_e64 v21, 0, v21, s12
	v_cmp_eq_u16_e64 s12, 0, v23
	s_wait_dscnt 0x0
	s_delay_alu instid0(VALU_DEP_1) | instskip(SKIP_1) | instid1(VALU_DEP_1)
	v_dual_add_nc_u32 v21, v21, v42 :: v_dual_cndmask_b32 v23, 1, v17, s12
	v_cmp_eq_u16_e64 s12, 0, v29
	v_cndmask_b32_e64 v21, 0, v21, s12
	v_cmp_eq_u32_e64 s12, 1, v25
	v_mbcnt_lo_u32_b32 v25, -1, 0
	s_delay_alu instid0(VALU_DEP_2) | instskip(SKIP_1) | instid1(VALU_DEP_2)
	v_cndmask_b32_e64 v27, v23, 1, s12
	v_cmp_eq_u16_e64 s12, 0, v35
	v_and_b32_e32 v29, 0xffff, v27
	v_add_nc_u32_e32 v23, v21, v43
	v_and_b32_e32 v21, 0xffffff00, v15
	s_delay_alu instid0(VALU_DEP_1) | instskip(SKIP_1) | instid1(VALU_DEP_2)
	v_dual_cndmask_b32 v23, 0, v23, s12 :: v_dual_bitop2_b32 v31, v21, v29 bitop3:0x54
	v_and_b32_e32 v29, 15, v25
	v_mov_b32_dpp v35, v31 row_shr:1 row_mask:0xf bank_mask:0xf
	s_delay_alu instid0(VALU_DEP_3) | instskip(NEXT) | instid1(VALU_DEP_1)
	v_add_nc_u32_e32 v23, v23, v33
	v_mov_b32_dpp v33, v23 row_shr:1 row_mask:0xf bank_mask:0xf
	s_delay_alu instid0(VALU_DEP_4)
	v_cmpx_ne_u32_e32 0, v29
	s_cbranch_execz .LBB1221_169
; %bb.168:
	v_and_b32_e32 v31, 1, v27
	v_and_b32_e32 v35, 1, v35
	s_delay_alu instid0(VALU_DEP_2) | instskip(NEXT) | instid1(VALU_DEP_1)
	v_cmp_eq_u32_e64 s12, 1, v31
	v_cndmask_b32_e64 v35, v35, 1, s12
	v_cmp_eq_u16_e64 s12, 0, v27
	s_delay_alu instid0(VALU_DEP_2) | instskip(NEXT) | instid1(VALU_DEP_1)
	v_and_b32_e32 v31, 0xffff, v35
	v_dual_cndmask_b32 v27, 0, v33, s12 :: v_dual_bitop2_b32 v31, v21, v31 bitop3:0x54
	s_delay_alu instid0(VALU_DEP_1)
	v_add_nc_u32_e32 v23, v27, v23
	v_mov_b32_e32 v27, v35
.LBB1221_169:
	s_or_b32 exec_lo, exec_lo, s18
	s_delay_alu instid0(VALU_DEP_2)
	v_mov_b32_dpp v33, v23 row_shr:2 row_mask:0xf bank_mask:0xf
	v_mov_b32_dpp v35, v31 row_shr:2 row_mask:0xf bank_mask:0xf
	s_mov_b32 s18, exec_lo
	v_cmpx_lt_u32_e32 1, v29
	s_cbranch_execz .LBB1221_171
; %bb.170:
	v_and_b32_e32 v31, 1, v27
	v_and_b32_e32 v35, 1, v35
	s_delay_alu instid0(VALU_DEP_2) | instskip(NEXT) | instid1(VALU_DEP_1)
	v_cmp_eq_u32_e64 s12, 1, v31
	v_cndmask_b32_e64 v35, v35, 1, s12
	v_cmp_eq_u16_e64 s12, 0, v27
	s_delay_alu instid0(VALU_DEP_2) | instskip(NEXT) | instid1(VALU_DEP_1)
	v_and_b32_e32 v31, 0xffff, v35
	v_dual_cndmask_b32 v27, 0, v33, s12 :: v_dual_bitop2_b32 v31, v21, v31 bitop3:0x54
	s_delay_alu instid0(VALU_DEP_1)
	v_add_nc_u32_e32 v23, v27, v23
	v_mov_b32_e32 v27, v35
.LBB1221_171:
	s_or_b32 exec_lo, exec_lo, s18
	s_delay_alu instid0(VALU_DEP_2)
	v_mov_b32_dpp v33, v23 row_shr:4 row_mask:0xf bank_mask:0xf
	v_mov_b32_dpp v35, v31 row_shr:4 row_mask:0xf bank_mask:0xf
	s_mov_b32 s18, exec_lo
	v_cmpx_lt_u32_e32 3, v29
	;; [unrolled: 21-line block ×3, first 2 shown]
	s_cbranch_execz .LBB1221_175
; %bb.174:
	v_and_b32_e32 v29, 1, v27
	v_and_b32_e32 v31, 1, v35
	s_delay_alu instid0(VALU_DEP_2) | instskip(NEXT) | instid1(VALU_DEP_1)
	v_cmp_eq_u32_e64 s12, 1, v29
	v_cndmask_b32_e64 v29, v31, 1, s12
	v_cmp_eq_u16_e64 s12, 0, v27
	s_delay_alu instid0(VALU_DEP_2) | instskip(NEXT) | instid1(VALU_DEP_1)
	v_and_b32_e32 v31, 0xffff, v29
	v_dual_cndmask_b32 v27, 0, v33, s12 :: v_dual_bitop2_b32 v31, v21, v31 bitop3:0x54
	s_delay_alu instid0(VALU_DEP_1)
	v_dual_add_nc_u32 v23, v27, v23 :: v_dual_mov_b32 v27, v29
.LBB1221_175:
	s_or_b32 exec_lo, exec_lo, s18
	ds_swizzle_b32 v29, v31 offset:swizzle(BROADCAST,32,15)
	ds_swizzle_b32 v31, v23 offset:swizzle(BROADCAST,32,15)
	v_and_b32_e32 v33, 1, v27
	v_and_b32_e32 v35, 16, v25
	v_bfe_i32 v37, v25, 4, 1
	v_and_b32_e32 v15, 0xff, v15
	s_delay_alu instid0(VALU_DEP_4) | instskip(SKIP_3) | instid1(VALU_DEP_1)
	v_cmp_eq_u32_e64 s12, 1, v33
	v_add_nc_u32_e32 v33, -1, v25
	; wave barrier
	s_wait_dscnt 0x1
	v_and_b32_e32 v29, 1, v29
	v_cndmask_b32_e64 v29, v29, 1, s12
	v_cmp_eq_u16_e64 s12, 0, v27
	s_wait_dscnt 0x0
	s_delay_alu instid0(VALU_DEP_1) | instskip(SKIP_1) | instid1(VALU_DEP_1)
	v_cndmask_b32_e64 v31, 0, v31, s12
	v_cmp_eq_u32_e64 s12, 0, v35
	v_cndmask_b32_e64 v27, v29, v27, s12
	v_cmp_gt_i32_e64 s12, 0, v33
	s_delay_alu instid0(VALU_DEP_2) | instskip(NEXT) | instid1(VALU_DEP_2)
	v_and_b32_e32 v27, 0xffff, v27
	v_cndmask_b32_e64 v25, v33, v25, s12
	v_and_b32_e32 v29, v37, v31
	v_cmp_eq_u16_e64 s12, 0, v15
	s_delay_alu instid0(VALU_DEP_3)
	v_dual_lshlrev_b32 v25, 2, v25 :: v_dual_bitop2_b32 v21, v21, v27 bitop3:0x54
	ds_bpermute_b32 v21, v25, v21
	s_wait_dscnt 0x0
	v_dual_add_nc_u32 v23, v29, v23 :: v_dual_bitop2_b32 v21, 1, v21 bitop3:0x40
	ds_bpermute_b32 v23, v25, v23
	s_wait_dscnt 0x0
	v_cndmask_b32_e64 v15, 0, v23, s12
	v_cmp_eq_u32_e64 s12, 1, v17
	s_delay_alu instid0(VALU_DEP_2) | instskip(NEXT) | instid1(VALU_DEP_2)
	v_add_nc_u32_e32 v14, v15, v14
	v_cndmask_b32_e64 v15, v21, 1, s12
	s_delay_alu instid0(VALU_DEP_1)
	v_dual_cndmask_b32 v17, v14, v13 :: v_dual_cndmask_b32 v6, v15, v6
	ds_store_b32 v1, v17
	ds_store_b8 v1, v6 offset:4
	; wave barrier
	ds_load_u8 v21, v1 offset:12
	ds_load_2addr_b32 v[14:15], v1 offset0:2 offset1:4
	ds_load_u8 v23, v1 offset:20
	ds_load_u8 v25, v1 offset:28
	;; [unrolled: 1-line block ×5, first 2 shown]
	ds_load_b32 v33, v1 offset:56
	ds_load_u8 v35, v1 offset:60
	ds_load_2addr_b32 v[42:43], v1 offset0:6 offset1:8
	s_wait_dscnt 0x9
	v_cmp_eq_u16_e64 s12, 0, v21
	s_delay_alu instid0(VALU_DEP_1) | instskip(SKIP_2) | instid1(VALU_DEP_2)
	v_cndmask_b32_e64 v17, 0, v17, s12
	s_wait_dscnt 0x7
	v_cmp_eq_u16_e64 s12, 0, v23
	v_add_nc_u32_e32 v17, v17, v14
	s_delay_alu instid0(VALU_DEP_1) | instskip(SKIP_2) | instid1(VALU_DEP_2)
	v_cndmask_b32_e64 v14, 0, v17, s12
	s_wait_dscnt 0x6
	v_cmp_eq_u16_e64 s12, 0, v25
	v_add_nc_u32_e32 v37, v14, v15
	ds_load_2addr_b32 v[14:15], v1 offset0:10 offset1:12
	v_cndmask_b32_e64 v39, 0, v37, s12
	s_wait_dscnt 0x6
	v_cmp_eq_u16_e64 s12, 0, v27
	ds_store_2addr_b32 v1, v17, v37 offset0:2 offset1:4
	s_wait_dscnt 0x2
	v_dual_add_nc_u32 v39, v39, v42 :: v_dual_bitop2_b32 v21, 1, v21 bitop3:0x40
	v_and_b32_e32 v42, 1, v35
	s_delay_alu instid0(VALU_DEP_2) | instskip(NEXT) | instid1(VALU_DEP_3)
	v_cndmask_b32_e64 v41, 0, v39, s12
	v_cmp_eq_u32_e64 s12, 1, v21
	s_delay_alu instid0(VALU_DEP_2) | instskip(SKIP_1) | instid1(VALU_DEP_3)
	v_dual_add_nc_u32 v25, v41, v43 :: v_dual_bitop2_b32 v21, 1, v25 bitop3:0x40
	v_and_b32_e32 v23, 1, v23
	v_cndmask_b32_e64 v6, v6, 1, s12
	s_delay_alu instid0(VALU_DEP_2) | instskip(NEXT) | instid1(VALU_DEP_1)
	v_cmp_eq_u32_e64 s12, 1, v23
	v_cndmask_b32_e64 v23, v6, 1, s12
	v_cmp_eq_u16_e64 s12, 0, v29
	s_delay_alu instid0(VALU_DEP_1) | instskip(SKIP_2) | instid1(VALU_DEP_2)
	v_dual_cndmask_b32 v41, 0, v25, s12 :: v_dual_bitop2_b32 v27, 1, v27 bitop3:0x40
	v_cmp_eq_u32_e64 s12, 1, v21
	s_wait_dscnt 0x1
	v_dual_add_nc_u32 v14, v41, v14 :: v_dual_bitop2_b32 v41, 1, v31 bitop3:0x40
	s_delay_alu instid0(VALU_DEP_2) | instskip(SKIP_1) | instid1(VALU_DEP_1)
	v_cndmask_b32_e64 v21, v23, 1, s12
	v_cmp_eq_u32_e64 s12, 1, v27
	v_cndmask_b32_e64 v27, v21, 1, s12
	v_cmp_eq_u16_e64 s12, 0, v31
	s_delay_alu instid0(VALU_DEP_1) | instskip(NEXT) | instid1(VALU_DEP_1)
	v_dual_cndmask_b32 v31, 0, v14, s12 :: v_dual_bitop2_b32 v29, 1, v29 bitop3:0x40
	v_cmp_eq_u32_e64 s12, 1, v29
	s_delay_alu instid0(VALU_DEP_2) | instskip(NEXT) | instid1(VALU_DEP_2)
	v_add_nc_u32_e32 v15, v31, v15
	v_cndmask_b32_e64 v29, v27, 1, s12
	v_cmp_eq_u32_e64 s12, 1, v41
	ds_store_2addr_b32 v1, v39, v25 offset0:6 offset1:8
	ds_store_2addr_b32 v1, v14, v15 offset0:10 offset1:12
	v_cndmask_b32_e64 v31, v29, 1, s12
	v_cmp_eq_u16_e64 s12, 0, v35
	s_delay_alu instid0(VALU_DEP_1) | instskip(SKIP_1) | instid1(VALU_DEP_2)
	v_cndmask_b32_e64 v17, 0, v15, s12
	v_cmp_eq_u32_e64 s12, 1, v42
	v_add_nc_u32_e32 v14, v17, v33
	s_delay_alu instid0(VALU_DEP_2)
	v_cndmask_b32_e64 v35, v31, 1, s12
	ds_store_b8 v1, v6 offset:12
	ds_store_b8 v1, v23 offset:20
	;; [unrolled: 1-line block ×6, first 2 shown]
	ds_store_b32 v1, v14 offset:56
	ds_store_b8 v1, v35 offset:60
.LBB1221_176:
	s_or_b32 exec_lo, exec_lo, s13
	v_mov_b32_e32 v6, v18
	s_wait_dscnt 0x0
	s_barrier_signal -1
	s_barrier_wait -1
	s_delay_alu instid0(VALU_DEP_1)
	v_mov_b64_e32 v[14:15], v[6:7]
	s_and_saveexec_b32 s12, s0
	s_cbranch_execz .LBB1221_178
; %bb.177:
	v_add_nc_u32_e32 v1, -1, v0
	v_and_b32_e32 v3, 0xff, v19
	s_delay_alu instid0(VALU_DEP_2) | instskip(NEXT) | instid1(VALU_DEP_1)
	v_lshrrev_b32_e32 v2, 2, v1
	v_and_b32_e32 v2, 0x3ffffff8, v2
	s_delay_alu instid0(VALU_DEP_1)
	v_lshl_add_u32 v1, v1, 3, v2
	v_mov_b32_e32 v2, 0
	ds_load_b32 v1, v1
	v_cmp_eq_u64_e64 s0, 0, v[2:3]
	;;#ASMSTART
	;;#ASMEND
	s_wait_dscnt 0x0
	s_delay_alu instid0(VALU_DEP_1) | instskip(NEXT) | instid1(VALU_DEP_1)
	v_cndmask_b32_e64 v1, 0, v1, s0
	v_add_nc_u32_e32 v14, v1, v18
	s_delay_alu instid0(VALU_DEP_1) | instskip(NEXT) | instid1(VALU_DEP_1)
	v_cndmask_b32_e64 v1, 0, v14, s1
	v_add_nc_u32_e32 v15, v1, v38
	s_delay_alu instid0(VALU_DEP_1) | instskip(NEXT) | instid1(VALU_DEP_1)
	v_dual_cndmask_b32 v1, 0, v15, s2 :: v_dual_mov_b32 v18, v14
	v_dual_mov_b32 v7, v15 :: v_dual_add_nc_u32 v8, v1, v36
	s_delay_alu instid0(VALU_DEP_1) | instskip(NEXT) | instid1(VALU_DEP_1)
	v_cndmask_b32_e64 v1, 0, v8, s3
	v_add_nc_u32_e32 v9, v1, v34
	s_delay_alu instid0(VALU_DEP_1) | instskip(NEXT) | instid1(VALU_DEP_1)
	v_cndmask_b32_e64 v1, 0, v9, s4
	v_add_nc_u32_e32 v2, v1, v32
	;; [unrolled: 3-line block ×9, first 2 shown]
.LBB1221_178:
	s_or_b32 exec_lo, exec_lo, s12
	s_and_saveexec_b32 s0, vcc_lo
	s_cbranch_execz .LBB1221_180
; %bb.179:
	v_dual_mov_b32 v23, 0 :: v_dual_mov_b32 v22, 2
	s_add_nc_u64 s[2:3], s[24:25], 0x200
	ds_load_b32 v20, v23 offset:2096
	ds_load_u8 v21, v23 offset:2100
	v_mov_b64_e32 v[24:25], s[2:3]
	s_wait_dscnt 0x0
	;;#ASMSTART
	global_store_b128 v[24:25], v[20:23] off scope:SCOPE_DEV	
s_wait_storecnt 0x0
	;;#ASMEND
.LBB1221_180:
	s_or_b32 exec_lo, exec_lo, s0
	v_mov_b32_e32 v6, v18
	s_add_nc_u64 s[0:1], s[14:15], s[34:35]
	s_and_b32 vcc_lo, exec_lo, s21
	s_add_nc_u64 s[0:1], s[0:1], s[16:17]
	s_cbranch_vccnz .LBB1221_120
.LBB1221_181:
	s_mov_b32 s2, 0
                                        ; implicit-def: $vgpr7
	s_cbranch_execz .LBB1221_183
; %bb.182:
	v_mul_u32_u24_e32 v1, 48, v0
	v_dual_mov_b32 v16, v8 :: v_dual_mov_b32 v17, v9
	v_mul_i32_i24_e32 v6, 0xffffffd4, v0
	s_wait_storecnt_dscnt 0x0
	s_barrier_signal -1
	s_barrier_wait -1
	ds_store_b128 v1, v[14:17]
	ds_store_b128 v1, v[2:5] offset:16
	ds_store_b128 v1, v[10:13] offset:32
	v_mad_u32_u24 v1, v0, 48, v6
	s_wait_dscnt 0x0
	s_barrier_signal -1
	s_barrier_wait -1
	ds_load_2addr_stride64_b32 v[2:3], v1 offset1:4
	ds_load_2addr_stride64_b32 v[4:5], v1 offset0:8 offset1:12
	ds_load_2addr_stride64_b32 v[8:9], v1 offset0:16 offset1:20
	;; [unrolled: 1-line block ×5, first 2 shown]
	s_or_b32 s2, s2, exec_lo
	s_wait_dscnt 0x5
	s_clause 0x1
	flat_store_b32 v0, v2, s[0:1] scale_offset
	flat_store_b32 v0, v3, s[0:1] offset:1024 scale_offset
	s_wait_dscnt 0x6
	s_clause 0x1
	flat_store_b32 v0, v4, s[0:1] offset:2048 scale_offset
	flat_store_b32 v0, v5, s[0:1] offset:3072 scale_offset
	s_wait_dscnt 0x7
	s_clause 0x1
	flat_store_b32 v0, v8, s[0:1] offset:4096 scale_offset
	;; [unrolled: 4-line block ×4, first 2 shown]
	flat_store_b32 v0, v13, s[0:1] offset:9216 scale_offset
	s_wait_dscnt 0xa
	flat_store_b32 v0, v6, s[0:1] offset:10240 scale_offset
.LBB1221_183:
	s_wait_xcnt 0x0
	s_delay_alu instid0(VALU_DEP_1)
	s_and_saveexec_b32 s3, s2
	s_cbranch_execnz .LBB1221_185
; %bb.184:
	s_endpgm
.LBB1221_185:
	s_wait_dscnt 0x0
	flat_store_b32 v0, v7, s[0:1] offset:11264 scale_offset
	s_endpgm
	.section	.rodata,"a",@progbits
	.p2align	6, 0x0
	.amdhsa_kernel _ZN7rocprim17ROCPRIM_400000_NS6detail17trampoline_kernelINS0_14default_configENS1_27scan_by_key_config_selectorIijEEZZNS1_16scan_by_key_implILNS1_25lookback_scan_determinismE0ELb0ES3_N6thrust23THRUST_200600_302600_NS6detail15normal_iteratorINS9_10device_ptrIiEEEENSB_INSC_IjEEEESG_jNS9_4plusIvEENS9_8equal_toIvEEjEE10hipError_tPvRmT2_T3_T4_T5_mT6_T7_P12ihipStream_tbENKUlT_T0_E_clISt17integral_constantIbLb0EES11_EEDaSW_SX_EUlSW_E_NS1_11comp_targetILNS1_3genE0ELNS1_11target_archE4294967295ELNS1_3gpuE0ELNS1_3repE0EEENS1_30default_config_static_selectorELNS0_4arch9wavefront6targetE0EEEvT1_
		.amdhsa_group_segment_fixed_size 14336
		.amdhsa_private_segment_fixed_size 0
		.amdhsa_kernarg_size 112
		.amdhsa_user_sgpr_count 2
		.amdhsa_user_sgpr_dispatch_ptr 0
		.amdhsa_user_sgpr_queue_ptr 0
		.amdhsa_user_sgpr_kernarg_segment_ptr 1
		.amdhsa_user_sgpr_dispatch_id 0
		.amdhsa_user_sgpr_kernarg_preload_length 0
		.amdhsa_user_sgpr_kernarg_preload_offset 0
		.amdhsa_user_sgpr_private_segment_size 0
		.amdhsa_wavefront_size32 1
		.amdhsa_uses_dynamic_stack 0
		.amdhsa_enable_private_segment 0
		.amdhsa_system_sgpr_workgroup_id_x 1
		.amdhsa_system_sgpr_workgroup_id_y 0
		.amdhsa_system_sgpr_workgroup_id_z 0
		.amdhsa_system_sgpr_workgroup_info 0
		.amdhsa_system_vgpr_workitem_id 0
		.amdhsa_next_free_vgpr 60
		.amdhsa_next_free_sgpr 42
		.amdhsa_named_barrier_count 0
		.amdhsa_reserve_vcc 1
		.amdhsa_float_round_mode_32 0
		.amdhsa_float_round_mode_16_64 0
		.amdhsa_float_denorm_mode_32 3
		.amdhsa_float_denorm_mode_16_64 3
		.amdhsa_fp16_overflow 0
		.amdhsa_memory_ordered 1
		.amdhsa_forward_progress 1
		.amdhsa_inst_pref_size 94
		.amdhsa_round_robin_scheduling 0
		.amdhsa_exception_fp_ieee_invalid_op 0
		.amdhsa_exception_fp_denorm_src 0
		.amdhsa_exception_fp_ieee_div_zero 0
		.amdhsa_exception_fp_ieee_overflow 0
		.amdhsa_exception_fp_ieee_underflow 0
		.amdhsa_exception_fp_ieee_inexact 0
		.amdhsa_exception_int_div_zero 0
	.end_amdhsa_kernel
	.section	.text._ZN7rocprim17ROCPRIM_400000_NS6detail17trampoline_kernelINS0_14default_configENS1_27scan_by_key_config_selectorIijEEZZNS1_16scan_by_key_implILNS1_25lookback_scan_determinismE0ELb0ES3_N6thrust23THRUST_200600_302600_NS6detail15normal_iteratorINS9_10device_ptrIiEEEENSB_INSC_IjEEEESG_jNS9_4plusIvEENS9_8equal_toIvEEjEE10hipError_tPvRmT2_T3_T4_T5_mT6_T7_P12ihipStream_tbENKUlT_T0_E_clISt17integral_constantIbLb0EES11_EEDaSW_SX_EUlSW_E_NS1_11comp_targetILNS1_3genE0ELNS1_11target_archE4294967295ELNS1_3gpuE0ELNS1_3repE0EEENS1_30default_config_static_selectorELNS0_4arch9wavefront6targetE0EEEvT1_,"axG",@progbits,_ZN7rocprim17ROCPRIM_400000_NS6detail17trampoline_kernelINS0_14default_configENS1_27scan_by_key_config_selectorIijEEZZNS1_16scan_by_key_implILNS1_25lookback_scan_determinismE0ELb0ES3_N6thrust23THRUST_200600_302600_NS6detail15normal_iteratorINS9_10device_ptrIiEEEENSB_INSC_IjEEEESG_jNS9_4plusIvEENS9_8equal_toIvEEjEE10hipError_tPvRmT2_T3_T4_T5_mT6_T7_P12ihipStream_tbENKUlT_T0_E_clISt17integral_constantIbLb0EES11_EEDaSW_SX_EUlSW_E_NS1_11comp_targetILNS1_3genE0ELNS1_11target_archE4294967295ELNS1_3gpuE0ELNS1_3repE0EEENS1_30default_config_static_selectorELNS0_4arch9wavefront6targetE0EEEvT1_,comdat
.Lfunc_end1221:
	.size	_ZN7rocprim17ROCPRIM_400000_NS6detail17trampoline_kernelINS0_14default_configENS1_27scan_by_key_config_selectorIijEEZZNS1_16scan_by_key_implILNS1_25lookback_scan_determinismE0ELb0ES3_N6thrust23THRUST_200600_302600_NS6detail15normal_iteratorINS9_10device_ptrIiEEEENSB_INSC_IjEEEESG_jNS9_4plusIvEENS9_8equal_toIvEEjEE10hipError_tPvRmT2_T3_T4_T5_mT6_T7_P12ihipStream_tbENKUlT_T0_E_clISt17integral_constantIbLb0EES11_EEDaSW_SX_EUlSW_E_NS1_11comp_targetILNS1_3genE0ELNS1_11target_archE4294967295ELNS1_3gpuE0ELNS1_3repE0EEENS1_30default_config_static_selectorELNS0_4arch9wavefront6targetE0EEEvT1_, .Lfunc_end1221-_ZN7rocprim17ROCPRIM_400000_NS6detail17trampoline_kernelINS0_14default_configENS1_27scan_by_key_config_selectorIijEEZZNS1_16scan_by_key_implILNS1_25lookback_scan_determinismE0ELb0ES3_N6thrust23THRUST_200600_302600_NS6detail15normal_iteratorINS9_10device_ptrIiEEEENSB_INSC_IjEEEESG_jNS9_4plusIvEENS9_8equal_toIvEEjEE10hipError_tPvRmT2_T3_T4_T5_mT6_T7_P12ihipStream_tbENKUlT_T0_E_clISt17integral_constantIbLb0EES11_EEDaSW_SX_EUlSW_E_NS1_11comp_targetILNS1_3genE0ELNS1_11target_archE4294967295ELNS1_3gpuE0ELNS1_3repE0EEENS1_30default_config_static_selectorELNS0_4arch9wavefront6targetE0EEEvT1_
                                        ; -- End function
	.set _ZN7rocprim17ROCPRIM_400000_NS6detail17trampoline_kernelINS0_14default_configENS1_27scan_by_key_config_selectorIijEEZZNS1_16scan_by_key_implILNS1_25lookback_scan_determinismE0ELb0ES3_N6thrust23THRUST_200600_302600_NS6detail15normal_iteratorINS9_10device_ptrIiEEEENSB_INSC_IjEEEESG_jNS9_4plusIvEENS9_8equal_toIvEEjEE10hipError_tPvRmT2_T3_T4_T5_mT6_T7_P12ihipStream_tbENKUlT_T0_E_clISt17integral_constantIbLb0EES11_EEDaSW_SX_EUlSW_E_NS1_11comp_targetILNS1_3genE0ELNS1_11target_archE4294967295ELNS1_3gpuE0ELNS1_3repE0EEENS1_30default_config_static_selectorELNS0_4arch9wavefront6targetE0EEEvT1_.num_vgpr, 60
	.set _ZN7rocprim17ROCPRIM_400000_NS6detail17trampoline_kernelINS0_14default_configENS1_27scan_by_key_config_selectorIijEEZZNS1_16scan_by_key_implILNS1_25lookback_scan_determinismE0ELb0ES3_N6thrust23THRUST_200600_302600_NS6detail15normal_iteratorINS9_10device_ptrIiEEEENSB_INSC_IjEEEESG_jNS9_4plusIvEENS9_8equal_toIvEEjEE10hipError_tPvRmT2_T3_T4_T5_mT6_T7_P12ihipStream_tbENKUlT_T0_E_clISt17integral_constantIbLb0EES11_EEDaSW_SX_EUlSW_E_NS1_11comp_targetILNS1_3genE0ELNS1_11target_archE4294967295ELNS1_3gpuE0ELNS1_3repE0EEENS1_30default_config_static_selectorELNS0_4arch9wavefront6targetE0EEEvT1_.num_agpr, 0
	.set _ZN7rocprim17ROCPRIM_400000_NS6detail17trampoline_kernelINS0_14default_configENS1_27scan_by_key_config_selectorIijEEZZNS1_16scan_by_key_implILNS1_25lookback_scan_determinismE0ELb0ES3_N6thrust23THRUST_200600_302600_NS6detail15normal_iteratorINS9_10device_ptrIiEEEENSB_INSC_IjEEEESG_jNS9_4plusIvEENS9_8equal_toIvEEjEE10hipError_tPvRmT2_T3_T4_T5_mT6_T7_P12ihipStream_tbENKUlT_T0_E_clISt17integral_constantIbLb0EES11_EEDaSW_SX_EUlSW_E_NS1_11comp_targetILNS1_3genE0ELNS1_11target_archE4294967295ELNS1_3gpuE0ELNS1_3repE0EEENS1_30default_config_static_selectorELNS0_4arch9wavefront6targetE0EEEvT1_.numbered_sgpr, 42
	.set _ZN7rocprim17ROCPRIM_400000_NS6detail17trampoline_kernelINS0_14default_configENS1_27scan_by_key_config_selectorIijEEZZNS1_16scan_by_key_implILNS1_25lookback_scan_determinismE0ELb0ES3_N6thrust23THRUST_200600_302600_NS6detail15normal_iteratorINS9_10device_ptrIiEEEENSB_INSC_IjEEEESG_jNS9_4plusIvEENS9_8equal_toIvEEjEE10hipError_tPvRmT2_T3_T4_T5_mT6_T7_P12ihipStream_tbENKUlT_T0_E_clISt17integral_constantIbLb0EES11_EEDaSW_SX_EUlSW_E_NS1_11comp_targetILNS1_3genE0ELNS1_11target_archE4294967295ELNS1_3gpuE0ELNS1_3repE0EEENS1_30default_config_static_selectorELNS0_4arch9wavefront6targetE0EEEvT1_.num_named_barrier, 0
	.set _ZN7rocprim17ROCPRIM_400000_NS6detail17trampoline_kernelINS0_14default_configENS1_27scan_by_key_config_selectorIijEEZZNS1_16scan_by_key_implILNS1_25lookback_scan_determinismE0ELb0ES3_N6thrust23THRUST_200600_302600_NS6detail15normal_iteratorINS9_10device_ptrIiEEEENSB_INSC_IjEEEESG_jNS9_4plusIvEENS9_8equal_toIvEEjEE10hipError_tPvRmT2_T3_T4_T5_mT6_T7_P12ihipStream_tbENKUlT_T0_E_clISt17integral_constantIbLb0EES11_EEDaSW_SX_EUlSW_E_NS1_11comp_targetILNS1_3genE0ELNS1_11target_archE4294967295ELNS1_3gpuE0ELNS1_3repE0EEENS1_30default_config_static_selectorELNS0_4arch9wavefront6targetE0EEEvT1_.private_seg_size, 0
	.set _ZN7rocprim17ROCPRIM_400000_NS6detail17trampoline_kernelINS0_14default_configENS1_27scan_by_key_config_selectorIijEEZZNS1_16scan_by_key_implILNS1_25lookback_scan_determinismE0ELb0ES3_N6thrust23THRUST_200600_302600_NS6detail15normal_iteratorINS9_10device_ptrIiEEEENSB_INSC_IjEEEESG_jNS9_4plusIvEENS9_8equal_toIvEEjEE10hipError_tPvRmT2_T3_T4_T5_mT6_T7_P12ihipStream_tbENKUlT_T0_E_clISt17integral_constantIbLb0EES11_EEDaSW_SX_EUlSW_E_NS1_11comp_targetILNS1_3genE0ELNS1_11target_archE4294967295ELNS1_3gpuE0ELNS1_3repE0EEENS1_30default_config_static_selectorELNS0_4arch9wavefront6targetE0EEEvT1_.uses_vcc, 1
	.set _ZN7rocprim17ROCPRIM_400000_NS6detail17trampoline_kernelINS0_14default_configENS1_27scan_by_key_config_selectorIijEEZZNS1_16scan_by_key_implILNS1_25lookback_scan_determinismE0ELb0ES3_N6thrust23THRUST_200600_302600_NS6detail15normal_iteratorINS9_10device_ptrIiEEEENSB_INSC_IjEEEESG_jNS9_4plusIvEENS9_8equal_toIvEEjEE10hipError_tPvRmT2_T3_T4_T5_mT6_T7_P12ihipStream_tbENKUlT_T0_E_clISt17integral_constantIbLb0EES11_EEDaSW_SX_EUlSW_E_NS1_11comp_targetILNS1_3genE0ELNS1_11target_archE4294967295ELNS1_3gpuE0ELNS1_3repE0EEENS1_30default_config_static_selectorELNS0_4arch9wavefront6targetE0EEEvT1_.uses_flat_scratch, 1
	.set _ZN7rocprim17ROCPRIM_400000_NS6detail17trampoline_kernelINS0_14default_configENS1_27scan_by_key_config_selectorIijEEZZNS1_16scan_by_key_implILNS1_25lookback_scan_determinismE0ELb0ES3_N6thrust23THRUST_200600_302600_NS6detail15normal_iteratorINS9_10device_ptrIiEEEENSB_INSC_IjEEEESG_jNS9_4plusIvEENS9_8equal_toIvEEjEE10hipError_tPvRmT2_T3_T4_T5_mT6_T7_P12ihipStream_tbENKUlT_T0_E_clISt17integral_constantIbLb0EES11_EEDaSW_SX_EUlSW_E_NS1_11comp_targetILNS1_3genE0ELNS1_11target_archE4294967295ELNS1_3gpuE0ELNS1_3repE0EEENS1_30default_config_static_selectorELNS0_4arch9wavefront6targetE0EEEvT1_.has_dyn_sized_stack, 0
	.set _ZN7rocprim17ROCPRIM_400000_NS6detail17trampoline_kernelINS0_14default_configENS1_27scan_by_key_config_selectorIijEEZZNS1_16scan_by_key_implILNS1_25lookback_scan_determinismE0ELb0ES3_N6thrust23THRUST_200600_302600_NS6detail15normal_iteratorINS9_10device_ptrIiEEEENSB_INSC_IjEEEESG_jNS9_4plusIvEENS9_8equal_toIvEEjEE10hipError_tPvRmT2_T3_T4_T5_mT6_T7_P12ihipStream_tbENKUlT_T0_E_clISt17integral_constantIbLb0EES11_EEDaSW_SX_EUlSW_E_NS1_11comp_targetILNS1_3genE0ELNS1_11target_archE4294967295ELNS1_3gpuE0ELNS1_3repE0EEENS1_30default_config_static_selectorELNS0_4arch9wavefront6targetE0EEEvT1_.has_recursion, 0
	.set _ZN7rocprim17ROCPRIM_400000_NS6detail17trampoline_kernelINS0_14default_configENS1_27scan_by_key_config_selectorIijEEZZNS1_16scan_by_key_implILNS1_25lookback_scan_determinismE0ELb0ES3_N6thrust23THRUST_200600_302600_NS6detail15normal_iteratorINS9_10device_ptrIiEEEENSB_INSC_IjEEEESG_jNS9_4plusIvEENS9_8equal_toIvEEjEE10hipError_tPvRmT2_T3_T4_T5_mT6_T7_P12ihipStream_tbENKUlT_T0_E_clISt17integral_constantIbLb0EES11_EEDaSW_SX_EUlSW_E_NS1_11comp_targetILNS1_3genE0ELNS1_11target_archE4294967295ELNS1_3gpuE0ELNS1_3repE0EEENS1_30default_config_static_selectorELNS0_4arch9wavefront6targetE0EEEvT1_.has_indirect_call, 0
	.section	.AMDGPU.csdata,"",@progbits
; Kernel info:
; codeLenInByte = 11992
; TotalNumSgprs: 44
; NumVgprs: 60
; ScratchSize: 0
; MemoryBound: 0
; FloatMode: 240
; IeeeMode: 1
; LDSByteSize: 14336 bytes/workgroup (compile time only)
; SGPRBlocks: 0
; VGPRBlocks: 3
; NumSGPRsForWavesPerEU: 44
; NumVGPRsForWavesPerEU: 60
; NamedBarCnt: 0
; Occupancy: 16
; WaveLimiterHint : 1
; COMPUTE_PGM_RSRC2:SCRATCH_EN: 0
; COMPUTE_PGM_RSRC2:USER_SGPR: 2
; COMPUTE_PGM_RSRC2:TRAP_HANDLER: 0
; COMPUTE_PGM_RSRC2:TGID_X_EN: 1
; COMPUTE_PGM_RSRC2:TGID_Y_EN: 0
; COMPUTE_PGM_RSRC2:TGID_Z_EN: 0
; COMPUTE_PGM_RSRC2:TIDIG_COMP_CNT: 0
	.section	.text._ZN7rocprim17ROCPRIM_400000_NS6detail17trampoline_kernelINS0_14default_configENS1_27scan_by_key_config_selectorIijEEZZNS1_16scan_by_key_implILNS1_25lookback_scan_determinismE0ELb0ES3_N6thrust23THRUST_200600_302600_NS6detail15normal_iteratorINS9_10device_ptrIiEEEENSB_INSC_IjEEEESG_jNS9_4plusIvEENS9_8equal_toIvEEjEE10hipError_tPvRmT2_T3_T4_T5_mT6_T7_P12ihipStream_tbENKUlT_T0_E_clISt17integral_constantIbLb0EES11_EEDaSW_SX_EUlSW_E_NS1_11comp_targetILNS1_3genE10ELNS1_11target_archE1201ELNS1_3gpuE5ELNS1_3repE0EEENS1_30default_config_static_selectorELNS0_4arch9wavefront6targetE0EEEvT1_,"axG",@progbits,_ZN7rocprim17ROCPRIM_400000_NS6detail17trampoline_kernelINS0_14default_configENS1_27scan_by_key_config_selectorIijEEZZNS1_16scan_by_key_implILNS1_25lookback_scan_determinismE0ELb0ES3_N6thrust23THRUST_200600_302600_NS6detail15normal_iteratorINS9_10device_ptrIiEEEENSB_INSC_IjEEEESG_jNS9_4plusIvEENS9_8equal_toIvEEjEE10hipError_tPvRmT2_T3_T4_T5_mT6_T7_P12ihipStream_tbENKUlT_T0_E_clISt17integral_constantIbLb0EES11_EEDaSW_SX_EUlSW_E_NS1_11comp_targetILNS1_3genE10ELNS1_11target_archE1201ELNS1_3gpuE5ELNS1_3repE0EEENS1_30default_config_static_selectorELNS0_4arch9wavefront6targetE0EEEvT1_,comdat
	.protected	_ZN7rocprim17ROCPRIM_400000_NS6detail17trampoline_kernelINS0_14default_configENS1_27scan_by_key_config_selectorIijEEZZNS1_16scan_by_key_implILNS1_25lookback_scan_determinismE0ELb0ES3_N6thrust23THRUST_200600_302600_NS6detail15normal_iteratorINS9_10device_ptrIiEEEENSB_INSC_IjEEEESG_jNS9_4plusIvEENS9_8equal_toIvEEjEE10hipError_tPvRmT2_T3_T4_T5_mT6_T7_P12ihipStream_tbENKUlT_T0_E_clISt17integral_constantIbLb0EES11_EEDaSW_SX_EUlSW_E_NS1_11comp_targetILNS1_3genE10ELNS1_11target_archE1201ELNS1_3gpuE5ELNS1_3repE0EEENS1_30default_config_static_selectorELNS0_4arch9wavefront6targetE0EEEvT1_ ; -- Begin function _ZN7rocprim17ROCPRIM_400000_NS6detail17trampoline_kernelINS0_14default_configENS1_27scan_by_key_config_selectorIijEEZZNS1_16scan_by_key_implILNS1_25lookback_scan_determinismE0ELb0ES3_N6thrust23THRUST_200600_302600_NS6detail15normal_iteratorINS9_10device_ptrIiEEEENSB_INSC_IjEEEESG_jNS9_4plusIvEENS9_8equal_toIvEEjEE10hipError_tPvRmT2_T3_T4_T5_mT6_T7_P12ihipStream_tbENKUlT_T0_E_clISt17integral_constantIbLb0EES11_EEDaSW_SX_EUlSW_E_NS1_11comp_targetILNS1_3genE10ELNS1_11target_archE1201ELNS1_3gpuE5ELNS1_3repE0EEENS1_30default_config_static_selectorELNS0_4arch9wavefront6targetE0EEEvT1_
	.globl	_ZN7rocprim17ROCPRIM_400000_NS6detail17trampoline_kernelINS0_14default_configENS1_27scan_by_key_config_selectorIijEEZZNS1_16scan_by_key_implILNS1_25lookback_scan_determinismE0ELb0ES3_N6thrust23THRUST_200600_302600_NS6detail15normal_iteratorINS9_10device_ptrIiEEEENSB_INSC_IjEEEESG_jNS9_4plusIvEENS9_8equal_toIvEEjEE10hipError_tPvRmT2_T3_T4_T5_mT6_T7_P12ihipStream_tbENKUlT_T0_E_clISt17integral_constantIbLb0EES11_EEDaSW_SX_EUlSW_E_NS1_11comp_targetILNS1_3genE10ELNS1_11target_archE1201ELNS1_3gpuE5ELNS1_3repE0EEENS1_30default_config_static_selectorELNS0_4arch9wavefront6targetE0EEEvT1_
	.p2align	8
	.type	_ZN7rocprim17ROCPRIM_400000_NS6detail17trampoline_kernelINS0_14default_configENS1_27scan_by_key_config_selectorIijEEZZNS1_16scan_by_key_implILNS1_25lookback_scan_determinismE0ELb0ES3_N6thrust23THRUST_200600_302600_NS6detail15normal_iteratorINS9_10device_ptrIiEEEENSB_INSC_IjEEEESG_jNS9_4plusIvEENS9_8equal_toIvEEjEE10hipError_tPvRmT2_T3_T4_T5_mT6_T7_P12ihipStream_tbENKUlT_T0_E_clISt17integral_constantIbLb0EES11_EEDaSW_SX_EUlSW_E_NS1_11comp_targetILNS1_3genE10ELNS1_11target_archE1201ELNS1_3gpuE5ELNS1_3repE0EEENS1_30default_config_static_selectorELNS0_4arch9wavefront6targetE0EEEvT1_,@function
_ZN7rocprim17ROCPRIM_400000_NS6detail17trampoline_kernelINS0_14default_configENS1_27scan_by_key_config_selectorIijEEZZNS1_16scan_by_key_implILNS1_25lookback_scan_determinismE0ELb0ES3_N6thrust23THRUST_200600_302600_NS6detail15normal_iteratorINS9_10device_ptrIiEEEENSB_INSC_IjEEEESG_jNS9_4plusIvEENS9_8equal_toIvEEjEE10hipError_tPvRmT2_T3_T4_T5_mT6_T7_P12ihipStream_tbENKUlT_T0_E_clISt17integral_constantIbLb0EES11_EEDaSW_SX_EUlSW_E_NS1_11comp_targetILNS1_3genE10ELNS1_11target_archE1201ELNS1_3gpuE5ELNS1_3repE0EEENS1_30default_config_static_selectorELNS0_4arch9wavefront6targetE0EEEvT1_: ; @_ZN7rocprim17ROCPRIM_400000_NS6detail17trampoline_kernelINS0_14default_configENS1_27scan_by_key_config_selectorIijEEZZNS1_16scan_by_key_implILNS1_25lookback_scan_determinismE0ELb0ES3_N6thrust23THRUST_200600_302600_NS6detail15normal_iteratorINS9_10device_ptrIiEEEENSB_INSC_IjEEEESG_jNS9_4plusIvEENS9_8equal_toIvEEjEE10hipError_tPvRmT2_T3_T4_T5_mT6_T7_P12ihipStream_tbENKUlT_T0_E_clISt17integral_constantIbLb0EES11_EEDaSW_SX_EUlSW_E_NS1_11comp_targetILNS1_3genE10ELNS1_11target_archE1201ELNS1_3gpuE5ELNS1_3repE0EEENS1_30default_config_static_selectorELNS0_4arch9wavefront6targetE0EEEvT1_
; %bb.0:
	.section	.rodata,"a",@progbits
	.p2align	6, 0x0
	.amdhsa_kernel _ZN7rocprim17ROCPRIM_400000_NS6detail17trampoline_kernelINS0_14default_configENS1_27scan_by_key_config_selectorIijEEZZNS1_16scan_by_key_implILNS1_25lookback_scan_determinismE0ELb0ES3_N6thrust23THRUST_200600_302600_NS6detail15normal_iteratorINS9_10device_ptrIiEEEENSB_INSC_IjEEEESG_jNS9_4plusIvEENS9_8equal_toIvEEjEE10hipError_tPvRmT2_T3_T4_T5_mT6_T7_P12ihipStream_tbENKUlT_T0_E_clISt17integral_constantIbLb0EES11_EEDaSW_SX_EUlSW_E_NS1_11comp_targetILNS1_3genE10ELNS1_11target_archE1201ELNS1_3gpuE5ELNS1_3repE0EEENS1_30default_config_static_selectorELNS0_4arch9wavefront6targetE0EEEvT1_
		.amdhsa_group_segment_fixed_size 0
		.amdhsa_private_segment_fixed_size 0
		.amdhsa_kernarg_size 112
		.amdhsa_user_sgpr_count 2
		.amdhsa_user_sgpr_dispatch_ptr 0
		.amdhsa_user_sgpr_queue_ptr 0
		.amdhsa_user_sgpr_kernarg_segment_ptr 1
		.amdhsa_user_sgpr_dispatch_id 0
		.amdhsa_user_sgpr_kernarg_preload_length 0
		.amdhsa_user_sgpr_kernarg_preload_offset 0
		.amdhsa_user_sgpr_private_segment_size 0
		.amdhsa_wavefront_size32 1
		.amdhsa_uses_dynamic_stack 0
		.amdhsa_enable_private_segment 0
		.amdhsa_system_sgpr_workgroup_id_x 1
		.amdhsa_system_sgpr_workgroup_id_y 0
		.amdhsa_system_sgpr_workgroup_id_z 0
		.amdhsa_system_sgpr_workgroup_info 0
		.amdhsa_system_vgpr_workitem_id 0
		.amdhsa_next_free_vgpr 1
		.amdhsa_next_free_sgpr 1
		.amdhsa_named_barrier_count 0
		.amdhsa_reserve_vcc 0
		.amdhsa_float_round_mode_32 0
		.amdhsa_float_round_mode_16_64 0
		.amdhsa_float_denorm_mode_32 3
		.amdhsa_float_denorm_mode_16_64 3
		.amdhsa_fp16_overflow 0
		.amdhsa_memory_ordered 1
		.amdhsa_forward_progress 1
		.amdhsa_inst_pref_size 0
		.amdhsa_round_robin_scheduling 0
		.amdhsa_exception_fp_ieee_invalid_op 0
		.amdhsa_exception_fp_denorm_src 0
		.amdhsa_exception_fp_ieee_div_zero 0
		.amdhsa_exception_fp_ieee_overflow 0
		.amdhsa_exception_fp_ieee_underflow 0
		.amdhsa_exception_fp_ieee_inexact 0
		.amdhsa_exception_int_div_zero 0
	.end_amdhsa_kernel
	.section	.text._ZN7rocprim17ROCPRIM_400000_NS6detail17trampoline_kernelINS0_14default_configENS1_27scan_by_key_config_selectorIijEEZZNS1_16scan_by_key_implILNS1_25lookback_scan_determinismE0ELb0ES3_N6thrust23THRUST_200600_302600_NS6detail15normal_iteratorINS9_10device_ptrIiEEEENSB_INSC_IjEEEESG_jNS9_4plusIvEENS9_8equal_toIvEEjEE10hipError_tPvRmT2_T3_T4_T5_mT6_T7_P12ihipStream_tbENKUlT_T0_E_clISt17integral_constantIbLb0EES11_EEDaSW_SX_EUlSW_E_NS1_11comp_targetILNS1_3genE10ELNS1_11target_archE1201ELNS1_3gpuE5ELNS1_3repE0EEENS1_30default_config_static_selectorELNS0_4arch9wavefront6targetE0EEEvT1_,"axG",@progbits,_ZN7rocprim17ROCPRIM_400000_NS6detail17trampoline_kernelINS0_14default_configENS1_27scan_by_key_config_selectorIijEEZZNS1_16scan_by_key_implILNS1_25lookback_scan_determinismE0ELb0ES3_N6thrust23THRUST_200600_302600_NS6detail15normal_iteratorINS9_10device_ptrIiEEEENSB_INSC_IjEEEESG_jNS9_4plusIvEENS9_8equal_toIvEEjEE10hipError_tPvRmT2_T3_T4_T5_mT6_T7_P12ihipStream_tbENKUlT_T0_E_clISt17integral_constantIbLb0EES11_EEDaSW_SX_EUlSW_E_NS1_11comp_targetILNS1_3genE10ELNS1_11target_archE1201ELNS1_3gpuE5ELNS1_3repE0EEENS1_30default_config_static_selectorELNS0_4arch9wavefront6targetE0EEEvT1_,comdat
.Lfunc_end1222:
	.size	_ZN7rocprim17ROCPRIM_400000_NS6detail17trampoline_kernelINS0_14default_configENS1_27scan_by_key_config_selectorIijEEZZNS1_16scan_by_key_implILNS1_25lookback_scan_determinismE0ELb0ES3_N6thrust23THRUST_200600_302600_NS6detail15normal_iteratorINS9_10device_ptrIiEEEENSB_INSC_IjEEEESG_jNS9_4plusIvEENS9_8equal_toIvEEjEE10hipError_tPvRmT2_T3_T4_T5_mT6_T7_P12ihipStream_tbENKUlT_T0_E_clISt17integral_constantIbLb0EES11_EEDaSW_SX_EUlSW_E_NS1_11comp_targetILNS1_3genE10ELNS1_11target_archE1201ELNS1_3gpuE5ELNS1_3repE0EEENS1_30default_config_static_selectorELNS0_4arch9wavefront6targetE0EEEvT1_, .Lfunc_end1222-_ZN7rocprim17ROCPRIM_400000_NS6detail17trampoline_kernelINS0_14default_configENS1_27scan_by_key_config_selectorIijEEZZNS1_16scan_by_key_implILNS1_25lookback_scan_determinismE0ELb0ES3_N6thrust23THRUST_200600_302600_NS6detail15normal_iteratorINS9_10device_ptrIiEEEENSB_INSC_IjEEEESG_jNS9_4plusIvEENS9_8equal_toIvEEjEE10hipError_tPvRmT2_T3_T4_T5_mT6_T7_P12ihipStream_tbENKUlT_T0_E_clISt17integral_constantIbLb0EES11_EEDaSW_SX_EUlSW_E_NS1_11comp_targetILNS1_3genE10ELNS1_11target_archE1201ELNS1_3gpuE5ELNS1_3repE0EEENS1_30default_config_static_selectorELNS0_4arch9wavefront6targetE0EEEvT1_
                                        ; -- End function
	.set _ZN7rocprim17ROCPRIM_400000_NS6detail17trampoline_kernelINS0_14default_configENS1_27scan_by_key_config_selectorIijEEZZNS1_16scan_by_key_implILNS1_25lookback_scan_determinismE0ELb0ES3_N6thrust23THRUST_200600_302600_NS6detail15normal_iteratorINS9_10device_ptrIiEEEENSB_INSC_IjEEEESG_jNS9_4plusIvEENS9_8equal_toIvEEjEE10hipError_tPvRmT2_T3_T4_T5_mT6_T7_P12ihipStream_tbENKUlT_T0_E_clISt17integral_constantIbLb0EES11_EEDaSW_SX_EUlSW_E_NS1_11comp_targetILNS1_3genE10ELNS1_11target_archE1201ELNS1_3gpuE5ELNS1_3repE0EEENS1_30default_config_static_selectorELNS0_4arch9wavefront6targetE0EEEvT1_.num_vgpr, 0
	.set _ZN7rocprim17ROCPRIM_400000_NS6detail17trampoline_kernelINS0_14default_configENS1_27scan_by_key_config_selectorIijEEZZNS1_16scan_by_key_implILNS1_25lookback_scan_determinismE0ELb0ES3_N6thrust23THRUST_200600_302600_NS6detail15normal_iteratorINS9_10device_ptrIiEEEENSB_INSC_IjEEEESG_jNS9_4plusIvEENS9_8equal_toIvEEjEE10hipError_tPvRmT2_T3_T4_T5_mT6_T7_P12ihipStream_tbENKUlT_T0_E_clISt17integral_constantIbLb0EES11_EEDaSW_SX_EUlSW_E_NS1_11comp_targetILNS1_3genE10ELNS1_11target_archE1201ELNS1_3gpuE5ELNS1_3repE0EEENS1_30default_config_static_selectorELNS0_4arch9wavefront6targetE0EEEvT1_.num_agpr, 0
	.set _ZN7rocprim17ROCPRIM_400000_NS6detail17trampoline_kernelINS0_14default_configENS1_27scan_by_key_config_selectorIijEEZZNS1_16scan_by_key_implILNS1_25lookback_scan_determinismE0ELb0ES3_N6thrust23THRUST_200600_302600_NS6detail15normal_iteratorINS9_10device_ptrIiEEEENSB_INSC_IjEEEESG_jNS9_4plusIvEENS9_8equal_toIvEEjEE10hipError_tPvRmT2_T3_T4_T5_mT6_T7_P12ihipStream_tbENKUlT_T0_E_clISt17integral_constantIbLb0EES11_EEDaSW_SX_EUlSW_E_NS1_11comp_targetILNS1_3genE10ELNS1_11target_archE1201ELNS1_3gpuE5ELNS1_3repE0EEENS1_30default_config_static_selectorELNS0_4arch9wavefront6targetE0EEEvT1_.numbered_sgpr, 0
	.set _ZN7rocprim17ROCPRIM_400000_NS6detail17trampoline_kernelINS0_14default_configENS1_27scan_by_key_config_selectorIijEEZZNS1_16scan_by_key_implILNS1_25lookback_scan_determinismE0ELb0ES3_N6thrust23THRUST_200600_302600_NS6detail15normal_iteratorINS9_10device_ptrIiEEEENSB_INSC_IjEEEESG_jNS9_4plusIvEENS9_8equal_toIvEEjEE10hipError_tPvRmT2_T3_T4_T5_mT6_T7_P12ihipStream_tbENKUlT_T0_E_clISt17integral_constantIbLb0EES11_EEDaSW_SX_EUlSW_E_NS1_11comp_targetILNS1_3genE10ELNS1_11target_archE1201ELNS1_3gpuE5ELNS1_3repE0EEENS1_30default_config_static_selectorELNS0_4arch9wavefront6targetE0EEEvT1_.num_named_barrier, 0
	.set _ZN7rocprim17ROCPRIM_400000_NS6detail17trampoline_kernelINS0_14default_configENS1_27scan_by_key_config_selectorIijEEZZNS1_16scan_by_key_implILNS1_25lookback_scan_determinismE0ELb0ES3_N6thrust23THRUST_200600_302600_NS6detail15normal_iteratorINS9_10device_ptrIiEEEENSB_INSC_IjEEEESG_jNS9_4plusIvEENS9_8equal_toIvEEjEE10hipError_tPvRmT2_T3_T4_T5_mT6_T7_P12ihipStream_tbENKUlT_T0_E_clISt17integral_constantIbLb0EES11_EEDaSW_SX_EUlSW_E_NS1_11comp_targetILNS1_3genE10ELNS1_11target_archE1201ELNS1_3gpuE5ELNS1_3repE0EEENS1_30default_config_static_selectorELNS0_4arch9wavefront6targetE0EEEvT1_.private_seg_size, 0
	.set _ZN7rocprim17ROCPRIM_400000_NS6detail17trampoline_kernelINS0_14default_configENS1_27scan_by_key_config_selectorIijEEZZNS1_16scan_by_key_implILNS1_25lookback_scan_determinismE0ELb0ES3_N6thrust23THRUST_200600_302600_NS6detail15normal_iteratorINS9_10device_ptrIiEEEENSB_INSC_IjEEEESG_jNS9_4plusIvEENS9_8equal_toIvEEjEE10hipError_tPvRmT2_T3_T4_T5_mT6_T7_P12ihipStream_tbENKUlT_T0_E_clISt17integral_constantIbLb0EES11_EEDaSW_SX_EUlSW_E_NS1_11comp_targetILNS1_3genE10ELNS1_11target_archE1201ELNS1_3gpuE5ELNS1_3repE0EEENS1_30default_config_static_selectorELNS0_4arch9wavefront6targetE0EEEvT1_.uses_vcc, 0
	.set _ZN7rocprim17ROCPRIM_400000_NS6detail17trampoline_kernelINS0_14default_configENS1_27scan_by_key_config_selectorIijEEZZNS1_16scan_by_key_implILNS1_25lookback_scan_determinismE0ELb0ES3_N6thrust23THRUST_200600_302600_NS6detail15normal_iteratorINS9_10device_ptrIiEEEENSB_INSC_IjEEEESG_jNS9_4plusIvEENS9_8equal_toIvEEjEE10hipError_tPvRmT2_T3_T4_T5_mT6_T7_P12ihipStream_tbENKUlT_T0_E_clISt17integral_constantIbLb0EES11_EEDaSW_SX_EUlSW_E_NS1_11comp_targetILNS1_3genE10ELNS1_11target_archE1201ELNS1_3gpuE5ELNS1_3repE0EEENS1_30default_config_static_selectorELNS0_4arch9wavefront6targetE0EEEvT1_.uses_flat_scratch, 0
	.set _ZN7rocprim17ROCPRIM_400000_NS6detail17trampoline_kernelINS0_14default_configENS1_27scan_by_key_config_selectorIijEEZZNS1_16scan_by_key_implILNS1_25lookback_scan_determinismE0ELb0ES3_N6thrust23THRUST_200600_302600_NS6detail15normal_iteratorINS9_10device_ptrIiEEEENSB_INSC_IjEEEESG_jNS9_4plusIvEENS9_8equal_toIvEEjEE10hipError_tPvRmT2_T3_T4_T5_mT6_T7_P12ihipStream_tbENKUlT_T0_E_clISt17integral_constantIbLb0EES11_EEDaSW_SX_EUlSW_E_NS1_11comp_targetILNS1_3genE10ELNS1_11target_archE1201ELNS1_3gpuE5ELNS1_3repE0EEENS1_30default_config_static_selectorELNS0_4arch9wavefront6targetE0EEEvT1_.has_dyn_sized_stack, 0
	.set _ZN7rocprim17ROCPRIM_400000_NS6detail17trampoline_kernelINS0_14default_configENS1_27scan_by_key_config_selectorIijEEZZNS1_16scan_by_key_implILNS1_25lookback_scan_determinismE0ELb0ES3_N6thrust23THRUST_200600_302600_NS6detail15normal_iteratorINS9_10device_ptrIiEEEENSB_INSC_IjEEEESG_jNS9_4plusIvEENS9_8equal_toIvEEjEE10hipError_tPvRmT2_T3_T4_T5_mT6_T7_P12ihipStream_tbENKUlT_T0_E_clISt17integral_constantIbLb0EES11_EEDaSW_SX_EUlSW_E_NS1_11comp_targetILNS1_3genE10ELNS1_11target_archE1201ELNS1_3gpuE5ELNS1_3repE0EEENS1_30default_config_static_selectorELNS0_4arch9wavefront6targetE0EEEvT1_.has_recursion, 0
	.set _ZN7rocprim17ROCPRIM_400000_NS6detail17trampoline_kernelINS0_14default_configENS1_27scan_by_key_config_selectorIijEEZZNS1_16scan_by_key_implILNS1_25lookback_scan_determinismE0ELb0ES3_N6thrust23THRUST_200600_302600_NS6detail15normal_iteratorINS9_10device_ptrIiEEEENSB_INSC_IjEEEESG_jNS9_4plusIvEENS9_8equal_toIvEEjEE10hipError_tPvRmT2_T3_T4_T5_mT6_T7_P12ihipStream_tbENKUlT_T0_E_clISt17integral_constantIbLb0EES11_EEDaSW_SX_EUlSW_E_NS1_11comp_targetILNS1_3genE10ELNS1_11target_archE1201ELNS1_3gpuE5ELNS1_3repE0EEENS1_30default_config_static_selectorELNS0_4arch9wavefront6targetE0EEEvT1_.has_indirect_call, 0
	.section	.AMDGPU.csdata,"",@progbits
; Kernel info:
; codeLenInByte = 0
; TotalNumSgprs: 0
; NumVgprs: 0
; ScratchSize: 0
; MemoryBound: 0
; FloatMode: 240
; IeeeMode: 1
; LDSByteSize: 0 bytes/workgroup (compile time only)
; SGPRBlocks: 0
; VGPRBlocks: 0
; NumSGPRsForWavesPerEU: 1
; NumVGPRsForWavesPerEU: 1
; NamedBarCnt: 0
; Occupancy: 16
; WaveLimiterHint : 0
; COMPUTE_PGM_RSRC2:SCRATCH_EN: 0
; COMPUTE_PGM_RSRC2:USER_SGPR: 2
; COMPUTE_PGM_RSRC2:TRAP_HANDLER: 0
; COMPUTE_PGM_RSRC2:TGID_X_EN: 1
; COMPUTE_PGM_RSRC2:TGID_Y_EN: 0
; COMPUTE_PGM_RSRC2:TGID_Z_EN: 0
; COMPUTE_PGM_RSRC2:TIDIG_COMP_CNT: 0
	.section	.text._ZN7rocprim17ROCPRIM_400000_NS6detail17trampoline_kernelINS0_14default_configENS1_27scan_by_key_config_selectorIijEEZZNS1_16scan_by_key_implILNS1_25lookback_scan_determinismE0ELb0ES3_N6thrust23THRUST_200600_302600_NS6detail15normal_iteratorINS9_10device_ptrIiEEEENSB_INSC_IjEEEESG_jNS9_4plusIvEENS9_8equal_toIvEEjEE10hipError_tPvRmT2_T3_T4_T5_mT6_T7_P12ihipStream_tbENKUlT_T0_E_clISt17integral_constantIbLb0EES11_EEDaSW_SX_EUlSW_E_NS1_11comp_targetILNS1_3genE5ELNS1_11target_archE942ELNS1_3gpuE9ELNS1_3repE0EEENS1_30default_config_static_selectorELNS0_4arch9wavefront6targetE0EEEvT1_,"axG",@progbits,_ZN7rocprim17ROCPRIM_400000_NS6detail17trampoline_kernelINS0_14default_configENS1_27scan_by_key_config_selectorIijEEZZNS1_16scan_by_key_implILNS1_25lookback_scan_determinismE0ELb0ES3_N6thrust23THRUST_200600_302600_NS6detail15normal_iteratorINS9_10device_ptrIiEEEENSB_INSC_IjEEEESG_jNS9_4plusIvEENS9_8equal_toIvEEjEE10hipError_tPvRmT2_T3_T4_T5_mT6_T7_P12ihipStream_tbENKUlT_T0_E_clISt17integral_constantIbLb0EES11_EEDaSW_SX_EUlSW_E_NS1_11comp_targetILNS1_3genE5ELNS1_11target_archE942ELNS1_3gpuE9ELNS1_3repE0EEENS1_30default_config_static_selectorELNS0_4arch9wavefront6targetE0EEEvT1_,comdat
	.protected	_ZN7rocprim17ROCPRIM_400000_NS6detail17trampoline_kernelINS0_14default_configENS1_27scan_by_key_config_selectorIijEEZZNS1_16scan_by_key_implILNS1_25lookback_scan_determinismE0ELb0ES3_N6thrust23THRUST_200600_302600_NS6detail15normal_iteratorINS9_10device_ptrIiEEEENSB_INSC_IjEEEESG_jNS9_4plusIvEENS9_8equal_toIvEEjEE10hipError_tPvRmT2_T3_T4_T5_mT6_T7_P12ihipStream_tbENKUlT_T0_E_clISt17integral_constantIbLb0EES11_EEDaSW_SX_EUlSW_E_NS1_11comp_targetILNS1_3genE5ELNS1_11target_archE942ELNS1_3gpuE9ELNS1_3repE0EEENS1_30default_config_static_selectorELNS0_4arch9wavefront6targetE0EEEvT1_ ; -- Begin function _ZN7rocprim17ROCPRIM_400000_NS6detail17trampoline_kernelINS0_14default_configENS1_27scan_by_key_config_selectorIijEEZZNS1_16scan_by_key_implILNS1_25lookback_scan_determinismE0ELb0ES3_N6thrust23THRUST_200600_302600_NS6detail15normal_iteratorINS9_10device_ptrIiEEEENSB_INSC_IjEEEESG_jNS9_4plusIvEENS9_8equal_toIvEEjEE10hipError_tPvRmT2_T3_T4_T5_mT6_T7_P12ihipStream_tbENKUlT_T0_E_clISt17integral_constantIbLb0EES11_EEDaSW_SX_EUlSW_E_NS1_11comp_targetILNS1_3genE5ELNS1_11target_archE942ELNS1_3gpuE9ELNS1_3repE0EEENS1_30default_config_static_selectorELNS0_4arch9wavefront6targetE0EEEvT1_
	.globl	_ZN7rocprim17ROCPRIM_400000_NS6detail17trampoline_kernelINS0_14default_configENS1_27scan_by_key_config_selectorIijEEZZNS1_16scan_by_key_implILNS1_25lookback_scan_determinismE0ELb0ES3_N6thrust23THRUST_200600_302600_NS6detail15normal_iteratorINS9_10device_ptrIiEEEENSB_INSC_IjEEEESG_jNS9_4plusIvEENS9_8equal_toIvEEjEE10hipError_tPvRmT2_T3_T4_T5_mT6_T7_P12ihipStream_tbENKUlT_T0_E_clISt17integral_constantIbLb0EES11_EEDaSW_SX_EUlSW_E_NS1_11comp_targetILNS1_3genE5ELNS1_11target_archE942ELNS1_3gpuE9ELNS1_3repE0EEENS1_30default_config_static_selectorELNS0_4arch9wavefront6targetE0EEEvT1_
	.p2align	8
	.type	_ZN7rocprim17ROCPRIM_400000_NS6detail17trampoline_kernelINS0_14default_configENS1_27scan_by_key_config_selectorIijEEZZNS1_16scan_by_key_implILNS1_25lookback_scan_determinismE0ELb0ES3_N6thrust23THRUST_200600_302600_NS6detail15normal_iteratorINS9_10device_ptrIiEEEENSB_INSC_IjEEEESG_jNS9_4plusIvEENS9_8equal_toIvEEjEE10hipError_tPvRmT2_T3_T4_T5_mT6_T7_P12ihipStream_tbENKUlT_T0_E_clISt17integral_constantIbLb0EES11_EEDaSW_SX_EUlSW_E_NS1_11comp_targetILNS1_3genE5ELNS1_11target_archE942ELNS1_3gpuE9ELNS1_3repE0EEENS1_30default_config_static_selectorELNS0_4arch9wavefront6targetE0EEEvT1_,@function
_ZN7rocprim17ROCPRIM_400000_NS6detail17trampoline_kernelINS0_14default_configENS1_27scan_by_key_config_selectorIijEEZZNS1_16scan_by_key_implILNS1_25lookback_scan_determinismE0ELb0ES3_N6thrust23THRUST_200600_302600_NS6detail15normal_iteratorINS9_10device_ptrIiEEEENSB_INSC_IjEEEESG_jNS9_4plusIvEENS9_8equal_toIvEEjEE10hipError_tPvRmT2_T3_T4_T5_mT6_T7_P12ihipStream_tbENKUlT_T0_E_clISt17integral_constantIbLb0EES11_EEDaSW_SX_EUlSW_E_NS1_11comp_targetILNS1_3genE5ELNS1_11target_archE942ELNS1_3gpuE9ELNS1_3repE0EEENS1_30default_config_static_selectorELNS0_4arch9wavefront6targetE0EEEvT1_: ; @_ZN7rocprim17ROCPRIM_400000_NS6detail17trampoline_kernelINS0_14default_configENS1_27scan_by_key_config_selectorIijEEZZNS1_16scan_by_key_implILNS1_25lookback_scan_determinismE0ELb0ES3_N6thrust23THRUST_200600_302600_NS6detail15normal_iteratorINS9_10device_ptrIiEEEENSB_INSC_IjEEEESG_jNS9_4plusIvEENS9_8equal_toIvEEjEE10hipError_tPvRmT2_T3_T4_T5_mT6_T7_P12ihipStream_tbENKUlT_T0_E_clISt17integral_constantIbLb0EES11_EEDaSW_SX_EUlSW_E_NS1_11comp_targetILNS1_3genE5ELNS1_11target_archE942ELNS1_3gpuE9ELNS1_3repE0EEENS1_30default_config_static_selectorELNS0_4arch9wavefront6targetE0EEEvT1_
; %bb.0:
	.section	.rodata,"a",@progbits
	.p2align	6, 0x0
	.amdhsa_kernel _ZN7rocprim17ROCPRIM_400000_NS6detail17trampoline_kernelINS0_14default_configENS1_27scan_by_key_config_selectorIijEEZZNS1_16scan_by_key_implILNS1_25lookback_scan_determinismE0ELb0ES3_N6thrust23THRUST_200600_302600_NS6detail15normal_iteratorINS9_10device_ptrIiEEEENSB_INSC_IjEEEESG_jNS9_4plusIvEENS9_8equal_toIvEEjEE10hipError_tPvRmT2_T3_T4_T5_mT6_T7_P12ihipStream_tbENKUlT_T0_E_clISt17integral_constantIbLb0EES11_EEDaSW_SX_EUlSW_E_NS1_11comp_targetILNS1_3genE5ELNS1_11target_archE942ELNS1_3gpuE9ELNS1_3repE0EEENS1_30default_config_static_selectorELNS0_4arch9wavefront6targetE0EEEvT1_
		.amdhsa_group_segment_fixed_size 0
		.amdhsa_private_segment_fixed_size 0
		.amdhsa_kernarg_size 112
		.amdhsa_user_sgpr_count 2
		.amdhsa_user_sgpr_dispatch_ptr 0
		.amdhsa_user_sgpr_queue_ptr 0
		.amdhsa_user_sgpr_kernarg_segment_ptr 1
		.amdhsa_user_sgpr_dispatch_id 0
		.amdhsa_user_sgpr_kernarg_preload_length 0
		.amdhsa_user_sgpr_kernarg_preload_offset 0
		.amdhsa_user_sgpr_private_segment_size 0
		.amdhsa_wavefront_size32 1
		.amdhsa_uses_dynamic_stack 0
		.amdhsa_enable_private_segment 0
		.amdhsa_system_sgpr_workgroup_id_x 1
		.amdhsa_system_sgpr_workgroup_id_y 0
		.amdhsa_system_sgpr_workgroup_id_z 0
		.amdhsa_system_sgpr_workgroup_info 0
		.amdhsa_system_vgpr_workitem_id 0
		.amdhsa_next_free_vgpr 1
		.amdhsa_next_free_sgpr 1
		.amdhsa_named_barrier_count 0
		.amdhsa_reserve_vcc 0
		.amdhsa_float_round_mode_32 0
		.amdhsa_float_round_mode_16_64 0
		.amdhsa_float_denorm_mode_32 3
		.amdhsa_float_denorm_mode_16_64 3
		.amdhsa_fp16_overflow 0
		.amdhsa_memory_ordered 1
		.amdhsa_forward_progress 1
		.amdhsa_inst_pref_size 0
		.amdhsa_round_robin_scheduling 0
		.amdhsa_exception_fp_ieee_invalid_op 0
		.amdhsa_exception_fp_denorm_src 0
		.amdhsa_exception_fp_ieee_div_zero 0
		.amdhsa_exception_fp_ieee_overflow 0
		.amdhsa_exception_fp_ieee_underflow 0
		.amdhsa_exception_fp_ieee_inexact 0
		.amdhsa_exception_int_div_zero 0
	.end_amdhsa_kernel
	.section	.text._ZN7rocprim17ROCPRIM_400000_NS6detail17trampoline_kernelINS0_14default_configENS1_27scan_by_key_config_selectorIijEEZZNS1_16scan_by_key_implILNS1_25lookback_scan_determinismE0ELb0ES3_N6thrust23THRUST_200600_302600_NS6detail15normal_iteratorINS9_10device_ptrIiEEEENSB_INSC_IjEEEESG_jNS9_4plusIvEENS9_8equal_toIvEEjEE10hipError_tPvRmT2_T3_T4_T5_mT6_T7_P12ihipStream_tbENKUlT_T0_E_clISt17integral_constantIbLb0EES11_EEDaSW_SX_EUlSW_E_NS1_11comp_targetILNS1_3genE5ELNS1_11target_archE942ELNS1_3gpuE9ELNS1_3repE0EEENS1_30default_config_static_selectorELNS0_4arch9wavefront6targetE0EEEvT1_,"axG",@progbits,_ZN7rocprim17ROCPRIM_400000_NS6detail17trampoline_kernelINS0_14default_configENS1_27scan_by_key_config_selectorIijEEZZNS1_16scan_by_key_implILNS1_25lookback_scan_determinismE0ELb0ES3_N6thrust23THRUST_200600_302600_NS6detail15normal_iteratorINS9_10device_ptrIiEEEENSB_INSC_IjEEEESG_jNS9_4plusIvEENS9_8equal_toIvEEjEE10hipError_tPvRmT2_T3_T4_T5_mT6_T7_P12ihipStream_tbENKUlT_T0_E_clISt17integral_constantIbLb0EES11_EEDaSW_SX_EUlSW_E_NS1_11comp_targetILNS1_3genE5ELNS1_11target_archE942ELNS1_3gpuE9ELNS1_3repE0EEENS1_30default_config_static_selectorELNS0_4arch9wavefront6targetE0EEEvT1_,comdat
.Lfunc_end1223:
	.size	_ZN7rocprim17ROCPRIM_400000_NS6detail17trampoline_kernelINS0_14default_configENS1_27scan_by_key_config_selectorIijEEZZNS1_16scan_by_key_implILNS1_25lookback_scan_determinismE0ELb0ES3_N6thrust23THRUST_200600_302600_NS6detail15normal_iteratorINS9_10device_ptrIiEEEENSB_INSC_IjEEEESG_jNS9_4plusIvEENS9_8equal_toIvEEjEE10hipError_tPvRmT2_T3_T4_T5_mT6_T7_P12ihipStream_tbENKUlT_T0_E_clISt17integral_constantIbLb0EES11_EEDaSW_SX_EUlSW_E_NS1_11comp_targetILNS1_3genE5ELNS1_11target_archE942ELNS1_3gpuE9ELNS1_3repE0EEENS1_30default_config_static_selectorELNS0_4arch9wavefront6targetE0EEEvT1_, .Lfunc_end1223-_ZN7rocprim17ROCPRIM_400000_NS6detail17trampoline_kernelINS0_14default_configENS1_27scan_by_key_config_selectorIijEEZZNS1_16scan_by_key_implILNS1_25lookback_scan_determinismE0ELb0ES3_N6thrust23THRUST_200600_302600_NS6detail15normal_iteratorINS9_10device_ptrIiEEEENSB_INSC_IjEEEESG_jNS9_4plusIvEENS9_8equal_toIvEEjEE10hipError_tPvRmT2_T3_T4_T5_mT6_T7_P12ihipStream_tbENKUlT_T0_E_clISt17integral_constantIbLb0EES11_EEDaSW_SX_EUlSW_E_NS1_11comp_targetILNS1_3genE5ELNS1_11target_archE942ELNS1_3gpuE9ELNS1_3repE0EEENS1_30default_config_static_selectorELNS0_4arch9wavefront6targetE0EEEvT1_
                                        ; -- End function
	.set _ZN7rocprim17ROCPRIM_400000_NS6detail17trampoline_kernelINS0_14default_configENS1_27scan_by_key_config_selectorIijEEZZNS1_16scan_by_key_implILNS1_25lookback_scan_determinismE0ELb0ES3_N6thrust23THRUST_200600_302600_NS6detail15normal_iteratorINS9_10device_ptrIiEEEENSB_INSC_IjEEEESG_jNS9_4plusIvEENS9_8equal_toIvEEjEE10hipError_tPvRmT2_T3_T4_T5_mT6_T7_P12ihipStream_tbENKUlT_T0_E_clISt17integral_constantIbLb0EES11_EEDaSW_SX_EUlSW_E_NS1_11comp_targetILNS1_3genE5ELNS1_11target_archE942ELNS1_3gpuE9ELNS1_3repE0EEENS1_30default_config_static_selectorELNS0_4arch9wavefront6targetE0EEEvT1_.num_vgpr, 0
	.set _ZN7rocprim17ROCPRIM_400000_NS6detail17trampoline_kernelINS0_14default_configENS1_27scan_by_key_config_selectorIijEEZZNS1_16scan_by_key_implILNS1_25lookback_scan_determinismE0ELb0ES3_N6thrust23THRUST_200600_302600_NS6detail15normal_iteratorINS9_10device_ptrIiEEEENSB_INSC_IjEEEESG_jNS9_4plusIvEENS9_8equal_toIvEEjEE10hipError_tPvRmT2_T3_T4_T5_mT6_T7_P12ihipStream_tbENKUlT_T0_E_clISt17integral_constantIbLb0EES11_EEDaSW_SX_EUlSW_E_NS1_11comp_targetILNS1_3genE5ELNS1_11target_archE942ELNS1_3gpuE9ELNS1_3repE0EEENS1_30default_config_static_selectorELNS0_4arch9wavefront6targetE0EEEvT1_.num_agpr, 0
	.set _ZN7rocprim17ROCPRIM_400000_NS6detail17trampoline_kernelINS0_14default_configENS1_27scan_by_key_config_selectorIijEEZZNS1_16scan_by_key_implILNS1_25lookback_scan_determinismE0ELb0ES3_N6thrust23THRUST_200600_302600_NS6detail15normal_iteratorINS9_10device_ptrIiEEEENSB_INSC_IjEEEESG_jNS9_4plusIvEENS9_8equal_toIvEEjEE10hipError_tPvRmT2_T3_T4_T5_mT6_T7_P12ihipStream_tbENKUlT_T0_E_clISt17integral_constantIbLb0EES11_EEDaSW_SX_EUlSW_E_NS1_11comp_targetILNS1_3genE5ELNS1_11target_archE942ELNS1_3gpuE9ELNS1_3repE0EEENS1_30default_config_static_selectorELNS0_4arch9wavefront6targetE0EEEvT1_.numbered_sgpr, 0
	.set _ZN7rocprim17ROCPRIM_400000_NS6detail17trampoline_kernelINS0_14default_configENS1_27scan_by_key_config_selectorIijEEZZNS1_16scan_by_key_implILNS1_25lookback_scan_determinismE0ELb0ES3_N6thrust23THRUST_200600_302600_NS6detail15normal_iteratorINS9_10device_ptrIiEEEENSB_INSC_IjEEEESG_jNS9_4plusIvEENS9_8equal_toIvEEjEE10hipError_tPvRmT2_T3_T4_T5_mT6_T7_P12ihipStream_tbENKUlT_T0_E_clISt17integral_constantIbLb0EES11_EEDaSW_SX_EUlSW_E_NS1_11comp_targetILNS1_3genE5ELNS1_11target_archE942ELNS1_3gpuE9ELNS1_3repE0EEENS1_30default_config_static_selectorELNS0_4arch9wavefront6targetE0EEEvT1_.num_named_barrier, 0
	.set _ZN7rocprim17ROCPRIM_400000_NS6detail17trampoline_kernelINS0_14default_configENS1_27scan_by_key_config_selectorIijEEZZNS1_16scan_by_key_implILNS1_25lookback_scan_determinismE0ELb0ES3_N6thrust23THRUST_200600_302600_NS6detail15normal_iteratorINS9_10device_ptrIiEEEENSB_INSC_IjEEEESG_jNS9_4plusIvEENS9_8equal_toIvEEjEE10hipError_tPvRmT2_T3_T4_T5_mT6_T7_P12ihipStream_tbENKUlT_T0_E_clISt17integral_constantIbLb0EES11_EEDaSW_SX_EUlSW_E_NS1_11comp_targetILNS1_3genE5ELNS1_11target_archE942ELNS1_3gpuE9ELNS1_3repE0EEENS1_30default_config_static_selectorELNS0_4arch9wavefront6targetE0EEEvT1_.private_seg_size, 0
	.set _ZN7rocprim17ROCPRIM_400000_NS6detail17trampoline_kernelINS0_14default_configENS1_27scan_by_key_config_selectorIijEEZZNS1_16scan_by_key_implILNS1_25lookback_scan_determinismE0ELb0ES3_N6thrust23THRUST_200600_302600_NS6detail15normal_iteratorINS9_10device_ptrIiEEEENSB_INSC_IjEEEESG_jNS9_4plusIvEENS9_8equal_toIvEEjEE10hipError_tPvRmT2_T3_T4_T5_mT6_T7_P12ihipStream_tbENKUlT_T0_E_clISt17integral_constantIbLb0EES11_EEDaSW_SX_EUlSW_E_NS1_11comp_targetILNS1_3genE5ELNS1_11target_archE942ELNS1_3gpuE9ELNS1_3repE0EEENS1_30default_config_static_selectorELNS0_4arch9wavefront6targetE0EEEvT1_.uses_vcc, 0
	.set _ZN7rocprim17ROCPRIM_400000_NS6detail17trampoline_kernelINS0_14default_configENS1_27scan_by_key_config_selectorIijEEZZNS1_16scan_by_key_implILNS1_25lookback_scan_determinismE0ELb0ES3_N6thrust23THRUST_200600_302600_NS6detail15normal_iteratorINS9_10device_ptrIiEEEENSB_INSC_IjEEEESG_jNS9_4plusIvEENS9_8equal_toIvEEjEE10hipError_tPvRmT2_T3_T4_T5_mT6_T7_P12ihipStream_tbENKUlT_T0_E_clISt17integral_constantIbLb0EES11_EEDaSW_SX_EUlSW_E_NS1_11comp_targetILNS1_3genE5ELNS1_11target_archE942ELNS1_3gpuE9ELNS1_3repE0EEENS1_30default_config_static_selectorELNS0_4arch9wavefront6targetE0EEEvT1_.uses_flat_scratch, 0
	.set _ZN7rocprim17ROCPRIM_400000_NS6detail17trampoline_kernelINS0_14default_configENS1_27scan_by_key_config_selectorIijEEZZNS1_16scan_by_key_implILNS1_25lookback_scan_determinismE0ELb0ES3_N6thrust23THRUST_200600_302600_NS6detail15normal_iteratorINS9_10device_ptrIiEEEENSB_INSC_IjEEEESG_jNS9_4plusIvEENS9_8equal_toIvEEjEE10hipError_tPvRmT2_T3_T4_T5_mT6_T7_P12ihipStream_tbENKUlT_T0_E_clISt17integral_constantIbLb0EES11_EEDaSW_SX_EUlSW_E_NS1_11comp_targetILNS1_3genE5ELNS1_11target_archE942ELNS1_3gpuE9ELNS1_3repE0EEENS1_30default_config_static_selectorELNS0_4arch9wavefront6targetE0EEEvT1_.has_dyn_sized_stack, 0
	.set _ZN7rocprim17ROCPRIM_400000_NS6detail17trampoline_kernelINS0_14default_configENS1_27scan_by_key_config_selectorIijEEZZNS1_16scan_by_key_implILNS1_25lookback_scan_determinismE0ELb0ES3_N6thrust23THRUST_200600_302600_NS6detail15normal_iteratorINS9_10device_ptrIiEEEENSB_INSC_IjEEEESG_jNS9_4plusIvEENS9_8equal_toIvEEjEE10hipError_tPvRmT2_T3_T4_T5_mT6_T7_P12ihipStream_tbENKUlT_T0_E_clISt17integral_constantIbLb0EES11_EEDaSW_SX_EUlSW_E_NS1_11comp_targetILNS1_3genE5ELNS1_11target_archE942ELNS1_3gpuE9ELNS1_3repE0EEENS1_30default_config_static_selectorELNS0_4arch9wavefront6targetE0EEEvT1_.has_recursion, 0
	.set _ZN7rocprim17ROCPRIM_400000_NS6detail17trampoline_kernelINS0_14default_configENS1_27scan_by_key_config_selectorIijEEZZNS1_16scan_by_key_implILNS1_25lookback_scan_determinismE0ELb0ES3_N6thrust23THRUST_200600_302600_NS6detail15normal_iteratorINS9_10device_ptrIiEEEENSB_INSC_IjEEEESG_jNS9_4plusIvEENS9_8equal_toIvEEjEE10hipError_tPvRmT2_T3_T4_T5_mT6_T7_P12ihipStream_tbENKUlT_T0_E_clISt17integral_constantIbLb0EES11_EEDaSW_SX_EUlSW_E_NS1_11comp_targetILNS1_3genE5ELNS1_11target_archE942ELNS1_3gpuE9ELNS1_3repE0EEENS1_30default_config_static_selectorELNS0_4arch9wavefront6targetE0EEEvT1_.has_indirect_call, 0
	.section	.AMDGPU.csdata,"",@progbits
; Kernel info:
; codeLenInByte = 0
; TotalNumSgprs: 0
; NumVgprs: 0
; ScratchSize: 0
; MemoryBound: 0
; FloatMode: 240
; IeeeMode: 1
; LDSByteSize: 0 bytes/workgroup (compile time only)
; SGPRBlocks: 0
; VGPRBlocks: 0
; NumSGPRsForWavesPerEU: 1
; NumVGPRsForWavesPerEU: 1
; NamedBarCnt: 0
; Occupancy: 16
; WaveLimiterHint : 0
; COMPUTE_PGM_RSRC2:SCRATCH_EN: 0
; COMPUTE_PGM_RSRC2:USER_SGPR: 2
; COMPUTE_PGM_RSRC2:TRAP_HANDLER: 0
; COMPUTE_PGM_RSRC2:TGID_X_EN: 1
; COMPUTE_PGM_RSRC2:TGID_Y_EN: 0
; COMPUTE_PGM_RSRC2:TGID_Z_EN: 0
; COMPUTE_PGM_RSRC2:TIDIG_COMP_CNT: 0
	.section	.text._ZN7rocprim17ROCPRIM_400000_NS6detail17trampoline_kernelINS0_14default_configENS1_27scan_by_key_config_selectorIijEEZZNS1_16scan_by_key_implILNS1_25lookback_scan_determinismE0ELb0ES3_N6thrust23THRUST_200600_302600_NS6detail15normal_iteratorINS9_10device_ptrIiEEEENSB_INSC_IjEEEESG_jNS9_4plusIvEENS9_8equal_toIvEEjEE10hipError_tPvRmT2_T3_T4_T5_mT6_T7_P12ihipStream_tbENKUlT_T0_E_clISt17integral_constantIbLb0EES11_EEDaSW_SX_EUlSW_E_NS1_11comp_targetILNS1_3genE4ELNS1_11target_archE910ELNS1_3gpuE8ELNS1_3repE0EEENS1_30default_config_static_selectorELNS0_4arch9wavefront6targetE0EEEvT1_,"axG",@progbits,_ZN7rocprim17ROCPRIM_400000_NS6detail17trampoline_kernelINS0_14default_configENS1_27scan_by_key_config_selectorIijEEZZNS1_16scan_by_key_implILNS1_25lookback_scan_determinismE0ELb0ES3_N6thrust23THRUST_200600_302600_NS6detail15normal_iteratorINS9_10device_ptrIiEEEENSB_INSC_IjEEEESG_jNS9_4plusIvEENS9_8equal_toIvEEjEE10hipError_tPvRmT2_T3_T4_T5_mT6_T7_P12ihipStream_tbENKUlT_T0_E_clISt17integral_constantIbLb0EES11_EEDaSW_SX_EUlSW_E_NS1_11comp_targetILNS1_3genE4ELNS1_11target_archE910ELNS1_3gpuE8ELNS1_3repE0EEENS1_30default_config_static_selectorELNS0_4arch9wavefront6targetE0EEEvT1_,comdat
	.protected	_ZN7rocprim17ROCPRIM_400000_NS6detail17trampoline_kernelINS0_14default_configENS1_27scan_by_key_config_selectorIijEEZZNS1_16scan_by_key_implILNS1_25lookback_scan_determinismE0ELb0ES3_N6thrust23THRUST_200600_302600_NS6detail15normal_iteratorINS9_10device_ptrIiEEEENSB_INSC_IjEEEESG_jNS9_4plusIvEENS9_8equal_toIvEEjEE10hipError_tPvRmT2_T3_T4_T5_mT6_T7_P12ihipStream_tbENKUlT_T0_E_clISt17integral_constantIbLb0EES11_EEDaSW_SX_EUlSW_E_NS1_11comp_targetILNS1_3genE4ELNS1_11target_archE910ELNS1_3gpuE8ELNS1_3repE0EEENS1_30default_config_static_selectorELNS0_4arch9wavefront6targetE0EEEvT1_ ; -- Begin function _ZN7rocprim17ROCPRIM_400000_NS6detail17trampoline_kernelINS0_14default_configENS1_27scan_by_key_config_selectorIijEEZZNS1_16scan_by_key_implILNS1_25lookback_scan_determinismE0ELb0ES3_N6thrust23THRUST_200600_302600_NS6detail15normal_iteratorINS9_10device_ptrIiEEEENSB_INSC_IjEEEESG_jNS9_4plusIvEENS9_8equal_toIvEEjEE10hipError_tPvRmT2_T3_T4_T5_mT6_T7_P12ihipStream_tbENKUlT_T0_E_clISt17integral_constantIbLb0EES11_EEDaSW_SX_EUlSW_E_NS1_11comp_targetILNS1_3genE4ELNS1_11target_archE910ELNS1_3gpuE8ELNS1_3repE0EEENS1_30default_config_static_selectorELNS0_4arch9wavefront6targetE0EEEvT1_
	.globl	_ZN7rocprim17ROCPRIM_400000_NS6detail17trampoline_kernelINS0_14default_configENS1_27scan_by_key_config_selectorIijEEZZNS1_16scan_by_key_implILNS1_25lookback_scan_determinismE0ELb0ES3_N6thrust23THRUST_200600_302600_NS6detail15normal_iteratorINS9_10device_ptrIiEEEENSB_INSC_IjEEEESG_jNS9_4plusIvEENS9_8equal_toIvEEjEE10hipError_tPvRmT2_T3_T4_T5_mT6_T7_P12ihipStream_tbENKUlT_T0_E_clISt17integral_constantIbLb0EES11_EEDaSW_SX_EUlSW_E_NS1_11comp_targetILNS1_3genE4ELNS1_11target_archE910ELNS1_3gpuE8ELNS1_3repE0EEENS1_30default_config_static_selectorELNS0_4arch9wavefront6targetE0EEEvT1_
	.p2align	8
	.type	_ZN7rocprim17ROCPRIM_400000_NS6detail17trampoline_kernelINS0_14default_configENS1_27scan_by_key_config_selectorIijEEZZNS1_16scan_by_key_implILNS1_25lookback_scan_determinismE0ELb0ES3_N6thrust23THRUST_200600_302600_NS6detail15normal_iteratorINS9_10device_ptrIiEEEENSB_INSC_IjEEEESG_jNS9_4plusIvEENS9_8equal_toIvEEjEE10hipError_tPvRmT2_T3_T4_T5_mT6_T7_P12ihipStream_tbENKUlT_T0_E_clISt17integral_constantIbLb0EES11_EEDaSW_SX_EUlSW_E_NS1_11comp_targetILNS1_3genE4ELNS1_11target_archE910ELNS1_3gpuE8ELNS1_3repE0EEENS1_30default_config_static_selectorELNS0_4arch9wavefront6targetE0EEEvT1_,@function
_ZN7rocprim17ROCPRIM_400000_NS6detail17trampoline_kernelINS0_14default_configENS1_27scan_by_key_config_selectorIijEEZZNS1_16scan_by_key_implILNS1_25lookback_scan_determinismE0ELb0ES3_N6thrust23THRUST_200600_302600_NS6detail15normal_iteratorINS9_10device_ptrIiEEEENSB_INSC_IjEEEESG_jNS9_4plusIvEENS9_8equal_toIvEEjEE10hipError_tPvRmT2_T3_T4_T5_mT6_T7_P12ihipStream_tbENKUlT_T0_E_clISt17integral_constantIbLb0EES11_EEDaSW_SX_EUlSW_E_NS1_11comp_targetILNS1_3genE4ELNS1_11target_archE910ELNS1_3gpuE8ELNS1_3repE0EEENS1_30default_config_static_selectorELNS0_4arch9wavefront6targetE0EEEvT1_: ; @_ZN7rocprim17ROCPRIM_400000_NS6detail17trampoline_kernelINS0_14default_configENS1_27scan_by_key_config_selectorIijEEZZNS1_16scan_by_key_implILNS1_25lookback_scan_determinismE0ELb0ES3_N6thrust23THRUST_200600_302600_NS6detail15normal_iteratorINS9_10device_ptrIiEEEENSB_INSC_IjEEEESG_jNS9_4plusIvEENS9_8equal_toIvEEjEE10hipError_tPvRmT2_T3_T4_T5_mT6_T7_P12ihipStream_tbENKUlT_T0_E_clISt17integral_constantIbLb0EES11_EEDaSW_SX_EUlSW_E_NS1_11comp_targetILNS1_3genE4ELNS1_11target_archE910ELNS1_3gpuE8ELNS1_3repE0EEENS1_30default_config_static_selectorELNS0_4arch9wavefront6targetE0EEEvT1_
; %bb.0:
	.section	.rodata,"a",@progbits
	.p2align	6, 0x0
	.amdhsa_kernel _ZN7rocprim17ROCPRIM_400000_NS6detail17trampoline_kernelINS0_14default_configENS1_27scan_by_key_config_selectorIijEEZZNS1_16scan_by_key_implILNS1_25lookback_scan_determinismE0ELb0ES3_N6thrust23THRUST_200600_302600_NS6detail15normal_iteratorINS9_10device_ptrIiEEEENSB_INSC_IjEEEESG_jNS9_4plusIvEENS9_8equal_toIvEEjEE10hipError_tPvRmT2_T3_T4_T5_mT6_T7_P12ihipStream_tbENKUlT_T0_E_clISt17integral_constantIbLb0EES11_EEDaSW_SX_EUlSW_E_NS1_11comp_targetILNS1_3genE4ELNS1_11target_archE910ELNS1_3gpuE8ELNS1_3repE0EEENS1_30default_config_static_selectorELNS0_4arch9wavefront6targetE0EEEvT1_
		.amdhsa_group_segment_fixed_size 0
		.amdhsa_private_segment_fixed_size 0
		.amdhsa_kernarg_size 112
		.amdhsa_user_sgpr_count 2
		.amdhsa_user_sgpr_dispatch_ptr 0
		.amdhsa_user_sgpr_queue_ptr 0
		.amdhsa_user_sgpr_kernarg_segment_ptr 1
		.amdhsa_user_sgpr_dispatch_id 0
		.amdhsa_user_sgpr_kernarg_preload_length 0
		.amdhsa_user_sgpr_kernarg_preload_offset 0
		.amdhsa_user_sgpr_private_segment_size 0
		.amdhsa_wavefront_size32 1
		.amdhsa_uses_dynamic_stack 0
		.amdhsa_enable_private_segment 0
		.amdhsa_system_sgpr_workgroup_id_x 1
		.amdhsa_system_sgpr_workgroup_id_y 0
		.amdhsa_system_sgpr_workgroup_id_z 0
		.amdhsa_system_sgpr_workgroup_info 0
		.amdhsa_system_vgpr_workitem_id 0
		.amdhsa_next_free_vgpr 1
		.amdhsa_next_free_sgpr 1
		.amdhsa_named_barrier_count 0
		.amdhsa_reserve_vcc 0
		.amdhsa_float_round_mode_32 0
		.amdhsa_float_round_mode_16_64 0
		.amdhsa_float_denorm_mode_32 3
		.amdhsa_float_denorm_mode_16_64 3
		.amdhsa_fp16_overflow 0
		.amdhsa_memory_ordered 1
		.amdhsa_forward_progress 1
		.amdhsa_inst_pref_size 0
		.amdhsa_round_robin_scheduling 0
		.amdhsa_exception_fp_ieee_invalid_op 0
		.amdhsa_exception_fp_denorm_src 0
		.amdhsa_exception_fp_ieee_div_zero 0
		.amdhsa_exception_fp_ieee_overflow 0
		.amdhsa_exception_fp_ieee_underflow 0
		.amdhsa_exception_fp_ieee_inexact 0
		.amdhsa_exception_int_div_zero 0
	.end_amdhsa_kernel
	.section	.text._ZN7rocprim17ROCPRIM_400000_NS6detail17trampoline_kernelINS0_14default_configENS1_27scan_by_key_config_selectorIijEEZZNS1_16scan_by_key_implILNS1_25lookback_scan_determinismE0ELb0ES3_N6thrust23THRUST_200600_302600_NS6detail15normal_iteratorINS9_10device_ptrIiEEEENSB_INSC_IjEEEESG_jNS9_4plusIvEENS9_8equal_toIvEEjEE10hipError_tPvRmT2_T3_T4_T5_mT6_T7_P12ihipStream_tbENKUlT_T0_E_clISt17integral_constantIbLb0EES11_EEDaSW_SX_EUlSW_E_NS1_11comp_targetILNS1_3genE4ELNS1_11target_archE910ELNS1_3gpuE8ELNS1_3repE0EEENS1_30default_config_static_selectorELNS0_4arch9wavefront6targetE0EEEvT1_,"axG",@progbits,_ZN7rocprim17ROCPRIM_400000_NS6detail17trampoline_kernelINS0_14default_configENS1_27scan_by_key_config_selectorIijEEZZNS1_16scan_by_key_implILNS1_25lookback_scan_determinismE0ELb0ES3_N6thrust23THRUST_200600_302600_NS6detail15normal_iteratorINS9_10device_ptrIiEEEENSB_INSC_IjEEEESG_jNS9_4plusIvEENS9_8equal_toIvEEjEE10hipError_tPvRmT2_T3_T4_T5_mT6_T7_P12ihipStream_tbENKUlT_T0_E_clISt17integral_constantIbLb0EES11_EEDaSW_SX_EUlSW_E_NS1_11comp_targetILNS1_3genE4ELNS1_11target_archE910ELNS1_3gpuE8ELNS1_3repE0EEENS1_30default_config_static_selectorELNS0_4arch9wavefront6targetE0EEEvT1_,comdat
.Lfunc_end1224:
	.size	_ZN7rocprim17ROCPRIM_400000_NS6detail17trampoline_kernelINS0_14default_configENS1_27scan_by_key_config_selectorIijEEZZNS1_16scan_by_key_implILNS1_25lookback_scan_determinismE0ELb0ES3_N6thrust23THRUST_200600_302600_NS6detail15normal_iteratorINS9_10device_ptrIiEEEENSB_INSC_IjEEEESG_jNS9_4plusIvEENS9_8equal_toIvEEjEE10hipError_tPvRmT2_T3_T4_T5_mT6_T7_P12ihipStream_tbENKUlT_T0_E_clISt17integral_constantIbLb0EES11_EEDaSW_SX_EUlSW_E_NS1_11comp_targetILNS1_3genE4ELNS1_11target_archE910ELNS1_3gpuE8ELNS1_3repE0EEENS1_30default_config_static_selectorELNS0_4arch9wavefront6targetE0EEEvT1_, .Lfunc_end1224-_ZN7rocprim17ROCPRIM_400000_NS6detail17trampoline_kernelINS0_14default_configENS1_27scan_by_key_config_selectorIijEEZZNS1_16scan_by_key_implILNS1_25lookback_scan_determinismE0ELb0ES3_N6thrust23THRUST_200600_302600_NS6detail15normal_iteratorINS9_10device_ptrIiEEEENSB_INSC_IjEEEESG_jNS9_4plusIvEENS9_8equal_toIvEEjEE10hipError_tPvRmT2_T3_T4_T5_mT6_T7_P12ihipStream_tbENKUlT_T0_E_clISt17integral_constantIbLb0EES11_EEDaSW_SX_EUlSW_E_NS1_11comp_targetILNS1_3genE4ELNS1_11target_archE910ELNS1_3gpuE8ELNS1_3repE0EEENS1_30default_config_static_selectorELNS0_4arch9wavefront6targetE0EEEvT1_
                                        ; -- End function
	.set _ZN7rocprim17ROCPRIM_400000_NS6detail17trampoline_kernelINS0_14default_configENS1_27scan_by_key_config_selectorIijEEZZNS1_16scan_by_key_implILNS1_25lookback_scan_determinismE0ELb0ES3_N6thrust23THRUST_200600_302600_NS6detail15normal_iteratorINS9_10device_ptrIiEEEENSB_INSC_IjEEEESG_jNS9_4plusIvEENS9_8equal_toIvEEjEE10hipError_tPvRmT2_T3_T4_T5_mT6_T7_P12ihipStream_tbENKUlT_T0_E_clISt17integral_constantIbLb0EES11_EEDaSW_SX_EUlSW_E_NS1_11comp_targetILNS1_3genE4ELNS1_11target_archE910ELNS1_3gpuE8ELNS1_3repE0EEENS1_30default_config_static_selectorELNS0_4arch9wavefront6targetE0EEEvT1_.num_vgpr, 0
	.set _ZN7rocprim17ROCPRIM_400000_NS6detail17trampoline_kernelINS0_14default_configENS1_27scan_by_key_config_selectorIijEEZZNS1_16scan_by_key_implILNS1_25lookback_scan_determinismE0ELb0ES3_N6thrust23THRUST_200600_302600_NS6detail15normal_iteratorINS9_10device_ptrIiEEEENSB_INSC_IjEEEESG_jNS9_4plusIvEENS9_8equal_toIvEEjEE10hipError_tPvRmT2_T3_T4_T5_mT6_T7_P12ihipStream_tbENKUlT_T0_E_clISt17integral_constantIbLb0EES11_EEDaSW_SX_EUlSW_E_NS1_11comp_targetILNS1_3genE4ELNS1_11target_archE910ELNS1_3gpuE8ELNS1_3repE0EEENS1_30default_config_static_selectorELNS0_4arch9wavefront6targetE0EEEvT1_.num_agpr, 0
	.set _ZN7rocprim17ROCPRIM_400000_NS6detail17trampoline_kernelINS0_14default_configENS1_27scan_by_key_config_selectorIijEEZZNS1_16scan_by_key_implILNS1_25lookback_scan_determinismE0ELb0ES3_N6thrust23THRUST_200600_302600_NS6detail15normal_iteratorINS9_10device_ptrIiEEEENSB_INSC_IjEEEESG_jNS9_4plusIvEENS9_8equal_toIvEEjEE10hipError_tPvRmT2_T3_T4_T5_mT6_T7_P12ihipStream_tbENKUlT_T0_E_clISt17integral_constantIbLb0EES11_EEDaSW_SX_EUlSW_E_NS1_11comp_targetILNS1_3genE4ELNS1_11target_archE910ELNS1_3gpuE8ELNS1_3repE0EEENS1_30default_config_static_selectorELNS0_4arch9wavefront6targetE0EEEvT1_.numbered_sgpr, 0
	.set _ZN7rocprim17ROCPRIM_400000_NS6detail17trampoline_kernelINS0_14default_configENS1_27scan_by_key_config_selectorIijEEZZNS1_16scan_by_key_implILNS1_25lookback_scan_determinismE0ELb0ES3_N6thrust23THRUST_200600_302600_NS6detail15normal_iteratorINS9_10device_ptrIiEEEENSB_INSC_IjEEEESG_jNS9_4plusIvEENS9_8equal_toIvEEjEE10hipError_tPvRmT2_T3_T4_T5_mT6_T7_P12ihipStream_tbENKUlT_T0_E_clISt17integral_constantIbLb0EES11_EEDaSW_SX_EUlSW_E_NS1_11comp_targetILNS1_3genE4ELNS1_11target_archE910ELNS1_3gpuE8ELNS1_3repE0EEENS1_30default_config_static_selectorELNS0_4arch9wavefront6targetE0EEEvT1_.num_named_barrier, 0
	.set _ZN7rocprim17ROCPRIM_400000_NS6detail17trampoline_kernelINS0_14default_configENS1_27scan_by_key_config_selectorIijEEZZNS1_16scan_by_key_implILNS1_25lookback_scan_determinismE0ELb0ES3_N6thrust23THRUST_200600_302600_NS6detail15normal_iteratorINS9_10device_ptrIiEEEENSB_INSC_IjEEEESG_jNS9_4plusIvEENS9_8equal_toIvEEjEE10hipError_tPvRmT2_T3_T4_T5_mT6_T7_P12ihipStream_tbENKUlT_T0_E_clISt17integral_constantIbLb0EES11_EEDaSW_SX_EUlSW_E_NS1_11comp_targetILNS1_3genE4ELNS1_11target_archE910ELNS1_3gpuE8ELNS1_3repE0EEENS1_30default_config_static_selectorELNS0_4arch9wavefront6targetE0EEEvT1_.private_seg_size, 0
	.set _ZN7rocprim17ROCPRIM_400000_NS6detail17trampoline_kernelINS0_14default_configENS1_27scan_by_key_config_selectorIijEEZZNS1_16scan_by_key_implILNS1_25lookback_scan_determinismE0ELb0ES3_N6thrust23THRUST_200600_302600_NS6detail15normal_iteratorINS9_10device_ptrIiEEEENSB_INSC_IjEEEESG_jNS9_4plusIvEENS9_8equal_toIvEEjEE10hipError_tPvRmT2_T3_T4_T5_mT6_T7_P12ihipStream_tbENKUlT_T0_E_clISt17integral_constantIbLb0EES11_EEDaSW_SX_EUlSW_E_NS1_11comp_targetILNS1_3genE4ELNS1_11target_archE910ELNS1_3gpuE8ELNS1_3repE0EEENS1_30default_config_static_selectorELNS0_4arch9wavefront6targetE0EEEvT1_.uses_vcc, 0
	.set _ZN7rocprim17ROCPRIM_400000_NS6detail17trampoline_kernelINS0_14default_configENS1_27scan_by_key_config_selectorIijEEZZNS1_16scan_by_key_implILNS1_25lookback_scan_determinismE0ELb0ES3_N6thrust23THRUST_200600_302600_NS6detail15normal_iteratorINS9_10device_ptrIiEEEENSB_INSC_IjEEEESG_jNS9_4plusIvEENS9_8equal_toIvEEjEE10hipError_tPvRmT2_T3_T4_T5_mT6_T7_P12ihipStream_tbENKUlT_T0_E_clISt17integral_constantIbLb0EES11_EEDaSW_SX_EUlSW_E_NS1_11comp_targetILNS1_3genE4ELNS1_11target_archE910ELNS1_3gpuE8ELNS1_3repE0EEENS1_30default_config_static_selectorELNS0_4arch9wavefront6targetE0EEEvT1_.uses_flat_scratch, 0
	.set _ZN7rocprim17ROCPRIM_400000_NS6detail17trampoline_kernelINS0_14default_configENS1_27scan_by_key_config_selectorIijEEZZNS1_16scan_by_key_implILNS1_25lookback_scan_determinismE0ELb0ES3_N6thrust23THRUST_200600_302600_NS6detail15normal_iteratorINS9_10device_ptrIiEEEENSB_INSC_IjEEEESG_jNS9_4plusIvEENS9_8equal_toIvEEjEE10hipError_tPvRmT2_T3_T4_T5_mT6_T7_P12ihipStream_tbENKUlT_T0_E_clISt17integral_constantIbLb0EES11_EEDaSW_SX_EUlSW_E_NS1_11comp_targetILNS1_3genE4ELNS1_11target_archE910ELNS1_3gpuE8ELNS1_3repE0EEENS1_30default_config_static_selectorELNS0_4arch9wavefront6targetE0EEEvT1_.has_dyn_sized_stack, 0
	.set _ZN7rocprim17ROCPRIM_400000_NS6detail17trampoline_kernelINS0_14default_configENS1_27scan_by_key_config_selectorIijEEZZNS1_16scan_by_key_implILNS1_25lookback_scan_determinismE0ELb0ES3_N6thrust23THRUST_200600_302600_NS6detail15normal_iteratorINS9_10device_ptrIiEEEENSB_INSC_IjEEEESG_jNS9_4plusIvEENS9_8equal_toIvEEjEE10hipError_tPvRmT2_T3_T4_T5_mT6_T7_P12ihipStream_tbENKUlT_T0_E_clISt17integral_constantIbLb0EES11_EEDaSW_SX_EUlSW_E_NS1_11comp_targetILNS1_3genE4ELNS1_11target_archE910ELNS1_3gpuE8ELNS1_3repE0EEENS1_30default_config_static_selectorELNS0_4arch9wavefront6targetE0EEEvT1_.has_recursion, 0
	.set _ZN7rocprim17ROCPRIM_400000_NS6detail17trampoline_kernelINS0_14default_configENS1_27scan_by_key_config_selectorIijEEZZNS1_16scan_by_key_implILNS1_25lookback_scan_determinismE0ELb0ES3_N6thrust23THRUST_200600_302600_NS6detail15normal_iteratorINS9_10device_ptrIiEEEENSB_INSC_IjEEEESG_jNS9_4plusIvEENS9_8equal_toIvEEjEE10hipError_tPvRmT2_T3_T4_T5_mT6_T7_P12ihipStream_tbENKUlT_T0_E_clISt17integral_constantIbLb0EES11_EEDaSW_SX_EUlSW_E_NS1_11comp_targetILNS1_3genE4ELNS1_11target_archE910ELNS1_3gpuE8ELNS1_3repE0EEENS1_30default_config_static_selectorELNS0_4arch9wavefront6targetE0EEEvT1_.has_indirect_call, 0
	.section	.AMDGPU.csdata,"",@progbits
; Kernel info:
; codeLenInByte = 0
; TotalNumSgprs: 0
; NumVgprs: 0
; ScratchSize: 0
; MemoryBound: 0
; FloatMode: 240
; IeeeMode: 1
; LDSByteSize: 0 bytes/workgroup (compile time only)
; SGPRBlocks: 0
; VGPRBlocks: 0
; NumSGPRsForWavesPerEU: 1
; NumVGPRsForWavesPerEU: 1
; NamedBarCnt: 0
; Occupancy: 16
; WaveLimiterHint : 0
; COMPUTE_PGM_RSRC2:SCRATCH_EN: 0
; COMPUTE_PGM_RSRC2:USER_SGPR: 2
; COMPUTE_PGM_RSRC2:TRAP_HANDLER: 0
; COMPUTE_PGM_RSRC2:TGID_X_EN: 1
; COMPUTE_PGM_RSRC2:TGID_Y_EN: 0
; COMPUTE_PGM_RSRC2:TGID_Z_EN: 0
; COMPUTE_PGM_RSRC2:TIDIG_COMP_CNT: 0
	.section	.text._ZN7rocprim17ROCPRIM_400000_NS6detail17trampoline_kernelINS0_14default_configENS1_27scan_by_key_config_selectorIijEEZZNS1_16scan_by_key_implILNS1_25lookback_scan_determinismE0ELb0ES3_N6thrust23THRUST_200600_302600_NS6detail15normal_iteratorINS9_10device_ptrIiEEEENSB_INSC_IjEEEESG_jNS9_4plusIvEENS9_8equal_toIvEEjEE10hipError_tPvRmT2_T3_T4_T5_mT6_T7_P12ihipStream_tbENKUlT_T0_E_clISt17integral_constantIbLb0EES11_EEDaSW_SX_EUlSW_E_NS1_11comp_targetILNS1_3genE3ELNS1_11target_archE908ELNS1_3gpuE7ELNS1_3repE0EEENS1_30default_config_static_selectorELNS0_4arch9wavefront6targetE0EEEvT1_,"axG",@progbits,_ZN7rocprim17ROCPRIM_400000_NS6detail17trampoline_kernelINS0_14default_configENS1_27scan_by_key_config_selectorIijEEZZNS1_16scan_by_key_implILNS1_25lookback_scan_determinismE0ELb0ES3_N6thrust23THRUST_200600_302600_NS6detail15normal_iteratorINS9_10device_ptrIiEEEENSB_INSC_IjEEEESG_jNS9_4plusIvEENS9_8equal_toIvEEjEE10hipError_tPvRmT2_T3_T4_T5_mT6_T7_P12ihipStream_tbENKUlT_T0_E_clISt17integral_constantIbLb0EES11_EEDaSW_SX_EUlSW_E_NS1_11comp_targetILNS1_3genE3ELNS1_11target_archE908ELNS1_3gpuE7ELNS1_3repE0EEENS1_30default_config_static_selectorELNS0_4arch9wavefront6targetE0EEEvT1_,comdat
	.protected	_ZN7rocprim17ROCPRIM_400000_NS6detail17trampoline_kernelINS0_14default_configENS1_27scan_by_key_config_selectorIijEEZZNS1_16scan_by_key_implILNS1_25lookback_scan_determinismE0ELb0ES3_N6thrust23THRUST_200600_302600_NS6detail15normal_iteratorINS9_10device_ptrIiEEEENSB_INSC_IjEEEESG_jNS9_4plusIvEENS9_8equal_toIvEEjEE10hipError_tPvRmT2_T3_T4_T5_mT6_T7_P12ihipStream_tbENKUlT_T0_E_clISt17integral_constantIbLb0EES11_EEDaSW_SX_EUlSW_E_NS1_11comp_targetILNS1_3genE3ELNS1_11target_archE908ELNS1_3gpuE7ELNS1_3repE0EEENS1_30default_config_static_selectorELNS0_4arch9wavefront6targetE0EEEvT1_ ; -- Begin function _ZN7rocprim17ROCPRIM_400000_NS6detail17trampoline_kernelINS0_14default_configENS1_27scan_by_key_config_selectorIijEEZZNS1_16scan_by_key_implILNS1_25lookback_scan_determinismE0ELb0ES3_N6thrust23THRUST_200600_302600_NS6detail15normal_iteratorINS9_10device_ptrIiEEEENSB_INSC_IjEEEESG_jNS9_4plusIvEENS9_8equal_toIvEEjEE10hipError_tPvRmT2_T3_T4_T5_mT6_T7_P12ihipStream_tbENKUlT_T0_E_clISt17integral_constantIbLb0EES11_EEDaSW_SX_EUlSW_E_NS1_11comp_targetILNS1_3genE3ELNS1_11target_archE908ELNS1_3gpuE7ELNS1_3repE0EEENS1_30default_config_static_selectorELNS0_4arch9wavefront6targetE0EEEvT1_
	.globl	_ZN7rocprim17ROCPRIM_400000_NS6detail17trampoline_kernelINS0_14default_configENS1_27scan_by_key_config_selectorIijEEZZNS1_16scan_by_key_implILNS1_25lookback_scan_determinismE0ELb0ES3_N6thrust23THRUST_200600_302600_NS6detail15normal_iteratorINS9_10device_ptrIiEEEENSB_INSC_IjEEEESG_jNS9_4plusIvEENS9_8equal_toIvEEjEE10hipError_tPvRmT2_T3_T4_T5_mT6_T7_P12ihipStream_tbENKUlT_T0_E_clISt17integral_constantIbLb0EES11_EEDaSW_SX_EUlSW_E_NS1_11comp_targetILNS1_3genE3ELNS1_11target_archE908ELNS1_3gpuE7ELNS1_3repE0EEENS1_30default_config_static_selectorELNS0_4arch9wavefront6targetE0EEEvT1_
	.p2align	8
	.type	_ZN7rocprim17ROCPRIM_400000_NS6detail17trampoline_kernelINS0_14default_configENS1_27scan_by_key_config_selectorIijEEZZNS1_16scan_by_key_implILNS1_25lookback_scan_determinismE0ELb0ES3_N6thrust23THRUST_200600_302600_NS6detail15normal_iteratorINS9_10device_ptrIiEEEENSB_INSC_IjEEEESG_jNS9_4plusIvEENS9_8equal_toIvEEjEE10hipError_tPvRmT2_T3_T4_T5_mT6_T7_P12ihipStream_tbENKUlT_T0_E_clISt17integral_constantIbLb0EES11_EEDaSW_SX_EUlSW_E_NS1_11comp_targetILNS1_3genE3ELNS1_11target_archE908ELNS1_3gpuE7ELNS1_3repE0EEENS1_30default_config_static_selectorELNS0_4arch9wavefront6targetE0EEEvT1_,@function
_ZN7rocprim17ROCPRIM_400000_NS6detail17trampoline_kernelINS0_14default_configENS1_27scan_by_key_config_selectorIijEEZZNS1_16scan_by_key_implILNS1_25lookback_scan_determinismE0ELb0ES3_N6thrust23THRUST_200600_302600_NS6detail15normal_iteratorINS9_10device_ptrIiEEEENSB_INSC_IjEEEESG_jNS9_4plusIvEENS9_8equal_toIvEEjEE10hipError_tPvRmT2_T3_T4_T5_mT6_T7_P12ihipStream_tbENKUlT_T0_E_clISt17integral_constantIbLb0EES11_EEDaSW_SX_EUlSW_E_NS1_11comp_targetILNS1_3genE3ELNS1_11target_archE908ELNS1_3gpuE7ELNS1_3repE0EEENS1_30default_config_static_selectorELNS0_4arch9wavefront6targetE0EEEvT1_: ; @_ZN7rocprim17ROCPRIM_400000_NS6detail17trampoline_kernelINS0_14default_configENS1_27scan_by_key_config_selectorIijEEZZNS1_16scan_by_key_implILNS1_25lookback_scan_determinismE0ELb0ES3_N6thrust23THRUST_200600_302600_NS6detail15normal_iteratorINS9_10device_ptrIiEEEENSB_INSC_IjEEEESG_jNS9_4plusIvEENS9_8equal_toIvEEjEE10hipError_tPvRmT2_T3_T4_T5_mT6_T7_P12ihipStream_tbENKUlT_T0_E_clISt17integral_constantIbLb0EES11_EEDaSW_SX_EUlSW_E_NS1_11comp_targetILNS1_3genE3ELNS1_11target_archE908ELNS1_3gpuE7ELNS1_3repE0EEENS1_30default_config_static_selectorELNS0_4arch9wavefront6targetE0EEEvT1_
; %bb.0:
	.section	.rodata,"a",@progbits
	.p2align	6, 0x0
	.amdhsa_kernel _ZN7rocprim17ROCPRIM_400000_NS6detail17trampoline_kernelINS0_14default_configENS1_27scan_by_key_config_selectorIijEEZZNS1_16scan_by_key_implILNS1_25lookback_scan_determinismE0ELb0ES3_N6thrust23THRUST_200600_302600_NS6detail15normal_iteratorINS9_10device_ptrIiEEEENSB_INSC_IjEEEESG_jNS9_4plusIvEENS9_8equal_toIvEEjEE10hipError_tPvRmT2_T3_T4_T5_mT6_T7_P12ihipStream_tbENKUlT_T0_E_clISt17integral_constantIbLb0EES11_EEDaSW_SX_EUlSW_E_NS1_11comp_targetILNS1_3genE3ELNS1_11target_archE908ELNS1_3gpuE7ELNS1_3repE0EEENS1_30default_config_static_selectorELNS0_4arch9wavefront6targetE0EEEvT1_
		.amdhsa_group_segment_fixed_size 0
		.amdhsa_private_segment_fixed_size 0
		.amdhsa_kernarg_size 112
		.amdhsa_user_sgpr_count 2
		.amdhsa_user_sgpr_dispatch_ptr 0
		.amdhsa_user_sgpr_queue_ptr 0
		.amdhsa_user_sgpr_kernarg_segment_ptr 1
		.amdhsa_user_sgpr_dispatch_id 0
		.amdhsa_user_sgpr_kernarg_preload_length 0
		.amdhsa_user_sgpr_kernarg_preload_offset 0
		.amdhsa_user_sgpr_private_segment_size 0
		.amdhsa_wavefront_size32 1
		.amdhsa_uses_dynamic_stack 0
		.amdhsa_enable_private_segment 0
		.amdhsa_system_sgpr_workgroup_id_x 1
		.amdhsa_system_sgpr_workgroup_id_y 0
		.amdhsa_system_sgpr_workgroup_id_z 0
		.amdhsa_system_sgpr_workgroup_info 0
		.amdhsa_system_vgpr_workitem_id 0
		.amdhsa_next_free_vgpr 1
		.amdhsa_next_free_sgpr 1
		.amdhsa_named_barrier_count 0
		.amdhsa_reserve_vcc 0
		.amdhsa_float_round_mode_32 0
		.amdhsa_float_round_mode_16_64 0
		.amdhsa_float_denorm_mode_32 3
		.amdhsa_float_denorm_mode_16_64 3
		.amdhsa_fp16_overflow 0
		.amdhsa_memory_ordered 1
		.amdhsa_forward_progress 1
		.amdhsa_inst_pref_size 0
		.amdhsa_round_robin_scheduling 0
		.amdhsa_exception_fp_ieee_invalid_op 0
		.amdhsa_exception_fp_denorm_src 0
		.amdhsa_exception_fp_ieee_div_zero 0
		.amdhsa_exception_fp_ieee_overflow 0
		.amdhsa_exception_fp_ieee_underflow 0
		.amdhsa_exception_fp_ieee_inexact 0
		.amdhsa_exception_int_div_zero 0
	.end_amdhsa_kernel
	.section	.text._ZN7rocprim17ROCPRIM_400000_NS6detail17trampoline_kernelINS0_14default_configENS1_27scan_by_key_config_selectorIijEEZZNS1_16scan_by_key_implILNS1_25lookback_scan_determinismE0ELb0ES3_N6thrust23THRUST_200600_302600_NS6detail15normal_iteratorINS9_10device_ptrIiEEEENSB_INSC_IjEEEESG_jNS9_4plusIvEENS9_8equal_toIvEEjEE10hipError_tPvRmT2_T3_T4_T5_mT6_T7_P12ihipStream_tbENKUlT_T0_E_clISt17integral_constantIbLb0EES11_EEDaSW_SX_EUlSW_E_NS1_11comp_targetILNS1_3genE3ELNS1_11target_archE908ELNS1_3gpuE7ELNS1_3repE0EEENS1_30default_config_static_selectorELNS0_4arch9wavefront6targetE0EEEvT1_,"axG",@progbits,_ZN7rocprim17ROCPRIM_400000_NS6detail17trampoline_kernelINS0_14default_configENS1_27scan_by_key_config_selectorIijEEZZNS1_16scan_by_key_implILNS1_25lookback_scan_determinismE0ELb0ES3_N6thrust23THRUST_200600_302600_NS6detail15normal_iteratorINS9_10device_ptrIiEEEENSB_INSC_IjEEEESG_jNS9_4plusIvEENS9_8equal_toIvEEjEE10hipError_tPvRmT2_T3_T4_T5_mT6_T7_P12ihipStream_tbENKUlT_T0_E_clISt17integral_constantIbLb0EES11_EEDaSW_SX_EUlSW_E_NS1_11comp_targetILNS1_3genE3ELNS1_11target_archE908ELNS1_3gpuE7ELNS1_3repE0EEENS1_30default_config_static_selectorELNS0_4arch9wavefront6targetE0EEEvT1_,comdat
.Lfunc_end1225:
	.size	_ZN7rocprim17ROCPRIM_400000_NS6detail17trampoline_kernelINS0_14default_configENS1_27scan_by_key_config_selectorIijEEZZNS1_16scan_by_key_implILNS1_25lookback_scan_determinismE0ELb0ES3_N6thrust23THRUST_200600_302600_NS6detail15normal_iteratorINS9_10device_ptrIiEEEENSB_INSC_IjEEEESG_jNS9_4plusIvEENS9_8equal_toIvEEjEE10hipError_tPvRmT2_T3_T4_T5_mT6_T7_P12ihipStream_tbENKUlT_T0_E_clISt17integral_constantIbLb0EES11_EEDaSW_SX_EUlSW_E_NS1_11comp_targetILNS1_3genE3ELNS1_11target_archE908ELNS1_3gpuE7ELNS1_3repE0EEENS1_30default_config_static_selectorELNS0_4arch9wavefront6targetE0EEEvT1_, .Lfunc_end1225-_ZN7rocprim17ROCPRIM_400000_NS6detail17trampoline_kernelINS0_14default_configENS1_27scan_by_key_config_selectorIijEEZZNS1_16scan_by_key_implILNS1_25lookback_scan_determinismE0ELb0ES3_N6thrust23THRUST_200600_302600_NS6detail15normal_iteratorINS9_10device_ptrIiEEEENSB_INSC_IjEEEESG_jNS9_4plusIvEENS9_8equal_toIvEEjEE10hipError_tPvRmT2_T3_T4_T5_mT6_T7_P12ihipStream_tbENKUlT_T0_E_clISt17integral_constantIbLb0EES11_EEDaSW_SX_EUlSW_E_NS1_11comp_targetILNS1_3genE3ELNS1_11target_archE908ELNS1_3gpuE7ELNS1_3repE0EEENS1_30default_config_static_selectorELNS0_4arch9wavefront6targetE0EEEvT1_
                                        ; -- End function
	.set _ZN7rocprim17ROCPRIM_400000_NS6detail17trampoline_kernelINS0_14default_configENS1_27scan_by_key_config_selectorIijEEZZNS1_16scan_by_key_implILNS1_25lookback_scan_determinismE0ELb0ES3_N6thrust23THRUST_200600_302600_NS6detail15normal_iteratorINS9_10device_ptrIiEEEENSB_INSC_IjEEEESG_jNS9_4plusIvEENS9_8equal_toIvEEjEE10hipError_tPvRmT2_T3_T4_T5_mT6_T7_P12ihipStream_tbENKUlT_T0_E_clISt17integral_constantIbLb0EES11_EEDaSW_SX_EUlSW_E_NS1_11comp_targetILNS1_3genE3ELNS1_11target_archE908ELNS1_3gpuE7ELNS1_3repE0EEENS1_30default_config_static_selectorELNS0_4arch9wavefront6targetE0EEEvT1_.num_vgpr, 0
	.set _ZN7rocprim17ROCPRIM_400000_NS6detail17trampoline_kernelINS0_14default_configENS1_27scan_by_key_config_selectorIijEEZZNS1_16scan_by_key_implILNS1_25lookback_scan_determinismE0ELb0ES3_N6thrust23THRUST_200600_302600_NS6detail15normal_iteratorINS9_10device_ptrIiEEEENSB_INSC_IjEEEESG_jNS9_4plusIvEENS9_8equal_toIvEEjEE10hipError_tPvRmT2_T3_T4_T5_mT6_T7_P12ihipStream_tbENKUlT_T0_E_clISt17integral_constantIbLb0EES11_EEDaSW_SX_EUlSW_E_NS1_11comp_targetILNS1_3genE3ELNS1_11target_archE908ELNS1_3gpuE7ELNS1_3repE0EEENS1_30default_config_static_selectorELNS0_4arch9wavefront6targetE0EEEvT1_.num_agpr, 0
	.set _ZN7rocprim17ROCPRIM_400000_NS6detail17trampoline_kernelINS0_14default_configENS1_27scan_by_key_config_selectorIijEEZZNS1_16scan_by_key_implILNS1_25lookback_scan_determinismE0ELb0ES3_N6thrust23THRUST_200600_302600_NS6detail15normal_iteratorINS9_10device_ptrIiEEEENSB_INSC_IjEEEESG_jNS9_4plusIvEENS9_8equal_toIvEEjEE10hipError_tPvRmT2_T3_T4_T5_mT6_T7_P12ihipStream_tbENKUlT_T0_E_clISt17integral_constantIbLb0EES11_EEDaSW_SX_EUlSW_E_NS1_11comp_targetILNS1_3genE3ELNS1_11target_archE908ELNS1_3gpuE7ELNS1_3repE0EEENS1_30default_config_static_selectorELNS0_4arch9wavefront6targetE0EEEvT1_.numbered_sgpr, 0
	.set _ZN7rocprim17ROCPRIM_400000_NS6detail17trampoline_kernelINS0_14default_configENS1_27scan_by_key_config_selectorIijEEZZNS1_16scan_by_key_implILNS1_25lookback_scan_determinismE0ELb0ES3_N6thrust23THRUST_200600_302600_NS6detail15normal_iteratorINS9_10device_ptrIiEEEENSB_INSC_IjEEEESG_jNS9_4plusIvEENS9_8equal_toIvEEjEE10hipError_tPvRmT2_T3_T4_T5_mT6_T7_P12ihipStream_tbENKUlT_T0_E_clISt17integral_constantIbLb0EES11_EEDaSW_SX_EUlSW_E_NS1_11comp_targetILNS1_3genE3ELNS1_11target_archE908ELNS1_3gpuE7ELNS1_3repE0EEENS1_30default_config_static_selectorELNS0_4arch9wavefront6targetE0EEEvT1_.num_named_barrier, 0
	.set _ZN7rocprim17ROCPRIM_400000_NS6detail17trampoline_kernelINS0_14default_configENS1_27scan_by_key_config_selectorIijEEZZNS1_16scan_by_key_implILNS1_25lookback_scan_determinismE0ELb0ES3_N6thrust23THRUST_200600_302600_NS6detail15normal_iteratorINS9_10device_ptrIiEEEENSB_INSC_IjEEEESG_jNS9_4plusIvEENS9_8equal_toIvEEjEE10hipError_tPvRmT2_T3_T4_T5_mT6_T7_P12ihipStream_tbENKUlT_T0_E_clISt17integral_constantIbLb0EES11_EEDaSW_SX_EUlSW_E_NS1_11comp_targetILNS1_3genE3ELNS1_11target_archE908ELNS1_3gpuE7ELNS1_3repE0EEENS1_30default_config_static_selectorELNS0_4arch9wavefront6targetE0EEEvT1_.private_seg_size, 0
	.set _ZN7rocprim17ROCPRIM_400000_NS6detail17trampoline_kernelINS0_14default_configENS1_27scan_by_key_config_selectorIijEEZZNS1_16scan_by_key_implILNS1_25lookback_scan_determinismE0ELb0ES3_N6thrust23THRUST_200600_302600_NS6detail15normal_iteratorINS9_10device_ptrIiEEEENSB_INSC_IjEEEESG_jNS9_4plusIvEENS9_8equal_toIvEEjEE10hipError_tPvRmT2_T3_T4_T5_mT6_T7_P12ihipStream_tbENKUlT_T0_E_clISt17integral_constantIbLb0EES11_EEDaSW_SX_EUlSW_E_NS1_11comp_targetILNS1_3genE3ELNS1_11target_archE908ELNS1_3gpuE7ELNS1_3repE0EEENS1_30default_config_static_selectorELNS0_4arch9wavefront6targetE0EEEvT1_.uses_vcc, 0
	.set _ZN7rocprim17ROCPRIM_400000_NS6detail17trampoline_kernelINS0_14default_configENS1_27scan_by_key_config_selectorIijEEZZNS1_16scan_by_key_implILNS1_25lookback_scan_determinismE0ELb0ES3_N6thrust23THRUST_200600_302600_NS6detail15normal_iteratorINS9_10device_ptrIiEEEENSB_INSC_IjEEEESG_jNS9_4plusIvEENS9_8equal_toIvEEjEE10hipError_tPvRmT2_T3_T4_T5_mT6_T7_P12ihipStream_tbENKUlT_T0_E_clISt17integral_constantIbLb0EES11_EEDaSW_SX_EUlSW_E_NS1_11comp_targetILNS1_3genE3ELNS1_11target_archE908ELNS1_3gpuE7ELNS1_3repE0EEENS1_30default_config_static_selectorELNS0_4arch9wavefront6targetE0EEEvT1_.uses_flat_scratch, 0
	.set _ZN7rocprim17ROCPRIM_400000_NS6detail17trampoline_kernelINS0_14default_configENS1_27scan_by_key_config_selectorIijEEZZNS1_16scan_by_key_implILNS1_25lookback_scan_determinismE0ELb0ES3_N6thrust23THRUST_200600_302600_NS6detail15normal_iteratorINS9_10device_ptrIiEEEENSB_INSC_IjEEEESG_jNS9_4plusIvEENS9_8equal_toIvEEjEE10hipError_tPvRmT2_T3_T4_T5_mT6_T7_P12ihipStream_tbENKUlT_T0_E_clISt17integral_constantIbLb0EES11_EEDaSW_SX_EUlSW_E_NS1_11comp_targetILNS1_3genE3ELNS1_11target_archE908ELNS1_3gpuE7ELNS1_3repE0EEENS1_30default_config_static_selectorELNS0_4arch9wavefront6targetE0EEEvT1_.has_dyn_sized_stack, 0
	.set _ZN7rocprim17ROCPRIM_400000_NS6detail17trampoline_kernelINS0_14default_configENS1_27scan_by_key_config_selectorIijEEZZNS1_16scan_by_key_implILNS1_25lookback_scan_determinismE0ELb0ES3_N6thrust23THRUST_200600_302600_NS6detail15normal_iteratorINS9_10device_ptrIiEEEENSB_INSC_IjEEEESG_jNS9_4plusIvEENS9_8equal_toIvEEjEE10hipError_tPvRmT2_T3_T4_T5_mT6_T7_P12ihipStream_tbENKUlT_T0_E_clISt17integral_constantIbLb0EES11_EEDaSW_SX_EUlSW_E_NS1_11comp_targetILNS1_3genE3ELNS1_11target_archE908ELNS1_3gpuE7ELNS1_3repE0EEENS1_30default_config_static_selectorELNS0_4arch9wavefront6targetE0EEEvT1_.has_recursion, 0
	.set _ZN7rocprim17ROCPRIM_400000_NS6detail17trampoline_kernelINS0_14default_configENS1_27scan_by_key_config_selectorIijEEZZNS1_16scan_by_key_implILNS1_25lookback_scan_determinismE0ELb0ES3_N6thrust23THRUST_200600_302600_NS6detail15normal_iteratorINS9_10device_ptrIiEEEENSB_INSC_IjEEEESG_jNS9_4plusIvEENS9_8equal_toIvEEjEE10hipError_tPvRmT2_T3_T4_T5_mT6_T7_P12ihipStream_tbENKUlT_T0_E_clISt17integral_constantIbLb0EES11_EEDaSW_SX_EUlSW_E_NS1_11comp_targetILNS1_3genE3ELNS1_11target_archE908ELNS1_3gpuE7ELNS1_3repE0EEENS1_30default_config_static_selectorELNS0_4arch9wavefront6targetE0EEEvT1_.has_indirect_call, 0
	.section	.AMDGPU.csdata,"",@progbits
; Kernel info:
; codeLenInByte = 0
; TotalNumSgprs: 0
; NumVgprs: 0
; ScratchSize: 0
; MemoryBound: 0
; FloatMode: 240
; IeeeMode: 1
; LDSByteSize: 0 bytes/workgroup (compile time only)
; SGPRBlocks: 0
; VGPRBlocks: 0
; NumSGPRsForWavesPerEU: 1
; NumVGPRsForWavesPerEU: 1
; NamedBarCnt: 0
; Occupancy: 16
; WaveLimiterHint : 0
; COMPUTE_PGM_RSRC2:SCRATCH_EN: 0
; COMPUTE_PGM_RSRC2:USER_SGPR: 2
; COMPUTE_PGM_RSRC2:TRAP_HANDLER: 0
; COMPUTE_PGM_RSRC2:TGID_X_EN: 1
; COMPUTE_PGM_RSRC2:TGID_Y_EN: 0
; COMPUTE_PGM_RSRC2:TGID_Z_EN: 0
; COMPUTE_PGM_RSRC2:TIDIG_COMP_CNT: 0
	.section	.text._ZN7rocprim17ROCPRIM_400000_NS6detail17trampoline_kernelINS0_14default_configENS1_27scan_by_key_config_selectorIijEEZZNS1_16scan_by_key_implILNS1_25lookback_scan_determinismE0ELb0ES3_N6thrust23THRUST_200600_302600_NS6detail15normal_iteratorINS9_10device_ptrIiEEEENSB_INSC_IjEEEESG_jNS9_4plusIvEENS9_8equal_toIvEEjEE10hipError_tPvRmT2_T3_T4_T5_mT6_T7_P12ihipStream_tbENKUlT_T0_E_clISt17integral_constantIbLb0EES11_EEDaSW_SX_EUlSW_E_NS1_11comp_targetILNS1_3genE2ELNS1_11target_archE906ELNS1_3gpuE6ELNS1_3repE0EEENS1_30default_config_static_selectorELNS0_4arch9wavefront6targetE0EEEvT1_,"axG",@progbits,_ZN7rocprim17ROCPRIM_400000_NS6detail17trampoline_kernelINS0_14default_configENS1_27scan_by_key_config_selectorIijEEZZNS1_16scan_by_key_implILNS1_25lookback_scan_determinismE0ELb0ES3_N6thrust23THRUST_200600_302600_NS6detail15normal_iteratorINS9_10device_ptrIiEEEENSB_INSC_IjEEEESG_jNS9_4plusIvEENS9_8equal_toIvEEjEE10hipError_tPvRmT2_T3_T4_T5_mT6_T7_P12ihipStream_tbENKUlT_T0_E_clISt17integral_constantIbLb0EES11_EEDaSW_SX_EUlSW_E_NS1_11comp_targetILNS1_3genE2ELNS1_11target_archE906ELNS1_3gpuE6ELNS1_3repE0EEENS1_30default_config_static_selectorELNS0_4arch9wavefront6targetE0EEEvT1_,comdat
	.protected	_ZN7rocprim17ROCPRIM_400000_NS6detail17trampoline_kernelINS0_14default_configENS1_27scan_by_key_config_selectorIijEEZZNS1_16scan_by_key_implILNS1_25lookback_scan_determinismE0ELb0ES3_N6thrust23THRUST_200600_302600_NS6detail15normal_iteratorINS9_10device_ptrIiEEEENSB_INSC_IjEEEESG_jNS9_4plusIvEENS9_8equal_toIvEEjEE10hipError_tPvRmT2_T3_T4_T5_mT6_T7_P12ihipStream_tbENKUlT_T0_E_clISt17integral_constantIbLb0EES11_EEDaSW_SX_EUlSW_E_NS1_11comp_targetILNS1_3genE2ELNS1_11target_archE906ELNS1_3gpuE6ELNS1_3repE0EEENS1_30default_config_static_selectorELNS0_4arch9wavefront6targetE0EEEvT1_ ; -- Begin function _ZN7rocprim17ROCPRIM_400000_NS6detail17trampoline_kernelINS0_14default_configENS1_27scan_by_key_config_selectorIijEEZZNS1_16scan_by_key_implILNS1_25lookback_scan_determinismE0ELb0ES3_N6thrust23THRUST_200600_302600_NS6detail15normal_iteratorINS9_10device_ptrIiEEEENSB_INSC_IjEEEESG_jNS9_4plusIvEENS9_8equal_toIvEEjEE10hipError_tPvRmT2_T3_T4_T5_mT6_T7_P12ihipStream_tbENKUlT_T0_E_clISt17integral_constantIbLb0EES11_EEDaSW_SX_EUlSW_E_NS1_11comp_targetILNS1_3genE2ELNS1_11target_archE906ELNS1_3gpuE6ELNS1_3repE0EEENS1_30default_config_static_selectorELNS0_4arch9wavefront6targetE0EEEvT1_
	.globl	_ZN7rocprim17ROCPRIM_400000_NS6detail17trampoline_kernelINS0_14default_configENS1_27scan_by_key_config_selectorIijEEZZNS1_16scan_by_key_implILNS1_25lookback_scan_determinismE0ELb0ES3_N6thrust23THRUST_200600_302600_NS6detail15normal_iteratorINS9_10device_ptrIiEEEENSB_INSC_IjEEEESG_jNS9_4plusIvEENS9_8equal_toIvEEjEE10hipError_tPvRmT2_T3_T4_T5_mT6_T7_P12ihipStream_tbENKUlT_T0_E_clISt17integral_constantIbLb0EES11_EEDaSW_SX_EUlSW_E_NS1_11comp_targetILNS1_3genE2ELNS1_11target_archE906ELNS1_3gpuE6ELNS1_3repE0EEENS1_30default_config_static_selectorELNS0_4arch9wavefront6targetE0EEEvT1_
	.p2align	8
	.type	_ZN7rocprim17ROCPRIM_400000_NS6detail17trampoline_kernelINS0_14default_configENS1_27scan_by_key_config_selectorIijEEZZNS1_16scan_by_key_implILNS1_25lookback_scan_determinismE0ELb0ES3_N6thrust23THRUST_200600_302600_NS6detail15normal_iteratorINS9_10device_ptrIiEEEENSB_INSC_IjEEEESG_jNS9_4plusIvEENS9_8equal_toIvEEjEE10hipError_tPvRmT2_T3_T4_T5_mT6_T7_P12ihipStream_tbENKUlT_T0_E_clISt17integral_constantIbLb0EES11_EEDaSW_SX_EUlSW_E_NS1_11comp_targetILNS1_3genE2ELNS1_11target_archE906ELNS1_3gpuE6ELNS1_3repE0EEENS1_30default_config_static_selectorELNS0_4arch9wavefront6targetE0EEEvT1_,@function
_ZN7rocprim17ROCPRIM_400000_NS6detail17trampoline_kernelINS0_14default_configENS1_27scan_by_key_config_selectorIijEEZZNS1_16scan_by_key_implILNS1_25lookback_scan_determinismE0ELb0ES3_N6thrust23THRUST_200600_302600_NS6detail15normal_iteratorINS9_10device_ptrIiEEEENSB_INSC_IjEEEESG_jNS9_4plusIvEENS9_8equal_toIvEEjEE10hipError_tPvRmT2_T3_T4_T5_mT6_T7_P12ihipStream_tbENKUlT_T0_E_clISt17integral_constantIbLb0EES11_EEDaSW_SX_EUlSW_E_NS1_11comp_targetILNS1_3genE2ELNS1_11target_archE906ELNS1_3gpuE6ELNS1_3repE0EEENS1_30default_config_static_selectorELNS0_4arch9wavefront6targetE0EEEvT1_: ; @_ZN7rocprim17ROCPRIM_400000_NS6detail17trampoline_kernelINS0_14default_configENS1_27scan_by_key_config_selectorIijEEZZNS1_16scan_by_key_implILNS1_25lookback_scan_determinismE0ELb0ES3_N6thrust23THRUST_200600_302600_NS6detail15normal_iteratorINS9_10device_ptrIiEEEENSB_INSC_IjEEEESG_jNS9_4plusIvEENS9_8equal_toIvEEjEE10hipError_tPvRmT2_T3_T4_T5_mT6_T7_P12ihipStream_tbENKUlT_T0_E_clISt17integral_constantIbLb0EES11_EEDaSW_SX_EUlSW_E_NS1_11comp_targetILNS1_3genE2ELNS1_11target_archE906ELNS1_3gpuE6ELNS1_3repE0EEENS1_30default_config_static_selectorELNS0_4arch9wavefront6targetE0EEEvT1_
; %bb.0:
	.section	.rodata,"a",@progbits
	.p2align	6, 0x0
	.amdhsa_kernel _ZN7rocprim17ROCPRIM_400000_NS6detail17trampoline_kernelINS0_14default_configENS1_27scan_by_key_config_selectorIijEEZZNS1_16scan_by_key_implILNS1_25lookback_scan_determinismE0ELb0ES3_N6thrust23THRUST_200600_302600_NS6detail15normal_iteratorINS9_10device_ptrIiEEEENSB_INSC_IjEEEESG_jNS9_4plusIvEENS9_8equal_toIvEEjEE10hipError_tPvRmT2_T3_T4_T5_mT6_T7_P12ihipStream_tbENKUlT_T0_E_clISt17integral_constantIbLb0EES11_EEDaSW_SX_EUlSW_E_NS1_11comp_targetILNS1_3genE2ELNS1_11target_archE906ELNS1_3gpuE6ELNS1_3repE0EEENS1_30default_config_static_selectorELNS0_4arch9wavefront6targetE0EEEvT1_
		.amdhsa_group_segment_fixed_size 0
		.amdhsa_private_segment_fixed_size 0
		.amdhsa_kernarg_size 112
		.amdhsa_user_sgpr_count 2
		.amdhsa_user_sgpr_dispatch_ptr 0
		.amdhsa_user_sgpr_queue_ptr 0
		.amdhsa_user_sgpr_kernarg_segment_ptr 1
		.amdhsa_user_sgpr_dispatch_id 0
		.amdhsa_user_sgpr_kernarg_preload_length 0
		.amdhsa_user_sgpr_kernarg_preload_offset 0
		.amdhsa_user_sgpr_private_segment_size 0
		.amdhsa_wavefront_size32 1
		.amdhsa_uses_dynamic_stack 0
		.amdhsa_enable_private_segment 0
		.amdhsa_system_sgpr_workgroup_id_x 1
		.amdhsa_system_sgpr_workgroup_id_y 0
		.amdhsa_system_sgpr_workgroup_id_z 0
		.amdhsa_system_sgpr_workgroup_info 0
		.amdhsa_system_vgpr_workitem_id 0
		.amdhsa_next_free_vgpr 1
		.amdhsa_next_free_sgpr 1
		.amdhsa_named_barrier_count 0
		.amdhsa_reserve_vcc 0
		.amdhsa_float_round_mode_32 0
		.amdhsa_float_round_mode_16_64 0
		.amdhsa_float_denorm_mode_32 3
		.amdhsa_float_denorm_mode_16_64 3
		.amdhsa_fp16_overflow 0
		.amdhsa_memory_ordered 1
		.amdhsa_forward_progress 1
		.amdhsa_inst_pref_size 0
		.amdhsa_round_robin_scheduling 0
		.amdhsa_exception_fp_ieee_invalid_op 0
		.amdhsa_exception_fp_denorm_src 0
		.amdhsa_exception_fp_ieee_div_zero 0
		.amdhsa_exception_fp_ieee_overflow 0
		.amdhsa_exception_fp_ieee_underflow 0
		.amdhsa_exception_fp_ieee_inexact 0
		.amdhsa_exception_int_div_zero 0
	.end_amdhsa_kernel
	.section	.text._ZN7rocprim17ROCPRIM_400000_NS6detail17trampoline_kernelINS0_14default_configENS1_27scan_by_key_config_selectorIijEEZZNS1_16scan_by_key_implILNS1_25lookback_scan_determinismE0ELb0ES3_N6thrust23THRUST_200600_302600_NS6detail15normal_iteratorINS9_10device_ptrIiEEEENSB_INSC_IjEEEESG_jNS9_4plusIvEENS9_8equal_toIvEEjEE10hipError_tPvRmT2_T3_T4_T5_mT6_T7_P12ihipStream_tbENKUlT_T0_E_clISt17integral_constantIbLb0EES11_EEDaSW_SX_EUlSW_E_NS1_11comp_targetILNS1_3genE2ELNS1_11target_archE906ELNS1_3gpuE6ELNS1_3repE0EEENS1_30default_config_static_selectorELNS0_4arch9wavefront6targetE0EEEvT1_,"axG",@progbits,_ZN7rocprim17ROCPRIM_400000_NS6detail17trampoline_kernelINS0_14default_configENS1_27scan_by_key_config_selectorIijEEZZNS1_16scan_by_key_implILNS1_25lookback_scan_determinismE0ELb0ES3_N6thrust23THRUST_200600_302600_NS6detail15normal_iteratorINS9_10device_ptrIiEEEENSB_INSC_IjEEEESG_jNS9_4plusIvEENS9_8equal_toIvEEjEE10hipError_tPvRmT2_T3_T4_T5_mT6_T7_P12ihipStream_tbENKUlT_T0_E_clISt17integral_constantIbLb0EES11_EEDaSW_SX_EUlSW_E_NS1_11comp_targetILNS1_3genE2ELNS1_11target_archE906ELNS1_3gpuE6ELNS1_3repE0EEENS1_30default_config_static_selectorELNS0_4arch9wavefront6targetE0EEEvT1_,comdat
.Lfunc_end1226:
	.size	_ZN7rocprim17ROCPRIM_400000_NS6detail17trampoline_kernelINS0_14default_configENS1_27scan_by_key_config_selectorIijEEZZNS1_16scan_by_key_implILNS1_25lookback_scan_determinismE0ELb0ES3_N6thrust23THRUST_200600_302600_NS6detail15normal_iteratorINS9_10device_ptrIiEEEENSB_INSC_IjEEEESG_jNS9_4plusIvEENS9_8equal_toIvEEjEE10hipError_tPvRmT2_T3_T4_T5_mT6_T7_P12ihipStream_tbENKUlT_T0_E_clISt17integral_constantIbLb0EES11_EEDaSW_SX_EUlSW_E_NS1_11comp_targetILNS1_3genE2ELNS1_11target_archE906ELNS1_3gpuE6ELNS1_3repE0EEENS1_30default_config_static_selectorELNS0_4arch9wavefront6targetE0EEEvT1_, .Lfunc_end1226-_ZN7rocprim17ROCPRIM_400000_NS6detail17trampoline_kernelINS0_14default_configENS1_27scan_by_key_config_selectorIijEEZZNS1_16scan_by_key_implILNS1_25lookback_scan_determinismE0ELb0ES3_N6thrust23THRUST_200600_302600_NS6detail15normal_iteratorINS9_10device_ptrIiEEEENSB_INSC_IjEEEESG_jNS9_4plusIvEENS9_8equal_toIvEEjEE10hipError_tPvRmT2_T3_T4_T5_mT6_T7_P12ihipStream_tbENKUlT_T0_E_clISt17integral_constantIbLb0EES11_EEDaSW_SX_EUlSW_E_NS1_11comp_targetILNS1_3genE2ELNS1_11target_archE906ELNS1_3gpuE6ELNS1_3repE0EEENS1_30default_config_static_selectorELNS0_4arch9wavefront6targetE0EEEvT1_
                                        ; -- End function
	.set _ZN7rocprim17ROCPRIM_400000_NS6detail17trampoline_kernelINS0_14default_configENS1_27scan_by_key_config_selectorIijEEZZNS1_16scan_by_key_implILNS1_25lookback_scan_determinismE0ELb0ES3_N6thrust23THRUST_200600_302600_NS6detail15normal_iteratorINS9_10device_ptrIiEEEENSB_INSC_IjEEEESG_jNS9_4plusIvEENS9_8equal_toIvEEjEE10hipError_tPvRmT2_T3_T4_T5_mT6_T7_P12ihipStream_tbENKUlT_T0_E_clISt17integral_constantIbLb0EES11_EEDaSW_SX_EUlSW_E_NS1_11comp_targetILNS1_3genE2ELNS1_11target_archE906ELNS1_3gpuE6ELNS1_3repE0EEENS1_30default_config_static_selectorELNS0_4arch9wavefront6targetE0EEEvT1_.num_vgpr, 0
	.set _ZN7rocprim17ROCPRIM_400000_NS6detail17trampoline_kernelINS0_14default_configENS1_27scan_by_key_config_selectorIijEEZZNS1_16scan_by_key_implILNS1_25lookback_scan_determinismE0ELb0ES3_N6thrust23THRUST_200600_302600_NS6detail15normal_iteratorINS9_10device_ptrIiEEEENSB_INSC_IjEEEESG_jNS9_4plusIvEENS9_8equal_toIvEEjEE10hipError_tPvRmT2_T3_T4_T5_mT6_T7_P12ihipStream_tbENKUlT_T0_E_clISt17integral_constantIbLb0EES11_EEDaSW_SX_EUlSW_E_NS1_11comp_targetILNS1_3genE2ELNS1_11target_archE906ELNS1_3gpuE6ELNS1_3repE0EEENS1_30default_config_static_selectorELNS0_4arch9wavefront6targetE0EEEvT1_.num_agpr, 0
	.set _ZN7rocprim17ROCPRIM_400000_NS6detail17trampoline_kernelINS0_14default_configENS1_27scan_by_key_config_selectorIijEEZZNS1_16scan_by_key_implILNS1_25lookback_scan_determinismE0ELb0ES3_N6thrust23THRUST_200600_302600_NS6detail15normal_iteratorINS9_10device_ptrIiEEEENSB_INSC_IjEEEESG_jNS9_4plusIvEENS9_8equal_toIvEEjEE10hipError_tPvRmT2_T3_T4_T5_mT6_T7_P12ihipStream_tbENKUlT_T0_E_clISt17integral_constantIbLb0EES11_EEDaSW_SX_EUlSW_E_NS1_11comp_targetILNS1_3genE2ELNS1_11target_archE906ELNS1_3gpuE6ELNS1_3repE0EEENS1_30default_config_static_selectorELNS0_4arch9wavefront6targetE0EEEvT1_.numbered_sgpr, 0
	.set _ZN7rocprim17ROCPRIM_400000_NS6detail17trampoline_kernelINS0_14default_configENS1_27scan_by_key_config_selectorIijEEZZNS1_16scan_by_key_implILNS1_25lookback_scan_determinismE0ELb0ES3_N6thrust23THRUST_200600_302600_NS6detail15normal_iteratorINS9_10device_ptrIiEEEENSB_INSC_IjEEEESG_jNS9_4plusIvEENS9_8equal_toIvEEjEE10hipError_tPvRmT2_T3_T4_T5_mT6_T7_P12ihipStream_tbENKUlT_T0_E_clISt17integral_constantIbLb0EES11_EEDaSW_SX_EUlSW_E_NS1_11comp_targetILNS1_3genE2ELNS1_11target_archE906ELNS1_3gpuE6ELNS1_3repE0EEENS1_30default_config_static_selectorELNS0_4arch9wavefront6targetE0EEEvT1_.num_named_barrier, 0
	.set _ZN7rocprim17ROCPRIM_400000_NS6detail17trampoline_kernelINS0_14default_configENS1_27scan_by_key_config_selectorIijEEZZNS1_16scan_by_key_implILNS1_25lookback_scan_determinismE0ELb0ES3_N6thrust23THRUST_200600_302600_NS6detail15normal_iteratorINS9_10device_ptrIiEEEENSB_INSC_IjEEEESG_jNS9_4plusIvEENS9_8equal_toIvEEjEE10hipError_tPvRmT2_T3_T4_T5_mT6_T7_P12ihipStream_tbENKUlT_T0_E_clISt17integral_constantIbLb0EES11_EEDaSW_SX_EUlSW_E_NS1_11comp_targetILNS1_3genE2ELNS1_11target_archE906ELNS1_3gpuE6ELNS1_3repE0EEENS1_30default_config_static_selectorELNS0_4arch9wavefront6targetE0EEEvT1_.private_seg_size, 0
	.set _ZN7rocprim17ROCPRIM_400000_NS6detail17trampoline_kernelINS0_14default_configENS1_27scan_by_key_config_selectorIijEEZZNS1_16scan_by_key_implILNS1_25lookback_scan_determinismE0ELb0ES3_N6thrust23THRUST_200600_302600_NS6detail15normal_iteratorINS9_10device_ptrIiEEEENSB_INSC_IjEEEESG_jNS9_4plusIvEENS9_8equal_toIvEEjEE10hipError_tPvRmT2_T3_T4_T5_mT6_T7_P12ihipStream_tbENKUlT_T0_E_clISt17integral_constantIbLb0EES11_EEDaSW_SX_EUlSW_E_NS1_11comp_targetILNS1_3genE2ELNS1_11target_archE906ELNS1_3gpuE6ELNS1_3repE0EEENS1_30default_config_static_selectorELNS0_4arch9wavefront6targetE0EEEvT1_.uses_vcc, 0
	.set _ZN7rocprim17ROCPRIM_400000_NS6detail17trampoline_kernelINS0_14default_configENS1_27scan_by_key_config_selectorIijEEZZNS1_16scan_by_key_implILNS1_25lookback_scan_determinismE0ELb0ES3_N6thrust23THRUST_200600_302600_NS6detail15normal_iteratorINS9_10device_ptrIiEEEENSB_INSC_IjEEEESG_jNS9_4plusIvEENS9_8equal_toIvEEjEE10hipError_tPvRmT2_T3_T4_T5_mT6_T7_P12ihipStream_tbENKUlT_T0_E_clISt17integral_constantIbLb0EES11_EEDaSW_SX_EUlSW_E_NS1_11comp_targetILNS1_3genE2ELNS1_11target_archE906ELNS1_3gpuE6ELNS1_3repE0EEENS1_30default_config_static_selectorELNS0_4arch9wavefront6targetE0EEEvT1_.uses_flat_scratch, 0
	.set _ZN7rocprim17ROCPRIM_400000_NS6detail17trampoline_kernelINS0_14default_configENS1_27scan_by_key_config_selectorIijEEZZNS1_16scan_by_key_implILNS1_25lookback_scan_determinismE0ELb0ES3_N6thrust23THRUST_200600_302600_NS6detail15normal_iteratorINS9_10device_ptrIiEEEENSB_INSC_IjEEEESG_jNS9_4plusIvEENS9_8equal_toIvEEjEE10hipError_tPvRmT2_T3_T4_T5_mT6_T7_P12ihipStream_tbENKUlT_T0_E_clISt17integral_constantIbLb0EES11_EEDaSW_SX_EUlSW_E_NS1_11comp_targetILNS1_3genE2ELNS1_11target_archE906ELNS1_3gpuE6ELNS1_3repE0EEENS1_30default_config_static_selectorELNS0_4arch9wavefront6targetE0EEEvT1_.has_dyn_sized_stack, 0
	.set _ZN7rocprim17ROCPRIM_400000_NS6detail17trampoline_kernelINS0_14default_configENS1_27scan_by_key_config_selectorIijEEZZNS1_16scan_by_key_implILNS1_25lookback_scan_determinismE0ELb0ES3_N6thrust23THRUST_200600_302600_NS6detail15normal_iteratorINS9_10device_ptrIiEEEENSB_INSC_IjEEEESG_jNS9_4plusIvEENS9_8equal_toIvEEjEE10hipError_tPvRmT2_T3_T4_T5_mT6_T7_P12ihipStream_tbENKUlT_T0_E_clISt17integral_constantIbLb0EES11_EEDaSW_SX_EUlSW_E_NS1_11comp_targetILNS1_3genE2ELNS1_11target_archE906ELNS1_3gpuE6ELNS1_3repE0EEENS1_30default_config_static_selectorELNS0_4arch9wavefront6targetE0EEEvT1_.has_recursion, 0
	.set _ZN7rocprim17ROCPRIM_400000_NS6detail17trampoline_kernelINS0_14default_configENS1_27scan_by_key_config_selectorIijEEZZNS1_16scan_by_key_implILNS1_25lookback_scan_determinismE0ELb0ES3_N6thrust23THRUST_200600_302600_NS6detail15normal_iteratorINS9_10device_ptrIiEEEENSB_INSC_IjEEEESG_jNS9_4plusIvEENS9_8equal_toIvEEjEE10hipError_tPvRmT2_T3_T4_T5_mT6_T7_P12ihipStream_tbENKUlT_T0_E_clISt17integral_constantIbLb0EES11_EEDaSW_SX_EUlSW_E_NS1_11comp_targetILNS1_3genE2ELNS1_11target_archE906ELNS1_3gpuE6ELNS1_3repE0EEENS1_30default_config_static_selectorELNS0_4arch9wavefront6targetE0EEEvT1_.has_indirect_call, 0
	.section	.AMDGPU.csdata,"",@progbits
; Kernel info:
; codeLenInByte = 0
; TotalNumSgprs: 0
; NumVgprs: 0
; ScratchSize: 0
; MemoryBound: 0
; FloatMode: 240
; IeeeMode: 1
; LDSByteSize: 0 bytes/workgroup (compile time only)
; SGPRBlocks: 0
; VGPRBlocks: 0
; NumSGPRsForWavesPerEU: 1
; NumVGPRsForWavesPerEU: 1
; NamedBarCnt: 0
; Occupancy: 16
; WaveLimiterHint : 0
; COMPUTE_PGM_RSRC2:SCRATCH_EN: 0
; COMPUTE_PGM_RSRC2:USER_SGPR: 2
; COMPUTE_PGM_RSRC2:TRAP_HANDLER: 0
; COMPUTE_PGM_RSRC2:TGID_X_EN: 1
; COMPUTE_PGM_RSRC2:TGID_Y_EN: 0
; COMPUTE_PGM_RSRC2:TGID_Z_EN: 0
; COMPUTE_PGM_RSRC2:TIDIG_COMP_CNT: 0
	.section	.text._ZN7rocprim17ROCPRIM_400000_NS6detail17trampoline_kernelINS0_14default_configENS1_27scan_by_key_config_selectorIijEEZZNS1_16scan_by_key_implILNS1_25lookback_scan_determinismE0ELb0ES3_N6thrust23THRUST_200600_302600_NS6detail15normal_iteratorINS9_10device_ptrIiEEEENSB_INSC_IjEEEESG_jNS9_4plusIvEENS9_8equal_toIvEEjEE10hipError_tPvRmT2_T3_T4_T5_mT6_T7_P12ihipStream_tbENKUlT_T0_E_clISt17integral_constantIbLb0EES11_EEDaSW_SX_EUlSW_E_NS1_11comp_targetILNS1_3genE10ELNS1_11target_archE1200ELNS1_3gpuE4ELNS1_3repE0EEENS1_30default_config_static_selectorELNS0_4arch9wavefront6targetE0EEEvT1_,"axG",@progbits,_ZN7rocprim17ROCPRIM_400000_NS6detail17trampoline_kernelINS0_14default_configENS1_27scan_by_key_config_selectorIijEEZZNS1_16scan_by_key_implILNS1_25lookback_scan_determinismE0ELb0ES3_N6thrust23THRUST_200600_302600_NS6detail15normal_iteratorINS9_10device_ptrIiEEEENSB_INSC_IjEEEESG_jNS9_4plusIvEENS9_8equal_toIvEEjEE10hipError_tPvRmT2_T3_T4_T5_mT6_T7_P12ihipStream_tbENKUlT_T0_E_clISt17integral_constantIbLb0EES11_EEDaSW_SX_EUlSW_E_NS1_11comp_targetILNS1_3genE10ELNS1_11target_archE1200ELNS1_3gpuE4ELNS1_3repE0EEENS1_30default_config_static_selectorELNS0_4arch9wavefront6targetE0EEEvT1_,comdat
	.protected	_ZN7rocprim17ROCPRIM_400000_NS6detail17trampoline_kernelINS0_14default_configENS1_27scan_by_key_config_selectorIijEEZZNS1_16scan_by_key_implILNS1_25lookback_scan_determinismE0ELb0ES3_N6thrust23THRUST_200600_302600_NS6detail15normal_iteratorINS9_10device_ptrIiEEEENSB_INSC_IjEEEESG_jNS9_4plusIvEENS9_8equal_toIvEEjEE10hipError_tPvRmT2_T3_T4_T5_mT6_T7_P12ihipStream_tbENKUlT_T0_E_clISt17integral_constantIbLb0EES11_EEDaSW_SX_EUlSW_E_NS1_11comp_targetILNS1_3genE10ELNS1_11target_archE1200ELNS1_3gpuE4ELNS1_3repE0EEENS1_30default_config_static_selectorELNS0_4arch9wavefront6targetE0EEEvT1_ ; -- Begin function _ZN7rocprim17ROCPRIM_400000_NS6detail17trampoline_kernelINS0_14default_configENS1_27scan_by_key_config_selectorIijEEZZNS1_16scan_by_key_implILNS1_25lookback_scan_determinismE0ELb0ES3_N6thrust23THRUST_200600_302600_NS6detail15normal_iteratorINS9_10device_ptrIiEEEENSB_INSC_IjEEEESG_jNS9_4plusIvEENS9_8equal_toIvEEjEE10hipError_tPvRmT2_T3_T4_T5_mT6_T7_P12ihipStream_tbENKUlT_T0_E_clISt17integral_constantIbLb0EES11_EEDaSW_SX_EUlSW_E_NS1_11comp_targetILNS1_3genE10ELNS1_11target_archE1200ELNS1_3gpuE4ELNS1_3repE0EEENS1_30default_config_static_selectorELNS0_4arch9wavefront6targetE0EEEvT1_
	.globl	_ZN7rocprim17ROCPRIM_400000_NS6detail17trampoline_kernelINS0_14default_configENS1_27scan_by_key_config_selectorIijEEZZNS1_16scan_by_key_implILNS1_25lookback_scan_determinismE0ELb0ES3_N6thrust23THRUST_200600_302600_NS6detail15normal_iteratorINS9_10device_ptrIiEEEENSB_INSC_IjEEEESG_jNS9_4plusIvEENS9_8equal_toIvEEjEE10hipError_tPvRmT2_T3_T4_T5_mT6_T7_P12ihipStream_tbENKUlT_T0_E_clISt17integral_constantIbLb0EES11_EEDaSW_SX_EUlSW_E_NS1_11comp_targetILNS1_3genE10ELNS1_11target_archE1200ELNS1_3gpuE4ELNS1_3repE0EEENS1_30default_config_static_selectorELNS0_4arch9wavefront6targetE0EEEvT1_
	.p2align	8
	.type	_ZN7rocprim17ROCPRIM_400000_NS6detail17trampoline_kernelINS0_14default_configENS1_27scan_by_key_config_selectorIijEEZZNS1_16scan_by_key_implILNS1_25lookback_scan_determinismE0ELb0ES3_N6thrust23THRUST_200600_302600_NS6detail15normal_iteratorINS9_10device_ptrIiEEEENSB_INSC_IjEEEESG_jNS9_4plusIvEENS9_8equal_toIvEEjEE10hipError_tPvRmT2_T3_T4_T5_mT6_T7_P12ihipStream_tbENKUlT_T0_E_clISt17integral_constantIbLb0EES11_EEDaSW_SX_EUlSW_E_NS1_11comp_targetILNS1_3genE10ELNS1_11target_archE1200ELNS1_3gpuE4ELNS1_3repE0EEENS1_30default_config_static_selectorELNS0_4arch9wavefront6targetE0EEEvT1_,@function
_ZN7rocprim17ROCPRIM_400000_NS6detail17trampoline_kernelINS0_14default_configENS1_27scan_by_key_config_selectorIijEEZZNS1_16scan_by_key_implILNS1_25lookback_scan_determinismE0ELb0ES3_N6thrust23THRUST_200600_302600_NS6detail15normal_iteratorINS9_10device_ptrIiEEEENSB_INSC_IjEEEESG_jNS9_4plusIvEENS9_8equal_toIvEEjEE10hipError_tPvRmT2_T3_T4_T5_mT6_T7_P12ihipStream_tbENKUlT_T0_E_clISt17integral_constantIbLb0EES11_EEDaSW_SX_EUlSW_E_NS1_11comp_targetILNS1_3genE10ELNS1_11target_archE1200ELNS1_3gpuE4ELNS1_3repE0EEENS1_30default_config_static_selectorELNS0_4arch9wavefront6targetE0EEEvT1_: ; @_ZN7rocprim17ROCPRIM_400000_NS6detail17trampoline_kernelINS0_14default_configENS1_27scan_by_key_config_selectorIijEEZZNS1_16scan_by_key_implILNS1_25lookback_scan_determinismE0ELb0ES3_N6thrust23THRUST_200600_302600_NS6detail15normal_iteratorINS9_10device_ptrIiEEEENSB_INSC_IjEEEESG_jNS9_4plusIvEENS9_8equal_toIvEEjEE10hipError_tPvRmT2_T3_T4_T5_mT6_T7_P12ihipStream_tbENKUlT_T0_E_clISt17integral_constantIbLb0EES11_EEDaSW_SX_EUlSW_E_NS1_11comp_targetILNS1_3genE10ELNS1_11target_archE1200ELNS1_3gpuE4ELNS1_3repE0EEENS1_30default_config_static_selectorELNS0_4arch9wavefront6targetE0EEEvT1_
; %bb.0:
	.section	.rodata,"a",@progbits
	.p2align	6, 0x0
	.amdhsa_kernel _ZN7rocprim17ROCPRIM_400000_NS6detail17trampoline_kernelINS0_14default_configENS1_27scan_by_key_config_selectorIijEEZZNS1_16scan_by_key_implILNS1_25lookback_scan_determinismE0ELb0ES3_N6thrust23THRUST_200600_302600_NS6detail15normal_iteratorINS9_10device_ptrIiEEEENSB_INSC_IjEEEESG_jNS9_4plusIvEENS9_8equal_toIvEEjEE10hipError_tPvRmT2_T3_T4_T5_mT6_T7_P12ihipStream_tbENKUlT_T0_E_clISt17integral_constantIbLb0EES11_EEDaSW_SX_EUlSW_E_NS1_11comp_targetILNS1_3genE10ELNS1_11target_archE1200ELNS1_3gpuE4ELNS1_3repE0EEENS1_30default_config_static_selectorELNS0_4arch9wavefront6targetE0EEEvT1_
		.amdhsa_group_segment_fixed_size 0
		.amdhsa_private_segment_fixed_size 0
		.amdhsa_kernarg_size 112
		.amdhsa_user_sgpr_count 2
		.amdhsa_user_sgpr_dispatch_ptr 0
		.amdhsa_user_sgpr_queue_ptr 0
		.amdhsa_user_sgpr_kernarg_segment_ptr 1
		.amdhsa_user_sgpr_dispatch_id 0
		.amdhsa_user_sgpr_kernarg_preload_length 0
		.amdhsa_user_sgpr_kernarg_preload_offset 0
		.amdhsa_user_sgpr_private_segment_size 0
		.amdhsa_wavefront_size32 1
		.amdhsa_uses_dynamic_stack 0
		.amdhsa_enable_private_segment 0
		.amdhsa_system_sgpr_workgroup_id_x 1
		.amdhsa_system_sgpr_workgroup_id_y 0
		.amdhsa_system_sgpr_workgroup_id_z 0
		.amdhsa_system_sgpr_workgroup_info 0
		.amdhsa_system_vgpr_workitem_id 0
		.amdhsa_next_free_vgpr 1
		.amdhsa_next_free_sgpr 1
		.amdhsa_named_barrier_count 0
		.amdhsa_reserve_vcc 0
		.amdhsa_float_round_mode_32 0
		.amdhsa_float_round_mode_16_64 0
		.amdhsa_float_denorm_mode_32 3
		.amdhsa_float_denorm_mode_16_64 3
		.amdhsa_fp16_overflow 0
		.amdhsa_memory_ordered 1
		.amdhsa_forward_progress 1
		.amdhsa_inst_pref_size 0
		.amdhsa_round_robin_scheduling 0
		.amdhsa_exception_fp_ieee_invalid_op 0
		.amdhsa_exception_fp_denorm_src 0
		.amdhsa_exception_fp_ieee_div_zero 0
		.amdhsa_exception_fp_ieee_overflow 0
		.amdhsa_exception_fp_ieee_underflow 0
		.amdhsa_exception_fp_ieee_inexact 0
		.amdhsa_exception_int_div_zero 0
	.end_amdhsa_kernel
	.section	.text._ZN7rocprim17ROCPRIM_400000_NS6detail17trampoline_kernelINS0_14default_configENS1_27scan_by_key_config_selectorIijEEZZNS1_16scan_by_key_implILNS1_25lookback_scan_determinismE0ELb0ES3_N6thrust23THRUST_200600_302600_NS6detail15normal_iteratorINS9_10device_ptrIiEEEENSB_INSC_IjEEEESG_jNS9_4plusIvEENS9_8equal_toIvEEjEE10hipError_tPvRmT2_T3_T4_T5_mT6_T7_P12ihipStream_tbENKUlT_T0_E_clISt17integral_constantIbLb0EES11_EEDaSW_SX_EUlSW_E_NS1_11comp_targetILNS1_3genE10ELNS1_11target_archE1200ELNS1_3gpuE4ELNS1_3repE0EEENS1_30default_config_static_selectorELNS0_4arch9wavefront6targetE0EEEvT1_,"axG",@progbits,_ZN7rocprim17ROCPRIM_400000_NS6detail17trampoline_kernelINS0_14default_configENS1_27scan_by_key_config_selectorIijEEZZNS1_16scan_by_key_implILNS1_25lookback_scan_determinismE0ELb0ES3_N6thrust23THRUST_200600_302600_NS6detail15normal_iteratorINS9_10device_ptrIiEEEENSB_INSC_IjEEEESG_jNS9_4plusIvEENS9_8equal_toIvEEjEE10hipError_tPvRmT2_T3_T4_T5_mT6_T7_P12ihipStream_tbENKUlT_T0_E_clISt17integral_constantIbLb0EES11_EEDaSW_SX_EUlSW_E_NS1_11comp_targetILNS1_3genE10ELNS1_11target_archE1200ELNS1_3gpuE4ELNS1_3repE0EEENS1_30default_config_static_selectorELNS0_4arch9wavefront6targetE0EEEvT1_,comdat
.Lfunc_end1227:
	.size	_ZN7rocprim17ROCPRIM_400000_NS6detail17trampoline_kernelINS0_14default_configENS1_27scan_by_key_config_selectorIijEEZZNS1_16scan_by_key_implILNS1_25lookback_scan_determinismE0ELb0ES3_N6thrust23THRUST_200600_302600_NS6detail15normal_iteratorINS9_10device_ptrIiEEEENSB_INSC_IjEEEESG_jNS9_4plusIvEENS9_8equal_toIvEEjEE10hipError_tPvRmT2_T3_T4_T5_mT6_T7_P12ihipStream_tbENKUlT_T0_E_clISt17integral_constantIbLb0EES11_EEDaSW_SX_EUlSW_E_NS1_11comp_targetILNS1_3genE10ELNS1_11target_archE1200ELNS1_3gpuE4ELNS1_3repE0EEENS1_30default_config_static_selectorELNS0_4arch9wavefront6targetE0EEEvT1_, .Lfunc_end1227-_ZN7rocprim17ROCPRIM_400000_NS6detail17trampoline_kernelINS0_14default_configENS1_27scan_by_key_config_selectorIijEEZZNS1_16scan_by_key_implILNS1_25lookback_scan_determinismE0ELb0ES3_N6thrust23THRUST_200600_302600_NS6detail15normal_iteratorINS9_10device_ptrIiEEEENSB_INSC_IjEEEESG_jNS9_4plusIvEENS9_8equal_toIvEEjEE10hipError_tPvRmT2_T3_T4_T5_mT6_T7_P12ihipStream_tbENKUlT_T0_E_clISt17integral_constantIbLb0EES11_EEDaSW_SX_EUlSW_E_NS1_11comp_targetILNS1_3genE10ELNS1_11target_archE1200ELNS1_3gpuE4ELNS1_3repE0EEENS1_30default_config_static_selectorELNS0_4arch9wavefront6targetE0EEEvT1_
                                        ; -- End function
	.set _ZN7rocprim17ROCPRIM_400000_NS6detail17trampoline_kernelINS0_14default_configENS1_27scan_by_key_config_selectorIijEEZZNS1_16scan_by_key_implILNS1_25lookback_scan_determinismE0ELb0ES3_N6thrust23THRUST_200600_302600_NS6detail15normal_iteratorINS9_10device_ptrIiEEEENSB_INSC_IjEEEESG_jNS9_4plusIvEENS9_8equal_toIvEEjEE10hipError_tPvRmT2_T3_T4_T5_mT6_T7_P12ihipStream_tbENKUlT_T0_E_clISt17integral_constantIbLb0EES11_EEDaSW_SX_EUlSW_E_NS1_11comp_targetILNS1_3genE10ELNS1_11target_archE1200ELNS1_3gpuE4ELNS1_3repE0EEENS1_30default_config_static_selectorELNS0_4arch9wavefront6targetE0EEEvT1_.num_vgpr, 0
	.set _ZN7rocprim17ROCPRIM_400000_NS6detail17trampoline_kernelINS0_14default_configENS1_27scan_by_key_config_selectorIijEEZZNS1_16scan_by_key_implILNS1_25lookback_scan_determinismE0ELb0ES3_N6thrust23THRUST_200600_302600_NS6detail15normal_iteratorINS9_10device_ptrIiEEEENSB_INSC_IjEEEESG_jNS9_4plusIvEENS9_8equal_toIvEEjEE10hipError_tPvRmT2_T3_T4_T5_mT6_T7_P12ihipStream_tbENKUlT_T0_E_clISt17integral_constantIbLb0EES11_EEDaSW_SX_EUlSW_E_NS1_11comp_targetILNS1_3genE10ELNS1_11target_archE1200ELNS1_3gpuE4ELNS1_3repE0EEENS1_30default_config_static_selectorELNS0_4arch9wavefront6targetE0EEEvT1_.num_agpr, 0
	.set _ZN7rocprim17ROCPRIM_400000_NS6detail17trampoline_kernelINS0_14default_configENS1_27scan_by_key_config_selectorIijEEZZNS1_16scan_by_key_implILNS1_25lookback_scan_determinismE0ELb0ES3_N6thrust23THRUST_200600_302600_NS6detail15normal_iteratorINS9_10device_ptrIiEEEENSB_INSC_IjEEEESG_jNS9_4plusIvEENS9_8equal_toIvEEjEE10hipError_tPvRmT2_T3_T4_T5_mT6_T7_P12ihipStream_tbENKUlT_T0_E_clISt17integral_constantIbLb0EES11_EEDaSW_SX_EUlSW_E_NS1_11comp_targetILNS1_3genE10ELNS1_11target_archE1200ELNS1_3gpuE4ELNS1_3repE0EEENS1_30default_config_static_selectorELNS0_4arch9wavefront6targetE0EEEvT1_.numbered_sgpr, 0
	.set _ZN7rocprim17ROCPRIM_400000_NS6detail17trampoline_kernelINS0_14default_configENS1_27scan_by_key_config_selectorIijEEZZNS1_16scan_by_key_implILNS1_25lookback_scan_determinismE0ELb0ES3_N6thrust23THRUST_200600_302600_NS6detail15normal_iteratorINS9_10device_ptrIiEEEENSB_INSC_IjEEEESG_jNS9_4plusIvEENS9_8equal_toIvEEjEE10hipError_tPvRmT2_T3_T4_T5_mT6_T7_P12ihipStream_tbENKUlT_T0_E_clISt17integral_constantIbLb0EES11_EEDaSW_SX_EUlSW_E_NS1_11comp_targetILNS1_3genE10ELNS1_11target_archE1200ELNS1_3gpuE4ELNS1_3repE0EEENS1_30default_config_static_selectorELNS0_4arch9wavefront6targetE0EEEvT1_.num_named_barrier, 0
	.set _ZN7rocprim17ROCPRIM_400000_NS6detail17trampoline_kernelINS0_14default_configENS1_27scan_by_key_config_selectorIijEEZZNS1_16scan_by_key_implILNS1_25lookback_scan_determinismE0ELb0ES3_N6thrust23THRUST_200600_302600_NS6detail15normal_iteratorINS9_10device_ptrIiEEEENSB_INSC_IjEEEESG_jNS9_4plusIvEENS9_8equal_toIvEEjEE10hipError_tPvRmT2_T3_T4_T5_mT6_T7_P12ihipStream_tbENKUlT_T0_E_clISt17integral_constantIbLb0EES11_EEDaSW_SX_EUlSW_E_NS1_11comp_targetILNS1_3genE10ELNS1_11target_archE1200ELNS1_3gpuE4ELNS1_3repE0EEENS1_30default_config_static_selectorELNS0_4arch9wavefront6targetE0EEEvT1_.private_seg_size, 0
	.set _ZN7rocprim17ROCPRIM_400000_NS6detail17trampoline_kernelINS0_14default_configENS1_27scan_by_key_config_selectorIijEEZZNS1_16scan_by_key_implILNS1_25lookback_scan_determinismE0ELb0ES3_N6thrust23THRUST_200600_302600_NS6detail15normal_iteratorINS9_10device_ptrIiEEEENSB_INSC_IjEEEESG_jNS9_4plusIvEENS9_8equal_toIvEEjEE10hipError_tPvRmT2_T3_T4_T5_mT6_T7_P12ihipStream_tbENKUlT_T0_E_clISt17integral_constantIbLb0EES11_EEDaSW_SX_EUlSW_E_NS1_11comp_targetILNS1_3genE10ELNS1_11target_archE1200ELNS1_3gpuE4ELNS1_3repE0EEENS1_30default_config_static_selectorELNS0_4arch9wavefront6targetE0EEEvT1_.uses_vcc, 0
	.set _ZN7rocprim17ROCPRIM_400000_NS6detail17trampoline_kernelINS0_14default_configENS1_27scan_by_key_config_selectorIijEEZZNS1_16scan_by_key_implILNS1_25lookback_scan_determinismE0ELb0ES3_N6thrust23THRUST_200600_302600_NS6detail15normal_iteratorINS9_10device_ptrIiEEEENSB_INSC_IjEEEESG_jNS9_4plusIvEENS9_8equal_toIvEEjEE10hipError_tPvRmT2_T3_T4_T5_mT6_T7_P12ihipStream_tbENKUlT_T0_E_clISt17integral_constantIbLb0EES11_EEDaSW_SX_EUlSW_E_NS1_11comp_targetILNS1_3genE10ELNS1_11target_archE1200ELNS1_3gpuE4ELNS1_3repE0EEENS1_30default_config_static_selectorELNS0_4arch9wavefront6targetE0EEEvT1_.uses_flat_scratch, 0
	.set _ZN7rocprim17ROCPRIM_400000_NS6detail17trampoline_kernelINS0_14default_configENS1_27scan_by_key_config_selectorIijEEZZNS1_16scan_by_key_implILNS1_25lookback_scan_determinismE0ELb0ES3_N6thrust23THRUST_200600_302600_NS6detail15normal_iteratorINS9_10device_ptrIiEEEENSB_INSC_IjEEEESG_jNS9_4plusIvEENS9_8equal_toIvEEjEE10hipError_tPvRmT2_T3_T4_T5_mT6_T7_P12ihipStream_tbENKUlT_T0_E_clISt17integral_constantIbLb0EES11_EEDaSW_SX_EUlSW_E_NS1_11comp_targetILNS1_3genE10ELNS1_11target_archE1200ELNS1_3gpuE4ELNS1_3repE0EEENS1_30default_config_static_selectorELNS0_4arch9wavefront6targetE0EEEvT1_.has_dyn_sized_stack, 0
	.set _ZN7rocprim17ROCPRIM_400000_NS6detail17trampoline_kernelINS0_14default_configENS1_27scan_by_key_config_selectorIijEEZZNS1_16scan_by_key_implILNS1_25lookback_scan_determinismE0ELb0ES3_N6thrust23THRUST_200600_302600_NS6detail15normal_iteratorINS9_10device_ptrIiEEEENSB_INSC_IjEEEESG_jNS9_4plusIvEENS9_8equal_toIvEEjEE10hipError_tPvRmT2_T3_T4_T5_mT6_T7_P12ihipStream_tbENKUlT_T0_E_clISt17integral_constantIbLb0EES11_EEDaSW_SX_EUlSW_E_NS1_11comp_targetILNS1_3genE10ELNS1_11target_archE1200ELNS1_3gpuE4ELNS1_3repE0EEENS1_30default_config_static_selectorELNS0_4arch9wavefront6targetE0EEEvT1_.has_recursion, 0
	.set _ZN7rocprim17ROCPRIM_400000_NS6detail17trampoline_kernelINS0_14default_configENS1_27scan_by_key_config_selectorIijEEZZNS1_16scan_by_key_implILNS1_25lookback_scan_determinismE0ELb0ES3_N6thrust23THRUST_200600_302600_NS6detail15normal_iteratorINS9_10device_ptrIiEEEENSB_INSC_IjEEEESG_jNS9_4plusIvEENS9_8equal_toIvEEjEE10hipError_tPvRmT2_T3_T4_T5_mT6_T7_P12ihipStream_tbENKUlT_T0_E_clISt17integral_constantIbLb0EES11_EEDaSW_SX_EUlSW_E_NS1_11comp_targetILNS1_3genE10ELNS1_11target_archE1200ELNS1_3gpuE4ELNS1_3repE0EEENS1_30default_config_static_selectorELNS0_4arch9wavefront6targetE0EEEvT1_.has_indirect_call, 0
	.section	.AMDGPU.csdata,"",@progbits
; Kernel info:
; codeLenInByte = 0
; TotalNumSgprs: 0
; NumVgprs: 0
; ScratchSize: 0
; MemoryBound: 0
; FloatMode: 240
; IeeeMode: 1
; LDSByteSize: 0 bytes/workgroup (compile time only)
; SGPRBlocks: 0
; VGPRBlocks: 0
; NumSGPRsForWavesPerEU: 1
; NumVGPRsForWavesPerEU: 1
; NamedBarCnt: 0
; Occupancy: 16
; WaveLimiterHint : 0
; COMPUTE_PGM_RSRC2:SCRATCH_EN: 0
; COMPUTE_PGM_RSRC2:USER_SGPR: 2
; COMPUTE_PGM_RSRC2:TRAP_HANDLER: 0
; COMPUTE_PGM_RSRC2:TGID_X_EN: 1
; COMPUTE_PGM_RSRC2:TGID_Y_EN: 0
; COMPUTE_PGM_RSRC2:TGID_Z_EN: 0
; COMPUTE_PGM_RSRC2:TIDIG_COMP_CNT: 0
	.section	.text._ZN7rocprim17ROCPRIM_400000_NS6detail17trampoline_kernelINS0_14default_configENS1_27scan_by_key_config_selectorIijEEZZNS1_16scan_by_key_implILNS1_25lookback_scan_determinismE0ELb0ES3_N6thrust23THRUST_200600_302600_NS6detail15normal_iteratorINS9_10device_ptrIiEEEENSB_INSC_IjEEEESG_jNS9_4plusIvEENS9_8equal_toIvEEjEE10hipError_tPvRmT2_T3_T4_T5_mT6_T7_P12ihipStream_tbENKUlT_T0_E_clISt17integral_constantIbLb0EES11_EEDaSW_SX_EUlSW_E_NS1_11comp_targetILNS1_3genE9ELNS1_11target_archE1100ELNS1_3gpuE3ELNS1_3repE0EEENS1_30default_config_static_selectorELNS0_4arch9wavefront6targetE0EEEvT1_,"axG",@progbits,_ZN7rocprim17ROCPRIM_400000_NS6detail17trampoline_kernelINS0_14default_configENS1_27scan_by_key_config_selectorIijEEZZNS1_16scan_by_key_implILNS1_25lookback_scan_determinismE0ELb0ES3_N6thrust23THRUST_200600_302600_NS6detail15normal_iteratorINS9_10device_ptrIiEEEENSB_INSC_IjEEEESG_jNS9_4plusIvEENS9_8equal_toIvEEjEE10hipError_tPvRmT2_T3_T4_T5_mT6_T7_P12ihipStream_tbENKUlT_T0_E_clISt17integral_constantIbLb0EES11_EEDaSW_SX_EUlSW_E_NS1_11comp_targetILNS1_3genE9ELNS1_11target_archE1100ELNS1_3gpuE3ELNS1_3repE0EEENS1_30default_config_static_selectorELNS0_4arch9wavefront6targetE0EEEvT1_,comdat
	.protected	_ZN7rocprim17ROCPRIM_400000_NS6detail17trampoline_kernelINS0_14default_configENS1_27scan_by_key_config_selectorIijEEZZNS1_16scan_by_key_implILNS1_25lookback_scan_determinismE0ELb0ES3_N6thrust23THRUST_200600_302600_NS6detail15normal_iteratorINS9_10device_ptrIiEEEENSB_INSC_IjEEEESG_jNS9_4plusIvEENS9_8equal_toIvEEjEE10hipError_tPvRmT2_T3_T4_T5_mT6_T7_P12ihipStream_tbENKUlT_T0_E_clISt17integral_constantIbLb0EES11_EEDaSW_SX_EUlSW_E_NS1_11comp_targetILNS1_3genE9ELNS1_11target_archE1100ELNS1_3gpuE3ELNS1_3repE0EEENS1_30default_config_static_selectorELNS0_4arch9wavefront6targetE0EEEvT1_ ; -- Begin function _ZN7rocprim17ROCPRIM_400000_NS6detail17trampoline_kernelINS0_14default_configENS1_27scan_by_key_config_selectorIijEEZZNS1_16scan_by_key_implILNS1_25lookback_scan_determinismE0ELb0ES3_N6thrust23THRUST_200600_302600_NS6detail15normal_iteratorINS9_10device_ptrIiEEEENSB_INSC_IjEEEESG_jNS9_4plusIvEENS9_8equal_toIvEEjEE10hipError_tPvRmT2_T3_T4_T5_mT6_T7_P12ihipStream_tbENKUlT_T0_E_clISt17integral_constantIbLb0EES11_EEDaSW_SX_EUlSW_E_NS1_11comp_targetILNS1_3genE9ELNS1_11target_archE1100ELNS1_3gpuE3ELNS1_3repE0EEENS1_30default_config_static_selectorELNS0_4arch9wavefront6targetE0EEEvT1_
	.globl	_ZN7rocprim17ROCPRIM_400000_NS6detail17trampoline_kernelINS0_14default_configENS1_27scan_by_key_config_selectorIijEEZZNS1_16scan_by_key_implILNS1_25lookback_scan_determinismE0ELb0ES3_N6thrust23THRUST_200600_302600_NS6detail15normal_iteratorINS9_10device_ptrIiEEEENSB_INSC_IjEEEESG_jNS9_4plusIvEENS9_8equal_toIvEEjEE10hipError_tPvRmT2_T3_T4_T5_mT6_T7_P12ihipStream_tbENKUlT_T0_E_clISt17integral_constantIbLb0EES11_EEDaSW_SX_EUlSW_E_NS1_11comp_targetILNS1_3genE9ELNS1_11target_archE1100ELNS1_3gpuE3ELNS1_3repE0EEENS1_30default_config_static_selectorELNS0_4arch9wavefront6targetE0EEEvT1_
	.p2align	8
	.type	_ZN7rocprim17ROCPRIM_400000_NS6detail17trampoline_kernelINS0_14default_configENS1_27scan_by_key_config_selectorIijEEZZNS1_16scan_by_key_implILNS1_25lookback_scan_determinismE0ELb0ES3_N6thrust23THRUST_200600_302600_NS6detail15normal_iteratorINS9_10device_ptrIiEEEENSB_INSC_IjEEEESG_jNS9_4plusIvEENS9_8equal_toIvEEjEE10hipError_tPvRmT2_T3_T4_T5_mT6_T7_P12ihipStream_tbENKUlT_T0_E_clISt17integral_constantIbLb0EES11_EEDaSW_SX_EUlSW_E_NS1_11comp_targetILNS1_3genE9ELNS1_11target_archE1100ELNS1_3gpuE3ELNS1_3repE0EEENS1_30default_config_static_selectorELNS0_4arch9wavefront6targetE0EEEvT1_,@function
_ZN7rocprim17ROCPRIM_400000_NS6detail17trampoline_kernelINS0_14default_configENS1_27scan_by_key_config_selectorIijEEZZNS1_16scan_by_key_implILNS1_25lookback_scan_determinismE0ELb0ES3_N6thrust23THRUST_200600_302600_NS6detail15normal_iteratorINS9_10device_ptrIiEEEENSB_INSC_IjEEEESG_jNS9_4plusIvEENS9_8equal_toIvEEjEE10hipError_tPvRmT2_T3_T4_T5_mT6_T7_P12ihipStream_tbENKUlT_T0_E_clISt17integral_constantIbLb0EES11_EEDaSW_SX_EUlSW_E_NS1_11comp_targetILNS1_3genE9ELNS1_11target_archE1100ELNS1_3gpuE3ELNS1_3repE0EEENS1_30default_config_static_selectorELNS0_4arch9wavefront6targetE0EEEvT1_: ; @_ZN7rocprim17ROCPRIM_400000_NS6detail17trampoline_kernelINS0_14default_configENS1_27scan_by_key_config_selectorIijEEZZNS1_16scan_by_key_implILNS1_25lookback_scan_determinismE0ELb0ES3_N6thrust23THRUST_200600_302600_NS6detail15normal_iteratorINS9_10device_ptrIiEEEENSB_INSC_IjEEEESG_jNS9_4plusIvEENS9_8equal_toIvEEjEE10hipError_tPvRmT2_T3_T4_T5_mT6_T7_P12ihipStream_tbENKUlT_T0_E_clISt17integral_constantIbLb0EES11_EEDaSW_SX_EUlSW_E_NS1_11comp_targetILNS1_3genE9ELNS1_11target_archE1100ELNS1_3gpuE3ELNS1_3repE0EEENS1_30default_config_static_selectorELNS0_4arch9wavefront6targetE0EEEvT1_
; %bb.0:
	.section	.rodata,"a",@progbits
	.p2align	6, 0x0
	.amdhsa_kernel _ZN7rocprim17ROCPRIM_400000_NS6detail17trampoline_kernelINS0_14default_configENS1_27scan_by_key_config_selectorIijEEZZNS1_16scan_by_key_implILNS1_25lookback_scan_determinismE0ELb0ES3_N6thrust23THRUST_200600_302600_NS6detail15normal_iteratorINS9_10device_ptrIiEEEENSB_INSC_IjEEEESG_jNS9_4plusIvEENS9_8equal_toIvEEjEE10hipError_tPvRmT2_T3_T4_T5_mT6_T7_P12ihipStream_tbENKUlT_T0_E_clISt17integral_constantIbLb0EES11_EEDaSW_SX_EUlSW_E_NS1_11comp_targetILNS1_3genE9ELNS1_11target_archE1100ELNS1_3gpuE3ELNS1_3repE0EEENS1_30default_config_static_selectorELNS0_4arch9wavefront6targetE0EEEvT1_
		.amdhsa_group_segment_fixed_size 0
		.amdhsa_private_segment_fixed_size 0
		.amdhsa_kernarg_size 112
		.amdhsa_user_sgpr_count 2
		.amdhsa_user_sgpr_dispatch_ptr 0
		.amdhsa_user_sgpr_queue_ptr 0
		.amdhsa_user_sgpr_kernarg_segment_ptr 1
		.amdhsa_user_sgpr_dispatch_id 0
		.amdhsa_user_sgpr_kernarg_preload_length 0
		.amdhsa_user_sgpr_kernarg_preload_offset 0
		.amdhsa_user_sgpr_private_segment_size 0
		.amdhsa_wavefront_size32 1
		.amdhsa_uses_dynamic_stack 0
		.amdhsa_enable_private_segment 0
		.amdhsa_system_sgpr_workgroup_id_x 1
		.amdhsa_system_sgpr_workgroup_id_y 0
		.amdhsa_system_sgpr_workgroup_id_z 0
		.amdhsa_system_sgpr_workgroup_info 0
		.amdhsa_system_vgpr_workitem_id 0
		.amdhsa_next_free_vgpr 1
		.amdhsa_next_free_sgpr 1
		.amdhsa_named_barrier_count 0
		.amdhsa_reserve_vcc 0
		.amdhsa_float_round_mode_32 0
		.amdhsa_float_round_mode_16_64 0
		.amdhsa_float_denorm_mode_32 3
		.amdhsa_float_denorm_mode_16_64 3
		.amdhsa_fp16_overflow 0
		.amdhsa_memory_ordered 1
		.amdhsa_forward_progress 1
		.amdhsa_inst_pref_size 0
		.amdhsa_round_robin_scheduling 0
		.amdhsa_exception_fp_ieee_invalid_op 0
		.amdhsa_exception_fp_denorm_src 0
		.amdhsa_exception_fp_ieee_div_zero 0
		.amdhsa_exception_fp_ieee_overflow 0
		.amdhsa_exception_fp_ieee_underflow 0
		.amdhsa_exception_fp_ieee_inexact 0
		.amdhsa_exception_int_div_zero 0
	.end_amdhsa_kernel
	.section	.text._ZN7rocprim17ROCPRIM_400000_NS6detail17trampoline_kernelINS0_14default_configENS1_27scan_by_key_config_selectorIijEEZZNS1_16scan_by_key_implILNS1_25lookback_scan_determinismE0ELb0ES3_N6thrust23THRUST_200600_302600_NS6detail15normal_iteratorINS9_10device_ptrIiEEEENSB_INSC_IjEEEESG_jNS9_4plusIvEENS9_8equal_toIvEEjEE10hipError_tPvRmT2_T3_T4_T5_mT6_T7_P12ihipStream_tbENKUlT_T0_E_clISt17integral_constantIbLb0EES11_EEDaSW_SX_EUlSW_E_NS1_11comp_targetILNS1_3genE9ELNS1_11target_archE1100ELNS1_3gpuE3ELNS1_3repE0EEENS1_30default_config_static_selectorELNS0_4arch9wavefront6targetE0EEEvT1_,"axG",@progbits,_ZN7rocprim17ROCPRIM_400000_NS6detail17trampoline_kernelINS0_14default_configENS1_27scan_by_key_config_selectorIijEEZZNS1_16scan_by_key_implILNS1_25lookback_scan_determinismE0ELb0ES3_N6thrust23THRUST_200600_302600_NS6detail15normal_iteratorINS9_10device_ptrIiEEEENSB_INSC_IjEEEESG_jNS9_4plusIvEENS9_8equal_toIvEEjEE10hipError_tPvRmT2_T3_T4_T5_mT6_T7_P12ihipStream_tbENKUlT_T0_E_clISt17integral_constantIbLb0EES11_EEDaSW_SX_EUlSW_E_NS1_11comp_targetILNS1_3genE9ELNS1_11target_archE1100ELNS1_3gpuE3ELNS1_3repE0EEENS1_30default_config_static_selectorELNS0_4arch9wavefront6targetE0EEEvT1_,comdat
.Lfunc_end1228:
	.size	_ZN7rocprim17ROCPRIM_400000_NS6detail17trampoline_kernelINS0_14default_configENS1_27scan_by_key_config_selectorIijEEZZNS1_16scan_by_key_implILNS1_25lookback_scan_determinismE0ELb0ES3_N6thrust23THRUST_200600_302600_NS6detail15normal_iteratorINS9_10device_ptrIiEEEENSB_INSC_IjEEEESG_jNS9_4plusIvEENS9_8equal_toIvEEjEE10hipError_tPvRmT2_T3_T4_T5_mT6_T7_P12ihipStream_tbENKUlT_T0_E_clISt17integral_constantIbLb0EES11_EEDaSW_SX_EUlSW_E_NS1_11comp_targetILNS1_3genE9ELNS1_11target_archE1100ELNS1_3gpuE3ELNS1_3repE0EEENS1_30default_config_static_selectorELNS0_4arch9wavefront6targetE0EEEvT1_, .Lfunc_end1228-_ZN7rocprim17ROCPRIM_400000_NS6detail17trampoline_kernelINS0_14default_configENS1_27scan_by_key_config_selectorIijEEZZNS1_16scan_by_key_implILNS1_25lookback_scan_determinismE0ELb0ES3_N6thrust23THRUST_200600_302600_NS6detail15normal_iteratorINS9_10device_ptrIiEEEENSB_INSC_IjEEEESG_jNS9_4plusIvEENS9_8equal_toIvEEjEE10hipError_tPvRmT2_T3_T4_T5_mT6_T7_P12ihipStream_tbENKUlT_T0_E_clISt17integral_constantIbLb0EES11_EEDaSW_SX_EUlSW_E_NS1_11comp_targetILNS1_3genE9ELNS1_11target_archE1100ELNS1_3gpuE3ELNS1_3repE0EEENS1_30default_config_static_selectorELNS0_4arch9wavefront6targetE0EEEvT1_
                                        ; -- End function
	.set _ZN7rocprim17ROCPRIM_400000_NS6detail17trampoline_kernelINS0_14default_configENS1_27scan_by_key_config_selectorIijEEZZNS1_16scan_by_key_implILNS1_25lookback_scan_determinismE0ELb0ES3_N6thrust23THRUST_200600_302600_NS6detail15normal_iteratorINS9_10device_ptrIiEEEENSB_INSC_IjEEEESG_jNS9_4plusIvEENS9_8equal_toIvEEjEE10hipError_tPvRmT2_T3_T4_T5_mT6_T7_P12ihipStream_tbENKUlT_T0_E_clISt17integral_constantIbLb0EES11_EEDaSW_SX_EUlSW_E_NS1_11comp_targetILNS1_3genE9ELNS1_11target_archE1100ELNS1_3gpuE3ELNS1_3repE0EEENS1_30default_config_static_selectorELNS0_4arch9wavefront6targetE0EEEvT1_.num_vgpr, 0
	.set _ZN7rocprim17ROCPRIM_400000_NS6detail17trampoline_kernelINS0_14default_configENS1_27scan_by_key_config_selectorIijEEZZNS1_16scan_by_key_implILNS1_25lookback_scan_determinismE0ELb0ES3_N6thrust23THRUST_200600_302600_NS6detail15normal_iteratorINS9_10device_ptrIiEEEENSB_INSC_IjEEEESG_jNS9_4plusIvEENS9_8equal_toIvEEjEE10hipError_tPvRmT2_T3_T4_T5_mT6_T7_P12ihipStream_tbENKUlT_T0_E_clISt17integral_constantIbLb0EES11_EEDaSW_SX_EUlSW_E_NS1_11comp_targetILNS1_3genE9ELNS1_11target_archE1100ELNS1_3gpuE3ELNS1_3repE0EEENS1_30default_config_static_selectorELNS0_4arch9wavefront6targetE0EEEvT1_.num_agpr, 0
	.set _ZN7rocprim17ROCPRIM_400000_NS6detail17trampoline_kernelINS0_14default_configENS1_27scan_by_key_config_selectorIijEEZZNS1_16scan_by_key_implILNS1_25lookback_scan_determinismE0ELb0ES3_N6thrust23THRUST_200600_302600_NS6detail15normal_iteratorINS9_10device_ptrIiEEEENSB_INSC_IjEEEESG_jNS9_4plusIvEENS9_8equal_toIvEEjEE10hipError_tPvRmT2_T3_T4_T5_mT6_T7_P12ihipStream_tbENKUlT_T0_E_clISt17integral_constantIbLb0EES11_EEDaSW_SX_EUlSW_E_NS1_11comp_targetILNS1_3genE9ELNS1_11target_archE1100ELNS1_3gpuE3ELNS1_3repE0EEENS1_30default_config_static_selectorELNS0_4arch9wavefront6targetE0EEEvT1_.numbered_sgpr, 0
	.set _ZN7rocprim17ROCPRIM_400000_NS6detail17trampoline_kernelINS0_14default_configENS1_27scan_by_key_config_selectorIijEEZZNS1_16scan_by_key_implILNS1_25lookback_scan_determinismE0ELb0ES3_N6thrust23THRUST_200600_302600_NS6detail15normal_iteratorINS9_10device_ptrIiEEEENSB_INSC_IjEEEESG_jNS9_4plusIvEENS9_8equal_toIvEEjEE10hipError_tPvRmT2_T3_T4_T5_mT6_T7_P12ihipStream_tbENKUlT_T0_E_clISt17integral_constantIbLb0EES11_EEDaSW_SX_EUlSW_E_NS1_11comp_targetILNS1_3genE9ELNS1_11target_archE1100ELNS1_3gpuE3ELNS1_3repE0EEENS1_30default_config_static_selectorELNS0_4arch9wavefront6targetE0EEEvT1_.num_named_barrier, 0
	.set _ZN7rocprim17ROCPRIM_400000_NS6detail17trampoline_kernelINS0_14default_configENS1_27scan_by_key_config_selectorIijEEZZNS1_16scan_by_key_implILNS1_25lookback_scan_determinismE0ELb0ES3_N6thrust23THRUST_200600_302600_NS6detail15normal_iteratorINS9_10device_ptrIiEEEENSB_INSC_IjEEEESG_jNS9_4plusIvEENS9_8equal_toIvEEjEE10hipError_tPvRmT2_T3_T4_T5_mT6_T7_P12ihipStream_tbENKUlT_T0_E_clISt17integral_constantIbLb0EES11_EEDaSW_SX_EUlSW_E_NS1_11comp_targetILNS1_3genE9ELNS1_11target_archE1100ELNS1_3gpuE3ELNS1_3repE0EEENS1_30default_config_static_selectorELNS0_4arch9wavefront6targetE0EEEvT1_.private_seg_size, 0
	.set _ZN7rocprim17ROCPRIM_400000_NS6detail17trampoline_kernelINS0_14default_configENS1_27scan_by_key_config_selectorIijEEZZNS1_16scan_by_key_implILNS1_25lookback_scan_determinismE0ELb0ES3_N6thrust23THRUST_200600_302600_NS6detail15normal_iteratorINS9_10device_ptrIiEEEENSB_INSC_IjEEEESG_jNS9_4plusIvEENS9_8equal_toIvEEjEE10hipError_tPvRmT2_T3_T4_T5_mT6_T7_P12ihipStream_tbENKUlT_T0_E_clISt17integral_constantIbLb0EES11_EEDaSW_SX_EUlSW_E_NS1_11comp_targetILNS1_3genE9ELNS1_11target_archE1100ELNS1_3gpuE3ELNS1_3repE0EEENS1_30default_config_static_selectorELNS0_4arch9wavefront6targetE0EEEvT1_.uses_vcc, 0
	.set _ZN7rocprim17ROCPRIM_400000_NS6detail17trampoline_kernelINS0_14default_configENS1_27scan_by_key_config_selectorIijEEZZNS1_16scan_by_key_implILNS1_25lookback_scan_determinismE0ELb0ES3_N6thrust23THRUST_200600_302600_NS6detail15normal_iteratorINS9_10device_ptrIiEEEENSB_INSC_IjEEEESG_jNS9_4plusIvEENS9_8equal_toIvEEjEE10hipError_tPvRmT2_T3_T4_T5_mT6_T7_P12ihipStream_tbENKUlT_T0_E_clISt17integral_constantIbLb0EES11_EEDaSW_SX_EUlSW_E_NS1_11comp_targetILNS1_3genE9ELNS1_11target_archE1100ELNS1_3gpuE3ELNS1_3repE0EEENS1_30default_config_static_selectorELNS0_4arch9wavefront6targetE0EEEvT1_.uses_flat_scratch, 0
	.set _ZN7rocprim17ROCPRIM_400000_NS6detail17trampoline_kernelINS0_14default_configENS1_27scan_by_key_config_selectorIijEEZZNS1_16scan_by_key_implILNS1_25lookback_scan_determinismE0ELb0ES3_N6thrust23THRUST_200600_302600_NS6detail15normal_iteratorINS9_10device_ptrIiEEEENSB_INSC_IjEEEESG_jNS9_4plusIvEENS9_8equal_toIvEEjEE10hipError_tPvRmT2_T3_T4_T5_mT6_T7_P12ihipStream_tbENKUlT_T0_E_clISt17integral_constantIbLb0EES11_EEDaSW_SX_EUlSW_E_NS1_11comp_targetILNS1_3genE9ELNS1_11target_archE1100ELNS1_3gpuE3ELNS1_3repE0EEENS1_30default_config_static_selectorELNS0_4arch9wavefront6targetE0EEEvT1_.has_dyn_sized_stack, 0
	.set _ZN7rocprim17ROCPRIM_400000_NS6detail17trampoline_kernelINS0_14default_configENS1_27scan_by_key_config_selectorIijEEZZNS1_16scan_by_key_implILNS1_25lookback_scan_determinismE0ELb0ES3_N6thrust23THRUST_200600_302600_NS6detail15normal_iteratorINS9_10device_ptrIiEEEENSB_INSC_IjEEEESG_jNS9_4plusIvEENS9_8equal_toIvEEjEE10hipError_tPvRmT2_T3_T4_T5_mT6_T7_P12ihipStream_tbENKUlT_T0_E_clISt17integral_constantIbLb0EES11_EEDaSW_SX_EUlSW_E_NS1_11comp_targetILNS1_3genE9ELNS1_11target_archE1100ELNS1_3gpuE3ELNS1_3repE0EEENS1_30default_config_static_selectorELNS0_4arch9wavefront6targetE0EEEvT1_.has_recursion, 0
	.set _ZN7rocprim17ROCPRIM_400000_NS6detail17trampoline_kernelINS0_14default_configENS1_27scan_by_key_config_selectorIijEEZZNS1_16scan_by_key_implILNS1_25lookback_scan_determinismE0ELb0ES3_N6thrust23THRUST_200600_302600_NS6detail15normal_iteratorINS9_10device_ptrIiEEEENSB_INSC_IjEEEESG_jNS9_4plusIvEENS9_8equal_toIvEEjEE10hipError_tPvRmT2_T3_T4_T5_mT6_T7_P12ihipStream_tbENKUlT_T0_E_clISt17integral_constantIbLb0EES11_EEDaSW_SX_EUlSW_E_NS1_11comp_targetILNS1_3genE9ELNS1_11target_archE1100ELNS1_3gpuE3ELNS1_3repE0EEENS1_30default_config_static_selectorELNS0_4arch9wavefront6targetE0EEEvT1_.has_indirect_call, 0
	.section	.AMDGPU.csdata,"",@progbits
; Kernel info:
; codeLenInByte = 0
; TotalNumSgprs: 0
; NumVgprs: 0
; ScratchSize: 0
; MemoryBound: 0
; FloatMode: 240
; IeeeMode: 1
; LDSByteSize: 0 bytes/workgroup (compile time only)
; SGPRBlocks: 0
; VGPRBlocks: 0
; NumSGPRsForWavesPerEU: 1
; NumVGPRsForWavesPerEU: 1
; NamedBarCnt: 0
; Occupancy: 16
; WaveLimiterHint : 0
; COMPUTE_PGM_RSRC2:SCRATCH_EN: 0
; COMPUTE_PGM_RSRC2:USER_SGPR: 2
; COMPUTE_PGM_RSRC2:TRAP_HANDLER: 0
; COMPUTE_PGM_RSRC2:TGID_X_EN: 1
; COMPUTE_PGM_RSRC2:TGID_Y_EN: 0
; COMPUTE_PGM_RSRC2:TGID_Z_EN: 0
; COMPUTE_PGM_RSRC2:TIDIG_COMP_CNT: 0
	.section	.text._ZN7rocprim17ROCPRIM_400000_NS6detail17trampoline_kernelINS0_14default_configENS1_27scan_by_key_config_selectorIijEEZZNS1_16scan_by_key_implILNS1_25lookback_scan_determinismE0ELb0ES3_N6thrust23THRUST_200600_302600_NS6detail15normal_iteratorINS9_10device_ptrIiEEEENSB_INSC_IjEEEESG_jNS9_4plusIvEENS9_8equal_toIvEEjEE10hipError_tPvRmT2_T3_T4_T5_mT6_T7_P12ihipStream_tbENKUlT_T0_E_clISt17integral_constantIbLb0EES11_EEDaSW_SX_EUlSW_E_NS1_11comp_targetILNS1_3genE8ELNS1_11target_archE1030ELNS1_3gpuE2ELNS1_3repE0EEENS1_30default_config_static_selectorELNS0_4arch9wavefront6targetE0EEEvT1_,"axG",@progbits,_ZN7rocprim17ROCPRIM_400000_NS6detail17trampoline_kernelINS0_14default_configENS1_27scan_by_key_config_selectorIijEEZZNS1_16scan_by_key_implILNS1_25lookback_scan_determinismE0ELb0ES3_N6thrust23THRUST_200600_302600_NS6detail15normal_iteratorINS9_10device_ptrIiEEEENSB_INSC_IjEEEESG_jNS9_4plusIvEENS9_8equal_toIvEEjEE10hipError_tPvRmT2_T3_T4_T5_mT6_T7_P12ihipStream_tbENKUlT_T0_E_clISt17integral_constantIbLb0EES11_EEDaSW_SX_EUlSW_E_NS1_11comp_targetILNS1_3genE8ELNS1_11target_archE1030ELNS1_3gpuE2ELNS1_3repE0EEENS1_30default_config_static_selectorELNS0_4arch9wavefront6targetE0EEEvT1_,comdat
	.protected	_ZN7rocprim17ROCPRIM_400000_NS6detail17trampoline_kernelINS0_14default_configENS1_27scan_by_key_config_selectorIijEEZZNS1_16scan_by_key_implILNS1_25lookback_scan_determinismE0ELb0ES3_N6thrust23THRUST_200600_302600_NS6detail15normal_iteratorINS9_10device_ptrIiEEEENSB_INSC_IjEEEESG_jNS9_4plusIvEENS9_8equal_toIvEEjEE10hipError_tPvRmT2_T3_T4_T5_mT6_T7_P12ihipStream_tbENKUlT_T0_E_clISt17integral_constantIbLb0EES11_EEDaSW_SX_EUlSW_E_NS1_11comp_targetILNS1_3genE8ELNS1_11target_archE1030ELNS1_3gpuE2ELNS1_3repE0EEENS1_30default_config_static_selectorELNS0_4arch9wavefront6targetE0EEEvT1_ ; -- Begin function _ZN7rocprim17ROCPRIM_400000_NS6detail17trampoline_kernelINS0_14default_configENS1_27scan_by_key_config_selectorIijEEZZNS1_16scan_by_key_implILNS1_25lookback_scan_determinismE0ELb0ES3_N6thrust23THRUST_200600_302600_NS6detail15normal_iteratorINS9_10device_ptrIiEEEENSB_INSC_IjEEEESG_jNS9_4plusIvEENS9_8equal_toIvEEjEE10hipError_tPvRmT2_T3_T4_T5_mT6_T7_P12ihipStream_tbENKUlT_T0_E_clISt17integral_constantIbLb0EES11_EEDaSW_SX_EUlSW_E_NS1_11comp_targetILNS1_3genE8ELNS1_11target_archE1030ELNS1_3gpuE2ELNS1_3repE0EEENS1_30default_config_static_selectorELNS0_4arch9wavefront6targetE0EEEvT1_
	.globl	_ZN7rocprim17ROCPRIM_400000_NS6detail17trampoline_kernelINS0_14default_configENS1_27scan_by_key_config_selectorIijEEZZNS1_16scan_by_key_implILNS1_25lookback_scan_determinismE0ELb0ES3_N6thrust23THRUST_200600_302600_NS6detail15normal_iteratorINS9_10device_ptrIiEEEENSB_INSC_IjEEEESG_jNS9_4plusIvEENS9_8equal_toIvEEjEE10hipError_tPvRmT2_T3_T4_T5_mT6_T7_P12ihipStream_tbENKUlT_T0_E_clISt17integral_constantIbLb0EES11_EEDaSW_SX_EUlSW_E_NS1_11comp_targetILNS1_3genE8ELNS1_11target_archE1030ELNS1_3gpuE2ELNS1_3repE0EEENS1_30default_config_static_selectorELNS0_4arch9wavefront6targetE0EEEvT1_
	.p2align	8
	.type	_ZN7rocprim17ROCPRIM_400000_NS6detail17trampoline_kernelINS0_14default_configENS1_27scan_by_key_config_selectorIijEEZZNS1_16scan_by_key_implILNS1_25lookback_scan_determinismE0ELb0ES3_N6thrust23THRUST_200600_302600_NS6detail15normal_iteratorINS9_10device_ptrIiEEEENSB_INSC_IjEEEESG_jNS9_4plusIvEENS9_8equal_toIvEEjEE10hipError_tPvRmT2_T3_T4_T5_mT6_T7_P12ihipStream_tbENKUlT_T0_E_clISt17integral_constantIbLb0EES11_EEDaSW_SX_EUlSW_E_NS1_11comp_targetILNS1_3genE8ELNS1_11target_archE1030ELNS1_3gpuE2ELNS1_3repE0EEENS1_30default_config_static_selectorELNS0_4arch9wavefront6targetE0EEEvT1_,@function
_ZN7rocprim17ROCPRIM_400000_NS6detail17trampoline_kernelINS0_14default_configENS1_27scan_by_key_config_selectorIijEEZZNS1_16scan_by_key_implILNS1_25lookback_scan_determinismE0ELb0ES3_N6thrust23THRUST_200600_302600_NS6detail15normal_iteratorINS9_10device_ptrIiEEEENSB_INSC_IjEEEESG_jNS9_4plusIvEENS9_8equal_toIvEEjEE10hipError_tPvRmT2_T3_T4_T5_mT6_T7_P12ihipStream_tbENKUlT_T0_E_clISt17integral_constantIbLb0EES11_EEDaSW_SX_EUlSW_E_NS1_11comp_targetILNS1_3genE8ELNS1_11target_archE1030ELNS1_3gpuE2ELNS1_3repE0EEENS1_30default_config_static_selectorELNS0_4arch9wavefront6targetE0EEEvT1_: ; @_ZN7rocprim17ROCPRIM_400000_NS6detail17trampoline_kernelINS0_14default_configENS1_27scan_by_key_config_selectorIijEEZZNS1_16scan_by_key_implILNS1_25lookback_scan_determinismE0ELb0ES3_N6thrust23THRUST_200600_302600_NS6detail15normal_iteratorINS9_10device_ptrIiEEEENSB_INSC_IjEEEESG_jNS9_4plusIvEENS9_8equal_toIvEEjEE10hipError_tPvRmT2_T3_T4_T5_mT6_T7_P12ihipStream_tbENKUlT_T0_E_clISt17integral_constantIbLb0EES11_EEDaSW_SX_EUlSW_E_NS1_11comp_targetILNS1_3genE8ELNS1_11target_archE1030ELNS1_3gpuE2ELNS1_3repE0EEENS1_30default_config_static_selectorELNS0_4arch9wavefront6targetE0EEEvT1_
; %bb.0:
	.section	.rodata,"a",@progbits
	.p2align	6, 0x0
	.amdhsa_kernel _ZN7rocprim17ROCPRIM_400000_NS6detail17trampoline_kernelINS0_14default_configENS1_27scan_by_key_config_selectorIijEEZZNS1_16scan_by_key_implILNS1_25lookback_scan_determinismE0ELb0ES3_N6thrust23THRUST_200600_302600_NS6detail15normal_iteratorINS9_10device_ptrIiEEEENSB_INSC_IjEEEESG_jNS9_4plusIvEENS9_8equal_toIvEEjEE10hipError_tPvRmT2_T3_T4_T5_mT6_T7_P12ihipStream_tbENKUlT_T0_E_clISt17integral_constantIbLb0EES11_EEDaSW_SX_EUlSW_E_NS1_11comp_targetILNS1_3genE8ELNS1_11target_archE1030ELNS1_3gpuE2ELNS1_3repE0EEENS1_30default_config_static_selectorELNS0_4arch9wavefront6targetE0EEEvT1_
		.amdhsa_group_segment_fixed_size 0
		.amdhsa_private_segment_fixed_size 0
		.amdhsa_kernarg_size 112
		.amdhsa_user_sgpr_count 2
		.amdhsa_user_sgpr_dispatch_ptr 0
		.amdhsa_user_sgpr_queue_ptr 0
		.amdhsa_user_sgpr_kernarg_segment_ptr 1
		.amdhsa_user_sgpr_dispatch_id 0
		.amdhsa_user_sgpr_kernarg_preload_length 0
		.amdhsa_user_sgpr_kernarg_preload_offset 0
		.amdhsa_user_sgpr_private_segment_size 0
		.amdhsa_wavefront_size32 1
		.amdhsa_uses_dynamic_stack 0
		.amdhsa_enable_private_segment 0
		.amdhsa_system_sgpr_workgroup_id_x 1
		.amdhsa_system_sgpr_workgroup_id_y 0
		.amdhsa_system_sgpr_workgroup_id_z 0
		.amdhsa_system_sgpr_workgroup_info 0
		.amdhsa_system_vgpr_workitem_id 0
		.amdhsa_next_free_vgpr 1
		.amdhsa_next_free_sgpr 1
		.amdhsa_named_barrier_count 0
		.amdhsa_reserve_vcc 0
		.amdhsa_float_round_mode_32 0
		.amdhsa_float_round_mode_16_64 0
		.amdhsa_float_denorm_mode_32 3
		.amdhsa_float_denorm_mode_16_64 3
		.amdhsa_fp16_overflow 0
		.amdhsa_memory_ordered 1
		.amdhsa_forward_progress 1
		.amdhsa_inst_pref_size 0
		.amdhsa_round_robin_scheduling 0
		.amdhsa_exception_fp_ieee_invalid_op 0
		.amdhsa_exception_fp_denorm_src 0
		.amdhsa_exception_fp_ieee_div_zero 0
		.amdhsa_exception_fp_ieee_overflow 0
		.amdhsa_exception_fp_ieee_underflow 0
		.amdhsa_exception_fp_ieee_inexact 0
		.amdhsa_exception_int_div_zero 0
	.end_amdhsa_kernel
	.section	.text._ZN7rocprim17ROCPRIM_400000_NS6detail17trampoline_kernelINS0_14default_configENS1_27scan_by_key_config_selectorIijEEZZNS1_16scan_by_key_implILNS1_25lookback_scan_determinismE0ELb0ES3_N6thrust23THRUST_200600_302600_NS6detail15normal_iteratorINS9_10device_ptrIiEEEENSB_INSC_IjEEEESG_jNS9_4plusIvEENS9_8equal_toIvEEjEE10hipError_tPvRmT2_T3_T4_T5_mT6_T7_P12ihipStream_tbENKUlT_T0_E_clISt17integral_constantIbLb0EES11_EEDaSW_SX_EUlSW_E_NS1_11comp_targetILNS1_3genE8ELNS1_11target_archE1030ELNS1_3gpuE2ELNS1_3repE0EEENS1_30default_config_static_selectorELNS0_4arch9wavefront6targetE0EEEvT1_,"axG",@progbits,_ZN7rocprim17ROCPRIM_400000_NS6detail17trampoline_kernelINS0_14default_configENS1_27scan_by_key_config_selectorIijEEZZNS1_16scan_by_key_implILNS1_25lookback_scan_determinismE0ELb0ES3_N6thrust23THRUST_200600_302600_NS6detail15normal_iteratorINS9_10device_ptrIiEEEENSB_INSC_IjEEEESG_jNS9_4plusIvEENS9_8equal_toIvEEjEE10hipError_tPvRmT2_T3_T4_T5_mT6_T7_P12ihipStream_tbENKUlT_T0_E_clISt17integral_constantIbLb0EES11_EEDaSW_SX_EUlSW_E_NS1_11comp_targetILNS1_3genE8ELNS1_11target_archE1030ELNS1_3gpuE2ELNS1_3repE0EEENS1_30default_config_static_selectorELNS0_4arch9wavefront6targetE0EEEvT1_,comdat
.Lfunc_end1229:
	.size	_ZN7rocprim17ROCPRIM_400000_NS6detail17trampoline_kernelINS0_14default_configENS1_27scan_by_key_config_selectorIijEEZZNS1_16scan_by_key_implILNS1_25lookback_scan_determinismE0ELb0ES3_N6thrust23THRUST_200600_302600_NS6detail15normal_iteratorINS9_10device_ptrIiEEEENSB_INSC_IjEEEESG_jNS9_4plusIvEENS9_8equal_toIvEEjEE10hipError_tPvRmT2_T3_T4_T5_mT6_T7_P12ihipStream_tbENKUlT_T0_E_clISt17integral_constantIbLb0EES11_EEDaSW_SX_EUlSW_E_NS1_11comp_targetILNS1_3genE8ELNS1_11target_archE1030ELNS1_3gpuE2ELNS1_3repE0EEENS1_30default_config_static_selectorELNS0_4arch9wavefront6targetE0EEEvT1_, .Lfunc_end1229-_ZN7rocprim17ROCPRIM_400000_NS6detail17trampoline_kernelINS0_14default_configENS1_27scan_by_key_config_selectorIijEEZZNS1_16scan_by_key_implILNS1_25lookback_scan_determinismE0ELb0ES3_N6thrust23THRUST_200600_302600_NS6detail15normal_iteratorINS9_10device_ptrIiEEEENSB_INSC_IjEEEESG_jNS9_4plusIvEENS9_8equal_toIvEEjEE10hipError_tPvRmT2_T3_T4_T5_mT6_T7_P12ihipStream_tbENKUlT_T0_E_clISt17integral_constantIbLb0EES11_EEDaSW_SX_EUlSW_E_NS1_11comp_targetILNS1_3genE8ELNS1_11target_archE1030ELNS1_3gpuE2ELNS1_3repE0EEENS1_30default_config_static_selectorELNS0_4arch9wavefront6targetE0EEEvT1_
                                        ; -- End function
	.set _ZN7rocprim17ROCPRIM_400000_NS6detail17trampoline_kernelINS0_14default_configENS1_27scan_by_key_config_selectorIijEEZZNS1_16scan_by_key_implILNS1_25lookback_scan_determinismE0ELb0ES3_N6thrust23THRUST_200600_302600_NS6detail15normal_iteratorINS9_10device_ptrIiEEEENSB_INSC_IjEEEESG_jNS9_4plusIvEENS9_8equal_toIvEEjEE10hipError_tPvRmT2_T3_T4_T5_mT6_T7_P12ihipStream_tbENKUlT_T0_E_clISt17integral_constantIbLb0EES11_EEDaSW_SX_EUlSW_E_NS1_11comp_targetILNS1_3genE8ELNS1_11target_archE1030ELNS1_3gpuE2ELNS1_3repE0EEENS1_30default_config_static_selectorELNS0_4arch9wavefront6targetE0EEEvT1_.num_vgpr, 0
	.set _ZN7rocprim17ROCPRIM_400000_NS6detail17trampoline_kernelINS0_14default_configENS1_27scan_by_key_config_selectorIijEEZZNS1_16scan_by_key_implILNS1_25lookback_scan_determinismE0ELb0ES3_N6thrust23THRUST_200600_302600_NS6detail15normal_iteratorINS9_10device_ptrIiEEEENSB_INSC_IjEEEESG_jNS9_4plusIvEENS9_8equal_toIvEEjEE10hipError_tPvRmT2_T3_T4_T5_mT6_T7_P12ihipStream_tbENKUlT_T0_E_clISt17integral_constantIbLb0EES11_EEDaSW_SX_EUlSW_E_NS1_11comp_targetILNS1_3genE8ELNS1_11target_archE1030ELNS1_3gpuE2ELNS1_3repE0EEENS1_30default_config_static_selectorELNS0_4arch9wavefront6targetE0EEEvT1_.num_agpr, 0
	.set _ZN7rocprim17ROCPRIM_400000_NS6detail17trampoline_kernelINS0_14default_configENS1_27scan_by_key_config_selectorIijEEZZNS1_16scan_by_key_implILNS1_25lookback_scan_determinismE0ELb0ES3_N6thrust23THRUST_200600_302600_NS6detail15normal_iteratorINS9_10device_ptrIiEEEENSB_INSC_IjEEEESG_jNS9_4plusIvEENS9_8equal_toIvEEjEE10hipError_tPvRmT2_T3_T4_T5_mT6_T7_P12ihipStream_tbENKUlT_T0_E_clISt17integral_constantIbLb0EES11_EEDaSW_SX_EUlSW_E_NS1_11comp_targetILNS1_3genE8ELNS1_11target_archE1030ELNS1_3gpuE2ELNS1_3repE0EEENS1_30default_config_static_selectorELNS0_4arch9wavefront6targetE0EEEvT1_.numbered_sgpr, 0
	.set _ZN7rocprim17ROCPRIM_400000_NS6detail17trampoline_kernelINS0_14default_configENS1_27scan_by_key_config_selectorIijEEZZNS1_16scan_by_key_implILNS1_25lookback_scan_determinismE0ELb0ES3_N6thrust23THRUST_200600_302600_NS6detail15normal_iteratorINS9_10device_ptrIiEEEENSB_INSC_IjEEEESG_jNS9_4plusIvEENS9_8equal_toIvEEjEE10hipError_tPvRmT2_T3_T4_T5_mT6_T7_P12ihipStream_tbENKUlT_T0_E_clISt17integral_constantIbLb0EES11_EEDaSW_SX_EUlSW_E_NS1_11comp_targetILNS1_3genE8ELNS1_11target_archE1030ELNS1_3gpuE2ELNS1_3repE0EEENS1_30default_config_static_selectorELNS0_4arch9wavefront6targetE0EEEvT1_.num_named_barrier, 0
	.set _ZN7rocprim17ROCPRIM_400000_NS6detail17trampoline_kernelINS0_14default_configENS1_27scan_by_key_config_selectorIijEEZZNS1_16scan_by_key_implILNS1_25lookback_scan_determinismE0ELb0ES3_N6thrust23THRUST_200600_302600_NS6detail15normal_iteratorINS9_10device_ptrIiEEEENSB_INSC_IjEEEESG_jNS9_4plusIvEENS9_8equal_toIvEEjEE10hipError_tPvRmT2_T3_T4_T5_mT6_T7_P12ihipStream_tbENKUlT_T0_E_clISt17integral_constantIbLb0EES11_EEDaSW_SX_EUlSW_E_NS1_11comp_targetILNS1_3genE8ELNS1_11target_archE1030ELNS1_3gpuE2ELNS1_3repE0EEENS1_30default_config_static_selectorELNS0_4arch9wavefront6targetE0EEEvT1_.private_seg_size, 0
	.set _ZN7rocprim17ROCPRIM_400000_NS6detail17trampoline_kernelINS0_14default_configENS1_27scan_by_key_config_selectorIijEEZZNS1_16scan_by_key_implILNS1_25lookback_scan_determinismE0ELb0ES3_N6thrust23THRUST_200600_302600_NS6detail15normal_iteratorINS9_10device_ptrIiEEEENSB_INSC_IjEEEESG_jNS9_4plusIvEENS9_8equal_toIvEEjEE10hipError_tPvRmT2_T3_T4_T5_mT6_T7_P12ihipStream_tbENKUlT_T0_E_clISt17integral_constantIbLb0EES11_EEDaSW_SX_EUlSW_E_NS1_11comp_targetILNS1_3genE8ELNS1_11target_archE1030ELNS1_3gpuE2ELNS1_3repE0EEENS1_30default_config_static_selectorELNS0_4arch9wavefront6targetE0EEEvT1_.uses_vcc, 0
	.set _ZN7rocprim17ROCPRIM_400000_NS6detail17trampoline_kernelINS0_14default_configENS1_27scan_by_key_config_selectorIijEEZZNS1_16scan_by_key_implILNS1_25lookback_scan_determinismE0ELb0ES3_N6thrust23THRUST_200600_302600_NS6detail15normal_iteratorINS9_10device_ptrIiEEEENSB_INSC_IjEEEESG_jNS9_4plusIvEENS9_8equal_toIvEEjEE10hipError_tPvRmT2_T3_T4_T5_mT6_T7_P12ihipStream_tbENKUlT_T0_E_clISt17integral_constantIbLb0EES11_EEDaSW_SX_EUlSW_E_NS1_11comp_targetILNS1_3genE8ELNS1_11target_archE1030ELNS1_3gpuE2ELNS1_3repE0EEENS1_30default_config_static_selectorELNS0_4arch9wavefront6targetE0EEEvT1_.uses_flat_scratch, 0
	.set _ZN7rocprim17ROCPRIM_400000_NS6detail17trampoline_kernelINS0_14default_configENS1_27scan_by_key_config_selectorIijEEZZNS1_16scan_by_key_implILNS1_25lookback_scan_determinismE0ELb0ES3_N6thrust23THRUST_200600_302600_NS6detail15normal_iteratorINS9_10device_ptrIiEEEENSB_INSC_IjEEEESG_jNS9_4plusIvEENS9_8equal_toIvEEjEE10hipError_tPvRmT2_T3_T4_T5_mT6_T7_P12ihipStream_tbENKUlT_T0_E_clISt17integral_constantIbLb0EES11_EEDaSW_SX_EUlSW_E_NS1_11comp_targetILNS1_3genE8ELNS1_11target_archE1030ELNS1_3gpuE2ELNS1_3repE0EEENS1_30default_config_static_selectorELNS0_4arch9wavefront6targetE0EEEvT1_.has_dyn_sized_stack, 0
	.set _ZN7rocprim17ROCPRIM_400000_NS6detail17trampoline_kernelINS0_14default_configENS1_27scan_by_key_config_selectorIijEEZZNS1_16scan_by_key_implILNS1_25lookback_scan_determinismE0ELb0ES3_N6thrust23THRUST_200600_302600_NS6detail15normal_iteratorINS9_10device_ptrIiEEEENSB_INSC_IjEEEESG_jNS9_4plusIvEENS9_8equal_toIvEEjEE10hipError_tPvRmT2_T3_T4_T5_mT6_T7_P12ihipStream_tbENKUlT_T0_E_clISt17integral_constantIbLb0EES11_EEDaSW_SX_EUlSW_E_NS1_11comp_targetILNS1_3genE8ELNS1_11target_archE1030ELNS1_3gpuE2ELNS1_3repE0EEENS1_30default_config_static_selectorELNS0_4arch9wavefront6targetE0EEEvT1_.has_recursion, 0
	.set _ZN7rocprim17ROCPRIM_400000_NS6detail17trampoline_kernelINS0_14default_configENS1_27scan_by_key_config_selectorIijEEZZNS1_16scan_by_key_implILNS1_25lookback_scan_determinismE0ELb0ES3_N6thrust23THRUST_200600_302600_NS6detail15normal_iteratorINS9_10device_ptrIiEEEENSB_INSC_IjEEEESG_jNS9_4plusIvEENS9_8equal_toIvEEjEE10hipError_tPvRmT2_T3_T4_T5_mT6_T7_P12ihipStream_tbENKUlT_T0_E_clISt17integral_constantIbLb0EES11_EEDaSW_SX_EUlSW_E_NS1_11comp_targetILNS1_3genE8ELNS1_11target_archE1030ELNS1_3gpuE2ELNS1_3repE0EEENS1_30default_config_static_selectorELNS0_4arch9wavefront6targetE0EEEvT1_.has_indirect_call, 0
	.section	.AMDGPU.csdata,"",@progbits
; Kernel info:
; codeLenInByte = 0
; TotalNumSgprs: 0
; NumVgprs: 0
; ScratchSize: 0
; MemoryBound: 0
; FloatMode: 240
; IeeeMode: 1
; LDSByteSize: 0 bytes/workgroup (compile time only)
; SGPRBlocks: 0
; VGPRBlocks: 0
; NumSGPRsForWavesPerEU: 1
; NumVGPRsForWavesPerEU: 1
; NamedBarCnt: 0
; Occupancy: 16
; WaveLimiterHint : 0
; COMPUTE_PGM_RSRC2:SCRATCH_EN: 0
; COMPUTE_PGM_RSRC2:USER_SGPR: 2
; COMPUTE_PGM_RSRC2:TRAP_HANDLER: 0
; COMPUTE_PGM_RSRC2:TGID_X_EN: 1
; COMPUTE_PGM_RSRC2:TGID_Y_EN: 0
; COMPUTE_PGM_RSRC2:TGID_Z_EN: 0
; COMPUTE_PGM_RSRC2:TIDIG_COMP_CNT: 0
	.section	.text._ZN7rocprim17ROCPRIM_400000_NS6detail30init_device_scan_by_key_kernelINS1_19lookback_scan_stateINS0_5tupleIJjbEEELb1ELb1EEEN6thrust23THRUST_200600_302600_NS6detail15normal_iteratorINS8_10device_ptrIiEEEEjNS1_16block_id_wrapperIjLb1EEEEEvT_jjPNSG_10value_typeET0_PNSt15iterator_traitsISJ_E10value_typeEmT1_T2_,"axG",@progbits,_ZN7rocprim17ROCPRIM_400000_NS6detail30init_device_scan_by_key_kernelINS1_19lookback_scan_stateINS0_5tupleIJjbEEELb1ELb1EEEN6thrust23THRUST_200600_302600_NS6detail15normal_iteratorINS8_10device_ptrIiEEEEjNS1_16block_id_wrapperIjLb1EEEEEvT_jjPNSG_10value_typeET0_PNSt15iterator_traitsISJ_E10value_typeEmT1_T2_,comdat
	.protected	_ZN7rocprim17ROCPRIM_400000_NS6detail30init_device_scan_by_key_kernelINS1_19lookback_scan_stateINS0_5tupleIJjbEEELb1ELb1EEEN6thrust23THRUST_200600_302600_NS6detail15normal_iteratorINS8_10device_ptrIiEEEEjNS1_16block_id_wrapperIjLb1EEEEEvT_jjPNSG_10value_typeET0_PNSt15iterator_traitsISJ_E10value_typeEmT1_T2_ ; -- Begin function _ZN7rocprim17ROCPRIM_400000_NS6detail30init_device_scan_by_key_kernelINS1_19lookback_scan_stateINS0_5tupleIJjbEEELb1ELb1EEEN6thrust23THRUST_200600_302600_NS6detail15normal_iteratorINS8_10device_ptrIiEEEEjNS1_16block_id_wrapperIjLb1EEEEEvT_jjPNSG_10value_typeET0_PNSt15iterator_traitsISJ_E10value_typeEmT1_T2_
	.globl	_ZN7rocprim17ROCPRIM_400000_NS6detail30init_device_scan_by_key_kernelINS1_19lookback_scan_stateINS0_5tupleIJjbEEELb1ELb1EEEN6thrust23THRUST_200600_302600_NS6detail15normal_iteratorINS8_10device_ptrIiEEEEjNS1_16block_id_wrapperIjLb1EEEEEvT_jjPNSG_10value_typeET0_PNSt15iterator_traitsISJ_E10value_typeEmT1_T2_
	.p2align	8
	.type	_ZN7rocprim17ROCPRIM_400000_NS6detail30init_device_scan_by_key_kernelINS1_19lookback_scan_stateINS0_5tupleIJjbEEELb1ELb1EEEN6thrust23THRUST_200600_302600_NS6detail15normal_iteratorINS8_10device_ptrIiEEEEjNS1_16block_id_wrapperIjLb1EEEEEvT_jjPNSG_10value_typeET0_PNSt15iterator_traitsISJ_E10value_typeEmT1_T2_,@function
_ZN7rocprim17ROCPRIM_400000_NS6detail30init_device_scan_by_key_kernelINS1_19lookback_scan_stateINS0_5tupleIJjbEEELb1ELb1EEEN6thrust23THRUST_200600_302600_NS6detail15normal_iteratorINS8_10device_ptrIiEEEEjNS1_16block_id_wrapperIjLb1EEEEEvT_jjPNSG_10value_typeET0_PNSt15iterator_traitsISJ_E10value_typeEmT1_T2_: ; @_ZN7rocprim17ROCPRIM_400000_NS6detail30init_device_scan_by_key_kernelINS1_19lookback_scan_stateINS0_5tupleIJjbEEELb1ELb1EEEN6thrust23THRUST_200600_302600_NS6detail15normal_iteratorINS8_10device_ptrIiEEEEjNS1_16block_id_wrapperIjLb1EEEEEvT_jjPNSG_10value_typeET0_PNSt15iterator_traitsISJ_E10value_typeEmT1_T2_
; %bb.0:
	s_clause 0x2
	s_load_b32 s2, s[0:1], 0x4c
	s_load_b32 s14, s[0:1], 0x40
	s_load_b256 s[4:11], s[0:1], 0x0
	s_bfe_u32 s3, ttmp6, 0x4000c
	s_and_b32 s12, ttmp6, 15
	s_add_co_i32 s3, s3, 1
	s_getreg_b32 s13, hwreg(HW_REG_IB_STS2, 6, 4)
	s_mul_i32 s3, ttmp9, s3
	s_delay_alu instid0(SALU_CYCLE_1)
	s_add_co_i32 s12, s12, s3
	s_wait_kmcnt 0x0
	s_and_b32 s15, s2, 0xffff
	s_cmp_eq_u32 s13, 0
	s_cselect_b32 s2, ttmp9, s12
	s_cmp_eq_u64 s[8:9], 0
	v_mad_u32 v4, s2, s15, v0
	s_cbranch_scc1 .LBB1230_10
; %bb.1:
	s_cmp_lt_u32 s7, s6
	s_mov_b32 s16, exec_lo
	s_cselect_b32 s2, s7, 0
	s_delay_alu instid0(VALU_DEP_1) | instid1(SALU_CYCLE_1)
	v_cmpx_eq_u32_e64 s2, v4
	s_cbranch_execz .LBB1230_9
; %bb.2:
	s_add_co_i32 s2, s7, 32
	s_mov_b32 s3, 0
	v_mov_b32_e32 v7, 0
	s_lshl_b64 s[12:13], s[2:3], 4
	s_mov_b32 s2, exec_lo
	s_add_nc_u64 s[12:13], s[4:5], s[12:13]
	s_delay_alu instid0(SALU_CYCLE_1) | instskip(SKIP_2) | instid1(VALU_DEP_1)
	v_mov_b64_e32 v[0:1], s[12:13]
	;;#ASMSTART
	global_load_b128 v[0:3], v[0:1] off scope:SCOPE_DEV	
s_wait_loadcnt 0x0
	;;#ASMEND
	v_and_b32_e32 v6, 0xff, v2
	v_cmpx_eq_u64_e32 0, v[6:7]
	s_cbranch_execz .LBB1230_8
; %bb.3:
	v_mov_b64_e32 v[8:9], s[12:13]
	s_mov_b32 s7, 1
.LBB1230_4:                             ; =>This Loop Header: Depth=1
                                        ;     Child Loop BB1230_5 Depth 2
	s_delay_alu instid0(SALU_CYCLE_1)
	s_mov_b32 s12, s7
.LBB1230_5:                             ;   Parent Loop BB1230_4 Depth=1
                                        ; =>  This Inner Loop Header: Depth=2
	s_delay_alu instid0(SALU_CYCLE_1)
	s_add_co_i32 s12, s12, -1
	s_sleep 1
	s_cmp_eq_u32 s12, 0
	s_cbranch_scc0 .LBB1230_5
; %bb.6:                                ;   in Loop: Header=BB1230_4 Depth=1
	;;#ASMSTART
	global_load_b128 v[0:3], v[8:9] off scope:SCOPE_DEV	
s_wait_loadcnt 0x0
	;;#ASMEND
	v_and_b32_e32 v6, 0xff, v2
	s_cmp_lt_u32 s7, 32
	s_cselect_b32 s12, -1, 0
	s_delay_alu instid0(VALU_DEP_1) | instskip(SKIP_3) | instid1(SALU_CYCLE_1)
	v_cmp_ne_u64_e32 vcc_lo, 0, v[6:7]
	s_cmp_lg_u32 s12, 0
	s_add_co_ci_u32 s7, s7, 0
	s_or_b32 s3, vcc_lo, s3
	s_and_not1_b32 exec_lo, exec_lo, s3
	s_cbranch_execnz .LBB1230_4
; %bb.7:
	s_or_b32 exec_lo, exec_lo, s3
.LBB1230_8:
	s_delay_alu instid0(SALU_CYCLE_1)
	s_or_b32 exec_lo, exec_lo, s2
	v_mov_b32_e32 v2, 0
	s_clause 0x1
	global_store_b32 v2, v0, s[8:9]
	global_store_b8 v2, v1, s[8:9] offset:4
.LBB1230_9:
	s_wait_xcnt 0x0
	s_or_b32 exec_lo, exec_lo, s16
.LBB1230_10:
	s_delay_alu instid0(SALU_CYCLE_1) | instskip(NEXT) | instid1(VALU_DEP_1)
	s_mov_b32 s2, exec_lo
	v_cmpx_eq_u32_e32 0, v4
	s_cbranch_execz .LBB1230_12
; %bb.11:
	s_load_b64 s[8:9], s[0:1], 0x38
	v_mov_b32_e32 v0, 0
	s_wait_kmcnt 0x0
	global_store_b32 v0, v0, s[8:9]
.LBB1230_12:
	s_wait_xcnt 0x0
	s_or_b32 exec_lo, exec_lo, s2
	s_delay_alu instid0(SALU_CYCLE_1)
	s_mov_b32 s2, exec_lo
	v_cmpx_gt_u32_e64 s6, v4
	s_cbranch_execz .LBB1230_14
; %bb.13:
	v_dual_mov_b32 v0, 0 :: v_dual_add_nc_u32 v5, 32, v4
	s_delay_alu instid0(VALU_DEP_1)
	v_dual_mov_b32 v1, v0 :: v_dual_mov_b32 v2, v0
	v_mov_b32_e32 v3, v0
	global_store_b128 v5, v[0:3], s[4:5] scale_offset
.LBB1230_14:
	s_wait_xcnt 0x0
	s_or_b32 exec_lo, exec_lo, s2
	v_mov_b32_e32 v5, 0
	s_mov_b32 s2, exec_lo
	v_cmpx_gt_u32_e32 32, v4
	s_cbranch_execz .LBB1230_16
; %bb.15:
	s_delay_alu instid0(VALU_DEP_2)
	v_lshl_add_u64 v[6:7], v[4:5], 4, s[4:5]
	v_dual_mov_b32 v2, 0xff :: v_dual_mov_b32 v1, v5
	v_dual_mov_b32 v0, v5 :: v_dual_mov_b32 v3, v5
	global_store_b128 v[6:7], v[0:3], off
.LBB1230_16:
	s_wait_xcnt 0x0
	s_or_b32 exec_lo, exec_lo, s2
	s_load_b64 s[2:3], s[0:1], 0x28
	s_mov_b32 s4, exec_lo
	s_wait_kmcnt 0x0
	v_cmpx_gt_u64_e64 s[2:3], v[4:5]
	s_cbranch_execz .LBB1230_19
; %bb.17:
	s_clause 0x1
	s_load_b32 s4, s[0:1], 0x30
	s_load_b64 s[6:7], s[0:1], 0x20
	s_mov_b32 s5, 0
	s_wait_xcnt 0x0
	s_mul_i32 s0, s14, s15
	s_mov_b32 s9, s5
	s_mov_b32 s1, s5
	s_wait_kmcnt 0x0
	v_mul_u64_e32 v[0:1], s[4:5], v[4:5]
	s_add_co_i32 s8, s4, -1
	v_lshl_add_u64 v[2:3], v[4:5], 2, s[6:7]
	s_lshl_b64 s[8:9], s[8:9], 2
	s_delay_alu instid0(SALU_CYCLE_1) | instskip(SKIP_1) | instid1(SALU_CYCLE_1)
	s_add_nc_u64 s[8:9], s[10:11], s[8:9]
	s_mul_u64 s[10:11], s[4:5], s[0:1]
	s_lshl_b64 s[6:7], s[10:11], 2
	s_delay_alu instid0(VALU_DEP_2)
	v_lshl_add_u64 v[0:1], v[0:1], 2, s[8:9]
	s_lshl_b64 s[8:9], s[0:1], 2
.LBB1230_18:                            ; =>This Inner Loop Header: Depth=1
	global_load_b32 v6, v[0:1], off
	v_add_nc_u64_e32 v[4:5], s[0:1], v[4:5]
	s_wait_xcnt 0x0
	v_add_nc_u64_e32 v[0:1], s[6:7], v[0:1]
	s_delay_alu instid0(VALU_DEP_2)
	v_cmp_le_u64_e32 vcc_lo, s[2:3], v[4:5]
	s_or_b32 s5, vcc_lo, s5
	s_wait_loadcnt 0x0
	global_store_b32 v[2:3], v6, off
	s_wait_xcnt 0x0
	v_add_nc_u64_e32 v[2:3], s[8:9], v[2:3]
	s_and_not1_b32 exec_lo, exec_lo, s5
	s_cbranch_execnz .LBB1230_18
.LBB1230_19:
	s_endpgm
	.section	.rodata,"a",@progbits
	.p2align	6, 0x0
	.amdhsa_kernel _ZN7rocprim17ROCPRIM_400000_NS6detail30init_device_scan_by_key_kernelINS1_19lookback_scan_stateINS0_5tupleIJjbEEELb1ELb1EEEN6thrust23THRUST_200600_302600_NS6detail15normal_iteratorINS8_10device_ptrIiEEEEjNS1_16block_id_wrapperIjLb1EEEEEvT_jjPNSG_10value_typeET0_PNSt15iterator_traitsISJ_E10value_typeEmT1_T2_
		.amdhsa_group_segment_fixed_size 0
		.amdhsa_private_segment_fixed_size 0
		.amdhsa_kernarg_size 320
		.amdhsa_user_sgpr_count 2
		.amdhsa_user_sgpr_dispatch_ptr 0
		.amdhsa_user_sgpr_queue_ptr 0
		.amdhsa_user_sgpr_kernarg_segment_ptr 1
		.amdhsa_user_sgpr_dispatch_id 0
		.amdhsa_user_sgpr_kernarg_preload_length 0
		.amdhsa_user_sgpr_kernarg_preload_offset 0
		.amdhsa_user_sgpr_private_segment_size 0
		.amdhsa_wavefront_size32 1
		.amdhsa_uses_dynamic_stack 0
		.amdhsa_enable_private_segment 0
		.amdhsa_system_sgpr_workgroup_id_x 1
		.amdhsa_system_sgpr_workgroup_id_y 0
		.amdhsa_system_sgpr_workgroup_id_z 0
		.amdhsa_system_sgpr_workgroup_info 0
		.amdhsa_system_vgpr_workitem_id 0
		.amdhsa_next_free_vgpr 10
		.amdhsa_next_free_sgpr 17
		.amdhsa_named_barrier_count 0
		.amdhsa_reserve_vcc 1
		.amdhsa_float_round_mode_32 0
		.amdhsa_float_round_mode_16_64 0
		.amdhsa_float_denorm_mode_32 3
		.amdhsa_float_denorm_mode_16_64 3
		.amdhsa_fp16_overflow 0
		.amdhsa_memory_ordered 1
		.amdhsa_forward_progress 1
		.amdhsa_inst_pref_size 6
		.amdhsa_round_robin_scheduling 0
		.amdhsa_exception_fp_ieee_invalid_op 0
		.amdhsa_exception_fp_denorm_src 0
		.amdhsa_exception_fp_ieee_div_zero 0
		.amdhsa_exception_fp_ieee_overflow 0
		.amdhsa_exception_fp_ieee_underflow 0
		.amdhsa_exception_fp_ieee_inexact 0
		.amdhsa_exception_int_div_zero 0
	.end_amdhsa_kernel
	.section	.text._ZN7rocprim17ROCPRIM_400000_NS6detail30init_device_scan_by_key_kernelINS1_19lookback_scan_stateINS0_5tupleIJjbEEELb1ELb1EEEN6thrust23THRUST_200600_302600_NS6detail15normal_iteratorINS8_10device_ptrIiEEEEjNS1_16block_id_wrapperIjLb1EEEEEvT_jjPNSG_10value_typeET0_PNSt15iterator_traitsISJ_E10value_typeEmT1_T2_,"axG",@progbits,_ZN7rocprim17ROCPRIM_400000_NS6detail30init_device_scan_by_key_kernelINS1_19lookback_scan_stateINS0_5tupleIJjbEEELb1ELb1EEEN6thrust23THRUST_200600_302600_NS6detail15normal_iteratorINS8_10device_ptrIiEEEEjNS1_16block_id_wrapperIjLb1EEEEEvT_jjPNSG_10value_typeET0_PNSt15iterator_traitsISJ_E10value_typeEmT1_T2_,comdat
.Lfunc_end1230:
	.size	_ZN7rocprim17ROCPRIM_400000_NS6detail30init_device_scan_by_key_kernelINS1_19lookback_scan_stateINS0_5tupleIJjbEEELb1ELb1EEEN6thrust23THRUST_200600_302600_NS6detail15normal_iteratorINS8_10device_ptrIiEEEEjNS1_16block_id_wrapperIjLb1EEEEEvT_jjPNSG_10value_typeET0_PNSt15iterator_traitsISJ_E10value_typeEmT1_T2_, .Lfunc_end1230-_ZN7rocprim17ROCPRIM_400000_NS6detail30init_device_scan_by_key_kernelINS1_19lookback_scan_stateINS0_5tupleIJjbEEELb1ELb1EEEN6thrust23THRUST_200600_302600_NS6detail15normal_iteratorINS8_10device_ptrIiEEEEjNS1_16block_id_wrapperIjLb1EEEEEvT_jjPNSG_10value_typeET0_PNSt15iterator_traitsISJ_E10value_typeEmT1_T2_
                                        ; -- End function
	.set _ZN7rocprim17ROCPRIM_400000_NS6detail30init_device_scan_by_key_kernelINS1_19lookback_scan_stateINS0_5tupleIJjbEEELb1ELb1EEEN6thrust23THRUST_200600_302600_NS6detail15normal_iteratorINS8_10device_ptrIiEEEEjNS1_16block_id_wrapperIjLb1EEEEEvT_jjPNSG_10value_typeET0_PNSt15iterator_traitsISJ_E10value_typeEmT1_T2_.num_vgpr, 10
	.set _ZN7rocprim17ROCPRIM_400000_NS6detail30init_device_scan_by_key_kernelINS1_19lookback_scan_stateINS0_5tupleIJjbEEELb1ELb1EEEN6thrust23THRUST_200600_302600_NS6detail15normal_iteratorINS8_10device_ptrIiEEEEjNS1_16block_id_wrapperIjLb1EEEEEvT_jjPNSG_10value_typeET0_PNSt15iterator_traitsISJ_E10value_typeEmT1_T2_.num_agpr, 0
	.set _ZN7rocprim17ROCPRIM_400000_NS6detail30init_device_scan_by_key_kernelINS1_19lookback_scan_stateINS0_5tupleIJjbEEELb1ELb1EEEN6thrust23THRUST_200600_302600_NS6detail15normal_iteratorINS8_10device_ptrIiEEEEjNS1_16block_id_wrapperIjLb1EEEEEvT_jjPNSG_10value_typeET0_PNSt15iterator_traitsISJ_E10value_typeEmT1_T2_.numbered_sgpr, 17
	.set _ZN7rocprim17ROCPRIM_400000_NS6detail30init_device_scan_by_key_kernelINS1_19lookback_scan_stateINS0_5tupleIJjbEEELb1ELb1EEEN6thrust23THRUST_200600_302600_NS6detail15normal_iteratorINS8_10device_ptrIiEEEEjNS1_16block_id_wrapperIjLb1EEEEEvT_jjPNSG_10value_typeET0_PNSt15iterator_traitsISJ_E10value_typeEmT1_T2_.num_named_barrier, 0
	.set _ZN7rocprim17ROCPRIM_400000_NS6detail30init_device_scan_by_key_kernelINS1_19lookback_scan_stateINS0_5tupleIJjbEEELb1ELb1EEEN6thrust23THRUST_200600_302600_NS6detail15normal_iteratorINS8_10device_ptrIiEEEEjNS1_16block_id_wrapperIjLb1EEEEEvT_jjPNSG_10value_typeET0_PNSt15iterator_traitsISJ_E10value_typeEmT1_T2_.private_seg_size, 0
	.set _ZN7rocprim17ROCPRIM_400000_NS6detail30init_device_scan_by_key_kernelINS1_19lookback_scan_stateINS0_5tupleIJjbEEELb1ELb1EEEN6thrust23THRUST_200600_302600_NS6detail15normal_iteratorINS8_10device_ptrIiEEEEjNS1_16block_id_wrapperIjLb1EEEEEvT_jjPNSG_10value_typeET0_PNSt15iterator_traitsISJ_E10value_typeEmT1_T2_.uses_vcc, 1
	.set _ZN7rocprim17ROCPRIM_400000_NS6detail30init_device_scan_by_key_kernelINS1_19lookback_scan_stateINS0_5tupleIJjbEEELb1ELb1EEEN6thrust23THRUST_200600_302600_NS6detail15normal_iteratorINS8_10device_ptrIiEEEEjNS1_16block_id_wrapperIjLb1EEEEEvT_jjPNSG_10value_typeET0_PNSt15iterator_traitsISJ_E10value_typeEmT1_T2_.uses_flat_scratch, 0
	.set _ZN7rocprim17ROCPRIM_400000_NS6detail30init_device_scan_by_key_kernelINS1_19lookback_scan_stateINS0_5tupleIJjbEEELb1ELb1EEEN6thrust23THRUST_200600_302600_NS6detail15normal_iteratorINS8_10device_ptrIiEEEEjNS1_16block_id_wrapperIjLb1EEEEEvT_jjPNSG_10value_typeET0_PNSt15iterator_traitsISJ_E10value_typeEmT1_T2_.has_dyn_sized_stack, 0
	.set _ZN7rocprim17ROCPRIM_400000_NS6detail30init_device_scan_by_key_kernelINS1_19lookback_scan_stateINS0_5tupleIJjbEEELb1ELb1EEEN6thrust23THRUST_200600_302600_NS6detail15normal_iteratorINS8_10device_ptrIiEEEEjNS1_16block_id_wrapperIjLb1EEEEEvT_jjPNSG_10value_typeET0_PNSt15iterator_traitsISJ_E10value_typeEmT1_T2_.has_recursion, 0
	.set _ZN7rocprim17ROCPRIM_400000_NS6detail30init_device_scan_by_key_kernelINS1_19lookback_scan_stateINS0_5tupleIJjbEEELb1ELb1EEEN6thrust23THRUST_200600_302600_NS6detail15normal_iteratorINS8_10device_ptrIiEEEEjNS1_16block_id_wrapperIjLb1EEEEEvT_jjPNSG_10value_typeET0_PNSt15iterator_traitsISJ_E10value_typeEmT1_T2_.has_indirect_call, 0
	.section	.AMDGPU.csdata,"",@progbits
; Kernel info:
; codeLenInByte = 684
; TotalNumSgprs: 19
; NumVgprs: 10
; ScratchSize: 0
; MemoryBound: 0
; FloatMode: 240
; IeeeMode: 1
; LDSByteSize: 0 bytes/workgroup (compile time only)
; SGPRBlocks: 0
; VGPRBlocks: 0
; NumSGPRsForWavesPerEU: 19
; NumVGPRsForWavesPerEU: 10
; NamedBarCnt: 0
; Occupancy: 16
; WaveLimiterHint : 0
; COMPUTE_PGM_RSRC2:SCRATCH_EN: 0
; COMPUTE_PGM_RSRC2:USER_SGPR: 2
; COMPUTE_PGM_RSRC2:TRAP_HANDLER: 0
; COMPUTE_PGM_RSRC2:TGID_X_EN: 1
; COMPUTE_PGM_RSRC2:TGID_Y_EN: 0
; COMPUTE_PGM_RSRC2:TGID_Z_EN: 0
; COMPUTE_PGM_RSRC2:TIDIG_COMP_CNT: 0
	.section	.text._ZN7rocprim17ROCPRIM_400000_NS6detail30init_device_scan_by_key_kernelINS1_19lookback_scan_stateINS0_5tupleIJjbEEELb1ELb1EEENS1_16block_id_wrapperIjLb1EEEEEvT_jjPNS9_10value_typeET0_,"axG",@progbits,_ZN7rocprim17ROCPRIM_400000_NS6detail30init_device_scan_by_key_kernelINS1_19lookback_scan_stateINS0_5tupleIJjbEEELb1ELb1EEENS1_16block_id_wrapperIjLb1EEEEEvT_jjPNS9_10value_typeET0_,comdat
	.protected	_ZN7rocprim17ROCPRIM_400000_NS6detail30init_device_scan_by_key_kernelINS1_19lookback_scan_stateINS0_5tupleIJjbEEELb1ELb1EEENS1_16block_id_wrapperIjLb1EEEEEvT_jjPNS9_10value_typeET0_ ; -- Begin function _ZN7rocprim17ROCPRIM_400000_NS6detail30init_device_scan_by_key_kernelINS1_19lookback_scan_stateINS0_5tupleIJjbEEELb1ELb1EEENS1_16block_id_wrapperIjLb1EEEEEvT_jjPNS9_10value_typeET0_
	.globl	_ZN7rocprim17ROCPRIM_400000_NS6detail30init_device_scan_by_key_kernelINS1_19lookback_scan_stateINS0_5tupleIJjbEEELb1ELb1EEENS1_16block_id_wrapperIjLb1EEEEEvT_jjPNS9_10value_typeET0_
	.p2align	8
	.type	_ZN7rocprim17ROCPRIM_400000_NS6detail30init_device_scan_by_key_kernelINS1_19lookback_scan_stateINS0_5tupleIJjbEEELb1ELb1EEENS1_16block_id_wrapperIjLb1EEEEEvT_jjPNS9_10value_typeET0_,@function
_ZN7rocprim17ROCPRIM_400000_NS6detail30init_device_scan_by_key_kernelINS1_19lookback_scan_stateINS0_5tupleIJjbEEELb1ELb1EEENS1_16block_id_wrapperIjLb1EEEEEvT_jjPNS9_10value_typeET0_: ; @_ZN7rocprim17ROCPRIM_400000_NS6detail30init_device_scan_by_key_kernelINS1_19lookback_scan_stateINS0_5tupleIJjbEEELb1ELb1EEENS1_16block_id_wrapperIjLb1EEEEEvT_jjPNS9_10value_typeET0_
; %bb.0:
	s_clause 0x1
	s_load_b32 s2, s[0:1], 0x2c
	s_load_b256 s[4:11], s[0:1], 0x0
	s_wait_xcnt 0x0
	s_bfe_u32 s0, ttmp6, 0x4000c
	s_and_b32 s1, ttmp6, 15
	s_add_co_i32 s0, s0, 1
	s_getreg_b32 s3, hwreg(HW_REG_IB_STS2, 6, 4)
	s_mul_i32 s0, ttmp9, s0
	s_delay_alu instid0(SALU_CYCLE_1)
	s_add_co_i32 s1, s1, s0
	s_wait_kmcnt 0x0
	s_and_b32 s2, s2, 0xffff
	s_cmp_eq_u32 s3, 0
	s_cselect_b32 s0, ttmp9, s1
	s_cmp_eq_u64 s[8:9], 0
	v_mad_u32 v8, s0, s2, v0
	s_cbranch_scc1 .LBB1231_10
; %bb.1:
	s_cmp_lt_u32 s7, s6
	s_mov_b32 s12, exec_lo
	s_cselect_b32 s0, s7, 0
	s_delay_alu instid0(VALU_DEP_1) | instid1(SALU_CYCLE_1)
	v_cmpx_eq_u32_e64 s0, v8
	s_cbranch_execz .LBB1231_9
; %bb.2:
	s_add_co_i32 s0, s7, 32
	s_mov_b32 s1, 0
	v_mov_b32_e32 v5, 0
	s_lshl_b64 s[2:3], s[0:1], 4
	s_mov_b32 s0, exec_lo
	s_add_nc_u64 s[2:3], s[4:5], s[2:3]
	s_delay_alu instid0(SALU_CYCLE_1) | instskip(SKIP_2) | instid1(VALU_DEP_1)
	v_mov_b64_e32 v[0:1], s[2:3]
	;;#ASMSTART
	global_load_b128 v[0:3], v[0:1] off scope:SCOPE_DEV	
s_wait_loadcnt 0x0
	;;#ASMEND
	v_and_b32_e32 v4, 0xff, v2
	v_cmpx_eq_u64_e32 0, v[4:5]
	s_cbranch_execz .LBB1231_8
; %bb.3:
	v_mov_b64_e32 v[6:7], s[2:3]
	s_mov_b32 s2, 1
.LBB1231_4:                             ; =>This Loop Header: Depth=1
                                        ;     Child Loop BB1231_5 Depth 2
	s_delay_alu instid0(SALU_CYCLE_1)
	s_mov_b32 s3, s2
.LBB1231_5:                             ;   Parent Loop BB1231_4 Depth=1
                                        ; =>  This Inner Loop Header: Depth=2
	s_delay_alu instid0(SALU_CYCLE_1)
	s_add_co_i32 s3, s3, -1
	s_sleep 1
	s_cmp_eq_u32 s3, 0
	s_cbranch_scc0 .LBB1231_5
; %bb.6:                                ;   in Loop: Header=BB1231_4 Depth=1
	;;#ASMSTART
	global_load_b128 v[0:3], v[6:7] off scope:SCOPE_DEV	
s_wait_loadcnt 0x0
	;;#ASMEND
	v_and_b32_e32 v4, 0xff, v2
	s_cmp_lt_u32 s2, 32
	s_cselect_b32 s3, -1, 0
	s_delay_alu instid0(VALU_DEP_1) | instskip(SKIP_3) | instid1(SALU_CYCLE_1)
	v_cmp_ne_u64_e32 vcc_lo, 0, v[4:5]
	s_cmp_lg_u32 s3, 0
	s_add_co_ci_u32 s2, s2, 0
	s_or_b32 s1, vcc_lo, s1
	s_and_not1_b32 exec_lo, exec_lo, s1
	s_cbranch_execnz .LBB1231_4
; %bb.7:
	s_or_b32 exec_lo, exec_lo, s1
.LBB1231_8:
	s_delay_alu instid0(SALU_CYCLE_1)
	s_or_b32 exec_lo, exec_lo, s0
	v_mov_b32_e32 v2, 0
	s_clause 0x1
	global_store_b32 v2, v0, s[8:9]
	global_store_b8 v2, v1, s[8:9] offset:4
.LBB1231_9:
	s_wait_xcnt 0x0
	s_or_b32 exec_lo, exec_lo, s12
.LBB1231_10:
	s_delay_alu instid0(SALU_CYCLE_1) | instskip(NEXT) | instid1(VALU_DEP_1)
	s_mov_b32 s0, exec_lo
	v_cmpx_eq_u32_e32 0, v8
	s_cbranch_execz .LBB1231_12
; %bb.11:
	v_mov_b32_e32 v0, 0
	global_store_b32 v0, v0, s[10:11]
.LBB1231_12:
	s_wait_xcnt 0x0
	s_or_b32 exec_lo, exec_lo, s0
	s_delay_alu instid0(SALU_CYCLE_1)
	s_mov_b32 s0, exec_lo
	v_cmpx_gt_u32_e64 s6, v8
	s_cbranch_execz .LBB1231_14
; %bb.13:
	v_dual_mov_b32 v0, 0 :: v_dual_add_nc_u32 v4, 32, v8
	s_delay_alu instid0(VALU_DEP_1)
	v_dual_mov_b32 v1, v0 :: v_dual_mov_b32 v2, v0
	v_mov_b32_e32 v3, v0
	global_store_b128 v4, v[0:3], s[4:5] scale_offset
.LBB1231_14:
	s_wait_xcnt 0x0
	s_or_b32 exec_lo, exec_lo, s0
	s_delay_alu instid0(SALU_CYCLE_1)
	s_mov_b32 s0, exec_lo
	v_cmpx_gt_u32_e32 32, v8
	s_cbranch_execz .LBB1231_16
; %bb.15:
	v_mov_b32_e32 v0, 0
	s_delay_alu instid0(VALU_DEP_1)
	v_dual_mov_b32 v2, 0xff :: v_dual_mov_b32 v1, v0
	v_mov_b32_e32 v3, v0
	global_store_b128 v8, v[0:3], s[4:5] scale_offset
.LBB1231_16:
	s_endpgm
	.section	.rodata,"a",@progbits
	.p2align	6, 0x0
	.amdhsa_kernel _ZN7rocprim17ROCPRIM_400000_NS6detail30init_device_scan_by_key_kernelINS1_19lookback_scan_stateINS0_5tupleIJjbEEELb1ELb1EEENS1_16block_id_wrapperIjLb1EEEEEvT_jjPNS9_10value_typeET0_
		.amdhsa_group_segment_fixed_size 0
		.amdhsa_private_segment_fixed_size 0
		.amdhsa_kernarg_size 288
		.amdhsa_user_sgpr_count 2
		.amdhsa_user_sgpr_dispatch_ptr 0
		.amdhsa_user_sgpr_queue_ptr 0
		.amdhsa_user_sgpr_kernarg_segment_ptr 1
		.amdhsa_user_sgpr_dispatch_id 0
		.amdhsa_user_sgpr_kernarg_preload_length 0
		.amdhsa_user_sgpr_kernarg_preload_offset 0
		.amdhsa_user_sgpr_private_segment_size 0
		.amdhsa_wavefront_size32 1
		.amdhsa_uses_dynamic_stack 0
		.amdhsa_enable_private_segment 0
		.amdhsa_system_sgpr_workgroup_id_x 1
		.amdhsa_system_sgpr_workgroup_id_y 0
		.amdhsa_system_sgpr_workgroup_id_z 0
		.amdhsa_system_sgpr_workgroup_info 0
		.amdhsa_system_vgpr_workitem_id 0
		.amdhsa_next_free_vgpr 9
		.amdhsa_next_free_sgpr 13
		.amdhsa_named_barrier_count 0
		.amdhsa_reserve_vcc 1
		.amdhsa_float_round_mode_32 0
		.amdhsa_float_round_mode_16_64 0
		.amdhsa_float_denorm_mode_32 3
		.amdhsa_float_denorm_mode_16_64 3
		.amdhsa_fp16_overflow 0
		.amdhsa_memory_ordered 1
		.amdhsa_forward_progress 1
		.amdhsa_inst_pref_size 4
		.amdhsa_round_robin_scheduling 0
		.amdhsa_exception_fp_ieee_invalid_op 0
		.amdhsa_exception_fp_denorm_src 0
		.amdhsa_exception_fp_ieee_div_zero 0
		.amdhsa_exception_fp_ieee_overflow 0
		.amdhsa_exception_fp_ieee_underflow 0
		.amdhsa_exception_fp_ieee_inexact 0
		.amdhsa_exception_int_div_zero 0
	.end_amdhsa_kernel
	.section	.text._ZN7rocprim17ROCPRIM_400000_NS6detail30init_device_scan_by_key_kernelINS1_19lookback_scan_stateINS0_5tupleIJjbEEELb1ELb1EEENS1_16block_id_wrapperIjLb1EEEEEvT_jjPNS9_10value_typeET0_,"axG",@progbits,_ZN7rocprim17ROCPRIM_400000_NS6detail30init_device_scan_by_key_kernelINS1_19lookback_scan_stateINS0_5tupleIJjbEEELb1ELb1EEENS1_16block_id_wrapperIjLb1EEEEEvT_jjPNS9_10value_typeET0_,comdat
.Lfunc_end1231:
	.size	_ZN7rocprim17ROCPRIM_400000_NS6detail30init_device_scan_by_key_kernelINS1_19lookback_scan_stateINS0_5tupleIJjbEEELb1ELb1EEENS1_16block_id_wrapperIjLb1EEEEEvT_jjPNS9_10value_typeET0_, .Lfunc_end1231-_ZN7rocprim17ROCPRIM_400000_NS6detail30init_device_scan_by_key_kernelINS1_19lookback_scan_stateINS0_5tupleIJjbEEELb1ELb1EEENS1_16block_id_wrapperIjLb1EEEEEvT_jjPNS9_10value_typeET0_
                                        ; -- End function
	.set _ZN7rocprim17ROCPRIM_400000_NS6detail30init_device_scan_by_key_kernelINS1_19lookback_scan_stateINS0_5tupleIJjbEEELb1ELb1EEENS1_16block_id_wrapperIjLb1EEEEEvT_jjPNS9_10value_typeET0_.num_vgpr, 9
	.set _ZN7rocprim17ROCPRIM_400000_NS6detail30init_device_scan_by_key_kernelINS1_19lookback_scan_stateINS0_5tupleIJjbEEELb1ELb1EEENS1_16block_id_wrapperIjLb1EEEEEvT_jjPNS9_10value_typeET0_.num_agpr, 0
	.set _ZN7rocprim17ROCPRIM_400000_NS6detail30init_device_scan_by_key_kernelINS1_19lookback_scan_stateINS0_5tupleIJjbEEELb1ELb1EEENS1_16block_id_wrapperIjLb1EEEEEvT_jjPNS9_10value_typeET0_.numbered_sgpr, 13
	.set _ZN7rocprim17ROCPRIM_400000_NS6detail30init_device_scan_by_key_kernelINS1_19lookback_scan_stateINS0_5tupleIJjbEEELb1ELb1EEENS1_16block_id_wrapperIjLb1EEEEEvT_jjPNS9_10value_typeET0_.num_named_barrier, 0
	.set _ZN7rocprim17ROCPRIM_400000_NS6detail30init_device_scan_by_key_kernelINS1_19lookback_scan_stateINS0_5tupleIJjbEEELb1ELb1EEENS1_16block_id_wrapperIjLb1EEEEEvT_jjPNS9_10value_typeET0_.private_seg_size, 0
	.set _ZN7rocprim17ROCPRIM_400000_NS6detail30init_device_scan_by_key_kernelINS1_19lookback_scan_stateINS0_5tupleIJjbEEELb1ELb1EEENS1_16block_id_wrapperIjLb1EEEEEvT_jjPNS9_10value_typeET0_.uses_vcc, 1
	.set _ZN7rocprim17ROCPRIM_400000_NS6detail30init_device_scan_by_key_kernelINS1_19lookback_scan_stateINS0_5tupleIJjbEEELb1ELb1EEENS1_16block_id_wrapperIjLb1EEEEEvT_jjPNS9_10value_typeET0_.uses_flat_scratch, 0
	.set _ZN7rocprim17ROCPRIM_400000_NS6detail30init_device_scan_by_key_kernelINS1_19lookback_scan_stateINS0_5tupleIJjbEEELb1ELb1EEENS1_16block_id_wrapperIjLb1EEEEEvT_jjPNS9_10value_typeET0_.has_dyn_sized_stack, 0
	.set _ZN7rocprim17ROCPRIM_400000_NS6detail30init_device_scan_by_key_kernelINS1_19lookback_scan_stateINS0_5tupleIJjbEEELb1ELb1EEENS1_16block_id_wrapperIjLb1EEEEEvT_jjPNS9_10value_typeET0_.has_recursion, 0
	.set _ZN7rocprim17ROCPRIM_400000_NS6detail30init_device_scan_by_key_kernelINS1_19lookback_scan_stateINS0_5tupleIJjbEEELb1ELb1EEENS1_16block_id_wrapperIjLb1EEEEEvT_jjPNS9_10value_typeET0_.has_indirect_call, 0
	.section	.AMDGPU.csdata,"",@progbits
; Kernel info:
; codeLenInByte = 464
; TotalNumSgprs: 15
; NumVgprs: 9
; ScratchSize: 0
; MemoryBound: 0
; FloatMode: 240
; IeeeMode: 1
; LDSByteSize: 0 bytes/workgroup (compile time only)
; SGPRBlocks: 0
; VGPRBlocks: 0
; NumSGPRsForWavesPerEU: 15
; NumVGPRsForWavesPerEU: 9
; NamedBarCnt: 0
; Occupancy: 16
; WaveLimiterHint : 0
; COMPUTE_PGM_RSRC2:SCRATCH_EN: 0
; COMPUTE_PGM_RSRC2:USER_SGPR: 2
; COMPUTE_PGM_RSRC2:TRAP_HANDLER: 0
; COMPUTE_PGM_RSRC2:TGID_X_EN: 1
; COMPUTE_PGM_RSRC2:TGID_Y_EN: 0
; COMPUTE_PGM_RSRC2:TGID_Z_EN: 0
; COMPUTE_PGM_RSRC2:TIDIG_COMP_CNT: 0
	.section	.text._ZN7rocprim17ROCPRIM_400000_NS6detail17trampoline_kernelINS0_14default_configENS1_27scan_by_key_config_selectorIijEEZZNS1_16scan_by_key_implILNS1_25lookback_scan_determinismE0ELb0ES3_N6thrust23THRUST_200600_302600_NS6detail15normal_iteratorINS9_10device_ptrIiEEEENSB_INSC_IjEEEESG_jNS9_4plusIvEENS9_8equal_toIvEEjEE10hipError_tPvRmT2_T3_T4_T5_mT6_T7_P12ihipStream_tbENKUlT_T0_E_clISt17integral_constantIbLb1EES11_EEDaSW_SX_EUlSW_E_NS1_11comp_targetILNS1_3genE0ELNS1_11target_archE4294967295ELNS1_3gpuE0ELNS1_3repE0EEENS1_30default_config_static_selectorELNS0_4arch9wavefront6targetE0EEEvT1_,"axG",@progbits,_ZN7rocprim17ROCPRIM_400000_NS6detail17trampoline_kernelINS0_14default_configENS1_27scan_by_key_config_selectorIijEEZZNS1_16scan_by_key_implILNS1_25lookback_scan_determinismE0ELb0ES3_N6thrust23THRUST_200600_302600_NS6detail15normal_iteratorINS9_10device_ptrIiEEEENSB_INSC_IjEEEESG_jNS9_4plusIvEENS9_8equal_toIvEEjEE10hipError_tPvRmT2_T3_T4_T5_mT6_T7_P12ihipStream_tbENKUlT_T0_E_clISt17integral_constantIbLb1EES11_EEDaSW_SX_EUlSW_E_NS1_11comp_targetILNS1_3genE0ELNS1_11target_archE4294967295ELNS1_3gpuE0ELNS1_3repE0EEENS1_30default_config_static_selectorELNS0_4arch9wavefront6targetE0EEEvT1_,comdat
	.protected	_ZN7rocprim17ROCPRIM_400000_NS6detail17trampoline_kernelINS0_14default_configENS1_27scan_by_key_config_selectorIijEEZZNS1_16scan_by_key_implILNS1_25lookback_scan_determinismE0ELb0ES3_N6thrust23THRUST_200600_302600_NS6detail15normal_iteratorINS9_10device_ptrIiEEEENSB_INSC_IjEEEESG_jNS9_4plusIvEENS9_8equal_toIvEEjEE10hipError_tPvRmT2_T3_T4_T5_mT6_T7_P12ihipStream_tbENKUlT_T0_E_clISt17integral_constantIbLb1EES11_EEDaSW_SX_EUlSW_E_NS1_11comp_targetILNS1_3genE0ELNS1_11target_archE4294967295ELNS1_3gpuE0ELNS1_3repE0EEENS1_30default_config_static_selectorELNS0_4arch9wavefront6targetE0EEEvT1_ ; -- Begin function _ZN7rocprim17ROCPRIM_400000_NS6detail17trampoline_kernelINS0_14default_configENS1_27scan_by_key_config_selectorIijEEZZNS1_16scan_by_key_implILNS1_25lookback_scan_determinismE0ELb0ES3_N6thrust23THRUST_200600_302600_NS6detail15normal_iteratorINS9_10device_ptrIiEEEENSB_INSC_IjEEEESG_jNS9_4plusIvEENS9_8equal_toIvEEjEE10hipError_tPvRmT2_T3_T4_T5_mT6_T7_P12ihipStream_tbENKUlT_T0_E_clISt17integral_constantIbLb1EES11_EEDaSW_SX_EUlSW_E_NS1_11comp_targetILNS1_3genE0ELNS1_11target_archE4294967295ELNS1_3gpuE0ELNS1_3repE0EEENS1_30default_config_static_selectorELNS0_4arch9wavefront6targetE0EEEvT1_
	.globl	_ZN7rocprim17ROCPRIM_400000_NS6detail17trampoline_kernelINS0_14default_configENS1_27scan_by_key_config_selectorIijEEZZNS1_16scan_by_key_implILNS1_25lookback_scan_determinismE0ELb0ES3_N6thrust23THRUST_200600_302600_NS6detail15normal_iteratorINS9_10device_ptrIiEEEENSB_INSC_IjEEEESG_jNS9_4plusIvEENS9_8equal_toIvEEjEE10hipError_tPvRmT2_T3_T4_T5_mT6_T7_P12ihipStream_tbENKUlT_T0_E_clISt17integral_constantIbLb1EES11_EEDaSW_SX_EUlSW_E_NS1_11comp_targetILNS1_3genE0ELNS1_11target_archE4294967295ELNS1_3gpuE0ELNS1_3repE0EEENS1_30default_config_static_selectorELNS0_4arch9wavefront6targetE0EEEvT1_
	.p2align	8
	.type	_ZN7rocprim17ROCPRIM_400000_NS6detail17trampoline_kernelINS0_14default_configENS1_27scan_by_key_config_selectorIijEEZZNS1_16scan_by_key_implILNS1_25lookback_scan_determinismE0ELb0ES3_N6thrust23THRUST_200600_302600_NS6detail15normal_iteratorINS9_10device_ptrIiEEEENSB_INSC_IjEEEESG_jNS9_4plusIvEENS9_8equal_toIvEEjEE10hipError_tPvRmT2_T3_T4_T5_mT6_T7_P12ihipStream_tbENKUlT_T0_E_clISt17integral_constantIbLb1EES11_EEDaSW_SX_EUlSW_E_NS1_11comp_targetILNS1_3genE0ELNS1_11target_archE4294967295ELNS1_3gpuE0ELNS1_3repE0EEENS1_30default_config_static_selectorELNS0_4arch9wavefront6targetE0EEEvT1_,@function
_ZN7rocprim17ROCPRIM_400000_NS6detail17trampoline_kernelINS0_14default_configENS1_27scan_by_key_config_selectorIijEEZZNS1_16scan_by_key_implILNS1_25lookback_scan_determinismE0ELb0ES3_N6thrust23THRUST_200600_302600_NS6detail15normal_iteratorINS9_10device_ptrIiEEEENSB_INSC_IjEEEESG_jNS9_4plusIvEENS9_8equal_toIvEEjEE10hipError_tPvRmT2_T3_T4_T5_mT6_T7_P12ihipStream_tbENKUlT_T0_E_clISt17integral_constantIbLb1EES11_EEDaSW_SX_EUlSW_E_NS1_11comp_targetILNS1_3genE0ELNS1_11target_archE4294967295ELNS1_3gpuE0ELNS1_3repE0EEENS1_30default_config_static_selectorELNS0_4arch9wavefront6targetE0EEEvT1_: ; @_ZN7rocprim17ROCPRIM_400000_NS6detail17trampoline_kernelINS0_14default_configENS1_27scan_by_key_config_selectorIijEEZZNS1_16scan_by_key_implILNS1_25lookback_scan_determinismE0ELb0ES3_N6thrust23THRUST_200600_302600_NS6detail15normal_iteratorINS9_10device_ptrIiEEEENSB_INSC_IjEEEESG_jNS9_4plusIvEENS9_8equal_toIvEEjEE10hipError_tPvRmT2_T3_T4_T5_mT6_T7_P12ihipStream_tbENKUlT_T0_E_clISt17integral_constantIbLb1EES11_EEDaSW_SX_EUlSW_E_NS1_11comp_targetILNS1_3genE0ELNS1_11target_archE4294967295ELNS1_3gpuE0ELNS1_3repE0EEENS1_30default_config_static_selectorELNS0_4arch9wavefront6targetE0EEEvT1_
; %bb.0:
	s_endpgm
	.section	.rodata,"a",@progbits
	.p2align	6, 0x0
	.amdhsa_kernel _ZN7rocprim17ROCPRIM_400000_NS6detail17trampoline_kernelINS0_14default_configENS1_27scan_by_key_config_selectorIijEEZZNS1_16scan_by_key_implILNS1_25lookback_scan_determinismE0ELb0ES3_N6thrust23THRUST_200600_302600_NS6detail15normal_iteratorINS9_10device_ptrIiEEEENSB_INSC_IjEEEESG_jNS9_4plusIvEENS9_8equal_toIvEEjEE10hipError_tPvRmT2_T3_T4_T5_mT6_T7_P12ihipStream_tbENKUlT_T0_E_clISt17integral_constantIbLb1EES11_EEDaSW_SX_EUlSW_E_NS1_11comp_targetILNS1_3genE0ELNS1_11target_archE4294967295ELNS1_3gpuE0ELNS1_3repE0EEENS1_30default_config_static_selectorELNS0_4arch9wavefront6targetE0EEEvT1_
		.amdhsa_group_segment_fixed_size 0
		.amdhsa_private_segment_fixed_size 0
		.amdhsa_kernarg_size 112
		.amdhsa_user_sgpr_count 2
		.amdhsa_user_sgpr_dispatch_ptr 0
		.amdhsa_user_sgpr_queue_ptr 0
		.amdhsa_user_sgpr_kernarg_segment_ptr 1
		.amdhsa_user_sgpr_dispatch_id 0
		.amdhsa_user_sgpr_kernarg_preload_length 0
		.amdhsa_user_sgpr_kernarg_preload_offset 0
		.amdhsa_user_sgpr_private_segment_size 0
		.amdhsa_wavefront_size32 1
		.amdhsa_uses_dynamic_stack 0
		.amdhsa_enable_private_segment 0
		.amdhsa_system_sgpr_workgroup_id_x 1
		.amdhsa_system_sgpr_workgroup_id_y 0
		.amdhsa_system_sgpr_workgroup_id_z 0
		.amdhsa_system_sgpr_workgroup_info 0
		.amdhsa_system_vgpr_workitem_id 0
		.amdhsa_next_free_vgpr 1
		.amdhsa_next_free_sgpr 1
		.amdhsa_named_barrier_count 0
		.amdhsa_reserve_vcc 0
		.amdhsa_float_round_mode_32 0
		.amdhsa_float_round_mode_16_64 0
		.amdhsa_float_denorm_mode_32 3
		.amdhsa_float_denorm_mode_16_64 3
		.amdhsa_fp16_overflow 0
		.amdhsa_memory_ordered 1
		.amdhsa_forward_progress 1
		.amdhsa_inst_pref_size 1
		.amdhsa_round_robin_scheduling 0
		.amdhsa_exception_fp_ieee_invalid_op 0
		.amdhsa_exception_fp_denorm_src 0
		.amdhsa_exception_fp_ieee_div_zero 0
		.amdhsa_exception_fp_ieee_overflow 0
		.amdhsa_exception_fp_ieee_underflow 0
		.amdhsa_exception_fp_ieee_inexact 0
		.amdhsa_exception_int_div_zero 0
	.end_amdhsa_kernel
	.section	.text._ZN7rocprim17ROCPRIM_400000_NS6detail17trampoline_kernelINS0_14default_configENS1_27scan_by_key_config_selectorIijEEZZNS1_16scan_by_key_implILNS1_25lookback_scan_determinismE0ELb0ES3_N6thrust23THRUST_200600_302600_NS6detail15normal_iteratorINS9_10device_ptrIiEEEENSB_INSC_IjEEEESG_jNS9_4plusIvEENS9_8equal_toIvEEjEE10hipError_tPvRmT2_T3_T4_T5_mT6_T7_P12ihipStream_tbENKUlT_T0_E_clISt17integral_constantIbLb1EES11_EEDaSW_SX_EUlSW_E_NS1_11comp_targetILNS1_3genE0ELNS1_11target_archE4294967295ELNS1_3gpuE0ELNS1_3repE0EEENS1_30default_config_static_selectorELNS0_4arch9wavefront6targetE0EEEvT1_,"axG",@progbits,_ZN7rocprim17ROCPRIM_400000_NS6detail17trampoline_kernelINS0_14default_configENS1_27scan_by_key_config_selectorIijEEZZNS1_16scan_by_key_implILNS1_25lookback_scan_determinismE0ELb0ES3_N6thrust23THRUST_200600_302600_NS6detail15normal_iteratorINS9_10device_ptrIiEEEENSB_INSC_IjEEEESG_jNS9_4plusIvEENS9_8equal_toIvEEjEE10hipError_tPvRmT2_T3_T4_T5_mT6_T7_P12ihipStream_tbENKUlT_T0_E_clISt17integral_constantIbLb1EES11_EEDaSW_SX_EUlSW_E_NS1_11comp_targetILNS1_3genE0ELNS1_11target_archE4294967295ELNS1_3gpuE0ELNS1_3repE0EEENS1_30default_config_static_selectorELNS0_4arch9wavefront6targetE0EEEvT1_,comdat
.Lfunc_end1232:
	.size	_ZN7rocprim17ROCPRIM_400000_NS6detail17trampoline_kernelINS0_14default_configENS1_27scan_by_key_config_selectorIijEEZZNS1_16scan_by_key_implILNS1_25lookback_scan_determinismE0ELb0ES3_N6thrust23THRUST_200600_302600_NS6detail15normal_iteratorINS9_10device_ptrIiEEEENSB_INSC_IjEEEESG_jNS9_4plusIvEENS9_8equal_toIvEEjEE10hipError_tPvRmT2_T3_T4_T5_mT6_T7_P12ihipStream_tbENKUlT_T0_E_clISt17integral_constantIbLb1EES11_EEDaSW_SX_EUlSW_E_NS1_11comp_targetILNS1_3genE0ELNS1_11target_archE4294967295ELNS1_3gpuE0ELNS1_3repE0EEENS1_30default_config_static_selectorELNS0_4arch9wavefront6targetE0EEEvT1_, .Lfunc_end1232-_ZN7rocprim17ROCPRIM_400000_NS6detail17trampoline_kernelINS0_14default_configENS1_27scan_by_key_config_selectorIijEEZZNS1_16scan_by_key_implILNS1_25lookback_scan_determinismE0ELb0ES3_N6thrust23THRUST_200600_302600_NS6detail15normal_iteratorINS9_10device_ptrIiEEEENSB_INSC_IjEEEESG_jNS9_4plusIvEENS9_8equal_toIvEEjEE10hipError_tPvRmT2_T3_T4_T5_mT6_T7_P12ihipStream_tbENKUlT_T0_E_clISt17integral_constantIbLb1EES11_EEDaSW_SX_EUlSW_E_NS1_11comp_targetILNS1_3genE0ELNS1_11target_archE4294967295ELNS1_3gpuE0ELNS1_3repE0EEENS1_30default_config_static_selectorELNS0_4arch9wavefront6targetE0EEEvT1_
                                        ; -- End function
	.set _ZN7rocprim17ROCPRIM_400000_NS6detail17trampoline_kernelINS0_14default_configENS1_27scan_by_key_config_selectorIijEEZZNS1_16scan_by_key_implILNS1_25lookback_scan_determinismE0ELb0ES3_N6thrust23THRUST_200600_302600_NS6detail15normal_iteratorINS9_10device_ptrIiEEEENSB_INSC_IjEEEESG_jNS9_4plusIvEENS9_8equal_toIvEEjEE10hipError_tPvRmT2_T3_T4_T5_mT6_T7_P12ihipStream_tbENKUlT_T0_E_clISt17integral_constantIbLb1EES11_EEDaSW_SX_EUlSW_E_NS1_11comp_targetILNS1_3genE0ELNS1_11target_archE4294967295ELNS1_3gpuE0ELNS1_3repE0EEENS1_30default_config_static_selectorELNS0_4arch9wavefront6targetE0EEEvT1_.num_vgpr, 0
	.set _ZN7rocprim17ROCPRIM_400000_NS6detail17trampoline_kernelINS0_14default_configENS1_27scan_by_key_config_selectorIijEEZZNS1_16scan_by_key_implILNS1_25lookback_scan_determinismE0ELb0ES3_N6thrust23THRUST_200600_302600_NS6detail15normal_iteratorINS9_10device_ptrIiEEEENSB_INSC_IjEEEESG_jNS9_4plusIvEENS9_8equal_toIvEEjEE10hipError_tPvRmT2_T3_T4_T5_mT6_T7_P12ihipStream_tbENKUlT_T0_E_clISt17integral_constantIbLb1EES11_EEDaSW_SX_EUlSW_E_NS1_11comp_targetILNS1_3genE0ELNS1_11target_archE4294967295ELNS1_3gpuE0ELNS1_3repE0EEENS1_30default_config_static_selectorELNS0_4arch9wavefront6targetE0EEEvT1_.num_agpr, 0
	.set _ZN7rocprim17ROCPRIM_400000_NS6detail17trampoline_kernelINS0_14default_configENS1_27scan_by_key_config_selectorIijEEZZNS1_16scan_by_key_implILNS1_25lookback_scan_determinismE0ELb0ES3_N6thrust23THRUST_200600_302600_NS6detail15normal_iteratorINS9_10device_ptrIiEEEENSB_INSC_IjEEEESG_jNS9_4plusIvEENS9_8equal_toIvEEjEE10hipError_tPvRmT2_T3_T4_T5_mT6_T7_P12ihipStream_tbENKUlT_T0_E_clISt17integral_constantIbLb1EES11_EEDaSW_SX_EUlSW_E_NS1_11comp_targetILNS1_3genE0ELNS1_11target_archE4294967295ELNS1_3gpuE0ELNS1_3repE0EEENS1_30default_config_static_selectorELNS0_4arch9wavefront6targetE0EEEvT1_.numbered_sgpr, 0
	.set _ZN7rocprim17ROCPRIM_400000_NS6detail17trampoline_kernelINS0_14default_configENS1_27scan_by_key_config_selectorIijEEZZNS1_16scan_by_key_implILNS1_25lookback_scan_determinismE0ELb0ES3_N6thrust23THRUST_200600_302600_NS6detail15normal_iteratorINS9_10device_ptrIiEEEENSB_INSC_IjEEEESG_jNS9_4plusIvEENS9_8equal_toIvEEjEE10hipError_tPvRmT2_T3_T4_T5_mT6_T7_P12ihipStream_tbENKUlT_T0_E_clISt17integral_constantIbLb1EES11_EEDaSW_SX_EUlSW_E_NS1_11comp_targetILNS1_3genE0ELNS1_11target_archE4294967295ELNS1_3gpuE0ELNS1_3repE0EEENS1_30default_config_static_selectorELNS0_4arch9wavefront6targetE0EEEvT1_.num_named_barrier, 0
	.set _ZN7rocprim17ROCPRIM_400000_NS6detail17trampoline_kernelINS0_14default_configENS1_27scan_by_key_config_selectorIijEEZZNS1_16scan_by_key_implILNS1_25lookback_scan_determinismE0ELb0ES3_N6thrust23THRUST_200600_302600_NS6detail15normal_iteratorINS9_10device_ptrIiEEEENSB_INSC_IjEEEESG_jNS9_4plusIvEENS9_8equal_toIvEEjEE10hipError_tPvRmT2_T3_T4_T5_mT6_T7_P12ihipStream_tbENKUlT_T0_E_clISt17integral_constantIbLb1EES11_EEDaSW_SX_EUlSW_E_NS1_11comp_targetILNS1_3genE0ELNS1_11target_archE4294967295ELNS1_3gpuE0ELNS1_3repE0EEENS1_30default_config_static_selectorELNS0_4arch9wavefront6targetE0EEEvT1_.private_seg_size, 0
	.set _ZN7rocprim17ROCPRIM_400000_NS6detail17trampoline_kernelINS0_14default_configENS1_27scan_by_key_config_selectorIijEEZZNS1_16scan_by_key_implILNS1_25lookback_scan_determinismE0ELb0ES3_N6thrust23THRUST_200600_302600_NS6detail15normal_iteratorINS9_10device_ptrIiEEEENSB_INSC_IjEEEESG_jNS9_4plusIvEENS9_8equal_toIvEEjEE10hipError_tPvRmT2_T3_T4_T5_mT6_T7_P12ihipStream_tbENKUlT_T0_E_clISt17integral_constantIbLb1EES11_EEDaSW_SX_EUlSW_E_NS1_11comp_targetILNS1_3genE0ELNS1_11target_archE4294967295ELNS1_3gpuE0ELNS1_3repE0EEENS1_30default_config_static_selectorELNS0_4arch9wavefront6targetE0EEEvT1_.uses_vcc, 0
	.set _ZN7rocprim17ROCPRIM_400000_NS6detail17trampoline_kernelINS0_14default_configENS1_27scan_by_key_config_selectorIijEEZZNS1_16scan_by_key_implILNS1_25lookback_scan_determinismE0ELb0ES3_N6thrust23THRUST_200600_302600_NS6detail15normal_iteratorINS9_10device_ptrIiEEEENSB_INSC_IjEEEESG_jNS9_4plusIvEENS9_8equal_toIvEEjEE10hipError_tPvRmT2_T3_T4_T5_mT6_T7_P12ihipStream_tbENKUlT_T0_E_clISt17integral_constantIbLb1EES11_EEDaSW_SX_EUlSW_E_NS1_11comp_targetILNS1_3genE0ELNS1_11target_archE4294967295ELNS1_3gpuE0ELNS1_3repE0EEENS1_30default_config_static_selectorELNS0_4arch9wavefront6targetE0EEEvT1_.uses_flat_scratch, 0
	.set _ZN7rocprim17ROCPRIM_400000_NS6detail17trampoline_kernelINS0_14default_configENS1_27scan_by_key_config_selectorIijEEZZNS1_16scan_by_key_implILNS1_25lookback_scan_determinismE0ELb0ES3_N6thrust23THRUST_200600_302600_NS6detail15normal_iteratorINS9_10device_ptrIiEEEENSB_INSC_IjEEEESG_jNS9_4plusIvEENS9_8equal_toIvEEjEE10hipError_tPvRmT2_T3_T4_T5_mT6_T7_P12ihipStream_tbENKUlT_T0_E_clISt17integral_constantIbLb1EES11_EEDaSW_SX_EUlSW_E_NS1_11comp_targetILNS1_3genE0ELNS1_11target_archE4294967295ELNS1_3gpuE0ELNS1_3repE0EEENS1_30default_config_static_selectorELNS0_4arch9wavefront6targetE0EEEvT1_.has_dyn_sized_stack, 0
	.set _ZN7rocprim17ROCPRIM_400000_NS6detail17trampoline_kernelINS0_14default_configENS1_27scan_by_key_config_selectorIijEEZZNS1_16scan_by_key_implILNS1_25lookback_scan_determinismE0ELb0ES3_N6thrust23THRUST_200600_302600_NS6detail15normal_iteratorINS9_10device_ptrIiEEEENSB_INSC_IjEEEESG_jNS9_4plusIvEENS9_8equal_toIvEEjEE10hipError_tPvRmT2_T3_T4_T5_mT6_T7_P12ihipStream_tbENKUlT_T0_E_clISt17integral_constantIbLb1EES11_EEDaSW_SX_EUlSW_E_NS1_11comp_targetILNS1_3genE0ELNS1_11target_archE4294967295ELNS1_3gpuE0ELNS1_3repE0EEENS1_30default_config_static_selectorELNS0_4arch9wavefront6targetE0EEEvT1_.has_recursion, 0
	.set _ZN7rocprim17ROCPRIM_400000_NS6detail17trampoline_kernelINS0_14default_configENS1_27scan_by_key_config_selectorIijEEZZNS1_16scan_by_key_implILNS1_25lookback_scan_determinismE0ELb0ES3_N6thrust23THRUST_200600_302600_NS6detail15normal_iteratorINS9_10device_ptrIiEEEENSB_INSC_IjEEEESG_jNS9_4plusIvEENS9_8equal_toIvEEjEE10hipError_tPvRmT2_T3_T4_T5_mT6_T7_P12ihipStream_tbENKUlT_T0_E_clISt17integral_constantIbLb1EES11_EEDaSW_SX_EUlSW_E_NS1_11comp_targetILNS1_3genE0ELNS1_11target_archE4294967295ELNS1_3gpuE0ELNS1_3repE0EEENS1_30default_config_static_selectorELNS0_4arch9wavefront6targetE0EEEvT1_.has_indirect_call, 0
	.section	.AMDGPU.csdata,"",@progbits
; Kernel info:
; codeLenInByte = 4
; TotalNumSgprs: 0
; NumVgprs: 0
; ScratchSize: 0
; MemoryBound: 0
; FloatMode: 240
; IeeeMode: 1
; LDSByteSize: 0 bytes/workgroup (compile time only)
; SGPRBlocks: 0
; VGPRBlocks: 0
; NumSGPRsForWavesPerEU: 1
; NumVGPRsForWavesPerEU: 1
; NamedBarCnt: 0
; Occupancy: 16
; WaveLimiterHint : 0
; COMPUTE_PGM_RSRC2:SCRATCH_EN: 0
; COMPUTE_PGM_RSRC2:USER_SGPR: 2
; COMPUTE_PGM_RSRC2:TRAP_HANDLER: 0
; COMPUTE_PGM_RSRC2:TGID_X_EN: 1
; COMPUTE_PGM_RSRC2:TGID_Y_EN: 0
; COMPUTE_PGM_RSRC2:TGID_Z_EN: 0
; COMPUTE_PGM_RSRC2:TIDIG_COMP_CNT: 0
	.section	.text._ZN7rocprim17ROCPRIM_400000_NS6detail17trampoline_kernelINS0_14default_configENS1_27scan_by_key_config_selectorIijEEZZNS1_16scan_by_key_implILNS1_25lookback_scan_determinismE0ELb0ES3_N6thrust23THRUST_200600_302600_NS6detail15normal_iteratorINS9_10device_ptrIiEEEENSB_INSC_IjEEEESG_jNS9_4plusIvEENS9_8equal_toIvEEjEE10hipError_tPvRmT2_T3_T4_T5_mT6_T7_P12ihipStream_tbENKUlT_T0_E_clISt17integral_constantIbLb1EES11_EEDaSW_SX_EUlSW_E_NS1_11comp_targetILNS1_3genE10ELNS1_11target_archE1201ELNS1_3gpuE5ELNS1_3repE0EEENS1_30default_config_static_selectorELNS0_4arch9wavefront6targetE0EEEvT1_,"axG",@progbits,_ZN7rocprim17ROCPRIM_400000_NS6detail17trampoline_kernelINS0_14default_configENS1_27scan_by_key_config_selectorIijEEZZNS1_16scan_by_key_implILNS1_25lookback_scan_determinismE0ELb0ES3_N6thrust23THRUST_200600_302600_NS6detail15normal_iteratorINS9_10device_ptrIiEEEENSB_INSC_IjEEEESG_jNS9_4plusIvEENS9_8equal_toIvEEjEE10hipError_tPvRmT2_T3_T4_T5_mT6_T7_P12ihipStream_tbENKUlT_T0_E_clISt17integral_constantIbLb1EES11_EEDaSW_SX_EUlSW_E_NS1_11comp_targetILNS1_3genE10ELNS1_11target_archE1201ELNS1_3gpuE5ELNS1_3repE0EEENS1_30default_config_static_selectorELNS0_4arch9wavefront6targetE0EEEvT1_,comdat
	.protected	_ZN7rocprim17ROCPRIM_400000_NS6detail17trampoline_kernelINS0_14default_configENS1_27scan_by_key_config_selectorIijEEZZNS1_16scan_by_key_implILNS1_25lookback_scan_determinismE0ELb0ES3_N6thrust23THRUST_200600_302600_NS6detail15normal_iteratorINS9_10device_ptrIiEEEENSB_INSC_IjEEEESG_jNS9_4plusIvEENS9_8equal_toIvEEjEE10hipError_tPvRmT2_T3_T4_T5_mT6_T7_P12ihipStream_tbENKUlT_T0_E_clISt17integral_constantIbLb1EES11_EEDaSW_SX_EUlSW_E_NS1_11comp_targetILNS1_3genE10ELNS1_11target_archE1201ELNS1_3gpuE5ELNS1_3repE0EEENS1_30default_config_static_selectorELNS0_4arch9wavefront6targetE0EEEvT1_ ; -- Begin function _ZN7rocprim17ROCPRIM_400000_NS6detail17trampoline_kernelINS0_14default_configENS1_27scan_by_key_config_selectorIijEEZZNS1_16scan_by_key_implILNS1_25lookback_scan_determinismE0ELb0ES3_N6thrust23THRUST_200600_302600_NS6detail15normal_iteratorINS9_10device_ptrIiEEEENSB_INSC_IjEEEESG_jNS9_4plusIvEENS9_8equal_toIvEEjEE10hipError_tPvRmT2_T3_T4_T5_mT6_T7_P12ihipStream_tbENKUlT_T0_E_clISt17integral_constantIbLb1EES11_EEDaSW_SX_EUlSW_E_NS1_11comp_targetILNS1_3genE10ELNS1_11target_archE1201ELNS1_3gpuE5ELNS1_3repE0EEENS1_30default_config_static_selectorELNS0_4arch9wavefront6targetE0EEEvT1_
	.globl	_ZN7rocprim17ROCPRIM_400000_NS6detail17trampoline_kernelINS0_14default_configENS1_27scan_by_key_config_selectorIijEEZZNS1_16scan_by_key_implILNS1_25lookback_scan_determinismE0ELb0ES3_N6thrust23THRUST_200600_302600_NS6detail15normal_iteratorINS9_10device_ptrIiEEEENSB_INSC_IjEEEESG_jNS9_4plusIvEENS9_8equal_toIvEEjEE10hipError_tPvRmT2_T3_T4_T5_mT6_T7_P12ihipStream_tbENKUlT_T0_E_clISt17integral_constantIbLb1EES11_EEDaSW_SX_EUlSW_E_NS1_11comp_targetILNS1_3genE10ELNS1_11target_archE1201ELNS1_3gpuE5ELNS1_3repE0EEENS1_30default_config_static_selectorELNS0_4arch9wavefront6targetE0EEEvT1_
	.p2align	8
	.type	_ZN7rocprim17ROCPRIM_400000_NS6detail17trampoline_kernelINS0_14default_configENS1_27scan_by_key_config_selectorIijEEZZNS1_16scan_by_key_implILNS1_25lookback_scan_determinismE0ELb0ES3_N6thrust23THRUST_200600_302600_NS6detail15normal_iteratorINS9_10device_ptrIiEEEENSB_INSC_IjEEEESG_jNS9_4plusIvEENS9_8equal_toIvEEjEE10hipError_tPvRmT2_T3_T4_T5_mT6_T7_P12ihipStream_tbENKUlT_T0_E_clISt17integral_constantIbLb1EES11_EEDaSW_SX_EUlSW_E_NS1_11comp_targetILNS1_3genE10ELNS1_11target_archE1201ELNS1_3gpuE5ELNS1_3repE0EEENS1_30default_config_static_selectorELNS0_4arch9wavefront6targetE0EEEvT1_,@function
_ZN7rocprim17ROCPRIM_400000_NS6detail17trampoline_kernelINS0_14default_configENS1_27scan_by_key_config_selectorIijEEZZNS1_16scan_by_key_implILNS1_25lookback_scan_determinismE0ELb0ES3_N6thrust23THRUST_200600_302600_NS6detail15normal_iteratorINS9_10device_ptrIiEEEENSB_INSC_IjEEEESG_jNS9_4plusIvEENS9_8equal_toIvEEjEE10hipError_tPvRmT2_T3_T4_T5_mT6_T7_P12ihipStream_tbENKUlT_T0_E_clISt17integral_constantIbLb1EES11_EEDaSW_SX_EUlSW_E_NS1_11comp_targetILNS1_3genE10ELNS1_11target_archE1201ELNS1_3gpuE5ELNS1_3repE0EEENS1_30default_config_static_selectorELNS0_4arch9wavefront6targetE0EEEvT1_: ; @_ZN7rocprim17ROCPRIM_400000_NS6detail17trampoline_kernelINS0_14default_configENS1_27scan_by_key_config_selectorIijEEZZNS1_16scan_by_key_implILNS1_25lookback_scan_determinismE0ELb0ES3_N6thrust23THRUST_200600_302600_NS6detail15normal_iteratorINS9_10device_ptrIiEEEENSB_INSC_IjEEEESG_jNS9_4plusIvEENS9_8equal_toIvEEjEE10hipError_tPvRmT2_T3_T4_T5_mT6_T7_P12ihipStream_tbENKUlT_T0_E_clISt17integral_constantIbLb1EES11_EEDaSW_SX_EUlSW_E_NS1_11comp_targetILNS1_3genE10ELNS1_11target_archE1201ELNS1_3gpuE5ELNS1_3repE0EEENS1_30default_config_static_selectorELNS0_4arch9wavefront6targetE0EEEvT1_
; %bb.0:
	.section	.rodata,"a",@progbits
	.p2align	6, 0x0
	.amdhsa_kernel _ZN7rocprim17ROCPRIM_400000_NS6detail17trampoline_kernelINS0_14default_configENS1_27scan_by_key_config_selectorIijEEZZNS1_16scan_by_key_implILNS1_25lookback_scan_determinismE0ELb0ES3_N6thrust23THRUST_200600_302600_NS6detail15normal_iteratorINS9_10device_ptrIiEEEENSB_INSC_IjEEEESG_jNS9_4plusIvEENS9_8equal_toIvEEjEE10hipError_tPvRmT2_T3_T4_T5_mT6_T7_P12ihipStream_tbENKUlT_T0_E_clISt17integral_constantIbLb1EES11_EEDaSW_SX_EUlSW_E_NS1_11comp_targetILNS1_3genE10ELNS1_11target_archE1201ELNS1_3gpuE5ELNS1_3repE0EEENS1_30default_config_static_selectorELNS0_4arch9wavefront6targetE0EEEvT1_
		.amdhsa_group_segment_fixed_size 0
		.amdhsa_private_segment_fixed_size 0
		.amdhsa_kernarg_size 112
		.amdhsa_user_sgpr_count 2
		.amdhsa_user_sgpr_dispatch_ptr 0
		.amdhsa_user_sgpr_queue_ptr 0
		.amdhsa_user_sgpr_kernarg_segment_ptr 1
		.amdhsa_user_sgpr_dispatch_id 0
		.amdhsa_user_sgpr_kernarg_preload_length 0
		.amdhsa_user_sgpr_kernarg_preload_offset 0
		.amdhsa_user_sgpr_private_segment_size 0
		.amdhsa_wavefront_size32 1
		.amdhsa_uses_dynamic_stack 0
		.amdhsa_enable_private_segment 0
		.amdhsa_system_sgpr_workgroup_id_x 1
		.amdhsa_system_sgpr_workgroup_id_y 0
		.amdhsa_system_sgpr_workgroup_id_z 0
		.amdhsa_system_sgpr_workgroup_info 0
		.amdhsa_system_vgpr_workitem_id 0
		.amdhsa_next_free_vgpr 1
		.amdhsa_next_free_sgpr 1
		.amdhsa_named_barrier_count 0
		.amdhsa_reserve_vcc 0
		.amdhsa_float_round_mode_32 0
		.amdhsa_float_round_mode_16_64 0
		.amdhsa_float_denorm_mode_32 3
		.amdhsa_float_denorm_mode_16_64 3
		.amdhsa_fp16_overflow 0
		.amdhsa_memory_ordered 1
		.amdhsa_forward_progress 1
		.amdhsa_inst_pref_size 0
		.amdhsa_round_robin_scheduling 0
		.amdhsa_exception_fp_ieee_invalid_op 0
		.amdhsa_exception_fp_denorm_src 0
		.amdhsa_exception_fp_ieee_div_zero 0
		.amdhsa_exception_fp_ieee_overflow 0
		.amdhsa_exception_fp_ieee_underflow 0
		.amdhsa_exception_fp_ieee_inexact 0
		.amdhsa_exception_int_div_zero 0
	.end_amdhsa_kernel
	.section	.text._ZN7rocprim17ROCPRIM_400000_NS6detail17trampoline_kernelINS0_14default_configENS1_27scan_by_key_config_selectorIijEEZZNS1_16scan_by_key_implILNS1_25lookback_scan_determinismE0ELb0ES3_N6thrust23THRUST_200600_302600_NS6detail15normal_iteratorINS9_10device_ptrIiEEEENSB_INSC_IjEEEESG_jNS9_4plusIvEENS9_8equal_toIvEEjEE10hipError_tPvRmT2_T3_T4_T5_mT6_T7_P12ihipStream_tbENKUlT_T0_E_clISt17integral_constantIbLb1EES11_EEDaSW_SX_EUlSW_E_NS1_11comp_targetILNS1_3genE10ELNS1_11target_archE1201ELNS1_3gpuE5ELNS1_3repE0EEENS1_30default_config_static_selectorELNS0_4arch9wavefront6targetE0EEEvT1_,"axG",@progbits,_ZN7rocprim17ROCPRIM_400000_NS6detail17trampoline_kernelINS0_14default_configENS1_27scan_by_key_config_selectorIijEEZZNS1_16scan_by_key_implILNS1_25lookback_scan_determinismE0ELb0ES3_N6thrust23THRUST_200600_302600_NS6detail15normal_iteratorINS9_10device_ptrIiEEEENSB_INSC_IjEEEESG_jNS9_4plusIvEENS9_8equal_toIvEEjEE10hipError_tPvRmT2_T3_T4_T5_mT6_T7_P12ihipStream_tbENKUlT_T0_E_clISt17integral_constantIbLb1EES11_EEDaSW_SX_EUlSW_E_NS1_11comp_targetILNS1_3genE10ELNS1_11target_archE1201ELNS1_3gpuE5ELNS1_3repE0EEENS1_30default_config_static_selectorELNS0_4arch9wavefront6targetE0EEEvT1_,comdat
.Lfunc_end1233:
	.size	_ZN7rocprim17ROCPRIM_400000_NS6detail17trampoline_kernelINS0_14default_configENS1_27scan_by_key_config_selectorIijEEZZNS1_16scan_by_key_implILNS1_25lookback_scan_determinismE0ELb0ES3_N6thrust23THRUST_200600_302600_NS6detail15normal_iteratorINS9_10device_ptrIiEEEENSB_INSC_IjEEEESG_jNS9_4plusIvEENS9_8equal_toIvEEjEE10hipError_tPvRmT2_T3_T4_T5_mT6_T7_P12ihipStream_tbENKUlT_T0_E_clISt17integral_constantIbLb1EES11_EEDaSW_SX_EUlSW_E_NS1_11comp_targetILNS1_3genE10ELNS1_11target_archE1201ELNS1_3gpuE5ELNS1_3repE0EEENS1_30default_config_static_selectorELNS0_4arch9wavefront6targetE0EEEvT1_, .Lfunc_end1233-_ZN7rocprim17ROCPRIM_400000_NS6detail17trampoline_kernelINS0_14default_configENS1_27scan_by_key_config_selectorIijEEZZNS1_16scan_by_key_implILNS1_25lookback_scan_determinismE0ELb0ES3_N6thrust23THRUST_200600_302600_NS6detail15normal_iteratorINS9_10device_ptrIiEEEENSB_INSC_IjEEEESG_jNS9_4plusIvEENS9_8equal_toIvEEjEE10hipError_tPvRmT2_T3_T4_T5_mT6_T7_P12ihipStream_tbENKUlT_T0_E_clISt17integral_constantIbLb1EES11_EEDaSW_SX_EUlSW_E_NS1_11comp_targetILNS1_3genE10ELNS1_11target_archE1201ELNS1_3gpuE5ELNS1_3repE0EEENS1_30default_config_static_selectorELNS0_4arch9wavefront6targetE0EEEvT1_
                                        ; -- End function
	.set _ZN7rocprim17ROCPRIM_400000_NS6detail17trampoline_kernelINS0_14default_configENS1_27scan_by_key_config_selectorIijEEZZNS1_16scan_by_key_implILNS1_25lookback_scan_determinismE0ELb0ES3_N6thrust23THRUST_200600_302600_NS6detail15normal_iteratorINS9_10device_ptrIiEEEENSB_INSC_IjEEEESG_jNS9_4plusIvEENS9_8equal_toIvEEjEE10hipError_tPvRmT2_T3_T4_T5_mT6_T7_P12ihipStream_tbENKUlT_T0_E_clISt17integral_constantIbLb1EES11_EEDaSW_SX_EUlSW_E_NS1_11comp_targetILNS1_3genE10ELNS1_11target_archE1201ELNS1_3gpuE5ELNS1_3repE0EEENS1_30default_config_static_selectorELNS0_4arch9wavefront6targetE0EEEvT1_.num_vgpr, 0
	.set _ZN7rocprim17ROCPRIM_400000_NS6detail17trampoline_kernelINS0_14default_configENS1_27scan_by_key_config_selectorIijEEZZNS1_16scan_by_key_implILNS1_25lookback_scan_determinismE0ELb0ES3_N6thrust23THRUST_200600_302600_NS6detail15normal_iteratorINS9_10device_ptrIiEEEENSB_INSC_IjEEEESG_jNS9_4plusIvEENS9_8equal_toIvEEjEE10hipError_tPvRmT2_T3_T4_T5_mT6_T7_P12ihipStream_tbENKUlT_T0_E_clISt17integral_constantIbLb1EES11_EEDaSW_SX_EUlSW_E_NS1_11comp_targetILNS1_3genE10ELNS1_11target_archE1201ELNS1_3gpuE5ELNS1_3repE0EEENS1_30default_config_static_selectorELNS0_4arch9wavefront6targetE0EEEvT1_.num_agpr, 0
	.set _ZN7rocprim17ROCPRIM_400000_NS6detail17trampoline_kernelINS0_14default_configENS1_27scan_by_key_config_selectorIijEEZZNS1_16scan_by_key_implILNS1_25lookback_scan_determinismE0ELb0ES3_N6thrust23THRUST_200600_302600_NS6detail15normal_iteratorINS9_10device_ptrIiEEEENSB_INSC_IjEEEESG_jNS9_4plusIvEENS9_8equal_toIvEEjEE10hipError_tPvRmT2_T3_T4_T5_mT6_T7_P12ihipStream_tbENKUlT_T0_E_clISt17integral_constantIbLb1EES11_EEDaSW_SX_EUlSW_E_NS1_11comp_targetILNS1_3genE10ELNS1_11target_archE1201ELNS1_3gpuE5ELNS1_3repE0EEENS1_30default_config_static_selectorELNS0_4arch9wavefront6targetE0EEEvT1_.numbered_sgpr, 0
	.set _ZN7rocprim17ROCPRIM_400000_NS6detail17trampoline_kernelINS0_14default_configENS1_27scan_by_key_config_selectorIijEEZZNS1_16scan_by_key_implILNS1_25lookback_scan_determinismE0ELb0ES3_N6thrust23THRUST_200600_302600_NS6detail15normal_iteratorINS9_10device_ptrIiEEEENSB_INSC_IjEEEESG_jNS9_4plusIvEENS9_8equal_toIvEEjEE10hipError_tPvRmT2_T3_T4_T5_mT6_T7_P12ihipStream_tbENKUlT_T0_E_clISt17integral_constantIbLb1EES11_EEDaSW_SX_EUlSW_E_NS1_11comp_targetILNS1_3genE10ELNS1_11target_archE1201ELNS1_3gpuE5ELNS1_3repE0EEENS1_30default_config_static_selectorELNS0_4arch9wavefront6targetE0EEEvT1_.num_named_barrier, 0
	.set _ZN7rocprim17ROCPRIM_400000_NS6detail17trampoline_kernelINS0_14default_configENS1_27scan_by_key_config_selectorIijEEZZNS1_16scan_by_key_implILNS1_25lookback_scan_determinismE0ELb0ES3_N6thrust23THRUST_200600_302600_NS6detail15normal_iteratorINS9_10device_ptrIiEEEENSB_INSC_IjEEEESG_jNS9_4plusIvEENS9_8equal_toIvEEjEE10hipError_tPvRmT2_T3_T4_T5_mT6_T7_P12ihipStream_tbENKUlT_T0_E_clISt17integral_constantIbLb1EES11_EEDaSW_SX_EUlSW_E_NS1_11comp_targetILNS1_3genE10ELNS1_11target_archE1201ELNS1_3gpuE5ELNS1_3repE0EEENS1_30default_config_static_selectorELNS0_4arch9wavefront6targetE0EEEvT1_.private_seg_size, 0
	.set _ZN7rocprim17ROCPRIM_400000_NS6detail17trampoline_kernelINS0_14default_configENS1_27scan_by_key_config_selectorIijEEZZNS1_16scan_by_key_implILNS1_25lookback_scan_determinismE0ELb0ES3_N6thrust23THRUST_200600_302600_NS6detail15normal_iteratorINS9_10device_ptrIiEEEENSB_INSC_IjEEEESG_jNS9_4plusIvEENS9_8equal_toIvEEjEE10hipError_tPvRmT2_T3_T4_T5_mT6_T7_P12ihipStream_tbENKUlT_T0_E_clISt17integral_constantIbLb1EES11_EEDaSW_SX_EUlSW_E_NS1_11comp_targetILNS1_3genE10ELNS1_11target_archE1201ELNS1_3gpuE5ELNS1_3repE0EEENS1_30default_config_static_selectorELNS0_4arch9wavefront6targetE0EEEvT1_.uses_vcc, 0
	.set _ZN7rocprim17ROCPRIM_400000_NS6detail17trampoline_kernelINS0_14default_configENS1_27scan_by_key_config_selectorIijEEZZNS1_16scan_by_key_implILNS1_25lookback_scan_determinismE0ELb0ES3_N6thrust23THRUST_200600_302600_NS6detail15normal_iteratorINS9_10device_ptrIiEEEENSB_INSC_IjEEEESG_jNS9_4plusIvEENS9_8equal_toIvEEjEE10hipError_tPvRmT2_T3_T4_T5_mT6_T7_P12ihipStream_tbENKUlT_T0_E_clISt17integral_constantIbLb1EES11_EEDaSW_SX_EUlSW_E_NS1_11comp_targetILNS1_3genE10ELNS1_11target_archE1201ELNS1_3gpuE5ELNS1_3repE0EEENS1_30default_config_static_selectorELNS0_4arch9wavefront6targetE0EEEvT1_.uses_flat_scratch, 0
	.set _ZN7rocprim17ROCPRIM_400000_NS6detail17trampoline_kernelINS0_14default_configENS1_27scan_by_key_config_selectorIijEEZZNS1_16scan_by_key_implILNS1_25lookback_scan_determinismE0ELb0ES3_N6thrust23THRUST_200600_302600_NS6detail15normal_iteratorINS9_10device_ptrIiEEEENSB_INSC_IjEEEESG_jNS9_4plusIvEENS9_8equal_toIvEEjEE10hipError_tPvRmT2_T3_T4_T5_mT6_T7_P12ihipStream_tbENKUlT_T0_E_clISt17integral_constantIbLb1EES11_EEDaSW_SX_EUlSW_E_NS1_11comp_targetILNS1_3genE10ELNS1_11target_archE1201ELNS1_3gpuE5ELNS1_3repE0EEENS1_30default_config_static_selectorELNS0_4arch9wavefront6targetE0EEEvT1_.has_dyn_sized_stack, 0
	.set _ZN7rocprim17ROCPRIM_400000_NS6detail17trampoline_kernelINS0_14default_configENS1_27scan_by_key_config_selectorIijEEZZNS1_16scan_by_key_implILNS1_25lookback_scan_determinismE0ELb0ES3_N6thrust23THRUST_200600_302600_NS6detail15normal_iteratorINS9_10device_ptrIiEEEENSB_INSC_IjEEEESG_jNS9_4plusIvEENS9_8equal_toIvEEjEE10hipError_tPvRmT2_T3_T4_T5_mT6_T7_P12ihipStream_tbENKUlT_T0_E_clISt17integral_constantIbLb1EES11_EEDaSW_SX_EUlSW_E_NS1_11comp_targetILNS1_3genE10ELNS1_11target_archE1201ELNS1_3gpuE5ELNS1_3repE0EEENS1_30default_config_static_selectorELNS0_4arch9wavefront6targetE0EEEvT1_.has_recursion, 0
	.set _ZN7rocprim17ROCPRIM_400000_NS6detail17trampoline_kernelINS0_14default_configENS1_27scan_by_key_config_selectorIijEEZZNS1_16scan_by_key_implILNS1_25lookback_scan_determinismE0ELb0ES3_N6thrust23THRUST_200600_302600_NS6detail15normal_iteratorINS9_10device_ptrIiEEEENSB_INSC_IjEEEESG_jNS9_4plusIvEENS9_8equal_toIvEEjEE10hipError_tPvRmT2_T3_T4_T5_mT6_T7_P12ihipStream_tbENKUlT_T0_E_clISt17integral_constantIbLb1EES11_EEDaSW_SX_EUlSW_E_NS1_11comp_targetILNS1_3genE10ELNS1_11target_archE1201ELNS1_3gpuE5ELNS1_3repE0EEENS1_30default_config_static_selectorELNS0_4arch9wavefront6targetE0EEEvT1_.has_indirect_call, 0
	.section	.AMDGPU.csdata,"",@progbits
; Kernel info:
; codeLenInByte = 0
; TotalNumSgprs: 0
; NumVgprs: 0
; ScratchSize: 0
; MemoryBound: 0
; FloatMode: 240
; IeeeMode: 1
; LDSByteSize: 0 bytes/workgroup (compile time only)
; SGPRBlocks: 0
; VGPRBlocks: 0
; NumSGPRsForWavesPerEU: 1
; NumVGPRsForWavesPerEU: 1
; NamedBarCnt: 0
; Occupancy: 16
; WaveLimiterHint : 0
; COMPUTE_PGM_RSRC2:SCRATCH_EN: 0
; COMPUTE_PGM_RSRC2:USER_SGPR: 2
; COMPUTE_PGM_RSRC2:TRAP_HANDLER: 0
; COMPUTE_PGM_RSRC2:TGID_X_EN: 1
; COMPUTE_PGM_RSRC2:TGID_Y_EN: 0
; COMPUTE_PGM_RSRC2:TGID_Z_EN: 0
; COMPUTE_PGM_RSRC2:TIDIG_COMP_CNT: 0
	.section	.text._ZN7rocprim17ROCPRIM_400000_NS6detail17trampoline_kernelINS0_14default_configENS1_27scan_by_key_config_selectorIijEEZZNS1_16scan_by_key_implILNS1_25lookback_scan_determinismE0ELb0ES3_N6thrust23THRUST_200600_302600_NS6detail15normal_iteratorINS9_10device_ptrIiEEEENSB_INSC_IjEEEESG_jNS9_4plusIvEENS9_8equal_toIvEEjEE10hipError_tPvRmT2_T3_T4_T5_mT6_T7_P12ihipStream_tbENKUlT_T0_E_clISt17integral_constantIbLb1EES11_EEDaSW_SX_EUlSW_E_NS1_11comp_targetILNS1_3genE5ELNS1_11target_archE942ELNS1_3gpuE9ELNS1_3repE0EEENS1_30default_config_static_selectorELNS0_4arch9wavefront6targetE0EEEvT1_,"axG",@progbits,_ZN7rocprim17ROCPRIM_400000_NS6detail17trampoline_kernelINS0_14default_configENS1_27scan_by_key_config_selectorIijEEZZNS1_16scan_by_key_implILNS1_25lookback_scan_determinismE0ELb0ES3_N6thrust23THRUST_200600_302600_NS6detail15normal_iteratorINS9_10device_ptrIiEEEENSB_INSC_IjEEEESG_jNS9_4plusIvEENS9_8equal_toIvEEjEE10hipError_tPvRmT2_T3_T4_T5_mT6_T7_P12ihipStream_tbENKUlT_T0_E_clISt17integral_constantIbLb1EES11_EEDaSW_SX_EUlSW_E_NS1_11comp_targetILNS1_3genE5ELNS1_11target_archE942ELNS1_3gpuE9ELNS1_3repE0EEENS1_30default_config_static_selectorELNS0_4arch9wavefront6targetE0EEEvT1_,comdat
	.protected	_ZN7rocprim17ROCPRIM_400000_NS6detail17trampoline_kernelINS0_14default_configENS1_27scan_by_key_config_selectorIijEEZZNS1_16scan_by_key_implILNS1_25lookback_scan_determinismE0ELb0ES3_N6thrust23THRUST_200600_302600_NS6detail15normal_iteratorINS9_10device_ptrIiEEEENSB_INSC_IjEEEESG_jNS9_4plusIvEENS9_8equal_toIvEEjEE10hipError_tPvRmT2_T3_T4_T5_mT6_T7_P12ihipStream_tbENKUlT_T0_E_clISt17integral_constantIbLb1EES11_EEDaSW_SX_EUlSW_E_NS1_11comp_targetILNS1_3genE5ELNS1_11target_archE942ELNS1_3gpuE9ELNS1_3repE0EEENS1_30default_config_static_selectorELNS0_4arch9wavefront6targetE0EEEvT1_ ; -- Begin function _ZN7rocprim17ROCPRIM_400000_NS6detail17trampoline_kernelINS0_14default_configENS1_27scan_by_key_config_selectorIijEEZZNS1_16scan_by_key_implILNS1_25lookback_scan_determinismE0ELb0ES3_N6thrust23THRUST_200600_302600_NS6detail15normal_iteratorINS9_10device_ptrIiEEEENSB_INSC_IjEEEESG_jNS9_4plusIvEENS9_8equal_toIvEEjEE10hipError_tPvRmT2_T3_T4_T5_mT6_T7_P12ihipStream_tbENKUlT_T0_E_clISt17integral_constantIbLb1EES11_EEDaSW_SX_EUlSW_E_NS1_11comp_targetILNS1_3genE5ELNS1_11target_archE942ELNS1_3gpuE9ELNS1_3repE0EEENS1_30default_config_static_selectorELNS0_4arch9wavefront6targetE0EEEvT1_
	.globl	_ZN7rocprim17ROCPRIM_400000_NS6detail17trampoline_kernelINS0_14default_configENS1_27scan_by_key_config_selectorIijEEZZNS1_16scan_by_key_implILNS1_25lookback_scan_determinismE0ELb0ES3_N6thrust23THRUST_200600_302600_NS6detail15normal_iteratorINS9_10device_ptrIiEEEENSB_INSC_IjEEEESG_jNS9_4plusIvEENS9_8equal_toIvEEjEE10hipError_tPvRmT2_T3_T4_T5_mT6_T7_P12ihipStream_tbENKUlT_T0_E_clISt17integral_constantIbLb1EES11_EEDaSW_SX_EUlSW_E_NS1_11comp_targetILNS1_3genE5ELNS1_11target_archE942ELNS1_3gpuE9ELNS1_3repE0EEENS1_30default_config_static_selectorELNS0_4arch9wavefront6targetE0EEEvT1_
	.p2align	8
	.type	_ZN7rocprim17ROCPRIM_400000_NS6detail17trampoline_kernelINS0_14default_configENS1_27scan_by_key_config_selectorIijEEZZNS1_16scan_by_key_implILNS1_25lookback_scan_determinismE0ELb0ES3_N6thrust23THRUST_200600_302600_NS6detail15normal_iteratorINS9_10device_ptrIiEEEENSB_INSC_IjEEEESG_jNS9_4plusIvEENS9_8equal_toIvEEjEE10hipError_tPvRmT2_T3_T4_T5_mT6_T7_P12ihipStream_tbENKUlT_T0_E_clISt17integral_constantIbLb1EES11_EEDaSW_SX_EUlSW_E_NS1_11comp_targetILNS1_3genE5ELNS1_11target_archE942ELNS1_3gpuE9ELNS1_3repE0EEENS1_30default_config_static_selectorELNS0_4arch9wavefront6targetE0EEEvT1_,@function
_ZN7rocprim17ROCPRIM_400000_NS6detail17trampoline_kernelINS0_14default_configENS1_27scan_by_key_config_selectorIijEEZZNS1_16scan_by_key_implILNS1_25lookback_scan_determinismE0ELb0ES3_N6thrust23THRUST_200600_302600_NS6detail15normal_iteratorINS9_10device_ptrIiEEEENSB_INSC_IjEEEESG_jNS9_4plusIvEENS9_8equal_toIvEEjEE10hipError_tPvRmT2_T3_T4_T5_mT6_T7_P12ihipStream_tbENKUlT_T0_E_clISt17integral_constantIbLb1EES11_EEDaSW_SX_EUlSW_E_NS1_11comp_targetILNS1_3genE5ELNS1_11target_archE942ELNS1_3gpuE9ELNS1_3repE0EEENS1_30default_config_static_selectorELNS0_4arch9wavefront6targetE0EEEvT1_: ; @_ZN7rocprim17ROCPRIM_400000_NS6detail17trampoline_kernelINS0_14default_configENS1_27scan_by_key_config_selectorIijEEZZNS1_16scan_by_key_implILNS1_25lookback_scan_determinismE0ELb0ES3_N6thrust23THRUST_200600_302600_NS6detail15normal_iteratorINS9_10device_ptrIiEEEENSB_INSC_IjEEEESG_jNS9_4plusIvEENS9_8equal_toIvEEjEE10hipError_tPvRmT2_T3_T4_T5_mT6_T7_P12ihipStream_tbENKUlT_T0_E_clISt17integral_constantIbLb1EES11_EEDaSW_SX_EUlSW_E_NS1_11comp_targetILNS1_3genE5ELNS1_11target_archE942ELNS1_3gpuE9ELNS1_3repE0EEENS1_30default_config_static_selectorELNS0_4arch9wavefront6targetE0EEEvT1_
; %bb.0:
	.section	.rodata,"a",@progbits
	.p2align	6, 0x0
	.amdhsa_kernel _ZN7rocprim17ROCPRIM_400000_NS6detail17trampoline_kernelINS0_14default_configENS1_27scan_by_key_config_selectorIijEEZZNS1_16scan_by_key_implILNS1_25lookback_scan_determinismE0ELb0ES3_N6thrust23THRUST_200600_302600_NS6detail15normal_iteratorINS9_10device_ptrIiEEEENSB_INSC_IjEEEESG_jNS9_4plusIvEENS9_8equal_toIvEEjEE10hipError_tPvRmT2_T3_T4_T5_mT6_T7_P12ihipStream_tbENKUlT_T0_E_clISt17integral_constantIbLb1EES11_EEDaSW_SX_EUlSW_E_NS1_11comp_targetILNS1_3genE5ELNS1_11target_archE942ELNS1_3gpuE9ELNS1_3repE0EEENS1_30default_config_static_selectorELNS0_4arch9wavefront6targetE0EEEvT1_
		.amdhsa_group_segment_fixed_size 0
		.amdhsa_private_segment_fixed_size 0
		.amdhsa_kernarg_size 112
		.amdhsa_user_sgpr_count 2
		.amdhsa_user_sgpr_dispatch_ptr 0
		.amdhsa_user_sgpr_queue_ptr 0
		.amdhsa_user_sgpr_kernarg_segment_ptr 1
		.amdhsa_user_sgpr_dispatch_id 0
		.amdhsa_user_sgpr_kernarg_preload_length 0
		.amdhsa_user_sgpr_kernarg_preload_offset 0
		.amdhsa_user_sgpr_private_segment_size 0
		.amdhsa_wavefront_size32 1
		.amdhsa_uses_dynamic_stack 0
		.amdhsa_enable_private_segment 0
		.amdhsa_system_sgpr_workgroup_id_x 1
		.amdhsa_system_sgpr_workgroup_id_y 0
		.amdhsa_system_sgpr_workgroup_id_z 0
		.amdhsa_system_sgpr_workgroup_info 0
		.amdhsa_system_vgpr_workitem_id 0
		.amdhsa_next_free_vgpr 1
		.amdhsa_next_free_sgpr 1
		.amdhsa_named_barrier_count 0
		.amdhsa_reserve_vcc 0
		.amdhsa_float_round_mode_32 0
		.amdhsa_float_round_mode_16_64 0
		.amdhsa_float_denorm_mode_32 3
		.amdhsa_float_denorm_mode_16_64 3
		.amdhsa_fp16_overflow 0
		.amdhsa_memory_ordered 1
		.amdhsa_forward_progress 1
		.amdhsa_inst_pref_size 0
		.amdhsa_round_robin_scheduling 0
		.amdhsa_exception_fp_ieee_invalid_op 0
		.amdhsa_exception_fp_denorm_src 0
		.amdhsa_exception_fp_ieee_div_zero 0
		.amdhsa_exception_fp_ieee_overflow 0
		.amdhsa_exception_fp_ieee_underflow 0
		.amdhsa_exception_fp_ieee_inexact 0
		.amdhsa_exception_int_div_zero 0
	.end_amdhsa_kernel
	.section	.text._ZN7rocprim17ROCPRIM_400000_NS6detail17trampoline_kernelINS0_14default_configENS1_27scan_by_key_config_selectorIijEEZZNS1_16scan_by_key_implILNS1_25lookback_scan_determinismE0ELb0ES3_N6thrust23THRUST_200600_302600_NS6detail15normal_iteratorINS9_10device_ptrIiEEEENSB_INSC_IjEEEESG_jNS9_4plusIvEENS9_8equal_toIvEEjEE10hipError_tPvRmT2_T3_T4_T5_mT6_T7_P12ihipStream_tbENKUlT_T0_E_clISt17integral_constantIbLb1EES11_EEDaSW_SX_EUlSW_E_NS1_11comp_targetILNS1_3genE5ELNS1_11target_archE942ELNS1_3gpuE9ELNS1_3repE0EEENS1_30default_config_static_selectorELNS0_4arch9wavefront6targetE0EEEvT1_,"axG",@progbits,_ZN7rocprim17ROCPRIM_400000_NS6detail17trampoline_kernelINS0_14default_configENS1_27scan_by_key_config_selectorIijEEZZNS1_16scan_by_key_implILNS1_25lookback_scan_determinismE0ELb0ES3_N6thrust23THRUST_200600_302600_NS6detail15normal_iteratorINS9_10device_ptrIiEEEENSB_INSC_IjEEEESG_jNS9_4plusIvEENS9_8equal_toIvEEjEE10hipError_tPvRmT2_T3_T4_T5_mT6_T7_P12ihipStream_tbENKUlT_T0_E_clISt17integral_constantIbLb1EES11_EEDaSW_SX_EUlSW_E_NS1_11comp_targetILNS1_3genE5ELNS1_11target_archE942ELNS1_3gpuE9ELNS1_3repE0EEENS1_30default_config_static_selectorELNS0_4arch9wavefront6targetE0EEEvT1_,comdat
.Lfunc_end1234:
	.size	_ZN7rocprim17ROCPRIM_400000_NS6detail17trampoline_kernelINS0_14default_configENS1_27scan_by_key_config_selectorIijEEZZNS1_16scan_by_key_implILNS1_25lookback_scan_determinismE0ELb0ES3_N6thrust23THRUST_200600_302600_NS6detail15normal_iteratorINS9_10device_ptrIiEEEENSB_INSC_IjEEEESG_jNS9_4plusIvEENS9_8equal_toIvEEjEE10hipError_tPvRmT2_T3_T4_T5_mT6_T7_P12ihipStream_tbENKUlT_T0_E_clISt17integral_constantIbLb1EES11_EEDaSW_SX_EUlSW_E_NS1_11comp_targetILNS1_3genE5ELNS1_11target_archE942ELNS1_3gpuE9ELNS1_3repE0EEENS1_30default_config_static_selectorELNS0_4arch9wavefront6targetE0EEEvT1_, .Lfunc_end1234-_ZN7rocprim17ROCPRIM_400000_NS6detail17trampoline_kernelINS0_14default_configENS1_27scan_by_key_config_selectorIijEEZZNS1_16scan_by_key_implILNS1_25lookback_scan_determinismE0ELb0ES3_N6thrust23THRUST_200600_302600_NS6detail15normal_iteratorINS9_10device_ptrIiEEEENSB_INSC_IjEEEESG_jNS9_4plusIvEENS9_8equal_toIvEEjEE10hipError_tPvRmT2_T3_T4_T5_mT6_T7_P12ihipStream_tbENKUlT_T0_E_clISt17integral_constantIbLb1EES11_EEDaSW_SX_EUlSW_E_NS1_11comp_targetILNS1_3genE5ELNS1_11target_archE942ELNS1_3gpuE9ELNS1_3repE0EEENS1_30default_config_static_selectorELNS0_4arch9wavefront6targetE0EEEvT1_
                                        ; -- End function
	.set _ZN7rocprim17ROCPRIM_400000_NS6detail17trampoline_kernelINS0_14default_configENS1_27scan_by_key_config_selectorIijEEZZNS1_16scan_by_key_implILNS1_25lookback_scan_determinismE0ELb0ES3_N6thrust23THRUST_200600_302600_NS6detail15normal_iteratorINS9_10device_ptrIiEEEENSB_INSC_IjEEEESG_jNS9_4plusIvEENS9_8equal_toIvEEjEE10hipError_tPvRmT2_T3_T4_T5_mT6_T7_P12ihipStream_tbENKUlT_T0_E_clISt17integral_constantIbLb1EES11_EEDaSW_SX_EUlSW_E_NS1_11comp_targetILNS1_3genE5ELNS1_11target_archE942ELNS1_3gpuE9ELNS1_3repE0EEENS1_30default_config_static_selectorELNS0_4arch9wavefront6targetE0EEEvT1_.num_vgpr, 0
	.set _ZN7rocprim17ROCPRIM_400000_NS6detail17trampoline_kernelINS0_14default_configENS1_27scan_by_key_config_selectorIijEEZZNS1_16scan_by_key_implILNS1_25lookback_scan_determinismE0ELb0ES3_N6thrust23THRUST_200600_302600_NS6detail15normal_iteratorINS9_10device_ptrIiEEEENSB_INSC_IjEEEESG_jNS9_4plusIvEENS9_8equal_toIvEEjEE10hipError_tPvRmT2_T3_T4_T5_mT6_T7_P12ihipStream_tbENKUlT_T0_E_clISt17integral_constantIbLb1EES11_EEDaSW_SX_EUlSW_E_NS1_11comp_targetILNS1_3genE5ELNS1_11target_archE942ELNS1_3gpuE9ELNS1_3repE0EEENS1_30default_config_static_selectorELNS0_4arch9wavefront6targetE0EEEvT1_.num_agpr, 0
	.set _ZN7rocprim17ROCPRIM_400000_NS6detail17trampoline_kernelINS0_14default_configENS1_27scan_by_key_config_selectorIijEEZZNS1_16scan_by_key_implILNS1_25lookback_scan_determinismE0ELb0ES3_N6thrust23THRUST_200600_302600_NS6detail15normal_iteratorINS9_10device_ptrIiEEEENSB_INSC_IjEEEESG_jNS9_4plusIvEENS9_8equal_toIvEEjEE10hipError_tPvRmT2_T3_T4_T5_mT6_T7_P12ihipStream_tbENKUlT_T0_E_clISt17integral_constantIbLb1EES11_EEDaSW_SX_EUlSW_E_NS1_11comp_targetILNS1_3genE5ELNS1_11target_archE942ELNS1_3gpuE9ELNS1_3repE0EEENS1_30default_config_static_selectorELNS0_4arch9wavefront6targetE0EEEvT1_.numbered_sgpr, 0
	.set _ZN7rocprim17ROCPRIM_400000_NS6detail17trampoline_kernelINS0_14default_configENS1_27scan_by_key_config_selectorIijEEZZNS1_16scan_by_key_implILNS1_25lookback_scan_determinismE0ELb0ES3_N6thrust23THRUST_200600_302600_NS6detail15normal_iteratorINS9_10device_ptrIiEEEENSB_INSC_IjEEEESG_jNS9_4plusIvEENS9_8equal_toIvEEjEE10hipError_tPvRmT2_T3_T4_T5_mT6_T7_P12ihipStream_tbENKUlT_T0_E_clISt17integral_constantIbLb1EES11_EEDaSW_SX_EUlSW_E_NS1_11comp_targetILNS1_3genE5ELNS1_11target_archE942ELNS1_3gpuE9ELNS1_3repE0EEENS1_30default_config_static_selectorELNS0_4arch9wavefront6targetE0EEEvT1_.num_named_barrier, 0
	.set _ZN7rocprim17ROCPRIM_400000_NS6detail17trampoline_kernelINS0_14default_configENS1_27scan_by_key_config_selectorIijEEZZNS1_16scan_by_key_implILNS1_25lookback_scan_determinismE0ELb0ES3_N6thrust23THRUST_200600_302600_NS6detail15normal_iteratorINS9_10device_ptrIiEEEENSB_INSC_IjEEEESG_jNS9_4plusIvEENS9_8equal_toIvEEjEE10hipError_tPvRmT2_T3_T4_T5_mT6_T7_P12ihipStream_tbENKUlT_T0_E_clISt17integral_constantIbLb1EES11_EEDaSW_SX_EUlSW_E_NS1_11comp_targetILNS1_3genE5ELNS1_11target_archE942ELNS1_3gpuE9ELNS1_3repE0EEENS1_30default_config_static_selectorELNS0_4arch9wavefront6targetE0EEEvT1_.private_seg_size, 0
	.set _ZN7rocprim17ROCPRIM_400000_NS6detail17trampoline_kernelINS0_14default_configENS1_27scan_by_key_config_selectorIijEEZZNS1_16scan_by_key_implILNS1_25lookback_scan_determinismE0ELb0ES3_N6thrust23THRUST_200600_302600_NS6detail15normal_iteratorINS9_10device_ptrIiEEEENSB_INSC_IjEEEESG_jNS9_4plusIvEENS9_8equal_toIvEEjEE10hipError_tPvRmT2_T3_T4_T5_mT6_T7_P12ihipStream_tbENKUlT_T0_E_clISt17integral_constantIbLb1EES11_EEDaSW_SX_EUlSW_E_NS1_11comp_targetILNS1_3genE5ELNS1_11target_archE942ELNS1_3gpuE9ELNS1_3repE0EEENS1_30default_config_static_selectorELNS0_4arch9wavefront6targetE0EEEvT1_.uses_vcc, 0
	.set _ZN7rocprim17ROCPRIM_400000_NS6detail17trampoline_kernelINS0_14default_configENS1_27scan_by_key_config_selectorIijEEZZNS1_16scan_by_key_implILNS1_25lookback_scan_determinismE0ELb0ES3_N6thrust23THRUST_200600_302600_NS6detail15normal_iteratorINS9_10device_ptrIiEEEENSB_INSC_IjEEEESG_jNS9_4plusIvEENS9_8equal_toIvEEjEE10hipError_tPvRmT2_T3_T4_T5_mT6_T7_P12ihipStream_tbENKUlT_T0_E_clISt17integral_constantIbLb1EES11_EEDaSW_SX_EUlSW_E_NS1_11comp_targetILNS1_3genE5ELNS1_11target_archE942ELNS1_3gpuE9ELNS1_3repE0EEENS1_30default_config_static_selectorELNS0_4arch9wavefront6targetE0EEEvT1_.uses_flat_scratch, 0
	.set _ZN7rocprim17ROCPRIM_400000_NS6detail17trampoline_kernelINS0_14default_configENS1_27scan_by_key_config_selectorIijEEZZNS1_16scan_by_key_implILNS1_25lookback_scan_determinismE0ELb0ES3_N6thrust23THRUST_200600_302600_NS6detail15normal_iteratorINS9_10device_ptrIiEEEENSB_INSC_IjEEEESG_jNS9_4plusIvEENS9_8equal_toIvEEjEE10hipError_tPvRmT2_T3_T4_T5_mT6_T7_P12ihipStream_tbENKUlT_T0_E_clISt17integral_constantIbLb1EES11_EEDaSW_SX_EUlSW_E_NS1_11comp_targetILNS1_3genE5ELNS1_11target_archE942ELNS1_3gpuE9ELNS1_3repE0EEENS1_30default_config_static_selectorELNS0_4arch9wavefront6targetE0EEEvT1_.has_dyn_sized_stack, 0
	.set _ZN7rocprim17ROCPRIM_400000_NS6detail17trampoline_kernelINS0_14default_configENS1_27scan_by_key_config_selectorIijEEZZNS1_16scan_by_key_implILNS1_25lookback_scan_determinismE0ELb0ES3_N6thrust23THRUST_200600_302600_NS6detail15normal_iteratorINS9_10device_ptrIiEEEENSB_INSC_IjEEEESG_jNS9_4plusIvEENS9_8equal_toIvEEjEE10hipError_tPvRmT2_T3_T4_T5_mT6_T7_P12ihipStream_tbENKUlT_T0_E_clISt17integral_constantIbLb1EES11_EEDaSW_SX_EUlSW_E_NS1_11comp_targetILNS1_3genE5ELNS1_11target_archE942ELNS1_3gpuE9ELNS1_3repE0EEENS1_30default_config_static_selectorELNS0_4arch9wavefront6targetE0EEEvT1_.has_recursion, 0
	.set _ZN7rocprim17ROCPRIM_400000_NS6detail17trampoline_kernelINS0_14default_configENS1_27scan_by_key_config_selectorIijEEZZNS1_16scan_by_key_implILNS1_25lookback_scan_determinismE0ELb0ES3_N6thrust23THRUST_200600_302600_NS6detail15normal_iteratorINS9_10device_ptrIiEEEENSB_INSC_IjEEEESG_jNS9_4plusIvEENS9_8equal_toIvEEjEE10hipError_tPvRmT2_T3_T4_T5_mT6_T7_P12ihipStream_tbENKUlT_T0_E_clISt17integral_constantIbLb1EES11_EEDaSW_SX_EUlSW_E_NS1_11comp_targetILNS1_3genE5ELNS1_11target_archE942ELNS1_3gpuE9ELNS1_3repE0EEENS1_30default_config_static_selectorELNS0_4arch9wavefront6targetE0EEEvT1_.has_indirect_call, 0
	.section	.AMDGPU.csdata,"",@progbits
; Kernel info:
; codeLenInByte = 0
; TotalNumSgprs: 0
; NumVgprs: 0
; ScratchSize: 0
; MemoryBound: 0
; FloatMode: 240
; IeeeMode: 1
; LDSByteSize: 0 bytes/workgroup (compile time only)
; SGPRBlocks: 0
; VGPRBlocks: 0
; NumSGPRsForWavesPerEU: 1
; NumVGPRsForWavesPerEU: 1
; NamedBarCnt: 0
; Occupancy: 16
; WaveLimiterHint : 0
; COMPUTE_PGM_RSRC2:SCRATCH_EN: 0
; COMPUTE_PGM_RSRC2:USER_SGPR: 2
; COMPUTE_PGM_RSRC2:TRAP_HANDLER: 0
; COMPUTE_PGM_RSRC2:TGID_X_EN: 1
; COMPUTE_PGM_RSRC2:TGID_Y_EN: 0
; COMPUTE_PGM_RSRC2:TGID_Z_EN: 0
; COMPUTE_PGM_RSRC2:TIDIG_COMP_CNT: 0
	.section	.text._ZN7rocprim17ROCPRIM_400000_NS6detail17trampoline_kernelINS0_14default_configENS1_27scan_by_key_config_selectorIijEEZZNS1_16scan_by_key_implILNS1_25lookback_scan_determinismE0ELb0ES3_N6thrust23THRUST_200600_302600_NS6detail15normal_iteratorINS9_10device_ptrIiEEEENSB_INSC_IjEEEESG_jNS9_4plusIvEENS9_8equal_toIvEEjEE10hipError_tPvRmT2_T3_T4_T5_mT6_T7_P12ihipStream_tbENKUlT_T0_E_clISt17integral_constantIbLb1EES11_EEDaSW_SX_EUlSW_E_NS1_11comp_targetILNS1_3genE4ELNS1_11target_archE910ELNS1_3gpuE8ELNS1_3repE0EEENS1_30default_config_static_selectorELNS0_4arch9wavefront6targetE0EEEvT1_,"axG",@progbits,_ZN7rocprim17ROCPRIM_400000_NS6detail17trampoline_kernelINS0_14default_configENS1_27scan_by_key_config_selectorIijEEZZNS1_16scan_by_key_implILNS1_25lookback_scan_determinismE0ELb0ES3_N6thrust23THRUST_200600_302600_NS6detail15normal_iteratorINS9_10device_ptrIiEEEENSB_INSC_IjEEEESG_jNS9_4plusIvEENS9_8equal_toIvEEjEE10hipError_tPvRmT2_T3_T4_T5_mT6_T7_P12ihipStream_tbENKUlT_T0_E_clISt17integral_constantIbLb1EES11_EEDaSW_SX_EUlSW_E_NS1_11comp_targetILNS1_3genE4ELNS1_11target_archE910ELNS1_3gpuE8ELNS1_3repE0EEENS1_30default_config_static_selectorELNS0_4arch9wavefront6targetE0EEEvT1_,comdat
	.protected	_ZN7rocprim17ROCPRIM_400000_NS6detail17trampoline_kernelINS0_14default_configENS1_27scan_by_key_config_selectorIijEEZZNS1_16scan_by_key_implILNS1_25lookback_scan_determinismE0ELb0ES3_N6thrust23THRUST_200600_302600_NS6detail15normal_iteratorINS9_10device_ptrIiEEEENSB_INSC_IjEEEESG_jNS9_4plusIvEENS9_8equal_toIvEEjEE10hipError_tPvRmT2_T3_T4_T5_mT6_T7_P12ihipStream_tbENKUlT_T0_E_clISt17integral_constantIbLb1EES11_EEDaSW_SX_EUlSW_E_NS1_11comp_targetILNS1_3genE4ELNS1_11target_archE910ELNS1_3gpuE8ELNS1_3repE0EEENS1_30default_config_static_selectorELNS0_4arch9wavefront6targetE0EEEvT1_ ; -- Begin function _ZN7rocprim17ROCPRIM_400000_NS6detail17trampoline_kernelINS0_14default_configENS1_27scan_by_key_config_selectorIijEEZZNS1_16scan_by_key_implILNS1_25lookback_scan_determinismE0ELb0ES3_N6thrust23THRUST_200600_302600_NS6detail15normal_iteratorINS9_10device_ptrIiEEEENSB_INSC_IjEEEESG_jNS9_4plusIvEENS9_8equal_toIvEEjEE10hipError_tPvRmT2_T3_T4_T5_mT6_T7_P12ihipStream_tbENKUlT_T0_E_clISt17integral_constantIbLb1EES11_EEDaSW_SX_EUlSW_E_NS1_11comp_targetILNS1_3genE4ELNS1_11target_archE910ELNS1_3gpuE8ELNS1_3repE0EEENS1_30default_config_static_selectorELNS0_4arch9wavefront6targetE0EEEvT1_
	.globl	_ZN7rocprim17ROCPRIM_400000_NS6detail17trampoline_kernelINS0_14default_configENS1_27scan_by_key_config_selectorIijEEZZNS1_16scan_by_key_implILNS1_25lookback_scan_determinismE0ELb0ES3_N6thrust23THRUST_200600_302600_NS6detail15normal_iteratorINS9_10device_ptrIiEEEENSB_INSC_IjEEEESG_jNS9_4plusIvEENS9_8equal_toIvEEjEE10hipError_tPvRmT2_T3_T4_T5_mT6_T7_P12ihipStream_tbENKUlT_T0_E_clISt17integral_constantIbLb1EES11_EEDaSW_SX_EUlSW_E_NS1_11comp_targetILNS1_3genE4ELNS1_11target_archE910ELNS1_3gpuE8ELNS1_3repE0EEENS1_30default_config_static_selectorELNS0_4arch9wavefront6targetE0EEEvT1_
	.p2align	8
	.type	_ZN7rocprim17ROCPRIM_400000_NS6detail17trampoline_kernelINS0_14default_configENS1_27scan_by_key_config_selectorIijEEZZNS1_16scan_by_key_implILNS1_25lookback_scan_determinismE0ELb0ES3_N6thrust23THRUST_200600_302600_NS6detail15normal_iteratorINS9_10device_ptrIiEEEENSB_INSC_IjEEEESG_jNS9_4plusIvEENS9_8equal_toIvEEjEE10hipError_tPvRmT2_T3_T4_T5_mT6_T7_P12ihipStream_tbENKUlT_T0_E_clISt17integral_constantIbLb1EES11_EEDaSW_SX_EUlSW_E_NS1_11comp_targetILNS1_3genE4ELNS1_11target_archE910ELNS1_3gpuE8ELNS1_3repE0EEENS1_30default_config_static_selectorELNS0_4arch9wavefront6targetE0EEEvT1_,@function
_ZN7rocprim17ROCPRIM_400000_NS6detail17trampoline_kernelINS0_14default_configENS1_27scan_by_key_config_selectorIijEEZZNS1_16scan_by_key_implILNS1_25lookback_scan_determinismE0ELb0ES3_N6thrust23THRUST_200600_302600_NS6detail15normal_iteratorINS9_10device_ptrIiEEEENSB_INSC_IjEEEESG_jNS9_4plusIvEENS9_8equal_toIvEEjEE10hipError_tPvRmT2_T3_T4_T5_mT6_T7_P12ihipStream_tbENKUlT_T0_E_clISt17integral_constantIbLb1EES11_EEDaSW_SX_EUlSW_E_NS1_11comp_targetILNS1_3genE4ELNS1_11target_archE910ELNS1_3gpuE8ELNS1_3repE0EEENS1_30default_config_static_selectorELNS0_4arch9wavefront6targetE0EEEvT1_: ; @_ZN7rocprim17ROCPRIM_400000_NS6detail17trampoline_kernelINS0_14default_configENS1_27scan_by_key_config_selectorIijEEZZNS1_16scan_by_key_implILNS1_25lookback_scan_determinismE0ELb0ES3_N6thrust23THRUST_200600_302600_NS6detail15normal_iteratorINS9_10device_ptrIiEEEENSB_INSC_IjEEEESG_jNS9_4plusIvEENS9_8equal_toIvEEjEE10hipError_tPvRmT2_T3_T4_T5_mT6_T7_P12ihipStream_tbENKUlT_T0_E_clISt17integral_constantIbLb1EES11_EEDaSW_SX_EUlSW_E_NS1_11comp_targetILNS1_3genE4ELNS1_11target_archE910ELNS1_3gpuE8ELNS1_3repE0EEENS1_30default_config_static_selectorELNS0_4arch9wavefront6targetE0EEEvT1_
; %bb.0:
	.section	.rodata,"a",@progbits
	.p2align	6, 0x0
	.amdhsa_kernel _ZN7rocprim17ROCPRIM_400000_NS6detail17trampoline_kernelINS0_14default_configENS1_27scan_by_key_config_selectorIijEEZZNS1_16scan_by_key_implILNS1_25lookback_scan_determinismE0ELb0ES3_N6thrust23THRUST_200600_302600_NS6detail15normal_iteratorINS9_10device_ptrIiEEEENSB_INSC_IjEEEESG_jNS9_4plusIvEENS9_8equal_toIvEEjEE10hipError_tPvRmT2_T3_T4_T5_mT6_T7_P12ihipStream_tbENKUlT_T0_E_clISt17integral_constantIbLb1EES11_EEDaSW_SX_EUlSW_E_NS1_11comp_targetILNS1_3genE4ELNS1_11target_archE910ELNS1_3gpuE8ELNS1_3repE0EEENS1_30default_config_static_selectorELNS0_4arch9wavefront6targetE0EEEvT1_
		.amdhsa_group_segment_fixed_size 0
		.amdhsa_private_segment_fixed_size 0
		.amdhsa_kernarg_size 112
		.amdhsa_user_sgpr_count 2
		.amdhsa_user_sgpr_dispatch_ptr 0
		.amdhsa_user_sgpr_queue_ptr 0
		.amdhsa_user_sgpr_kernarg_segment_ptr 1
		.amdhsa_user_sgpr_dispatch_id 0
		.amdhsa_user_sgpr_kernarg_preload_length 0
		.amdhsa_user_sgpr_kernarg_preload_offset 0
		.amdhsa_user_sgpr_private_segment_size 0
		.amdhsa_wavefront_size32 1
		.amdhsa_uses_dynamic_stack 0
		.amdhsa_enable_private_segment 0
		.amdhsa_system_sgpr_workgroup_id_x 1
		.amdhsa_system_sgpr_workgroup_id_y 0
		.amdhsa_system_sgpr_workgroup_id_z 0
		.amdhsa_system_sgpr_workgroup_info 0
		.amdhsa_system_vgpr_workitem_id 0
		.amdhsa_next_free_vgpr 1
		.amdhsa_next_free_sgpr 1
		.amdhsa_named_barrier_count 0
		.amdhsa_reserve_vcc 0
		.amdhsa_float_round_mode_32 0
		.amdhsa_float_round_mode_16_64 0
		.amdhsa_float_denorm_mode_32 3
		.amdhsa_float_denorm_mode_16_64 3
		.amdhsa_fp16_overflow 0
		.amdhsa_memory_ordered 1
		.amdhsa_forward_progress 1
		.amdhsa_inst_pref_size 0
		.amdhsa_round_robin_scheduling 0
		.amdhsa_exception_fp_ieee_invalid_op 0
		.amdhsa_exception_fp_denorm_src 0
		.amdhsa_exception_fp_ieee_div_zero 0
		.amdhsa_exception_fp_ieee_overflow 0
		.amdhsa_exception_fp_ieee_underflow 0
		.amdhsa_exception_fp_ieee_inexact 0
		.amdhsa_exception_int_div_zero 0
	.end_amdhsa_kernel
	.section	.text._ZN7rocprim17ROCPRIM_400000_NS6detail17trampoline_kernelINS0_14default_configENS1_27scan_by_key_config_selectorIijEEZZNS1_16scan_by_key_implILNS1_25lookback_scan_determinismE0ELb0ES3_N6thrust23THRUST_200600_302600_NS6detail15normal_iteratorINS9_10device_ptrIiEEEENSB_INSC_IjEEEESG_jNS9_4plusIvEENS9_8equal_toIvEEjEE10hipError_tPvRmT2_T3_T4_T5_mT6_T7_P12ihipStream_tbENKUlT_T0_E_clISt17integral_constantIbLb1EES11_EEDaSW_SX_EUlSW_E_NS1_11comp_targetILNS1_3genE4ELNS1_11target_archE910ELNS1_3gpuE8ELNS1_3repE0EEENS1_30default_config_static_selectorELNS0_4arch9wavefront6targetE0EEEvT1_,"axG",@progbits,_ZN7rocprim17ROCPRIM_400000_NS6detail17trampoline_kernelINS0_14default_configENS1_27scan_by_key_config_selectorIijEEZZNS1_16scan_by_key_implILNS1_25lookback_scan_determinismE0ELb0ES3_N6thrust23THRUST_200600_302600_NS6detail15normal_iteratorINS9_10device_ptrIiEEEENSB_INSC_IjEEEESG_jNS9_4plusIvEENS9_8equal_toIvEEjEE10hipError_tPvRmT2_T3_T4_T5_mT6_T7_P12ihipStream_tbENKUlT_T0_E_clISt17integral_constantIbLb1EES11_EEDaSW_SX_EUlSW_E_NS1_11comp_targetILNS1_3genE4ELNS1_11target_archE910ELNS1_3gpuE8ELNS1_3repE0EEENS1_30default_config_static_selectorELNS0_4arch9wavefront6targetE0EEEvT1_,comdat
.Lfunc_end1235:
	.size	_ZN7rocprim17ROCPRIM_400000_NS6detail17trampoline_kernelINS0_14default_configENS1_27scan_by_key_config_selectorIijEEZZNS1_16scan_by_key_implILNS1_25lookback_scan_determinismE0ELb0ES3_N6thrust23THRUST_200600_302600_NS6detail15normal_iteratorINS9_10device_ptrIiEEEENSB_INSC_IjEEEESG_jNS9_4plusIvEENS9_8equal_toIvEEjEE10hipError_tPvRmT2_T3_T4_T5_mT6_T7_P12ihipStream_tbENKUlT_T0_E_clISt17integral_constantIbLb1EES11_EEDaSW_SX_EUlSW_E_NS1_11comp_targetILNS1_3genE4ELNS1_11target_archE910ELNS1_3gpuE8ELNS1_3repE0EEENS1_30default_config_static_selectorELNS0_4arch9wavefront6targetE0EEEvT1_, .Lfunc_end1235-_ZN7rocprim17ROCPRIM_400000_NS6detail17trampoline_kernelINS0_14default_configENS1_27scan_by_key_config_selectorIijEEZZNS1_16scan_by_key_implILNS1_25lookback_scan_determinismE0ELb0ES3_N6thrust23THRUST_200600_302600_NS6detail15normal_iteratorINS9_10device_ptrIiEEEENSB_INSC_IjEEEESG_jNS9_4plusIvEENS9_8equal_toIvEEjEE10hipError_tPvRmT2_T3_T4_T5_mT6_T7_P12ihipStream_tbENKUlT_T0_E_clISt17integral_constantIbLb1EES11_EEDaSW_SX_EUlSW_E_NS1_11comp_targetILNS1_3genE4ELNS1_11target_archE910ELNS1_3gpuE8ELNS1_3repE0EEENS1_30default_config_static_selectorELNS0_4arch9wavefront6targetE0EEEvT1_
                                        ; -- End function
	.set _ZN7rocprim17ROCPRIM_400000_NS6detail17trampoline_kernelINS0_14default_configENS1_27scan_by_key_config_selectorIijEEZZNS1_16scan_by_key_implILNS1_25lookback_scan_determinismE0ELb0ES3_N6thrust23THRUST_200600_302600_NS6detail15normal_iteratorINS9_10device_ptrIiEEEENSB_INSC_IjEEEESG_jNS9_4plusIvEENS9_8equal_toIvEEjEE10hipError_tPvRmT2_T3_T4_T5_mT6_T7_P12ihipStream_tbENKUlT_T0_E_clISt17integral_constantIbLb1EES11_EEDaSW_SX_EUlSW_E_NS1_11comp_targetILNS1_3genE4ELNS1_11target_archE910ELNS1_3gpuE8ELNS1_3repE0EEENS1_30default_config_static_selectorELNS0_4arch9wavefront6targetE0EEEvT1_.num_vgpr, 0
	.set _ZN7rocprim17ROCPRIM_400000_NS6detail17trampoline_kernelINS0_14default_configENS1_27scan_by_key_config_selectorIijEEZZNS1_16scan_by_key_implILNS1_25lookback_scan_determinismE0ELb0ES3_N6thrust23THRUST_200600_302600_NS6detail15normal_iteratorINS9_10device_ptrIiEEEENSB_INSC_IjEEEESG_jNS9_4plusIvEENS9_8equal_toIvEEjEE10hipError_tPvRmT2_T3_T4_T5_mT6_T7_P12ihipStream_tbENKUlT_T0_E_clISt17integral_constantIbLb1EES11_EEDaSW_SX_EUlSW_E_NS1_11comp_targetILNS1_3genE4ELNS1_11target_archE910ELNS1_3gpuE8ELNS1_3repE0EEENS1_30default_config_static_selectorELNS0_4arch9wavefront6targetE0EEEvT1_.num_agpr, 0
	.set _ZN7rocprim17ROCPRIM_400000_NS6detail17trampoline_kernelINS0_14default_configENS1_27scan_by_key_config_selectorIijEEZZNS1_16scan_by_key_implILNS1_25lookback_scan_determinismE0ELb0ES3_N6thrust23THRUST_200600_302600_NS6detail15normal_iteratorINS9_10device_ptrIiEEEENSB_INSC_IjEEEESG_jNS9_4plusIvEENS9_8equal_toIvEEjEE10hipError_tPvRmT2_T3_T4_T5_mT6_T7_P12ihipStream_tbENKUlT_T0_E_clISt17integral_constantIbLb1EES11_EEDaSW_SX_EUlSW_E_NS1_11comp_targetILNS1_3genE4ELNS1_11target_archE910ELNS1_3gpuE8ELNS1_3repE0EEENS1_30default_config_static_selectorELNS0_4arch9wavefront6targetE0EEEvT1_.numbered_sgpr, 0
	.set _ZN7rocprim17ROCPRIM_400000_NS6detail17trampoline_kernelINS0_14default_configENS1_27scan_by_key_config_selectorIijEEZZNS1_16scan_by_key_implILNS1_25lookback_scan_determinismE0ELb0ES3_N6thrust23THRUST_200600_302600_NS6detail15normal_iteratorINS9_10device_ptrIiEEEENSB_INSC_IjEEEESG_jNS9_4plusIvEENS9_8equal_toIvEEjEE10hipError_tPvRmT2_T3_T4_T5_mT6_T7_P12ihipStream_tbENKUlT_T0_E_clISt17integral_constantIbLb1EES11_EEDaSW_SX_EUlSW_E_NS1_11comp_targetILNS1_3genE4ELNS1_11target_archE910ELNS1_3gpuE8ELNS1_3repE0EEENS1_30default_config_static_selectorELNS0_4arch9wavefront6targetE0EEEvT1_.num_named_barrier, 0
	.set _ZN7rocprim17ROCPRIM_400000_NS6detail17trampoline_kernelINS0_14default_configENS1_27scan_by_key_config_selectorIijEEZZNS1_16scan_by_key_implILNS1_25lookback_scan_determinismE0ELb0ES3_N6thrust23THRUST_200600_302600_NS6detail15normal_iteratorINS9_10device_ptrIiEEEENSB_INSC_IjEEEESG_jNS9_4plusIvEENS9_8equal_toIvEEjEE10hipError_tPvRmT2_T3_T4_T5_mT6_T7_P12ihipStream_tbENKUlT_T0_E_clISt17integral_constantIbLb1EES11_EEDaSW_SX_EUlSW_E_NS1_11comp_targetILNS1_3genE4ELNS1_11target_archE910ELNS1_3gpuE8ELNS1_3repE0EEENS1_30default_config_static_selectorELNS0_4arch9wavefront6targetE0EEEvT1_.private_seg_size, 0
	.set _ZN7rocprim17ROCPRIM_400000_NS6detail17trampoline_kernelINS0_14default_configENS1_27scan_by_key_config_selectorIijEEZZNS1_16scan_by_key_implILNS1_25lookback_scan_determinismE0ELb0ES3_N6thrust23THRUST_200600_302600_NS6detail15normal_iteratorINS9_10device_ptrIiEEEENSB_INSC_IjEEEESG_jNS9_4plusIvEENS9_8equal_toIvEEjEE10hipError_tPvRmT2_T3_T4_T5_mT6_T7_P12ihipStream_tbENKUlT_T0_E_clISt17integral_constantIbLb1EES11_EEDaSW_SX_EUlSW_E_NS1_11comp_targetILNS1_3genE4ELNS1_11target_archE910ELNS1_3gpuE8ELNS1_3repE0EEENS1_30default_config_static_selectorELNS0_4arch9wavefront6targetE0EEEvT1_.uses_vcc, 0
	.set _ZN7rocprim17ROCPRIM_400000_NS6detail17trampoline_kernelINS0_14default_configENS1_27scan_by_key_config_selectorIijEEZZNS1_16scan_by_key_implILNS1_25lookback_scan_determinismE0ELb0ES3_N6thrust23THRUST_200600_302600_NS6detail15normal_iteratorINS9_10device_ptrIiEEEENSB_INSC_IjEEEESG_jNS9_4plusIvEENS9_8equal_toIvEEjEE10hipError_tPvRmT2_T3_T4_T5_mT6_T7_P12ihipStream_tbENKUlT_T0_E_clISt17integral_constantIbLb1EES11_EEDaSW_SX_EUlSW_E_NS1_11comp_targetILNS1_3genE4ELNS1_11target_archE910ELNS1_3gpuE8ELNS1_3repE0EEENS1_30default_config_static_selectorELNS0_4arch9wavefront6targetE0EEEvT1_.uses_flat_scratch, 0
	.set _ZN7rocprim17ROCPRIM_400000_NS6detail17trampoline_kernelINS0_14default_configENS1_27scan_by_key_config_selectorIijEEZZNS1_16scan_by_key_implILNS1_25lookback_scan_determinismE0ELb0ES3_N6thrust23THRUST_200600_302600_NS6detail15normal_iteratorINS9_10device_ptrIiEEEENSB_INSC_IjEEEESG_jNS9_4plusIvEENS9_8equal_toIvEEjEE10hipError_tPvRmT2_T3_T4_T5_mT6_T7_P12ihipStream_tbENKUlT_T0_E_clISt17integral_constantIbLb1EES11_EEDaSW_SX_EUlSW_E_NS1_11comp_targetILNS1_3genE4ELNS1_11target_archE910ELNS1_3gpuE8ELNS1_3repE0EEENS1_30default_config_static_selectorELNS0_4arch9wavefront6targetE0EEEvT1_.has_dyn_sized_stack, 0
	.set _ZN7rocprim17ROCPRIM_400000_NS6detail17trampoline_kernelINS0_14default_configENS1_27scan_by_key_config_selectorIijEEZZNS1_16scan_by_key_implILNS1_25lookback_scan_determinismE0ELb0ES3_N6thrust23THRUST_200600_302600_NS6detail15normal_iteratorINS9_10device_ptrIiEEEENSB_INSC_IjEEEESG_jNS9_4plusIvEENS9_8equal_toIvEEjEE10hipError_tPvRmT2_T3_T4_T5_mT6_T7_P12ihipStream_tbENKUlT_T0_E_clISt17integral_constantIbLb1EES11_EEDaSW_SX_EUlSW_E_NS1_11comp_targetILNS1_3genE4ELNS1_11target_archE910ELNS1_3gpuE8ELNS1_3repE0EEENS1_30default_config_static_selectorELNS0_4arch9wavefront6targetE0EEEvT1_.has_recursion, 0
	.set _ZN7rocprim17ROCPRIM_400000_NS6detail17trampoline_kernelINS0_14default_configENS1_27scan_by_key_config_selectorIijEEZZNS1_16scan_by_key_implILNS1_25lookback_scan_determinismE0ELb0ES3_N6thrust23THRUST_200600_302600_NS6detail15normal_iteratorINS9_10device_ptrIiEEEENSB_INSC_IjEEEESG_jNS9_4plusIvEENS9_8equal_toIvEEjEE10hipError_tPvRmT2_T3_T4_T5_mT6_T7_P12ihipStream_tbENKUlT_T0_E_clISt17integral_constantIbLb1EES11_EEDaSW_SX_EUlSW_E_NS1_11comp_targetILNS1_3genE4ELNS1_11target_archE910ELNS1_3gpuE8ELNS1_3repE0EEENS1_30default_config_static_selectorELNS0_4arch9wavefront6targetE0EEEvT1_.has_indirect_call, 0
	.section	.AMDGPU.csdata,"",@progbits
; Kernel info:
; codeLenInByte = 0
; TotalNumSgprs: 0
; NumVgprs: 0
; ScratchSize: 0
; MemoryBound: 0
; FloatMode: 240
; IeeeMode: 1
; LDSByteSize: 0 bytes/workgroup (compile time only)
; SGPRBlocks: 0
; VGPRBlocks: 0
; NumSGPRsForWavesPerEU: 1
; NumVGPRsForWavesPerEU: 1
; NamedBarCnt: 0
; Occupancy: 16
; WaveLimiterHint : 0
; COMPUTE_PGM_RSRC2:SCRATCH_EN: 0
; COMPUTE_PGM_RSRC2:USER_SGPR: 2
; COMPUTE_PGM_RSRC2:TRAP_HANDLER: 0
; COMPUTE_PGM_RSRC2:TGID_X_EN: 1
; COMPUTE_PGM_RSRC2:TGID_Y_EN: 0
; COMPUTE_PGM_RSRC2:TGID_Z_EN: 0
; COMPUTE_PGM_RSRC2:TIDIG_COMP_CNT: 0
	.section	.text._ZN7rocprim17ROCPRIM_400000_NS6detail17trampoline_kernelINS0_14default_configENS1_27scan_by_key_config_selectorIijEEZZNS1_16scan_by_key_implILNS1_25lookback_scan_determinismE0ELb0ES3_N6thrust23THRUST_200600_302600_NS6detail15normal_iteratorINS9_10device_ptrIiEEEENSB_INSC_IjEEEESG_jNS9_4plusIvEENS9_8equal_toIvEEjEE10hipError_tPvRmT2_T3_T4_T5_mT6_T7_P12ihipStream_tbENKUlT_T0_E_clISt17integral_constantIbLb1EES11_EEDaSW_SX_EUlSW_E_NS1_11comp_targetILNS1_3genE3ELNS1_11target_archE908ELNS1_3gpuE7ELNS1_3repE0EEENS1_30default_config_static_selectorELNS0_4arch9wavefront6targetE0EEEvT1_,"axG",@progbits,_ZN7rocprim17ROCPRIM_400000_NS6detail17trampoline_kernelINS0_14default_configENS1_27scan_by_key_config_selectorIijEEZZNS1_16scan_by_key_implILNS1_25lookback_scan_determinismE0ELb0ES3_N6thrust23THRUST_200600_302600_NS6detail15normal_iteratorINS9_10device_ptrIiEEEENSB_INSC_IjEEEESG_jNS9_4plusIvEENS9_8equal_toIvEEjEE10hipError_tPvRmT2_T3_T4_T5_mT6_T7_P12ihipStream_tbENKUlT_T0_E_clISt17integral_constantIbLb1EES11_EEDaSW_SX_EUlSW_E_NS1_11comp_targetILNS1_3genE3ELNS1_11target_archE908ELNS1_3gpuE7ELNS1_3repE0EEENS1_30default_config_static_selectorELNS0_4arch9wavefront6targetE0EEEvT1_,comdat
	.protected	_ZN7rocprim17ROCPRIM_400000_NS6detail17trampoline_kernelINS0_14default_configENS1_27scan_by_key_config_selectorIijEEZZNS1_16scan_by_key_implILNS1_25lookback_scan_determinismE0ELb0ES3_N6thrust23THRUST_200600_302600_NS6detail15normal_iteratorINS9_10device_ptrIiEEEENSB_INSC_IjEEEESG_jNS9_4plusIvEENS9_8equal_toIvEEjEE10hipError_tPvRmT2_T3_T4_T5_mT6_T7_P12ihipStream_tbENKUlT_T0_E_clISt17integral_constantIbLb1EES11_EEDaSW_SX_EUlSW_E_NS1_11comp_targetILNS1_3genE3ELNS1_11target_archE908ELNS1_3gpuE7ELNS1_3repE0EEENS1_30default_config_static_selectorELNS0_4arch9wavefront6targetE0EEEvT1_ ; -- Begin function _ZN7rocprim17ROCPRIM_400000_NS6detail17trampoline_kernelINS0_14default_configENS1_27scan_by_key_config_selectorIijEEZZNS1_16scan_by_key_implILNS1_25lookback_scan_determinismE0ELb0ES3_N6thrust23THRUST_200600_302600_NS6detail15normal_iteratorINS9_10device_ptrIiEEEENSB_INSC_IjEEEESG_jNS9_4plusIvEENS9_8equal_toIvEEjEE10hipError_tPvRmT2_T3_T4_T5_mT6_T7_P12ihipStream_tbENKUlT_T0_E_clISt17integral_constantIbLb1EES11_EEDaSW_SX_EUlSW_E_NS1_11comp_targetILNS1_3genE3ELNS1_11target_archE908ELNS1_3gpuE7ELNS1_3repE0EEENS1_30default_config_static_selectorELNS0_4arch9wavefront6targetE0EEEvT1_
	.globl	_ZN7rocprim17ROCPRIM_400000_NS6detail17trampoline_kernelINS0_14default_configENS1_27scan_by_key_config_selectorIijEEZZNS1_16scan_by_key_implILNS1_25lookback_scan_determinismE0ELb0ES3_N6thrust23THRUST_200600_302600_NS6detail15normal_iteratorINS9_10device_ptrIiEEEENSB_INSC_IjEEEESG_jNS9_4plusIvEENS9_8equal_toIvEEjEE10hipError_tPvRmT2_T3_T4_T5_mT6_T7_P12ihipStream_tbENKUlT_T0_E_clISt17integral_constantIbLb1EES11_EEDaSW_SX_EUlSW_E_NS1_11comp_targetILNS1_3genE3ELNS1_11target_archE908ELNS1_3gpuE7ELNS1_3repE0EEENS1_30default_config_static_selectorELNS0_4arch9wavefront6targetE0EEEvT1_
	.p2align	8
	.type	_ZN7rocprim17ROCPRIM_400000_NS6detail17trampoline_kernelINS0_14default_configENS1_27scan_by_key_config_selectorIijEEZZNS1_16scan_by_key_implILNS1_25lookback_scan_determinismE0ELb0ES3_N6thrust23THRUST_200600_302600_NS6detail15normal_iteratorINS9_10device_ptrIiEEEENSB_INSC_IjEEEESG_jNS9_4plusIvEENS9_8equal_toIvEEjEE10hipError_tPvRmT2_T3_T4_T5_mT6_T7_P12ihipStream_tbENKUlT_T0_E_clISt17integral_constantIbLb1EES11_EEDaSW_SX_EUlSW_E_NS1_11comp_targetILNS1_3genE3ELNS1_11target_archE908ELNS1_3gpuE7ELNS1_3repE0EEENS1_30default_config_static_selectorELNS0_4arch9wavefront6targetE0EEEvT1_,@function
_ZN7rocprim17ROCPRIM_400000_NS6detail17trampoline_kernelINS0_14default_configENS1_27scan_by_key_config_selectorIijEEZZNS1_16scan_by_key_implILNS1_25lookback_scan_determinismE0ELb0ES3_N6thrust23THRUST_200600_302600_NS6detail15normal_iteratorINS9_10device_ptrIiEEEENSB_INSC_IjEEEESG_jNS9_4plusIvEENS9_8equal_toIvEEjEE10hipError_tPvRmT2_T3_T4_T5_mT6_T7_P12ihipStream_tbENKUlT_T0_E_clISt17integral_constantIbLb1EES11_EEDaSW_SX_EUlSW_E_NS1_11comp_targetILNS1_3genE3ELNS1_11target_archE908ELNS1_3gpuE7ELNS1_3repE0EEENS1_30default_config_static_selectorELNS0_4arch9wavefront6targetE0EEEvT1_: ; @_ZN7rocprim17ROCPRIM_400000_NS6detail17trampoline_kernelINS0_14default_configENS1_27scan_by_key_config_selectorIijEEZZNS1_16scan_by_key_implILNS1_25lookback_scan_determinismE0ELb0ES3_N6thrust23THRUST_200600_302600_NS6detail15normal_iteratorINS9_10device_ptrIiEEEENSB_INSC_IjEEEESG_jNS9_4plusIvEENS9_8equal_toIvEEjEE10hipError_tPvRmT2_T3_T4_T5_mT6_T7_P12ihipStream_tbENKUlT_T0_E_clISt17integral_constantIbLb1EES11_EEDaSW_SX_EUlSW_E_NS1_11comp_targetILNS1_3genE3ELNS1_11target_archE908ELNS1_3gpuE7ELNS1_3repE0EEENS1_30default_config_static_selectorELNS0_4arch9wavefront6targetE0EEEvT1_
; %bb.0:
	.section	.rodata,"a",@progbits
	.p2align	6, 0x0
	.amdhsa_kernel _ZN7rocprim17ROCPRIM_400000_NS6detail17trampoline_kernelINS0_14default_configENS1_27scan_by_key_config_selectorIijEEZZNS1_16scan_by_key_implILNS1_25lookback_scan_determinismE0ELb0ES3_N6thrust23THRUST_200600_302600_NS6detail15normal_iteratorINS9_10device_ptrIiEEEENSB_INSC_IjEEEESG_jNS9_4plusIvEENS9_8equal_toIvEEjEE10hipError_tPvRmT2_T3_T4_T5_mT6_T7_P12ihipStream_tbENKUlT_T0_E_clISt17integral_constantIbLb1EES11_EEDaSW_SX_EUlSW_E_NS1_11comp_targetILNS1_3genE3ELNS1_11target_archE908ELNS1_3gpuE7ELNS1_3repE0EEENS1_30default_config_static_selectorELNS0_4arch9wavefront6targetE0EEEvT1_
		.amdhsa_group_segment_fixed_size 0
		.amdhsa_private_segment_fixed_size 0
		.amdhsa_kernarg_size 112
		.amdhsa_user_sgpr_count 2
		.amdhsa_user_sgpr_dispatch_ptr 0
		.amdhsa_user_sgpr_queue_ptr 0
		.amdhsa_user_sgpr_kernarg_segment_ptr 1
		.amdhsa_user_sgpr_dispatch_id 0
		.amdhsa_user_sgpr_kernarg_preload_length 0
		.amdhsa_user_sgpr_kernarg_preload_offset 0
		.amdhsa_user_sgpr_private_segment_size 0
		.amdhsa_wavefront_size32 1
		.amdhsa_uses_dynamic_stack 0
		.amdhsa_enable_private_segment 0
		.amdhsa_system_sgpr_workgroup_id_x 1
		.amdhsa_system_sgpr_workgroup_id_y 0
		.amdhsa_system_sgpr_workgroup_id_z 0
		.amdhsa_system_sgpr_workgroup_info 0
		.amdhsa_system_vgpr_workitem_id 0
		.amdhsa_next_free_vgpr 1
		.amdhsa_next_free_sgpr 1
		.amdhsa_named_barrier_count 0
		.amdhsa_reserve_vcc 0
		.amdhsa_float_round_mode_32 0
		.amdhsa_float_round_mode_16_64 0
		.amdhsa_float_denorm_mode_32 3
		.amdhsa_float_denorm_mode_16_64 3
		.amdhsa_fp16_overflow 0
		.amdhsa_memory_ordered 1
		.amdhsa_forward_progress 1
		.amdhsa_inst_pref_size 0
		.amdhsa_round_robin_scheduling 0
		.amdhsa_exception_fp_ieee_invalid_op 0
		.amdhsa_exception_fp_denorm_src 0
		.amdhsa_exception_fp_ieee_div_zero 0
		.amdhsa_exception_fp_ieee_overflow 0
		.amdhsa_exception_fp_ieee_underflow 0
		.amdhsa_exception_fp_ieee_inexact 0
		.amdhsa_exception_int_div_zero 0
	.end_amdhsa_kernel
	.section	.text._ZN7rocprim17ROCPRIM_400000_NS6detail17trampoline_kernelINS0_14default_configENS1_27scan_by_key_config_selectorIijEEZZNS1_16scan_by_key_implILNS1_25lookback_scan_determinismE0ELb0ES3_N6thrust23THRUST_200600_302600_NS6detail15normal_iteratorINS9_10device_ptrIiEEEENSB_INSC_IjEEEESG_jNS9_4plusIvEENS9_8equal_toIvEEjEE10hipError_tPvRmT2_T3_T4_T5_mT6_T7_P12ihipStream_tbENKUlT_T0_E_clISt17integral_constantIbLb1EES11_EEDaSW_SX_EUlSW_E_NS1_11comp_targetILNS1_3genE3ELNS1_11target_archE908ELNS1_3gpuE7ELNS1_3repE0EEENS1_30default_config_static_selectorELNS0_4arch9wavefront6targetE0EEEvT1_,"axG",@progbits,_ZN7rocprim17ROCPRIM_400000_NS6detail17trampoline_kernelINS0_14default_configENS1_27scan_by_key_config_selectorIijEEZZNS1_16scan_by_key_implILNS1_25lookback_scan_determinismE0ELb0ES3_N6thrust23THRUST_200600_302600_NS6detail15normal_iteratorINS9_10device_ptrIiEEEENSB_INSC_IjEEEESG_jNS9_4plusIvEENS9_8equal_toIvEEjEE10hipError_tPvRmT2_T3_T4_T5_mT6_T7_P12ihipStream_tbENKUlT_T0_E_clISt17integral_constantIbLb1EES11_EEDaSW_SX_EUlSW_E_NS1_11comp_targetILNS1_3genE3ELNS1_11target_archE908ELNS1_3gpuE7ELNS1_3repE0EEENS1_30default_config_static_selectorELNS0_4arch9wavefront6targetE0EEEvT1_,comdat
.Lfunc_end1236:
	.size	_ZN7rocprim17ROCPRIM_400000_NS6detail17trampoline_kernelINS0_14default_configENS1_27scan_by_key_config_selectorIijEEZZNS1_16scan_by_key_implILNS1_25lookback_scan_determinismE0ELb0ES3_N6thrust23THRUST_200600_302600_NS6detail15normal_iteratorINS9_10device_ptrIiEEEENSB_INSC_IjEEEESG_jNS9_4plusIvEENS9_8equal_toIvEEjEE10hipError_tPvRmT2_T3_T4_T5_mT6_T7_P12ihipStream_tbENKUlT_T0_E_clISt17integral_constantIbLb1EES11_EEDaSW_SX_EUlSW_E_NS1_11comp_targetILNS1_3genE3ELNS1_11target_archE908ELNS1_3gpuE7ELNS1_3repE0EEENS1_30default_config_static_selectorELNS0_4arch9wavefront6targetE0EEEvT1_, .Lfunc_end1236-_ZN7rocprim17ROCPRIM_400000_NS6detail17trampoline_kernelINS0_14default_configENS1_27scan_by_key_config_selectorIijEEZZNS1_16scan_by_key_implILNS1_25lookback_scan_determinismE0ELb0ES3_N6thrust23THRUST_200600_302600_NS6detail15normal_iteratorINS9_10device_ptrIiEEEENSB_INSC_IjEEEESG_jNS9_4plusIvEENS9_8equal_toIvEEjEE10hipError_tPvRmT2_T3_T4_T5_mT6_T7_P12ihipStream_tbENKUlT_T0_E_clISt17integral_constantIbLb1EES11_EEDaSW_SX_EUlSW_E_NS1_11comp_targetILNS1_3genE3ELNS1_11target_archE908ELNS1_3gpuE7ELNS1_3repE0EEENS1_30default_config_static_selectorELNS0_4arch9wavefront6targetE0EEEvT1_
                                        ; -- End function
	.set _ZN7rocprim17ROCPRIM_400000_NS6detail17trampoline_kernelINS0_14default_configENS1_27scan_by_key_config_selectorIijEEZZNS1_16scan_by_key_implILNS1_25lookback_scan_determinismE0ELb0ES3_N6thrust23THRUST_200600_302600_NS6detail15normal_iteratorINS9_10device_ptrIiEEEENSB_INSC_IjEEEESG_jNS9_4plusIvEENS9_8equal_toIvEEjEE10hipError_tPvRmT2_T3_T4_T5_mT6_T7_P12ihipStream_tbENKUlT_T0_E_clISt17integral_constantIbLb1EES11_EEDaSW_SX_EUlSW_E_NS1_11comp_targetILNS1_3genE3ELNS1_11target_archE908ELNS1_3gpuE7ELNS1_3repE0EEENS1_30default_config_static_selectorELNS0_4arch9wavefront6targetE0EEEvT1_.num_vgpr, 0
	.set _ZN7rocprim17ROCPRIM_400000_NS6detail17trampoline_kernelINS0_14default_configENS1_27scan_by_key_config_selectorIijEEZZNS1_16scan_by_key_implILNS1_25lookback_scan_determinismE0ELb0ES3_N6thrust23THRUST_200600_302600_NS6detail15normal_iteratorINS9_10device_ptrIiEEEENSB_INSC_IjEEEESG_jNS9_4plusIvEENS9_8equal_toIvEEjEE10hipError_tPvRmT2_T3_T4_T5_mT6_T7_P12ihipStream_tbENKUlT_T0_E_clISt17integral_constantIbLb1EES11_EEDaSW_SX_EUlSW_E_NS1_11comp_targetILNS1_3genE3ELNS1_11target_archE908ELNS1_3gpuE7ELNS1_3repE0EEENS1_30default_config_static_selectorELNS0_4arch9wavefront6targetE0EEEvT1_.num_agpr, 0
	.set _ZN7rocprim17ROCPRIM_400000_NS6detail17trampoline_kernelINS0_14default_configENS1_27scan_by_key_config_selectorIijEEZZNS1_16scan_by_key_implILNS1_25lookback_scan_determinismE0ELb0ES3_N6thrust23THRUST_200600_302600_NS6detail15normal_iteratorINS9_10device_ptrIiEEEENSB_INSC_IjEEEESG_jNS9_4plusIvEENS9_8equal_toIvEEjEE10hipError_tPvRmT2_T3_T4_T5_mT6_T7_P12ihipStream_tbENKUlT_T0_E_clISt17integral_constantIbLb1EES11_EEDaSW_SX_EUlSW_E_NS1_11comp_targetILNS1_3genE3ELNS1_11target_archE908ELNS1_3gpuE7ELNS1_3repE0EEENS1_30default_config_static_selectorELNS0_4arch9wavefront6targetE0EEEvT1_.numbered_sgpr, 0
	.set _ZN7rocprim17ROCPRIM_400000_NS6detail17trampoline_kernelINS0_14default_configENS1_27scan_by_key_config_selectorIijEEZZNS1_16scan_by_key_implILNS1_25lookback_scan_determinismE0ELb0ES3_N6thrust23THRUST_200600_302600_NS6detail15normal_iteratorINS9_10device_ptrIiEEEENSB_INSC_IjEEEESG_jNS9_4plusIvEENS9_8equal_toIvEEjEE10hipError_tPvRmT2_T3_T4_T5_mT6_T7_P12ihipStream_tbENKUlT_T0_E_clISt17integral_constantIbLb1EES11_EEDaSW_SX_EUlSW_E_NS1_11comp_targetILNS1_3genE3ELNS1_11target_archE908ELNS1_3gpuE7ELNS1_3repE0EEENS1_30default_config_static_selectorELNS0_4arch9wavefront6targetE0EEEvT1_.num_named_barrier, 0
	.set _ZN7rocprim17ROCPRIM_400000_NS6detail17trampoline_kernelINS0_14default_configENS1_27scan_by_key_config_selectorIijEEZZNS1_16scan_by_key_implILNS1_25lookback_scan_determinismE0ELb0ES3_N6thrust23THRUST_200600_302600_NS6detail15normal_iteratorINS9_10device_ptrIiEEEENSB_INSC_IjEEEESG_jNS9_4plusIvEENS9_8equal_toIvEEjEE10hipError_tPvRmT2_T3_T4_T5_mT6_T7_P12ihipStream_tbENKUlT_T0_E_clISt17integral_constantIbLb1EES11_EEDaSW_SX_EUlSW_E_NS1_11comp_targetILNS1_3genE3ELNS1_11target_archE908ELNS1_3gpuE7ELNS1_3repE0EEENS1_30default_config_static_selectorELNS0_4arch9wavefront6targetE0EEEvT1_.private_seg_size, 0
	.set _ZN7rocprim17ROCPRIM_400000_NS6detail17trampoline_kernelINS0_14default_configENS1_27scan_by_key_config_selectorIijEEZZNS1_16scan_by_key_implILNS1_25lookback_scan_determinismE0ELb0ES3_N6thrust23THRUST_200600_302600_NS6detail15normal_iteratorINS9_10device_ptrIiEEEENSB_INSC_IjEEEESG_jNS9_4plusIvEENS9_8equal_toIvEEjEE10hipError_tPvRmT2_T3_T4_T5_mT6_T7_P12ihipStream_tbENKUlT_T0_E_clISt17integral_constantIbLb1EES11_EEDaSW_SX_EUlSW_E_NS1_11comp_targetILNS1_3genE3ELNS1_11target_archE908ELNS1_3gpuE7ELNS1_3repE0EEENS1_30default_config_static_selectorELNS0_4arch9wavefront6targetE0EEEvT1_.uses_vcc, 0
	.set _ZN7rocprim17ROCPRIM_400000_NS6detail17trampoline_kernelINS0_14default_configENS1_27scan_by_key_config_selectorIijEEZZNS1_16scan_by_key_implILNS1_25lookback_scan_determinismE0ELb0ES3_N6thrust23THRUST_200600_302600_NS6detail15normal_iteratorINS9_10device_ptrIiEEEENSB_INSC_IjEEEESG_jNS9_4plusIvEENS9_8equal_toIvEEjEE10hipError_tPvRmT2_T3_T4_T5_mT6_T7_P12ihipStream_tbENKUlT_T0_E_clISt17integral_constantIbLb1EES11_EEDaSW_SX_EUlSW_E_NS1_11comp_targetILNS1_3genE3ELNS1_11target_archE908ELNS1_3gpuE7ELNS1_3repE0EEENS1_30default_config_static_selectorELNS0_4arch9wavefront6targetE0EEEvT1_.uses_flat_scratch, 0
	.set _ZN7rocprim17ROCPRIM_400000_NS6detail17trampoline_kernelINS0_14default_configENS1_27scan_by_key_config_selectorIijEEZZNS1_16scan_by_key_implILNS1_25lookback_scan_determinismE0ELb0ES3_N6thrust23THRUST_200600_302600_NS6detail15normal_iteratorINS9_10device_ptrIiEEEENSB_INSC_IjEEEESG_jNS9_4plusIvEENS9_8equal_toIvEEjEE10hipError_tPvRmT2_T3_T4_T5_mT6_T7_P12ihipStream_tbENKUlT_T0_E_clISt17integral_constantIbLb1EES11_EEDaSW_SX_EUlSW_E_NS1_11comp_targetILNS1_3genE3ELNS1_11target_archE908ELNS1_3gpuE7ELNS1_3repE0EEENS1_30default_config_static_selectorELNS0_4arch9wavefront6targetE0EEEvT1_.has_dyn_sized_stack, 0
	.set _ZN7rocprim17ROCPRIM_400000_NS6detail17trampoline_kernelINS0_14default_configENS1_27scan_by_key_config_selectorIijEEZZNS1_16scan_by_key_implILNS1_25lookback_scan_determinismE0ELb0ES3_N6thrust23THRUST_200600_302600_NS6detail15normal_iteratorINS9_10device_ptrIiEEEENSB_INSC_IjEEEESG_jNS9_4plusIvEENS9_8equal_toIvEEjEE10hipError_tPvRmT2_T3_T4_T5_mT6_T7_P12ihipStream_tbENKUlT_T0_E_clISt17integral_constantIbLb1EES11_EEDaSW_SX_EUlSW_E_NS1_11comp_targetILNS1_3genE3ELNS1_11target_archE908ELNS1_3gpuE7ELNS1_3repE0EEENS1_30default_config_static_selectorELNS0_4arch9wavefront6targetE0EEEvT1_.has_recursion, 0
	.set _ZN7rocprim17ROCPRIM_400000_NS6detail17trampoline_kernelINS0_14default_configENS1_27scan_by_key_config_selectorIijEEZZNS1_16scan_by_key_implILNS1_25lookback_scan_determinismE0ELb0ES3_N6thrust23THRUST_200600_302600_NS6detail15normal_iteratorINS9_10device_ptrIiEEEENSB_INSC_IjEEEESG_jNS9_4plusIvEENS9_8equal_toIvEEjEE10hipError_tPvRmT2_T3_T4_T5_mT6_T7_P12ihipStream_tbENKUlT_T0_E_clISt17integral_constantIbLb1EES11_EEDaSW_SX_EUlSW_E_NS1_11comp_targetILNS1_3genE3ELNS1_11target_archE908ELNS1_3gpuE7ELNS1_3repE0EEENS1_30default_config_static_selectorELNS0_4arch9wavefront6targetE0EEEvT1_.has_indirect_call, 0
	.section	.AMDGPU.csdata,"",@progbits
; Kernel info:
; codeLenInByte = 0
; TotalNumSgprs: 0
; NumVgprs: 0
; ScratchSize: 0
; MemoryBound: 0
; FloatMode: 240
; IeeeMode: 1
; LDSByteSize: 0 bytes/workgroup (compile time only)
; SGPRBlocks: 0
; VGPRBlocks: 0
; NumSGPRsForWavesPerEU: 1
; NumVGPRsForWavesPerEU: 1
; NamedBarCnt: 0
; Occupancy: 16
; WaveLimiterHint : 0
; COMPUTE_PGM_RSRC2:SCRATCH_EN: 0
; COMPUTE_PGM_RSRC2:USER_SGPR: 2
; COMPUTE_PGM_RSRC2:TRAP_HANDLER: 0
; COMPUTE_PGM_RSRC2:TGID_X_EN: 1
; COMPUTE_PGM_RSRC2:TGID_Y_EN: 0
; COMPUTE_PGM_RSRC2:TGID_Z_EN: 0
; COMPUTE_PGM_RSRC2:TIDIG_COMP_CNT: 0
	.section	.text._ZN7rocprim17ROCPRIM_400000_NS6detail17trampoline_kernelINS0_14default_configENS1_27scan_by_key_config_selectorIijEEZZNS1_16scan_by_key_implILNS1_25lookback_scan_determinismE0ELb0ES3_N6thrust23THRUST_200600_302600_NS6detail15normal_iteratorINS9_10device_ptrIiEEEENSB_INSC_IjEEEESG_jNS9_4plusIvEENS9_8equal_toIvEEjEE10hipError_tPvRmT2_T3_T4_T5_mT6_T7_P12ihipStream_tbENKUlT_T0_E_clISt17integral_constantIbLb1EES11_EEDaSW_SX_EUlSW_E_NS1_11comp_targetILNS1_3genE2ELNS1_11target_archE906ELNS1_3gpuE6ELNS1_3repE0EEENS1_30default_config_static_selectorELNS0_4arch9wavefront6targetE0EEEvT1_,"axG",@progbits,_ZN7rocprim17ROCPRIM_400000_NS6detail17trampoline_kernelINS0_14default_configENS1_27scan_by_key_config_selectorIijEEZZNS1_16scan_by_key_implILNS1_25lookback_scan_determinismE0ELb0ES3_N6thrust23THRUST_200600_302600_NS6detail15normal_iteratorINS9_10device_ptrIiEEEENSB_INSC_IjEEEESG_jNS9_4plusIvEENS9_8equal_toIvEEjEE10hipError_tPvRmT2_T3_T4_T5_mT6_T7_P12ihipStream_tbENKUlT_T0_E_clISt17integral_constantIbLb1EES11_EEDaSW_SX_EUlSW_E_NS1_11comp_targetILNS1_3genE2ELNS1_11target_archE906ELNS1_3gpuE6ELNS1_3repE0EEENS1_30default_config_static_selectorELNS0_4arch9wavefront6targetE0EEEvT1_,comdat
	.protected	_ZN7rocprim17ROCPRIM_400000_NS6detail17trampoline_kernelINS0_14default_configENS1_27scan_by_key_config_selectorIijEEZZNS1_16scan_by_key_implILNS1_25lookback_scan_determinismE0ELb0ES3_N6thrust23THRUST_200600_302600_NS6detail15normal_iteratorINS9_10device_ptrIiEEEENSB_INSC_IjEEEESG_jNS9_4plusIvEENS9_8equal_toIvEEjEE10hipError_tPvRmT2_T3_T4_T5_mT6_T7_P12ihipStream_tbENKUlT_T0_E_clISt17integral_constantIbLb1EES11_EEDaSW_SX_EUlSW_E_NS1_11comp_targetILNS1_3genE2ELNS1_11target_archE906ELNS1_3gpuE6ELNS1_3repE0EEENS1_30default_config_static_selectorELNS0_4arch9wavefront6targetE0EEEvT1_ ; -- Begin function _ZN7rocprim17ROCPRIM_400000_NS6detail17trampoline_kernelINS0_14default_configENS1_27scan_by_key_config_selectorIijEEZZNS1_16scan_by_key_implILNS1_25lookback_scan_determinismE0ELb0ES3_N6thrust23THRUST_200600_302600_NS6detail15normal_iteratorINS9_10device_ptrIiEEEENSB_INSC_IjEEEESG_jNS9_4plusIvEENS9_8equal_toIvEEjEE10hipError_tPvRmT2_T3_T4_T5_mT6_T7_P12ihipStream_tbENKUlT_T0_E_clISt17integral_constantIbLb1EES11_EEDaSW_SX_EUlSW_E_NS1_11comp_targetILNS1_3genE2ELNS1_11target_archE906ELNS1_3gpuE6ELNS1_3repE0EEENS1_30default_config_static_selectorELNS0_4arch9wavefront6targetE0EEEvT1_
	.globl	_ZN7rocprim17ROCPRIM_400000_NS6detail17trampoline_kernelINS0_14default_configENS1_27scan_by_key_config_selectorIijEEZZNS1_16scan_by_key_implILNS1_25lookback_scan_determinismE0ELb0ES3_N6thrust23THRUST_200600_302600_NS6detail15normal_iteratorINS9_10device_ptrIiEEEENSB_INSC_IjEEEESG_jNS9_4plusIvEENS9_8equal_toIvEEjEE10hipError_tPvRmT2_T3_T4_T5_mT6_T7_P12ihipStream_tbENKUlT_T0_E_clISt17integral_constantIbLb1EES11_EEDaSW_SX_EUlSW_E_NS1_11comp_targetILNS1_3genE2ELNS1_11target_archE906ELNS1_3gpuE6ELNS1_3repE0EEENS1_30default_config_static_selectorELNS0_4arch9wavefront6targetE0EEEvT1_
	.p2align	8
	.type	_ZN7rocprim17ROCPRIM_400000_NS6detail17trampoline_kernelINS0_14default_configENS1_27scan_by_key_config_selectorIijEEZZNS1_16scan_by_key_implILNS1_25lookback_scan_determinismE0ELb0ES3_N6thrust23THRUST_200600_302600_NS6detail15normal_iteratorINS9_10device_ptrIiEEEENSB_INSC_IjEEEESG_jNS9_4plusIvEENS9_8equal_toIvEEjEE10hipError_tPvRmT2_T3_T4_T5_mT6_T7_P12ihipStream_tbENKUlT_T0_E_clISt17integral_constantIbLb1EES11_EEDaSW_SX_EUlSW_E_NS1_11comp_targetILNS1_3genE2ELNS1_11target_archE906ELNS1_3gpuE6ELNS1_3repE0EEENS1_30default_config_static_selectorELNS0_4arch9wavefront6targetE0EEEvT1_,@function
_ZN7rocprim17ROCPRIM_400000_NS6detail17trampoline_kernelINS0_14default_configENS1_27scan_by_key_config_selectorIijEEZZNS1_16scan_by_key_implILNS1_25lookback_scan_determinismE0ELb0ES3_N6thrust23THRUST_200600_302600_NS6detail15normal_iteratorINS9_10device_ptrIiEEEENSB_INSC_IjEEEESG_jNS9_4plusIvEENS9_8equal_toIvEEjEE10hipError_tPvRmT2_T3_T4_T5_mT6_T7_P12ihipStream_tbENKUlT_T0_E_clISt17integral_constantIbLb1EES11_EEDaSW_SX_EUlSW_E_NS1_11comp_targetILNS1_3genE2ELNS1_11target_archE906ELNS1_3gpuE6ELNS1_3repE0EEENS1_30default_config_static_selectorELNS0_4arch9wavefront6targetE0EEEvT1_: ; @_ZN7rocprim17ROCPRIM_400000_NS6detail17trampoline_kernelINS0_14default_configENS1_27scan_by_key_config_selectorIijEEZZNS1_16scan_by_key_implILNS1_25lookback_scan_determinismE0ELb0ES3_N6thrust23THRUST_200600_302600_NS6detail15normal_iteratorINS9_10device_ptrIiEEEENSB_INSC_IjEEEESG_jNS9_4plusIvEENS9_8equal_toIvEEjEE10hipError_tPvRmT2_T3_T4_T5_mT6_T7_P12ihipStream_tbENKUlT_T0_E_clISt17integral_constantIbLb1EES11_EEDaSW_SX_EUlSW_E_NS1_11comp_targetILNS1_3genE2ELNS1_11target_archE906ELNS1_3gpuE6ELNS1_3repE0EEENS1_30default_config_static_selectorELNS0_4arch9wavefront6targetE0EEEvT1_
; %bb.0:
	.section	.rodata,"a",@progbits
	.p2align	6, 0x0
	.amdhsa_kernel _ZN7rocprim17ROCPRIM_400000_NS6detail17trampoline_kernelINS0_14default_configENS1_27scan_by_key_config_selectorIijEEZZNS1_16scan_by_key_implILNS1_25lookback_scan_determinismE0ELb0ES3_N6thrust23THRUST_200600_302600_NS6detail15normal_iteratorINS9_10device_ptrIiEEEENSB_INSC_IjEEEESG_jNS9_4plusIvEENS9_8equal_toIvEEjEE10hipError_tPvRmT2_T3_T4_T5_mT6_T7_P12ihipStream_tbENKUlT_T0_E_clISt17integral_constantIbLb1EES11_EEDaSW_SX_EUlSW_E_NS1_11comp_targetILNS1_3genE2ELNS1_11target_archE906ELNS1_3gpuE6ELNS1_3repE0EEENS1_30default_config_static_selectorELNS0_4arch9wavefront6targetE0EEEvT1_
		.amdhsa_group_segment_fixed_size 0
		.amdhsa_private_segment_fixed_size 0
		.amdhsa_kernarg_size 112
		.amdhsa_user_sgpr_count 2
		.amdhsa_user_sgpr_dispatch_ptr 0
		.amdhsa_user_sgpr_queue_ptr 0
		.amdhsa_user_sgpr_kernarg_segment_ptr 1
		.amdhsa_user_sgpr_dispatch_id 0
		.amdhsa_user_sgpr_kernarg_preload_length 0
		.amdhsa_user_sgpr_kernarg_preload_offset 0
		.amdhsa_user_sgpr_private_segment_size 0
		.amdhsa_wavefront_size32 1
		.amdhsa_uses_dynamic_stack 0
		.amdhsa_enable_private_segment 0
		.amdhsa_system_sgpr_workgroup_id_x 1
		.amdhsa_system_sgpr_workgroup_id_y 0
		.amdhsa_system_sgpr_workgroup_id_z 0
		.amdhsa_system_sgpr_workgroup_info 0
		.amdhsa_system_vgpr_workitem_id 0
		.amdhsa_next_free_vgpr 1
		.amdhsa_next_free_sgpr 1
		.amdhsa_named_barrier_count 0
		.amdhsa_reserve_vcc 0
		.amdhsa_float_round_mode_32 0
		.amdhsa_float_round_mode_16_64 0
		.amdhsa_float_denorm_mode_32 3
		.amdhsa_float_denorm_mode_16_64 3
		.amdhsa_fp16_overflow 0
		.amdhsa_memory_ordered 1
		.amdhsa_forward_progress 1
		.amdhsa_inst_pref_size 0
		.amdhsa_round_robin_scheduling 0
		.amdhsa_exception_fp_ieee_invalid_op 0
		.amdhsa_exception_fp_denorm_src 0
		.amdhsa_exception_fp_ieee_div_zero 0
		.amdhsa_exception_fp_ieee_overflow 0
		.amdhsa_exception_fp_ieee_underflow 0
		.amdhsa_exception_fp_ieee_inexact 0
		.amdhsa_exception_int_div_zero 0
	.end_amdhsa_kernel
	.section	.text._ZN7rocprim17ROCPRIM_400000_NS6detail17trampoline_kernelINS0_14default_configENS1_27scan_by_key_config_selectorIijEEZZNS1_16scan_by_key_implILNS1_25lookback_scan_determinismE0ELb0ES3_N6thrust23THRUST_200600_302600_NS6detail15normal_iteratorINS9_10device_ptrIiEEEENSB_INSC_IjEEEESG_jNS9_4plusIvEENS9_8equal_toIvEEjEE10hipError_tPvRmT2_T3_T4_T5_mT6_T7_P12ihipStream_tbENKUlT_T0_E_clISt17integral_constantIbLb1EES11_EEDaSW_SX_EUlSW_E_NS1_11comp_targetILNS1_3genE2ELNS1_11target_archE906ELNS1_3gpuE6ELNS1_3repE0EEENS1_30default_config_static_selectorELNS0_4arch9wavefront6targetE0EEEvT1_,"axG",@progbits,_ZN7rocprim17ROCPRIM_400000_NS6detail17trampoline_kernelINS0_14default_configENS1_27scan_by_key_config_selectorIijEEZZNS1_16scan_by_key_implILNS1_25lookback_scan_determinismE0ELb0ES3_N6thrust23THRUST_200600_302600_NS6detail15normal_iteratorINS9_10device_ptrIiEEEENSB_INSC_IjEEEESG_jNS9_4plusIvEENS9_8equal_toIvEEjEE10hipError_tPvRmT2_T3_T4_T5_mT6_T7_P12ihipStream_tbENKUlT_T0_E_clISt17integral_constantIbLb1EES11_EEDaSW_SX_EUlSW_E_NS1_11comp_targetILNS1_3genE2ELNS1_11target_archE906ELNS1_3gpuE6ELNS1_3repE0EEENS1_30default_config_static_selectorELNS0_4arch9wavefront6targetE0EEEvT1_,comdat
.Lfunc_end1237:
	.size	_ZN7rocprim17ROCPRIM_400000_NS6detail17trampoline_kernelINS0_14default_configENS1_27scan_by_key_config_selectorIijEEZZNS1_16scan_by_key_implILNS1_25lookback_scan_determinismE0ELb0ES3_N6thrust23THRUST_200600_302600_NS6detail15normal_iteratorINS9_10device_ptrIiEEEENSB_INSC_IjEEEESG_jNS9_4plusIvEENS9_8equal_toIvEEjEE10hipError_tPvRmT2_T3_T4_T5_mT6_T7_P12ihipStream_tbENKUlT_T0_E_clISt17integral_constantIbLb1EES11_EEDaSW_SX_EUlSW_E_NS1_11comp_targetILNS1_3genE2ELNS1_11target_archE906ELNS1_3gpuE6ELNS1_3repE0EEENS1_30default_config_static_selectorELNS0_4arch9wavefront6targetE0EEEvT1_, .Lfunc_end1237-_ZN7rocprim17ROCPRIM_400000_NS6detail17trampoline_kernelINS0_14default_configENS1_27scan_by_key_config_selectorIijEEZZNS1_16scan_by_key_implILNS1_25lookback_scan_determinismE0ELb0ES3_N6thrust23THRUST_200600_302600_NS6detail15normal_iteratorINS9_10device_ptrIiEEEENSB_INSC_IjEEEESG_jNS9_4plusIvEENS9_8equal_toIvEEjEE10hipError_tPvRmT2_T3_T4_T5_mT6_T7_P12ihipStream_tbENKUlT_T0_E_clISt17integral_constantIbLb1EES11_EEDaSW_SX_EUlSW_E_NS1_11comp_targetILNS1_3genE2ELNS1_11target_archE906ELNS1_3gpuE6ELNS1_3repE0EEENS1_30default_config_static_selectorELNS0_4arch9wavefront6targetE0EEEvT1_
                                        ; -- End function
	.set _ZN7rocprim17ROCPRIM_400000_NS6detail17trampoline_kernelINS0_14default_configENS1_27scan_by_key_config_selectorIijEEZZNS1_16scan_by_key_implILNS1_25lookback_scan_determinismE0ELb0ES3_N6thrust23THRUST_200600_302600_NS6detail15normal_iteratorINS9_10device_ptrIiEEEENSB_INSC_IjEEEESG_jNS9_4plusIvEENS9_8equal_toIvEEjEE10hipError_tPvRmT2_T3_T4_T5_mT6_T7_P12ihipStream_tbENKUlT_T0_E_clISt17integral_constantIbLb1EES11_EEDaSW_SX_EUlSW_E_NS1_11comp_targetILNS1_3genE2ELNS1_11target_archE906ELNS1_3gpuE6ELNS1_3repE0EEENS1_30default_config_static_selectorELNS0_4arch9wavefront6targetE0EEEvT1_.num_vgpr, 0
	.set _ZN7rocprim17ROCPRIM_400000_NS6detail17trampoline_kernelINS0_14default_configENS1_27scan_by_key_config_selectorIijEEZZNS1_16scan_by_key_implILNS1_25lookback_scan_determinismE0ELb0ES3_N6thrust23THRUST_200600_302600_NS6detail15normal_iteratorINS9_10device_ptrIiEEEENSB_INSC_IjEEEESG_jNS9_4plusIvEENS9_8equal_toIvEEjEE10hipError_tPvRmT2_T3_T4_T5_mT6_T7_P12ihipStream_tbENKUlT_T0_E_clISt17integral_constantIbLb1EES11_EEDaSW_SX_EUlSW_E_NS1_11comp_targetILNS1_3genE2ELNS1_11target_archE906ELNS1_3gpuE6ELNS1_3repE0EEENS1_30default_config_static_selectorELNS0_4arch9wavefront6targetE0EEEvT1_.num_agpr, 0
	.set _ZN7rocprim17ROCPRIM_400000_NS6detail17trampoline_kernelINS0_14default_configENS1_27scan_by_key_config_selectorIijEEZZNS1_16scan_by_key_implILNS1_25lookback_scan_determinismE0ELb0ES3_N6thrust23THRUST_200600_302600_NS6detail15normal_iteratorINS9_10device_ptrIiEEEENSB_INSC_IjEEEESG_jNS9_4plusIvEENS9_8equal_toIvEEjEE10hipError_tPvRmT2_T3_T4_T5_mT6_T7_P12ihipStream_tbENKUlT_T0_E_clISt17integral_constantIbLb1EES11_EEDaSW_SX_EUlSW_E_NS1_11comp_targetILNS1_3genE2ELNS1_11target_archE906ELNS1_3gpuE6ELNS1_3repE0EEENS1_30default_config_static_selectorELNS0_4arch9wavefront6targetE0EEEvT1_.numbered_sgpr, 0
	.set _ZN7rocprim17ROCPRIM_400000_NS6detail17trampoline_kernelINS0_14default_configENS1_27scan_by_key_config_selectorIijEEZZNS1_16scan_by_key_implILNS1_25lookback_scan_determinismE0ELb0ES3_N6thrust23THRUST_200600_302600_NS6detail15normal_iteratorINS9_10device_ptrIiEEEENSB_INSC_IjEEEESG_jNS9_4plusIvEENS9_8equal_toIvEEjEE10hipError_tPvRmT2_T3_T4_T5_mT6_T7_P12ihipStream_tbENKUlT_T0_E_clISt17integral_constantIbLb1EES11_EEDaSW_SX_EUlSW_E_NS1_11comp_targetILNS1_3genE2ELNS1_11target_archE906ELNS1_3gpuE6ELNS1_3repE0EEENS1_30default_config_static_selectorELNS0_4arch9wavefront6targetE0EEEvT1_.num_named_barrier, 0
	.set _ZN7rocprim17ROCPRIM_400000_NS6detail17trampoline_kernelINS0_14default_configENS1_27scan_by_key_config_selectorIijEEZZNS1_16scan_by_key_implILNS1_25lookback_scan_determinismE0ELb0ES3_N6thrust23THRUST_200600_302600_NS6detail15normal_iteratorINS9_10device_ptrIiEEEENSB_INSC_IjEEEESG_jNS9_4plusIvEENS9_8equal_toIvEEjEE10hipError_tPvRmT2_T3_T4_T5_mT6_T7_P12ihipStream_tbENKUlT_T0_E_clISt17integral_constantIbLb1EES11_EEDaSW_SX_EUlSW_E_NS1_11comp_targetILNS1_3genE2ELNS1_11target_archE906ELNS1_3gpuE6ELNS1_3repE0EEENS1_30default_config_static_selectorELNS0_4arch9wavefront6targetE0EEEvT1_.private_seg_size, 0
	.set _ZN7rocprim17ROCPRIM_400000_NS6detail17trampoline_kernelINS0_14default_configENS1_27scan_by_key_config_selectorIijEEZZNS1_16scan_by_key_implILNS1_25lookback_scan_determinismE0ELb0ES3_N6thrust23THRUST_200600_302600_NS6detail15normal_iteratorINS9_10device_ptrIiEEEENSB_INSC_IjEEEESG_jNS9_4plusIvEENS9_8equal_toIvEEjEE10hipError_tPvRmT2_T3_T4_T5_mT6_T7_P12ihipStream_tbENKUlT_T0_E_clISt17integral_constantIbLb1EES11_EEDaSW_SX_EUlSW_E_NS1_11comp_targetILNS1_3genE2ELNS1_11target_archE906ELNS1_3gpuE6ELNS1_3repE0EEENS1_30default_config_static_selectorELNS0_4arch9wavefront6targetE0EEEvT1_.uses_vcc, 0
	.set _ZN7rocprim17ROCPRIM_400000_NS6detail17trampoline_kernelINS0_14default_configENS1_27scan_by_key_config_selectorIijEEZZNS1_16scan_by_key_implILNS1_25lookback_scan_determinismE0ELb0ES3_N6thrust23THRUST_200600_302600_NS6detail15normal_iteratorINS9_10device_ptrIiEEEENSB_INSC_IjEEEESG_jNS9_4plusIvEENS9_8equal_toIvEEjEE10hipError_tPvRmT2_T3_T4_T5_mT6_T7_P12ihipStream_tbENKUlT_T0_E_clISt17integral_constantIbLb1EES11_EEDaSW_SX_EUlSW_E_NS1_11comp_targetILNS1_3genE2ELNS1_11target_archE906ELNS1_3gpuE6ELNS1_3repE0EEENS1_30default_config_static_selectorELNS0_4arch9wavefront6targetE0EEEvT1_.uses_flat_scratch, 0
	.set _ZN7rocprim17ROCPRIM_400000_NS6detail17trampoline_kernelINS0_14default_configENS1_27scan_by_key_config_selectorIijEEZZNS1_16scan_by_key_implILNS1_25lookback_scan_determinismE0ELb0ES3_N6thrust23THRUST_200600_302600_NS6detail15normal_iteratorINS9_10device_ptrIiEEEENSB_INSC_IjEEEESG_jNS9_4plusIvEENS9_8equal_toIvEEjEE10hipError_tPvRmT2_T3_T4_T5_mT6_T7_P12ihipStream_tbENKUlT_T0_E_clISt17integral_constantIbLb1EES11_EEDaSW_SX_EUlSW_E_NS1_11comp_targetILNS1_3genE2ELNS1_11target_archE906ELNS1_3gpuE6ELNS1_3repE0EEENS1_30default_config_static_selectorELNS0_4arch9wavefront6targetE0EEEvT1_.has_dyn_sized_stack, 0
	.set _ZN7rocprim17ROCPRIM_400000_NS6detail17trampoline_kernelINS0_14default_configENS1_27scan_by_key_config_selectorIijEEZZNS1_16scan_by_key_implILNS1_25lookback_scan_determinismE0ELb0ES3_N6thrust23THRUST_200600_302600_NS6detail15normal_iteratorINS9_10device_ptrIiEEEENSB_INSC_IjEEEESG_jNS9_4plusIvEENS9_8equal_toIvEEjEE10hipError_tPvRmT2_T3_T4_T5_mT6_T7_P12ihipStream_tbENKUlT_T0_E_clISt17integral_constantIbLb1EES11_EEDaSW_SX_EUlSW_E_NS1_11comp_targetILNS1_3genE2ELNS1_11target_archE906ELNS1_3gpuE6ELNS1_3repE0EEENS1_30default_config_static_selectorELNS0_4arch9wavefront6targetE0EEEvT1_.has_recursion, 0
	.set _ZN7rocprim17ROCPRIM_400000_NS6detail17trampoline_kernelINS0_14default_configENS1_27scan_by_key_config_selectorIijEEZZNS1_16scan_by_key_implILNS1_25lookback_scan_determinismE0ELb0ES3_N6thrust23THRUST_200600_302600_NS6detail15normal_iteratorINS9_10device_ptrIiEEEENSB_INSC_IjEEEESG_jNS9_4plusIvEENS9_8equal_toIvEEjEE10hipError_tPvRmT2_T3_T4_T5_mT6_T7_P12ihipStream_tbENKUlT_T0_E_clISt17integral_constantIbLb1EES11_EEDaSW_SX_EUlSW_E_NS1_11comp_targetILNS1_3genE2ELNS1_11target_archE906ELNS1_3gpuE6ELNS1_3repE0EEENS1_30default_config_static_selectorELNS0_4arch9wavefront6targetE0EEEvT1_.has_indirect_call, 0
	.section	.AMDGPU.csdata,"",@progbits
; Kernel info:
; codeLenInByte = 0
; TotalNumSgprs: 0
; NumVgprs: 0
; ScratchSize: 0
; MemoryBound: 0
; FloatMode: 240
; IeeeMode: 1
; LDSByteSize: 0 bytes/workgroup (compile time only)
; SGPRBlocks: 0
; VGPRBlocks: 0
; NumSGPRsForWavesPerEU: 1
; NumVGPRsForWavesPerEU: 1
; NamedBarCnt: 0
; Occupancy: 16
; WaveLimiterHint : 0
; COMPUTE_PGM_RSRC2:SCRATCH_EN: 0
; COMPUTE_PGM_RSRC2:USER_SGPR: 2
; COMPUTE_PGM_RSRC2:TRAP_HANDLER: 0
; COMPUTE_PGM_RSRC2:TGID_X_EN: 1
; COMPUTE_PGM_RSRC2:TGID_Y_EN: 0
; COMPUTE_PGM_RSRC2:TGID_Z_EN: 0
; COMPUTE_PGM_RSRC2:TIDIG_COMP_CNT: 0
	.section	.text._ZN7rocprim17ROCPRIM_400000_NS6detail17trampoline_kernelINS0_14default_configENS1_27scan_by_key_config_selectorIijEEZZNS1_16scan_by_key_implILNS1_25lookback_scan_determinismE0ELb0ES3_N6thrust23THRUST_200600_302600_NS6detail15normal_iteratorINS9_10device_ptrIiEEEENSB_INSC_IjEEEESG_jNS9_4plusIvEENS9_8equal_toIvEEjEE10hipError_tPvRmT2_T3_T4_T5_mT6_T7_P12ihipStream_tbENKUlT_T0_E_clISt17integral_constantIbLb1EES11_EEDaSW_SX_EUlSW_E_NS1_11comp_targetILNS1_3genE10ELNS1_11target_archE1200ELNS1_3gpuE4ELNS1_3repE0EEENS1_30default_config_static_selectorELNS0_4arch9wavefront6targetE0EEEvT1_,"axG",@progbits,_ZN7rocprim17ROCPRIM_400000_NS6detail17trampoline_kernelINS0_14default_configENS1_27scan_by_key_config_selectorIijEEZZNS1_16scan_by_key_implILNS1_25lookback_scan_determinismE0ELb0ES3_N6thrust23THRUST_200600_302600_NS6detail15normal_iteratorINS9_10device_ptrIiEEEENSB_INSC_IjEEEESG_jNS9_4plusIvEENS9_8equal_toIvEEjEE10hipError_tPvRmT2_T3_T4_T5_mT6_T7_P12ihipStream_tbENKUlT_T0_E_clISt17integral_constantIbLb1EES11_EEDaSW_SX_EUlSW_E_NS1_11comp_targetILNS1_3genE10ELNS1_11target_archE1200ELNS1_3gpuE4ELNS1_3repE0EEENS1_30default_config_static_selectorELNS0_4arch9wavefront6targetE0EEEvT1_,comdat
	.protected	_ZN7rocprim17ROCPRIM_400000_NS6detail17trampoline_kernelINS0_14default_configENS1_27scan_by_key_config_selectorIijEEZZNS1_16scan_by_key_implILNS1_25lookback_scan_determinismE0ELb0ES3_N6thrust23THRUST_200600_302600_NS6detail15normal_iteratorINS9_10device_ptrIiEEEENSB_INSC_IjEEEESG_jNS9_4plusIvEENS9_8equal_toIvEEjEE10hipError_tPvRmT2_T3_T4_T5_mT6_T7_P12ihipStream_tbENKUlT_T0_E_clISt17integral_constantIbLb1EES11_EEDaSW_SX_EUlSW_E_NS1_11comp_targetILNS1_3genE10ELNS1_11target_archE1200ELNS1_3gpuE4ELNS1_3repE0EEENS1_30default_config_static_selectorELNS0_4arch9wavefront6targetE0EEEvT1_ ; -- Begin function _ZN7rocprim17ROCPRIM_400000_NS6detail17trampoline_kernelINS0_14default_configENS1_27scan_by_key_config_selectorIijEEZZNS1_16scan_by_key_implILNS1_25lookback_scan_determinismE0ELb0ES3_N6thrust23THRUST_200600_302600_NS6detail15normal_iteratorINS9_10device_ptrIiEEEENSB_INSC_IjEEEESG_jNS9_4plusIvEENS9_8equal_toIvEEjEE10hipError_tPvRmT2_T3_T4_T5_mT6_T7_P12ihipStream_tbENKUlT_T0_E_clISt17integral_constantIbLb1EES11_EEDaSW_SX_EUlSW_E_NS1_11comp_targetILNS1_3genE10ELNS1_11target_archE1200ELNS1_3gpuE4ELNS1_3repE0EEENS1_30default_config_static_selectorELNS0_4arch9wavefront6targetE0EEEvT1_
	.globl	_ZN7rocprim17ROCPRIM_400000_NS6detail17trampoline_kernelINS0_14default_configENS1_27scan_by_key_config_selectorIijEEZZNS1_16scan_by_key_implILNS1_25lookback_scan_determinismE0ELb0ES3_N6thrust23THRUST_200600_302600_NS6detail15normal_iteratorINS9_10device_ptrIiEEEENSB_INSC_IjEEEESG_jNS9_4plusIvEENS9_8equal_toIvEEjEE10hipError_tPvRmT2_T3_T4_T5_mT6_T7_P12ihipStream_tbENKUlT_T0_E_clISt17integral_constantIbLb1EES11_EEDaSW_SX_EUlSW_E_NS1_11comp_targetILNS1_3genE10ELNS1_11target_archE1200ELNS1_3gpuE4ELNS1_3repE0EEENS1_30default_config_static_selectorELNS0_4arch9wavefront6targetE0EEEvT1_
	.p2align	8
	.type	_ZN7rocprim17ROCPRIM_400000_NS6detail17trampoline_kernelINS0_14default_configENS1_27scan_by_key_config_selectorIijEEZZNS1_16scan_by_key_implILNS1_25lookback_scan_determinismE0ELb0ES3_N6thrust23THRUST_200600_302600_NS6detail15normal_iteratorINS9_10device_ptrIiEEEENSB_INSC_IjEEEESG_jNS9_4plusIvEENS9_8equal_toIvEEjEE10hipError_tPvRmT2_T3_T4_T5_mT6_T7_P12ihipStream_tbENKUlT_T0_E_clISt17integral_constantIbLb1EES11_EEDaSW_SX_EUlSW_E_NS1_11comp_targetILNS1_3genE10ELNS1_11target_archE1200ELNS1_3gpuE4ELNS1_3repE0EEENS1_30default_config_static_selectorELNS0_4arch9wavefront6targetE0EEEvT1_,@function
_ZN7rocprim17ROCPRIM_400000_NS6detail17trampoline_kernelINS0_14default_configENS1_27scan_by_key_config_selectorIijEEZZNS1_16scan_by_key_implILNS1_25lookback_scan_determinismE0ELb0ES3_N6thrust23THRUST_200600_302600_NS6detail15normal_iteratorINS9_10device_ptrIiEEEENSB_INSC_IjEEEESG_jNS9_4plusIvEENS9_8equal_toIvEEjEE10hipError_tPvRmT2_T3_T4_T5_mT6_T7_P12ihipStream_tbENKUlT_T0_E_clISt17integral_constantIbLb1EES11_EEDaSW_SX_EUlSW_E_NS1_11comp_targetILNS1_3genE10ELNS1_11target_archE1200ELNS1_3gpuE4ELNS1_3repE0EEENS1_30default_config_static_selectorELNS0_4arch9wavefront6targetE0EEEvT1_: ; @_ZN7rocprim17ROCPRIM_400000_NS6detail17trampoline_kernelINS0_14default_configENS1_27scan_by_key_config_selectorIijEEZZNS1_16scan_by_key_implILNS1_25lookback_scan_determinismE0ELb0ES3_N6thrust23THRUST_200600_302600_NS6detail15normal_iteratorINS9_10device_ptrIiEEEENSB_INSC_IjEEEESG_jNS9_4plusIvEENS9_8equal_toIvEEjEE10hipError_tPvRmT2_T3_T4_T5_mT6_T7_P12ihipStream_tbENKUlT_T0_E_clISt17integral_constantIbLb1EES11_EEDaSW_SX_EUlSW_E_NS1_11comp_targetILNS1_3genE10ELNS1_11target_archE1200ELNS1_3gpuE4ELNS1_3repE0EEENS1_30default_config_static_selectorELNS0_4arch9wavefront6targetE0EEEvT1_
; %bb.0:
	.section	.rodata,"a",@progbits
	.p2align	6, 0x0
	.amdhsa_kernel _ZN7rocprim17ROCPRIM_400000_NS6detail17trampoline_kernelINS0_14default_configENS1_27scan_by_key_config_selectorIijEEZZNS1_16scan_by_key_implILNS1_25lookback_scan_determinismE0ELb0ES3_N6thrust23THRUST_200600_302600_NS6detail15normal_iteratorINS9_10device_ptrIiEEEENSB_INSC_IjEEEESG_jNS9_4plusIvEENS9_8equal_toIvEEjEE10hipError_tPvRmT2_T3_T4_T5_mT6_T7_P12ihipStream_tbENKUlT_T0_E_clISt17integral_constantIbLb1EES11_EEDaSW_SX_EUlSW_E_NS1_11comp_targetILNS1_3genE10ELNS1_11target_archE1200ELNS1_3gpuE4ELNS1_3repE0EEENS1_30default_config_static_selectorELNS0_4arch9wavefront6targetE0EEEvT1_
		.amdhsa_group_segment_fixed_size 0
		.amdhsa_private_segment_fixed_size 0
		.amdhsa_kernarg_size 112
		.amdhsa_user_sgpr_count 2
		.amdhsa_user_sgpr_dispatch_ptr 0
		.amdhsa_user_sgpr_queue_ptr 0
		.amdhsa_user_sgpr_kernarg_segment_ptr 1
		.amdhsa_user_sgpr_dispatch_id 0
		.amdhsa_user_sgpr_kernarg_preload_length 0
		.amdhsa_user_sgpr_kernarg_preload_offset 0
		.amdhsa_user_sgpr_private_segment_size 0
		.amdhsa_wavefront_size32 1
		.amdhsa_uses_dynamic_stack 0
		.amdhsa_enable_private_segment 0
		.amdhsa_system_sgpr_workgroup_id_x 1
		.amdhsa_system_sgpr_workgroup_id_y 0
		.amdhsa_system_sgpr_workgroup_id_z 0
		.amdhsa_system_sgpr_workgroup_info 0
		.amdhsa_system_vgpr_workitem_id 0
		.amdhsa_next_free_vgpr 1
		.amdhsa_next_free_sgpr 1
		.amdhsa_named_barrier_count 0
		.amdhsa_reserve_vcc 0
		.amdhsa_float_round_mode_32 0
		.amdhsa_float_round_mode_16_64 0
		.amdhsa_float_denorm_mode_32 3
		.amdhsa_float_denorm_mode_16_64 3
		.amdhsa_fp16_overflow 0
		.amdhsa_memory_ordered 1
		.amdhsa_forward_progress 1
		.amdhsa_inst_pref_size 0
		.amdhsa_round_robin_scheduling 0
		.amdhsa_exception_fp_ieee_invalid_op 0
		.amdhsa_exception_fp_denorm_src 0
		.amdhsa_exception_fp_ieee_div_zero 0
		.amdhsa_exception_fp_ieee_overflow 0
		.amdhsa_exception_fp_ieee_underflow 0
		.amdhsa_exception_fp_ieee_inexact 0
		.amdhsa_exception_int_div_zero 0
	.end_amdhsa_kernel
	.section	.text._ZN7rocprim17ROCPRIM_400000_NS6detail17trampoline_kernelINS0_14default_configENS1_27scan_by_key_config_selectorIijEEZZNS1_16scan_by_key_implILNS1_25lookback_scan_determinismE0ELb0ES3_N6thrust23THRUST_200600_302600_NS6detail15normal_iteratorINS9_10device_ptrIiEEEENSB_INSC_IjEEEESG_jNS9_4plusIvEENS9_8equal_toIvEEjEE10hipError_tPvRmT2_T3_T4_T5_mT6_T7_P12ihipStream_tbENKUlT_T0_E_clISt17integral_constantIbLb1EES11_EEDaSW_SX_EUlSW_E_NS1_11comp_targetILNS1_3genE10ELNS1_11target_archE1200ELNS1_3gpuE4ELNS1_3repE0EEENS1_30default_config_static_selectorELNS0_4arch9wavefront6targetE0EEEvT1_,"axG",@progbits,_ZN7rocprim17ROCPRIM_400000_NS6detail17trampoline_kernelINS0_14default_configENS1_27scan_by_key_config_selectorIijEEZZNS1_16scan_by_key_implILNS1_25lookback_scan_determinismE0ELb0ES3_N6thrust23THRUST_200600_302600_NS6detail15normal_iteratorINS9_10device_ptrIiEEEENSB_INSC_IjEEEESG_jNS9_4plusIvEENS9_8equal_toIvEEjEE10hipError_tPvRmT2_T3_T4_T5_mT6_T7_P12ihipStream_tbENKUlT_T0_E_clISt17integral_constantIbLb1EES11_EEDaSW_SX_EUlSW_E_NS1_11comp_targetILNS1_3genE10ELNS1_11target_archE1200ELNS1_3gpuE4ELNS1_3repE0EEENS1_30default_config_static_selectorELNS0_4arch9wavefront6targetE0EEEvT1_,comdat
.Lfunc_end1238:
	.size	_ZN7rocprim17ROCPRIM_400000_NS6detail17trampoline_kernelINS0_14default_configENS1_27scan_by_key_config_selectorIijEEZZNS1_16scan_by_key_implILNS1_25lookback_scan_determinismE0ELb0ES3_N6thrust23THRUST_200600_302600_NS6detail15normal_iteratorINS9_10device_ptrIiEEEENSB_INSC_IjEEEESG_jNS9_4plusIvEENS9_8equal_toIvEEjEE10hipError_tPvRmT2_T3_T4_T5_mT6_T7_P12ihipStream_tbENKUlT_T0_E_clISt17integral_constantIbLb1EES11_EEDaSW_SX_EUlSW_E_NS1_11comp_targetILNS1_3genE10ELNS1_11target_archE1200ELNS1_3gpuE4ELNS1_3repE0EEENS1_30default_config_static_selectorELNS0_4arch9wavefront6targetE0EEEvT1_, .Lfunc_end1238-_ZN7rocprim17ROCPRIM_400000_NS6detail17trampoline_kernelINS0_14default_configENS1_27scan_by_key_config_selectorIijEEZZNS1_16scan_by_key_implILNS1_25lookback_scan_determinismE0ELb0ES3_N6thrust23THRUST_200600_302600_NS6detail15normal_iteratorINS9_10device_ptrIiEEEENSB_INSC_IjEEEESG_jNS9_4plusIvEENS9_8equal_toIvEEjEE10hipError_tPvRmT2_T3_T4_T5_mT6_T7_P12ihipStream_tbENKUlT_T0_E_clISt17integral_constantIbLb1EES11_EEDaSW_SX_EUlSW_E_NS1_11comp_targetILNS1_3genE10ELNS1_11target_archE1200ELNS1_3gpuE4ELNS1_3repE0EEENS1_30default_config_static_selectorELNS0_4arch9wavefront6targetE0EEEvT1_
                                        ; -- End function
	.set _ZN7rocprim17ROCPRIM_400000_NS6detail17trampoline_kernelINS0_14default_configENS1_27scan_by_key_config_selectorIijEEZZNS1_16scan_by_key_implILNS1_25lookback_scan_determinismE0ELb0ES3_N6thrust23THRUST_200600_302600_NS6detail15normal_iteratorINS9_10device_ptrIiEEEENSB_INSC_IjEEEESG_jNS9_4plusIvEENS9_8equal_toIvEEjEE10hipError_tPvRmT2_T3_T4_T5_mT6_T7_P12ihipStream_tbENKUlT_T0_E_clISt17integral_constantIbLb1EES11_EEDaSW_SX_EUlSW_E_NS1_11comp_targetILNS1_3genE10ELNS1_11target_archE1200ELNS1_3gpuE4ELNS1_3repE0EEENS1_30default_config_static_selectorELNS0_4arch9wavefront6targetE0EEEvT1_.num_vgpr, 0
	.set _ZN7rocprim17ROCPRIM_400000_NS6detail17trampoline_kernelINS0_14default_configENS1_27scan_by_key_config_selectorIijEEZZNS1_16scan_by_key_implILNS1_25lookback_scan_determinismE0ELb0ES3_N6thrust23THRUST_200600_302600_NS6detail15normal_iteratorINS9_10device_ptrIiEEEENSB_INSC_IjEEEESG_jNS9_4plusIvEENS9_8equal_toIvEEjEE10hipError_tPvRmT2_T3_T4_T5_mT6_T7_P12ihipStream_tbENKUlT_T0_E_clISt17integral_constantIbLb1EES11_EEDaSW_SX_EUlSW_E_NS1_11comp_targetILNS1_3genE10ELNS1_11target_archE1200ELNS1_3gpuE4ELNS1_3repE0EEENS1_30default_config_static_selectorELNS0_4arch9wavefront6targetE0EEEvT1_.num_agpr, 0
	.set _ZN7rocprim17ROCPRIM_400000_NS6detail17trampoline_kernelINS0_14default_configENS1_27scan_by_key_config_selectorIijEEZZNS1_16scan_by_key_implILNS1_25lookback_scan_determinismE0ELb0ES3_N6thrust23THRUST_200600_302600_NS6detail15normal_iteratorINS9_10device_ptrIiEEEENSB_INSC_IjEEEESG_jNS9_4plusIvEENS9_8equal_toIvEEjEE10hipError_tPvRmT2_T3_T4_T5_mT6_T7_P12ihipStream_tbENKUlT_T0_E_clISt17integral_constantIbLb1EES11_EEDaSW_SX_EUlSW_E_NS1_11comp_targetILNS1_3genE10ELNS1_11target_archE1200ELNS1_3gpuE4ELNS1_3repE0EEENS1_30default_config_static_selectorELNS0_4arch9wavefront6targetE0EEEvT1_.numbered_sgpr, 0
	.set _ZN7rocprim17ROCPRIM_400000_NS6detail17trampoline_kernelINS0_14default_configENS1_27scan_by_key_config_selectorIijEEZZNS1_16scan_by_key_implILNS1_25lookback_scan_determinismE0ELb0ES3_N6thrust23THRUST_200600_302600_NS6detail15normal_iteratorINS9_10device_ptrIiEEEENSB_INSC_IjEEEESG_jNS9_4plusIvEENS9_8equal_toIvEEjEE10hipError_tPvRmT2_T3_T4_T5_mT6_T7_P12ihipStream_tbENKUlT_T0_E_clISt17integral_constantIbLb1EES11_EEDaSW_SX_EUlSW_E_NS1_11comp_targetILNS1_3genE10ELNS1_11target_archE1200ELNS1_3gpuE4ELNS1_3repE0EEENS1_30default_config_static_selectorELNS0_4arch9wavefront6targetE0EEEvT1_.num_named_barrier, 0
	.set _ZN7rocprim17ROCPRIM_400000_NS6detail17trampoline_kernelINS0_14default_configENS1_27scan_by_key_config_selectorIijEEZZNS1_16scan_by_key_implILNS1_25lookback_scan_determinismE0ELb0ES3_N6thrust23THRUST_200600_302600_NS6detail15normal_iteratorINS9_10device_ptrIiEEEENSB_INSC_IjEEEESG_jNS9_4plusIvEENS9_8equal_toIvEEjEE10hipError_tPvRmT2_T3_T4_T5_mT6_T7_P12ihipStream_tbENKUlT_T0_E_clISt17integral_constantIbLb1EES11_EEDaSW_SX_EUlSW_E_NS1_11comp_targetILNS1_3genE10ELNS1_11target_archE1200ELNS1_3gpuE4ELNS1_3repE0EEENS1_30default_config_static_selectorELNS0_4arch9wavefront6targetE0EEEvT1_.private_seg_size, 0
	.set _ZN7rocprim17ROCPRIM_400000_NS6detail17trampoline_kernelINS0_14default_configENS1_27scan_by_key_config_selectorIijEEZZNS1_16scan_by_key_implILNS1_25lookback_scan_determinismE0ELb0ES3_N6thrust23THRUST_200600_302600_NS6detail15normal_iteratorINS9_10device_ptrIiEEEENSB_INSC_IjEEEESG_jNS9_4plusIvEENS9_8equal_toIvEEjEE10hipError_tPvRmT2_T3_T4_T5_mT6_T7_P12ihipStream_tbENKUlT_T0_E_clISt17integral_constantIbLb1EES11_EEDaSW_SX_EUlSW_E_NS1_11comp_targetILNS1_3genE10ELNS1_11target_archE1200ELNS1_3gpuE4ELNS1_3repE0EEENS1_30default_config_static_selectorELNS0_4arch9wavefront6targetE0EEEvT1_.uses_vcc, 0
	.set _ZN7rocprim17ROCPRIM_400000_NS6detail17trampoline_kernelINS0_14default_configENS1_27scan_by_key_config_selectorIijEEZZNS1_16scan_by_key_implILNS1_25lookback_scan_determinismE0ELb0ES3_N6thrust23THRUST_200600_302600_NS6detail15normal_iteratorINS9_10device_ptrIiEEEENSB_INSC_IjEEEESG_jNS9_4plusIvEENS9_8equal_toIvEEjEE10hipError_tPvRmT2_T3_T4_T5_mT6_T7_P12ihipStream_tbENKUlT_T0_E_clISt17integral_constantIbLb1EES11_EEDaSW_SX_EUlSW_E_NS1_11comp_targetILNS1_3genE10ELNS1_11target_archE1200ELNS1_3gpuE4ELNS1_3repE0EEENS1_30default_config_static_selectorELNS0_4arch9wavefront6targetE0EEEvT1_.uses_flat_scratch, 0
	.set _ZN7rocprim17ROCPRIM_400000_NS6detail17trampoline_kernelINS0_14default_configENS1_27scan_by_key_config_selectorIijEEZZNS1_16scan_by_key_implILNS1_25lookback_scan_determinismE0ELb0ES3_N6thrust23THRUST_200600_302600_NS6detail15normal_iteratorINS9_10device_ptrIiEEEENSB_INSC_IjEEEESG_jNS9_4plusIvEENS9_8equal_toIvEEjEE10hipError_tPvRmT2_T3_T4_T5_mT6_T7_P12ihipStream_tbENKUlT_T0_E_clISt17integral_constantIbLb1EES11_EEDaSW_SX_EUlSW_E_NS1_11comp_targetILNS1_3genE10ELNS1_11target_archE1200ELNS1_3gpuE4ELNS1_3repE0EEENS1_30default_config_static_selectorELNS0_4arch9wavefront6targetE0EEEvT1_.has_dyn_sized_stack, 0
	.set _ZN7rocprim17ROCPRIM_400000_NS6detail17trampoline_kernelINS0_14default_configENS1_27scan_by_key_config_selectorIijEEZZNS1_16scan_by_key_implILNS1_25lookback_scan_determinismE0ELb0ES3_N6thrust23THRUST_200600_302600_NS6detail15normal_iteratorINS9_10device_ptrIiEEEENSB_INSC_IjEEEESG_jNS9_4plusIvEENS9_8equal_toIvEEjEE10hipError_tPvRmT2_T3_T4_T5_mT6_T7_P12ihipStream_tbENKUlT_T0_E_clISt17integral_constantIbLb1EES11_EEDaSW_SX_EUlSW_E_NS1_11comp_targetILNS1_3genE10ELNS1_11target_archE1200ELNS1_3gpuE4ELNS1_3repE0EEENS1_30default_config_static_selectorELNS0_4arch9wavefront6targetE0EEEvT1_.has_recursion, 0
	.set _ZN7rocprim17ROCPRIM_400000_NS6detail17trampoline_kernelINS0_14default_configENS1_27scan_by_key_config_selectorIijEEZZNS1_16scan_by_key_implILNS1_25lookback_scan_determinismE0ELb0ES3_N6thrust23THRUST_200600_302600_NS6detail15normal_iteratorINS9_10device_ptrIiEEEENSB_INSC_IjEEEESG_jNS9_4plusIvEENS9_8equal_toIvEEjEE10hipError_tPvRmT2_T3_T4_T5_mT6_T7_P12ihipStream_tbENKUlT_T0_E_clISt17integral_constantIbLb1EES11_EEDaSW_SX_EUlSW_E_NS1_11comp_targetILNS1_3genE10ELNS1_11target_archE1200ELNS1_3gpuE4ELNS1_3repE0EEENS1_30default_config_static_selectorELNS0_4arch9wavefront6targetE0EEEvT1_.has_indirect_call, 0
	.section	.AMDGPU.csdata,"",@progbits
; Kernel info:
; codeLenInByte = 0
; TotalNumSgprs: 0
; NumVgprs: 0
; ScratchSize: 0
; MemoryBound: 0
; FloatMode: 240
; IeeeMode: 1
; LDSByteSize: 0 bytes/workgroup (compile time only)
; SGPRBlocks: 0
; VGPRBlocks: 0
; NumSGPRsForWavesPerEU: 1
; NumVGPRsForWavesPerEU: 1
; NamedBarCnt: 0
; Occupancy: 16
; WaveLimiterHint : 0
; COMPUTE_PGM_RSRC2:SCRATCH_EN: 0
; COMPUTE_PGM_RSRC2:USER_SGPR: 2
; COMPUTE_PGM_RSRC2:TRAP_HANDLER: 0
; COMPUTE_PGM_RSRC2:TGID_X_EN: 1
; COMPUTE_PGM_RSRC2:TGID_Y_EN: 0
; COMPUTE_PGM_RSRC2:TGID_Z_EN: 0
; COMPUTE_PGM_RSRC2:TIDIG_COMP_CNT: 0
	.section	.text._ZN7rocprim17ROCPRIM_400000_NS6detail17trampoline_kernelINS0_14default_configENS1_27scan_by_key_config_selectorIijEEZZNS1_16scan_by_key_implILNS1_25lookback_scan_determinismE0ELb0ES3_N6thrust23THRUST_200600_302600_NS6detail15normal_iteratorINS9_10device_ptrIiEEEENSB_INSC_IjEEEESG_jNS9_4plusIvEENS9_8equal_toIvEEjEE10hipError_tPvRmT2_T3_T4_T5_mT6_T7_P12ihipStream_tbENKUlT_T0_E_clISt17integral_constantIbLb1EES11_EEDaSW_SX_EUlSW_E_NS1_11comp_targetILNS1_3genE9ELNS1_11target_archE1100ELNS1_3gpuE3ELNS1_3repE0EEENS1_30default_config_static_selectorELNS0_4arch9wavefront6targetE0EEEvT1_,"axG",@progbits,_ZN7rocprim17ROCPRIM_400000_NS6detail17trampoline_kernelINS0_14default_configENS1_27scan_by_key_config_selectorIijEEZZNS1_16scan_by_key_implILNS1_25lookback_scan_determinismE0ELb0ES3_N6thrust23THRUST_200600_302600_NS6detail15normal_iteratorINS9_10device_ptrIiEEEENSB_INSC_IjEEEESG_jNS9_4plusIvEENS9_8equal_toIvEEjEE10hipError_tPvRmT2_T3_T4_T5_mT6_T7_P12ihipStream_tbENKUlT_T0_E_clISt17integral_constantIbLb1EES11_EEDaSW_SX_EUlSW_E_NS1_11comp_targetILNS1_3genE9ELNS1_11target_archE1100ELNS1_3gpuE3ELNS1_3repE0EEENS1_30default_config_static_selectorELNS0_4arch9wavefront6targetE0EEEvT1_,comdat
	.protected	_ZN7rocprim17ROCPRIM_400000_NS6detail17trampoline_kernelINS0_14default_configENS1_27scan_by_key_config_selectorIijEEZZNS1_16scan_by_key_implILNS1_25lookback_scan_determinismE0ELb0ES3_N6thrust23THRUST_200600_302600_NS6detail15normal_iteratorINS9_10device_ptrIiEEEENSB_INSC_IjEEEESG_jNS9_4plusIvEENS9_8equal_toIvEEjEE10hipError_tPvRmT2_T3_T4_T5_mT6_T7_P12ihipStream_tbENKUlT_T0_E_clISt17integral_constantIbLb1EES11_EEDaSW_SX_EUlSW_E_NS1_11comp_targetILNS1_3genE9ELNS1_11target_archE1100ELNS1_3gpuE3ELNS1_3repE0EEENS1_30default_config_static_selectorELNS0_4arch9wavefront6targetE0EEEvT1_ ; -- Begin function _ZN7rocprim17ROCPRIM_400000_NS6detail17trampoline_kernelINS0_14default_configENS1_27scan_by_key_config_selectorIijEEZZNS1_16scan_by_key_implILNS1_25lookback_scan_determinismE0ELb0ES3_N6thrust23THRUST_200600_302600_NS6detail15normal_iteratorINS9_10device_ptrIiEEEENSB_INSC_IjEEEESG_jNS9_4plusIvEENS9_8equal_toIvEEjEE10hipError_tPvRmT2_T3_T4_T5_mT6_T7_P12ihipStream_tbENKUlT_T0_E_clISt17integral_constantIbLb1EES11_EEDaSW_SX_EUlSW_E_NS1_11comp_targetILNS1_3genE9ELNS1_11target_archE1100ELNS1_3gpuE3ELNS1_3repE0EEENS1_30default_config_static_selectorELNS0_4arch9wavefront6targetE0EEEvT1_
	.globl	_ZN7rocprim17ROCPRIM_400000_NS6detail17trampoline_kernelINS0_14default_configENS1_27scan_by_key_config_selectorIijEEZZNS1_16scan_by_key_implILNS1_25lookback_scan_determinismE0ELb0ES3_N6thrust23THRUST_200600_302600_NS6detail15normal_iteratorINS9_10device_ptrIiEEEENSB_INSC_IjEEEESG_jNS9_4plusIvEENS9_8equal_toIvEEjEE10hipError_tPvRmT2_T3_T4_T5_mT6_T7_P12ihipStream_tbENKUlT_T0_E_clISt17integral_constantIbLb1EES11_EEDaSW_SX_EUlSW_E_NS1_11comp_targetILNS1_3genE9ELNS1_11target_archE1100ELNS1_3gpuE3ELNS1_3repE0EEENS1_30default_config_static_selectorELNS0_4arch9wavefront6targetE0EEEvT1_
	.p2align	8
	.type	_ZN7rocprim17ROCPRIM_400000_NS6detail17trampoline_kernelINS0_14default_configENS1_27scan_by_key_config_selectorIijEEZZNS1_16scan_by_key_implILNS1_25lookback_scan_determinismE0ELb0ES3_N6thrust23THRUST_200600_302600_NS6detail15normal_iteratorINS9_10device_ptrIiEEEENSB_INSC_IjEEEESG_jNS9_4plusIvEENS9_8equal_toIvEEjEE10hipError_tPvRmT2_T3_T4_T5_mT6_T7_P12ihipStream_tbENKUlT_T0_E_clISt17integral_constantIbLb1EES11_EEDaSW_SX_EUlSW_E_NS1_11comp_targetILNS1_3genE9ELNS1_11target_archE1100ELNS1_3gpuE3ELNS1_3repE0EEENS1_30default_config_static_selectorELNS0_4arch9wavefront6targetE0EEEvT1_,@function
_ZN7rocprim17ROCPRIM_400000_NS6detail17trampoline_kernelINS0_14default_configENS1_27scan_by_key_config_selectorIijEEZZNS1_16scan_by_key_implILNS1_25lookback_scan_determinismE0ELb0ES3_N6thrust23THRUST_200600_302600_NS6detail15normal_iteratorINS9_10device_ptrIiEEEENSB_INSC_IjEEEESG_jNS9_4plusIvEENS9_8equal_toIvEEjEE10hipError_tPvRmT2_T3_T4_T5_mT6_T7_P12ihipStream_tbENKUlT_T0_E_clISt17integral_constantIbLb1EES11_EEDaSW_SX_EUlSW_E_NS1_11comp_targetILNS1_3genE9ELNS1_11target_archE1100ELNS1_3gpuE3ELNS1_3repE0EEENS1_30default_config_static_selectorELNS0_4arch9wavefront6targetE0EEEvT1_: ; @_ZN7rocprim17ROCPRIM_400000_NS6detail17trampoline_kernelINS0_14default_configENS1_27scan_by_key_config_selectorIijEEZZNS1_16scan_by_key_implILNS1_25lookback_scan_determinismE0ELb0ES3_N6thrust23THRUST_200600_302600_NS6detail15normal_iteratorINS9_10device_ptrIiEEEENSB_INSC_IjEEEESG_jNS9_4plusIvEENS9_8equal_toIvEEjEE10hipError_tPvRmT2_T3_T4_T5_mT6_T7_P12ihipStream_tbENKUlT_T0_E_clISt17integral_constantIbLb1EES11_EEDaSW_SX_EUlSW_E_NS1_11comp_targetILNS1_3genE9ELNS1_11target_archE1100ELNS1_3gpuE3ELNS1_3repE0EEENS1_30default_config_static_selectorELNS0_4arch9wavefront6targetE0EEEvT1_
; %bb.0:
	.section	.rodata,"a",@progbits
	.p2align	6, 0x0
	.amdhsa_kernel _ZN7rocprim17ROCPRIM_400000_NS6detail17trampoline_kernelINS0_14default_configENS1_27scan_by_key_config_selectorIijEEZZNS1_16scan_by_key_implILNS1_25lookback_scan_determinismE0ELb0ES3_N6thrust23THRUST_200600_302600_NS6detail15normal_iteratorINS9_10device_ptrIiEEEENSB_INSC_IjEEEESG_jNS9_4plusIvEENS9_8equal_toIvEEjEE10hipError_tPvRmT2_T3_T4_T5_mT6_T7_P12ihipStream_tbENKUlT_T0_E_clISt17integral_constantIbLb1EES11_EEDaSW_SX_EUlSW_E_NS1_11comp_targetILNS1_3genE9ELNS1_11target_archE1100ELNS1_3gpuE3ELNS1_3repE0EEENS1_30default_config_static_selectorELNS0_4arch9wavefront6targetE0EEEvT1_
		.amdhsa_group_segment_fixed_size 0
		.amdhsa_private_segment_fixed_size 0
		.amdhsa_kernarg_size 112
		.amdhsa_user_sgpr_count 2
		.amdhsa_user_sgpr_dispatch_ptr 0
		.amdhsa_user_sgpr_queue_ptr 0
		.amdhsa_user_sgpr_kernarg_segment_ptr 1
		.amdhsa_user_sgpr_dispatch_id 0
		.amdhsa_user_sgpr_kernarg_preload_length 0
		.amdhsa_user_sgpr_kernarg_preload_offset 0
		.amdhsa_user_sgpr_private_segment_size 0
		.amdhsa_wavefront_size32 1
		.amdhsa_uses_dynamic_stack 0
		.amdhsa_enable_private_segment 0
		.amdhsa_system_sgpr_workgroup_id_x 1
		.amdhsa_system_sgpr_workgroup_id_y 0
		.amdhsa_system_sgpr_workgroup_id_z 0
		.amdhsa_system_sgpr_workgroup_info 0
		.amdhsa_system_vgpr_workitem_id 0
		.amdhsa_next_free_vgpr 1
		.amdhsa_next_free_sgpr 1
		.amdhsa_named_barrier_count 0
		.amdhsa_reserve_vcc 0
		.amdhsa_float_round_mode_32 0
		.amdhsa_float_round_mode_16_64 0
		.amdhsa_float_denorm_mode_32 3
		.amdhsa_float_denorm_mode_16_64 3
		.amdhsa_fp16_overflow 0
		.amdhsa_memory_ordered 1
		.amdhsa_forward_progress 1
		.amdhsa_inst_pref_size 0
		.amdhsa_round_robin_scheduling 0
		.amdhsa_exception_fp_ieee_invalid_op 0
		.amdhsa_exception_fp_denorm_src 0
		.amdhsa_exception_fp_ieee_div_zero 0
		.amdhsa_exception_fp_ieee_overflow 0
		.amdhsa_exception_fp_ieee_underflow 0
		.amdhsa_exception_fp_ieee_inexact 0
		.amdhsa_exception_int_div_zero 0
	.end_amdhsa_kernel
	.section	.text._ZN7rocprim17ROCPRIM_400000_NS6detail17trampoline_kernelINS0_14default_configENS1_27scan_by_key_config_selectorIijEEZZNS1_16scan_by_key_implILNS1_25lookback_scan_determinismE0ELb0ES3_N6thrust23THRUST_200600_302600_NS6detail15normal_iteratorINS9_10device_ptrIiEEEENSB_INSC_IjEEEESG_jNS9_4plusIvEENS9_8equal_toIvEEjEE10hipError_tPvRmT2_T3_T4_T5_mT6_T7_P12ihipStream_tbENKUlT_T0_E_clISt17integral_constantIbLb1EES11_EEDaSW_SX_EUlSW_E_NS1_11comp_targetILNS1_3genE9ELNS1_11target_archE1100ELNS1_3gpuE3ELNS1_3repE0EEENS1_30default_config_static_selectorELNS0_4arch9wavefront6targetE0EEEvT1_,"axG",@progbits,_ZN7rocprim17ROCPRIM_400000_NS6detail17trampoline_kernelINS0_14default_configENS1_27scan_by_key_config_selectorIijEEZZNS1_16scan_by_key_implILNS1_25lookback_scan_determinismE0ELb0ES3_N6thrust23THRUST_200600_302600_NS6detail15normal_iteratorINS9_10device_ptrIiEEEENSB_INSC_IjEEEESG_jNS9_4plusIvEENS9_8equal_toIvEEjEE10hipError_tPvRmT2_T3_T4_T5_mT6_T7_P12ihipStream_tbENKUlT_T0_E_clISt17integral_constantIbLb1EES11_EEDaSW_SX_EUlSW_E_NS1_11comp_targetILNS1_3genE9ELNS1_11target_archE1100ELNS1_3gpuE3ELNS1_3repE0EEENS1_30default_config_static_selectorELNS0_4arch9wavefront6targetE0EEEvT1_,comdat
.Lfunc_end1239:
	.size	_ZN7rocprim17ROCPRIM_400000_NS6detail17trampoline_kernelINS0_14default_configENS1_27scan_by_key_config_selectorIijEEZZNS1_16scan_by_key_implILNS1_25lookback_scan_determinismE0ELb0ES3_N6thrust23THRUST_200600_302600_NS6detail15normal_iteratorINS9_10device_ptrIiEEEENSB_INSC_IjEEEESG_jNS9_4plusIvEENS9_8equal_toIvEEjEE10hipError_tPvRmT2_T3_T4_T5_mT6_T7_P12ihipStream_tbENKUlT_T0_E_clISt17integral_constantIbLb1EES11_EEDaSW_SX_EUlSW_E_NS1_11comp_targetILNS1_3genE9ELNS1_11target_archE1100ELNS1_3gpuE3ELNS1_3repE0EEENS1_30default_config_static_selectorELNS0_4arch9wavefront6targetE0EEEvT1_, .Lfunc_end1239-_ZN7rocprim17ROCPRIM_400000_NS6detail17trampoline_kernelINS0_14default_configENS1_27scan_by_key_config_selectorIijEEZZNS1_16scan_by_key_implILNS1_25lookback_scan_determinismE0ELb0ES3_N6thrust23THRUST_200600_302600_NS6detail15normal_iteratorINS9_10device_ptrIiEEEENSB_INSC_IjEEEESG_jNS9_4plusIvEENS9_8equal_toIvEEjEE10hipError_tPvRmT2_T3_T4_T5_mT6_T7_P12ihipStream_tbENKUlT_T0_E_clISt17integral_constantIbLb1EES11_EEDaSW_SX_EUlSW_E_NS1_11comp_targetILNS1_3genE9ELNS1_11target_archE1100ELNS1_3gpuE3ELNS1_3repE0EEENS1_30default_config_static_selectorELNS0_4arch9wavefront6targetE0EEEvT1_
                                        ; -- End function
	.set _ZN7rocprim17ROCPRIM_400000_NS6detail17trampoline_kernelINS0_14default_configENS1_27scan_by_key_config_selectorIijEEZZNS1_16scan_by_key_implILNS1_25lookback_scan_determinismE0ELb0ES3_N6thrust23THRUST_200600_302600_NS6detail15normal_iteratorINS9_10device_ptrIiEEEENSB_INSC_IjEEEESG_jNS9_4plusIvEENS9_8equal_toIvEEjEE10hipError_tPvRmT2_T3_T4_T5_mT6_T7_P12ihipStream_tbENKUlT_T0_E_clISt17integral_constantIbLb1EES11_EEDaSW_SX_EUlSW_E_NS1_11comp_targetILNS1_3genE9ELNS1_11target_archE1100ELNS1_3gpuE3ELNS1_3repE0EEENS1_30default_config_static_selectorELNS0_4arch9wavefront6targetE0EEEvT1_.num_vgpr, 0
	.set _ZN7rocprim17ROCPRIM_400000_NS6detail17trampoline_kernelINS0_14default_configENS1_27scan_by_key_config_selectorIijEEZZNS1_16scan_by_key_implILNS1_25lookback_scan_determinismE0ELb0ES3_N6thrust23THRUST_200600_302600_NS6detail15normal_iteratorINS9_10device_ptrIiEEEENSB_INSC_IjEEEESG_jNS9_4plusIvEENS9_8equal_toIvEEjEE10hipError_tPvRmT2_T3_T4_T5_mT6_T7_P12ihipStream_tbENKUlT_T0_E_clISt17integral_constantIbLb1EES11_EEDaSW_SX_EUlSW_E_NS1_11comp_targetILNS1_3genE9ELNS1_11target_archE1100ELNS1_3gpuE3ELNS1_3repE0EEENS1_30default_config_static_selectorELNS0_4arch9wavefront6targetE0EEEvT1_.num_agpr, 0
	.set _ZN7rocprim17ROCPRIM_400000_NS6detail17trampoline_kernelINS0_14default_configENS1_27scan_by_key_config_selectorIijEEZZNS1_16scan_by_key_implILNS1_25lookback_scan_determinismE0ELb0ES3_N6thrust23THRUST_200600_302600_NS6detail15normal_iteratorINS9_10device_ptrIiEEEENSB_INSC_IjEEEESG_jNS9_4plusIvEENS9_8equal_toIvEEjEE10hipError_tPvRmT2_T3_T4_T5_mT6_T7_P12ihipStream_tbENKUlT_T0_E_clISt17integral_constantIbLb1EES11_EEDaSW_SX_EUlSW_E_NS1_11comp_targetILNS1_3genE9ELNS1_11target_archE1100ELNS1_3gpuE3ELNS1_3repE0EEENS1_30default_config_static_selectorELNS0_4arch9wavefront6targetE0EEEvT1_.numbered_sgpr, 0
	.set _ZN7rocprim17ROCPRIM_400000_NS6detail17trampoline_kernelINS0_14default_configENS1_27scan_by_key_config_selectorIijEEZZNS1_16scan_by_key_implILNS1_25lookback_scan_determinismE0ELb0ES3_N6thrust23THRUST_200600_302600_NS6detail15normal_iteratorINS9_10device_ptrIiEEEENSB_INSC_IjEEEESG_jNS9_4plusIvEENS9_8equal_toIvEEjEE10hipError_tPvRmT2_T3_T4_T5_mT6_T7_P12ihipStream_tbENKUlT_T0_E_clISt17integral_constantIbLb1EES11_EEDaSW_SX_EUlSW_E_NS1_11comp_targetILNS1_3genE9ELNS1_11target_archE1100ELNS1_3gpuE3ELNS1_3repE0EEENS1_30default_config_static_selectorELNS0_4arch9wavefront6targetE0EEEvT1_.num_named_barrier, 0
	.set _ZN7rocprim17ROCPRIM_400000_NS6detail17trampoline_kernelINS0_14default_configENS1_27scan_by_key_config_selectorIijEEZZNS1_16scan_by_key_implILNS1_25lookback_scan_determinismE0ELb0ES3_N6thrust23THRUST_200600_302600_NS6detail15normal_iteratorINS9_10device_ptrIiEEEENSB_INSC_IjEEEESG_jNS9_4plusIvEENS9_8equal_toIvEEjEE10hipError_tPvRmT2_T3_T4_T5_mT6_T7_P12ihipStream_tbENKUlT_T0_E_clISt17integral_constantIbLb1EES11_EEDaSW_SX_EUlSW_E_NS1_11comp_targetILNS1_3genE9ELNS1_11target_archE1100ELNS1_3gpuE3ELNS1_3repE0EEENS1_30default_config_static_selectorELNS0_4arch9wavefront6targetE0EEEvT1_.private_seg_size, 0
	.set _ZN7rocprim17ROCPRIM_400000_NS6detail17trampoline_kernelINS0_14default_configENS1_27scan_by_key_config_selectorIijEEZZNS1_16scan_by_key_implILNS1_25lookback_scan_determinismE0ELb0ES3_N6thrust23THRUST_200600_302600_NS6detail15normal_iteratorINS9_10device_ptrIiEEEENSB_INSC_IjEEEESG_jNS9_4plusIvEENS9_8equal_toIvEEjEE10hipError_tPvRmT2_T3_T4_T5_mT6_T7_P12ihipStream_tbENKUlT_T0_E_clISt17integral_constantIbLb1EES11_EEDaSW_SX_EUlSW_E_NS1_11comp_targetILNS1_3genE9ELNS1_11target_archE1100ELNS1_3gpuE3ELNS1_3repE0EEENS1_30default_config_static_selectorELNS0_4arch9wavefront6targetE0EEEvT1_.uses_vcc, 0
	.set _ZN7rocprim17ROCPRIM_400000_NS6detail17trampoline_kernelINS0_14default_configENS1_27scan_by_key_config_selectorIijEEZZNS1_16scan_by_key_implILNS1_25lookback_scan_determinismE0ELb0ES3_N6thrust23THRUST_200600_302600_NS6detail15normal_iteratorINS9_10device_ptrIiEEEENSB_INSC_IjEEEESG_jNS9_4plusIvEENS9_8equal_toIvEEjEE10hipError_tPvRmT2_T3_T4_T5_mT6_T7_P12ihipStream_tbENKUlT_T0_E_clISt17integral_constantIbLb1EES11_EEDaSW_SX_EUlSW_E_NS1_11comp_targetILNS1_3genE9ELNS1_11target_archE1100ELNS1_3gpuE3ELNS1_3repE0EEENS1_30default_config_static_selectorELNS0_4arch9wavefront6targetE0EEEvT1_.uses_flat_scratch, 0
	.set _ZN7rocprim17ROCPRIM_400000_NS6detail17trampoline_kernelINS0_14default_configENS1_27scan_by_key_config_selectorIijEEZZNS1_16scan_by_key_implILNS1_25lookback_scan_determinismE0ELb0ES3_N6thrust23THRUST_200600_302600_NS6detail15normal_iteratorINS9_10device_ptrIiEEEENSB_INSC_IjEEEESG_jNS9_4plusIvEENS9_8equal_toIvEEjEE10hipError_tPvRmT2_T3_T4_T5_mT6_T7_P12ihipStream_tbENKUlT_T0_E_clISt17integral_constantIbLb1EES11_EEDaSW_SX_EUlSW_E_NS1_11comp_targetILNS1_3genE9ELNS1_11target_archE1100ELNS1_3gpuE3ELNS1_3repE0EEENS1_30default_config_static_selectorELNS0_4arch9wavefront6targetE0EEEvT1_.has_dyn_sized_stack, 0
	.set _ZN7rocprim17ROCPRIM_400000_NS6detail17trampoline_kernelINS0_14default_configENS1_27scan_by_key_config_selectorIijEEZZNS1_16scan_by_key_implILNS1_25lookback_scan_determinismE0ELb0ES3_N6thrust23THRUST_200600_302600_NS6detail15normal_iteratorINS9_10device_ptrIiEEEENSB_INSC_IjEEEESG_jNS9_4plusIvEENS9_8equal_toIvEEjEE10hipError_tPvRmT2_T3_T4_T5_mT6_T7_P12ihipStream_tbENKUlT_T0_E_clISt17integral_constantIbLb1EES11_EEDaSW_SX_EUlSW_E_NS1_11comp_targetILNS1_3genE9ELNS1_11target_archE1100ELNS1_3gpuE3ELNS1_3repE0EEENS1_30default_config_static_selectorELNS0_4arch9wavefront6targetE0EEEvT1_.has_recursion, 0
	.set _ZN7rocprim17ROCPRIM_400000_NS6detail17trampoline_kernelINS0_14default_configENS1_27scan_by_key_config_selectorIijEEZZNS1_16scan_by_key_implILNS1_25lookback_scan_determinismE0ELb0ES3_N6thrust23THRUST_200600_302600_NS6detail15normal_iteratorINS9_10device_ptrIiEEEENSB_INSC_IjEEEESG_jNS9_4plusIvEENS9_8equal_toIvEEjEE10hipError_tPvRmT2_T3_T4_T5_mT6_T7_P12ihipStream_tbENKUlT_T0_E_clISt17integral_constantIbLb1EES11_EEDaSW_SX_EUlSW_E_NS1_11comp_targetILNS1_3genE9ELNS1_11target_archE1100ELNS1_3gpuE3ELNS1_3repE0EEENS1_30default_config_static_selectorELNS0_4arch9wavefront6targetE0EEEvT1_.has_indirect_call, 0
	.section	.AMDGPU.csdata,"",@progbits
; Kernel info:
; codeLenInByte = 0
; TotalNumSgprs: 0
; NumVgprs: 0
; ScratchSize: 0
; MemoryBound: 0
; FloatMode: 240
; IeeeMode: 1
; LDSByteSize: 0 bytes/workgroup (compile time only)
; SGPRBlocks: 0
; VGPRBlocks: 0
; NumSGPRsForWavesPerEU: 1
; NumVGPRsForWavesPerEU: 1
; NamedBarCnt: 0
; Occupancy: 16
; WaveLimiterHint : 0
; COMPUTE_PGM_RSRC2:SCRATCH_EN: 0
; COMPUTE_PGM_RSRC2:USER_SGPR: 2
; COMPUTE_PGM_RSRC2:TRAP_HANDLER: 0
; COMPUTE_PGM_RSRC2:TGID_X_EN: 1
; COMPUTE_PGM_RSRC2:TGID_Y_EN: 0
; COMPUTE_PGM_RSRC2:TGID_Z_EN: 0
; COMPUTE_PGM_RSRC2:TIDIG_COMP_CNT: 0
	.section	.text._ZN7rocprim17ROCPRIM_400000_NS6detail17trampoline_kernelINS0_14default_configENS1_27scan_by_key_config_selectorIijEEZZNS1_16scan_by_key_implILNS1_25lookback_scan_determinismE0ELb0ES3_N6thrust23THRUST_200600_302600_NS6detail15normal_iteratorINS9_10device_ptrIiEEEENSB_INSC_IjEEEESG_jNS9_4plusIvEENS9_8equal_toIvEEjEE10hipError_tPvRmT2_T3_T4_T5_mT6_T7_P12ihipStream_tbENKUlT_T0_E_clISt17integral_constantIbLb1EES11_EEDaSW_SX_EUlSW_E_NS1_11comp_targetILNS1_3genE8ELNS1_11target_archE1030ELNS1_3gpuE2ELNS1_3repE0EEENS1_30default_config_static_selectorELNS0_4arch9wavefront6targetE0EEEvT1_,"axG",@progbits,_ZN7rocprim17ROCPRIM_400000_NS6detail17trampoline_kernelINS0_14default_configENS1_27scan_by_key_config_selectorIijEEZZNS1_16scan_by_key_implILNS1_25lookback_scan_determinismE0ELb0ES3_N6thrust23THRUST_200600_302600_NS6detail15normal_iteratorINS9_10device_ptrIiEEEENSB_INSC_IjEEEESG_jNS9_4plusIvEENS9_8equal_toIvEEjEE10hipError_tPvRmT2_T3_T4_T5_mT6_T7_P12ihipStream_tbENKUlT_T0_E_clISt17integral_constantIbLb1EES11_EEDaSW_SX_EUlSW_E_NS1_11comp_targetILNS1_3genE8ELNS1_11target_archE1030ELNS1_3gpuE2ELNS1_3repE0EEENS1_30default_config_static_selectorELNS0_4arch9wavefront6targetE0EEEvT1_,comdat
	.protected	_ZN7rocprim17ROCPRIM_400000_NS6detail17trampoline_kernelINS0_14default_configENS1_27scan_by_key_config_selectorIijEEZZNS1_16scan_by_key_implILNS1_25lookback_scan_determinismE0ELb0ES3_N6thrust23THRUST_200600_302600_NS6detail15normal_iteratorINS9_10device_ptrIiEEEENSB_INSC_IjEEEESG_jNS9_4plusIvEENS9_8equal_toIvEEjEE10hipError_tPvRmT2_T3_T4_T5_mT6_T7_P12ihipStream_tbENKUlT_T0_E_clISt17integral_constantIbLb1EES11_EEDaSW_SX_EUlSW_E_NS1_11comp_targetILNS1_3genE8ELNS1_11target_archE1030ELNS1_3gpuE2ELNS1_3repE0EEENS1_30default_config_static_selectorELNS0_4arch9wavefront6targetE0EEEvT1_ ; -- Begin function _ZN7rocprim17ROCPRIM_400000_NS6detail17trampoline_kernelINS0_14default_configENS1_27scan_by_key_config_selectorIijEEZZNS1_16scan_by_key_implILNS1_25lookback_scan_determinismE0ELb0ES3_N6thrust23THRUST_200600_302600_NS6detail15normal_iteratorINS9_10device_ptrIiEEEENSB_INSC_IjEEEESG_jNS9_4plusIvEENS9_8equal_toIvEEjEE10hipError_tPvRmT2_T3_T4_T5_mT6_T7_P12ihipStream_tbENKUlT_T0_E_clISt17integral_constantIbLb1EES11_EEDaSW_SX_EUlSW_E_NS1_11comp_targetILNS1_3genE8ELNS1_11target_archE1030ELNS1_3gpuE2ELNS1_3repE0EEENS1_30default_config_static_selectorELNS0_4arch9wavefront6targetE0EEEvT1_
	.globl	_ZN7rocprim17ROCPRIM_400000_NS6detail17trampoline_kernelINS0_14default_configENS1_27scan_by_key_config_selectorIijEEZZNS1_16scan_by_key_implILNS1_25lookback_scan_determinismE0ELb0ES3_N6thrust23THRUST_200600_302600_NS6detail15normal_iteratorINS9_10device_ptrIiEEEENSB_INSC_IjEEEESG_jNS9_4plusIvEENS9_8equal_toIvEEjEE10hipError_tPvRmT2_T3_T4_T5_mT6_T7_P12ihipStream_tbENKUlT_T0_E_clISt17integral_constantIbLb1EES11_EEDaSW_SX_EUlSW_E_NS1_11comp_targetILNS1_3genE8ELNS1_11target_archE1030ELNS1_3gpuE2ELNS1_3repE0EEENS1_30default_config_static_selectorELNS0_4arch9wavefront6targetE0EEEvT1_
	.p2align	8
	.type	_ZN7rocprim17ROCPRIM_400000_NS6detail17trampoline_kernelINS0_14default_configENS1_27scan_by_key_config_selectorIijEEZZNS1_16scan_by_key_implILNS1_25lookback_scan_determinismE0ELb0ES3_N6thrust23THRUST_200600_302600_NS6detail15normal_iteratorINS9_10device_ptrIiEEEENSB_INSC_IjEEEESG_jNS9_4plusIvEENS9_8equal_toIvEEjEE10hipError_tPvRmT2_T3_T4_T5_mT6_T7_P12ihipStream_tbENKUlT_T0_E_clISt17integral_constantIbLb1EES11_EEDaSW_SX_EUlSW_E_NS1_11comp_targetILNS1_3genE8ELNS1_11target_archE1030ELNS1_3gpuE2ELNS1_3repE0EEENS1_30default_config_static_selectorELNS0_4arch9wavefront6targetE0EEEvT1_,@function
_ZN7rocprim17ROCPRIM_400000_NS6detail17trampoline_kernelINS0_14default_configENS1_27scan_by_key_config_selectorIijEEZZNS1_16scan_by_key_implILNS1_25lookback_scan_determinismE0ELb0ES3_N6thrust23THRUST_200600_302600_NS6detail15normal_iteratorINS9_10device_ptrIiEEEENSB_INSC_IjEEEESG_jNS9_4plusIvEENS9_8equal_toIvEEjEE10hipError_tPvRmT2_T3_T4_T5_mT6_T7_P12ihipStream_tbENKUlT_T0_E_clISt17integral_constantIbLb1EES11_EEDaSW_SX_EUlSW_E_NS1_11comp_targetILNS1_3genE8ELNS1_11target_archE1030ELNS1_3gpuE2ELNS1_3repE0EEENS1_30default_config_static_selectorELNS0_4arch9wavefront6targetE0EEEvT1_: ; @_ZN7rocprim17ROCPRIM_400000_NS6detail17trampoline_kernelINS0_14default_configENS1_27scan_by_key_config_selectorIijEEZZNS1_16scan_by_key_implILNS1_25lookback_scan_determinismE0ELb0ES3_N6thrust23THRUST_200600_302600_NS6detail15normal_iteratorINS9_10device_ptrIiEEEENSB_INSC_IjEEEESG_jNS9_4plusIvEENS9_8equal_toIvEEjEE10hipError_tPvRmT2_T3_T4_T5_mT6_T7_P12ihipStream_tbENKUlT_T0_E_clISt17integral_constantIbLb1EES11_EEDaSW_SX_EUlSW_E_NS1_11comp_targetILNS1_3genE8ELNS1_11target_archE1030ELNS1_3gpuE2ELNS1_3repE0EEENS1_30default_config_static_selectorELNS0_4arch9wavefront6targetE0EEEvT1_
; %bb.0:
	.section	.rodata,"a",@progbits
	.p2align	6, 0x0
	.amdhsa_kernel _ZN7rocprim17ROCPRIM_400000_NS6detail17trampoline_kernelINS0_14default_configENS1_27scan_by_key_config_selectorIijEEZZNS1_16scan_by_key_implILNS1_25lookback_scan_determinismE0ELb0ES3_N6thrust23THRUST_200600_302600_NS6detail15normal_iteratorINS9_10device_ptrIiEEEENSB_INSC_IjEEEESG_jNS9_4plusIvEENS9_8equal_toIvEEjEE10hipError_tPvRmT2_T3_T4_T5_mT6_T7_P12ihipStream_tbENKUlT_T0_E_clISt17integral_constantIbLb1EES11_EEDaSW_SX_EUlSW_E_NS1_11comp_targetILNS1_3genE8ELNS1_11target_archE1030ELNS1_3gpuE2ELNS1_3repE0EEENS1_30default_config_static_selectorELNS0_4arch9wavefront6targetE0EEEvT1_
		.amdhsa_group_segment_fixed_size 0
		.amdhsa_private_segment_fixed_size 0
		.amdhsa_kernarg_size 112
		.amdhsa_user_sgpr_count 2
		.amdhsa_user_sgpr_dispatch_ptr 0
		.amdhsa_user_sgpr_queue_ptr 0
		.amdhsa_user_sgpr_kernarg_segment_ptr 1
		.amdhsa_user_sgpr_dispatch_id 0
		.amdhsa_user_sgpr_kernarg_preload_length 0
		.amdhsa_user_sgpr_kernarg_preload_offset 0
		.amdhsa_user_sgpr_private_segment_size 0
		.amdhsa_wavefront_size32 1
		.amdhsa_uses_dynamic_stack 0
		.amdhsa_enable_private_segment 0
		.amdhsa_system_sgpr_workgroup_id_x 1
		.amdhsa_system_sgpr_workgroup_id_y 0
		.amdhsa_system_sgpr_workgroup_id_z 0
		.amdhsa_system_sgpr_workgroup_info 0
		.amdhsa_system_vgpr_workitem_id 0
		.amdhsa_next_free_vgpr 1
		.amdhsa_next_free_sgpr 1
		.amdhsa_named_barrier_count 0
		.amdhsa_reserve_vcc 0
		.amdhsa_float_round_mode_32 0
		.amdhsa_float_round_mode_16_64 0
		.amdhsa_float_denorm_mode_32 3
		.amdhsa_float_denorm_mode_16_64 3
		.amdhsa_fp16_overflow 0
		.amdhsa_memory_ordered 1
		.amdhsa_forward_progress 1
		.amdhsa_inst_pref_size 0
		.amdhsa_round_robin_scheduling 0
		.amdhsa_exception_fp_ieee_invalid_op 0
		.amdhsa_exception_fp_denorm_src 0
		.amdhsa_exception_fp_ieee_div_zero 0
		.amdhsa_exception_fp_ieee_overflow 0
		.amdhsa_exception_fp_ieee_underflow 0
		.amdhsa_exception_fp_ieee_inexact 0
		.amdhsa_exception_int_div_zero 0
	.end_amdhsa_kernel
	.section	.text._ZN7rocprim17ROCPRIM_400000_NS6detail17trampoline_kernelINS0_14default_configENS1_27scan_by_key_config_selectorIijEEZZNS1_16scan_by_key_implILNS1_25lookback_scan_determinismE0ELb0ES3_N6thrust23THRUST_200600_302600_NS6detail15normal_iteratorINS9_10device_ptrIiEEEENSB_INSC_IjEEEESG_jNS9_4plusIvEENS9_8equal_toIvEEjEE10hipError_tPvRmT2_T3_T4_T5_mT6_T7_P12ihipStream_tbENKUlT_T0_E_clISt17integral_constantIbLb1EES11_EEDaSW_SX_EUlSW_E_NS1_11comp_targetILNS1_3genE8ELNS1_11target_archE1030ELNS1_3gpuE2ELNS1_3repE0EEENS1_30default_config_static_selectorELNS0_4arch9wavefront6targetE0EEEvT1_,"axG",@progbits,_ZN7rocprim17ROCPRIM_400000_NS6detail17trampoline_kernelINS0_14default_configENS1_27scan_by_key_config_selectorIijEEZZNS1_16scan_by_key_implILNS1_25lookback_scan_determinismE0ELb0ES3_N6thrust23THRUST_200600_302600_NS6detail15normal_iteratorINS9_10device_ptrIiEEEENSB_INSC_IjEEEESG_jNS9_4plusIvEENS9_8equal_toIvEEjEE10hipError_tPvRmT2_T3_T4_T5_mT6_T7_P12ihipStream_tbENKUlT_T0_E_clISt17integral_constantIbLb1EES11_EEDaSW_SX_EUlSW_E_NS1_11comp_targetILNS1_3genE8ELNS1_11target_archE1030ELNS1_3gpuE2ELNS1_3repE0EEENS1_30default_config_static_selectorELNS0_4arch9wavefront6targetE0EEEvT1_,comdat
.Lfunc_end1240:
	.size	_ZN7rocprim17ROCPRIM_400000_NS6detail17trampoline_kernelINS0_14default_configENS1_27scan_by_key_config_selectorIijEEZZNS1_16scan_by_key_implILNS1_25lookback_scan_determinismE0ELb0ES3_N6thrust23THRUST_200600_302600_NS6detail15normal_iteratorINS9_10device_ptrIiEEEENSB_INSC_IjEEEESG_jNS9_4plusIvEENS9_8equal_toIvEEjEE10hipError_tPvRmT2_T3_T4_T5_mT6_T7_P12ihipStream_tbENKUlT_T0_E_clISt17integral_constantIbLb1EES11_EEDaSW_SX_EUlSW_E_NS1_11comp_targetILNS1_3genE8ELNS1_11target_archE1030ELNS1_3gpuE2ELNS1_3repE0EEENS1_30default_config_static_selectorELNS0_4arch9wavefront6targetE0EEEvT1_, .Lfunc_end1240-_ZN7rocprim17ROCPRIM_400000_NS6detail17trampoline_kernelINS0_14default_configENS1_27scan_by_key_config_selectorIijEEZZNS1_16scan_by_key_implILNS1_25lookback_scan_determinismE0ELb0ES3_N6thrust23THRUST_200600_302600_NS6detail15normal_iteratorINS9_10device_ptrIiEEEENSB_INSC_IjEEEESG_jNS9_4plusIvEENS9_8equal_toIvEEjEE10hipError_tPvRmT2_T3_T4_T5_mT6_T7_P12ihipStream_tbENKUlT_T0_E_clISt17integral_constantIbLb1EES11_EEDaSW_SX_EUlSW_E_NS1_11comp_targetILNS1_3genE8ELNS1_11target_archE1030ELNS1_3gpuE2ELNS1_3repE0EEENS1_30default_config_static_selectorELNS0_4arch9wavefront6targetE0EEEvT1_
                                        ; -- End function
	.set _ZN7rocprim17ROCPRIM_400000_NS6detail17trampoline_kernelINS0_14default_configENS1_27scan_by_key_config_selectorIijEEZZNS1_16scan_by_key_implILNS1_25lookback_scan_determinismE0ELb0ES3_N6thrust23THRUST_200600_302600_NS6detail15normal_iteratorINS9_10device_ptrIiEEEENSB_INSC_IjEEEESG_jNS9_4plusIvEENS9_8equal_toIvEEjEE10hipError_tPvRmT2_T3_T4_T5_mT6_T7_P12ihipStream_tbENKUlT_T0_E_clISt17integral_constantIbLb1EES11_EEDaSW_SX_EUlSW_E_NS1_11comp_targetILNS1_3genE8ELNS1_11target_archE1030ELNS1_3gpuE2ELNS1_3repE0EEENS1_30default_config_static_selectorELNS0_4arch9wavefront6targetE0EEEvT1_.num_vgpr, 0
	.set _ZN7rocprim17ROCPRIM_400000_NS6detail17trampoline_kernelINS0_14default_configENS1_27scan_by_key_config_selectorIijEEZZNS1_16scan_by_key_implILNS1_25lookback_scan_determinismE0ELb0ES3_N6thrust23THRUST_200600_302600_NS6detail15normal_iteratorINS9_10device_ptrIiEEEENSB_INSC_IjEEEESG_jNS9_4plusIvEENS9_8equal_toIvEEjEE10hipError_tPvRmT2_T3_T4_T5_mT6_T7_P12ihipStream_tbENKUlT_T0_E_clISt17integral_constantIbLb1EES11_EEDaSW_SX_EUlSW_E_NS1_11comp_targetILNS1_3genE8ELNS1_11target_archE1030ELNS1_3gpuE2ELNS1_3repE0EEENS1_30default_config_static_selectorELNS0_4arch9wavefront6targetE0EEEvT1_.num_agpr, 0
	.set _ZN7rocprim17ROCPRIM_400000_NS6detail17trampoline_kernelINS0_14default_configENS1_27scan_by_key_config_selectorIijEEZZNS1_16scan_by_key_implILNS1_25lookback_scan_determinismE0ELb0ES3_N6thrust23THRUST_200600_302600_NS6detail15normal_iteratorINS9_10device_ptrIiEEEENSB_INSC_IjEEEESG_jNS9_4plusIvEENS9_8equal_toIvEEjEE10hipError_tPvRmT2_T3_T4_T5_mT6_T7_P12ihipStream_tbENKUlT_T0_E_clISt17integral_constantIbLb1EES11_EEDaSW_SX_EUlSW_E_NS1_11comp_targetILNS1_3genE8ELNS1_11target_archE1030ELNS1_3gpuE2ELNS1_3repE0EEENS1_30default_config_static_selectorELNS0_4arch9wavefront6targetE0EEEvT1_.numbered_sgpr, 0
	.set _ZN7rocprim17ROCPRIM_400000_NS6detail17trampoline_kernelINS0_14default_configENS1_27scan_by_key_config_selectorIijEEZZNS1_16scan_by_key_implILNS1_25lookback_scan_determinismE0ELb0ES3_N6thrust23THRUST_200600_302600_NS6detail15normal_iteratorINS9_10device_ptrIiEEEENSB_INSC_IjEEEESG_jNS9_4plusIvEENS9_8equal_toIvEEjEE10hipError_tPvRmT2_T3_T4_T5_mT6_T7_P12ihipStream_tbENKUlT_T0_E_clISt17integral_constantIbLb1EES11_EEDaSW_SX_EUlSW_E_NS1_11comp_targetILNS1_3genE8ELNS1_11target_archE1030ELNS1_3gpuE2ELNS1_3repE0EEENS1_30default_config_static_selectorELNS0_4arch9wavefront6targetE0EEEvT1_.num_named_barrier, 0
	.set _ZN7rocprim17ROCPRIM_400000_NS6detail17trampoline_kernelINS0_14default_configENS1_27scan_by_key_config_selectorIijEEZZNS1_16scan_by_key_implILNS1_25lookback_scan_determinismE0ELb0ES3_N6thrust23THRUST_200600_302600_NS6detail15normal_iteratorINS9_10device_ptrIiEEEENSB_INSC_IjEEEESG_jNS9_4plusIvEENS9_8equal_toIvEEjEE10hipError_tPvRmT2_T3_T4_T5_mT6_T7_P12ihipStream_tbENKUlT_T0_E_clISt17integral_constantIbLb1EES11_EEDaSW_SX_EUlSW_E_NS1_11comp_targetILNS1_3genE8ELNS1_11target_archE1030ELNS1_3gpuE2ELNS1_3repE0EEENS1_30default_config_static_selectorELNS0_4arch9wavefront6targetE0EEEvT1_.private_seg_size, 0
	.set _ZN7rocprim17ROCPRIM_400000_NS6detail17trampoline_kernelINS0_14default_configENS1_27scan_by_key_config_selectorIijEEZZNS1_16scan_by_key_implILNS1_25lookback_scan_determinismE0ELb0ES3_N6thrust23THRUST_200600_302600_NS6detail15normal_iteratorINS9_10device_ptrIiEEEENSB_INSC_IjEEEESG_jNS9_4plusIvEENS9_8equal_toIvEEjEE10hipError_tPvRmT2_T3_T4_T5_mT6_T7_P12ihipStream_tbENKUlT_T0_E_clISt17integral_constantIbLb1EES11_EEDaSW_SX_EUlSW_E_NS1_11comp_targetILNS1_3genE8ELNS1_11target_archE1030ELNS1_3gpuE2ELNS1_3repE0EEENS1_30default_config_static_selectorELNS0_4arch9wavefront6targetE0EEEvT1_.uses_vcc, 0
	.set _ZN7rocprim17ROCPRIM_400000_NS6detail17trampoline_kernelINS0_14default_configENS1_27scan_by_key_config_selectorIijEEZZNS1_16scan_by_key_implILNS1_25lookback_scan_determinismE0ELb0ES3_N6thrust23THRUST_200600_302600_NS6detail15normal_iteratorINS9_10device_ptrIiEEEENSB_INSC_IjEEEESG_jNS9_4plusIvEENS9_8equal_toIvEEjEE10hipError_tPvRmT2_T3_T4_T5_mT6_T7_P12ihipStream_tbENKUlT_T0_E_clISt17integral_constantIbLb1EES11_EEDaSW_SX_EUlSW_E_NS1_11comp_targetILNS1_3genE8ELNS1_11target_archE1030ELNS1_3gpuE2ELNS1_3repE0EEENS1_30default_config_static_selectorELNS0_4arch9wavefront6targetE0EEEvT1_.uses_flat_scratch, 0
	.set _ZN7rocprim17ROCPRIM_400000_NS6detail17trampoline_kernelINS0_14default_configENS1_27scan_by_key_config_selectorIijEEZZNS1_16scan_by_key_implILNS1_25lookback_scan_determinismE0ELb0ES3_N6thrust23THRUST_200600_302600_NS6detail15normal_iteratorINS9_10device_ptrIiEEEENSB_INSC_IjEEEESG_jNS9_4plusIvEENS9_8equal_toIvEEjEE10hipError_tPvRmT2_T3_T4_T5_mT6_T7_P12ihipStream_tbENKUlT_T0_E_clISt17integral_constantIbLb1EES11_EEDaSW_SX_EUlSW_E_NS1_11comp_targetILNS1_3genE8ELNS1_11target_archE1030ELNS1_3gpuE2ELNS1_3repE0EEENS1_30default_config_static_selectorELNS0_4arch9wavefront6targetE0EEEvT1_.has_dyn_sized_stack, 0
	.set _ZN7rocprim17ROCPRIM_400000_NS6detail17trampoline_kernelINS0_14default_configENS1_27scan_by_key_config_selectorIijEEZZNS1_16scan_by_key_implILNS1_25lookback_scan_determinismE0ELb0ES3_N6thrust23THRUST_200600_302600_NS6detail15normal_iteratorINS9_10device_ptrIiEEEENSB_INSC_IjEEEESG_jNS9_4plusIvEENS9_8equal_toIvEEjEE10hipError_tPvRmT2_T3_T4_T5_mT6_T7_P12ihipStream_tbENKUlT_T0_E_clISt17integral_constantIbLb1EES11_EEDaSW_SX_EUlSW_E_NS1_11comp_targetILNS1_3genE8ELNS1_11target_archE1030ELNS1_3gpuE2ELNS1_3repE0EEENS1_30default_config_static_selectorELNS0_4arch9wavefront6targetE0EEEvT1_.has_recursion, 0
	.set _ZN7rocprim17ROCPRIM_400000_NS6detail17trampoline_kernelINS0_14default_configENS1_27scan_by_key_config_selectorIijEEZZNS1_16scan_by_key_implILNS1_25lookback_scan_determinismE0ELb0ES3_N6thrust23THRUST_200600_302600_NS6detail15normal_iteratorINS9_10device_ptrIiEEEENSB_INSC_IjEEEESG_jNS9_4plusIvEENS9_8equal_toIvEEjEE10hipError_tPvRmT2_T3_T4_T5_mT6_T7_P12ihipStream_tbENKUlT_T0_E_clISt17integral_constantIbLb1EES11_EEDaSW_SX_EUlSW_E_NS1_11comp_targetILNS1_3genE8ELNS1_11target_archE1030ELNS1_3gpuE2ELNS1_3repE0EEENS1_30default_config_static_selectorELNS0_4arch9wavefront6targetE0EEEvT1_.has_indirect_call, 0
	.section	.AMDGPU.csdata,"",@progbits
; Kernel info:
; codeLenInByte = 0
; TotalNumSgprs: 0
; NumVgprs: 0
; ScratchSize: 0
; MemoryBound: 0
; FloatMode: 240
; IeeeMode: 1
; LDSByteSize: 0 bytes/workgroup (compile time only)
; SGPRBlocks: 0
; VGPRBlocks: 0
; NumSGPRsForWavesPerEU: 1
; NumVGPRsForWavesPerEU: 1
; NamedBarCnt: 0
; Occupancy: 16
; WaveLimiterHint : 0
; COMPUTE_PGM_RSRC2:SCRATCH_EN: 0
; COMPUTE_PGM_RSRC2:USER_SGPR: 2
; COMPUTE_PGM_RSRC2:TRAP_HANDLER: 0
; COMPUTE_PGM_RSRC2:TGID_X_EN: 1
; COMPUTE_PGM_RSRC2:TGID_Y_EN: 0
; COMPUTE_PGM_RSRC2:TGID_Z_EN: 0
; COMPUTE_PGM_RSRC2:TIDIG_COMP_CNT: 0
	.section	.text._ZN7rocprim17ROCPRIM_400000_NS6detail30init_device_scan_by_key_kernelINS1_19lookback_scan_stateINS0_5tupleIJjbEEELb1ELb1EEEN6thrust23THRUST_200600_302600_NS6detail15normal_iteratorINS8_10device_ptrIiEEEEjNS1_16block_id_wrapperIjLb0EEEEEvT_jjPNSG_10value_typeET0_PNSt15iterator_traitsISJ_E10value_typeEmT1_T2_,"axG",@progbits,_ZN7rocprim17ROCPRIM_400000_NS6detail30init_device_scan_by_key_kernelINS1_19lookback_scan_stateINS0_5tupleIJjbEEELb1ELb1EEEN6thrust23THRUST_200600_302600_NS6detail15normal_iteratorINS8_10device_ptrIiEEEEjNS1_16block_id_wrapperIjLb0EEEEEvT_jjPNSG_10value_typeET0_PNSt15iterator_traitsISJ_E10value_typeEmT1_T2_,comdat
	.protected	_ZN7rocprim17ROCPRIM_400000_NS6detail30init_device_scan_by_key_kernelINS1_19lookback_scan_stateINS0_5tupleIJjbEEELb1ELb1EEEN6thrust23THRUST_200600_302600_NS6detail15normal_iteratorINS8_10device_ptrIiEEEEjNS1_16block_id_wrapperIjLb0EEEEEvT_jjPNSG_10value_typeET0_PNSt15iterator_traitsISJ_E10value_typeEmT1_T2_ ; -- Begin function _ZN7rocprim17ROCPRIM_400000_NS6detail30init_device_scan_by_key_kernelINS1_19lookback_scan_stateINS0_5tupleIJjbEEELb1ELb1EEEN6thrust23THRUST_200600_302600_NS6detail15normal_iteratorINS8_10device_ptrIiEEEEjNS1_16block_id_wrapperIjLb0EEEEEvT_jjPNSG_10value_typeET0_PNSt15iterator_traitsISJ_E10value_typeEmT1_T2_
	.globl	_ZN7rocprim17ROCPRIM_400000_NS6detail30init_device_scan_by_key_kernelINS1_19lookback_scan_stateINS0_5tupleIJjbEEELb1ELb1EEEN6thrust23THRUST_200600_302600_NS6detail15normal_iteratorINS8_10device_ptrIiEEEEjNS1_16block_id_wrapperIjLb0EEEEEvT_jjPNSG_10value_typeET0_PNSt15iterator_traitsISJ_E10value_typeEmT1_T2_
	.p2align	8
	.type	_ZN7rocprim17ROCPRIM_400000_NS6detail30init_device_scan_by_key_kernelINS1_19lookback_scan_stateINS0_5tupleIJjbEEELb1ELb1EEEN6thrust23THRUST_200600_302600_NS6detail15normal_iteratorINS8_10device_ptrIiEEEEjNS1_16block_id_wrapperIjLb0EEEEEvT_jjPNSG_10value_typeET0_PNSt15iterator_traitsISJ_E10value_typeEmT1_T2_,@function
_ZN7rocprim17ROCPRIM_400000_NS6detail30init_device_scan_by_key_kernelINS1_19lookback_scan_stateINS0_5tupleIJjbEEELb1ELb1EEEN6thrust23THRUST_200600_302600_NS6detail15normal_iteratorINS8_10device_ptrIiEEEEjNS1_16block_id_wrapperIjLb0EEEEEvT_jjPNSG_10value_typeET0_PNSt15iterator_traitsISJ_E10value_typeEmT1_T2_: ; @_ZN7rocprim17ROCPRIM_400000_NS6detail30init_device_scan_by_key_kernelINS1_19lookback_scan_stateINS0_5tupleIJjbEEELb1ELb1EEEN6thrust23THRUST_200600_302600_NS6detail15normal_iteratorINS8_10device_ptrIiEEEEjNS1_16block_id_wrapperIjLb0EEEEEvT_jjPNSG_10value_typeET0_PNSt15iterator_traitsISJ_E10value_typeEmT1_T2_
; %bb.0:
	s_clause 0x2
	s_load_b32 s2, s[0:1], 0x44
	s_load_b32 s14, s[0:1], 0x38
	s_load_b256 s[4:11], s[0:1], 0x0
	s_bfe_u32 s3, ttmp6, 0x4000c
	s_and_b32 s12, ttmp6, 15
	s_add_co_i32 s3, s3, 1
	s_getreg_b32 s13, hwreg(HW_REG_IB_STS2, 6, 4)
	s_mul_i32 s3, ttmp9, s3
	s_delay_alu instid0(SALU_CYCLE_1)
	s_add_co_i32 s12, s12, s3
	s_wait_kmcnt 0x0
	s_and_b32 s15, s2, 0xffff
	s_cmp_eq_u32 s13, 0
	s_cselect_b32 s2, ttmp9, s12
	s_cmp_eq_u64 s[8:9], 0
	v_mad_u32 v4, s2, s15, v0
	s_cbranch_scc1 .LBB1241_10
; %bb.1:
	s_cmp_lt_u32 s7, s6
	s_mov_b32 s16, exec_lo
	s_cselect_b32 s2, s7, 0
	s_delay_alu instid0(VALU_DEP_1) | instid1(SALU_CYCLE_1)
	v_cmpx_eq_u32_e64 s2, v4
	s_cbranch_execz .LBB1241_9
; %bb.2:
	s_add_co_i32 s2, s7, 32
	s_mov_b32 s3, 0
	v_mov_b32_e32 v7, 0
	s_lshl_b64 s[12:13], s[2:3], 4
	s_mov_b32 s2, exec_lo
	s_add_nc_u64 s[12:13], s[4:5], s[12:13]
	s_delay_alu instid0(SALU_CYCLE_1) | instskip(SKIP_2) | instid1(VALU_DEP_1)
	v_mov_b64_e32 v[0:1], s[12:13]
	;;#ASMSTART
	global_load_b128 v[0:3], v[0:1] off scope:SCOPE_DEV	
s_wait_loadcnt 0x0
	;;#ASMEND
	v_and_b32_e32 v6, 0xff, v2
	v_cmpx_eq_u64_e32 0, v[6:7]
	s_cbranch_execz .LBB1241_8
; %bb.3:
	v_mov_b64_e32 v[8:9], s[12:13]
	s_mov_b32 s7, 1
.LBB1241_4:                             ; =>This Loop Header: Depth=1
                                        ;     Child Loop BB1241_5 Depth 2
	s_delay_alu instid0(SALU_CYCLE_1)
	s_mov_b32 s12, s7
.LBB1241_5:                             ;   Parent Loop BB1241_4 Depth=1
                                        ; =>  This Inner Loop Header: Depth=2
	s_delay_alu instid0(SALU_CYCLE_1)
	s_add_co_i32 s12, s12, -1
	s_sleep 1
	s_cmp_eq_u32 s12, 0
	s_cbranch_scc0 .LBB1241_5
; %bb.6:                                ;   in Loop: Header=BB1241_4 Depth=1
	;;#ASMSTART
	global_load_b128 v[0:3], v[8:9] off scope:SCOPE_DEV	
s_wait_loadcnt 0x0
	;;#ASMEND
	v_and_b32_e32 v6, 0xff, v2
	s_cmp_lt_u32 s7, 32
	s_cselect_b32 s12, -1, 0
	s_delay_alu instid0(VALU_DEP_1) | instskip(SKIP_3) | instid1(SALU_CYCLE_1)
	v_cmp_ne_u64_e32 vcc_lo, 0, v[6:7]
	s_cmp_lg_u32 s12, 0
	s_add_co_ci_u32 s7, s7, 0
	s_or_b32 s3, vcc_lo, s3
	s_and_not1_b32 exec_lo, exec_lo, s3
	s_cbranch_execnz .LBB1241_4
; %bb.7:
	s_or_b32 exec_lo, exec_lo, s3
.LBB1241_8:
	s_delay_alu instid0(SALU_CYCLE_1)
	s_or_b32 exec_lo, exec_lo, s2
	v_mov_b32_e32 v2, 0
	s_clause 0x1
	global_store_b32 v2, v0, s[8:9]
	global_store_b8 v2, v1, s[8:9] offset:4
.LBB1241_9:
	s_wait_xcnt 0x0
	s_or_b32 exec_lo, exec_lo, s16
.LBB1241_10:
	s_delay_alu instid0(SALU_CYCLE_1) | instskip(NEXT) | instid1(VALU_DEP_1)
	s_mov_b32 s2, exec_lo
	v_cmpx_gt_u32_e64 s6, v4
	s_cbranch_execz .LBB1241_12
; %bb.11:
	v_dual_mov_b32 v0, 0 :: v_dual_add_nc_u32 v5, 32, v4
	s_delay_alu instid0(VALU_DEP_1)
	v_dual_mov_b32 v1, v0 :: v_dual_mov_b32 v2, v0
	v_mov_b32_e32 v3, v0
	global_store_b128 v5, v[0:3], s[4:5] scale_offset
.LBB1241_12:
	s_wait_xcnt 0x0
	s_or_b32 exec_lo, exec_lo, s2
	v_mov_b32_e32 v5, 0
	s_mov_b32 s2, exec_lo
	v_cmpx_gt_u32_e32 32, v4
	s_cbranch_execz .LBB1241_14
; %bb.13:
	s_delay_alu instid0(VALU_DEP_2)
	v_lshl_add_u64 v[6:7], v[4:5], 4, s[4:5]
	v_dual_mov_b32 v2, 0xff :: v_dual_mov_b32 v1, v5
	v_dual_mov_b32 v0, v5 :: v_dual_mov_b32 v3, v5
	global_store_b128 v[6:7], v[0:3], off
.LBB1241_14:
	s_wait_xcnt 0x0
	s_or_b32 exec_lo, exec_lo, s2
	s_load_b64 s[2:3], s[0:1], 0x28
	s_mov_b32 s4, exec_lo
	s_wait_kmcnt 0x0
	v_cmpx_gt_u64_e64 s[2:3], v[4:5]
	s_cbranch_execz .LBB1241_17
; %bb.15:
	s_clause 0x1
	s_load_b32 s4, s[0:1], 0x30
	s_load_b64 s[6:7], s[0:1], 0x20
	s_mov_b32 s5, 0
	s_wait_xcnt 0x0
	s_mul_i32 s0, s14, s15
	s_mov_b32 s9, s5
	s_mov_b32 s1, s5
	s_wait_kmcnt 0x0
	v_mul_u64_e32 v[0:1], s[4:5], v[4:5]
	s_add_co_i32 s8, s4, -1
	v_lshl_add_u64 v[2:3], v[4:5], 2, s[6:7]
	s_lshl_b64 s[8:9], s[8:9], 2
	s_delay_alu instid0(SALU_CYCLE_1) | instskip(SKIP_1) | instid1(SALU_CYCLE_1)
	s_add_nc_u64 s[8:9], s[10:11], s[8:9]
	s_mul_u64 s[10:11], s[4:5], s[0:1]
	s_lshl_b64 s[6:7], s[10:11], 2
	s_delay_alu instid0(VALU_DEP_2)
	v_lshl_add_u64 v[0:1], v[0:1], 2, s[8:9]
	s_lshl_b64 s[8:9], s[0:1], 2
.LBB1241_16:                            ; =>This Inner Loop Header: Depth=1
	global_load_b32 v6, v[0:1], off
	v_add_nc_u64_e32 v[4:5], s[0:1], v[4:5]
	s_wait_xcnt 0x0
	v_add_nc_u64_e32 v[0:1], s[6:7], v[0:1]
	s_delay_alu instid0(VALU_DEP_2)
	v_cmp_le_u64_e32 vcc_lo, s[2:3], v[4:5]
	s_or_b32 s5, vcc_lo, s5
	s_wait_loadcnt 0x0
	global_store_b32 v[2:3], v6, off
	s_wait_xcnt 0x0
	v_add_nc_u64_e32 v[2:3], s[8:9], v[2:3]
	s_and_not1_b32 exec_lo, exec_lo, s5
	s_cbranch_execnz .LBB1241_16
.LBB1241_17:
	s_endpgm
	.section	.rodata,"a",@progbits
	.p2align	6, 0x0
	.amdhsa_kernel _ZN7rocprim17ROCPRIM_400000_NS6detail30init_device_scan_by_key_kernelINS1_19lookback_scan_stateINS0_5tupleIJjbEEELb1ELb1EEEN6thrust23THRUST_200600_302600_NS6detail15normal_iteratorINS8_10device_ptrIiEEEEjNS1_16block_id_wrapperIjLb0EEEEEvT_jjPNSG_10value_typeET0_PNSt15iterator_traitsISJ_E10value_typeEmT1_T2_
		.amdhsa_group_segment_fixed_size 0
		.amdhsa_private_segment_fixed_size 0
		.amdhsa_kernarg_size 312
		.amdhsa_user_sgpr_count 2
		.amdhsa_user_sgpr_dispatch_ptr 0
		.amdhsa_user_sgpr_queue_ptr 0
		.amdhsa_user_sgpr_kernarg_segment_ptr 1
		.amdhsa_user_sgpr_dispatch_id 0
		.amdhsa_user_sgpr_kernarg_preload_length 0
		.amdhsa_user_sgpr_kernarg_preload_offset 0
		.amdhsa_user_sgpr_private_segment_size 0
		.amdhsa_wavefront_size32 1
		.amdhsa_uses_dynamic_stack 0
		.amdhsa_enable_private_segment 0
		.amdhsa_system_sgpr_workgroup_id_x 1
		.amdhsa_system_sgpr_workgroup_id_y 0
		.amdhsa_system_sgpr_workgroup_id_z 0
		.amdhsa_system_sgpr_workgroup_info 0
		.amdhsa_system_vgpr_workitem_id 0
		.amdhsa_next_free_vgpr 10
		.amdhsa_next_free_sgpr 17
		.amdhsa_named_barrier_count 0
		.amdhsa_reserve_vcc 1
		.amdhsa_float_round_mode_32 0
		.amdhsa_float_round_mode_16_64 0
		.amdhsa_float_denorm_mode_32 3
		.amdhsa_float_denorm_mode_16_64 3
		.amdhsa_fp16_overflow 0
		.amdhsa_memory_ordered 1
		.amdhsa_forward_progress 1
		.amdhsa_inst_pref_size 5
		.amdhsa_round_robin_scheduling 0
		.amdhsa_exception_fp_ieee_invalid_op 0
		.amdhsa_exception_fp_denorm_src 0
		.amdhsa_exception_fp_ieee_div_zero 0
		.amdhsa_exception_fp_ieee_overflow 0
		.amdhsa_exception_fp_ieee_underflow 0
		.amdhsa_exception_fp_ieee_inexact 0
		.amdhsa_exception_int_div_zero 0
	.end_amdhsa_kernel
	.section	.text._ZN7rocprim17ROCPRIM_400000_NS6detail30init_device_scan_by_key_kernelINS1_19lookback_scan_stateINS0_5tupleIJjbEEELb1ELb1EEEN6thrust23THRUST_200600_302600_NS6detail15normal_iteratorINS8_10device_ptrIiEEEEjNS1_16block_id_wrapperIjLb0EEEEEvT_jjPNSG_10value_typeET0_PNSt15iterator_traitsISJ_E10value_typeEmT1_T2_,"axG",@progbits,_ZN7rocprim17ROCPRIM_400000_NS6detail30init_device_scan_by_key_kernelINS1_19lookback_scan_stateINS0_5tupleIJjbEEELb1ELb1EEEN6thrust23THRUST_200600_302600_NS6detail15normal_iteratorINS8_10device_ptrIiEEEEjNS1_16block_id_wrapperIjLb0EEEEEvT_jjPNSG_10value_typeET0_PNSt15iterator_traitsISJ_E10value_typeEmT1_T2_,comdat
.Lfunc_end1241:
	.size	_ZN7rocprim17ROCPRIM_400000_NS6detail30init_device_scan_by_key_kernelINS1_19lookback_scan_stateINS0_5tupleIJjbEEELb1ELb1EEEN6thrust23THRUST_200600_302600_NS6detail15normal_iteratorINS8_10device_ptrIiEEEEjNS1_16block_id_wrapperIjLb0EEEEEvT_jjPNSG_10value_typeET0_PNSt15iterator_traitsISJ_E10value_typeEmT1_T2_, .Lfunc_end1241-_ZN7rocprim17ROCPRIM_400000_NS6detail30init_device_scan_by_key_kernelINS1_19lookback_scan_stateINS0_5tupleIJjbEEELb1ELb1EEEN6thrust23THRUST_200600_302600_NS6detail15normal_iteratorINS8_10device_ptrIiEEEEjNS1_16block_id_wrapperIjLb0EEEEEvT_jjPNSG_10value_typeET0_PNSt15iterator_traitsISJ_E10value_typeEmT1_T2_
                                        ; -- End function
	.set _ZN7rocprim17ROCPRIM_400000_NS6detail30init_device_scan_by_key_kernelINS1_19lookback_scan_stateINS0_5tupleIJjbEEELb1ELb1EEEN6thrust23THRUST_200600_302600_NS6detail15normal_iteratorINS8_10device_ptrIiEEEEjNS1_16block_id_wrapperIjLb0EEEEEvT_jjPNSG_10value_typeET0_PNSt15iterator_traitsISJ_E10value_typeEmT1_T2_.num_vgpr, 10
	.set _ZN7rocprim17ROCPRIM_400000_NS6detail30init_device_scan_by_key_kernelINS1_19lookback_scan_stateINS0_5tupleIJjbEEELb1ELb1EEEN6thrust23THRUST_200600_302600_NS6detail15normal_iteratorINS8_10device_ptrIiEEEEjNS1_16block_id_wrapperIjLb0EEEEEvT_jjPNSG_10value_typeET0_PNSt15iterator_traitsISJ_E10value_typeEmT1_T2_.num_agpr, 0
	.set _ZN7rocprim17ROCPRIM_400000_NS6detail30init_device_scan_by_key_kernelINS1_19lookback_scan_stateINS0_5tupleIJjbEEELb1ELb1EEEN6thrust23THRUST_200600_302600_NS6detail15normal_iteratorINS8_10device_ptrIiEEEEjNS1_16block_id_wrapperIjLb0EEEEEvT_jjPNSG_10value_typeET0_PNSt15iterator_traitsISJ_E10value_typeEmT1_T2_.numbered_sgpr, 17
	.set _ZN7rocprim17ROCPRIM_400000_NS6detail30init_device_scan_by_key_kernelINS1_19lookback_scan_stateINS0_5tupleIJjbEEELb1ELb1EEEN6thrust23THRUST_200600_302600_NS6detail15normal_iteratorINS8_10device_ptrIiEEEEjNS1_16block_id_wrapperIjLb0EEEEEvT_jjPNSG_10value_typeET0_PNSt15iterator_traitsISJ_E10value_typeEmT1_T2_.num_named_barrier, 0
	.set _ZN7rocprim17ROCPRIM_400000_NS6detail30init_device_scan_by_key_kernelINS1_19lookback_scan_stateINS0_5tupleIJjbEEELb1ELb1EEEN6thrust23THRUST_200600_302600_NS6detail15normal_iteratorINS8_10device_ptrIiEEEEjNS1_16block_id_wrapperIjLb0EEEEEvT_jjPNSG_10value_typeET0_PNSt15iterator_traitsISJ_E10value_typeEmT1_T2_.private_seg_size, 0
	.set _ZN7rocprim17ROCPRIM_400000_NS6detail30init_device_scan_by_key_kernelINS1_19lookback_scan_stateINS0_5tupleIJjbEEELb1ELb1EEEN6thrust23THRUST_200600_302600_NS6detail15normal_iteratorINS8_10device_ptrIiEEEEjNS1_16block_id_wrapperIjLb0EEEEEvT_jjPNSG_10value_typeET0_PNSt15iterator_traitsISJ_E10value_typeEmT1_T2_.uses_vcc, 1
	.set _ZN7rocprim17ROCPRIM_400000_NS6detail30init_device_scan_by_key_kernelINS1_19lookback_scan_stateINS0_5tupleIJjbEEELb1ELb1EEEN6thrust23THRUST_200600_302600_NS6detail15normal_iteratorINS8_10device_ptrIiEEEEjNS1_16block_id_wrapperIjLb0EEEEEvT_jjPNSG_10value_typeET0_PNSt15iterator_traitsISJ_E10value_typeEmT1_T2_.uses_flat_scratch, 0
	.set _ZN7rocprim17ROCPRIM_400000_NS6detail30init_device_scan_by_key_kernelINS1_19lookback_scan_stateINS0_5tupleIJjbEEELb1ELb1EEEN6thrust23THRUST_200600_302600_NS6detail15normal_iteratorINS8_10device_ptrIiEEEEjNS1_16block_id_wrapperIjLb0EEEEEvT_jjPNSG_10value_typeET0_PNSt15iterator_traitsISJ_E10value_typeEmT1_T2_.has_dyn_sized_stack, 0
	.set _ZN7rocprim17ROCPRIM_400000_NS6detail30init_device_scan_by_key_kernelINS1_19lookback_scan_stateINS0_5tupleIJjbEEELb1ELb1EEEN6thrust23THRUST_200600_302600_NS6detail15normal_iteratorINS8_10device_ptrIiEEEEjNS1_16block_id_wrapperIjLb0EEEEEvT_jjPNSG_10value_typeET0_PNSt15iterator_traitsISJ_E10value_typeEmT1_T2_.has_recursion, 0
	.set _ZN7rocprim17ROCPRIM_400000_NS6detail30init_device_scan_by_key_kernelINS1_19lookback_scan_stateINS0_5tupleIJjbEEELb1ELb1EEEN6thrust23THRUST_200600_302600_NS6detail15normal_iteratorINS8_10device_ptrIiEEEEjNS1_16block_id_wrapperIjLb0EEEEEvT_jjPNSG_10value_typeET0_PNSt15iterator_traitsISJ_E10value_typeEmT1_T2_.has_indirect_call, 0
	.section	.AMDGPU.csdata,"",@progbits
; Kernel info:
; codeLenInByte = 632
; TotalNumSgprs: 19
; NumVgprs: 10
; ScratchSize: 0
; MemoryBound: 0
; FloatMode: 240
; IeeeMode: 1
; LDSByteSize: 0 bytes/workgroup (compile time only)
; SGPRBlocks: 0
; VGPRBlocks: 0
; NumSGPRsForWavesPerEU: 19
; NumVGPRsForWavesPerEU: 10
; NamedBarCnt: 0
; Occupancy: 16
; WaveLimiterHint : 0
; COMPUTE_PGM_RSRC2:SCRATCH_EN: 0
; COMPUTE_PGM_RSRC2:USER_SGPR: 2
; COMPUTE_PGM_RSRC2:TRAP_HANDLER: 0
; COMPUTE_PGM_RSRC2:TGID_X_EN: 1
; COMPUTE_PGM_RSRC2:TGID_Y_EN: 0
; COMPUTE_PGM_RSRC2:TGID_Z_EN: 0
; COMPUTE_PGM_RSRC2:TIDIG_COMP_CNT: 0
	.section	.text._ZN7rocprim17ROCPRIM_400000_NS6detail30init_device_scan_by_key_kernelINS1_19lookback_scan_stateINS0_5tupleIJjbEEELb1ELb1EEENS1_16block_id_wrapperIjLb0EEEEEvT_jjPNS9_10value_typeET0_,"axG",@progbits,_ZN7rocprim17ROCPRIM_400000_NS6detail30init_device_scan_by_key_kernelINS1_19lookback_scan_stateINS0_5tupleIJjbEEELb1ELb1EEENS1_16block_id_wrapperIjLb0EEEEEvT_jjPNS9_10value_typeET0_,comdat
	.protected	_ZN7rocprim17ROCPRIM_400000_NS6detail30init_device_scan_by_key_kernelINS1_19lookback_scan_stateINS0_5tupleIJjbEEELb1ELb1EEENS1_16block_id_wrapperIjLb0EEEEEvT_jjPNS9_10value_typeET0_ ; -- Begin function _ZN7rocprim17ROCPRIM_400000_NS6detail30init_device_scan_by_key_kernelINS1_19lookback_scan_stateINS0_5tupleIJjbEEELb1ELb1EEENS1_16block_id_wrapperIjLb0EEEEEvT_jjPNS9_10value_typeET0_
	.globl	_ZN7rocprim17ROCPRIM_400000_NS6detail30init_device_scan_by_key_kernelINS1_19lookback_scan_stateINS0_5tupleIJjbEEELb1ELb1EEENS1_16block_id_wrapperIjLb0EEEEEvT_jjPNS9_10value_typeET0_
	.p2align	8
	.type	_ZN7rocprim17ROCPRIM_400000_NS6detail30init_device_scan_by_key_kernelINS1_19lookback_scan_stateINS0_5tupleIJjbEEELb1ELb1EEENS1_16block_id_wrapperIjLb0EEEEEvT_jjPNS9_10value_typeET0_,@function
_ZN7rocprim17ROCPRIM_400000_NS6detail30init_device_scan_by_key_kernelINS1_19lookback_scan_stateINS0_5tupleIJjbEEELb1ELb1EEENS1_16block_id_wrapperIjLb0EEEEEvT_jjPNS9_10value_typeET0_: ; @_ZN7rocprim17ROCPRIM_400000_NS6detail30init_device_scan_by_key_kernelINS1_19lookback_scan_stateINS0_5tupleIJjbEEELb1ELb1EEENS1_16block_id_wrapperIjLb0EEEEEvT_jjPNS9_10value_typeET0_
; %bb.0:
	s_clause 0x2
	s_load_b32 s8, s[0:1], 0x2c
	s_load_b128 s[4:7], s[0:1], 0x0
	s_load_b64 s[2:3], s[0:1], 0x10
	s_wait_xcnt 0x0
	s_bfe_u32 s0, ttmp6, 0x4000c
	s_and_b32 s1, ttmp6, 15
	s_add_co_i32 s0, s0, 1
	s_getreg_b32 s9, hwreg(HW_REG_IB_STS2, 6, 4)
	s_mul_i32 s0, ttmp9, s0
	s_delay_alu instid0(SALU_CYCLE_1)
	s_add_co_i32 s1, s1, s0
	s_wait_kmcnt 0x0
	s_and_b32 s8, s8, 0xffff
	s_cmp_eq_u32 s9, 0
	s_cselect_b32 s0, ttmp9, s1
	s_cmp_eq_u64 s[2:3], 0
	v_mad_u32 v8, s0, s8, v0
	s_cbranch_scc1 .LBB1242_10
; %bb.1:
	s_cmp_lt_u32 s7, s6
	s_mov_b32 s10, exec_lo
	s_cselect_b32 s0, s7, 0
	s_delay_alu instid0(VALU_DEP_1) | instid1(SALU_CYCLE_1)
	v_cmpx_eq_u32_e64 s0, v8
	s_cbranch_execz .LBB1242_9
; %bb.2:
	s_add_co_i32 s0, s7, 32
	s_mov_b32 s1, 0
	v_mov_b32_e32 v5, 0
	s_lshl_b64 s[8:9], s[0:1], 4
	s_mov_b32 s0, exec_lo
	s_add_nc_u64 s[8:9], s[4:5], s[8:9]
	s_delay_alu instid0(SALU_CYCLE_1) | instskip(SKIP_2) | instid1(VALU_DEP_1)
	v_mov_b64_e32 v[0:1], s[8:9]
	;;#ASMSTART
	global_load_b128 v[0:3], v[0:1] off scope:SCOPE_DEV	
s_wait_loadcnt 0x0
	;;#ASMEND
	v_and_b32_e32 v4, 0xff, v2
	v_cmpx_eq_u64_e32 0, v[4:5]
	s_cbranch_execz .LBB1242_8
; %bb.3:
	v_mov_b64_e32 v[6:7], s[8:9]
	s_mov_b32 s7, 1
.LBB1242_4:                             ; =>This Loop Header: Depth=1
                                        ;     Child Loop BB1242_5 Depth 2
	s_delay_alu instid0(SALU_CYCLE_1)
	s_mov_b32 s8, s7
.LBB1242_5:                             ;   Parent Loop BB1242_4 Depth=1
                                        ; =>  This Inner Loop Header: Depth=2
	s_delay_alu instid0(SALU_CYCLE_1)
	s_add_co_i32 s8, s8, -1
	s_sleep 1
	s_cmp_eq_u32 s8, 0
	s_cbranch_scc0 .LBB1242_5
; %bb.6:                                ;   in Loop: Header=BB1242_4 Depth=1
	;;#ASMSTART
	global_load_b128 v[0:3], v[6:7] off scope:SCOPE_DEV	
s_wait_loadcnt 0x0
	;;#ASMEND
	v_and_b32_e32 v4, 0xff, v2
	s_cmp_lt_u32 s7, 32
	s_cselect_b32 s8, -1, 0
	s_delay_alu instid0(VALU_DEP_1) | instskip(SKIP_3) | instid1(SALU_CYCLE_1)
	v_cmp_ne_u64_e32 vcc_lo, 0, v[4:5]
	s_cmp_lg_u32 s8, 0
	s_add_co_ci_u32 s7, s7, 0
	s_or_b32 s1, vcc_lo, s1
	s_and_not1_b32 exec_lo, exec_lo, s1
	s_cbranch_execnz .LBB1242_4
; %bb.7:
	s_or_b32 exec_lo, exec_lo, s1
.LBB1242_8:
	s_delay_alu instid0(SALU_CYCLE_1)
	s_or_b32 exec_lo, exec_lo, s0
	v_mov_b32_e32 v2, 0
	s_clause 0x1
	global_store_b32 v2, v0, s[2:3]
	global_store_b8 v2, v1, s[2:3] offset:4
.LBB1242_9:
	s_wait_xcnt 0x0
	s_or_b32 exec_lo, exec_lo, s10
.LBB1242_10:
	s_delay_alu instid0(SALU_CYCLE_1) | instskip(NEXT) | instid1(VALU_DEP_1)
	s_mov_b32 s0, exec_lo
	v_cmpx_gt_u32_e64 s6, v8
	s_cbranch_execz .LBB1242_12
; %bb.11:
	v_dual_mov_b32 v0, 0 :: v_dual_add_nc_u32 v4, 32, v8
	s_delay_alu instid0(VALU_DEP_1)
	v_dual_mov_b32 v1, v0 :: v_dual_mov_b32 v2, v0
	v_mov_b32_e32 v3, v0
	global_store_b128 v4, v[0:3], s[4:5] scale_offset
.LBB1242_12:
	s_wait_xcnt 0x0
	s_or_b32 exec_lo, exec_lo, s0
	s_delay_alu instid0(SALU_CYCLE_1)
	s_mov_b32 s0, exec_lo
	v_cmpx_gt_u32_e32 32, v8
	s_cbranch_execz .LBB1242_14
; %bb.13:
	v_mov_b32_e32 v0, 0
	s_delay_alu instid0(VALU_DEP_1)
	v_dual_mov_b32 v2, 0xff :: v_dual_mov_b32 v1, v0
	v_mov_b32_e32 v3, v0
	global_store_b128 v8, v[0:3], s[4:5] scale_offset
.LBB1242_14:
	s_endpgm
	.section	.rodata,"a",@progbits
	.p2align	6, 0x0
	.amdhsa_kernel _ZN7rocprim17ROCPRIM_400000_NS6detail30init_device_scan_by_key_kernelINS1_19lookback_scan_stateINS0_5tupleIJjbEEELb1ELb1EEENS1_16block_id_wrapperIjLb0EEEEEvT_jjPNS9_10value_typeET0_
		.amdhsa_group_segment_fixed_size 0
		.amdhsa_private_segment_fixed_size 0
		.amdhsa_kernarg_size 288
		.amdhsa_user_sgpr_count 2
		.amdhsa_user_sgpr_dispatch_ptr 0
		.amdhsa_user_sgpr_queue_ptr 0
		.amdhsa_user_sgpr_kernarg_segment_ptr 1
		.amdhsa_user_sgpr_dispatch_id 0
		.amdhsa_user_sgpr_kernarg_preload_length 0
		.amdhsa_user_sgpr_kernarg_preload_offset 0
		.amdhsa_user_sgpr_private_segment_size 0
		.amdhsa_wavefront_size32 1
		.amdhsa_uses_dynamic_stack 0
		.amdhsa_enable_private_segment 0
		.amdhsa_system_sgpr_workgroup_id_x 1
		.amdhsa_system_sgpr_workgroup_id_y 0
		.amdhsa_system_sgpr_workgroup_id_z 0
		.amdhsa_system_sgpr_workgroup_info 0
		.amdhsa_system_vgpr_workitem_id 0
		.amdhsa_next_free_vgpr 9
		.amdhsa_next_free_sgpr 11
		.amdhsa_named_barrier_count 0
		.amdhsa_reserve_vcc 1
		.amdhsa_float_round_mode_32 0
		.amdhsa_float_round_mode_16_64 0
		.amdhsa_float_denorm_mode_32 3
		.amdhsa_float_denorm_mode_16_64 3
		.amdhsa_fp16_overflow 0
		.amdhsa_memory_ordered 1
		.amdhsa_forward_progress 1
		.amdhsa_inst_pref_size 4
		.amdhsa_round_robin_scheduling 0
		.amdhsa_exception_fp_ieee_invalid_op 0
		.amdhsa_exception_fp_denorm_src 0
		.amdhsa_exception_fp_ieee_div_zero 0
		.amdhsa_exception_fp_ieee_overflow 0
		.amdhsa_exception_fp_ieee_underflow 0
		.amdhsa_exception_fp_ieee_inexact 0
		.amdhsa_exception_int_div_zero 0
	.end_amdhsa_kernel
	.section	.text._ZN7rocprim17ROCPRIM_400000_NS6detail30init_device_scan_by_key_kernelINS1_19lookback_scan_stateINS0_5tupleIJjbEEELb1ELb1EEENS1_16block_id_wrapperIjLb0EEEEEvT_jjPNS9_10value_typeET0_,"axG",@progbits,_ZN7rocprim17ROCPRIM_400000_NS6detail30init_device_scan_by_key_kernelINS1_19lookback_scan_stateINS0_5tupleIJjbEEELb1ELb1EEENS1_16block_id_wrapperIjLb0EEEEEvT_jjPNS9_10value_typeET0_,comdat
.Lfunc_end1242:
	.size	_ZN7rocprim17ROCPRIM_400000_NS6detail30init_device_scan_by_key_kernelINS1_19lookback_scan_stateINS0_5tupleIJjbEEELb1ELb1EEENS1_16block_id_wrapperIjLb0EEEEEvT_jjPNS9_10value_typeET0_, .Lfunc_end1242-_ZN7rocprim17ROCPRIM_400000_NS6detail30init_device_scan_by_key_kernelINS1_19lookback_scan_stateINS0_5tupleIJjbEEELb1ELb1EEENS1_16block_id_wrapperIjLb0EEEEEvT_jjPNS9_10value_typeET0_
                                        ; -- End function
	.set _ZN7rocprim17ROCPRIM_400000_NS6detail30init_device_scan_by_key_kernelINS1_19lookback_scan_stateINS0_5tupleIJjbEEELb1ELb1EEENS1_16block_id_wrapperIjLb0EEEEEvT_jjPNS9_10value_typeET0_.num_vgpr, 9
	.set _ZN7rocprim17ROCPRIM_400000_NS6detail30init_device_scan_by_key_kernelINS1_19lookback_scan_stateINS0_5tupleIJjbEEELb1ELb1EEENS1_16block_id_wrapperIjLb0EEEEEvT_jjPNS9_10value_typeET0_.num_agpr, 0
	.set _ZN7rocprim17ROCPRIM_400000_NS6detail30init_device_scan_by_key_kernelINS1_19lookback_scan_stateINS0_5tupleIJjbEEELb1ELb1EEENS1_16block_id_wrapperIjLb0EEEEEvT_jjPNS9_10value_typeET0_.numbered_sgpr, 11
	.set _ZN7rocprim17ROCPRIM_400000_NS6detail30init_device_scan_by_key_kernelINS1_19lookback_scan_stateINS0_5tupleIJjbEEELb1ELb1EEENS1_16block_id_wrapperIjLb0EEEEEvT_jjPNS9_10value_typeET0_.num_named_barrier, 0
	.set _ZN7rocprim17ROCPRIM_400000_NS6detail30init_device_scan_by_key_kernelINS1_19lookback_scan_stateINS0_5tupleIJjbEEELb1ELb1EEENS1_16block_id_wrapperIjLb0EEEEEvT_jjPNS9_10value_typeET0_.private_seg_size, 0
	.set _ZN7rocprim17ROCPRIM_400000_NS6detail30init_device_scan_by_key_kernelINS1_19lookback_scan_stateINS0_5tupleIJjbEEELb1ELb1EEENS1_16block_id_wrapperIjLb0EEEEEvT_jjPNS9_10value_typeET0_.uses_vcc, 1
	.set _ZN7rocprim17ROCPRIM_400000_NS6detail30init_device_scan_by_key_kernelINS1_19lookback_scan_stateINS0_5tupleIJjbEEELb1ELb1EEENS1_16block_id_wrapperIjLb0EEEEEvT_jjPNS9_10value_typeET0_.uses_flat_scratch, 0
	.set _ZN7rocprim17ROCPRIM_400000_NS6detail30init_device_scan_by_key_kernelINS1_19lookback_scan_stateINS0_5tupleIJjbEEELb1ELb1EEENS1_16block_id_wrapperIjLb0EEEEEvT_jjPNS9_10value_typeET0_.has_dyn_sized_stack, 0
	.set _ZN7rocprim17ROCPRIM_400000_NS6detail30init_device_scan_by_key_kernelINS1_19lookback_scan_stateINS0_5tupleIJjbEEELb1ELb1EEENS1_16block_id_wrapperIjLb0EEEEEvT_jjPNS9_10value_typeET0_.has_recursion, 0
	.set _ZN7rocprim17ROCPRIM_400000_NS6detail30init_device_scan_by_key_kernelINS1_19lookback_scan_stateINS0_5tupleIJjbEEELb1ELb1EEENS1_16block_id_wrapperIjLb0EEEEEvT_jjPNS9_10value_typeET0_.has_indirect_call, 0
	.section	.AMDGPU.csdata,"",@progbits
; Kernel info:
; codeLenInByte = 432
; TotalNumSgprs: 13
; NumVgprs: 9
; ScratchSize: 0
; MemoryBound: 0
; FloatMode: 240
; IeeeMode: 1
; LDSByteSize: 0 bytes/workgroup (compile time only)
; SGPRBlocks: 0
; VGPRBlocks: 0
; NumSGPRsForWavesPerEU: 13
; NumVGPRsForWavesPerEU: 9
; NamedBarCnt: 0
; Occupancy: 16
; WaveLimiterHint : 0
; COMPUTE_PGM_RSRC2:SCRATCH_EN: 0
; COMPUTE_PGM_RSRC2:USER_SGPR: 2
; COMPUTE_PGM_RSRC2:TRAP_HANDLER: 0
; COMPUTE_PGM_RSRC2:TGID_X_EN: 1
; COMPUTE_PGM_RSRC2:TGID_Y_EN: 0
; COMPUTE_PGM_RSRC2:TGID_Z_EN: 0
; COMPUTE_PGM_RSRC2:TIDIG_COMP_CNT: 0
	.section	.text._ZN7rocprim17ROCPRIM_400000_NS6detail17trampoline_kernelINS0_14default_configENS1_27scan_by_key_config_selectorIijEEZZNS1_16scan_by_key_implILNS1_25lookback_scan_determinismE0ELb0ES3_N6thrust23THRUST_200600_302600_NS6detail15normal_iteratorINS9_10device_ptrIiEEEENSB_INSC_IjEEEESG_jNS9_4plusIvEENS9_8equal_toIvEEjEE10hipError_tPvRmT2_T3_T4_T5_mT6_T7_P12ihipStream_tbENKUlT_T0_E_clISt17integral_constantIbLb1EES10_IbLb0EEEEDaSW_SX_EUlSW_E_NS1_11comp_targetILNS1_3genE0ELNS1_11target_archE4294967295ELNS1_3gpuE0ELNS1_3repE0EEENS1_30default_config_static_selectorELNS0_4arch9wavefront6targetE0EEEvT1_,"axG",@progbits,_ZN7rocprim17ROCPRIM_400000_NS6detail17trampoline_kernelINS0_14default_configENS1_27scan_by_key_config_selectorIijEEZZNS1_16scan_by_key_implILNS1_25lookback_scan_determinismE0ELb0ES3_N6thrust23THRUST_200600_302600_NS6detail15normal_iteratorINS9_10device_ptrIiEEEENSB_INSC_IjEEEESG_jNS9_4plusIvEENS9_8equal_toIvEEjEE10hipError_tPvRmT2_T3_T4_T5_mT6_T7_P12ihipStream_tbENKUlT_T0_E_clISt17integral_constantIbLb1EES10_IbLb0EEEEDaSW_SX_EUlSW_E_NS1_11comp_targetILNS1_3genE0ELNS1_11target_archE4294967295ELNS1_3gpuE0ELNS1_3repE0EEENS1_30default_config_static_selectorELNS0_4arch9wavefront6targetE0EEEvT1_,comdat
	.protected	_ZN7rocprim17ROCPRIM_400000_NS6detail17trampoline_kernelINS0_14default_configENS1_27scan_by_key_config_selectorIijEEZZNS1_16scan_by_key_implILNS1_25lookback_scan_determinismE0ELb0ES3_N6thrust23THRUST_200600_302600_NS6detail15normal_iteratorINS9_10device_ptrIiEEEENSB_INSC_IjEEEESG_jNS9_4plusIvEENS9_8equal_toIvEEjEE10hipError_tPvRmT2_T3_T4_T5_mT6_T7_P12ihipStream_tbENKUlT_T0_E_clISt17integral_constantIbLb1EES10_IbLb0EEEEDaSW_SX_EUlSW_E_NS1_11comp_targetILNS1_3genE0ELNS1_11target_archE4294967295ELNS1_3gpuE0ELNS1_3repE0EEENS1_30default_config_static_selectorELNS0_4arch9wavefront6targetE0EEEvT1_ ; -- Begin function _ZN7rocprim17ROCPRIM_400000_NS6detail17trampoline_kernelINS0_14default_configENS1_27scan_by_key_config_selectorIijEEZZNS1_16scan_by_key_implILNS1_25lookback_scan_determinismE0ELb0ES3_N6thrust23THRUST_200600_302600_NS6detail15normal_iteratorINS9_10device_ptrIiEEEENSB_INSC_IjEEEESG_jNS9_4plusIvEENS9_8equal_toIvEEjEE10hipError_tPvRmT2_T3_T4_T5_mT6_T7_P12ihipStream_tbENKUlT_T0_E_clISt17integral_constantIbLb1EES10_IbLb0EEEEDaSW_SX_EUlSW_E_NS1_11comp_targetILNS1_3genE0ELNS1_11target_archE4294967295ELNS1_3gpuE0ELNS1_3repE0EEENS1_30default_config_static_selectorELNS0_4arch9wavefront6targetE0EEEvT1_
	.globl	_ZN7rocprim17ROCPRIM_400000_NS6detail17trampoline_kernelINS0_14default_configENS1_27scan_by_key_config_selectorIijEEZZNS1_16scan_by_key_implILNS1_25lookback_scan_determinismE0ELb0ES3_N6thrust23THRUST_200600_302600_NS6detail15normal_iteratorINS9_10device_ptrIiEEEENSB_INSC_IjEEEESG_jNS9_4plusIvEENS9_8equal_toIvEEjEE10hipError_tPvRmT2_T3_T4_T5_mT6_T7_P12ihipStream_tbENKUlT_T0_E_clISt17integral_constantIbLb1EES10_IbLb0EEEEDaSW_SX_EUlSW_E_NS1_11comp_targetILNS1_3genE0ELNS1_11target_archE4294967295ELNS1_3gpuE0ELNS1_3repE0EEENS1_30default_config_static_selectorELNS0_4arch9wavefront6targetE0EEEvT1_
	.p2align	8
	.type	_ZN7rocprim17ROCPRIM_400000_NS6detail17trampoline_kernelINS0_14default_configENS1_27scan_by_key_config_selectorIijEEZZNS1_16scan_by_key_implILNS1_25lookback_scan_determinismE0ELb0ES3_N6thrust23THRUST_200600_302600_NS6detail15normal_iteratorINS9_10device_ptrIiEEEENSB_INSC_IjEEEESG_jNS9_4plusIvEENS9_8equal_toIvEEjEE10hipError_tPvRmT2_T3_T4_T5_mT6_T7_P12ihipStream_tbENKUlT_T0_E_clISt17integral_constantIbLb1EES10_IbLb0EEEEDaSW_SX_EUlSW_E_NS1_11comp_targetILNS1_3genE0ELNS1_11target_archE4294967295ELNS1_3gpuE0ELNS1_3repE0EEENS1_30default_config_static_selectorELNS0_4arch9wavefront6targetE0EEEvT1_,@function
_ZN7rocprim17ROCPRIM_400000_NS6detail17trampoline_kernelINS0_14default_configENS1_27scan_by_key_config_selectorIijEEZZNS1_16scan_by_key_implILNS1_25lookback_scan_determinismE0ELb0ES3_N6thrust23THRUST_200600_302600_NS6detail15normal_iteratorINS9_10device_ptrIiEEEENSB_INSC_IjEEEESG_jNS9_4plusIvEENS9_8equal_toIvEEjEE10hipError_tPvRmT2_T3_T4_T5_mT6_T7_P12ihipStream_tbENKUlT_T0_E_clISt17integral_constantIbLb1EES10_IbLb0EEEEDaSW_SX_EUlSW_E_NS1_11comp_targetILNS1_3genE0ELNS1_11target_archE4294967295ELNS1_3gpuE0ELNS1_3repE0EEENS1_30default_config_static_selectorELNS0_4arch9wavefront6targetE0EEEvT1_: ; @_ZN7rocprim17ROCPRIM_400000_NS6detail17trampoline_kernelINS0_14default_configENS1_27scan_by_key_config_selectorIijEEZZNS1_16scan_by_key_implILNS1_25lookback_scan_determinismE0ELb0ES3_N6thrust23THRUST_200600_302600_NS6detail15normal_iteratorINS9_10device_ptrIiEEEENSB_INSC_IjEEEESG_jNS9_4plusIvEENS9_8equal_toIvEEjEE10hipError_tPvRmT2_T3_T4_T5_mT6_T7_P12ihipStream_tbENKUlT_T0_E_clISt17integral_constantIbLb1EES10_IbLb0EEEEDaSW_SX_EUlSW_E_NS1_11comp_targetILNS1_3genE0ELNS1_11target_archE4294967295ELNS1_3gpuE0ELNS1_3repE0EEENS1_30default_config_static_selectorELNS0_4arch9wavefront6targetE0EEEvT1_
; %bb.0:
	s_endpgm
	.section	.rodata,"a",@progbits
	.p2align	6, 0x0
	.amdhsa_kernel _ZN7rocprim17ROCPRIM_400000_NS6detail17trampoline_kernelINS0_14default_configENS1_27scan_by_key_config_selectorIijEEZZNS1_16scan_by_key_implILNS1_25lookback_scan_determinismE0ELb0ES3_N6thrust23THRUST_200600_302600_NS6detail15normal_iteratorINS9_10device_ptrIiEEEENSB_INSC_IjEEEESG_jNS9_4plusIvEENS9_8equal_toIvEEjEE10hipError_tPvRmT2_T3_T4_T5_mT6_T7_P12ihipStream_tbENKUlT_T0_E_clISt17integral_constantIbLb1EES10_IbLb0EEEEDaSW_SX_EUlSW_E_NS1_11comp_targetILNS1_3genE0ELNS1_11target_archE4294967295ELNS1_3gpuE0ELNS1_3repE0EEENS1_30default_config_static_selectorELNS0_4arch9wavefront6targetE0EEEvT1_
		.amdhsa_group_segment_fixed_size 0
		.amdhsa_private_segment_fixed_size 0
		.amdhsa_kernarg_size 112
		.amdhsa_user_sgpr_count 2
		.amdhsa_user_sgpr_dispatch_ptr 0
		.amdhsa_user_sgpr_queue_ptr 0
		.amdhsa_user_sgpr_kernarg_segment_ptr 1
		.amdhsa_user_sgpr_dispatch_id 0
		.amdhsa_user_sgpr_kernarg_preload_length 0
		.amdhsa_user_sgpr_kernarg_preload_offset 0
		.amdhsa_user_sgpr_private_segment_size 0
		.amdhsa_wavefront_size32 1
		.amdhsa_uses_dynamic_stack 0
		.amdhsa_enable_private_segment 0
		.amdhsa_system_sgpr_workgroup_id_x 1
		.amdhsa_system_sgpr_workgroup_id_y 0
		.amdhsa_system_sgpr_workgroup_id_z 0
		.amdhsa_system_sgpr_workgroup_info 0
		.amdhsa_system_vgpr_workitem_id 0
		.amdhsa_next_free_vgpr 1
		.amdhsa_next_free_sgpr 1
		.amdhsa_named_barrier_count 0
		.amdhsa_reserve_vcc 0
		.amdhsa_float_round_mode_32 0
		.amdhsa_float_round_mode_16_64 0
		.amdhsa_float_denorm_mode_32 3
		.amdhsa_float_denorm_mode_16_64 3
		.amdhsa_fp16_overflow 0
		.amdhsa_memory_ordered 1
		.amdhsa_forward_progress 1
		.amdhsa_inst_pref_size 1
		.amdhsa_round_robin_scheduling 0
		.amdhsa_exception_fp_ieee_invalid_op 0
		.amdhsa_exception_fp_denorm_src 0
		.amdhsa_exception_fp_ieee_div_zero 0
		.amdhsa_exception_fp_ieee_overflow 0
		.amdhsa_exception_fp_ieee_underflow 0
		.amdhsa_exception_fp_ieee_inexact 0
		.amdhsa_exception_int_div_zero 0
	.end_amdhsa_kernel
	.section	.text._ZN7rocprim17ROCPRIM_400000_NS6detail17trampoline_kernelINS0_14default_configENS1_27scan_by_key_config_selectorIijEEZZNS1_16scan_by_key_implILNS1_25lookback_scan_determinismE0ELb0ES3_N6thrust23THRUST_200600_302600_NS6detail15normal_iteratorINS9_10device_ptrIiEEEENSB_INSC_IjEEEESG_jNS9_4plusIvEENS9_8equal_toIvEEjEE10hipError_tPvRmT2_T3_T4_T5_mT6_T7_P12ihipStream_tbENKUlT_T0_E_clISt17integral_constantIbLb1EES10_IbLb0EEEEDaSW_SX_EUlSW_E_NS1_11comp_targetILNS1_3genE0ELNS1_11target_archE4294967295ELNS1_3gpuE0ELNS1_3repE0EEENS1_30default_config_static_selectorELNS0_4arch9wavefront6targetE0EEEvT1_,"axG",@progbits,_ZN7rocprim17ROCPRIM_400000_NS6detail17trampoline_kernelINS0_14default_configENS1_27scan_by_key_config_selectorIijEEZZNS1_16scan_by_key_implILNS1_25lookback_scan_determinismE0ELb0ES3_N6thrust23THRUST_200600_302600_NS6detail15normal_iteratorINS9_10device_ptrIiEEEENSB_INSC_IjEEEESG_jNS9_4plusIvEENS9_8equal_toIvEEjEE10hipError_tPvRmT2_T3_T4_T5_mT6_T7_P12ihipStream_tbENKUlT_T0_E_clISt17integral_constantIbLb1EES10_IbLb0EEEEDaSW_SX_EUlSW_E_NS1_11comp_targetILNS1_3genE0ELNS1_11target_archE4294967295ELNS1_3gpuE0ELNS1_3repE0EEENS1_30default_config_static_selectorELNS0_4arch9wavefront6targetE0EEEvT1_,comdat
.Lfunc_end1243:
	.size	_ZN7rocprim17ROCPRIM_400000_NS6detail17trampoline_kernelINS0_14default_configENS1_27scan_by_key_config_selectorIijEEZZNS1_16scan_by_key_implILNS1_25lookback_scan_determinismE0ELb0ES3_N6thrust23THRUST_200600_302600_NS6detail15normal_iteratorINS9_10device_ptrIiEEEENSB_INSC_IjEEEESG_jNS9_4plusIvEENS9_8equal_toIvEEjEE10hipError_tPvRmT2_T3_T4_T5_mT6_T7_P12ihipStream_tbENKUlT_T0_E_clISt17integral_constantIbLb1EES10_IbLb0EEEEDaSW_SX_EUlSW_E_NS1_11comp_targetILNS1_3genE0ELNS1_11target_archE4294967295ELNS1_3gpuE0ELNS1_3repE0EEENS1_30default_config_static_selectorELNS0_4arch9wavefront6targetE0EEEvT1_, .Lfunc_end1243-_ZN7rocprim17ROCPRIM_400000_NS6detail17trampoline_kernelINS0_14default_configENS1_27scan_by_key_config_selectorIijEEZZNS1_16scan_by_key_implILNS1_25lookback_scan_determinismE0ELb0ES3_N6thrust23THRUST_200600_302600_NS6detail15normal_iteratorINS9_10device_ptrIiEEEENSB_INSC_IjEEEESG_jNS9_4plusIvEENS9_8equal_toIvEEjEE10hipError_tPvRmT2_T3_T4_T5_mT6_T7_P12ihipStream_tbENKUlT_T0_E_clISt17integral_constantIbLb1EES10_IbLb0EEEEDaSW_SX_EUlSW_E_NS1_11comp_targetILNS1_3genE0ELNS1_11target_archE4294967295ELNS1_3gpuE0ELNS1_3repE0EEENS1_30default_config_static_selectorELNS0_4arch9wavefront6targetE0EEEvT1_
                                        ; -- End function
	.set _ZN7rocprim17ROCPRIM_400000_NS6detail17trampoline_kernelINS0_14default_configENS1_27scan_by_key_config_selectorIijEEZZNS1_16scan_by_key_implILNS1_25lookback_scan_determinismE0ELb0ES3_N6thrust23THRUST_200600_302600_NS6detail15normal_iteratorINS9_10device_ptrIiEEEENSB_INSC_IjEEEESG_jNS9_4plusIvEENS9_8equal_toIvEEjEE10hipError_tPvRmT2_T3_T4_T5_mT6_T7_P12ihipStream_tbENKUlT_T0_E_clISt17integral_constantIbLb1EES10_IbLb0EEEEDaSW_SX_EUlSW_E_NS1_11comp_targetILNS1_3genE0ELNS1_11target_archE4294967295ELNS1_3gpuE0ELNS1_3repE0EEENS1_30default_config_static_selectorELNS0_4arch9wavefront6targetE0EEEvT1_.num_vgpr, 0
	.set _ZN7rocprim17ROCPRIM_400000_NS6detail17trampoline_kernelINS0_14default_configENS1_27scan_by_key_config_selectorIijEEZZNS1_16scan_by_key_implILNS1_25lookback_scan_determinismE0ELb0ES3_N6thrust23THRUST_200600_302600_NS6detail15normal_iteratorINS9_10device_ptrIiEEEENSB_INSC_IjEEEESG_jNS9_4plusIvEENS9_8equal_toIvEEjEE10hipError_tPvRmT2_T3_T4_T5_mT6_T7_P12ihipStream_tbENKUlT_T0_E_clISt17integral_constantIbLb1EES10_IbLb0EEEEDaSW_SX_EUlSW_E_NS1_11comp_targetILNS1_3genE0ELNS1_11target_archE4294967295ELNS1_3gpuE0ELNS1_3repE0EEENS1_30default_config_static_selectorELNS0_4arch9wavefront6targetE0EEEvT1_.num_agpr, 0
	.set _ZN7rocprim17ROCPRIM_400000_NS6detail17trampoline_kernelINS0_14default_configENS1_27scan_by_key_config_selectorIijEEZZNS1_16scan_by_key_implILNS1_25lookback_scan_determinismE0ELb0ES3_N6thrust23THRUST_200600_302600_NS6detail15normal_iteratorINS9_10device_ptrIiEEEENSB_INSC_IjEEEESG_jNS9_4plusIvEENS9_8equal_toIvEEjEE10hipError_tPvRmT2_T3_T4_T5_mT6_T7_P12ihipStream_tbENKUlT_T0_E_clISt17integral_constantIbLb1EES10_IbLb0EEEEDaSW_SX_EUlSW_E_NS1_11comp_targetILNS1_3genE0ELNS1_11target_archE4294967295ELNS1_3gpuE0ELNS1_3repE0EEENS1_30default_config_static_selectorELNS0_4arch9wavefront6targetE0EEEvT1_.numbered_sgpr, 0
	.set _ZN7rocprim17ROCPRIM_400000_NS6detail17trampoline_kernelINS0_14default_configENS1_27scan_by_key_config_selectorIijEEZZNS1_16scan_by_key_implILNS1_25lookback_scan_determinismE0ELb0ES3_N6thrust23THRUST_200600_302600_NS6detail15normal_iteratorINS9_10device_ptrIiEEEENSB_INSC_IjEEEESG_jNS9_4plusIvEENS9_8equal_toIvEEjEE10hipError_tPvRmT2_T3_T4_T5_mT6_T7_P12ihipStream_tbENKUlT_T0_E_clISt17integral_constantIbLb1EES10_IbLb0EEEEDaSW_SX_EUlSW_E_NS1_11comp_targetILNS1_3genE0ELNS1_11target_archE4294967295ELNS1_3gpuE0ELNS1_3repE0EEENS1_30default_config_static_selectorELNS0_4arch9wavefront6targetE0EEEvT1_.num_named_barrier, 0
	.set _ZN7rocprim17ROCPRIM_400000_NS6detail17trampoline_kernelINS0_14default_configENS1_27scan_by_key_config_selectorIijEEZZNS1_16scan_by_key_implILNS1_25lookback_scan_determinismE0ELb0ES3_N6thrust23THRUST_200600_302600_NS6detail15normal_iteratorINS9_10device_ptrIiEEEENSB_INSC_IjEEEESG_jNS9_4plusIvEENS9_8equal_toIvEEjEE10hipError_tPvRmT2_T3_T4_T5_mT6_T7_P12ihipStream_tbENKUlT_T0_E_clISt17integral_constantIbLb1EES10_IbLb0EEEEDaSW_SX_EUlSW_E_NS1_11comp_targetILNS1_3genE0ELNS1_11target_archE4294967295ELNS1_3gpuE0ELNS1_3repE0EEENS1_30default_config_static_selectorELNS0_4arch9wavefront6targetE0EEEvT1_.private_seg_size, 0
	.set _ZN7rocprim17ROCPRIM_400000_NS6detail17trampoline_kernelINS0_14default_configENS1_27scan_by_key_config_selectorIijEEZZNS1_16scan_by_key_implILNS1_25lookback_scan_determinismE0ELb0ES3_N6thrust23THRUST_200600_302600_NS6detail15normal_iteratorINS9_10device_ptrIiEEEENSB_INSC_IjEEEESG_jNS9_4plusIvEENS9_8equal_toIvEEjEE10hipError_tPvRmT2_T3_T4_T5_mT6_T7_P12ihipStream_tbENKUlT_T0_E_clISt17integral_constantIbLb1EES10_IbLb0EEEEDaSW_SX_EUlSW_E_NS1_11comp_targetILNS1_3genE0ELNS1_11target_archE4294967295ELNS1_3gpuE0ELNS1_3repE0EEENS1_30default_config_static_selectorELNS0_4arch9wavefront6targetE0EEEvT1_.uses_vcc, 0
	.set _ZN7rocprim17ROCPRIM_400000_NS6detail17trampoline_kernelINS0_14default_configENS1_27scan_by_key_config_selectorIijEEZZNS1_16scan_by_key_implILNS1_25lookback_scan_determinismE0ELb0ES3_N6thrust23THRUST_200600_302600_NS6detail15normal_iteratorINS9_10device_ptrIiEEEENSB_INSC_IjEEEESG_jNS9_4plusIvEENS9_8equal_toIvEEjEE10hipError_tPvRmT2_T3_T4_T5_mT6_T7_P12ihipStream_tbENKUlT_T0_E_clISt17integral_constantIbLb1EES10_IbLb0EEEEDaSW_SX_EUlSW_E_NS1_11comp_targetILNS1_3genE0ELNS1_11target_archE4294967295ELNS1_3gpuE0ELNS1_3repE0EEENS1_30default_config_static_selectorELNS0_4arch9wavefront6targetE0EEEvT1_.uses_flat_scratch, 0
	.set _ZN7rocprim17ROCPRIM_400000_NS6detail17trampoline_kernelINS0_14default_configENS1_27scan_by_key_config_selectorIijEEZZNS1_16scan_by_key_implILNS1_25lookback_scan_determinismE0ELb0ES3_N6thrust23THRUST_200600_302600_NS6detail15normal_iteratorINS9_10device_ptrIiEEEENSB_INSC_IjEEEESG_jNS9_4plusIvEENS9_8equal_toIvEEjEE10hipError_tPvRmT2_T3_T4_T5_mT6_T7_P12ihipStream_tbENKUlT_T0_E_clISt17integral_constantIbLb1EES10_IbLb0EEEEDaSW_SX_EUlSW_E_NS1_11comp_targetILNS1_3genE0ELNS1_11target_archE4294967295ELNS1_3gpuE0ELNS1_3repE0EEENS1_30default_config_static_selectorELNS0_4arch9wavefront6targetE0EEEvT1_.has_dyn_sized_stack, 0
	.set _ZN7rocprim17ROCPRIM_400000_NS6detail17trampoline_kernelINS0_14default_configENS1_27scan_by_key_config_selectorIijEEZZNS1_16scan_by_key_implILNS1_25lookback_scan_determinismE0ELb0ES3_N6thrust23THRUST_200600_302600_NS6detail15normal_iteratorINS9_10device_ptrIiEEEENSB_INSC_IjEEEESG_jNS9_4plusIvEENS9_8equal_toIvEEjEE10hipError_tPvRmT2_T3_T4_T5_mT6_T7_P12ihipStream_tbENKUlT_T0_E_clISt17integral_constantIbLb1EES10_IbLb0EEEEDaSW_SX_EUlSW_E_NS1_11comp_targetILNS1_3genE0ELNS1_11target_archE4294967295ELNS1_3gpuE0ELNS1_3repE0EEENS1_30default_config_static_selectorELNS0_4arch9wavefront6targetE0EEEvT1_.has_recursion, 0
	.set _ZN7rocprim17ROCPRIM_400000_NS6detail17trampoline_kernelINS0_14default_configENS1_27scan_by_key_config_selectorIijEEZZNS1_16scan_by_key_implILNS1_25lookback_scan_determinismE0ELb0ES3_N6thrust23THRUST_200600_302600_NS6detail15normal_iteratorINS9_10device_ptrIiEEEENSB_INSC_IjEEEESG_jNS9_4plusIvEENS9_8equal_toIvEEjEE10hipError_tPvRmT2_T3_T4_T5_mT6_T7_P12ihipStream_tbENKUlT_T0_E_clISt17integral_constantIbLb1EES10_IbLb0EEEEDaSW_SX_EUlSW_E_NS1_11comp_targetILNS1_3genE0ELNS1_11target_archE4294967295ELNS1_3gpuE0ELNS1_3repE0EEENS1_30default_config_static_selectorELNS0_4arch9wavefront6targetE0EEEvT1_.has_indirect_call, 0
	.section	.AMDGPU.csdata,"",@progbits
; Kernel info:
; codeLenInByte = 4
; TotalNumSgprs: 0
; NumVgprs: 0
; ScratchSize: 0
; MemoryBound: 0
; FloatMode: 240
; IeeeMode: 1
; LDSByteSize: 0 bytes/workgroup (compile time only)
; SGPRBlocks: 0
; VGPRBlocks: 0
; NumSGPRsForWavesPerEU: 1
; NumVGPRsForWavesPerEU: 1
; NamedBarCnt: 0
; Occupancy: 16
; WaveLimiterHint : 0
; COMPUTE_PGM_RSRC2:SCRATCH_EN: 0
; COMPUTE_PGM_RSRC2:USER_SGPR: 2
; COMPUTE_PGM_RSRC2:TRAP_HANDLER: 0
; COMPUTE_PGM_RSRC2:TGID_X_EN: 1
; COMPUTE_PGM_RSRC2:TGID_Y_EN: 0
; COMPUTE_PGM_RSRC2:TGID_Z_EN: 0
; COMPUTE_PGM_RSRC2:TIDIG_COMP_CNT: 0
	.section	.text._ZN7rocprim17ROCPRIM_400000_NS6detail17trampoline_kernelINS0_14default_configENS1_27scan_by_key_config_selectorIijEEZZNS1_16scan_by_key_implILNS1_25lookback_scan_determinismE0ELb0ES3_N6thrust23THRUST_200600_302600_NS6detail15normal_iteratorINS9_10device_ptrIiEEEENSB_INSC_IjEEEESG_jNS9_4plusIvEENS9_8equal_toIvEEjEE10hipError_tPvRmT2_T3_T4_T5_mT6_T7_P12ihipStream_tbENKUlT_T0_E_clISt17integral_constantIbLb1EES10_IbLb0EEEEDaSW_SX_EUlSW_E_NS1_11comp_targetILNS1_3genE10ELNS1_11target_archE1201ELNS1_3gpuE5ELNS1_3repE0EEENS1_30default_config_static_selectorELNS0_4arch9wavefront6targetE0EEEvT1_,"axG",@progbits,_ZN7rocprim17ROCPRIM_400000_NS6detail17trampoline_kernelINS0_14default_configENS1_27scan_by_key_config_selectorIijEEZZNS1_16scan_by_key_implILNS1_25lookback_scan_determinismE0ELb0ES3_N6thrust23THRUST_200600_302600_NS6detail15normal_iteratorINS9_10device_ptrIiEEEENSB_INSC_IjEEEESG_jNS9_4plusIvEENS9_8equal_toIvEEjEE10hipError_tPvRmT2_T3_T4_T5_mT6_T7_P12ihipStream_tbENKUlT_T0_E_clISt17integral_constantIbLb1EES10_IbLb0EEEEDaSW_SX_EUlSW_E_NS1_11comp_targetILNS1_3genE10ELNS1_11target_archE1201ELNS1_3gpuE5ELNS1_3repE0EEENS1_30default_config_static_selectorELNS0_4arch9wavefront6targetE0EEEvT1_,comdat
	.protected	_ZN7rocprim17ROCPRIM_400000_NS6detail17trampoline_kernelINS0_14default_configENS1_27scan_by_key_config_selectorIijEEZZNS1_16scan_by_key_implILNS1_25lookback_scan_determinismE0ELb0ES3_N6thrust23THRUST_200600_302600_NS6detail15normal_iteratorINS9_10device_ptrIiEEEENSB_INSC_IjEEEESG_jNS9_4plusIvEENS9_8equal_toIvEEjEE10hipError_tPvRmT2_T3_T4_T5_mT6_T7_P12ihipStream_tbENKUlT_T0_E_clISt17integral_constantIbLb1EES10_IbLb0EEEEDaSW_SX_EUlSW_E_NS1_11comp_targetILNS1_3genE10ELNS1_11target_archE1201ELNS1_3gpuE5ELNS1_3repE0EEENS1_30default_config_static_selectorELNS0_4arch9wavefront6targetE0EEEvT1_ ; -- Begin function _ZN7rocprim17ROCPRIM_400000_NS6detail17trampoline_kernelINS0_14default_configENS1_27scan_by_key_config_selectorIijEEZZNS1_16scan_by_key_implILNS1_25lookback_scan_determinismE0ELb0ES3_N6thrust23THRUST_200600_302600_NS6detail15normal_iteratorINS9_10device_ptrIiEEEENSB_INSC_IjEEEESG_jNS9_4plusIvEENS9_8equal_toIvEEjEE10hipError_tPvRmT2_T3_T4_T5_mT6_T7_P12ihipStream_tbENKUlT_T0_E_clISt17integral_constantIbLb1EES10_IbLb0EEEEDaSW_SX_EUlSW_E_NS1_11comp_targetILNS1_3genE10ELNS1_11target_archE1201ELNS1_3gpuE5ELNS1_3repE0EEENS1_30default_config_static_selectorELNS0_4arch9wavefront6targetE0EEEvT1_
	.globl	_ZN7rocprim17ROCPRIM_400000_NS6detail17trampoline_kernelINS0_14default_configENS1_27scan_by_key_config_selectorIijEEZZNS1_16scan_by_key_implILNS1_25lookback_scan_determinismE0ELb0ES3_N6thrust23THRUST_200600_302600_NS6detail15normal_iteratorINS9_10device_ptrIiEEEENSB_INSC_IjEEEESG_jNS9_4plusIvEENS9_8equal_toIvEEjEE10hipError_tPvRmT2_T3_T4_T5_mT6_T7_P12ihipStream_tbENKUlT_T0_E_clISt17integral_constantIbLb1EES10_IbLb0EEEEDaSW_SX_EUlSW_E_NS1_11comp_targetILNS1_3genE10ELNS1_11target_archE1201ELNS1_3gpuE5ELNS1_3repE0EEENS1_30default_config_static_selectorELNS0_4arch9wavefront6targetE0EEEvT1_
	.p2align	8
	.type	_ZN7rocprim17ROCPRIM_400000_NS6detail17trampoline_kernelINS0_14default_configENS1_27scan_by_key_config_selectorIijEEZZNS1_16scan_by_key_implILNS1_25lookback_scan_determinismE0ELb0ES3_N6thrust23THRUST_200600_302600_NS6detail15normal_iteratorINS9_10device_ptrIiEEEENSB_INSC_IjEEEESG_jNS9_4plusIvEENS9_8equal_toIvEEjEE10hipError_tPvRmT2_T3_T4_T5_mT6_T7_P12ihipStream_tbENKUlT_T0_E_clISt17integral_constantIbLb1EES10_IbLb0EEEEDaSW_SX_EUlSW_E_NS1_11comp_targetILNS1_3genE10ELNS1_11target_archE1201ELNS1_3gpuE5ELNS1_3repE0EEENS1_30default_config_static_selectorELNS0_4arch9wavefront6targetE0EEEvT1_,@function
_ZN7rocprim17ROCPRIM_400000_NS6detail17trampoline_kernelINS0_14default_configENS1_27scan_by_key_config_selectorIijEEZZNS1_16scan_by_key_implILNS1_25lookback_scan_determinismE0ELb0ES3_N6thrust23THRUST_200600_302600_NS6detail15normal_iteratorINS9_10device_ptrIiEEEENSB_INSC_IjEEEESG_jNS9_4plusIvEENS9_8equal_toIvEEjEE10hipError_tPvRmT2_T3_T4_T5_mT6_T7_P12ihipStream_tbENKUlT_T0_E_clISt17integral_constantIbLb1EES10_IbLb0EEEEDaSW_SX_EUlSW_E_NS1_11comp_targetILNS1_3genE10ELNS1_11target_archE1201ELNS1_3gpuE5ELNS1_3repE0EEENS1_30default_config_static_selectorELNS0_4arch9wavefront6targetE0EEEvT1_: ; @_ZN7rocprim17ROCPRIM_400000_NS6detail17trampoline_kernelINS0_14default_configENS1_27scan_by_key_config_selectorIijEEZZNS1_16scan_by_key_implILNS1_25lookback_scan_determinismE0ELb0ES3_N6thrust23THRUST_200600_302600_NS6detail15normal_iteratorINS9_10device_ptrIiEEEENSB_INSC_IjEEEESG_jNS9_4plusIvEENS9_8equal_toIvEEjEE10hipError_tPvRmT2_T3_T4_T5_mT6_T7_P12ihipStream_tbENKUlT_T0_E_clISt17integral_constantIbLb1EES10_IbLb0EEEEDaSW_SX_EUlSW_E_NS1_11comp_targetILNS1_3genE10ELNS1_11target_archE1201ELNS1_3gpuE5ELNS1_3repE0EEENS1_30default_config_static_selectorELNS0_4arch9wavefront6targetE0EEEvT1_
; %bb.0:
	.section	.rodata,"a",@progbits
	.p2align	6, 0x0
	.amdhsa_kernel _ZN7rocprim17ROCPRIM_400000_NS6detail17trampoline_kernelINS0_14default_configENS1_27scan_by_key_config_selectorIijEEZZNS1_16scan_by_key_implILNS1_25lookback_scan_determinismE0ELb0ES3_N6thrust23THRUST_200600_302600_NS6detail15normal_iteratorINS9_10device_ptrIiEEEENSB_INSC_IjEEEESG_jNS9_4plusIvEENS9_8equal_toIvEEjEE10hipError_tPvRmT2_T3_T4_T5_mT6_T7_P12ihipStream_tbENKUlT_T0_E_clISt17integral_constantIbLb1EES10_IbLb0EEEEDaSW_SX_EUlSW_E_NS1_11comp_targetILNS1_3genE10ELNS1_11target_archE1201ELNS1_3gpuE5ELNS1_3repE0EEENS1_30default_config_static_selectorELNS0_4arch9wavefront6targetE0EEEvT1_
		.amdhsa_group_segment_fixed_size 0
		.amdhsa_private_segment_fixed_size 0
		.amdhsa_kernarg_size 112
		.amdhsa_user_sgpr_count 2
		.amdhsa_user_sgpr_dispatch_ptr 0
		.amdhsa_user_sgpr_queue_ptr 0
		.amdhsa_user_sgpr_kernarg_segment_ptr 1
		.amdhsa_user_sgpr_dispatch_id 0
		.amdhsa_user_sgpr_kernarg_preload_length 0
		.amdhsa_user_sgpr_kernarg_preload_offset 0
		.amdhsa_user_sgpr_private_segment_size 0
		.amdhsa_wavefront_size32 1
		.amdhsa_uses_dynamic_stack 0
		.amdhsa_enable_private_segment 0
		.amdhsa_system_sgpr_workgroup_id_x 1
		.amdhsa_system_sgpr_workgroup_id_y 0
		.amdhsa_system_sgpr_workgroup_id_z 0
		.amdhsa_system_sgpr_workgroup_info 0
		.amdhsa_system_vgpr_workitem_id 0
		.amdhsa_next_free_vgpr 1
		.amdhsa_next_free_sgpr 1
		.amdhsa_named_barrier_count 0
		.amdhsa_reserve_vcc 0
		.amdhsa_float_round_mode_32 0
		.amdhsa_float_round_mode_16_64 0
		.amdhsa_float_denorm_mode_32 3
		.amdhsa_float_denorm_mode_16_64 3
		.amdhsa_fp16_overflow 0
		.amdhsa_memory_ordered 1
		.amdhsa_forward_progress 1
		.amdhsa_inst_pref_size 0
		.amdhsa_round_robin_scheduling 0
		.amdhsa_exception_fp_ieee_invalid_op 0
		.amdhsa_exception_fp_denorm_src 0
		.amdhsa_exception_fp_ieee_div_zero 0
		.amdhsa_exception_fp_ieee_overflow 0
		.amdhsa_exception_fp_ieee_underflow 0
		.amdhsa_exception_fp_ieee_inexact 0
		.amdhsa_exception_int_div_zero 0
	.end_amdhsa_kernel
	.section	.text._ZN7rocprim17ROCPRIM_400000_NS6detail17trampoline_kernelINS0_14default_configENS1_27scan_by_key_config_selectorIijEEZZNS1_16scan_by_key_implILNS1_25lookback_scan_determinismE0ELb0ES3_N6thrust23THRUST_200600_302600_NS6detail15normal_iteratorINS9_10device_ptrIiEEEENSB_INSC_IjEEEESG_jNS9_4plusIvEENS9_8equal_toIvEEjEE10hipError_tPvRmT2_T3_T4_T5_mT6_T7_P12ihipStream_tbENKUlT_T0_E_clISt17integral_constantIbLb1EES10_IbLb0EEEEDaSW_SX_EUlSW_E_NS1_11comp_targetILNS1_3genE10ELNS1_11target_archE1201ELNS1_3gpuE5ELNS1_3repE0EEENS1_30default_config_static_selectorELNS0_4arch9wavefront6targetE0EEEvT1_,"axG",@progbits,_ZN7rocprim17ROCPRIM_400000_NS6detail17trampoline_kernelINS0_14default_configENS1_27scan_by_key_config_selectorIijEEZZNS1_16scan_by_key_implILNS1_25lookback_scan_determinismE0ELb0ES3_N6thrust23THRUST_200600_302600_NS6detail15normal_iteratorINS9_10device_ptrIiEEEENSB_INSC_IjEEEESG_jNS9_4plusIvEENS9_8equal_toIvEEjEE10hipError_tPvRmT2_T3_T4_T5_mT6_T7_P12ihipStream_tbENKUlT_T0_E_clISt17integral_constantIbLb1EES10_IbLb0EEEEDaSW_SX_EUlSW_E_NS1_11comp_targetILNS1_3genE10ELNS1_11target_archE1201ELNS1_3gpuE5ELNS1_3repE0EEENS1_30default_config_static_selectorELNS0_4arch9wavefront6targetE0EEEvT1_,comdat
.Lfunc_end1244:
	.size	_ZN7rocprim17ROCPRIM_400000_NS6detail17trampoline_kernelINS0_14default_configENS1_27scan_by_key_config_selectorIijEEZZNS1_16scan_by_key_implILNS1_25lookback_scan_determinismE0ELb0ES3_N6thrust23THRUST_200600_302600_NS6detail15normal_iteratorINS9_10device_ptrIiEEEENSB_INSC_IjEEEESG_jNS9_4plusIvEENS9_8equal_toIvEEjEE10hipError_tPvRmT2_T3_T4_T5_mT6_T7_P12ihipStream_tbENKUlT_T0_E_clISt17integral_constantIbLb1EES10_IbLb0EEEEDaSW_SX_EUlSW_E_NS1_11comp_targetILNS1_3genE10ELNS1_11target_archE1201ELNS1_3gpuE5ELNS1_3repE0EEENS1_30default_config_static_selectorELNS0_4arch9wavefront6targetE0EEEvT1_, .Lfunc_end1244-_ZN7rocprim17ROCPRIM_400000_NS6detail17trampoline_kernelINS0_14default_configENS1_27scan_by_key_config_selectorIijEEZZNS1_16scan_by_key_implILNS1_25lookback_scan_determinismE0ELb0ES3_N6thrust23THRUST_200600_302600_NS6detail15normal_iteratorINS9_10device_ptrIiEEEENSB_INSC_IjEEEESG_jNS9_4plusIvEENS9_8equal_toIvEEjEE10hipError_tPvRmT2_T3_T4_T5_mT6_T7_P12ihipStream_tbENKUlT_T0_E_clISt17integral_constantIbLb1EES10_IbLb0EEEEDaSW_SX_EUlSW_E_NS1_11comp_targetILNS1_3genE10ELNS1_11target_archE1201ELNS1_3gpuE5ELNS1_3repE0EEENS1_30default_config_static_selectorELNS0_4arch9wavefront6targetE0EEEvT1_
                                        ; -- End function
	.set _ZN7rocprim17ROCPRIM_400000_NS6detail17trampoline_kernelINS0_14default_configENS1_27scan_by_key_config_selectorIijEEZZNS1_16scan_by_key_implILNS1_25lookback_scan_determinismE0ELb0ES3_N6thrust23THRUST_200600_302600_NS6detail15normal_iteratorINS9_10device_ptrIiEEEENSB_INSC_IjEEEESG_jNS9_4plusIvEENS9_8equal_toIvEEjEE10hipError_tPvRmT2_T3_T4_T5_mT6_T7_P12ihipStream_tbENKUlT_T0_E_clISt17integral_constantIbLb1EES10_IbLb0EEEEDaSW_SX_EUlSW_E_NS1_11comp_targetILNS1_3genE10ELNS1_11target_archE1201ELNS1_3gpuE5ELNS1_3repE0EEENS1_30default_config_static_selectorELNS0_4arch9wavefront6targetE0EEEvT1_.num_vgpr, 0
	.set _ZN7rocprim17ROCPRIM_400000_NS6detail17trampoline_kernelINS0_14default_configENS1_27scan_by_key_config_selectorIijEEZZNS1_16scan_by_key_implILNS1_25lookback_scan_determinismE0ELb0ES3_N6thrust23THRUST_200600_302600_NS6detail15normal_iteratorINS9_10device_ptrIiEEEENSB_INSC_IjEEEESG_jNS9_4plusIvEENS9_8equal_toIvEEjEE10hipError_tPvRmT2_T3_T4_T5_mT6_T7_P12ihipStream_tbENKUlT_T0_E_clISt17integral_constantIbLb1EES10_IbLb0EEEEDaSW_SX_EUlSW_E_NS1_11comp_targetILNS1_3genE10ELNS1_11target_archE1201ELNS1_3gpuE5ELNS1_3repE0EEENS1_30default_config_static_selectorELNS0_4arch9wavefront6targetE0EEEvT1_.num_agpr, 0
	.set _ZN7rocprim17ROCPRIM_400000_NS6detail17trampoline_kernelINS0_14default_configENS1_27scan_by_key_config_selectorIijEEZZNS1_16scan_by_key_implILNS1_25lookback_scan_determinismE0ELb0ES3_N6thrust23THRUST_200600_302600_NS6detail15normal_iteratorINS9_10device_ptrIiEEEENSB_INSC_IjEEEESG_jNS9_4plusIvEENS9_8equal_toIvEEjEE10hipError_tPvRmT2_T3_T4_T5_mT6_T7_P12ihipStream_tbENKUlT_T0_E_clISt17integral_constantIbLb1EES10_IbLb0EEEEDaSW_SX_EUlSW_E_NS1_11comp_targetILNS1_3genE10ELNS1_11target_archE1201ELNS1_3gpuE5ELNS1_3repE0EEENS1_30default_config_static_selectorELNS0_4arch9wavefront6targetE0EEEvT1_.numbered_sgpr, 0
	.set _ZN7rocprim17ROCPRIM_400000_NS6detail17trampoline_kernelINS0_14default_configENS1_27scan_by_key_config_selectorIijEEZZNS1_16scan_by_key_implILNS1_25lookback_scan_determinismE0ELb0ES3_N6thrust23THRUST_200600_302600_NS6detail15normal_iteratorINS9_10device_ptrIiEEEENSB_INSC_IjEEEESG_jNS9_4plusIvEENS9_8equal_toIvEEjEE10hipError_tPvRmT2_T3_T4_T5_mT6_T7_P12ihipStream_tbENKUlT_T0_E_clISt17integral_constantIbLb1EES10_IbLb0EEEEDaSW_SX_EUlSW_E_NS1_11comp_targetILNS1_3genE10ELNS1_11target_archE1201ELNS1_3gpuE5ELNS1_3repE0EEENS1_30default_config_static_selectorELNS0_4arch9wavefront6targetE0EEEvT1_.num_named_barrier, 0
	.set _ZN7rocprim17ROCPRIM_400000_NS6detail17trampoline_kernelINS0_14default_configENS1_27scan_by_key_config_selectorIijEEZZNS1_16scan_by_key_implILNS1_25lookback_scan_determinismE0ELb0ES3_N6thrust23THRUST_200600_302600_NS6detail15normal_iteratorINS9_10device_ptrIiEEEENSB_INSC_IjEEEESG_jNS9_4plusIvEENS9_8equal_toIvEEjEE10hipError_tPvRmT2_T3_T4_T5_mT6_T7_P12ihipStream_tbENKUlT_T0_E_clISt17integral_constantIbLb1EES10_IbLb0EEEEDaSW_SX_EUlSW_E_NS1_11comp_targetILNS1_3genE10ELNS1_11target_archE1201ELNS1_3gpuE5ELNS1_3repE0EEENS1_30default_config_static_selectorELNS0_4arch9wavefront6targetE0EEEvT1_.private_seg_size, 0
	.set _ZN7rocprim17ROCPRIM_400000_NS6detail17trampoline_kernelINS0_14default_configENS1_27scan_by_key_config_selectorIijEEZZNS1_16scan_by_key_implILNS1_25lookback_scan_determinismE0ELb0ES3_N6thrust23THRUST_200600_302600_NS6detail15normal_iteratorINS9_10device_ptrIiEEEENSB_INSC_IjEEEESG_jNS9_4plusIvEENS9_8equal_toIvEEjEE10hipError_tPvRmT2_T3_T4_T5_mT6_T7_P12ihipStream_tbENKUlT_T0_E_clISt17integral_constantIbLb1EES10_IbLb0EEEEDaSW_SX_EUlSW_E_NS1_11comp_targetILNS1_3genE10ELNS1_11target_archE1201ELNS1_3gpuE5ELNS1_3repE0EEENS1_30default_config_static_selectorELNS0_4arch9wavefront6targetE0EEEvT1_.uses_vcc, 0
	.set _ZN7rocprim17ROCPRIM_400000_NS6detail17trampoline_kernelINS0_14default_configENS1_27scan_by_key_config_selectorIijEEZZNS1_16scan_by_key_implILNS1_25lookback_scan_determinismE0ELb0ES3_N6thrust23THRUST_200600_302600_NS6detail15normal_iteratorINS9_10device_ptrIiEEEENSB_INSC_IjEEEESG_jNS9_4plusIvEENS9_8equal_toIvEEjEE10hipError_tPvRmT2_T3_T4_T5_mT6_T7_P12ihipStream_tbENKUlT_T0_E_clISt17integral_constantIbLb1EES10_IbLb0EEEEDaSW_SX_EUlSW_E_NS1_11comp_targetILNS1_3genE10ELNS1_11target_archE1201ELNS1_3gpuE5ELNS1_3repE0EEENS1_30default_config_static_selectorELNS0_4arch9wavefront6targetE0EEEvT1_.uses_flat_scratch, 0
	.set _ZN7rocprim17ROCPRIM_400000_NS6detail17trampoline_kernelINS0_14default_configENS1_27scan_by_key_config_selectorIijEEZZNS1_16scan_by_key_implILNS1_25lookback_scan_determinismE0ELb0ES3_N6thrust23THRUST_200600_302600_NS6detail15normal_iteratorINS9_10device_ptrIiEEEENSB_INSC_IjEEEESG_jNS9_4plusIvEENS9_8equal_toIvEEjEE10hipError_tPvRmT2_T3_T4_T5_mT6_T7_P12ihipStream_tbENKUlT_T0_E_clISt17integral_constantIbLb1EES10_IbLb0EEEEDaSW_SX_EUlSW_E_NS1_11comp_targetILNS1_3genE10ELNS1_11target_archE1201ELNS1_3gpuE5ELNS1_3repE0EEENS1_30default_config_static_selectorELNS0_4arch9wavefront6targetE0EEEvT1_.has_dyn_sized_stack, 0
	.set _ZN7rocprim17ROCPRIM_400000_NS6detail17trampoline_kernelINS0_14default_configENS1_27scan_by_key_config_selectorIijEEZZNS1_16scan_by_key_implILNS1_25lookback_scan_determinismE0ELb0ES3_N6thrust23THRUST_200600_302600_NS6detail15normal_iteratorINS9_10device_ptrIiEEEENSB_INSC_IjEEEESG_jNS9_4plusIvEENS9_8equal_toIvEEjEE10hipError_tPvRmT2_T3_T4_T5_mT6_T7_P12ihipStream_tbENKUlT_T0_E_clISt17integral_constantIbLb1EES10_IbLb0EEEEDaSW_SX_EUlSW_E_NS1_11comp_targetILNS1_3genE10ELNS1_11target_archE1201ELNS1_3gpuE5ELNS1_3repE0EEENS1_30default_config_static_selectorELNS0_4arch9wavefront6targetE0EEEvT1_.has_recursion, 0
	.set _ZN7rocprim17ROCPRIM_400000_NS6detail17trampoline_kernelINS0_14default_configENS1_27scan_by_key_config_selectorIijEEZZNS1_16scan_by_key_implILNS1_25lookback_scan_determinismE0ELb0ES3_N6thrust23THRUST_200600_302600_NS6detail15normal_iteratorINS9_10device_ptrIiEEEENSB_INSC_IjEEEESG_jNS9_4plusIvEENS9_8equal_toIvEEjEE10hipError_tPvRmT2_T3_T4_T5_mT6_T7_P12ihipStream_tbENKUlT_T0_E_clISt17integral_constantIbLb1EES10_IbLb0EEEEDaSW_SX_EUlSW_E_NS1_11comp_targetILNS1_3genE10ELNS1_11target_archE1201ELNS1_3gpuE5ELNS1_3repE0EEENS1_30default_config_static_selectorELNS0_4arch9wavefront6targetE0EEEvT1_.has_indirect_call, 0
	.section	.AMDGPU.csdata,"",@progbits
; Kernel info:
; codeLenInByte = 0
; TotalNumSgprs: 0
; NumVgprs: 0
; ScratchSize: 0
; MemoryBound: 0
; FloatMode: 240
; IeeeMode: 1
; LDSByteSize: 0 bytes/workgroup (compile time only)
; SGPRBlocks: 0
; VGPRBlocks: 0
; NumSGPRsForWavesPerEU: 1
; NumVGPRsForWavesPerEU: 1
; NamedBarCnt: 0
; Occupancy: 16
; WaveLimiterHint : 0
; COMPUTE_PGM_RSRC2:SCRATCH_EN: 0
; COMPUTE_PGM_RSRC2:USER_SGPR: 2
; COMPUTE_PGM_RSRC2:TRAP_HANDLER: 0
; COMPUTE_PGM_RSRC2:TGID_X_EN: 1
; COMPUTE_PGM_RSRC2:TGID_Y_EN: 0
; COMPUTE_PGM_RSRC2:TGID_Z_EN: 0
; COMPUTE_PGM_RSRC2:TIDIG_COMP_CNT: 0
	.section	.text._ZN7rocprim17ROCPRIM_400000_NS6detail17trampoline_kernelINS0_14default_configENS1_27scan_by_key_config_selectorIijEEZZNS1_16scan_by_key_implILNS1_25lookback_scan_determinismE0ELb0ES3_N6thrust23THRUST_200600_302600_NS6detail15normal_iteratorINS9_10device_ptrIiEEEENSB_INSC_IjEEEESG_jNS9_4plusIvEENS9_8equal_toIvEEjEE10hipError_tPvRmT2_T3_T4_T5_mT6_T7_P12ihipStream_tbENKUlT_T0_E_clISt17integral_constantIbLb1EES10_IbLb0EEEEDaSW_SX_EUlSW_E_NS1_11comp_targetILNS1_3genE5ELNS1_11target_archE942ELNS1_3gpuE9ELNS1_3repE0EEENS1_30default_config_static_selectorELNS0_4arch9wavefront6targetE0EEEvT1_,"axG",@progbits,_ZN7rocprim17ROCPRIM_400000_NS6detail17trampoline_kernelINS0_14default_configENS1_27scan_by_key_config_selectorIijEEZZNS1_16scan_by_key_implILNS1_25lookback_scan_determinismE0ELb0ES3_N6thrust23THRUST_200600_302600_NS6detail15normal_iteratorINS9_10device_ptrIiEEEENSB_INSC_IjEEEESG_jNS9_4plusIvEENS9_8equal_toIvEEjEE10hipError_tPvRmT2_T3_T4_T5_mT6_T7_P12ihipStream_tbENKUlT_T0_E_clISt17integral_constantIbLb1EES10_IbLb0EEEEDaSW_SX_EUlSW_E_NS1_11comp_targetILNS1_3genE5ELNS1_11target_archE942ELNS1_3gpuE9ELNS1_3repE0EEENS1_30default_config_static_selectorELNS0_4arch9wavefront6targetE0EEEvT1_,comdat
	.protected	_ZN7rocprim17ROCPRIM_400000_NS6detail17trampoline_kernelINS0_14default_configENS1_27scan_by_key_config_selectorIijEEZZNS1_16scan_by_key_implILNS1_25lookback_scan_determinismE0ELb0ES3_N6thrust23THRUST_200600_302600_NS6detail15normal_iteratorINS9_10device_ptrIiEEEENSB_INSC_IjEEEESG_jNS9_4plusIvEENS9_8equal_toIvEEjEE10hipError_tPvRmT2_T3_T4_T5_mT6_T7_P12ihipStream_tbENKUlT_T0_E_clISt17integral_constantIbLb1EES10_IbLb0EEEEDaSW_SX_EUlSW_E_NS1_11comp_targetILNS1_3genE5ELNS1_11target_archE942ELNS1_3gpuE9ELNS1_3repE0EEENS1_30default_config_static_selectorELNS0_4arch9wavefront6targetE0EEEvT1_ ; -- Begin function _ZN7rocprim17ROCPRIM_400000_NS6detail17trampoline_kernelINS0_14default_configENS1_27scan_by_key_config_selectorIijEEZZNS1_16scan_by_key_implILNS1_25lookback_scan_determinismE0ELb0ES3_N6thrust23THRUST_200600_302600_NS6detail15normal_iteratorINS9_10device_ptrIiEEEENSB_INSC_IjEEEESG_jNS9_4plusIvEENS9_8equal_toIvEEjEE10hipError_tPvRmT2_T3_T4_T5_mT6_T7_P12ihipStream_tbENKUlT_T0_E_clISt17integral_constantIbLb1EES10_IbLb0EEEEDaSW_SX_EUlSW_E_NS1_11comp_targetILNS1_3genE5ELNS1_11target_archE942ELNS1_3gpuE9ELNS1_3repE0EEENS1_30default_config_static_selectorELNS0_4arch9wavefront6targetE0EEEvT1_
	.globl	_ZN7rocprim17ROCPRIM_400000_NS6detail17trampoline_kernelINS0_14default_configENS1_27scan_by_key_config_selectorIijEEZZNS1_16scan_by_key_implILNS1_25lookback_scan_determinismE0ELb0ES3_N6thrust23THRUST_200600_302600_NS6detail15normal_iteratorINS9_10device_ptrIiEEEENSB_INSC_IjEEEESG_jNS9_4plusIvEENS9_8equal_toIvEEjEE10hipError_tPvRmT2_T3_T4_T5_mT6_T7_P12ihipStream_tbENKUlT_T0_E_clISt17integral_constantIbLb1EES10_IbLb0EEEEDaSW_SX_EUlSW_E_NS1_11comp_targetILNS1_3genE5ELNS1_11target_archE942ELNS1_3gpuE9ELNS1_3repE0EEENS1_30default_config_static_selectorELNS0_4arch9wavefront6targetE0EEEvT1_
	.p2align	8
	.type	_ZN7rocprim17ROCPRIM_400000_NS6detail17trampoline_kernelINS0_14default_configENS1_27scan_by_key_config_selectorIijEEZZNS1_16scan_by_key_implILNS1_25lookback_scan_determinismE0ELb0ES3_N6thrust23THRUST_200600_302600_NS6detail15normal_iteratorINS9_10device_ptrIiEEEENSB_INSC_IjEEEESG_jNS9_4plusIvEENS9_8equal_toIvEEjEE10hipError_tPvRmT2_T3_T4_T5_mT6_T7_P12ihipStream_tbENKUlT_T0_E_clISt17integral_constantIbLb1EES10_IbLb0EEEEDaSW_SX_EUlSW_E_NS1_11comp_targetILNS1_3genE5ELNS1_11target_archE942ELNS1_3gpuE9ELNS1_3repE0EEENS1_30default_config_static_selectorELNS0_4arch9wavefront6targetE0EEEvT1_,@function
_ZN7rocprim17ROCPRIM_400000_NS6detail17trampoline_kernelINS0_14default_configENS1_27scan_by_key_config_selectorIijEEZZNS1_16scan_by_key_implILNS1_25lookback_scan_determinismE0ELb0ES3_N6thrust23THRUST_200600_302600_NS6detail15normal_iteratorINS9_10device_ptrIiEEEENSB_INSC_IjEEEESG_jNS9_4plusIvEENS9_8equal_toIvEEjEE10hipError_tPvRmT2_T3_T4_T5_mT6_T7_P12ihipStream_tbENKUlT_T0_E_clISt17integral_constantIbLb1EES10_IbLb0EEEEDaSW_SX_EUlSW_E_NS1_11comp_targetILNS1_3genE5ELNS1_11target_archE942ELNS1_3gpuE9ELNS1_3repE0EEENS1_30default_config_static_selectorELNS0_4arch9wavefront6targetE0EEEvT1_: ; @_ZN7rocprim17ROCPRIM_400000_NS6detail17trampoline_kernelINS0_14default_configENS1_27scan_by_key_config_selectorIijEEZZNS1_16scan_by_key_implILNS1_25lookback_scan_determinismE0ELb0ES3_N6thrust23THRUST_200600_302600_NS6detail15normal_iteratorINS9_10device_ptrIiEEEENSB_INSC_IjEEEESG_jNS9_4plusIvEENS9_8equal_toIvEEjEE10hipError_tPvRmT2_T3_T4_T5_mT6_T7_P12ihipStream_tbENKUlT_T0_E_clISt17integral_constantIbLb1EES10_IbLb0EEEEDaSW_SX_EUlSW_E_NS1_11comp_targetILNS1_3genE5ELNS1_11target_archE942ELNS1_3gpuE9ELNS1_3repE0EEENS1_30default_config_static_selectorELNS0_4arch9wavefront6targetE0EEEvT1_
; %bb.0:
	.section	.rodata,"a",@progbits
	.p2align	6, 0x0
	.amdhsa_kernel _ZN7rocprim17ROCPRIM_400000_NS6detail17trampoline_kernelINS0_14default_configENS1_27scan_by_key_config_selectorIijEEZZNS1_16scan_by_key_implILNS1_25lookback_scan_determinismE0ELb0ES3_N6thrust23THRUST_200600_302600_NS6detail15normal_iteratorINS9_10device_ptrIiEEEENSB_INSC_IjEEEESG_jNS9_4plusIvEENS9_8equal_toIvEEjEE10hipError_tPvRmT2_T3_T4_T5_mT6_T7_P12ihipStream_tbENKUlT_T0_E_clISt17integral_constantIbLb1EES10_IbLb0EEEEDaSW_SX_EUlSW_E_NS1_11comp_targetILNS1_3genE5ELNS1_11target_archE942ELNS1_3gpuE9ELNS1_3repE0EEENS1_30default_config_static_selectorELNS0_4arch9wavefront6targetE0EEEvT1_
		.amdhsa_group_segment_fixed_size 0
		.amdhsa_private_segment_fixed_size 0
		.amdhsa_kernarg_size 112
		.amdhsa_user_sgpr_count 2
		.amdhsa_user_sgpr_dispatch_ptr 0
		.amdhsa_user_sgpr_queue_ptr 0
		.amdhsa_user_sgpr_kernarg_segment_ptr 1
		.amdhsa_user_sgpr_dispatch_id 0
		.amdhsa_user_sgpr_kernarg_preload_length 0
		.amdhsa_user_sgpr_kernarg_preload_offset 0
		.amdhsa_user_sgpr_private_segment_size 0
		.amdhsa_wavefront_size32 1
		.amdhsa_uses_dynamic_stack 0
		.amdhsa_enable_private_segment 0
		.amdhsa_system_sgpr_workgroup_id_x 1
		.amdhsa_system_sgpr_workgroup_id_y 0
		.amdhsa_system_sgpr_workgroup_id_z 0
		.amdhsa_system_sgpr_workgroup_info 0
		.amdhsa_system_vgpr_workitem_id 0
		.amdhsa_next_free_vgpr 1
		.amdhsa_next_free_sgpr 1
		.amdhsa_named_barrier_count 0
		.amdhsa_reserve_vcc 0
		.amdhsa_float_round_mode_32 0
		.amdhsa_float_round_mode_16_64 0
		.amdhsa_float_denorm_mode_32 3
		.amdhsa_float_denorm_mode_16_64 3
		.amdhsa_fp16_overflow 0
		.amdhsa_memory_ordered 1
		.amdhsa_forward_progress 1
		.amdhsa_inst_pref_size 0
		.amdhsa_round_robin_scheduling 0
		.amdhsa_exception_fp_ieee_invalid_op 0
		.amdhsa_exception_fp_denorm_src 0
		.amdhsa_exception_fp_ieee_div_zero 0
		.amdhsa_exception_fp_ieee_overflow 0
		.amdhsa_exception_fp_ieee_underflow 0
		.amdhsa_exception_fp_ieee_inexact 0
		.amdhsa_exception_int_div_zero 0
	.end_amdhsa_kernel
	.section	.text._ZN7rocprim17ROCPRIM_400000_NS6detail17trampoline_kernelINS0_14default_configENS1_27scan_by_key_config_selectorIijEEZZNS1_16scan_by_key_implILNS1_25lookback_scan_determinismE0ELb0ES3_N6thrust23THRUST_200600_302600_NS6detail15normal_iteratorINS9_10device_ptrIiEEEENSB_INSC_IjEEEESG_jNS9_4plusIvEENS9_8equal_toIvEEjEE10hipError_tPvRmT2_T3_T4_T5_mT6_T7_P12ihipStream_tbENKUlT_T0_E_clISt17integral_constantIbLb1EES10_IbLb0EEEEDaSW_SX_EUlSW_E_NS1_11comp_targetILNS1_3genE5ELNS1_11target_archE942ELNS1_3gpuE9ELNS1_3repE0EEENS1_30default_config_static_selectorELNS0_4arch9wavefront6targetE0EEEvT1_,"axG",@progbits,_ZN7rocprim17ROCPRIM_400000_NS6detail17trampoline_kernelINS0_14default_configENS1_27scan_by_key_config_selectorIijEEZZNS1_16scan_by_key_implILNS1_25lookback_scan_determinismE0ELb0ES3_N6thrust23THRUST_200600_302600_NS6detail15normal_iteratorINS9_10device_ptrIiEEEENSB_INSC_IjEEEESG_jNS9_4plusIvEENS9_8equal_toIvEEjEE10hipError_tPvRmT2_T3_T4_T5_mT6_T7_P12ihipStream_tbENKUlT_T0_E_clISt17integral_constantIbLb1EES10_IbLb0EEEEDaSW_SX_EUlSW_E_NS1_11comp_targetILNS1_3genE5ELNS1_11target_archE942ELNS1_3gpuE9ELNS1_3repE0EEENS1_30default_config_static_selectorELNS0_4arch9wavefront6targetE0EEEvT1_,comdat
.Lfunc_end1245:
	.size	_ZN7rocprim17ROCPRIM_400000_NS6detail17trampoline_kernelINS0_14default_configENS1_27scan_by_key_config_selectorIijEEZZNS1_16scan_by_key_implILNS1_25lookback_scan_determinismE0ELb0ES3_N6thrust23THRUST_200600_302600_NS6detail15normal_iteratorINS9_10device_ptrIiEEEENSB_INSC_IjEEEESG_jNS9_4plusIvEENS9_8equal_toIvEEjEE10hipError_tPvRmT2_T3_T4_T5_mT6_T7_P12ihipStream_tbENKUlT_T0_E_clISt17integral_constantIbLb1EES10_IbLb0EEEEDaSW_SX_EUlSW_E_NS1_11comp_targetILNS1_3genE5ELNS1_11target_archE942ELNS1_3gpuE9ELNS1_3repE0EEENS1_30default_config_static_selectorELNS0_4arch9wavefront6targetE0EEEvT1_, .Lfunc_end1245-_ZN7rocprim17ROCPRIM_400000_NS6detail17trampoline_kernelINS0_14default_configENS1_27scan_by_key_config_selectorIijEEZZNS1_16scan_by_key_implILNS1_25lookback_scan_determinismE0ELb0ES3_N6thrust23THRUST_200600_302600_NS6detail15normal_iteratorINS9_10device_ptrIiEEEENSB_INSC_IjEEEESG_jNS9_4plusIvEENS9_8equal_toIvEEjEE10hipError_tPvRmT2_T3_T4_T5_mT6_T7_P12ihipStream_tbENKUlT_T0_E_clISt17integral_constantIbLb1EES10_IbLb0EEEEDaSW_SX_EUlSW_E_NS1_11comp_targetILNS1_3genE5ELNS1_11target_archE942ELNS1_3gpuE9ELNS1_3repE0EEENS1_30default_config_static_selectorELNS0_4arch9wavefront6targetE0EEEvT1_
                                        ; -- End function
	.set _ZN7rocprim17ROCPRIM_400000_NS6detail17trampoline_kernelINS0_14default_configENS1_27scan_by_key_config_selectorIijEEZZNS1_16scan_by_key_implILNS1_25lookback_scan_determinismE0ELb0ES3_N6thrust23THRUST_200600_302600_NS6detail15normal_iteratorINS9_10device_ptrIiEEEENSB_INSC_IjEEEESG_jNS9_4plusIvEENS9_8equal_toIvEEjEE10hipError_tPvRmT2_T3_T4_T5_mT6_T7_P12ihipStream_tbENKUlT_T0_E_clISt17integral_constantIbLb1EES10_IbLb0EEEEDaSW_SX_EUlSW_E_NS1_11comp_targetILNS1_3genE5ELNS1_11target_archE942ELNS1_3gpuE9ELNS1_3repE0EEENS1_30default_config_static_selectorELNS0_4arch9wavefront6targetE0EEEvT1_.num_vgpr, 0
	.set _ZN7rocprim17ROCPRIM_400000_NS6detail17trampoline_kernelINS0_14default_configENS1_27scan_by_key_config_selectorIijEEZZNS1_16scan_by_key_implILNS1_25lookback_scan_determinismE0ELb0ES3_N6thrust23THRUST_200600_302600_NS6detail15normal_iteratorINS9_10device_ptrIiEEEENSB_INSC_IjEEEESG_jNS9_4plusIvEENS9_8equal_toIvEEjEE10hipError_tPvRmT2_T3_T4_T5_mT6_T7_P12ihipStream_tbENKUlT_T0_E_clISt17integral_constantIbLb1EES10_IbLb0EEEEDaSW_SX_EUlSW_E_NS1_11comp_targetILNS1_3genE5ELNS1_11target_archE942ELNS1_3gpuE9ELNS1_3repE0EEENS1_30default_config_static_selectorELNS0_4arch9wavefront6targetE0EEEvT1_.num_agpr, 0
	.set _ZN7rocprim17ROCPRIM_400000_NS6detail17trampoline_kernelINS0_14default_configENS1_27scan_by_key_config_selectorIijEEZZNS1_16scan_by_key_implILNS1_25lookback_scan_determinismE0ELb0ES3_N6thrust23THRUST_200600_302600_NS6detail15normal_iteratorINS9_10device_ptrIiEEEENSB_INSC_IjEEEESG_jNS9_4plusIvEENS9_8equal_toIvEEjEE10hipError_tPvRmT2_T3_T4_T5_mT6_T7_P12ihipStream_tbENKUlT_T0_E_clISt17integral_constantIbLb1EES10_IbLb0EEEEDaSW_SX_EUlSW_E_NS1_11comp_targetILNS1_3genE5ELNS1_11target_archE942ELNS1_3gpuE9ELNS1_3repE0EEENS1_30default_config_static_selectorELNS0_4arch9wavefront6targetE0EEEvT1_.numbered_sgpr, 0
	.set _ZN7rocprim17ROCPRIM_400000_NS6detail17trampoline_kernelINS0_14default_configENS1_27scan_by_key_config_selectorIijEEZZNS1_16scan_by_key_implILNS1_25lookback_scan_determinismE0ELb0ES3_N6thrust23THRUST_200600_302600_NS6detail15normal_iteratorINS9_10device_ptrIiEEEENSB_INSC_IjEEEESG_jNS9_4plusIvEENS9_8equal_toIvEEjEE10hipError_tPvRmT2_T3_T4_T5_mT6_T7_P12ihipStream_tbENKUlT_T0_E_clISt17integral_constantIbLb1EES10_IbLb0EEEEDaSW_SX_EUlSW_E_NS1_11comp_targetILNS1_3genE5ELNS1_11target_archE942ELNS1_3gpuE9ELNS1_3repE0EEENS1_30default_config_static_selectorELNS0_4arch9wavefront6targetE0EEEvT1_.num_named_barrier, 0
	.set _ZN7rocprim17ROCPRIM_400000_NS6detail17trampoline_kernelINS0_14default_configENS1_27scan_by_key_config_selectorIijEEZZNS1_16scan_by_key_implILNS1_25lookback_scan_determinismE0ELb0ES3_N6thrust23THRUST_200600_302600_NS6detail15normal_iteratorINS9_10device_ptrIiEEEENSB_INSC_IjEEEESG_jNS9_4plusIvEENS9_8equal_toIvEEjEE10hipError_tPvRmT2_T3_T4_T5_mT6_T7_P12ihipStream_tbENKUlT_T0_E_clISt17integral_constantIbLb1EES10_IbLb0EEEEDaSW_SX_EUlSW_E_NS1_11comp_targetILNS1_3genE5ELNS1_11target_archE942ELNS1_3gpuE9ELNS1_3repE0EEENS1_30default_config_static_selectorELNS0_4arch9wavefront6targetE0EEEvT1_.private_seg_size, 0
	.set _ZN7rocprim17ROCPRIM_400000_NS6detail17trampoline_kernelINS0_14default_configENS1_27scan_by_key_config_selectorIijEEZZNS1_16scan_by_key_implILNS1_25lookback_scan_determinismE0ELb0ES3_N6thrust23THRUST_200600_302600_NS6detail15normal_iteratorINS9_10device_ptrIiEEEENSB_INSC_IjEEEESG_jNS9_4plusIvEENS9_8equal_toIvEEjEE10hipError_tPvRmT2_T3_T4_T5_mT6_T7_P12ihipStream_tbENKUlT_T0_E_clISt17integral_constantIbLb1EES10_IbLb0EEEEDaSW_SX_EUlSW_E_NS1_11comp_targetILNS1_3genE5ELNS1_11target_archE942ELNS1_3gpuE9ELNS1_3repE0EEENS1_30default_config_static_selectorELNS0_4arch9wavefront6targetE0EEEvT1_.uses_vcc, 0
	.set _ZN7rocprim17ROCPRIM_400000_NS6detail17trampoline_kernelINS0_14default_configENS1_27scan_by_key_config_selectorIijEEZZNS1_16scan_by_key_implILNS1_25lookback_scan_determinismE0ELb0ES3_N6thrust23THRUST_200600_302600_NS6detail15normal_iteratorINS9_10device_ptrIiEEEENSB_INSC_IjEEEESG_jNS9_4plusIvEENS9_8equal_toIvEEjEE10hipError_tPvRmT2_T3_T4_T5_mT6_T7_P12ihipStream_tbENKUlT_T0_E_clISt17integral_constantIbLb1EES10_IbLb0EEEEDaSW_SX_EUlSW_E_NS1_11comp_targetILNS1_3genE5ELNS1_11target_archE942ELNS1_3gpuE9ELNS1_3repE0EEENS1_30default_config_static_selectorELNS0_4arch9wavefront6targetE0EEEvT1_.uses_flat_scratch, 0
	.set _ZN7rocprim17ROCPRIM_400000_NS6detail17trampoline_kernelINS0_14default_configENS1_27scan_by_key_config_selectorIijEEZZNS1_16scan_by_key_implILNS1_25lookback_scan_determinismE0ELb0ES3_N6thrust23THRUST_200600_302600_NS6detail15normal_iteratorINS9_10device_ptrIiEEEENSB_INSC_IjEEEESG_jNS9_4plusIvEENS9_8equal_toIvEEjEE10hipError_tPvRmT2_T3_T4_T5_mT6_T7_P12ihipStream_tbENKUlT_T0_E_clISt17integral_constantIbLb1EES10_IbLb0EEEEDaSW_SX_EUlSW_E_NS1_11comp_targetILNS1_3genE5ELNS1_11target_archE942ELNS1_3gpuE9ELNS1_3repE0EEENS1_30default_config_static_selectorELNS0_4arch9wavefront6targetE0EEEvT1_.has_dyn_sized_stack, 0
	.set _ZN7rocprim17ROCPRIM_400000_NS6detail17trampoline_kernelINS0_14default_configENS1_27scan_by_key_config_selectorIijEEZZNS1_16scan_by_key_implILNS1_25lookback_scan_determinismE0ELb0ES3_N6thrust23THRUST_200600_302600_NS6detail15normal_iteratorINS9_10device_ptrIiEEEENSB_INSC_IjEEEESG_jNS9_4plusIvEENS9_8equal_toIvEEjEE10hipError_tPvRmT2_T3_T4_T5_mT6_T7_P12ihipStream_tbENKUlT_T0_E_clISt17integral_constantIbLb1EES10_IbLb0EEEEDaSW_SX_EUlSW_E_NS1_11comp_targetILNS1_3genE5ELNS1_11target_archE942ELNS1_3gpuE9ELNS1_3repE0EEENS1_30default_config_static_selectorELNS0_4arch9wavefront6targetE0EEEvT1_.has_recursion, 0
	.set _ZN7rocprim17ROCPRIM_400000_NS6detail17trampoline_kernelINS0_14default_configENS1_27scan_by_key_config_selectorIijEEZZNS1_16scan_by_key_implILNS1_25lookback_scan_determinismE0ELb0ES3_N6thrust23THRUST_200600_302600_NS6detail15normal_iteratorINS9_10device_ptrIiEEEENSB_INSC_IjEEEESG_jNS9_4plusIvEENS9_8equal_toIvEEjEE10hipError_tPvRmT2_T3_T4_T5_mT6_T7_P12ihipStream_tbENKUlT_T0_E_clISt17integral_constantIbLb1EES10_IbLb0EEEEDaSW_SX_EUlSW_E_NS1_11comp_targetILNS1_3genE5ELNS1_11target_archE942ELNS1_3gpuE9ELNS1_3repE0EEENS1_30default_config_static_selectorELNS0_4arch9wavefront6targetE0EEEvT1_.has_indirect_call, 0
	.section	.AMDGPU.csdata,"",@progbits
; Kernel info:
; codeLenInByte = 0
; TotalNumSgprs: 0
; NumVgprs: 0
; ScratchSize: 0
; MemoryBound: 0
; FloatMode: 240
; IeeeMode: 1
; LDSByteSize: 0 bytes/workgroup (compile time only)
; SGPRBlocks: 0
; VGPRBlocks: 0
; NumSGPRsForWavesPerEU: 1
; NumVGPRsForWavesPerEU: 1
; NamedBarCnt: 0
; Occupancy: 16
; WaveLimiterHint : 0
; COMPUTE_PGM_RSRC2:SCRATCH_EN: 0
; COMPUTE_PGM_RSRC2:USER_SGPR: 2
; COMPUTE_PGM_RSRC2:TRAP_HANDLER: 0
; COMPUTE_PGM_RSRC2:TGID_X_EN: 1
; COMPUTE_PGM_RSRC2:TGID_Y_EN: 0
; COMPUTE_PGM_RSRC2:TGID_Z_EN: 0
; COMPUTE_PGM_RSRC2:TIDIG_COMP_CNT: 0
	.section	.text._ZN7rocprim17ROCPRIM_400000_NS6detail17trampoline_kernelINS0_14default_configENS1_27scan_by_key_config_selectorIijEEZZNS1_16scan_by_key_implILNS1_25lookback_scan_determinismE0ELb0ES3_N6thrust23THRUST_200600_302600_NS6detail15normal_iteratorINS9_10device_ptrIiEEEENSB_INSC_IjEEEESG_jNS9_4plusIvEENS9_8equal_toIvEEjEE10hipError_tPvRmT2_T3_T4_T5_mT6_T7_P12ihipStream_tbENKUlT_T0_E_clISt17integral_constantIbLb1EES10_IbLb0EEEEDaSW_SX_EUlSW_E_NS1_11comp_targetILNS1_3genE4ELNS1_11target_archE910ELNS1_3gpuE8ELNS1_3repE0EEENS1_30default_config_static_selectorELNS0_4arch9wavefront6targetE0EEEvT1_,"axG",@progbits,_ZN7rocprim17ROCPRIM_400000_NS6detail17trampoline_kernelINS0_14default_configENS1_27scan_by_key_config_selectorIijEEZZNS1_16scan_by_key_implILNS1_25lookback_scan_determinismE0ELb0ES3_N6thrust23THRUST_200600_302600_NS6detail15normal_iteratorINS9_10device_ptrIiEEEENSB_INSC_IjEEEESG_jNS9_4plusIvEENS9_8equal_toIvEEjEE10hipError_tPvRmT2_T3_T4_T5_mT6_T7_P12ihipStream_tbENKUlT_T0_E_clISt17integral_constantIbLb1EES10_IbLb0EEEEDaSW_SX_EUlSW_E_NS1_11comp_targetILNS1_3genE4ELNS1_11target_archE910ELNS1_3gpuE8ELNS1_3repE0EEENS1_30default_config_static_selectorELNS0_4arch9wavefront6targetE0EEEvT1_,comdat
	.protected	_ZN7rocprim17ROCPRIM_400000_NS6detail17trampoline_kernelINS0_14default_configENS1_27scan_by_key_config_selectorIijEEZZNS1_16scan_by_key_implILNS1_25lookback_scan_determinismE0ELb0ES3_N6thrust23THRUST_200600_302600_NS6detail15normal_iteratorINS9_10device_ptrIiEEEENSB_INSC_IjEEEESG_jNS9_4plusIvEENS9_8equal_toIvEEjEE10hipError_tPvRmT2_T3_T4_T5_mT6_T7_P12ihipStream_tbENKUlT_T0_E_clISt17integral_constantIbLb1EES10_IbLb0EEEEDaSW_SX_EUlSW_E_NS1_11comp_targetILNS1_3genE4ELNS1_11target_archE910ELNS1_3gpuE8ELNS1_3repE0EEENS1_30default_config_static_selectorELNS0_4arch9wavefront6targetE0EEEvT1_ ; -- Begin function _ZN7rocprim17ROCPRIM_400000_NS6detail17trampoline_kernelINS0_14default_configENS1_27scan_by_key_config_selectorIijEEZZNS1_16scan_by_key_implILNS1_25lookback_scan_determinismE0ELb0ES3_N6thrust23THRUST_200600_302600_NS6detail15normal_iteratorINS9_10device_ptrIiEEEENSB_INSC_IjEEEESG_jNS9_4plusIvEENS9_8equal_toIvEEjEE10hipError_tPvRmT2_T3_T4_T5_mT6_T7_P12ihipStream_tbENKUlT_T0_E_clISt17integral_constantIbLb1EES10_IbLb0EEEEDaSW_SX_EUlSW_E_NS1_11comp_targetILNS1_3genE4ELNS1_11target_archE910ELNS1_3gpuE8ELNS1_3repE0EEENS1_30default_config_static_selectorELNS0_4arch9wavefront6targetE0EEEvT1_
	.globl	_ZN7rocprim17ROCPRIM_400000_NS6detail17trampoline_kernelINS0_14default_configENS1_27scan_by_key_config_selectorIijEEZZNS1_16scan_by_key_implILNS1_25lookback_scan_determinismE0ELb0ES3_N6thrust23THRUST_200600_302600_NS6detail15normal_iteratorINS9_10device_ptrIiEEEENSB_INSC_IjEEEESG_jNS9_4plusIvEENS9_8equal_toIvEEjEE10hipError_tPvRmT2_T3_T4_T5_mT6_T7_P12ihipStream_tbENKUlT_T0_E_clISt17integral_constantIbLb1EES10_IbLb0EEEEDaSW_SX_EUlSW_E_NS1_11comp_targetILNS1_3genE4ELNS1_11target_archE910ELNS1_3gpuE8ELNS1_3repE0EEENS1_30default_config_static_selectorELNS0_4arch9wavefront6targetE0EEEvT1_
	.p2align	8
	.type	_ZN7rocprim17ROCPRIM_400000_NS6detail17trampoline_kernelINS0_14default_configENS1_27scan_by_key_config_selectorIijEEZZNS1_16scan_by_key_implILNS1_25lookback_scan_determinismE0ELb0ES3_N6thrust23THRUST_200600_302600_NS6detail15normal_iteratorINS9_10device_ptrIiEEEENSB_INSC_IjEEEESG_jNS9_4plusIvEENS9_8equal_toIvEEjEE10hipError_tPvRmT2_T3_T4_T5_mT6_T7_P12ihipStream_tbENKUlT_T0_E_clISt17integral_constantIbLb1EES10_IbLb0EEEEDaSW_SX_EUlSW_E_NS1_11comp_targetILNS1_3genE4ELNS1_11target_archE910ELNS1_3gpuE8ELNS1_3repE0EEENS1_30default_config_static_selectorELNS0_4arch9wavefront6targetE0EEEvT1_,@function
_ZN7rocprim17ROCPRIM_400000_NS6detail17trampoline_kernelINS0_14default_configENS1_27scan_by_key_config_selectorIijEEZZNS1_16scan_by_key_implILNS1_25lookback_scan_determinismE0ELb0ES3_N6thrust23THRUST_200600_302600_NS6detail15normal_iteratorINS9_10device_ptrIiEEEENSB_INSC_IjEEEESG_jNS9_4plusIvEENS9_8equal_toIvEEjEE10hipError_tPvRmT2_T3_T4_T5_mT6_T7_P12ihipStream_tbENKUlT_T0_E_clISt17integral_constantIbLb1EES10_IbLb0EEEEDaSW_SX_EUlSW_E_NS1_11comp_targetILNS1_3genE4ELNS1_11target_archE910ELNS1_3gpuE8ELNS1_3repE0EEENS1_30default_config_static_selectorELNS0_4arch9wavefront6targetE0EEEvT1_: ; @_ZN7rocprim17ROCPRIM_400000_NS6detail17trampoline_kernelINS0_14default_configENS1_27scan_by_key_config_selectorIijEEZZNS1_16scan_by_key_implILNS1_25lookback_scan_determinismE0ELb0ES3_N6thrust23THRUST_200600_302600_NS6detail15normal_iteratorINS9_10device_ptrIiEEEENSB_INSC_IjEEEESG_jNS9_4plusIvEENS9_8equal_toIvEEjEE10hipError_tPvRmT2_T3_T4_T5_mT6_T7_P12ihipStream_tbENKUlT_T0_E_clISt17integral_constantIbLb1EES10_IbLb0EEEEDaSW_SX_EUlSW_E_NS1_11comp_targetILNS1_3genE4ELNS1_11target_archE910ELNS1_3gpuE8ELNS1_3repE0EEENS1_30default_config_static_selectorELNS0_4arch9wavefront6targetE0EEEvT1_
; %bb.0:
	.section	.rodata,"a",@progbits
	.p2align	6, 0x0
	.amdhsa_kernel _ZN7rocprim17ROCPRIM_400000_NS6detail17trampoline_kernelINS0_14default_configENS1_27scan_by_key_config_selectorIijEEZZNS1_16scan_by_key_implILNS1_25lookback_scan_determinismE0ELb0ES3_N6thrust23THRUST_200600_302600_NS6detail15normal_iteratorINS9_10device_ptrIiEEEENSB_INSC_IjEEEESG_jNS9_4plusIvEENS9_8equal_toIvEEjEE10hipError_tPvRmT2_T3_T4_T5_mT6_T7_P12ihipStream_tbENKUlT_T0_E_clISt17integral_constantIbLb1EES10_IbLb0EEEEDaSW_SX_EUlSW_E_NS1_11comp_targetILNS1_3genE4ELNS1_11target_archE910ELNS1_3gpuE8ELNS1_3repE0EEENS1_30default_config_static_selectorELNS0_4arch9wavefront6targetE0EEEvT1_
		.amdhsa_group_segment_fixed_size 0
		.amdhsa_private_segment_fixed_size 0
		.amdhsa_kernarg_size 112
		.amdhsa_user_sgpr_count 2
		.amdhsa_user_sgpr_dispatch_ptr 0
		.amdhsa_user_sgpr_queue_ptr 0
		.amdhsa_user_sgpr_kernarg_segment_ptr 1
		.amdhsa_user_sgpr_dispatch_id 0
		.amdhsa_user_sgpr_kernarg_preload_length 0
		.amdhsa_user_sgpr_kernarg_preload_offset 0
		.amdhsa_user_sgpr_private_segment_size 0
		.amdhsa_wavefront_size32 1
		.amdhsa_uses_dynamic_stack 0
		.amdhsa_enable_private_segment 0
		.amdhsa_system_sgpr_workgroup_id_x 1
		.amdhsa_system_sgpr_workgroup_id_y 0
		.amdhsa_system_sgpr_workgroup_id_z 0
		.amdhsa_system_sgpr_workgroup_info 0
		.amdhsa_system_vgpr_workitem_id 0
		.amdhsa_next_free_vgpr 1
		.amdhsa_next_free_sgpr 1
		.amdhsa_named_barrier_count 0
		.amdhsa_reserve_vcc 0
		.amdhsa_float_round_mode_32 0
		.amdhsa_float_round_mode_16_64 0
		.amdhsa_float_denorm_mode_32 3
		.amdhsa_float_denorm_mode_16_64 3
		.amdhsa_fp16_overflow 0
		.amdhsa_memory_ordered 1
		.amdhsa_forward_progress 1
		.amdhsa_inst_pref_size 0
		.amdhsa_round_robin_scheduling 0
		.amdhsa_exception_fp_ieee_invalid_op 0
		.amdhsa_exception_fp_denorm_src 0
		.amdhsa_exception_fp_ieee_div_zero 0
		.amdhsa_exception_fp_ieee_overflow 0
		.amdhsa_exception_fp_ieee_underflow 0
		.amdhsa_exception_fp_ieee_inexact 0
		.amdhsa_exception_int_div_zero 0
	.end_amdhsa_kernel
	.section	.text._ZN7rocprim17ROCPRIM_400000_NS6detail17trampoline_kernelINS0_14default_configENS1_27scan_by_key_config_selectorIijEEZZNS1_16scan_by_key_implILNS1_25lookback_scan_determinismE0ELb0ES3_N6thrust23THRUST_200600_302600_NS6detail15normal_iteratorINS9_10device_ptrIiEEEENSB_INSC_IjEEEESG_jNS9_4plusIvEENS9_8equal_toIvEEjEE10hipError_tPvRmT2_T3_T4_T5_mT6_T7_P12ihipStream_tbENKUlT_T0_E_clISt17integral_constantIbLb1EES10_IbLb0EEEEDaSW_SX_EUlSW_E_NS1_11comp_targetILNS1_3genE4ELNS1_11target_archE910ELNS1_3gpuE8ELNS1_3repE0EEENS1_30default_config_static_selectorELNS0_4arch9wavefront6targetE0EEEvT1_,"axG",@progbits,_ZN7rocprim17ROCPRIM_400000_NS6detail17trampoline_kernelINS0_14default_configENS1_27scan_by_key_config_selectorIijEEZZNS1_16scan_by_key_implILNS1_25lookback_scan_determinismE0ELb0ES3_N6thrust23THRUST_200600_302600_NS6detail15normal_iteratorINS9_10device_ptrIiEEEENSB_INSC_IjEEEESG_jNS9_4plusIvEENS9_8equal_toIvEEjEE10hipError_tPvRmT2_T3_T4_T5_mT6_T7_P12ihipStream_tbENKUlT_T0_E_clISt17integral_constantIbLb1EES10_IbLb0EEEEDaSW_SX_EUlSW_E_NS1_11comp_targetILNS1_3genE4ELNS1_11target_archE910ELNS1_3gpuE8ELNS1_3repE0EEENS1_30default_config_static_selectorELNS0_4arch9wavefront6targetE0EEEvT1_,comdat
.Lfunc_end1246:
	.size	_ZN7rocprim17ROCPRIM_400000_NS6detail17trampoline_kernelINS0_14default_configENS1_27scan_by_key_config_selectorIijEEZZNS1_16scan_by_key_implILNS1_25lookback_scan_determinismE0ELb0ES3_N6thrust23THRUST_200600_302600_NS6detail15normal_iteratorINS9_10device_ptrIiEEEENSB_INSC_IjEEEESG_jNS9_4plusIvEENS9_8equal_toIvEEjEE10hipError_tPvRmT2_T3_T4_T5_mT6_T7_P12ihipStream_tbENKUlT_T0_E_clISt17integral_constantIbLb1EES10_IbLb0EEEEDaSW_SX_EUlSW_E_NS1_11comp_targetILNS1_3genE4ELNS1_11target_archE910ELNS1_3gpuE8ELNS1_3repE0EEENS1_30default_config_static_selectorELNS0_4arch9wavefront6targetE0EEEvT1_, .Lfunc_end1246-_ZN7rocprim17ROCPRIM_400000_NS6detail17trampoline_kernelINS0_14default_configENS1_27scan_by_key_config_selectorIijEEZZNS1_16scan_by_key_implILNS1_25lookback_scan_determinismE0ELb0ES3_N6thrust23THRUST_200600_302600_NS6detail15normal_iteratorINS9_10device_ptrIiEEEENSB_INSC_IjEEEESG_jNS9_4plusIvEENS9_8equal_toIvEEjEE10hipError_tPvRmT2_T3_T4_T5_mT6_T7_P12ihipStream_tbENKUlT_T0_E_clISt17integral_constantIbLb1EES10_IbLb0EEEEDaSW_SX_EUlSW_E_NS1_11comp_targetILNS1_3genE4ELNS1_11target_archE910ELNS1_3gpuE8ELNS1_3repE0EEENS1_30default_config_static_selectorELNS0_4arch9wavefront6targetE0EEEvT1_
                                        ; -- End function
	.set _ZN7rocprim17ROCPRIM_400000_NS6detail17trampoline_kernelINS0_14default_configENS1_27scan_by_key_config_selectorIijEEZZNS1_16scan_by_key_implILNS1_25lookback_scan_determinismE0ELb0ES3_N6thrust23THRUST_200600_302600_NS6detail15normal_iteratorINS9_10device_ptrIiEEEENSB_INSC_IjEEEESG_jNS9_4plusIvEENS9_8equal_toIvEEjEE10hipError_tPvRmT2_T3_T4_T5_mT6_T7_P12ihipStream_tbENKUlT_T0_E_clISt17integral_constantIbLb1EES10_IbLb0EEEEDaSW_SX_EUlSW_E_NS1_11comp_targetILNS1_3genE4ELNS1_11target_archE910ELNS1_3gpuE8ELNS1_3repE0EEENS1_30default_config_static_selectorELNS0_4arch9wavefront6targetE0EEEvT1_.num_vgpr, 0
	.set _ZN7rocprim17ROCPRIM_400000_NS6detail17trampoline_kernelINS0_14default_configENS1_27scan_by_key_config_selectorIijEEZZNS1_16scan_by_key_implILNS1_25lookback_scan_determinismE0ELb0ES3_N6thrust23THRUST_200600_302600_NS6detail15normal_iteratorINS9_10device_ptrIiEEEENSB_INSC_IjEEEESG_jNS9_4plusIvEENS9_8equal_toIvEEjEE10hipError_tPvRmT2_T3_T4_T5_mT6_T7_P12ihipStream_tbENKUlT_T0_E_clISt17integral_constantIbLb1EES10_IbLb0EEEEDaSW_SX_EUlSW_E_NS1_11comp_targetILNS1_3genE4ELNS1_11target_archE910ELNS1_3gpuE8ELNS1_3repE0EEENS1_30default_config_static_selectorELNS0_4arch9wavefront6targetE0EEEvT1_.num_agpr, 0
	.set _ZN7rocprim17ROCPRIM_400000_NS6detail17trampoline_kernelINS0_14default_configENS1_27scan_by_key_config_selectorIijEEZZNS1_16scan_by_key_implILNS1_25lookback_scan_determinismE0ELb0ES3_N6thrust23THRUST_200600_302600_NS6detail15normal_iteratorINS9_10device_ptrIiEEEENSB_INSC_IjEEEESG_jNS9_4plusIvEENS9_8equal_toIvEEjEE10hipError_tPvRmT2_T3_T4_T5_mT6_T7_P12ihipStream_tbENKUlT_T0_E_clISt17integral_constantIbLb1EES10_IbLb0EEEEDaSW_SX_EUlSW_E_NS1_11comp_targetILNS1_3genE4ELNS1_11target_archE910ELNS1_3gpuE8ELNS1_3repE0EEENS1_30default_config_static_selectorELNS0_4arch9wavefront6targetE0EEEvT1_.numbered_sgpr, 0
	.set _ZN7rocprim17ROCPRIM_400000_NS6detail17trampoline_kernelINS0_14default_configENS1_27scan_by_key_config_selectorIijEEZZNS1_16scan_by_key_implILNS1_25lookback_scan_determinismE0ELb0ES3_N6thrust23THRUST_200600_302600_NS6detail15normal_iteratorINS9_10device_ptrIiEEEENSB_INSC_IjEEEESG_jNS9_4plusIvEENS9_8equal_toIvEEjEE10hipError_tPvRmT2_T3_T4_T5_mT6_T7_P12ihipStream_tbENKUlT_T0_E_clISt17integral_constantIbLb1EES10_IbLb0EEEEDaSW_SX_EUlSW_E_NS1_11comp_targetILNS1_3genE4ELNS1_11target_archE910ELNS1_3gpuE8ELNS1_3repE0EEENS1_30default_config_static_selectorELNS0_4arch9wavefront6targetE0EEEvT1_.num_named_barrier, 0
	.set _ZN7rocprim17ROCPRIM_400000_NS6detail17trampoline_kernelINS0_14default_configENS1_27scan_by_key_config_selectorIijEEZZNS1_16scan_by_key_implILNS1_25lookback_scan_determinismE0ELb0ES3_N6thrust23THRUST_200600_302600_NS6detail15normal_iteratorINS9_10device_ptrIiEEEENSB_INSC_IjEEEESG_jNS9_4plusIvEENS9_8equal_toIvEEjEE10hipError_tPvRmT2_T3_T4_T5_mT6_T7_P12ihipStream_tbENKUlT_T0_E_clISt17integral_constantIbLb1EES10_IbLb0EEEEDaSW_SX_EUlSW_E_NS1_11comp_targetILNS1_3genE4ELNS1_11target_archE910ELNS1_3gpuE8ELNS1_3repE0EEENS1_30default_config_static_selectorELNS0_4arch9wavefront6targetE0EEEvT1_.private_seg_size, 0
	.set _ZN7rocprim17ROCPRIM_400000_NS6detail17trampoline_kernelINS0_14default_configENS1_27scan_by_key_config_selectorIijEEZZNS1_16scan_by_key_implILNS1_25lookback_scan_determinismE0ELb0ES3_N6thrust23THRUST_200600_302600_NS6detail15normal_iteratorINS9_10device_ptrIiEEEENSB_INSC_IjEEEESG_jNS9_4plusIvEENS9_8equal_toIvEEjEE10hipError_tPvRmT2_T3_T4_T5_mT6_T7_P12ihipStream_tbENKUlT_T0_E_clISt17integral_constantIbLb1EES10_IbLb0EEEEDaSW_SX_EUlSW_E_NS1_11comp_targetILNS1_3genE4ELNS1_11target_archE910ELNS1_3gpuE8ELNS1_3repE0EEENS1_30default_config_static_selectorELNS0_4arch9wavefront6targetE0EEEvT1_.uses_vcc, 0
	.set _ZN7rocprim17ROCPRIM_400000_NS6detail17trampoline_kernelINS0_14default_configENS1_27scan_by_key_config_selectorIijEEZZNS1_16scan_by_key_implILNS1_25lookback_scan_determinismE0ELb0ES3_N6thrust23THRUST_200600_302600_NS6detail15normal_iteratorINS9_10device_ptrIiEEEENSB_INSC_IjEEEESG_jNS9_4plusIvEENS9_8equal_toIvEEjEE10hipError_tPvRmT2_T3_T4_T5_mT6_T7_P12ihipStream_tbENKUlT_T0_E_clISt17integral_constantIbLb1EES10_IbLb0EEEEDaSW_SX_EUlSW_E_NS1_11comp_targetILNS1_3genE4ELNS1_11target_archE910ELNS1_3gpuE8ELNS1_3repE0EEENS1_30default_config_static_selectorELNS0_4arch9wavefront6targetE0EEEvT1_.uses_flat_scratch, 0
	.set _ZN7rocprim17ROCPRIM_400000_NS6detail17trampoline_kernelINS0_14default_configENS1_27scan_by_key_config_selectorIijEEZZNS1_16scan_by_key_implILNS1_25lookback_scan_determinismE0ELb0ES3_N6thrust23THRUST_200600_302600_NS6detail15normal_iteratorINS9_10device_ptrIiEEEENSB_INSC_IjEEEESG_jNS9_4plusIvEENS9_8equal_toIvEEjEE10hipError_tPvRmT2_T3_T4_T5_mT6_T7_P12ihipStream_tbENKUlT_T0_E_clISt17integral_constantIbLb1EES10_IbLb0EEEEDaSW_SX_EUlSW_E_NS1_11comp_targetILNS1_3genE4ELNS1_11target_archE910ELNS1_3gpuE8ELNS1_3repE0EEENS1_30default_config_static_selectorELNS0_4arch9wavefront6targetE0EEEvT1_.has_dyn_sized_stack, 0
	.set _ZN7rocprim17ROCPRIM_400000_NS6detail17trampoline_kernelINS0_14default_configENS1_27scan_by_key_config_selectorIijEEZZNS1_16scan_by_key_implILNS1_25lookback_scan_determinismE0ELb0ES3_N6thrust23THRUST_200600_302600_NS6detail15normal_iteratorINS9_10device_ptrIiEEEENSB_INSC_IjEEEESG_jNS9_4plusIvEENS9_8equal_toIvEEjEE10hipError_tPvRmT2_T3_T4_T5_mT6_T7_P12ihipStream_tbENKUlT_T0_E_clISt17integral_constantIbLb1EES10_IbLb0EEEEDaSW_SX_EUlSW_E_NS1_11comp_targetILNS1_3genE4ELNS1_11target_archE910ELNS1_3gpuE8ELNS1_3repE0EEENS1_30default_config_static_selectorELNS0_4arch9wavefront6targetE0EEEvT1_.has_recursion, 0
	.set _ZN7rocprim17ROCPRIM_400000_NS6detail17trampoline_kernelINS0_14default_configENS1_27scan_by_key_config_selectorIijEEZZNS1_16scan_by_key_implILNS1_25lookback_scan_determinismE0ELb0ES3_N6thrust23THRUST_200600_302600_NS6detail15normal_iteratorINS9_10device_ptrIiEEEENSB_INSC_IjEEEESG_jNS9_4plusIvEENS9_8equal_toIvEEjEE10hipError_tPvRmT2_T3_T4_T5_mT6_T7_P12ihipStream_tbENKUlT_T0_E_clISt17integral_constantIbLb1EES10_IbLb0EEEEDaSW_SX_EUlSW_E_NS1_11comp_targetILNS1_3genE4ELNS1_11target_archE910ELNS1_3gpuE8ELNS1_3repE0EEENS1_30default_config_static_selectorELNS0_4arch9wavefront6targetE0EEEvT1_.has_indirect_call, 0
	.section	.AMDGPU.csdata,"",@progbits
; Kernel info:
; codeLenInByte = 0
; TotalNumSgprs: 0
; NumVgprs: 0
; ScratchSize: 0
; MemoryBound: 0
; FloatMode: 240
; IeeeMode: 1
; LDSByteSize: 0 bytes/workgroup (compile time only)
; SGPRBlocks: 0
; VGPRBlocks: 0
; NumSGPRsForWavesPerEU: 1
; NumVGPRsForWavesPerEU: 1
; NamedBarCnt: 0
; Occupancy: 16
; WaveLimiterHint : 0
; COMPUTE_PGM_RSRC2:SCRATCH_EN: 0
; COMPUTE_PGM_RSRC2:USER_SGPR: 2
; COMPUTE_PGM_RSRC2:TRAP_HANDLER: 0
; COMPUTE_PGM_RSRC2:TGID_X_EN: 1
; COMPUTE_PGM_RSRC2:TGID_Y_EN: 0
; COMPUTE_PGM_RSRC2:TGID_Z_EN: 0
; COMPUTE_PGM_RSRC2:TIDIG_COMP_CNT: 0
	.section	.text._ZN7rocprim17ROCPRIM_400000_NS6detail17trampoline_kernelINS0_14default_configENS1_27scan_by_key_config_selectorIijEEZZNS1_16scan_by_key_implILNS1_25lookback_scan_determinismE0ELb0ES3_N6thrust23THRUST_200600_302600_NS6detail15normal_iteratorINS9_10device_ptrIiEEEENSB_INSC_IjEEEESG_jNS9_4plusIvEENS9_8equal_toIvEEjEE10hipError_tPvRmT2_T3_T4_T5_mT6_T7_P12ihipStream_tbENKUlT_T0_E_clISt17integral_constantIbLb1EES10_IbLb0EEEEDaSW_SX_EUlSW_E_NS1_11comp_targetILNS1_3genE3ELNS1_11target_archE908ELNS1_3gpuE7ELNS1_3repE0EEENS1_30default_config_static_selectorELNS0_4arch9wavefront6targetE0EEEvT1_,"axG",@progbits,_ZN7rocprim17ROCPRIM_400000_NS6detail17trampoline_kernelINS0_14default_configENS1_27scan_by_key_config_selectorIijEEZZNS1_16scan_by_key_implILNS1_25lookback_scan_determinismE0ELb0ES3_N6thrust23THRUST_200600_302600_NS6detail15normal_iteratorINS9_10device_ptrIiEEEENSB_INSC_IjEEEESG_jNS9_4plusIvEENS9_8equal_toIvEEjEE10hipError_tPvRmT2_T3_T4_T5_mT6_T7_P12ihipStream_tbENKUlT_T0_E_clISt17integral_constantIbLb1EES10_IbLb0EEEEDaSW_SX_EUlSW_E_NS1_11comp_targetILNS1_3genE3ELNS1_11target_archE908ELNS1_3gpuE7ELNS1_3repE0EEENS1_30default_config_static_selectorELNS0_4arch9wavefront6targetE0EEEvT1_,comdat
	.protected	_ZN7rocprim17ROCPRIM_400000_NS6detail17trampoline_kernelINS0_14default_configENS1_27scan_by_key_config_selectorIijEEZZNS1_16scan_by_key_implILNS1_25lookback_scan_determinismE0ELb0ES3_N6thrust23THRUST_200600_302600_NS6detail15normal_iteratorINS9_10device_ptrIiEEEENSB_INSC_IjEEEESG_jNS9_4plusIvEENS9_8equal_toIvEEjEE10hipError_tPvRmT2_T3_T4_T5_mT6_T7_P12ihipStream_tbENKUlT_T0_E_clISt17integral_constantIbLb1EES10_IbLb0EEEEDaSW_SX_EUlSW_E_NS1_11comp_targetILNS1_3genE3ELNS1_11target_archE908ELNS1_3gpuE7ELNS1_3repE0EEENS1_30default_config_static_selectorELNS0_4arch9wavefront6targetE0EEEvT1_ ; -- Begin function _ZN7rocprim17ROCPRIM_400000_NS6detail17trampoline_kernelINS0_14default_configENS1_27scan_by_key_config_selectorIijEEZZNS1_16scan_by_key_implILNS1_25lookback_scan_determinismE0ELb0ES3_N6thrust23THRUST_200600_302600_NS6detail15normal_iteratorINS9_10device_ptrIiEEEENSB_INSC_IjEEEESG_jNS9_4plusIvEENS9_8equal_toIvEEjEE10hipError_tPvRmT2_T3_T4_T5_mT6_T7_P12ihipStream_tbENKUlT_T0_E_clISt17integral_constantIbLb1EES10_IbLb0EEEEDaSW_SX_EUlSW_E_NS1_11comp_targetILNS1_3genE3ELNS1_11target_archE908ELNS1_3gpuE7ELNS1_3repE0EEENS1_30default_config_static_selectorELNS0_4arch9wavefront6targetE0EEEvT1_
	.globl	_ZN7rocprim17ROCPRIM_400000_NS6detail17trampoline_kernelINS0_14default_configENS1_27scan_by_key_config_selectorIijEEZZNS1_16scan_by_key_implILNS1_25lookback_scan_determinismE0ELb0ES3_N6thrust23THRUST_200600_302600_NS6detail15normal_iteratorINS9_10device_ptrIiEEEENSB_INSC_IjEEEESG_jNS9_4plusIvEENS9_8equal_toIvEEjEE10hipError_tPvRmT2_T3_T4_T5_mT6_T7_P12ihipStream_tbENKUlT_T0_E_clISt17integral_constantIbLb1EES10_IbLb0EEEEDaSW_SX_EUlSW_E_NS1_11comp_targetILNS1_3genE3ELNS1_11target_archE908ELNS1_3gpuE7ELNS1_3repE0EEENS1_30default_config_static_selectorELNS0_4arch9wavefront6targetE0EEEvT1_
	.p2align	8
	.type	_ZN7rocprim17ROCPRIM_400000_NS6detail17trampoline_kernelINS0_14default_configENS1_27scan_by_key_config_selectorIijEEZZNS1_16scan_by_key_implILNS1_25lookback_scan_determinismE0ELb0ES3_N6thrust23THRUST_200600_302600_NS6detail15normal_iteratorINS9_10device_ptrIiEEEENSB_INSC_IjEEEESG_jNS9_4plusIvEENS9_8equal_toIvEEjEE10hipError_tPvRmT2_T3_T4_T5_mT6_T7_P12ihipStream_tbENKUlT_T0_E_clISt17integral_constantIbLb1EES10_IbLb0EEEEDaSW_SX_EUlSW_E_NS1_11comp_targetILNS1_3genE3ELNS1_11target_archE908ELNS1_3gpuE7ELNS1_3repE0EEENS1_30default_config_static_selectorELNS0_4arch9wavefront6targetE0EEEvT1_,@function
_ZN7rocprim17ROCPRIM_400000_NS6detail17trampoline_kernelINS0_14default_configENS1_27scan_by_key_config_selectorIijEEZZNS1_16scan_by_key_implILNS1_25lookback_scan_determinismE0ELb0ES3_N6thrust23THRUST_200600_302600_NS6detail15normal_iteratorINS9_10device_ptrIiEEEENSB_INSC_IjEEEESG_jNS9_4plusIvEENS9_8equal_toIvEEjEE10hipError_tPvRmT2_T3_T4_T5_mT6_T7_P12ihipStream_tbENKUlT_T0_E_clISt17integral_constantIbLb1EES10_IbLb0EEEEDaSW_SX_EUlSW_E_NS1_11comp_targetILNS1_3genE3ELNS1_11target_archE908ELNS1_3gpuE7ELNS1_3repE0EEENS1_30default_config_static_selectorELNS0_4arch9wavefront6targetE0EEEvT1_: ; @_ZN7rocprim17ROCPRIM_400000_NS6detail17trampoline_kernelINS0_14default_configENS1_27scan_by_key_config_selectorIijEEZZNS1_16scan_by_key_implILNS1_25lookback_scan_determinismE0ELb0ES3_N6thrust23THRUST_200600_302600_NS6detail15normal_iteratorINS9_10device_ptrIiEEEENSB_INSC_IjEEEESG_jNS9_4plusIvEENS9_8equal_toIvEEjEE10hipError_tPvRmT2_T3_T4_T5_mT6_T7_P12ihipStream_tbENKUlT_T0_E_clISt17integral_constantIbLb1EES10_IbLb0EEEEDaSW_SX_EUlSW_E_NS1_11comp_targetILNS1_3genE3ELNS1_11target_archE908ELNS1_3gpuE7ELNS1_3repE0EEENS1_30default_config_static_selectorELNS0_4arch9wavefront6targetE0EEEvT1_
; %bb.0:
	.section	.rodata,"a",@progbits
	.p2align	6, 0x0
	.amdhsa_kernel _ZN7rocprim17ROCPRIM_400000_NS6detail17trampoline_kernelINS0_14default_configENS1_27scan_by_key_config_selectorIijEEZZNS1_16scan_by_key_implILNS1_25lookback_scan_determinismE0ELb0ES3_N6thrust23THRUST_200600_302600_NS6detail15normal_iteratorINS9_10device_ptrIiEEEENSB_INSC_IjEEEESG_jNS9_4plusIvEENS9_8equal_toIvEEjEE10hipError_tPvRmT2_T3_T4_T5_mT6_T7_P12ihipStream_tbENKUlT_T0_E_clISt17integral_constantIbLb1EES10_IbLb0EEEEDaSW_SX_EUlSW_E_NS1_11comp_targetILNS1_3genE3ELNS1_11target_archE908ELNS1_3gpuE7ELNS1_3repE0EEENS1_30default_config_static_selectorELNS0_4arch9wavefront6targetE0EEEvT1_
		.amdhsa_group_segment_fixed_size 0
		.amdhsa_private_segment_fixed_size 0
		.amdhsa_kernarg_size 112
		.amdhsa_user_sgpr_count 2
		.amdhsa_user_sgpr_dispatch_ptr 0
		.amdhsa_user_sgpr_queue_ptr 0
		.amdhsa_user_sgpr_kernarg_segment_ptr 1
		.amdhsa_user_sgpr_dispatch_id 0
		.amdhsa_user_sgpr_kernarg_preload_length 0
		.amdhsa_user_sgpr_kernarg_preload_offset 0
		.amdhsa_user_sgpr_private_segment_size 0
		.amdhsa_wavefront_size32 1
		.amdhsa_uses_dynamic_stack 0
		.amdhsa_enable_private_segment 0
		.amdhsa_system_sgpr_workgroup_id_x 1
		.amdhsa_system_sgpr_workgroup_id_y 0
		.amdhsa_system_sgpr_workgroup_id_z 0
		.amdhsa_system_sgpr_workgroup_info 0
		.amdhsa_system_vgpr_workitem_id 0
		.amdhsa_next_free_vgpr 1
		.amdhsa_next_free_sgpr 1
		.amdhsa_named_barrier_count 0
		.amdhsa_reserve_vcc 0
		.amdhsa_float_round_mode_32 0
		.amdhsa_float_round_mode_16_64 0
		.amdhsa_float_denorm_mode_32 3
		.amdhsa_float_denorm_mode_16_64 3
		.amdhsa_fp16_overflow 0
		.amdhsa_memory_ordered 1
		.amdhsa_forward_progress 1
		.amdhsa_inst_pref_size 0
		.amdhsa_round_robin_scheduling 0
		.amdhsa_exception_fp_ieee_invalid_op 0
		.amdhsa_exception_fp_denorm_src 0
		.amdhsa_exception_fp_ieee_div_zero 0
		.amdhsa_exception_fp_ieee_overflow 0
		.amdhsa_exception_fp_ieee_underflow 0
		.amdhsa_exception_fp_ieee_inexact 0
		.amdhsa_exception_int_div_zero 0
	.end_amdhsa_kernel
	.section	.text._ZN7rocprim17ROCPRIM_400000_NS6detail17trampoline_kernelINS0_14default_configENS1_27scan_by_key_config_selectorIijEEZZNS1_16scan_by_key_implILNS1_25lookback_scan_determinismE0ELb0ES3_N6thrust23THRUST_200600_302600_NS6detail15normal_iteratorINS9_10device_ptrIiEEEENSB_INSC_IjEEEESG_jNS9_4plusIvEENS9_8equal_toIvEEjEE10hipError_tPvRmT2_T3_T4_T5_mT6_T7_P12ihipStream_tbENKUlT_T0_E_clISt17integral_constantIbLb1EES10_IbLb0EEEEDaSW_SX_EUlSW_E_NS1_11comp_targetILNS1_3genE3ELNS1_11target_archE908ELNS1_3gpuE7ELNS1_3repE0EEENS1_30default_config_static_selectorELNS0_4arch9wavefront6targetE0EEEvT1_,"axG",@progbits,_ZN7rocprim17ROCPRIM_400000_NS6detail17trampoline_kernelINS0_14default_configENS1_27scan_by_key_config_selectorIijEEZZNS1_16scan_by_key_implILNS1_25lookback_scan_determinismE0ELb0ES3_N6thrust23THRUST_200600_302600_NS6detail15normal_iteratorINS9_10device_ptrIiEEEENSB_INSC_IjEEEESG_jNS9_4plusIvEENS9_8equal_toIvEEjEE10hipError_tPvRmT2_T3_T4_T5_mT6_T7_P12ihipStream_tbENKUlT_T0_E_clISt17integral_constantIbLb1EES10_IbLb0EEEEDaSW_SX_EUlSW_E_NS1_11comp_targetILNS1_3genE3ELNS1_11target_archE908ELNS1_3gpuE7ELNS1_3repE0EEENS1_30default_config_static_selectorELNS0_4arch9wavefront6targetE0EEEvT1_,comdat
.Lfunc_end1247:
	.size	_ZN7rocprim17ROCPRIM_400000_NS6detail17trampoline_kernelINS0_14default_configENS1_27scan_by_key_config_selectorIijEEZZNS1_16scan_by_key_implILNS1_25lookback_scan_determinismE0ELb0ES3_N6thrust23THRUST_200600_302600_NS6detail15normal_iteratorINS9_10device_ptrIiEEEENSB_INSC_IjEEEESG_jNS9_4plusIvEENS9_8equal_toIvEEjEE10hipError_tPvRmT2_T3_T4_T5_mT6_T7_P12ihipStream_tbENKUlT_T0_E_clISt17integral_constantIbLb1EES10_IbLb0EEEEDaSW_SX_EUlSW_E_NS1_11comp_targetILNS1_3genE3ELNS1_11target_archE908ELNS1_3gpuE7ELNS1_3repE0EEENS1_30default_config_static_selectorELNS0_4arch9wavefront6targetE0EEEvT1_, .Lfunc_end1247-_ZN7rocprim17ROCPRIM_400000_NS6detail17trampoline_kernelINS0_14default_configENS1_27scan_by_key_config_selectorIijEEZZNS1_16scan_by_key_implILNS1_25lookback_scan_determinismE0ELb0ES3_N6thrust23THRUST_200600_302600_NS6detail15normal_iteratorINS9_10device_ptrIiEEEENSB_INSC_IjEEEESG_jNS9_4plusIvEENS9_8equal_toIvEEjEE10hipError_tPvRmT2_T3_T4_T5_mT6_T7_P12ihipStream_tbENKUlT_T0_E_clISt17integral_constantIbLb1EES10_IbLb0EEEEDaSW_SX_EUlSW_E_NS1_11comp_targetILNS1_3genE3ELNS1_11target_archE908ELNS1_3gpuE7ELNS1_3repE0EEENS1_30default_config_static_selectorELNS0_4arch9wavefront6targetE0EEEvT1_
                                        ; -- End function
	.set _ZN7rocprim17ROCPRIM_400000_NS6detail17trampoline_kernelINS0_14default_configENS1_27scan_by_key_config_selectorIijEEZZNS1_16scan_by_key_implILNS1_25lookback_scan_determinismE0ELb0ES3_N6thrust23THRUST_200600_302600_NS6detail15normal_iteratorINS9_10device_ptrIiEEEENSB_INSC_IjEEEESG_jNS9_4plusIvEENS9_8equal_toIvEEjEE10hipError_tPvRmT2_T3_T4_T5_mT6_T7_P12ihipStream_tbENKUlT_T0_E_clISt17integral_constantIbLb1EES10_IbLb0EEEEDaSW_SX_EUlSW_E_NS1_11comp_targetILNS1_3genE3ELNS1_11target_archE908ELNS1_3gpuE7ELNS1_3repE0EEENS1_30default_config_static_selectorELNS0_4arch9wavefront6targetE0EEEvT1_.num_vgpr, 0
	.set _ZN7rocprim17ROCPRIM_400000_NS6detail17trampoline_kernelINS0_14default_configENS1_27scan_by_key_config_selectorIijEEZZNS1_16scan_by_key_implILNS1_25lookback_scan_determinismE0ELb0ES3_N6thrust23THRUST_200600_302600_NS6detail15normal_iteratorINS9_10device_ptrIiEEEENSB_INSC_IjEEEESG_jNS9_4plusIvEENS9_8equal_toIvEEjEE10hipError_tPvRmT2_T3_T4_T5_mT6_T7_P12ihipStream_tbENKUlT_T0_E_clISt17integral_constantIbLb1EES10_IbLb0EEEEDaSW_SX_EUlSW_E_NS1_11comp_targetILNS1_3genE3ELNS1_11target_archE908ELNS1_3gpuE7ELNS1_3repE0EEENS1_30default_config_static_selectorELNS0_4arch9wavefront6targetE0EEEvT1_.num_agpr, 0
	.set _ZN7rocprim17ROCPRIM_400000_NS6detail17trampoline_kernelINS0_14default_configENS1_27scan_by_key_config_selectorIijEEZZNS1_16scan_by_key_implILNS1_25lookback_scan_determinismE0ELb0ES3_N6thrust23THRUST_200600_302600_NS6detail15normal_iteratorINS9_10device_ptrIiEEEENSB_INSC_IjEEEESG_jNS9_4plusIvEENS9_8equal_toIvEEjEE10hipError_tPvRmT2_T3_T4_T5_mT6_T7_P12ihipStream_tbENKUlT_T0_E_clISt17integral_constantIbLb1EES10_IbLb0EEEEDaSW_SX_EUlSW_E_NS1_11comp_targetILNS1_3genE3ELNS1_11target_archE908ELNS1_3gpuE7ELNS1_3repE0EEENS1_30default_config_static_selectorELNS0_4arch9wavefront6targetE0EEEvT1_.numbered_sgpr, 0
	.set _ZN7rocprim17ROCPRIM_400000_NS6detail17trampoline_kernelINS0_14default_configENS1_27scan_by_key_config_selectorIijEEZZNS1_16scan_by_key_implILNS1_25lookback_scan_determinismE0ELb0ES3_N6thrust23THRUST_200600_302600_NS6detail15normal_iteratorINS9_10device_ptrIiEEEENSB_INSC_IjEEEESG_jNS9_4plusIvEENS9_8equal_toIvEEjEE10hipError_tPvRmT2_T3_T4_T5_mT6_T7_P12ihipStream_tbENKUlT_T0_E_clISt17integral_constantIbLb1EES10_IbLb0EEEEDaSW_SX_EUlSW_E_NS1_11comp_targetILNS1_3genE3ELNS1_11target_archE908ELNS1_3gpuE7ELNS1_3repE0EEENS1_30default_config_static_selectorELNS0_4arch9wavefront6targetE0EEEvT1_.num_named_barrier, 0
	.set _ZN7rocprim17ROCPRIM_400000_NS6detail17trampoline_kernelINS0_14default_configENS1_27scan_by_key_config_selectorIijEEZZNS1_16scan_by_key_implILNS1_25lookback_scan_determinismE0ELb0ES3_N6thrust23THRUST_200600_302600_NS6detail15normal_iteratorINS9_10device_ptrIiEEEENSB_INSC_IjEEEESG_jNS9_4plusIvEENS9_8equal_toIvEEjEE10hipError_tPvRmT2_T3_T4_T5_mT6_T7_P12ihipStream_tbENKUlT_T0_E_clISt17integral_constantIbLb1EES10_IbLb0EEEEDaSW_SX_EUlSW_E_NS1_11comp_targetILNS1_3genE3ELNS1_11target_archE908ELNS1_3gpuE7ELNS1_3repE0EEENS1_30default_config_static_selectorELNS0_4arch9wavefront6targetE0EEEvT1_.private_seg_size, 0
	.set _ZN7rocprim17ROCPRIM_400000_NS6detail17trampoline_kernelINS0_14default_configENS1_27scan_by_key_config_selectorIijEEZZNS1_16scan_by_key_implILNS1_25lookback_scan_determinismE0ELb0ES3_N6thrust23THRUST_200600_302600_NS6detail15normal_iteratorINS9_10device_ptrIiEEEENSB_INSC_IjEEEESG_jNS9_4plusIvEENS9_8equal_toIvEEjEE10hipError_tPvRmT2_T3_T4_T5_mT6_T7_P12ihipStream_tbENKUlT_T0_E_clISt17integral_constantIbLb1EES10_IbLb0EEEEDaSW_SX_EUlSW_E_NS1_11comp_targetILNS1_3genE3ELNS1_11target_archE908ELNS1_3gpuE7ELNS1_3repE0EEENS1_30default_config_static_selectorELNS0_4arch9wavefront6targetE0EEEvT1_.uses_vcc, 0
	.set _ZN7rocprim17ROCPRIM_400000_NS6detail17trampoline_kernelINS0_14default_configENS1_27scan_by_key_config_selectorIijEEZZNS1_16scan_by_key_implILNS1_25lookback_scan_determinismE0ELb0ES3_N6thrust23THRUST_200600_302600_NS6detail15normal_iteratorINS9_10device_ptrIiEEEENSB_INSC_IjEEEESG_jNS9_4plusIvEENS9_8equal_toIvEEjEE10hipError_tPvRmT2_T3_T4_T5_mT6_T7_P12ihipStream_tbENKUlT_T0_E_clISt17integral_constantIbLb1EES10_IbLb0EEEEDaSW_SX_EUlSW_E_NS1_11comp_targetILNS1_3genE3ELNS1_11target_archE908ELNS1_3gpuE7ELNS1_3repE0EEENS1_30default_config_static_selectorELNS0_4arch9wavefront6targetE0EEEvT1_.uses_flat_scratch, 0
	.set _ZN7rocprim17ROCPRIM_400000_NS6detail17trampoline_kernelINS0_14default_configENS1_27scan_by_key_config_selectorIijEEZZNS1_16scan_by_key_implILNS1_25lookback_scan_determinismE0ELb0ES3_N6thrust23THRUST_200600_302600_NS6detail15normal_iteratorINS9_10device_ptrIiEEEENSB_INSC_IjEEEESG_jNS9_4plusIvEENS9_8equal_toIvEEjEE10hipError_tPvRmT2_T3_T4_T5_mT6_T7_P12ihipStream_tbENKUlT_T0_E_clISt17integral_constantIbLb1EES10_IbLb0EEEEDaSW_SX_EUlSW_E_NS1_11comp_targetILNS1_3genE3ELNS1_11target_archE908ELNS1_3gpuE7ELNS1_3repE0EEENS1_30default_config_static_selectorELNS0_4arch9wavefront6targetE0EEEvT1_.has_dyn_sized_stack, 0
	.set _ZN7rocprim17ROCPRIM_400000_NS6detail17trampoline_kernelINS0_14default_configENS1_27scan_by_key_config_selectorIijEEZZNS1_16scan_by_key_implILNS1_25lookback_scan_determinismE0ELb0ES3_N6thrust23THRUST_200600_302600_NS6detail15normal_iteratorINS9_10device_ptrIiEEEENSB_INSC_IjEEEESG_jNS9_4plusIvEENS9_8equal_toIvEEjEE10hipError_tPvRmT2_T3_T4_T5_mT6_T7_P12ihipStream_tbENKUlT_T0_E_clISt17integral_constantIbLb1EES10_IbLb0EEEEDaSW_SX_EUlSW_E_NS1_11comp_targetILNS1_3genE3ELNS1_11target_archE908ELNS1_3gpuE7ELNS1_3repE0EEENS1_30default_config_static_selectorELNS0_4arch9wavefront6targetE0EEEvT1_.has_recursion, 0
	.set _ZN7rocprim17ROCPRIM_400000_NS6detail17trampoline_kernelINS0_14default_configENS1_27scan_by_key_config_selectorIijEEZZNS1_16scan_by_key_implILNS1_25lookback_scan_determinismE0ELb0ES3_N6thrust23THRUST_200600_302600_NS6detail15normal_iteratorINS9_10device_ptrIiEEEENSB_INSC_IjEEEESG_jNS9_4plusIvEENS9_8equal_toIvEEjEE10hipError_tPvRmT2_T3_T4_T5_mT6_T7_P12ihipStream_tbENKUlT_T0_E_clISt17integral_constantIbLb1EES10_IbLb0EEEEDaSW_SX_EUlSW_E_NS1_11comp_targetILNS1_3genE3ELNS1_11target_archE908ELNS1_3gpuE7ELNS1_3repE0EEENS1_30default_config_static_selectorELNS0_4arch9wavefront6targetE0EEEvT1_.has_indirect_call, 0
	.section	.AMDGPU.csdata,"",@progbits
; Kernel info:
; codeLenInByte = 0
; TotalNumSgprs: 0
; NumVgprs: 0
; ScratchSize: 0
; MemoryBound: 0
; FloatMode: 240
; IeeeMode: 1
; LDSByteSize: 0 bytes/workgroup (compile time only)
; SGPRBlocks: 0
; VGPRBlocks: 0
; NumSGPRsForWavesPerEU: 1
; NumVGPRsForWavesPerEU: 1
; NamedBarCnt: 0
; Occupancy: 16
; WaveLimiterHint : 0
; COMPUTE_PGM_RSRC2:SCRATCH_EN: 0
; COMPUTE_PGM_RSRC2:USER_SGPR: 2
; COMPUTE_PGM_RSRC2:TRAP_HANDLER: 0
; COMPUTE_PGM_RSRC2:TGID_X_EN: 1
; COMPUTE_PGM_RSRC2:TGID_Y_EN: 0
; COMPUTE_PGM_RSRC2:TGID_Z_EN: 0
; COMPUTE_PGM_RSRC2:TIDIG_COMP_CNT: 0
	.section	.text._ZN7rocprim17ROCPRIM_400000_NS6detail17trampoline_kernelINS0_14default_configENS1_27scan_by_key_config_selectorIijEEZZNS1_16scan_by_key_implILNS1_25lookback_scan_determinismE0ELb0ES3_N6thrust23THRUST_200600_302600_NS6detail15normal_iteratorINS9_10device_ptrIiEEEENSB_INSC_IjEEEESG_jNS9_4plusIvEENS9_8equal_toIvEEjEE10hipError_tPvRmT2_T3_T4_T5_mT6_T7_P12ihipStream_tbENKUlT_T0_E_clISt17integral_constantIbLb1EES10_IbLb0EEEEDaSW_SX_EUlSW_E_NS1_11comp_targetILNS1_3genE2ELNS1_11target_archE906ELNS1_3gpuE6ELNS1_3repE0EEENS1_30default_config_static_selectorELNS0_4arch9wavefront6targetE0EEEvT1_,"axG",@progbits,_ZN7rocprim17ROCPRIM_400000_NS6detail17trampoline_kernelINS0_14default_configENS1_27scan_by_key_config_selectorIijEEZZNS1_16scan_by_key_implILNS1_25lookback_scan_determinismE0ELb0ES3_N6thrust23THRUST_200600_302600_NS6detail15normal_iteratorINS9_10device_ptrIiEEEENSB_INSC_IjEEEESG_jNS9_4plusIvEENS9_8equal_toIvEEjEE10hipError_tPvRmT2_T3_T4_T5_mT6_T7_P12ihipStream_tbENKUlT_T0_E_clISt17integral_constantIbLb1EES10_IbLb0EEEEDaSW_SX_EUlSW_E_NS1_11comp_targetILNS1_3genE2ELNS1_11target_archE906ELNS1_3gpuE6ELNS1_3repE0EEENS1_30default_config_static_selectorELNS0_4arch9wavefront6targetE0EEEvT1_,comdat
	.protected	_ZN7rocprim17ROCPRIM_400000_NS6detail17trampoline_kernelINS0_14default_configENS1_27scan_by_key_config_selectorIijEEZZNS1_16scan_by_key_implILNS1_25lookback_scan_determinismE0ELb0ES3_N6thrust23THRUST_200600_302600_NS6detail15normal_iteratorINS9_10device_ptrIiEEEENSB_INSC_IjEEEESG_jNS9_4plusIvEENS9_8equal_toIvEEjEE10hipError_tPvRmT2_T3_T4_T5_mT6_T7_P12ihipStream_tbENKUlT_T0_E_clISt17integral_constantIbLb1EES10_IbLb0EEEEDaSW_SX_EUlSW_E_NS1_11comp_targetILNS1_3genE2ELNS1_11target_archE906ELNS1_3gpuE6ELNS1_3repE0EEENS1_30default_config_static_selectorELNS0_4arch9wavefront6targetE0EEEvT1_ ; -- Begin function _ZN7rocprim17ROCPRIM_400000_NS6detail17trampoline_kernelINS0_14default_configENS1_27scan_by_key_config_selectorIijEEZZNS1_16scan_by_key_implILNS1_25lookback_scan_determinismE0ELb0ES3_N6thrust23THRUST_200600_302600_NS6detail15normal_iteratorINS9_10device_ptrIiEEEENSB_INSC_IjEEEESG_jNS9_4plusIvEENS9_8equal_toIvEEjEE10hipError_tPvRmT2_T3_T4_T5_mT6_T7_P12ihipStream_tbENKUlT_T0_E_clISt17integral_constantIbLb1EES10_IbLb0EEEEDaSW_SX_EUlSW_E_NS1_11comp_targetILNS1_3genE2ELNS1_11target_archE906ELNS1_3gpuE6ELNS1_3repE0EEENS1_30default_config_static_selectorELNS0_4arch9wavefront6targetE0EEEvT1_
	.globl	_ZN7rocprim17ROCPRIM_400000_NS6detail17trampoline_kernelINS0_14default_configENS1_27scan_by_key_config_selectorIijEEZZNS1_16scan_by_key_implILNS1_25lookback_scan_determinismE0ELb0ES3_N6thrust23THRUST_200600_302600_NS6detail15normal_iteratorINS9_10device_ptrIiEEEENSB_INSC_IjEEEESG_jNS9_4plusIvEENS9_8equal_toIvEEjEE10hipError_tPvRmT2_T3_T4_T5_mT6_T7_P12ihipStream_tbENKUlT_T0_E_clISt17integral_constantIbLb1EES10_IbLb0EEEEDaSW_SX_EUlSW_E_NS1_11comp_targetILNS1_3genE2ELNS1_11target_archE906ELNS1_3gpuE6ELNS1_3repE0EEENS1_30default_config_static_selectorELNS0_4arch9wavefront6targetE0EEEvT1_
	.p2align	8
	.type	_ZN7rocprim17ROCPRIM_400000_NS6detail17trampoline_kernelINS0_14default_configENS1_27scan_by_key_config_selectorIijEEZZNS1_16scan_by_key_implILNS1_25lookback_scan_determinismE0ELb0ES3_N6thrust23THRUST_200600_302600_NS6detail15normal_iteratorINS9_10device_ptrIiEEEENSB_INSC_IjEEEESG_jNS9_4plusIvEENS9_8equal_toIvEEjEE10hipError_tPvRmT2_T3_T4_T5_mT6_T7_P12ihipStream_tbENKUlT_T0_E_clISt17integral_constantIbLb1EES10_IbLb0EEEEDaSW_SX_EUlSW_E_NS1_11comp_targetILNS1_3genE2ELNS1_11target_archE906ELNS1_3gpuE6ELNS1_3repE0EEENS1_30default_config_static_selectorELNS0_4arch9wavefront6targetE0EEEvT1_,@function
_ZN7rocprim17ROCPRIM_400000_NS6detail17trampoline_kernelINS0_14default_configENS1_27scan_by_key_config_selectorIijEEZZNS1_16scan_by_key_implILNS1_25lookback_scan_determinismE0ELb0ES3_N6thrust23THRUST_200600_302600_NS6detail15normal_iteratorINS9_10device_ptrIiEEEENSB_INSC_IjEEEESG_jNS9_4plusIvEENS9_8equal_toIvEEjEE10hipError_tPvRmT2_T3_T4_T5_mT6_T7_P12ihipStream_tbENKUlT_T0_E_clISt17integral_constantIbLb1EES10_IbLb0EEEEDaSW_SX_EUlSW_E_NS1_11comp_targetILNS1_3genE2ELNS1_11target_archE906ELNS1_3gpuE6ELNS1_3repE0EEENS1_30default_config_static_selectorELNS0_4arch9wavefront6targetE0EEEvT1_: ; @_ZN7rocprim17ROCPRIM_400000_NS6detail17trampoline_kernelINS0_14default_configENS1_27scan_by_key_config_selectorIijEEZZNS1_16scan_by_key_implILNS1_25lookback_scan_determinismE0ELb0ES3_N6thrust23THRUST_200600_302600_NS6detail15normal_iteratorINS9_10device_ptrIiEEEENSB_INSC_IjEEEESG_jNS9_4plusIvEENS9_8equal_toIvEEjEE10hipError_tPvRmT2_T3_T4_T5_mT6_T7_P12ihipStream_tbENKUlT_T0_E_clISt17integral_constantIbLb1EES10_IbLb0EEEEDaSW_SX_EUlSW_E_NS1_11comp_targetILNS1_3genE2ELNS1_11target_archE906ELNS1_3gpuE6ELNS1_3repE0EEENS1_30default_config_static_selectorELNS0_4arch9wavefront6targetE0EEEvT1_
; %bb.0:
	.section	.rodata,"a",@progbits
	.p2align	6, 0x0
	.amdhsa_kernel _ZN7rocprim17ROCPRIM_400000_NS6detail17trampoline_kernelINS0_14default_configENS1_27scan_by_key_config_selectorIijEEZZNS1_16scan_by_key_implILNS1_25lookback_scan_determinismE0ELb0ES3_N6thrust23THRUST_200600_302600_NS6detail15normal_iteratorINS9_10device_ptrIiEEEENSB_INSC_IjEEEESG_jNS9_4plusIvEENS9_8equal_toIvEEjEE10hipError_tPvRmT2_T3_T4_T5_mT6_T7_P12ihipStream_tbENKUlT_T0_E_clISt17integral_constantIbLb1EES10_IbLb0EEEEDaSW_SX_EUlSW_E_NS1_11comp_targetILNS1_3genE2ELNS1_11target_archE906ELNS1_3gpuE6ELNS1_3repE0EEENS1_30default_config_static_selectorELNS0_4arch9wavefront6targetE0EEEvT1_
		.amdhsa_group_segment_fixed_size 0
		.amdhsa_private_segment_fixed_size 0
		.amdhsa_kernarg_size 112
		.amdhsa_user_sgpr_count 2
		.amdhsa_user_sgpr_dispatch_ptr 0
		.amdhsa_user_sgpr_queue_ptr 0
		.amdhsa_user_sgpr_kernarg_segment_ptr 1
		.amdhsa_user_sgpr_dispatch_id 0
		.amdhsa_user_sgpr_kernarg_preload_length 0
		.amdhsa_user_sgpr_kernarg_preload_offset 0
		.amdhsa_user_sgpr_private_segment_size 0
		.amdhsa_wavefront_size32 1
		.amdhsa_uses_dynamic_stack 0
		.amdhsa_enable_private_segment 0
		.amdhsa_system_sgpr_workgroup_id_x 1
		.amdhsa_system_sgpr_workgroup_id_y 0
		.amdhsa_system_sgpr_workgroup_id_z 0
		.amdhsa_system_sgpr_workgroup_info 0
		.amdhsa_system_vgpr_workitem_id 0
		.amdhsa_next_free_vgpr 1
		.amdhsa_next_free_sgpr 1
		.amdhsa_named_barrier_count 0
		.amdhsa_reserve_vcc 0
		.amdhsa_float_round_mode_32 0
		.amdhsa_float_round_mode_16_64 0
		.amdhsa_float_denorm_mode_32 3
		.amdhsa_float_denorm_mode_16_64 3
		.amdhsa_fp16_overflow 0
		.amdhsa_memory_ordered 1
		.amdhsa_forward_progress 1
		.amdhsa_inst_pref_size 0
		.amdhsa_round_robin_scheduling 0
		.amdhsa_exception_fp_ieee_invalid_op 0
		.amdhsa_exception_fp_denorm_src 0
		.amdhsa_exception_fp_ieee_div_zero 0
		.amdhsa_exception_fp_ieee_overflow 0
		.amdhsa_exception_fp_ieee_underflow 0
		.amdhsa_exception_fp_ieee_inexact 0
		.amdhsa_exception_int_div_zero 0
	.end_amdhsa_kernel
	.section	.text._ZN7rocprim17ROCPRIM_400000_NS6detail17trampoline_kernelINS0_14default_configENS1_27scan_by_key_config_selectorIijEEZZNS1_16scan_by_key_implILNS1_25lookback_scan_determinismE0ELb0ES3_N6thrust23THRUST_200600_302600_NS6detail15normal_iteratorINS9_10device_ptrIiEEEENSB_INSC_IjEEEESG_jNS9_4plusIvEENS9_8equal_toIvEEjEE10hipError_tPvRmT2_T3_T4_T5_mT6_T7_P12ihipStream_tbENKUlT_T0_E_clISt17integral_constantIbLb1EES10_IbLb0EEEEDaSW_SX_EUlSW_E_NS1_11comp_targetILNS1_3genE2ELNS1_11target_archE906ELNS1_3gpuE6ELNS1_3repE0EEENS1_30default_config_static_selectorELNS0_4arch9wavefront6targetE0EEEvT1_,"axG",@progbits,_ZN7rocprim17ROCPRIM_400000_NS6detail17trampoline_kernelINS0_14default_configENS1_27scan_by_key_config_selectorIijEEZZNS1_16scan_by_key_implILNS1_25lookback_scan_determinismE0ELb0ES3_N6thrust23THRUST_200600_302600_NS6detail15normal_iteratorINS9_10device_ptrIiEEEENSB_INSC_IjEEEESG_jNS9_4plusIvEENS9_8equal_toIvEEjEE10hipError_tPvRmT2_T3_T4_T5_mT6_T7_P12ihipStream_tbENKUlT_T0_E_clISt17integral_constantIbLb1EES10_IbLb0EEEEDaSW_SX_EUlSW_E_NS1_11comp_targetILNS1_3genE2ELNS1_11target_archE906ELNS1_3gpuE6ELNS1_3repE0EEENS1_30default_config_static_selectorELNS0_4arch9wavefront6targetE0EEEvT1_,comdat
.Lfunc_end1248:
	.size	_ZN7rocprim17ROCPRIM_400000_NS6detail17trampoline_kernelINS0_14default_configENS1_27scan_by_key_config_selectorIijEEZZNS1_16scan_by_key_implILNS1_25lookback_scan_determinismE0ELb0ES3_N6thrust23THRUST_200600_302600_NS6detail15normal_iteratorINS9_10device_ptrIiEEEENSB_INSC_IjEEEESG_jNS9_4plusIvEENS9_8equal_toIvEEjEE10hipError_tPvRmT2_T3_T4_T5_mT6_T7_P12ihipStream_tbENKUlT_T0_E_clISt17integral_constantIbLb1EES10_IbLb0EEEEDaSW_SX_EUlSW_E_NS1_11comp_targetILNS1_3genE2ELNS1_11target_archE906ELNS1_3gpuE6ELNS1_3repE0EEENS1_30default_config_static_selectorELNS0_4arch9wavefront6targetE0EEEvT1_, .Lfunc_end1248-_ZN7rocprim17ROCPRIM_400000_NS6detail17trampoline_kernelINS0_14default_configENS1_27scan_by_key_config_selectorIijEEZZNS1_16scan_by_key_implILNS1_25lookback_scan_determinismE0ELb0ES3_N6thrust23THRUST_200600_302600_NS6detail15normal_iteratorINS9_10device_ptrIiEEEENSB_INSC_IjEEEESG_jNS9_4plusIvEENS9_8equal_toIvEEjEE10hipError_tPvRmT2_T3_T4_T5_mT6_T7_P12ihipStream_tbENKUlT_T0_E_clISt17integral_constantIbLb1EES10_IbLb0EEEEDaSW_SX_EUlSW_E_NS1_11comp_targetILNS1_3genE2ELNS1_11target_archE906ELNS1_3gpuE6ELNS1_3repE0EEENS1_30default_config_static_selectorELNS0_4arch9wavefront6targetE0EEEvT1_
                                        ; -- End function
	.set _ZN7rocprim17ROCPRIM_400000_NS6detail17trampoline_kernelINS0_14default_configENS1_27scan_by_key_config_selectorIijEEZZNS1_16scan_by_key_implILNS1_25lookback_scan_determinismE0ELb0ES3_N6thrust23THRUST_200600_302600_NS6detail15normal_iteratorINS9_10device_ptrIiEEEENSB_INSC_IjEEEESG_jNS9_4plusIvEENS9_8equal_toIvEEjEE10hipError_tPvRmT2_T3_T4_T5_mT6_T7_P12ihipStream_tbENKUlT_T0_E_clISt17integral_constantIbLb1EES10_IbLb0EEEEDaSW_SX_EUlSW_E_NS1_11comp_targetILNS1_3genE2ELNS1_11target_archE906ELNS1_3gpuE6ELNS1_3repE0EEENS1_30default_config_static_selectorELNS0_4arch9wavefront6targetE0EEEvT1_.num_vgpr, 0
	.set _ZN7rocprim17ROCPRIM_400000_NS6detail17trampoline_kernelINS0_14default_configENS1_27scan_by_key_config_selectorIijEEZZNS1_16scan_by_key_implILNS1_25lookback_scan_determinismE0ELb0ES3_N6thrust23THRUST_200600_302600_NS6detail15normal_iteratorINS9_10device_ptrIiEEEENSB_INSC_IjEEEESG_jNS9_4plusIvEENS9_8equal_toIvEEjEE10hipError_tPvRmT2_T3_T4_T5_mT6_T7_P12ihipStream_tbENKUlT_T0_E_clISt17integral_constantIbLb1EES10_IbLb0EEEEDaSW_SX_EUlSW_E_NS1_11comp_targetILNS1_3genE2ELNS1_11target_archE906ELNS1_3gpuE6ELNS1_3repE0EEENS1_30default_config_static_selectorELNS0_4arch9wavefront6targetE0EEEvT1_.num_agpr, 0
	.set _ZN7rocprim17ROCPRIM_400000_NS6detail17trampoline_kernelINS0_14default_configENS1_27scan_by_key_config_selectorIijEEZZNS1_16scan_by_key_implILNS1_25lookback_scan_determinismE0ELb0ES3_N6thrust23THRUST_200600_302600_NS6detail15normal_iteratorINS9_10device_ptrIiEEEENSB_INSC_IjEEEESG_jNS9_4plusIvEENS9_8equal_toIvEEjEE10hipError_tPvRmT2_T3_T4_T5_mT6_T7_P12ihipStream_tbENKUlT_T0_E_clISt17integral_constantIbLb1EES10_IbLb0EEEEDaSW_SX_EUlSW_E_NS1_11comp_targetILNS1_3genE2ELNS1_11target_archE906ELNS1_3gpuE6ELNS1_3repE0EEENS1_30default_config_static_selectorELNS0_4arch9wavefront6targetE0EEEvT1_.numbered_sgpr, 0
	.set _ZN7rocprim17ROCPRIM_400000_NS6detail17trampoline_kernelINS0_14default_configENS1_27scan_by_key_config_selectorIijEEZZNS1_16scan_by_key_implILNS1_25lookback_scan_determinismE0ELb0ES3_N6thrust23THRUST_200600_302600_NS6detail15normal_iteratorINS9_10device_ptrIiEEEENSB_INSC_IjEEEESG_jNS9_4plusIvEENS9_8equal_toIvEEjEE10hipError_tPvRmT2_T3_T4_T5_mT6_T7_P12ihipStream_tbENKUlT_T0_E_clISt17integral_constantIbLb1EES10_IbLb0EEEEDaSW_SX_EUlSW_E_NS1_11comp_targetILNS1_3genE2ELNS1_11target_archE906ELNS1_3gpuE6ELNS1_3repE0EEENS1_30default_config_static_selectorELNS0_4arch9wavefront6targetE0EEEvT1_.num_named_barrier, 0
	.set _ZN7rocprim17ROCPRIM_400000_NS6detail17trampoline_kernelINS0_14default_configENS1_27scan_by_key_config_selectorIijEEZZNS1_16scan_by_key_implILNS1_25lookback_scan_determinismE0ELb0ES3_N6thrust23THRUST_200600_302600_NS6detail15normal_iteratorINS9_10device_ptrIiEEEENSB_INSC_IjEEEESG_jNS9_4plusIvEENS9_8equal_toIvEEjEE10hipError_tPvRmT2_T3_T4_T5_mT6_T7_P12ihipStream_tbENKUlT_T0_E_clISt17integral_constantIbLb1EES10_IbLb0EEEEDaSW_SX_EUlSW_E_NS1_11comp_targetILNS1_3genE2ELNS1_11target_archE906ELNS1_3gpuE6ELNS1_3repE0EEENS1_30default_config_static_selectorELNS0_4arch9wavefront6targetE0EEEvT1_.private_seg_size, 0
	.set _ZN7rocprim17ROCPRIM_400000_NS6detail17trampoline_kernelINS0_14default_configENS1_27scan_by_key_config_selectorIijEEZZNS1_16scan_by_key_implILNS1_25lookback_scan_determinismE0ELb0ES3_N6thrust23THRUST_200600_302600_NS6detail15normal_iteratorINS9_10device_ptrIiEEEENSB_INSC_IjEEEESG_jNS9_4plusIvEENS9_8equal_toIvEEjEE10hipError_tPvRmT2_T3_T4_T5_mT6_T7_P12ihipStream_tbENKUlT_T0_E_clISt17integral_constantIbLb1EES10_IbLb0EEEEDaSW_SX_EUlSW_E_NS1_11comp_targetILNS1_3genE2ELNS1_11target_archE906ELNS1_3gpuE6ELNS1_3repE0EEENS1_30default_config_static_selectorELNS0_4arch9wavefront6targetE0EEEvT1_.uses_vcc, 0
	.set _ZN7rocprim17ROCPRIM_400000_NS6detail17trampoline_kernelINS0_14default_configENS1_27scan_by_key_config_selectorIijEEZZNS1_16scan_by_key_implILNS1_25lookback_scan_determinismE0ELb0ES3_N6thrust23THRUST_200600_302600_NS6detail15normal_iteratorINS9_10device_ptrIiEEEENSB_INSC_IjEEEESG_jNS9_4plusIvEENS9_8equal_toIvEEjEE10hipError_tPvRmT2_T3_T4_T5_mT6_T7_P12ihipStream_tbENKUlT_T0_E_clISt17integral_constantIbLb1EES10_IbLb0EEEEDaSW_SX_EUlSW_E_NS1_11comp_targetILNS1_3genE2ELNS1_11target_archE906ELNS1_3gpuE6ELNS1_3repE0EEENS1_30default_config_static_selectorELNS0_4arch9wavefront6targetE0EEEvT1_.uses_flat_scratch, 0
	.set _ZN7rocprim17ROCPRIM_400000_NS6detail17trampoline_kernelINS0_14default_configENS1_27scan_by_key_config_selectorIijEEZZNS1_16scan_by_key_implILNS1_25lookback_scan_determinismE0ELb0ES3_N6thrust23THRUST_200600_302600_NS6detail15normal_iteratorINS9_10device_ptrIiEEEENSB_INSC_IjEEEESG_jNS9_4plusIvEENS9_8equal_toIvEEjEE10hipError_tPvRmT2_T3_T4_T5_mT6_T7_P12ihipStream_tbENKUlT_T0_E_clISt17integral_constantIbLb1EES10_IbLb0EEEEDaSW_SX_EUlSW_E_NS1_11comp_targetILNS1_3genE2ELNS1_11target_archE906ELNS1_3gpuE6ELNS1_3repE0EEENS1_30default_config_static_selectorELNS0_4arch9wavefront6targetE0EEEvT1_.has_dyn_sized_stack, 0
	.set _ZN7rocprim17ROCPRIM_400000_NS6detail17trampoline_kernelINS0_14default_configENS1_27scan_by_key_config_selectorIijEEZZNS1_16scan_by_key_implILNS1_25lookback_scan_determinismE0ELb0ES3_N6thrust23THRUST_200600_302600_NS6detail15normal_iteratorINS9_10device_ptrIiEEEENSB_INSC_IjEEEESG_jNS9_4plusIvEENS9_8equal_toIvEEjEE10hipError_tPvRmT2_T3_T4_T5_mT6_T7_P12ihipStream_tbENKUlT_T0_E_clISt17integral_constantIbLb1EES10_IbLb0EEEEDaSW_SX_EUlSW_E_NS1_11comp_targetILNS1_3genE2ELNS1_11target_archE906ELNS1_3gpuE6ELNS1_3repE0EEENS1_30default_config_static_selectorELNS0_4arch9wavefront6targetE0EEEvT1_.has_recursion, 0
	.set _ZN7rocprim17ROCPRIM_400000_NS6detail17trampoline_kernelINS0_14default_configENS1_27scan_by_key_config_selectorIijEEZZNS1_16scan_by_key_implILNS1_25lookback_scan_determinismE0ELb0ES3_N6thrust23THRUST_200600_302600_NS6detail15normal_iteratorINS9_10device_ptrIiEEEENSB_INSC_IjEEEESG_jNS9_4plusIvEENS9_8equal_toIvEEjEE10hipError_tPvRmT2_T3_T4_T5_mT6_T7_P12ihipStream_tbENKUlT_T0_E_clISt17integral_constantIbLb1EES10_IbLb0EEEEDaSW_SX_EUlSW_E_NS1_11comp_targetILNS1_3genE2ELNS1_11target_archE906ELNS1_3gpuE6ELNS1_3repE0EEENS1_30default_config_static_selectorELNS0_4arch9wavefront6targetE0EEEvT1_.has_indirect_call, 0
	.section	.AMDGPU.csdata,"",@progbits
; Kernel info:
; codeLenInByte = 0
; TotalNumSgprs: 0
; NumVgprs: 0
; ScratchSize: 0
; MemoryBound: 0
; FloatMode: 240
; IeeeMode: 1
; LDSByteSize: 0 bytes/workgroup (compile time only)
; SGPRBlocks: 0
; VGPRBlocks: 0
; NumSGPRsForWavesPerEU: 1
; NumVGPRsForWavesPerEU: 1
; NamedBarCnt: 0
; Occupancy: 16
; WaveLimiterHint : 0
; COMPUTE_PGM_RSRC2:SCRATCH_EN: 0
; COMPUTE_PGM_RSRC2:USER_SGPR: 2
; COMPUTE_PGM_RSRC2:TRAP_HANDLER: 0
; COMPUTE_PGM_RSRC2:TGID_X_EN: 1
; COMPUTE_PGM_RSRC2:TGID_Y_EN: 0
; COMPUTE_PGM_RSRC2:TGID_Z_EN: 0
; COMPUTE_PGM_RSRC2:TIDIG_COMP_CNT: 0
	.section	.text._ZN7rocprim17ROCPRIM_400000_NS6detail17trampoline_kernelINS0_14default_configENS1_27scan_by_key_config_selectorIijEEZZNS1_16scan_by_key_implILNS1_25lookback_scan_determinismE0ELb0ES3_N6thrust23THRUST_200600_302600_NS6detail15normal_iteratorINS9_10device_ptrIiEEEENSB_INSC_IjEEEESG_jNS9_4plusIvEENS9_8equal_toIvEEjEE10hipError_tPvRmT2_T3_T4_T5_mT6_T7_P12ihipStream_tbENKUlT_T0_E_clISt17integral_constantIbLb1EES10_IbLb0EEEEDaSW_SX_EUlSW_E_NS1_11comp_targetILNS1_3genE10ELNS1_11target_archE1200ELNS1_3gpuE4ELNS1_3repE0EEENS1_30default_config_static_selectorELNS0_4arch9wavefront6targetE0EEEvT1_,"axG",@progbits,_ZN7rocprim17ROCPRIM_400000_NS6detail17trampoline_kernelINS0_14default_configENS1_27scan_by_key_config_selectorIijEEZZNS1_16scan_by_key_implILNS1_25lookback_scan_determinismE0ELb0ES3_N6thrust23THRUST_200600_302600_NS6detail15normal_iteratorINS9_10device_ptrIiEEEENSB_INSC_IjEEEESG_jNS9_4plusIvEENS9_8equal_toIvEEjEE10hipError_tPvRmT2_T3_T4_T5_mT6_T7_P12ihipStream_tbENKUlT_T0_E_clISt17integral_constantIbLb1EES10_IbLb0EEEEDaSW_SX_EUlSW_E_NS1_11comp_targetILNS1_3genE10ELNS1_11target_archE1200ELNS1_3gpuE4ELNS1_3repE0EEENS1_30default_config_static_selectorELNS0_4arch9wavefront6targetE0EEEvT1_,comdat
	.protected	_ZN7rocprim17ROCPRIM_400000_NS6detail17trampoline_kernelINS0_14default_configENS1_27scan_by_key_config_selectorIijEEZZNS1_16scan_by_key_implILNS1_25lookback_scan_determinismE0ELb0ES3_N6thrust23THRUST_200600_302600_NS6detail15normal_iteratorINS9_10device_ptrIiEEEENSB_INSC_IjEEEESG_jNS9_4plusIvEENS9_8equal_toIvEEjEE10hipError_tPvRmT2_T3_T4_T5_mT6_T7_P12ihipStream_tbENKUlT_T0_E_clISt17integral_constantIbLb1EES10_IbLb0EEEEDaSW_SX_EUlSW_E_NS1_11comp_targetILNS1_3genE10ELNS1_11target_archE1200ELNS1_3gpuE4ELNS1_3repE0EEENS1_30default_config_static_selectorELNS0_4arch9wavefront6targetE0EEEvT1_ ; -- Begin function _ZN7rocprim17ROCPRIM_400000_NS6detail17trampoline_kernelINS0_14default_configENS1_27scan_by_key_config_selectorIijEEZZNS1_16scan_by_key_implILNS1_25lookback_scan_determinismE0ELb0ES3_N6thrust23THRUST_200600_302600_NS6detail15normal_iteratorINS9_10device_ptrIiEEEENSB_INSC_IjEEEESG_jNS9_4plusIvEENS9_8equal_toIvEEjEE10hipError_tPvRmT2_T3_T4_T5_mT6_T7_P12ihipStream_tbENKUlT_T0_E_clISt17integral_constantIbLb1EES10_IbLb0EEEEDaSW_SX_EUlSW_E_NS1_11comp_targetILNS1_3genE10ELNS1_11target_archE1200ELNS1_3gpuE4ELNS1_3repE0EEENS1_30default_config_static_selectorELNS0_4arch9wavefront6targetE0EEEvT1_
	.globl	_ZN7rocprim17ROCPRIM_400000_NS6detail17trampoline_kernelINS0_14default_configENS1_27scan_by_key_config_selectorIijEEZZNS1_16scan_by_key_implILNS1_25lookback_scan_determinismE0ELb0ES3_N6thrust23THRUST_200600_302600_NS6detail15normal_iteratorINS9_10device_ptrIiEEEENSB_INSC_IjEEEESG_jNS9_4plusIvEENS9_8equal_toIvEEjEE10hipError_tPvRmT2_T3_T4_T5_mT6_T7_P12ihipStream_tbENKUlT_T0_E_clISt17integral_constantIbLb1EES10_IbLb0EEEEDaSW_SX_EUlSW_E_NS1_11comp_targetILNS1_3genE10ELNS1_11target_archE1200ELNS1_3gpuE4ELNS1_3repE0EEENS1_30default_config_static_selectorELNS0_4arch9wavefront6targetE0EEEvT1_
	.p2align	8
	.type	_ZN7rocprim17ROCPRIM_400000_NS6detail17trampoline_kernelINS0_14default_configENS1_27scan_by_key_config_selectorIijEEZZNS1_16scan_by_key_implILNS1_25lookback_scan_determinismE0ELb0ES3_N6thrust23THRUST_200600_302600_NS6detail15normal_iteratorINS9_10device_ptrIiEEEENSB_INSC_IjEEEESG_jNS9_4plusIvEENS9_8equal_toIvEEjEE10hipError_tPvRmT2_T3_T4_T5_mT6_T7_P12ihipStream_tbENKUlT_T0_E_clISt17integral_constantIbLb1EES10_IbLb0EEEEDaSW_SX_EUlSW_E_NS1_11comp_targetILNS1_3genE10ELNS1_11target_archE1200ELNS1_3gpuE4ELNS1_3repE0EEENS1_30default_config_static_selectorELNS0_4arch9wavefront6targetE0EEEvT1_,@function
_ZN7rocprim17ROCPRIM_400000_NS6detail17trampoline_kernelINS0_14default_configENS1_27scan_by_key_config_selectorIijEEZZNS1_16scan_by_key_implILNS1_25lookback_scan_determinismE0ELb0ES3_N6thrust23THRUST_200600_302600_NS6detail15normal_iteratorINS9_10device_ptrIiEEEENSB_INSC_IjEEEESG_jNS9_4plusIvEENS9_8equal_toIvEEjEE10hipError_tPvRmT2_T3_T4_T5_mT6_T7_P12ihipStream_tbENKUlT_T0_E_clISt17integral_constantIbLb1EES10_IbLb0EEEEDaSW_SX_EUlSW_E_NS1_11comp_targetILNS1_3genE10ELNS1_11target_archE1200ELNS1_3gpuE4ELNS1_3repE0EEENS1_30default_config_static_selectorELNS0_4arch9wavefront6targetE0EEEvT1_: ; @_ZN7rocprim17ROCPRIM_400000_NS6detail17trampoline_kernelINS0_14default_configENS1_27scan_by_key_config_selectorIijEEZZNS1_16scan_by_key_implILNS1_25lookback_scan_determinismE0ELb0ES3_N6thrust23THRUST_200600_302600_NS6detail15normal_iteratorINS9_10device_ptrIiEEEENSB_INSC_IjEEEESG_jNS9_4plusIvEENS9_8equal_toIvEEjEE10hipError_tPvRmT2_T3_T4_T5_mT6_T7_P12ihipStream_tbENKUlT_T0_E_clISt17integral_constantIbLb1EES10_IbLb0EEEEDaSW_SX_EUlSW_E_NS1_11comp_targetILNS1_3genE10ELNS1_11target_archE1200ELNS1_3gpuE4ELNS1_3repE0EEENS1_30default_config_static_selectorELNS0_4arch9wavefront6targetE0EEEvT1_
; %bb.0:
	.section	.rodata,"a",@progbits
	.p2align	6, 0x0
	.amdhsa_kernel _ZN7rocprim17ROCPRIM_400000_NS6detail17trampoline_kernelINS0_14default_configENS1_27scan_by_key_config_selectorIijEEZZNS1_16scan_by_key_implILNS1_25lookback_scan_determinismE0ELb0ES3_N6thrust23THRUST_200600_302600_NS6detail15normal_iteratorINS9_10device_ptrIiEEEENSB_INSC_IjEEEESG_jNS9_4plusIvEENS9_8equal_toIvEEjEE10hipError_tPvRmT2_T3_T4_T5_mT6_T7_P12ihipStream_tbENKUlT_T0_E_clISt17integral_constantIbLb1EES10_IbLb0EEEEDaSW_SX_EUlSW_E_NS1_11comp_targetILNS1_3genE10ELNS1_11target_archE1200ELNS1_3gpuE4ELNS1_3repE0EEENS1_30default_config_static_selectorELNS0_4arch9wavefront6targetE0EEEvT1_
		.amdhsa_group_segment_fixed_size 0
		.amdhsa_private_segment_fixed_size 0
		.amdhsa_kernarg_size 112
		.amdhsa_user_sgpr_count 2
		.amdhsa_user_sgpr_dispatch_ptr 0
		.amdhsa_user_sgpr_queue_ptr 0
		.amdhsa_user_sgpr_kernarg_segment_ptr 1
		.amdhsa_user_sgpr_dispatch_id 0
		.amdhsa_user_sgpr_kernarg_preload_length 0
		.amdhsa_user_sgpr_kernarg_preload_offset 0
		.amdhsa_user_sgpr_private_segment_size 0
		.amdhsa_wavefront_size32 1
		.amdhsa_uses_dynamic_stack 0
		.amdhsa_enable_private_segment 0
		.amdhsa_system_sgpr_workgroup_id_x 1
		.amdhsa_system_sgpr_workgroup_id_y 0
		.amdhsa_system_sgpr_workgroup_id_z 0
		.amdhsa_system_sgpr_workgroup_info 0
		.amdhsa_system_vgpr_workitem_id 0
		.amdhsa_next_free_vgpr 1
		.amdhsa_next_free_sgpr 1
		.amdhsa_named_barrier_count 0
		.amdhsa_reserve_vcc 0
		.amdhsa_float_round_mode_32 0
		.amdhsa_float_round_mode_16_64 0
		.amdhsa_float_denorm_mode_32 3
		.amdhsa_float_denorm_mode_16_64 3
		.amdhsa_fp16_overflow 0
		.amdhsa_memory_ordered 1
		.amdhsa_forward_progress 1
		.amdhsa_inst_pref_size 0
		.amdhsa_round_robin_scheduling 0
		.amdhsa_exception_fp_ieee_invalid_op 0
		.amdhsa_exception_fp_denorm_src 0
		.amdhsa_exception_fp_ieee_div_zero 0
		.amdhsa_exception_fp_ieee_overflow 0
		.amdhsa_exception_fp_ieee_underflow 0
		.amdhsa_exception_fp_ieee_inexact 0
		.amdhsa_exception_int_div_zero 0
	.end_amdhsa_kernel
	.section	.text._ZN7rocprim17ROCPRIM_400000_NS6detail17trampoline_kernelINS0_14default_configENS1_27scan_by_key_config_selectorIijEEZZNS1_16scan_by_key_implILNS1_25lookback_scan_determinismE0ELb0ES3_N6thrust23THRUST_200600_302600_NS6detail15normal_iteratorINS9_10device_ptrIiEEEENSB_INSC_IjEEEESG_jNS9_4plusIvEENS9_8equal_toIvEEjEE10hipError_tPvRmT2_T3_T4_T5_mT6_T7_P12ihipStream_tbENKUlT_T0_E_clISt17integral_constantIbLb1EES10_IbLb0EEEEDaSW_SX_EUlSW_E_NS1_11comp_targetILNS1_3genE10ELNS1_11target_archE1200ELNS1_3gpuE4ELNS1_3repE0EEENS1_30default_config_static_selectorELNS0_4arch9wavefront6targetE0EEEvT1_,"axG",@progbits,_ZN7rocprim17ROCPRIM_400000_NS6detail17trampoline_kernelINS0_14default_configENS1_27scan_by_key_config_selectorIijEEZZNS1_16scan_by_key_implILNS1_25lookback_scan_determinismE0ELb0ES3_N6thrust23THRUST_200600_302600_NS6detail15normal_iteratorINS9_10device_ptrIiEEEENSB_INSC_IjEEEESG_jNS9_4plusIvEENS9_8equal_toIvEEjEE10hipError_tPvRmT2_T3_T4_T5_mT6_T7_P12ihipStream_tbENKUlT_T0_E_clISt17integral_constantIbLb1EES10_IbLb0EEEEDaSW_SX_EUlSW_E_NS1_11comp_targetILNS1_3genE10ELNS1_11target_archE1200ELNS1_3gpuE4ELNS1_3repE0EEENS1_30default_config_static_selectorELNS0_4arch9wavefront6targetE0EEEvT1_,comdat
.Lfunc_end1249:
	.size	_ZN7rocprim17ROCPRIM_400000_NS6detail17trampoline_kernelINS0_14default_configENS1_27scan_by_key_config_selectorIijEEZZNS1_16scan_by_key_implILNS1_25lookback_scan_determinismE0ELb0ES3_N6thrust23THRUST_200600_302600_NS6detail15normal_iteratorINS9_10device_ptrIiEEEENSB_INSC_IjEEEESG_jNS9_4plusIvEENS9_8equal_toIvEEjEE10hipError_tPvRmT2_T3_T4_T5_mT6_T7_P12ihipStream_tbENKUlT_T0_E_clISt17integral_constantIbLb1EES10_IbLb0EEEEDaSW_SX_EUlSW_E_NS1_11comp_targetILNS1_3genE10ELNS1_11target_archE1200ELNS1_3gpuE4ELNS1_3repE0EEENS1_30default_config_static_selectorELNS0_4arch9wavefront6targetE0EEEvT1_, .Lfunc_end1249-_ZN7rocprim17ROCPRIM_400000_NS6detail17trampoline_kernelINS0_14default_configENS1_27scan_by_key_config_selectorIijEEZZNS1_16scan_by_key_implILNS1_25lookback_scan_determinismE0ELb0ES3_N6thrust23THRUST_200600_302600_NS6detail15normal_iteratorINS9_10device_ptrIiEEEENSB_INSC_IjEEEESG_jNS9_4plusIvEENS9_8equal_toIvEEjEE10hipError_tPvRmT2_T3_T4_T5_mT6_T7_P12ihipStream_tbENKUlT_T0_E_clISt17integral_constantIbLb1EES10_IbLb0EEEEDaSW_SX_EUlSW_E_NS1_11comp_targetILNS1_3genE10ELNS1_11target_archE1200ELNS1_3gpuE4ELNS1_3repE0EEENS1_30default_config_static_selectorELNS0_4arch9wavefront6targetE0EEEvT1_
                                        ; -- End function
	.set _ZN7rocprim17ROCPRIM_400000_NS6detail17trampoline_kernelINS0_14default_configENS1_27scan_by_key_config_selectorIijEEZZNS1_16scan_by_key_implILNS1_25lookback_scan_determinismE0ELb0ES3_N6thrust23THRUST_200600_302600_NS6detail15normal_iteratorINS9_10device_ptrIiEEEENSB_INSC_IjEEEESG_jNS9_4plusIvEENS9_8equal_toIvEEjEE10hipError_tPvRmT2_T3_T4_T5_mT6_T7_P12ihipStream_tbENKUlT_T0_E_clISt17integral_constantIbLb1EES10_IbLb0EEEEDaSW_SX_EUlSW_E_NS1_11comp_targetILNS1_3genE10ELNS1_11target_archE1200ELNS1_3gpuE4ELNS1_3repE0EEENS1_30default_config_static_selectorELNS0_4arch9wavefront6targetE0EEEvT1_.num_vgpr, 0
	.set _ZN7rocprim17ROCPRIM_400000_NS6detail17trampoline_kernelINS0_14default_configENS1_27scan_by_key_config_selectorIijEEZZNS1_16scan_by_key_implILNS1_25lookback_scan_determinismE0ELb0ES3_N6thrust23THRUST_200600_302600_NS6detail15normal_iteratorINS9_10device_ptrIiEEEENSB_INSC_IjEEEESG_jNS9_4plusIvEENS9_8equal_toIvEEjEE10hipError_tPvRmT2_T3_T4_T5_mT6_T7_P12ihipStream_tbENKUlT_T0_E_clISt17integral_constantIbLb1EES10_IbLb0EEEEDaSW_SX_EUlSW_E_NS1_11comp_targetILNS1_3genE10ELNS1_11target_archE1200ELNS1_3gpuE4ELNS1_3repE0EEENS1_30default_config_static_selectorELNS0_4arch9wavefront6targetE0EEEvT1_.num_agpr, 0
	.set _ZN7rocprim17ROCPRIM_400000_NS6detail17trampoline_kernelINS0_14default_configENS1_27scan_by_key_config_selectorIijEEZZNS1_16scan_by_key_implILNS1_25lookback_scan_determinismE0ELb0ES3_N6thrust23THRUST_200600_302600_NS6detail15normal_iteratorINS9_10device_ptrIiEEEENSB_INSC_IjEEEESG_jNS9_4plusIvEENS9_8equal_toIvEEjEE10hipError_tPvRmT2_T3_T4_T5_mT6_T7_P12ihipStream_tbENKUlT_T0_E_clISt17integral_constantIbLb1EES10_IbLb0EEEEDaSW_SX_EUlSW_E_NS1_11comp_targetILNS1_3genE10ELNS1_11target_archE1200ELNS1_3gpuE4ELNS1_3repE0EEENS1_30default_config_static_selectorELNS0_4arch9wavefront6targetE0EEEvT1_.numbered_sgpr, 0
	.set _ZN7rocprim17ROCPRIM_400000_NS6detail17trampoline_kernelINS0_14default_configENS1_27scan_by_key_config_selectorIijEEZZNS1_16scan_by_key_implILNS1_25lookback_scan_determinismE0ELb0ES3_N6thrust23THRUST_200600_302600_NS6detail15normal_iteratorINS9_10device_ptrIiEEEENSB_INSC_IjEEEESG_jNS9_4plusIvEENS9_8equal_toIvEEjEE10hipError_tPvRmT2_T3_T4_T5_mT6_T7_P12ihipStream_tbENKUlT_T0_E_clISt17integral_constantIbLb1EES10_IbLb0EEEEDaSW_SX_EUlSW_E_NS1_11comp_targetILNS1_3genE10ELNS1_11target_archE1200ELNS1_3gpuE4ELNS1_3repE0EEENS1_30default_config_static_selectorELNS0_4arch9wavefront6targetE0EEEvT1_.num_named_barrier, 0
	.set _ZN7rocprim17ROCPRIM_400000_NS6detail17trampoline_kernelINS0_14default_configENS1_27scan_by_key_config_selectorIijEEZZNS1_16scan_by_key_implILNS1_25lookback_scan_determinismE0ELb0ES3_N6thrust23THRUST_200600_302600_NS6detail15normal_iteratorINS9_10device_ptrIiEEEENSB_INSC_IjEEEESG_jNS9_4plusIvEENS9_8equal_toIvEEjEE10hipError_tPvRmT2_T3_T4_T5_mT6_T7_P12ihipStream_tbENKUlT_T0_E_clISt17integral_constantIbLb1EES10_IbLb0EEEEDaSW_SX_EUlSW_E_NS1_11comp_targetILNS1_3genE10ELNS1_11target_archE1200ELNS1_3gpuE4ELNS1_3repE0EEENS1_30default_config_static_selectorELNS0_4arch9wavefront6targetE0EEEvT1_.private_seg_size, 0
	.set _ZN7rocprim17ROCPRIM_400000_NS6detail17trampoline_kernelINS0_14default_configENS1_27scan_by_key_config_selectorIijEEZZNS1_16scan_by_key_implILNS1_25lookback_scan_determinismE0ELb0ES3_N6thrust23THRUST_200600_302600_NS6detail15normal_iteratorINS9_10device_ptrIiEEEENSB_INSC_IjEEEESG_jNS9_4plusIvEENS9_8equal_toIvEEjEE10hipError_tPvRmT2_T3_T4_T5_mT6_T7_P12ihipStream_tbENKUlT_T0_E_clISt17integral_constantIbLb1EES10_IbLb0EEEEDaSW_SX_EUlSW_E_NS1_11comp_targetILNS1_3genE10ELNS1_11target_archE1200ELNS1_3gpuE4ELNS1_3repE0EEENS1_30default_config_static_selectorELNS0_4arch9wavefront6targetE0EEEvT1_.uses_vcc, 0
	.set _ZN7rocprim17ROCPRIM_400000_NS6detail17trampoline_kernelINS0_14default_configENS1_27scan_by_key_config_selectorIijEEZZNS1_16scan_by_key_implILNS1_25lookback_scan_determinismE0ELb0ES3_N6thrust23THRUST_200600_302600_NS6detail15normal_iteratorINS9_10device_ptrIiEEEENSB_INSC_IjEEEESG_jNS9_4plusIvEENS9_8equal_toIvEEjEE10hipError_tPvRmT2_T3_T4_T5_mT6_T7_P12ihipStream_tbENKUlT_T0_E_clISt17integral_constantIbLb1EES10_IbLb0EEEEDaSW_SX_EUlSW_E_NS1_11comp_targetILNS1_3genE10ELNS1_11target_archE1200ELNS1_3gpuE4ELNS1_3repE0EEENS1_30default_config_static_selectorELNS0_4arch9wavefront6targetE0EEEvT1_.uses_flat_scratch, 0
	.set _ZN7rocprim17ROCPRIM_400000_NS6detail17trampoline_kernelINS0_14default_configENS1_27scan_by_key_config_selectorIijEEZZNS1_16scan_by_key_implILNS1_25lookback_scan_determinismE0ELb0ES3_N6thrust23THRUST_200600_302600_NS6detail15normal_iteratorINS9_10device_ptrIiEEEENSB_INSC_IjEEEESG_jNS9_4plusIvEENS9_8equal_toIvEEjEE10hipError_tPvRmT2_T3_T4_T5_mT6_T7_P12ihipStream_tbENKUlT_T0_E_clISt17integral_constantIbLb1EES10_IbLb0EEEEDaSW_SX_EUlSW_E_NS1_11comp_targetILNS1_3genE10ELNS1_11target_archE1200ELNS1_3gpuE4ELNS1_3repE0EEENS1_30default_config_static_selectorELNS0_4arch9wavefront6targetE0EEEvT1_.has_dyn_sized_stack, 0
	.set _ZN7rocprim17ROCPRIM_400000_NS6detail17trampoline_kernelINS0_14default_configENS1_27scan_by_key_config_selectorIijEEZZNS1_16scan_by_key_implILNS1_25lookback_scan_determinismE0ELb0ES3_N6thrust23THRUST_200600_302600_NS6detail15normal_iteratorINS9_10device_ptrIiEEEENSB_INSC_IjEEEESG_jNS9_4plusIvEENS9_8equal_toIvEEjEE10hipError_tPvRmT2_T3_T4_T5_mT6_T7_P12ihipStream_tbENKUlT_T0_E_clISt17integral_constantIbLb1EES10_IbLb0EEEEDaSW_SX_EUlSW_E_NS1_11comp_targetILNS1_3genE10ELNS1_11target_archE1200ELNS1_3gpuE4ELNS1_3repE0EEENS1_30default_config_static_selectorELNS0_4arch9wavefront6targetE0EEEvT1_.has_recursion, 0
	.set _ZN7rocprim17ROCPRIM_400000_NS6detail17trampoline_kernelINS0_14default_configENS1_27scan_by_key_config_selectorIijEEZZNS1_16scan_by_key_implILNS1_25lookback_scan_determinismE0ELb0ES3_N6thrust23THRUST_200600_302600_NS6detail15normal_iteratorINS9_10device_ptrIiEEEENSB_INSC_IjEEEESG_jNS9_4plusIvEENS9_8equal_toIvEEjEE10hipError_tPvRmT2_T3_T4_T5_mT6_T7_P12ihipStream_tbENKUlT_T0_E_clISt17integral_constantIbLb1EES10_IbLb0EEEEDaSW_SX_EUlSW_E_NS1_11comp_targetILNS1_3genE10ELNS1_11target_archE1200ELNS1_3gpuE4ELNS1_3repE0EEENS1_30default_config_static_selectorELNS0_4arch9wavefront6targetE0EEEvT1_.has_indirect_call, 0
	.section	.AMDGPU.csdata,"",@progbits
; Kernel info:
; codeLenInByte = 0
; TotalNumSgprs: 0
; NumVgprs: 0
; ScratchSize: 0
; MemoryBound: 0
; FloatMode: 240
; IeeeMode: 1
; LDSByteSize: 0 bytes/workgroup (compile time only)
; SGPRBlocks: 0
; VGPRBlocks: 0
; NumSGPRsForWavesPerEU: 1
; NumVGPRsForWavesPerEU: 1
; NamedBarCnt: 0
; Occupancy: 16
; WaveLimiterHint : 0
; COMPUTE_PGM_RSRC2:SCRATCH_EN: 0
; COMPUTE_PGM_RSRC2:USER_SGPR: 2
; COMPUTE_PGM_RSRC2:TRAP_HANDLER: 0
; COMPUTE_PGM_RSRC2:TGID_X_EN: 1
; COMPUTE_PGM_RSRC2:TGID_Y_EN: 0
; COMPUTE_PGM_RSRC2:TGID_Z_EN: 0
; COMPUTE_PGM_RSRC2:TIDIG_COMP_CNT: 0
	.section	.text._ZN7rocprim17ROCPRIM_400000_NS6detail17trampoline_kernelINS0_14default_configENS1_27scan_by_key_config_selectorIijEEZZNS1_16scan_by_key_implILNS1_25lookback_scan_determinismE0ELb0ES3_N6thrust23THRUST_200600_302600_NS6detail15normal_iteratorINS9_10device_ptrIiEEEENSB_INSC_IjEEEESG_jNS9_4plusIvEENS9_8equal_toIvEEjEE10hipError_tPvRmT2_T3_T4_T5_mT6_T7_P12ihipStream_tbENKUlT_T0_E_clISt17integral_constantIbLb1EES10_IbLb0EEEEDaSW_SX_EUlSW_E_NS1_11comp_targetILNS1_3genE9ELNS1_11target_archE1100ELNS1_3gpuE3ELNS1_3repE0EEENS1_30default_config_static_selectorELNS0_4arch9wavefront6targetE0EEEvT1_,"axG",@progbits,_ZN7rocprim17ROCPRIM_400000_NS6detail17trampoline_kernelINS0_14default_configENS1_27scan_by_key_config_selectorIijEEZZNS1_16scan_by_key_implILNS1_25lookback_scan_determinismE0ELb0ES3_N6thrust23THRUST_200600_302600_NS6detail15normal_iteratorINS9_10device_ptrIiEEEENSB_INSC_IjEEEESG_jNS9_4plusIvEENS9_8equal_toIvEEjEE10hipError_tPvRmT2_T3_T4_T5_mT6_T7_P12ihipStream_tbENKUlT_T0_E_clISt17integral_constantIbLb1EES10_IbLb0EEEEDaSW_SX_EUlSW_E_NS1_11comp_targetILNS1_3genE9ELNS1_11target_archE1100ELNS1_3gpuE3ELNS1_3repE0EEENS1_30default_config_static_selectorELNS0_4arch9wavefront6targetE0EEEvT1_,comdat
	.protected	_ZN7rocprim17ROCPRIM_400000_NS6detail17trampoline_kernelINS0_14default_configENS1_27scan_by_key_config_selectorIijEEZZNS1_16scan_by_key_implILNS1_25lookback_scan_determinismE0ELb0ES3_N6thrust23THRUST_200600_302600_NS6detail15normal_iteratorINS9_10device_ptrIiEEEENSB_INSC_IjEEEESG_jNS9_4plusIvEENS9_8equal_toIvEEjEE10hipError_tPvRmT2_T3_T4_T5_mT6_T7_P12ihipStream_tbENKUlT_T0_E_clISt17integral_constantIbLb1EES10_IbLb0EEEEDaSW_SX_EUlSW_E_NS1_11comp_targetILNS1_3genE9ELNS1_11target_archE1100ELNS1_3gpuE3ELNS1_3repE0EEENS1_30default_config_static_selectorELNS0_4arch9wavefront6targetE0EEEvT1_ ; -- Begin function _ZN7rocprim17ROCPRIM_400000_NS6detail17trampoline_kernelINS0_14default_configENS1_27scan_by_key_config_selectorIijEEZZNS1_16scan_by_key_implILNS1_25lookback_scan_determinismE0ELb0ES3_N6thrust23THRUST_200600_302600_NS6detail15normal_iteratorINS9_10device_ptrIiEEEENSB_INSC_IjEEEESG_jNS9_4plusIvEENS9_8equal_toIvEEjEE10hipError_tPvRmT2_T3_T4_T5_mT6_T7_P12ihipStream_tbENKUlT_T0_E_clISt17integral_constantIbLb1EES10_IbLb0EEEEDaSW_SX_EUlSW_E_NS1_11comp_targetILNS1_3genE9ELNS1_11target_archE1100ELNS1_3gpuE3ELNS1_3repE0EEENS1_30default_config_static_selectorELNS0_4arch9wavefront6targetE0EEEvT1_
	.globl	_ZN7rocprim17ROCPRIM_400000_NS6detail17trampoline_kernelINS0_14default_configENS1_27scan_by_key_config_selectorIijEEZZNS1_16scan_by_key_implILNS1_25lookback_scan_determinismE0ELb0ES3_N6thrust23THRUST_200600_302600_NS6detail15normal_iteratorINS9_10device_ptrIiEEEENSB_INSC_IjEEEESG_jNS9_4plusIvEENS9_8equal_toIvEEjEE10hipError_tPvRmT2_T3_T4_T5_mT6_T7_P12ihipStream_tbENKUlT_T0_E_clISt17integral_constantIbLb1EES10_IbLb0EEEEDaSW_SX_EUlSW_E_NS1_11comp_targetILNS1_3genE9ELNS1_11target_archE1100ELNS1_3gpuE3ELNS1_3repE0EEENS1_30default_config_static_selectorELNS0_4arch9wavefront6targetE0EEEvT1_
	.p2align	8
	.type	_ZN7rocprim17ROCPRIM_400000_NS6detail17trampoline_kernelINS0_14default_configENS1_27scan_by_key_config_selectorIijEEZZNS1_16scan_by_key_implILNS1_25lookback_scan_determinismE0ELb0ES3_N6thrust23THRUST_200600_302600_NS6detail15normal_iteratorINS9_10device_ptrIiEEEENSB_INSC_IjEEEESG_jNS9_4plusIvEENS9_8equal_toIvEEjEE10hipError_tPvRmT2_T3_T4_T5_mT6_T7_P12ihipStream_tbENKUlT_T0_E_clISt17integral_constantIbLb1EES10_IbLb0EEEEDaSW_SX_EUlSW_E_NS1_11comp_targetILNS1_3genE9ELNS1_11target_archE1100ELNS1_3gpuE3ELNS1_3repE0EEENS1_30default_config_static_selectorELNS0_4arch9wavefront6targetE0EEEvT1_,@function
_ZN7rocprim17ROCPRIM_400000_NS6detail17trampoline_kernelINS0_14default_configENS1_27scan_by_key_config_selectorIijEEZZNS1_16scan_by_key_implILNS1_25lookback_scan_determinismE0ELb0ES3_N6thrust23THRUST_200600_302600_NS6detail15normal_iteratorINS9_10device_ptrIiEEEENSB_INSC_IjEEEESG_jNS9_4plusIvEENS9_8equal_toIvEEjEE10hipError_tPvRmT2_T3_T4_T5_mT6_T7_P12ihipStream_tbENKUlT_T0_E_clISt17integral_constantIbLb1EES10_IbLb0EEEEDaSW_SX_EUlSW_E_NS1_11comp_targetILNS1_3genE9ELNS1_11target_archE1100ELNS1_3gpuE3ELNS1_3repE0EEENS1_30default_config_static_selectorELNS0_4arch9wavefront6targetE0EEEvT1_: ; @_ZN7rocprim17ROCPRIM_400000_NS6detail17trampoline_kernelINS0_14default_configENS1_27scan_by_key_config_selectorIijEEZZNS1_16scan_by_key_implILNS1_25lookback_scan_determinismE0ELb0ES3_N6thrust23THRUST_200600_302600_NS6detail15normal_iteratorINS9_10device_ptrIiEEEENSB_INSC_IjEEEESG_jNS9_4plusIvEENS9_8equal_toIvEEjEE10hipError_tPvRmT2_T3_T4_T5_mT6_T7_P12ihipStream_tbENKUlT_T0_E_clISt17integral_constantIbLb1EES10_IbLb0EEEEDaSW_SX_EUlSW_E_NS1_11comp_targetILNS1_3genE9ELNS1_11target_archE1100ELNS1_3gpuE3ELNS1_3repE0EEENS1_30default_config_static_selectorELNS0_4arch9wavefront6targetE0EEEvT1_
; %bb.0:
	.section	.rodata,"a",@progbits
	.p2align	6, 0x0
	.amdhsa_kernel _ZN7rocprim17ROCPRIM_400000_NS6detail17trampoline_kernelINS0_14default_configENS1_27scan_by_key_config_selectorIijEEZZNS1_16scan_by_key_implILNS1_25lookback_scan_determinismE0ELb0ES3_N6thrust23THRUST_200600_302600_NS6detail15normal_iteratorINS9_10device_ptrIiEEEENSB_INSC_IjEEEESG_jNS9_4plusIvEENS9_8equal_toIvEEjEE10hipError_tPvRmT2_T3_T4_T5_mT6_T7_P12ihipStream_tbENKUlT_T0_E_clISt17integral_constantIbLb1EES10_IbLb0EEEEDaSW_SX_EUlSW_E_NS1_11comp_targetILNS1_3genE9ELNS1_11target_archE1100ELNS1_3gpuE3ELNS1_3repE0EEENS1_30default_config_static_selectorELNS0_4arch9wavefront6targetE0EEEvT1_
		.amdhsa_group_segment_fixed_size 0
		.amdhsa_private_segment_fixed_size 0
		.amdhsa_kernarg_size 112
		.amdhsa_user_sgpr_count 2
		.amdhsa_user_sgpr_dispatch_ptr 0
		.amdhsa_user_sgpr_queue_ptr 0
		.amdhsa_user_sgpr_kernarg_segment_ptr 1
		.amdhsa_user_sgpr_dispatch_id 0
		.amdhsa_user_sgpr_kernarg_preload_length 0
		.amdhsa_user_sgpr_kernarg_preload_offset 0
		.amdhsa_user_sgpr_private_segment_size 0
		.amdhsa_wavefront_size32 1
		.amdhsa_uses_dynamic_stack 0
		.amdhsa_enable_private_segment 0
		.amdhsa_system_sgpr_workgroup_id_x 1
		.amdhsa_system_sgpr_workgroup_id_y 0
		.amdhsa_system_sgpr_workgroup_id_z 0
		.amdhsa_system_sgpr_workgroup_info 0
		.amdhsa_system_vgpr_workitem_id 0
		.amdhsa_next_free_vgpr 1
		.amdhsa_next_free_sgpr 1
		.amdhsa_named_barrier_count 0
		.amdhsa_reserve_vcc 0
		.amdhsa_float_round_mode_32 0
		.amdhsa_float_round_mode_16_64 0
		.amdhsa_float_denorm_mode_32 3
		.amdhsa_float_denorm_mode_16_64 3
		.amdhsa_fp16_overflow 0
		.amdhsa_memory_ordered 1
		.amdhsa_forward_progress 1
		.amdhsa_inst_pref_size 0
		.amdhsa_round_robin_scheduling 0
		.amdhsa_exception_fp_ieee_invalid_op 0
		.amdhsa_exception_fp_denorm_src 0
		.amdhsa_exception_fp_ieee_div_zero 0
		.amdhsa_exception_fp_ieee_overflow 0
		.amdhsa_exception_fp_ieee_underflow 0
		.amdhsa_exception_fp_ieee_inexact 0
		.amdhsa_exception_int_div_zero 0
	.end_amdhsa_kernel
	.section	.text._ZN7rocprim17ROCPRIM_400000_NS6detail17trampoline_kernelINS0_14default_configENS1_27scan_by_key_config_selectorIijEEZZNS1_16scan_by_key_implILNS1_25lookback_scan_determinismE0ELb0ES3_N6thrust23THRUST_200600_302600_NS6detail15normal_iteratorINS9_10device_ptrIiEEEENSB_INSC_IjEEEESG_jNS9_4plusIvEENS9_8equal_toIvEEjEE10hipError_tPvRmT2_T3_T4_T5_mT6_T7_P12ihipStream_tbENKUlT_T0_E_clISt17integral_constantIbLb1EES10_IbLb0EEEEDaSW_SX_EUlSW_E_NS1_11comp_targetILNS1_3genE9ELNS1_11target_archE1100ELNS1_3gpuE3ELNS1_3repE0EEENS1_30default_config_static_selectorELNS0_4arch9wavefront6targetE0EEEvT1_,"axG",@progbits,_ZN7rocprim17ROCPRIM_400000_NS6detail17trampoline_kernelINS0_14default_configENS1_27scan_by_key_config_selectorIijEEZZNS1_16scan_by_key_implILNS1_25lookback_scan_determinismE0ELb0ES3_N6thrust23THRUST_200600_302600_NS6detail15normal_iteratorINS9_10device_ptrIiEEEENSB_INSC_IjEEEESG_jNS9_4plusIvEENS9_8equal_toIvEEjEE10hipError_tPvRmT2_T3_T4_T5_mT6_T7_P12ihipStream_tbENKUlT_T0_E_clISt17integral_constantIbLb1EES10_IbLb0EEEEDaSW_SX_EUlSW_E_NS1_11comp_targetILNS1_3genE9ELNS1_11target_archE1100ELNS1_3gpuE3ELNS1_3repE0EEENS1_30default_config_static_selectorELNS0_4arch9wavefront6targetE0EEEvT1_,comdat
.Lfunc_end1250:
	.size	_ZN7rocprim17ROCPRIM_400000_NS6detail17trampoline_kernelINS0_14default_configENS1_27scan_by_key_config_selectorIijEEZZNS1_16scan_by_key_implILNS1_25lookback_scan_determinismE0ELb0ES3_N6thrust23THRUST_200600_302600_NS6detail15normal_iteratorINS9_10device_ptrIiEEEENSB_INSC_IjEEEESG_jNS9_4plusIvEENS9_8equal_toIvEEjEE10hipError_tPvRmT2_T3_T4_T5_mT6_T7_P12ihipStream_tbENKUlT_T0_E_clISt17integral_constantIbLb1EES10_IbLb0EEEEDaSW_SX_EUlSW_E_NS1_11comp_targetILNS1_3genE9ELNS1_11target_archE1100ELNS1_3gpuE3ELNS1_3repE0EEENS1_30default_config_static_selectorELNS0_4arch9wavefront6targetE0EEEvT1_, .Lfunc_end1250-_ZN7rocprim17ROCPRIM_400000_NS6detail17trampoline_kernelINS0_14default_configENS1_27scan_by_key_config_selectorIijEEZZNS1_16scan_by_key_implILNS1_25lookback_scan_determinismE0ELb0ES3_N6thrust23THRUST_200600_302600_NS6detail15normal_iteratorINS9_10device_ptrIiEEEENSB_INSC_IjEEEESG_jNS9_4plusIvEENS9_8equal_toIvEEjEE10hipError_tPvRmT2_T3_T4_T5_mT6_T7_P12ihipStream_tbENKUlT_T0_E_clISt17integral_constantIbLb1EES10_IbLb0EEEEDaSW_SX_EUlSW_E_NS1_11comp_targetILNS1_3genE9ELNS1_11target_archE1100ELNS1_3gpuE3ELNS1_3repE0EEENS1_30default_config_static_selectorELNS0_4arch9wavefront6targetE0EEEvT1_
                                        ; -- End function
	.set _ZN7rocprim17ROCPRIM_400000_NS6detail17trampoline_kernelINS0_14default_configENS1_27scan_by_key_config_selectorIijEEZZNS1_16scan_by_key_implILNS1_25lookback_scan_determinismE0ELb0ES3_N6thrust23THRUST_200600_302600_NS6detail15normal_iteratorINS9_10device_ptrIiEEEENSB_INSC_IjEEEESG_jNS9_4plusIvEENS9_8equal_toIvEEjEE10hipError_tPvRmT2_T3_T4_T5_mT6_T7_P12ihipStream_tbENKUlT_T0_E_clISt17integral_constantIbLb1EES10_IbLb0EEEEDaSW_SX_EUlSW_E_NS1_11comp_targetILNS1_3genE9ELNS1_11target_archE1100ELNS1_3gpuE3ELNS1_3repE0EEENS1_30default_config_static_selectorELNS0_4arch9wavefront6targetE0EEEvT1_.num_vgpr, 0
	.set _ZN7rocprim17ROCPRIM_400000_NS6detail17trampoline_kernelINS0_14default_configENS1_27scan_by_key_config_selectorIijEEZZNS1_16scan_by_key_implILNS1_25lookback_scan_determinismE0ELb0ES3_N6thrust23THRUST_200600_302600_NS6detail15normal_iteratorINS9_10device_ptrIiEEEENSB_INSC_IjEEEESG_jNS9_4plusIvEENS9_8equal_toIvEEjEE10hipError_tPvRmT2_T3_T4_T5_mT6_T7_P12ihipStream_tbENKUlT_T0_E_clISt17integral_constantIbLb1EES10_IbLb0EEEEDaSW_SX_EUlSW_E_NS1_11comp_targetILNS1_3genE9ELNS1_11target_archE1100ELNS1_3gpuE3ELNS1_3repE0EEENS1_30default_config_static_selectorELNS0_4arch9wavefront6targetE0EEEvT1_.num_agpr, 0
	.set _ZN7rocprim17ROCPRIM_400000_NS6detail17trampoline_kernelINS0_14default_configENS1_27scan_by_key_config_selectorIijEEZZNS1_16scan_by_key_implILNS1_25lookback_scan_determinismE0ELb0ES3_N6thrust23THRUST_200600_302600_NS6detail15normal_iteratorINS9_10device_ptrIiEEEENSB_INSC_IjEEEESG_jNS9_4plusIvEENS9_8equal_toIvEEjEE10hipError_tPvRmT2_T3_T4_T5_mT6_T7_P12ihipStream_tbENKUlT_T0_E_clISt17integral_constantIbLb1EES10_IbLb0EEEEDaSW_SX_EUlSW_E_NS1_11comp_targetILNS1_3genE9ELNS1_11target_archE1100ELNS1_3gpuE3ELNS1_3repE0EEENS1_30default_config_static_selectorELNS0_4arch9wavefront6targetE0EEEvT1_.numbered_sgpr, 0
	.set _ZN7rocprim17ROCPRIM_400000_NS6detail17trampoline_kernelINS0_14default_configENS1_27scan_by_key_config_selectorIijEEZZNS1_16scan_by_key_implILNS1_25lookback_scan_determinismE0ELb0ES3_N6thrust23THRUST_200600_302600_NS6detail15normal_iteratorINS9_10device_ptrIiEEEENSB_INSC_IjEEEESG_jNS9_4plusIvEENS9_8equal_toIvEEjEE10hipError_tPvRmT2_T3_T4_T5_mT6_T7_P12ihipStream_tbENKUlT_T0_E_clISt17integral_constantIbLb1EES10_IbLb0EEEEDaSW_SX_EUlSW_E_NS1_11comp_targetILNS1_3genE9ELNS1_11target_archE1100ELNS1_3gpuE3ELNS1_3repE0EEENS1_30default_config_static_selectorELNS0_4arch9wavefront6targetE0EEEvT1_.num_named_barrier, 0
	.set _ZN7rocprim17ROCPRIM_400000_NS6detail17trampoline_kernelINS0_14default_configENS1_27scan_by_key_config_selectorIijEEZZNS1_16scan_by_key_implILNS1_25lookback_scan_determinismE0ELb0ES3_N6thrust23THRUST_200600_302600_NS6detail15normal_iteratorINS9_10device_ptrIiEEEENSB_INSC_IjEEEESG_jNS9_4plusIvEENS9_8equal_toIvEEjEE10hipError_tPvRmT2_T3_T4_T5_mT6_T7_P12ihipStream_tbENKUlT_T0_E_clISt17integral_constantIbLb1EES10_IbLb0EEEEDaSW_SX_EUlSW_E_NS1_11comp_targetILNS1_3genE9ELNS1_11target_archE1100ELNS1_3gpuE3ELNS1_3repE0EEENS1_30default_config_static_selectorELNS0_4arch9wavefront6targetE0EEEvT1_.private_seg_size, 0
	.set _ZN7rocprim17ROCPRIM_400000_NS6detail17trampoline_kernelINS0_14default_configENS1_27scan_by_key_config_selectorIijEEZZNS1_16scan_by_key_implILNS1_25lookback_scan_determinismE0ELb0ES3_N6thrust23THRUST_200600_302600_NS6detail15normal_iteratorINS9_10device_ptrIiEEEENSB_INSC_IjEEEESG_jNS9_4plusIvEENS9_8equal_toIvEEjEE10hipError_tPvRmT2_T3_T4_T5_mT6_T7_P12ihipStream_tbENKUlT_T0_E_clISt17integral_constantIbLb1EES10_IbLb0EEEEDaSW_SX_EUlSW_E_NS1_11comp_targetILNS1_3genE9ELNS1_11target_archE1100ELNS1_3gpuE3ELNS1_3repE0EEENS1_30default_config_static_selectorELNS0_4arch9wavefront6targetE0EEEvT1_.uses_vcc, 0
	.set _ZN7rocprim17ROCPRIM_400000_NS6detail17trampoline_kernelINS0_14default_configENS1_27scan_by_key_config_selectorIijEEZZNS1_16scan_by_key_implILNS1_25lookback_scan_determinismE0ELb0ES3_N6thrust23THRUST_200600_302600_NS6detail15normal_iteratorINS9_10device_ptrIiEEEENSB_INSC_IjEEEESG_jNS9_4plusIvEENS9_8equal_toIvEEjEE10hipError_tPvRmT2_T3_T4_T5_mT6_T7_P12ihipStream_tbENKUlT_T0_E_clISt17integral_constantIbLb1EES10_IbLb0EEEEDaSW_SX_EUlSW_E_NS1_11comp_targetILNS1_3genE9ELNS1_11target_archE1100ELNS1_3gpuE3ELNS1_3repE0EEENS1_30default_config_static_selectorELNS0_4arch9wavefront6targetE0EEEvT1_.uses_flat_scratch, 0
	.set _ZN7rocprim17ROCPRIM_400000_NS6detail17trampoline_kernelINS0_14default_configENS1_27scan_by_key_config_selectorIijEEZZNS1_16scan_by_key_implILNS1_25lookback_scan_determinismE0ELb0ES3_N6thrust23THRUST_200600_302600_NS6detail15normal_iteratorINS9_10device_ptrIiEEEENSB_INSC_IjEEEESG_jNS9_4plusIvEENS9_8equal_toIvEEjEE10hipError_tPvRmT2_T3_T4_T5_mT6_T7_P12ihipStream_tbENKUlT_T0_E_clISt17integral_constantIbLb1EES10_IbLb0EEEEDaSW_SX_EUlSW_E_NS1_11comp_targetILNS1_3genE9ELNS1_11target_archE1100ELNS1_3gpuE3ELNS1_3repE0EEENS1_30default_config_static_selectorELNS0_4arch9wavefront6targetE0EEEvT1_.has_dyn_sized_stack, 0
	.set _ZN7rocprim17ROCPRIM_400000_NS6detail17trampoline_kernelINS0_14default_configENS1_27scan_by_key_config_selectorIijEEZZNS1_16scan_by_key_implILNS1_25lookback_scan_determinismE0ELb0ES3_N6thrust23THRUST_200600_302600_NS6detail15normal_iteratorINS9_10device_ptrIiEEEENSB_INSC_IjEEEESG_jNS9_4plusIvEENS9_8equal_toIvEEjEE10hipError_tPvRmT2_T3_T4_T5_mT6_T7_P12ihipStream_tbENKUlT_T0_E_clISt17integral_constantIbLb1EES10_IbLb0EEEEDaSW_SX_EUlSW_E_NS1_11comp_targetILNS1_3genE9ELNS1_11target_archE1100ELNS1_3gpuE3ELNS1_3repE0EEENS1_30default_config_static_selectorELNS0_4arch9wavefront6targetE0EEEvT1_.has_recursion, 0
	.set _ZN7rocprim17ROCPRIM_400000_NS6detail17trampoline_kernelINS0_14default_configENS1_27scan_by_key_config_selectorIijEEZZNS1_16scan_by_key_implILNS1_25lookback_scan_determinismE0ELb0ES3_N6thrust23THRUST_200600_302600_NS6detail15normal_iteratorINS9_10device_ptrIiEEEENSB_INSC_IjEEEESG_jNS9_4plusIvEENS9_8equal_toIvEEjEE10hipError_tPvRmT2_T3_T4_T5_mT6_T7_P12ihipStream_tbENKUlT_T0_E_clISt17integral_constantIbLb1EES10_IbLb0EEEEDaSW_SX_EUlSW_E_NS1_11comp_targetILNS1_3genE9ELNS1_11target_archE1100ELNS1_3gpuE3ELNS1_3repE0EEENS1_30default_config_static_selectorELNS0_4arch9wavefront6targetE0EEEvT1_.has_indirect_call, 0
	.section	.AMDGPU.csdata,"",@progbits
; Kernel info:
; codeLenInByte = 0
; TotalNumSgprs: 0
; NumVgprs: 0
; ScratchSize: 0
; MemoryBound: 0
; FloatMode: 240
; IeeeMode: 1
; LDSByteSize: 0 bytes/workgroup (compile time only)
; SGPRBlocks: 0
; VGPRBlocks: 0
; NumSGPRsForWavesPerEU: 1
; NumVGPRsForWavesPerEU: 1
; NamedBarCnt: 0
; Occupancy: 16
; WaveLimiterHint : 0
; COMPUTE_PGM_RSRC2:SCRATCH_EN: 0
; COMPUTE_PGM_RSRC2:USER_SGPR: 2
; COMPUTE_PGM_RSRC2:TRAP_HANDLER: 0
; COMPUTE_PGM_RSRC2:TGID_X_EN: 1
; COMPUTE_PGM_RSRC2:TGID_Y_EN: 0
; COMPUTE_PGM_RSRC2:TGID_Z_EN: 0
; COMPUTE_PGM_RSRC2:TIDIG_COMP_CNT: 0
	.section	.text._ZN7rocprim17ROCPRIM_400000_NS6detail17trampoline_kernelINS0_14default_configENS1_27scan_by_key_config_selectorIijEEZZNS1_16scan_by_key_implILNS1_25lookback_scan_determinismE0ELb0ES3_N6thrust23THRUST_200600_302600_NS6detail15normal_iteratorINS9_10device_ptrIiEEEENSB_INSC_IjEEEESG_jNS9_4plusIvEENS9_8equal_toIvEEjEE10hipError_tPvRmT2_T3_T4_T5_mT6_T7_P12ihipStream_tbENKUlT_T0_E_clISt17integral_constantIbLb1EES10_IbLb0EEEEDaSW_SX_EUlSW_E_NS1_11comp_targetILNS1_3genE8ELNS1_11target_archE1030ELNS1_3gpuE2ELNS1_3repE0EEENS1_30default_config_static_selectorELNS0_4arch9wavefront6targetE0EEEvT1_,"axG",@progbits,_ZN7rocprim17ROCPRIM_400000_NS6detail17trampoline_kernelINS0_14default_configENS1_27scan_by_key_config_selectorIijEEZZNS1_16scan_by_key_implILNS1_25lookback_scan_determinismE0ELb0ES3_N6thrust23THRUST_200600_302600_NS6detail15normal_iteratorINS9_10device_ptrIiEEEENSB_INSC_IjEEEESG_jNS9_4plusIvEENS9_8equal_toIvEEjEE10hipError_tPvRmT2_T3_T4_T5_mT6_T7_P12ihipStream_tbENKUlT_T0_E_clISt17integral_constantIbLb1EES10_IbLb0EEEEDaSW_SX_EUlSW_E_NS1_11comp_targetILNS1_3genE8ELNS1_11target_archE1030ELNS1_3gpuE2ELNS1_3repE0EEENS1_30default_config_static_selectorELNS0_4arch9wavefront6targetE0EEEvT1_,comdat
	.protected	_ZN7rocprim17ROCPRIM_400000_NS6detail17trampoline_kernelINS0_14default_configENS1_27scan_by_key_config_selectorIijEEZZNS1_16scan_by_key_implILNS1_25lookback_scan_determinismE0ELb0ES3_N6thrust23THRUST_200600_302600_NS6detail15normal_iteratorINS9_10device_ptrIiEEEENSB_INSC_IjEEEESG_jNS9_4plusIvEENS9_8equal_toIvEEjEE10hipError_tPvRmT2_T3_T4_T5_mT6_T7_P12ihipStream_tbENKUlT_T0_E_clISt17integral_constantIbLb1EES10_IbLb0EEEEDaSW_SX_EUlSW_E_NS1_11comp_targetILNS1_3genE8ELNS1_11target_archE1030ELNS1_3gpuE2ELNS1_3repE0EEENS1_30default_config_static_selectorELNS0_4arch9wavefront6targetE0EEEvT1_ ; -- Begin function _ZN7rocprim17ROCPRIM_400000_NS6detail17trampoline_kernelINS0_14default_configENS1_27scan_by_key_config_selectorIijEEZZNS1_16scan_by_key_implILNS1_25lookback_scan_determinismE0ELb0ES3_N6thrust23THRUST_200600_302600_NS6detail15normal_iteratorINS9_10device_ptrIiEEEENSB_INSC_IjEEEESG_jNS9_4plusIvEENS9_8equal_toIvEEjEE10hipError_tPvRmT2_T3_T4_T5_mT6_T7_P12ihipStream_tbENKUlT_T0_E_clISt17integral_constantIbLb1EES10_IbLb0EEEEDaSW_SX_EUlSW_E_NS1_11comp_targetILNS1_3genE8ELNS1_11target_archE1030ELNS1_3gpuE2ELNS1_3repE0EEENS1_30default_config_static_selectorELNS0_4arch9wavefront6targetE0EEEvT1_
	.globl	_ZN7rocprim17ROCPRIM_400000_NS6detail17trampoline_kernelINS0_14default_configENS1_27scan_by_key_config_selectorIijEEZZNS1_16scan_by_key_implILNS1_25lookback_scan_determinismE0ELb0ES3_N6thrust23THRUST_200600_302600_NS6detail15normal_iteratorINS9_10device_ptrIiEEEENSB_INSC_IjEEEESG_jNS9_4plusIvEENS9_8equal_toIvEEjEE10hipError_tPvRmT2_T3_T4_T5_mT6_T7_P12ihipStream_tbENKUlT_T0_E_clISt17integral_constantIbLb1EES10_IbLb0EEEEDaSW_SX_EUlSW_E_NS1_11comp_targetILNS1_3genE8ELNS1_11target_archE1030ELNS1_3gpuE2ELNS1_3repE0EEENS1_30default_config_static_selectorELNS0_4arch9wavefront6targetE0EEEvT1_
	.p2align	8
	.type	_ZN7rocprim17ROCPRIM_400000_NS6detail17trampoline_kernelINS0_14default_configENS1_27scan_by_key_config_selectorIijEEZZNS1_16scan_by_key_implILNS1_25lookback_scan_determinismE0ELb0ES3_N6thrust23THRUST_200600_302600_NS6detail15normal_iteratorINS9_10device_ptrIiEEEENSB_INSC_IjEEEESG_jNS9_4plusIvEENS9_8equal_toIvEEjEE10hipError_tPvRmT2_T3_T4_T5_mT6_T7_P12ihipStream_tbENKUlT_T0_E_clISt17integral_constantIbLb1EES10_IbLb0EEEEDaSW_SX_EUlSW_E_NS1_11comp_targetILNS1_3genE8ELNS1_11target_archE1030ELNS1_3gpuE2ELNS1_3repE0EEENS1_30default_config_static_selectorELNS0_4arch9wavefront6targetE0EEEvT1_,@function
_ZN7rocprim17ROCPRIM_400000_NS6detail17trampoline_kernelINS0_14default_configENS1_27scan_by_key_config_selectorIijEEZZNS1_16scan_by_key_implILNS1_25lookback_scan_determinismE0ELb0ES3_N6thrust23THRUST_200600_302600_NS6detail15normal_iteratorINS9_10device_ptrIiEEEENSB_INSC_IjEEEESG_jNS9_4plusIvEENS9_8equal_toIvEEjEE10hipError_tPvRmT2_T3_T4_T5_mT6_T7_P12ihipStream_tbENKUlT_T0_E_clISt17integral_constantIbLb1EES10_IbLb0EEEEDaSW_SX_EUlSW_E_NS1_11comp_targetILNS1_3genE8ELNS1_11target_archE1030ELNS1_3gpuE2ELNS1_3repE0EEENS1_30default_config_static_selectorELNS0_4arch9wavefront6targetE0EEEvT1_: ; @_ZN7rocprim17ROCPRIM_400000_NS6detail17trampoline_kernelINS0_14default_configENS1_27scan_by_key_config_selectorIijEEZZNS1_16scan_by_key_implILNS1_25lookback_scan_determinismE0ELb0ES3_N6thrust23THRUST_200600_302600_NS6detail15normal_iteratorINS9_10device_ptrIiEEEENSB_INSC_IjEEEESG_jNS9_4plusIvEENS9_8equal_toIvEEjEE10hipError_tPvRmT2_T3_T4_T5_mT6_T7_P12ihipStream_tbENKUlT_T0_E_clISt17integral_constantIbLb1EES10_IbLb0EEEEDaSW_SX_EUlSW_E_NS1_11comp_targetILNS1_3genE8ELNS1_11target_archE1030ELNS1_3gpuE2ELNS1_3repE0EEENS1_30default_config_static_selectorELNS0_4arch9wavefront6targetE0EEEvT1_
; %bb.0:
	.section	.rodata,"a",@progbits
	.p2align	6, 0x0
	.amdhsa_kernel _ZN7rocprim17ROCPRIM_400000_NS6detail17trampoline_kernelINS0_14default_configENS1_27scan_by_key_config_selectorIijEEZZNS1_16scan_by_key_implILNS1_25lookback_scan_determinismE0ELb0ES3_N6thrust23THRUST_200600_302600_NS6detail15normal_iteratorINS9_10device_ptrIiEEEENSB_INSC_IjEEEESG_jNS9_4plusIvEENS9_8equal_toIvEEjEE10hipError_tPvRmT2_T3_T4_T5_mT6_T7_P12ihipStream_tbENKUlT_T0_E_clISt17integral_constantIbLb1EES10_IbLb0EEEEDaSW_SX_EUlSW_E_NS1_11comp_targetILNS1_3genE8ELNS1_11target_archE1030ELNS1_3gpuE2ELNS1_3repE0EEENS1_30default_config_static_selectorELNS0_4arch9wavefront6targetE0EEEvT1_
		.amdhsa_group_segment_fixed_size 0
		.amdhsa_private_segment_fixed_size 0
		.amdhsa_kernarg_size 112
		.amdhsa_user_sgpr_count 2
		.amdhsa_user_sgpr_dispatch_ptr 0
		.amdhsa_user_sgpr_queue_ptr 0
		.amdhsa_user_sgpr_kernarg_segment_ptr 1
		.amdhsa_user_sgpr_dispatch_id 0
		.amdhsa_user_sgpr_kernarg_preload_length 0
		.amdhsa_user_sgpr_kernarg_preload_offset 0
		.amdhsa_user_sgpr_private_segment_size 0
		.amdhsa_wavefront_size32 1
		.amdhsa_uses_dynamic_stack 0
		.amdhsa_enable_private_segment 0
		.amdhsa_system_sgpr_workgroup_id_x 1
		.amdhsa_system_sgpr_workgroup_id_y 0
		.amdhsa_system_sgpr_workgroup_id_z 0
		.amdhsa_system_sgpr_workgroup_info 0
		.amdhsa_system_vgpr_workitem_id 0
		.amdhsa_next_free_vgpr 1
		.amdhsa_next_free_sgpr 1
		.amdhsa_named_barrier_count 0
		.amdhsa_reserve_vcc 0
		.amdhsa_float_round_mode_32 0
		.amdhsa_float_round_mode_16_64 0
		.amdhsa_float_denorm_mode_32 3
		.amdhsa_float_denorm_mode_16_64 3
		.amdhsa_fp16_overflow 0
		.amdhsa_memory_ordered 1
		.amdhsa_forward_progress 1
		.amdhsa_inst_pref_size 0
		.amdhsa_round_robin_scheduling 0
		.amdhsa_exception_fp_ieee_invalid_op 0
		.amdhsa_exception_fp_denorm_src 0
		.amdhsa_exception_fp_ieee_div_zero 0
		.amdhsa_exception_fp_ieee_overflow 0
		.amdhsa_exception_fp_ieee_underflow 0
		.amdhsa_exception_fp_ieee_inexact 0
		.amdhsa_exception_int_div_zero 0
	.end_amdhsa_kernel
	.section	.text._ZN7rocprim17ROCPRIM_400000_NS6detail17trampoline_kernelINS0_14default_configENS1_27scan_by_key_config_selectorIijEEZZNS1_16scan_by_key_implILNS1_25lookback_scan_determinismE0ELb0ES3_N6thrust23THRUST_200600_302600_NS6detail15normal_iteratorINS9_10device_ptrIiEEEENSB_INSC_IjEEEESG_jNS9_4plusIvEENS9_8equal_toIvEEjEE10hipError_tPvRmT2_T3_T4_T5_mT6_T7_P12ihipStream_tbENKUlT_T0_E_clISt17integral_constantIbLb1EES10_IbLb0EEEEDaSW_SX_EUlSW_E_NS1_11comp_targetILNS1_3genE8ELNS1_11target_archE1030ELNS1_3gpuE2ELNS1_3repE0EEENS1_30default_config_static_selectorELNS0_4arch9wavefront6targetE0EEEvT1_,"axG",@progbits,_ZN7rocprim17ROCPRIM_400000_NS6detail17trampoline_kernelINS0_14default_configENS1_27scan_by_key_config_selectorIijEEZZNS1_16scan_by_key_implILNS1_25lookback_scan_determinismE0ELb0ES3_N6thrust23THRUST_200600_302600_NS6detail15normal_iteratorINS9_10device_ptrIiEEEENSB_INSC_IjEEEESG_jNS9_4plusIvEENS9_8equal_toIvEEjEE10hipError_tPvRmT2_T3_T4_T5_mT6_T7_P12ihipStream_tbENKUlT_T0_E_clISt17integral_constantIbLb1EES10_IbLb0EEEEDaSW_SX_EUlSW_E_NS1_11comp_targetILNS1_3genE8ELNS1_11target_archE1030ELNS1_3gpuE2ELNS1_3repE0EEENS1_30default_config_static_selectorELNS0_4arch9wavefront6targetE0EEEvT1_,comdat
.Lfunc_end1251:
	.size	_ZN7rocprim17ROCPRIM_400000_NS6detail17trampoline_kernelINS0_14default_configENS1_27scan_by_key_config_selectorIijEEZZNS1_16scan_by_key_implILNS1_25lookback_scan_determinismE0ELb0ES3_N6thrust23THRUST_200600_302600_NS6detail15normal_iteratorINS9_10device_ptrIiEEEENSB_INSC_IjEEEESG_jNS9_4plusIvEENS9_8equal_toIvEEjEE10hipError_tPvRmT2_T3_T4_T5_mT6_T7_P12ihipStream_tbENKUlT_T0_E_clISt17integral_constantIbLb1EES10_IbLb0EEEEDaSW_SX_EUlSW_E_NS1_11comp_targetILNS1_3genE8ELNS1_11target_archE1030ELNS1_3gpuE2ELNS1_3repE0EEENS1_30default_config_static_selectorELNS0_4arch9wavefront6targetE0EEEvT1_, .Lfunc_end1251-_ZN7rocprim17ROCPRIM_400000_NS6detail17trampoline_kernelINS0_14default_configENS1_27scan_by_key_config_selectorIijEEZZNS1_16scan_by_key_implILNS1_25lookback_scan_determinismE0ELb0ES3_N6thrust23THRUST_200600_302600_NS6detail15normal_iteratorINS9_10device_ptrIiEEEENSB_INSC_IjEEEESG_jNS9_4plusIvEENS9_8equal_toIvEEjEE10hipError_tPvRmT2_T3_T4_T5_mT6_T7_P12ihipStream_tbENKUlT_T0_E_clISt17integral_constantIbLb1EES10_IbLb0EEEEDaSW_SX_EUlSW_E_NS1_11comp_targetILNS1_3genE8ELNS1_11target_archE1030ELNS1_3gpuE2ELNS1_3repE0EEENS1_30default_config_static_selectorELNS0_4arch9wavefront6targetE0EEEvT1_
                                        ; -- End function
	.set _ZN7rocprim17ROCPRIM_400000_NS6detail17trampoline_kernelINS0_14default_configENS1_27scan_by_key_config_selectorIijEEZZNS1_16scan_by_key_implILNS1_25lookback_scan_determinismE0ELb0ES3_N6thrust23THRUST_200600_302600_NS6detail15normal_iteratorINS9_10device_ptrIiEEEENSB_INSC_IjEEEESG_jNS9_4plusIvEENS9_8equal_toIvEEjEE10hipError_tPvRmT2_T3_T4_T5_mT6_T7_P12ihipStream_tbENKUlT_T0_E_clISt17integral_constantIbLb1EES10_IbLb0EEEEDaSW_SX_EUlSW_E_NS1_11comp_targetILNS1_3genE8ELNS1_11target_archE1030ELNS1_3gpuE2ELNS1_3repE0EEENS1_30default_config_static_selectorELNS0_4arch9wavefront6targetE0EEEvT1_.num_vgpr, 0
	.set _ZN7rocprim17ROCPRIM_400000_NS6detail17trampoline_kernelINS0_14default_configENS1_27scan_by_key_config_selectorIijEEZZNS1_16scan_by_key_implILNS1_25lookback_scan_determinismE0ELb0ES3_N6thrust23THRUST_200600_302600_NS6detail15normal_iteratorINS9_10device_ptrIiEEEENSB_INSC_IjEEEESG_jNS9_4plusIvEENS9_8equal_toIvEEjEE10hipError_tPvRmT2_T3_T4_T5_mT6_T7_P12ihipStream_tbENKUlT_T0_E_clISt17integral_constantIbLb1EES10_IbLb0EEEEDaSW_SX_EUlSW_E_NS1_11comp_targetILNS1_3genE8ELNS1_11target_archE1030ELNS1_3gpuE2ELNS1_3repE0EEENS1_30default_config_static_selectorELNS0_4arch9wavefront6targetE0EEEvT1_.num_agpr, 0
	.set _ZN7rocprim17ROCPRIM_400000_NS6detail17trampoline_kernelINS0_14default_configENS1_27scan_by_key_config_selectorIijEEZZNS1_16scan_by_key_implILNS1_25lookback_scan_determinismE0ELb0ES3_N6thrust23THRUST_200600_302600_NS6detail15normal_iteratorINS9_10device_ptrIiEEEENSB_INSC_IjEEEESG_jNS9_4plusIvEENS9_8equal_toIvEEjEE10hipError_tPvRmT2_T3_T4_T5_mT6_T7_P12ihipStream_tbENKUlT_T0_E_clISt17integral_constantIbLb1EES10_IbLb0EEEEDaSW_SX_EUlSW_E_NS1_11comp_targetILNS1_3genE8ELNS1_11target_archE1030ELNS1_3gpuE2ELNS1_3repE0EEENS1_30default_config_static_selectorELNS0_4arch9wavefront6targetE0EEEvT1_.numbered_sgpr, 0
	.set _ZN7rocprim17ROCPRIM_400000_NS6detail17trampoline_kernelINS0_14default_configENS1_27scan_by_key_config_selectorIijEEZZNS1_16scan_by_key_implILNS1_25lookback_scan_determinismE0ELb0ES3_N6thrust23THRUST_200600_302600_NS6detail15normal_iteratorINS9_10device_ptrIiEEEENSB_INSC_IjEEEESG_jNS9_4plusIvEENS9_8equal_toIvEEjEE10hipError_tPvRmT2_T3_T4_T5_mT6_T7_P12ihipStream_tbENKUlT_T0_E_clISt17integral_constantIbLb1EES10_IbLb0EEEEDaSW_SX_EUlSW_E_NS1_11comp_targetILNS1_3genE8ELNS1_11target_archE1030ELNS1_3gpuE2ELNS1_3repE0EEENS1_30default_config_static_selectorELNS0_4arch9wavefront6targetE0EEEvT1_.num_named_barrier, 0
	.set _ZN7rocprim17ROCPRIM_400000_NS6detail17trampoline_kernelINS0_14default_configENS1_27scan_by_key_config_selectorIijEEZZNS1_16scan_by_key_implILNS1_25lookback_scan_determinismE0ELb0ES3_N6thrust23THRUST_200600_302600_NS6detail15normal_iteratorINS9_10device_ptrIiEEEENSB_INSC_IjEEEESG_jNS9_4plusIvEENS9_8equal_toIvEEjEE10hipError_tPvRmT2_T3_T4_T5_mT6_T7_P12ihipStream_tbENKUlT_T0_E_clISt17integral_constantIbLb1EES10_IbLb0EEEEDaSW_SX_EUlSW_E_NS1_11comp_targetILNS1_3genE8ELNS1_11target_archE1030ELNS1_3gpuE2ELNS1_3repE0EEENS1_30default_config_static_selectorELNS0_4arch9wavefront6targetE0EEEvT1_.private_seg_size, 0
	.set _ZN7rocprim17ROCPRIM_400000_NS6detail17trampoline_kernelINS0_14default_configENS1_27scan_by_key_config_selectorIijEEZZNS1_16scan_by_key_implILNS1_25lookback_scan_determinismE0ELb0ES3_N6thrust23THRUST_200600_302600_NS6detail15normal_iteratorINS9_10device_ptrIiEEEENSB_INSC_IjEEEESG_jNS9_4plusIvEENS9_8equal_toIvEEjEE10hipError_tPvRmT2_T3_T4_T5_mT6_T7_P12ihipStream_tbENKUlT_T0_E_clISt17integral_constantIbLb1EES10_IbLb0EEEEDaSW_SX_EUlSW_E_NS1_11comp_targetILNS1_3genE8ELNS1_11target_archE1030ELNS1_3gpuE2ELNS1_3repE0EEENS1_30default_config_static_selectorELNS0_4arch9wavefront6targetE0EEEvT1_.uses_vcc, 0
	.set _ZN7rocprim17ROCPRIM_400000_NS6detail17trampoline_kernelINS0_14default_configENS1_27scan_by_key_config_selectorIijEEZZNS1_16scan_by_key_implILNS1_25lookback_scan_determinismE0ELb0ES3_N6thrust23THRUST_200600_302600_NS6detail15normal_iteratorINS9_10device_ptrIiEEEENSB_INSC_IjEEEESG_jNS9_4plusIvEENS9_8equal_toIvEEjEE10hipError_tPvRmT2_T3_T4_T5_mT6_T7_P12ihipStream_tbENKUlT_T0_E_clISt17integral_constantIbLb1EES10_IbLb0EEEEDaSW_SX_EUlSW_E_NS1_11comp_targetILNS1_3genE8ELNS1_11target_archE1030ELNS1_3gpuE2ELNS1_3repE0EEENS1_30default_config_static_selectorELNS0_4arch9wavefront6targetE0EEEvT1_.uses_flat_scratch, 0
	.set _ZN7rocprim17ROCPRIM_400000_NS6detail17trampoline_kernelINS0_14default_configENS1_27scan_by_key_config_selectorIijEEZZNS1_16scan_by_key_implILNS1_25lookback_scan_determinismE0ELb0ES3_N6thrust23THRUST_200600_302600_NS6detail15normal_iteratorINS9_10device_ptrIiEEEENSB_INSC_IjEEEESG_jNS9_4plusIvEENS9_8equal_toIvEEjEE10hipError_tPvRmT2_T3_T4_T5_mT6_T7_P12ihipStream_tbENKUlT_T0_E_clISt17integral_constantIbLb1EES10_IbLb0EEEEDaSW_SX_EUlSW_E_NS1_11comp_targetILNS1_3genE8ELNS1_11target_archE1030ELNS1_3gpuE2ELNS1_3repE0EEENS1_30default_config_static_selectorELNS0_4arch9wavefront6targetE0EEEvT1_.has_dyn_sized_stack, 0
	.set _ZN7rocprim17ROCPRIM_400000_NS6detail17trampoline_kernelINS0_14default_configENS1_27scan_by_key_config_selectorIijEEZZNS1_16scan_by_key_implILNS1_25lookback_scan_determinismE0ELb0ES3_N6thrust23THRUST_200600_302600_NS6detail15normal_iteratorINS9_10device_ptrIiEEEENSB_INSC_IjEEEESG_jNS9_4plusIvEENS9_8equal_toIvEEjEE10hipError_tPvRmT2_T3_T4_T5_mT6_T7_P12ihipStream_tbENKUlT_T0_E_clISt17integral_constantIbLb1EES10_IbLb0EEEEDaSW_SX_EUlSW_E_NS1_11comp_targetILNS1_3genE8ELNS1_11target_archE1030ELNS1_3gpuE2ELNS1_3repE0EEENS1_30default_config_static_selectorELNS0_4arch9wavefront6targetE0EEEvT1_.has_recursion, 0
	.set _ZN7rocprim17ROCPRIM_400000_NS6detail17trampoline_kernelINS0_14default_configENS1_27scan_by_key_config_selectorIijEEZZNS1_16scan_by_key_implILNS1_25lookback_scan_determinismE0ELb0ES3_N6thrust23THRUST_200600_302600_NS6detail15normal_iteratorINS9_10device_ptrIiEEEENSB_INSC_IjEEEESG_jNS9_4plusIvEENS9_8equal_toIvEEjEE10hipError_tPvRmT2_T3_T4_T5_mT6_T7_P12ihipStream_tbENKUlT_T0_E_clISt17integral_constantIbLb1EES10_IbLb0EEEEDaSW_SX_EUlSW_E_NS1_11comp_targetILNS1_3genE8ELNS1_11target_archE1030ELNS1_3gpuE2ELNS1_3repE0EEENS1_30default_config_static_selectorELNS0_4arch9wavefront6targetE0EEEvT1_.has_indirect_call, 0
	.section	.AMDGPU.csdata,"",@progbits
; Kernel info:
; codeLenInByte = 0
; TotalNumSgprs: 0
; NumVgprs: 0
; ScratchSize: 0
; MemoryBound: 0
; FloatMode: 240
; IeeeMode: 1
; LDSByteSize: 0 bytes/workgroup (compile time only)
; SGPRBlocks: 0
; VGPRBlocks: 0
; NumSGPRsForWavesPerEU: 1
; NumVGPRsForWavesPerEU: 1
; NamedBarCnt: 0
; Occupancy: 16
; WaveLimiterHint : 0
; COMPUTE_PGM_RSRC2:SCRATCH_EN: 0
; COMPUTE_PGM_RSRC2:USER_SGPR: 2
; COMPUTE_PGM_RSRC2:TRAP_HANDLER: 0
; COMPUTE_PGM_RSRC2:TGID_X_EN: 1
; COMPUTE_PGM_RSRC2:TGID_Y_EN: 0
; COMPUTE_PGM_RSRC2:TGID_Z_EN: 0
; COMPUTE_PGM_RSRC2:TIDIG_COMP_CNT: 0
	.section	.text._ZN7rocprim17ROCPRIM_400000_NS6detail30init_device_scan_by_key_kernelINS1_19lookback_scan_stateINS0_5tupleIJjbEEELb0ELb1EEEN6thrust23THRUST_200600_302600_NS6detail15normal_iteratorINS8_10device_ptrIiEEEEjNS1_16block_id_wrapperIjLb1EEEEEvT_jjPNSG_10value_typeET0_PNSt15iterator_traitsISJ_E10value_typeEmT1_T2_,"axG",@progbits,_ZN7rocprim17ROCPRIM_400000_NS6detail30init_device_scan_by_key_kernelINS1_19lookback_scan_stateINS0_5tupleIJjbEEELb0ELb1EEEN6thrust23THRUST_200600_302600_NS6detail15normal_iteratorINS8_10device_ptrIiEEEEjNS1_16block_id_wrapperIjLb1EEEEEvT_jjPNSG_10value_typeET0_PNSt15iterator_traitsISJ_E10value_typeEmT1_T2_,comdat
	.protected	_ZN7rocprim17ROCPRIM_400000_NS6detail30init_device_scan_by_key_kernelINS1_19lookback_scan_stateINS0_5tupleIJjbEEELb0ELb1EEEN6thrust23THRUST_200600_302600_NS6detail15normal_iteratorINS8_10device_ptrIiEEEEjNS1_16block_id_wrapperIjLb1EEEEEvT_jjPNSG_10value_typeET0_PNSt15iterator_traitsISJ_E10value_typeEmT1_T2_ ; -- Begin function _ZN7rocprim17ROCPRIM_400000_NS6detail30init_device_scan_by_key_kernelINS1_19lookback_scan_stateINS0_5tupleIJjbEEELb0ELb1EEEN6thrust23THRUST_200600_302600_NS6detail15normal_iteratorINS8_10device_ptrIiEEEEjNS1_16block_id_wrapperIjLb1EEEEEvT_jjPNSG_10value_typeET0_PNSt15iterator_traitsISJ_E10value_typeEmT1_T2_
	.globl	_ZN7rocprim17ROCPRIM_400000_NS6detail30init_device_scan_by_key_kernelINS1_19lookback_scan_stateINS0_5tupleIJjbEEELb0ELb1EEEN6thrust23THRUST_200600_302600_NS6detail15normal_iteratorINS8_10device_ptrIiEEEEjNS1_16block_id_wrapperIjLb1EEEEEvT_jjPNSG_10value_typeET0_PNSt15iterator_traitsISJ_E10value_typeEmT1_T2_
	.p2align	8
	.type	_ZN7rocprim17ROCPRIM_400000_NS6detail30init_device_scan_by_key_kernelINS1_19lookback_scan_stateINS0_5tupleIJjbEEELb0ELb1EEEN6thrust23THRUST_200600_302600_NS6detail15normal_iteratorINS8_10device_ptrIiEEEEjNS1_16block_id_wrapperIjLb1EEEEEvT_jjPNSG_10value_typeET0_PNSt15iterator_traitsISJ_E10value_typeEmT1_T2_,@function
_ZN7rocprim17ROCPRIM_400000_NS6detail30init_device_scan_by_key_kernelINS1_19lookback_scan_stateINS0_5tupleIJjbEEELb0ELb1EEEN6thrust23THRUST_200600_302600_NS6detail15normal_iteratorINS8_10device_ptrIiEEEEjNS1_16block_id_wrapperIjLb1EEEEEvT_jjPNSG_10value_typeET0_PNSt15iterator_traitsISJ_E10value_typeEmT1_T2_: ; @_ZN7rocprim17ROCPRIM_400000_NS6detail30init_device_scan_by_key_kernelINS1_19lookback_scan_stateINS0_5tupleIJjbEEELb0ELb1EEEN6thrust23THRUST_200600_302600_NS6detail15normal_iteratorINS8_10device_ptrIiEEEEjNS1_16block_id_wrapperIjLb1EEEEEvT_jjPNSG_10value_typeET0_PNSt15iterator_traitsISJ_E10value_typeEmT1_T2_
; %bb.0:
	s_clause 0x2
	s_load_b32 s2, s[0:1], 0x4c
	s_load_b32 s14, s[0:1], 0x40
	s_load_b256 s[4:11], s[0:1], 0x0
	s_bfe_u32 s3, ttmp6, 0x4000c
	s_and_b32 s12, ttmp6, 15
	s_add_co_i32 s3, s3, 1
	s_getreg_b32 s13, hwreg(HW_REG_IB_STS2, 6, 4)
	s_mul_i32 s3, ttmp9, s3
	s_delay_alu instid0(SALU_CYCLE_1)
	s_add_co_i32 s12, s12, s3
	s_wait_kmcnt 0x0
	s_and_b32 s15, s2, 0xffff
	s_cmp_eq_u32 s13, 0
	s_cselect_b32 s2, ttmp9, s12
	s_cmp_eq_u64 s[8:9], 0
	v_mad_u32 v4, s2, s15, v0
	s_cbranch_scc1 .LBB1252_8
; %bb.1:
	s_cmp_lt_u32 s7, s6
	s_mov_b32 s16, exec_lo
	s_cselect_b32 s2, s7, 0
	s_delay_alu instid0(VALU_DEP_1) | instid1(SALU_CYCLE_1)
	v_cmpx_eq_u32_e64 s2, v4
	s_cbranch_execz .LBB1252_7
; %bb.2:
	s_add_co_i32 s2, s7, 32
	s_mov_b32 s3, 0
	v_mov_b32_e32 v7, 0
	s_lshl_b64 s[12:13], s[2:3], 4
	s_mov_b32 s2, exec_lo
	s_add_nc_u64 s[12:13], s[4:5], s[12:13]
	s_delay_alu instid0(SALU_CYCLE_1) | instskip(SKIP_2) | instid1(VALU_DEP_1)
	v_mov_b64_e32 v[0:1], s[12:13]
	;;#ASMSTART
	global_load_b128 v[0:3], v[0:1] off scope:SCOPE_DEV	
s_wait_loadcnt 0x0
	;;#ASMEND
	v_and_b32_e32 v6, 0xff, v2
	v_cmpx_eq_u64_e32 0, v[6:7]
	s_cbranch_execz .LBB1252_6
; %bb.3:
	v_mov_b64_e32 v[8:9], s[12:13]
.LBB1252_4:                             ; =>This Inner Loop Header: Depth=1
	;;#ASMSTART
	global_load_b128 v[0:3], v[8:9] off scope:SCOPE_DEV	
s_wait_loadcnt 0x0
	;;#ASMEND
	v_and_b32_e32 v6, 0xff, v2
	s_delay_alu instid0(VALU_DEP_1) | instskip(SKIP_1) | instid1(SALU_CYCLE_1)
	v_cmp_ne_u64_e32 vcc_lo, 0, v[6:7]
	s_or_b32 s3, vcc_lo, s3
	s_and_not1_b32 exec_lo, exec_lo, s3
	s_cbranch_execnz .LBB1252_4
; %bb.5:
	s_or_b32 exec_lo, exec_lo, s3
.LBB1252_6:
	s_delay_alu instid0(SALU_CYCLE_1)
	s_or_b32 exec_lo, exec_lo, s2
	v_mov_b32_e32 v2, 0
	s_clause 0x1
	global_store_b32 v2, v0, s[8:9]
	global_store_b8 v2, v1, s[8:9] offset:4
.LBB1252_7:
	s_wait_xcnt 0x0
	s_or_b32 exec_lo, exec_lo, s16
.LBB1252_8:
	s_delay_alu instid0(SALU_CYCLE_1) | instskip(NEXT) | instid1(VALU_DEP_1)
	s_mov_b32 s2, exec_lo
	v_cmpx_eq_u32_e32 0, v4
	s_cbranch_execz .LBB1252_10
; %bb.9:
	s_load_b64 s[8:9], s[0:1], 0x38
	v_mov_b32_e32 v0, 0
	s_wait_kmcnt 0x0
	global_store_b32 v0, v0, s[8:9]
.LBB1252_10:
	s_wait_xcnt 0x0
	s_or_b32 exec_lo, exec_lo, s2
	s_delay_alu instid0(SALU_CYCLE_1)
	s_mov_b32 s2, exec_lo
	v_cmpx_gt_u32_e64 s6, v4
	s_cbranch_execz .LBB1252_12
; %bb.11:
	v_dual_mov_b32 v0, 0 :: v_dual_add_nc_u32 v5, 32, v4
	s_delay_alu instid0(VALU_DEP_1)
	v_dual_mov_b32 v1, v0 :: v_dual_mov_b32 v2, v0
	v_mov_b32_e32 v3, v0
	global_store_b128 v5, v[0:3], s[4:5] scale_offset
.LBB1252_12:
	s_wait_xcnt 0x0
	s_or_b32 exec_lo, exec_lo, s2
	v_mov_b32_e32 v5, 0
	s_mov_b32 s2, exec_lo
	v_cmpx_gt_u32_e32 32, v4
	s_cbranch_execz .LBB1252_14
; %bb.13:
	s_delay_alu instid0(VALU_DEP_2)
	v_lshl_add_u64 v[6:7], v[4:5], 4, s[4:5]
	v_dual_mov_b32 v2, 0xff :: v_dual_mov_b32 v1, v5
	v_dual_mov_b32 v0, v5 :: v_dual_mov_b32 v3, v5
	global_store_b128 v[6:7], v[0:3], off
.LBB1252_14:
	s_wait_xcnt 0x0
	s_or_b32 exec_lo, exec_lo, s2
	s_load_b64 s[2:3], s[0:1], 0x28
	s_mov_b32 s4, exec_lo
	s_wait_kmcnt 0x0
	v_cmpx_gt_u64_e64 s[2:3], v[4:5]
	s_cbranch_execz .LBB1252_17
; %bb.15:
	s_clause 0x1
	s_load_b32 s4, s[0:1], 0x30
	s_load_b64 s[6:7], s[0:1], 0x20
	s_mov_b32 s5, 0
	s_wait_xcnt 0x0
	s_mul_i32 s0, s14, s15
	s_mov_b32 s9, s5
	s_mov_b32 s1, s5
	s_wait_kmcnt 0x0
	v_mul_u64_e32 v[0:1], s[4:5], v[4:5]
	s_add_co_i32 s8, s4, -1
	v_lshl_add_u64 v[2:3], v[4:5], 2, s[6:7]
	s_lshl_b64 s[8:9], s[8:9], 2
	s_delay_alu instid0(SALU_CYCLE_1) | instskip(SKIP_1) | instid1(SALU_CYCLE_1)
	s_add_nc_u64 s[8:9], s[10:11], s[8:9]
	s_mul_u64 s[10:11], s[4:5], s[0:1]
	s_lshl_b64 s[6:7], s[10:11], 2
	s_delay_alu instid0(VALU_DEP_2)
	v_lshl_add_u64 v[0:1], v[0:1], 2, s[8:9]
	s_lshl_b64 s[8:9], s[0:1], 2
.LBB1252_16:                            ; =>This Inner Loop Header: Depth=1
	global_load_b32 v6, v[0:1], off
	v_add_nc_u64_e32 v[4:5], s[0:1], v[4:5]
	s_wait_xcnt 0x0
	v_add_nc_u64_e32 v[0:1], s[6:7], v[0:1]
	s_delay_alu instid0(VALU_DEP_2)
	v_cmp_le_u64_e32 vcc_lo, s[2:3], v[4:5]
	s_or_b32 s5, vcc_lo, s5
	s_wait_loadcnt 0x0
	global_store_b32 v[2:3], v6, off
	s_wait_xcnt 0x0
	v_add_nc_u64_e32 v[2:3], s[8:9], v[2:3]
	s_and_not1_b32 exec_lo, exec_lo, s5
	s_cbranch_execnz .LBB1252_16
.LBB1252_17:
	s_endpgm
	.section	.rodata,"a",@progbits
	.p2align	6, 0x0
	.amdhsa_kernel _ZN7rocprim17ROCPRIM_400000_NS6detail30init_device_scan_by_key_kernelINS1_19lookback_scan_stateINS0_5tupleIJjbEEELb0ELb1EEEN6thrust23THRUST_200600_302600_NS6detail15normal_iteratorINS8_10device_ptrIiEEEEjNS1_16block_id_wrapperIjLb1EEEEEvT_jjPNSG_10value_typeET0_PNSt15iterator_traitsISJ_E10value_typeEmT1_T2_
		.amdhsa_group_segment_fixed_size 0
		.amdhsa_private_segment_fixed_size 0
		.amdhsa_kernarg_size 320
		.amdhsa_user_sgpr_count 2
		.amdhsa_user_sgpr_dispatch_ptr 0
		.amdhsa_user_sgpr_queue_ptr 0
		.amdhsa_user_sgpr_kernarg_segment_ptr 1
		.amdhsa_user_sgpr_dispatch_id 0
		.amdhsa_user_sgpr_kernarg_preload_length 0
		.amdhsa_user_sgpr_kernarg_preload_offset 0
		.amdhsa_user_sgpr_private_segment_size 0
		.amdhsa_wavefront_size32 1
		.amdhsa_uses_dynamic_stack 0
		.amdhsa_enable_private_segment 0
		.amdhsa_system_sgpr_workgroup_id_x 1
		.amdhsa_system_sgpr_workgroup_id_y 0
		.amdhsa_system_sgpr_workgroup_id_z 0
		.amdhsa_system_sgpr_workgroup_info 0
		.amdhsa_system_vgpr_workitem_id 0
		.amdhsa_next_free_vgpr 10
		.amdhsa_next_free_sgpr 17
		.amdhsa_named_barrier_count 0
		.amdhsa_reserve_vcc 1
		.amdhsa_float_round_mode_32 0
		.amdhsa_float_round_mode_16_64 0
		.amdhsa_float_denorm_mode_32 3
		.amdhsa_float_denorm_mode_16_64 3
		.amdhsa_fp16_overflow 0
		.amdhsa_memory_ordered 1
		.amdhsa_forward_progress 1
		.amdhsa_inst_pref_size 5
		.amdhsa_round_robin_scheduling 0
		.amdhsa_exception_fp_ieee_invalid_op 0
		.amdhsa_exception_fp_denorm_src 0
		.amdhsa_exception_fp_ieee_div_zero 0
		.amdhsa_exception_fp_ieee_overflow 0
		.amdhsa_exception_fp_ieee_underflow 0
		.amdhsa_exception_fp_ieee_inexact 0
		.amdhsa_exception_int_div_zero 0
	.end_amdhsa_kernel
	.section	.text._ZN7rocprim17ROCPRIM_400000_NS6detail30init_device_scan_by_key_kernelINS1_19lookback_scan_stateINS0_5tupleIJjbEEELb0ELb1EEEN6thrust23THRUST_200600_302600_NS6detail15normal_iteratorINS8_10device_ptrIiEEEEjNS1_16block_id_wrapperIjLb1EEEEEvT_jjPNSG_10value_typeET0_PNSt15iterator_traitsISJ_E10value_typeEmT1_T2_,"axG",@progbits,_ZN7rocprim17ROCPRIM_400000_NS6detail30init_device_scan_by_key_kernelINS1_19lookback_scan_stateINS0_5tupleIJjbEEELb0ELb1EEEN6thrust23THRUST_200600_302600_NS6detail15normal_iteratorINS8_10device_ptrIiEEEEjNS1_16block_id_wrapperIjLb1EEEEEvT_jjPNSG_10value_typeET0_PNSt15iterator_traitsISJ_E10value_typeEmT1_T2_,comdat
.Lfunc_end1252:
	.size	_ZN7rocprim17ROCPRIM_400000_NS6detail30init_device_scan_by_key_kernelINS1_19lookback_scan_stateINS0_5tupleIJjbEEELb0ELb1EEEN6thrust23THRUST_200600_302600_NS6detail15normal_iteratorINS8_10device_ptrIiEEEEjNS1_16block_id_wrapperIjLb1EEEEEvT_jjPNSG_10value_typeET0_PNSt15iterator_traitsISJ_E10value_typeEmT1_T2_, .Lfunc_end1252-_ZN7rocprim17ROCPRIM_400000_NS6detail30init_device_scan_by_key_kernelINS1_19lookback_scan_stateINS0_5tupleIJjbEEELb0ELb1EEEN6thrust23THRUST_200600_302600_NS6detail15normal_iteratorINS8_10device_ptrIiEEEEjNS1_16block_id_wrapperIjLb1EEEEEvT_jjPNSG_10value_typeET0_PNSt15iterator_traitsISJ_E10value_typeEmT1_T2_
                                        ; -- End function
	.set _ZN7rocprim17ROCPRIM_400000_NS6detail30init_device_scan_by_key_kernelINS1_19lookback_scan_stateINS0_5tupleIJjbEEELb0ELb1EEEN6thrust23THRUST_200600_302600_NS6detail15normal_iteratorINS8_10device_ptrIiEEEEjNS1_16block_id_wrapperIjLb1EEEEEvT_jjPNSG_10value_typeET0_PNSt15iterator_traitsISJ_E10value_typeEmT1_T2_.num_vgpr, 10
	.set _ZN7rocprim17ROCPRIM_400000_NS6detail30init_device_scan_by_key_kernelINS1_19lookback_scan_stateINS0_5tupleIJjbEEELb0ELb1EEEN6thrust23THRUST_200600_302600_NS6detail15normal_iteratorINS8_10device_ptrIiEEEEjNS1_16block_id_wrapperIjLb1EEEEEvT_jjPNSG_10value_typeET0_PNSt15iterator_traitsISJ_E10value_typeEmT1_T2_.num_agpr, 0
	.set _ZN7rocprim17ROCPRIM_400000_NS6detail30init_device_scan_by_key_kernelINS1_19lookback_scan_stateINS0_5tupleIJjbEEELb0ELb1EEEN6thrust23THRUST_200600_302600_NS6detail15normal_iteratorINS8_10device_ptrIiEEEEjNS1_16block_id_wrapperIjLb1EEEEEvT_jjPNSG_10value_typeET0_PNSt15iterator_traitsISJ_E10value_typeEmT1_T2_.numbered_sgpr, 17
	.set _ZN7rocprim17ROCPRIM_400000_NS6detail30init_device_scan_by_key_kernelINS1_19lookback_scan_stateINS0_5tupleIJjbEEELb0ELb1EEEN6thrust23THRUST_200600_302600_NS6detail15normal_iteratorINS8_10device_ptrIiEEEEjNS1_16block_id_wrapperIjLb1EEEEEvT_jjPNSG_10value_typeET0_PNSt15iterator_traitsISJ_E10value_typeEmT1_T2_.num_named_barrier, 0
	.set _ZN7rocprim17ROCPRIM_400000_NS6detail30init_device_scan_by_key_kernelINS1_19lookback_scan_stateINS0_5tupleIJjbEEELb0ELb1EEEN6thrust23THRUST_200600_302600_NS6detail15normal_iteratorINS8_10device_ptrIiEEEEjNS1_16block_id_wrapperIjLb1EEEEEvT_jjPNSG_10value_typeET0_PNSt15iterator_traitsISJ_E10value_typeEmT1_T2_.private_seg_size, 0
	.set _ZN7rocprim17ROCPRIM_400000_NS6detail30init_device_scan_by_key_kernelINS1_19lookback_scan_stateINS0_5tupleIJjbEEELb0ELb1EEEN6thrust23THRUST_200600_302600_NS6detail15normal_iteratorINS8_10device_ptrIiEEEEjNS1_16block_id_wrapperIjLb1EEEEEvT_jjPNSG_10value_typeET0_PNSt15iterator_traitsISJ_E10value_typeEmT1_T2_.uses_vcc, 1
	.set _ZN7rocprim17ROCPRIM_400000_NS6detail30init_device_scan_by_key_kernelINS1_19lookback_scan_stateINS0_5tupleIJjbEEELb0ELb1EEEN6thrust23THRUST_200600_302600_NS6detail15normal_iteratorINS8_10device_ptrIiEEEEjNS1_16block_id_wrapperIjLb1EEEEEvT_jjPNSG_10value_typeET0_PNSt15iterator_traitsISJ_E10value_typeEmT1_T2_.uses_flat_scratch, 0
	.set _ZN7rocprim17ROCPRIM_400000_NS6detail30init_device_scan_by_key_kernelINS1_19lookback_scan_stateINS0_5tupleIJjbEEELb0ELb1EEEN6thrust23THRUST_200600_302600_NS6detail15normal_iteratorINS8_10device_ptrIiEEEEjNS1_16block_id_wrapperIjLb1EEEEEvT_jjPNSG_10value_typeET0_PNSt15iterator_traitsISJ_E10value_typeEmT1_T2_.has_dyn_sized_stack, 0
	.set _ZN7rocprim17ROCPRIM_400000_NS6detail30init_device_scan_by_key_kernelINS1_19lookback_scan_stateINS0_5tupleIJjbEEELb0ELb1EEEN6thrust23THRUST_200600_302600_NS6detail15normal_iteratorINS8_10device_ptrIiEEEEjNS1_16block_id_wrapperIjLb1EEEEEvT_jjPNSG_10value_typeET0_PNSt15iterator_traitsISJ_E10value_typeEmT1_T2_.has_recursion, 0
	.set _ZN7rocprim17ROCPRIM_400000_NS6detail30init_device_scan_by_key_kernelINS1_19lookback_scan_stateINS0_5tupleIJjbEEELb0ELb1EEEN6thrust23THRUST_200600_302600_NS6detail15normal_iteratorINS8_10device_ptrIiEEEEjNS1_16block_id_wrapperIjLb1EEEEEvT_jjPNSG_10value_typeET0_PNSt15iterator_traitsISJ_E10value_typeEmT1_T2_.has_indirect_call, 0
	.section	.AMDGPU.csdata,"",@progbits
; Kernel info:
; codeLenInByte = 636
; TotalNumSgprs: 19
; NumVgprs: 10
; ScratchSize: 0
; MemoryBound: 0
; FloatMode: 240
; IeeeMode: 1
; LDSByteSize: 0 bytes/workgroup (compile time only)
; SGPRBlocks: 0
; VGPRBlocks: 0
; NumSGPRsForWavesPerEU: 19
; NumVGPRsForWavesPerEU: 10
; NamedBarCnt: 0
; Occupancy: 16
; WaveLimiterHint : 0
; COMPUTE_PGM_RSRC2:SCRATCH_EN: 0
; COMPUTE_PGM_RSRC2:USER_SGPR: 2
; COMPUTE_PGM_RSRC2:TRAP_HANDLER: 0
; COMPUTE_PGM_RSRC2:TGID_X_EN: 1
; COMPUTE_PGM_RSRC2:TGID_Y_EN: 0
; COMPUTE_PGM_RSRC2:TGID_Z_EN: 0
; COMPUTE_PGM_RSRC2:TIDIG_COMP_CNT: 0
	.section	.text._ZN7rocprim17ROCPRIM_400000_NS6detail30init_device_scan_by_key_kernelINS1_19lookback_scan_stateINS0_5tupleIJjbEEELb0ELb1EEENS1_16block_id_wrapperIjLb1EEEEEvT_jjPNS9_10value_typeET0_,"axG",@progbits,_ZN7rocprim17ROCPRIM_400000_NS6detail30init_device_scan_by_key_kernelINS1_19lookback_scan_stateINS0_5tupleIJjbEEELb0ELb1EEENS1_16block_id_wrapperIjLb1EEEEEvT_jjPNS9_10value_typeET0_,comdat
	.protected	_ZN7rocprim17ROCPRIM_400000_NS6detail30init_device_scan_by_key_kernelINS1_19lookback_scan_stateINS0_5tupleIJjbEEELb0ELb1EEENS1_16block_id_wrapperIjLb1EEEEEvT_jjPNS9_10value_typeET0_ ; -- Begin function _ZN7rocprim17ROCPRIM_400000_NS6detail30init_device_scan_by_key_kernelINS1_19lookback_scan_stateINS0_5tupleIJjbEEELb0ELb1EEENS1_16block_id_wrapperIjLb1EEEEEvT_jjPNS9_10value_typeET0_
	.globl	_ZN7rocprim17ROCPRIM_400000_NS6detail30init_device_scan_by_key_kernelINS1_19lookback_scan_stateINS0_5tupleIJjbEEELb0ELb1EEENS1_16block_id_wrapperIjLb1EEEEEvT_jjPNS9_10value_typeET0_
	.p2align	8
	.type	_ZN7rocprim17ROCPRIM_400000_NS6detail30init_device_scan_by_key_kernelINS1_19lookback_scan_stateINS0_5tupleIJjbEEELb0ELb1EEENS1_16block_id_wrapperIjLb1EEEEEvT_jjPNS9_10value_typeET0_,@function
_ZN7rocprim17ROCPRIM_400000_NS6detail30init_device_scan_by_key_kernelINS1_19lookback_scan_stateINS0_5tupleIJjbEEELb0ELb1EEENS1_16block_id_wrapperIjLb1EEEEEvT_jjPNS9_10value_typeET0_: ; @_ZN7rocprim17ROCPRIM_400000_NS6detail30init_device_scan_by_key_kernelINS1_19lookback_scan_stateINS0_5tupleIJjbEEELb0ELb1EEENS1_16block_id_wrapperIjLb1EEEEEvT_jjPNS9_10value_typeET0_
; %bb.0:
	s_clause 0x1
	s_load_b32 s2, s[0:1], 0x2c
	s_load_b256 s[4:11], s[0:1], 0x0
	s_wait_xcnt 0x0
	s_bfe_u32 s0, ttmp6, 0x4000c
	s_and_b32 s1, ttmp6, 15
	s_add_co_i32 s0, s0, 1
	s_getreg_b32 s3, hwreg(HW_REG_IB_STS2, 6, 4)
	s_mul_i32 s0, ttmp9, s0
	s_delay_alu instid0(SALU_CYCLE_1)
	s_add_co_i32 s1, s1, s0
	s_wait_kmcnt 0x0
	s_and_b32 s2, s2, 0xffff
	s_cmp_eq_u32 s3, 0
	s_cselect_b32 s0, ttmp9, s1
	s_cmp_eq_u64 s[8:9], 0
	v_mad_u32 v8, s0, s2, v0
	s_cbranch_scc1 .LBB1253_8
; %bb.1:
	s_cmp_lt_u32 s7, s6
	s_mov_b32 s12, exec_lo
	s_cselect_b32 s0, s7, 0
	s_delay_alu instid0(VALU_DEP_1) | instid1(SALU_CYCLE_1)
	v_cmpx_eq_u32_e64 s0, v8
	s_cbranch_execz .LBB1253_7
; %bb.2:
	s_add_co_i32 s0, s7, 32
	s_mov_b32 s1, 0
	v_mov_b32_e32 v5, 0
	s_lshl_b64 s[2:3], s[0:1], 4
	s_mov_b32 s0, exec_lo
	s_add_nc_u64 s[2:3], s[4:5], s[2:3]
	s_delay_alu instid0(SALU_CYCLE_1) | instskip(SKIP_2) | instid1(VALU_DEP_1)
	v_mov_b64_e32 v[0:1], s[2:3]
	;;#ASMSTART
	global_load_b128 v[0:3], v[0:1] off scope:SCOPE_DEV	
s_wait_loadcnt 0x0
	;;#ASMEND
	v_and_b32_e32 v4, 0xff, v2
	v_cmpx_eq_u64_e32 0, v[4:5]
	s_cbranch_execz .LBB1253_6
; %bb.3:
	v_mov_b64_e32 v[6:7], s[2:3]
.LBB1253_4:                             ; =>This Inner Loop Header: Depth=1
	;;#ASMSTART
	global_load_b128 v[0:3], v[6:7] off scope:SCOPE_DEV	
s_wait_loadcnt 0x0
	;;#ASMEND
	v_and_b32_e32 v4, 0xff, v2
	s_delay_alu instid0(VALU_DEP_1) | instskip(SKIP_1) | instid1(SALU_CYCLE_1)
	v_cmp_ne_u64_e32 vcc_lo, 0, v[4:5]
	s_or_b32 s1, vcc_lo, s1
	s_and_not1_b32 exec_lo, exec_lo, s1
	s_cbranch_execnz .LBB1253_4
; %bb.5:
	s_or_b32 exec_lo, exec_lo, s1
.LBB1253_6:
	s_delay_alu instid0(SALU_CYCLE_1)
	s_or_b32 exec_lo, exec_lo, s0
	v_mov_b32_e32 v2, 0
	s_clause 0x1
	global_store_b32 v2, v0, s[8:9]
	global_store_b8 v2, v1, s[8:9] offset:4
.LBB1253_7:
	s_wait_xcnt 0x0
	s_or_b32 exec_lo, exec_lo, s12
.LBB1253_8:
	s_delay_alu instid0(SALU_CYCLE_1) | instskip(NEXT) | instid1(VALU_DEP_1)
	s_mov_b32 s0, exec_lo
	v_cmpx_eq_u32_e32 0, v8
	s_cbranch_execz .LBB1253_10
; %bb.9:
	v_mov_b32_e32 v0, 0
	global_store_b32 v0, v0, s[10:11]
.LBB1253_10:
	s_wait_xcnt 0x0
	s_or_b32 exec_lo, exec_lo, s0
	s_delay_alu instid0(SALU_CYCLE_1)
	s_mov_b32 s0, exec_lo
	v_cmpx_gt_u32_e64 s6, v8
	s_cbranch_execz .LBB1253_12
; %bb.11:
	v_dual_mov_b32 v0, 0 :: v_dual_add_nc_u32 v4, 32, v8
	s_delay_alu instid0(VALU_DEP_1)
	v_dual_mov_b32 v1, v0 :: v_dual_mov_b32 v2, v0
	v_mov_b32_e32 v3, v0
	global_store_b128 v4, v[0:3], s[4:5] scale_offset
.LBB1253_12:
	s_wait_xcnt 0x0
	s_or_b32 exec_lo, exec_lo, s0
	s_delay_alu instid0(SALU_CYCLE_1)
	s_mov_b32 s0, exec_lo
	v_cmpx_gt_u32_e32 32, v8
	s_cbranch_execz .LBB1253_14
; %bb.13:
	v_mov_b32_e32 v0, 0
	s_delay_alu instid0(VALU_DEP_1)
	v_dual_mov_b32 v2, 0xff :: v_dual_mov_b32 v1, v0
	v_mov_b32_e32 v3, v0
	global_store_b128 v8, v[0:3], s[4:5] scale_offset
.LBB1253_14:
	s_endpgm
	.section	.rodata,"a",@progbits
	.p2align	6, 0x0
	.amdhsa_kernel _ZN7rocprim17ROCPRIM_400000_NS6detail30init_device_scan_by_key_kernelINS1_19lookback_scan_stateINS0_5tupleIJjbEEELb0ELb1EEENS1_16block_id_wrapperIjLb1EEEEEvT_jjPNS9_10value_typeET0_
		.amdhsa_group_segment_fixed_size 0
		.amdhsa_private_segment_fixed_size 0
		.amdhsa_kernarg_size 288
		.amdhsa_user_sgpr_count 2
		.amdhsa_user_sgpr_dispatch_ptr 0
		.amdhsa_user_sgpr_queue_ptr 0
		.amdhsa_user_sgpr_kernarg_segment_ptr 1
		.amdhsa_user_sgpr_dispatch_id 0
		.amdhsa_user_sgpr_kernarg_preload_length 0
		.amdhsa_user_sgpr_kernarg_preload_offset 0
		.amdhsa_user_sgpr_private_segment_size 0
		.amdhsa_wavefront_size32 1
		.amdhsa_uses_dynamic_stack 0
		.amdhsa_enable_private_segment 0
		.amdhsa_system_sgpr_workgroup_id_x 1
		.amdhsa_system_sgpr_workgroup_id_y 0
		.amdhsa_system_sgpr_workgroup_id_z 0
		.amdhsa_system_sgpr_workgroup_info 0
		.amdhsa_system_vgpr_workitem_id 0
		.amdhsa_next_free_vgpr 9
		.amdhsa_next_free_sgpr 13
		.amdhsa_named_barrier_count 0
		.amdhsa_reserve_vcc 1
		.amdhsa_float_round_mode_32 0
		.amdhsa_float_round_mode_16_64 0
		.amdhsa_float_denorm_mode_32 3
		.amdhsa_float_denorm_mode_16_64 3
		.amdhsa_fp16_overflow 0
		.amdhsa_memory_ordered 1
		.amdhsa_forward_progress 1
		.amdhsa_inst_pref_size 4
		.amdhsa_round_robin_scheduling 0
		.amdhsa_exception_fp_ieee_invalid_op 0
		.amdhsa_exception_fp_denorm_src 0
		.amdhsa_exception_fp_ieee_div_zero 0
		.amdhsa_exception_fp_ieee_overflow 0
		.amdhsa_exception_fp_ieee_underflow 0
		.amdhsa_exception_fp_ieee_inexact 0
		.amdhsa_exception_int_div_zero 0
	.end_amdhsa_kernel
	.section	.text._ZN7rocprim17ROCPRIM_400000_NS6detail30init_device_scan_by_key_kernelINS1_19lookback_scan_stateINS0_5tupleIJjbEEELb0ELb1EEENS1_16block_id_wrapperIjLb1EEEEEvT_jjPNS9_10value_typeET0_,"axG",@progbits,_ZN7rocprim17ROCPRIM_400000_NS6detail30init_device_scan_by_key_kernelINS1_19lookback_scan_stateINS0_5tupleIJjbEEELb0ELb1EEENS1_16block_id_wrapperIjLb1EEEEEvT_jjPNS9_10value_typeET0_,comdat
.Lfunc_end1253:
	.size	_ZN7rocprim17ROCPRIM_400000_NS6detail30init_device_scan_by_key_kernelINS1_19lookback_scan_stateINS0_5tupleIJjbEEELb0ELb1EEENS1_16block_id_wrapperIjLb1EEEEEvT_jjPNS9_10value_typeET0_, .Lfunc_end1253-_ZN7rocprim17ROCPRIM_400000_NS6detail30init_device_scan_by_key_kernelINS1_19lookback_scan_stateINS0_5tupleIJjbEEELb0ELb1EEENS1_16block_id_wrapperIjLb1EEEEEvT_jjPNS9_10value_typeET0_
                                        ; -- End function
	.set _ZN7rocprim17ROCPRIM_400000_NS6detail30init_device_scan_by_key_kernelINS1_19lookback_scan_stateINS0_5tupleIJjbEEELb0ELb1EEENS1_16block_id_wrapperIjLb1EEEEEvT_jjPNS9_10value_typeET0_.num_vgpr, 9
	.set _ZN7rocprim17ROCPRIM_400000_NS6detail30init_device_scan_by_key_kernelINS1_19lookback_scan_stateINS0_5tupleIJjbEEELb0ELb1EEENS1_16block_id_wrapperIjLb1EEEEEvT_jjPNS9_10value_typeET0_.num_agpr, 0
	.set _ZN7rocprim17ROCPRIM_400000_NS6detail30init_device_scan_by_key_kernelINS1_19lookback_scan_stateINS0_5tupleIJjbEEELb0ELb1EEENS1_16block_id_wrapperIjLb1EEEEEvT_jjPNS9_10value_typeET0_.numbered_sgpr, 13
	.set _ZN7rocprim17ROCPRIM_400000_NS6detail30init_device_scan_by_key_kernelINS1_19lookback_scan_stateINS0_5tupleIJjbEEELb0ELb1EEENS1_16block_id_wrapperIjLb1EEEEEvT_jjPNS9_10value_typeET0_.num_named_barrier, 0
	.set _ZN7rocprim17ROCPRIM_400000_NS6detail30init_device_scan_by_key_kernelINS1_19lookback_scan_stateINS0_5tupleIJjbEEELb0ELb1EEENS1_16block_id_wrapperIjLb1EEEEEvT_jjPNS9_10value_typeET0_.private_seg_size, 0
	.set _ZN7rocprim17ROCPRIM_400000_NS6detail30init_device_scan_by_key_kernelINS1_19lookback_scan_stateINS0_5tupleIJjbEEELb0ELb1EEENS1_16block_id_wrapperIjLb1EEEEEvT_jjPNS9_10value_typeET0_.uses_vcc, 1
	.set _ZN7rocprim17ROCPRIM_400000_NS6detail30init_device_scan_by_key_kernelINS1_19lookback_scan_stateINS0_5tupleIJjbEEELb0ELb1EEENS1_16block_id_wrapperIjLb1EEEEEvT_jjPNS9_10value_typeET0_.uses_flat_scratch, 0
	.set _ZN7rocprim17ROCPRIM_400000_NS6detail30init_device_scan_by_key_kernelINS1_19lookback_scan_stateINS0_5tupleIJjbEEELb0ELb1EEENS1_16block_id_wrapperIjLb1EEEEEvT_jjPNS9_10value_typeET0_.has_dyn_sized_stack, 0
	.set _ZN7rocprim17ROCPRIM_400000_NS6detail30init_device_scan_by_key_kernelINS1_19lookback_scan_stateINS0_5tupleIJjbEEELb0ELb1EEENS1_16block_id_wrapperIjLb1EEEEEvT_jjPNS9_10value_typeET0_.has_recursion, 0
	.set _ZN7rocprim17ROCPRIM_400000_NS6detail30init_device_scan_by_key_kernelINS1_19lookback_scan_stateINS0_5tupleIJjbEEELb0ELb1EEENS1_16block_id_wrapperIjLb1EEEEEvT_jjPNS9_10value_typeET0_.has_indirect_call, 0
	.section	.AMDGPU.csdata,"",@progbits
; Kernel info:
; codeLenInByte = 416
; TotalNumSgprs: 15
; NumVgprs: 9
; ScratchSize: 0
; MemoryBound: 0
; FloatMode: 240
; IeeeMode: 1
; LDSByteSize: 0 bytes/workgroup (compile time only)
; SGPRBlocks: 0
; VGPRBlocks: 0
; NumSGPRsForWavesPerEU: 15
; NumVGPRsForWavesPerEU: 9
; NamedBarCnt: 0
; Occupancy: 16
; WaveLimiterHint : 0
; COMPUTE_PGM_RSRC2:SCRATCH_EN: 0
; COMPUTE_PGM_RSRC2:USER_SGPR: 2
; COMPUTE_PGM_RSRC2:TRAP_HANDLER: 0
; COMPUTE_PGM_RSRC2:TGID_X_EN: 1
; COMPUTE_PGM_RSRC2:TGID_Y_EN: 0
; COMPUTE_PGM_RSRC2:TGID_Z_EN: 0
; COMPUTE_PGM_RSRC2:TIDIG_COMP_CNT: 0
	.section	.text._ZN7rocprim17ROCPRIM_400000_NS6detail17trampoline_kernelINS0_14default_configENS1_27scan_by_key_config_selectorIijEEZZNS1_16scan_by_key_implILNS1_25lookback_scan_determinismE0ELb0ES3_N6thrust23THRUST_200600_302600_NS6detail15normal_iteratorINS9_10device_ptrIiEEEENSB_INSC_IjEEEESG_jNS9_4plusIvEENS9_8equal_toIvEEjEE10hipError_tPvRmT2_T3_T4_T5_mT6_T7_P12ihipStream_tbENKUlT_T0_E_clISt17integral_constantIbLb0EES10_IbLb1EEEEDaSW_SX_EUlSW_E_NS1_11comp_targetILNS1_3genE0ELNS1_11target_archE4294967295ELNS1_3gpuE0ELNS1_3repE0EEENS1_30default_config_static_selectorELNS0_4arch9wavefront6targetE0EEEvT1_,"axG",@progbits,_ZN7rocprim17ROCPRIM_400000_NS6detail17trampoline_kernelINS0_14default_configENS1_27scan_by_key_config_selectorIijEEZZNS1_16scan_by_key_implILNS1_25lookback_scan_determinismE0ELb0ES3_N6thrust23THRUST_200600_302600_NS6detail15normal_iteratorINS9_10device_ptrIiEEEENSB_INSC_IjEEEESG_jNS9_4plusIvEENS9_8equal_toIvEEjEE10hipError_tPvRmT2_T3_T4_T5_mT6_T7_P12ihipStream_tbENKUlT_T0_E_clISt17integral_constantIbLb0EES10_IbLb1EEEEDaSW_SX_EUlSW_E_NS1_11comp_targetILNS1_3genE0ELNS1_11target_archE4294967295ELNS1_3gpuE0ELNS1_3repE0EEENS1_30default_config_static_selectorELNS0_4arch9wavefront6targetE0EEEvT1_,comdat
	.protected	_ZN7rocprim17ROCPRIM_400000_NS6detail17trampoline_kernelINS0_14default_configENS1_27scan_by_key_config_selectorIijEEZZNS1_16scan_by_key_implILNS1_25lookback_scan_determinismE0ELb0ES3_N6thrust23THRUST_200600_302600_NS6detail15normal_iteratorINS9_10device_ptrIiEEEENSB_INSC_IjEEEESG_jNS9_4plusIvEENS9_8equal_toIvEEjEE10hipError_tPvRmT2_T3_T4_T5_mT6_T7_P12ihipStream_tbENKUlT_T0_E_clISt17integral_constantIbLb0EES10_IbLb1EEEEDaSW_SX_EUlSW_E_NS1_11comp_targetILNS1_3genE0ELNS1_11target_archE4294967295ELNS1_3gpuE0ELNS1_3repE0EEENS1_30default_config_static_selectorELNS0_4arch9wavefront6targetE0EEEvT1_ ; -- Begin function _ZN7rocprim17ROCPRIM_400000_NS6detail17trampoline_kernelINS0_14default_configENS1_27scan_by_key_config_selectorIijEEZZNS1_16scan_by_key_implILNS1_25lookback_scan_determinismE0ELb0ES3_N6thrust23THRUST_200600_302600_NS6detail15normal_iteratorINS9_10device_ptrIiEEEENSB_INSC_IjEEEESG_jNS9_4plusIvEENS9_8equal_toIvEEjEE10hipError_tPvRmT2_T3_T4_T5_mT6_T7_P12ihipStream_tbENKUlT_T0_E_clISt17integral_constantIbLb0EES10_IbLb1EEEEDaSW_SX_EUlSW_E_NS1_11comp_targetILNS1_3genE0ELNS1_11target_archE4294967295ELNS1_3gpuE0ELNS1_3repE0EEENS1_30default_config_static_selectorELNS0_4arch9wavefront6targetE0EEEvT1_
	.globl	_ZN7rocprim17ROCPRIM_400000_NS6detail17trampoline_kernelINS0_14default_configENS1_27scan_by_key_config_selectorIijEEZZNS1_16scan_by_key_implILNS1_25lookback_scan_determinismE0ELb0ES3_N6thrust23THRUST_200600_302600_NS6detail15normal_iteratorINS9_10device_ptrIiEEEENSB_INSC_IjEEEESG_jNS9_4plusIvEENS9_8equal_toIvEEjEE10hipError_tPvRmT2_T3_T4_T5_mT6_T7_P12ihipStream_tbENKUlT_T0_E_clISt17integral_constantIbLb0EES10_IbLb1EEEEDaSW_SX_EUlSW_E_NS1_11comp_targetILNS1_3genE0ELNS1_11target_archE4294967295ELNS1_3gpuE0ELNS1_3repE0EEENS1_30default_config_static_selectorELNS0_4arch9wavefront6targetE0EEEvT1_
	.p2align	8
	.type	_ZN7rocprim17ROCPRIM_400000_NS6detail17trampoline_kernelINS0_14default_configENS1_27scan_by_key_config_selectorIijEEZZNS1_16scan_by_key_implILNS1_25lookback_scan_determinismE0ELb0ES3_N6thrust23THRUST_200600_302600_NS6detail15normal_iteratorINS9_10device_ptrIiEEEENSB_INSC_IjEEEESG_jNS9_4plusIvEENS9_8equal_toIvEEjEE10hipError_tPvRmT2_T3_T4_T5_mT6_T7_P12ihipStream_tbENKUlT_T0_E_clISt17integral_constantIbLb0EES10_IbLb1EEEEDaSW_SX_EUlSW_E_NS1_11comp_targetILNS1_3genE0ELNS1_11target_archE4294967295ELNS1_3gpuE0ELNS1_3repE0EEENS1_30default_config_static_selectorELNS0_4arch9wavefront6targetE0EEEvT1_,@function
_ZN7rocprim17ROCPRIM_400000_NS6detail17trampoline_kernelINS0_14default_configENS1_27scan_by_key_config_selectorIijEEZZNS1_16scan_by_key_implILNS1_25lookback_scan_determinismE0ELb0ES3_N6thrust23THRUST_200600_302600_NS6detail15normal_iteratorINS9_10device_ptrIiEEEENSB_INSC_IjEEEESG_jNS9_4plusIvEENS9_8equal_toIvEEjEE10hipError_tPvRmT2_T3_T4_T5_mT6_T7_P12ihipStream_tbENKUlT_T0_E_clISt17integral_constantIbLb0EES10_IbLb1EEEEDaSW_SX_EUlSW_E_NS1_11comp_targetILNS1_3genE0ELNS1_11target_archE4294967295ELNS1_3gpuE0ELNS1_3repE0EEENS1_30default_config_static_selectorELNS0_4arch9wavefront6targetE0EEEvT1_: ; @_ZN7rocprim17ROCPRIM_400000_NS6detail17trampoline_kernelINS0_14default_configENS1_27scan_by_key_config_selectorIijEEZZNS1_16scan_by_key_implILNS1_25lookback_scan_determinismE0ELb0ES3_N6thrust23THRUST_200600_302600_NS6detail15normal_iteratorINS9_10device_ptrIiEEEENSB_INSC_IjEEEESG_jNS9_4plusIvEENS9_8equal_toIvEEjEE10hipError_tPvRmT2_T3_T4_T5_mT6_T7_P12ihipStream_tbENKUlT_T0_E_clISt17integral_constantIbLb0EES10_IbLb1EEEEDaSW_SX_EUlSW_E_NS1_11comp_targetILNS1_3genE0ELNS1_11target_archE4294967295ELNS1_3gpuE0ELNS1_3repE0EEENS1_30default_config_static_selectorELNS0_4arch9wavefront6targetE0EEEvT1_
; %bb.0:
	s_clause 0x1
	s_load_b128 s[28:31], s[0:1], 0x28
	s_load_b64 s[36:37], s[0:1], 0x38
	v_cmp_ne_u32_e64 s3, 0, v0
	v_cmp_eq_u32_e64 s2, 0, v0
	s_and_saveexec_b32 s4, s2
	s_cbranch_execz .LBB1254_4
; %bb.1:
	s_mov_b32 s6, exec_lo
	s_mov_b32 s5, exec_lo
	v_mbcnt_lo_u32_b32 v1, s6, 0
                                        ; implicit-def: $vgpr2
	s_delay_alu instid0(VALU_DEP_1)
	v_cmpx_eq_u32_e32 0, v1
	s_cbranch_execz .LBB1254_3
; %bb.2:
	s_load_b64 s[8:9], s[0:1], 0x68
	s_bcnt1_i32_b32 s6, s6
	s_delay_alu instid0(SALU_CYCLE_1)
	v_dual_mov_b32 v2, 0 :: v_dual_mov_b32 v3, s6
	s_wait_xcnt 0x0
	s_wait_kmcnt 0x0
	global_atomic_add_u32 v2, v2, v3, s[8:9] th:TH_ATOMIC_RETURN scope:SCOPE_DEV
.LBB1254_3:
	s_wait_xcnt 0x0
	s_or_b32 exec_lo, exec_lo, s5
	s_wait_loadcnt 0x0
	v_readfirstlane_b32 s5, v2
	s_delay_alu instid0(VALU_DEP_1)
	v_dual_mov_b32 v2, 0 :: v_dual_add_nc_u32 v1, s5, v1
	ds_store_b32 v2, v1
.LBB1254_4:
	s_or_b32 exec_lo, exec_lo, s4
	v_mov_b32_e32 v1, 0
	s_clause 0x2
	s_load_b256 s[12:19], s[0:1], 0x0
	s_load_b32 s38, s[0:1], 0x40
	s_load_b256 s[20:27], s[0:1], 0x48
	s_wait_dscnt 0x0
	s_barrier_signal -1
	s_barrier_wait -1
	ds_load_b32 v2, v1
	s_mov_b32 s39, 0
	s_wait_dscnt 0x0
	s_mov_b32 s9, s39
	s_barrier_signal -1
	s_barrier_wait -1
	s_barrier_signal -1
	s_barrier_wait -1
	s_wait_kmcnt 0x0
	s_lshl_b64 s[34:35], s[14:15], 2
	s_mul_u64 s[6:7], s[36:37], s[38:39]
	s_cmp_lg_u64 s[24:25], 0
	s_add_nc_u64 s[0:1], s[12:13], s[34:35]
	s_add_nc_u64 s[4:5], s[16:17], s[34:35]
	s_cselect_b32 s42, -1, 0
	v_readfirstlane_b32 s38, v2
	s_add_nc_u64 s[24:25], s[6:7], s[38:39]
	s_add_nc_u64 s[6:7], s[20:21], -1
	s_mul_i32 s8, s38, 0xc00
	v_cmp_ge_u64_e64 s31, s[24:25], s[6:7]
	s_lshl_b64 s[16:17], s[8:9], 2
	s_mul_i32 s33, s6, 0xfffff400
	s_add_nc_u64 s[20:21], s[0:1], s[16:17]
	s_add_nc_u64 s[14:15], s[4:5], s[16:17]
	s_and_b32 vcc_lo, exec_lo, s31
	s_cbranch_vccz .LBB1254_32
; %bb.5:
	flat_load_b32 v1, v1, s[20:21]
	s_add_co_i32 s43, s33, s30
	s_delay_alu instid0(SALU_CYCLE_1)
	v_cmp_gt_u32_e64 s0, s43, v0
	s_wait_loadcnt_dscnt 0x0
	v_mov_b32_e32 v2, v1
	s_and_saveexec_b32 s1, s0
	s_cbranch_execz .LBB1254_7
; %bb.6:
	flat_load_b32 v2, v0, s[20:21] scale_offset
.LBB1254_7:
	s_wait_xcnt 0x0
	s_or_b32 exec_lo, exec_lo, s1
	v_or_b32_e32 v3, 0x100, v0
	v_mov_b32_e32 v4, v1
	s_delay_alu instid0(VALU_DEP_2)
	v_cmp_gt_u32_e64 s1, s43, v3
	s_and_saveexec_b32 s4, s1
	s_cbranch_execz .LBB1254_9
; %bb.8:
	flat_load_b32 v4, v0, s[20:21] offset:1024 scale_offset
.LBB1254_9:
	s_wait_xcnt 0x0
	s_or_b32 exec_lo, exec_lo, s4
	v_or_b32_e32 v3, 0x200, v0
	v_mov_b32_e32 v5, v1
	s_delay_alu instid0(VALU_DEP_2)
	v_cmp_gt_u32_e64 s4, s43, v3
	s_and_saveexec_b32 s5, s4
	s_cbranch_execz .LBB1254_11
; %bb.10:
	flat_load_b32 v5, v0, s[20:21] offset:2048 scale_offset
.LBB1254_11:
	;; [unrolled: 11-line block ×10, first 2 shown]
	s_wait_xcnt 0x0
	s_or_b32 exec_lo, exec_lo, s13
	v_or_b32_e32 v3, 0xb00, v0
	s_mov_b32 s39, exec_lo
	s_delay_alu instid0(VALU_DEP_1) | instskip(SKIP_2) | instid1(SALU_CYCLE_1)
	v_cmp_gt_u32_e64 s13, s43, v3
	v_cmpx_le_u32_e64 s43, v3
	s_xor_b32 s39, exec_lo, s39
	s_and_not1_saveexec_b32 s39, s39
	s_cbranch_execz .LBB1254_29
; %bb.28:
	flat_load_b32 v1, v0, s[20:21] offset:11264 scale_offset
.LBB1254_29:
	s_wait_xcnt 0x0
	s_or_b32 exec_lo, exec_lo, s39
	v_lshlrev_b32_e32 v3, 2, v0
	s_cmp_eq_u64 s[24:25], 0
	s_mov_b64 s[40:41], s[20:21]
	s_wait_loadcnt_dscnt 0x0
	ds_store_2addr_stride64_b32 v3, v2, v4 offset1:4
	ds_store_2addr_stride64_b32 v3, v5, v6 offset0:8 offset1:12
	ds_store_2addr_stride64_b32 v3, v7, v8 offset0:16 offset1:20
	;; [unrolled: 1-line block ×5, first 2 shown]
	v_mad_u32_u24 v1, v0, 44, v3
	s_wait_dscnt 0x0
	s_barrier_signal -1
	s_barrier_wait -1
	ds_load_b128 v[14:17], v1
	ds_load_b128 v[10:13], v1 offset:16
	ds_load_b128 v[6:9], v1 offset:32
	s_cbranch_scc1 .LBB1254_35
; %bb.30:
	s_and_not1_b32 vcc_lo, exec_lo, s42
	s_cbranch_vccnz .LBB1254_33
; %bb.31:
	s_lshl_b64 s[40:41], s[24:25], 2
	s_mov_b32 s39, 0
	s_add_nc_u64 s[40:41], s[26:27], s[40:41]
	s_delay_alu instid0(SALU_CYCLE_1)
	s_add_nc_u64 s[40:41], s[40:41], -4
	s_branch .LBB1254_34
.LBB1254_32:
                                        ; implicit-def: $sgpr4
                                        ; implicit-def: $vgpr5
                                        ; implicit-def: $vgpr18_vgpr19
                                        ; implicit-def: $vgpr42_vgpr43
                                        ; implicit-def: $vgpr46_vgpr47
                                        ; implicit-def: $vgpr44_vgpr45
                                        ; implicit-def: $vgpr48_vgpr49
                                        ; implicit-def: $vgpr50_vgpr51
                                        ; implicit-def: $vgpr52_vgpr53
                                        ; implicit-def: $vgpr54_vgpr55
                                        ; implicit-def: $vgpr56_vgpr57
                                        ; implicit-def: $vgpr58_vgpr59
                                        ; implicit-def: $vgpr38_vgpr39
                                        ; implicit-def: $vgpr36_vgpr37
                                        ; implicit-def: $vgpr34_vgpr35
                                        ; implicit-def: $vgpr32_vgpr33
                                        ; implicit-def: $vgpr30_vgpr31
                                        ; implicit-def: $vgpr28_vgpr29
                                        ; implicit-def: $vgpr26_vgpr27
                                        ; implicit-def: $vgpr24_vgpr25
                                        ; implicit-def: $vgpr22_vgpr23
                                        ; implicit-def: $vgpr20_vgpr21
	v_lshlrev_b32_e32 v16, 2, v0
	s_cbranch_execnz .LBB1254_73
	s_branch .LBB1254_92
.LBB1254_33:
	s_add_nc_u64 s[40:41], s[20:21], -4
	s_mov_b32 s39, -1
.LBB1254_34:
	s_delay_alu instid0(SALU_CYCLE_1)
	s_and_not1_b32 vcc_lo, exec_lo, s39
.LBB1254_35:
	v_mov_b32_e32 v2, 0
	v_mad_i32_i24 v4, 0xffffffd4, v0, v1
	flat_load_b32 v2, v2, s[40:41]
	s_wait_dscnt 0x1
	ds_store_b32 v4, v9 offset:12288
	s_wait_loadcnt_dscnt 0x0
	s_barrier_signal -1
	s_barrier_wait -1
	s_and_saveexec_b32 s39, s3
; %bb.36:
	v_mul_i32_i24_e32 v2, 0xffffffd4, v0
	s_delay_alu instid0(VALU_DEP_1)
	v_add_nc_u32_e32 v2, v1, v2
	ds_load_b32 v2, v2 offset:12284
; %bb.37:
	s_or_b32 exec_lo, exec_lo, s39
	s_wait_dscnt 0x0
	s_barrier_signal -1
	s_barrier_wait -1
                                        ; implicit-def: $vgpr5
	s_and_saveexec_b32 s39, s0
	s_cbranch_execnz .LBB1254_76
; %bb.38:
	s_or_b32 exec_lo, exec_lo, s39
                                        ; implicit-def: $vgpr18
	s_and_saveexec_b32 s0, s1
	s_cbranch_execnz .LBB1254_77
.LBB1254_39:
	s_or_b32 exec_lo, exec_lo, s0
                                        ; implicit-def: $vgpr19
	s_and_saveexec_b32 s0, s4
	s_cbranch_execnz .LBB1254_78
.LBB1254_40:
	s_or_b32 exec_lo, exec_lo, s0
                                        ; implicit-def: $vgpr20
	s_and_saveexec_b32 s0, s5
	s_cbranch_execnz .LBB1254_79
.LBB1254_41:
	s_or_b32 exec_lo, exec_lo, s0
                                        ; implicit-def: $vgpr21
	s_and_saveexec_b32 s0, s6
	s_cbranch_execnz .LBB1254_80
.LBB1254_42:
	s_or_b32 exec_lo, exec_lo, s0
                                        ; implicit-def: $vgpr22
	s_and_saveexec_b32 s0, s7
	s_cbranch_execnz .LBB1254_81
.LBB1254_43:
	s_or_b32 exec_lo, exec_lo, s0
                                        ; implicit-def: $vgpr23
	s_and_saveexec_b32 s0, s8
	s_cbranch_execnz .LBB1254_82
.LBB1254_44:
	s_or_b32 exec_lo, exec_lo, s0
                                        ; implicit-def: $vgpr24
	s_and_saveexec_b32 s0, s9
	s_cbranch_execnz .LBB1254_83
.LBB1254_45:
	s_or_b32 exec_lo, exec_lo, s0
                                        ; implicit-def: $vgpr25
	s_and_saveexec_b32 s0, s10
	s_cbranch_execnz .LBB1254_84
.LBB1254_46:
	s_or_b32 exec_lo, exec_lo, s0
                                        ; implicit-def: $vgpr26
	s_and_saveexec_b32 s0, s11
	s_cbranch_execnz .LBB1254_85
.LBB1254_47:
	s_or_b32 exec_lo, exec_lo, s0
                                        ; implicit-def: $vgpr27
	s_and_saveexec_b32 s0, s12
	s_cbranch_execnz .LBB1254_86
.LBB1254_48:
	s_or_b32 exec_lo, exec_lo, s0
                                        ; implicit-def: $vgpr28
	s_and_saveexec_b32 s0, s13
	s_cbranch_execz .LBB1254_50
.LBB1254_49:
	flat_load_b32 v28, v0, s[14:15] offset:11264 scale_offset
.LBB1254_50:
	s_wait_xcnt 0x0
	s_or_b32 exec_lo, exec_lo, s0
	s_wait_loadcnt_dscnt 0x0
	ds_store_2addr_stride64_b32 v3, v5, v18 offset1:4
	ds_store_2addr_stride64_b32 v3, v19, v20 offset0:8 offset1:12
	ds_store_2addr_stride64_b32 v3, v21, v22 offset0:16 offset1:20
	;; [unrolled: 1-line block ×5, first 2 shown]
	v_mov_b64_e32 v[18:19], 0
	v_mov_b64_e32 v[42:43], 0
	v_mov_b64_e32 v[46:47], 0
	v_mov_b64_e32 v[44:45], 0
	v_mov_b64_e32 v[48:49], 0
	v_mov_b64_e32 v[50:51], 0
	v_mov_b64_e32 v[52:53], 0
	v_mov_b64_e32 v[54:55], 0
	v_mov_b64_e32 v[56:57], 0
	v_mov_b64_e32 v[58:59], 0
	v_mov_b64_e32 v[38:39], 0
	v_mov_b64_e32 v[36:37], 0
	v_mov_b64_e32 v[34:35], 0
	v_mov_b64_e32 v[32:33], 0
	v_mov_b64_e32 v[30:31], 0
	v_mov_b64_e32 v[28:29], 0
	v_mov_b64_e32 v[26:27], 0
	v_mov_b64_e32 v[24:25], 0
	v_mov_b64_e32 v[22:23], 0
	v_mov_b64_e32 v[20:21], 0
	v_mul_u32_u24_e32 v4, 12, v0
	s_mov_b32 s1, 0
	s_mov_b32 s39, 0
	s_mov_b32 s5, exec_lo
	s_wait_dscnt 0x0
	s_barrier_signal -1
	s_barrier_wait -1
                                        ; implicit-def: $sgpr4
                                        ; implicit-def: $vgpr5
	v_cmpx_gt_u32_e64 s43, v4
	s_cbranch_execz .LBB1254_72
; %bb.51:
	ds_load_b32 v18, v1
	v_cmp_ne_u32_e32 vcc_lo, v2, v14
	v_mov_b64_e32 v[42:43], 0
	v_mov_b64_e32 v[46:47], 0
	;; [unrolled: 1-line block ×18, first 2 shown]
	v_or_b32_e32 v3, 1, v4
	v_cndmask_b32_e64 v19, 0, 1, vcc_lo
	s_mov_b32 s0, 0
	s_mov_b32 s6, exec_lo
                                        ; implicit-def: $sgpr4
                                        ; implicit-def: $vgpr5
	s_delay_alu instid0(VALU_DEP_2)
	v_cmpx_gt_u32_e64 s43, v3
	s_cbranch_execz .LBB1254_71
; %bb.52:
	ds_load_2addr_b32 v[42:43], v1 offset0:1 offset1:2
	v_cmp_ne_u32_e32 vcc_lo, v14, v15
	v_mov_b64_e32 v[46:47], 0
	v_mov_b64_e32 v[44:45], 0
	;; [unrolled: 1-line block ×16, first 2 shown]
	v_or_b32_e32 v3, 2, v4
	v_cndmask_b32_e64 v2, 0, 1, vcc_lo
	s_mov_b32 s7, exec_lo
                                        ; implicit-def: $sgpr4
                                        ; implicit-def: $vgpr5
	s_delay_alu instid0(VALU_DEP_2)
	v_cmpx_gt_u32_e64 s43, v3
	s_cbranch_execz .LBB1254_70
; %bb.53:
	v_cmp_ne_u32_e32 vcc_lo, v15, v16
	v_mov_b64_e32 v[44:45], 0
	v_mov_b64_e32 v[48:49], 0
	;; [unrolled: 1-line block ×14, first 2 shown]
	v_or_b32_e32 v3, 3, v4
	v_cndmask_b32_e64 v47, 0, 1, vcc_lo
	s_mov_b32 s8, exec_lo
                                        ; implicit-def: $sgpr4
                                        ; implicit-def: $vgpr5
	s_delay_alu instid0(VALU_DEP_2)
	v_cmpx_gt_u32_e64 s43, v3
	s_cbranch_execz .LBB1254_69
; %bb.54:
	ds_load_2addr_b32 v[44:45], v1 offset0:3 offset1:4
	v_add_nc_u32_e32 v5, 4, v4
	v_cmp_ne_u32_e32 vcc_lo, v16, v17
	v_mov_b64_e32 v[48:49], 0
	v_mov_b64_e32 v[50:51], 0
	;; [unrolled: 1-line block ×12, first 2 shown]
	v_cndmask_b32_e64 v3, 0, 1, vcc_lo
	v_cmp_gt_u32_e32 vcc_lo, s43, v5
                                        ; implicit-def: $sgpr4
                                        ; implicit-def: $vgpr5
	s_and_saveexec_b32 s9, vcc_lo
	s_cbranch_execz .LBB1254_68
; %bb.55:
	v_add_nc_u32_e32 v5, 5, v4
	v_cmp_ne_u32_e32 vcc_lo, v17, v10
	v_mov_b64_e32 v[50:51], 0
	v_mov_b64_e32 v[52:53], 0
	v_mov_b64_e32 v[54:55], 0
	v_mov_b64_e32 v[56:57], 0
	v_mov_b64_e32 v[58:59], 0
	v_mov_b64_e32 v[28:29], 0
	v_mov_b64_e32 v[26:27], 0
	v_mov_b64_e32 v[24:25], 0
	v_mov_b64_e32 v[22:23], 0
	v_mov_b64_e32 v[20:21], 0
	v_cndmask_b32_e64 v49, 0, 1, vcc_lo
	v_cmp_gt_u32_e32 vcc_lo, s43, v5
                                        ; implicit-def: $sgpr4
                                        ; implicit-def: $vgpr5
	s_and_saveexec_b32 s10, vcc_lo
	s_cbranch_execz .LBB1254_67
; %bb.56:
	ds_load_2addr_b32 v[50:51], v1 offset0:5 offset1:6
	v_add_nc_u32_e32 v5, 6, v4
	v_cmp_ne_u32_e32 vcc_lo, v10, v11
	v_mov_b64_e32 v[52:53], 0
	v_mov_b64_e32 v[54:55], 0
	;; [unrolled: 1-line block ×8, first 2 shown]
	v_cndmask_b32_e64 v10, 0, 1, vcc_lo
	v_cmp_gt_u32_e32 vcc_lo, s43, v5
                                        ; implicit-def: $sgpr4
                                        ; implicit-def: $vgpr5
	s_and_saveexec_b32 s11, vcc_lo
	s_cbranch_execz .LBB1254_66
; %bb.57:
	v_add_nc_u32_e32 v5, 7, v4
	v_cmp_ne_u32_e32 vcc_lo, v11, v12
	v_mov_b64_e32 v[54:55], 0
	v_mov_b64_e32 v[56:57], 0
	;; [unrolled: 1-line block ×6, first 2 shown]
	v_cndmask_b32_e64 v53, 0, 1, vcc_lo
	v_cmp_gt_u32_e32 vcc_lo, s43, v5
                                        ; implicit-def: $sgpr4
                                        ; implicit-def: $vgpr5
	s_and_saveexec_b32 s12, vcc_lo
	s_cbranch_execz .LBB1254_65
; %bb.58:
	ds_load_2addr_b32 v[54:55], v1 offset0:7 offset1:8
	v_add_nc_u32_e32 v5, 8, v4
	v_cmp_ne_u32_e32 vcc_lo, v12, v13
	v_mov_b64_e32 v[56:57], 0
	v_mov_b64_e32 v[58:59], 0
	;; [unrolled: 1-line block ×4, first 2 shown]
	v_cndmask_b32_e64 v11, 0, 1, vcc_lo
	v_cmp_gt_u32_e32 vcc_lo, s43, v5
                                        ; implicit-def: $sgpr4
                                        ; implicit-def: $vgpr5
	s_and_saveexec_b32 s13, vcc_lo
	s_cbranch_execz .LBB1254_64
; %bb.59:
	v_add_nc_u32_e32 v5, 9, v4
	v_cmp_ne_u32_e32 vcc_lo, v13, v6
	v_mov_b64_e32 v[58:59], 0
	v_mov_b64_e32 v[20:21], 0
                                        ; implicit-def: $sgpr4
	v_cndmask_b32_e64 v57, 0, 1, vcc_lo
	v_cmp_gt_u32_e32 vcc_lo, s43, v5
                                        ; implicit-def: $vgpr5
	s_and_saveexec_b32 s39, vcc_lo
	s_cbranch_execz .LBB1254_63
; %bb.60:
	ds_load_2addr_b32 v[58:59], v1 offset0:9 offset1:10
	v_add_nc_u32_e32 v5, 10, v4
	v_cmp_ne_u32_e32 vcc_lo, v6, v7
	v_mov_b64_e32 v[20:21], 0
                                        ; implicit-def: $sgpr4
	v_cndmask_b32_e64 v6, 0, 1, vcc_lo
	s_delay_alu instid0(VALU_DEP_4) | instskip(SKIP_1) | instid1(SALU_CYCLE_1)
	v_cmp_gt_u32_e32 vcc_lo, s43, v5
                                        ; implicit-def: $vgpr5
	s_and_saveexec_b32 s40, vcc_lo
	s_xor_b32 s40, exec_lo, s40
	s_cbranch_execz .LBB1254_62
; %bb.61:
	ds_load_b32 v5, v1 offset:44
	s_wait_dscnt 0x1
	v_dual_mov_b32 v20, v59 :: v_dual_add_nc_u32 v1, 11, v4
	v_cmp_ne_u32_e64 s0, v7, v8
	v_cmp_ne_u32_e64 s4, v8, v9
	s_delay_alu instid0(VALU_DEP_3) | instskip(NEXT) | instid1(VALU_DEP_3)
	v_cmp_gt_u32_e32 vcc_lo, s43, v1
	v_cndmask_b32_e64 v21, 0, 1, s0
	s_and_b32 s0, vcc_lo, exec_lo
.LBB1254_62:
	s_or_b32 exec_lo, exec_lo, s40
	s_wait_dscnt 0x0
	v_mov_b32_e32 v59, v6
	s_and_b32 s0, s0, exec_lo
.LBB1254_63:
	s_or_b32 exec_lo, exec_lo, s39
	s_delay_alu instid0(VALU_DEP_1)
	v_mov_b64_e32 v[22:23], v[58:59]
	s_wait_dscnt 0x0
	v_mov_b32_e32 v56, v55
	s_and_b32 s0, s0, exec_lo
.LBB1254_64:
	s_or_b32 exec_lo, exec_lo, s13
	s_delay_alu instid0(VALU_DEP_1)
	v_mov_b64_e32 v[24:25], v[56:57]
	s_wait_dscnt 0x0
	v_mov_b32_e32 v55, v11
	s_and_b32 s0, s0, exec_lo
.LBB1254_65:
	s_or_b32 exec_lo, exec_lo, s12
	s_delay_alu instid0(VALU_DEP_1)
	v_mov_b64_e32 v[26:27], v[54:55]
	s_wait_dscnt 0x0
	v_mov_b32_e32 v52, v51
	s_and_b32 s0, s0, exec_lo
.LBB1254_66:
	s_or_b32 exec_lo, exec_lo, s11
	s_delay_alu instid0(VALU_DEP_1)
	v_mov_b64_e32 v[28:29], v[52:53]
	s_wait_dscnt 0x0
	v_mov_b32_e32 v51, v10
	s_and_b32 s0, s0, exec_lo
.LBB1254_67:
	s_or_b32 exec_lo, exec_lo, s10
	s_delay_alu instid0(VALU_DEP_1)
	v_mov_b64_e32 v[30:31], v[50:51]
	s_wait_dscnt 0x0
	v_mov_b32_e32 v48, v45
	s_and_b32 s0, s0, exec_lo
.LBB1254_68:
	s_or_b32 exec_lo, exec_lo, s9
	s_delay_alu instid0(VALU_DEP_1)
	v_mov_b64_e32 v[32:33], v[48:49]
	s_wait_dscnt 0x0
	v_mov_b32_e32 v45, v3
	s_and_b32 s0, s0, exec_lo
.LBB1254_69:
	s_or_b32 exec_lo, exec_lo, s8
	s_delay_alu instid0(VALU_DEP_1)
	v_mov_b64_e32 v[34:35], v[44:45]
	s_wait_dscnt 0x0
	v_mov_b32_e32 v46, v43
	s_and_b32 s0, s0, exec_lo
.LBB1254_70:
	s_or_b32 exec_lo, exec_lo, s7
	s_delay_alu instid0(VALU_DEP_1)
	v_mov_b64_e32 v[36:37], v[46:47]
	s_wait_dscnt 0x0
	v_mov_b32_e32 v43, v2
	s_and_b32 s0, s0, exec_lo
.LBB1254_71:
	s_or_b32 exec_lo, exec_lo, s6
	s_delay_alu instid0(VALU_DEP_1)
	v_mov_b64_e32 v[38:39], v[42:43]
	s_and_b32 s39, s0, exec_lo
.LBB1254_72:
	s_or_b32 exec_lo, exec_lo, s5
	v_lshlrev_b32_e32 v16, 2, v0
	s_and_b32 vcc_lo, exec_lo, s1
	s_cbranch_vccz .LBB1254_92
.LBB1254_73:
	s_clause 0xb
	flat_load_b32 v2, v0, s[20:21] scale_offset
	flat_load_b32 v3, v0, s[20:21] offset:1024 scale_offset
	flat_load_b32 v4, v0, s[20:21] offset:2048 scale_offset
	;; [unrolled: 1-line block ×11, first 2 shown]
	v_mad_u32_u24 v1, v0, 44, v16
	v_mov_b32_e32 v14, 0
	s_cmp_eq_u64 s[24:25], 0
	s_wait_loadcnt_dscnt 0xa0a
	ds_store_2addr_stride64_b32 v16, v2, v3 offset1:4
	s_wait_loadcnt_dscnt 0x809
	ds_store_2addr_stride64_b32 v16, v4, v5 offset0:8 offset1:12
	s_wait_loadcnt_dscnt 0x608
	ds_store_2addr_stride64_b32 v16, v6, v7 offset0:16 offset1:20
	;; [unrolled: 2-line block ×5, first 2 shown]
	s_wait_dscnt 0x0
	s_barrier_signal -1
	s_barrier_wait -1
	ds_load_b128 v[2:5], v1
	ds_load_b128 v[10:13], v1 offset:16
	ds_load_b128 v[6:9], v1 offset:32
	s_cbranch_scc1 .LBB1254_89
; %bb.74:
	s_and_not1_b32 vcc_lo, exec_lo, s42
	s_cbranch_vccnz .LBB1254_87
; %bb.75:
	s_lshl_b64 s[0:1], s[24:25], 2
	s_delay_alu instid0(SALU_CYCLE_1) | instskip(NEXT) | instid1(SALU_CYCLE_1)
	s_add_nc_u64 s[0:1], s[26:27], s[0:1]
	s_add_nc_u64 s[20:21], s[0:1], -4
	s_mov_b32 s0, 0
	s_branch .LBB1254_88
.LBB1254_76:
	flat_load_b32 v5, v0, s[14:15] scale_offset
	s_wait_xcnt 0x0
	s_or_b32 exec_lo, exec_lo, s39
                                        ; implicit-def: $vgpr18
	s_and_saveexec_b32 s0, s1
	s_cbranch_execz .LBB1254_39
.LBB1254_77:
	flat_load_b32 v18, v0, s[14:15] offset:1024 scale_offset
	s_wait_xcnt 0x0
	s_or_b32 exec_lo, exec_lo, s0
                                        ; implicit-def: $vgpr19
	s_and_saveexec_b32 s0, s4
	s_cbranch_execz .LBB1254_40
.LBB1254_78:
	flat_load_b32 v19, v0, s[14:15] offset:2048 scale_offset
	s_wait_xcnt 0x0
	s_or_b32 exec_lo, exec_lo, s0
                                        ; implicit-def: $vgpr20
	s_and_saveexec_b32 s0, s5
	s_cbranch_execz .LBB1254_41
.LBB1254_79:
	flat_load_b32 v20, v0, s[14:15] offset:3072 scale_offset
	s_wait_xcnt 0x0
	s_or_b32 exec_lo, exec_lo, s0
                                        ; implicit-def: $vgpr21
	s_and_saveexec_b32 s0, s6
	s_cbranch_execz .LBB1254_42
.LBB1254_80:
	flat_load_b32 v21, v0, s[14:15] offset:4096 scale_offset
	s_wait_xcnt 0x0
	s_or_b32 exec_lo, exec_lo, s0
                                        ; implicit-def: $vgpr22
	s_and_saveexec_b32 s0, s7
	s_cbranch_execz .LBB1254_43
.LBB1254_81:
	flat_load_b32 v22, v0, s[14:15] offset:5120 scale_offset
	s_wait_xcnt 0x0
	s_or_b32 exec_lo, exec_lo, s0
                                        ; implicit-def: $vgpr23
	s_and_saveexec_b32 s0, s8
	s_cbranch_execz .LBB1254_44
.LBB1254_82:
	flat_load_b32 v23, v0, s[14:15] offset:6144 scale_offset
	s_wait_xcnt 0x0
	s_or_b32 exec_lo, exec_lo, s0
                                        ; implicit-def: $vgpr24
	s_and_saveexec_b32 s0, s9
	s_cbranch_execz .LBB1254_45
.LBB1254_83:
	flat_load_b32 v24, v0, s[14:15] offset:7168 scale_offset
	s_wait_xcnt 0x0
	s_or_b32 exec_lo, exec_lo, s0
                                        ; implicit-def: $vgpr25
	s_and_saveexec_b32 s0, s10
	s_cbranch_execz .LBB1254_46
.LBB1254_84:
	flat_load_b32 v25, v0, s[14:15] offset:8192 scale_offset
	s_wait_xcnt 0x0
	s_or_b32 exec_lo, exec_lo, s0
                                        ; implicit-def: $vgpr26
	s_and_saveexec_b32 s0, s11
	s_cbranch_execz .LBB1254_47
.LBB1254_85:
	flat_load_b32 v26, v0, s[14:15] offset:9216 scale_offset
	s_wait_xcnt 0x0
	s_or_b32 exec_lo, exec_lo, s0
                                        ; implicit-def: $vgpr27
	s_and_saveexec_b32 s0, s12
	s_cbranch_execz .LBB1254_48
.LBB1254_86:
	flat_load_b32 v27, v0, s[14:15] offset:10240 scale_offset
	s_wait_xcnt 0x0
	s_or_b32 exec_lo, exec_lo, s0
                                        ; implicit-def: $vgpr28
	s_and_saveexec_b32 s0, s13
	s_cbranch_execnz .LBB1254_49
	s_branch .LBB1254_50
.LBB1254_87:
	s_add_nc_u64 s[20:21], s[20:21], -4
	s_mov_b32 s0, -1
.LBB1254_88:
	s_delay_alu instid0(SALU_CYCLE_1)
	s_and_not1_b32 vcc_lo, exec_lo, s0
.LBB1254_89:
	flat_load_b32 v14, v14, s[20:21]
	v_mad_i32_i24 v15, 0xffffffd4, v0, v1
	s_wait_dscnt 0x1
	ds_store_b32 v15, v9 offset:12288
	s_wait_loadcnt_dscnt 0x0
	s_barrier_signal -1
	s_barrier_wait -1
	s_and_saveexec_b32 s0, s3
; %bb.90:
	v_mul_i32_i24_e32 v14, 0xffffffd4, v0
	s_delay_alu instid0(VALU_DEP_1)
	v_add_nc_u32_e32 v14, v1, v14
	ds_load_b32 v14, v14 offset:12284
; %bb.91:
	s_or_b32 exec_lo, exec_lo, s0
	s_wait_dscnt 0x0
	s_barrier_signal -1
	s_barrier_wait -1
	s_clause 0xb
	flat_load_b32 v15, v0, s[14:15] scale_offset
	flat_load_b32 v17, v0, s[14:15] offset:1024 scale_offset
	flat_load_b32 v18, v0, s[14:15] offset:2048 scale_offset
	;; [unrolled: 1-line block ×11, first 2 shown]
	v_cmp_ne_u32_e32 vcc_lo, v14, v2
	v_cmp_ne_u32_e64 s4, v8, v9
	s_mov_b32 s39, -1
	s_wait_loadcnt_dscnt 0xa0a
	ds_store_2addr_stride64_b32 v16, v15, v17 offset1:4
	s_wait_loadcnt_dscnt 0x809
	ds_store_2addr_stride64_b32 v16, v18, v20 offset0:8 offset1:12
	s_wait_loadcnt_dscnt 0x608
	ds_store_2addr_stride64_b32 v16, v21, v22 offset0:16 offset1:20
	;; [unrolled: 2-line block ×5, first 2 shown]
	v_cndmask_b32_e64 v19, 0, 1, vcc_lo
	v_cmp_ne_u32_e32 vcc_lo, v2, v3
	s_wait_dscnt 0x0
	s_barrier_signal -1
	s_barrier_wait -1
	v_cndmask_b32_e64 v43, 0, 1, vcc_lo
	v_cmp_ne_u32_e32 vcc_lo, v3, v4
	ds_load_b128 v[22:25], v1
	ds_load_b128 v[26:29], v1 offset:16
	v_cndmask_b32_e64 v47, 0, 1, vcc_lo
	v_cmp_ne_u32_e32 vcc_lo, v4, v5
	v_cndmask_b32_e64 v45, 0, 1, vcc_lo
	v_cmp_ne_u32_e32 vcc_lo, v5, v10
	ds_load_b128 v[2:5], v1 offset:32
	v_cndmask_b32_e64 v49, 0, 1, vcc_lo
	v_cmp_ne_u32_e32 vcc_lo, v10, v11
	s_wait_dscnt 0x2
	v_dual_mov_b32 v18, v22 :: v_dual_mov_b32 v42, v23
	v_cndmask_b32_e64 v51, 0, 1, vcc_lo
	v_cmp_ne_u32_e32 vcc_lo, v11, v12
	v_dual_mov_b32 v46, v24 :: v_dual_mov_b32 v44, v25
	s_wait_dscnt 0x1
	v_dual_mov_b32 v48, v26 :: v_dual_mov_b32 v50, v27
	v_cndmask_b32_e64 v53, 0, 1, vcc_lo
	v_cmp_ne_u32_e32 vcc_lo, v12, v13
	v_dual_mov_b32 v52, v28 :: v_dual_mov_b32 v54, v29
	s_wait_dscnt 0x0
	v_dual_mov_b32 v56, v2 :: v_dual_mov_b32 v58, v3
	v_cndmask_b32_e64 v55, 0, 1, vcc_lo
	v_cmp_ne_u32_e32 vcc_lo, v13, v6
	v_mov_b64_e32 v[38:39], v[42:43]
	v_mov_b64_e32 v[36:37], v[46:47]
	v_mov_b64_e32 v[34:35], v[44:45]
	v_mov_b64_e32 v[32:33], v[48:49]
	v_cndmask_b32_e64 v57, 0, 1, vcc_lo
	v_cmp_ne_u32_e32 vcc_lo, v6, v7
	v_mov_b64_e32 v[30:31], v[50:51]
	v_mov_b64_e32 v[28:29], v[52:53]
	;; [unrolled: 1-line block ×4, first 2 shown]
	v_cndmask_b32_e64 v59, 0, 1, vcc_lo
	v_cmp_ne_u32_e32 vcc_lo, v7, v8
	v_mov_b32_e32 v20, v4
	s_delay_alu instid0(VALU_DEP_3)
	v_mov_b64_e32 v[22:23], v[58:59]
	v_cndmask_b32_e64 v21, 0, 1, vcc_lo
.LBB1254_92:
	v_mov_b64_e32 v[40:41], 0
	s_and_saveexec_b32 s0, s39
	s_cbranch_execz .LBB1254_94
; %bb.93:
	v_mov_b64_e32 v[22:23], v[58:59]
	v_mov_b64_e32 v[24:25], v[56:57]
	;; [unrolled: 1-line block ×9, first 2 shown]
	v_cndmask_b32_e64 v41, 0, 1, s4
	v_mov_b32_e32 v40, v5
.LBB1254_94:
	s_or_b32 exec_lo, exec_lo, s0
	v_dual_lshrrev_b32 v1, 2, v0 :: v_dual_bitop2_b32 v42, v27, v25 bitop3:0x54
	v_or_b32_e32 v17, v23, v21
	s_cmp_lg_u32 s38, 0
	s_wait_dscnt 0x0
	v_cmp_gt_u32_e32 vcc_lo, 32, v0
	s_barrier_signal -1
	s_barrier_wait -1
	s_cbranch_scc0 .LBB1254_122
; %bb.95:
	s_mov_b64 s[12:13], 0x100000000
	v_or3_b32 v3, v42, v29, v31
	v_cmp_gt_u64_e64 s0, s[12:13], v[38:39]
	v_cmp_gt_u64_e64 s1, s[12:13], v[36:37]
	;; [unrolled: 1-line block ×7, first 2 shown]
	v_dual_cndmask_b32 v2, 0, v18, s0 :: v_dual_bitop2_b32 v5, 56, v1 bitop3:0x40
	v_cmp_gt_u64_e64 s9, s[12:13], v[24:25]
	v_cmp_gt_u64_e64 s10, s[12:13], v[22:23]
	;; [unrolled: 1-line block ×4, first 2 shown]
	v_add_nc_u32_e32 v2, v2, v38
	v_or3_b32 v3, v3, v33, v35
	v_lshl_add_u32 v5, v0, 3, v5
	s_delay_alu instid0(VALU_DEP_3) | instskip(NEXT) | instid1(VALU_DEP_3)
	v_cndmask_b32_e64 v2, 0, v2, s1
	v_or3_b32 v3, v3, v37, v39
	s_delay_alu instid0(VALU_DEP_2) | instskip(NEXT) | instid1(VALU_DEP_2)
	v_add_nc_u32_e32 v2, v2, v36
	v_or3_b32 v3, v41, v17, v3
	s_delay_alu instid0(VALU_DEP_2) | instskip(NEXT) | instid1(VALU_DEP_2)
	v_cndmask_b32_e64 v2, 0, v2, s4
	v_and_b32_e32 v3, 0xff, v3
	s_delay_alu instid0(VALU_DEP_2) | instskip(NEXT) | instid1(VALU_DEP_1)
	v_add_nc_u32_e32 v2, v2, v34
	v_cndmask_b32_e64 v2, 0, v2, s5
	s_delay_alu instid0(VALU_DEP_1) | instskip(NEXT) | instid1(VALU_DEP_1)
	v_add_nc_u32_e32 v2, v2, v32
	v_cndmask_b32_e64 v2, 0, v2, s6
	s_delay_alu instid0(VALU_DEP_1) | instskip(NEXT) | instid1(VALU_DEP_1)
	;; [unrolled: 3-line block ×7, first 2 shown]
	v_dual_add_nc_u32 v4, v2, v20 :: v_dual_mov_b32 v2, 0
	v_cndmask_b32_e64 v4, 0, v4, s12
	s_delay_alu instid0(VALU_DEP_2) | instskip(NEXT) | instid1(VALU_DEP_1)
	v_cmp_eq_u64_e64 s13, 0, v[2:3]
	v_dual_add_nc_u32 v12, v4, v40 :: v_dual_cndmask_b32 v13, 1, v19, s13
	ds_store_b32 v5, v12
	ds_store_b8 v5, v13 offset:4
	s_wait_dscnt 0x0
	s_barrier_signal -1
	s_barrier_wait -1
	s_and_saveexec_b32 s14, vcc_lo
	s_cbranch_execz .LBB1254_105
; %bb.96:
	v_dual_lshlrev_b32 v2, 1, v0 :: v_dual_lshlrev_b32 v3, 6, v0
	s_mov_b32 s15, exec_lo
	s_delay_alu instid0(VALU_DEP_1) | instskip(NEXT) | instid1(VALU_DEP_1)
	v_and_b32_e32 v2, 0x1f8, v2
	v_add_nc_u32_e32 v4, v2, v3
	ds_load_u8 v5, v4 offset:12
	ds_load_b64 v[2:3], v4
	ds_load_2addr_b32 v[6:7], v4 offset0:2 offset1:4
	ds_load_u8 v10, v4 offset:20
	ds_load_u8 v11, v4 offset:28
	;; [unrolled: 1-line block ×5, first 2 shown]
	ds_load_b32 v44, v4 offset:56
	s_wait_dscnt 0x8
	v_cmp_eq_u16_e64 s13, 0, v5
	s_wait_dscnt 0x5
	s_delay_alu instid0(VALU_DEP_1)
	v_dual_cndmask_b32 v45, 0, v2, s13 :: v_dual_bitop2_b32 v5, v10, v5 bitop3:0x54
	ds_load_2addr_b32 v[8:9], v4 offset0:6 offset1:8
	v_cmp_eq_u16_e64 s13, 0, v10
	s_wait_dscnt 0x4
	v_bitop3_b16 v5, v5, v14, v11 bitop3:0xfe
	v_add_nc_u32_e32 v6, v45, v6
	s_delay_alu instid0(VALU_DEP_1) | instskip(SKIP_1) | instid1(VALU_DEP_2)
	v_cndmask_b32_e64 v6, 0, v6, s13
	v_cmp_eq_u16_e64 s13, 0, v11
	v_add_nc_u32_e32 v6, v6, v7
	s_delay_alu instid0(VALU_DEP_1)
	v_cndmask_b32_e64 v45, 0, v6, s13
	ds_load_2addr_b32 v[6:7], v4 offset0:10 offset1:12
	v_cmp_eq_u16_e64 s13, 0, v14
	s_wait_dscnt 0x1
	v_add_nc_u32_e32 v8, v45, v8
	ds_load_u8 v45, v4 offset:60
	v_cndmask_b32_e64 v8, 0, v8, s13
	v_cmp_eq_u16_e64 s13, 0, v15
	s_delay_alu instid0(VALU_DEP_2) | instskip(SKIP_1) | instid1(VALU_DEP_2)
	v_add_nc_u32_e32 v8, v8, v9
	v_bitop3_b16 v9, v5, v43, v15 bitop3:0xfe
	v_dual_cndmask_b32 v8, 0, v8, s13 :: v_dual_bitop2_b32 v5, 1, v3 bitop3:0x40
	s_delay_alu instid0(VALU_DEP_2) | instskip(SKIP_1) | instid1(VALU_DEP_2)
	v_cmp_eq_u16_e64 s13, 0, v9
	s_wait_dscnt 0x0
	v_dual_add_nc_u32 v6, v8, v6 :: v_dual_bitop2_b32 v8, 1, v45 bitop3:0x40
	s_delay_alu instid0(VALU_DEP_2) | instskip(SKIP_1) | instid1(VALU_DEP_1)
	v_cndmask_b32_e64 v9, 1, v5, s13
	v_cmp_eq_u16_e64 s13, 0, v43
	v_cndmask_b32_e64 v6, 0, v6, s13
	s_delay_alu instid0(VALU_DEP_4) | instskip(SKIP_1) | instid1(VALU_DEP_2)
	v_cmp_eq_u32_e64 s13, 1, v8
	v_mbcnt_lo_u32_b32 v8, -1, 0
	v_cndmask_b32_e64 v9, v9, 1, s13
	v_cmp_eq_u16_e64 s13, 0, v45
	s_delay_alu instid0(VALU_DEP_2) | instskip(SKIP_2) | instid1(VALU_DEP_1)
	v_and_b32_e32 v10, 0xffff, v9
	v_add_nc_u32_e32 v7, v6, v7
	v_and_b32_e32 v6, 0xffffff00, v3
	v_dual_cndmask_b32 v7, 0, v7, s13 :: v_dual_bitop2_b32 v11, v6, v10 bitop3:0x54
	v_and_b32_e32 v10, 15, v8
	s_delay_alu instid0(VALU_DEP_2) | instskip(NEXT) | instid1(VALU_DEP_3)
	v_mov_b32_dpp v15, v11 row_shr:1 row_mask:0xf bank_mask:0xf
	v_add_nc_u32_e32 v7, v7, v44
	s_delay_alu instid0(VALU_DEP_1) | instskip(NEXT) | instid1(VALU_DEP_4)
	v_mov_b32_dpp v14, v7 row_shr:1 row_mask:0xf bank_mask:0xf
	v_cmpx_ne_u32_e32 0, v10
	s_cbranch_execz .LBB1254_98
; %bb.97:
	v_and_b32_e32 v11, 1, v9
	v_and_b32_e32 v15, 1, v15
	s_delay_alu instid0(VALU_DEP_2) | instskip(NEXT) | instid1(VALU_DEP_1)
	v_cmp_eq_u32_e64 s13, 1, v11
	v_cndmask_b32_e64 v15, v15, 1, s13
	v_cmp_eq_u16_e64 s13, 0, v9
	s_delay_alu instid0(VALU_DEP_2) | instskip(NEXT) | instid1(VALU_DEP_1)
	v_and_b32_e32 v11, 0xffff, v15
	v_dual_cndmask_b32 v9, 0, v14, s13 :: v_dual_bitop2_b32 v11, v6, v11 bitop3:0x54
	s_delay_alu instid0(VALU_DEP_1)
	v_dual_add_nc_u32 v7, v9, v7 :: v_dual_mov_b32 v9, v15
.LBB1254_98:
	s_or_b32 exec_lo, exec_lo, s15
	s_delay_alu instid0(VALU_DEP_1) | instskip(NEXT) | instid1(VALU_DEP_3)
	v_mov_b32_dpp v14, v7 row_shr:2 row_mask:0xf bank_mask:0xf
	v_mov_b32_dpp v15, v11 row_shr:2 row_mask:0xf bank_mask:0xf
	s_mov_b32 s15, exec_lo
	v_cmpx_lt_u32_e32 1, v10
	s_cbranch_execz .LBB1254_100
; %bb.99:
	v_and_b32_e32 v11, 1, v9
	v_and_b32_e32 v15, 1, v15
	s_delay_alu instid0(VALU_DEP_2) | instskip(NEXT) | instid1(VALU_DEP_1)
	v_cmp_eq_u32_e64 s13, 1, v11
	v_cndmask_b32_e64 v15, v15, 1, s13
	v_cmp_eq_u16_e64 s13, 0, v9
	s_delay_alu instid0(VALU_DEP_2) | instskip(NEXT) | instid1(VALU_DEP_1)
	v_and_b32_e32 v11, 0xffff, v15
	v_dual_cndmask_b32 v9, 0, v14, s13 :: v_dual_bitop2_b32 v11, v6, v11 bitop3:0x54
	s_delay_alu instid0(VALU_DEP_1)
	v_dual_add_nc_u32 v7, v9, v7 :: v_dual_mov_b32 v9, v15
.LBB1254_100:
	s_or_b32 exec_lo, exec_lo, s15
	s_delay_alu instid0(VALU_DEP_1) | instskip(NEXT) | instid1(VALU_DEP_3)
	v_mov_b32_dpp v14, v7 row_shr:4 row_mask:0xf bank_mask:0xf
	v_mov_b32_dpp v15, v11 row_shr:4 row_mask:0xf bank_mask:0xf
	s_mov_b32 s15, exec_lo
	v_cmpx_lt_u32_e32 3, v10
	;; [unrolled: 20-line block ×3, first 2 shown]
	s_cbranch_execz .LBB1254_104
; %bb.103:
	v_and_b32_e32 v10, 1, v9
	v_and_b32_e32 v11, 1, v15
	s_delay_alu instid0(VALU_DEP_2) | instskip(NEXT) | instid1(VALU_DEP_1)
	v_cmp_eq_u32_e64 s13, 1, v10
	v_cndmask_b32_e64 v10, v11, 1, s13
	v_cmp_eq_u16_e64 s13, 0, v9
	s_delay_alu instid0(VALU_DEP_2) | instskip(NEXT) | instid1(VALU_DEP_1)
	v_and_b32_e32 v11, 0xffff, v10
	v_dual_cndmask_b32 v9, 0, v14, s13 :: v_dual_bitop2_b32 v11, v6, v11 bitop3:0x54
	s_delay_alu instid0(VALU_DEP_1)
	v_dual_add_nc_u32 v7, v9, v7 :: v_dual_mov_b32 v9, v10
.LBB1254_104:
	s_or_b32 exec_lo, exec_lo, s15
	ds_swizzle_b32 v10, v11 offset:swizzle(BROADCAST,32,15)
	ds_swizzle_b32 v11, v7 offset:swizzle(BROADCAST,32,15)
	v_and_b32_e32 v14, 1, v9
	v_bfe_i32 v43, v8, 4, 1
	v_and_b32_e32 v3, 0xff, v3
	; wave barrier
	s_delay_alu instid0(VALU_DEP_3) | instskip(SKIP_2) | instid1(VALU_DEP_1)
	v_cmp_eq_u32_e64 s13, 1, v14
	s_wait_dscnt 0x1
	v_dual_add_nc_u32 v14, -1, v8 :: v_dual_bitop2_b32 v10, 1, v10 bitop3:0x40
	v_cndmask_b32_e64 v10, v10, 1, s13
	v_and_b32_e32 v15, 16, v8
	v_cmp_eq_u16_e64 s13, 0, v9
	s_wait_dscnt 0x0
	s_delay_alu instid0(VALU_DEP_1) | instskip(NEXT) | instid1(VALU_DEP_3)
	v_cndmask_b32_e64 v11, 0, v11, s13
	v_cmp_eq_u32_e64 s13, 0, v15
	s_delay_alu instid0(VALU_DEP_1) | instskip(SKIP_1) | instid1(VALU_DEP_4)
	v_cndmask_b32_e64 v9, v10, v9, s13
	v_cmp_gt_i32_e64 s13, 0, v14
	v_and_b32_e32 v10, v43, v11
	s_delay_alu instid0(VALU_DEP_3) | instskip(NEXT) | instid1(VALU_DEP_3)
	v_and_b32_e32 v9, 0xffff, v9
	v_cndmask_b32_e64 v8, v14, v8, s13
	s_delay_alu instid0(VALU_DEP_3) | instskip(SKIP_1) | instid1(VALU_DEP_3)
	v_add_nc_u32_e32 v7, v10, v7
	v_cmp_eq_u16_e64 s13, 0, v3
	v_lshlrev_b32_e32 v8, 2, v8
	ds_bpermute_b32 v7, v8, v7
	s_wait_dscnt 0x0
	v_dual_cndmask_b32 v3, 0, v7, s13 :: v_dual_bitop2_b32 v6, v6, v9 bitop3:0x54
	ds_bpermute_b32 v6, v8, v6
	v_cmp_eq_u32_e64 s13, 1, v5
	v_add_nc_u32_e32 v2, v3, v2
	s_wait_dscnt 0x0
	s_delay_alu instid0(VALU_DEP_1) | instskip(NEXT) | instid1(VALU_DEP_1)
	v_dual_cndmask_b32 v5, v2, v12, s2 :: v_dual_bitop2_b32 v6, 1, v6 bitop3:0x40
	v_cndmask_b32_e64 v3, v6, 1, s13
	s_delay_alu instid0(VALU_DEP_1)
	v_cndmask_b32_e64 v8, v3, v13, s2
	ds_store_b32 v4, v5
	ds_store_b8 v4, v8 offset:4
	; wave barrier
	ds_load_u8 v9, v4 offset:12
	ds_load_2addr_b32 v[2:3], v4 offset0:2 offset1:4
	ds_load_u8 v10, v4 offset:20
	ds_load_u8 v11, v4 offset:28
	;; [unrolled: 1-line block ×5, first 2 shown]
	ds_load_b32 v44, v4 offset:56
	ds_load_u8 v45, v4 offset:60
	ds_load_2addr_b32 v[6:7], v4 offset0:6 offset1:8
	s_wait_dscnt 0x9
	v_cmp_eq_u16_e64 s13, 0, v9
	v_and_b32_e32 v9, 1, v9
	s_delay_alu instid0(VALU_DEP_2) | instskip(SKIP_2) | instid1(VALU_DEP_2)
	v_cndmask_b32_e64 v5, 0, v5, s13
	s_wait_dscnt 0x7
	v_cmp_eq_u16_e64 s13, 0, v10
	v_add_nc_u32_e32 v5, v5, v2
	s_delay_alu instid0(VALU_DEP_1) | instskip(SKIP_2) | instid1(VALU_DEP_2)
	v_cndmask_b32_e64 v2, 0, v5, s13
	s_wait_dscnt 0x6
	v_cmp_eq_u16_e64 s13, 0, v11
	v_add_nc_u32_e32 v46, v2, v3
	ds_load_2addr_b32 v[2:3], v4 offset0:10 offset1:12
	v_cndmask_b32_e64 v47, 0, v46, s13
	s_wait_dscnt 0x6
	v_cmp_eq_u16_e64 s13, 0, v14
	ds_store_2addr_b32 v4, v5, v46 offset0:2 offset1:4
	s_wait_dscnt 0x2
	v_add_nc_u32_e32 v6, v47, v6
	s_delay_alu instid0(VALU_DEP_1) | instskip(SKIP_3) | instid1(VALU_DEP_4)
	v_cndmask_b32_e64 v47, 0, v6, s13
	v_and_b32_e32 v10, 1, v10
	v_cmp_eq_u32_e64 s13, 1, v9
	v_and_b32_e32 v9, 1, v11
	v_dual_add_nc_u32 v7, v47, v7 :: v_dual_bitop2_b32 v11, 1, v14 bitop3:0x40
	s_delay_alu instid0(VALU_DEP_3) | instskip(SKIP_1) | instid1(VALU_DEP_1)
	v_cndmask_b32_e64 v8, v8, 1, s13
	v_cmp_eq_u32_e64 s13, 1, v10
	v_cndmask_b32_e64 v10, v8, 1, s13
	v_cmp_eq_u16_e64 s13, 0, v15
	s_delay_alu instid0(VALU_DEP_1) | instskip(SKIP_2) | instid1(VALU_DEP_2)
	v_cndmask_b32_e64 v14, 0, v7, s13
	v_cmp_eq_u32_e64 s13, 1, v9
	s_wait_dscnt 0x1
	v_dual_add_nc_u32 v2, v14, v2 :: v_dual_bitop2_b32 v15, 1, v15 bitop3:0x40
	s_delay_alu instid0(VALU_DEP_2) | instskip(SKIP_1) | instid1(VALU_DEP_1)
	v_cndmask_b32_e64 v9, v10, 1, s13
	v_cmp_eq_u32_e64 s13, 1, v11
	v_cndmask_b32_e64 v11, v9, 1, s13
	v_cmp_eq_u16_e64 s13, 0, v43
	s_delay_alu instid0(VALU_DEP_1) | instskip(SKIP_1) | instid1(VALU_DEP_2)
	v_dual_cndmask_b32 v43, 0, v2, s13 :: v_dual_bitop2_b32 v14, 1, v43 bitop3:0x40
	v_cmp_eq_u32_e64 s13, 1, v15
	v_add_nc_u32_e32 v3, v43, v3
	s_delay_alu instid0(VALU_DEP_2) | instskip(NEXT) | instid1(VALU_DEP_4)
	v_cndmask_b32_e64 v15, v11, 1, s13
	v_cmp_eq_u32_e64 s13, 1, v14
	ds_store_2addr_b32 v4, v6, v7 offset0:6 offset1:8
	ds_store_2addr_b32 v4, v2, v3 offset0:10 offset1:12
	v_cndmask_b32_e64 v14, v15, 1, s13
	v_cmp_eq_u16_e64 s13, 0, v45
	s_delay_alu instid0(VALU_DEP_1) | instskip(NEXT) | instid1(VALU_DEP_1)
	v_dual_cndmask_b32 v5, 0, v3, s13 :: v_dual_bitop2_b32 v47, 1, v45 bitop3:0x40
	v_cmp_eq_u32_e64 s13, 1, v47
	s_delay_alu instid0(VALU_DEP_2) | instskip(NEXT) | instid1(VALU_DEP_2)
	v_add_nc_u32_e32 v2, v5, v44
	v_cndmask_b32_e64 v43, v14, 1, s13
	ds_store_b8 v4, v8 offset:12
	ds_store_b8 v4, v10 offset:20
	;; [unrolled: 1-line block ×6, first 2 shown]
	ds_store_b32 v4, v2 offset:56
	ds_store_b8 v4, v43 offset:60
.LBB1254_105:
	s_or_b32 exec_lo, exec_lo, s14
	s_wait_dscnt 0x0
	s_barrier_signal -1
	s_barrier_wait -1
	s_and_saveexec_b32 s13, s3
	s_cbranch_execz .LBB1254_107
; %bb.106:
	v_add_nc_u32_e32 v2, -1, v0
	s_delay_alu instid0(VALU_DEP_1) | instskip(NEXT) | instid1(VALU_DEP_1)
	v_lshrrev_b32_e32 v3, 2, v2
	v_and_b32_e32 v3, 0x3ffffff8, v3
	s_delay_alu instid0(VALU_DEP_1)
	v_lshl_add_u32 v2, v2, 3, v3
	ds_load_b32 v12, v2
	ds_load_u8 v13, v2 offset:4
.LBB1254_107:
	s_or_b32 exec_lo, exec_lo, s13
	s_and_saveexec_b32 s24, vcc_lo
	s_cbranch_execz .LBB1254_167
; %bb.108:
	v_mov_b32_e32 v5, 0
	v_mbcnt_lo_u32_b32 v14, -1, 0
	s_mov_b32 s15, 0
	ds_load_b64 v[2:3], v5 offset:2096
	v_cmp_eq_u32_e64 s13, 0, v14
	s_and_saveexec_b32 s20, s13
	s_cbranch_execz .LBB1254_110
; %bb.109:
	s_add_co_i32 s14, s38, 32
	v_mov_b32_e32 v4, 1
	s_lshl_b64 s[14:15], s[14:15], 4
	s_delay_alu instid0(SALU_CYCLE_1) | instskip(NEXT) | instid1(SALU_CYCLE_1)
	s_add_nc_u64 s[14:15], s[28:29], s[14:15]
	v_mov_b64_e32 v[6:7], s[14:15]
	s_wait_dscnt 0x0
	;;#ASMSTART
	global_store_b128 v[6:7], v[2:5] off scope:SCOPE_DEV	
s_wait_storecnt 0x0
	;;#ASMEND
.LBB1254_110:
	s_or_b32 exec_lo, exec_lo, s20
	v_xad_u32 v8, v14, -1, s38
	s_mov_b32 s14, exec_lo
	s_delay_alu instid0(VALU_DEP_1) | instskip(NEXT) | instid1(VALU_DEP_1)
	v_add_nc_u32_e32 v4, 32, v8
	v_lshl_add_u64 v[10:11], v[4:5], 4, s[28:29]
	;;#ASMSTART
	global_load_b128 v[4:7], v[10:11] off scope:SCOPE_DEV	
s_wait_loadcnt 0x0
	;;#ASMEND
	v_and_b32_e32 v7, 0xff, v6
	v_and_b32_e32 v5, 0xff, v5
	s_delay_alu instid0(VALU_DEP_2)
	v_cmpx_eq_u16_e32 0, v7
	s_cbranch_execz .LBB1254_114
; %bb.111:
	s_mov_b32 s15, 0
.LBB1254_112:                           ; =>This Inner Loop Header: Depth=1
	;;#ASMSTART
	global_load_b128 v[4:7], v[10:11] off scope:SCOPE_DEV	
s_wait_loadcnt 0x0
	;;#ASMEND
	v_and_b32_e32 v7, 0xff, v6
	s_delay_alu instid0(VALU_DEP_1) | instskip(SKIP_1) | instid1(SALU_CYCLE_1)
	v_cmp_ne_u16_e32 vcc_lo, 0, v7
	s_or_b32 s15, vcc_lo, s15
	s_and_not1_b32 exec_lo, exec_lo, s15
	s_cbranch_execnz .LBB1254_112
; %bb.113:
	s_or_b32 exec_lo, exec_lo, s15
	v_and_b32_e32 v5, 0xff, v5
.LBB1254_114:
	s_or_b32 exec_lo, exec_lo, s14
	v_cmp_ne_u32_e32 vcc_lo, 31, v14
	v_and_b32_e32 v9, 0xff, v6
	v_lshlrev_b32_e64 v43, v14, -1
	s_mov_b64 s[20:21], 0x100000000
	v_lshl_or_b32 v52, v14, 2, 64
	v_add_co_ci_u32_e64 v7, null, 0, v14, vcc_lo
	v_cmp_eq_u16_e32 vcc_lo, 2, v9
	v_cmp_gt_u64_e64 s14, s[20:21], v[4:5]
	s_delay_alu instid0(VALU_DEP_3) | instskip(SKIP_1) | instid1(VALU_DEP_2)
	v_dual_lshlrev_b32 v15, 2, v7 :: v_dual_bitop2_b32 v10, 1, v5 bitop3:0x40
	v_and_or_b32 v9, vcc_lo, v43, 0x80000000
	v_cmp_eq_u32_e32 vcc_lo, 1, v10
	ds_bpermute_b32 v7, v15, v5
	ds_bpermute_b32 v10, v15, v4
	v_ctz_i32_b32_e32 v9, v9
	s_wait_dscnt 0x1
	v_and_b32_e32 v7, 1, v7
	s_delay_alu instid0(VALU_DEP_1) | instskip(SKIP_1) | instid1(VALU_DEP_2)
	v_cndmask_b32_e64 v7, v7, 1, vcc_lo
	v_cmp_gt_u32_e32 vcc_lo, 30, v14
	v_and_b32_e32 v45, 0xffff, v7
	v_cndmask_b32_e64 v11, 0, 2, vcc_lo
	v_cmp_lt_u32_e32 vcc_lo, v14, v9
	s_delay_alu instid0(VALU_DEP_2) | instskip(NEXT) | instid1(VALU_DEP_4)
	v_add_lshl_u32 v44, v11, v14, 2
	v_dual_cndmask_b32 v11, v5, v45, vcc_lo :: v_dual_cndmask_b32 v7, v5, v7, vcc_lo
	s_and_b32 vcc_lo, vcc_lo, s14
	v_add_nc_u32_e32 v45, 2, v14
	s_wait_dscnt 0x0
	v_cndmask_b32_e32 v10, 0, v10, vcc_lo
	ds_bpermute_b32 v5, v44, v11
	v_and_b32_e32 v46, 1, v7
	v_and_b32_e32 v48, 0xff, v7
	v_add_nc_u32_e32 v4, v10, v4
	s_delay_alu instid0(VALU_DEP_3) | instskip(NEXT) | instid1(VALU_DEP_3)
	v_cmp_eq_u32_e32 vcc_lo, 1, v46
	v_cmp_eq_u16_e64 s14, 0, v48
	ds_bpermute_b32 v10, v44, v4
	s_wait_dscnt 0x1
	v_and_b32_e32 v5, 1, v5
	s_delay_alu instid0(VALU_DEP_1) | instskip(SKIP_3) | instid1(VALU_DEP_3)
	v_cndmask_b32_e64 v5, v5, 1, vcc_lo
	v_cmp_gt_u32_e32 vcc_lo, 28, v14
	s_wait_dscnt 0x0
	v_cndmask_b32_e64 v10, 0, v10, s14
	v_and_b32_e32 v47, 0xffff, v5
	v_cndmask_b32_e64 v46, 0, 4, vcc_lo
	v_cmp_gt_u32_e32 vcc_lo, v45, v9
	s_delay_alu instid0(VALU_DEP_2) | instskip(SKIP_3) | instid1(VALU_DEP_2)
	v_add_lshl_u32 v46, v46, v14, 2
	v_cndmask_b32_e32 v5, v5, v7, vcc_lo
	v_cndmask_b32_e64 v10, v10, 0, vcc_lo
	v_dual_cndmask_b32 v7, v47, v11, vcc_lo :: v_dual_add_nc_u32 v47, 4, v14
	v_dual_add_nc_u32 v4, v10, v4 :: v_dual_bitop2_b32 v48, 1, v5 bitop3:0x40
	ds_bpermute_b32 v11, v46, v7
	v_cmp_eq_u32_e32 vcc_lo, 1, v48
	ds_bpermute_b32 v10, v46, v4
	v_and_b32_e32 v48, 0xff, v5
	s_delay_alu instid0(VALU_DEP_1) | instskip(SKIP_1) | instid1(VALU_DEP_1)
	v_cmp_eq_u16_e64 s14, 0, v48
	s_wait_dscnt 0x0
	v_dual_cndmask_b32 v10, 0, v10, s14 :: v_dual_bitop2_b32 v11, 1, v11 bitop3:0x40
	s_delay_alu instid0(VALU_DEP_1) | instskip(SKIP_1) | instid1(VALU_DEP_2)
	v_cndmask_b32_e64 v11, v11, 1, vcc_lo
	v_cmp_gt_u32_e32 vcc_lo, 24, v14
	v_and_b32_e32 v50, 0xffff, v11
	v_cndmask_b32_e64 v49, 0, 8, vcc_lo
	v_cmp_gt_u32_e32 vcc_lo, v47, v9
	s_delay_alu instid0(VALU_DEP_2) | instskip(NEXT) | instid1(VALU_DEP_4)
	v_add_lshl_u32 v48, v49, v14, 2
	v_dual_cndmask_b32 v5, v11, v5, vcc_lo :: v_dual_cndmask_b32 v7, v50, v7, vcc_lo
	v_cndmask_b32_e64 v10, v10, 0, vcc_lo
	s_delay_alu instid0(VALU_DEP_2)
	v_dual_add_nc_u32 v49, 8, v14 :: v_dual_bitop2_b32 v50, 1, v5 bitop3:0x40
	ds_bpermute_b32 v11, v48, v7
	v_add_nc_u32_e32 v4, v10, v4
	v_and_b32_e32 v51, 0xff, v5
	v_cmp_eq_u32_e32 vcc_lo, 1, v50
	ds_bpermute_b32 v10, v48, v4
	s_wait_dscnt 0x1
	v_and_b32_e32 v11, 1, v11
	s_delay_alu instid0(VALU_DEP_1) | instskip(SKIP_1) | instid1(VALU_DEP_2)
	v_cndmask_b32_e64 v11, v11, 1, vcc_lo
	v_cmp_eq_u16_e32 vcc_lo, 0, v51
	v_and_b32_e32 v50, 0xffff, v11
	s_wait_dscnt 0x0
	v_cndmask_b32_e32 v10, 0, v10, vcc_lo
	v_cmp_gt_u32_e32 vcc_lo, v49, v9
	s_delay_alu instid0(VALU_DEP_3) | instskip(NEXT) | instid1(VALU_DEP_3)
	v_dual_cndmask_b32 v5, v11, v5, vcc_lo :: v_dual_cndmask_b32 v7, v50, v7, vcc_lo
	v_cndmask_b32_e64 v10, v10, 0, vcc_lo
	s_delay_alu instid0(VALU_DEP_2) | instskip(SKIP_3) | instid1(VALU_DEP_1)
	v_and_b32_e32 v50, 1, v5
	ds_bpermute_b32 v7, v52, v7
	v_add_nc_u32_e32 v4, v10, v4
	v_and_b32_e32 v11, 0xff, v5
	v_cmp_eq_u16_e32 vcc_lo, 0, v11
	s_wait_dscnt 0x0
	v_and_b32_e32 v7, 1, v7
	ds_bpermute_b32 v10, v52, v4
	s_wait_dscnt 0x0
	v_cndmask_b32_e32 v10, 0, v10, vcc_lo
	v_cmp_eq_u32_e32 vcc_lo, 1, v50
	v_cndmask_b32_e64 v7, v7, 1, vcc_lo
	v_add_nc_u32_e32 v53, 16, v14
	s_delay_alu instid0(VALU_DEP_1) | instskip(NEXT) | instid1(VALU_DEP_3)
	v_cmp_gt_u32_e32 vcc_lo, v53, v9
	v_dual_mov_b32 v9, 0 :: v_dual_cndmask_b32 v5, v7, v5, vcc_lo
	v_cndmask_b32_e64 v7, v10, 0, vcc_lo
	s_delay_alu instid0(VALU_DEP_1)
	v_add_nc_u32_e32 v4, v7, v4
	s_branch .LBB1254_118
.LBB1254_115:                           ;   in Loop: Header=BB1254_118 Depth=1
	s_or_b32 exec_lo, exec_lo, s15
	v_and_b32_e32 v5, 0xff, v5
.LBB1254_116:                           ;   in Loop: Header=BB1254_118 Depth=1
	s_or_b32 exec_lo, exec_lo, s14
	ds_bpermute_b32 v7, v15, v5
	v_and_b32_e32 v10, 0xff, v6
	v_cmp_gt_u64_e64 s14, s[20:21], v[4:5]
	v_subrev_nc_u32_e32 v8, 32, v8
	s_delay_alu instid0(VALU_DEP_3) | instskip(SKIP_2) | instid1(VALU_DEP_2)
	v_cmp_eq_u16_e32 vcc_lo, 2, v10
	v_and_b32_e32 v10, 1, v5
	v_and_or_b32 v11, vcc_lo, v43, 0x80000000
	v_cmp_eq_u32_e32 vcc_lo, 1, v10
	s_delay_alu instid0(VALU_DEP_2) | instskip(SKIP_3) | instid1(VALU_DEP_1)
	v_ctz_i32_b32_e32 v10, v11
	ds_bpermute_b32 v11, v15, v4
	s_wait_dscnt 0x1
	v_and_b32_e32 v7, 1, v7
	v_cndmask_b32_e64 v7, v7, 1, vcc_lo
	v_cmp_lt_u32_e32 vcc_lo, v14, v10
	s_delay_alu instid0(VALU_DEP_2) | instskip(NEXT) | instid1(VALU_DEP_1)
	v_and_b32_e32 v54, 0xffff, v7
	v_dual_cndmask_b32 v7, v5, v7 :: v_dual_cndmask_b32 v54, v5, v54
	s_and_b32 vcc_lo, vcc_lo, s14
	s_delay_alu instid0(VALU_DEP_1)
	v_and_b32_e32 v56, 0xff, v7
	v_and_b32_e32 v55, 1, v7
	ds_bpermute_b32 v5, v44, v54
	s_wait_dscnt 0x1
	v_cndmask_b32_e32 v11, 0, v11, vcc_lo
	v_cmp_eq_u16_e64 s14, 0, v56
	v_cmp_eq_u32_e32 vcc_lo, 1, v55
	s_wait_dscnt 0x0
	s_delay_alu instid0(VALU_DEP_3) | instskip(NEXT) | instid1(VALU_DEP_1)
	v_dual_add_nc_u32 v4, v11, v4 :: v_dual_bitop2_b32 v5, 1, v5 bitop3:0x40
	v_cndmask_b32_e64 v5, v5, 1, vcc_lo
	ds_bpermute_b32 v11, v44, v4
	v_cmp_gt_u32_e32 vcc_lo, v45, v10
	v_and_b32_e32 v55, 0xffff, v5
	s_delay_alu instid0(VALU_DEP_1) | instskip(NEXT) | instid1(VALU_DEP_1)
	v_dual_cndmask_b32 v5, v5, v7, vcc_lo :: v_dual_cndmask_b32 v7, v55, v54, vcc_lo
	v_and_b32_e32 v55, 1, v5
	ds_bpermute_b32 v54, v46, v7
	s_wait_dscnt 0x1
	v_cndmask_b32_e64 v11, 0, v11, s14
	s_delay_alu instid0(VALU_DEP_1) | instskip(SKIP_2) | instid1(VALU_DEP_3)
	v_cndmask_b32_e64 v11, v11, 0, vcc_lo
	v_cmp_eq_u32_e32 vcc_lo, 1, v55
	v_and_b32_e32 v55, 0xff, v5
	v_add_nc_u32_e32 v4, v11, v4
	s_delay_alu instid0(VALU_DEP_2)
	v_cmp_eq_u16_e64 s14, 0, v55
	s_wait_dscnt 0x0
	v_and_b32_e32 v54, 1, v54
	ds_bpermute_b32 v11, v46, v4
	v_cndmask_b32_e64 v54, v54, 1, vcc_lo
	v_cmp_gt_u32_e32 vcc_lo, v47, v10
	s_delay_alu instid0(VALU_DEP_2) | instskip(SKIP_3) | instid1(VALU_DEP_1)
	v_and_b32_e32 v56, 0xffff, v54
	s_wait_dscnt 0x0
	v_dual_cndmask_b32 v5, v54, v5, vcc_lo :: v_dual_cndmask_b32 v11, 0, v11, s14
	s_mov_b32 s14, 0
	v_cndmask_b32_e64 v11, v11, 0, vcc_lo
	v_cndmask_b32_e32 v7, v56, v7, vcc_lo
	s_delay_alu instid0(VALU_DEP_3) | instskip(NEXT) | instid1(VALU_DEP_3)
	v_and_b32_e32 v56, 0xff, v5
	v_add_nc_u32_e32 v4, v11, v4
	ds_bpermute_b32 v54, v48, v7
	ds_bpermute_b32 v11, v48, v4
	v_and_b32_e32 v55, 1, v5
	s_delay_alu instid0(VALU_DEP_1) | instskip(SKIP_2) | instid1(VALU_DEP_1)
	v_cmp_eq_u32_e32 vcc_lo, 1, v55
	s_wait_dscnt 0x1
	v_and_b32_e32 v54, 1, v54
	v_cndmask_b32_e64 v54, v54, 1, vcc_lo
	v_cmp_eq_u16_e32 vcc_lo, 0, v56
	s_delay_alu instid0(VALU_DEP_2) | instskip(SKIP_3) | instid1(VALU_DEP_2)
	v_and_b32_e32 v55, 0xffff, v54
	s_wait_dscnt 0x0
	v_cndmask_b32_e32 v11, 0, v11, vcc_lo
	v_cmp_gt_u32_e32 vcc_lo, v49, v10
	v_cndmask_b32_e64 v11, v11, 0, vcc_lo
	v_dual_cndmask_b32 v7, v55, v7, vcc_lo :: v_dual_cndmask_b32 v5, v54, v5, vcc_lo
	s_delay_alu instid0(VALU_DEP_2) | instskip(SKIP_4) | instid1(VALU_DEP_1)
	v_add_nc_u32_e32 v4, v11, v4
	ds_bpermute_b32 v7, v52, v7
	v_and_b32_e32 v55, 0xff, v5
	ds_bpermute_b32 v11, v52, v4
	v_and_b32_e32 v54, 1, v5
	v_cmp_eq_u32_e32 vcc_lo, 1, v54
	s_wait_dscnt 0x1
	v_cndmask_b32_e64 v7, v7, 1, vcc_lo
	v_cmp_eq_u16_e32 vcc_lo, 0, v55
	s_wait_dscnt 0x0
	v_cndmask_b32_e32 v11, 0, v11, vcc_lo
	v_cmp_gt_u32_e32 vcc_lo, v53, v10
	v_and_b32_e32 v10, 0xff, v50
	v_cndmask_b32_e32 v5, v7, v5, vcc_lo
	s_delay_alu instid0(VALU_DEP_4) | instskip(NEXT) | instid1(VALU_DEP_3)
	v_cndmask_b32_e64 v7, v11, 0, vcc_lo
	v_cmp_eq_u16_e32 vcc_lo, 0, v10
	s_delay_alu instid0(VALU_DEP_2) | instskip(NEXT) | instid1(VALU_DEP_1)
	v_dual_add_nc_u32 v4, v7, v4 :: v_dual_bitop2_b32 v7, 1, v50 bitop3:0x40
	v_dual_cndmask_b32 v4, 0, v4, vcc_lo :: v_dual_bitop2_b32 v5, 1, v5 bitop3:0x40
	s_delay_alu instid0(VALU_DEP_2) | instskip(NEXT) | instid1(VALU_DEP_2)
	v_cmp_eq_u32_e32 vcc_lo, 1, v7
	v_add_nc_u32_e32 v4, v4, v51
	s_delay_alu instid0(VALU_DEP_3)
	v_cndmask_b32_e64 v5, v5, 1, vcc_lo
.LBB1254_117:                           ;   in Loop: Header=BB1254_118 Depth=1
	s_and_b32 vcc_lo, exec_lo, s14
	s_cbranch_vccnz .LBB1254_163
.LBB1254_118:                           ; =>This Loop Header: Depth=1
                                        ;     Child Loop BB1254_121 Depth 2
	v_and_b32_e32 v6, 0xff, v6
	s_delay_alu instid0(VALU_DEP_2) | instskip(SKIP_1) | instid1(VALU_DEP_2)
	v_dual_mov_b32 v50, v5 :: v_dual_mov_b32 v51, v4
	s_mov_b32 s14, -1
                                        ; implicit-def: $vgpr5
                                        ; implicit-def: $vgpr4
	v_cmp_ne_u16_e32 vcc_lo, 2, v6
                                        ; implicit-def: $vgpr6
	s_cmp_lg_u32 vcc_lo, exec_lo
	s_cbranch_scc1 .LBB1254_117
; %bb.119:                              ;   in Loop: Header=BB1254_118 Depth=1
	v_lshl_add_u64 v[10:11], v[8:9], 4, s[28:29]
	;;#ASMSTART
	global_load_b128 v[4:7], v[10:11] off scope:SCOPE_DEV	
s_wait_loadcnt 0x0
	;;#ASMEND
	v_and_b32_e32 v7, 0xff, v6
	v_and_b32_e32 v5, 0xff, v5
	s_mov_b32 s14, exec_lo
	s_delay_alu instid0(VALU_DEP_2)
	v_cmpx_eq_u16_e32 0, v7
	s_cbranch_execz .LBB1254_116
; %bb.120:                              ;   in Loop: Header=BB1254_118 Depth=1
	s_mov_b32 s15, 0
.LBB1254_121:                           ;   Parent Loop BB1254_118 Depth=1
                                        ; =>  This Inner Loop Header: Depth=2
	;;#ASMSTART
	global_load_b128 v[4:7], v[10:11] off scope:SCOPE_DEV	
s_wait_loadcnt 0x0
	;;#ASMEND
	v_and_b32_e32 v7, 0xff, v6
	s_delay_alu instid0(VALU_DEP_1) | instskip(SKIP_1) | instid1(SALU_CYCLE_1)
	v_cmp_ne_u16_e32 vcc_lo, 0, v7
	s_or_b32 s15, vcc_lo, s15
	s_and_not1_b32 exec_lo, exec_lo, s15
	s_cbranch_execnz .LBB1254_121
	s_branch .LBB1254_115
.LBB1254_122:
                                        ; implicit-def: $vgpr13
                                        ; implicit-def: $vgpr5
                                        ; implicit-def: $vgpr9
                                        ; implicit-def: $vgpr14_vgpr15
	s_cbranch_execnz .LBB1254_168
.LBB1254_123:
	s_add_nc_u64 s[0:1], s[18:19], s[34:35]
	s_and_b32 vcc_lo, exec_lo, s31
	s_add_nc_u64 s[0:1], s[0:1], s[16:17]
	s_cbranch_vccz .LBB1254_185
.LBB1254_124:
	v_mul_u32_u24_e32 v1, 12, v0
	s_add_co_i32 s33, s33, s30
	s_mov_b32 s2, exec_lo
	s_delay_alu instid0(VALU_DEP_1)
	v_cmpx_gt_u32_e64 s33, v1
	s_cbranch_execz .LBB1254_140
; %bb.125:
	v_or_b32_e32 v17, 1, v1
	s_mov_b32 s3, exec_lo
	s_delay_alu instid0(VALU_DEP_1)
	v_cmpx_gt_u32_e64 s33, v17
	s_cbranch_execz .LBB1254_139
; %bb.126:
	v_or_b32_e32 v17, 2, v1
	;; [unrolled: 6-line block ×3, first 2 shown]
	s_mov_b32 s5, exec_lo
	s_delay_alu instid0(VALU_DEP_1)
	v_cmpx_gt_u32_e64 s33, v17
	s_cbranch_execz .LBB1254_137
; %bb.128:
	v_add_nc_u32_e32 v17, 4, v1
	s_mov_b32 s6, exec_lo
	s_delay_alu instid0(VALU_DEP_1)
	v_cmpx_gt_u32_e64 s33, v17
	s_cbranch_execz .LBB1254_136
; %bb.129:
	v_add_nc_u32_e32 v17, 5, v1
	;; [unrolled: 6-line block ×4, first 2 shown]
	s_mov_b32 s9, exec_lo
	s_delay_alu instid0(VALU_DEP_1)
	v_cmpx_gt_u32_e64 s33, v17
; %bb.132:
	v_add_nc_u32_e32 v17, 8, v1
	s_mov_b32 s10, exec_lo
	s_delay_alu instid0(VALU_DEP_1)
	v_cmpx_gt_u32_e64 s33, v17
	s_or_b32 exec_lo, exec_lo, s10
; %bb.133:
	s_delay_alu instid0(SALU_CYCLE_1)
	s_or_b32 exec_lo, exec_lo, s9
.LBB1254_134:
	s_delay_alu instid0(SALU_CYCLE_1)
	s_or_b32 exec_lo, exec_lo, s8
.LBB1254_135:
	s_delay_alu instid0(SALU_CYCLE_1)
	s_or_b32 exec_lo, exec_lo, s7
.LBB1254_136:
	s_delay_alu instid0(SALU_CYCLE_1)
	s_or_b32 exec_lo, exec_lo, s6
.LBB1254_137:
	s_delay_alu instid0(SALU_CYCLE_1)
	s_or_b32 exec_lo, exec_lo, s5
.LBB1254_138:
	s_delay_alu instid0(SALU_CYCLE_1)
	s_or_b32 exec_lo, exec_lo, s4
.LBB1254_139:
	s_delay_alu instid0(SALU_CYCLE_1)
	s_or_b32 exec_lo, exec_lo, s3
.LBB1254_140:
	s_delay_alu instid0(SALU_CYCLE_1)
	s_or_b32 exec_lo, exec_lo, s2
	v_dual_lshlrev_b32 v1, 2, v1 :: v_dual_mov_b32 v17, 0
	s_barrier_signal -1
	s_barrier_wait -1
	ds_store_b128 v1, v[6:9]
	ds_store_b128 v1, v[2:5] offset:16
	ds_store_b128 v1, v[10:13] offset:32
	v_mad_i32_i24 v6, 0xffffffd4, v0, v1
	s_wait_dscnt 0x0
	s_barrier_signal -1
	s_barrier_wait -1
	ds_load_2addr_stride64_b32 v[26:27], v6 offset0:4 offset1:8
	ds_load_2addr_stride64_b32 v[24:25], v6 offset0:12 offset1:16
	;; [unrolled: 1-line block ×5, first 2 shown]
	ds_load_b32 v7, v6 offset:11264
	v_add_nc_u64_e32 v[16:17], s[0:1], v[16:17]
	s_mov_b32 s2, exec_lo
	v_cmpx_gt_u32_e64 s33, v0
	s_cbranch_execz .LBB1254_142
; %bb.141:
	v_mul_i32_i24_e32 v6, 0xffffffd4, v0
	s_delay_alu instid0(VALU_DEP_1)
	v_add_nc_u32_e32 v1, v1, v6
	ds_load_b32 v1, v1
	s_wait_dscnt 0x0
	flat_store_b32 v[16:17], v1
.LBB1254_142:
	s_wait_xcnt 0x0
	s_or_b32 exec_lo, exec_lo, s2
	v_or_b32_e32 v1, 0x100, v0
	s_mov_b32 s2, exec_lo
	s_delay_alu instid0(VALU_DEP_1)
	v_cmpx_gt_u32_e64 s33, v1
	s_cbranch_execz .LBB1254_144
; %bb.143:
	s_wait_dscnt 0x5
	flat_store_b32 v[16:17], v26 offset:1024
.LBB1254_144:
	s_wait_xcnt 0x0
	s_or_b32 exec_lo, exec_lo, s2
	v_or_b32_e32 v1, 0x200, v0
	s_mov_b32 s2, exec_lo
	s_delay_alu instid0(VALU_DEP_1)
	v_cmpx_gt_u32_e64 s33, v1
	s_cbranch_execz .LBB1254_146
; %bb.145:
	s_wait_dscnt 0x5
	flat_store_b32 v[16:17], v27 offset:2048
.LBB1254_146:
	;; [unrolled: 11-line block ×10, first 2 shown]
	s_wait_xcnt 0x0
	s_or_b32 exec_lo, exec_lo, s2
	v_or_b32_e32 v1, 0xb00, v0
	s_delay_alu instid0(VALU_DEP_1)
	v_cmp_gt_u32_e64 s2, s33, v1
	s_branch .LBB1254_187
.LBB1254_163:
	s_and_saveexec_b32 s14, s13
	s_cbranch_execz .LBB1254_165
; %bb.164:
	v_and_b32_e32 v4, 0xff, v3
	s_mov_b32 s21, 0
	s_add_co_i32 s20, s38, 32
	v_and_b32_e32 v5, 1, v50
	s_lshl_b64 s[20:21], s[20:21], 4
	v_cmp_eq_u32_e32 vcc_lo, 0, v4
	s_add_nc_u64 s[20:21], s[28:29], s[20:21]
	s_delay_alu instid0(SALU_CYCLE_1) | instskip(SKIP_1) | instid1(VALU_DEP_1)
	v_mov_b64_e32 v[6:7], s[20:21]
	v_cndmask_b32_e32 v4, 0, v51, vcc_lo
	v_dual_add_nc_u32 v2, v4, v2 :: v_dual_bitop2_b32 v3, 1, v3 bitop3:0x40
	s_delay_alu instid0(VALU_DEP_1)
	v_cmp_eq_u32_e32 vcc_lo, 1, v3
	v_mov_b32_e32 v4, 2
	v_cndmask_b32_e64 v3, v5, 1, vcc_lo
	v_mov_b32_e32 v5, 0
	;;#ASMSTART
	global_store_b128 v[6:7], v[2:5] off scope:SCOPE_DEV	
s_wait_storecnt 0x0
	;;#ASMEND
.LBB1254_165:
	s_or_b32 exec_lo, exec_lo, s14
	s_delay_alu instid0(SALU_CYCLE_1)
	s_and_b32 exec_lo, exec_lo, s2
	s_cbranch_execz .LBB1254_167
; %bb.166:
	v_mov_b32_e32 v2, 0
	ds_store_b32 v2, v51
	ds_store_b8 v2, v50 offset:4
.LBB1254_167:
	s_or_b32 exec_lo, exec_lo, s24
	v_dual_mov_b32 v2, 0 :: v_dual_bitop2_b32 v3, 1, v19 bitop3:0x40
	s_wait_dscnt 0x0
	s_barrier_signal -1
	s_barrier_wait -1
	s_delay_alu instid0(VALU_DEP_1) | instskip(SKIP_4) | instid1(VALU_DEP_2)
	v_cmp_eq_u32_e32 vcc_lo, 1, v3
	ds_load_b32 v2, v2
	s_mov_b64 s[14:15], 0x100000000
	v_cndmask_b32_e64 v3, v13, 1, vcc_lo
	v_cmp_gt_u64_e32 vcc_lo, s[14:15], v[18:19]
	v_dual_cndmask_b32 v3, v3, v19, s2 :: v_dual_cndmask_b32 v4, 0, v12, vcc_lo
	s_delay_alu instid0(VALU_DEP_1) | instskip(NEXT) | instid1(VALU_DEP_2)
	v_and_b32_e32 v3, 0xff, v3
	v_cndmask_b32_e64 v4, v4, 0, s2
	s_delay_alu instid0(VALU_DEP_2) | instskip(SKIP_2) | instid1(VALU_DEP_1)
	v_cmp_eq_u16_e32 vcc_lo, 0, v3
	s_wait_dscnt 0x0
	v_cndmask_b32_e32 v2, 0, v2, vcc_lo
	v_add3_u32 v6, v4, v18, v2
	s_delay_alu instid0(VALU_DEP_1) | instskip(NEXT) | instid1(VALU_DEP_1)
	v_cndmask_b32_e64 v2, 0, v6, s0
	v_add_nc_u32_e32 v7, v2, v38
	s_delay_alu instid0(VALU_DEP_1) | instskip(NEXT) | instid1(VALU_DEP_1)
	v_cndmask_b32_e64 v2, 0, v7, s1
	v_add_nc_u32_e32 v8, v2, v36
	v_mov_b64_e32 v[14:15], v[6:7]
	s_delay_alu instid0(VALU_DEP_2) | instskip(NEXT) | instid1(VALU_DEP_1)
	v_cndmask_b32_e64 v2, 0, v8, s4
	v_add_nc_u32_e32 v9, v2, v34
	s_delay_alu instid0(VALU_DEP_1) | instskip(NEXT) | instid1(VALU_DEP_1)
	v_cndmask_b32_e64 v2, 0, v9, s5
	v_add_nc_u32_e32 v2, v2, v32
	s_delay_alu instid0(VALU_DEP_1) | instskip(NEXT) | instid1(VALU_DEP_1)
	;; [unrolled: 3-line block ×8, first 2 shown]
	v_cndmask_b32_e64 v13, 0, v12, s12
	v_add_nc_u32_e32 v13, v13, v40
	s_branch .LBB1254_123
.LBB1254_168:
	s_cmp_lg_u64 s[36:37], 0
	s_cselect_b32 s0, -1, 0
	s_cmp_lg_u64 s[22:23], 0
	s_cselect_b32 s1, -1, 0
	s_delay_alu instid0(SALU_CYCLE_1) | instskip(NEXT) | instid1(SALU_CYCLE_1)
	s_and_b32 s0, s0, s1
	s_and_b32 s1, s2, s0
	s_delay_alu instid0(SALU_CYCLE_1)
	s_and_saveexec_b32 s0, s1
	s_cbranch_execz .LBB1254_170
; %bb.169:
	s_mov_b64 s[4:5], 0x100000000
	s_delay_alu instid0(SALU_CYCLE_1)
	v_cmp_gt_u64_e32 vcc_lo, s[4:5], v[18:19]
	v_mov_b32_e32 v2, 0
	s_clause 0x1
	global_load_b32 v3, v2, s[22:23]
	global_load_u8 v4, v2, s[22:23] offset:4
	s_wait_loadcnt 0x1
	v_cndmask_b32_e32 v5, 0, v3, vcc_lo
	v_and_b32_e32 v3, 1, v19
	s_wait_loadcnt 0x0
	s_delay_alu instid0(VALU_DEP_2) | instskip(NEXT) | instid1(VALU_DEP_2)
	v_dual_add_nc_u32 v18, v5, v18 :: v_dual_bitop2_b32 v4, 1, v4 bitop3:0x40
	v_cmp_eq_u64_e32 vcc_lo, 0, v[2:3]
	s_delay_alu instid0(VALU_DEP_2)
	v_cndmask_b32_e32 v19, 1, v4, vcc_lo
.LBB1254_170:
	s_or_b32 exec_lo, exec_lo, s0
	s_mov_b64 s[12:13], 0x100000000
	v_or3_b32 v12, v42, v29, v31
	v_cmp_gt_u64_e32 vcc_lo, s[12:13], v[38:39]
	v_cmp_gt_u64_e64 s6, s[12:13], v[28:29]
	v_cmp_gt_u64_e64 s0, s[12:13], v[36:37]
	;; [unrolled: 1-line block ×6, first 2 shown]
	v_cndmask_b32_e32 v2, 0, v18, vcc_lo
	v_cmp_gt_u64_e64 s8, s[12:13], v[24:25]
	v_cmp_gt_u64_e64 s10, s[12:13], v[20:21]
	;; [unrolled: 1-line block ×3, first 2 shown]
	v_dual_mov_b32 v14, 0 :: v_dual_bitop2_b32 v1, 56, v1 bitop3:0x40
	v_add_nc_u32_e32 v7, v2, v38
	v_cmp_gt_u64_e64 s11, s[12:13], v[40:41]
	s_mov_b32 s13, exec_lo
	v_lshl_add_u32 v1, v0, 3, v1
	v_cndmask_b32_e64 v2, 0, v7, s0
	s_delay_alu instid0(VALU_DEP_1) | instskip(NEXT) | instid1(VALU_DEP_1)
	v_add_nc_u32_e32 v8, v2, v36
	v_cndmask_b32_e64 v2, 0, v8, s1
	s_delay_alu instid0(VALU_DEP_1) | instskip(NEXT) | instid1(VALU_DEP_1)
	v_add_nc_u32_e32 v9, v2, v34
	;; [unrolled: 3-line block ×7, first 2 shown]
	v_cndmask_b32_e64 v6, 0, v10, s9
	s_delay_alu instid0(VALU_DEP_1) | instskip(SKIP_1) | instid1(VALU_DEP_2)
	v_add_nc_u32_e32 v11, v6, v22
	v_or3_b32 v6, v12, v33, v35
	v_cndmask_b32_e64 v12, 0, v11, s10
	s_delay_alu instid0(VALU_DEP_2) | instskip(NEXT) | instid1(VALU_DEP_2)
	v_or3_b32 v6, v6, v37, v39
	v_add_nc_u32_e32 v12, v12, v20
	s_delay_alu instid0(VALU_DEP_2) | instskip(NEXT) | instid1(VALU_DEP_1)
	v_or3_b32 v6, v41, v17, v6
	v_and_b32_e32 v15, 0xff, v6
	s_delay_alu instid0(VALU_DEP_1) | instskip(NEXT) | instid1(VALU_DEP_1)
	v_cmp_eq_u64_e64 s12, 0, v[14:15]
	v_dual_cndmask_b32 v13, 0, v12, s11 :: v_dual_cndmask_b32 v6, 1, v19, s12
	s_delay_alu instid0(VALU_DEP_1)
	v_add_nc_u32_e32 v13, v13, v40
	ds_store_b32 v1, v13
	ds_store_b8 v1, v6 offset:4
	s_wait_dscnt 0x0
	s_barrier_signal -1
	s_barrier_wait -1
	v_cmpx_gt_u32_e32 32, v0
	s_cbranch_execz .LBB1254_180
; %bb.171:
	v_dual_lshlrev_b32 v1, 1, v0 :: v_dual_lshlrev_b32 v14, 6, v0
	s_mov_b32 s14, exec_lo
	s_delay_alu instid0(VALU_DEP_1) | instskip(NEXT) | instid1(VALU_DEP_1)
	v_and_b32_e32 v1, 0x1f8, v1
	v_add_nc_u32_e32 v1, v1, v14
	ds_load_u8 v17, v1 offset:12
	ds_load_b64 v[14:15], v1
	ds_load_2addr_b32 v[42:43], v1 offset0:2 offset1:4
	ds_load_u8 v21, v1 offset:20
	ds_load_u8 v23, v1 offset:28
	;; [unrolled: 1-line block ×5, first 2 shown]
	ds_load_b32 v33, v1 offset:56
	s_wait_dscnt 0x8
	v_cmp_eq_u16_e64 s12, 0, v17
	s_wait_dscnt 0x5
	s_delay_alu instid0(VALU_DEP_1)
	v_dual_cndmask_b32 v31, 0, v14, s12 :: v_dual_bitop2_b32 v17, v21, v17 bitop3:0x54
	ds_load_2addr_b32 v[44:45], v1 offset0:6 offset1:8
	v_cmp_eq_u16_e64 s12, 0, v21
	ds_load_u8 v35, v1 offset:60
	s_wait_dscnt 0x5
	v_bitop3_b16 v17, v17, v25, v23 bitop3:0xfe
	v_add_nc_u32_e32 v31, v31, v42
	s_delay_alu instid0(VALU_DEP_1)
	v_cndmask_b32_e64 v31, 0, v31, s12
	v_cmp_eq_u16_e64 s12, 0, v23
	s_wait_dscnt 0x3
	v_bitop3_b16 v23, v17, v29, v27 bitop3:0xfe
	v_and_b32_e32 v17, 1, v15
	v_add_nc_u32_e32 v31, v31, v43
	ds_load_2addr_b32 v[42:43], v1 offset0:10 offset1:12
	v_cndmask_b32_e64 v31, 0, v31, s12
	v_cmp_eq_u16_e64 s12, 0, v25
	s_wait_dscnt 0x1
	s_delay_alu instid0(VALU_DEP_2) | instskip(NEXT) | instid1(VALU_DEP_1)
	v_dual_add_nc_u32 v31, v31, v44 :: v_dual_bitop2_b32 v25, 1, v35 bitop3:0x40
	v_cndmask_b32_e64 v31, 0, v31, s12
	v_cmp_eq_u16_e64 s12, 0, v27
	s_delay_alu instid0(VALU_DEP_2) | instskip(NEXT) | instid1(VALU_DEP_1)
	v_add_nc_u32_e32 v21, v31, v45
	v_cndmask_b32_e64 v21, 0, v21, s12
	v_cmp_eq_u16_e64 s12, 0, v23
	s_wait_dscnt 0x0
	s_delay_alu instid0(VALU_DEP_1) | instskip(SKIP_1) | instid1(VALU_DEP_1)
	v_dual_add_nc_u32 v21, v21, v42 :: v_dual_cndmask_b32 v23, 1, v17, s12
	v_cmp_eq_u16_e64 s12, 0, v29
	v_cndmask_b32_e64 v21, 0, v21, s12
	v_cmp_eq_u32_e64 s12, 1, v25
	v_mbcnt_lo_u32_b32 v25, -1, 0
	s_delay_alu instid0(VALU_DEP_2) | instskip(SKIP_1) | instid1(VALU_DEP_2)
	v_cndmask_b32_e64 v27, v23, 1, s12
	v_cmp_eq_u16_e64 s12, 0, v35
	v_and_b32_e32 v29, 0xffff, v27
	v_add_nc_u32_e32 v23, v21, v43
	v_and_b32_e32 v21, 0xffffff00, v15
	s_delay_alu instid0(VALU_DEP_1) | instskip(SKIP_1) | instid1(VALU_DEP_2)
	v_dual_cndmask_b32 v23, 0, v23, s12 :: v_dual_bitop2_b32 v31, v21, v29 bitop3:0x54
	v_and_b32_e32 v29, 15, v25
	v_mov_b32_dpp v35, v31 row_shr:1 row_mask:0xf bank_mask:0xf
	s_delay_alu instid0(VALU_DEP_3) | instskip(NEXT) | instid1(VALU_DEP_1)
	v_add_nc_u32_e32 v23, v23, v33
	v_mov_b32_dpp v33, v23 row_shr:1 row_mask:0xf bank_mask:0xf
	s_delay_alu instid0(VALU_DEP_4)
	v_cmpx_ne_u32_e32 0, v29
	s_cbranch_execz .LBB1254_173
; %bb.172:
	v_and_b32_e32 v31, 1, v27
	v_and_b32_e32 v35, 1, v35
	s_delay_alu instid0(VALU_DEP_2) | instskip(NEXT) | instid1(VALU_DEP_1)
	v_cmp_eq_u32_e64 s12, 1, v31
	v_cndmask_b32_e64 v35, v35, 1, s12
	v_cmp_eq_u16_e64 s12, 0, v27
	s_delay_alu instid0(VALU_DEP_2) | instskip(NEXT) | instid1(VALU_DEP_1)
	v_and_b32_e32 v31, 0xffff, v35
	v_dual_cndmask_b32 v27, 0, v33, s12 :: v_dual_bitop2_b32 v31, v21, v31 bitop3:0x54
	s_delay_alu instid0(VALU_DEP_1)
	v_add_nc_u32_e32 v23, v27, v23
	v_mov_b32_e32 v27, v35
.LBB1254_173:
	s_or_b32 exec_lo, exec_lo, s14
	s_delay_alu instid0(VALU_DEP_2)
	v_mov_b32_dpp v33, v23 row_shr:2 row_mask:0xf bank_mask:0xf
	v_mov_b32_dpp v35, v31 row_shr:2 row_mask:0xf bank_mask:0xf
	s_mov_b32 s14, exec_lo
	v_cmpx_lt_u32_e32 1, v29
	s_cbranch_execz .LBB1254_175
; %bb.174:
	v_and_b32_e32 v31, 1, v27
	v_and_b32_e32 v35, 1, v35
	s_delay_alu instid0(VALU_DEP_2) | instskip(NEXT) | instid1(VALU_DEP_1)
	v_cmp_eq_u32_e64 s12, 1, v31
	v_cndmask_b32_e64 v35, v35, 1, s12
	v_cmp_eq_u16_e64 s12, 0, v27
	s_delay_alu instid0(VALU_DEP_2) | instskip(NEXT) | instid1(VALU_DEP_1)
	v_and_b32_e32 v31, 0xffff, v35
	v_dual_cndmask_b32 v27, 0, v33, s12 :: v_dual_bitop2_b32 v31, v21, v31 bitop3:0x54
	s_delay_alu instid0(VALU_DEP_1)
	v_add_nc_u32_e32 v23, v27, v23
	v_mov_b32_e32 v27, v35
.LBB1254_175:
	s_or_b32 exec_lo, exec_lo, s14
	s_delay_alu instid0(VALU_DEP_2)
	v_mov_b32_dpp v33, v23 row_shr:4 row_mask:0xf bank_mask:0xf
	v_mov_b32_dpp v35, v31 row_shr:4 row_mask:0xf bank_mask:0xf
	s_mov_b32 s14, exec_lo
	v_cmpx_lt_u32_e32 3, v29
	;; [unrolled: 21-line block ×3, first 2 shown]
	s_cbranch_execz .LBB1254_179
; %bb.178:
	v_and_b32_e32 v29, 1, v27
	v_and_b32_e32 v31, 1, v35
	s_delay_alu instid0(VALU_DEP_2) | instskip(NEXT) | instid1(VALU_DEP_1)
	v_cmp_eq_u32_e64 s12, 1, v29
	v_cndmask_b32_e64 v29, v31, 1, s12
	v_cmp_eq_u16_e64 s12, 0, v27
	s_delay_alu instid0(VALU_DEP_2) | instskip(NEXT) | instid1(VALU_DEP_1)
	v_and_b32_e32 v31, 0xffff, v29
	v_dual_cndmask_b32 v27, 0, v33, s12 :: v_dual_bitop2_b32 v31, v21, v31 bitop3:0x54
	s_delay_alu instid0(VALU_DEP_1)
	v_dual_add_nc_u32 v23, v27, v23 :: v_dual_mov_b32 v27, v29
.LBB1254_179:
	s_or_b32 exec_lo, exec_lo, s14
	ds_swizzle_b32 v29, v31 offset:swizzle(BROADCAST,32,15)
	ds_swizzle_b32 v31, v23 offset:swizzle(BROADCAST,32,15)
	v_and_b32_e32 v33, 1, v27
	v_and_b32_e32 v35, 16, v25
	v_bfe_i32 v37, v25, 4, 1
	v_and_b32_e32 v15, 0xff, v15
	s_delay_alu instid0(VALU_DEP_4) | instskip(SKIP_3) | instid1(VALU_DEP_1)
	v_cmp_eq_u32_e64 s12, 1, v33
	v_add_nc_u32_e32 v33, -1, v25
	; wave barrier
	s_wait_dscnt 0x1
	v_and_b32_e32 v29, 1, v29
	v_cndmask_b32_e64 v29, v29, 1, s12
	v_cmp_eq_u16_e64 s12, 0, v27
	s_wait_dscnt 0x0
	s_delay_alu instid0(VALU_DEP_1) | instskip(SKIP_1) | instid1(VALU_DEP_1)
	v_cndmask_b32_e64 v31, 0, v31, s12
	v_cmp_eq_u32_e64 s12, 0, v35
	v_cndmask_b32_e64 v27, v29, v27, s12
	v_cmp_gt_i32_e64 s12, 0, v33
	s_delay_alu instid0(VALU_DEP_2) | instskip(NEXT) | instid1(VALU_DEP_2)
	v_and_b32_e32 v27, 0xffff, v27
	v_cndmask_b32_e64 v25, v33, v25, s12
	v_and_b32_e32 v29, v37, v31
	v_cmp_eq_u16_e64 s12, 0, v15
	s_delay_alu instid0(VALU_DEP_3)
	v_dual_lshlrev_b32 v25, 2, v25 :: v_dual_bitop2_b32 v21, v21, v27 bitop3:0x54
	ds_bpermute_b32 v21, v25, v21
	s_wait_dscnt 0x0
	v_dual_add_nc_u32 v23, v29, v23 :: v_dual_bitop2_b32 v21, 1, v21 bitop3:0x40
	ds_bpermute_b32 v23, v25, v23
	s_wait_dscnt 0x0
	v_cndmask_b32_e64 v15, 0, v23, s12
	v_cmp_eq_u32_e64 s12, 1, v17
	s_delay_alu instid0(VALU_DEP_2) | instskip(NEXT) | instid1(VALU_DEP_2)
	v_add_nc_u32_e32 v14, v15, v14
	v_cndmask_b32_e64 v15, v21, 1, s12
	s_delay_alu instid0(VALU_DEP_1)
	v_dual_cndmask_b32 v17, v14, v13, s2 :: v_dual_cndmask_b32 v6, v15, v6, s2
	ds_store_b32 v1, v17
	ds_store_b8 v1, v6 offset:4
	; wave barrier
	ds_load_u8 v21, v1 offset:12
	ds_load_2addr_b32 v[14:15], v1 offset0:2 offset1:4
	ds_load_u8 v23, v1 offset:20
	ds_load_u8 v25, v1 offset:28
	;; [unrolled: 1-line block ×5, first 2 shown]
	ds_load_b32 v33, v1 offset:56
	ds_load_u8 v35, v1 offset:60
	ds_load_2addr_b32 v[42:43], v1 offset0:6 offset1:8
	s_wait_dscnt 0x9
	v_cmp_eq_u16_e64 s12, 0, v21
	s_delay_alu instid0(VALU_DEP_1) | instskip(SKIP_2) | instid1(VALU_DEP_2)
	v_cndmask_b32_e64 v17, 0, v17, s12
	s_wait_dscnt 0x7
	v_cmp_eq_u16_e64 s12, 0, v23
	v_add_nc_u32_e32 v17, v17, v14
	s_delay_alu instid0(VALU_DEP_1) | instskip(SKIP_2) | instid1(VALU_DEP_2)
	v_cndmask_b32_e64 v14, 0, v17, s12
	s_wait_dscnt 0x6
	v_cmp_eq_u16_e64 s12, 0, v25
	v_add_nc_u32_e32 v37, v14, v15
	ds_load_2addr_b32 v[14:15], v1 offset0:10 offset1:12
	v_cndmask_b32_e64 v39, 0, v37, s12
	s_wait_dscnt 0x6
	v_cmp_eq_u16_e64 s12, 0, v27
	ds_store_2addr_b32 v1, v17, v37 offset0:2 offset1:4
	s_wait_dscnt 0x2
	v_dual_add_nc_u32 v39, v39, v42 :: v_dual_bitop2_b32 v21, 1, v21 bitop3:0x40
	v_and_b32_e32 v42, 1, v35
	s_delay_alu instid0(VALU_DEP_2) | instskip(NEXT) | instid1(VALU_DEP_3)
	v_cndmask_b32_e64 v41, 0, v39, s12
	v_cmp_eq_u32_e64 s12, 1, v21
	s_delay_alu instid0(VALU_DEP_2) | instskip(SKIP_1) | instid1(VALU_DEP_3)
	v_dual_add_nc_u32 v25, v41, v43 :: v_dual_bitop2_b32 v21, 1, v25 bitop3:0x40
	v_and_b32_e32 v23, 1, v23
	v_cndmask_b32_e64 v6, v6, 1, s12
	s_delay_alu instid0(VALU_DEP_2) | instskip(NEXT) | instid1(VALU_DEP_1)
	v_cmp_eq_u32_e64 s12, 1, v23
	v_cndmask_b32_e64 v23, v6, 1, s12
	v_cmp_eq_u16_e64 s12, 0, v29
	s_delay_alu instid0(VALU_DEP_1) | instskip(SKIP_2) | instid1(VALU_DEP_2)
	v_dual_cndmask_b32 v41, 0, v25, s12 :: v_dual_bitop2_b32 v27, 1, v27 bitop3:0x40
	v_cmp_eq_u32_e64 s12, 1, v21
	s_wait_dscnt 0x1
	v_dual_add_nc_u32 v14, v41, v14 :: v_dual_bitop2_b32 v41, 1, v31 bitop3:0x40
	s_delay_alu instid0(VALU_DEP_2) | instskip(SKIP_1) | instid1(VALU_DEP_1)
	v_cndmask_b32_e64 v21, v23, 1, s12
	v_cmp_eq_u32_e64 s12, 1, v27
	v_cndmask_b32_e64 v27, v21, 1, s12
	v_cmp_eq_u16_e64 s12, 0, v31
	s_delay_alu instid0(VALU_DEP_1) | instskip(NEXT) | instid1(VALU_DEP_1)
	v_dual_cndmask_b32 v31, 0, v14, s12 :: v_dual_bitop2_b32 v29, 1, v29 bitop3:0x40
	v_cmp_eq_u32_e64 s12, 1, v29
	s_delay_alu instid0(VALU_DEP_2) | instskip(NEXT) | instid1(VALU_DEP_2)
	v_add_nc_u32_e32 v15, v31, v15
	v_cndmask_b32_e64 v29, v27, 1, s12
	v_cmp_eq_u32_e64 s12, 1, v41
	ds_store_2addr_b32 v1, v39, v25 offset0:6 offset1:8
	ds_store_2addr_b32 v1, v14, v15 offset0:10 offset1:12
	v_cndmask_b32_e64 v31, v29, 1, s12
	v_cmp_eq_u16_e64 s12, 0, v35
	s_delay_alu instid0(VALU_DEP_1) | instskip(SKIP_1) | instid1(VALU_DEP_2)
	v_cndmask_b32_e64 v17, 0, v15, s12
	v_cmp_eq_u32_e64 s12, 1, v42
	v_add_nc_u32_e32 v14, v17, v33
	s_delay_alu instid0(VALU_DEP_2)
	v_cndmask_b32_e64 v35, v31, 1, s12
	ds_store_b8 v1, v6 offset:12
	ds_store_b8 v1, v23 offset:20
	;; [unrolled: 1-line block ×6, first 2 shown]
	ds_store_b32 v1, v14 offset:56
	ds_store_b8 v1, v35 offset:60
.LBB1254_180:
	s_or_b32 exec_lo, exec_lo, s13
	v_mov_b32_e32 v6, v18
	s_wait_dscnt 0x0
	s_barrier_signal -1
	s_barrier_wait -1
	s_delay_alu instid0(VALU_DEP_1)
	v_mov_b64_e32 v[14:15], v[6:7]
	s_and_saveexec_b32 s12, s3
	s_cbranch_execz .LBB1254_182
; %bb.181:
	v_add_nc_u32_e32 v1, -1, v0
	v_and_b32_e32 v3, 0xff, v19
	s_delay_alu instid0(VALU_DEP_2) | instskip(NEXT) | instid1(VALU_DEP_1)
	v_lshrrev_b32_e32 v2, 2, v1
	v_and_b32_e32 v2, 0x3ffffff8, v2
	s_delay_alu instid0(VALU_DEP_1)
	v_lshl_add_u32 v1, v1, 3, v2
	v_mov_b32_e32 v2, 0
	ds_load_b32 v1, v1
	v_cmp_eq_u64_e64 s3, 0, v[2:3]
	;;#ASMSTART
	;;#ASMEND
	s_wait_dscnt 0x0
	s_delay_alu instid0(VALU_DEP_1) | instskip(NEXT) | instid1(VALU_DEP_1)
	v_cndmask_b32_e64 v1, 0, v1, s3
	v_add_nc_u32_e32 v14, v1, v18
	s_delay_alu instid0(VALU_DEP_1) | instskip(NEXT) | instid1(VALU_DEP_1)
	v_cndmask_b32_e32 v1, 0, v14, vcc_lo
	v_add_nc_u32_e32 v15, v1, v38
	s_delay_alu instid0(VALU_DEP_1) | instskip(NEXT) | instid1(VALU_DEP_1)
	v_dual_cndmask_b32 v1, 0, v15, s0 :: v_dual_mov_b32 v18, v14
	v_dual_mov_b32 v7, v15 :: v_dual_add_nc_u32 v8, v1, v36
	s_delay_alu instid0(VALU_DEP_1) | instskip(NEXT) | instid1(VALU_DEP_1)
	v_cndmask_b32_e64 v1, 0, v8, s1
	v_add_nc_u32_e32 v9, v1, v34
	s_delay_alu instid0(VALU_DEP_1) | instskip(NEXT) | instid1(VALU_DEP_1)
	v_cndmask_b32_e64 v1, 0, v9, s4
	v_add_nc_u32_e32 v2, v1, v32
	;; [unrolled: 3-line block ×9, first 2 shown]
.LBB1254_182:
	s_or_b32 exec_lo, exec_lo, s12
	s_and_saveexec_b32 s0, s2
	s_cbranch_execz .LBB1254_184
; %bb.183:
	v_dual_mov_b32 v23, 0 :: v_dual_mov_b32 v22, 2
	s_add_nc_u64 s[2:3], s[28:29], 0x200
	ds_load_b32 v20, v23 offset:2096
	ds_load_u8 v21, v23 offset:2100
	v_mov_b64_e32 v[24:25], s[2:3]
	s_wait_dscnt 0x0
	;;#ASMSTART
	global_store_b128 v[24:25], v[20:23] off scope:SCOPE_DEV	
s_wait_storecnt 0x0
	;;#ASMEND
.LBB1254_184:
	s_or_b32 exec_lo, exec_lo, s0
	v_mov_b32_e32 v6, v18
	s_add_nc_u64 s[0:1], s[18:19], s[34:35]
	s_and_b32 vcc_lo, exec_lo, s31
	s_add_nc_u64 s[0:1], s[0:1], s[16:17]
	s_cbranch_vccnz .LBB1254_124
.LBB1254_185:
	s_mov_b32 s2, 0
                                        ; implicit-def: $vgpr7
	s_cbranch_execz .LBB1254_187
; %bb.186:
	v_mul_u32_u24_e32 v1, 48, v0
	v_dual_mov_b32 v16, v8 :: v_dual_mov_b32 v17, v9
	v_mul_i32_i24_e32 v6, 0xffffffd4, v0
	s_wait_storecnt_dscnt 0x0
	s_barrier_signal -1
	s_barrier_wait -1
	ds_store_b128 v1, v[14:17]
	ds_store_b128 v1, v[2:5] offset:16
	ds_store_b128 v1, v[10:13] offset:32
	v_mad_u32_u24 v1, v0, 48, v6
	s_wait_dscnt 0x0
	s_barrier_signal -1
	s_barrier_wait -1
	ds_load_2addr_stride64_b32 v[2:3], v1 offset1:4
	ds_load_2addr_stride64_b32 v[4:5], v1 offset0:8 offset1:12
	ds_load_2addr_stride64_b32 v[8:9], v1 offset0:16 offset1:20
	ds_load_2addr_stride64_b32 v[10:11], v1 offset0:24 offset1:28
	ds_load_2addr_stride64_b32 v[12:13], v1 offset0:32 offset1:36
	ds_load_2addr_stride64_b32 v[6:7], v1 offset0:40 offset1:44
	s_or_b32 s2, s2, exec_lo
	s_wait_dscnt 0x5
	s_clause 0x1
	flat_store_b32 v0, v2, s[0:1] scale_offset
	flat_store_b32 v0, v3, s[0:1] offset:1024 scale_offset
	s_wait_dscnt 0x6
	s_clause 0x1
	flat_store_b32 v0, v4, s[0:1] offset:2048 scale_offset
	flat_store_b32 v0, v5, s[0:1] offset:3072 scale_offset
	s_wait_dscnt 0x7
	s_clause 0x1
	flat_store_b32 v0, v8, s[0:1] offset:4096 scale_offset
	;; [unrolled: 4-line block ×4, first 2 shown]
	flat_store_b32 v0, v13, s[0:1] offset:9216 scale_offset
	s_wait_dscnt 0xa
	flat_store_b32 v0, v6, s[0:1] offset:10240 scale_offset
.LBB1254_187:
	s_wait_xcnt 0x0
	s_delay_alu instid0(VALU_DEP_1)
	s_and_saveexec_b32 s3, s2
	s_cbranch_execnz .LBB1254_189
; %bb.188:
	s_endpgm
.LBB1254_189:
	s_wait_dscnt 0x0
	flat_store_b32 v0, v7, s[0:1] offset:11264 scale_offset
	s_endpgm
	.section	.rodata,"a",@progbits
	.p2align	6, 0x0
	.amdhsa_kernel _ZN7rocprim17ROCPRIM_400000_NS6detail17trampoline_kernelINS0_14default_configENS1_27scan_by_key_config_selectorIijEEZZNS1_16scan_by_key_implILNS1_25lookback_scan_determinismE0ELb0ES3_N6thrust23THRUST_200600_302600_NS6detail15normal_iteratorINS9_10device_ptrIiEEEENSB_INSC_IjEEEESG_jNS9_4plusIvEENS9_8equal_toIvEEjEE10hipError_tPvRmT2_T3_T4_T5_mT6_T7_P12ihipStream_tbENKUlT_T0_E_clISt17integral_constantIbLb0EES10_IbLb1EEEEDaSW_SX_EUlSW_E_NS1_11comp_targetILNS1_3genE0ELNS1_11target_archE4294967295ELNS1_3gpuE0ELNS1_3repE0EEENS1_30default_config_static_selectorELNS0_4arch9wavefront6targetE0EEEvT1_
		.amdhsa_group_segment_fixed_size 14336
		.amdhsa_private_segment_fixed_size 0
		.amdhsa_kernarg_size 112
		.amdhsa_user_sgpr_count 2
		.amdhsa_user_sgpr_dispatch_ptr 0
		.amdhsa_user_sgpr_queue_ptr 0
		.amdhsa_user_sgpr_kernarg_segment_ptr 1
		.amdhsa_user_sgpr_dispatch_id 0
		.amdhsa_user_sgpr_kernarg_preload_length 0
		.amdhsa_user_sgpr_kernarg_preload_offset 0
		.amdhsa_user_sgpr_private_segment_size 0
		.amdhsa_wavefront_size32 1
		.amdhsa_uses_dynamic_stack 0
		.amdhsa_enable_private_segment 0
		.amdhsa_system_sgpr_workgroup_id_x 1
		.amdhsa_system_sgpr_workgroup_id_y 0
		.amdhsa_system_sgpr_workgroup_id_z 0
		.amdhsa_system_sgpr_workgroup_info 0
		.amdhsa_system_vgpr_workitem_id 0
		.amdhsa_next_free_vgpr 60
		.amdhsa_next_free_sgpr 44
		.amdhsa_named_barrier_count 0
		.amdhsa_reserve_vcc 1
		.amdhsa_float_round_mode_32 0
		.amdhsa_float_round_mode_16_64 0
		.amdhsa_float_denorm_mode_32 3
		.amdhsa_float_denorm_mode_16_64 3
		.amdhsa_fp16_overflow 0
		.amdhsa_memory_ordered 1
		.amdhsa_forward_progress 1
		.amdhsa_inst_pref_size 95
		.amdhsa_round_robin_scheduling 0
		.amdhsa_exception_fp_ieee_invalid_op 0
		.amdhsa_exception_fp_denorm_src 0
		.amdhsa_exception_fp_ieee_div_zero 0
		.amdhsa_exception_fp_ieee_overflow 0
		.amdhsa_exception_fp_ieee_underflow 0
		.amdhsa_exception_fp_ieee_inexact 0
		.amdhsa_exception_int_div_zero 0
	.end_amdhsa_kernel
	.section	.text._ZN7rocprim17ROCPRIM_400000_NS6detail17trampoline_kernelINS0_14default_configENS1_27scan_by_key_config_selectorIijEEZZNS1_16scan_by_key_implILNS1_25lookback_scan_determinismE0ELb0ES3_N6thrust23THRUST_200600_302600_NS6detail15normal_iteratorINS9_10device_ptrIiEEEENSB_INSC_IjEEEESG_jNS9_4plusIvEENS9_8equal_toIvEEjEE10hipError_tPvRmT2_T3_T4_T5_mT6_T7_P12ihipStream_tbENKUlT_T0_E_clISt17integral_constantIbLb0EES10_IbLb1EEEEDaSW_SX_EUlSW_E_NS1_11comp_targetILNS1_3genE0ELNS1_11target_archE4294967295ELNS1_3gpuE0ELNS1_3repE0EEENS1_30default_config_static_selectorELNS0_4arch9wavefront6targetE0EEEvT1_,"axG",@progbits,_ZN7rocprim17ROCPRIM_400000_NS6detail17trampoline_kernelINS0_14default_configENS1_27scan_by_key_config_selectorIijEEZZNS1_16scan_by_key_implILNS1_25lookback_scan_determinismE0ELb0ES3_N6thrust23THRUST_200600_302600_NS6detail15normal_iteratorINS9_10device_ptrIiEEEENSB_INSC_IjEEEESG_jNS9_4plusIvEENS9_8equal_toIvEEjEE10hipError_tPvRmT2_T3_T4_T5_mT6_T7_P12ihipStream_tbENKUlT_T0_E_clISt17integral_constantIbLb0EES10_IbLb1EEEEDaSW_SX_EUlSW_E_NS1_11comp_targetILNS1_3genE0ELNS1_11target_archE4294967295ELNS1_3gpuE0ELNS1_3repE0EEENS1_30default_config_static_selectorELNS0_4arch9wavefront6targetE0EEEvT1_,comdat
.Lfunc_end1254:
	.size	_ZN7rocprim17ROCPRIM_400000_NS6detail17trampoline_kernelINS0_14default_configENS1_27scan_by_key_config_selectorIijEEZZNS1_16scan_by_key_implILNS1_25lookback_scan_determinismE0ELb0ES3_N6thrust23THRUST_200600_302600_NS6detail15normal_iteratorINS9_10device_ptrIiEEEENSB_INSC_IjEEEESG_jNS9_4plusIvEENS9_8equal_toIvEEjEE10hipError_tPvRmT2_T3_T4_T5_mT6_T7_P12ihipStream_tbENKUlT_T0_E_clISt17integral_constantIbLb0EES10_IbLb1EEEEDaSW_SX_EUlSW_E_NS1_11comp_targetILNS1_3genE0ELNS1_11target_archE4294967295ELNS1_3gpuE0ELNS1_3repE0EEENS1_30default_config_static_selectorELNS0_4arch9wavefront6targetE0EEEvT1_, .Lfunc_end1254-_ZN7rocprim17ROCPRIM_400000_NS6detail17trampoline_kernelINS0_14default_configENS1_27scan_by_key_config_selectorIijEEZZNS1_16scan_by_key_implILNS1_25lookback_scan_determinismE0ELb0ES3_N6thrust23THRUST_200600_302600_NS6detail15normal_iteratorINS9_10device_ptrIiEEEENSB_INSC_IjEEEESG_jNS9_4plusIvEENS9_8equal_toIvEEjEE10hipError_tPvRmT2_T3_T4_T5_mT6_T7_P12ihipStream_tbENKUlT_T0_E_clISt17integral_constantIbLb0EES10_IbLb1EEEEDaSW_SX_EUlSW_E_NS1_11comp_targetILNS1_3genE0ELNS1_11target_archE4294967295ELNS1_3gpuE0ELNS1_3repE0EEENS1_30default_config_static_selectorELNS0_4arch9wavefront6targetE0EEEvT1_
                                        ; -- End function
	.set _ZN7rocprim17ROCPRIM_400000_NS6detail17trampoline_kernelINS0_14default_configENS1_27scan_by_key_config_selectorIijEEZZNS1_16scan_by_key_implILNS1_25lookback_scan_determinismE0ELb0ES3_N6thrust23THRUST_200600_302600_NS6detail15normal_iteratorINS9_10device_ptrIiEEEENSB_INSC_IjEEEESG_jNS9_4plusIvEENS9_8equal_toIvEEjEE10hipError_tPvRmT2_T3_T4_T5_mT6_T7_P12ihipStream_tbENKUlT_T0_E_clISt17integral_constantIbLb0EES10_IbLb1EEEEDaSW_SX_EUlSW_E_NS1_11comp_targetILNS1_3genE0ELNS1_11target_archE4294967295ELNS1_3gpuE0ELNS1_3repE0EEENS1_30default_config_static_selectorELNS0_4arch9wavefront6targetE0EEEvT1_.num_vgpr, 60
	.set _ZN7rocprim17ROCPRIM_400000_NS6detail17trampoline_kernelINS0_14default_configENS1_27scan_by_key_config_selectorIijEEZZNS1_16scan_by_key_implILNS1_25lookback_scan_determinismE0ELb0ES3_N6thrust23THRUST_200600_302600_NS6detail15normal_iteratorINS9_10device_ptrIiEEEENSB_INSC_IjEEEESG_jNS9_4plusIvEENS9_8equal_toIvEEjEE10hipError_tPvRmT2_T3_T4_T5_mT6_T7_P12ihipStream_tbENKUlT_T0_E_clISt17integral_constantIbLb0EES10_IbLb1EEEEDaSW_SX_EUlSW_E_NS1_11comp_targetILNS1_3genE0ELNS1_11target_archE4294967295ELNS1_3gpuE0ELNS1_3repE0EEENS1_30default_config_static_selectorELNS0_4arch9wavefront6targetE0EEEvT1_.num_agpr, 0
	.set _ZN7rocprim17ROCPRIM_400000_NS6detail17trampoline_kernelINS0_14default_configENS1_27scan_by_key_config_selectorIijEEZZNS1_16scan_by_key_implILNS1_25lookback_scan_determinismE0ELb0ES3_N6thrust23THRUST_200600_302600_NS6detail15normal_iteratorINS9_10device_ptrIiEEEENSB_INSC_IjEEEESG_jNS9_4plusIvEENS9_8equal_toIvEEjEE10hipError_tPvRmT2_T3_T4_T5_mT6_T7_P12ihipStream_tbENKUlT_T0_E_clISt17integral_constantIbLb0EES10_IbLb1EEEEDaSW_SX_EUlSW_E_NS1_11comp_targetILNS1_3genE0ELNS1_11target_archE4294967295ELNS1_3gpuE0ELNS1_3repE0EEENS1_30default_config_static_selectorELNS0_4arch9wavefront6targetE0EEEvT1_.numbered_sgpr, 44
	.set _ZN7rocprim17ROCPRIM_400000_NS6detail17trampoline_kernelINS0_14default_configENS1_27scan_by_key_config_selectorIijEEZZNS1_16scan_by_key_implILNS1_25lookback_scan_determinismE0ELb0ES3_N6thrust23THRUST_200600_302600_NS6detail15normal_iteratorINS9_10device_ptrIiEEEENSB_INSC_IjEEEESG_jNS9_4plusIvEENS9_8equal_toIvEEjEE10hipError_tPvRmT2_T3_T4_T5_mT6_T7_P12ihipStream_tbENKUlT_T0_E_clISt17integral_constantIbLb0EES10_IbLb1EEEEDaSW_SX_EUlSW_E_NS1_11comp_targetILNS1_3genE0ELNS1_11target_archE4294967295ELNS1_3gpuE0ELNS1_3repE0EEENS1_30default_config_static_selectorELNS0_4arch9wavefront6targetE0EEEvT1_.num_named_barrier, 0
	.set _ZN7rocprim17ROCPRIM_400000_NS6detail17trampoline_kernelINS0_14default_configENS1_27scan_by_key_config_selectorIijEEZZNS1_16scan_by_key_implILNS1_25lookback_scan_determinismE0ELb0ES3_N6thrust23THRUST_200600_302600_NS6detail15normal_iteratorINS9_10device_ptrIiEEEENSB_INSC_IjEEEESG_jNS9_4plusIvEENS9_8equal_toIvEEjEE10hipError_tPvRmT2_T3_T4_T5_mT6_T7_P12ihipStream_tbENKUlT_T0_E_clISt17integral_constantIbLb0EES10_IbLb1EEEEDaSW_SX_EUlSW_E_NS1_11comp_targetILNS1_3genE0ELNS1_11target_archE4294967295ELNS1_3gpuE0ELNS1_3repE0EEENS1_30default_config_static_selectorELNS0_4arch9wavefront6targetE0EEEvT1_.private_seg_size, 0
	.set _ZN7rocprim17ROCPRIM_400000_NS6detail17trampoline_kernelINS0_14default_configENS1_27scan_by_key_config_selectorIijEEZZNS1_16scan_by_key_implILNS1_25lookback_scan_determinismE0ELb0ES3_N6thrust23THRUST_200600_302600_NS6detail15normal_iteratorINS9_10device_ptrIiEEEENSB_INSC_IjEEEESG_jNS9_4plusIvEENS9_8equal_toIvEEjEE10hipError_tPvRmT2_T3_T4_T5_mT6_T7_P12ihipStream_tbENKUlT_T0_E_clISt17integral_constantIbLb0EES10_IbLb1EEEEDaSW_SX_EUlSW_E_NS1_11comp_targetILNS1_3genE0ELNS1_11target_archE4294967295ELNS1_3gpuE0ELNS1_3repE0EEENS1_30default_config_static_selectorELNS0_4arch9wavefront6targetE0EEEvT1_.uses_vcc, 1
	.set _ZN7rocprim17ROCPRIM_400000_NS6detail17trampoline_kernelINS0_14default_configENS1_27scan_by_key_config_selectorIijEEZZNS1_16scan_by_key_implILNS1_25lookback_scan_determinismE0ELb0ES3_N6thrust23THRUST_200600_302600_NS6detail15normal_iteratorINS9_10device_ptrIiEEEENSB_INSC_IjEEEESG_jNS9_4plusIvEENS9_8equal_toIvEEjEE10hipError_tPvRmT2_T3_T4_T5_mT6_T7_P12ihipStream_tbENKUlT_T0_E_clISt17integral_constantIbLb0EES10_IbLb1EEEEDaSW_SX_EUlSW_E_NS1_11comp_targetILNS1_3genE0ELNS1_11target_archE4294967295ELNS1_3gpuE0ELNS1_3repE0EEENS1_30default_config_static_selectorELNS0_4arch9wavefront6targetE0EEEvT1_.uses_flat_scratch, 1
	.set _ZN7rocprim17ROCPRIM_400000_NS6detail17trampoline_kernelINS0_14default_configENS1_27scan_by_key_config_selectorIijEEZZNS1_16scan_by_key_implILNS1_25lookback_scan_determinismE0ELb0ES3_N6thrust23THRUST_200600_302600_NS6detail15normal_iteratorINS9_10device_ptrIiEEEENSB_INSC_IjEEEESG_jNS9_4plusIvEENS9_8equal_toIvEEjEE10hipError_tPvRmT2_T3_T4_T5_mT6_T7_P12ihipStream_tbENKUlT_T0_E_clISt17integral_constantIbLb0EES10_IbLb1EEEEDaSW_SX_EUlSW_E_NS1_11comp_targetILNS1_3genE0ELNS1_11target_archE4294967295ELNS1_3gpuE0ELNS1_3repE0EEENS1_30default_config_static_selectorELNS0_4arch9wavefront6targetE0EEEvT1_.has_dyn_sized_stack, 0
	.set _ZN7rocprim17ROCPRIM_400000_NS6detail17trampoline_kernelINS0_14default_configENS1_27scan_by_key_config_selectorIijEEZZNS1_16scan_by_key_implILNS1_25lookback_scan_determinismE0ELb0ES3_N6thrust23THRUST_200600_302600_NS6detail15normal_iteratorINS9_10device_ptrIiEEEENSB_INSC_IjEEEESG_jNS9_4plusIvEENS9_8equal_toIvEEjEE10hipError_tPvRmT2_T3_T4_T5_mT6_T7_P12ihipStream_tbENKUlT_T0_E_clISt17integral_constantIbLb0EES10_IbLb1EEEEDaSW_SX_EUlSW_E_NS1_11comp_targetILNS1_3genE0ELNS1_11target_archE4294967295ELNS1_3gpuE0ELNS1_3repE0EEENS1_30default_config_static_selectorELNS0_4arch9wavefront6targetE0EEEvT1_.has_recursion, 0
	.set _ZN7rocprim17ROCPRIM_400000_NS6detail17trampoline_kernelINS0_14default_configENS1_27scan_by_key_config_selectorIijEEZZNS1_16scan_by_key_implILNS1_25lookback_scan_determinismE0ELb0ES3_N6thrust23THRUST_200600_302600_NS6detail15normal_iteratorINS9_10device_ptrIiEEEENSB_INSC_IjEEEESG_jNS9_4plusIvEENS9_8equal_toIvEEjEE10hipError_tPvRmT2_T3_T4_T5_mT6_T7_P12ihipStream_tbENKUlT_T0_E_clISt17integral_constantIbLb0EES10_IbLb1EEEEDaSW_SX_EUlSW_E_NS1_11comp_targetILNS1_3genE0ELNS1_11target_archE4294967295ELNS1_3gpuE0ELNS1_3repE0EEENS1_30default_config_static_selectorELNS0_4arch9wavefront6targetE0EEEvT1_.has_indirect_call, 0
	.section	.AMDGPU.csdata,"",@progbits
; Kernel info:
; codeLenInByte = 12072
; TotalNumSgprs: 46
; NumVgprs: 60
; ScratchSize: 0
; MemoryBound: 0
; FloatMode: 240
; IeeeMode: 1
; LDSByteSize: 14336 bytes/workgroup (compile time only)
; SGPRBlocks: 0
; VGPRBlocks: 3
; NumSGPRsForWavesPerEU: 46
; NumVGPRsForWavesPerEU: 60
; NamedBarCnt: 0
; Occupancy: 16
; WaveLimiterHint : 1
; COMPUTE_PGM_RSRC2:SCRATCH_EN: 0
; COMPUTE_PGM_RSRC2:USER_SGPR: 2
; COMPUTE_PGM_RSRC2:TRAP_HANDLER: 0
; COMPUTE_PGM_RSRC2:TGID_X_EN: 1
; COMPUTE_PGM_RSRC2:TGID_Y_EN: 0
; COMPUTE_PGM_RSRC2:TGID_Z_EN: 0
; COMPUTE_PGM_RSRC2:TIDIG_COMP_CNT: 0
	.section	.text._ZN7rocprim17ROCPRIM_400000_NS6detail17trampoline_kernelINS0_14default_configENS1_27scan_by_key_config_selectorIijEEZZNS1_16scan_by_key_implILNS1_25lookback_scan_determinismE0ELb0ES3_N6thrust23THRUST_200600_302600_NS6detail15normal_iteratorINS9_10device_ptrIiEEEENSB_INSC_IjEEEESG_jNS9_4plusIvEENS9_8equal_toIvEEjEE10hipError_tPvRmT2_T3_T4_T5_mT6_T7_P12ihipStream_tbENKUlT_T0_E_clISt17integral_constantIbLb0EES10_IbLb1EEEEDaSW_SX_EUlSW_E_NS1_11comp_targetILNS1_3genE10ELNS1_11target_archE1201ELNS1_3gpuE5ELNS1_3repE0EEENS1_30default_config_static_selectorELNS0_4arch9wavefront6targetE0EEEvT1_,"axG",@progbits,_ZN7rocprim17ROCPRIM_400000_NS6detail17trampoline_kernelINS0_14default_configENS1_27scan_by_key_config_selectorIijEEZZNS1_16scan_by_key_implILNS1_25lookback_scan_determinismE0ELb0ES3_N6thrust23THRUST_200600_302600_NS6detail15normal_iteratorINS9_10device_ptrIiEEEENSB_INSC_IjEEEESG_jNS9_4plusIvEENS9_8equal_toIvEEjEE10hipError_tPvRmT2_T3_T4_T5_mT6_T7_P12ihipStream_tbENKUlT_T0_E_clISt17integral_constantIbLb0EES10_IbLb1EEEEDaSW_SX_EUlSW_E_NS1_11comp_targetILNS1_3genE10ELNS1_11target_archE1201ELNS1_3gpuE5ELNS1_3repE0EEENS1_30default_config_static_selectorELNS0_4arch9wavefront6targetE0EEEvT1_,comdat
	.protected	_ZN7rocprim17ROCPRIM_400000_NS6detail17trampoline_kernelINS0_14default_configENS1_27scan_by_key_config_selectorIijEEZZNS1_16scan_by_key_implILNS1_25lookback_scan_determinismE0ELb0ES3_N6thrust23THRUST_200600_302600_NS6detail15normal_iteratorINS9_10device_ptrIiEEEENSB_INSC_IjEEEESG_jNS9_4plusIvEENS9_8equal_toIvEEjEE10hipError_tPvRmT2_T3_T4_T5_mT6_T7_P12ihipStream_tbENKUlT_T0_E_clISt17integral_constantIbLb0EES10_IbLb1EEEEDaSW_SX_EUlSW_E_NS1_11comp_targetILNS1_3genE10ELNS1_11target_archE1201ELNS1_3gpuE5ELNS1_3repE0EEENS1_30default_config_static_selectorELNS0_4arch9wavefront6targetE0EEEvT1_ ; -- Begin function _ZN7rocprim17ROCPRIM_400000_NS6detail17trampoline_kernelINS0_14default_configENS1_27scan_by_key_config_selectorIijEEZZNS1_16scan_by_key_implILNS1_25lookback_scan_determinismE0ELb0ES3_N6thrust23THRUST_200600_302600_NS6detail15normal_iteratorINS9_10device_ptrIiEEEENSB_INSC_IjEEEESG_jNS9_4plusIvEENS9_8equal_toIvEEjEE10hipError_tPvRmT2_T3_T4_T5_mT6_T7_P12ihipStream_tbENKUlT_T0_E_clISt17integral_constantIbLb0EES10_IbLb1EEEEDaSW_SX_EUlSW_E_NS1_11comp_targetILNS1_3genE10ELNS1_11target_archE1201ELNS1_3gpuE5ELNS1_3repE0EEENS1_30default_config_static_selectorELNS0_4arch9wavefront6targetE0EEEvT1_
	.globl	_ZN7rocprim17ROCPRIM_400000_NS6detail17trampoline_kernelINS0_14default_configENS1_27scan_by_key_config_selectorIijEEZZNS1_16scan_by_key_implILNS1_25lookback_scan_determinismE0ELb0ES3_N6thrust23THRUST_200600_302600_NS6detail15normal_iteratorINS9_10device_ptrIiEEEENSB_INSC_IjEEEESG_jNS9_4plusIvEENS9_8equal_toIvEEjEE10hipError_tPvRmT2_T3_T4_T5_mT6_T7_P12ihipStream_tbENKUlT_T0_E_clISt17integral_constantIbLb0EES10_IbLb1EEEEDaSW_SX_EUlSW_E_NS1_11comp_targetILNS1_3genE10ELNS1_11target_archE1201ELNS1_3gpuE5ELNS1_3repE0EEENS1_30default_config_static_selectorELNS0_4arch9wavefront6targetE0EEEvT1_
	.p2align	8
	.type	_ZN7rocprim17ROCPRIM_400000_NS6detail17trampoline_kernelINS0_14default_configENS1_27scan_by_key_config_selectorIijEEZZNS1_16scan_by_key_implILNS1_25lookback_scan_determinismE0ELb0ES3_N6thrust23THRUST_200600_302600_NS6detail15normal_iteratorINS9_10device_ptrIiEEEENSB_INSC_IjEEEESG_jNS9_4plusIvEENS9_8equal_toIvEEjEE10hipError_tPvRmT2_T3_T4_T5_mT6_T7_P12ihipStream_tbENKUlT_T0_E_clISt17integral_constantIbLb0EES10_IbLb1EEEEDaSW_SX_EUlSW_E_NS1_11comp_targetILNS1_3genE10ELNS1_11target_archE1201ELNS1_3gpuE5ELNS1_3repE0EEENS1_30default_config_static_selectorELNS0_4arch9wavefront6targetE0EEEvT1_,@function
_ZN7rocprim17ROCPRIM_400000_NS6detail17trampoline_kernelINS0_14default_configENS1_27scan_by_key_config_selectorIijEEZZNS1_16scan_by_key_implILNS1_25lookback_scan_determinismE0ELb0ES3_N6thrust23THRUST_200600_302600_NS6detail15normal_iteratorINS9_10device_ptrIiEEEENSB_INSC_IjEEEESG_jNS9_4plusIvEENS9_8equal_toIvEEjEE10hipError_tPvRmT2_T3_T4_T5_mT6_T7_P12ihipStream_tbENKUlT_T0_E_clISt17integral_constantIbLb0EES10_IbLb1EEEEDaSW_SX_EUlSW_E_NS1_11comp_targetILNS1_3genE10ELNS1_11target_archE1201ELNS1_3gpuE5ELNS1_3repE0EEENS1_30default_config_static_selectorELNS0_4arch9wavefront6targetE0EEEvT1_: ; @_ZN7rocprim17ROCPRIM_400000_NS6detail17trampoline_kernelINS0_14default_configENS1_27scan_by_key_config_selectorIijEEZZNS1_16scan_by_key_implILNS1_25lookback_scan_determinismE0ELb0ES3_N6thrust23THRUST_200600_302600_NS6detail15normal_iteratorINS9_10device_ptrIiEEEENSB_INSC_IjEEEESG_jNS9_4plusIvEENS9_8equal_toIvEEjEE10hipError_tPvRmT2_T3_T4_T5_mT6_T7_P12ihipStream_tbENKUlT_T0_E_clISt17integral_constantIbLb0EES10_IbLb1EEEEDaSW_SX_EUlSW_E_NS1_11comp_targetILNS1_3genE10ELNS1_11target_archE1201ELNS1_3gpuE5ELNS1_3repE0EEENS1_30default_config_static_selectorELNS0_4arch9wavefront6targetE0EEEvT1_
; %bb.0:
	.section	.rodata,"a",@progbits
	.p2align	6, 0x0
	.amdhsa_kernel _ZN7rocprim17ROCPRIM_400000_NS6detail17trampoline_kernelINS0_14default_configENS1_27scan_by_key_config_selectorIijEEZZNS1_16scan_by_key_implILNS1_25lookback_scan_determinismE0ELb0ES3_N6thrust23THRUST_200600_302600_NS6detail15normal_iteratorINS9_10device_ptrIiEEEENSB_INSC_IjEEEESG_jNS9_4plusIvEENS9_8equal_toIvEEjEE10hipError_tPvRmT2_T3_T4_T5_mT6_T7_P12ihipStream_tbENKUlT_T0_E_clISt17integral_constantIbLb0EES10_IbLb1EEEEDaSW_SX_EUlSW_E_NS1_11comp_targetILNS1_3genE10ELNS1_11target_archE1201ELNS1_3gpuE5ELNS1_3repE0EEENS1_30default_config_static_selectorELNS0_4arch9wavefront6targetE0EEEvT1_
		.amdhsa_group_segment_fixed_size 0
		.amdhsa_private_segment_fixed_size 0
		.amdhsa_kernarg_size 112
		.amdhsa_user_sgpr_count 2
		.amdhsa_user_sgpr_dispatch_ptr 0
		.amdhsa_user_sgpr_queue_ptr 0
		.amdhsa_user_sgpr_kernarg_segment_ptr 1
		.amdhsa_user_sgpr_dispatch_id 0
		.amdhsa_user_sgpr_kernarg_preload_length 0
		.amdhsa_user_sgpr_kernarg_preload_offset 0
		.amdhsa_user_sgpr_private_segment_size 0
		.amdhsa_wavefront_size32 1
		.amdhsa_uses_dynamic_stack 0
		.amdhsa_enable_private_segment 0
		.amdhsa_system_sgpr_workgroup_id_x 1
		.amdhsa_system_sgpr_workgroup_id_y 0
		.amdhsa_system_sgpr_workgroup_id_z 0
		.amdhsa_system_sgpr_workgroup_info 0
		.amdhsa_system_vgpr_workitem_id 0
		.amdhsa_next_free_vgpr 1
		.amdhsa_next_free_sgpr 1
		.amdhsa_named_barrier_count 0
		.amdhsa_reserve_vcc 0
		.amdhsa_float_round_mode_32 0
		.amdhsa_float_round_mode_16_64 0
		.amdhsa_float_denorm_mode_32 3
		.amdhsa_float_denorm_mode_16_64 3
		.amdhsa_fp16_overflow 0
		.amdhsa_memory_ordered 1
		.amdhsa_forward_progress 1
		.amdhsa_inst_pref_size 0
		.amdhsa_round_robin_scheduling 0
		.amdhsa_exception_fp_ieee_invalid_op 0
		.amdhsa_exception_fp_denorm_src 0
		.amdhsa_exception_fp_ieee_div_zero 0
		.amdhsa_exception_fp_ieee_overflow 0
		.amdhsa_exception_fp_ieee_underflow 0
		.amdhsa_exception_fp_ieee_inexact 0
		.amdhsa_exception_int_div_zero 0
	.end_amdhsa_kernel
	.section	.text._ZN7rocprim17ROCPRIM_400000_NS6detail17trampoline_kernelINS0_14default_configENS1_27scan_by_key_config_selectorIijEEZZNS1_16scan_by_key_implILNS1_25lookback_scan_determinismE0ELb0ES3_N6thrust23THRUST_200600_302600_NS6detail15normal_iteratorINS9_10device_ptrIiEEEENSB_INSC_IjEEEESG_jNS9_4plusIvEENS9_8equal_toIvEEjEE10hipError_tPvRmT2_T3_T4_T5_mT6_T7_P12ihipStream_tbENKUlT_T0_E_clISt17integral_constantIbLb0EES10_IbLb1EEEEDaSW_SX_EUlSW_E_NS1_11comp_targetILNS1_3genE10ELNS1_11target_archE1201ELNS1_3gpuE5ELNS1_3repE0EEENS1_30default_config_static_selectorELNS0_4arch9wavefront6targetE0EEEvT1_,"axG",@progbits,_ZN7rocprim17ROCPRIM_400000_NS6detail17trampoline_kernelINS0_14default_configENS1_27scan_by_key_config_selectorIijEEZZNS1_16scan_by_key_implILNS1_25lookback_scan_determinismE0ELb0ES3_N6thrust23THRUST_200600_302600_NS6detail15normal_iteratorINS9_10device_ptrIiEEEENSB_INSC_IjEEEESG_jNS9_4plusIvEENS9_8equal_toIvEEjEE10hipError_tPvRmT2_T3_T4_T5_mT6_T7_P12ihipStream_tbENKUlT_T0_E_clISt17integral_constantIbLb0EES10_IbLb1EEEEDaSW_SX_EUlSW_E_NS1_11comp_targetILNS1_3genE10ELNS1_11target_archE1201ELNS1_3gpuE5ELNS1_3repE0EEENS1_30default_config_static_selectorELNS0_4arch9wavefront6targetE0EEEvT1_,comdat
.Lfunc_end1255:
	.size	_ZN7rocprim17ROCPRIM_400000_NS6detail17trampoline_kernelINS0_14default_configENS1_27scan_by_key_config_selectorIijEEZZNS1_16scan_by_key_implILNS1_25lookback_scan_determinismE0ELb0ES3_N6thrust23THRUST_200600_302600_NS6detail15normal_iteratorINS9_10device_ptrIiEEEENSB_INSC_IjEEEESG_jNS9_4plusIvEENS9_8equal_toIvEEjEE10hipError_tPvRmT2_T3_T4_T5_mT6_T7_P12ihipStream_tbENKUlT_T0_E_clISt17integral_constantIbLb0EES10_IbLb1EEEEDaSW_SX_EUlSW_E_NS1_11comp_targetILNS1_3genE10ELNS1_11target_archE1201ELNS1_3gpuE5ELNS1_3repE0EEENS1_30default_config_static_selectorELNS0_4arch9wavefront6targetE0EEEvT1_, .Lfunc_end1255-_ZN7rocprim17ROCPRIM_400000_NS6detail17trampoline_kernelINS0_14default_configENS1_27scan_by_key_config_selectorIijEEZZNS1_16scan_by_key_implILNS1_25lookback_scan_determinismE0ELb0ES3_N6thrust23THRUST_200600_302600_NS6detail15normal_iteratorINS9_10device_ptrIiEEEENSB_INSC_IjEEEESG_jNS9_4plusIvEENS9_8equal_toIvEEjEE10hipError_tPvRmT2_T3_T4_T5_mT6_T7_P12ihipStream_tbENKUlT_T0_E_clISt17integral_constantIbLb0EES10_IbLb1EEEEDaSW_SX_EUlSW_E_NS1_11comp_targetILNS1_3genE10ELNS1_11target_archE1201ELNS1_3gpuE5ELNS1_3repE0EEENS1_30default_config_static_selectorELNS0_4arch9wavefront6targetE0EEEvT1_
                                        ; -- End function
	.set _ZN7rocprim17ROCPRIM_400000_NS6detail17trampoline_kernelINS0_14default_configENS1_27scan_by_key_config_selectorIijEEZZNS1_16scan_by_key_implILNS1_25lookback_scan_determinismE0ELb0ES3_N6thrust23THRUST_200600_302600_NS6detail15normal_iteratorINS9_10device_ptrIiEEEENSB_INSC_IjEEEESG_jNS9_4plusIvEENS9_8equal_toIvEEjEE10hipError_tPvRmT2_T3_T4_T5_mT6_T7_P12ihipStream_tbENKUlT_T0_E_clISt17integral_constantIbLb0EES10_IbLb1EEEEDaSW_SX_EUlSW_E_NS1_11comp_targetILNS1_3genE10ELNS1_11target_archE1201ELNS1_3gpuE5ELNS1_3repE0EEENS1_30default_config_static_selectorELNS0_4arch9wavefront6targetE0EEEvT1_.num_vgpr, 0
	.set _ZN7rocprim17ROCPRIM_400000_NS6detail17trampoline_kernelINS0_14default_configENS1_27scan_by_key_config_selectorIijEEZZNS1_16scan_by_key_implILNS1_25lookback_scan_determinismE0ELb0ES3_N6thrust23THRUST_200600_302600_NS6detail15normal_iteratorINS9_10device_ptrIiEEEENSB_INSC_IjEEEESG_jNS9_4plusIvEENS9_8equal_toIvEEjEE10hipError_tPvRmT2_T3_T4_T5_mT6_T7_P12ihipStream_tbENKUlT_T0_E_clISt17integral_constantIbLb0EES10_IbLb1EEEEDaSW_SX_EUlSW_E_NS1_11comp_targetILNS1_3genE10ELNS1_11target_archE1201ELNS1_3gpuE5ELNS1_3repE0EEENS1_30default_config_static_selectorELNS0_4arch9wavefront6targetE0EEEvT1_.num_agpr, 0
	.set _ZN7rocprim17ROCPRIM_400000_NS6detail17trampoline_kernelINS0_14default_configENS1_27scan_by_key_config_selectorIijEEZZNS1_16scan_by_key_implILNS1_25lookback_scan_determinismE0ELb0ES3_N6thrust23THRUST_200600_302600_NS6detail15normal_iteratorINS9_10device_ptrIiEEEENSB_INSC_IjEEEESG_jNS9_4plusIvEENS9_8equal_toIvEEjEE10hipError_tPvRmT2_T3_T4_T5_mT6_T7_P12ihipStream_tbENKUlT_T0_E_clISt17integral_constantIbLb0EES10_IbLb1EEEEDaSW_SX_EUlSW_E_NS1_11comp_targetILNS1_3genE10ELNS1_11target_archE1201ELNS1_3gpuE5ELNS1_3repE0EEENS1_30default_config_static_selectorELNS0_4arch9wavefront6targetE0EEEvT1_.numbered_sgpr, 0
	.set _ZN7rocprim17ROCPRIM_400000_NS6detail17trampoline_kernelINS0_14default_configENS1_27scan_by_key_config_selectorIijEEZZNS1_16scan_by_key_implILNS1_25lookback_scan_determinismE0ELb0ES3_N6thrust23THRUST_200600_302600_NS6detail15normal_iteratorINS9_10device_ptrIiEEEENSB_INSC_IjEEEESG_jNS9_4plusIvEENS9_8equal_toIvEEjEE10hipError_tPvRmT2_T3_T4_T5_mT6_T7_P12ihipStream_tbENKUlT_T0_E_clISt17integral_constantIbLb0EES10_IbLb1EEEEDaSW_SX_EUlSW_E_NS1_11comp_targetILNS1_3genE10ELNS1_11target_archE1201ELNS1_3gpuE5ELNS1_3repE0EEENS1_30default_config_static_selectorELNS0_4arch9wavefront6targetE0EEEvT1_.num_named_barrier, 0
	.set _ZN7rocprim17ROCPRIM_400000_NS6detail17trampoline_kernelINS0_14default_configENS1_27scan_by_key_config_selectorIijEEZZNS1_16scan_by_key_implILNS1_25lookback_scan_determinismE0ELb0ES3_N6thrust23THRUST_200600_302600_NS6detail15normal_iteratorINS9_10device_ptrIiEEEENSB_INSC_IjEEEESG_jNS9_4plusIvEENS9_8equal_toIvEEjEE10hipError_tPvRmT2_T3_T4_T5_mT6_T7_P12ihipStream_tbENKUlT_T0_E_clISt17integral_constantIbLb0EES10_IbLb1EEEEDaSW_SX_EUlSW_E_NS1_11comp_targetILNS1_3genE10ELNS1_11target_archE1201ELNS1_3gpuE5ELNS1_3repE0EEENS1_30default_config_static_selectorELNS0_4arch9wavefront6targetE0EEEvT1_.private_seg_size, 0
	.set _ZN7rocprim17ROCPRIM_400000_NS6detail17trampoline_kernelINS0_14default_configENS1_27scan_by_key_config_selectorIijEEZZNS1_16scan_by_key_implILNS1_25lookback_scan_determinismE0ELb0ES3_N6thrust23THRUST_200600_302600_NS6detail15normal_iteratorINS9_10device_ptrIiEEEENSB_INSC_IjEEEESG_jNS9_4plusIvEENS9_8equal_toIvEEjEE10hipError_tPvRmT2_T3_T4_T5_mT6_T7_P12ihipStream_tbENKUlT_T0_E_clISt17integral_constantIbLb0EES10_IbLb1EEEEDaSW_SX_EUlSW_E_NS1_11comp_targetILNS1_3genE10ELNS1_11target_archE1201ELNS1_3gpuE5ELNS1_3repE0EEENS1_30default_config_static_selectorELNS0_4arch9wavefront6targetE0EEEvT1_.uses_vcc, 0
	.set _ZN7rocprim17ROCPRIM_400000_NS6detail17trampoline_kernelINS0_14default_configENS1_27scan_by_key_config_selectorIijEEZZNS1_16scan_by_key_implILNS1_25lookback_scan_determinismE0ELb0ES3_N6thrust23THRUST_200600_302600_NS6detail15normal_iteratorINS9_10device_ptrIiEEEENSB_INSC_IjEEEESG_jNS9_4plusIvEENS9_8equal_toIvEEjEE10hipError_tPvRmT2_T3_T4_T5_mT6_T7_P12ihipStream_tbENKUlT_T0_E_clISt17integral_constantIbLb0EES10_IbLb1EEEEDaSW_SX_EUlSW_E_NS1_11comp_targetILNS1_3genE10ELNS1_11target_archE1201ELNS1_3gpuE5ELNS1_3repE0EEENS1_30default_config_static_selectorELNS0_4arch9wavefront6targetE0EEEvT1_.uses_flat_scratch, 0
	.set _ZN7rocprim17ROCPRIM_400000_NS6detail17trampoline_kernelINS0_14default_configENS1_27scan_by_key_config_selectorIijEEZZNS1_16scan_by_key_implILNS1_25lookback_scan_determinismE0ELb0ES3_N6thrust23THRUST_200600_302600_NS6detail15normal_iteratorINS9_10device_ptrIiEEEENSB_INSC_IjEEEESG_jNS9_4plusIvEENS9_8equal_toIvEEjEE10hipError_tPvRmT2_T3_T4_T5_mT6_T7_P12ihipStream_tbENKUlT_T0_E_clISt17integral_constantIbLb0EES10_IbLb1EEEEDaSW_SX_EUlSW_E_NS1_11comp_targetILNS1_3genE10ELNS1_11target_archE1201ELNS1_3gpuE5ELNS1_3repE0EEENS1_30default_config_static_selectorELNS0_4arch9wavefront6targetE0EEEvT1_.has_dyn_sized_stack, 0
	.set _ZN7rocprim17ROCPRIM_400000_NS6detail17trampoline_kernelINS0_14default_configENS1_27scan_by_key_config_selectorIijEEZZNS1_16scan_by_key_implILNS1_25lookback_scan_determinismE0ELb0ES3_N6thrust23THRUST_200600_302600_NS6detail15normal_iteratorINS9_10device_ptrIiEEEENSB_INSC_IjEEEESG_jNS9_4plusIvEENS9_8equal_toIvEEjEE10hipError_tPvRmT2_T3_T4_T5_mT6_T7_P12ihipStream_tbENKUlT_T0_E_clISt17integral_constantIbLb0EES10_IbLb1EEEEDaSW_SX_EUlSW_E_NS1_11comp_targetILNS1_3genE10ELNS1_11target_archE1201ELNS1_3gpuE5ELNS1_3repE0EEENS1_30default_config_static_selectorELNS0_4arch9wavefront6targetE0EEEvT1_.has_recursion, 0
	.set _ZN7rocprim17ROCPRIM_400000_NS6detail17trampoline_kernelINS0_14default_configENS1_27scan_by_key_config_selectorIijEEZZNS1_16scan_by_key_implILNS1_25lookback_scan_determinismE0ELb0ES3_N6thrust23THRUST_200600_302600_NS6detail15normal_iteratorINS9_10device_ptrIiEEEENSB_INSC_IjEEEESG_jNS9_4plusIvEENS9_8equal_toIvEEjEE10hipError_tPvRmT2_T3_T4_T5_mT6_T7_P12ihipStream_tbENKUlT_T0_E_clISt17integral_constantIbLb0EES10_IbLb1EEEEDaSW_SX_EUlSW_E_NS1_11comp_targetILNS1_3genE10ELNS1_11target_archE1201ELNS1_3gpuE5ELNS1_3repE0EEENS1_30default_config_static_selectorELNS0_4arch9wavefront6targetE0EEEvT1_.has_indirect_call, 0
	.section	.AMDGPU.csdata,"",@progbits
; Kernel info:
; codeLenInByte = 0
; TotalNumSgprs: 0
; NumVgprs: 0
; ScratchSize: 0
; MemoryBound: 0
; FloatMode: 240
; IeeeMode: 1
; LDSByteSize: 0 bytes/workgroup (compile time only)
; SGPRBlocks: 0
; VGPRBlocks: 0
; NumSGPRsForWavesPerEU: 1
; NumVGPRsForWavesPerEU: 1
; NamedBarCnt: 0
; Occupancy: 16
; WaveLimiterHint : 0
; COMPUTE_PGM_RSRC2:SCRATCH_EN: 0
; COMPUTE_PGM_RSRC2:USER_SGPR: 2
; COMPUTE_PGM_RSRC2:TRAP_HANDLER: 0
; COMPUTE_PGM_RSRC2:TGID_X_EN: 1
; COMPUTE_PGM_RSRC2:TGID_Y_EN: 0
; COMPUTE_PGM_RSRC2:TGID_Z_EN: 0
; COMPUTE_PGM_RSRC2:TIDIG_COMP_CNT: 0
	.section	.text._ZN7rocprim17ROCPRIM_400000_NS6detail17trampoline_kernelINS0_14default_configENS1_27scan_by_key_config_selectorIijEEZZNS1_16scan_by_key_implILNS1_25lookback_scan_determinismE0ELb0ES3_N6thrust23THRUST_200600_302600_NS6detail15normal_iteratorINS9_10device_ptrIiEEEENSB_INSC_IjEEEESG_jNS9_4plusIvEENS9_8equal_toIvEEjEE10hipError_tPvRmT2_T3_T4_T5_mT6_T7_P12ihipStream_tbENKUlT_T0_E_clISt17integral_constantIbLb0EES10_IbLb1EEEEDaSW_SX_EUlSW_E_NS1_11comp_targetILNS1_3genE5ELNS1_11target_archE942ELNS1_3gpuE9ELNS1_3repE0EEENS1_30default_config_static_selectorELNS0_4arch9wavefront6targetE0EEEvT1_,"axG",@progbits,_ZN7rocprim17ROCPRIM_400000_NS6detail17trampoline_kernelINS0_14default_configENS1_27scan_by_key_config_selectorIijEEZZNS1_16scan_by_key_implILNS1_25lookback_scan_determinismE0ELb0ES3_N6thrust23THRUST_200600_302600_NS6detail15normal_iteratorINS9_10device_ptrIiEEEENSB_INSC_IjEEEESG_jNS9_4plusIvEENS9_8equal_toIvEEjEE10hipError_tPvRmT2_T3_T4_T5_mT6_T7_P12ihipStream_tbENKUlT_T0_E_clISt17integral_constantIbLb0EES10_IbLb1EEEEDaSW_SX_EUlSW_E_NS1_11comp_targetILNS1_3genE5ELNS1_11target_archE942ELNS1_3gpuE9ELNS1_3repE0EEENS1_30default_config_static_selectorELNS0_4arch9wavefront6targetE0EEEvT1_,comdat
	.protected	_ZN7rocprim17ROCPRIM_400000_NS6detail17trampoline_kernelINS0_14default_configENS1_27scan_by_key_config_selectorIijEEZZNS1_16scan_by_key_implILNS1_25lookback_scan_determinismE0ELb0ES3_N6thrust23THRUST_200600_302600_NS6detail15normal_iteratorINS9_10device_ptrIiEEEENSB_INSC_IjEEEESG_jNS9_4plusIvEENS9_8equal_toIvEEjEE10hipError_tPvRmT2_T3_T4_T5_mT6_T7_P12ihipStream_tbENKUlT_T0_E_clISt17integral_constantIbLb0EES10_IbLb1EEEEDaSW_SX_EUlSW_E_NS1_11comp_targetILNS1_3genE5ELNS1_11target_archE942ELNS1_3gpuE9ELNS1_3repE0EEENS1_30default_config_static_selectorELNS0_4arch9wavefront6targetE0EEEvT1_ ; -- Begin function _ZN7rocprim17ROCPRIM_400000_NS6detail17trampoline_kernelINS0_14default_configENS1_27scan_by_key_config_selectorIijEEZZNS1_16scan_by_key_implILNS1_25lookback_scan_determinismE0ELb0ES3_N6thrust23THRUST_200600_302600_NS6detail15normal_iteratorINS9_10device_ptrIiEEEENSB_INSC_IjEEEESG_jNS9_4plusIvEENS9_8equal_toIvEEjEE10hipError_tPvRmT2_T3_T4_T5_mT6_T7_P12ihipStream_tbENKUlT_T0_E_clISt17integral_constantIbLb0EES10_IbLb1EEEEDaSW_SX_EUlSW_E_NS1_11comp_targetILNS1_3genE5ELNS1_11target_archE942ELNS1_3gpuE9ELNS1_3repE0EEENS1_30default_config_static_selectorELNS0_4arch9wavefront6targetE0EEEvT1_
	.globl	_ZN7rocprim17ROCPRIM_400000_NS6detail17trampoline_kernelINS0_14default_configENS1_27scan_by_key_config_selectorIijEEZZNS1_16scan_by_key_implILNS1_25lookback_scan_determinismE0ELb0ES3_N6thrust23THRUST_200600_302600_NS6detail15normal_iteratorINS9_10device_ptrIiEEEENSB_INSC_IjEEEESG_jNS9_4plusIvEENS9_8equal_toIvEEjEE10hipError_tPvRmT2_T3_T4_T5_mT6_T7_P12ihipStream_tbENKUlT_T0_E_clISt17integral_constantIbLb0EES10_IbLb1EEEEDaSW_SX_EUlSW_E_NS1_11comp_targetILNS1_3genE5ELNS1_11target_archE942ELNS1_3gpuE9ELNS1_3repE0EEENS1_30default_config_static_selectorELNS0_4arch9wavefront6targetE0EEEvT1_
	.p2align	8
	.type	_ZN7rocprim17ROCPRIM_400000_NS6detail17trampoline_kernelINS0_14default_configENS1_27scan_by_key_config_selectorIijEEZZNS1_16scan_by_key_implILNS1_25lookback_scan_determinismE0ELb0ES3_N6thrust23THRUST_200600_302600_NS6detail15normal_iteratorINS9_10device_ptrIiEEEENSB_INSC_IjEEEESG_jNS9_4plusIvEENS9_8equal_toIvEEjEE10hipError_tPvRmT2_T3_T4_T5_mT6_T7_P12ihipStream_tbENKUlT_T0_E_clISt17integral_constantIbLb0EES10_IbLb1EEEEDaSW_SX_EUlSW_E_NS1_11comp_targetILNS1_3genE5ELNS1_11target_archE942ELNS1_3gpuE9ELNS1_3repE0EEENS1_30default_config_static_selectorELNS0_4arch9wavefront6targetE0EEEvT1_,@function
_ZN7rocprim17ROCPRIM_400000_NS6detail17trampoline_kernelINS0_14default_configENS1_27scan_by_key_config_selectorIijEEZZNS1_16scan_by_key_implILNS1_25lookback_scan_determinismE0ELb0ES3_N6thrust23THRUST_200600_302600_NS6detail15normal_iteratorINS9_10device_ptrIiEEEENSB_INSC_IjEEEESG_jNS9_4plusIvEENS9_8equal_toIvEEjEE10hipError_tPvRmT2_T3_T4_T5_mT6_T7_P12ihipStream_tbENKUlT_T0_E_clISt17integral_constantIbLb0EES10_IbLb1EEEEDaSW_SX_EUlSW_E_NS1_11comp_targetILNS1_3genE5ELNS1_11target_archE942ELNS1_3gpuE9ELNS1_3repE0EEENS1_30default_config_static_selectorELNS0_4arch9wavefront6targetE0EEEvT1_: ; @_ZN7rocprim17ROCPRIM_400000_NS6detail17trampoline_kernelINS0_14default_configENS1_27scan_by_key_config_selectorIijEEZZNS1_16scan_by_key_implILNS1_25lookback_scan_determinismE0ELb0ES3_N6thrust23THRUST_200600_302600_NS6detail15normal_iteratorINS9_10device_ptrIiEEEENSB_INSC_IjEEEESG_jNS9_4plusIvEENS9_8equal_toIvEEjEE10hipError_tPvRmT2_T3_T4_T5_mT6_T7_P12ihipStream_tbENKUlT_T0_E_clISt17integral_constantIbLb0EES10_IbLb1EEEEDaSW_SX_EUlSW_E_NS1_11comp_targetILNS1_3genE5ELNS1_11target_archE942ELNS1_3gpuE9ELNS1_3repE0EEENS1_30default_config_static_selectorELNS0_4arch9wavefront6targetE0EEEvT1_
; %bb.0:
	.section	.rodata,"a",@progbits
	.p2align	6, 0x0
	.amdhsa_kernel _ZN7rocprim17ROCPRIM_400000_NS6detail17trampoline_kernelINS0_14default_configENS1_27scan_by_key_config_selectorIijEEZZNS1_16scan_by_key_implILNS1_25lookback_scan_determinismE0ELb0ES3_N6thrust23THRUST_200600_302600_NS6detail15normal_iteratorINS9_10device_ptrIiEEEENSB_INSC_IjEEEESG_jNS9_4plusIvEENS9_8equal_toIvEEjEE10hipError_tPvRmT2_T3_T4_T5_mT6_T7_P12ihipStream_tbENKUlT_T0_E_clISt17integral_constantIbLb0EES10_IbLb1EEEEDaSW_SX_EUlSW_E_NS1_11comp_targetILNS1_3genE5ELNS1_11target_archE942ELNS1_3gpuE9ELNS1_3repE0EEENS1_30default_config_static_selectorELNS0_4arch9wavefront6targetE0EEEvT1_
		.amdhsa_group_segment_fixed_size 0
		.amdhsa_private_segment_fixed_size 0
		.amdhsa_kernarg_size 112
		.amdhsa_user_sgpr_count 2
		.amdhsa_user_sgpr_dispatch_ptr 0
		.amdhsa_user_sgpr_queue_ptr 0
		.amdhsa_user_sgpr_kernarg_segment_ptr 1
		.amdhsa_user_sgpr_dispatch_id 0
		.amdhsa_user_sgpr_kernarg_preload_length 0
		.amdhsa_user_sgpr_kernarg_preload_offset 0
		.amdhsa_user_sgpr_private_segment_size 0
		.amdhsa_wavefront_size32 1
		.amdhsa_uses_dynamic_stack 0
		.amdhsa_enable_private_segment 0
		.amdhsa_system_sgpr_workgroup_id_x 1
		.amdhsa_system_sgpr_workgroup_id_y 0
		.amdhsa_system_sgpr_workgroup_id_z 0
		.amdhsa_system_sgpr_workgroup_info 0
		.amdhsa_system_vgpr_workitem_id 0
		.amdhsa_next_free_vgpr 1
		.amdhsa_next_free_sgpr 1
		.amdhsa_named_barrier_count 0
		.amdhsa_reserve_vcc 0
		.amdhsa_float_round_mode_32 0
		.amdhsa_float_round_mode_16_64 0
		.amdhsa_float_denorm_mode_32 3
		.amdhsa_float_denorm_mode_16_64 3
		.amdhsa_fp16_overflow 0
		.amdhsa_memory_ordered 1
		.amdhsa_forward_progress 1
		.amdhsa_inst_pref_size 0
		.amdhsa_round_robin_scheduling 0
		.amdhsa_exception_fp_ieee_invalid_op 0
		.amdhsa_exception_fp_denorm_src 0
		.amdhsa_exception_fp_ieee_div_zero 0
		.amdhsa_exception_fp_ieee_overflow 0
		.amdhsa_exception_fp_ieee_underflow 0
		.amdhsa_exception_fp_ieee_inexact 0
		.amdhsa_exception_int_div_zero 0
	.end_amdhsa_kernel
	.section	.text._ZN7rocprim17ROCPRIM_400000_NS6detail17trampoline_kernelINS0_14default_configENS1_27scan_by_key_config_selectorIijEEZZNS1_16scan_by_key_implILNS1_25lookback_scan_determinismE0ELb0ES3_N6thrust23THRUST_200600_302600_NS6detail15normal_iteratorINS9_10device_ptrIiEEEENSB_INSC_IjEEEESG_jNS9_4plusIvEENS9_8equal_toIvEEjEE10hipError_tPvRmT2_T3_T4_T5_mT6_T7_P12ihipStream_tbENKUlT_T0_E_clISt17integral_constantIbLb0EES10_IbLb1EEEEDaSW_SX_EUlSW_E_NS1_11comp_targetILNS1_3genE5ELNS1_11target_archE942ELNS1_3gpuE9ELNS1_3repE0EEENS1_30default_config_static_selectorELNS0_4arch9wavefront6targetE0EEEvT1_,"axG",@progbits,_ZN7rocprim17ROCPRIM_400000_NS6detail17trampoline_kernelINS0_14default_configENS1_27scan_by_key_config_selectorIijEEZZNS1_16scan_by_key_implILNS1_25lookback_scan_determinismE0ELb0ES3_N6thrust23THRUST_200600_302600_NS6detail15normal_iteratorINS9_10device_ptrIiEEEENSB_INSC_IjEEEESG_jNS9_4plusIvEENS9_8equal_toIvEEjEE10hipError_tPvRmT2_T3_T4_T5_mT6_T7_P12ihipStream_tbENKUlT_T0_E_clISt17integral_constantIbLb0EES10_IbLb1EEEEDaSW_SX_EUlSW_E_NS1_11comp_targetILNS1_3genE5ELNS1_11target_archE942ELNS1_3gpuE9ELNS1_3repE0EEENS1_30default_config_static_selectorELNS0_4arch9wavefront6targetE0EEEvT1_,comdat
.Lfunc_end1256:
	.size	_ZN7rocprim17ROCPRIM_400000_NS6detail17trampoline_kernelINS0_14default_configENS1_27scan_by_key_config_selectorIijEEZZNS1_16scan_by_key_implILNS1_25lookback_scan_determinismE0ELb0ES3_N6thrust23THRUST_200600_302600_NS6detail15normal_iteratorINS9_10device_ptrIiEEEENSB_INSC_IjEEEESG_jNS9_4plusIvEENS9_8equal_toIvEEjEE10hipError_tPvRmT2_T3_T4_T5_mT6_T7_P12ihipStream_tbENKUlT_T0_E_clISt17integral_constantIbLb0EES10_IbLb1EEEEDaSW_SX_EUlSW_E_NS1_11comp_targetILNS1_3genE5ELNS1_11target_archE942ELNS1_3gpuE9ELNS1_3repE0EEENS1_30default_config_static_selectorELNS0_4arch9wavefront6targetE0EEEvT1_, .Lfunc_end1256-_ZN7rocprim17ROCPRIM_400000_NS6detail17trampoline_kernelINS0_14default_configENS1_27scan_by_key_config_selectorIijEEZZNS1_16scan_by_key_implILNS1_25lookback_scan_determinismE0ELb0ES3_N6thrust23THRUST_200600_302600_NS6detail15normal_iteratorINS9_10device_ptrIiEEEENSB_INSC_IjEEEESG_jNS9_4plusIvEENS9_8equal_toIvEEjEE10hipError_tPvRmT2_T3_T4_T5_mT6_T7_P12ihipStream_tbENKUlT_T0_E_clISt17integral_constantIbLb0EES10_IbLb1EEEEDaSW_SX_EUlSW_E_NS1_11comp_targetILNS1_3genE5ELNS1_11target_archE942ELNS1_3gpuE9ELNS1_3repE0EEENS1_30default_config_static_selectorELNS0_4arch9wavefront6targetE0EEEvT1_
                                        ; -- End function
	.set _ZN7rocprim17ROCPRIM_400000_NS6detail17trampoline_kernelINS0_14default_configENS1_27scan_by_key_config_selectorIijEEZZNS1_16scan_by_key_implILNS1_25lookback_scan_determinismE0ELb0ES3_N6thrust23THRUST_200600_302600_NS6detail15normal_iteratorINS9_10device_ptrIiEEEENSB_INSC_IjEEEESG_jNS9_4plusIvEENS9_8equal_toIvEEjEE10hipError_tPvRmT2_T3_T4_T5_mT6_T7_P12ihipStream_tbENKUlT_T0_E_clISt17integral_constantIbLb0EES10_IbLb1EEEEDaSW_SX_EUlSW_E_NS1_11comp_targetILNS1_3genE5ELNS1_11target_archE942ELNS1_3gpuE9ELNS1_3repE0EEENS1_30default_config_static_selectorELNS0_4arch9wavefront6targetE0EEEvT1_.num_vgpr, 0
	.set _ZN7rocprim17ROCPRIM_400000_NS6detail17trampoline_kernelINS0_14default_configENS1_27scan_by_key_config_selectorIijEEZZNS1_16scan_by_key_implILNS1_25lookback_scan_determinismE0ELb0ES3_N6thrust23THRUST_200600_302600_NS6detail15normal_iteratorINS9_10device_ptrIiEEEENSB_INSC_IjEEEESG_jNS9_4plusIvEENS9_8equal_toIvEEjEE10hipError_tPvRmT2_T3_T4_T5_mT6_T7_P12ihipStream_tbENKUlT_T0_E_clISt17integral_constantIbLb0EES10_IbLb1EEEEDaSW_SX_EUlSW_E_NS1_11comp_targetILNS1_3genE5ELNS1_11target_archE942ELNS1_3gpuE9ELNS1_3repE0EEENS1_30default_config_static_selectorELNS0_4arch9wavefront6targetE0EEEvT1_.num_agpr, 0
	.set _ZN7rocprim17ROCPRIM_400000_NS6detail17trampoline_kernelINS0_14default_configENS1_27scan_by_key_config_selectorIijEEZZNS1_16scan_by_key_implILNS1_25lookback_scan_determinismE0ELb0ES3_N6thrust23THRUST_200600_302600_NS6detail15normal_iteratorINS9_10device_ptrIiEEEENSB_INSC_IjEEEESG_jNS9_4plusIvEENS9_8equal_toIvEEjEE10hipError_tPvRmT2_T3_T4_T5_mT6_T7_P12ihipStream_tbENKUlT_T0_E_clISt17integral_constantIbLb0EES10_IbLb1EEEEDaSW_SX_EUlSW_E_NS1_11comp_targetILNS1_3genE5ELNS1_11target_archE942ELNS1_3gpuE9ELNS1_3repE0EEENS1_30default_config_static_selectorELNS0_4arch9wavefront6targetE0EEEvT1_.numbered_sgpr, 0
	.set _ZN7rocprim17ROCPRIM_400000_NS6detail17trampoline_kernelINS0_14default_configENS1_27scan_by_key_config_selectorIijEEZZNS1_16scan_by_key_implILNS1_25lookback_scan_determinismE0ELb0ES3_N6thrust23THRUST_200600_302600_NS6detail15normal_iteratorINS9_10device_ptrIiEEEENSB_INSC_IjEEEESG_jNS9_4plusIvEENS9_8equal_toIvEEjEE10hipError_tPvRmT2_T3_T4_T5_mT6_T7_P12ihipStream_tbENKUlT_T0_E_clISt17integral_constantIbLb0EES10_IbLb1EEEEDaSW_SX_EUlSW_E_NS1_11comp_targetILNS1_3genE5ELNS1_11target_archE942ELNS1_3gpuE9ELNS1_3repE0EEENS1_30default_config_static_selectorELNS0_4arch9wavefront6targetE0EEEvT1_.num_named_barrier, 0
	.set _ZN7rocprim17ROCPRIM_400000_NS6detail17trampoline_kernelINS0_14default_configENS1_27scan_by_key_config_selectorIijEEZZNS1_16scan_by_key_implILNS1_25lookback_scan_determinismE0ELb0ES3_N6thrust23THRUST_200600_302600_NS6detail15normal_iteratorINS9_10device_ptrIiEEEENSB_INSC_IjEEEESG_jNS9_4plusIvEENS9_8equal_toIvEEjEE10hipError_tPvRmT2_T3_T4_T5_mT6_T7_P12ihipStream_tbENKUlT_T0_E_clISt17integral_constantIbLb0EES10_IbLb1EEEEDaSW_SX_EUlSW_E_NS1_11comp_targetILNS1_3genE5ELNS1_11target_archE942ELNS1_3gpuE9ELNS1_3repE0EEENS1_30default_config_static_selectorELNS0_4arch9wavefront6targetE0EEEvT1_.private_seg_size, 0
	.set _ZN7rocprim17ROCPRIM_400000_NS6detail17trampoline_kernelINS0_14default_configENS1_27scan_by_key_config_selectorIijEEZZNS1_16scan_by_key_implILNS1_25lookback_scan_determinismE0ELb0ES3_N6thrust23THRUST_200600_302600_NS6detail15normal_iteratorINS9_10device_ptrIiEEEENSB_INSC_IjEEEESG_jNS9_4plusIvEENS9_8equal_toIvEEjEE10hipError_tPvRmT2_T3_T4_T5_mT6_T7_P12ihipStream_tbENKUlT_T0_E_clISt17integral_constantIbLb0EES10_IbLb1EEEEDaSW_SX_EUlSW_E_NS1_11comp_targetILNS1_3genE5ELNS1_11target_archE942ELNS1_3gpuE9ELNS1_3repE0EEENS1_30default_config_static_selectorELNS0_4arch9wavefront6targetE0EEEvT1_.uses_vcc, 0
	.set _ZN7rocprim17ROCPRIM_400000_NS6detail17trampoline_kernelINS0_14default_configENS1_27scan_by_key_config_selectorIijEEZZNS1_16scan_by_key_implILNS1_25lookback_scan_determinismE0ELb0ES3_N6thrust23THRUST_200600_302600_NS6detail15normal_iteratorINS9_10device_ptrIiEEEENSB_INSC_IjEEEESG_jNS9_4plusIvEENS9_8equal_toIvEEjEE10hipError_tPvRmT2_T3_T4_T5_mT6_T7_P12ihipStream_tbENKUlT_T0_E_clISt17integral_constantIbLb0EES10_IbLb1EEEEDaSW_SX_EUlSW_E_NS1_11comp_targetILNS1_3genE5ELNS1_11target_archE942ELNS1_3gpuE9ELNS1_3repE0EEENS1_30default_config_static_selectorELNS0_4arch9wavefront6targetE0EEEvT1_.uses_flat_scratch, 0
	.set _ZN7rocprim17ROCPRIM_400000_NS6detail17trampoline_kernelINS0_14default_configENS1_27scan_by_key_config_selectorIijEEZZNS1_16scan_by_key_implILNS1_25lookback_scan_determinismE0ELb0ES3_N6thrust23THRUST_200600_302600_NS6detail15normal_iteratorINS9_10device_ptrIiEEEENSB_INSC_IjEEEESG_jNS9_4plusIvEENS9_8equal_toIvEEjEE10hipError_tPvRmT2_T3_T4_T5_mT6_T7_P12ihipStream_tbENKUlT_T0_E_clISt17integral_constantIbLb0EES10_IbLb1EEEEDaSW_SX_EUlSW_E_NS1_11comp_targetILNS1_3genE5ELNS1_11target_archE942ELNS1_3gpuE9ELNS1_3repE0EEENS1_30default_config_static_selectorELNS0_4arch9wavefront6targetE0EEEvT1_.has_dyn_sized_stack, 0
	.set _ZN7rocprim17ROCPRIM_400000_NS6detail17trampoline_kernelINS0_14default_configENS1_27scan_by_key_config_selectorIijEEZZNS1_16scan_by_key_implILNS1_25lookback_scan_determinismE0ELb0ES3_N6thrust23THRUST_200600_302600_NS6detail15normal_iteratorINS9_10device_ptrIiEEEENSB_INSC_IjEEEESG_jNS9_4plusIvEENS9_8equal_toIvEEjEE10hipError_tPvRmT2_T3_T4_T5_mT6_T7_P12ihipStream_tbENKUlT_T0_E_clISt17integral_constantIbLb0EES10_IbLb1EEEEDaSW_SX_EUlSW_E_NS1_11comp_targetILNS1_3genE5ELNS1_11target_archE942ELNS1_3gpuE9ELNS1_3repE0EEENS1_30default_config_static_selectorELNS0_4arch9wavefront6targetE0EEEvT1_.has_recursion, 0
	.set _ZN7rocprim17ROCPRIM_400000_NS6detail17trampoline_kernelINS0_14default_configENS1_27scan_by_key_config_selectorIijEEZZNS1_16scan_by_key_implILNS1_25lookback_scan_determinismE0ELb0ES3_N6thrust23THRUST_200600_302600_NS6detail15normal_iteratorINS9_10device_ptrIiEEEENSB_INSC_IjEEEESG_jNS9_4plusIvEENS9_8equal_toIvEEjEE10hipError_tPvRmT2_T3_T4_T5_mT6_T7_P12ihipStream_tbENKUlT_T0_E_clISt17integral_constantIbLb0EES10_IbLb1EEEEDaSW_SX_EUlSW_E_NS1_11comp_targetILNS1_3genE5ELNS1_11target_archE942ELNS1_3gpuE9ELNS1_3repE0EEENS1_30default_config_static_selectorELNS0_4arch9wavefront6targetE0EEEvT1_.has_indirect_call, 0
	.section	.AMDGPU.csdata,"",@progbits
; Kernel info:
; codeLenInByte = 0
; TotalNumSgprs: 0
; NumVgprs: 0
; ScratchSize: 0
; MemoryBound: 0
; FloatMode: 240
; IeeeMode: 1
; LDSByteSize: 0 bytes/workgroup (compile time only)
; SGPRBlocks: 0
; VGPRBlocks: 0
; NumSGPRsForWavesPerEU: 1
; NumVGPRsForWavesPerEU: 1
; NamedBarCnt: 0
; Occupancy: 16
; WaveLimiterHint : 0
; COMPUTE_PGM_RSRC2:SCRATCH_EN: 0
; COMPUTE_PGM_RSRC2:USER_SGPR: 2
; COMPUTE_PGM_RSRC2:TRAP_HANDLER: 0
; COMPUTE_PGM_RSRC2:TGID_X_EN: 1
; COMPUTE_PGM_RSRC2:TGID_Y_EN: 0
; COMPUTE_PGM_RSRC2:TGID_Z_EN: 0
; COMPUTE_PGM_RSRC2:TIDIG_COMP_CNT: 0
	.section	.text._ZN7rocprim17ROCPRIM_400000_NS6detail17trampoline_kernelINS0_14default_configENS1_27scan_by_key_config_selectorIijEEZZNS1_16scan_by_key_implILNS1_25lookback_scan_determinismE0ELb0ES3_N6thrust23THRUST_200600_302600_NS6detail15normal_iteratorINS9_10device_ptrIiEEEENSB_INSC_IjEEEESG_jNS9_4plusIvEENS9_8equal_toIvEEjEE10hipError_tPvRmT2_T3_T4_T5_mT6_T7_P12ihipStream_tbENKUlT_T0_E_clISt17integral_constantIbLb0EES10_IbLb1EEEEDaSW_SX_EUlSW_E_NS1_11comp_targetILNS1_3genE4ELNS1_11target_archE910ELNS1_3gpuE8ELNS1_3repE0EEENS1_30default_config_static_selectorELNS0_4arch9wavefront6targetE0EEEvT1_,"axG",@progbits,_ZN7rocprim17ROCPRIM_400000_NS6detail17trampoline_kernelINS0_14default_configENS1_27scan_by_key_config_selectorIijEEZZNS1_16scan_by_key_implILNS1_25lookback_scan_determinismE0ELb0ES3_N6thrust23THRUST_200600_302600_NS6detail15normal_iteratorINS9_10device_ptrIiEEEENSB_INSC_IjEEEESG_jNS9_4plusIvEENS9_8equal_toIvEEjEE10hipError_tPvRmT2_T3_T4_T5_mT6_T7_P12ihipStream_tbENKUlT_T0_E_clISt17integral_constantIbLb0EES10_IbLb1EEEEDaSW_SX_EUlSW_E_NS1_11comp_targetILNS1_3genE4ELNS1_11target_archE910ELNS1_3gpuE8ELNS1_3repE0EEENS1_30default_config_static_selectorELNS0_4arch9wavefront6targetE0EEEvT1_,comdat
	.protected	_ZN7rocprim17ROCPRIM_400000_NS6detail17trampoline_kernelINS0_14default_configENS1_27scan_by_key_config_selectorIijEEZZNS1_16scan_by_key_implILNS1_25lookback_scan_determinismE0ELb0ES3_N6thrust23THRUST_200600_302600_NS6detail15normal_iteratorINS9_10device_ptrIiEEEENSB_INSC_IjEEEESG_jNS9_4plusIvEENS9_8equal_toIvEEjEE10hipError_tPvRmT2_T3_T4_T5_mT6_T7_P12ihipStream_tbENKUlT_T0_E_clISt17integral_constantIbLb0EES10_IbLb1EEEEDaSW_SX_EUlSW_E_NS1_11comp_targetILNS1_3genE4ELNS1_11target_archE910ELNS1_3gpuE8ELNS1_3repE0EEENS1_30default_config_static_selectorELNS0_4arch9wavefront6targetE0EEEvT1_ ; -- Begin function _ZN7rocprim17ROCPRIM_400000_NS6detail17trampoline_kernelINS0_14default_configENS1_27scan_by_key_config_selectorIijEEZZNS1_16scan_by_key_implILNS1_25lookback_scan_determinismE0ELb0ES3_N6thrust23THRUST_200600_302600_NS6detail15normal_iteratorINS9_10device_ptrIiEEEENSB_INSC_IjEEEESG_jNS9_4plusIvEENS9_8equal_toIvEEjEE10hipError_tPvRmT2_T3_T4_T5_mT6_T7_P12ihipStream_tbENKUlT_T0_E_clISt17integral_constantIbLb0EES10_IbLb1EEEEDaSW_SX_EUlSW_E_NS1_11comp_targetILNS1_3genE4ELNS1_11target_archE910ELNS1_3gpuE8ELNS1_3repE0EEENS1_30default_config_static_selectorELNS0_4arch9wavefront6targetE0EEEvT1_
	.globl	_ZN7rocprim17ROCPRIM_400000_NS6detail17trampoline_kernelINS0_14default_configENS1_27scan_by_key_config_selectorIijEEZZNS1_16scan_by_key_implILNS1_25lookback_scan_determinismE0ELb0ES3_N6thrust23THRUST_200600_302600_NS6detail15normal_iteratorINS9_10device_ptrIiEEEENSB_INSC_IjEEEESG_jNS9_4plusIvEENS9_8equal_toIvEEjEE10hipError_tPvRmT2_T3_T4_T5_mT6_T7_P12ihipStream_tbENKUlT_T0_E_clISt17integral_constantIbLb0EES10_IbLb1EEEEDaSW_SX_EUlSW_E_NS1_11comp_targetILNS1_3genE4ELNS1_11target_archE910ELNS1_3gpuE8ELNS1_3repE0EEENS1_30default_config_static_selectorELNS0_4arch9wavefront6targetE0EEEvT1_
	.p2align	8
	.type	_ZN7rocprim17ROCPRIM_400000_NS6detail17trampoline_kernelINS0_14default_configENS1_27scan_by_key_config_selectorIijEEZZNS1_16scan_by_key_implILNS1_25lookback_scan_determinismE0ELb0ES3_N6thrust23THRUST_200600_302600_NS6detail15normal_iteratorINS9_10device_ptrIiEEEENSB_INSC_IjEEEESG_jNS9_4plusIvEENS9_8equal_toIvEEjEE10hipError_tPvRmT2_T3_T4_T5_mT6_T7_P12ihipStream_tbENKUlT_T0_E_clISt17integral_constantIbLb0EES10_IbLb1EEEEDaSW_SX_EUlSW_E_NS1_11comp_targetILNS1_3genE4ELNS1_11target_archE910ELNS1_3gpuE8ELNS1_3repE0EEENS1_30default_config_static_selectorELNS0_4arch9wavefront6targetE0EEEvT1_,@function
_ZN7rocprim17ROCPRIM_400000_NS6detail17trampoline_kernelINS0_14default_configENS1_27scan_by_key_config_selectorIijEEZZNS1_16scan_by_key_implILNS1_25lookback_scan_determinismE0ELb0ES3_N6thrust23THRUST_200600_302600_NS6detail15normal_iteratorINS9_10device_ptrIiEEEENSB_INSC_IjEEEESG_jNS9_4plusIvEENS9_8equal_toIvEEjEE10hipError_tPvRmT2_T3_T4_T5_mT6_T7_P12ihipStream_tbENKUlT_T0_E_clISt17integral_constantIbLb0EES10_IbLb1EEEEDaSW_SX_EUlSW_E_NS1_11comp_targetILNS1_3genE4ELNS1_11target_archE910ELNS1_3gpuE8ELNS1_3repE0EEENS1_30default_config_static_selectorELNS0_4arch9wavefront6targetE0EEEvT1_: ; @_ZN7rocprim17ROCPRIM_400000_NS6detail17trampoline_kernelINS0_14default_configENS1_27scan_by_key_config_selectorIijEEZZNS1_16scan_by_key_implILNS1_25lookback_scan_determinismE0ELb0ES3_N6thrust23THRUST_200600_302600_NS6detail15normal_iteratorINS9_10device_ptrIiEEEENSB_INSC_IjEEEESG_jNS9_4plusIvEENS9_8equal_toIvEEjEE10hipError_tPvRmT2_T3_T4_T5_mT6_T7_P12ihipStream_tbENKUlT_T0_E_clISt17integral_constantIbLb0EES10_IbLb1EEEEDaSW_SX_EUlSW_E_NS1_11comp_targetILNS1_3genE4ELNS1_11target_archE910ELNS1_3gpuE8ELNS1_3repE0EEENS1_30default_config_static_selectorELNS0_4arch9wavefront6targetE0EEEvT1_
; %bb.0:
	.section	.rodata,"a",@progbits
	.p2align	6, 0x0
	.amdhsa_kernel _ZN7rocprim17ROCPRIM_400000_NS6detail17trampoline_kernelINS0_14default_configENS1_27scan_by_key_config_selectorIijEEZZNS1_16scan_by_key_implILNS1_25lookback_scan_determinismE0ELb0ES3_N6thrust23THRUST_200600_302600_NS6detail15normal_iteratorINS9_10device_ptrIiEEEENSB_INSC_IjEEEESG_jNS9_4plusIvEENS9_8equal_toIvEEjEE10hipError_tPvRmT2_T3_T4_T5_mT6_T7_P12ihipStream_tbENKUlT_T0_E_clISt17integral_constantIbLb0EES10_IbLb1EEEEDaSW_SX_EUlSW_E_NS1_11comp_targetILNS1_3genE4ELNS1_11target_archE910ELNS1_3gpuE8ELNS1_3repE0EEENS1_30default_config_static_selectorELNS0_4arch9wavefront6targetE0EEEvT1_
		.amdhsa_group_segment_fixed_size 0
		.amdhsa_private_segment_fixed_size 0
		.amdhsa_kernarg_size 112
		.amdhsa_user_sgpr_count 2
		.amdhsa_user_sgpr_dispatch_ptr 0
		.amdhsa_user_sgpr_queue_ptr 0
		.amdhsa_user_sgpr_kernarg_segment_ptr 1
		.amdhsa_user_sgpr_dispatch_id 0
		.amdhsa_user_sgpr_kernarg_preload_length 0
		.amdhsa_user_sgpr_kernarg_preload_offset 0
		.amdhsa_user_sgpr_private_segment_size 0
		.amdhsa_wavefront_size32 1
		.amdhsa_uses_dynamic_stack 0
		.amdhsa_enable_private_segment 0
		.amdhsa_system_sgpr_workgroup_id_x 1
		.amdhsa_system_sgpr_workgroup_id_y 0
		.amdhsa_system_sgpr_workgroup_id_z 0
		.amdhsa_system_sgpr_workgroup_info 0
		.amdhsa_system_vgpr_workitem_id 0
		.amdhsa_next_free_vgpr 1
		.amdhsa_next_free_sgpr 1
		.amdhsa_named_barrier_count 0
		.amdhsa_reserve_vcc 0
		.amdhsa_float_round_mode_32 0
		.amdhsa_float_round_mode_16_64 0
		.amdhsa_float_denorm_mode_32 3
		.amdhsa_float_denorm_mode_16_64 3
		.amdhsa_fp16_overflow 0
		.amdhsa_memory_ordered 1
		.amdhsa_forward_progress 1
		.amdhsa_inst_pref_size 0
		.amdhsa_round_robin_scheduling 0
		.amdhsa_exception_fp_ieee_invalid_op 0
		.amdhsa_exception_fp_denorm_src 0
		.amdhsa_exception_fp_ieee_div_zero 0
		.amdhsa_exception_fp_ieee_overflow 0
		.amdhsa_exception_fp_ieee_underflow 0
		.amdhsa_exception_fp_ieee_inexact 0
		.amdhsa_exception_int_div_zero 0
	.end_amdhsa_kernel
	.section	.text._ZN7rocprim17ROCPRIM_400000_NS6detail17trampoline_kernelINS0_14default_configENS1_27scan_by_key_config_selectorIijEEZZNS1_16scan_by_key_implILNS1_25lookback_scan_determinismE0ELb0ES3_N6thrust23THRUST_200600_302600_NS6detail15normal_iteratorINS9_10device_ptrIiEEEENSB_INSC_IjEEEESG_jNS9_4plusIvEENS9_8equal_toIvEEjEE10hipError_tPvRmT2_T3_T4_T5_mT6_T7_P12ihipStream_tbENKUlT_T0_E_clISt17integral_constantIbLb0EES10_IbLb1EEEEDaSW_SX_EUlSW_E_NS1_11comp_targetILNS1_3genE4ELNS1_11target_archE910ELNS1_3gpuE8ELNS1_3repE0EEENS1_30default_config_static_selectorELNS0_4arch9wavefront6targetE0EEEvT1_,"axG",@progbits,_ZN7rocprim17ROCPRIM_400000_NS6detail17trampoline_kernelINS0_14default_configENS1_27scan_by_key_config_selectorIijEEZZNS1_16scan_by_key_implILNS1_25lookback_scan_determinismE0ELb0ES3_N6thrust23THRUST_200600_302600_NS6detail15normal_iteratorINS9_10device_ptrIiEEEENSB_INSC_IjEEEESG_jNS9_4plusIvEENS9_8equal_toIvEEjEE10hipError_tPvRmT2_T3_T4_T5_mT6_T7_P12ihipStream_tbENKUlT_T0_E_clISt17integral_constantIbLb0EES10_IbLb1EEEEDaSW_SX_EUlSW_E_NS1_11comp_targetILNS1_3genE4ELNS1_11target_archE910ELNS1_3gpuE8ELNS1_3repE0EEENS1_30default_config_static_selectorELNS0_4arch9wavefront6targetE0EEEvT1_,comdat
.Lfunc_end1257:
	.size	_ZN7rocprim17ROCPRIM_400000_NS6detail17trampoline_kernelINS0_14default_configENS1_27scan_by_key_config_selectorIijEEZZNS1_16scan_by_key_implILNS1_25lookback_scan_determinismE0ELb0ES3_N6thrust23THRUST_200600_302600_NS6detail15normal_iteratorINS9_10device_ptrIiEEEENSB_INSC_IjEEEESG_jNS9_4plusIvEENS9_8equal_toIvEEjEE10hipError_tPvRmT2_T3_T4_T5_mT6_T7_P12ihipStream_tbENKUlT_T0_E_clISt17integral_constantIbLb0EES10_IbLb1EEEEDaSW_SX_EUlSW_E_NS1_11comp_targetILNS1_3genE4ELNS1_11target_archE910ELNS1_3gpuE8ELNS1_3repE0EEENS1_30default_config_static_selectorELNS0_4arch9wavefront6targetE0EEEvT1_, .Lfunc_end1257-_ZN7rocprim17ROCPRIM_400000_NS6detail17trampoline_kernelINS0_14default_configENS1_27scan_by_key_config_selectorIijEEZZNS1_16scan_by_key_implILNS1_25lookback_scan_determinismE0ELb0ES3_N6thrust23THRUST_200600_302600_NS6detail15normal_iteratorINS9_10device_ptrIiEEEENSB_INSC_IjEEEESG_jNS9_4plusIvEENS9_8equal_toIvEEjEE10hipError_tPvRmT2_T3_T4_T5_mT6_T7_P12ihipStream_tbENKUlT_T0_E_clISt17integral_constantIbLb0EES10_IbLb1EEEEDaSW_SX_EUlSW_E_NS1_11comp_targetILNS1_3genE4ELNS1_11target_archE910ELNS1_3gpuE8ELNS1_3repE0EEENS1_30default_config_static_selectorELNS0_4arch9wavefront6targetE0EEEvT1_
                                        ; -- End function
	.set _ZN7rocprim17ROCPRIM_400000_NS6detail17trampoline_kernelINS0_14default_configENS1_27scan_by_key_config_selectorIijEEZZNS1_16scan_by_key_implILNS1_25lookback_scan_determinismE0ELb0ES3_N6thrust23THRUST_200600_302600_NS6detail15normal_iteratorINS9_10device_ptrIiEEEENSB_INSC_IjEEEESG_jNS9_4plusIvEENS9_8equal_toIvEEjEE10hipError_tPvRmT2_T3_T4_T5_mT6_T7_P12ihipStream_tbENKUlT_T0_E_clISt17integral_constantIbLb0EES10_IbLb1EEEEDaSW_SX_EUlSW_E_NS1_11comp_targetILNS1_3genE4ELNS1_11target_archE910ELNS1_3gpuE8ELNS1_3repE0EEENS1_30default_config_static_selectorELNS0_4arch9wavefront6targetE0EEEvT1_.num_vgpr, 0
	.set _ZN7rocprim17ROCPRIM_400000_NS6detail17trampoline_kernelINS0_14default_configENS1_27scan_by_key_config_selectorIijEEZZNS1_16scan_by_key_implILNS1_25lookback_scan_determinismE0ELb0ES3_N6thrust23THRUST_200600_302600_NS6detail15normal_iteratorINS9_10device_ptrIiEEEENSB_INSC_IjEEEESG_jNS9_4plusIvEENS9_8equal_toIvEEjEE10hipError_tPvRmT2_T3_T4_T5_mT6_T7_P12ihipStream_tbENKUlT_T0_E_clISt17integral_constantIbLb0EES10_IbLb1EEEEDaSW_SX_EUlSW_E_NS1_11comp_targetILNS1_3genE4ELNS1_11target_archE910ELNS1_3gpuE8ELNS1_3repE0EEENS1_30default_config_static_selectorELNS0_4arch9wavefront6targetE0EEEvT1_.num_agpr, 0
	.set _ZN7rocprim17ROCPRIM_400000_NS6detail17trampoline_kernelINS0_14default_configENS1_27scan_by_key_config_selectorIijEEZZNS1_16scan_by_key_implILNS1_25lookback_scan_determinismE0ELb0ES3_N6thrust23THRUST_200600_302600_NS6detail15normal_iteratorINS9_10device_ptrIiEEEENSB_INSC_IjEEEESG_jNS9_4plusIvEENS9_8equal_toIvEEjEE10hipError_tPvRmT2_T3_T4_T5_mT6_T7_P12ihipStream_tbENKUlT_T0_E_clISt17integral_constantIbLb0EES10_IbLb1EEEEDaSW_SX_EUlSW_E_NS1_11comp_targetILNS1_3genE4ELNS1_11target_archE910ELNS1_3gpuE8ELNS1_3repE0EEENS1_30default_config_static_selectorELNS0_4arch9wavefront6targetE0EEEvT1_.numbered_sgpr, 0
	.set _ZN7rocprim17ROCPRIM_400000_NS6detail17trampoline_kernelINS0_14default_configENS1_27scan_by_key_config_selectorIijEEZZNS1_16scan_by_key_implILNS1_25lookback_scan_determinismE0ELb0ES3_N6thrust23THRUST_200600_302600_NS6detail15normal_iteratorINS9_10device_ptrIiEEEENSB_INSC_IjEEEESG_jNS9_4plusIvEENS9_8equal_toIvEEjEE10hipError_tPvRmT2_T3_T4_T5_mT6_T7_P12ihipStream_tbENKUlT_T0_E_clISt17integral_constantIbLb0EES10_IbLb1EEEEDaSW_SX_EUlSW_E_NS1_11comp_targetILNS1_3genE4ELNS1_11target_archE910ELNS1_3gpuE8ELNS1_3repE0EEENS1_30default_config_static_selectorELNS0_4arch9wavefront6targetE0EEEvT1_.num_named_barrier, 0
	.set _ZN7rocprim17ROCPRIM_400000_NS6detail17trampoline_kernelINS0_14default_configENS1_27scan_by_key_config_selectorIijEEZZNS1_16scan_by_key_implILNS1_25lookback_scan_determinismE0ELb0ES3_N6thrust23THRUST_200600_302600_NS6detail15normal_iteratorINS9_10device_ptrIiEEEENSB_INSC_IjEEEESG_jNS9_4plusIvEENS9_8equal_toIvEEjEE10hipError_tPvRmT2_T3_T4_T5_mT6_T7_P12ihipStream_tbENKUlT_T0_E_clISt17integral_constantIbLb0EES10_IbLb1EEEEDaSW_SX_EUlSW_E_NS1_11comp_targetILNS1_3genE4ELNS1_11target_archE910ELNS1_3gpuE8ELNS1_3repE0EEENS1_30default_config_static_selectorELNS0_4arch9wavefront6targetE0EEEvT1_.private_seg_size, 0
	.set _ZN7rocprim17ROCPRIM_400000_NS6detail17trampoline_kernelINS0_14default_configENS1_27scan_by_key_config_selectorIijEEZZNS1_16scan_by_key_implILNS1_25lookback_scan_determinismE0ELb0ES3_N6thrust23THRUST_200600_302600_NS6detail15normal_iteratorINS9_10device_ptrIiEEEENSB_INSC_IjEEEESG_jNS9_4plusIvEENS9_8equal_toIvEEjEE10hipError_tPvRmT2_T3_T4_T5_mT6_T7_P12ihipStream_tbENKUlT_T0_E_clISt17integral_constantIbLb0EES10_IbLb1EEEEDaSW_SX_EUlSW_E_NS1_11comp_targetILNS1_3genE4ELNS1_11target_archE910ELNS1_3gpuE8ELNS1_3repE0EEENS1_30default_config_static_selectorELNS0_4arch9wavefront6targetE0EEEvT1_.uses_vcc, 0
	.set _ZN7rocprim17ROCPRIM_400000_NS6detail17trampoline_kernelINS0_14default_configENS1_27scan_by_key_config_selectorIijEEZZNS1_16scan_by_key_implILNS1_25lookback_scan_determinismE0ELb0ES3_N6thrust23THRUST_200600_302600_NS6detail15normal_iteratorINS9_10device_ptrIiEEEENSB_INSC_IjEEEESG_jNS9_4plusIvEENS9_8equal_toIvEEjEE10hipError_tPvRmT2_T3_T4_T5_mT6_T7_P12ihipStream_tbENKUlT_T0_E_clISt17integral_constantIbLb0EES10_IbLb1EEEEDaSW_SX_EUlSW_E_NS1_11comp_targetILNS1_3genE4ELNS1_11target_archE910ELNS1_3gpuE8ELNS1_3repE0EEENS1_30default_config_static_selectorELNS0_4arch9wavefront6targetE0EEEvT1_.uses_flat_scratch, 0
	.set _ZN7rocprim17ROCPRIM_400000_NS6detail17trampoline_kernelINS0_14default_configENS1_27scan_by_key_config_selectorIijEEZZNS1_16scan_by_key_implILNS1_25lookback_scan_determinismE0ELb0ES3_N6thrust23THRUST_200600_302600_NS6detail15normal_iteratorINS9_10device_ptrIiEEEENSB_INSC_IjEEEESG_jNS9_4plusIvEENS9_8equal_toIvEEjEE10hipError_tPvRmT2_T3_T4_T5_mT6_T7_P12ihipStream_tbENKUlT_T0_E_clISt17integral_constantIbLb0EES10_IbLb1EEEEDaSW_SX_EUlSW_E_NS1_11comp_targetILNS1_3genE4ELNS1_11target_archE910ELNS1_3gpuE8ELNS1_3repE0EEENS1_30default_config_static_selectorELNS0_4arch9wavefront6targetE0EEEvT1_.has_dyn_sized_stack, 0
	.set _ZN7rocprim17ROCPRIM_400000_NS6detail17trampoline_kernelINS0_14default_configENS1_27scan_by_key_config_selectorIijEEZZNS1_16scan_by_key_implILNS1_25lookback_scan_determinismE0ELb0ES3_N6thrust23THRUST_200600_302600_NS6detail15normal_iteratorINS9_10device_ptrIiEEEENSB_INSC_IjEEEESG_jNS9_4plusIvEENS9_8equal_toIvEEjEE10hipError_tPvRmT2_T3_T4_T5_mT6_T7_P12ihipStream_tbENKUlT_T0_E_clISt17integral_constantIbLb0EES10_IbLb1EEEEDaSW_SX_EUlSW_E_NS1_11comp_targetILNS1_3genE4ELNS1_11target_archE910ELNS1_3gpuE8ELNS1_3repE0EEENS1_30default_config_static_selectorELNS0_4arch9wavefront6targetE0EEEvT1_.has_recursion, 0
	.set _ZN7rocprim17ROCPRIM_400000_NS6detail17trampoline_kernelINS0_14default_configENS1_27scan_by_key_config_selectorIijEEZZNS1_16scan_by_key_implILNS1_25lookback_scan_determinismE0ELb0ES3_N6thrust23THRUST_200600_302600_NS6detail15normal_iteratorINS9_10device_ptrIiEEEENSB_INSC_IjEEEESG_jNS9_4plusIvEENS9_8equal_toIvEEjEE10hipError_tPvRmT2_T3_T4_T5_mT6_T7_P12ihipStream_tbENKUlT_T0_E_clISt17integral_constantIbLb0EES10_IbLb1EEEEDaSW_SX_EUlSW_E_NS1_11comp_targetILNS1_3genE4ELNS1_11target_archE910ELNS1_3gpuE8ELNS1_3repE0EEENS1_30default_config_static_selectorELNS0_4arch9wavefront6targetE0EEEvT1_.has_indirect_call, 0
	.section	.AMDGPU.csdata,"",@progbits
; Kernel info:
; codeLenInByte = 0
; TotalNumSgprs: 0
; NumVgprs: 0
; ScratchSize: 0
; MemoryBound: 0
; FloatMode: 240
; IeeeMode: 1
; LDSByteSize: 0 bytes/workgroup (compile time only)
; SGPRBlocks: 0
; VGPRBlocks: 0
; NumSGPRsForWavesPerEU: 1
; NumVGPRsForWavesPerEU: 1
; NamedBarCnt: 0
; Occupancy: 16
; WaveLimiterHint : 0
; COMPUTE_PGM_RSRC2:SCRATCH_EN: 0
; COMPUTE_PGM_RSRC2:USER_SGPR: 2
; COMPUTE_PGM_RSRC2:TRAP_HANDLER: 0
; COMPUTE_PGM_RSRC2:TGID_X_EN: 1
; COMPUTE_PGM_RSRC2:TGID_Y_EN: 0
; COMPUTE_PGM_RSRC2:TGID_Z_EN: 0
; COMPUTE_PGM_RSRC2:TIDIG_COMP_CNT: 0
	.section	.text._ZN7rocprim17ROCPRIM_400000_NS6detail17trampoline_kernelINS0_14default_configENS1_27scan_by_key_config_selectorIijEEZZNS1_16scan_by_key_implILNS1_25lookback_scan_determinismE0ELb0ES3_N6thrust23THRUST_200600_302600_NS6detail15normal_iteratorINS9_10device_ptrIiEEEENSB_INSC_IjEEEESG_jNS9_4plusIvEENS9_8equal_toIvEEjEE10hipError_tPvRmT2_T3_T4_T5_mT6_T7_P12ihipStream_tbENKUlT_T0_E_clISt17integral_constantIbLb0EES10_IbLb1EEEEDaSW_SX_EUlSW_E_NS1_11comp_targetILNS1_3genE3ELNS1_11target_archE908ELNS1_3gpuE7ELNS1_3repE0EEENS1_30default_config_static_selectorELNS0_4arch9wavefront6targetE0EEEvT1_,"axG",@progbits,_ZN7rocprim17ROCPRIM_400000_NS6detail17trampoline_kernelINS0_14default_configENS1_27scan_by_key_config_selectorIijEEZZNS1_16scan_by_key_implILNS1_25lookback_scan_determinismE0ELb0ES3_N6thrust23THRUST_200600_302600_NS6detail15normal_iteratorINS9_10device_ptrIiEEEENSB_INSC_IjEEEESG_jNS9_4plusIvEENS9_8equal_toIvEEjEE10hipError_tPvRmT2_T3_T4_T5_mT6_T7_P12ihipStream_tbENKUlT_T0_E_clISt17integral_constantIbLb0EES10_IbLb1EEEEDaSW_SX_EUlSW_E_NS1_11comp_targetILNS1_3genE3ELNS1_11target_archE908ELNS1_3gpuE7ELNS1_3repE0EEENS1_30default_config_static_selectorELNS0_4arch9wavefront6targetE0EEEvT1_,comdat
	.protected	_ZN7rocprim17ROCPRIM_400000_NS6detail17trampoline_kernelINS0_14default_configENS1_27scan_by_key_config_selectorIijEEZZNS1_16scan_by_key_implILNS1_25lookback_scan_determinismE0ELb0ES3_N6thrust23THRUST_200600_302600_NS6detail15normal_iteratorINS9_10device_ptrIiEEEENSB_INSC_IjEEEESG_jNS9_4plusIvEENS9_8equal_toIvEEjEE10hipError_tPvRmT2_T3_T4_T5_mT6_T7_P12ihipStream_tbENKUlT_T0_E_clISt17integral_constantIbLb0EES10_IbLb1EEEEDaSW_SX_EUlSW_E_NS1_11comp_targetILNS1_3genE3ELNS1_11target_archE908ELNS1_3gpuE7ELNS1_3repE0EEENS1_30default_config_static_selectorELNS0_4arch9wavefront6targetE0EEEvT1_ ; -- Begin function _ZN7rocprim17ROCPRIM_400000_NS6detail17trampoline_kernelINS0_14default_configENS1_27scan_by_key_config_selectorIijEEZZNS1_16scan_by_key_implILNS1_25lookback_scan_determinismE0ELb0ES3_N6thrust23THRUST_200600_302600_NS6detail15normal_iteratorINS9_10device_ptrIiEEEENSB_INSC_IjEEEESG_jNS9_4plusIvEENS9_8equal_toIvEEjEE10hipError_tPvRmT2_T3_T4_T5_mT6_T7_P12ihipStream_tbENKUlT_T0_E_clISt17integral_constantIbLb0EES10_IbLb1EEEEDaSW_SX_EUlSW_E_NS1_11comp_targetILNS1_3genE3ELNS1_11target_archE908ELNS1_3gpuE7ELNS1_3repE0EEENS1_30default_config_static_selectorELNS0_4arch9wavefront6targetE0EEEvT1_
	.globl	_ZN7rocprim17ROCPRIM_400000_NS6detail17trampoline_kernelINS0_14default_configENS1_27scan_by_key_config_selectorIijEEZZNS1_16scan_by_key_implILNS1_25lookback_scan_determinismE0ELb0ES3_N6thrust23THRUST_200600_302600_NS6detail15normal_iteratorINS9_10device_ptrIiEEEENSB_INSC_IjEEEESG_jNS9_4plusIvEENS9_8equal_toIvEEjEE10hipError_tPvRmT2_T3_T4_T5_mT6_T7_P12ihipStream_tbENKUlT_T0_E_clISt17integral_constantIbLb0EES10_IbLb1EEEEDaSW_SX_EUlSW_E_NS1_11comp_targetILNS1_3genE3ELNS1_11target_archE908ELNS1_3gpuE7ELNS1_3repE0EEENS1_30default_config_static_selectorELNS0_4arch9wavefront6targetE0EEEvT1_
	.p2align	8
	.type	_ZN7rocprim17ROCPRIM_400000_NS6detail17trampoline_kernelINS0_14default_configENS1_27scan_by_key_config_selectorIijEEZZNS1_16scan_by_key_implILNS1_25lookback_scan_determinismE0ELb0ES3_N6thrust23THRUST_200600_302600_NS6detail15normal_iteratorINS9_10device_ptrIiEEEENSB_INSC_IjEEEESG_jNS9_4plusIvEENS9_8equal_toIvEEjEE10hipError_tPvRmT2_T3_T4_T5_mT6_T7_P12ihipStream_tbENKUlT_T0_E_clISt17integral_constantIbLb0EES10_IbLb1EEEEDaSW_SX_EUlSW_E_NS1_11comp_targetILNS1_3genE3ELNS1_11target_archE908ELNS1_3gpuE7ELNS1_3repE0EEENS1_30default_config_static_selectorELNS0_4arch9wavefront6targetE0EEEvT1_,@function
_ZN7rocprim17ROCPRIM_400000_NS6detail17trampoline_kernelINS0_14default_configENS1_27scan_by_key_config_selectorIijEEZZNS1_16scan_by_key_implILNS1_25lookback_scan_determinismE0ELb0ES3_N6thrust23THRUST_200600_302600_NS6detail15normal_iteratorINS9_10device_ptrIiEEEENSB_INSC_IjEEEESG_jNS9_4plusIvEENS9_8equal_toIvEEjEE10hipError_tPvRmT2_T3_T4_T5_mT6_T7_P12ihipStream_tbENKUlT_T0_E_clISt17integral_constantIbLb0EES10_IbLb1EEEEDaSW_SX_EUlSW_E_NS1_11comp_targetILNS1_3genE3ELNS1_11target_archE908ELNS1_3gpuE7ELNS1_3repE0EEENS1_30default_config_static_selectorELNS0_4arch9wavefront6targetE0EEEvT1_: ; @_ZN7rocprim17ROCPRIM_400000_NS6detail17trampoline_kernelINS0_14default_configENS1_27scan_by_key_config_selectorIijEEZZNS1_16scan_by_key_implILNS1_25lookback_scan_determinismE0ELb0ES3_N6thrust23THRUST_200600_302600_NS6detail15normal_iteratorINS9_10device_ptrIiEEEENSB_INSC_IjEEEESG_jNS9_4plusIvEENS9_8equal_toIvEEjEE10hipError_tPvRmT2_T3_T4_T5_mT6_T7_P12ihipStream_tbENKUlT_T0_E_clISt17integral_constantIbLb0EES10_IbLb1EEEEDaSW_SX_EUlSW_E_NS1_11comp_targetILNS1_3genE3ELNS1_11target_archE908ELNS1_3gpuE7ELNS1_3repE0EEENS1_30default_config_static_selectorELNS0_4arch9wavefront6targetE0EEEvT1_
; %bb.0:
	.section	.rodata,"a",@progbits
	.p2align	6, 0x0
	.amdhsa_kernel _ZN7rocprim17ROCPRIM_400000_NS6detail17trampoline_kernelINS0_14default_configENS1_27scan_by_key_config_selectorIijEEZZNS1_16scan_by_key_implILNS1_25lookback_scan_determinismE0ELb0ES3_N6thrust23THRUST_200600_302600_NS6detail15normal_iteratorINS9_10device_ptrIiEEEENSB_INSC_IjEEEESG_jNS9_4plusIvEENS9_8equal_toIvEEjEE10hipError_tPvRmT2_T3_T4_T5_mT6_T7_P12ihipStream_tbENKUlT_T0_E_clISt17integral_constantIbLb0EES10_IbLb1EEEEDaSW_SX_EUlSW_E_NS1_11comp_targetILNS1_3genE3ELNS1_11target_archE908ELNS1_3gpuE7ELNS1_3repE0EEENS1_30default_config_static_selectorELNS0_4arch9wavefront6targetE0EEEvT1_
		.amdhsa_group_segment_fixed_size 0
		.amdhsa_private_segment_fixed_size 0
		.amdhsa_kernarg_size 112
		.amdhsa_user_sgpr_count 2
		.amdhsa_user_sgpr_dispatch_ptr 0
		.amdhsa_user_sgpr_queue_ptr 0
		.amdhsa_user_sgpr_kernarg_segment_ptr 1
		.amdhsa_user_sgpr_dispatch_id 0
		.amdhsa_user_sgpr_kernarg_preload_length 0
		.amdhsa_user_sgpr_kernarg_preload_offset 0
		.amdhsa_user_sgpr_private_segment_size 0
		.amdhsa_wavefront_size32 1
		.amdhsa_uses_dynamic_stack 0
		.amdhsa_enable_private_segment 0
		.amdhsa_system_sgpr_workgroup_id_x 1
		.amdhsa_system_sgpr_workgroup_id_y 0
		.amdhsa_system_sgpr_workgroup_id_z 0
		.amdhsa_system_sgpr_workgroup_info 0
		.amdhsa_system_vgpr_workitem_id 0
		.amdhsa_next_free_vgpr 1
		.amdhsa_next_free_sgpr 1
		.amdhsa_named_barrier_count 0
		.amdhsa_reserve_vcc 0
		.amdhsa_float_round_mode_32 0
		.amdhsa_float_round_mode_16_64 0
		.amdhsa_float_denorm_mode_32 3
		.amdhsa_float_denorm_mode_16_64 3
		.amdhsa_fp16_overflow 0
		.amdhsa_memory_ordered 1
		.amdhsa_forward_progress 1
		.amdhsa_inst_pref_size 0
		.amdhsa_round_robin_scheduling 0
		.amdhsa_exception_fp_ieee_invalid_op 0
		.amdhsa_exception_fp_denorm_src 0
		.amdhsa_exception_fp_ieee_div_zero 0
		.amdhsa_exception_fp_ieee_overflow 0
		.amdhsa_exception_fp_ieee_underflow 0
		.amdhsa_exception_fp_ieee_inexact 0
		.amdhsa_exception_int_div_zero 0
	.end_amdhsa_kernel
	.section	.text._ZN7rocprim17ROCPRIM_400000_NS6detail17trampoline_kernelINS0_14default_configENS1_27scan_by_key_config_selectorIijEEZZNS1_16scan_by_key_implILNS1_25lookback_scan_determinismE0ELb0ES3_N6thrust23THRUST_200600_302600_NS6detail15normal_iteratorINS9_10device_ptrIiEEEENSB_INSC_IjEEEESG_jNS9_4plusIvEENS9_8equal_toIvEEjEE10hipError_tPvRmT2_T3_T4_T5_mT6_T7_P12ihipStream_tbENKUlT_T0_E_clISt17integral_constantIbLb0EES10_IbLb1EEEEDaSW_SX_EUlSW_E_NS1_11comp_targetILNS1_3genE3ELNS1_11target_archE908ELNS1_3gpuE7ELNS1_3repE0EEENS1_30default_config_static_selectorELNS0_4arch9wavefront6targetE0EEEvT1_,"axG",@progbits,_ZN7rocprim17ROCPRIM_400000_NS6detail17trampoline_kernelINS0_14default_configENS1_27scan_by_key_config_selectorIijEEZZNS1_16scan_by_key_implILNS1_25lookback_scan_determinismE0ELb0ES3_N6thrust23THRUST_200600_302600_NS6detail15normal_iteratorINS9_10device_ptrIiEEEENSB_INSC_IjEEEESG_jNS9_4plusIvEENS9_8equal_toIvEEjEE10hipError_tPvRmT2_T3_T4_T5_mT6_T7_P12ihipStream_tbENKUlT_T0_E_clISt17integral_constantIbLb0EES10_IbLb1EEEEDaSW_SX_EUlSW_E_NS1_11comp_targetILNS1_3genE3ELNS1_11target_archE908ELNS1_3gpuE7ELNS1_3repE0EEENS1_30default_config_static_selectorELNS0_4arch9wavefront6targetE0EEEvT1_,comdat
.Lfunc_end1258:
	.size	_ZN7rocprim17ROCPRIM_400000_NS6detail17trampoline_kernelINS0_14default_configENS1_27scan_by_key_config_selectorIijEEZZNS1_16scan_by_key_implILNS1_25lookback_scan_determinismE0ELb0ES3_N6thrust23THRUST_200600_302600_NS6detail15normal_iteratorINS9_10device_ptrIiEEEENSB_INSC_IjEEEESG_jNS9_4plusIvEENS9_8equal_toIvEEjEE10hipError_tPvRmT2_T3_T4_T5_mT6_T7_P12ihipStream_tbENKUlT_T0_E_clISt17integral_constantIbLb0EES10_IbLb1EEEEDaSW_SX_EUlSW_E_NS1_11comp_targetILNS1_3genE3ELNS1_11target_archE908ELNS1_3gpuE7ELNS1_3repE0EEENS1_30default_config_static_selectorELNS0_4arch9wavefront6targetE0EEEvT1_, .Lfunc_end1258-_ZN7rocprim17ROCPRIM_400000_NS6detail17trampoline_kernelINS0_14default_configENS1_27scan_by_key_config_selectorIijEEZZNS1_16scan_by_key_implILNS1_25lookback_scan_determinismE0ELb0ES3_N6thrust23THRUST_200600_302600_NS6detail15normal_iteratorINS9_10device_ptrIiEEEENSB_INSC_IjEEEESG_jNS9_4plusIvEENS9_8equal_toIvEEjEE10hipError_tPvRmT2_T3_T4_T5_mT6_T7_P12ihipStream_tbENKUlT_T0_E_clISt17integral_constantIbLb0EES10_IbLb1EEEEDaSW_SX_EUlSW_E_NS1_11comp_targetILNS1_3genE3ELNS1_11target_archE908ELNS1_3gpuE7ELNS1_3repE0EEENS1_30default_config_static_selectorELNS0_4arch9wavefront6targetE0EEEvT1_
                                        ; -- End function
	.set _ZN7rocprim17ROCPRIM_400000_NS6detail17trampoline_kernelINS0_14default_configENS1_27scan_by_key_config_selectorIijEEZZNS1_16scan_by_key_implILNS1_25lookback_scan_determinismE0ELb0ES3_N6thrust23THRUST_200600_302600_NS6detail15normal_iteratorINS9_10device_ptrIiEEEENSB_INSC_IjEEEESG_jNS9_4plusIvEENS9_8equal_toIvEEjEE10hipError_tPvRmT2_T3_T4_T5_mT6_T7_P12ihipStream_tbENKUlT_T0_E_clISt17integral_constantIbLb0EES10_IbLb1EEEEDaSW_SX_EUlSW_E_NS1_11comp_targetILNS1_3genE3ELNS1_11target_archE908ELNS1_3gpuE7ELNS1_3repE0EEENS1_30default_config_static_selectorELNS0_4arch9wavefront6targetE0EEEvT1_.num_vgpr, 0
	.set _ZN7rocprim17ROCPRIM_400000_NS6detail17trampoline_kernelINS0_14default_configENS1_27scan_by_key_config_selectorIijEEZZNS1_16scan_by_key_implILNS1_25lookback_scan_determinismE0ELb0ES3_N6thrust23THRUST_200600_302600_NS6detail15normal_iteratorINS9_10device_ptrIiEEEENSB_INSC_IjEEEESG_jNS9_4plusIvEENS9_8equal_toIvEEjEE10hipError_tPvRmT2_T3_T4_T5_mT6_T7_P12ihipStream_tbENKUlT_T0_E_clISt17integral_constantIbLb0EES10_IbLb1EEEEDaSW_SX_EUlSW_E_NS1_11comp_targetILNS1_3genE3ELNS1_11target_archE908ELNS1_3gpuE7ELNS1_3repE0EEENS1_30default_config_static_selectorELNS0_4arch9wavefront6targetE0EEEvT1_.num_agpr, 0
	.set _ZN7rocprim17ROCPRIM_400000_NS6detail17trampoline_kernelINS0_14default_configENS1_27scan_by_key_config_selectorIijEEZZNS1_16scan_by_key_implILNS1_25lookback_scan_determinismE0ELb0ES3_N6thrust23THRUST_200600_302600_NS6detail15normal_iteratorINS9_10device_ptrIiEEEENSB_INSC_IjEEEESG_jNS9_4plusIvEENS9_8equal_toIvEEjEE10hipError_tPvRmT2_T3_T4_T5_mT6_T7_P12ihipStream_tbENKUlT_T0_E_clISt17integral_constantIbLb0EES10_IbLb1EEEEDaSW_SX_EUlSW_E_NS1_11comp_targetILNS1_3genE3ELNS1_11target_archE908ELNS1_3gpuE7ELNS1_3repE0EEENS1_30default_config_static_selectorELNS0_4arch9wavefront6targetE0EEEvT1_.numbered_sgpr, 0
	.set _ZN7rocprim17ROCPRIM_400000_NS6detail17trampoline_kernelINS0_14default_configENS1_27scan_by_key_config_selectorIijEEZZNS1_16scan_by_key_implILNS1_25lookback_scan_determinismE0ELb0ES3_N6thrust23THRUST_200600_302600_NS6detail15normal_iteratorINS9_10device_ptrIiEEEENSB_INSC_IjEEEESG_jNS9_4plusIvEENS9_8equal_toIvEEjEE10hipError_tPvRmT2_T3_T4_T5_mT6_T7_P12ihipStream_tbENKUlT_T0_E_clISt17integral_constantIbLb0EES10_IbLb1EEEEDaSW_SX_EUlSW_E_NS1_11comp_targetILNS1_3genE3ELNS1_11target_archE908ELNS1_3gpuE7ELNS1_3repE0EEENS1_30default_config_static_selectorELNS0_4arch9wavefront6targetE0EEEvT1_.num_named_barrier, 0
	.set _ZN7rocprim17ROCPRIM_400000_NS6detail17trampoline_kernelINS0_14default_configENS1_27scan_by_key_config_selectorIijEEZZNS1_16scan_by_key_implILNS1_25lookback_scan_determinismE0ELb0ES3_N6thrust23THRUST_200600_302600_NS6detail15normal_iteratorINS9_10device_ptrIiEEEENSB_INSC_IjEEEESG_jNS9_4plusIvEENS9_8equal_toIvEEjEE10hipError_tPvRmT2_T3_T4_T5_mT6_T7_P12ihipStream_tbENKUlT_T0_E_clISt17integral_constantIbLb0EES10_IbLb1EEEEDaSW_SX_EUlSW_E_NS1_11comp_targetILNS1_3genE3ELNS1_11target_archE908ELNS1_3gpuE7ELNS1_3repE0EEENS1_30default_config_static_selectorELNS0_4arch9wavefront6targetE0EEEvT1_.private_seg_size, 0
	.set _ZN7rocprim17ROCPRIM_400000_NS6detail17trampoline_kernelINS0_14default_configENS1_27scan_by_key_config_selectorIijEEZZNS1_16scan_by_key_implILNS1_25lookback_scan_determinismE0ELb0ES3_N6thrust23THRUST_200600_302600_NS6detail15normal_iteratorINS9_10device_ptrIiEEEENSB_INSC_IjEEEESG_jNS9_4plusIvEENS9_8equal_toIvEEjEE10hipError_tPvRmT2_T3_T4_T5_mT6_T7_P12ihipStream_tbENKUlT_T0_E_clISt17integral_constantIbLb0EES10_IbLb1EEEEDaSW_SX_EUlSW_E_NS1_11comp_targetILNS1_3genE3ELNS1_11target_archE908ELNS1_3gpuE7ELNS1_3repE0EEENS1_30default_config_static_selectorELNS0_4arch9wavefront6targetE0EEEvT1_.uses_vcc, 0
	.set _ZN7rocprim17ROCPRIM_400000_NS6detail17trampoline_kernelINS0_14default_configENS1_27scan_by_key_config_selectorIijEEZZNS1_16scan_by_key_implILNS1_25lookback_scan_determinismE0ELb0ES3_N6thrust23THRUST_200600_302600_NS6detail15normal_iteratorINS9_10device_ptrIiEEEENSB_INSC_IjEEEESG_jNS9_4plusIvEENS9_8equal_toIvEEjEE10hipError_tPvRmT2_T3_T4_T5_mT6_T7_P12ihipStream_tbENKUlT_T0_E_clISt17integral_constantIbLb0EES10_IbLb1EEEEDaSW_SX_EUlSW_E_NS1_11comp_targetILNS1_3genE3ELNS1_11target_archE908ELNS1_3gpuE7ELNS1_3repE0EEENS1_30default_config_static_selectorELNS0_4arch9wavefront6targetE0EEEvT1_.uses_flat_scratch, 0
	.set _ZN7rocprim17ROCPRIM_400000_NS6detail17trampoline_kernelINS0_14default_configENS1_27scan_by_key_config_selectorIijEEZZNS1_16scan_by_key_implILNS1_25lookback_scan_determinismE0ELb0ES3_N6thrust23THRUST_200600_302600_NS6detail15normal_iteratorINS9_10device_ptrIiEEEENSB_INSC_IjEEEESG_jNS9_4plusIvEENS9_8equal_toIvEEjEE10hipError_tPvRmT2_T3_T4_T5_mT6_T7_P12ihipStream_tbENKUlT_T0_E_clISt17integral_constantIbLb0EES10_IbLb1EEEEDaSW_SX_EUlSW_E_NS1_11comp_targetILNS1_3genE3ELNS1_11target_archE908ELNS1_3gpuE7ELNS1_3repE0EEENS1_30default_config_static_selectorELNS0_4arch9wavefront6targetE0EEEvT1_.has_dyn_sized_stack, 0
	.set _ZN7rocprim17ROCPRIM_400000_NS6detail17trampoline_kernelINS0_14default_configENS1_27scan_by_key_config_selectorIijEEZZNS1_16scan_by_key_implILNS1_25lookback_scan_determinismE0ELb0ES3_N6thrust23THRUST_200600_302600_NS6detail15normal_iteratorINS9_10device_ptrIiEEEENSB_INSC_IjEEEESG_jNS9_4plusIvEENS9_8equal_toIvEEjEE10hipError_tPvRmT2_T3_T4_T5_mT6_T7_P12ihipStream_tbENKUlT_T0_E_clISt17integral_constantIbLb0EES10_IbLb1EEEEDaSW_SX_EUlSW_E_NS1_11comp_targetILNS1_3genE3ELNS1_11target_archE908ELNS1_3gpuE7ELNS1_3repE0EEENS1_30default_config_static_selectorELNS0_4arch9wavefront6targetE0EEEvT1_.has_recursion, 0
	.set _ZN7rocprim17ROCPRIM_400000_NS6detail17trampoline_kernelINS0_14default_configENS1_27scan_by_key_config_selectorIijEEZZNS1_16scan_by_key_implILNS1_25lookback_scan_determinismE0ELb0ES3_N6thrust23THRUST_200600_302600_NS6detail15normal_iteratorINS9_10device_ptrIiEEEENSB_INSC_IjEEEESG_jNS9_4plusIvEENS9_8equal_toIvEEjEE10hipError_tPvRmT2_T3_T4_T5_mT6_T7_P12ihipStream_tbENKUlT_T0_E_clISt17integral_constantIbLb0EES10_IbLb1EEEEDaSW_SX_EUlSW_E_NS1_11comp_targetILNS1_3genE3ELNS1_11target_archE908ELNS1_3gpuE7ELNS1_3repE0EEENS1_30default_config_static_selectorELNS0_4arch9wavefront6targetE0EEEvT1_.has_indirect_call, 0
	.section	.AMDGPU.csdata,"",@progbits
; Kernel info:
; codeLenInByte = 0
; TotalNumSgprs: 0
; NumVgprs: 0
; ScratchSize: 0
; MemoryBound: 0
; FloatMode: 240
; IeeeMode: 1
; LDSByteSize: 0 bytes/workgroup (compile time only)
; SGPRBlocks: 0
; VGPRBlocks: 0
; NumSGPRsForWavesPerEU: 1
; NumVGPRsForWavesPerEU: 1
; NamedBarCnt: 0
; Occupancy: 16
; WaveLimiterHint : 0
; COMPUTE_PGM_RSRC2:SCRATCH_EN: 0
; COMPUTE_PGM_RSRC2:USER_SGPR: 2
; COMPUTE_PGM_RSRC2:TRAP_HANDLER: 0
; COMPUTE_PGM_RSRC2:TGID_X_EN: 1
; COMPUTE_PGM_RSRC2:TGID_Y_EN: 0
; COMPUTE_PGM_RSRC2:TGID_Z_EN: 0
; COMPUTE_PGM_RSRC2:TIDIG_COMP_CNT: 0
	.section	.text._ZN7rocprim17ROCPRIM_400000_NS6detail17trampoline_kernelINS0_14default_configENS1_27scan_by_key_config_selectorIijEEZZNS1_16scan_by_key_implILNS1_25lookback_scan_determinismE0ELb0ES3_N6thrust23THRUST_200600_302600_NS6detail15normal_iteratorINS9_10device_ptrIiEEEENSB_INSC_IjEEEESG_jNS9_4plusIvEENS9_8equal_toIvEEjEE10hipError_tPvRmT2_T3_T4_T5_mT6_T7_P12ihipStream_tbENKUlT_T0_E_clISt17integral_constantIbLb0EES10_IbLb1EEEEDaSW_SX_EUlSW_E_NS1_11comp_targetILNS1_3genE2ELNS1_11target_archE906ELNS1_3gpuE6ELNS1_3repE0EEENS1_30default_config_static_selectorELNS0_4arch9wavefront6targetE0EEEvT1_,"axG",@progbits,_ZN7rocprim17ROCPRIM_400000_NS6detail17trampoline_kernelINS0_14default_configENS1_27scan_by_key_config_selectorIijEEZZNS1_16scan_by_key_implILNS1_25lookback_scan_determinismE0ELb0ES3_N6thrust23THRUST_200600_302600_NS6detail15normal_iteratorINS9_10device_ptrIiEEEENSB_INSC_IjEEEESG_jNS9_4plusIvEENS9_8equal_toIvEEjEE10hipError_tPvRmT2_T3_T4_T5_mT6_T7_P12ihipStream_tbENKUlT_T0_E_clISt17integral_constantIbLb0EES10_IbLb1EEEEDaSW_SX_EUlSW_E_NS1_11comp_targetILNS1_3genE2ELNS1_11target_archE906ELNS1_3gpuE6ELNS1_3repE0EEENS1_30default_config_static_selectorELNS0_4arch9wavefront6targetE0EEEvT1_,comdat
	.protected	_ZN7rocprim17ROCPRIM_400000_NS6detail17trampoline_kernelINS0_14default_configENS1_27scan_by_key_config_selectorIijEEZZNS1_16scan_by_key_implILNS1_25lookback_scan_determinismE0ELb0ES3_N6thrust23THRUST_200600_302600_NS6detail15normal_iteratorINS9_10device_ptrIiEEEENSB_INSC_IjEEEESG_jNS9_4plusIvEENS9_8equal_toIvEEjEE10hipError_tPvRmT2_T3_T4_T5_mT6_T7_P12ihipStream_tbENKUlT_T0_E_clISt17integral_constantIbLb0EES10_IbLb1EEEEDaSW_SX_EUlSW_E_NS1_11comp_targetILNS1_3genE2ELNS1_11target_archE906ELNS1_3gpuE6ELNS1_3repE0EEENS1_30default_config_static_selectorELNS0_4arch9wavefront6targetE0EEEvT1_ ; -- Begin function _ZN7rocprim17ROCPRIM_400000_NS6detail17trampoline_kernelINS0_14default_configENS1_27scan_by_key_config_selectorIijEEZZNS1_16scan_by_key_implILNS1_25lookback_scan_determinismE0ELb0ES3_N6thrust23THRUST_200600_302600_NS6detail15normal_iteratorINS9_10device_ptrIiEEEENSB_INSC_IjEEEESG_jNS9_4plusIvEENS9_8equal_toIvEEjEE10hipError_tPvRmT2_T3_T4_T5_mT6_T7_P12ihipStream_tbENKUlT_T0_E_clISt17integral_constantIbLb0EES10_IbLb1EEEEDaSW_SX_EUlSW_E_NS1_11comp_targetILNS1_3genE2ELNS1_11target_archE906ELNS1_3gpuE6ELNS1_3repE0EEENS1_30default_config_static_selectorELNS0_4arch9wavefront6targetE0EEEvT1_
	.globl	_ZN7rocprim17ROCPRIM_400000_NS6detail17trampoline_kernelINS0_14default_configENS1_27scan_by_key_config_selectorIijEEZZNS1_16scan_by_key_implILNS1_25lookback_scan_determinismE0ELb0ES3_N6thrust23THRUST_200600_302600_NS6detail15normal_iteratorINS9_10device_ptrIiEEEENSB_INSC_IjEEEESG_jNS9_4plusIvEENS9_8equal_toIvEEjEE10hipError_tPvRmT2_T3_T4_T5_mT6_T7_P12ihipStream_tbENKUlT_T0_E_clISt17integral_constantIbLb0EES10_IbLb1EEEEDaSW_SX_EUlSW_E_NS1_11comp_targetILNS1_3genE2ELNS1_11target_archE906ELNS1_3gpuE6ELNS1_3repE0EEENS1_30default_config_static_selectorELNS0_4arch9wavefront6targetE0EEEvT1_
	.p2align	8
	.type	_ZN7rocprim17ROCPRIM_400000_NS6detail17trampoline_kernelINS0_14default_configENS1_27scan_by_key_config_selectorIijEEZZNS1_16scan_by_key_implILNS1_25lookback_scan_determinismE0ELb0ES3_N6thrust23THRUST_200600_302600_NS6detail15normal_iteratorINS9_10device_ptrIiEEEENSB_INSC_IjEEEESG_jNS9_4plusIvEENS9_8equal_toIvEEjEE10hipError_tPvRmT2_T3_T4_T5_mT6_T7_P12ihipStream_tbENKUlT_T0_E_clISt17integral_constantIbLb0EES10_IbLb1EEEEDaSW_SX_EUlSW_E_NS1_11comp_targetILNS1_3genE2ELNS1_11target_archE906ELNS1_3gpuE6ELNS1_3repE0EEENS1_30default_config_static_selectorELNS0_4arch9wavefront6targetE0EEEvT1_,@function
_ZN7rocprim17ROCPRIM_400000_NS6detail17trampoline_kernelINS0_14default_configENS1_27scan_by_key_config_selectorIijEEZZNS1_16scan_by_key_implILNS1_25lookback_scan_determinismE0ELb0ES3_N6thrust23THRUST_200600_302600_NS6detail15normal_iteratorINS9_10device_ptrIiEEEENSB_INSC_IjEEEESG_jNS9_4plusIvEENS9_8equal_toIvEEjEE10hipError_tPvRmT2_T3_T4_T5_mT6_T7_P12ihipStream_tbENKUlT_T0_E_clISt17integral_constantIbLb0EES10_IbLb1EEEEDaSW_SX_EUlSW_E_NS1_11comp_targetILNS1_3genE2ELNS1_11target_archE906ELNS1_3gpuE6ELNS1_3repE0EEENS1_30default_config_static_selectorELNS0_4arch9wavefront6targetE0EEEvT1_: ; @_ZN7rocprim17ROCPRIM_400000_NS6detail17trampoline_kernelINS0_14default_configENS1_27scan_by_key_config_selectorIijEEZZNS1_16scan_by_key_implILNS1_25lookback_scan_determinismE0ELb0ES3_N6thrust23THRUST_200600_302600_NS6detail15normal_iteratorINS9_10device_ptrIiEEEENSB_INSC_IjEEEESG_jNS9_4plusIvEENS9_8equal_toIvEEjEE10hipError_tPvRmT2_T3_T4_T5_mT6_T7_P12ihipStream_tbENKUlT_T0_E_clISt17integral_constantIbLb0EES10_IbLb1EEEEDaSW_SX_EUlSW_E_NS1_11comp_targetILNS1_3genE2ELNS1_11target_archE906ELNS1_3gpuE6ELNS1_3repE0EEENS1_30default_config_static_selectorELNS0_4arch9wavefront6targetE0EEEvT1_
; %bb.0:
	.section	.rodata,"a",@progbits
	.p2align	6, 0x0
	.amdhsa_kernel _ZN7rocprim17ROCPRIM_400000_NS6detail17trampoline_kernelINS0_14default_configENS1_27scan_by_key_config_selectorIijEEZZNS1_16scan_by_key_implILNS1_25lookback_scan_determinismE0ELb0ES3_N6thrust23THRUST_200600_302600_NS6detail15normal_iteratorINS9_10device_ptrIiEEEENSB_INSC_IjEEEESG_jNS9_4plusIvEENS9_8equal_toIvEEjEE10hipError_tPvRmT2_T3_T4_T5_mT6_T7_P12ihipStream_tbENKUlT_T0_E_clISt17integral_constantIbLb0EES10_IbLb1EEEEDaSW_SX_EUlSW_E_NS1_11comp_targetILNS1_3genE2ELNS1_11target_archE906ELNS1_3gpuE6ELNS1_3repE0EEENS1_30default_config_static_selectorELNS0_4arch9wavefront6targetE0EEEvT1_
		.amdhsa_group_segment_fixed_size 0
		.amdhsa_private_segment_fixed_size 0
		.amdhsa_kernarg_size 112
		.amdhsa_user_sgpr_count 2
		.amdhsa_user_sgpr_dispatch_ptr 0
		.amdhsa_user_sgpr_queue_ptr 0
		.amdhsa_user_sgpr_kernarg_segment_ptr 1
		.amdhsa_user_sgpr_dispatch_id 0
		.amdhsa_user_sgpr_kernarg_preload_length 0
		.amdhsa_user_sgpr_kernarg_preload_offset 0
		.amdhsa_user_sgpr_private_segment_size 0
		.amdhsa_wavefront_size32 1
		.amdhsa_uses_dynamic_stack 0
		.amdhsa_enable_private_segment 0
		.amdhsa_system_sgpr_workgroup_id_x 1
		.amdhsa_system_sgpr_workgroup_id_y 0
		.amdhsa_system_sgpr_workgroup_id_z 0
		.amdhsa_system_sgpr_workgroup_info 0
		.amdhsa_system_vgpr_workitem_id 0
		.amdhsa_next_free_vgpr 1
		.amdhsa_next_free_sgpr 1
		.amdhsa_named_barrier_count 0
		.amdhsa_reserve_vcc 0
		.amdhsa_float_round_mode_32 0
		.amdhsa_float_round_mode_16_64 0
		.amdhsa_float_denorm_mode_32 3
		.amdhsa_float_denorm_mode_16_64 3
		.amdhsa_fp16_overflow 0
		.amdhsa_memory_ordered 1
		.amdhsa_forward_progress 1
		.amdhsa_inst_pref_size 0
		.amdhsa_round_robin_scheduling 0
		.amdhsa_exception_fp_ieee_invalid_op 0
		.amdhsa_exception_fp_denorm_src 0
		.amdhsa_exception_fp_ieee_div_zero 0
		.amdhsa_exception_fp_ieee_overflow 0
		.amdhsa_exception_fp_ieee_underflow 0
		.amdhsa_exception_fp_ieee_inexact 0
		.amdhsa_exception_int_div_zero 0
	.end_amdhsa_kernel
	.section	.text._ZN7rocprim17ROCPRIM_400000_NS6detail17trampoline_kernelINS0_14default_configENS1_27scan_by_key_config_selectorIijEEZZNS1_16scan_by_key_implILNS1_25lookback_scan_determinismE0ELb0ES3_N6thrust23THRUST_200600_302600_NS6detail15normal_iteratorINS9_10device_ptrIiEEEENSB_INSC_IjEEEESG_jNS9_4plusIvEENS9_8equal_toIvEEjEE10hipError_tPvRmT2_T3_T4_T5_mT6_T7_P12ihipStream_tbENKUlT_T0_E_clISt17integral_constantIbLb0EES10_IbLb1EEEEDaSW_SX_EUlSW_E_NS1_11comp_targetILNS1_3genE2ELNS1_11target_archE906ELNS1_3gpuE6ELNS1_3repE0EEENS1_30default_config_static_selectorELNS0_4arch9wavefront6targetE0EEEvT1_,"axG",@progbits,_ZN7rocprim17ROCPRIM_400000_NS6detail17trampoline_kernelINS0_14default_configENS1_27scan_by_key_config_selectorIijEEZZNS1_16scan_by_key_implILNS1_25lookback_scan_determinismE0ELb0ES3_N6thrust23THRUST_200600_302600_NS6detail15normal_iteratorINS9_10device_ptrIiEEEENSB_INSC_IjEEEESG_jNS9_4plusIvEENS9_8equal_toIvEEjEE10hipError_tPvRmT2_T3_T4_T5_mT6_T7_P12ihipStream_tbENKUlT_T0_E_clISt17integral_constantIbLb0EES10_IbLb1EEEEDaSW_SX_EUlSW_E_NS1_11comp_targetILNS1_3genE2ELNS1_11target_archE906ELNS1_3gpuE6ELNS1_3repE0EEENS1_30default_config_static_selectorELNS0_4arch9wavefront6targetE0EEEvT1_,comdat
.Lfunc_end1259:
	.size	_ZN7rocprim17ROCPRIM_400000_NS6detail17trampoline_kernelINS0_14default_configENS1_27scan_by_key_config_selectorIijEEZZNS1_16scan_by_key_implILNS1_25lookback_scan_determinismE0ELb0ES3_N6thrust23THRUST_200600_302600_NS6detail15normal_iteratorINS9_10device_ptrIiEEEENSB_INSC_IjEEEESG_jNS9_4plusIvEENS9_8equal_toIvEEjEE10hipError_tPvRmT2_T3_T4_T5_mT6_T7_P12ihipStream_tbENKUlT_T0_E_clISt17integral_constantIbLb0EES10_IbLb1EEEEDaSW_SX_EUlSW_E_NS1_11comp_targetILNS1_3genE2ELNS1_11target_archE906ELNS1_3gpuE6ELNS1_3repE0EEENS1_30default_config_static_selectorELNS0_4arch9wavefront6targetE0EEEvT1_, .Lfunc_end1259-_ZN7rocprim17ROCPRIM_400000_NS6detail17trampoline_kernelINS0_14default_configENS1_27scan_by_key_config_selectorIijEEZZNS1_16scan_by_key_implILNS1_25lookback_scan_determinismE0ELb0ES3_N6thrust23THRUST_200600_302600_NS6detail15normal_iteratorINS9_10device_ptrIiEEEENSB_INSC_IjEEEESG_jNS9_4plusIvEENS9_8equal_toIvEEjEE10hipError_tPvRmT2_T3_T4_T5_mT6_T7_P12ihipStream_tbENKUlT_T0_E_clISt17integral_constantIbLb0EES10_IbLb1EEEEDaSW_SX_EUlSW_E_NS1_11comp_targetILNS1_3genE2ELNS1_11target_archE906ELNS1_3gpuE6ELNS1_3repE0EEENS1_30default_config_static_selectorELNS0_4arch9wavefront6targetE0EEEvT1_
                                        ; -- End function
	.set _ZN7rocprim17ROCPRIM_400000_NS6detail17trampoline_kernelINS0_14default_configENS1_27scan_by_key_config_selectorIijEEZZNS1_16scan_by_key_implILNS1_25lookback_scan_determinismE0ELb0ES3_N6thrust23THRUST_200600_302600_NS6detail15normal_iteratorINS9_10device_ptrIiEEEENSB_INSC_IjEEEESG_jNS9_4plusIvEENS9_8equal_toIvEEjEE10hipError_tPvRmT2_T3_T4_T5_mT6_T7_P12ihipStream_tbENKUlT_T0_E_clISt17integral_constantIbLb0EES10_IbLb1EEEEDaSW_SX_EUlSW_E_NS1_11comp_targetILNS1_3genE2ELNS1_11target_archE906ELNS1_3gpuE6ELNS1_3repE0EEENS1_30default_config_static_selectorELNS0_4arch9wavefront6targetE0EEEvT1_.num_vgpr, 0
	.set _ZN7rocprim17ROCPRIM_400000_NS6detail17trampoline_kernelINS0_14default_configENS1_27scan_by_key_config_selectorIijEEZZNS1_16scan_by_key_implILNS1_25lookback_scan_determinismE0ELb0ES3_N6thrust23THRUST_200600_302600_NS6detail15normal_iteratorINS9_10device_ptrIiEEEENSB_INSC_IjEEEESG_jNS9_4plusIvEENS9_8equal_toIvEEjEE10hipError_tPvRmT2_T3_T4_T5_mT6_T7_P12ihipStream_tbENKUlT_T0_E_clISt17integral_constantIbLb0EES10_IbLb1EEEEDaSW_SX_EUlSW_E_NS1_11comp_targetILNS1_3genE2ELNS1_11target_archE906ELNS1_3gpuE6ELNS1_3repE0EEENS1_30default_config_static_selectorELNS0_4arch9wavefront6targetE0EEEvT1_.num_agpr, 0
	.set _ZN7rocprim17ROCPRIM_400000_NS6detail17trampoline_kernelINS0_14default_configENS1_27scan_by_key_config_selectorIijEEZZNS1_16scan_by_key_implILNS1_25lookback_scan_determinismE0ELb0ES3_N6thrust23THRUST_200600_302600_NS6detail15normal_iteratorINS9_10device_ptrIiEEEENSB_INSC_IjEEEESG_jNS9_4plusIvEENS9_8equal_toIvEEjEE10hipError_tPvRmT2_T3_T4_T5_mT6_T7_P12ihipStream_tbENKUlT_T0_E_clISt17integral_constantIbLb0EES10_IbLb1EEEEDaSW_SX_EUlSW_E_NS1_11comp_targetILNS1_3genE2ELNS1_11target_archE906ELNS1_3gpuE6ELNS1_3repE0EEENS1_30default_config_static_selectorELNS0_4arch9wavefront6targetE0EEEvT1_.numbered_sgpr, 0
	.set _ZN7rocprim17ROCPRIM_400000_NS6detail17trampoline_kernelINS0_14default_configENS1_27scan_by_key_config_selectorIijEEZZNS1_16scan_by_key_implILNS1_25lookback_scan_determinismE0ELb0ES3_N6thrust23THRUST_200600_302600_NS6detail15normal_iteratorINS9_10device_ptrIiEEEENSB_INSC_IjEEEESG_jNS9_4plusIvEENS9_8equal_toIvEEjEE10hipError_tPvRmT2_T3_T4_T5_mT6_T7_P12ihipStream_tbENKUlT_T0_E_clISt17integral_constantIbLb0EES10_IbLb1EEEEDaSW_SX_EUlSW_E_NS1_11comp_targetILNS1_3genE2ELNS1_11target_archE906ELNS1_3gpuE6ELNS1_3repE0EEENS1_30default_config_static_selectorELNS0_4arch9wavefront6targetE0EEEvT1_.num_named_barrier, 0
	.set _ZN7rocprim17ROCPRIM_400000_NS6detail17trampoline_kernelINS0_14default_configENS1_27scan_by_key_config_selectorIijEEZZNS1_16scan_by_key_implILNS1_25lookback_scan_determinismE0ELb0ES3_N6thrust23THRUST_200600_302600_NS6detail15normal_iteratorINS9_10device_ptrIiEEEENSB_INSC_IjEEEESG_jNS9_4plusIvEENS9_8equal_toIvEEjEE10hipError_tPvRmT2_T3_T4_T5_mT6_T7_P12ihipStream_tbENKUlT_T0_E_clISt17integral_constantIbLb0EES10_IbLb1EEEEDaSW_SX_EUlSW_E_NS1_11comp_targetILNS1_3genE2ELNS1_11target_archE906ELNS1_3gpuE6ELNS1_3repE0EEENS1_30default_config_static_selectorELNS0_4arch9wavefront6targetE0EEEvT1_.private_seg_size, 0
	.set _ZN7rocprim17ROCPRIM_400000_NS6detail17trampoline_kernelINS0_14default_configENS1_27scan_by_key_config_selectorIijEEZZNS1_16scan_by_key_implILNS1_25lookback_scan_determinismE0ELb0ES3_N6thrust23THRUST_200600_302600_NS6detail15normal_iteratorINS9_10device_ptrIiEEEENSB_INSC_IjEEEESG_jNS9_4plusIvEENS9_8equal_toIvEEjEE10hipError_tPvRmT2_T3_T4_T5_mT6_T7_P12ihipStream_tbENKUlT_T0_E_clISt17integral_constantIbLb0EES10_IbLb1EEEEDaSW_SX_EUlSW_E_NS1_11comp_targetILNS1_3genE2ELNS1_11target_archE906ELNS1_3gpuE6ELNS1_3repE0EEENS1_30default_config_static_selectorELNS0_4arch9wavefront6targetE0EEEvT1_.uses_vcc, 0
	.set _ZN7rocprim17ROCPRIM_400000_NS6detail17trampoline_kernelINS0_14default_configENS1_27scan_by_key_config_selectorIijEEZZNS1_16scan_by_key_implILNS1_25lookback_scan_determinismE0ELb0ES3_N6thrust23THRUST_200600_302600_NS6detail15normal_iteratorINS9_10device_ptrIiEEEENSB_INSC_IjEEEESG_jNS9_4plusIvEENS9_8equal_toIvEEjEE10hipError_tPvRmT2_T3_T4_T5_mT6_T7_P12ihipStream_tbENKUlT_T0_E_clISt17integral_constantIbLb0EES10_IbLb1EEEEDaSW_SX_EUlSW_E_NS1_11comp_targetILNS1_3genE2ELNS1_11target_archE906ELNS1_3gpuE6ELNS1_3repE0EEENS1_30default_config_static_selectorELNS0_4arch9wavefront6targetE0EEEvT1_.uses_flat_scratch, 0
	.set _ZN7rocprim17ROCPRIM_400000_NS6detail17trampoline_kernelINS0_14default_configENS1_27scan_by_key_config_selectorIijEEZZNS1_16scan_by_key_implILNS1_25lookback_scan_determinismE0ELb0ES3_N6thrust23THRUST_200600_302600_NS6detail15normal_iteratorINS9_10device_ptrIiEEEENSB_INSC_IjEEEESG_jNS9_4plusIvEENS9_8equal_toIvEEjEE10hipError_tPvRmT2_T3_T4_T5_mT6_T7_P12ihipStream_tbENKUlT_T0_E_clISt17integral_constantIbLb0EES10_IbLb1EEEEDaSW_SX_EUlSW_E_NS1_11comp_targetILNS1_3genE2ELNS1_11target_archE906ELNS1_3gpuE6ELNS1_3repE0EEENS1_30default_config_static_selectorELNS0_4arch9wavefront6targetE0EEEvT1_.has_dyn_sized_stack, 0
	.set _ZN7rocprim17ROCPRIM_400000_NS6detail17trampoline_kernelINS0_14default_configENS1_27scan_by_key_config_selectorIijEEZZNS1_16scan_by_key_implILNS1_25lookback_scan_determinismE0ELb0ES3_N6thrust23THRUST_200600_302600_NS6detail15normal_iteratorINS9_10device_ptrIiEEEENSB_INSC_IjEEEESG_jNS9_4plusIvEENS9_8equal_toIvEEjEE10hipError_tPvRmT2_T3_T4_T5_mT6_T7_P12ihipStream_tbENKUlT_T0_E_clISt17integral_constantIbLb0EES10_IbLb1EEEEDaSW_SX_EUlSW_E_NS1_11comp_targetILNS1_3genE2ELNS1_11target_archE906ELNS1_3gpuE6ELNS1_3repE0EEENS1_30default_config_static_selectorELNS0_4arch9wavefront6targetE0EEEvT1_.has_recursion, 0
	.set _ZN7rocprim17ROCPRIM_400000_NS6detail17trampoline_kernelINS0_14default_configENS1_27scan_by_key_config_selectorIijEEZZNS1_16scan_by_key_implILNS1_25lookback_scan_determinismE0ELb0ES3_N6thrust23THRUST_200600_302600_NS6detail15normal_iteratorINS9_10device_ptrIiEEEENSB_INSC_IjEEEESG_jNS9_4plusIvEENS9_8equal_toIvEEjEE10hipError_tPvRmT2_T3_T4_T5_mT6_T7_P12ihipStream_tbENKUlT_T0_E_clISt17integral_constantIbLb0EES10_IbLb1EEEEDaSW_SX_EUlSW_E_NS1_11comp_targetILNS1_3genE2ELNS1_11target_archE906ELNS1_3gpuE6ELNS1_3repE0EEENS1_30default_config_static_selectorELNS0_4arch9wavefront6targetE0EEEvT1_.has_indirect_call, 0
	.section	.AMDGPU.csdata,"",@progbits
; Kernel info:
; codeLenInByte = 0
; TotalNumSgprs: 0
; NumVgprs: 0
; ScratchSize: 0
; MemoryBound: 0
; FloatMode: 240
; IeeeMode: 1
; LDSByteSize: 0 bytes/workgroup (compile time only)
; SGPRBlocks: 0
; VGPRBlocks: 0
; NumSGPRsForWavesPerEU: 1
; NumVGPRsForWavesPerEU: 1
; NamedBarCnt: 0
; Occupancy: 16
; WaveLimiterHint : 0
; COMPUTE_PGM_RSRC2:SCRATCH_EN: 0
; COMPUTE_PGM_RSRC2:USER_SGPR: 2
; COMPUTE_PGM_RSRC2:TRAP_HANDLER: 0
; COMPUTE_PGM_RSRC2:TGID_X_EN: 1
; COMPUTE_PGM_RSRC2:TGID_Y_EN: 0
; COMPUTE_PGM_RSRC2:TGID_Z_EN: 0
; COMPUTE_PGM_RSRC2:TIDIG_COMP_CNT: 0
	.section	.text._ZN7rocprim17ROCPRIM_400000_NS6detail17trampoline_kernelINS0_14default_configENS1_27scan_by_key_config_selectorIijEEZZNS1_16scan_by_key_implILNS1_25lookback_scan_determinismE0ELb0ES3_N6thrust23THRUST_200600_302600_NS6detail15normal_iteratorINS9_10device_ptrIiEEEENSB_INSC_IjEEEESG_jNS9_4plusIvEENS9_8equal_toIvEEjEE10hipError_tPvRmT2_T3_T4_T5_mT6_T7_P12ihipStream_tbENKUlT_T0_E_clISt17integral_constantIbLb0EES10_IbLb1EEEEDaSW_SX_EUlSW_E_NS1_11comp_targetILNS1_3genE10ELNS1_11target_archE1200ELNS1_3gpuE4ELNS1_3repE0EEENS1_30default_config_static_selectorELNS0_4arch9wavefront6targetE0EEEvT1_,"axG",@progbits,_ZN7rocprim17ROCPRIM_400000_NS6detail17trampoline_kernelINS0_14default_configENS1_27scan_by_key_config_selectorIijEEZZNS1_16scan_by_key_implILNS1_25lookback_scan_determinismE0ELb0ES3_N6thrust23THRUST_200600_302600_NS6detail15normal_iteratorINS9_10device_ptrIiEEEENSB_INSC_IjEEEESG_jNS9_4plusIvEENS9_8equal_toIvEEjEE10hipError_tPvRmT2_T3_T4_T5_mT6_T7_P12ihipStream_tbENKUlT_T0_E_clISt17integral_constantIbLb0EES10_IbLb1EEEEDaSW_SX_EUlSW_E_NS1_11comp_targetILNS1_3genE10ELNS1_11target_archE1200ELNS1_3gpuE4ELNS1_3repE0EEENS1_30default_config_static_selectorELNS0_4arch9wavefront6targetE0EEEvT1_,comdat
	.protected	_ZN7rocprim17ROCPRIM_400000_NS6detail17trampoline_kernelINS0_14default_configENS1_27scan_by_key_config_selectorIijEEZZNS1_16scan_by_key_implILNS1_25lookback_scan_determinismE0ELb0ES3_N6thrust23THRUST_200600_302600_NS6detail15normal_iteratorINS9_10device_ptrIiEEEENSB_INSC_IjEEEESG_jNS9_4plusIvEENS9_8equal_toIvEEjEE10hipError_tPvRmT2_T3_T4_T5_mT6_T7_P12ihipStream_tbENKUlT_T0_E_clISt17integral_constantIbLb0EES10_IbLb1EEEEDaSW_SX_EUlSW_E_NS1_11comp_targetILNS1_3genE10ELNS1_11target_archE1200ELNS1_3gpuE4ELNS1_3repE0EEENS1_30default_config_static_selectorELNS0_4arch9wavefront6targetE0EEEvT1_ ; -- Begin function _ZN7rocprim17ROCPRIM_400000_NS6detail17trampoline_kernelINS0_14default_configENS1_27scan_by_key_config_selectorIijEEZZNS1_16scan_by_key_implILNS1_25lookback_scan_determinismE0ELb0ES3_N6thrust23THRUST_200600_302600_NS6detail15normal_iteratorINS9_10device_ptrIiEEEENSB_INSC_IjEEEESG_jNS9_4plusIvEENS9_8equal_toIvEEjEE10hipError_tPvRmT2_T3_T4_T5_mT6_T7_P12ihipStream_tbENKUlT_T0_E_clISt17integral_constantIbLb0EES10_IbLb1EEEEDaSW_SX_EUlSW_E_NS1_11comp_targetILNS1_3genE10ELNS1_11target_archE1200ELNS1_3gpuE4ELNS1_3repE0EEENS1_30default_config_static_selectorELNS0_4arch9wavefront6targetE0EEEvT1_
	.globl	_ZN7rocprim17ROCPRIM_400000_NS6detail17trampoline_kernelINS0_14default_configENS1_27scan_by_key_config_selectorIijEEZZNS1_16scan_by_key_implILNS1_25lookback_scan_determinismE0ELb0ES3_N6thrust23THRUST_200600_302600_NS6detail15normal_iteratorINS9_10device_ptrIiEEEENSB_INSC_IjEEEESG_jNS9_4plusIvEENS9_8equal_toIvEEjEE10hipError_tPvRmT2_T3_T4_T5_mT6_T7_P12ihipStream_tbENKUlT_T0_E_clISt17integral_constantIbLb0EES10_IbLb1EEEEDaSW_SX_EUlSW_E_NS1_11comp_targetILNS1_3genE10ELNS1_11target_archE1200ELNS1_3gpuE4ELNS1_3repE0EEENS1_30default_config_static_selectorELNS0_4arch9wavefront6targetE0EEEvT1_
	.p2align	8
	.type	_ZN7rocprim17ROCPRIM_400000_NS6detail17trampoline_kernelINS0_14default_configENS1_27scan_by_key_config_selectorIijEEZZNS1_16scan_by_key_implILNS1_25lookback_scan_determinismE0ELb0ES3_N6thrust23THRUST_200600_302600_NS6detail15normal_iteratorINS9_10device_ptrIiEEEENSB_INSC_IjEEEESG_jNS9_4plusIvEENS9_8equal_toIvEEjEE10hipError_tPvRmT2_T3_T4_T5_mT6_T7_P12ihipStream_tbENKUlT_T0_E_clISt17integral_constantIbLb0EES10_IbLb1EEEEDaSW_SX_EUlSW_E_NS1_11comp_targetILNS1_3genE10ELNS1_11target_archE1200ELNS1_3gpuE4ELNS1_3repE0EEENS1_30default_config_static_selectorELNS0_4arch9wavefront6targetE0EEEvT1_,@function
_ZN7rocprim17ROCPRIM_400000_NS6detail17trampoline_kernelINS0_14default_configENS1_27scan_by_key_config_selectorIijEEZZNS1_16scan_by_key_implILNS1_25lookback_scan_determinismE0ELb0ES3_N6thrust23THRUST_200600_302600_NS6detail15normal_iteratorINS9_10device_ptrIiEEEENSB_INSC_IjEEEESG_jNS9_4plusIvEENS9_8equal_toIvEEjEE10hipError_tPvRmT2_T3_T4_T5_mT6_T7_P12ihipStream_tbENKUlT_T0_E_clISt17integral_constantIbLb0EES10_IbLb1EEEEDaSW_SX_EUlSW_E_NS1_11comp_targetILNS1_3genE10ELNS1_11target_archE1200ELNS1_3gpuE4ELNS1_3repE0EEENS1_30default_config_static_selectorELNS0_4arch9wavefront6targetE0EEEvT1_: ; @_ZN7rocprim17ROCPRIM_400000_NS6detail17trampoline_kernelINS0_14default_configENS1_27scan_by_key_config_selectorIijEEZZNS1_16scan_by_key_implILNS1_25lookback_scan_determinismE0ELb0ES3_N6thrust23THRUST_200600_302600_NS6detail15normal_iteratorINS9_10device_ptrIiEEEENSB_INSC_IjEEEESG_jNS9_4plusIvEENS9_8equal_toIvEEjEE10hipError_tPvRmT2_T3_T4_T5_mT6_T7_P12ihipStream_tbENKUlT_T0_E_clISt17integral_constantIbLb0EES10_IbLb1EEEEDaSW_SX_EUlSW_E_NS1_11comp_targetILNS1_3genE10ELNS1_11target_archE1200ELNS1_3gpuE4ELNS1_3repE0EEENS1_30default_config_static_selectorELNS0_4arch9wavefront6targetE0EEEvT1_
; %bb.0:
	.section	.rodata,"a",@progbits
	.p2align	6, 0x0
	.amdhsa_kernel _ZN7rocprim17ROCPRIM_400000_NS6detail17trampoline_kernelINS0_14default_configENS1_27scan_by_key_config_selectorIijEEZZNS1_16scan_by_key_implILNS1_25lookback_scan_determinismE0ELb0ES3_N6thrust23THRUST_200600_302600_NS6detail15normal_iteratorINS9_10device_ptrIiEEEENSB_INSC_IjEEEESG_jNS9_4plusIvEENS9_8equal_toIvEEjEE10hipError_tPvRmT2_T3_T4_T5_mT6_T7_P12ihipStream_tbENKUlT_T0_E_clISt17integral_constantIbLb0EES10_IbLb1EEEEDaSW_SX_EUlSW_E_NS1_11comp_targetILNS1_3genE10ELNS1_11target_archE1200ELNS1_3gpuE4ELNS1_3repE0EEENS1_30default_config_static_selectorELNS0_4arch9wavefront6targetE0EEEvT1_
		.amdhsa_group_segment_fixed_size 0
		.amdhsa_private_segment_fixed_size 0
		.amdhsa_kernarg_size 112
		.amdhsa_user_sgpr_count 2
		.amdhsa_user_sgpr_dispatch_ptr 0
		.amdhsa_user_sgpr_queue_ptr 0
		.amdhsa_user_sgpr_kernarg_segment_ptr 1
		.amdhsa_user_sgpr_dispatch_id 0
		.amdhsa_user_sgpr_kernarg_preload_length 0
		.amdhsa_user_sgpr_kernarg_preload_offset 0
		.amdhsa_user_sgpr_private_segment_size 0
		.amdhsa_wavefront_size32 1
		.amdhsa_uses_dynamic_stack 0
		.amdhsa_enable_private_segment 0
		.amdhsa_system_sgpr_workgroup_id_x 1
		.amdhsa_system_sgpr_workgroup_id_y 0
		.amdhsa_system_sgpr_workgroup_id_z 0
		.amdhsa_system_sgpr_workgroup_info 0
		.amdhsa_system_vgpr_workitem_id 0
		.amdhsa_next_free_vgpr 1
		.amdhsa_next_free_sgpr 1
		.amdhsa_named_barrier_count 0
		.amdhsa_reserve_vcc 0
		.amdhsa_float_round_mode_32 0
		.amdhsa_float_round_mode_16_64 0
		.amdhsa_float_denorm_mode_32 3
		.amdhsa_float_denorm_mode_16_64 3
		.amdhsa_fp16_overflow 0
		.amdhsa_memory_ordered 1
		.amdhsa_forward_progress 1
		.amdhsa_inst_pref_size 0
		.amdhsa_round_robin_scheduling 0
		.amdhsa_exception_fp_ieee_invalid_op 0
		.amdhsa_exception_fp_denorm_src 0
		.amdhsa_exception_fp_ieee_div_zero 0
		.amdhsa_exception_fp_ieee_overflow 0
		.amdhsa_exception_fp_ieee_underflow 0
		.amdhsa_exception_fp_ieee_inexact 0
		.amdhsa_exception_int_div_zero 0
	.end_amdhsa_kernel
	.section	.text._ZN7rocprim17ROCPRIM_400000_NS6detail17trampoline_kernelINS0_14default_configENS1_27scan_by_key_config_selectorIijEEZZNS1_16scan_by_key_implILNS1_25lookback_scan_determinismE0ELb0ES3_N6thrust23THRUST_200600_302600_NS6detail15normal_iteratorINS9_10device_ptrIiEEEENSB_INSC_IjEEEESG_jNS9_4plusIvEENS9_8equal_toIvEEjEE10hipError_tPvRmT2_T3_T4_T5_mT6_T7_P12ihipStream_tbENKUlT_T0_E_clISt17integral_constantIbLb0EES10_IbLb1EEEEDaSW_SX_EUlSW_E_NS1_11comp_targetILNS1_3genE10ELNS1_11target_archE1200ELNS1_3gpuE4ELNS1_3repE0EEENS1_30default_config_static_selectorELNS0_4arch9wavefront6targetE0EEEvT1_,"axG",@progbits,_ZN7rocprim17ROCPRIM_400000_NS6detail17trampoline_kernelINS0_14default_configENS1_27scan_by_key_config_selectorIijEEZZNS1_16scan_by_key_implILNS1_25lookback_scan_determinismE0ELb0ES3_N6thrust23THRUST_200600_302600_NS6detail15normal_iteratorINS9_10device_ptrIiEEEENSB_INSC_IjEEEESG_jNS9_4plusIvEENS9_8equal_toIvEEjEE10hipError_tPvRmT2_T3_T4_T5_mT6_T7_P12ihipStream_tbENKUlT_T0_E_clISt17integral_constantIbLb0EES10_IbLb1EEEEDaSW_SX_EUlSW_E_NS1_11comp_targetILNS1_3genE10ELNS1_11target_archE1200ELNS1_3gpuE4ELNS1_3repE0EEENS1_30default_config_static_selectorELNS0_4arch9wavefront6targetE0EEEvT1_,comdat
.Lfunc_end1260:
	.size	_ZN7rocprim17ROCPRIM_400000_NS6detail17trampoline_kernelINS0_14default_configENS1_27scan_by_key_config_selectorIijEEZZNS1_16scan_by_key_implILNS1_25lookback_scan_determinismE0ELb0ES3_N6thrust23THRUST_200600_302600_NS6detail15normal_iteratorINS9_10device_ptrIiEEEENSB_INSC_IjEEEESG_jNS9_4plusIvEENS9_8equal_toIvEEjEE10hipError_tPvRmT2_T3_T4_T5_mT6_T7_P12ihipStream_tbENKUlT_T0_E_clISt17integral_constantIbLb0EES10_IbLb1EEEEDaSW_SX_EUlSW_E_NS1_11comp_targetILNS1_3genE10ELNS1_11target_archE1200ELNS1_3gpuE4ELNS1_3repE0EEENS1_30default_config_static_selectorELNS0_4arch9wavefront6targetE0EEEvT1_, .Lfunc_end1260-_ZN7rocprim17ROCPRIM_400000_NS6detail17trampoline_kernelINS0_14default_configENS1_27scan_by_key_config_selectorIijEEZZNS1_16scan_by_key_implILNS1_25lookback_scan_determinismE0ELb0ES3_N6thrust23THRUST_200600_302600_NS6detail15normal_iteratorINS9_10device_ptrIiEEEENSB_INSC_IjEEEESG_jNS9_4plusIvEENS9_8equal_toIvEEjEE10hipError_tPvRmT2_T3_T4_T5_mT6_T7_P12ihipStream_tbENKUlT_T0_E_clISt17integral_constantIbLb0EES10_IbLb1EEEEDaSW_SX_EUlSW_E_NS1_11comp_targetILNS1_3genE10ELNS1_11target_archE1200ELNS1_3gpuE4ELNS1_3repE0EEENS1_30default_config_static_selectorELNS0_4arch9wavefront6targetE0EEEvT1_
                                        ; -- End function
	.set _ZN7rocprim17ROCPRIM_400000_NS6detail17trampoline_kernelINS0_14default_configENS1_27scan_by_key_config_selectorIijEEZZNS1_16scan_by_key_implILNS1_25lookback_scan_determinismE0ELb0ES3_N6thrust23THRUST_200600_302600_NS6detail15normal_iteratorINS9_10device_ptrIiEEEENSB_INSC_IjEEEESG_jNS9_4plusIvEENS9_8equal_toIvEEjEE10hipError_tPvRmT2_T3_T4_T5_mT6_T7_P12ihipStream_tbENKUlT_T0_E_clISt17integral_constantIbLb0EES10_IbLb1EEEEDaSW_SX_EUlSW_E_NS1_11comp_targetILNS1_3genE10ELNS1_11target_archE1200ELNS1_3gpuE4ELNS1_3repE0EEENS1_30default_config_static_selectorELNS0_4arch9wavefront6targetE0EEEvT1_.num_vgpr, 0
	.set _ZN7rocprim17ROCPRIM_400000_NS6detail17trampoline_kernelINS0_14default_configENS1_27scan_by_key_config_selectorIijEEZZNS1_16scan_by_key_implILNS1_25lookback_scan_determinismE0ELb0ES3_N6thrust23THRUST_200600_302600_NS6detail15normal_iteratorINS9_10device_ptrIiEEEENSB_INSC_IjEEEESG_jNS9_4plusIvEENS9_8equal_toIvEEjEE10hipError_tPvRmT2_T3_T4_T5_mT6_T7_P12ihipStream_tbENKUlT_T0_E_clISt17integral_constantIbLb0EES10_IbLb1EEEEDaSW_SX_EUlSW_E_NS1_11comp_targetILNS1_3genE10ELNS1_11target_archE1200ELNS1_3gpuE4ELNS1_3repE0EEENS1_30default_config_static_selectorELNS0_4arch9wavefront6targetE0EEEvT1_.num_agpr, 0
	.set _ZN7rocprim17ROCPRIM_400000_NS6detail17trampoline_kernelINS0_14default_configENS1_27scan_by_key_config_selectorIijEEZZNS1_16scan_by_key_implILNS1_25lookback_scan_determinismE0ELb0ES3_N6thrust23THRUST_200600_302600_NS6detail15normal_iteratorINS9_10device_ptrIiEEEENSB_INSC_IjEEEESG_jNS9_4plusIvEENS9_8equal_toIvEEjEE10hipError_tPvRmT2_T3_T4_T5_mT6_T7_P12ihipStream_tbENKUlT_T0_E_clISt17integral_constantIbLb0EES10_IbLb1EEEEDaSW_SX_EUlSW_E_NS1_11comp_targetILNS1_3genE10ELNS1_11target_archE1200ELNS1_3gpuE4ELNS1_3repE0EEENS1_30default_config_static_selectorELNS0_4arch9wavefront6targetE0EEEvT1_.numbered_sgpr, 0
	.set _ZN7rocprim17ROCPRIM_400000_NS6detail17trampoline_kernelINS0_14default_configENS1_27scan_by_key_config_selectorIijEEZZNS1_16scan_by_key_implILNS1_25lookback_scan_determinismE0ELb0ES3_N6thrust23THRUST_200600_302600_NS6detail15normal_iteratorINS9_10device_ptrIiEEEENSB_INSC_IjEEEESG_jNS9_4plusIvEENS9_8equal_toIvEEjEE10hipError_tPvRmT2_T3_T4_T5_mT6_T7_P12ihipStream_tbENKUlT_T0_E_clISt17integral_constantIbLb0EES10_IbLb1EEEEDaSW_SX_EUlSW_E_NS1_11comp_targetILNS1_3genE10ELNS1_11target_archE1200ELNS1_3gpuE4ELNS1_3repE0EEENS1_30default_config_static_selectorELNS0_4arch9wavefront6targetE0EEEvT1_.num_named_barrier, 0
	.set _ZN7rocprim17ROCPRIM_400000_NS6detail17trampoline_kernelINS0_14default_configENS1_27scan_by_key_config_selectorIijEEZZNS1_16scan_by_key_implILNS1_25lookback_scan_determinismE0ELb0ES3_N6thrust23THRUST_200600_302600_NS6detail15normal_iteratorINS9_10device_ptrIiEEEENSB_INSC_IjEEEESG_jNS9_4plusIvEENS9_8equal_toIvEEjEE10hipError_tPvRmT2_T3_T4_T5_mT6_T7_P12ihipStream_tbENKUlT_T0_E_clISt17integral_constantIbLb0EES10_IbLb1EEEEDaSW_SX_EUlSW_E_NS1_11comp_targetILNS1_3genE10ELNS1_11target_archE1200ELNS1_3gpuE4ELNS1_3repE0EEENS1_30default_config_static_selectorELNS0_4arch9wavefront6targetE0EEEvT1_.private_seg_size, 0
	.set _ZN7rocprim17ROCPRIM_400000_NS6detail17trampoline_kernelINS0_14default_configENS1_27scan_by_key_config_selectorIijEEZZNS1_16scan_by_key_implILNS1_25lookback_scan_determinismE0ELb0ES3_N6thrust23THRUST_200600_302600_NS6detail15normal_iteratorINS9_10device_ptrIiEEEENSB_INSC_IjEEEESG_jNS9_4plusIvEENS9_8equal_toIvEEjEE10hipError_tPvRmT2_T3_T4_T5_mT6_T7_P12ihipStream_tbENKUlT_T0_E_clISt17integral_constantIbLb0EES10_IbLb1EEEEDaSW_SX_EUlSW_E_NS1_11comp_targetILNS1_3genE10ELNS1_11target_archE1200ELNS1_3gpuE4ELNS1_3repE0EEENS1_30default_config_static_selectorELNS0_4arch9wavefront6targetE0EEEvT1_.uses_vcc, 0
	.set _ZN7rocprim17ROCPRIM_400000_NS6detail17trampoline_kernelINS0_14default_configENS1_27scan_by_key_config_selectorIijEEZZNS1_16scan_by_key_implILNS1_25lookback_scan_determinismE0ELb0ES3_N6thrust23THRUST_200600_302600_NS6detail15normal_iteratorINS9_10device_ptrIiEEEENSB_INSC_IjEEEESG_jNS9_4plusIvEENS9_8equal_toIvEEjEE10hipError_tPvRmT2_T3_T4_T5_mT6_T7_P12ihipStream_tbENKUlT_T0_E_clISt17integral_constantIbLb0EES10_IbLb1EEEEDaSW_SX_EUlSW_E_NS1_11comp_targetILNS1_3genE10ELNS1_11target_archE1200ELNS1_3gpuE4ELNS1_3repE0EEENS1_30default_config_static_selectorELNS0_4arch9wavefront6targetE0EEEvT1_.uses_flat_scratch, 0
	.set _ZN7rocprim17ROCPRIM_400000_NS6detail17trampoline_kernelINS0_14default_configENS1_27scan_by_key_config_selectorIijEEZZNS1_16scan_by_key_implILNS1_25lookback_scan_determinismE0ELb0ES3_N6thrust23THRUST_200600_302600_NS6detail15normal_iteratorINS9_10device_ptrIiEEEENSB_INSC_IjEEEESG_jNS9_4plusIvEENS9_8equal_toIvEEjEE10hipError_tPvRmT2_T3_T4_T5_mT6_T7_P12ihipStream_tbENKUlT_T0_E_clISt17integral_constantIbLb0EES10_IbLb1EEEEDaSW_SX_EUlSW_E_NS1_11comp_targetILNS1_3genE10ELNS1_11target_archE1200ELNS1_3gpuE4ELNS1_3repE0EEENS1_30default_config_static_selectorELNS0_4arch9wavefront6targetE0EEEvT1_.has_dyn_sized_stack, 0
	.set _ZN7rocprim17ROCPRIM_400000_NS6detail17trampoline_kernelINS0_14default_configENS1_27scan_by_key_config_selectorIijEEZZNS1_16scan_by_key_implILNS1_25lookback_scan_determinismE0ELb0ES3_N6thrust23THRUST_200600_302600_NS6detail15normal_iteratorINS9_10device_ptrIiEEEENSB_INSC_IjEEEESG_jNS9_4plusIvEENS9_8equal_toIvEEjEE10hipError_tPvRmT2_T3_T4_T5_mT6_T7_P12ihipStream_tbENKUlT_T0_E_clISt17integral_constantIbLb0EES10_IbLb1EEEEDaSW_SX_EUlSW_E_NS1_11comp_targetILNS1_3genE10ELNS1_11target_archE1200ELNS1_3gpuE4ELNS1_3repE0EEENS1_30default_config_static_selectorELNS0_4arch9wavefront6targetE0EEEvT1_.has_recursion, 0
	.set _ZN7rocprim17ROCPRIM_400000_NS6detail17trampoline_kernelINS0_14default_configENS1_27scan_by_key_config_selectorIijEEZZNS1_16scan_by_key_implILNS1_25lookback_scan_determinismE0ELb0ES3_N6thrust23THRUST_200600_302600_NS6detail15normal_iteratorINS9_10device_ptrIiEEEENSB_INSC_IjEEEESG_jNS9_4plusIvEENS9_8equal_toIvEEjEE10hipError_tPvRmT2_T3_T4_T5_mT6_T7_P12ihipStream_tbENKUlT_T0_E_clISt17integral_constantIbLb0EES10_IbLb1EEEEDaSW_SX_EUlSW_E_NS1_11comp_targetILNS1_3genE10ELNS1_11target_archE1200ELNS1_3gpuE4ELNS1_3repE0EEENS1_30default_config_static_selectorELNS0_4arch9wavefront6targetE0EEEvT1_.has_indirect_call, 0
	.section	.AMDGPU.csdata,"",@progbits
; Kernel info:
; codeLenInByte = 0
; TotalNumSgprs: 0
; NumVgprs: 0
; ScratchSize: 0
; MemoryBound: 0
; FloatMode: 240
; IeeeMode: 1
; LDSByteSize: 0 bytes/workgroup (compile time only)
; SGPRBlocks: 0
; VGPRBlocks: 0
; NumSGPRsForWavesPerEU: 1
; NumVGPRsForWavesPerEU: 1
; NamedBarCnt: 0
; Occupancy: 16
; WaveLimiterHint : 0
; COMPUTE_PGM_RSRC2:SCRATCH_EN: 0
; COMPUTE_PGM_RSRC2:USER_SGPR: 2
; COMPUTE_PGM_RSRC2:TRAP_HANDLER: 0
; COMPUTE_PGM_RSRC2:TGID_X_EN: 1
; COMPUTE_PGM_RSRC2:TGID_Y_EN: 0
; COMPUTE_PGM_RSRC2:TGID_Z_EN: 0
; COMPUTE_PGM_RSRC2:TIDIG_COMP_CNT: 0
	.section	.text._ZN7rocprim17ROCPRIM_400000_NS6detail17trampoline_kernelINS0_14default_configENS1_27scan_by_key_config_selectorIijEEZZNS1_16scan_by_key_implILNS1_25lookback_scan_determinismE0ELb0ES3_N6thrust23THRUST_200600_302600_NS6detail15normal_iteratorINS9_10device_ptrIiEEEENSB_INSC_IjEEEESG_jNS9_4plusIvEENS9_8equal_toIvEEjEE10hipError_tPvRmT2_T3_T4_T5_mT6_T7_P12ihipStream_tbENKUlT_T0_E_clISt17integral_constantIbLb0EES10_IbLb1EEEEDaSW_SX_EUlSW_E_NS1_11comp_targetILNS1_3genE9ELNS1_11target_archE1100ELNS1_3gpuE3ELNS1_3repE0EEENS1_30default_config_static_selectorELNS0_4arch9wavefront6targetE0EEEvT1_,"axG",@progbits,_ZN7rocprim17ROCPRIM_400000_NS6detail17trampoline_kernelINS0_14default_configENS1_27scan_by_key_config_selectorIijEEZZNS1_16scan_by_key_implILNS1_25lookback_scan_determinismE0ELb0ES3_N6thrust23THRUST_200600_302600_NS6detail15normal_iteratorINS9_10device_ptrIiEEEENSB_INSC_IjEEEESG_jNS9_4plusIvEENS9_8equal_toIvEEjEE10hipError_tPvRmT2_T3_T4_T5_mT6_T7_P12ihipStream_tbENKUlT_T0_E_clISt17integral_constantIbLb0EES10_IbLb1EEEEDaSW_SX_EUlSW_E_NS1_11comp_targetILNS1_3genE9ELNS1_11target_archE1100ELNS1_3gpuE3ELNS1_3repE0EEENS1_30default_config_static_selectorELNS0_4arch9wavefront6targetE0EEEvT1_,comdat
	.protected	_ZN7rocprim17ROCPRIM_400000_NS6detail17trampoline_kernelINS0_14default_configENS1_27scan_by_key_config_selectorIijEEZZNS1_16scan_by_key_implILNS1_25lookback_scan_determinismE0ELb0ES3_N6thrust23THRUST_200600_302600_NS6detail15normal_iteratorINS9_10device_ptrIiEEEENSB_INSC_IjEEEESG_jNS9_4plusIvEENS9_8equal_toIvEEjEE10hipError_tPvRmT2_T3_T4_T5_mT6_T7_P12ihipStream_tbENKUlT_T0_E_clISt17integral_constantIbLb0EES10_IbLb1EEEEDaSW_SX_EUlSW_E_NS1_11comp_targetILNS1_3genE9ELNS1_11target_archE1100ELNS1_3gpuE3ELNS1_3repE0EEENS1_30default_config_static_selectorELNS0_4arch9wavefront6targetE0EEEvT1_ ; -- Begin function _ZN7rocprim17ROCPRIM_400000_NS6detail17trampoline_kernelINS0_14default_configENS1_27scan_by_key_config_selectorIijEEZZNS1_16scan_by_key_implILNS1_25lookback_scan_determinismE0ELb0ES3_N6thrust23THRUST_200600_302600_NS6detail15normal_iteratorINS9_10device_ptrIiEEEENSB_INSC_IjEEEESG_jNS9_4plusIvEENS9_8equal_toIvEEjEE10hipError_tPvRmT2_T3_T4_T5_mT6_T7_P12ihipStream_tbENKUlT_T0_E_clISt17integral_constantIbLb0EES10_IbLb1EEEEDaSW_SX_EUlSW_E_NS1_11comp_targetILNS1_3genE9ELNS1_11target_archE1100ELNS1_3gpuE3ELNS1_3repE0EEENS1_30default_config_static_selectorELNS0_4arch9wavefront6targetE0EEEvT1_
	.globl	_ZN7rocprim17ROCPRIM_400000_NS6detail17trampoline_kernelINS0_14default_configENS1_27scan_by_key_config_selectorIijEEZZNS1_16scan_by_key_implILNS1_25lookback_scan_determinismE0ELb0ES3_N6thrust23THRUST_200600_302600_NS6detail15normal_iteratorINS9_10device_ptrIiEEEENSB_INSC_IjEEEESG_jNS9_4plusIvEENS9_8equal_toIvEEjEE10hipError_tPvRmT2_T3_T4_T5_mT6_T7_P12ihipStream_tbENKUlT_T0_E_clISt17integral_constantIbLb0EES10_IbLb1EEEEDaSW_SX_EUlSW_E_NS1_11comp_targetILNS1_3genE9ELNS1_11target_archE1100ELNS1_3gpuE3ELNS1_3repE0EEENS1_30default_config_static_selectorELNS0_4arch9wavefront6targetE0EEEvT1_
	.p2align	8
	.type	_ZN7rocprim17ROCPRIM_400000_NS6detail17trampoline_kernelINS0_14default_configENS1_27scan_by_key_config_selectorIijEEZZNS1_16scan_by_key_implILNS1_25lookback_scan_determinismE0ELb0ES3_N6thrust23THRUST_200600_302600_NS6detail15normal_iteratorINS9_10device_ptrIiEEEENSB_INSC_IjEEEESG_jNS9_4plusIvEENS9_8equal_toIvEEjEE10hipError_tPvRmT2_T3_T4_T5_mT6_T7_P12ihipStream_tbENKUlT_T0_E_clISt17integral_constantIbLb0EES10_IbLb1EEEEDaSW_SX_EUlSW_E_NS1_11comp_targetILNS1_3genE9ELNS1_11target_archE1100ELNS1_3gpuE3ELNS1_3repE0EEENS1_30default_config_static_selectorELNS0_4arch9wavefront6targetE0EEEvT1_,@function
_ZN7rocprim17ROCPRIM_400000_NS6detail17trampoline_kernelINS0_14default_configENS1_27scan_by_key_config_selectorIijEEZZNS1_16scan_by_key_implILNS1_25lookback_scan_determinismE0ELb0ES3_N6thrust23THRUST_200600_302600_NS6detail15normal_iteratorINS9_10device_ptrIiEEEENSB_INSC_IjEEEESG_jNS9_4plusIvEENS9_8equal_toIvEEjEE10hipError_tPvRmT2_T3_T4_T5_mT6_T7_P12ihipStream_tbENKUlT_T0_E_clISt17integral_constantIbLb0EES10_IbLb1EEEEDaSW_SX_EUlSW_E_NS1_11comp_targetILNS1_3genE9ELNS1_11target_archE1100ELNS1_3gpuE3ELNS1_3repE0EEENS1_30default_config_static_selectorELNS0_4arch9wavefront6targetE0EEEvT1_: ; @_ZN7rocprim17ROCPRIM_400000_NS6detail17trampoline_kernelINS0_14default_configENS1_27scan_by_key_config_selectorIijEEZZNS1_16scan_by_key_implILNS1_25lookback_scan_determinismE0ELb0ES3_N6thrust23THRUST_200600_302600_NS6detail15normal_iteratorINS9_10device_ptrIiEEEENSB_INSC_IjEEEESG_jNS9_4plusIvEENS9_8equal_toIvEEjEE10hipError_tPvRmT2_T3_T4_T5_mT6_T7_P12ihipStream_tbENKUlT_T0_E_clISt17integral_constantIbLb0EES10_IbLb1EEEEDaSW_SX_EUlSW_E_NS1_11comp_targetILNS1_3genE9ELNS1_11target_archE1100ELNS1_3gpuE3ELNS1_3repE0EEENS1_30default_config_static_selectorELNS0_4arch9wavefront6targetE0EEEvT1_
; %bb.0:
	.section	.rodata,"a",@progbits
	.p2align	6, 0x0
	.amdhsa_kernel _ZN7rocprim17ROCPRIM_400000_NS6detail17trampoline_kernelINS0_14default_configENS1_27scan_by_key_config_selectorIijEEZZNS1_16scan_by_key_implILNS1_25lookback_scan_determinismE0ELb0ES3_N6thrust23THRUST_200600_302600_NS6detail15normal_iteratorINS9_10device_ptrIiEEEENSB_INSC_IjEEEESG_jNS9_4plusIvEENS9_8equal_toIvEEjEE10hipError_tPvRmT2_T3_T4_T5_mT6_T7_P12ihipStream_tbENKUlT_T0_E_clISt17integral_constantIbLb0EES10_IbLb1EEEEDaSW_SX_EUlSW_E_NS1_11comp_targetILNS1_3genE9ELNS1_11target_archE1100ELNS1_3gpuE3ELNS1_3repE0EEENS1_30default_config_static_selectorELNS0_4arch9wavefront6targetE0EEEvT1_
		.amdhsa_group_segment_fixed_size 0
		.amdhsa_private_segment_fixed_size 0
		.amdhsa_kernarg_size 112
		.amdhsa_user_sgpr_count 2
		.amdhsa_user_sgpr_dispatch_ptr 0
		.amdhsa_user_sgpr_queue_ptr 0
		.amdhsa_user_sgpr_kernarg_segment_ptr 1
		.amdhsa_user_sgpr_dispatch_id 0
		.amdhsa_user_sgpr_kernarg_preload_length 0
		.amdhsa_user_sgpr_kernarg_preload_offset 0
		.amdhsa_user_sgpr_private_segment_size 0
		.amdhsa_wavefront_size32 1
		.amdhsa_uses_dynamic_stack 0
		.amdhsa_enable_private_segment 0
		.amdhsa_system_sgpr_workgroup_id_x 1
		.amdhsa_system_sgpr_workgroup_id_y 0
		.amdhsa_system_sgpr_workgroup_id_z 0
		.amdhsa_system_sgpr_workgroup_info 0
		.amdhsa_system_vgpr_workitem_id 0
		.amdhsa_next_free_vgpr 1
		.amdhsa_next_free_sgpr 1
		.amdhsa_named_barrier_count 0
		.amdhsa_reserve_vcc 0
		.amdhsa_float_round_mode_32 0
		.amdhsa_float_round_mode_16_64 0
		.amdhsa_float_denorm_mode_32 3
		.amdhsa_float_denorm_mode_16_64 3
		.amdhsa_fp16_overflow 0
		.amdhsa_memory_ordered 1
		.amdhsa_forward_progress 1
		.amdhsa_inst_pref_size 0
		.amdhsa_round_robin_scheduling 0
		.amdhsa_exception_fp_ieee_invalid_op 0
		.amdhsa_exception_fp_denorm_src 0
		.amdhsa_exception_fp_ieee_div_zero 0
		.amdhsa_exception_fp_ieee_overflow 0
		.amdhsa_exception_fp_ieee_underflow 0
		.amdhsa_exception_fp_ieee_inexact 0
		.amdhsa_exception_int_div_zero 0
	.end_amdhsa_kernel
	.section	.text._ZN7rocprim17ROCPRIM_400000_NS6detail17trampoline_kernelINS0_14default_configENS1_27scan_by_key_config_selectorIijEEZZNS1_16scan_by_key_implILNS1_25lookback_scan_determinismE0ELb0ES3_N6thrust23THRUST_200600_302600_NS6detail15normal_iteratorINS9_10device_ptrIiEEEENSB_INSC_IjEEEESG_jNS9_4plusIvEENS9_8equal_toIvEEjEE10hipError_tPvRmT2_T3_T4_T5_mT6_T7_P12ihipStream_tbENKUlT_T0_E_clISt17integral_constantIbLb0EES10_IbLb1EEEEDaSW_SX_EUlSW_E_NS1_11comp_targetILNS1_3genE9ELNS1_11target_archE1100ELNS1_3gpuE3ELNS1_3repE0EEENS1_30default_config_static_selectorELNS0_4arch9wavefront6targetE0EEEvT1_,"axG",@progbits,_ZN7rocprim17ROCPRIM_400000_NS6detail17trampoline_kernelINS0_14default_configENS1_27scan_by_key_config_selectorIijEEZZNS1_16scan_by_key_implILNS1_25lookback_scan_determinismE0ELb0ES3_N6thrust23THRUST_200600_302600_NS6detail15normal_iteratorINS9_10device_ptrIiEEEENSB_INSC_IjEEEESG_jNS9_4plusIvEENS9_8equal_toIvEEjEE10hipError_tPvRmT2_T3_T4_T5_mT6_T7_P12ihipStream_tbENKUlT_T0_E_clISt17integral_constantIbLb0EES10_IbLb1EEEEDaSW_SX_EUlSW_E_NS1_11comp_targetILNS1_3genE9ELNS1_11target_archE1100ELNS1_3gpuE3ELNS1_3repE0EEENS1_30default_config_static_selectorELNS0_4arch9wavefront6targetE0EEEvT1_,comdat
.Lfunc_end1261:
	.size	_ZN7rocprim17ROCPRIM_400000_NS6detail17trampoline_kernelINS0_14default_configENS1_27scan_by_key_config_selectorIijEEZZNS1_16scan_by_key_implILNS1_25lookback_scan_determinismE0ELb0ES3_N6thrust23THRUST_200600_302600_NS6detail15normal_iteratorINS9_10device_ptrIiEEEENSB_INSC_IjEEEESG_jNS9_4plusIvEENS9_8equal_toIvEEjEE10hipError_tPvRmT2_T3_T4_T5_mT6_T7_P12ihipStream_tbENKUlT_T0_E_clISt17integral_constantIbLb0EES10_IbLb1EEEEDaSW_SX_EUlSW_E_NS1_11comp_targetILNS1_3genE9ELNS1_11target_archE1100ELNS1_3gpuE3ELNS1_3repE0EEENS1_30default_config_static_selectorELNS0_4arch9wavefront6targetE0EEEvT1_, .Lfunc_end1261-_ZN7rocprim17ROCPRIM_400000_NS6detail17trampoline_kernelINS0_14default_configENS1_27scan_by_key_config_selectorIijEEZZNS1_16scan_by_key_implILNS1_25lookback_scan_determinismE0ELb0ES3_N6thrust23THRUST_200600_302600_NS6detail15normal_iteratorINS9_10device_ptrIiEEEENSB_INSC_IjEEEESG_jNS9_4plusIvEENS9_8equal_toIvEEjEE10hipError_tPvRmT2_T3_T4_T5_mT6_T7_P12ihipStream_tbENKUlT_T0_E_clISt17integral_constantIbLb0EES10_IbLb1EEEEDaSW_SX_EUlSW_E_NS1_11comp_targetILNS1_3genE9ELNS1_11target_archE1100ELNS1_3gpuE3ELNS1_3repE0EEENS1_30default_config_static_selectorELNS0_4arch9wavefront6targetE0EEEvT1_
                                        ; -- End function
	.set _ZN7rocprim17ROCPRIM_400000_NS6detail17trampoline_kernelINS0_14default_configENS1_27scan_by_key_config_selectorIijEEZZNS1_16scan_by_key_implILNS1_25lookback_scan_determinismE0ELb0ES3_N6thrust23THRUST_200600_302600_NS6detail15normal_iteratorINS9_10device_ptrIiEEEENSB_INSC_IjEEEESG_jNS9_4plusIvEENS9_8equal_toIvEEjEE10hipError_tPvRmT2_T3_T4_T5_mT6_T7_P12ihipStream_tbENKUlT_T0_E_clISt17integral_constantIbLb0EES10_IbLb1EEEEDaSW_SX_EUlSW_E_NS1_11comp_targetILNS1_3genE9ELNS1_11target_archE1100ELNS1_3gpuE3ELNS1_3repE0EEENS1_30default_config_static_selectorELNS0_4arch9wavefront6targetE0EEEvT1_.num_vgpr, 0
	.set _ZN7rocprim17ROCPRIM_400000_NS6detail17trampoline_kernelINS0_14default_configENS1_27scan_by_key_config_selectorIijEEZZNS1_16scan_by_key_implILNS1_25lookback_scan_determinismE0ELb0ES3_N6thrust23THRUST_200600_302600_NS6detail15normal_iteratorINS9_10device_ptrIiEEEENSB_INSC_IjEEEESG_jNS9_4plusIvEENS9_8equal_toIvEEjEE10hipError_tPvRmT2_T3_T4_T5_mT6_T7_P12ihipStream_tbENKUlT_T0_E_clISt17integral_constantIbLb0EES10_IbLb1EEEEDaSW_SX_EUlSW_E_NS1_11comp_targetILNS1_3genE9ELNS1_11target_archE1100ELNS1_3gpuE3ELNS1_3repE0EEENS1_30default_config_static_selectorELNS0_4arch9wavefront6targetE0EEEvT1_.num_agpr, 0
	.set _ZN7rocprim17ROCPRIM_400000_NS6detail17trampoline_kernelINS0_14default_configENS1_27scan_by_key_config_selectorIijEEZZNS1_16scan_by_key_implILNS1_25lookback_scan_determinismE0ELb0ES3_N6thrust23THRUST_200600_302600_NS6detail15normal_iteratorINS9_10device_ptrIiEEEENSB_INSC_IjEEEESG_jNS9_4plusIvEENS9_8equal_toIvEEjEE10hipError_tPvRmT2_T3_T4_T5_mT6_T7_P12ihipStream_tbENKUlT_T0_E_clISt17integral_constantIbLb0EES10_IbLb1EEEEDaSW_SX_EUlSW_E_NS1_11comp_targetILNS1_3genE9ELNS1_11target_archE1100ELNS1_3gpuE3ELNS1_3repE0EEENS1_30default_config_static_selectorELNS0_4arch9wavefront6targetE0EEEvT1_.numbered_sgpr, 0
	.set _ZN7rocprim17ROCPRIM_400000_NS6detail17trampoline_kernelINS0_14default_configENS1_27scan_by_key_config_selectorIijEEZZNS1_16scan_by_key_implILNS1_25lookback_scan_determinismE0ELb0ES3_N6thrust23THRUST_200600_302600_NS6detail15normal_iteratorINS9_10device_ptrIiEEEENSB_INSC_IjEEEESG_jNS9_4plusIvEENS9_8equal_toIvEEjEE10hipError_tPvRmT2_T3_T4_T5_mT6_T7_P12ihipStream_tbENKUlT_T0_E_clISt17integral_constantIbLb0EES10_IbLb1EEEEDaSW_SX_EUlSW_E_NS1_11comp_targetILNS1_3genE9ELNS1_11target_archE1100ELNS1_3gpuE3ELNS1_3repE0EEENS1_30default_config_static_selectorELNS0_4arch9wavefront6targetE0EEEvT1_.num_named_barrier, 0
	.set _ZN7rocprim17ROCPRIM_400000_NS6detail17trampoline_kernelINS0_14default_configENS1_27scan_by_key_config_selectorIijEEZZNS1_16scan_by_key_implILNS1_25lookback_scan_determinismE0ELb0ES3_N6thrust23THRUST_200600_302600_NS6detail15normal_iteratorINS9_10device_ptrIiEEEENSB_INSC_IjEEEESG_jNS9_4plusIvEENS9_8equal_toIvEEjEE10hipError_tPvRmT2_T3_T4_T5_mT6_T7_P12ihipStream_tbENKUlT_T0_E_clISt17integral_constantIbLb0EES10_IbLb1EEEEDaSW_SX_EUlSW_E_NS1_11comp_targetILNS1_3genE9ELNS1_11target_archE1100ELNS1_3gpuE3ELNS1_3repE0EEENS1_30default_config_static_selectorELNS0_4arch9wavefront6targetE0EEEvT1_.private_seg_size, 0
	.set _ZN7rocprim17ROCPRIM_400000_NS6detail17trampoline_kernelINS0_14default_configENS1_27scan_by_key_config_selectorIijEEZZNS1_16scan_by_key_implILNS1_25lookback_scan_determinismE0ELb0ES3_N6thrust23THRUST_200600_302600_NS6detail15normal_iteratorINS9_10device_ptrIiEEEENSB_INSC_IjEEEESG_jNS9_4plusIvEENS9_8equal_toIvEEjEE10hipError_tPvRmT2_T3_T4_T5_mT6_T7_P12ihipStream_tbENKUlT_T0_E_clISt17integral_constantIbLb0EES10_IbLb1EEEEDaSW_SX_EUlSW_E_NS1_11comp_targetILNS1_3genE9ELNS1_11target_archE1100ELNS1_3gpuE3ELNS1_3repE0EEENS1_30default_config_static_selectorELNS0_4arch9wavefront6targetE0EEEvT1_.uses_vcc, 0
	.set _ZN7rocprim17ROCPRIM_400000_NS6detail17trampoline_kernelINS0_14default_configENS1_27scan_by_key_config_selectorIijEEZZNS1_16scan_by_key_implILNS1_25lookback_scan_determinismE0ELb0ES3_N6thrust23THRUST_200600_302600_NS6detail15normal_iteratorINS9_10device_ptrIiEEEENSB_INSC_IjEEEESG_jNS9_4plusIvEENS9_8equal_toIvEEjEE10hipError_tPvRmT2_T3_T4_T5_mT6_T7_P12ihipStream_tbENKUlT_T0_E_clISt17integral_constantIbLb0EES10_IbLb1EEEEDaSW_SX_EUlSW_E_NS1_11comp_targetILNS1_3genE9ELNS1_11target_archE1100ELNS1_3gpuE3ELNS1_3repE0EEENS1_30default_config_static_selectorELNS0_4arch9wavefront6targetE0EEEvT1_.uses_flat_scratch, 0
	.set _ZN7rocprim17ROCPRIM_400000_NS6detail17trampoline_kernelINS0_14default_configENS1_27scan_by_key_config_selectorIijEEZZNS1_16scan_by_key_implILNS1_25lookback_scan_determinismE0ELb0ES3_N6thrust23THRUST_200600_302600_NS6detail15normal_iteratorINS9_10device_ptrIiEEEENSB_INSC_IjEEEESG_jNS9_4plusIvEENS9_8equal_toIvEEjEE10hipError_tPvRmT2_T3_T4_T5_mT6_T7_P12ihipStream_tbENKUlT_T0_E_clISt17integral_constantIbLb0EES10_IbLb1EEEEDaSW_SX_EUlSW_E_NS1_11comp_targetILNS1_3genE9ELNS1_11target_archE1100ELNS1_3gpuE3ELNS1_3repE0EEENS1_30default_config_static_selectorELNS0_4arch9wavefront6targetE0EEEvT1_.has_dyn_sized_stack, 0
	.set _ZN7rocprim17ROCPRIM_400000_NS6detail17trampoline_kernelINS0_14default_configENS1_27scan_by_key_config_selectorIijEEZZNS1_16scan_by_key_implILNS1_25lookback_scan_determinismE0ELb0ES3_N6thrust23THRUST_200600_302600_NS6detail15normal_iteratorINS9_10device_ptrIiEEEENSB_INSC_IjEEEESG_jNS9_4plusIvEENS9_8equal_toIvEEjEE10hipError_tPvRmT2_T3_T4_T5_mT6_T7_P12ihipStream_tbENKUlT_T0_E_clISt17integral_constantIbLb0EES10_IbLb1EEEEDaSW_SX_EUlSW_E_NS1_11comp_targetILNS1_3genE9ELNS1_11target_archE1100ELNS1_3gpuE3ELNS1_3repE0EEENS1_30default_config_static_selectorELNS0_4arch9wavefront6targetE0EEEvT1_.has_recursion, 0
	.set _ZN7rocprim17ROCPRIM_400000_NS6detail17trampoline_kernelINS0_14default_configENS1_27scan_by_key_config_selectorIijEEZZNS1_16scan_by_key_implILNS1_25lookback_scan_determinismE0ELb0ES3_N6thrust23THRUST_200600_302600_NS6detail15normal_iteratorINS9_10device_ptrIiEEEENSB_INSC_IjEEEESG_jNS9_4plusIvEENS9_8equal_toIvEEjEE10hipError_tPvRmT2_T3_T4_T5_mT6_T7_P12ihipStream_tbENKUlT_T0_E_clISt17integral_constantIbLb0EES10_IbLb1EEEEDaSW_SX_EUlSW_E_NS1_11comp_targetILNS1_3genE9ELNS1_11target_archE1100ELNS1_3gpuE3ELNS1_3repE0EEENS1_30default_config_static_selectorELNS0_4arch9wavefront6targetE0EEEvT1_.has_indirect_call, 0
	.section	.AMDGPU.csdata,"",@progbits
; Kernel info:
; codeLenInByte = 0
; TotalNumSgprs: 0
; NumVgprs: 0
; ScratchSize: 0
; MemoryBound: 0
; FloatMode: 240
; IeeeMode: 1
; LDSByteSize: 0 bytes/workgroup (compile time only)
; SGPRBlocks: 0
; VGPRBlocks: 0
; NumSGPRsForWavesPerEU: 1
; NumVGPRsForWavesPerEU: 1
; NamedBarCnt: 0
; Occupancy: 16
; WaveLimiterHint : 0
; COMPUTE_PGM_RSRC2:SCRATCH_EN: 0
; COMPUTE_PGM_RSRC2:USER_SGPR: 2
; COMPUTE_PGM_RSRC2:TRAP_HANDLER: 0
; COMPUTE_PGM_RSRC2:TGID_X_EN: 1
; COMPUTE_PGM_RSRC2:TGID_Y_EN: 0
; COMPUTE_PGM_RSRC2:TGID_Z_EN: 0
; COMPUTE_PGM_RSRC2:TIDIG_COMP_CNT: 0
	.section	.text._ZN7rocprim17ROCPRIM_400000_NS6detail17trampoline_kernelINS0_14default_configENS1_27scan_by_key_config_selectorIijEEZZNS1_16scan_by_key_implILNS1_25lookback_scan_determinismE0ELb0ES3_N6thrust23THRUST_200600_302600_NS6detail15normal_iteratorINS9_10device_ptrIiEEEENSB_INSC_IjEEEESG_jNS9_4plusIvEENS9_8equal_toIvEEjEE10hipError_tPvRmT2_T3_T4_T5_mT6_T7_P12ihipStream_tbENKUlT_T0_E_clISt17integral_constantIbLb0EES10_IbLb1EEEEDaSW_SX_EUlSW_E_NS1_11comp_targetILNS1_3genE8ELNS1_11target_archE1030ELNS1_3gpuE2ELNS1_3repE0EEENS1_30default_config_static_selectorELNS0_4arch9wavefront6targetE0EEEvT1_,"axG",@progbits,_ZN7rocprim17ROCPRIM_400000_NS6detail17trampoline_kernelINS0_14default_configENS1_27scan_by_key_config_selectorIijEEZZNS1_16scan_by_key_implILNS1_25lookback_scan_determinismE0ELb0ES3_N6thrust23THRUST_200600_302600_NS6detail15normal_iteratorINS9_10device_ptrIiEEEENSB_INSC_IjEEEESG_jNS9_4plusIvEENS9_8equal_toIvEEjEE10hipError_tPvRmT2_T3_T4_T5_mT6_T7_P12ihipStream_tbENKUlT_T0_E_clISt17integral_constantIbLb0EES10_IbLb1EEEEDaSW_SX_EUlSW_E_NS1_11comp_targetILNS1_3genE8ELNS1_11target_archE1030ELNS1_3gpuE2ELNS1_3repE0EEENS1_30default_config_static_selectorELNS0_4arch9wavefront6targetE0EEEvT1_,comdat
	.protected	_ZN7rocprim17ROCPRIM_400000_NS6detail17trampoline_kernelINS0_14default_configENS1_27scan_by_key_config_selectorIijEEZZNS1_16scan_by_key_implILNS1_25lookback_scan_determinismE0ELb0ES3_N6thrust23THRUST_200600_302600_NS6detail15normal_iteratorINS9_10device_ptrIiEEEENSB_INSC_IjEEEESG_jNS9_4plusIvEENS9_8equal_toIvEEjEE10hipError_tPvRmT2_T3_T4_T5_mT6_T7_P12ihipStream_tbENKUlT_T0_E_clISt17integral_constantIbLb0EES10_IbLb1EEEEDaSW_SX_EUlSW_E_NS1_11comp_targetILNS1_3genE8ELNS1_11target_archE1030ELNS1_3gpuE2ELNS1_3repE0EEENS1_30default_config_static_selectorELNS0_4arch9wavefront6targetE0EEEvT1_ ; -- Begin function _ZN7rocprim17ROCPRIM_400000_NS6detail17trampoline_kernelINS0_14default_configENS1_27scan_by_key_config_selectorIijEEZZNS1_16scan_by_key_implILNS1_25lookback_scan_determinismE0ELb0ES3_N6thrust23THRUST_200600_302600_NS6detail15normal_iteratorINS9_10device_ptrIiEEEENSB_INSC_IjEEEESG_jNS9_4plusIvEENS9_8equal_toIvEEjEE10hipError_tPvRmT2_T3_T4_T5_mT6_T7_P12ihipStream_tbENKUlT_T0_E_clISt17integral_constantIbLb0EES10_IbLb1EEEEDaSW_SX_EUlSW_E_NS1_11comp_targetILNS1_3genE8ELNS1_11target_archE1030ELNS1_3gpuE2ELNS1_3repE0EEENS1_30default_config_static_selectorELNS0_4arch9wavefront6targetE0EEEvT1_
	.globl	_ZN7rocprim17ROCPRIM_400000_NS6detail17trampoline_kernelINS0_14default_configENS1_27scan_by_key_config_selectorIijEEZZNS1_16scan_by_key_implILNS1_25lookback_scan_determinismE0ELb0ES3_N6thrust23THRUST_200600_302600_NS6detail15normal_iteratorINS9_10device_ptrIiEEEENSB_INSC_IjEEEESG_jNS9_4plusIvEENS9_8equal_toIvEEjEE10hipError_tPvRmT2_T3_T4_T5_mT6_T7_P12ihipStream_tbENKUlT_T0_E_clISt17integral_constantIbLb0EES10_IbLb1EEEEDaSW_SX_EUlSW_E_NS1_11comp_targetILNS1_3genE8ELNS1_11target_archE1030ELNS1_3gpuE2ELNS1_3repE0EEENS1_30default_config_static_selectorELNS0_4arch9wavefront6targetE0EEEvT1_
	.p2align	8
	.type	_ZN7rocprim17ROCPRIM_400000_NS6detail17trampoline_kernelINS0_14default_configENS1_27scan_by_key_config_selectorIijEEZZNS1_16scan_by_key_implILNS1_25lookback_scan_determinismE0ELb0ES3_N6thrust23THRUST_200600_302600_NS6detail15normal_iteratorINS9_10device_ptrIiEEEENSB_INSC_IjEEEESG_jNS9_4plusIvEENS9_8equal_toIvEEjEE10hipError_tPvRmT2_T3_T4_T5_mT6_T7_P12ihipStream_tbENKUlT_T0_E_clISt17integral_constantIbLb0EES10_IbLb1EEEEDaSW_SX_EUlSW_E_NS1_11comp_targetILNS1_3genE8ELNS1_11target_archE1030ELNS1_3gpuE2ELNS1_3repE0EEENS1_30default_config_static_selectorELNS0_4arch9wavefront6targetE0EEEvT1_,@function
_ZN7rocprim17ROCPRIM_400000_NS6detail17trampoline_kernelINS0_14default_configENS1_27scan_by_key_config_selectorIijEEZZNS1_16scan_by_key_implILNS1_25lookback_scan_determinismE0ELb0ES3_N6thrust23THRUST_200600_302600_NS6detail15normal_iteratorINS9_10device_ptrIiEEEENSB_INSC_IjEEEESG_jNS9_4plusIvEENS9_8equal_toIvEEjEE10hipError_tPvRmT2_T3_T4_T5_mT6_T7_P12ihipStream_tbENKUlT_T0_E_clISt17integral_constantIbLb0EES10_IbLb1EEEEDaSW_SX_EUlSW_E_NS1_11comp_targetILNS1_3genE8ELNS1_11target_archE1030ELNS1_3gpuE2ELNS1_3repE0EEENS1_30default_config_static_selectorELNS0_4arch9wavefront6targetE0EEEvT1_: ; @_ZN7rocprim17ROCPRIM_400000_NS6detail17trampoline_kernelINS0_14default_configENS1_27scan_by_key_config_selectorIijEEZZNS1_16scan_by_key_implILNS1_25lookback_scan_determinismE0ELb0ES3_N6thrust23THRUST_200600_302600_NS6detail15normal_iteratorINS9_10device_ptrIiEEEENSB_INSC_IjEEEESG_jNS9_4plusIvEENS9_8equal_toIvEEjEE10hipError_tPvRmT2_T3_T4_T5_mT6_T7_P12ihipStream_tbENKUlT_T0_E_clISt17integral_constantIbLb0EES10_IbLb1EEEEDaSW_SX_EUlSW_E_NS1_11comp_targetILNS1_3genE8ELNS1_11target_archE1030ELNS1_3gpuE2ELNS1_3repE0EEENS1_30default_config_static_selectorELNS0_4arch9wavefront6targetE0EEEvT1_
; %bb.0:
	.section	.rodata,"a",@progbits
	.p2align	6, 0x0
	.amdhsa_kernel _ZN7rocprim17ROCPRIM_400000_NS6detail17trampoline_kernelINS0_14default_configENS1_27scan_by_key_config_selectorIijEEZZNS1_16scan_by_key_implILNS1_25lookback_scan_determinismE0ELb0ES3_N6thrust23THRUST_200600_302600_NS6detail15normal_iteratorINS9_10device_ptrIiEEEENSB_INSC_IjEEEESG_jNS9_4plusIvEENS9_8equal_toIvEEjEE10hipError_tPvRmT2_T3_T4_T5_mT6_T7_P12ihipStream_tbENKUlT_T0_E_clISt17integral_constantIbLb0EES10_IbLb1EEEEDaSW_SX_EUlSW_E_NS1_11comp_targetILNS1_3genE8ELNS1_11target_archE1030ELNS1_3gpuE2ELNS1_3repE0EEENS1_30default_config_static_selectorELNS0_4arch9wavefront6targetE0EEEvT1_
		.amdhsa_group_segment_fixed_size 0
		.amdhsa_private_segment_fixed_size 0
		.amdhsa_kernarg_size 112
		.amdhsa_user_sgpr_count 2
		.amdhsa_user_sgpr_dispatch_ptr 0
		.amdhsa_user_sgpr_queue_ptr 0
		.amdhsa_user_sgpr_kernarg_segment_ptr 1
		.amdhsa_user_sgpr_dispatch_id 0
		.amdhsa_user_sgpr_kernarg_preload_length 0
		.amdhsa_user_sgpr_kernarg_preload_offset 0
		.amdhsa_user_sgpr_private_segment_size 0
		.amdhsa_wavefront_size32 1
		.amdhsa_uses_dynamic_stack 0
		.amdhsa_enable_private_segment 0
		.amdhsa_system_sgpr_workgroup_id_x 1
		.amdhsa_system_sgpr_workgroup_id_y 0
		.amdhsa_system_sgpr_workgroup_id_z 0
		.amdhsa_system_sgpr_workgroup_info 0
		.amdhsa_system_vgpr_workitem_id 0
		.amdhsa_next_free_vgpr 1
		.amdhsa_next_free_sgpr 1
		.amdhsa_named_barrier_count 0
		.amdhsa_reserve_vcc 0
		.amdhsa_float_round_mode_32 0
		.amdhsa_float_round_mode_16_64 0
		.amdhsa_float_denorm_mode_32 3
		.amdhsa_float_denorm_mode_16_64 3
		.amdhsa_fp16_overflow 0
		.amdhsa_memory_ordered 1
		.amdhsa_forward_progress 1
		.amdhsa_inst_pref_size 0
		.amdhsa_round_robin_scheduling 0
		.amdhsa_exception_fp_ieee_invalid_op 0
		.amdhsa_exception_fp_denorm_src 0
		.amdhsa_exception_fp_ieee_div_zero 0
		.amdhsa_exception_fp_ieee_overflow 0
		.amdhsa_exception_fp_ieee_underflow 0
		.amdhsa_exception_fp_ieee_inexact 0
		.amdhsa_exception_int_div_zero 0
	.end_amdhsa_kernel
	.section	.text._ZN7rocprim17ROCPRIM_400000_NS6detail17trampoline_kernelINS0_14default_configENS1_27scan_by_key_config_selectorIijEEZZNS1_16scan_by_key_implILNS1_25lookback_scan_determinismE0ELb0ES3_N6thrust23THRUST_200600_302600_NS6detail15normal_iteratorINS9_10device_ptrIiEEEENSB_INSC_IjEEEESG_jNS9_4plusIvEENS9_8equal_toIvEEjEE10hipError_tPvRmT2_T3_T4_T5_mT6_T7_P12ihipStream_tbENKUlT_T0_E_clISt17integral_constantIbLb0EES10_IbLb1EEEEDaSW_SX_EUlSW_E_NS1_11comp_targetILNS1_3genE8ELNS1_11target_archE1030ELNS1_3gpuE2ELNS1_3repE0EEENS1_30default_config_static_selectorELNS0_4arch9wavefront6targetE0EEEvT1_,"axG",@progbits,_ZN7rocprim17ROCPRIM_400000_NS6detail17trampoline_kernelINS0_14default_configENS1_27scan_by_key_config_selectorIijEEZZNS1_16scan_by_key_implILNS1_25lookback_scan_determinismE0ELb0ES3_N6thrust23THRUST_200600_302600_NS6detail15normal_iteratorINS9_10device_ptrIiEEEENSB_INSC_IjEEEESG_jNS9_4plusIvEENS9_8equal_toIvEEjEE10hipError_tPvRmT2_T3_T4_T5_mT6_T7_P12ihipStream_tbENKUlT_T0_E_clISt17integral_constantIbLb0EES10_IbLb1EEEEDaSW_SX_EUlSW_E_NS1_11comp_targetILNS1_3genE8ELNS1_11target_archE1030ELNS1_3gpuE2ELNS1_3repE0EEENS1_30default_config_static_selectorELNS0_4arch9wavefront6targetE0EEEvT1_,comdat
.Lfunc_end1262:
	.size	_ZN7rocprim17ROCPRIM_400000_NS6detail17trampoline_kernelINS0_14default_configENS1_27scan_by_key_config_selectorIijEEZZNS1_16scan_by_key_implILNS1_25lookback_scan_determinismE0ELb0ES3_N6thrust23THRUST_200600_302600_NS6detail15normal_iteratorINS9_10device_ptrIiEEEENSB_INSC_IjEEEESG_jNS9_4plusIvEENS9_8equal_toIvEEjEE10hipError_tPvRmT2_T3_T4_T5_mT6_T7_P12ihipStream_tbENKUlT_T0_E_clISt17integral_constantIbLb0EES10_IbLb1EEEEDaSW_SX_EUlSW_E_NS1_11comp_targetILNS1_3genE8ELNS1_11target_archE1030ELNS1_3gpuE2ELNS1_3repE0EEENS1_30default_config_static_selectorELNS0_4arch9wavefront6targetE0EEEvT1_, .Lfunc_end1262-_ZN7rocprim17ROCPRIM_400000_NS6detail17trampoline_kernelINS0_14default_configENS1_27scan_by_key_config_selectorIijEEZZNS1_16scan_by_key_implILNS1_25lookback_scan_determinismE0ELb0ES3_N6thrust23THRUST_200600_302600_NS6detail15normal_iteratorINS9_10device_ptrIiEEEENSB_INSC_IjEEEESG_jNS9_4plusIvEENS9_8equal_toIvEEjEE10hipError_tPvRmT2_T3_T4_T5_mT6_T7_P12ihipStream_tbENKUlT_T0_E_clISt17integral_constantIbLb0EES10_IbLb1EEEEDaSW_SX_EUlSW_E_NS1_11comp_targetILNS1_3genE8ELNS1_11target_archE1030ELNS1_3gpuE2ELNS1_3repE0EEENS1_30default_config_static_selectorELNS0_4arch9wavefront6targetE0EEEvT1_
                                        ; -- End function
	.set _ZN7rocprim17ROCPRIM_400000_NS6detail17trampoline_kernelINS0_14default_configENS1_27scan_by_key_config_selectorIijEEZZNS1_16scan_by_key_implILNS1_25lookback_scan_determinismE0ELb0ES3_N6thrust23THRUST_200600_302600_NS6detail15normal_iteratorINS9_10device_ptrIiEEEENSB_INSC_IjEEEESG_jNS9_4plusIvEENS9_8equal_toIvEEjEE10hipError_tPvRmT2_T3_T4_T5_mT6_T7_P12ihipStream_tbENKUlT_T0_E_clISt17integral_constantIbLb0EES10_IbLb1EEEEDaSW_SX_EUlSW_E_NS1_11comp_targetILNS1_3genE8ELNS1_11target_archE1030ELNS1_3gpuE2ELNS1_3repE0EEENS1_30default_config_static_selectorELNS0_4arch9wavefront6targetE0EEEvT1_.num_vgpr, 0
	.set _ZN7rocprim17ROCPRIM_400000_NS6detail17trampoline_kernelINS0_14default_configENS1_27scan_by_key_config_selectorIijEEZZNS1_16scan_by_key_implILNS1_25lookback_scan_determinismE0ELb0ES3_N6thrust23THRUST_200600_302600_NS6detail15normal_iteratorINS9_10device_ptrIiEEEENSB_INSC_IjEEEESG_jNS9_4plusIvEENS9_8equal_toIvEEjEE10hipError_tPvRmT2_T3_T4_T5_mT6_T7_P12ihipStream_tbENKUlT_T0_E_clISt17integral_constantIbLb0EES10_IbLb1EEEEDaSW_SX_EUlSW_E_NS1_11comp_targetILNS1_3genE8ELNS1_11target_archE1030ELNS1_3gpuE2ELNS1_3repE0EEENS1_30default_config_static_selectorELNS0_4arch9wavefront6targetE0EEEvT1_.num_agpr, 0
	.set _ZN7rocprim17ROCPRIM_400000_NS6detail17trampoline_kernelINS0_14default_configENS1_27scan_by_key_config_selectorIijEEZZNS1_16scan_by_key_implILNS1_25lookback_scan_determinismE0ELb0ES3_N6thrust23THRUST_200600_302600_NS6detail15normal_iteratorINS9_10device_ptrIiEEEENSB_INSC_IjEEEESG_jNS9_4plusIvEENS9_8equal_toIvEEjEE10hipError_tPvRmT2_T3_T4_T5_mT6_T7_P12ihipStream_tbENKUlT_T0_E_clISt17integral_constantIbLb0EES10_IbLb1EEEEDaSW_SX_EUlSW_E_NS1_11comp_targetILNS1_3genE8ELNS1_11target_archE1030ELNS1_3gpuE2ELNS1_3repE0EEENS1_30default_config_static_selectorELNS0_4arch9wavefront6targetE0EEEvT1_.numbered_sgpr, 0
	.set _ZN7rocprim17ROCPRIM_400000_NS6detail17trampoline_kernelINS0_14default_configENS1_27scan_by_key_config_selectorIijEEZZNS1_16scan_by_key_implILNS1_25lookback_scan_determinismE0ELb0ES3_N6thrust23THRUST_200600_302600_NS6detail15normal_iteratorINS9_10device_ptrIiEEEENSB_INSC_IjEEEESG_jNS9_4plusIvEENS9_8equal_toIvEEjEE10hipError_tPvRmT2_T3_T4_T5_mT6_T7_P12ihipStream_tbENKUlT_T0_E_clISt17integral_constantIbLb0EES10_IbLb1EEEEDaSW_SX_EUlSW_E_NS1_11comp_targetILNS1_3genE8ELNS1_11target_archE1030ELNS1_3gpuE2ELNS1_3repE0EEENS1_30default_config_static_selectorELNS0_4arch9wavefront6targetE0EEEvT1_.num_named_barrier, 0
	.set _ZN7rocprim17ROCPRIM_400000_NS6detail17trampoline_kernelINS0_14default_configENS1_27scan_by_key_config_selectorIijEEZZNS1_16scan_by_key_implILNS1_25lookback_scan_determinismE0ELb0ES3_N6thrust23THRUST_200600_302600_NS6detail15normal_iteratorINS9_10device_ptrIiEEEENSB_INSC_IjEEEESG_jNS9_4plusIvEENS9_8equal_toIvEEjEE10hipError_tPvRmT2_T3_T4_T5_mT6_T7_P12ihipStream_tbENKUlT_T0_E_clISt17integral_constantIbLb0EES10_IbLb1EEEEDaSW_SX_EUlSW_E_NS1_11comp_targetILNS1_3genE8ELNS1_11target_archE1030ELNS1_3gpuE2ELNS1_3repE0EEENS1_30default_config_static_selectorELNS0_4arch9wavefront6targetE0EEEvT1_.private_seg_size, 0
	.set _ZN7rocprim17ROCPRIM_400000_NS6detail17trampoline_kernelINS0_14default_configENS1_27scan_by_key_config_selectorIijEEZZNS1_16scan_by_key_implILNS1_25lookback_scan_determinismE0ELb0ES3_N6thrust23THRUST_200600_302600_NS6detail15normal_iteratorINS9_10device_ptrIiEEEENSB_INSC_IjEEEESG_jNS9_4plusIvEENS9_8equal_toIvEEjEE10hipError_tPvRmT2_T3_T4_T5_mT6_T7_P12ihipStream_tbENKUlT_T0_E_clISt17integral_constantIbLb0EES10_IbLb1EEEEDaSW_SX_EUlSW_E_NS1_11comp_targetILNS1_3genE8ELNS1_11target_archE1030ELNS1_3gpuE2ELNS1_3repE0EEENS1_30default_config_static_selectorELNS0_4arch9wavefront6targetE0EEEvT1_.uses_vcc, 0
	.set _ZN7rocprim17ROCPRIM_400000_NS6detail17trampoline_kernelINS0_14default_configENS1_27scan_by_key_config_selectorIijEEZZNS1_16scan_by_key_implILNS1_25lookback_scan_determinismE0ELb0ES3_N6thrust23THRUST_200600_302600_NS6detail15normal_iteratorINS9_10device_ptrIiEEEENSB_INSC_IjEEEESG_jNS9_4plusIvEENS9_8equal_toIvEEjEE10hipError_tPvRmT2_T3_T4_T5_mT6_T7_P12ihipStream_tbENKUlT_T0_E_clISt17integral_constantIbLb0EES10_IbLb1EEEEDaSW_SX_EUlSW_E_NS1_11comp_targetILNS1_3genE8ELNS1_11target_archE1030ELNS1_3gpuE2ELNS1_3repE0EEENS1_30default_config_static_selectorELNS0_4arch9wavefront6targetE0EEEvT1_.uses_flat_scratch, 0
	.set _ZN7rocprim17ROCPRIM_400000_NS6detail17trampoline_kernelINS0_14default_configENS1_27scan_by_key_config_selectorIijEEZZNS1_16scan_by_key_implILNS1_25lookback_scan_determinismE0ELb0ES3_N6thrust23THRUST_200600_302600_NS6detail15normal_iteratorINS9_10device_ptrIiEEEENSB_INSC_IjEEEESG_jNS9_4plusIvEENS9_8equal_toIvEEjEE10hipError_tPvRmT2_T3_T4_T5_mT6_T7_P12ihipStream_tbENKUlT_T0_E_clISt17integral_constantIbLb0EES10_IbLb1EEEEDaSW_SX_EUlSW_E_NS1_11comp_targetILNS1_3genE8ELNS1_11target_archE1030ELNS1_3gpuE2ELNS1_3repE0EEENS1_30default_config_static_selectorELNS0_4arch9wavefront6targetE0EEEvT1_.has_dyn_sized_stack, 0
	.set _ZN7rocprim17ROCPRIM_400000_NS6detail17trampoline_kernelINS0_14default_configENS1_27scan_by_key_config_selectorIijEEZZNS1_16scan_by_key_implILNS1_25lookback_scan_determinismE0ELb0ES3_N6thrust23THRUST_200600_302600_NS6detail15normal_iteratorINS9_10device_ptrIiEEEENSB_INSC_IjEEEESG_jNS9_4plusIvEENS9_8equal_toIvEEjEE10hipError_tPvRmT2_T3_T4_T5_mT6_T7_P12ihipStream_tbENKUlT_T0_E_clISt17integral_constantIbLb0EES10_IbLb1EEEEDaSW_SX_EUlSW_E_NS1_11comp_targetILNS1_3genE8ELNS1_11target_archE1030ELNS1_3gpuE2ELNS1_3repE0EEENS1_30default_config_static_selectorELNS0_4arch9wavefront6targetE0EEEvT1_.has_recursion, 0
	.set _ZN7rocprim17ROCPRIM_400000_NS6detail17trampoline_kernelINS0_14default_configENS1_27scan_by_key_config_selectorIijEEZZNS1_16scan_by_key_implILNS1_25lookback_scan_determinismE0ELb0ES3_N6thrust23THRUST_200600_302600_NS6detail15normal_iteratorINS9_10device_ptrIiEEEENSB_INSC_IjEEEESG_jNS9_4plusIvEENS9_8equal_toIvEEjEE10hipError_tPvRmT2_T3_T4_T5_mT6_T7_P12ihipStream_tbENKUlT_T0_E_clISt17integral_constantIbLb0EES10_IbLb1EEEEDaSW_SX_EUlSW_E_NS1_11comp_targetILNS1_3genE8ELNS1_11target_archE1030ELNS1_3gpuE2ELNS1_3repE0EEENS1_30default_config_static_selectorELNS0_4arch9wavefront6targetE0EEEvT1_.has_indirect_call, 0
	.section	.AMDGPU.csdata,"",@progbits
; Kernel info:
; codeLenInByte = 0
; TotalNumSgprs: 0
; NumVgprs: 0
; ScratchSize: 0
; MemoryBound: 0
; FloatMode: 240
; IeeeMode: 1
; LDSByteSize: 0 bytes/workgroup (compile time only)
; SGPRBlocks: 0
; VGPRBlocks: 0
; NumSGPRsForWavesPerEU: 1
; NumVGPRsForWavesPerEU: 1
; NamedBarCnt: 0
; Occupancy: 16
; WaveLimiterHint : 0
; COMPUTE_PGM_RSRC2:SCRATCH_EN: 0
; COMPUTE_PGM_RSRC2:USER_SGPR: 2
; COMPUTE_PGM_RSRC2:TRAP_HANDLER: 0
; COMPUTE_PGM_RSRC2:TGID_X_EN: 1
; COMPUTE_PGM_RSRC2:TGID_Y_EN: 0
; COMPUTE_PGM_RSRC2:TGID_Z_EN: 0
; COMPUTE_PGM_RSRC2:TIDIG_COMP_CNT: 0
	.section	.text._ZN6thrust23THRUST_200600_302600_NS11hip_rocprim14__parallel_for6kernelILj256ENS1_11__transform17unary_transform_fINS0_7pointerIiNS1_3tagENS0_11use_defaultES8_EENS0_10device_ptrItEENS4_14no_stencil_tagENS0_8identityIiEENS4_21always_true_predicateEEElLj1EEEvT0_T1_SI_,"axG",@progbits,_ZN6thrust23THRUST_200600_302600_NS11hip_rocprim14__parallel_for6kernelILj256ENS1_11__transform17unary_transform_fINS0_7pointerIiNS1_3tagENS0_11use_defaultES8_EENS0_10device_ptrItEENS4_14no_stencil_tagENS0_8identityIiEENS4_21always_true_predicateEEElLj1EEEvT0_T1_SI_,comdat
	.protected	_ZN6thrust23THRUST_200600_302600_NS11hip_rocprim14__parallel_for6kernelILj256ENS1_11__transform17unary_transform_fINS0_7pointerIiNS1_3tagENS0_11use_defaultES8_EENS0_10device_ptrItEENS4_14no_stencil_tagENS0_8identityIiEENS4_21always_true_predicateEEElLj1EEEvT0_T1_SI_ ; -- Begin function _ZN6thrust23THRUST_200600_302600_NS11hip_rocprim14__parallel_for6kernelILj256ENS1_11__transform17unary_transform_fINS0_7pointerIiNS1_3tagENS0_11use_defaultES8_EENS0_10device_ptrItEENS4_14no_stencil_tagENS0_8identityIiEENS4_21always_true_predicateEEElLj1EEEvT0_T1_SI_
	.globl	_ZN6thrust23THRUST_200600_302600_NS11hip_rocprim14__parallel_for6kernelILj256ENS1_11__transform17unary_transform_fINS0_7pointerIiNS1_3tagENS0_11use_defaultES8_EENS0_10device_ptrItEENS4_14no_stencil_tagENS0_8identityIiEENS4_21always_true_predicateEEElLj1EEEvT0_T1_SI_
	.p2align	8
	.type	_ZN6thrust23THRUST_200600_302600_NS11hip_rocprim14__parallel_for6kernelILj256ENS1_11__transform17unary_transform_fINS0_7pointerIiNS1_3tagENS0_11use_defaultES8_EENS0_10device_ptrItEENS4_14no_stencil_tagENS0_8identityIiEENS4_21always_true_predicateEEElLj1EEEvT0_T1_SI_,@function
_ZN6thrust23THRUST_200600_302600_NS11hip_rocprim14__parallel_for6kernelILj256ENS1_11__transform17unary_transform_fINS0_7pointerIiNS1_3tagENS0_11use_defaultES8_EENS0_10device_ptrItEENS4_14no_stencil_tagENS0_8identityIiEENS4_21always_true_predicateEEElLj1EEEvT0_T1_SI_: ; @_ZN6thrust23THRUST_200600_302600_NS11hip_rocprim14__parallel_for6kernelILj256ENS1_11__transform17unary_transform_fINS0_7pointerIiNS1_3tagENS0_11use_defaultES8_EENS0_10device_ptrItEENS4_14no_stencil_tagENS0_8identityIiEENS4_21always_true_predicateEEElLj1EEEvT0_T1_SI_
; %bb.0:
	s_load_b128 s[4:7], s[0:1], 0x18
	s_bfe_u32 s2, ttmp6, 0x4000c
	s_and_b32 s3, ttmp6, 15
	s_add_co_i32 s2, s2, 1
	s_getreg_b32 s8, hwreg(HW_REG_IB_STS2, 6, 4)
	s_mul_i32 s2, ttmp9, s2
	s_delay_alu instid0(SALU_CYCLE_1)
	s_add_co_i32 s3, s3, s2
	s_cmp_eq_u32 s8, 0
	s_cselect_b32 s2, ttmp9, s3
	s_mov_b32 s3, 0
	s_lshl_b32 s2, s2, 8
	s_wait_kmcnt 0x0
	s_add_nc_u64 s[2:3], s[6:7], s[2:3]
	s_delay_alu instid0(SALU_CYCLE_1) | instskip(NEXT) | instid1(SALU_CYCLE_1)
	s_sub_nc_u64 s[4:5], s[4:5], s[2:3]
	v_min_i64 v[2:3], 0x100, s[4:5]
	s_load_b128 s[4:7], s[0:1], 0x0
	s_wait_xcnt 0x0
	s_mov_b32 s0, -1
	s_delay_alu instid0(VALU_DEP_1)
	v_cmp_eq_u32_e32 vcc_lo, 0x100, v2
	s_cbranch_vccz .LBB1263_3
; %bb.1:
	s_and_not1_b32 vcc_lo, exec_lo, s0
	s_cbranch_vccz .LBB1263_6
.LBB1263_2:
	s_endpgm
.LBB1263_3:
	s_mov_b32 s0, exec_lo
	v_cmpx_lt_u32_e64 v0, v2
	s_cbranch_execz .LBB1263_5
; %bb.4:
	v_mov_b32_e32 v1, 0
	s_delay_alu instid0(VALU_DEP_1) | instskip(SKIP_1) | instid1(VALU_DEP_1)
	v_add_nc_u64_e32 v[2:3], s[2:3], v[0:1]
	s_wait_kmcnt 0x0
	v_lshl_add_u64 v[4:5], v[2:3], 2, s[4:5]
	v_lshl_add_u64 v[2:3], v[2:3], 1, s[6:7]
	flat_load_b32 v1, v[4:5]
	s_wait_loadcnt_dscnt 0x0
	flat_store_b16 v[2:3], v1
.LBB1263_5:
	s_wait_xcnt 0x0
	s_or_b32 exec_lo, exec_lo, s0
	s_cbranch_execnz .LBB1263_2
.LBB1263_6:
	v_mov_b32_e32 v1, 0
	s_delay_alu instid0(VALU_DEP_1) | instskip(SKIP_1) | instid1(VALU_DEP_1)
	v_add_nc_u64_e32 v[0:1], s[2:3], v[0:1]
	s_wait_kmcnt 0x0
	v_lshl_add_u64 v[2:3], v[0:1], 2, s[4:5]
	v_lshl_add_u64 v[0:1], v[0:1], 1, s[6:7]
	flat_load_b32 v2, v[2:3]
	s_wait_loadcnt_dscnt 0x0
	flat_store_b16 v[0:1], v2
	s_endpgm
	.section	.rodata,"a",@progbits
	.p2align	6, 0x0
	.amdhsa_kernel _ZN6thrust23THRUST_200600_302600_NS11hip_rocprim14__parallel_for6kernelILj256ENS1_11__transform17unary_transform_fINS0_7pointerIiNS1_3tagENS0_11use_defaultES8_EENS0_10device_ptrItEENS4_14no_stencil_tagENS0_8identityIiEENS4_21always_true_predicateEEElLj1EEEvT0_T1_SI_
		.amdhsa_group_segment_fixed_size 0
		.amdhsa_private_segment_fixed_size 0
		.amdhsa_kernarg_size 40
		.amdhsa_user_sgpr_count 2
		.amdhsa_user_sgpr_dispatch_ptr 0
		.amdhsa_user_sgpr_queue_ptr 0
		.amdhsa_user_sgpr_kernarg_segment_ptr 1
		.amdhsa_user_sgpr_dispatch_id 0
		.amdhsa_user_sgpr_kernarg_preload_length 0
		.amdhsa_user_sgpr_kernarg_preload_offset 0
		.amdhsa_user_sgpr_private_segment_size 0
		.amdhsa_wavefront_size32 1
		.amdhsa_uses_dynamic_stack 0
		.amdhsa_enable_private_segment 0
		.amdhsa_system_sgpr_workgroup_id_x 1
		.amdhsa_system_sgpr_workgroup_id_y 0
		.amdhsa_system_sgpr_workgroup_id_z 0
		.amdhsa_system_sgpr_workgroup_info 0
		.amdhsa_system_vgpr_workitem_id 0
		.amdhsa_next_free_vgpr 6
		.amdhsa_next_free_sgpr 9
		.amdhsa_named_barrier_count 0
		.amdhsa_reserve_vcc 1
		.amdhsa_float_round_mode_32 0
		.amdhsa_float_round_mode_16_64 0
		.amdhsa_float_denorm_mode_32 3
		.amdhsa_float_denorm_mode_16_64 3
		.amdhsa_fp16_overflow 0
		.amdhsa_memory_ordered 1
		.amdhsa_forward_progress 1
		.amdhsa_inst_pref_size 3
		.amdhsa_round_robin_scheduling 0
		.amdhsa_exception_fp_ieee_invalid_op 0
		.amdhsa_exception_fp_denorm_src 0
		.amdhsa_exception_fp_ieee_div_zero 0
		.amdhsa_exception_fp_ieee_overflow 0
		.amdhsa_exception_fp_ieee_underflow 0
		.amdhsa_exception_fp_ieee_inexact 0
		.amdhsa_exception_int_div_zero 0
	.end_amdhsa_kernel
	.section	.text._ZN6thrust23THRUST_200600_302600_NS11hip_rocprim14__parallel_for6kernelILj256ENS1_11__transform17unary_transform_fINS0_7pointerIiNS1_3tagENS0_11use_defaultES8_EENS0_10device_ptrItEENS4_14no_stencil_tagENS0_8identityIiEENS4_21always_true_predicateEEElLj1EEEvT0_T1_SI_,"axG",@progbits,_ZN6thrust23THRUST_200600_302600_NS11hip_rocprim14__parallel_for6kernelILj256ENS1_11__transform17unary_transform_fINS0_7pointerIiNS1_3tagENS0_11use_defaultES8_EENS0_10device_ptrItEENS4_14no_stencil_tagENS0_8identityIiEENS4_21always_true_predicateEEElLj1EEEvT0_T1_SI_,comdat
.Lfunc_end1263:
	.size	_ZN6thrust23THRUST_200600_302600_NS11hip_rocprim14__parallel_for6kernelILj256ENS1_11__transform17unary_transform_fINS0_7pointerIiNS1_3tagENS0_11use_defaultES8_EENS0_10device_ptrItEENS4_14no_stencil_tagENS0_8identityIiEENS4_21always_true_predicateEEElLj1EEEvT0_T1_SI_, .Lfunc_end1263-_ZN6thrust23THRUST_200600_302600_NS11hip_rocprim14__parallel_for6kernelILj256ENS1_11__transform17unary_transform_fINS0_7pointerIiNS1_3tagENS0_11use_defaultES8_EENS0_10device_ptrItEENS4_14no_stencil_tagENS0_8identityIiEENS4_21always_true_predicateEEElLj1EEEvT0_T1_SI_
                                        ; -- End function
	.set _ZN6thrust23THRUST_200600_302600_NS11hip_rocprim14__parallel_for6kernelILj256ENS1_11__transform17unary_transform_fINS0_7pointerIiNS1_3tagENS0_11use_defaultES8_EENS0_10device_ptrItEENS4_14no_stencil_tagENS0_8identityIiEENS4_21always_true_predicateEEElLj1EEEvT0_T1_SI_.num_vgpr, 6
	.set _ZN6thrust23THRUST_200600_302600_NS11hip_rocprim14__parallel_for6kernelILj256ENS1_11__transform17unary_transform_fINS0_7pointerIiNS1_3tagENS0_11use_defaultES8_EENS0_10device_ptrItEENS4_14no_stencil_tagENS0_8identityIiEENS4_21always_true_predicateEEElLj1EEEvT0_T1_SI_.num_agpr, 0
	.set _ZN6thrust23THRUST_200600_302600_NS11hip_rocprim14__parallel_for6kernelILj256ENS1_11__transform17unary_transform_fINS0_7pointerIiNS1_3tagENS0_11use_defaultES8_EENS0_10device_ptrItEENS4_14no_stencil_tagENS0_8identityIiEENS4_21always_true_predicateEEElLj1EEEvT0_T1_SI_.numbered_sgpr, 9
	.set _ZN6thrust23THRUST_200600_302600_NS11hip_rocprim14__parallel_for6kernelILj256ENS1_11__transform17unary_transform_fINS0_7pointerIiNS1_3tagENS0_11use_defaultES8_EENS0_10device_ptrItEENS4_14no_stencil_tagENS0_8identityIiEENS4_21always_true_predicateEEElLj1EEEvT0_T1_SI_.num_named_barrier, 0
	.set _ZN6thrust23THRUST_200600_302600_NS11hip_rocprim14__parallel_for6kernelILj256ENS1_11__transform17unary_transform_fINS0_7pointerIiNS1_3tagENS0_11use_defaultES8_EENS0_10device_ptrItEENS4_14no_stencil_tagENS0_8identityIiEENS4_21always_true_predicateEEElLj1EEEvT0_T1_SI_.private_seg_size, 0
	.set _ZN6thrust23THRUST_200600_302600_NS11hip_rocprim14__parallel_for6kernelILj256ENS1_11__transform17unary_transform_fINS0_7pointerIiNS1_3tagENS0_11use_defaultES8_EENS0_10device_ptrItEENS4_14no_stencil_tagENS0_8identityIiEENS4_21always_true_predicateEEElLj1EEEvT0_T1_SI_.uses_vcc, 1
	.set _ZN6thrust23THRUST_200600_302600_NS11hip_rocprim14__parallel_for6kernelILj256ENS1_11__transform17unary_transform_fINS0_7pointerIiNS1_3tagENS0_11use_defaultES8_EENS0_10device_ptrItEENS4_14no_stencil_tagENS0_8identityIiEENS4_21always_true_predicateEEElLj1EEEvT0_T1_SI_.uses_flat_scratch, 0
	.set _ZN6thrust23THRUST_200600_302600_NS11hip_rocprim14__parallel_for6kernelILj256ENS1_11__transform17unary_transform_fINS0_7pointerIiNS1_3tagENS0_11use_defaultES8_EENS0_10device_ptrItEENS4_14no_stencil_tagENS0_8identityIiEENS4_21always_true_predicateEEElLj1EEEvT0_T1_SI_.has_dyn_sized_stack, 0
	.set _ZN6thrust23THRUST_200600_302600_NS11hip_rocprim14__parallel_for6kernelILj256ENS1_11__transform17unary_transform_fINS0_7pointerIiNS1_3tagENS0_11use_defaultES8_EENS0_10device_ptrItEENS4_14no_stencil_tagENS0_8identityIiEENS4_21always_true_predicateEEElLj1EEEvT0_T1_SI_.has_recursion, 0
	.set _ZN6thrust23THRUST_200600_302600_NS11hip_rocprim14__parallel_for6kernelILj256ENS1_11__transform17unary_transform_fINS0_7pointerIiNS1_3tagENS0_11use_defaultES8_EENS0_10device_ptrItEENS4_14no_stencil_tagENS0_8identityIiEENS4_21always_true_predicateEEElLj1EEEvT0_T1_SI_.has_indirect_call, 0
	.section	.AMDGPU.csdata,"",@progbits
; Kernel info:
; codeLenInByte = 280
; TotalNumSgprs: 11
; NumVgprs: 6
; ScratchSize: 0
; MemoryBound: 0
; FloatMode: 240
; IeeeMode: 1
; LDSByteSize: 0 bytes/workgroup (compile time only)
; SGPRBlocks: 0
; VGPRBlocks: 0
; NumSGPRsForWavesPerEU: 11
; NumVGPRsForWavesPerEU: 6
; NamedBarCnt: 0
; Occupancy: 16
; WaveLimiterHint : 0
; COMPUTE_PGM_RSRC2:SCRATCH_EN: 0
; COMPUTE_PGM_RSRC2:USER_SGPR: 2
; COMPUTE_PGM_RSRC2:TRAP_HANDLER: 0
; COMPUTE_PGM_RSRC2:TGID_X_EN: 1
; COMPUTE_PGM_RSRC2:TGID_Y_EN: 0
; COMPUTE_PGM_RSRC2:TGID_Z_EN: 0
; COMPUTE_PGM_RSRC2:TIDIG_COMP_CNT: 0
	.section	.text._ZN6thrust23THRUST_200600_302600_NS11hip_rocprim14__parallel_for6kernelILj256ENS1_20__uninitialized_fill7functorINS0_10device_ptrItEEtEEmLj1EEEvT0_T1_SA_,"axG",@progbits,_ZN6thrust23THRUST_200600_302600_NS11hip_rocprim14__parallel_for6kernelILj256ENS1_20__uninitialized_fill7functorINS0_10device_ptrItEEtEEmLj1EEEvT0_T1_SA_,comdat
	.protected	_ZN6thrust23THRUST_200600_302600_NS11hip_rocprim14__parallel_for6kernelILj256ENS1_20__uninitialized_fill7functorINS0_10device_ptrItEEtEEmLj1EEEvT0_T1_SA_ ; -- Begin function _ZN6thrust23THRUST_200600_302600_NS11hip_rocprim14__parallel_for6kernelILj256ENS1_20__uninitialized_fill7functorINS0_10device_ptrItEEtEEmLj1EEEvT0_T1_SA_
	.globl	_ZN6thrust23THRUST_200600_302600_NS11hip_rocprim14__parallel_for6kernelILj256ENS1_20__uninitialized_fill7functorINS0_10device_ptrItEEtEEmLj1EEEvT0_T1_SA_
	.p2align	8
	.type	_ZN6thrust23THRUST_200600_302600_NS11hip_rocprim14__parallel_for6kernelILj256ENS1_20__uninitialized_fill7functorINS0_10device_ptrItEEtEEmLj1EEEvT0_T1_SA_,@function
_ZN6thrust23THRUST_200600_302600_NS11hip_rocprim14__parallel_for6kernelILj256ENS1_20__uninitialized_fill7functorINS0_10device_ptrItEEtEEmLj1EEEvT0_T1_SA_: ; @_ZN6thrust23THRUST_200600_302600_NS11hip_rocprim14__parallel_for6kernelILj256ENS1_20__uninitialized_fill7functorINS0_10device_ptrItEEtEEmLj1EEEvT0_T1_SA_
; %bb.0:
	s_load_b128 s[8:11], s[0:1], 0x10
	s_bfe_u32 s2, ttmp6, 0x4000c
	s_and_b32 s3, ttmp6, 15
	s_add_co_i32 s2, s2, 1
	s_getreg_b32 s4, hwreg(HW_REG_IB_STS2, 6, 4)
	s_mul_i32 s2, ttmp9, s2
	s_delay_alu instid0(SALU_CYCLE_1)
	s_add_co_i32 s3, s3, s2
	s_cmp_eq_u32 s4, 0
	s_load_b96 s[4:6], s[0:1], 0x0
	s_wait_xcnt 0x0
	s_cselect_b32 s0, ttmp9, s3
	s_mov_b32 s1, 0
	s_lshl_b32 s0, s0, 8
	s_wait_kmcnt 0x0
	s_add_nc_u64 s[0:1], s[10:11], s[0:1]
	s_delay_alu instid0(SALU_CYCLE_1) | instskip(NEXT) | instid1(SALU_CYCLE_1)
	s_sub_nc_u64 s[2:3], s[8:9], s[0:1]
	v_cmp_lt_u64_e64 s3, 0xff, s[2:3]
	s_and_b32 vcc_lo, exec_lo, s3
	s_mov_b32 s3, -1
	s_cbranch_vccz .LBB1264_3
; %bb.1:
	s_and_not1_b32 vcc_lo, exec_lo, s3
	s_cbranch_vccz .LBB1264_6
.LBB1264_2:
	s_endpgm
.LBB1264_3:
	v_cmp_gt_u32_e32 vcc_lo, s2, v0
	s_and_saveexec_b32 s2, vcc_lo
	s_cbranch_execz .LBB1264_5
; %bb.4:
	v_mov_b32_e32 v1, s6
	s_lshl_b64 s[8:9], s[0:1], 1
	s_delay_alu instid0(SALU_CYCLE_1)
	s_add_nc_u64 s[8:9], s[4:5], s[8:9]
	flat_store_b16 v0, v1, s[8:9] scale_offset
.LBB1264_5:
	s_wait_xcnt 0x0
	s_or_b32 exec_lo, exec_lo, s2
	s_cbranch_execnz .LBB1264_2
.LBB1264_6:
	v_mov_b32_e32 v1, s6
	s_lshl_b64 s[0:1], s[0:1], 1
	s_delay_alu instid0(SALU_CYCLE_1)
	s_add_nc_u64 s[0:1], s[4:5], s[0:1]
	flat_store_b16 v0, v1, s[0:1] scale_offset
	s_endpgm
	.section	.rodata,"a",@progbits
	.p2align	6, 0x0
	.amdhsa_kernel _ZN6thrust23THRUST_200600_302600_NS11hip_rocprim14__parallel_for6kernelILj256ENS1_20__uninitialized_fill7functorINS0_10device_ptrItEEtEEmLj1EEEvT0_T1_SA_
		.amdhsa_group_segment_fixed_size 0
		.amdhsa_private_segment_fixed_size 0
		.amdhsa_kernarg_size 32
		.amdhsa_user_sgpr_count 2
		.amdhsa_user_sgpr_dispatch_ptr 0
		.amdhsa_user_sgpr_queue_ptr 0
		.amdhsa_user_sgpr_kernarg_segment_ptr 1
		.amdhsa_user_sgpr_dispatch_id 0
		.amdhsa_user_sgpr_kernarg_preload_length 0
		.amdhsa_user_sgpr_kernarg_preload_offset 0
		.amdhsa_user_sgpr_private_segment_size 0
		.amdhsa_wavefront_size32 1
		.amdhsa_uses_dynamic_stack 0
		.amdhsa_enable_private_segment 0
		.amdhsa_system_sgpr_workgroup_id_x 1
		.amdhsa_system_sgpr_workgroup_id_y 0
		.amdhsa_system_sgpr_workgroup_id_z 0
		.amdhsa_system_sgpr_workgroup_info 0
		.amdhsa_system_vgpr_workitem_id 0
		.amdhsa_next_free_vgpr 2
		.amdhsa_next_free_sgpr 12
		.amdhsa_named_barrier_count 0
		.amdhsa_reserve_vcc 1
		.amdhsa_float_round_mode_32 0
		.amdhsa_float_round_mode_16_64 0
		.amdhsa_float_denorm_mode_32 3
		.amdhsa_float_denorm_mode_16_64 3
		.amdhsa_fp16_overflow 0
		.amdhsa_memory_ordered 1
		.amdhsa_forward_progress 1
		.amdhsa_inst_pref_size 2
		.amdhsa_round_robin_scheduling 0
		.amdhsa_exception_fp_ieee_invalid_op 0
		.amdhsa_exception_fp_denorm_src 0
		.amdhsa_exception_fp_ieee_div_zero 0
		.amdhsa_exception_fp_ieee_overflow 0
		.amdhsa_exception_fp_ieee_underflow 0
		.amdhsa_exception_fp_ieee_inexact 0
		.amdhsa_exception_int_div_zero 0
	.end_amdhsa_kernel
	.section	.text._ZN6thrust23THRUST_200600_302600_NS11hip_rocprim14__parallel_for6kernelILj256ENS1_20__uninitialized_fill7functorINS0_10device_ptrItEEtEEmLj1EEEvT0_T1_SA_,"axG",@progbits,_ZN6thrust23THRUST_200600_302600_NS11hip_rocprim14__parallel_for6kernelILj256ENS1_20__uninitialized_fill7functorINS0_10device_ptrItEEtEEmLj1EEEvT0_T1_SA_,comdat
.Lfunc_end1264:
	.size	_ZN6thrust23THRUST_200600_302600_NS11hip_rocprim14__parallel_for6kernelILj256ENS1_20__uninitialized_fill7functorINS0_10device_ptrItEEtEEmLj1EEEvT0_T1_SA_, .Lfunc_end1264-_ZN6thrust23THRUST_200600_302600_NS11hip_rocprim14__parallel_for6kernelILj256ENS1_20__uninitialized_fill7functorINS0_10device_ptrItEEtEEmLj1EEEvT0_T1_SA_
                                        ; -- End function
	.set _ZN6thrust23THRUST_200600_302600_NS11hip_rocprim14__parallel_for6kernelILj256ENS1_20__uninitialized_fill7functorINS0_10device_ptrItEEtEEmLj1EEEvT0_T1_SA_.num_vgpr, 2
	.set _ZN6thrust23THRUST_200600_302600_NS11hip_rocprim14__parallel_for6kernelILj256ENS1_20__uninitialized_fill7functorINS0_10device_ptrItEEtEEmLj1EEEvT0_T1_SA_.num_agpr, 0
	.set _ZN6thrust23THRUST_200600_302600_NS11hip_rocprim14__parallel_for6kernelILj256ENS1_20__uninitialized_fill7functorINS0_10device_ptrItEEtEEmLj1EEEvT0_T1_SA_.numbered_sgpr, 12
	.set _ZN6thrust23THRUST_200600_302600_NS11hip_rocprim14__parallel_for6kernelILj256ENS1_20__uninitialized_fill7functorINS0_10device_ptrItEEtEEmLj1EEEvT0_T1_SA_.num_named_barrier, 0
	.set _ZN6thrust23THRUST_200600_302600_NS11hip_rocprim14__parallel_for6kernelILj256ENS1_20__uninitialized_fill7functorINS0_10device_ptrItEEtEEmLj1EEEvT0_T1_SA_.private_seg_size, 0
	.set _ZN6thrust23THRUST_200600_302600_NS11hip_rocprim14__parallel_for6kernelILj256ENS1_20__uninitialized_fill7functorINS0_10device_ptrItEEtEEmLj1EEEvT0_T1_SA_.uses_vcc, 1
	.set _ZN6thrust23THRUST_200600_302600_NS11hip_rocprim14__parallel_for6kernelILj256ENS1_20__uninitialized_fill7functorINS0_10device_ptrItEEtEEmLj1EEEvT0_T1_SA_.uses_flat_scratch, 0
	.set _ZN6thrust23THRUST_200600_302600_NS11hip_rocprim14__parallel_for6kernelILj256ENS1_20__uninitialized_fill7functorINS0_10device_ptrItEEtEEmLj1EEEvT0_T1_SA_.has_dyn_sized_stack, 0
	.set _ZN6thrust23THRUST_200600_302600_NS11hip_rocprim14__parallel_for6kernelILj256ENS1_20__uninitialized_fill7functorINS0_10device_ptrItEEtEEmLj1EEEvT0_T1_SA_.has_recursion, 0
	.set _ZN6thrust23THRUST_200600_302600_NS11hip_rocprim14__parallel_for6kernelILj256ENS1_20__uninitialized_fill7functorINS0_10device_ptrItEEtEEmLj1EEEvT0_T1_SA_.has_indirect_call, 0
	.section	.AMDGPU.csdata,"",@progbits
; Kernel info:
; codeLenInByte = 204
; TotalNumSgprs: 14
; NumVgprs: 2
; ScratchSize: 0
; MemoryBound: 0
; FloatMode: 240
; IeeeMode: 1
; LDSByteSize: 0 bytes/workgroup (compile time only)
; SGPRBlocks: 0
; VGPRBlocks: 0
; NumSGPRsForWavesPerEU: 14
; NumVGPRsForWavesPerEU: 2
; NamedBarCnt: 0
; Occupancy: 16
; WaveLimiterHint : 0
; COMPUTE_PGM_RSRC2:SCRATCH_EN: 0
; COMPUTE_PGM_RSRC2:USER_SGPR: 2
; COMPUTE_PGM_RSRC2:TRAP_HANDLER: 0
; COMPUTE_PGM_RSRC2:TGID_X_EN: 1
; COMPUTE_PGM_RSRC2:TGID_Y_EN: 0
; COMPUTE_PGM_RSRC2:TGID_Z_EN: 0
; COMPUTE_PGM_RSRC2:TIDIG_COMP_CNT: 0
	.section	.text._ZN7rocprim17ROCPRIM_400000_NS6detail30init_device_scan_by_key_kernelINS1_19lookback_scan_stateINS0_5tupleIJtbEEELb0ELb1EEEN6thrust23THRUST_200600_302600_NS6detail15normal_iteratorINS8_10device_ptrIiEEEEjNS1_16block_id_wrapperIjLb0EEEEEvT_jjPNSG_10value_typeET0_PNSt15iterator_traitsISJ_E10value_typeEmT1_T2_,"axG",@progbits,_ZN7rocprim17ROCPRIM_400000_NS6detail30init_device_scan_by_key_kernelINS1_19lookback_scan_stateINS0_5tupleIJtbEEELb0ELb1EEEN6thrust23THRUST_200600_302600_NS6detail15normal_iteratorINS8_10device_ptrIiEEEEjNS1_16block_id_wrapperIjLb0EEEEEvT_jjPNSG_10value_typeET0_PNSt15iterator_traitsISJ_E10value_typeEmT1_T2_,comdat
	.protected	_ZN7rocprim17ROCPRIM_400000_NS6detail30init_device_scan_by_key_kernelINS1_19lookback_scan_stateINS0_5tupleIJtbEEELb0ELb1EEEN6thrust23THRUST_200600_302600_NS6detail15normal_iteratorINS8_10device_ptrIiEEEEjNS1_16block_id_wrapperIjLb0EEEEEvT_jjPNSG_10value_typeET0_PNSt15iterator_traitsISJ_E10value_typeEmT1_T2_ ; -- Begin function _ZN7rocprim17ROCPRIM_400000_NS6detail30init_device_scan_by_key_kernelINS1_19lookback_scan_stateINS0_5tupleIJtbEEELb0ELb1EEEN6thrust23THRUST_200600_302600_NS6detail15normal_iteratorINS8_10device_ptrIiEEEEjNS1_16block_id_wrapperIjLb0EEEEEvT_jjPNSG_10value_typeET0_PNSt15iterator_traitsISJ_E10value_typeEmT1_T2_
	.globl	_ZN7rocprim17ROCPRIM_400000_NS6detail30init_device_scan_by_key_kernelINS1_19lookback_scan_stateINS0_5tupleIJtbEEELb0ELb1EEEN6thrust23THRUST_200600_302600_NS6detail15normal_iteratorINS8_10device_ptrIiEEEEjNS1_16block_id_wrapperIjLb0EEEEEvT_jjPNSG_10value_typeET0_PNSt15iterator_traitsISJ_E10value_typeEmT1_T2_
	.p2align	8
	.type	_ZN7rocprim17ROCPRIM_400000_NS6detail30init_device_scan_by_key_kernelINS1_19lookback_scan_stateINS0_5tupleIJtbEEELb0ELb1EEEN6thrust23THRUST_200600_302600_NS6detail15normal_iteratorINS8_10device_ptrIiEEEEjNS1_16block_id_wrapperIjLb0EEEEEvT_jjPNSG_10value_typeET0_PNSt15iterator_traitsISJ_E10value_typeEmT1_T2_,@function
_ZN7rocprim17ROCPRIM_400000_NS6detail30init_device_scan_by_key_kernelINS1_19lookback_scan_stateINS0_5tupleIJtbEEELb0ELb1EEEN6thrust23THRUST_200600_302600_NS6detail15normal_iteratorINS8_10device_ptrIiEEEEjNS1_16block_id_wrapperIjLb0EEEEEvT_jjPNSG_10value_typeET0_PNSt15iterator_traitsISJ_E10value_typeEmT1_T2_: ; @_ZN7rocprim17ROCPRIM_400000_NS6detail30init_device_scan_by_key_kernelINS1_19lookback_scan_stateINS0_5tupleIJtbEEELb0ELb1EEEN6thrust23THRUST_200600_302600_NS6detail15normal_iteratorINS8_10device_ptrIiEEEEjNS1_16block_id_wrapperIjLb0EEEEEvT_jjPNSG_10value_typeET0_PNSt15iterator_traitsISJ_E10value_typeEmT1_T2_
; %bb.0:
	s_clause 0x2
	s_load_b32 s2, s[0:1], 0x44
	s_load_b32 s12, s[0:1], 0x38
	s_load_b256 s[4:11], s[0:1], 0x0
	s_bfe_u32 s3, ttmp6, 0x4000c
	s_and_b32 s14, ttmp6, 15
	s_add_co_i32 s3, s3, 1
	s_getreg_b32 s15, hwreg(HW_REG_IB_STS2, 6, 4)
	s_mul_i32 s3, ttmp9, s3
	s_delay_alu instid0(SALU_CYCLE_1)
	s_add_co_i32 s14, s14, s3
	s_wait_kmcnt 0x0
	s_and_b32 s13, s2, 0xffff
	s_cmp_eq_u32 s15, 0
	s_cselect_b32 s2, ttmp9, s14
	s_cmp_eq_u64 s[8:9], 0
	v_mad_u32 v0, s2, s13, v0
	s_cbranch_scc1 .LBB1265_7
; %bb.1:
	s_cmp_lt_u32 s7, s6
	s_mov_b32 s14, exec_lo
	s_cselect_b32 s2, s7, 0
	s_delay_alu instid0(VALU_DEP_1) | instid1(SALU_CYCLE_1)
	v_cmpx_eq_u32_e64 s2, v0
	s_cbranch_execz .LBB1265_6
; %bb.2:
	s_add_co_i32 s2, s7, 32
	s_delay_alu instid0(SALU_CYCLE_1) | instskip(SKIP_3) | instid1(VALU_DEP_1)
	v_dual_mov_b32 v4, 0 :: v_dual_mov_b32 v1, s2
	global_load_b64 v[2:3], v1, s[4:5] scale_offset scope:SCOPE_DEV
	s_wait_loadcnt 0x0
	v_and_b32_e32 v5, 0xff, v3
	v_cmp_ne_u64_e32 vcc_lo, 0, v[4:5]
	s_cbranch_vccnz .LBB1265_5
; %bb.3:
	s_mov_b32 s3, 0
	s_delay_alu instid0(SALU_CYCLE_1) | instskip(NEXT) | instid1(SALU_CYCLE_1)
	s_lshl_b64 s[2:3], s[2:3], 3
	s_add_nc_u64 s[2:3], s[4:5], s[2:3]
.LBB1265_4:                             ; =>This Inner Loop Header: Depth=1
	global_load_b64 v[2:3], v4, s[2:3] scope:SCOPE_DEV
	s_wait_loadcnt 0x0
	v_and_b32_e32 v5, 0xff, v3
	s_delay_alu instid0(VALU_DEP_1)
	v_cmp_eq_u64_e32 vcc_lo, 0, v[4:5]
	s_cbranch_vccnz .LBB1265_4
.LBB1265_5:
	v_mov_b32_e32 v1, 0
	s_clause 0x1
	global_store_b16 v1, v2, s[8:9]
	global_store_d16_hi_b8 v1, v2, s[8:9] offset:2
.LBB1265_6:
	s_wait_xcnt 0x0
	s_or_b32 exec_lo, exec_lo, s14
.LBB1265_7:
	s_delay_alu instid0(SALU_CYCLE_1) | instskip(NEXT) | instid1(VALU_DEP_1)
	s_mov_b32 s2, exec_lo
	v_cmpx_gt_u32_e64 s6, v0
	s_cbranch_execz .LBB1265_9
; %bb.8:
	v_mov_b64_e32 v[2:3], 0
	v_add_nc_u32_e32 v1, 32, v0
	global_store_b64 v1, v[2:3], s[4:5] scale_offset
.LBB1265_9:
	s_wait_xcnt 0x0
	s_or_b32 exec_lo, exec_lo, s2
	v_mov_b32_e32 v1, 0
	s_mov_b32 s2, exec_lo
	v_cmpx_gt_u32_e32 32, v0
	s_cbranch_execz .LBB1265_11
; %bb.10:
	v_mov_b64_e32 v[2:3], 0xff00000000
	v_lshl_add_u64 v[4:5], v[0:1], 3, s[4:5]
	global_store_b64 v[4:5], v[2:3], off
.LBB1265_11:
	s_wait_xcnt 0x0
	s_or_b32 exec_lo, exec_lo, s2
	s_load_b64 s[2:3], s[0:1], 0x28
	s_mov_b32 s4, exec_lo
	s_wait_kmcnt 0x0
	v_cmpx_gt_u64_e64 s[2:3], v[0:1]
	s_cbranch_execz .LBB1265_14
; %bb.12:
	s_clause 0x1
	s_load_b32 s4, s[0:1], 0x30
	s_load_b64 s[6:7], s[0:1], 0x20
	s_mov_b32 s5, 0
	s_wait_xcnt 0x0
	s_mul_i32 s0, s12, s13
	s_mov_b32 s9, s5
	s_mov_b32 s1, s5
	s_wait_kmcnt 0x0
	v_mul_u64_e32 v[2:3], s[4:5], v[0:1]
	s_add_co_i32 s8, s4, -1
	v_lshl_add_u64 v[4:5], v[0:1], 2, s[6:7]
	s_lshl_b64 s[8:9], s[8:9], 2
	s_delay_alu instid0(SALU_CYCLE_1) | instskip(SKIP_1) | instid1(SALU_CYCLE_1)
	s_add_nc_u64 s[8:9], s[10:11], s[8:9]
	s_mul_u64 s[10:11], s[4:5], s[0:1]
	s_lshl_b64 s[6:7], s[10:11], 2
	s_delay_alu instid0(VALU_DEP_2)
	v_lshl_add_u64 v[2:3], v[2:3], 2, s[8:9]
	s_lshl_b64 s[8:9], s[0:1], 2
.LBB1265_13:                            ; =>This Inner Loop Header: Depth=1
	global_load_b32 v6, v[2:3], off
	v_add_nc_u64_e32 v[0:1], s[0:1], v[0:1]
	s_wait_xcnt 0x0
	v_add_nc_u64_e32 v[2:3], s[6:7], v[2:3]
	s_delay_alu instid0(VALU_DEP_2)
	v_cmp_le_u64_e32 vcc_lo, s[2:3], v[0:1]
	s_or_b32 s5, vcc_lo, s5
	s_wait_loadcnt 0x0
	global_store_b32 v[4:5], v6, off
	s_wait_xcnt 0x0
	v_add_nc_u64_e32 v[4:5], s[8:9], v[4:5]
	s_and_not1_b32 exec_lo, exec_lo, s5
	s_cbranch_execnz .LBB1265_13
.LBB1265_14:
	s_endpgm
	.section	.rodata,"a",@progbits
	.p2align	6, 0x0
	.amdhsa_kernel _ZN7rocprim17ROCPRIM_400000_NS6detail30init_device_scan_by_key_kernelINS1_19lookback_scan_stateINS0_5tupleIJtbEEELb0ELb1EEEN6thrust23THRUST_200600_302600_NS6detail15normal_iteratorINS8_10device_ptrIiEEEEjNS1_16block_id_wrapperIjLb0EEEEEvT_jjPNSG_10value_typeET0_PNSt15iterator_traitsISJ_E10value_typeEmT1_T2_
		.amdhsa_group_segment_fixed_size 0
		.amdhsa_private_segment_fixed_size 0
		.amdhsa_kernarg_size 312
		.amdhsa_user_sgpr_count 2
		.amdhsa_user_sgpr_dispatch_ptr 0
		.amdhsa_user_sgpr_queue_ptr 0
		.amdhsa_user_sgpr_kernarg_segment_ptr 1
		.amdhsa_user_sgpr_dispatch_id 0
		.amdhsa_user_sgpr_kernarg_preload_length 0
		.amdhsa_user_sgpr_kernarg_preload_offset 0
		.amdhsa_user_sgpr_private_segment_size 0
		.amdhsa_wavefront_size32 1
		.amdhsa_uses_dynamic_stack 0
		.amdhsa_enable_private_segment 0
		.amdhsa_system_sgpr_workgroup_id_x 1
		.amdhsa_system_sgpr_workgroup_id_y 0
		.amdhsa_system_sgpr_workgroup_id_z 0
		.amdhsa_system_sgpr_workgroup_info 0
		.amdhsa_system_vgpr_workitem_id 0
		.amdhsa_next_free_vgpr 7
		.amdhsa_next_free_sgpr 16
		.amdhsa_named_barrier_count 0
		.amdhsa_reserve_vcc 1
		.amdhsa_float_round_mode_32 0
		.amdhsa_float_round_mode_16_64 0
		.amdhsa_float_denorm_mode_32 3
		.amdhsa_float_denorm_mode_16_64 3
		.amdhsa_fp16_overflow 0
		.amdhsa_memory_ordered 1
		.amdhsa_forward_progress 1
		.amdhsa_inst_pref_size 5
		.amdhsa_round_robin_scheduling 0
		.amdhsa_exception_fp_ieee_invalid_op 0
		.amdhsa_exception_fp_denorm_src 0
		.amdhsa_exception_fp_ieee_div_zero 0
		.amdhsa_exception_fp_ieee_overflow 0
		.amdhsa_exception_fp_ieee_underflow 0
		.amdhsa_exception_fp_ieee_inexact 0
		.amdhsa_exception_int_div_zero 0
	.end_amdhsa_kernel
	.section	.text._ZN7rocprim17ROCPRIM_400000_NS6detail30init_device_scan_by_key_kernelINS1_19lookback_scan_stateINS0_5tupleIJtbEEELb0ELb1EEEN6thrust23THRUST_200600_302600_NS6detail15normal_iteratorINS8_10device_ptrIiEEEEjNS1_16block_id_wrapperIjLb0EEEEEvT_jjPNSG_10value_typeET0_PNSt15iterator_traitsISJ_E10value_typeEmT1_T2_,"axG",@progbits,_ZN7rocprim17ROCPRIM_400000_NS6detail30init_device_scan_by_key_kernelINS1_19lookback_scan_stateINS0_5tupleIJtbEEELb0ELb1EEEN6thrust23THRUST_200600_302600_NS6detail15normal_iteratorINS8_10device_ptrIiEEEEjNS1_16block_id_wrapperIjLb0EEEEEvT_jjPNSG_10value_typeET0_PNSt15iterator_traitsISJ_E10value_typeEmT1_T2_,comdat
.Lfunc_end1265:
	.size	_ZN7rocprim17ROCPRIM_400000_NS6detail30init_device_scan_by_key_kernelINS1_19lookback_scan_stateINS0_5tupleIJtbEEELb0ELb1EEEN6thrust23THRUST_200600_302600_NS6detail15normal_iteratorINS8_10device_ptrIiEEEEjNS1_16block_id_wrapperIjLb0EEEEEvT_jjPNSG_10value_typeET0_PNSt15iterator_traitsISJ_E10value_typeEmT1_T2_, .Lfunc_end1265-_ZN7rocprim17ROCPRIM_400000_NS6detail30init_device_scan_by_key_kernelINS1_19lookback_scan_stateINS0_5tupleIJtbEEELb0ELb1EEEN6thrust23THRUST_200600_302600_NS6detail15normal_iteratorINS8_10device_ptrIiEEEEjNS1_16block_id_wrapperIjLb0EEEEEvT_jjPNSG_10value_typeET0_PNSt15iterator_traitsISJ_E10value_typeEmT1_T2_
                                        ; -- End function
	.set _ZN7rocprim17ROCPRIM_400000_NS6detail30init_device_scan_by_key_kernelINS1_19lookback_scan_stateINS0_5tupleIJtbEEELb0ELb1EEEN6thrust23THRUST_200600_302600_NS6detail15normal_iteratorINS8_10device_ptrIiEEEEjNS1_16block_id_wrapperIjLb0EEEEEvT_jjPNSG_10value_typeET0_PNSt15iterator_traitsISJ_E10value_typeEmT1_T2_.num_vgpr, 7
	.set _ZN7rocprim17ROCPRIM_400000_NS6detail30init_device_scan_by_key_kernelINS1_19lookback_scan_stateINS0_5tupleIJtbEEELb0ELb1EEEN6thrust23THRUST_200600_302600_NS6detail15normal_iteratorINS8_10device_ptrIiEEEEjNS1_16block_id_wrapperIjLb0EEEEEvT_jjPNSG_10value_typeET0_PNSt15iterator_traitsISJ_E10value_typeEmT1_T2_.num_agpr, 0
	.set _ZN7rocprim17ROCPRIM_400000_NS6detail30init_device_scan_by_key_kernelINS1_19lookback_scan_stateINS0_5tupleIJtbEEELb0ELb1EEEN6thrust23THRUST_200600_302600_NS6detail15normal_iteratorINS8_10device_ptrIiEEEEjNS1_16block_id_wrapperIjLb0EEEEEvT_jjPNSG_10value_typeET0_PNSt15iterator_traitsISJ_E10value_typeEmT1_T2_.numbered_sgpr, 16
	.set _ZN7rocprim17ROCPRIM_400000_NS6detail30init_device_scan_by_key_kernelINS1_19lookback_scan_stateINS0_5tupleIJtbEEELb0ELb1EEEN6thrust23THRUST_200600_302600_NS6detail15normal_iteratorINS8_10device_ptrIiEEEEjNS1_16block_id_wrapperIjLb0EEEEEvT_jjPNSG_10value_typeET0_PNSt15iterator_traitsISJ_E10value_typeEmT1_T2_.num_named_barrier, 0
	.set _ZN7rocprim17ROCPRIM_400000_NS6detail30init_device_scan_by_key_kernelINS1_19lookback_scan_stateINS0_5tupleIJtbEEELb0ELb1EEEN6thrust23THRUST_200600_302600_NS6detail15normal_iteratorINS8_10device_ptrIiEEEEjNS1_16block_id_wrapperIjLb0EEEEEvT_jjPNSG_10value_typeET0_PNSt15iterator_traitsISJ_E10value_typeEmT1_T2_.private_seg_size, 0
	.set _ZN7rocprim17ROCPRIM_400000_NS6detail30init_device_scan_by_key_kernelINS1_19lookback_scan_stateINS0_5tupleIJtbEEELb0ELb1EEEN6thrust23THRUST_200600_302600_NS6detail15normal_iteratorINS8_10device_ptrIiEEEEjNS1_16block_id_wrapperIjLb0EEEEEvT_jjPNSG_10value_typeET0_PNSt15iterator_traitsISJ_E10value_typeEmT1_T2_.uses_vcc, 1
	.set _ZN7rocprim17ROCPRIM_400000_NS6detail30init_device_scan_by_key_kernelINS1_19lookback_scan_stateINS0_5tupleIJtbEEELb0ELb1EEEN6thrust23THRUST_200600_302600_NS6detail15normal_iteratorINS8_10device_ptrIiEEEEjNS1_16block_id_wrapperIjLb0EEEEEvT_jjPNSG_10value_typeET0_PNSt15iterator_traitsISJ_E10value_typeEmT1_T2_.uses_flat_scratch, 0
	.set _ZN7rocprim17ROCPRIM_400000_NS6detail30init_device_scan_by_key_kernelINS1_19lookback_scan_stateINS0_5tupleIJtbEEELb0ELb1EEEN6thrust23THRUST_200600_302600_NS6detail15normal_iteratorINS8_10device_ptrIiEEEEjNS1_16block_id_wrapperIjLb0EEEEEvT_jjPNSG_10value_typeET0_PNSt15iterator_traitsISJ_E10value_typeEmT1_T2_.has_dyn_sized_stack, 0
	.set _ZN7rocprim17ROCPRIM_400000_NS6detail30init_device_scan_by_key_kernelINS1_19lookback_scan_stateINS0_5tupleIJtbEEELb0ELb1EEEN6thrust23THRUST_200600_302600_NS6detail15normal_iteratorINS8_10device_ptrIiEEEEjNS1_16block_id_wrapperIjLb0EEEEEvT_jjPNSG_10value_typeET0_PNSt15iterator_traitsISJ_E10value_typeEmT1_T2_.has_recursion, 0
	.set _ZN7rocprim17ROCPRIM_400000_NS6detail30init_device_scan_by_key_kernelINS1_19lookback_scan_stateINS0_5tupleIJtbEEELb0ELb1EEEN6thrust23THRUST_200600_302600_NS6detail15normal_iteratorINS8_10device_ptrIiEEEEjNS1_16block_id_wrapperIjLb0EEEEEvT_jjPNSG_10value_typeET0_PNSt15iterator_traitsISJ_E10value_typeEmT1_T2_.has_indirect_call, 0
	.section	.AMDGPU.csdata,"",@progbits
; Kernel info:
; codeLenInByte = 564
; TotalNumSgprs: 18
; NumVgprs: 7
; ScratchSize: 0
; MemoryBound: 0
; FloatMode: 240
; IeeeMode: 1
; LDSByteSize: 0 bytes/workgroup (compile time only)
; SGPRBlocks: 0
; VGPRBlocks: 0
; NumSGPRsForWavesPerEU: 18
; NumVGPRsForWavesPerEU: 7
; NamedBarCnt: 0
; Occupancy: 16
; WaveLimiterHint : 0
; COMPUTE_PGM_RSRC2:SCRATCH_EN: 0
; COMPUTE_PGM_RSRC2:USER_SGPR: 2
; COMPUTE_PGM_RSRC2:TRAP_HANDLER: 0
; COMPUTE_PGM_RSRC2:TGID_X_EN: 1
; COMPUTE_PGM_RSRC2:TGID_Y_EN: 0
; COMPUTE_PGM_RSRC2:TGID_Z_EN: 0
; COMPUTE_PGM_RSRC2:TIDIG_COMP_CNT: 0
	.section	.text._ZN7rocprim17ROCPRIM_400000_NS6detail30init_device_scan_by_key_kernelINS1_19lookback_scan_stateINS0_5tupleIJtbEEELb0ELb1EEENS1_16block_id_wrapperIjLb0EEEEEvT_jjPNS9_10value_typeET0_,"axG",@progbits,_ZN7rocprim17ROCPRIM_400000_NS6detail30init_device_scan_by_key_kernelINS1_19lookback_scan_stateINS0_5tupleIJtbEEELb0ELb1EEENS1_16block_id_wrapperIjLb0EEEEEvT_jjPNS9_10value_typeET0_,comdat
	.protected	_ZN7rocprim17ROCPRIM_400000_NS6detail30init_device_scan_by_key_kernelINS1_19lookback_scan_stateINS0_5tupleIJtbEEELb0ELb1EEENS1_16block_id_wrapperIjLb0EEEEEvT_jjPNS9_10value_typeET0_ ; -- Begin function _ZN7rocprim17ROCPRIM_400000_NS6detail30init_device_scan_by_key_kernelINS1_19lookback_scan_stateINS0_5tupleIJtbEEELb0ELb1EEENS1_16block_id_wrapperIjLb0EEEEEvT_jjPNS9_10value_typeET0_
	.globl	_ZN7rocprim17ROCPRIM_400000_NS6detail30init_device_scan_by_key_kernelINS1_19lookback_scan_stateINS0_5tupleIJtbEEELb0ELb1EEENS1_16block_id_wrapperIjLb0EEEEEvT_jjPNS9_10value_typeET0_
	.p2align	8
	.type	_ZN7rocprim17ROCPRIM_400000_NS6detail30init_device_scan_by_key_kernelINS1_19lookback_scan_stateINS0_5tupleIJtbEEELb0ELb1EEENS1_16block_id_wrapperIjLb0EEEEEvT_jjPNS9_10value_typeET0_,@function
_ZN7rocprim17ROCPRIM_400000_NS6detail30init_device_scan_by_key_kernelINS1_19lookback_scan_stateINS0_5tupleIJtbEEELb0ELb1EEENS1_16block_id_wrapperIjLb0EEEEEvT_jjPNS9_10value_typeET0_: ; @_ZN7rocprim17ROCPRIM_400000_NS6detail30init_device_scan_by_key_kernelINS1_19lookback_scan_stateINS0_5tupleIJtbEEELb0ELb1EEENS1_16block_id_wrapperIjLb0EEEEEvT_jjPNS9_10value_typeET0_
; %bb.0:
	s_clause 0x2
	s_load_b32 s8, s[0:1], 0x2c
	s_load_b128 s[4:7], s[0:1], 0x0
	s_load_b64 s[2:3], s[0:1], 0x10
	s_wait_xcnt 0x0
	s_bfe_u32 s0, ttmp6, 0x4000c
	s_and_b32 s1, ttmp6, 15
	s_add_co_i32 s0, s0, 1
	s_getreg_b32 s9, hwreg(HW_REG_IB_STS2, 6, 4)
	s_mul_i32 s0, ttmp9, s0
	s_delay_alu instid0(SALU_CYCLE_1)
	s_add_co_i32 s1, s1, s0
	s_wait_kmcnt 0x0
	s_and_b32 s8, s8, 0xffff
	s_cmp_eq_u32 s9, 0
	s_cselect_b32 s0, ttmp9, s1
	s_cmp_eq_u64 s[2:3], 0
	v_mad_u32 v4, s0, s8, v0
	s_cbranch_scc1 .LBB1266_7
; %bb.1:
	s_cmp_lt_u32 s7, s6
	s_mov_b32 s8, exec_lo
	s_cselect_b32 s0, s7, 0
	s_delay_alu instid0(VALU_DEP_1) | instid1(SALU_CYCLE_1)
	v_cmpx_eq_u32_e64 s0, v4
	s_cbranch_execz .LBB1266_6
; %bb.2:
	s_add_co_i32 s0, s7, 32
	s_delay_alu instid0(SALU_CYCLE_1) | instskip(SKIP_3) | instid1(VALU_DEP_1)
	v_dual_mov_b32 v2, 0 :: v_dual_mov_b32 v0, s0
	global_load_b64 v[0:1], v0, s[4:5] scale_offset scope:SCOPE_DEV
	s_wait_loadcnt 0x0
	v_and_b32_e32 v3, 0xff, v1
	v_cmp_ne_u64_e32 vcc_lo, 0, v[2:3]
	s_cbranch_vccnz .LBB1266_5
; %bb.3:
	s_mov_b32 s1, 0
	s_delay_alu instid0(SALU_CYCLE_1) | instskip(NEXT) | instid1(SALU_CYCLE_1)
	s_lshl_b64 s[0:1], s[0:1], 3
	s_add_nc_u64 s[0:1], s[4:5], s[0:1]
.LBB1266_4:                             ; =>This Inner Loop Header: Depth=1
	global_load_b64 v[0:1], v2, s[0:1] scope:SCOPE_DEV
	s_wait_loadcnt 0x0
	v_and_b32_e32 v3, 0xff, v1
	s_delay_alu instid0(VALU_DEP_1)
	v_cmp_eq_u64_e32 vcc_lo, 0, v[2:3]
	s_cbranch_vccnz .LBB1266_4
.LBB1266_5:
	v_mov_b32_e32 v1, 0
	s_clause 0x1
	global_store_b16 v1, v0, s[2:3]
	global_store_d16_hi_b8 v1, v0, s[2:3] offset:2
.LBB1266_6:
	s_wait_xcnt 0x0
	s_or_b32 exec_lo, exec_lo, s8
.LBB1266_7:
	s_delay_alu instid0(SALU_CYCLE_1) | instskip(NEXT) | instid1(VALU_DEP_1)
	s_mov_b32 s0, exec_lo
	v_cmpx_gt_u32_e64 s6, v4
	s_cbranch_execz .LBB1266_9
; %bb.8:
	v_mov_b64_e32 v[0:1], 0
	v_add_nc_u32_e32 v2, 32, v4
	global_store_b64 v2, v[0:1], s[4:5] scale_offset
.LBB1266_9:
	s_wait_xcnt 0x0
	s_or_b32 exec_lo, exec_lo, s0
	s_delay_alu instid0(SALU_CYCLE_1)
	s_mov_b32 s0, exec_lo
	v_cmpx_gt_u32_e32 32, v4
	s_cbranch_execz .LBB1266_11
; %bb.10:
	v_mov_b64_e32 v[0:1], 0xff00000000
	global_store_b64 v4, v[0:1], s[4:5] scale_offset
.LBB1266_11:
	s_endpgm
	.section	.rodata,"a",@progbits
	.p2align	6, 0x0
	.amdhsa_kernel _ZN7rocprim17ROCPRIM_400000_NS6detail30init_device_scan_by_key_kernelINS1_19lookback_scan_stateINS0_5tupleIJtbEEELb0ELb1EEENS1_16block_id_wrapperIjLb0EEEEEvT_jjPNS9_10value_typeET0_
		.amdhsa_group_segment_fixed_size 0
		.amdhsa_private_segment_fixed_size 0
		.amdhsa_kernarg_size 288
		.amdhsa_user_sgpr_count 2
		.amdhsa_user_sgpr_dispatch_ptr 0
		.amdhsa_user_sgpr_queue_ptr 0
		.amdhsa_user_sgpr_kernarg_segment_ptr 1
		.amdhsa_user_sgpr_dispatch_id 0
		.amdhsa_user_sgpr_kernarg_preload_length 0
		.amdhsa_user_sgpr_kernarg_preload_offset 0
		.amdhsa_user_sgpr_private_segment_size 0
		.amdhsa_wavefront_size32 1
		.amdhsa_uses_dynamic_stack 0
		.amdhsa_enable_private_segment 0
		.amdhsa_system_sgpr_workgroup_id_x 1
		.amdhsa_system_sgpr_workgroup_id_y 0
		.amdhsa_system_sgpr_workgroup_id_z 0
		.amdhsa_system_sgpr_workgroup_info 0
		.amdhsa_system_vgpr_workitem_id 0
		.amdhsa_next_free_vgpr 5
		.amdhsa_next_free_sgpr 10
		.amdhsa_named_barrier_count 0
		.amdhsa_reserve_vcc 1
		.amdhsa_float_round_mode_32 0
		.amdhsa_float_round_mode_16_64 0
		.amdhsa_float_denorm_mode_32 3
		.amdhsa_float_denorm_mode_16_64 3
		.amdhsa_fp16_overflow 0
		.amdhsa_memory_ordered 1
		.amdhsa_forward_progress 1
		.amdhsa_inst_pref_size 3
		.amdhsa_round_robin_scheduling 0
		.amdhsa_exception_fp_ieee_invalid_op 0
		.amdhsa_exception_fp_denorm_src 0
		.amdhsa_exception_fp_ieee_div_zero 0
		.amdhsa_exception_fp_ieee_overflow 0
		.amdhsa_exception_fp_ieee_underflow 0
		.amdhsa_exception_fp_ieee_inexact 0
		.amdhsa_exception_int_div_zero 0
	.end_amdhsa_kernel
	.section	.text._ZN7rocprim17ROCPRIM_400000_NS6detail30init_device_scan_by_key_kernelINS1_19lookback_scan_stateINS0_5tupleIJtbEEELb0ELb1EEENS1_16block_id_wrapperIjLb0EEEEEvT_jjPNS9_10value_typeET0_,"axG",@progbits,_ZN7rocprim17ROCPRIM_400000_NS6detail30init_device_scan_by_key_kernelINS1_19lookback_scan_stateINS0_5tupleIJtbEEELb0ELb1EEENS1_16block_id_wrapperIjLb0EEEEEvT_jjPNS9_10value_typeET0_,comdat
.Lfunc_end1266:
	.size	_ZN7rocprim17ROCPRIM_400000_NS6detail30init_device_scan_by_key_kernelINS1_19lookback_scan_stateINS0_5tupleIJtbEEELb0ELb1EEENS1_16block_id_wrapperIjLb0EEEEEvT_jjPNS9_10value_typeET0_, .Lfunc_end1266-_ZN7rocprim17ROCPRIM_400000_NS6detail30init_device_scan_by_key_kernelINS1_19lookback_scan_stateINS0_5tupleIJtbEEELb0ELb1EEENS1_16block_id_wrapperIjLb0EEEEEvT_jjPNS9_10value_typeET0_
                                        ; -- End function
	.set _ZN7rocprim17ROCPRIM_400000_NS6detail30init_device_scan_by_key_kernelINS1_19lookback_scan_stateINS0_5tupleIJtbEEELb0ELb1EEENS1_16block_id_wrapperIjLb0EEEEEvT_jjPNS9_10value_typeET0_.num_vgpr, 5
	.set _ZN7rocprim17ROCPRIM_400000_NS6detail30init_device_scan_by_key_kernelINS1_19lookback_scan_stateINS0_5tupleIJtbEEELb0ELb1EEENS1_16block_id_wrapperIjLb0EEEEEvT_jjPNS9_10value_typeET0_.num_agpr, 0
	.set _ZN7rocprim17ROCPRIM_400000_NS6detail30init_device_scan_by_key_kernelINS1_19lookback_scan_stateINS0_5tupleIJtbEEELb0ELb1EEENS1_16block_id_wrapperIjLb0EEEEEvT_jjPNS9_10value_typeET0_.numbered_sgpr, 10
	.set _ZN7rocprim17ROCPRIM_400000_NS6detail30init_device_scan_by_key_kernelINS1_19lookback_scan_stateINS0_5tupleIJtbEEELb0ELb1EEENS1_16block_id_wrapperIjLb0EEEEEvT_jjPNS9_10value_typeET0_.num_named_barrier, 0
	.set _ZN7rocprim17ROCPRIM_400000_NS6detail30init_device_scan_by_key_kernelINS1_19lookback_scan_stateINS0_5tupleIJtbEEELb0ELb1EEENS1_16block_id_wrapperIjLb0EEEEEvT_jjPNS9_10value_typeET0_.private_seg_size, 0
	.set _ZN7rocprim17ROCPRIM_400000_NS6detail30init_device_scan_by_key_kernelINS1_19lookback_scan_stateINS0_5tupleIJtbEEELb0ELb1EEENS1_16block_id_wrapperIjLb0EEEEEvT_jjPNS9_10value_typeET0_.uses_vcc, 1
	.set _ZN7rocprim17ROCPRIM_400000_NS6detail30init_device_scan_by_key_kernelINS1_19lookback_scan_stateINS0_5tupleIJtbEEELb0ELb1EEENS1_16block_id_wrapperIjLb0EEEEEvT_jjPNS9_10value_typeET0_.uses_flat_scratch, 0
	.set _ZN7rocprim17ROCPRIM_400000_NS6detail30init_device_scan_by_key_kernelINS1_19lookback_scan_stateINS0_5tupleIJtbEEELb0ELb1EEENS1_16block_id_wrapperIjLb0EEEEEvT_jjPNS9_10value_typeET0_.has_dyn_sized_stack, 0
	.set _ZN7rocprim17ROCPRIM_400000_NS6detail30init_device_scan_by_key_kernelINS1_19lookback_scan_stateINS0_5tupleIJtbEEELb0ELb1EEENS1_16block_id_wrapperIjLb0EEEEEvT_jjPNS9_10value_typeET0_.has_recursion, 0
	.set _ZN7rocprim17ROCPRIM_400000_NS6detail30init_device_scan_by_key_kernelINS1_19lookback_scan_stateINS0_5tupleIJtbEEELb0ELb1EEENS1_16block_id_wrapperIjLb0EEEEEvT_jjPNS9_10value_typeET0_.has_indirect_call, 0
	.section	.AMDGPU.csdata,"",@progbits
; Kernel info:
; codeLenInByte = 364
; TotalNumSgprs: 12
; NumVgprs: 5
; ScratchSize: 0
; MemoryBound: 0
; FloatMode: 240
; IeeeMode: 1
; LDSByteSize: 0 bytes/workgroup (compile time only)
; SGPRBlocks: 0
; VGPRBlocks: 0
; NumSGPRsForWavesPerEU: 12
; NumVGPRsForWavesPerEU: 5
; NamedBarCnt: 0
; Occupancy: 16
; WaveLimiterHint : 0
; COMPUTE_PGM_RSRC2:SCRATCH_EN: 0
; COMPUTE_PGM_RSRC2:USER_SGPR: 2
; COMPUTE_PGM_RSRC2:TRAP_HANDLER: 0
; COMPUTE_PGM_RSRC2:TGID_X_EN: 1
; COMPUTE_PGM_RSRC2:TGID_Y_EN: 0
; COMPUTE_PGM_RSRC2:TGID_Z_EN: 0
; COMPUTE_PGM_RSRC2:TIDIG_COMP_CNT: 0
	.section	.text._ZN7rocprim17ROCPRIM_400000_NS6detail17trampoline_kernelINS0_14default_configENS1_27scan_by_key_config_selectorIitEEZZNS1_16scan_by_key_implILNS1_25lookback_scan_determinismE0ELb0ES3_N6thrust23THRUST_200600_302600_NS6detail15normal_iteratorINS9_10device_ptrIiEEEENSB_INSC_ItEEEESG_tNS9_4plusIvEENS9_8equal_toIvEEtEE10hipError_tPvRmT2_T3_T4_T5_mT6_T7_P12ihipStream_tbENKUlT_T0_E_clISt17integral_constantIbLb0EES11_EEDaSW_SX_EUlSW_E_NS1_11comp_targetILNS1_3genE0ELNS1_11target_archE4294967295ELNS1_3gpuE0ELNS1_3repE0EEENS1_30default_config_static_selectorELNS0_4arch9wavefront6targetE0EEEvT1_,"axG",@progbits,_ZN7rocprim17ROCPRIM_400000_NS6detail17trampoline_kernelINS0_14default_configENS1_27scan_by_key_config_selectorIitEEZZNS1_16scan_by_key_implILNS1_25lookback_scan_determinismE0ELb0ES3_N6thrust23THRUST_200600_302600_NS6detail15normal_iteratorINS9_10device_ptrIiEEEENSB_INSC_ItEEEESG_tNS9_4plusIvEENS9_8equal_toIvEEtEE10hipError_tPvRmT2_T3_T4_T5_mT6_T7_P12ihipStream_tbENKUlT_T0_E_clISt17integral_constantIbLb0EES11_EEDaSW_SX_EUlSW_E_NS1_11comp_targetILNS1_3genE0ELNS1_11target_archE4294967295ELNS1_3gpuE0ELNS1_3repE0EEENS1_30default_config_static_selectorELNS0_4arch9wavefront6targetE0EEEvT1_,comdat
	.protected	_ZN7rocprim17ROCPRIM_400000_NS6detail17trampoline_kernelINS0_14default_configENS1_27scan_by_key_config_selectorIitEEZZNS1_16scan_by_key_implILNS1_25lookback_scan_determinismE0ELb0ES3_N6thrust23THRUST_200600_302600_NS6detail15normal_iteratorINS9_10device_ptrIiEEEENSB_INSC_ItEEEESG_tNS9_4plusIvEENS9_8equal_toIvEEtEE10hipError_tPvRmT2_T3_T4_T5_mT6_T7_P12ihipStream_tbENKUlT_T0_E_clISt17integral_constantIbLb0EES11_EEDaSW_SX_EUlSW_E_NS1_11comp_targetILNS1_3genE0ELNS1_11target_archE4294967295ELNS1_3gpuE0ELNS1_3repE0EEENS1_30default_config_static_selectorELNS0_4arch9wavefront6targetE0EEEvT1_ ; -- Begin function _ZN7rocprim17ROCPRIM_400000_NS6detail17trampoline_kernelINS0_14default_configENS1_27scan_by_key_config_selectorIitEEZZNS1_16scan_by_key_implILNS1_25lookback_scan_determinismE0ELb0ES3_N6thrust23THRUST_200600_302600_NS6detail15normal_iteratorINS9_10device_ptrIiEEEENSB_INSC_ItEEEESG_tNS9_4plusIvEENS9_8equal_toIvEEtEE10hipError_tPvRmT2_T3_T4_T5_mT6_T7_P12ihipStream_tbENKUlT_T0_E_clISt17integral_constantIbLb0EES11_EEDaSW_SX_EUlSW_E_NS1_11comp_targetILNS1_3genE0ELNS1_11target_archE4294967295ELNS1_3gpuE0ELNS1_3repE0EEENS1_30default_config_static_selectorELNS0_4arch9wavefront6targetE0EEEvT1_
	.globl	_ZN7rocprim17ROCPRIM_400000_NS6detail17trampoline_kernelINS0_14default_configENS1_27scan_by_key_config_selectorIitEEZZNS1_16scan_by_key_implILNS1_25lookback_scan_determinismE0ELb0ES3_N6thrust23THRUST_200600_302600_NS6detail15normal_iteratorINS9_10device_ptrIiEEEENSB_INSC_ItEEEESG_tNS9_4plusIvEENS9_8equal_toIvEEtEE10hipError_tPvRmT2_T3_T4_T5_mT6_T7_P12ihipStream_tbENKUlT_T0_E_clISt17integral_constantIbLb0EES11_EEDaSW_SX_EUlSW_E_NS1_11comp_targetILNS1_3genE0ELNS1_11target_archE4294967295ELNS1_3gpuE0ELNS1_3repE0EEENS1_30default_config_static_selectorELNS0_4arch9wavefront6targetE0EEEvT1_
	.p2align	8
	.type	_ZN7rocprim17ROCPRIM_400000_NS6detail17trampoline_kernelINS0_14default_configENS1_27scan_by_key_config_selectorIitEEZZNS1_16scan_by_key_implILNS1_25lookback_scan_determinismE0ELb0ES3_N6thrust23THRUST_200600_302600_NS6detail15normal_iteratorINS9_10device_ptrIiEEEENSB_INSC_ItEEEESG_tNS9_4plusIvEENS9_8equal_toIvEEtEE10hipError_tPvRmT2_T3_T4_T5_mT6_T7_P12ihipStream_tbENKUlT_T0_E_clISt17integral_constantIbLb0EES11_EEDaSW_SX_EUlSW_E_NS1_11comp_targetILNS1_3genE0ELNS1_11target_archE4294967295ELNS1_3gpuE0ELNS1_3repE0EEENS1_30default_config_static_selectorELNS0_4arch9wavefront6targetE0EEEvT1_,@function
_ZN7rocprim17ROCPRIM_400000_NS6detail17trampoline_kernelINS0_14default_configENS1_27scan_by_key_config_selectorIitEEZZNS1_16scan_by_key_implILNS1_25lookback_scan_determinismE0ELb0ES3_N6thrust23THRUST_200600_302600_NS6detail15normal_iteratorINS9_10device_ptrIiEEEENSB_INSC_ItEEEESG_tNS9_4plusIvEENS9_8equal_toIvEEtEE10hipError_tPvRmT2_T3_T4_T5_mT6_T7_P12ihipStream_tbENKUlT_T0_E_clISt17integral_constantIbLb0EES11_EEDaSW_SX_EUlSW_E_NS1_11comp_targetILNS1_3genE0ELNS1_11target_archE4294967295ELNS1_3gpuE0ELNS1_3repE0EEENS1_30default_config_static_selectorELNS0_4arch9wavefront6targetE0EEEvT1_: ; @_ZN7rocprim17ROCPRIM_400000_NS6detail17trampoline_kernelINS0_14default_configENS1_27scan_by_key_config_selectorIitEEZZNS1_16scan_by_key_implILNS1_25lookback_scan_determinismE0ELb0ES3_N6thrust23THRUST_200600_302600_NS6detail15normal_iteratorINS9_10device_ptrIiEEEENSB_INSC_ItEEEESG_tNS9_4plusIvEENS9_8equal_toIvEEtEE10hipError_tPvRmT2_T3_T4_T5_mT6_T7_P12ihipStream_tbENKUlT_T0_E_clISt17integral_constantIbLb0EES11_EEDaSW_SX_EUlSW_E_NS1_11comp_targetILNS1_3genE0ELNS1_11target_archE4294967295ELNS1_3gpuE0ELNS1_3repE0EEENS1_30default_config_static_selectorELNS0_4arch9wavefront6targetE0EEEvT1_
; %bb.0:
	s_clause 0x3
	s_load_b256 s[12:19], s[0:1], 0x0
	s_load_b256 s[20:27], s[0:1], 0x48
	s_load_b96 s[36:38], s[0:1], 0x38
	s_load_b128 s[28:31], s[0:1], 0x28
	s_getreg_b32 s4, hwreg(HW_REG_IB_STS2, 6, 4)
	s_wait_xcnt 0x0
	s_mov_b32 s1, 0
	s_barrier_signal -1
	s_barrier_wait -1
	s_wait_kmcnt 0x0
	s_lshl_b64 s[2:3], s[14:15], 2
	s_lshl_b64 s[34:35], s[14:15], 1
	s_cmp_lg_u64 s[24:25], 0
	s_mov_b32 s0, s38
	s_cselect_b32 s33, -1, 0
	s_bfe_u32 s5, ttmp6, 0x4000c
	s_and_b32 s6, ttmp6, 15
	s_add_co_i32 s5, s5, 1
	s_mov_b32 s25, s1
	s_mul_i32 s5, ttmp9, s5
	s_add_nc_u64 s[2:3], s[12:13], s[2:3]
	s_add_co_i32 s6, s6, s5
	s_cmp_eq_u32 s4, 0
	s_mul_u64 s[4:5], s[36:37], s[0:1]
	s_cselect_b32 s24, ttmp9, s6
	s_add_nc_u64 s[6:7], s[16:17], s[34:35]
	s_add_nc_u64 s[38:39], s[4:5], s[24:25]
	s_add_nc_u64 s[4:5], s[20:21], -1
	s_mul_i32 s0, s24, 0xe00
	v_cmp_ge_u64_e64 s25, s[38:39], s[4:5]
	s_lshl_b64 s[8:9], s[0:1], 2
	s_lshl_b64 s[16:17], s[0:1], 1
	s_add_nc_u64 s[20:21], s[2:3], s[8:9]
	s_add_nc_u64 s[14:15], s[6:7], s[16:17]
	s_mul_i32 s31, s4, 0xfffff200
	s_and_b32 vcc_lo, exec_lo, s25
	s_cbranch_vccz .LBB1267_32
; %bb.1:
	v_mov_b32_e32 v1, 0
	s_add_co_i32 s42, s31, s30
	s_delay_alu instid0(SALU_CYCLE_1)
	v_cmp_gt_u32_e64 s0, s42, v0
	flat_load_b32 v1, v1, s[20:21]
	s_wait_loadcnt_dscnt 0x0
	v_mov_b32_e32 v2, v1
	s_and_saveexec_b32 s1, s0
	s_cbranch_execz .LBB1267_3
; %bb.2:
	flat_load_b32 v2, v0, s[20:21] scale_offset
.LBB1267_3:
	s_wait_xcnt 0x0
	s_or_b32 exec_lo, exec_lo, s1
	v_or_b32_e32 v3, 0x100, v0
	s_delay_alu instid0(VALU_DEP_1)
	v_cmp_gt_u32_e64 s1, s42, v3
	v_mov_b32_e32 v3, v1
	s_and_saveexec_b32 s2, s1
	s_cbranch_execz .LBB1267_5
; %bb.4:
	flat_load_b32 v3, v0, s[20:21] offset:1024 scale_offset
.LBB1267_5:
	s_wait_xcnt 0x0
	s_or_b32 exec_lo, exec_lo, s2
	v_or_b32_e32 v4, 0x200, v0
	s_delay_alu instid0(VALU_DEP_1)
	v_cmp_gt_u32_e64 s2, s42, v4
	v_mov_b32_e32 v4, v1
	s_and_saveexec_b32 s3, s2
	s_cbranch_execz .LBB1267_7
; %bb.6:
	flat_load_b32 v4, v0, s[20:21] offset:2048 scale_offset
.LBB1267_7:
	;; [unrolled: 11-line block ×12, first 2 shown]
	s_wait_xcnt 0x0
	s_or_b32 exec_lo, exec_lo, s13
	v_or_b32_e32 v15, 0xd00, v0
	s_mov_b32 s40, exec_lo
	s_delay_alu instid0(VALU_DEP_1) | instskip(SKIP_2) | instid1(SALU_CYCLE_1)
	v_cmp_gt_u32_e64 s13, s42, v15
	v_cmpx_le_u32_e64 s42, v15
	s_xor_b32 s40, exec_lo, s40
	s_and_not1_saveexec_b32 s40, s40
	s_cbranch_execz .LBB1267_29
; %bb.28:
	flat_load_b32 v1, v0, s[20:21] offset:13312 scale_offset
.LBB1267_29:
	s_wait_xcnt 0x0
	s_or_b32 exec_lo, exec_lo, s40
	v_lshlrev_b32_e32 v15, 2, v0
	s_cmp_eq_u64 s[38:39], 0
	s_mov_b64 s[40:41], s[20:21]
	s_wait_loadcnt_dscnt 0x0
	ds_store_2addr_stride64_b32 v15, v2, v3 offset1:4
	ds_store_2addr_stride64_b32 v15, v4, v5 offset0:8 offset1:12
	ds_store_2addr_stride64_b32 v15, v6, v7 offset0:16 offset1:20
	;; [unrolled: 1-line block ×6, first 2 shown]
	v_mad_u32_u24 v1, v0, 52, v15
	s_wait_dscnt 0x0
	s_barrier_signal -1
	s_barrier_wait -1
	ds_load_2addr_b64 v[22:25], v1 offset1:1
	ds_load_2addr_b64 v[18:21], v1 offset0:2 offset1:3
	ds_load_2addr_b64 v[14:17], v1 offset0:4 offset1:5
	ds_load_b64 v[30:31], v1 offset:48
	s_cbranch_scc1 .LBB1267_35
; %bb.30:
	s_and_not1_b32 vcc_lo, exec_lo, s33
	s_cbranch_vccnz .LBB1267_33
; %bb.31:
	s_lshl_b64 s[40:41], s[38:39], 2
	s_mov_b32 s43, 0
	s_add_nc_u64 s[40:41], s[26:27], s[40:41]
	s_delay_alu instid0(SALU_CYCLE_1)
	s_add_nc_u64 s[40:41], s[40:41], -4
	s_branch .LBB1267_34
.LBB1267_32:
                                        ; implicit-def: $sgpr3
                                        ; implicit-def: $vgpr2_vgpr3_vgpr4_vgpr5
                                        ; implicit-def: $vgpr6_vgpr7_vgpr8_vgpr9
                                        ; implicit-def: $vgpr33
                                        ; implicit-def: $vgpr27
                                        ; implicit-def: $vgpr10_vgpr11_vgpr12_vgpr13
                                        ; implicit-def: $vgpr1
	s_cbranch_execnz .LBB1267_79
	s_branch .LBB1267_100
.LBB1267_33:
	s_add_nc_u64 s[40:41], s[20:21], -4
	s_mov_b32 s43, -1
.LBB1267_34:
	s_delay_alu instid0(SALU_CYCLE_1)
	s_and_not1_b32 vcc_lo, exec_lo, s43
.LBB1267_35:
	v_mov_b32_e32 v2, 0
	v_mad_i32_i24 v1, 0xffffffcc, v0, v1
	flat_load_b32 v26, v2, s[40:41]
	s_wait_xcnt 0x0
	s_mov_b32 s40, exec_lo
	s_wait_dscnt 0x1
	ds_store_b32 v1, v31 offset:14336
	s_wait_loadcnt_dscnt 0x0
	s_barrier_signal -1
	s_barrier_wait -1
	v_cmpx_ne_u32_e32 0, v0
; %bb.36:
	ds_load_b32 v26, v1 offset:14332
; %bb.37:
	s_or_b32 exec_lo, exec_lo, s40
	s_wait_dscnt 0x0
	s_barrier_signal -1
	s_barrier_wait -1
                                        ; implicit-def: $vgpr3
	s_and_saveexec_b32 s40, s0
	s_cbranch_execnz .LBB1267_82
; %bb.38:
	s_or_b32 exec_lo, exec_lo, s40
                                        ; implicit-def: $vgpr4
	s_and_saveexec_b32 s0, s1
	s_cbranch_execnz .LBB1267_83
.LBB1267_39:
	s_or_b32 exec_lo, exec_lo, s0
                                        ; implicit-def: $vgpr5
	s_and_saveexec_b32 s0, s2
	s_cbranch_execnz .LBB1267_84
.LBB1267_40:
	s_or_b32 exec_lo, exec_lo, s0
                                        ; implicit-def: $vgpr6
	s_and_saveexec_b32 s0, s3
	s_cbranch_execnz .LBB1267_85
.LBB1267_41:
	s_or_b32 exec_lo, exec_lo, s0
                                        ; implicit-def: $vgpr7
	s_and_saveexec_b32 s0, s4
	s_cbranch_execnz .LBB1267_86
.LBB1267_42:
	s_or_b32 exec_lo, exec_lo, s0
                                        ; implicit-def: $vgpr8
	s_and_saveexec_b32 s0, s5
	s_cbranch_execnz .LBB1267_87
.LBB1267_43:
	s_or_b32 exec_lo, exec_lo, s0
                                        ; implicit-def: $vgpr9
	s_and_saveexec_b32 s0, s6
	s_cbranch_execnz .LBB1267_88
.LBB1267_44:
	s_or_b32 exec_lo, exec_lo, s0
                                        ; implicit-def: $vgpr10
	s_and_saveexec_b32 s0, s7
	s_cbranch_execnz .LBB1267_89
.LBB1267_45:
	s_or_b32 exec_lo, exec_lo, s0
                                        ; implicit-def: $vgpr11
	s_and_saveexec_b32 s0, s8
	s_cbranch_execnz .LBB1267_90
.LBB1267_46:
	s_or_b32 exec_lo, exec_lo, s0
                                        ; implicit-def: $vgpr12
	s_and_saveexec_b32 s0, s9
	s_cbranch_execnz .LBB1267_91
.LBB1267_47:
	s_or_b32 exec_lo, exec_lo, s0
                                        ; implicit-def: $vgpr13
	s_and_saveexec_b32 s0, s10
	s_cbranch_execnz .LBB1267_92
.LBB1267_48:
	s_or_b32 exec_lo, exec_lo, s0
                                        ; implicit-def: $vgpr27
	s_and_saveexec_b32 s0, s11
	s_cbranch_execnz .LBB1267_93
.LBB1267_49:
	s_or_b32 exec_lo, exec_lo, s0
                                        ; implicit-def: $vgpr29
	s_and_saveexec_b32 s0, s12
	s_cbranch_execnz .LBB1267_94
.LBB1267_50:
	s_or_b32 exec_lo, exec_lo, s0
                                        ; implicit-def: $vgpr32
	s_and_saveexec_b32 s0, s13
	s_cbranch_execz .LBB1267_52
.LBB1267_51:
	flat_load_u16 v32, v0, s[14:15] offset:6656 scale_offset
.LBB1267_52:
	s_wait_xcnt 0x0
	s_or_b32 exec_lo, exec_lo, s0
	v_lshlrev_b32_e32 v2, 1, v0
	v_mul_u32_u24_e32 v34, 14, v0
	s_mov_b32 s0, 0
	s_mov_b32 s1, 0
	s_mov_b32 s2, exec_lo
	v_dual_sub_nc_u32 v28, v1, v2 :: v_dual_mov_b32 v2, 0
                                        ; implicit-def: $sgpr3
                                        ; implicit-def: $vgpr33
	s_wait_loadcnt_dscnt 0x0
	ds_store_b16 v28, v3
	ds_store_b16 v28, v4 offset:512
	ds_store_b16 v28, v5 offset:1024
	ds_store_b16 v28, v6 offset:1536
	ds_store_b16 v28, v7 offset:2048
	ds_store_b16 v28, v8 offset:2560
	ds_store_b16 v28, v9 offset:3072
	ds_store_b16 v28, v10 offset:3584
	v_dual_mov_b32 v3, v2 :: v_dual_mov_b32 v4, v2
	v_mov_b32_e32 v5, v2
	ds_store_b16 v28, v11 offset:4096
	ds_store_b16 v28, v12 offset:4608
	;; [unrolled: 1-line block ×6, first 2 shown]
	v_dual_mov_b32 v27, v2 :: v_dual_mov_b32 v1, v2
	s_wait_dscnt 0x0
	v_mov_b64_e32 v[8:9], v[4:5]
	v_mov_b64_e32 v[12:13], v[4:5]
	;; [unrolled: 1-line block ×4, first 2 shown]
	s_barrier_signal -1
	s_barrier_wait -1
	v_cmpx_gt_u32_e64 s42, v34
	s_cbranch_execz .LBB1267_78
; %bb.53:
	v_mad_u32_u24 v1, v0, 26, v28
	v_dual_mov_b32 v4, 0 :: v_dual_bitop2_b32 v6, 1, v34 bitop3:0x54
	v_cmp_eq_u32_e32 vcc_lo, v26, v22
	s_mov_b32 s4, 0
	ds_load_u16 v1, v1
	v_dual_mov_b32 v5, v4 :: v_dual_mov_b32 v2, v4
	v_mov_b32_e32 v3, v4
	v_cndmask_b32_e64 v32, 0x10000, 0, vcc_lo
	v_cmp_gt_u32_e32 vcc_lo, s42, v6
	s_delay_alu instid0(VALU_DEP_4)
	v_mov_b64_e32 v[8:9], v[4:5]
	v_mov_b64_e32 v[12:13], v[4:5]
	;; [unrolled: 1-line block ×4, first 2 shown]
                                        ; implicit-def: $sgpr3
                                        ; implicit-def: $vgpr33
	s_and_saveexec_b32 s1, vcc_lo
	s_cbranch_execz .LBB1267_77
; %bb.54:
	v_mul_u32_u24_e32 v2, 26, v0
	v_cmp_eq_u32_e32 vcc_lo, v22, v23
	v_dual_add_nc_u32 v10, 2, v34 :: v_dual_mov_b32 v6, v4
	v_dual_mov_b32 v7, v4 :: v_dual_mov_b32 v8, v4
	s_delay_alu instid0(VALU_DEP_4)
	v_add_nc_u32_e32 v35, v28, v2
	v_dual_mov_b32 v9, v4 :: v_dual_mov_b32 v3, v4
	v_cndmask_b32_e64 v2, 0x10000, 0, vcc_lo
	v_cmp_gt_u32_e32 vcc_lo, s42, v10
	ds_load_b128 v[26:29], v35 offset:2
	v_mov_b64_e32 v[12:13], v[8:9]
	v_mov_b64_e32 v[10:11], v[6:7]
	v_mov_b32_e32 v5, v4
	s_mov_b32 s5, 0
                                        ; implicit-def: $sgpr3
                                        ; implicit-def: $vgpr33
	s_wait_dscnt 0x0
	v_and_or_b32 v2, 0xffff, v26, v2
	s_and_saveexec_b32 s4, vcc_lo
	s_cbranch_execz .LBB1267_76
; %bb.55:
	v_dual_mov_b32 v6, 0 :: v_dual_lshrrev_b32 v3, 16, v26
	v_cmp_eq_u32_e32 vcc_lo, v23, v24
	v_add_nc_u32_e32 v10, 3, v34
	s_mov_b32 s6, 0
	s_delay_alu instid0(VALU_DEP_3) | instskip(SKIP_3) | instid1(VALU_DEP_4)
	v_dual_mov_b32 v8, v6 :: v_dual_mov_b32 v9, v6
	v_mov_b32_e32 v7, v6
	v_cndmask_b32_e64 v5, 0x10000, 0, vcc_lo
	v_cmp_gt_u32_e32 vcc_lo, s42, v10
                                        ; implicit-def: $sgpr3
                                        ; implicit-def: $vgpr33
	v_mov_b64_e32 v[12:13], v[8:9]
	s_delay_alu instid0(VALU_DEP_4) | instskip(NEXT) | instid1(VALU_DEP_4)
	v_mov_b64_e32 v[10:11], v[6:7]
	v_dual_mov_b32 v5, v4 :: v_dual_bitop2_b32 v3, v5, v3 bitop3:0x54
	s_and_saveexec_b32 s5, vcc_lo
	s_cbranch_execz .LBB1267_75
; %bb.56:
	v_cmp_eq_u32_e32 vcc_lo, v24, v25
	v_dual_mov_b32 v8, v6 :: v_dual_mov_b32 v9, v6
	v_dual_add_nc_u32 v5, 4, v34 :: v_dual_mov_b32 v7, v6
	v_cndmask_b32_e64 v4, 0x10000, 0, vcc_lo
	s_mov_b32 s7, 0
	s_delay_alu instid0(VALU_DEP_3) | instskip(NEXT) | instid1(VALU_DEP_3)
	v_mov_b64_e32 v[12:13], v[8:9]
	v_cmp_gt_u32_e32 vcc_lo, s42, v5
	v_mov_b64_e32 v[10:11], v[6:7]
	v_and_or_b32 v4, 0xffff, v27, v4
	v_mov_b32_e32 v5, s7
                                        ; implicit-def: $sgpr3
                                        ; implicit-def: $vgpr33
	s_and_saveexec_b32 s6, vcc_lo
	s_cbranch_execz .LBB1267_74
; %bb.57:
	v_dual_mov_b32 v8, 0 :: v_dual_lshrrev_b32 v5, 16, v27
	v_cmp_eq_u32_e32 vcc_lo, v25, v18
	v_add_nc_u32_e32 v11, 5, v34
	s_mov_b32 s8, 0
	s_delay_alu instid0(VALU_DEP_3) | instskip(SKIP_3) | instid1(VALU_DEP_3)
	v_dual_mov_b32 v7, v8 :: v_dual_mov_b32 v9, v8
	v_cndmask_b32_e64 v10, 0x10000, 0, vcc_lo
	v_mov_b32_e32 v6, v8
	v_cmp_gt_u32_e32 vcc_lo, s42, v11
                                        ; implicit-def: $sgpr3
                                        ; implicit-def: $vgpr33
	v_or_b32_e32 v5, v10, v5
	v_mov_b64_e32 v[12:13], v[8:9]
	s_delay_alu instid0(VALU_DEP_4)
	v_mov_b64_e32 v[10:11], v[6:7]
	s_and_saveexec_b32 s7, vcc_lo
	s_cbranch_execz .LBB1267_73
; %bb.58:
	v_cmp_eq_u32_e32 vcc_lo, v18, v19
	v_dual_add_nc_u32 v9, 6, v34 :: v_dual_mov_b32 v7, v8
	v_dual_mov_b32 v11, v8 :: v_dual_mov_b32 v12, v8
	v_cndmask_b32_e64 v6, 0x10000, 0, vcc_lo
	s_delay_alu instid0(VALU_DEP_3) | instskip(SKIP_2) | instid1(VALU_DEP_4)
	v_cmp_gt_u32_e32 vcc_lo, s42, v9
	v_dual_mov_b32 v9, v8 :: v_dual_mov_b32 v10, v8
	v_mov_b32_e32 v13, v8
	v_and_or_b32 v6, 0xffff, v28, v6
	s_mov_b32 s9, 0
                                        ; implicit-def: $sgpr3
                                        ; implicit-def: $vgpr33
	s_and_saveexec_b32 s8, vcc_lo
	s_cbranch_execz .LBB1267_72
; %bb.59:
	v_cmp_eq_u32_e32 vcc_lo, v19, v20
	v_dual_lshrrev_b32 v7, 16, v28 :: v_dual_add_nc_u32 v11, 7, v34
	s_mov_b32 s10, 0
                                        ; implicit-def: $sgpr3
                                        ; implicit-def: $vgpr33
	v_cndmask_b32_e64 v9, 0x10000, 0, vcc_lo
	v_mov_b32_e32 v10, 0
	s_delay_alu instid0(VALU_DEP_3) | instskip(NEXT) | instid1(VALU_DEP_3)
	v_cmp_gt_u32_e32 vcc_lo, s42, v11
	v_dual_mov_b32 v9, v8 :: v_dual_bitop2_b32 v7, v9, v7 bitop3:0x54
	s_delay_alu instid0(VALU_DEP_3)
	v_dual_mov_b32 v11, v10 :: v_dual_mov_b32 v12, v10
	v_mov_b32_e32 v13, v10
	s_and_saveexec_b32 s9, vcc_lo
	s_cbranch_execz .LBB1267_71
; %bb.60:
	v_cmp_eq_u32_e32 vcc_lo, v20, v21
	v_dual_add_nc_u32 v9, 8, v34 :: v_dual_mov_b32 v11, v10
	s_mov_b32 s11, 0
	v_mov_b32_e32 v13, v10
	v_cndmask_b32_e64 v8, 0x10000, 0, vcc_lo
	s_delay_alu instid0(VALU_DEP_3) | instskip(SKIP_1) | instid1(VALU_DEP_3)
	v_cmp_gt_u32_e32 vcc_lo, s42, v9
	v_dual_mov_b32 v9, s11 :: v_dual_mov_b32 v12, v10
                                        ; implicit-def: $sgpr3
                                        ; implicit-def: $vgpr33
	v_and_or_b32 v8, 0xffff, v29, v8
	s_and_saveexec_b32 s10, vcc_lo
	s_cbranch_execz .LBB1267_70
; %bb.61:
	v_cmp_eq_u32_e32 vcc_lo, v21, v14
	v_dual_lshrrev_b32 v9, 16, v29 :: v_dual_add_nc_u32 v11, 9, v34
	s_mov_b32 s12, 0
                                        ; implicit-def: $sgpr3
                                        ; implicit-def: $vgpr33
	v_cndmask_b32_e64 v10, 0x10000, 0, vcc_lo
	v_mov_b32_e32 v12, 0
	s_delay_alu instid0(VALU_DEP_3) | instskip(NEXT) | instid1(VALU_DEP_2)
	v_cmp_gt_u32_e32 vcc_lo, s42, v11
	v_dual_mov_b32 v10, v12 :: v_dual_bitop2_b32 v9, v10, v9 bitop3:0x54
	v_dual_mov_b32 v11, v12 :: v_dual_mov_b32 v13, v12
	s_and_saveexec_b32 s11, vcc_lo
	s_cbranch_execz .LBB1267_69
; %bb.62:
	ds_load_b64 v[18:19], v35 offset:18
	v_cmp_eq_u32_e32 vcc_lo, v14, v15
	v_dual_mov_b32 v11, v12 :: v_dual_add_nc_u32 v10, 10, v34
	s_mov_b32 s13, 0
                                        ; implicit-def: $sgpr3
                                        ; implicit-def: $vgpr33
	v_cndmask_b32_e64 v13, 0x10000, 0, vcc_lo
	s_delay_alu instid0(VALU_DEP_2) | instskip(SKIP_1) | instid1(VALU_DEP_2)
	v_cmp_gt_u32_e32 vcc_lo, s42, v10
	s_wait_dscnt 0x0
	v_and_or_b32 v10, 0xffff, v18, v13
	v_mov_b32_e32 v13, v12
	s_and_saveexec_b32 s12, vcc_lo
	s_cbranch_execz .LBB1267_68
; %bb.63:
	v_cmp_eq_u32_e32 vcc_lo, v15, v16
	v_lshrrev_b32_e32 v11, 16, v18
	s_mov_b32 s40, 0
	s_mov_b32 s13, exec_lo
                                        ; implicit-def: $sgpr3
                                        ; implicit-def: $vgpr33
	v_cndmask_b32_e64 v13, 0x10000, 0, vcc_lo
	s_delay_alu instid0(VALU_DEP_1) | instskip(SKIP_1) | instid1(VALU_DEP_2)
	v_dual_add_nc_u32 v14, 11, v34 :: v_dual_bitop2_b32 v11, v13, v11 bitop3:0x54
	v_mov_b32_e32 v13, v12
	v_cmpx_gt_u32_e64 s42, v14
	s_cbranch_execz .LBB1267_67
; %bb.64:
	v_cmp_eq_u32_e32 vcc_lo, v16, v17
	v_add_nc_u32_e32 v13, 12, v34
                                        ; implicit-def: $sgpr3
                                        ; implicit-def: $vgpr33
	v_cndmask_b32_e64 v12, 0x10000, 0, vcc_lo
	s_delay_alu instid0(VALU_DEP_2) | instskip(SKIP_1) | instid1(VALU_DEP_3)
	v_cmp_gt_u32_e32 vcc_lo, s42, v13
	v_mov_b32_e32 v13, s40
	v_and_or_b32 v12, 0xffff, v19, v12
	s_and_saveexec_b32 s41, vcc_lo
	s_delay_alu instid0(SALU_CYCLE_1)
	s_xor_b32 s41, exec_lo, s41
	s_cbranch_execz .LBB1267_66
; %bb.65:
	ds_load_u16 v33, v35 offset:26
	v_cmp_eq_u32_e32 vcc_lo, v17, v30
	v_dual_lshrrev_b32 v13, 16, v19 :: v_dual_add_nc_u32 v14, 13, v34
	v_cmp_ne_u32_e64 s3, v30, v31
	v_cndmask_b32_e64 v15, 0x10000, 0, vcc_lo
	s_delay_alu instid0(VALU_DEP_3) | instskip(NEXT) | instid1(VALU_DEP_2)
	v_cmp_gt_u32_e32 vcc_lo, s42, v14
	v_or_b32_e32 v13, v15, v13
	s_and_b32 s40, vcc_lo, exec_lo
.LBB1267_66:
	s_or_b32 exec_lo, exec_lo, s41
	s_delay_alu instid0(SALU_CYCLE_1)
	s_and_b32 s40, s40, exec_lo
.LBB1267_67:
	s_or_b32 exec_lo, exec_lo, s13
	s_delay_alu instid0(SALU_CYCLE_1)
	s_and_b32 s13, s40, exec_lo
.LBB1267_68:
	s_or_b32 exec_lo, exec_lo, s12
	s_delay_alu instid0(SALU_CYCLE_1)
	s_and_b32 s12, s13, exec_lo
.LBB1267_69:
	s_or_b32 exec_lo, exec_lo, s11
	s_delay_alu instid0(SALU_CYCLE_1)
	s_and_b32 s11, s12, exec_lo
.LBB1267_70:
	s_or_b32 exec_lo, exec_lo, s10
	s_delay_alu instid0(SALU_CYCLE_1)
	s_and_b32 s10, s11, exec_lo
.LBB1267_71:
	s_or_b32 exec_lo, exec_lo, s9
	s_delay_alu instid0(SALU_CYCLE_1)
	s_and_b32 s9, s10, exec_lo
.LBB1267_72:
	s_or_b32 exec_lo, exec_lo, s8
	s_delay_alu instid0(SALU_CYCLE_1)
	s_and_b32 s8, s9, exec_lo
.LBB1267_73:
	s_or_b32 exec_lo, exec_lo, s7
	s_delay_alu instid0(SALU_CYCLE_1)
	s_and_b32 s7, s8, exec_lo
.LBB1267_74:
	s_or_b32 exec_lo, exec_lo, s6
	s_delay_alu instid0(SALU_CYCLE_1)
	s_and_b32 s6, s7, exec_lo
.LBB1267_75:
	s_or_b32 exec_lo, exec_lo, s5
	s_delay_alu instid0(SALU_CYCLE_1)
	s_and_b32 s5, s6, exec_lo
.LBB1267_76:
	s_or_b32 exec_lo, exec_lo, s4
	s_delay_alu instid0(SALU_CYCLE_1)
	s_and_b32 s4, s5, exec_lo
.LBB1267_77:
	s_or_b32 exec_lo, exec_lo, s1
	s_wait_dscnt 0x0
	v_or_b32_e32 v27, v32, v1
	s_and_b32 s1, s4, exec_lo
	s_delay_alu instid0(VALU_DEP_1)
	v_mov_b32_e32 v1, v27
.LBB1267_78:
	s_or_b32 exec_lo, exec_lo, s2
	s_delay_alu instid0(SALU_CYCLE_1)
	s_and_b32 vcc_lo, exec_lo, s0
	s_cbranch_vccz .LBB1267_100
.LBB1267_79:
	s_clause 0xd
	flat_load_b32 v1, v0, s[20:21] scale_offset
	flat_load_b32 v2, v0, s[20:21] offset:1024 scale_offset
	flat_load_b32 v3, v0, s[20:21] offset:2048 scale_offset
	;; [unrolled: 1-line block ×13, first 2 shown]
	v_dual_lshlrev_b32 v15, 2, v0 :: v_dual_mov_b32 v19, 0
	s_cmp_eq_u64 s[38:39], 0
	s_wait_loadcnt_dscnt 0xc0c
	ds_store_2addr_stride64_b32 v15, v1, v2 offset1:4
	s_wait_loadcnt_dscnt 0xa0b
	ds_store_2addr_stride64_b32 v15, v3, v4 offset0:8 offset1:12
	s_wait_loadcnt_dscnt 0x80a
	ds_store_2addr_stride64_b32 v15, v5, v6 offset0:16 offset1:20
	;; [unrolled: 2-line block ×6, first 2 shown]
	v_mad_u32_u24 v18, v0, 52, v15
	s_wait_dscnt 0x0
	s_barrier_signal -1
	s_barrier_wait -1
	ds_load_2addr_b64 v[10:13], v18 offset1:1
	ds_load_2addr_b64 v[6:9], v18 offset0:2 offset1:3
	ds_load_2addr_b64 v[2:5], v18 offset0:4 offset1:5
	ds_load_2addr_b32 v[16:17], v18 offset0:9 offset1:10
	ds_load_2addr_b32 v[14:15], v18 offset0:11 offset1:12
	ds_load_b32 v1, v18 offset:52
	s_cbranch_scc1 .LBB1267_97
; %bb.80:
	s_and_not1_b32 vcc_lo, exec_lo, s33
	s_cbranch_vccnz .LBB1267_95
; %bb.81:
	s_lshl_b64 s[0:1], s[38:39], 2
	s_delay_alu instid0(SALU_CYCLE_1) | instskip(NEXT) | instid1(SALU_CYCLE_1)
	s_add_nc_u64 s[0:1], s[26:27], s[0:1]
	s_add_nc_u64 s[20:21], s[0:1], -4
	s_mov_b32 s0, 0
	s_branch .LBB1267_96
.LBB1267_82:
	flat_load_u16 v3, v0, s[14:15] scale_offset
	s_wait_xcnt 0x0
	s_or_b32 exec_lo, exec_lo, s40
                                        ; implicit-def: $vgpr4
	s_and_saveexec_b32 s0, s1
	s_cbranch_execz .LBB1267_39
.LBB1267_83:
	flat_load_u16 v4, v0, s[14:15] offset:512 scale_offset
	s_wait_xcnt 0x0
	s_or_b32 exec_lo, exec_lo, s0
                                        ; implicit-def: $vgpr5
	s_and_saveexec_b32 s0, s2
	s_cbranch_execz .LBB1267_40
.LBB1267_84:
	flat_load_u16 v5, v0, s[14:15] offset:1024 scale_offset
	s_wait_xcnt 0x0
	s_or_b32 exec_lo, exec_lo, s0
                                        ; implicit-def: $vgpr6
	s_and_saveexec_b32 s0, s3
	s_cbranch_execz .LBB1267_41
.LBB1267_85:
	flat_load_u16 v6, v0, s[14:15] offset:1536 scale_offset
	s_wait_xcnt 0x0
	s_or_b32 exec_lo, exec_lo, s0
                                        ; implicit-def: $vgpr7
	s_and_saveexec_b32 s0, s4
	s_cbranch_execz .LBB1267_42
.LBB1267_86:
	flat_load_u16 v7, v0, s[14:15] offset:2048 scale_offset
	s_wait_xcnt 0x0
	s_or_b32 exec_lo, exec_lo, s0
                                        ; implicit-def: $vgpr8
	s_and_saveexec_b32 s0, s5
	s_cbranch_execz .LBB1267_43
.LBB1267_87:
	flat_load_u16 v8, v0, s[14:15] offset:2560 scale_offset
	s_wait_xcnt 0x0
	s_or_b32 exec_lo, exec_lo, s0
                                        ; implicit-def: $vgpr9
	s_and_saveexec_b32 s0, s6
	s_cbranch_execz .LBB1267_44
.LBB1267_88:
	flat_load_u16 v9, v0, s[14:15] offset:3072 scale_offset
	s_wait_xcnt 0x0
	s_or_b32 exec_lo, exec_lo, s0
                                        ; implicit-def: $vgpr10
	s_and_saveexec_b32 s0, s7
	s_cbranch_execz .LBB1267_45
.LBB1267_89:
	flat_load_u16 v10, v0, s[14:15] offset:3584 scale_offset
	s_wait_xcnt 0x0
	s_or_b32 exec_lo, exec_lo, s0
                                        ; implicit-def: $vgpr11
	s_and_saveexec_b32 s0, s8
	s_cbranch_execz .LBB1267_46
.LBB1267_90:
	flat_load_u16 v11, v0, s[14:15] offset:4096 scale_offset
	s_wait_xcnt 0x0
	s_or_b32 exec_lo, exec_lo, s0
                                        ; implicit-def: $vgpr12
	s_and_saveexec_b32 s0, s9
	s_cbranch_execz .LBB1267_47
.LBB1267_91:
	flat_load_u16 v12, v0, s[14:15] offset:4608 scale_offset
	s_wait_xcnt 0x0
	s_or_b32 exec_lo, exec_lo, s0
                                        ; implicit-def: $vgpr13
	s_and_saveexec_b32 s0, s10
	s_cbranch_execz .LBB1267_48
.LBB1267_92:
	flat_load_u16 v13, v0, s[14:15] offset:5120 scale_offset
	s_wait_xcnt 0x0
	s_or_b32 exec_lo, exec_lo, s0
                                        ; implicit-def: $vgpr27
	s_and_saveexec_b32 s0, s11
	s_cbranch_execz .LBB1267_49
.LBB1267_93:
	flat_load_u16 v27, v0, s[14:15] offset:5632 scale_offset
	s_wait_xcnt 0x0
	s_or_b32 exec_lo, exec_lo, s0
                                        ; implicit-def: $vgpr29
	s_and_saveexec_b32 s0, s12
	s_cbranch_execz .LBB1267_50
.LBB1267_94:
	flat_load_u16 v29, v0, s[14:15] offset:6144 scale_offset
	s_wait_xcnt 0x0
	s_or_b32 exec_lo, exec_lo, s0
                                        ; implicit-def: $vgpr32
	s_and_saveexec_b32 s0, s13
	s_cbranch_execnz .LBB1267_51
	s_branch .LBB1267_52
.LBB1267_95:
	s_add_nc_u64 s[20:21], s[20:21], -4
	s_mov_b32 s0, -1
.LBB1267_96:
	s_delay_alu instid0(SALU_CYCLE_1)
	s_and_not1_b32 vcc_lo, exec_lo, s0
.LBB1267_97:
	flat_load_b32 v19, v19, s[20:21]
	v_mad_i32_i24 v18, 0xffffffcc, v0, v18
	s_mov_b32 s0, exec_lo
	s_wait_dscnt 0x1
	ds_store_b32 v18, v1 offset:14336
	s_wait_loadcnt_dscnt 0x0
	s_barrier_signal -1
	s_barrier_wait -1
	v_cmpx_ne_u32_e32 0, v0
; %bb.98:
	ds_load_b32 v19, v18 offset:14332
; %bb.99:
	s_or_b32 exec_lo, exec_lo, s0
	s_wait_dscnt 0x0
	s_barrier_signal -1
	s_barrier_wait -1
	s_clause 0xd
	flat_load_u16 v20, v0, s[14:15] scale_offset
	flat_load_u16 v21, v0, s[14:15] offset:512 scale_offset
	flat_load_u16 v22, v0, s[14:15] offset:1024 scale_offset
	;; [unrolled: 1-line block ×13, first 2 shown]
	v_cmp_eq_u32_e32 vcc_lo, v19, v10
	v_cmp_ne_u32_e64 s3, v15, v1
	v_lshlrev_b32_e32 v1, 1, v0
	s_mov_b32 s1, -1
	v_cndmask_b32_e64 v34, 0x10000, 0, vcc_lo
	v_cmp_ne_u32_e32 vcc_lo, v11, v12
	s_delay_alu instid0(VALU_DEP_3)
	v_sub_nc_u32_e32 v1, v18, v1
	s_wait_loadcnt_dscnt 0xd0d
	ds_store_b16 v1, v20
	s_wait_loadcnt_dscnt 0xc0d
	ds_store_b16 v1, v21 offset:512
	s_wait_loadcnt_dscnt 0xb0d
	ds_store_b16 v1, v22 offset:1024
	;; [unrolled: 2-line block ×13, first 2 shown]
	v_cndmask_b32_e64 v35, 0, 0x10000, vcc_lo
	v_cmp_ne_u32_e32 vcc_lo, v13, v6
	v_mad_u32_u24 v39, v0, 26, v1
	s_wait_dscnt 0x0
	s_barrier_signal -1
	s_barrier_wait -1
	v_cndmask_b32_e64 v36, 0, 0x10000, vcc_lo
	v_cmp_ne_u32_e32 vcc_lo, v10, v11
	v_cndmask_b32_e64 v37, 0, 0x10000, vcc_lo
	v_cmp_ne_u32_e32 vcc_lo, v12, v13
	ds_load_u16 v1, v39
	ds_load_b128 v[10:13], v39 offset:2
	ds_load_b64 v[18:19], v39 offset:18
	ds_load_u16 v33, v39 offset:26
	v_cndmask_b32_e64 v38, 0, 0x10000, vcc_lo
	v_cmp_ne_u32_e32 vcc_lo, v7, v8
	v_cndmask_b32_e64 v20, 0, 0x10000, vcc_lo
	v_cmp_ne_u32_e32 vcc_lo, v9, v2
	;; [unrolled: 2-line block ×3, first 2 shown]
	s_wait_dscnt 0x2
	v_dual_lshrrev_b32 v1, 16, v10 :: v_dual_bitop2_b32 v27, v34, v1 bitop3:0x54
	v_cndmask_b32_e64 v6, 0, 0x10000, vcc_lo
	v_cmp_ne_u32_e32 vcc_lo, v8, v9
	v_lshrrev_b32_e32 v9, 16, v11
	s_delay_alu instid0(VALU_DEP_3) | instskip(SKIP_2) | instid1(VALU_DEP_2)
	v_and_or_b32 v6, 0xffff, v12, v6
	v_cndmask_b32_e64 v7, 0, 0x10000, vcc_lo
	v_cmp_ne_u32_e32 vcc_lo, v3, v17
	v_and_or_b32 v8, 0xffff, v13, v7
	v_cndmask_b32_e64 v17, 0, 0x10000, vcc_lo
	v_cmp_ne_u32_e32 vcc_lo, v5, v15
	v_cndmask_b32_e64 v15, 0, 0x10000, vcc_lo
	v_cmp_ne_u32_e32 vcc_lo, v2, v16
	s_wait_dscnt 0x1
	v_lshrrev_b32_e32 v16, 16, v18
	v_and_or_b32 v2, 0xffff, v10, v37
	v_cndmask_b32_e64 v3, 0, 0x10000, vcc_lo
	v_cmp_ne_u32_e32 vcc_lo, v4, v14
	v_and_or_b32 v4, 0xffff, v11, v38
	v_dual_lshrrev_b32 v11, 16, v12 :: v_dual_lshrrev_b32 v14, 16, v13
	v_lshrrev_b32_e32 v13, 16, v19
	v_cndmask_b32_e64 v5, 0, 0x10000, vcc_lo
	v_and_or_b32 v10, 0xffff, v18, v3
	v_or_b32_e32 v3, v35, v1
	v_or_b32_e32 v7, v20, v11
	;; [unrolled: 1-line block ×3, first 2 shown]
	v_and_or_b32 v12, 0xffff, v19, v5
	v_or_b32_e32 v5, v36, v9
	v_dual_mov_b32 v1, v27 :: v_dual_bitop2_b32 v9, v21, v14 bitop3:0x54
	v_or_b32_e32 v13, v15, v13
.LBB1267_100:
	v_mov_b32_e32 v22, 0
	s_and_saveexec_b32 s0, s1
	s_cbranch_execz .LBB1267_102
; %bb.101:
	s_wait_dscnt 0x0
	v_and_b32_e32 v1, 0xffff, v33
	v_cndmask_b32_e64 v14, 0, 0x10000, s3
	s_delay_alu instid0(VALU_DEP_1)
	v_dual_mov_b32 v1, v27 :: v_dual_bitop2_b32 v22, v14, v1 bitop3:0x54
.LBB1267_102:
	s_or_b32 exec_lo, exec_lo, s0
	v_cmp_gt_u32_e64 s12, 0x10000, v2
	v_cmp_gt_u32_e64 s11, 0x10000, v3
	;; [unrolled: 1-line block ×13, first 2 shown]
	v_lshrrev_b32_e32 v28, 3, v0
	s_cmp_lg_u32 s24, 0
	s_wait_dscnt 0x0
	v_cmp_gt_u32_e32 vcc_lo, 32, v0
	s_barrier_signal -1
	s_barrier_wait -1
	s_cbranch_scc0 .LBB1267_152
; %bb.103:
	v_dual_cndmask_b32 v14, 0, v1, s12 :: v_dual_bitop2_b32 v17, 28, v28 bitop3:0x40
	v_or3_b32 v16, v12, v13, v11
	v_or_b32_e32 v15, v8, v9
	v_lshrrev_b32_e32 v23, 16, v1
	s_delay_alu instid0(VALU_DEP_4) | instskip(NEXT) | instid1(VALU_DEP_4)
	v_add_nc_u16 v14, v14, v2
	v_or3_b32 v16, v16, v10, v22
	s_delay_alu instid0(VALU_DEP_4) | instskip(NEXT) | instid1(VALU_DEP_3)
	v_or3_b32 v15, v15, v7, v6
	v_cndmask_b32_e64 v14, 0, v14, s11
	s_delay_alu instid0(VALU_DEP_2) | instskip(NEXT) | instid1(VALU_DEP_2)
	v_or3_b32 v15, v15, v5, v4
	v_add_nc_u16 v14, v14, v3
	s_delay_alu instid0(VALU_DEP_2) | instskip(NEXT) | instid1(VALU_DEP_2)
	v_or3_b32 v15, v15, v3, v2
	v_cndmask_b32_e64 v14, 0, v14, s10
	s_delay_alu instid0(VALU_DEP_2) | instskip(SKIP_1) | instid1(VALU_DEP_3)
	v_bitop3_b32 v15, v16, 0xff0000, v15 bitop3:0xc8
	v_lshl_add_u32 v16, v0, 2, v17
	v_add_nc_u16 v14, v14, v4
	s_delay_alu instid0(VALU_DEP_3) | instskip(NEXT) | instid1(VALU_DEP_1)
	v_cmp_eq_u32_e64 s13, 0, v15
	v_dual_cndmask_b32 v14, 0, v14, s9 :: v_dual_cndmask_b32 v25, 1, v23, s13
	s_delay_alu instid0(VALU_DEP_1) | instskip(NEXT) | instid1(VALU_DEP_1)
	v_add_nc_u16 v14, v14, v5
	v_cndmask_b32_e64 v14, 0, v14, s8
	s_delay_alu instid0(VALU_DEP_1) | instskip(NEXT) | instid1(VALU_DEP_1)
	v_add_nc_u16 v14, v14, v6
	v_cndmask_b32_e64 v14, 0, v14, s7
	;; [unrolled: 3-line block ×9, first 2 shown]
	s_delay_alu instid0(VALU_DEP_1)
	v_add_nc_u16 v24, v14, v22
	ds_store_b16 v16, v24
	ds_store_b8 v16, v25 offset:2
	s_wait_dscnt 0x0
	s_barrier_signal -1
	s_barrier_wait -1
	s_and_saveexec_b32 s14, vcc_lo
	s_cbranch_execz .LBB1267_115
; %bb.104:
	v_and_b32_e32 v14, 0xfc, v0
	v_lshlrev_b32_e32 v15, 5, v0
	s_mov_b32 s15, exec_lo
	s_delay_alu instid0(VALU_DEP_1)
	v_add_nc_u32_e32 v14, v14, v15
	ds_load_u8 v16, v14 offset:6
	ds_load_b32 v15, v14
	ds_load_u16 v17, v14 offset:4
	ds_load_u8 v18, v14 offset:10
	ds_load_u16 v19, v14 offset:8
	ds_load_u16 v20, v14 offset:12
	ds_load_u8 v21, v14 offset:14
	ds_load_u16 v26, v14 offset:16
	s_wait_dscnt 0x7
	v_cmp_eq_u16_e64 s13, 0, v16
	s_wait_dscnt 0x4
	s_delay_alu instid0(VALU_DEP_1) | instskip(SKIP_1) | instid1(VALU_DEP_2)
	v_dual_cndmask_b32 v27, 0, v15, s13 :: v_dual_bitop2_b32 v16, v18, v16 bitop3:0x54
	v_cmp_eq_u16_e64 s13, 0, v18
	v_add_nc_u16 v17, v27, v17
	ds_load_u8 v27, v14 offset:18
	v_cndmask_b32_e64 v17, 0, v17, s13
	s_wait_dscnt 0x2
	v_cmp_eq_u16_e64 s13, 0, v21
	s_delay_alu instid0(VALU_DEP_2) | instskip(SKIP_2) | instid1(VALU_DEP_1)
	v_add_nc_u16 v17, v17, v19
	ds_load_u8 v19, v14 offset:22
	v_cndmask_b32_e64 v17, 0, v17, s13
	v_add_nc_u16 v17, v17, v20
	ds_load_u16 v20, v14 offset:20
	ds_load_u16 v29, v14 offset:24
	ds_load_u8 v30, v14 offset:26
	ds_load_u16 v31, v14 offset:28
	ds_load_u8 v32, v14 offset:30
	s_wait_dscnt 0x6
	v_cmp_eq_u16_e64 s13, 0, v27
	v_bitop3_b16 v18, v16, v27, v21 bitop3:0xfe
	v_and_b32_e32 v16, 0x10000, v15
	s_delay_alu instid0(VALU_DEP_3)
	v_cndmask_b32_e64 v17, 0, v17, s13
	s_wait_dscnt 0x5
	v_cmp_eq_u16_e64 s13, 0, v19
	s_wait_dscnt 0x2
	v_bitop3_b16 v18, v18, v30, v19 bitop3:0xfe
	s_wait_dscnt 0x0
	v_and_b32_e32 v19, 1, v32
	v_add_nc_u16 v17, v17, v26
	s_delay_alu instid0(VALU_DEP_1) | instskip(SKIP_1) | instid1(VALU_DEP_2)
	v_cndmask_b32_e64 v17, 0, v17, s13
	v_cmp_eq_u16_e64 s13, 0, v30
	v_add_nc_u16 v17, v17, v20
	s_delay_alu instid0(VALU_DEP_1) | instskip(SKIP_1) | instid1(VALU_DEP_2)
	v_cndmask_b32_e64 v17, 0, v17, s13
	v_cmp_eq_u16_e64 s13, 0, v32
	;; [unrolled: 4-line block ×3, first 2 shown]
	v_add_nc_u16 v18, v17, v31
	s_delay_alu instid0(VALU_DEP_2) | instskip(SKIP_4) | instid1(VALU_DEP_4)
	v_cndmask_b32_e64 v20, 0x10000, v16, s13
	v_cmp_eq_u32_e64 s13, 1, v19
	v_and_b32_e32 v17, 0xff000000, v15
	v_mbcnt_lo_u32_b32 v19, -1, 0
	v_and_b32_e32 v21, 0xffff, v18
	v_cndmask_b32_e64 v20, v20, 0x10000, s13
	s_delay_alu instid0(VALU_DEP_1) | instskip(NEXT) | instid1(VALU_DEP_3)
	v_or_b32_e32 v26, v20, v17
	v_or3_b32 v27, v17, v21, v20
	s_delay_alu instid0(VALU_DEP_2) | instskip(NEXT) | instid1(VALU_DEP_2)
	v_dual_lshrrev_b32 v21, 16, v26 :: v_dual_bitop2_b32 v20, 15, v19 bitop3:0x40
	v_mov_b32_dpp v29, v27 row_shr:1 row_mask:0xf bank_mask:0xf
	s_delay_alu instid0(VALU_DEP_2)
	v_cmpx_ne_u32_e32 0, v20
	s_cbranch_execz .LBB1267_106
; %bb.105:
	s_delay_alu instid0(VALU_DEP_2) | instskip(SKIP_1) | instid1(VALU_DEP_2)
	v_dual_lshrrev_b32 v21, 16, v26 :: v_dual_lshrrev_b32 v27, 16, v29
	v_and_b32_e32 v26, 0x10000, v26
	v_and_b32_e32 v21, 0xff, v21
	s_delay_alu instid0(VALU_DEP_1) | instskip(NEXT) | instid1(VALU_DEP_1)
	v_cmp_eq_u16_e64 s13, 0, v21
	v_dual_cndmask_b32 v29, 0, v29, s13 :: v_dual_bitop2_b32 v27, 1, v27 bitop3:0x40
	s_delay_alu instid0(VALU_DEP_4) | instskip(NEXT) | instid1(VALU_DEP_2)
	v_cmp_ne_u32_e64 s13, 0, v26
	v_add_nc_u16 v18, v29, v18
	s_delay_alu instid0(VALU_DEP_2) | instskip(NEXT) | instid1(VALU_DEP_2)
	v_cndmask_b32_e64 v21, v27, 1, s13
	v_and_b32_e32 v27, 0xffff, v18
	s_delay_alu instid0(VALU_DEP_2) | instskip(NEXT) | instid1(VALU_DEP_1)
	v_lshlrev_b32_e32 v26, 16, v21
	v_or3_b32 v27, v26, v27, v17
.LBB1267_106:
	s_or_b32 exec_lo, exec_lo, s15
	s_delay_alu instid0(VALU_DEP_1)
	v_lshrrev_b32_e32 v26, 16, v27
	v_mov_b32_dpp v29, v27 row_shr:2 row_mask:0xf bank_mask:0xf
	s_mov_b32 s15, exec_lo
	v_cmpx_lt_u32_e32 1, v20
	s_cbranch_execz .LBB1267_108
; %bb.107:
	v_and_b32_e32 v26, 0xff, v26
	v_and_b32_e32 v27, 0x10000, v27
	s_delay_alu instid0(VALU_DEP_2) | instskip(NEXT) | instid1(VALU_DEP_1)
	v_cmp_eq_u16_e64 s13, 0, v26
	v_dual_lshrrev_b32 v21, 16, v29 :: v_dual_cndmask_b32 v26, 0, v29, s13
	s_delay_alu instid0(VALU_DEP_1) | instskip(NEXT) | instid1(VALU_DEP_4)
	v_and_b32_e32 v21, 1, v21
	v_cmp_ne_u32_e64 s13, 0, v27
	s_delay_alu instid0(VALU_DEP_3) | instskip(NEXT) | instid1(VALU_DEP_2)
	v_add_nc_u16 v18, v26, v18
	v_cndmask_b32_e64 v21, v21, 1, s13
	s_delay_alu instid0(VALU_DEP_2) | instskip(NEXT) | instid1(VALU_DEP_2)
	v_and_b32_e32 v27, 0xffff, v18
	v_lshlrev_b32_e32 v26, 16, v21
	s_delay_alu instid0(VALU_DEP_1)
	v_or3_b32 v27, v26, v27, v17
	v_mov_b32_e32 v26, v21
.LBB1267_108:
	s_or_b32 exec_lo, exec_lo, s15
	s_delay_alu instid0(VALU_DEP_2)
	v_mov_b32_dpp v29, v27 row_shr:4 row_mask:0xf bank_mask:0xf
	s_mov_b32 s15, exec_lo
	v_cmpx_lt_u32_e32 3, v20
	s_cbranch_execz .LBB1267_110
; %bb.109:
	v_and_b32_e32 v27, 0xff, v26
	v_dual_lshrrev_b32 v21, 16, v29 :: v_dual_bitop2_b32 v26, 1, v26 bitop3:0x40
	s_delay_alu instid0(VALU_DEP_2) | instskip(NEXT) | instid1(VALU_DEP_2)
	v_cmp_eq_u16_e64 s13, 0, v27
	v_and_b32_e32 v21, 1, v21
	s_delay_alu instid0(VALU_DEP_2) | instskip(NEXT) | instid1(VALU_DEP_4)
	v_cndmask_b32_e64 v27, 0, v29, s13
	v_cmp_eq_u32_e64 s13, 1, v26
	s_delay_alu instid0(VALU_DEP_2) | instskip(NEXT) | instid1(VALU_DEP_2)
	v_add_nc_u16 v18, v27, v18
	v_cndmask_b32_e64 v21, v21, 1, s13
	s_delay_alu instid0(VALU_DEP_2) | instskip(NEXT) | instid1(VALU_DEP_2)
	v_and_b32_e32 v27, 0xffff, v18
	v_lshlrev_b32_e32 v26, 16, v21
	s_delay_alu instid0(VALU_DEP_1)
	v_or3_b32 v27, v26, v27, v17
	v_mov_b32_e32 v26, v21
.LBB1267_110:
	s_or_b32 exec_lo, exec_lo, s15
	s_delay_alu instid0(VALU_DEP_2)
	v_mov_b32_dpp v29, v27 row_shr:8 row_mask:0xf bank_mask:0xf
	s_mov_b32 s15, exec_lo
	v_cmpx_lt_u32_e32 7, v20
	s_cbranch_execz .LBB1267_112
; %bb.111:
	v_and_b32_e32 v21, 0xff, v26
	v_dual_lshrrev_b32 v20, 16, v29 :: v_dual_bitop2_b32 v26, 1, v26 bitop3:0x40
	s_delay_alu instid0(VALU_DEP_2) | instskip(NEXT) | instid1(VALU_DEP_1)
	v_cmp_eq_u16_e64 s13, 0, v21
	v_dual_cndmask_b32 v27, 0, v29, s13 :: v_dual_bitop2_b32 v20, 1, v20 bitop3:0x40
	s_delay_alu instid0(VALU_DEP_3) | instskip(NEXT) | instid1(VALU_DEP_2)
	v_cmp_eq_u32_e64 s13, 1, v26
	v_add_nc_u16 v18, v27, v18
	s_delay_alu instid0(VALU_DEP_2) | instskip(NEXT) | instid1(VALU_DEP_2)
	v_cndmask_b32_e64 v21, v20, 1, s13
	v_and_b32_e32 v26, 0xffff, v18
	s_delay_alu instid0(VALU_DEP_2) | instskip(NEXT) | instid1(VALU_DEP_1)
	v_lshlrev_b32_e32 v20, 16, v21
	v_or3_b32 v27, v20, v26, v17
	v_mov_b32_e32 v26, v21
.LBB1267_112:
	s_or_b32 exec_lo, exec_lo, s15
	ds_swizzle_b32 v20, v27 offset:swizzle(BROADCAST,32,15)
	v_and_b32_e32 v27, 16, v19
	s_mov_b32 s15, exec_lo
	s_delay_alu instid0(VALU_DEP_1)
	v_cmpx_ne_u32_e32 0, v27
	s_cbranch_execz .LBB1267_114
; %bb.113:
	v_and_b32_e32 v21, 0xff, v26
	s_delay_alu instid0(VALU_DEP_1) | instskip(SKIP_2) | instid1(VALU_DEP_1)
	v_cmp_eq_u16_e64 s13, 0, v21
	s_wait_dscnt 0x0
	v_dual_lshrrev_b32 v27, 16, v20 :: v_dual_bitop2_b32 v21, 1, v26 bitop3:0x40
	v_dual_cndmask_b32 v20, 0, v20, s13 :: v_dual_bitop2_b32 v26, 1, v27 bitop3:0x40
	s_delay_alu instid0(VALU_DEP_2) | instskip(NEXT) | instid1(VALU_DEP_2)
	v_cmp_eq_u32_e64 s13, 1, v21
	v_add_nc_u16 v18, v20, v18
	s_delay_alu instid0(VALU_DEP_2)
	v_cndmask_b32_e64 v21, v26, 1, s13
.LBB1267_114:
	s_or_b32 exec_lo, exec_lo, s15
	s_wait_dscnt 0x0
	s_delay_alu instid0(VALU_DEP_1) | instskip(SKIP_2) | instid1(VALU_DEP_3)
	v_and_b32_e32 v20, 0xff, v21
	v_add_nc_u32_e32 v21, -1, v19
	v_and_b32_e32 v18, 0xffff, v18
	; wave barrier
	v_lshlrev_b32_e32 v20, 16, v20
	s_delay_alu instid0(VALU_DEP_3) | instskip(NEXT) | instid1(VALU_DEP_2)
	v_cmp_gt_i32_e64 s13, 0, v21
	v_or3_b32 v17, v20, v18, v17
	s_delay_alu instid0(VALU_DEP_2) | instskip(NEXT) | instid1(VALU_DEP_1)
	v_cndmask_b32_e64 v19, v21, v19, s13
	v_lshlrev_b32_e32 v18, 2, v19
	ds_bpermute_b32 v17, v18, v17
	v_and_b32_e32 v18, 0xff0000, v15
	s_delay_alu instid0(VALU_DEP_1) | instskip(SKIP_1) | instid1(VALU_DEP_1)
	v_cmp_eq_u32_e64 s13, 0, v18
	s_wait_dscnt 0x0
	v_dual_lshrrev_b32 v19, 16, v17 :: v_dual_cndmask_b32 v17, 0, v17, s13
	v_cmp_eq_u32_e64 s13, 0, v16
	s_delay_alu instid0(VALU_DEP_2) | instskip(NEXT) | instid1(VALU_DEP_3)
	v_add_nc_u16 v15, v17, v15
	v_and_b32_e32 v18, 1, v19
	s_delay_alu instid0(VALU_DEP_1) | instskip(SKIP_1) | instid1(VALU_DEP_1)
	v_cndmask_b32_e64 v16, 1, v18, s13
	v_cmp_eq_u32_e64 s13, 0, v0
	v_dual_cndmask_b32 v15, v15, v24, s13 :: v_dual_cndmask_b32 v16, v16, v25, s13
	ds_store_b16 v14, v15
	ds_store_b8 v14, v16 offset:2
	; wave barrier
	ds_load_u8 v17, v14 offset:6
	ds_load_u16 v18, v14 offset:4
	ds_load_u8 v19, v14 offset:10
	ds_load_u16 v20, v14 offset:8
	ds_load_u16 v21, v14 offset:12
	ds_load_u8 v26, v14 offset:14
	ds_load_u16 v27, v14 offset:16
	ds_load_u8 v29, v14 offset:18
	s_wait_dscnt 0x7
	v_cmp_eq_u16_e64 s13, 0, v17
	s_delay_alu instid0(VALU_DEP_1) | instskip(SKIP_2) | instid1(VALU_DEP_2)
	v_cndmask_b32_e64 v15, 0, v15, s13
	s_wait_dscnt 0x5
	v_cmp_eq_u16_e64 s13, 0, v19
	v_add_nc_u16 v15, v15, v18
	s_delay_alu instid0(VALU_DEP_1) | instskip(SKIP_2) | instid1(VALU_DEP_2)
	v_cndmask_b32_e64 v18, 0, v15, s13
	s_wait_dscnt 0x2
	v_cmp_eq_u16_e64 s13, 0, v26
	v_add_nc_u16 v18, v18, v20
	v_and_b32_e32 v17, 1, v17
	ds_load_u8 v20, v14 offset:22
	ds_load_u16 v31, v14 offset:20
	ds_load_u8 v32, v14 offset:26
	ds_load_u8 v33, v14 offset:30
	v_cndmask_b32_e64 v30, 0, v18, s13
	v_cmp_eq_u32_e64 s13, 1, v17
	v_and_b32_e32 v17, 1, v26
	s_delay_alu instid0(VALU_DEP_3) | instskip(NEXT) | instid1(VALU_DEP_3)
	v_add_nc_u16 v21, v30, v21
	v_cndmask_b32_e64 v16, v16, 1, s13
	s_wait_dscnt 0x4
	v_cmp_eq_u16_e64 s13, 0, v29
	v_and_b32_e32 v19, 1, v19
	ds_load_u16 v30, v14 offset:24
	ds_load_u16 v34, v14 offset:28
	v_cndmask_b32_e64 v26, 0, v21, s13
	v_cmp_eq_u32_e64 s13, 1, v19
	s_delay_alu instid0(VALU_DEP_2) | instskip(NEXT) | instid1(VALU_DEP_2)
	v_add_nc_u16 v26, v26, v27
	v_cndmask_b32_e64 v19, v16, 1, s13
	v_cmp_eq_u32_e64 s13, 1, v17
	v_and_b32_e32 v27, 1, v29
	s_wait_dscnt 0x2
	v_and_b32_e32 v35, 1, v33
	s_delay_alu instid0(VALU_DEP_3) | instskip(SKIP_1) | instid1(VALU_DEP_1)
	v_cndmask_b32_e64 v17, v19, 1, s13
	v_cmp_eq_u16_e64 s13, 0, v20
	v_dual_cndmask_b32 v29, 0, v26, s13 :: v_dual_bitop2_b32 v20, 1, v20 bitop3:0x40
	v_cmp_eq_u32_e64 s13, 1, v27
	s_delay_alu instid0(VALU_DEP_2) | instskip(NEXT) | instid1(VALU_DEP_2)
	v_add_nc_u16 v29, v29, v31
	v_cndmask_b32_e64 v27, v17, 1, s13
	s_delay_alu instid0(VALU_DEP_4)
	v_cmp_eq_u32_e64 s13, 1, v20
	v_and_b32_e32 v31, 1, v32
	ds_store_b16 v14, v15 offset:4
	ds_store_b8 v14, v16 offset:6
	ds_store_b16 v14, v18 offset:8
	ds_store_b8 v14, v19 offset:10
	;; [unrolled: 2-line block ×4, first 2 shown]
	v_cndmask_b32_e64 v20, v27, 1, s13
	v_cmp_eq_u16_e64 s13, 0, v32
	s_delay_alu instid0(VALU_DEP_1) | instskip(SKIP_2) | instid1(VALU_DEP_2)
	v_cndmask_b32_e64 v32, 0, v29, s13
	v_cmp_eq_u32_e64 s13, 1, v31
	s_wait_dscnt 0x9
	v_add_nc_u16 v30, v32, v30
	s_delay_alu instid0(VALU_DEP_2) | instskip(SKIP_1) | instid1(VALU_DEP_1)
	v_cndmask_b32_e64 v31, v20, 1, s13
	v_cmp_eq_u32_e64 s13, 1, v35
	v_cndmask_b32_e64 v32, v31, 1, s13
	v_cmp_eq_u16_e64 s13, 0, v33
	s_delay_alu instid0(VALU_DEP_1) | instskip(SKIP_1) | instid1(VALU_DEP_1)
	v_cndmask_b32_e64 v33, 0, v30, s13
	s_wait_dscnt 0x8
	v_add_nc_u16 v15, v33, v34
	ds_store_b16 v14, v29 offset:20
	ds_store_b8 v14, v20 offset:22
	ds_store_b16 v14, v30 offset:24
	ds_store_b8 v14, v31 offset:26
	;; [unrolled: 2-line block ×3, first 2 shown]
.LBB1267_115:
	s_or_b32 exec_lo, exec_lo, s14
	v_cmp_eq_u32_e64 s13, 0, v0
	s_mov_b32 s15, exec_lo
	s_wait_dscnt 0x0
	s_barrier_signal -1
	s_barrier_wait -1
	v_cmpx_ne_u32_e32 0, v0
	s_cbranch_execz .LBB1267_117
; %bb.116:
	v_add_nc_u32_e32 v14, -1, v0
	s_delay_alu instid0(VALU_DEP_1) | instskip(NEXT) | instid1(VALU_DEP_1)
	v_lshrrev_b32_e32 v15, 3, v14
	v_and_b32_e32 v15, 0x1ffffffc, v15
	s_delay_alu instid0(VALU_DEP_1)
	v_lshl_add_u32 v14, v14, 2, v15
	ds_load_u16 v24, v14
	ds_load_u8 v25, v14 offset:2
.LBB1267_117:
	s_or_b32 exec_lo, exec_lo, s15
	s_and_saveexec_b32 s15, vcc_lo
	s_cbranch_execz .LBB1267_157
; %bb.118:
	v_mov_b32_e32 v21, 0
	v_mbcnt_lo_u32_b32 v26, -1, 0
	ds_load_b32 v14, v21 offset:1048
	v_cmp_eq_u32_e64 s14, 0, v26
	s_and_saveexec_b32 s20, s14
	s_cbranch_execz .LBB1267_120
; %bb.119:
	s_add_co_i32 s21, s24, 32
	s_delay_alu instid0(SALU_CYCLE_1)
	v_dual_mov_b32 v15, 1 :: v_dual_mov_b32 v16, s21
	s_wait_dscnt 0x0
	global_store_b64 v16, v[14:15], s[28:29] scale_offset scope:SCOPE_DEV
.LBB1267_120:
	s_wait_xcnt 0x0
	s_or_b32 exec_lo, exec_lo, s20
	v_xad_u32 v16, v26, -1, s24
	s_mov_b32 s20, exec_lo
	s_delay_alu instid0(VALU_DEP_1) | instskip(SKIP_4) | instid1(VALU_DEP_1)
	v_add_nc_u32_e32 v20, 32, v16
	global_load_b64 v[18:19], v20, s[28:29] scale_offset scope:SCOPE_DEV
	s_wait_loadcnt 0x0
	v_and_b32_e32 v15, 0xff, v19
	s_wait_xcnt 0x0
	v_cmpx_eq_u16_e32 0, v15
	s_cbranch_execz .LBB1267_124
; %bb.121:
	v_lshl_add_u64 v[20:21], v[20:21], 3, s[28:29]
	s_mov_b32 s21, 0
.LBB1267_122:                           ; =>This Inner Loop Header: Depth=1
	global_load_b64 v[18:19], v[20:21], off scope:SCOPE_DEV
	s_wait_loadcnt 0x0
	v_and_b32_e32 v15, 0xff, v19
	s_delay_alu instid0(VALU_DEP_1)
	v_cmp_ne_u16_e32 vcc_lo, 0, v15
	s_or_b32 s21, vcc_lo, s21
	s_wait_xcnt 0x0
	s_and_not1_b32 exec_lo, exec_lo, s21
	s_cbranch_execnz .LBB1267_122
; %bb.123:
	s_or_b32 exec_lo, exec_lo, s21
.LBB1267_124:
	s_delay_alu instid0(SALU_CYCLE_1)
	s_or_b32 exec_lo, exec_lo, s20
	v_cmp_ne_u32_e32 vcc_lo, 31, v26
	v_and_b32_e32 v36, 0xffffff, v18
	v_and_b32_e32 v17, 0xff, v19
	v_lshlrev_b32_e64 v27, v26, -1
	v_bfe_u32 v21, v18, 16, 8
	v_add_co_ci_u32_e64 v15, null, 0, v26, vcc_lo
	s_delay_alu instid0(VALU_DEP_4) | instskip(SKIP_1) | instid1(VALU_DEP_2)
	v_cmp_eq_u16_e32 vcc_lo, 2, v17
	s_mov_b32 s20, exec_lo
	v_dual_lshrrev_b32 v20, 16, v18 :: v_dual_lshlrev_b32 v15, 2, v15
	v_and_or_b32 v17, vcc_lo, v27, 0x80000000
	ds_bpermute_b32 v29, v15, v36
	v_ctz_i32_b32_e32 v17, v17
	s_delay_alu instid0(VALU_DEP_1)
	v_cmpx_lt_u32_e64 v26, v17
	s_cbranch_execz .LBB1267_126
; %bb.125:
	v_and_b32_e32 v20, 0xff0000, v18
	s_delay_alu instid0(VALU_DEP_1) | instskip(SKIP_3) | instid1(VALU_DEP_1)
	v_and_b32_e32 v30, 0x10000, v20
	v_cmp_eq_u32_e32 vcc_lo, 0, v20
	s_wait_dscnt 0x0
	v_dual_lshrrev_b32 v21, 16, v29 :: v_dual_cndmask_b32 v29, 0, v29, vcc_lo
	v_and_b32_e32 v21, 1, v21
	v_cmp_ne_u32_e32 vcc_lo, 0, v30
	s_delay_alu instid0(VALU_DEP_3) | instskip(NEXT) | instid1(VALU_DEP_3)
	v_add_nc_u16 v18, v29, v18
	v_cndmask_b32_e64 v20, v21, 1, vcc_lo
	s_delay_alu instid0(VALU_DEP_2) | instskip(NEXT) | instid1(VALU_DEP_2)
	v_and_b32_e32 v29, 0xffff, v18
	v_lshlrev_b32_e32 v21, 16, v20
	s_delay_alu instid0(VALU_DEP_1)
	v_dual_mov_b32 v21, v20 :: v_dual_bitop2_b32 v36, v21, v29 bitop3:0x54
.LBB1267_126:
	s_or_b32 exec_lo, exec_lo, s20
	v_cmp_gt_u32_e32 vcc_lo, 30, v26
	v_add_nc_u32_e32 v30, 2, v26
	s_mov_b32 s20, exec_lo
	s_wait_dscnt 0x0
	v_cndmask_b32_e64 v29, 0, 2, vcc_lo
	s_delay_alu instid0(VALU_DEP_1)
	v_add_lshl_u32 v29, v29, v26, 2
	ds_bpermute_b32 v31, v29, v36
	v_cmpx_le_u32_e64 v30, v17
	s_cbranch_execz .LBB1267_128
; %bb.127:
	v_cmp_eq_u16_e32 vcc_lo, 0, v21
	s_wait_dscnt 0x0
	v_dual_lshrrev_b32 v20, 16, v31 :: v_dual_bitop2_b32 v21, 1, v21 bitop3:0x40
	s_delay_alu instid0(VALU_DEP_1) | instskip(NEXT) | instid1(VALU_DEP_2)
	v_dual_cndmask_b32 v31, 0, v31, vcc_lo :: v_dual_bitop2_b32 v20, 1, v20 bitop3:0x40
	v_cmp_eq_u32_e32 vcc_lo, 1, v21
	s_delay_alu instid0(VALU_DEP_2) | instskip(NEXT) | instid1(VALU_DEP_3)
	v_add_nc_u16 v18, v31, v18
	v_cndmask_b32_e64 v20, v20, 1, vcc_lo
	s_delay_alu instid0(VALU_DEP_2) | instskip(NEXT) | instid1(VALU_DEP_2)
	v_and_b32_e32 v21, 0xffff, v18
	v_lshlrev_b32_e32 v31, 16, v20
	s_delay_alu instid0(VALU_DEP_1)
	v_dual_mov_b32 v21, v20 :: v_dual_bitop2_b32 v36, v31, v21 bitop3:0x54
.LBB1267_128:
	s_or_b32 exec_lo, exec_lo, s20
	v_cmp_gt_u32_e32 vcc_lo, 28, v26
	v_add_nc_u32_e32 v32, 4, v26
	s_mov_b32 s20, exec_lo
	s_wait_dscnt 0x0
	v_cndmask_b32_e64 v31, 0, 4, vcc_lo
	s_delay_alu instid0(VALU_DEP_1)
	v_add_lshl_u32 v31, v31, v26, 2
	ds_bpermute_b32 v33, v31, v36
	v_cmpx_le_u32_e64 v32, v17
	s_cbranch_execz .LBB1267_130
; %bb.129:
	v_cmp_eq_u16_e32 vcc_lo, 0, v21
	s_wait_dscnt 0x0
	v_lshrrev_b32_e32 v20, 16, v33
	v_and_b32_e32 v21, 1, v21
	s_delay_alu instid0(VALU_DEP_2) | instskip(NEXT) | instid1(VALU_DEP_2)
	v_dual_cndmask_b32 v33, 0, v33, vcc_lo :: v_dual_bitop2_b32 v20, 1, v20 bitop3:0x40
	v_cmp_eq_u32_e32 vcc_lo, 1, v21
	s_delay_alu instid0(VALU_DEP_2) | instskip(NEXT) | instid1(VALU_DEP_3)
	v_add_nc_u16 v18, v33, v18
	v_cndmask_b32_e64 v20, v20, 1, vcc_lo
	s_delay_alu instid0(VALU_DEP_2) | instskip(NEXT) | instid1(VALU_DEP_2)
	v_and_b32_e32 v21, 0xffff, v18
	v_lshlrev_b32_e32 v33, 16, v20
	s_delay_alu instid0(VALU_DEP_1)
	v_dual_mov_b32 v21, v20 :: v_dual_bitop2_b32 v36, v33, v21 bitop3:0x54
.LBB1267_130:
	s_or_b32 exec_lo, exec_lo, s20
	v_cmp_gt_u32_e32 vcc_lo, 24, v26
	v_add_nc_u32_e32 v34, 8, v26
	s_mov_b32 s20, exec_lo
	s_wait_dscnt 0x0
	v_cndmask_b32_e64 v33, 0, 8, vcc_lo
	s_delay_alu instid0(VALU_DEP_1)
	v_add_lshl_u32 v33, v33, v26, 2
	ds_bpermute_b32 v35, v33, v36
	v_cmpx_le_u32_e64 v34, v17
	s_cbranch_execz .LBB1267_132
; %bb.131:
	v_cmp_eq_u16_e32 vcc_lo, 0, v21
	s_wait_dscnt 0x0
	v_dual_lshrrev_b32 v20, 16, v35 :: v_dual_bitop2_b32 v21, 1, v21 bitop3:0x40
	s_delay_alu instid0(VALU_DEP_1) | instskip(NEXT) | instid1(VALU_DEP_2)
	v_dual_cndmask_b32 v35, 0, v35, vcc_lo :: v_dual_bitop2_b32 v20, 1, v20 bitop3:0x40
	v_cmp_eq_u32_e32 vcc_lo, 1, v21
	s_delay_alu instid0(VALU_DEP_2) | instskip(NEXT) | instid1(VALU_DEP_3)
	v_add_nc_u16 v18, v35, v18
	v_cndmask_b32_e64 v20, v20, 1, vcc_lo
	s_delay_alu instid0(VALU_DEP_2) | instskip(NEXT) | instid1(VALU_DEP_2)
	v_and_b32_e32 v21, 0xffff, v18
	v_lshlrev_b32_e32 v35, 16, v20
	s_delay_alu instid0(VALU_DEP_1)
	v_dual_mov_b32 v21, v20 :: v_dual_bitop2_b32 v36, v35, v21 bitop3:0x54
.LBB1267_132:
	s_or_b32 exec_lo, exec_lo, s20
	s_wait_dscnt 0x0
	v_lshl_or_b32 v35, v26, 2, 64
	v_add_nc_u32_e32 v37, 16, v26
	s_mov_b32 s20, exec_lo
	ds_bpermute_b32 v36, v35, v36
	v_cmpx_le_u32_e64 v37, v17
	s_cbranch_execz .LBB1267_134
; %bb.133:
	v_cmp_eq_u16_e32 vcc_lo, 0, v21
	s_wait_dscnt 0x0
	v_dual_lshrrev_b32 v17, 16, v36 :: v_dual_bitop2_b32 v21, 1, v21 bitop3:0x40
	s_delay_alu instid0(VALU_DEP_1) | instskip(NEXT) | instid1(VALU_DEP_2)
	v_dual_cndmask_b32 v20, 0, v36, vcc_lo :: v_dual_bitop2_b32 v17, 1, v17 bitop3:0x40
	v_cmp_eq_u32_e32 vcc_lo, 1, v21
	s_delay_alu instid0(VALU_DEP_2) | instskip(NEXT) | instid1(VALU_DEP_3)
	v_add_nc_u16 v18, v20, v18
	v_cndmask_b32_e64 v20, v17, 1, vcc_lo
.LBB1267_134:
	s_or_b32 exec_lo, exec_lo, s20
	v_mov_b32_e32 v17, 0
	s_branch .LBB1267_137
.LBB1267_135:                           ;   in Loop: Header=BB1267_137 Depth=1
	s_or_b32 exec_lo, exec_lo, s20
	v_and_b32_e32 v20, 0xff, v36
	s_delay_alu instid0(VALU_DEP_2) | instskip(SKIP_2) | instid1(VALU_DEP_3)
	v_and_b32_e32 v21, 1, v21
	v_subrev_nc_u32_e32 v16, 32, v16
	s_mov_b32 s20, 0
	v_cmp_eq_u16_e32 vcc_lo, 0, v20
	v_dual_cndmask_b32 v18, 0, v18, vcc_lo :: v_dual_bitop2_b32 v20, 1, v36 bitop3:0x40
	s_delay_alu instid0(VALU_DEP_1) | instskip(NEXT) | instid1(VALU_DEP_2)
	v_cmp_eq_u32_e32 vcc_lo, 1, v20
	v_add_nc_u16 v18, v18, v38
	v_cndmask_b32_e64 v20, v21, 1, vcc_lo
.LBB1267_136:                           ;   in Loop: Header=BB1267_137 Depth=1
	s_and_b32 vcc_lo, exec_lo, s20
	s_cbranch_vccnz .LBB1267_153
.LBB1267_137:                           ; =>This Loop Header: Depth=1
                                        ;     Child Loop BB1267_140 Depth 2
	v_and_b32_e32 v19, 0xff, v19
	s_wait_dscnt 0x0
	v_dual_mov_b32 v36, v20 :: v_dual_mov_b32 v38, v18
	s_mov_b32 s20, -1
                                        ; implicit-def: $vgpr20
	s_delay_alu instid0(VALU_DEP_2)
	v_cmp_ne_u16_e32 vcc_lo, 2, v19
                                        ; implicit-def: $vgpr18
	s_cmp_lg_u32 vcc_lo, exec_lo
	s_cbranch_scc1 .LBB1267_136
; %bb.138:                              ;   in Loop: Header=BB1267_137 Depth=1
	global_load_b64 v[18:19], v16, s[28:29] scale_offset scope:SCOPE_DEV
	s_mov_b32 s20, exec_lo
	s_wait_loadcnt 0x0
	v_and_b32_e32 v20, 0xff, v19
	s_wait_xcnt 0x0
	s_delay_alu instid0(VALU_DEP_1)
	v_cmpx_eq_u16_e32 0, v20
	s_cbranch_execz .LBB1267_142
; %bb.139:                              ;   in Loop: Header=BB1267_137 Depth=1
	v_lshl_add_u64 v[20:21], v[16:17], 3, s[28:29]
	s_mov_b32 s21, 0
.LBB1267_140:                           ;   Parent Loop BB1267_137 Depth=1
                                        ; =>  This Inner Loop Header: Depth=2
	global_load_b64 v[18:19], v[20:21], off scope:SCOPE_DEV
	s_wait_loadcnt 0x0
	v_and_b32_e32 v39, 0xff, v19
	s_delay_alu instid0(VALU_DEP_1)
	v_cmp_ne_u16_e32 vcc_lo, 0, v39
	s_or_b32 s21, vcc_lo, s21
	s_wait_xcnt 0x0
	s_and_not1_b32 exec_lo, exec_lo, s21
	s_cbranch_execnz .LBB1267_140
; %bb.141:                              ;   in Loop: Header=BB1267_137 Depth=1
	s_or_b32 exec_lo, exec_lo, s21
.LBB1267_142:                           ;   in Loop: Header=BB1267_137 Depth=1
	s_delay_alu instid0(SALU_CYCLE_1)
	s_or_b32 exec_lo, exec_lo, s20
	v_and_b32_e32 v40, 0xffffff, v18
	v_and_b32_e32 v20, 0xff, v19
	v_lshrrev_b32_e32 v21, 16, v18
	v_bfe_u32 v39, v18, 16, 8
	s_mov_b32 s20, exec_lo
	ds_bpermute_b32 v41, v15, v40
	v_cmp_eq_u16_e32 vcc_lo, 2, v20
	v_and_or_b32 v20, vcc_lo, v27, 0x80000000
	s_delay_alu instid0(VALU_DEP_1) | instskip(NEXT) | instid1(VALU_DEP_1)
	v_ctz_i32_b32_e32 v20, v20
	v_cmpx_lt_u32_e64 v26, v20
	s_cbranch_execz .LBB1267_144
; %bb.143:                              ;   in Loop: Header=BB1267_137 Depth=1
	v_and_b32_e32 v21, 0xff0000, v18
	s_delay_alu instid0(VALU_DEP_1) | instskip(SKIP_3) | instid1(VALU_DEP_1)
	v_and_b32_e32 v40, 0x10000, v21
	v_cmp_eq_u32_e32 vcc_lo, 0, v21
	s_wait_dscnt 0x0
	v_dual_lshrrev_b32 v39, 16, v41 :: v_dual_cndmask_b32 v41, 0, v41, vcc_lo
	v_and_b32_e32 v39, 1, v39
	v_cmp_ne_u32_e32 vcc_lo, 0, v40
	s_delay_alu instid0(VALU_DEP_3) | instskip(NEXT) | instid1(VALU_DEP_3)
	v_add_nc_u16 v18, v41, v18
	v_cndmask_b32_e64 v21, v39, 1, vcc_lo
	s_delay_alu instid0(VALU_DEP_2) | instskip(NEXT) | instid1(VALU_DEP_2)
	v_and_b32_e32 v40, 0xffff, v18
	v_lshlrev_b32_e32 v39, 16, v21
	s_delay_alu instid0(VALU_DEP_1)
	v_dual_mov_b32 v39, v21 :: v_dual_bitop2_b32 v40, v39, v40 bitop3:0x54
.LBB1267_144:                           ;   in Loop: Header=BB1267_137 Depth=1
	s_or_b32 exec_lo, exec_lo, s20
	s_wait_dscnt 0x0
	ds_bpermute_b32 v41, v29, v40
	s_mov_b32 s20, exec_lo
	v_cmpx_le_u32_e64 v30, v20
	s_cbranch_execz .LBB1267_146
; %bb.145:                              ;   in Loop: Header=BB1267_137 Depth=1
	v_cmp_eq_u16_e32 vcc_lo, 0, v39
	s_wait_dscnt 0x0
	v_dual_lshrrev_b32 v21, 16, v41 :: v_dual_bitop2_b32 v39, 1, v39 bitop3:0x40
	v_cndmask_b32_e32 v40, 0, v41, vcc_lo
	s_delay_alu instid0(VALU_DEP_2) | instskip(NEXT) | instid1(VALU_DEP_3)
	v_and_b32_e32 v21, 1, v21
	v_cmp_eq_u32_e32 vcc_lo, 1, v39
	s_delay_alu instid0(VALU_DEP_3) | instskip(NEXT) | instid1(VALU_DEP_3)
	v_add_nc_u16 v18, v40, v18
	v_cndmask_b32_e64 v21, v21, 1, vcc_lo
	s_delay_alu instid0(VALU_DEP_2) | instskip(NEXT) | instid1(VALU_DEP_2)
	v_and_b32_e32 v39, 0xffff, v18
	v_lshlrev_b32_e32 v40, 16, v21
	s_delay_alu instid0(VALU_DEP_1)
	v_dual_mov_b32 v39, v21 :: v_dual_bitop2_b32 v40, v40, v39 bitop3:0x54
.LBB1267_146:                           ;   in Loop: Header=BB1267_137 Depth=1
	s_or_b32 exec_lo, exec_lo, s20
	s_wait_dscnt 0x0
	ds_bpermute_b32 v41, v31, v40
	s_mov_b32 s20, exec_lo
	v_cmpx_le_u32_e64 v32, v20
	s_cbranch_execz .LBB1267_148
; %bb.147:                              ;   in Loop: Header=BB1267_137 Depth=1
	v_cmp_eq_u16_e32 vcc_lo, 0, v39
	s_wait_dscnt 0x0
	v_dual_lshrrev_b32 v21, 16, v41 :: v_dual_bitop2_b32 v39, 1, v39 bitop3:0x40
	v_cndmask_b32_e32 v40, 0, v41, vcc_lo
	s_delay_alu instid0(VALU_DEP_2) | instskip(NEXT) | instid1(VALU_DEP_3)
	v_and_b32_e32 v21, 1, v21
	v_cmp_eq_u32_e32 vcc_lo, 1, v39
	s_delay_alu instid0(VALU_DEP_3) | instskip(NEXT) | instid1(VALU_DEP_3)
	v_add_nc_u16 v18, v40, v18
	v_cndmask_b32_e64 v21, v21, 1, vcc_lo
	s_delay_alu instid0(VALU_DEP_2) | instskip(NEXT) | instid1(VALU_DEP_2)
	v_and_b32_e32 v39, 0xffff, v18
	v_lshlrev_b32_e32 v40, 16, v21
	s_delay_alu instid0(VALU_DEP_1)
	v_dual_mov_b32 v39, v21 :: v_dual_bitop2_b32 v40, v40, v39 bitop3:0x54
.LBB1267_148:                           ;   in Loop: Header=BB1267_137 Depth=1
	;; [unrolled: 23-line block ×3, first 2 shown]
	s_or_b32 exec_lo, exec_lo, s20
	ds_bpermute_b32 v40, v35, v40
	s_mov_b32 s20, exec_lo
	v_cmpx_le_u32_e64 v37, v20
	s_cbranch_execz .LBB1267_135
; %bb.151:                              ;   in Loop: Header=BB1267_137 Depth=1
	v_cmp_eq_u16_e32 vcc_lo, 0, v39
	s_wait_dscnt 0x0
	v_dual_lshrrev_b32 v39, 16, v40 :: v_dual_bitop2_b32 v21, 1, v39 bitop3:0x40
	v_cndmask_b32_e32 v20, 0, v40, vcc_lo
	s_delay_alu instid0(VALU_DEP_2) | instskip(NEXT) | instid1(VALU_DEP_2)
	v_cmp_eq_u32_e32 vcc_lo, 1, v21
	v_add_nc_u16 v18, v20, v18
	s_delay_alu instid0(VALU_DEP_4)
	v_cndmask_b32_e64 v21, v39, 1, vcc_lo
	s_branch .LBB1267_135
.LBB1267_152:
                                        ; implicit-def: $vgpr29
                                        ; implicit-def: $vgpr14
                                        ; implicit-def: $vgpr15
                                        ; implicit-def: $vgpr16
                                        ; implicit-def: $vgpr17
                                        ; implicit-def: $vgpr18
                                        ; implicit-def: $vgpr19
                                        ; implicit-def: $vgpr20
                                        ; implicit-def: $vgpr21
                                        ; implicit-def: $vgpr23
                                        ; implicit-def: $vgpr24
                                        ; implicit-def: $vgpr25
                                        ; implicit-def: $vgpr26
                                        ; implicit-def: $vgpr27
	s_cbranch_execnz .LBB1267_158
	s_branch .LBB1267_177
.LBB1267_153:
	s_and_saveexec_b32 s20, s14
	s_cbranch_execz .LBB1267_155
; %bb.154:
	v_and_b32_e32 v15, 0xff0000, v14
	v_and_b32_e32 v17, 0x10000, v14
	s_add_co_i32 s14, s24, 32
	s_delay_alu instid0(VALU_DEP_2) | instskip(SKIP_1) | instid1(VALU_DEP_1)
	v_cmp_eq_u32_e32 vcc_lo, 0, v15
	v_dual_cndmask_b32 v15, 0, v38, vcc_lo :: v_dual_bitop2_b32 v16, 1, v36 bitop3:0x40
	v_lshlrev_b32_e32 v16, 16, v16
	v_cmp_eq_u32_e32 vcc_lo, 0, v17
	s_delay_alu instid0(VALU_DEP_3) | instskip(NEXT) | instid1(VALU_DEP_3)
	v_add_nc_u16 v14, v15, v14
	v_dual_mov_b32 v15, 2 :: v_dual_cndmask_b32 v16, 0x10000, v16
	s_delay_alu instid0(VALU_DEP_2) | instskip(NEXT) | instid1(VALU_DEP_1)
	v_and_b32_e32 v14, 0xffff, v14
	v_dual_mov_b32 v16, s14 :: v_dual_bitop2_b32 v14, v16, v14 bitop3:0x54
	global_store_b64 v16, v[14:15], s[28:29] scale_offset scope:SCOPE_DEV
.LBB1267_155:
	s_wait_xcnt 0x0
	s_or_b32 exec_lo, exec_lo, s20
	s_delay_alu instid0(SALU_CYCLE_1)
	s_and_b32 exec_lo, exec_lo, s13
	s_cbranch_execz .LBB1267_157
; %bb.156:
	v_mov_b32_e32 v14, 0
	ds_store_b16 v14, v38
	ds_store_b8 v14, v36 offset:2
.LBB1267_157:
	s_or_b32 exec_lo, exec_lo, s15
	v_and_b32_e32 v15, 0x10000, v1
	s_wait_storecnt_dscnt 0x0
	s_barrier_signal -1
	s_barrier_wait -1
	s_delay_alu instid0(VALU_DEP_1)
	v_cmp_ne_u32_e32 vcc_lo, 0, v15
	v_cndmask_b32_e64 v15, v25, 1, vcc_lo
	v_cmp_gt_u32_e32 vcc_lo, 0x10000, v1
	v_dual_mov_b32 v14, 0 :: v_dual_cndmask_b32 v16, 0, v24, vcc_lo
	ds_load_b32 v14, v14
	v_cndmask_b32_e64 v15, v15, v23, s13
	v_cndmask_b32_e64 v16, v16, 0, s13
	s_delay_alu instid0(VALU_DEP_2) | instskip(NEXT) | instid1(VALU_DEP_2)
	v_and_b32_e32 v15, 0xff, v15
	v_add_nc_u16 v16, v16, v1
	s_delay_alu instid0(VALU_DEP_2) | instskip(SKIP_2) | instid1(VALU_DEP_1)
	v_cmp_eq_u16_e32 vcc_lo, 0, v15
	s_wait_dscnt 0x0
	v_cndmask_b32_e32 v14, 0, v14, vcc_lo
	v_add_nc_u16 v27, v16, v14
	s_delay_alu instid0(VALU_DEP_1) | instskip(SKIP_1) | instid1(VALU_DEP_2)
	v_cndmask_b32_e64 v14, 0, v27, s12
	v_and_b32_e32 v29, 0xffff, v27
	v_add_nc_u16 v14, v14, v2
	s_delay_alu instid0(VALU_DEP_1) | instskip(NEXT) | instid1(VALU_DEP_1)
	v_cndmask_b32_e64 v15, 0, v14, s11
	v_add_nc_u16 v15, v15, v3
	s_delay_alu instid0(VALU_DEP_1) | instskip(NEXT) | instid1(VALU_DEP_1)
	v_cndmask_b32_e64 v16, 0, v15, s10
	;; [unrolled: 3-line block ×12, first 2 shown]
	v_add_nc_u16 v27, v30, v22
	s_branch .LBB1267_177
.LBB1267_158:
	s_cmp_lg_u64 s[36:37], 0
	v_cmp_eq_u32_e32 vcc_lo, 0, v0
	s_cselect_b32 s1, -1, 0
	s_cmp_lg_u64 s[22:23], 0
	v_cmp_ne_u32_e64 s0, 0, v0
	s_cselect_b32 s2, -1, 0
	s_delay_alu instid0(SALU_CYCLE_1) | instskip(NEXT) | instid1(SALU_CYCLE_1)
	s_and_b32 s1, s1, s2
	s_and_b32 s1, vcc_lo, s1
	s_delay_alu instid0(SALU_CYCLE_1)
	s_and_saveexec_b32 s2, s1
	s_cbranch_execz .LBB1267_160
; %bb.159:
	v_mov_b32_e32 v14, 0
	v_cmp_gt_u32_e64 s1, 0x10000, v1
	s_clause 0x1
	global_load_u16 v15, v14, s[22:23]
	global_load_u8 v16, v14, s[22:23] offset:2
	s_wait_loadcnt 0x0
	v_dual_cndmask_b32 v14, 0, v15, s1 :: v_dual_bitop2_b32 v15, 1, v16 bitop3:0x40
	s_delay_alu instid0(VALU_DEP_1) | instskip(NEXT) | instid1(VALU_DEP_2)
	v_lshlrev_b32_e32 v15, 16, v15
	v_add_nc_u16 v14, v14, v1
	v_and_b32_e32 v1, 0x10000, v1
	s_delay_alu instid0(VALU_DEP_2) | instskip(NEXT) | instid1(VALU_DEP_2)
	v_and_b32_e32 v14, 0xffff, v14
	v_cmp_eq_u32_e64 s1, 0, v1
	s_delay_alu instid0(VALU_DEP_1) | instskip(NEXT) | instid1(VALU_DEP_1)
	v_cndmask_b32_e64 v1, 0x10000, v15, s1
	v_or_b32_e32 v1, v1, v14
.LBB1267_160:
	s_or_b32 exec_lo, exec_lo, s2
	v_cmp_gt_u32_e64 s1, 0x10000, v2
	v_cmp_gt_u32_e64 s3, 0x10000, v4
	;; [unrolled: 1-line block ×5, first 2 shown]
	v_cndmask_b32_e64 v14, 0, v1, s1
	v_cmp_gt_u32_e64 s7, 0x10000, v8
	v_cmp_gt_u32_e64 s6, 0x10000, v7
	;; [unrolled: 1-line block ×4, first 2 shown]
	v_add_nc_u16 v14, v14, v2
	v_cmp_gt_u32_e64 s11, 0x10000, v12
	v_cmp_gt_u32_e64 s10, 0x10000, v11
	v_or_b32_e32 v31, v10, v12
	v_cmp_gt_u32_e64 s13, 0x10000, v22
	v_dual_cndmask_b32 v15, 0, v14, s2 :: v_dual_bitop2_b32 v30, v11, v13 bitop3:0x54
	v_and_b32_e32 v28, 28, v28
	v_cmp_gt_u32_e64 s12, 0x10000, v13
	s_mov_b32 s15, exec_lo
	v_add_nc_u16 v15, v15, v3
	v_or3_b32 v30, v31, v30, v22
	v_lshrrev_b32_e32 v31, 16, v1
	v_or_b32_e32 v26, v9, v5
	v_lshl_add_u32 v28, v0, 2, v28
	v_dual_cndmask_b32 v16, 0, v15, s3 :: v_dual_bitop2_b32 v27, v8, v4 bitop3:0x54
	s_delay_alu instid0(VALU_DEP_3) | instskip(NEXT) | instid1(VALU_DEP_2)
	v_or3_b32 v33, v7, v3, v26
	v_add_nc_u16 v16, v16, v4
	s_delay_alu instid0(VALU_DEP_1) | instskip(NEXT) | instid1(VALU_DEP_1)
	v_cndmask_b32_e64 v17, 0, v16, s4
	v_add_nc_u16 v17, v17, v5
	s_delay_alu instid0(VALU_DEP_1) | instskip(NEXT) | instid1(VALU_DEP_1)
	v_cndmask_b32_e64 v18, 0, v17, s5
	v_add_nc_u16 v18, v18, v6
	s_delay_alu instid0(VALU_DEP_1) | instskip(NEXT) | instid1(VALU_DEP_1)
	v_cndmask_b32_e64 v19, 0, v18, s6
	v_add_nc_u16 v19, v19, v7
	s_delay_alu instid0(VALU_DEP_1) | instskip(NEXT) | instid1(VALU_DEP_1)
	v_cndmask_b32_e64 v20, 0, v19, s7
	v_add_nc_u16 v20, v20, v8
	s_delay_alu instid0(VALU_DEP_1) | instskip(NEXT) | instid1(VALU_DEP_1)
	v_cndmask_b32_e64 v21, 0, v20, s8
	v_add_nc_u16 v21, v21, v9
	s_delay_alu instid0(VALU_DEP_1) | instskip(NEXT) | instid1(VALU_DEP_1)
	v_cndmask_b32_e64 v23, 0, v21, s9
	v_add_nc_u16 v23, v23, v10
	s_delay_alu instid0(VALU_DEP_1) | instskip(NEXT) | instid1(VALU_DEP_1)
	v_cndmask_b32_e64 v24, 0, v23, s10
	v_add_nc_u16 v24, v24, v11
	s_delay_alu instid0(VALU_DEP_1) | instskip(NEXT) | instid1(VALU_DEP_1)
	v_cndmask_b32_e64 v25, 0, v24, s11
	v_add_nc_u16 v25, v25, v12
	s_delay_alu instid0(VALU_DEP_1) | instskip(NEXT) | instid1(VALU_DEP_1)
	v_dual_cndmask_b32 v32, 0, v25, s12 :: v_dual_bitop2_b32 v29, v6, v2 bitop3:0x54
	v_or3_b32 v27, v29, v27, v33
	s_delay_alu instid0(VALU_DEP_2) | instskip(NEXT) | instid1(VALU_DEP_2)
	v_add_nc_u16 v26, v32, v13
	v_bitop3_b32 v30, v30, 0xff0000, v27 bitop3:0xc8
	s_delay_alu instid0(VALU_DEP_2) | instskip(NEXT) | instid1(VALU_DEP_2)
	v_cndmask_b32_e64 v29, 0, v26, s13
	v_cmp_eq_u32_e64 s14, 0, v30
	s_delay_alu instid0(VALU_DEP_2) | instskip(NEXT) | instid1(VALU_DEP_2)
	v_add_nc_u16 v27, v29, v22
	v_cndmask_b32_e64 v29, 1, v31, s14
	ds_store_b16 v28, v27
	ds_store_b8 v28, v29 offset:2
	s_wait_dscnt 0x0
	s_barrier_signal -1
	s_barrier_wait -1
	v_cmpx_gt_u32_e32 32, v0
	s_cbranch_execz .LBB1267_172
; %bb.161:
	v_and_b32_e32 v28, 0xfc, v0
	v_lshlrev_b32_e32 v30, 5, v0
	s_mov_b32 s20, exec_lo
	s_delay_alu instid0(VALU_DEP_1)
	v_add_nc_u32_e32 v28, v28, v30
	ds_load_u8 v31, v28 offset:6
	ds_load_b32 v30, v28
	ds_load_u16 v32, v28 offset:4
	ds_load_u8 v33, v28 offset:10
	ds_load_u16 v34, v28 offset:8
	ds_load_u16 v35, v28 offset:12
	ds_load_u8 v36, v28 offset:14
	ds_load_u16 v37, v28 offset:16
	s_wait_dscnt 0x7
	v_cmp_eq_u16_e64 s14, 0, v31
	s_wait_dscnt 0x4
	s_delay_alu instid0(VALU_DEP_1) | instskip(SKIP_1) | instid1(VALU_DEP_2)
	v_dual_cndmask_b32 v38, 0, v30, s14 :: v_dual_bitop2_b32 v31, v33, v31 bitop3:0x54
	v_cmp_eq_u16_e64 s14, 0, v33
	v_add_nc_u16 v32, v38, v32
	ds_load_u8 v38, v28 offset:18
	v_cndmask_b32_e64 v32, 0, v32, s14
	s_wait_dscnt 0x2
	v_cmp_eq_u16_e64 s14, 0, v36
	s_delay_alu instid0(VALU_DEP_2) | instskip(SKIP_2) | instid1(VALU_DEP_1)
	v_add_nc_u16 v32, v32, v34
	ds_load_u8 v34, v28 offset:22
	v_cndmask_b32_e64 v32, 0, v32, s14
	v_add_nc_u16 v32, v32, v35
	s_wait_dscnt 0x1
	v_cmp_eq_u16_e64 s14, 0, v38
	ds_load_u16 v35, v28 offset:20
	ds_load_u16 v39, v28 offset:24
	ds_load_u8 v40, v28 offset:26
	ds_load_u16 v41, v28 offset:28
	ds_load_u8 v42, v28 offset:30
	v_bitop3_b16 v33, v31, v38, v36 bitop3:0xfe
	v_and_b32_e32 v31, 0x10000, v30
	v_cndmask_b32_e64 v32, 0, v32, s14
	s_delay_alu instid0(VALU_DEP_1) | instskip(SKIP_2) | instid1(VALU_DEP_1)
	v_add_nc_u16 v32, v32, v37
	s_wait_dscnt 0x5
	v_cmp_eq_u16_e64 s14, 0, v34
	v_cndmask_b32_e64 v32, 0, v32, s14
	s_wait_dscnt 0x2
	v_cmp_eq_u16_e64 s14, 0, v40
	v_bitop3_b16 v33, v33, v40, v34 bitop3:0xfe
	s_delay_alu instid0(VALU_DEP_3) | instskip(SKIP_1) | instid1(VALU_DEP_1)
	v_add_nc_u16 v32, v32, v35
	s_wait_dscnt 0x0
	v_dual_cndmask_b32 v32, 0, v32, s14 :: v_dual_bitop2_b32 v34, 1, v42 bitop3:0x40
	v_cmp_eq_u16_e64 s14, 0, v42
	s_delay_alu instid0(VALU_DEP_2) | instskip(NEXT) | instid1(VALU_DEP_1)
	v_add_nc_u16 v32, v32, v39
	v_cndmask_b32_e64 v32, 0, v32, s14
	v_cmp_eq_u16_e64 s14, 0, v33
	s_delay_alu instid0(VALU_DEP_2) | instskip(NEXT) | instid1(VALU_DEP_2)
	v_add_nc_u16 v33, v32, v41
	v_cndmask_b32_e64 v35, 0x10000, v31, s14
	v_cmp_eq_u32_e64 s14, 1, v34
	v_and_b32_e32 v32, 0xff000000, v30
	v_mbcnt_lo_u32_b32 v34, -1, 0
	v_and_b32_e32 v36, 0xffff, v33
	s_delay_alu instid0(VALU_DEP_4) | instskip(NEXT) | instid1(VALU_DEP_1)
	v_cndmask_b32_e64 v35, v35, 0x10000, s14
	v_or_b32_e32 v37, v35, v32
	s_delay_alu instid0(VALU_DEP_3) | instskip(NEXT) | instid1(VALU_DEP_2)
	v_or3_b32 v38, v32, v36, v35
	v_dual_lshrrev_b32 v36, 16, v37 :: v_dual_bitop2_b32 v35, 15, v34 bitop3:0x40
	s_delay_alu instid0(VALU_DEP_2) | instskip(NEXT) | instid1(VALU_DEP_2)
	v_mov_b32_dpp v39, v38 row_shr:1 row_mask:0xf bank_mask:0xf
	v_cmpx_ne_u32_e32 0, v35
	s_cbranch_execz .LBB1267_163
; %bb.162:
	s_delay_alu instid0(VALU_DEP_2) | instskip(SKIP_1) | instid1(VALU_DEP_2)
	v_dual_lshrrev_b32 v36, 16, v37 :: v_dual_lshrrev_b32 v38, 16, v39
	v_and_b32_e32 v37, 0x10000, v37
	v_and_b32_e32 v36, 0xff, v36
	s_delay_alu instid0(VALU_DEP_1) | instskip(NEXT) | instid1(VALU_DEP_1)
	v_cmp_eq_u16_e64 s14, 0, v36
	v_dual_cndmask_b32 v39, 0, v39, s14 :: v_dual_bitop2_b32 v38, 1, v38 bitop3:0x40
	s_delay_alu instid0(VALU_DEP_4) | instskip(NEXT) | instid1(VALU_DEP_2)
	v_cmp_ne_u32_e64 s14, 0, v37
	v_add_nc_u16 v33, v39, v33
	s_delay_alu instid0(VALU_DEP_2) | instskip(NEXT) | instid1(VALU_DEP_2)
	v_cndmask_b32_e64 v36, v38, 1, s14
	v_and_b32_e32 v38, 0xffff, v33
	s_delay_alu instid0(VALU_DEP_2) | instskip(NEXT) | instid1(VALU_DEP_1)
	v_lshlrev_b32_e32 v37, 16, v36
	v_or3_b32 v38, v37, v38, v32
.LBB1267_163:
	s_or_b32 exec_lo, exec_lo, s20
	s_delay_alu instid0(VALU_DEP_1)
	v_lshrrev_b32_e32 v37, 16, v38
	v_mov_b32_dpp v39, v38 row_shr:2 row_mask:0xf bank_mask:0xf
	s_mov_b32 s20, exec_lo
	v_cmpx_lt_u32_e32 1, v35
	s_cbranch_execz .LBB1267_165
; %bb.164:
	v_and_b32_e32 v37, 0xff, v37
	v_and_b32_e32 v38, 0x10000, v38
	s_delay_alu instid0(VALU_DEP_2) | instskip(NEXT) | instid1(VALU_DEP_1)
	v_cmp_eq_u16_e64 s14, 0, v37
	v_dual_lshrrev_b32 v36, 16, v39 :: v_dual_cndmask_b32 v37, 0, v39, s14
	s_delay_alu instid0(VALU_DEP_1) | instskip(NEXT) | instid1(VALU_DEP_4)
	v_and_b32_e32 v36, 1, v36
	v_cmp_ne_u32_e64 s14, 0, v38
	s_delay_alu instid0(VALU_DEP_3) | instskip(NEXT) | instid1(VALU_DEP_2)
	v_add_nc_u16 v33, v37, v33
	v_cndmask_b32_e64 v36, v36, 1, s14
	s_delay_alu instid0(VALU_DEP_2) | instskip(NEXT) | instid1(VALU_DEP_2)
	v_and_b32_e32 v38, 0xffff, v33
	v_lshlrev_b32_e32 v37, 16, v36
	s_delay_alu instid0(VALU_DEP_1)
	v_or3_b32 v38, v37, v38, v32
	v_mov_b32_e32 v37, v36
.LBB1267_165:
	s_or_b32 exec_lo, exec_lo, s20
	s_delay_alu instid0(VALU_DEP_2)
	v_mov_b32_dpp v39, v38 row_shr:4 row_mask:0xf bank_mask:0xf
	s_mov_b32 s20, exec_lo
	v_cmpx_lt_u32_e32 3, v35
	s_cbranch_execz .LBB1267_167
; %bb.166:
	v_and_b32_e32 v38, 0xff, v37
	v_dual_lshrrev_b32 v36, 16, v39 :: v_dual_bitop2_b32 v37, 1, v37 bitop3:0x40
	s_delay_alu instid0(VALU_DEP_2) | instskip(NEXT) | instid1(VALU_DEP_1)
	v_cmp_eq_u16_e64 s14, 0, v38
	v_dual_cndmask_b32 v38, 0, v39, s14 :: v_dual_bitop2_b32 v36, 1, v36 bitop3:0x40
	s_delay_alu instid0(VALU_DEP_3) | instskip(NEXT) | instid1(VALU_DEP_2)
	v_cmp_eq_u32_e64 s14, 1, v37
	v_add_nc_u16 v33, v38, v33
	s_delay_alu instid0(VALU_DEP_2) | instskip(NEXT) | instid1(VALU_DEP_2)
	v_cndmask_b32_e64 v36, v36, 1, s14
	v_and_b32_e32 v38, 0xffff, v33
	s_delay_alu instid0(VALU_DEP_2) | instskip(NEXT) | instid1(VALU_DEP_1)
	v_lshlrev_b32_e32 v37, 16, v36
	v_or3_b32 v38, v37, v38, v32
	v_mov_b32_e32 v37, v36
.LBB1267_167:
	s_or_b32 exec_lo, exec_lo, s20
	s_delay_alu instid0(VALU_DEP_2)
	v_mov_b32_dpp v39, v38 row_shr:8 row_mask:0xf bank_mask:0xf
	s_mov_b32 s20, exec_lo
	v_cmpx_lt_u32_e32 7, v35
	s_cbranch_execz .LBB1267_169
; %bb.168:
	v_and_b32_e32 v36, 0xff, v37
	v_dual_lshrrev_b32 v35, 16, v39 :: v_dual_bitop2_b32 v37, 1, v37 bitop3:0x40
	s_delay_alu instid0(VALU_DEP_2) | instskip(NEXT) | instid1(VALU_DEP_2)
	v_cmp_eq_u16_e64 s14, 0, v36
	v_and_b32_e32 v35, 1, v35
	s_delay_alu instid0(VALU_DEP_2) | instskip(NEXT) | instid1(VALU_DEP_4)
	v_cndmask_b32_e64 v38, 0, v39, s14
	v_cmp_eq_u32_e64 s14, 1, v37
	s_delay_alu instid0(VALU_DEP_1) | instskip(NEXT) | instid1(VALU_DEP_1)
	v_cndmask_b32_e64 v36, v35, 1, s14
	v_lshlrev_b32_e32 v35, 16, v36
	s_delay_alu instid0(VALU_DEP_4) | instskip(NEXT) | instid1(VALU_DEP_1)
	v_add_nc_u16 v33, v38, v33
	v_and_b32_e32 v37, 0xffff, v33
	s_delay_alu instid0(VALU_DEP_1)
	v_or3_b32 v38, v35, v37, v32
	v_mov_b32_e32 v37, v36
.LBB1267_169:
	s_or_b32 exec_lo, exec_lo, s20
	ds_swizzle_b32 v35, v38 offset:swizzle(BROADCAST,32,15)
	v_and_b32_e32 v38, 16, v34
	s_mov_b32 s20, exec_lo
	s_delay_alu instid0(VALU_DEP_1)
	v_cmpx_ne_u32_e32 0, v38
	s_cbranch_execz .LBB1267_171
; %bb.170:
	v_and_b32_e32 v36, 0xff, v37
	s_delay_alu instid0(VALU_DEP_1) | instskip(SKIP_2) | instid1(VALU_DEP_1)
	v_cmp_eq_u16_e64 s14, 0, v36
	s_wait_dscnt 0x0
	v_dual_lshrrev_b32 v38, 16, v35 :: v_dual_bitop2_b32 v36, 1, v37 bitop3:0x40
	v_dual_cndmask_b32 v35, 0, v35, s14 :: v_dual_bitop2_b32 v37, 1, v38 bitop3:0x40
	s_delay_alu instid0(VALU_DEP_2) | instskip(NEXT) | instid1(VALU_DEP_2)
	v_cmp_eq_u32_e64 s14, 1, v36
	v_add_nc_u16 v33, v35, v33
	s_delay_alu instid0(VALU_DEP_2)
	v_cndmask_b32_e64 v36, v37, 1, s14
.LBB1267_171:
	s_or_b32 exec_lo, exec_lo, s20
	s_wait_dscnt 0x0
	s_delay_alu instid0(VALU_DEP_1) | instskip(SKIP_2) | instid1(VALU_DEP_3)
	v_and_b32_e32 v35, 0xff, v36
	v_add_nc_u32_e32 v36, -1, v34
	v_and_b32_e32 v33, 0xffff, v33
	; wave barrier
	v_lshlrev_b32_e32 v35, 16, v35
	s_delay_alu instid0(VALU_DEP_3) | instskip(NEXT) | instid1(VALU_DEP_2)
	v_cmp_gt_i32_e64 s14, 0, v36
	v_or3_b32 v32, v35, v33, v32
	s_delay_alu instid0(VALU_DEP_2) | instskip(NEXT) | instid1(VALU_DEP_1)
	v_cndmask_b32_e64 v34, v36, v34, s14
	v_lshlrev_b32_e32 v33, 2, v34
	ds_bpermute_b32 v32, v33, v32
	v_and_b32_e32 v33, 0xff0000, v30
	s_delay_alu instid0(VALU_DEP_1) | instskip(SKIP_1) | instid1(VALU_DEP_1)
	v_cmp_eq_u32_e64 s14, 0, v33
	s_wait_dscnt 0x0
	v_dual_lshrrev_b32 v34, 16, v32 :: v_dual_cndmask_b32 v32, 0, v32, s14
	v_cmp_eq_u32_e64 s14, 0, v31
	s_delay_alu instid0(VALU_DEP_2) | instskip(NEXT) | instid1(VALU_DEP_1)
	v_add_nc_u16 v30, v32, v30
	v_dual_cndmask_b32 v30, v30, v27, vcc_lo :: v_dual_bitop2_b32 v33, 1, v34 bitop3:0x40
	s_delay_alu instid0(VALU_DEP_1) | instskip(NEXT) | instid1(VALU_DEP_1)
	v_cndmask_b32_e64 v31, 1, v33, s14
	v_cndmask_b32_e32 v29, v31, v29, vcc_lo
	ds_store_b16 v28, v30
	ds_store_b8 v28, v29 offset:2
	; wave barrier
	ds_load_u8 v31, v28 offset:6
	ds_load_u16 v32, v28 offset:4
	ds_load_u8 v33, v28 offset:10
	ds_load_u16 v34, v28 offset:8
	ds_load_u16 v35, v28 offset:12
	ds_load_u8 v36, v28 offset:14
	ds_load_u16 v37, v28 offset:16
	ds_load_u8 v38, v28 offset:18
	s_wait_dscnt 0x7
	v_cmp_eq_u16_e64 s14, 0, v31
	s_delay_alu instid0(VALU_DEP_1) | instskip(SKIP_2) | instid1(VALU_DEP_2)
	v_cndmask_b32_e64 v30, 0, v30, s14
	s_wait_dscnt 0x5
	v_cmp_eq_u16_e64 s14, 0, v33
	v_add_nc_u16 v30, v30, v32
	s_delay_alu instid0(VALU_DEP_1) | instskip(SKIP_2) | instid1(VALU_DEP_2)
	v_cndmask_b32_e64 v32, 0, v30, s14
	s_wait_dscnt 0x2
	v_cmp_eq_u16_e64 s14, 0, v36
	v_add_nc_u16 v32, v32, v34
	v_and_b32_e32 v31, 1, v31
	ds_load_u8 v34, v28 offset:22
	ds_load_u16 v40, v28 offset:20
	ds_load_u8 v41, v28 offset:26
	ds_load_u8 v42, v28 offset:30
	v_cndmask_b32_e64 v39, 0, v32, s14
	v_cmp_eq_u32_e64 s14, 1, v31
	v_and_b32_e32 v31, 1, v36
	s_delay_alu instid0(VALU_DEP_3) | instskip(NEXT) | instid1(VALU_DEP_3)
	v_add_nc_u16 v35, v39, v35
	v_cndmask_b32_e64 v29, v29, 1, s14
	s_wait_dscnt 0x4
	v_cmp_eq_u16_e64 s14, 0, v38
	v_and_b32_e32 v33, 1, v33
	ds_load_u16 v39, v28 offset:24
	ds_load_u16 v43, v28 offset:28
	v_cndmask_b32_e64 v36, 0, v35, s14
	v_cmp_eq_u32_e64 s14, 1, v33
	s_delay_alu instid0(VALU_DEP_2) | instskip(NEXT) | instid1(VALU_DEP_2)
	v_add_nc_u16 v36, v36, v37
	v_cndmask_b32_e64 v33, v29, 1, s14
	v_cmp_eq_u32_e64 s14, 1, v31
	v_and_b32_e32 v37, 1, v38
	s_wait_dscnt 0x2
	v_and_b32_e32 v44, 1, v42
	s_delay_alu instid0(VALU_DEP_3) | instskip(SKIP_1) | instid1(VALU_DEP_1)
	v_cndmask_b32_e64 v31, v33, 1, s14
	v_cmp_eq_u16_e64 s14, 0, v34
	v_dual_cndmask_b32 v38, 0, v36, s14 :: v_dual_bitop2_b32 v34, 1, v34 bitop3:0x40
	v_cmp_eq_u32_e64 s14, 1, v37
	s_delay_alu instid0(VALU_DEP_2) | instskip(NEXT) | instid1(VALU_DEP_2)
	v_add_nc_u16 v38, v38, v40
	v_cndmask_b32_e64 v37, v31, 1, s14
	s_delay_alu instid0(VALU_DEP_4)
	v_cmp_eq_u32_e64 s14, 1, v34
	v_and_b32_e32 v40, 1, v41
	ds_store_b16 v28, v30 offset:4
	ds_store_b8 v28, v29 offset:6
	ds_store_b16 v28, v32 offset:8
	ds_store_b8 v28, v33 offset:10
	;; [unrolled: 2-line block ×4, first 2 shown]
	v_cndmask_b32_e64 v34, v37, 1, s14
	v_cmp_eq_u16_e64 s14, 0, v41
	s_delay_alu instid0(VALU_DEP_1) | instskip(SKIP_2) | instid1(VALU_DEP_2)
	v_cndmask_b32_e64 v41, 0, v38, s14
	v_cmp_eq_u32_e64 s14, 1, v40
	s_wait_dscnt 0x9
	v_add_nc_u16 v39, v41, v39
	s_delay_alu instid0(VALU_DEP_2) | instskip(SKIP_1) | instid1(VALU_DEP_1)
	v_cndmask_b32_e64 v40, v34, 1, s14
	v_cmp_eq_u32_e64 s14, 1, v44
	v_cndmask_b32_e64 v41, v40, 1, s14
	v_cmp_eq_u16_e64 s14, 0, v42
	s_delay_alu instid0(VALU_DEP_1) | instskip(SKIP_1) | instid1(VALU_DEP_1)
	v_cndmask_b32_e64 v42, 0, v39, s14
	s_wait_dscnt 0x8
	v_add_nc_u16 v29, v42, v43
	ds_store_b16 v28, v38 offset:20
	ds_store_b8 v28, v34 offset:22
	ds_store_b16 v28, v39 offset:24
	ds_store_b8 v28, v40 offset:26
	ds_store_b16 v28, v29 offset:28
	ds_store_b8 v28, v41 offset:30
.LBB1267_172:
	s_or_b32 exec_lo, exec_lo, s15
	s_wait_dscnt 0x0
	s_barrier_signal -1
	s_barrier_wait -1
	s_and_saveexec_b32 s14, s0
	s_cbranch_execz .LBB1267_174
; %bb.173:
	v_add_nc_u32_e32 v14, -1, v0
	v_cmp_gt_u32_e64 s0, 0x10000, v1
	s_delay_alu instid0(VALU_DEP_2) | instskip(NEXT) | instid1(VALU_DEP_1)
	v_lshrrev_b32_e32 v15, 3, v14
	v_and_b32_e32 v15, 0x1ffffffc, v15
	s_delay_alu instid0(VALU_DEP_1) | instskip(SKIP_4) | instid1(VALU_DEP_1)
	v_lshl_add_u32 v14, v14, 2, v15
	ds_load_u16 v14, v14
	;;#ASMSTART
	;;#ASMEND
	s_wait_dscnt 0x0
	v_cndmask_b32_e64 v14, 0, v14, s0
	v_add_nc_u32_e32 v1, v14, v1
	s_delay_alu instid0(VALU_DEP_1) | instskip(NEXT) | instid1(VALU_DEP_1)
	v_cndmask_b32_e64 v14, 0, v1, s1
	v_add_nc_u16 v14, v14, v2
	s_delay_alu instid0(VALU_DEP_1) | instskip(NEXT) | instid1(VALU_DEP_1)
	v_cndmask_b32_e64 v2, 0, v14, s2
	v_add_nc_u16 v15, v2, v3
	;; [unrolled: 3-line block ×13, first 2 shown]
.LBB1267_174:
	s_or_b32 exec_lo, exec_lo, s14
	s_and_saveexec_b32 s0, vcc_lo
	s_cbranch_execz .LBB1267_176
; %bb.175:
	v_mov_b32_e32 v4, 0
	ds_load_u8 v2, v4 offset:1050
	ds_load_u16 v3, v4 offset:1048
	s_wait_dscnt 0x1
	v_lshlrev_b32_e32 v2, 16, v2
	s_wait_dscnt 0x0
	v_and_b32_e32 v3, 0xffff, v3
	s_delay_alu instid0(VALU_DEP_1)
	v_dual_mov_b32 v3, 2 :: v_dual_bitop2_b32 v2, v2, v3 bitop3:0x54
	global_store_b64 v4, v[2:3], s[28:29] offset:256 scope:SCOPE_DEV
.LBB1267_176:
	s_wait_xcnt 0x0
	s_or_b32 exec_lo, exec_lo, s0
	v_mov_b32_e32 v29, v1
.LBB1267_177:
	v_mov_b32_e32 v1, 0
	s_add_nc_u64 s[0:1], s[18:19], s[34:35]
	s_and_b32 vcc_lo, exec_lo, s25
	s_add_nc_u64 s[0:1], s[0:1], s[16:17]
	s_cbranch_vccz .LBB1267_233
; %bb.178:
	v_mul_u32_u24_e32 v2, 14, v0
	v_dual_mov_b32 v3, 0 :: v_dual_mov_b32 v4, 0
	v_dual_mov_b32 v5, 0 :: v_dual_mov_b32 v6, 0
	;; [unrolled: 1-line block ×3, first 2 shown]
	s_add_co_i32 s31, s31, s30
	s_mov_b32 s2, exec_lo
	v_cmpx_gt_u32_e64 s31, v2
	s_cbranch_execz .LBB1267_206
; %bb.179:
	v_dual_mov_b32 v3, 0 :: v_dual_bitop2_b32 v6, 1, v2 bitop3:0x54
	v_and_b32_e32 v1, 0xffff, v29
	v_dual_mov_b32 v4, 0 :: v_dual_mov_b32 v5, 0
	s_delay_alu instid0(VALU_DEP_3)
	v_cmp_gt_u32_e32 vcc_lo, s31, v6
	v_dual_mov_b32 v6, 0 :: v_dual_mov_b32 v7, 0
	v_mov_b32_e32 v8, 0
	s_and_saveexec_b32 s3, vcc_lo
	s_cbranch_execz .LBB1267_205
; %bb.180:
	v_perm_b32 v1, v14, v1, 0x5040100
	v_dual_mov_b32 v8, 0 :: v_dual_mov_b32 v7, 0
	v_dual_mov_b32 v6, 0 :: v_dual_add_nc_u32 v9, 2, v2
	v_dual_mov_b32 v5, 0 :: v_dual_mov_b32 v4, 0
	v_mov_b32_e32 v3, 0
	s_mov_b32 s4, exec_lo
	s_delay_alu instid0(VALU_DEP_3)
	v_cmpx_gt_u32_e64 s31, v9
	s_cbranch_execz .LBB1267_204
; %bb.181:
	v_bfi_b32 v3, 0xffff, v15, 0
	v_dual_mov_b32 v8, 0 :: v_dual_add_nc_u32 v9, 3, v2
	v_dual_mov_b32 v7, 0 :: v_dual_mov_b32 v6, 0
	v_dual_mov_b32 v5, 0 :: v_dual_mov_b32 v4, 0
	s_mov_b32 s5, exec_lo
	s_delay_alu instid0(VALU_DEP_3)
	v_cmpx_gt_u32_e64 s31, v9
	s_cbranch_execz .LBB1267_203
; %bb.182:
	v_perm_b32 v3, v16, v3, 0x5040100
	v_dual_mov_b32 v8, 0 :: v_dual_add_nc_u32 v9, 4, v2
	v_dual_mov_b32 v7, 0 :: v_dual_mov_b32 v6, 0
	v_dual_mov_b32 v5, 0 :: v_dual_mov_b32 v4, 0
	s_mov_b32 s6, exec_lo
	s_delay_alu instid0(VALU_DEP_3)
	v_cmpx_gt_u32_e64 s31, v9
	s_cbranch_execz .LBB1267_202
; %bb.183:
	v_bfi_b32 v4, 0xffff, v17, 0
	v_dual_mov_b32 v8, 0 :: v_dual_add_nc_u32 v9, 5, v2
	v_dual_mov_b32 v7, 0 :: v_dual_mov_b32 v6, 0
	v_mov_b32_e32 v5, 0
	s_mov_b32 s7, exec_lo
	s_delay_alu instid0(VALU_DEP_3)
	v_cmpx_gt_u32_e64 s31, v9
	s_cbranch_execz .LBB1267_201
; %bb.184:
	v_perm_b32 v4, v18, v4, 0x5040100
	v_dual_mov_b32 v8, 0 :: v_dual_add_nc_u32 v9, 6, v2
	v_dual_mov_b32 v7, 0 :: v_dual_mov_b32 v6, 0
	v_mov_b32_e32 v5, 0
	s_mov_b32 s8, exec_lo
	s_delay_alu instid0(VALU_DEP_3)
	v_cmpx_gt_u32_e64 s31, v9
	s_cbranch_execz .LBB1267_200
; %bb.185:
	v_dual_mov_b32 v8, 0 :: v_dual_add_nc_u32 v9, 7, v2
	v_bfi_b32 v5, 0xffff, v19, 0
	v_dual_mov_b32 v7, 0 :: v_dual_mov_b32 v6, 0
	s_mov_b32 s9, exec_lo
	s_delay_alu instid0(VALU_DEP_3)
	v_cmpx_gt_u32_e64 s31, v9
	s_cbranch_execz .LBB1267_199
; %bb.186:
	v_dual_mov_b32 v8, 0 :: v_dual_add_nc_u32 v9, 8, v2
	v_perm_b32 v5, v20, v5, 0x5040100
	v_dual_mov_b32 v7, 0 :: v_dual_mov_b32 v6, 0
	s_mov_b32 s10, exec_lo
	s_delay_alu instid0(VALU_DEP_3)
	v_cmpx_gt_u32_e64 s31, v9
	s_cbranch_execz .LBB1267_198
; %bb.187:
	v_dual_mov_b32 v8, 0 :: v_dual_add_nc_u32 v9, 9, v2
	v_bfi_b32 v6, 0xffff, v21, 0
	v_mov_b32_e32 v7, 0
	s_mov_b32 s11, exec_lo
	s_delay_alu instid0(VALU_DEP_3)
	v_cmpx_gt_u32_e64 s31, v9
	s_cbranch_execz .LBB1267_197
; %bb.188:
	v_dual_mov_b32 v8, 0 :: v_dual_add_nc_u32 v9, 10, v2
	v_perm_b32 v6, v23, v6, 0x5040100
	v_mov_b32_e32 v7, 0
	s_mov_b32 s12, exec_lo
	s_delay_alu instid0(VALU_DEP_3)
	v_cmpx_gt_u32_e64 s31, v9
	s_cbranch_execz .LBB1267_196
; %bb.189:
	v_dual_mov_b32 v8, 0 :: v_dual_add_nc_u32 v9, 11, v2
	v_bfi_b32 v7, 0xffff, v24, 0
	s_mov_b32 s13, exec_lo
	s_delay_alu instid0(VALU_DEP_2)
	v_cmpx_gt_u32_e64 s31, v9
	s_cbranch_execz .LBB1267_195
; %bb.190:
	v_dual_mov_b32 v8, 0 :: v_dual_add_nc_u32 v9, 12, v2
	v_perm_b32 v7, v25, v7, 0x5040100
	s_mov_b32 s14, exec_lo
	s_delay_alu instid0(VALU_DEP_2)
	v_cmpx_gt_u32_e64 s31, v9
	s_cbranch_execz .LBB1267_194
; %bb.191:
	v_add_nc_u32_e32 v9, 13, v2
	v_bfi_b32 v8, 0xffff, v26, 0
	s_mov_b32 s15, exec_lo
	s_delay_alu instid0(VALU_DEP_2)
	v_cmpx_gt_u32_e64 s31, v9
; %bb.192:
	s_delay_alu instid0(VALU_DEP_2)
	v_perm_b32 v8, v27, v8, 0x5040100
; %bb.193:
	s_or_b32 exec_lo, exec_lo, s15
.LBB1267_194:
	s_delay_alu instid0(SALU_CYCLE_1)
	s_or_b32 exec_lo, exec_lo, s14
.LBB1267_195:
	s_delay_alu instid0(SALU_CYCLE_1)
	s_or_b32 exec_lo, exec_lo, s13
.LBB1267_196:
	s_delay_alu instid0(SALU_CYCLE_1)
	s_or_b32 exec_lo, exec_lo, s12
.LBB1267_197:
	s_delay_alu instid0(SALU_CYCLE_1)
	s_or_b32 exec_lo, exec_lo, s11
.LBB1267_198:
	s_delay_alu instid0(SALU_CYCLE_1)
	s_or_b32 exec_lo, exec_lo, s10
.LBB1267_199:
	s_delay_alu instid0(SALU_CYCLE_1)
	s_or_b32 exec_lo, exec_lo, s9
.LBB1267_200:
	s_delay_alu instid0(SALU_CYCLE_1)
	s_or_b32 exec_lo, exec_lo, s8
.LBB1267_201:
	s_delay_alu instid0(SALU_CYCLE_1)
	s_or_b32 exec_lo, exec_lo, s7
.LBB1267_202:
	s_delay_alu instid0(SALU_CYCLE_1)
	s_or_b32 exec_lo, exec_lo, s6
.LBB1267_203:
	s_delay_alu instid0(SALU_CYCLE_1)
	s_or_b32 exec_lo, exec_lo, s5
.LBB1267_204:
	s_delay_alu instid0(SALU_CYCLE_1)
	s_or_b32 exec_lo, exec_lo, s4
.LBB1267_205:
	s_delay_alu instid0(SALU_CYCLE_1)
	s_or_b32 exec_lo, exec_lo, s3
.LBB1267_206:
	s_delay_alu instid0(SALU_CYCLE_1)
	s_or_b32 exec_lo, exec_lo, s2
	v_lshlrev_b32_e32 v28, 1, v2
	s_wait_storecnt 0x0
	s_barrier_signal -1
	s_barrier_wait -1
	ds_store_2addr_b32 v28, v1, v3 offset1:1
	ds_store_2addr_b32 v28, v4, v5 offset0:2 offset1:3
	ds_store_2addr_b32 v28, v6, v7 offset0:4 offset1:5
	ds_store_b32 v28, v8 offset:24
	v_mov_b32_e32 v3, 0
	v_mad_i32_i24 v1, 0xffffffe6, v0, v28
	s_wait_dscnt 0x0
	s_barrier_signal -1
	s_barrier_wait -1
	ds_load_u16 v30, v1 offset:512
	ds_load_u16 v22, v1 offset:1024
	;; [unrolled: 1-line block ×13, first 2 shown]
	v_lshlrev_b32_e32 v2, 1, v0
	s_mov_b32 s2, exec_lo
	s_delay_alu instid0(VALU_DEP_1)
	v_add_nc_u64_e32 v[2:3], s[0:1], v[2:3]
	v_cmpx_gt_u32_e64 s31, v0
	s_cbranch_execz .LBB1267_208
; %bb.207:
	v_mul_i32_i24_e32 v31, 0xffffffe6, v0
	s_delay_alu instid0(VALU_DEP_1)
	v_add_nc_u32_e32 v28, v28, v31
	ds_load_u16 v28, v28
	s_wait_dscnt 0x0
	flat_store_b16 v[2:3], v28
.LBB1267_208:
	s_wait_xcnt 0x0
	s_or_b32 exec_lo, exec_lo, s2
	v_or_b32_e32 v28, 0x100, v0
	s_mov_b32 s2, exec_lo
	s_delay_alu instid0(VALU_DEP_1)
	v_cmpx_gt_u32_e64 s31, v28
	s_cbranch_execz .LBB1267_210
; %bb.209:
	s_wait_dscnt 0xc
	flat_store_b16 v[2:3], v30 offset:512
.LBB1267_210:
	s_wait_xcnt 0x0
	s_or_b32 exec_lo, exec_lo, s2
	v_or_b32_e32 v28, 0x200, v0
	s_mov_b32 s2, exec_lo
	s_delay_alu instid0(VALU_DEP_1)
	v_cmpx_gt_u32_e64 s31, v28
	s_cbranch_execz .LBB1267_212
; %bb.211:
	s_wait_dscnt 0xb
	flat_store_b16 v[2:3], v22 offset:1024
.LBB1267_212:
	s_wait_xcnt 0x0
	s_or_b32 exec_lo, exec_lo, s2
	s_wait_dscnt 0xb
	v_or_b32_e32 v22, 0x300, v0
	s_mov_b32 s2, exec_lo
	s_delay_alu instid0(VALU_DEP_1)
	v_cmpx_gt_u32_e64 s31, v22
	s_cbranch_execz .LBB1267_214
; %bb.213:
	s_wait_dscnt 0xa
	flat_store_b16 v[2:3], v13 offset:1536
.LBB1267_214:
	s_wait_xcnt 0x0
	s_or_b32 exec_lo, exec_lo, s2
	s_wait_dscnt 0xa
	;; [unrolled: 12-line block ×10, first 2 shown]
	v_or_b32_e32 v5, 0xc00, v0
	s_mov_b32 s2, exec_lo
	s_delay_alu instid0(VALU_DEP_1)
	v_cmpx_gt_u32_e64 s31, v5
	s_cbranch_execz .LBB1267_232
; %bb.231:
	s_wait_dscnt 0x1
	flat_store_b16 v[2:3], v4 offset:6144
.LBB1267_232:
	s_wait_xcnt 0x0
	s_or_b32 exec_lo, exec_lo, s2
	v_or_b32_e32 v2, 0xd00, v0
	s_delay_alu instid0(VALU_DEP_1)
	v_cmp_gt_u32_e64 s2, s31, v2
	s_branch .LBB1267_235
.LBB1267_233:
	s_mov_b32 s2, 0
                                        ; implicit-def: $vgpr1
	s_cbranch_execz .LBB1267_235
; %bb.234:
	s_wait_dscnt 0x0
	v_mul_u32_u24_e32 v1, 28, v0
	v_perm_b32 v2, v16, v15, 0x5040100
	v_perm_b32 v3, v14, v29, 0x5040100
	v_mul_i32_i24_e32 v9, 0xffffffe6, v0
	v_perm_b32 v4, v20, v19, 0x5040100
	v_perm_b32 v5, v18, v17, 0x5040100
	;; [unrolled: 1-line block ×5, first 2 shown]
	s_wait_storecnt 0x0
	s_barrier_signal -1
	s_barrier_wait -1
	ds_store_2addr_b32 v1, v3, v2 offset1:1
	ds_store_2addr_b32 v1, v5, v4 offset0:2 offset1:3
	ds_store_2addr_b32 v1, v7, v6 offset0:4 offset1:5
	ds_store_b32 v1, v8 offset:24
	v_mad_u32_u24 v1, v0, 28, v9
	s_wait_dscnt 0x0
	s_barrier_signal -1
	s_barrier_wait -1
	ds_load_u16 v2, v1
	ds_load_u16 v3, v1 offset:512
	ds_load_u16 v4, v1 offset:1024
	;; [unrolled: 1-line block ×13, first 2 shown]
	s_or_b32 s2, s2, exec_lo
	s_wait_dscnt 0xd
	flat_store_b16 v0, v2, s[0:1] scale_offset
	s_wait_dscnt 0xd
	flat_store_b16 v0, v3, s[0:1] offset:512 scale_offset
	s_wait_dscnt 0xd
	flat_store_b16 v0, v4, s[0:1] offset:1024 scale_offset
	;; [unrolled: 2-line block ×12, first 2 shown]
.LBB1267_235:
	s_wait_xcnt 0x0
	s_delay_alu instid0(VALU_DEP_1)
	s_and_saveexec_b32 s3, s2
	s_cbranch_execnz .LBB1267_237
; %bb.236:
	s_endpgm
.LBB1267_237:
	s_wait_dscnt 0x0
	flat_store_b16 v0, v1, s[0:1] offset:6656 scale_offset
	s_endpgm
	.section	.rodata,"a",@progbits
	.p2align	6, 0x0
	.amdhsa_kernel _ZN7rocprim17ROCPRIM_400000_NS6detail17trampoline_kernelINS0_14default_configENS1_27scan_by_key_config_selectorIitEEZZNS1_16scan_by_key_implILNS1_25lookback_scan_determinismE0ELb0ES3_N6thrust23THRUST_200600_302600_NS6detail15normal_iteratorINS9_10device_ptrIiEEEENSB_INSC_ItEEEESG_tNS9_4plusIvEENS9_8equal_toIvEEtEE10hipError_tPvRmT2_T3_T4_T5_mT6_T7_P12ihipStream_tbENKUlT_T0_E_clISt17integral_constantIbLb0EES11_EEDaSW_SX_EUlSW_E_NS1_11comp_targetILNS1_3genE0ELNS1_11target_archE4294967295ELNS1_3gpuE0ELNS1_3repE0EEENS1_30default_config_static_selectorELNS0_4arch9wavefront6targetE0EEEvT1_
		.amdhsa_group_segment_fixed_size 16384
		.amdhsa_private_segment_fixed_size 0
		.amdhsa_kernarg_size 112
		.amdhsa_user_sgpr_count 2
		.amdhsa_user_sgpr_dispatch_ptr 0
		.amdhsa_user_sgpr_queue_ptr 0
		.amdhsa_user_sgpr_kernarg_segment_ptr 1
		.amdhsa_user_sgpr_dispatch_id 0
		.amdhsa_user_sgpr_kernarg_preload_length 0
		.amdhsa_user_sgpr_kernarg_preload_offset 0
		.amdhsa_user_sgpr_private_segment_size 0
		.amdhsa_wavefront_size32 1
		.amdhsa_uses_dynamic_stack 0
		.amdhsa_enable_private_segment 0
		.amdhsa_system_sgpr_workgroup_id_x 1
		.amdhsa_system_sgpr_workgroup_id_y 0
		.amdhsa_system_sgpr_workgroup_id_z 0
		.amdhsa_system_sgpr_workgroup_info 0
		.amdhsa_system_vgpr_workitem_id 0
		.amdhsa_next_free_vgpr 45
		.amdhsa_next_free_sgpr 44
		.amdhsa_named_barrier_count 0
		.amdhsa_reserve_vcc 1
		.amdhsa_float_round_mode_32 0
		.amdhsa_float_round_mode_16_64 0
		.amdhsa_float_denorm_mode_32 3
		.amdhsa_float_denorm_mode_16_64 3
		.amdhsa_fp16_overflow 0
		.amdhsa_memory_ordered 1
		.amdhsa_forward_progress 1
		.amdhsa_inst_pref_size 117
		.amdhsa_round_robin_scheduling 0
		.amdhsa_exception_fp_ieee_invalid_op 0
		.amdhsa_exception_fp_denorm_src 0
		.amdhsa_exception_fp_ieee_div_zero 0
		.amdhsa_exception_fp_ieee_overflow 0
		.amdhsa_exception_fp_ieee_underflow 0
		.amdhsa_exception_fp_ieee_inexact 0
		.amdhsa_exception_int_div_zero 0
	.end_amdhsa_kernel
	.section	.text._ZN7rocprim17ROCPRIM_400000_NS6detail17trampoline_kernelINS0_14default_configENS1_27scan_by_key_config_selectorIitEEZZNS1_16scan_by_key_implILNS1_25lookback_scan_determinismE0ELb0ES3_N6thrust23THRUST_200600_302600_NS6detail15normal_iteratorINS9_10device_ptrIiEEEENSB_INSC_ItEEEESG_tNS9_4plusIvEENS9_8equal_toIvEEtEE10hipError_tPvRmT2_T3_T4_T5_mT6_T7_P12ihipStream_tbENKUlT_T0_E_clISt17integral_constantIbLb0EES11_EEDaSW_SX_EUlSW_E_NS1_11comp_targetILNS1_3genE0ELNS1_11target_archE4294967295ELNS1_3gpuE0ELNS1_3repE0EEENS1_30default_config_static_selectorELNS0_4arch9wavefront6targetE0EEEvT1_,"axG",@progbits,_ZN7rocprim17ROCPRIM_400000_NS6detail17trampoline_kernelINS0_14default_configENS1_27scan_by_key_config_selectorIitEEZZNS1_16scan_by_key_implILNS1_25lookback_scan_determinismE0ELb0ES3_N6thrust23THRUST_200600_302600_NS6detail15normal_iteratorINS9_10device_ptrIiEEEENSB_INSC_ItEEEESG_tNS9_4plusIvEENS9_8equal_toIvEEtEE10hipError_tPvRmT2_T3_T4_T5_mT6_T7_P12ihipStream_tbENKUlT_T0_E_clISt17integral_constantIbLb0EES11_EEDaSW_SX_EUlSW_E_NS1_11comp_targetILNS1_3genE0ELNS1_11target_archE4294967295ELNS1_3gpuE0ELNS1_3repE0EEENS1_30default_config_static_selectorELNS0_4arch9wavefront6targetE0EEEvT1_,comdat
.Lfunc_end1267:
	.size	_ZN7rocprim17ROCPRIM_400000_NS6detail17trampoline_kernelINS0_14default_configENS1_27scan_by_key_config_selectorIitEEZZNS1_16scan_by_key_implILNS1_25lookback_scan_determinismE0ELb0ES3_N6thrust23THRUST_200600_302600_NS6detail15normal_iteratorINS9_10device_ptrIiEEEENSB_INSC_ItEEEESG_tNS9_4plusIvEENS9_8equal_toIvEEtEE10hipError_tPvRmT2_T3_T4_T5_mT6_T7_P12ihipStream_tbENKUlT_T0_E_clISt17integral_constantIbLb0EES11_EEDaSW_SX_EUlSW_E_NS1_11comp_targetILNS1_3genE0ELNS1_11target_archE4294967295ELNS1_3gpuE0ELNS1_3repE0EEENS1_30default_config_static_selectorELNS0_4arch9wavefront6targetE0EEEvT1_, .Lfunc_end1267-_ZN7rocprim17ROCPRIM_400000_NS6detail17trampoline_kernelINS0_14default_configENS1_27scan_by_key_config_selectorIitEEZZNS1_16scan_by_key_implILNS1_25lookback_scan_determinismE0ELb0ES3_N6thrust23THRUST_200600_302600_NS6detail15normal_iteratorINS9_10device_ptrIiEEEENSB_INSC_ItEEEESG_tNS9_4plusIvEENS9_8equal_toIvEEtEE10hipError_tPvRmT2_T3_T4_T5_mT6_T7_P12ihipStream_tbENKUlT_T0_E_clISt17integral_constantIbLb0EES11_EEDaSW_SX_EUlSW_E_NS1_11comp_targetILNS1_3genE0ELNS1_11target_archE4294967295ELNS1_3gpuE0ELNS1_3repE0EEENS1_30default_config_static_selectorELNS0_4arch9wavefront6targetE0EEEvT1_
                                        ; -- End function
	.set _ZN7rocprim17ROCPRIM_400000_NS6detail17trampoline_kernelINS0_14default_configENS1_27scan_by_key_config_selectorIitEEZZNS1_16scan_by_key_implILNS1_25lookback_scan_determinismE0ELb0ES3_N6thrust23THRUST_200600_302600_NS6detail15normal_iteratorINS9_10device_ptrIiEEEENSB_INSC_ItEEEESG_tNS9_4plusIvEENS9_8equal_toIvEEtEE10hipError_tPvRmT2_T3_T4_T5_mT6_T7_P12ihipStream_tbENKUlT_T0_E_clISt17integral_constantIbLb0EES11_EEDaSW_SX_EUlSW_E_NS1_11comp_targetILNS1_3genE0ELNS1_11target_archE4294967295ELNS1_3gpuE0ELNS1_3repE0EEENS1_30default_config_static_selectorELNS0_4arch9wavefront6targetE0EEEvT1_.num_vgpr, 45
	.set _ZN7rocprim17ROCPRIM_400000_NS6detail17trampoline_kernelINS0_14default_configENS1_27scan_by_key_config_selectorIitEEZZNS1_16scan_by_key_implILNS1_25lookback_scan_determinismE0ELb0ES3_N6thrust23THRUST_200600_302600_NS6detail15normal_iteratorINS9_10device_ptrIiEEEENSB_INSC_ItEEEESG_tNS9_4plusIvEENS9_8equal_toIvEEtEE10hipError_tPvRmT2_T3_T4_T5_mT6_T7_P12ihipStream_tbENKUlT_T0_E_clISt17integral_constantIbLb0EES11_EEDaSW_SX_EUlSW_E_NS1_11comp_targetILNS1_3genE0ELNS1_11target_archE4294967295ELNS1_3gpuE0ELNS1_3repE0EEENS1_30default_config_static_selectorELNS0_4arch9wavefront6targetE0EEEvT1_.num_agpr, 0
	.set _ZN7rocprim17ROCPRIM_400000_NS6detail17trampoline_kernelINS0_14default_configENS1_27scan_by_key_config_selectorIitEEZZNS1_16scan_by_key_implILNS1_25lookback_scan_determinismE0ELb0ES3_N6thrust23THRUST_200600_302600_NS6detail15normal_iteratorINS9_10device_ptrIiEEEENSB_INSC_ItEEEESG_tNS9_4plusIvEENS9_8equal_toIvEEtEE10hipError_tPvRmT2_T3_T4_T5_mT6_T7_P12ihipStream_tbENKUlT_T0_E_clISt17integral_constantIbLb0EES11_EEDaSW_SX_EUlSW_E_NS1_11comp_targetILNS1_3genE0ELNS1_11target_archE4294967295ELNS1_3gpuE0ELNS1_3repE0EEENS1_30default_config_static_selectorELNS0_4arch9wavefront6targetE0EEEvT1_.numbered_sgpr, 44
	.set _ZN7rocprim17ROCPRIM_400000_NS6detail17trampoline_kernelINS0_14default_configENS1_27scan_by_key_config_selectorIitEEZZNS1_16scan_by_key_implILNS1_25lookback_scan_determinismE0ELb0ES3_N6thrust23THRUST_200600_302600_NS6detail15normal_iteratorINS9_10device_ptrIiEEEENSB_INSC_ItEEEESG_tNS9_4plusIvEENS9_8equal_toIvEEtEE10hipError_tPvRmT2_T3_T4_T5_mT6_T7_P12ihipStream_tbENKUlT_T0_E_clISt17integral_constantIbLb0EES11_EEDaSW_SX_EUlSW_E_NS1_11comp_targetILNS1_3genE0ELNS1_11target_archE4294967295ELNS1_3gpuE0ELNS1_3repE0EEENS1_30default_config_static_selectorELNS0_4arch9wavefront6targetE0EEEvT1_.num_named_barrier, 0
	.set _ZN7rocprim17ROCPRIM_400000_NS6detail17trampoline_kernelINS0_14default_configENS1_27scan_by_key_config_selectorIitEEZZNS1_16scan_by_key_implILNS1_25lookback_scan_determinismE0ELb0ES3_N6thrust23THRUST_200600_302600_NS6detail15normal_iteratorINS9_10device_ptrIiEEEENSB_INSC_ItEEEESG_tNS9_4plusIvEENS9_8equal_toIvEEtEE10hipError_tPvRmT2_T3_T4_T5_mT6_T7_P12ihipStream_tbENKUlT_T0_E_clISt17integral_constantIbLb0EES11_EEDaSW_SX_EUlSW_E_NS1_11comp_targetILNS1_3genE0ELNS1_11target_archE4294967295ELNS1_3gpuE0ELNS1_3repE0EEENS1_30default_config_static_selectorELNS0_4arch9wavefront6targetE0EEEvT1_.private_seg_size, 0
	.set _ZN7rocprim17ROCPRIM_400000_NS6detail17trampoline_kernelINS0_14default_configENS1_27scan_by_key_config_selectorIitEEZZNS1_16scan_by_key_implILNS1_25lookback_scan_determinismE0ELb0ES3_N6thrust23THRUST_200600_302600_NS6detail15normal_iteratorINS9_10device_ptrIiEEEENSB_INSC_ItEEEESG_tNS9_4plusIvEENS9_8equal_toIvEEtEE10hipError_tPvRmT2_T3_T4_T5_mT6_T7_P12ihipStream_tbENKUlT_T0_E_clISt17integral_constantIbLb0EES11_EEDaSW_SX_EUlSW_E_NS1_11comp_targetILNS1_3genE0ELNS1_11target_archE4294967295ELNS1_3gpuE0ELNS1_3repE0EEENS1_30default_config_static_selectorELNS0_4arch9wavefront6targetE0EEEvT1_.uses_vcc, 1
	.set _ZN7rocprim17ROCPRIM_400000_NS6detail17trampoline_kernelINS0_14default_configENS1_27scan_by_key_config_selectorIitEEZZNS1_16scan_by_key_implILNS1_25lookback_scan_determinismE0ELb0ES3_N6thrust23THRUST_200600_302600_NS6detail15normal_iteratorINS9_10device_ptrIiEEEENSB_INSC_ItEEEESG_tNS9_4plusIvEENS9_8equal_toIvEEtEE10hipError_tPvRmT2_T3_T4_T5_mT6_T7_P12ihipStream_tbENKUlT_T0_E_clISt17integral_constantIbLb0EES11_EEDaSW_SX_EUlSW_E_NS1_11comp_targetILNS1_3genE0ELNS1_11target_archE4294967295ELNS1_3gpuE0ELNS1_3repE0EEENS1_30default_config_static_selectorELNS0_4arch9wavefront6targetE0EEEvT1_.uses_flat_scratch, 1
	.set _ZN7rocprim17ROCPRIM_400000_NS6detail17trampoline_kernelINS0_14default_configENS1_27scan_by_key_config_selectorIitEEZZNS1_16scan_by_key_implILNS1_25lookback_scan_determinismE0ELb0ES3_N6thrust23THRUST_200600_302600_NS6detail15normal_iteratorINS9_10device_ptrIiEEEENSB_INSC_ItEEEESG_tNS9_4plusIvEENS9_8equal_toIvEEtEE10hipError_tPvRmT2_T3_T4_T5_mT6_T7_P12ihipStream_tbENKUlT_T0_E_clISt17integral_constantIbLb0EES11_EEDaSW_SX_EUlSW_E_NS1_11comp_targetILNS1_3genE0ELNS1_11target_archE4294967295ELNS1_3gpuE0ELNS1_3repE0EEENS1_30default_config_static_selectorELNS0_4arch9wavefront6targetE0EEEvT1_.has_dyn_sized_stack, 0
	.set _ZN7rocprim17ROCPRIM_400000_NS6detail17trampoline_kernelINS0_14default_configENS1_27scan_by_key_config_selectorIitEEZZNS1_16scan_by_key_implILNS1_25lookback_scan_determinismE0ELb0ES3_N6thrust23THRUST_200600_302600_NS6detail15normal_iteratorINS9_10device_ptrIiEEEENSB_INSC_ItEEEESG_tNS9_4plusIvEENS9_8equal_toIvEEtEE10hipError_tPvRmT2_T3_T4_T5_mT6_T7_P12ihipStream_tbENKUlT_T0_E_clISt17integral_constantIbLb0EES11_EEDaSW_SX_EUlSW_E_NS1_11comp_targetILNS1_3genE0ELNS1_11target_archE4294967295ELNS1_3gpuE0ELNS1_3repE0EEENS1_30default_config_static_selectorELNS0_4arch9wavefront6targetE0EEEvT1_.has_recursion, 0
	.set _ZN7rocprim17ROCPRIM_400000_NS6detail17trampoline_kernelINS0_14default_configENS1_27scan_by_key_config_selectorIitEEZZNS1_16scan_by_key_implILNS1_25lookback_scan_determinismE0ELb0ES3_N6thrust23THRUST_200600_302600_NS6detail15normal_iteratorINS9_10device_ptrIiEEEENSB_INSC_ItEEEESG_tNS9_4plusIvEENS9_8equal_toIvEEtEE10hipError_tPvRmT2_T3_T4_T5_mT6_T7_P12ihipStream_tbENKUlT_T0_E_clISt17integral_constantIbLb0EES11_EEDaSW_SX_EUlSW_E_NS1_11comp_targetILNS1_3genE0ELNS1_11target_archE4294967295ELNS1_3gpuE0ELNS1_3repE0EEENS1_30default_config_static_selectorELNS0_4arch9wavefront6targetE0EEEvT1_.has_indirect_call, 0
	.section	.AMDGPU.csdata,"",@progbits
; Kernel info:
; codeLenInByte = 14860
; TotalNumSgprs: 46
; NumVgprs: 45
; ScratchSize: 0
; MemoryBound: 0
; FloatMode: 240
; IeeeMode: 1
; LDSByteSize: 16384 bytes/workgroup (compile time only)
; SGPRBlocks: 0
; VGPRBlocks: 2
; NumSGPRsForWavesPerEU: 46
; NumVGPRsForWavesPerEU: 45
; NamedBarCnt: 0
; Occupancy: 16
; WaveLimiterHint : 1
; COMPUTE_PGM_RSRC2:SCRATCH_EN: 0
; COMPUTE_PGM_RSRC2:USER_SGPR: 2
; COMPUTE_PGM_RSRC2:TRAP_HANDLER: 0
; COMPUTE_PGM_RSRC2:TGID_X_EN: 1
; COMPUTE_PGM_RSRC2:TGID_Y_EN: 0
; COMPUTE_PGM_RSRC2:TGID_Z_EN: 0
; COMPUTE_PGM_RSRC2:TIDIG_COMP_CNT: 0
	.section	.text._ZN7rocprim17ROCPRIM_400000_NS6detail17trampoline_kernelINS0_14default_configENS1_27scan_by_key_config_selectorIitEEZZNS1_16scan_by_key_implILNS1_25lookback_scan_determinismE0ELb0ES3_N6thrust23THRUST_200600_302600_NS6detail15normal_iteratorINS9_10device_ptrIiEEEENSB_INSC_ItEEEESG_tNS9_4plusIvEENS9_8equal_toIvEEtEE10hipError_tPvRmT2_T3_T4_T5_mT6_T7_P12ihipStream_tbENKUlT_T0_E_clISt17integral_constantIbLb0EES11_EEDaSW_SX_EUlSW_E_NS1_11comp_targetILNS1_3genE10ELNS1_11target_archE1201ELNS1_3gpuE5ELNS1_3repE0EEENS1_30default_config_static_selectorELNS0_4arch9wavefront6targetE0EEEvT1_,"axG",@progbits,_ZN7rocprim17ROCPRIM_400000_NS6detail17trampoline_kernelINS0_14default_configENS1_27scan_by_key_config_selectorIitEEZZNS1_16scan_by_key_implILNS1_25lookback_scan_determinismE0ELb0ES3_N6thrust23THRUST_200600_302600_NS6detail15normal_iteratorINS9_10device_ptrIiEEEENSB_INSC_ItEEEESG_tNS9_4plusIvEENS9_8equal_toIvEEtEE10hipError_tPvRmT2_T3_T4_T5_mT6_T7_P12ihipStream_tbENKUlT_T0_E_clISt17integral_constantIbLb0EES11_EEDaSW_SX_EUlSW_E_NS1_11comp_targetILNS1_3genE10ELNS1_11target_archE1201ELNS1_3gpuE5ELNS1_3repE0EEENS1_30default_config_static_selectorELNS0_4arch9wavefront6targetE0EEEvT1_,comdat
	.protected	_ZN7rocprim17ROCPRIM_400000_NS6detail17trampoline_kernelINS0_14default_configENS1_27scan_by_key_config_selectorIitEEZZNS1_16scan_by_key_implILNS1_25lookback_scan_determinismE0ELb0ES3_N6thrust23THRUST_200600_302600_NS6detail15normal_iteratorINS9_10device_ptrIiEEEENSB_INSC_ItEEEESG_tNS9_4plusIvEENS9_8equal_toIvEEtEE10hipError_tPvRmT2_T3_T4_T5_mT6_T7_P12ihipStream_tbENKUlT_T0_E_clISt17integral_constantIbLb0EES11_EEDaSW_SX_EUlSW_E_NS1_11comp_targetILNS1_3genE10ELNS1_11target_archE1201ELNS1_3gpuE5ELNS1_3repE0EEENS1_30default_config_static_selectorELNS0_4arch9wavefront6targetE0EEEvT1_ ; -- Begin function _ZN7rocprim17ROCPRIM_400000_NS6detail17trampoline_kernelINS0_14default_configENS1_27scan_by_key_config_selectorIitEEZZNS1_16scan_by_key_implILNS1_25lookback_scan_determinismE0ELb0ES3_N6thrust23THRUST_200600_302600_NS6detail15normal_iteratorINS9_10device_ptrIiEEEENSB_INSC_ItEEEESG_tNS9_4plusIvEENS9_8equal_toIvEEtEE10hipError_tPvRmT2_T3_T4_T5_mT6_T7_P12ihipStream_tbENKUlT_T0_E_clISt17integral_constantIbLb0EES11_EEDaSW_SX_EUlSW_E_NS1_11comp_targetILNS1_3genE10ELNS1_11target_archE1201ELNS1_3gpuE5ELNS1_3repE0EEENS1_30default_config_static_selectorELNS0_4arch9wavefront6targetE0EEEvT1_
	.globl	_ZN7rocprim17ROCPRIM_400000_NS6detail17trampoline_kernelINS0_14default_configENS1_27scan_by_key_config_selectorIitEEZZNS1_16scan_by_key_implILNS1_25lookback_scan_determinismE0ELb0ES3_N6thrust23THRUST_200600_302600_NS6detail15normal_iteratorINS9_10device_ptrIiEEEENSB_INSC_ItEEEESG_tNS9_4plusIvEENS9_8equal_toIvEEtEE10hipError_tPvRmT2_T3_T4_T5_mT6_T7_P12ihipStream_tbENKUlT_T0_E_clISt17integral_constantIbLb0EES11_EEDaSW_SX_EUlSW_E_NS1_11comp_targetILNS1_3genE10ELNS1_11target_archE1201ELNS1_3gpuE5ELNS1_3repE0EEENS1_30default_config_static_selectorELNS0_4arch9wavefront6targetE0EEEvT1_
	.p2align	8
	.type	_ZN7rocprim17ROCPRIM_400000_NS6detail17trampoline_kernelINS0_14default_configENS1_27scan_by_key_config_selectorIitEEZZNS1_16scan_by_key_implILNS1_25lookback_scan_determinismE0ELb0ES3_N6thrust23THRUST_200600_302600_NS6detail15normal_iteratorINS9_10device_ptrIiEEEENSB_INSC_ItEEEESG_tNS9_4plusIvEENS9_8equal_toIvEEtEE10hipError_tPvRmT2_T3_T4_T5_mT6_T7_P12ihipStream_tbENKUlT_T0_E_clISt17integral_constantIbLb0EES11_EEDaSW_SX_EUlSW_E_NS1_11comp_targetILNS1_3genE10ELNS1_11target_archE1201ELNS1_3gpuE5ELNS1_3repE0EEENS1_30default_config_static_selectorELNS0_4arch9wavefront6targetE0EEEvT1_,@function
_ZN7rocprim17ROCPRIM_400000_NS6detail17trampoline_kernelINS0_14default_configENS1_27scan_by_key_config_selectorIitEEZZNS1_16scan_by_key_implILNS1_25lookback_scan_determinismE0ELb0ES3_N6thrust23THRUST_200600_302600_NS6detail15normal_iteratorINS9_10device_ptrIiEEEENSB_INSC_ItEEEESG_tNS9_4plusIvEENS9_8equal_toIvEEtEE10hipError_tPvRmT2_T3_T4_T5_mT6_T7_P12ihipStream_tbENKUlT_T0_E_clISt17integral_constantIbLb0EES11_EEDaSW_SX_EUlSW_E_NS1_11comp_targetILNS1_3genE10ELNS1_11target_archE1201ELNS1_3gpuE5ELNS1_3repE0EEENS1_30default_config_static_selectorELNS0_4arch9wavefront6targetE0EEEvT1_: ; @_ZN7rocprim17ROCPRIM_400000_NS6detail17trampoline_kernelINS0_14default_configENS1_27scan_by_key_config_selectorIitEEZZNS1_16scan_by_key_implILNS1_25lookback_scan_determinismE0ELb0ES3_N6thrust23THRUST_200600_302600_NS6detail15normal_iteratorINS9_10device_ptrIiEEEENSB_INSC_ItEEEESG_tNS9_4plusIvEENS9_8equal_toIvEEtEE10hipError_tPvRmT2_T3_T4_T5_mT6_T7_P12ihipStream_tbENKUlT_T0_E_clISt17integral_constantIbLb0EES11_EEDaSW_SX_EUlSW_E_NS1_11comp_targetILNS1_3genE10ELNS1_11target_archE1201ELNS1_3gpuE5ELNS1_3repE0EEENS1_30default_config_static_selectorELNS0_4arch9wavefront6targetE0EEEvT1_
; %bb.0:
	.section	.rodata,"a",@progbits
	.p2align	6, 0x0
	.amdhsa_kernel _ZN7rocprim17ROCPRIM_400000_NS6detail17trampoline_kernelINS0_14default_configENS1_27scan_by_key_config_selectorIitEEZZNS1_16scan_by_key_implILNS1_25lookback_scan_determinismE0ELb0ES3_N6thrust23THRUST_200600_302600_NS6detail15normal_iteratorINS9_10device_ptrIiEEEENSB_INSC_ItEEEESG_tNS9_4plusIvEENS9_8equal_toIvEEtEE10hipError_tPvRmT2_T3_T4_T5_mT6_T7_P12ihipStream_tbENKUlT_T0_E_clISt17integral_constantIbLb0EES11_EEDaSW_SX_EUlSW_E_NS1_11comp_targetILNS1_3genE10ELNS1_11target_archE1201ELNS1_3gpuE5ELNS1_3repE0EEENS1_30default_config_static_selectorELNS0_4arch9wavefront6targetE0EEEvT1_
		.amdhsa_group_segment_fixed_size 0
		.amdhsa_private_segment_fixed_size 0
		.amdhsa_kernarg_size 112
		.amdhsa_user_sgpr_count 2
		.amdhsa_user_sgpr_dispatch_ptr 0
		.amdhsa_user_sgpr_queue_ptr 0
		.amdhsa_user_sgpr_kernarg_segment_ptr 1
		.amdhsa_user_sgpr_dispatch_id 0
		.amdhsa_user_sgpr_kernarg_preload_length 0
		.amdhsa_user_sgpr_kernarg_preload_offset 0
		.amdhsa_user_sgpr_private_segment_size 0
		.amdhsa_wavefront_size32 1
		.amdhsa_uses_dynamic_stack 0
		.amdhsa_enable_private_segment 0
		.amdhsa_system_sgpr_workgroup_id_x 1
		.amdhsa_system_sgpr_workgroup_id_y 0
		.amdhsa_system_sgpr_workgroup_id_z 0
		.amdhsa_system_sgpr_workgroup_info 0
		.amdhsa_system_vgpr_workitem_id 0
		.amdhsa_next_free_vgpr 1
		.amdhsa_next_free_sgpr 1
		.amdhsa_named_barrier_count 0
		.amdhsa_reserve_vcc 0
		.amdhsa_float_round_mode_32 0
		.amdhsa_float_round_mode_16_64 0
		.amdhsa_float_denorm_mode_32 3
		.amdhsa_float_denorm_mode_16_64 3
		.amdhsa_fp16_overflow 0
		.amdhsa_memory_ordered 1
		.amdhsa_forward_progress 1
		.amdhsa_inst_pref_size 0
		.amdhsa_round_robin_scheduling 0
		.amdhsa_exception_fp_ieee_invalid_op 0
		.amdhsa_exception_fp_denorm_src 0
		.amdhsa_exception_fp_ieee_div_zero 0
		.amdhsa_exception_fp_ieee_overflow 0
		.amdhsa_exception_fp_ieee_underflow 0
		.amdhsa_exception_fp_ieee_inexact 0
		.amdhsa_exception_int_div_zero 0
	.end_amdhsa_kernel
	.section	.text._ZN7rocprim17ROCPRIM_400000_NS6detail17trampoline_kernelINS0_14default_configENS1_27scan_by_key_config_selectorIitEEZZNS1_16scan_by_key_implILNS1_25lookback_scan_determinismE0ELb0ES3_N6thrust23THRUST_200600_302600_NS6detail15normal_iteratorINS9_10device_ptrIiEEEENSB_INSC_ItEEEESG_tNS9_4plusIvEENS9_8equal_toIvEEtEE10hipError_tPvRmT2_T3_T4_T5_mT6_T7_P12ihipStream_tbENKUlT_T0_E_clISt17integral_constantIbLb0EES11_EEDaSW_SX_EUlSW_E_NS1_11comp_targetILNS1_3genE10ELNS1_11target_archE1201ELNS1_3gpuE5ELNS1_3repE0EEENS1_30default_config_static_selectorELNS0_4arch9wavefront6targetE0EEEvT1_,"axG",@progbits,_ZN7rocprim17ROCPRIM_400000_NS6detail17trampoline_kernelINS0_14default_configENS1_27scan_by_key_config_selectorIitEEZZNS1_16scan_by_key_implILNS1_25lookback_scan_determinismE0ELb0ES3_N6thrust23THRUST_200600_302600_NS6detail15normal_iteratorINS9_10device_ptrIiEEEENSB_INSC_ItEEEESG_tNS9_4plusIvEENS9_8equal_toIvEEtEE10hipError_tPvRmT2_T3_T4_T5_mT6_T7_P12ihipStream_tbENKUlT_T0_E_clISt17integral_constantIbLb0EES11_EEDaSW_SX_EUlSW_E_NS1_11comp_targetILNS1_3genE10ELNS1_11target_archE1201ELNS1_3gpuE5ELNS1_3repE0EEENS1_30default_config_static_selectorELNS0_4arch9wavefront6targetE0EEEvT1_,comdat
.Lfunc_end1268:
	.size	_ZN7rocprim17ROCPRIM_400000_NS6detail17trampoline_kernelINS0_14default_configENS1_27scan_by_key_config_selectorIitEEZZNS1_16scan_by_key_implILNS1_25lookback_scan_determinismE0ELb0ES3_N6thrust23THRUST_200600_302600_NS6detail15normal_iteratorINS9_10device_ptrIiEEEENSB_INSC_ItEEEESG_tNS9_4plusIvEENS9_8equal_toIvEEtEE10hipError_tPvRmT2_T3_T4_T5_mT6_T7_P12ihipStream_tbENKUlT_T0_E_clISt17integral_constantIbLb0EES11_EEDaSW_SX_EUlSW_E_NS1_11comp_targetILNS1_3genE10ELNS1_11target_archE1201ELNS1_3gpuE5ELNS1_3repE0EEENS1_30default_config_static_selectorELNS0_4arch9wavefront6targetE0EEEvT1_, .Lfunc_end1268-_ZN7rocprim17ROCPRIM_400000_NS6detail17trampoline_kernelINS0_14default_configENS1_27scan_by_key_config_selectorIitEEZZNS1_16scan_by_key_implILNS1_25lookback_scan_determinismE0ELb0ES3_N6thrust23THRUST_200600_302600_NS6detail15normal_iteratorINS9_10device_ptrIiEEEENSB_INSC_ItEEEESG_tNS9_4plusIvEENS9_8equal_toIvEEtEE10hipError_tPvRmT2_T3_T4_T5_mT6_T7_P12ihipStream_tbENKUlT_T0_E_clISt17integral_constantIbLb0EES11_EEDaSW_SX_EUlSW_E_NS1_11comp_targetILNS1_3genE10ELNS1_11target_archE1201ELNS1_3gpuE5ELNS1_3repE0EEENS1_30default_config_static_selectorELNS0_4arch9wavefront6targetE0EEEvT1_
                                        ; -- End function
	.set _ZN7rocprim17ROCPRIM_400000_NS6detail17trampoline_kernelINS0_14default_configENS1_27scan_by_key_config_selectorIitEEZZNS1_16scan_by_key_implILNS1_25lookback_scan_determinismE0ELb0ES3_N6thrust23THRUST_200600_302600_NS6detail15normal_iteratorINS9_10device_ptrIiEEEENSB_INSC_ItEEEESG_tNS9_4plusIvEENS9_8equal_toIvEEtEE10hipError_tPvRmT2_T3_T4_T5_mT6_T7_P12ihipStream_tbENKUlT_T0_E_clISt17integral_constantIbLb0EES11_EEDaSW_SX_EUlSW_E_NS1_11comp_targetILNS1_3genE10ELNS1_11target_archE1201ELNS1_3gpuE5ELNS1_3repE0EEENS1_30default_config_static_selectorELNS0_4arch9wavefront6targetE0EEEvT1_.num_vgpr, 0
	.set _ZN7rocprim17ROCPRIM_400000_NS6detail17trampoline_kernelINS0_14default_configENS1_27scan_by_key_config_selectorIitEEZZNS1_16scan_by_key_implILNS1_25lookback_scan_determinismE0ELb0ES3_N6thrust23THRUST_200600_302600_NS6detail15normal_iteratorINS9_10device_ptrIiEEEENSB_INSC_ItEEEESG_tNS9_4plusIvEENS9_8equal_toIvEEtEE10hipError_tPvRmT2_T3_T4_T5_mT6_T7_P12ihipStream_tbENKUlT_T0_E_clISt17integral_constantIbLb0EES11_EEDaSW_SX_EUlSW_E_NS1_11comp_targetILNS1_3genE10ELNS1_11target_archE1201ELNS1_3gpuE5ELNS1_3repE0EEENS1_30default_config_static_selectorELNS0_4arch9wavefront6targetE0EEEvT1_.num_agpr, 0
	.set _ZN7rocprim17ROCPRIM_400000_NS6detail17trampoline_kernelINS0_14default_configENS1_27scan_by_key_config_selectorIitEEZZNS1_16scan_by_key_implILNS1_25lookback_scan_determinismE0ELb0ES3_N6thrust23THRUST_200600_302600_NS6detail15normal_iteratorINS9_10device_ptrIiEEEENSB_INSC_ItEEEESG_tNS9_4plusIvEENS9_8equal_toIvEEtEE10hipError_tPvRmT2_T3_T4_T5_mT6_T7_P12ihipStream_tbENKUlT_T0_E_clISt17integral_constantIbLb0EES11_EEDaSW_SX_EUlSW_E_NS1_11comp_targetILNS1_3genE10ELNS1_11target_archE1201ELNS1_3gpuE5ELNS1_3repE0EEENS1_30default_config_static_selectorELNS0_4arch9wavefront6targetE0EEEvT1_.numbered_sgpr, 0
	.set _ZN7rocprim17ROCPRIM_400000_NS6detail17trampoline_kernelINS0_14default_configENS1_27scan_by_key_config_selectorIitEEZZNS1_16scan_by_key_implILNS1_25lookback_scan_determinismE0ELb0ES3_N6thrust23THRUST_200600_302600_NS6detail15normal_iteratorINS9_10device_ptrIiEEEENSB_INSC_ItEEEESG_tNS9_4plusIvEENS9_8equal_toIvEEtEE10hipError_tPvRmT2_T3_T4_T5_mT6_T7_P12ihipStream_tbENKUlT_T0_E_clISt17integral_constantIbLb0EES11_EEDaSW_SX_EUlSW_E_NS1_11comp_targetILNS1_3genE10ELNS1_11target_archE1201ELNS1_3gpuE5ELNS1_3repE0EEENS1_30default_config_static_selectorELNS0_4arch9wavefront6targetE0EEEvT1_.num_named_barrier, 0
	.set _ZN7rocprim17ROCPRIM_400000_NS6detail17trampoline_kernelINS0_14default_configENS1_27scan_by_key_config_selectorIitEEZZNS1_16scan_by_key_implILNS1_25lookback_scan_determinismE0ELb0ES3_N6thrust23THRUST_200600_302600_NS6detail15normal_iteratorINS9_10device_ptrIiEEEENSB_INSC_ItEEEESG_tNS9_4plusIvEENS9_8equal_toIvEEtEE10hipError_tPvRmT2_T3_T4_T5_mT6_T7_P12ihipStream_tbENKUlT_T0_E_clISt17integral_constantIbLb0EES11_EEDaSW_SX_EUlSW_E_NS1_11comp_targetILNS1_3genE10ELNS1_11target_archE1201ELNS1_3gpuE5ELNS1_3repE0EEENS1_30default_config_static_selectorELNS0_4arch9wavefront6targetE0EEEvT1_.private_seg_size, 0
	.set _ZN7rocprim17ROCPRIM_400000_NS6detail17trampoline_kernelINS0_14default_configENS1_27scan_by_key_config_selectorIitEEZZNS1_16scan_by_key_implILNS1_25lookback_scan_determinismE0ELb0ES3_N6thrust23THRUST_200600_302600_NS6detail15normal_iteratorINS9_10device_ptrIiEEEENSB_INSC_ItEEEESG_tNS9_4plusIvEENS9_8equal_toIvEEtEE10hipError_tPvRmT2_T3_T4_T5_mT6_T7_P12ihipStream_tbENKUlT_T0_E_clISt17integral_constantIbLb0EES11_EEDaSW_SX_EUlSW_E_NS1_11comp_targetILNS1_3genE10ELNS1_11target_archE1201ELNS1_3gpuE5ELNS1_3repE0EEENS1_30default_config_static_selectorELNS0_4arch9wavefront6targetE0EEEvT1_.uses_vcc, 0
	.set _ZN7rocprim17ROCPRIM_400000_NS6detail17trampoline_kernelINS0_14default_configENS1_27scan_by_key_config_selectorIitEEZZNS1_16scan_by_key_implILNS1_25lookback_scan_determinismE0ELb0ES3_N6thrust23THRUST_200600_302600_NS6detail15normal_iteratorINS9_10device_ptrIiEEEENSB_INSC_ItEEEESG_tNS9_4plusIvEENS9_8equal_toIvEEtEE10hipError_tPvRmT2_T3_T4_T5_mT6_T7_P12ihipStream_tbENKUlT_T0_E_clISt17integral_constantIbLb0EES11_EEDaSW_SX_EUlSW_E_NS1_11comp_targetILNS1_3genE10ELNS1_11target_archE1201ELNS1_3gpuE5ELNS1_3repE0EEENS1_30default_config_static_selectorELNS0_4arch9wavefront6targetE0EEEvT1_.uses_flat_scratch, 0
	.set _ZN7rocprim17ROCPRIM_400000_NS6detail17trampoline_kernelINS0_14default_configENS1_27scan_by_key_config_selectorIitEEZZNS1_16scan_by_key_implILNS1_25lookback_scan_determinismE0ELb0ES3_N6thrust23THRUST_200600_302600_NS6detail15normal_iteratorINS9_10device_ptrIiEEEENSB_INSC_ItEEEESG_tNS9_4plusIvEENS9_8equal_toIvEEtEE10hipError_tPvRmT2_T3_T4_T5_mT6_T7_P12ihipStream_tbENKUlT_T0_E_clISt17integral_constantIbLb0EES11_EEDaSW_SX_EUlSW_E_NS1_11comp_targetILNS1_3genE10ELNS1_11target_archE1201ELNS1_3gpuE5ELNS1_3repE0EEENS1_30default_config_static_selectorELNS0_4arch9wavefront6targetE0EEEvT1_.has_dyn_sized_stack, 0
	.set _ZN7rocprim17ROCPRIM_400000_NS6detail17trampoline_kernelINS0_14default_configENS1_27scan_by_key_config_selectorIitEEZZNS1_16scan_by_key_implILNS1_25lookback_scan_determinismE0ELb0ES3_N6thrust23THRUST_200600_302600_NS6detail15normal_iteratorINS9_10device_ptrIiEEEENSB_INSC_ItEEEESG_tNS9_4plusIvEENS9_8equal_toIvEEtEE10hipError_tPvRmT2_T3_T4_T5_mT6_T7_P12ihipStream_tbENKUlT_T0_E_clISt17integral_constantIbLb0EES11_EEDaSW_SX_EUlSW_E_NS1_11comp_targetILNS1_3genE10ELNS1_11target_archE1201ELNS1_3gpuE5ELNS1_3repE0EEENS1_30default_config_static_selectorELNS0_4arch9wavefront6targetE0EEEvT1_.has_recursion, 0
	.set _ZN7rocprim17ROCPRIM_400000_NS6detail17trampoline_kernelINS0_14default_configENS1_27scan_by_key_config_selectorIitEEZZNS1_16scan_by_key_implILNS1_25lookback_scan_determinismE0ELb0ES3_N6thrust23THRUST_200600_302600_NS6detail15normal_iteratorINS9_10device_ptrIiEEEENSB_INSC_ItEEEESG_tNS9_4plusIvEENS9_8equal_toIvEEtEE10hipError_tPvRmT2_T3_T4_T5_mT6_T7_P12ihipStream_tbENKUlT_T0_E_clISt17integral_constantIbLb0EES11_EEDaSW_SX_EUlSW_E_NS1_11comp_targetILNS1_3genE10ELNS1_11target_archE1201ELNS1_3gpuE5ELNS1_3repE0EEENS1_30default_config_static_selectorELNS0_4arch9wavefront6targetE0EEEvT1_.has_indirect_call, 0
	.section	.AMDGPU.csdata,"",@progbits
; Kernel info:
; codeLenInByte = 0
; TotalNumSgprs: 0
; NumVgprs: 0
; ScratchSize: 0
; MemoryBound: 0
; FloatMode: 240
; IeeeMode: 1
; LDSByteSize: 0 bytes/workgroup (compile time only)
; SGPRBlocks: 0
; VGPRBlocks: 0
; NumSGPRsForWavesPerEU: 1
; NumVGPRsForWavesPerEU: 1
; NamedBarCnt: 0
; Occupancy: 16
; WaveLimiterHint : 0
; COMPUTE_PGM_RSRC2:SCRATCH_EN: 0
; COMPUTE_PGM_RSRC2:USER_SGPR: 2
; COMPUTE_PGM_RSRC2:TRAP_HANDLER: 0
; COMPUTE_PGM_RSRC2:TGID_X_EN: 1
; COMPUTE_PGM_RSRC2:TGID_Y_EN: 0
; COMPUTE_PGM_RSRC2:TGID_Z_EN: 0
; COMPUTE_PGM_RSRC2:TIDIG_COMP_CNT: 0
	.section	.text._ZN7rocprim17ROCPRIM_400000_NS6detail17trampoline_kernelINS0_14default_configENS1_27scan_by_key_config_selectorIitEEZZNS1_16scan_by_key_implILNS1_25lookback_scan_determinismE0ELb0ES3_N6thrust23THRUST_200600_302600_NS6detail15normal_iteratorINS9_10device_ptrIiEEEENSB_INSC_ItEEEESG_tNS9_4plusIvEENS9_8equal_toIvEEtEE10hipError_tPvRmT2_T3_T4_T5_mT6_T7_P12ihipStream_tbENKUlT_T0_E_clISt17integral_constantIbLb0EES11_EEDaSW_SX_EUlSW_E_NS1_11comp_targetILNS1_3genE5ELNS1_11target_archE942ELNS1_3gpuE9ELNS1_3repE0EEENS1_30default_config_static_selectorELNS0_4arch9wavefront6targetE0EEEvT1_,"axG",@progbits,_ZN7rocprim17ROCPRIM_400000_NS6detail17trampoline_kernelINS0_14default_configENS1_27scan_by_key_config_selectorIitEEZZNS1_16scan_by_key_implILNS1_25lookback_scan_determinismE0ELb0ES3_N6thrust23THRUST_200600_302600_NS6detail15normal_iteratorINS9_10device_ptrIiEEEENSB_INSC_ItEEEESG_tNS9_4plusIvEENS9_8equal_toIvEEtEE10hipError_tPvRmT2_T3_T4_T5_mT6_T7_P12ihipStream_tbENKUlT_T0_E_clISt17integral_constantIbLb0EES11_EEDaSW_SX_EUlSW_E_NS1_11comp_targetILNS1_3genE5ELNS1_11target_archE942ELNS1_3gpuE9ELNS1_3repE0EEENS1_30default_config_static_selectorELNS0_4arch9wavefront6targetE0EEEvT1_,comdat
	.protected	_ZN7rocprim17ROCPRIM_400000_NS6detail17trampoline_kernelINS0_14default_configENS1_27scan_by_key_config_selectorIitEEZZNS1_16scan_by_key_implILNS1_25lookback_scan_determinismE0ELb0ES3_N6thrust23THRUST_200600_302600_NS6detail15normal_iteratorINS9_10device_ptrIiEEEENSB_INSC_ItEEEESG_tNS9_4plusIvEENS9_8equal_toIvEEtEE10hipError_tPvRmT2_T3_T4_T5_mT6_T7_P12ihipStream_tbENKUlT_T0_E_clISt17integral_constantIbLb0EES11_EEDaSW_SX_EUlSW_E_NS1_11comp_targetILNS1_3genE5ELNS1_11target_archE942ELNS1_3gpuE9ELNS1_3repE0EEENS1_30default_config_static_selectorELNS0_4arch9wavefront6targetE0EEEvT1_ ; -- Begin function _ZN7rocprim17ROCPRIM_400000_NS6detail17trampoline_kernelINS0_14default_configENS1_27scan_by_key_config_selectorIitEEZZNS1_16scan_by_key_implILNS1_25lookback_scan_determinismE0ELb0ES3_N6thrust23THRUST_200600_302600_NS6detail15normal_iteratorINS9_10device_ptrIiEEEENSB_INSC_ItEEEESG_tNS9_4plusIvEENS9_8equal_toIvEEtEE10hipError_tPvRmT2_T3_T4_T5_mT6_T7_P12ihipStream_tbENKUlT_T0_E_clISt17integral_constantIbLb0EES11_EEDaSW_SX_EUlSW_E_NS1_11comp_targetILNS1_3genE5ELNS1_11target_archE942ELNS1_3gpuE9ELNS1_3repE0EEENS1_30default_config_static_selectorELNS0_4arch9wavefront6targetE0EEEvT1_
	.globl	_ZN7rocprim17ROCPRIM_400000_NS6detail17trampoline_kernelINS0_14default_configENS1_27scan_by_key_config_selectorIitEEZZNS1_16scan_by_key_implILNS1_25lookback_scan_determinismE0ELb0ES3_N6thrust23THRUST_200600_302600_NS6detail15normal_iteratorINS9_10device_ptrIiEEEENSB_INSC_ItEEEESG_tNS9_4plusIvEENS9_8equal_toIvEEtEE10hipError_tPvRmT2_T3_T4_T5_mT6_T7_P12ihipStream_tbENKUlT_T0_E_clISt17integral_constantIbLb0EES11_EEDaSW_SX_EUlSW_E_NS1_11comp_targetILNS1_3genE5ELNS1_11target_archE942ELNS1_3gpuE9ELNS1_3repE0EEENS1_30default_config_static_selectorELNS0_4arch9wavefront6targetE0EEEvT1_
	.p2align	8
	.type	_ZN7rocprim17ROCPRIM_400000_NS6detail17trampoline_kernelINS0_14default_configENS1_27scan_by_key_config_selectorIitEEZZNS1_16scan_by_key_implILNS1_25lookback_scan_determinismE0ELb0ES3_N6thrust23THRUST_200600_302600_NS6detail15normal_iteratorINS9_10device_ptrIiEEEENSB_INSC_ItEEEESG_tNS9_4plusIvEENS9_8equal_toIvEEtEE10hipError_tPvRmT2_T3_T4_T5_mT6_T7_P12ihipStream_tbENKUlT_T0_E_clISt17integral_constantIbLb0EES11_EEDaSW_SX_EUlSW_E_NS1_11comp_targetILNS1_3genE5ELNS1_11target_archE942ELNS1_3gpuE9ELNS1_3repE0EEENS1_30default_config_static_selectorELNS0_4arch9wavefront6targetE0EEEvT1_,@function
_ZN7rocprim17ROCPRIM_400000_NS6detail17trampoline_kernelINS0_14default_configENS1_27scan_by_key_config_selectorIitEEZZNS1_16scan_by_key_implILNS1_25lookback_scan_determinismE0ELb0ES3_N6thrust23THRUST_200600_302600_NS6detail15normal_iteratorINS9_10device_ptrIiEEEENSB_INSC_ItEEEESG_tNS9_4plusIvEENS9_8equal_toIvEEtEE10hipError_tPvRmT2_T3_T4_T5_mT6_T7_P12ihipStream_tbENKUlT_T0_E_clISt17integral_constantIbLb0EES11_EEDaSW_SX_EUlSW_E_NS1_11comp_targetILNS1_3genE5ELNS1_11target_archE942ELNS1_3gpuE9ELNS1_3repE0EEENS1_30default_config_static_selectorELNS0_4arch9wavefront6targetE0EEEvT1_: ; @_ZN7rocprim17ROCPRIM_400000_NS6detail17trampoline_kernelINS0_14default_configENS1_27scan_by_key_config_selectorIitEEZZNS1_16scan_by_key_implILNS1_25lookback_scan_determinismE0ELb0ES3_N6thrust23THRUST_200600_302600_NS6detail15normal_iteratorINS9_10device_ptrIiEEEENSB_INSC_ItEEEESG_tNS9_4plusIvEENS9_8equal_toIvEEtEE10hipError_tPvRmT2_T3_T4_T5_mT6_T7_P12ihipStream_tbENKUlT_T0_E_clISt17integral_constantIbLb0EES11_EEDaSW_SX_EUlSW_E_NS1_11comp_targetILNS1_3genE5ELNS1_11target_archE942ELNS1_3gpuE9ELNS1_3repE0EEENS1_30default_config_static_selectorELNS0_4arch9wavefront6targetE0EEEvT1_
; %bb.0:
	.section	.rodata,"a",@progbits
	.p2align	6, 0x0
	.amdhsa_kernel _ZN7rocprim17ROCPRIM_400000_NS6detail17trampoline_kernelINS0_14default_configENS1_27scan_by_key_config_selectorIitEEZZNS1_16scan_by_key_implILNS1_25lookback_scan_determinismE0ELb0ES3_N6thrust23THRUST_200600_302600_NS6detail15normal_iteratorINS9_10device_ptrIiEEEENSB_INSC_ItEEEESG_tNS9_4plusIvEENS9_8equal_toIvEEtEE10hipError_tPvRmT2_T3_T4_T5_mT6_T7_P12ihipStream_tbENKUlT_T0_E_clISt17integral_constantIbLb0EES11_EEDaSW_SX_EUlSW_E_NS1_11comp_targetILNS1_3genE5ELNS1_11target_archE942ELNS1_3gpuE9ELNS1_3repE0EEENS1_30default_config_static_selectorELNS0_4arch9wavefront6targetE0EEEvT1_
		.amdhsa_group_segment_fixed_size 0
		.amdhsa_private_segment_fixed_size 0
		.amdhsa_kernarg_size 112
		.amdhsa_user_sgpr_count 2
		.amdhsa_user_sgpr_dispatch_ptr 0
		.amdhsa_user_sgpr_queue_ptr 0
		.amdhsa_user_sgpr_kernarg_segment_ptr 1
		.amdhsa_user_sgpr_dispatch_id 0
		.amdhsa_user_sgpr_kernarg_preload_length 0
		.amdhsa_user_sgpr_kernarg_preload_offset 0
		.amdhsa_user_sgpr_private_segment_size 0
		.amdhsa_wavefront_size32 1
		.amdhsa_uses_dynamic_stack 0
		.amdhsa_enable_private_segment 0
		.amdhsa_system_sgpr_workgroup_id_x 1
		.amdhsa_system_sgpr_workgroup_id_y 0
		.amdhsa_system_sgpr_workgroup_id_z 0
		.amdhsa_system_sgpr_workgroup_info 0
		.amdhsa_system_vgpr_workitem_id 0
		.amdhsa_next_free_vgpr 1
		.amdhsa_next_free_sgpr 1
		.amdhsa_named_barrier_count 0
		.amdhsa_reserve_vcc 0
		.amdhsa_float_round_mode_32 0
		.amdhsa_float_round_mode_16_64 0
		.amdhsa_float_denorm_mode_32 3
		.amdhsa_float_denorm_mode_16_64 3
		.amdhsa_fp16_overflow 0
		.amdhsa_memory_ordered 1
		.amdhsa_forward_progress 1
		.amdhsa_inst_pref_size 0
		.amdhsa_round_robin_scheduling 0
		.amdhsa_exception_fp_ieee_invalid_op 0
		.amdhsa_exception_fp_denorm_src 0
		.amdhsa_exception_fp_ieee_div_zero 0
		.amdhsa_exception_fp_ieee_overflow 0
		.amdhsa_exception_fp_ieee_underflow 0
		.amdhsa_exception_fp_ieee_inexact 0
		.amdhsa_exception_int_div_zero 0
	.end_amdhsa_kernel
	.section	.text._ZN7rocprim17ROCPRIM_400000_NS6detail17trampoline_kernelINS0_14default_configENS1_27scan_by_key_config_selectorIitEEZZNS1_16scan_by_key_implILNS1_25lookback_scan_determinismE0ELb0ES3_N6thrust23THRUST_200600_302600_NS6detail15normal_iteratorINS9_10device_ptrIiEEEENSB_INSC_ItEEEESG_tNS9_4plusIvEENS9_8equal_toIvEEtEE10hipError_tPvRmT2_T3_T4_T5_mT6_T7_P12ihipStream_tbENKUlT_T0_E_clISt17integral_constantIbLb0EES11_EEDaSW_SX_EUlSW_E_NS1_11comp_targetILNS1_3genE5ELNS1_11target_archE942ELNS1_3gpuE9ELNS1_3repE0EEENS1_30default_config_static_selectorELNS0_4arch9wavefront6targetE0EEEvT1_,"axG",@progbits,_ZN7rocprim17ROCPRIM_400000_NS6detail17trampoline_kernelINS0_14default_configENS1_27scan_by_key_config_selectorIitEEZZNS1_16scan_by_key_implILNS1_25lookback_scan_determinismE0ELb0ES3_N6thrust23THRUST_200600_302600_NS6detail15normal_iteratorINS9_10device_ptrIiEEEENSB_INSC_ItEEEESG_tNS9_4plusIvEENS9_8equal_toIvEEtEE10hipError_tPvRmT2_T3_T4_T5_mT6_T7_P12ihipStream_tbENKUlT_T0_E_clISt17integral_constantIbLb0EES11_EEDaSW_SX_EUlSW_E_NS1_11comp_targetILNS1_3genE5ELNS1_11target_archE942ELNS1_3gpuE9ELNS1_3repE0EEENS1_30default_config_static_selectorELNS0_4arch9wavefront6targetE0EEEvT1_,comdat
.Lfunc_end1269:
	.size	_ZN7rocprim17ROCPRIM_400000_NS6detail17trampoline_kernelINS0_14default_configENS1_27scan_by_key_config_selectorIitEEZZNS1_16scan_by_key_implILNS1_25lookback_scan_determinismE0ELb0ES3_N6thrust23THRUST_200600_302600_NS6detail15normal_iteratorINS9_10device_ptrIiEEEENSB_INSC_ItEEEESG_tNS9_4plusIvEENS9_8equal_toIvEEtEE10hipError_tPvRmT2_T3_T4_T5_mT6_T7_P12ihipStream_tbENKUlT_T0_E_clISt17integral_constantIbLb0EES11_EEDaSW_SX_EUlSW_E_NS1_11comp_targetILNS1_3genE5ELNS1_11target_archE942ELNS1_3gpuE9ELNS1_3repE0EEENS1_30default_config_static_selectorELNS0_4arch9wavefront6targetE0EEEvT1_, .Lfunc_end1269-_ZN7rocprim17ROCPRIM_400000_NS6detail17trampoline_kernelINS0_14default_configENS1_27scan_by_key_config_selectorIitEEZZNS1_16scan_by_key_implILNS1_25lookback_scan_determinismE0ELb0ES3_N6thrust23THRUST_200600_302600_NS6detail15normal_iteratorINS9_10device_ptrIiEEEENSB_INSC_ItEEEESG_tNS9_4plusIvEENS9_8equal_toIvEEtEE10hipError_tPvRmT2_T3_T4_T5_mT6_T7_P12ihipStream_tbENKUlT_T0_E_clISt17integral_constantIbLb0EES11_EEDaSW_SX_EUlSW_E_NS1_11comp_targetILNS1_3genE5ELNS1_11target_archE942ELNS1_3gpuE9ELNS1_3repE0EEENS1_30default_config_static_selectorELNS0_4arch9wavefront6targetE0EEEvT1_
                                        ; -- End function
	.set _ZN7rocprim17ROCPRIM_400000_NS6detail17trampoline_kernelINS0_14default_configENS1_27scan_by_key_config_selectorIitEEZZNS1_16scan_by_key_implILNS1_25lookback_scan_determinismE0ELb0ES3_N6thrust23THRUST_200600_302600_NS6detail15normal_iteratorINS9_10device_ptrIiEEEENSB_INSC_ItEEEESG_tNS9_4plusIvEENS9_8equal_toIvEEtEE10hipError_tPvRmT2_T3_T4_T5_mT6_T7_P12ihipStream_tbENKUlT_T0_E_clISt17integral_constantIbLb0EES11_EEDaSW_SX_EUlSW_E_NS1_11comp_targetILNS1_3genE5ELNS1_11target_archE942ELNS1_3gpuE9ELNS1_3repE0EEENS1_30default_config_static_selectorELNS0_4arch9wavefront6targetE0EEEvT1_.num_vgpr, 0
	.set _ZN7rocprim17ROCPRIM_400000_NS6detail17trampoline_kernelINS0_14default_configENS1_27scan_by_key_config_selectorIitEEZZNS1_16scan_by_key_implILNS1_25lookback_scan_determinismE0ELb0ES3_N6thrust23THRUST_200600_302600_NS6detail15normal_iteratorINS9_10device_ptrIiEEEENSB_INSC_ItEEEESG_tNS9_4plusIvEENS9_8equal_toIvEEtEE10hipError_tPvRmT2_T3_T4_T5_mT6_T7_P12ihipStream_tbENKUlT_T0_E_clISt17integral_constantIbLb0EES11_EEDaSW_SX_EUlSW_E_NS1_11comp_targetILNS1_3genE5ELNS1_11target_archE942ELNS1_3gpuE9ELNS1_3repE0EEENS1_30default_config_static_selectorELNS0_4arch9wavefront6targetE0EEEvT1_.num_agpr, 0
	.set _ZN7rocprim17ROCPRIM_400000_NS6detail17trampoline_kernelINS0_14default_configENS1_27scan_by_key_config_selectorIitEEZZNS1_16scan_by_key_implILNS1_25lookback_scan_determinismE0ELb0ES3_N6thrust23THRUST_200600_302600_NS6detail15normal_iteratorINS9_10device_ptrIiEEEENSB_INSC_ItEEEESG_tNS9_4plusIvEENS9_8equal_toIvEEtEE10hipError_tPvRmT2_T3_T4_T5_mT6_T7_P12ihipStream_tbENKUlT_T0_E_clISt17integral_constantIbLb0EES11_EEDaSW_SX_EUlSW_E_NS1_11comp_targetILNS1_3genE5ELNS1_11target_archE942ELNS1_3gpuE9ELNS1_3repE0EEENS1_30default_config_static_selectorELNS0_4arch9wavefront6targetE0EEEvT1_.numbered_sgpr, 0
	.set _ZN7rocprim17ROCPRIM_400000_NS6detail17trampoline_kernelINS0_14default_configENS1_27scan_by_key_config_selectorIitEEZZNS1_16scan_by_key_implILNS1_25lookback_scan_determinismE0ELb0ES3_N6thrust23THRUST_200600_302600_NS6detail15normal_iteratorINS9_10device_ptrIiEEEENSB_INSC_ItEEEESG_tNS9_4plusIvEENS9_8equal_toIvEEtEE10hipError_tPvRmT2_T3_T4_T5_mT6_T7_P12ihipStream_tbENKUlT_T0_E_clISt17integral_constantIbLb0EES11_EEDaSW_SX_EUlSW_E_NS1_11comp_targetILNS1_3genE5ELNS1_11target_archE942ELNS1_3gpuE9ELNS1_3repE0EEENS1_30default_config_static_selectorELNS0_4arch9wavefront6targetE0EEEvT1_.num_named_barrier, 0
	.set _ZN7rocprim17ROCPRIM_400000_NS6detail17trampoline_kernelINS0_14default_configENS1_27scan_by_key_config_selectorIitEEZZNS1_16scan_by_key_implILNS1_25lookback_scan_determinismE0ELb0ES3_N6thrust23THRUST_200600_302600_NS6detail15normal_iteratorINS9_10device_ptrIiEEEENSB_INSC_ItEEEESG_tNS9_4plusIvEENS9_8equal_toIvEEtEE10hipError_tPvRmT2_T3_T4_T5_mT6_T7_P12ihipStream_tbENKUlT_T0_E_clISt17integral_constantIbLb0EES11_EEDaSW_SX_EUlSW_E_NS1_11comp_targetILNS1_3genE5ELNS1_11target_archE942ELNS1_3gpuE9ELNS1_3repE0EEENS1_30default_config_static_selectorELNS0_4arch9wavefront6targetE0EEEvT1_.private_seg_size, 0
	.set _ZN7rocprim17ROCPRIM_400000_NS6detail17trampoline_kernelINS0_14default_configENS1_27scan_by_key_config_selectorIitEEZZNS1_16scan_by_key_implILNS1_25lookback_scan_determinismE0ELb0ES3_N6thrust23THRUST_200600_302600_NS6detail15normal_iteratorINS9_10device_ptrIiEEEENSB_INSC_ItEEEESG_tNS9_4plusIvEENS9_8equal_toIvEEtEE10hipError_tPvRmT2_T3_T4_T5_mT6_T7_P12ihipStream_tbENKUlT_T0_E_clISt17integral_constantIbLb0EES11_EEDaSW_SX_EUlSW_E_NS1_11comp_targetILNS1_3genE5ELNS1_11target_archE942ELNS1_3gpuE9ELNS1_3repE0EEENS1_30default_config_static_selectorELNS0_4arch9wavefront6targetE0EEEvT1_.uses_vcc, 0
	.set _ZN7rocprim17ROCPRIM_400000_NS6detail17trampoline_kernelINS0_14default_configENS1_27scan_by_key_config_selectorIitEEZZNS1_16scan_by_key_implILNS1_25lookback_scan_determinismE0ELb0ES3_N6thrust23THRUST_200600_302600_NS6detail15normal_iteratorINS9_10device_ptrIiEEEENSB_INSC_ItEEEESG_tNS9_4plusIvEENS9_8equal_toIvEEtEE10hipError_tPvRmT2_T3_T4_T5_mT6_T7_P12ihipStream_tbENKUlT_T0_E_clISt17integral_constantIbLb0EES11_EEDaSW_SX_EUlSW_E_NS1_11comp_targetILNS1_3genE5ELNS1_11target_archE942ELNS1_3gpuE9ELNS1_3repE0EEENS1_30default_config_static_selectorELNS0_4arch9wavefront6targetE0EEEvT1_.uses_flat_scratch, 0
	.set _ZN7rocprim17ROCPRIM_400000_NS6detail17trampoline_kernelINS0_14default_configENS1_27scan_by_key_config_selectorIitEEZZNS1_16scan_by_key_implILNS1_25lookback_scan_determinismE0ELb0ES3_N6thrust23THRUST_200600_302600_NS6detail15normal_iteratorINS9_10device_ptrIiEEEENSB_INSC_ItEEEESG_tNS9_4plusIvEENS9_8equal_toIvEEtEE10hipError_tPvRmT2_T3_T4_T5_mT6_T7_P12ihipStream_tbENKUlT_T0_E_clISt17integral_constantIbLb0EES11_EEDaSW_SX_EUlSW_E_NS1_11comp_targetILNS1_3genE5ELNS1_11target_archE942ELNS1_3gpuE9ELNS1_3repE0EEENS1_30default_config_static_selectorELNS0_4arch9wavefront6targetE0EEEvT1_.has_dyn_sized_stack, 0
	.set _ZN7rocprim17ROCPRIM_400000_NS6detail17trampoline_kernelINS0_14default_configENS1_27scan_by_key_config_selectorIitEEZZNS1_16scan_by_key_implILNS1_25lookback_scan_determinismE0ELb0ES3_N6thrust23THRUST_200600_302600_NS6detail15normal_iteratorINS9_10device_ptrIiEEEENSB_INSC_ItEEEESG_tNS9_4plusIvEENS9_8equal_toIvEEtEE10hipError_tPvRmT2_T3_T4_T5_mT6_T7_P12ihipStream_tbENKUlT_T0_E_clISt17integral_constantIbLb0EES11_EEDaSW_SX_EUlSW_E_NS1_11comp_targetILNS1_3genE5ELNS1_11target_archE942ELNS1_3gpuE9ELNS1_3repE0EEENS1_30default_config_static_selectorELNS0_4arch9wavefront6targetE0EEEvT1_.has_recursion, 0
	.set _ZN7rocprim17ROCPRIM_400000_NS6detail17trampoline_kernelINS0_14default_configENS1_27scan_by_key_config_selectorIitEEZZNS1_16scan_by_key_implILNS1_25lookback_scan_determinismE0ELb0ES3_N6thrust23THRUST_200600_302600_NS6detail15normal_iteratorINS9_10device_ptrIiEEEENSB_INSC_ItEEEESG_tNS9_4plusIvEENS9_8equal_toIvEEtEE10hipError_tPvRmT2_T3_T4_T5_mT6_T7_P12ihipStream_tbENKUlT_T0_E_clISt17integral_constantIbLb0EES11_EEDaSW_SX_EUlSW_E_NS1_11comp_targetILNS1_3genE5ELNS1_11target_archE942ELNS1_3gpuE9ELNS1_3repE0EEENS1_30default_config_static_selectorELNS0_4arch9wavefront6targetE0EEEvT1_.has_indirect_call, 0
	.section	.AMDGPU.csdata,"",@progbits
; Kernel info:
; codeLenInByte = 0
; TotalNumSgprs: 0
; NumVgprs: 0
; ScratchSize: 0
; MemoryBound: 0
; FloatMode: 240
; IeeeMode: 1
; LDSByteSize: 0 bytes/workgroup (compile time only)
; SGPRBlocks: 0
; VGPRBlocks: 0
; NumSGPRsForWavesPerEU: 1
; NumVGPRsForWavesPerEU: 1
; NamedBarCnt: 0
; Occupancy: 16
; WaveLimiterHint : 0
; COMPUTE_PGM_RSRC2:SCRATCH_EN: 0
; COMPUTE_PGM_RSRC2:USER_SGPR: 2
; COMPUTE_PGM_RSRC2:TRAP_HANDLER: 0
; COMPUTE_PGM_RSRC2:TGID_X_EN: 1
; COMPUTE_PGM_RSRC2:TGID_Y_EN: 0
; COMPUTE_PGM_RSRC2:TGID_Z_EN: 0
; COMPUTE_PGM_RSRC2:TIDIG_COMP_CNT: 0
	.section	.text._ZN7rocprim17ROCPRIM_400000_NS6detail17trampoline_kernelINS0_14default_configENS1_27scan_by_key_config_selectorIitEEZZNS1_16scan_by_key_implILNS1_25lookback_scan_determinismE0ELb0ES3_N6thrust23THRUST_200600_302600_NS6detail15normal_iteratorINS9_10device_ptrIiEEEENSB_INSC_ItEEEESG_tNS9_4plusIvEENS9_8equal_toIvEEtEE10hipError_tPvRmT2_T3_T4_T5_mT6_T7_P12ihipStream_tbENKUlT_T0_E_clISt17integral_constantIbLb0EES11_EEDaSW_SX_EUlSW_E_NS1_11comp_targetILNS1_3genE4ELNS1_11target_archE910ELNS1_3gpuE8ELNS1_3repE0EEENS1_30default_config_static_selectorELNS0_4arch9wavefront6targetE0EEEvT1_,"axG",@progbits,_ZN7rocprim17ROCPRIM_400000_NS6detail17trampoline_kernelINS0_14default_configENS1_27scan_by_key_config_selectorIitEEZZNS1_16scan_by_key_implILNS1_25lookback_scan_determinismE0ELb0ES3_N6thrust23THRUST_200600_302600_NS6detail15normal_iteratorINS9_10device_ptrIiEEEENSB_INSC_ItEEEESG_tNS9_4plusIvEENS9_8equal_toIvEEtEE10hipError_tPvRmT2_T3_T4_T5_mT6_T7_P12ihipStream_tbENKUlT_T0_E_clISt17integral_constantIbLb0EES11_EEDaSW_SX_EUlSW_E_NS1_11comp_targetILNS1_3genE4ELNS1_11target_archE910ELNS1_3gpuE8ELNS1_3repE0EEENS1_30default_config_static_selectorELNS0_4arch9wavefront6targetE0EEEvT1_,comdat
	.protected	_ZN7rocprim17ROCPRIM_400000_NS6detail17trampoline_kernelINS0_14default_configENS1_27scan_by_key_config_selectorIitEEZZNS1_16scan_by_key_implILNS1_25lookback_scan_determinismE0ELb0ES3_N6thrust23THRUST_200600_302600_NS6detail15normal_iteratorINS9_10device_ptrIiEEEENSB_INSC_ItEEEESG_tNS9_4plusIvEENS9_8equal_toIvEEtEE10hipError_tPvRmT2_T3_T4_T5_mT6_T7_P12ihipStream_tbENKUlT_T0_E_clISt17integral_constantIbLb0EES11_EEDaSW_SX_EUlSW_E_NS1_11comp_targetILNS1_3genE4ELNS1_11target_archE910ELNS1_3gpuE8ELNS1_3repE0EEENS1_30default_config_static_selectorELNS0_4arch9wavefront6targetE0EEEvT1_ ; -- Begin function _ZN7rocprim17ROCPRIM_400000_NS6detail17trampoline_kernelINS0_14default_configENS1_27scan_by_key_config_selectorIitEEZZNS1_16scan_by_key_implILNS1_25lookback_scan_determinismE0ELb0ES3_N6thrust23THRUST_200600_302600_NS6detail15normal_iteratorINS9_10device_ptrIiEEEENSB_INSC_ItEEEESG_tNS9_4plusIvEENS9_8equal_toIvEEtEE10hipError_tPvRmT2_T3_T4_T5_mT6_T7_P12ihipStream_tbENKUlT_T0_E_clISt17integral_constantIbLb0EES11_EEDaSW_SX_EUlSW_E_NS1_11comp_targetILNS1_3genE4ELNS1_11target_archE910ELNS1_3gpuE8ELNS1_3repE0EEENS1_30default_config_static_selectorELNS0_4arch9wavefront6targetE0EEEvT1_
	.globl	_ZN7rocprim17ROCPRIM_400000_NS6detail17trampoline_kernelINS0_14default_configENS1_27scan_by_key_config_selectorIitEEZZNS1_16scan_by_key_implILNS1_25lookback_scan_determinismE0ELb0ES3_N6thrust23THRUST_200600_302600_NS6detail15normal_iteratorINS9_10device_ptrIiEEEENSB_INSC_ItEEEESG_tNS9_4plusIvEENS9_8equal_toIvEEtEE10hipError_tPvRmT2_T3_T4_T5_mT6_T7_P12ihipStream_tbENKUlT_T0_E_clISt17integral_constantIbLb0EES11_EEDaSW_SX_EUlSW_E_NS1_11comp_targetILNS1_3genE4ELNS1_11target_archE910ELNS1_3gpuE8ELNS1_3repE0EEENS1_30default_config_static_selectorELNS0_4arch9wavefront6targetE0EEEvT1_
	.p2align	8
	.type	_ZN7rocprim17ROCPRIM_400000_NS6detail17trampoline_kernelINS0_14default_configENS1_27scan_by_key_config_selectorIitEEZZNS1_16scan_by_key_implILNS1_25lookback_scan_determinismE0ELb0ES3_N6thrust23THRUST_200600_302600_NS6detail15normal_iteratorINS9_10device_ptrIiEEEENSB_INSC_ItEEEESG_tNS9_4plusIvEENS9_8equal_toIvEEtEE10hipError_tPvRmT2_T3_T4_T5_mT6_T7_P12ihipStream_tbENKUlT_T0_E_clISt17integral_constantIbLb0EES11_EEDaSW_SX_EUlSW_E_NS1_11comp_targetILNS1_3genE4ELNS1_11target_archE910ELNS1_3gpuE8ELNS1_3repE0EEENS1_30default_config_static_selectorELNS0_4arch9wavefront6targetE0EEEvT1_,@function
_ZN7rocprim17ROCPRIM_400000_NS6detail17trampoline_kernelINS0_14default_configENS1_27scan_by_key_config_selectorIitEEZZNS1_16scan_by_key_implILNS1_25lookback_scan_determinismE0ELb0ES3_N6thrust23THRUST_200600_302600_NS6detail15normal_iteratorINS9_10device_ptrIiEEEENSB_INSC_ItEEEESG_tNS9_4plusIvEENS9_8equal_toIvEEtEE10hipError_tPvRmT2_T3_T4_T5_mT6_T7_P12ihipStream_tbENKUlT_T0_E_clISt17integral_constantIbLb0EES11_EEDaSW_SX_EUlSW_E_NS1_11comp_targetILNS1_3genE4ELNS1_11target_archE910ELNS1_3gpuE8ELNS1_3repE0EEENS1_30default_config_static_selectorELNS0_4arch9wavefront6targetE0EEEvT1_: ; @_ZN7rocprim17ROCPRIM_400000_NS6detail17trampoline_kernelINS0_14default_configENS1_27scan_by_key_config_selectorIitEEZZNS1_16scan_by_key_implILNS1_25lookback_scan_determinismE0ELb0ES3_N6thrust23THRUST_200600_302600_NS6detail15normal_iteratorINS9_10device_ptrIiEEEENSB_INSC_ItEEEESG_tNS9_4plusIvEENS9_8equal_toIvEEtEE10hipError_tPvRmT2_T3_T4_T5_mT6_T7_P12ihipStream_tbENKUlT_T0_E_clISt17integral_constantIbLb0EES11_EEDaSW_SX_EUlSW_E_NS1_11comp_targetILNS1_3genE4ELNS1_11target_archE910ELNS1_3gpuE8ELNS1_3repE0EEENS1_30default_config_static_selectorELNS0_4arch9wavefront6targetE0EEEvT1_
; %bb.0:
	.section	.rodata,"a",@progbits
	.p2align	6, 0x0
	.amdhsa_kernel _ZN7rocprim17ROCPRIM_400000_NS6detail17trampoline_kernelINS0_14default_configENS1_27scan_by_key_config_selectorIitEEZZNS1_16scan_by_key_implILNS1_25lookback_scan_determinismE0ELb0ES3_N6thrust23THRUST_200600_302600_NS6detail15normal_iteratorINS9_10device_ptrIiEEEENSB_INSC_ItEEEESG_tNS9_4plusIvEENS9_8equal_toIvEEtEE10hipError_tPvRmT2_T3_T4_T5_mT6_T7_P12ihipStream_tbENKUlT_T0_E_clISt17integral_constantIbLb0EES11_EEDaSW_SX_EUlSW_E_NS1_11comp_targetILNS1_3genE4ELNS1_11target_archE910ELNS1_3gpuE8ELNS1_3repE0EEENS1_30default_config_static_selectorELNS0_4arch9wavefront6targetE0EEEvT1_
		.amdhsa_group_segment_fixed_size 0
		.amdhsa_private_segment_fixed_size 0
		.amdhsa_kernarg_size 112
		.amdhsa_user_sgpr_count 2
		.amdhsa_user_sgpr_dispatch_ptr 0
		.amdhsa_user_sgpr_queue_ptr 0
		.amdhsa_user_sgpr_kernarg_segment_ptr 1
		.amdhsa_user_sgpr_dispatch_id 0
		.amdhsa_user_sgpr_kernarg_preload_length 0
		.amdhsa_user_sgpr_kernarg_preload_offset 0
		.amdhsa_user_sgpr_private_segment_size 0
		.amdhsa_wavefront_size32 1
		.amdhsa_uses_dynamic_stack 0
		.amdhsa_enable_private_segment 0
		.amdhsa_system_sgpr_workgroup_id_x 1
		.amdhsa_system_sgpr_workgroup_id_y 0
		.amdhsa_system_sgpr_workgroup_id_z 0
		.amdhsa_system_sgpr_workgroup_info 0
		.amdhsa_system_vgpr_workitem_id 0
		.amdhsa_next_free_vgpr 1
		.amdhsa_next_free_sgpr 1
		.amdhsa_named_barrier_count 0
		.amdhsa_reserve_vcc 0
		.amdhsa_float_round_mode_32 0
		.amdhsa_float_round_mode_16_64 0
		.amdhsa_float_denorm_mode_32 3
		.amdhsa_float_denorm_mode_16_64 3
		.amdhsa_fp16_overflow 0
		.amdhsa_memory_ordered 1
		.amdhsa_forward_progress 1
		.amdhsa_inst_pref_size 0
		.amdhsa_round_robin_scheduling 0
		.amdhsa_exception_fp_ieee_invalid_op 0
		.amdhsa_exception_fp_denorm_src 0
		.amdhsa_exception_fp_ieee_div_zero 0
		.amdhsa_exception_fp_ieee_overflow 0
		.amdhsa_exception_fp_ieee_underflow 0
		.amdhsa_exception_fp_ieee_inexact 0
		.amdhsa_exception_int_div_zero 0
	.end_amdhsa_kernel
	.section	.text._ZN7rocprim17ROCPRIM_400000_NS6detail17trampoline_kernelINS0_14default_configENS1_27scan_by_key_config_selectorIitEEZZNS1_16scan_by_key_implILNS1_25lookback_scan_determinismE0ELb0ES3_N6thrust23THRUST_200600_302600_NS6detail15normal_iteratorINS9_10device_ptrIiEEEENSB_INSC_ItEEEESG_tNS9_4plusIvEENS9_8equal_toIvEEtEE10hipError_tPvRmT2_T3_T4_T5_mT6_T7_P12ihipStream_tbENKUlT_T0_E_clISt17integral_constantIbLb0EES11_EEDaSW_SX_EUlSW_E_NS1_11comp_targetILNS1_3genE4ELNS1_11target_archE910ELNS1_3gpuE8ELNS1_3repE0EEENS1_30default_config_static_selectorELNS0_4arch9wavefront6targetE0EEEvT1_,"axG",@progbits,_ZN7rocprim17ROCPRIM_400000_NS6detail17trampoline_kernelINS0_14default_configENS1_27scan_by_key_config_selectorIitEEZZNS1_16scan_by_key_implILNS1_25lookback_scan_determinismE0ELb0ES3_N6thrust23THRUST_200600_302600_NS6detail15normal_iteratorINS9_10device_ptrIiEEEENSB_INSC_ItEEEESG_tNS9_4plusIvEENS9_8equal_toIvEEtEE10hipError_tPvRmT2_T3_T4_T5_mT6_T7_P12ihipStream_tbENKUlT_T0_E_clISt17integral_constantIbLb0EES11_EEDaSW_SX_EUlSW_E_NS1_11comp_targetILNS1_3genE4ELNS1_11target_archE910ELNS1_3gpuE8ELNS1_3repE0EEENS1_30default_config_static_selectorELNS0_4arch9wavefront6targetE0EEEvT1_,comdat
.Lfunc_end1270:
	.size	_ZN7rocprim17ROCPRIM_400000_NS6detail17trampoline_kernelINS0_14default_configENS1_27scan_by_key_config_selectorIitEEZZNS1_16scan_by_key_implILNS1_25lookback_scan_determinismE0ELb0ES3_N6thrust23THRUST_200600_302600_NS6detail15normal_iteratorINS9_10device_ptrIiEEEENSB_INSC_ItEEEESG_tNS9_4plusIvEENS9_8equal_toIvEEtEE10hipError_tPvRmT2_T3_T4_T5_mT6_T7_P12ihipStream_tbENKUlT_T0_E_clISt17integral_constantIbLb0EES11_EEDaSW_SX_EUlSW_E_NS1_11comp_targetILNS1_3genE4ELNS1_11target_archE910ELNS1_3gpuE8ELNS1_3repE0EEENS1_30default_config_static_selectorELNS0_4arch9wavefront6targetE0EEEvT1_, .Lfunc_end1270-_ZN7rocprim17ROCPRIM_400000_NS6detail17trampoline_kernelINS0_14default_configENS1_27scan_by_key_config_selectorIitEEZZNS1_16scan_by_key_implILNS1_25lookback_scan_determinismE0ELb0ES3_N6thrust23THRUST_200600_302600_NS6detail15normal_iteratorINS9_10device_ptrIiEEEENSB_INSC_ItEEEESG_tNS9_4plusIvEENS9_8equal_toIvEEtEE10hipError_tPvRmT2_T3_T4_T5_mT6_T7_P12ihipStream_tbENKUlT_T0_E_clISt17integral_constantIbLb0EES11_EEDaSW_SX_EUlSW_E_NS1_11comp_targetILNS1_3genE4ELNS1_11target_archE910ELNS1_3gpuE8ELNS1_3repE0EEENS1_30default_config_static_selectorELNS0_4arch9wavefront6targetE0EEEvT1_
                                        ; -- End function
	.set _ZN7rocprim17ROCPRIM_400000_NS6detail17trampoline_kernelINS0_14default_configENS1_27scan_by_key_config_selectorIitEEZZNS1_16scan_by_key_implILNS1_25lookback_scan_determinismE0ELb0ES3_N6thrust23THRUST_200600_302600_NS6detail15normal_iteratorINS9_10device_ptrIiEEEENSB_INSC_ItEEEESG_tNS9_4plusIvEENS9_8equal_toIvEEtEE10hipError_tPvRmT2_T3_T4_T5_mT6_T7_P12ihipStream_tbENKUlT_T0_E_clISt17integral_constantIbLb0EES11_EEDaSW_SX_EUlSW_E_NS1_11comp_targetILNS1_3genE4ELNS1_11target_archE910ELNS1_3gpuE8ELNS1_3repE0EEENS1_30default_config_static_selectorELNS0_4arch9wavefront6targetE0EEEvT1_.num_vgpr, 0
	.set _ZN7rocprim17ROCPRIM_400000_NS6detail17trampoline_kernelINS0_14default_configENS1_27scan_by_key_config_selectorIitEEZZNS1_16scan_by_key_implILNS1_25lookback_scan_determinismE0ELb0ES3_N6thrust23THRUST_200600_302600_NS6detail15normal_iteratorINS9_10device_ptrIiEEEENSB_INSC_ItEEEESG_tNS9_4plusIvEENS9_8equal_toIvEEtEE10hipError_tPvRmT2_T3_T4_T5_mT6_T7_P12ihipStream_tbENKUlT_T0_E_clISt17integral_constantIbLb0EES11_EEDaSW_SX_EUlSW_E_NS1_11comp_targetILNS1_3genE4ELNS1_11target_archE910ELNS1_3gpuE8ELNS1_3repE0EEENS1_30default_config_static_selectorELNS0_4arch9wavefront6targetE0EEEvT1_.num_agpr, 0
	.set _ZN7rocprim17ROCPRIM_400000_NS6detail17trampoline_kernelINS0_14default_configENS1_27scan_by_key_config_selectorIitEEZZNS1_16scan_by_key_implILNS1_25lookback_scan_determinismE0ELb0ES3_N6thrust23THRUST_200600_302600_NS6detail15normal_iteratorINS9_10device_ptrIiEEEENSB_INSC_ItEEEESG_tNS9_4plusIvEENS9_8equal_toIvEEtEE10hipError_tPvRmT2_T3_T4_T5_mT6_T7_P12ihipStream_tbENKUlT_T0_E_clISt17integral_constantIbLb0EES11_EEDaSW_SX_EUlSW_E_NS1_11comp_targetILNS1_3genE4ELNS1_11target_archE910ELNS1_3gpuE8ELNS1_3repE0EEENS1_30default_config_static_selectorELNS0_4arch9wavefront6targetE0EEEvT1_.numbered_sgpr, 0
	.set _ZN7rocprim17ROCPRIM_400000_NS6detail17trampoline_kernelINS0_14default_configENS1_27scan_by_key_config_selectorIitEEZZNS1_16scan_by_key_implILNS1_25lookback_scan_determinismE0ELb0ES3_N6thrust23THRUST_200600_302600_NS6detail15normal_iteratorINS9_10device_ptrIiEEEENSB_INSC_ItEEEESG_tNS9_4plusIvEENS9_8equal_toIvEEtEE10hipError_tPvRmT2_T3_T4_T5_mT6_T7_P12ihipStream_tbENKUlT_T0_E_clISt17integral_constantIbLb0EES11_EEDaSW_SX_EUlSW_E_NS1_11comp_targetILNS1_3genE4ELNS1_11target_archE910ELNS1_3gpuE8ELNS1_3repE0EEENS1_30default_config_static_selectorELNS0_4arch9wavefront6targetE0EEEvT1_.num_named_barrier, 0
	.set _ZN7rocprim17ROCPRIM_400000_NS6detail17trampoline_kernelINS0_14default_configENS1_27scan_by_key_config_selectorIitEEZZNS1_16scan_by_key_implILNS1_25lookback_scan_determinismE0ELb0ES3_N6thrust23THRUST_200600_302600_NS6detail15normal_iteratorINS9_10device_ptrIiEEEENSB_INSC_ItEEEESG_tNS9_4plusIvEENS9_8equal_toIvEEtEE10hipError_tPvRmT2_T3_T4_T5_mT6_T7_P12ihipStream_tbENKUlT_T0_E_clISt17integral_constantIbLb0EES11_EEDaSW_SX_EUlSW_E_NS1_11comp_targetILNS1_3genE4ELNS1_11target_archE910ELNS1_3gpuE8ELNS1_3repE0EEENS1_30default_config_static_selectorELNS0_4arch9wavefront6targetE0EEEvT1_.private_seg_size, 0
	.set _ZN7rocprim17ROCPRIM_400000_NS6detail17trampoline_kernelINS0_14default_configENS1_27scan_by_key_config_selectorIitEEZZNS1_16scan_by_key_implILNS1_25lookback_scan_determinismE0ELb0ES3_N6thrust23THRUST_200600_302600_NS6detail15normal_iteratorINS9_10device_ptrIiEEEENSB_INSC_ItEEEESG_tNS9_4plusIvEENS9_8equal_toIvEEtEE10hipError_tPvRmT2_T3_T4_T5_mT6_T7_P12ihipStream_tbENKUlT_T0_E_clISt17integral_constantIbLb0EES11_EEDaSW_SX_EUlSW_E_NS1_11comp_targetILNS1_3genE4ELNS1_11target_archE910ELNS1_3gpuE8ELNS1_3repE0EEENS1_30default_config_static_selectorELNS0_4arch9wavefront6targetE0EEEvT1_.uses_vcc, 0
	.set _ZN7rocprim17ROCPRIM_400000_NS6detail17trampoline_kernelINS0_14default_configENS1_27scan_by_key_config_selectorIitEEZZNS1_16scan_by_key_implILNS1_25lookback_scan_determinismE0ELb0ES3_N6thrust23THRUST_200600_302600_NS6detail15normal_iteratorINS9_10device_ptrIiEEEENSB_INSC_ItEEEESG_tNS9_4plusIvEENS9_8equal_toIvEEtEE10hipError_tPvRmT2_T3_T4_T5_mT6_T7_P12ihipStream_tbENKUlT_T0_E_clISt17integral_constantIbLb0EES11_EEDaSW_SX_EUlSW_E_NS1_11comp_targetILNS1_3genE4ELNS1_11target_archE910ELNS1_3gpuE8ELNS1_3repE0EEENS1_30default_config_static_selectorELNS0_4arch9wavefront6targetE0EEEvT1_.uses_flat_scratch, 0
	.set _ZN7rocprim17ROCPRIM_400000_NS6detail17trampoline_kernelINS0_14default_configENS1_27scan_by_key_config_selectorIitEEZZNS1_16scan_by_key_implILNS1_25lookback_scan_determinismE0ELb0ES3_N6thrust23THRUST_200600_302600_NS6detail15normal_iteratorINS9_10device_ptrIiEEEENSB_INSC_ItEEEESG_tNS9_4plusIvEENS9_8equal_toIvEEtEE10hipError_tPvRmT2_T3_T4_T5_mT6_T7_P12ihipStream_tbENKUlT_T0_E_clISt17integral_constantIbLb0EES11_EEDaSW_SX_EUlSW_E_NS1_11comp_targetILNS1_3genE4ELNS1_11target_archE910ELNS1_3gpuE8ELNS1_3repE0EEENS1_30default_config_static_selectorELNS0_4arch9wavefront6targetE0EEEvT1_.has_dyn_sized_stack, 0
	.set _ZN7rocprim17ROCPRIM_400000_NS6detail17trampoline_kernelINS0_14default_configENS1_27scan_by_key_config_selectorIitEEZZNS1_16scan_by_key_implILNS1_25lookback_scan_determinismE0ELb0ES3_N6thrust23THRUST_200600_302600_NS6detail15normal_iteratorINS9_10device_ptrIiEEEENSB_INSC_ItEEEESG_tNS9_4plusIvEENS9_8equal_toIvEEtEE10hipError_tPvRmT2_T3_T4_T5_mT6_T7_P12ihipStream_tbENKUlT_T0_E_clISt17integral_constantIbLb0EES11_EEDaSW_SX_EUlSW_E_NS1_11comp_targetILNS1_3genE4ELNS1_11target_archE910ELNS1_3gpuE8ELNS1_3repE0EEENS1_30default_config_static_selectorELNS0_4arch9wavefront6targetE0EEEvT1_.has_recursion, 0
	.set _ZN7rocprim17ROCPRIM_400000_NS6detail17trampoline_kernelINS0_14default_configENS1_27scan_by_key_config_selectorIitEEZZNS1_16scan_by_key_implILNS1_25lookback_scan_determinismE0ELb0ES3_N6thrust23THRUST_200600_302600_NS6detail15normal_iteratorINS9_10device_ptrIiEEEENSB_INSC_ItEEEESG_tNS9_4plusIvEENS9_8equal_toIvEEtEE10hipError_tPvRmT2_T3_T4_T5_mT6_T7_P12ihipStream_tbENKUlT_T0_E_clISt17integral_constantIbLb0EES11_EEDaSW_SX_EUlSW_E_NS1_11comp_targetILNS1_3genE4ELNS1_11target_archE910ELNS1_3gpuE8ELNS1_3repE0EEENS1_30default_config_static_selectorELNS0_4arch9wavefront6targetE0EEEvT1_.has_indirect_call, 0
	.section	.AMDGPU.csdata,"",@progbits
; Kernel info:
; codeLenInByte = 0
; TotalNumSgprs: 0
; NumVgprs: 0
; ScratchSize: 0
; MemoryBound: 0
; FloatMode: 240
; IeeeMode: 1
; LDSByteSize: 0 bytes/workgroup (compile time only)
; SGPRBlocks: 0
; VGPRBlocks: 0
; NumSGPRsForWavesPerEU: 1
; NumVGPRsForWavesPerEU: 1
; NamedBarCnt: 0
; Occupancy: 16
; WaveLimiterHint : 0
; COMPUTE_PGM_RSRC2:SCRATCH_EN: 0
; COMPUTE_PGM_RSRC2:USER_SGPR: 2
; COMPUTE_PGM_RSRC2:TRAP_HANDLER: 0
; COMPUTE_PGM_RSRC2:TGID_X_EN: 1
; COMPUTE_PGM_RSRC2:TGID_Y_EN: 0
; COMPUTE_PGM_RSRC2:TGID_Z_EN: 0
; COMPUTE_PGM_RSRC2:TIDIG_COMP_CNT: 0
	.section	.text._ZN7rocprim17ROCPRIM_400000_NS6detail17trampoline_kernelINS0_14default_configENS1_27scan_by_key_config_selectorIitEEZZNS1_16scan_by_key_implILNS1_25lookback_scan_determinismE0ELb0ES3_N6thrust23THRUST_200600_302600_NS6detail15normal_iteratorINS9_10device_ptrIiEEEENSB_INSC_ItEEEESG_tNS9_4plusIvEENS9_8equal_toIvEEtEE10hipError_tPvRmT2_T3_T4_T5_mT6_T7_P12ihipStream_tbENKUlT_T0_E_clISt17integral_constantIbLb0EES11_EEDaSW_SX_EUlSW_E_NS1_11comp_targetILNS1_3genE3ELNS1_11target_archE908ELNS1_3gpuE7ELNS1_3repE0EEENS1_30default_config_static_selectorELNS0_4arch9wavefront6targetE0EEEvT1_,"axG",@progbits,_ZN7rocprim17ROCPRIM_400000_NS6detail17trampoline_kernelINS0_14default_configENS1_27scan_by_key_config_selectorIitEEZZNS1_16scan_by_key_implILNS1_25lookback_scan_determinismE0ELb0ES3_N6thrust23THRUST_200600_302600_NS6detail15normal_iteratorINS9_10device_ptrIiEEEENSB_INSC_ItEEEESG_tNS9_4plusIvEENS9_8equal_toIvEEtEE10hipError_tPvRmT2_T3_T4_T5_mT6_T7_P12ihipStream_tbENKUlT_T0_E_clISt17integral_constantIbLb0EES11_EEDaSW_SX_EUlSW_E_NS1_11comp_targetILNS1_3genE3ELNS1_11target_archE908ELNS1_3gpuE7ELNS1_3repE0EEENS1_30default_config_static_selectorELNS0_4arch9wavefront6targetE0EEEvT1_,comdat
	.protected	_ZN7rocprim17ROCPRIM_400000_NS6detail17trampoline_kernelINS0_14default_configENS1_27scan_by_key_config_selectorIitEEZZNS1_16scan_by_key_implILNS1_25lookback_scan_determinismE0ELb0ES3_N6thrust23THRUST_200600_302600_NS6detail15normal_iteratorINS9_10device_ptrIiEEEENSB_INSC_ItEEEESG_tNS9_4plusIvEENS9_8equal_toIvEEtEE10hipError_tPvRmT2_T3_T4_T5_mT6_T7_P12ihipStream_tbENKUlT_T0_E_clISt17integral_constantIbLb0EES11_EEDaSW_SX_EUlSW_E_NS1_11comp_targetILNS1_3genE3ELNS1_11target_archE908ELNS1_3gpuE7ELNS1_3repE0EEENS1_30default_config_static_selectorELNS0_4arch9wavefront6targetE0EEEvT1_ ; -- Begin function _ZN7rocprim17ROCPRIM_400000_NS6detail17trampoline_kernelINS0_14default_configENS1_27scan_by_key_config_selectorIitEEZZNS1_16scan_by_key_implILNS1_25lookback_scan_determinismE0ELb0ES3_N6thrust23THRUST_200600_302600_NS6detail15normal_iteratorINS9_10device_ptrIiEEEENSB_INSC_ItEEEESG_tNS9_4plusIvEENS9_8equal_toIvEEtEE10hipError_tPvRmT2_T3_T4_T5_mT6_T7_P12ihipStream_tbENKUlT_T0_E_clISt17integral_constantIbLb0EES11_EEDaSW_SX_EUlSW_E_NS1_11comp_targetILNS1_3genE3ELNS1_11target_archE908ELNS1_3gpuE7ELNS1_3repE0EEENS1_30default_config_static_selectorELNS0_4arch9wavefront6targetE0EEEvT1_
	.globl	_ZN7rocprim17ROCPRIM_400000_NS6detail17trampoline_kernelINS0_14default_configENS1_27scan_by_key_config_selectorIitEEZZNS1_16scan_by_key_implILNS1_25lookback_scan_determinismE0ELb0ES3_N6thrust23THRUST_200600_302600_NS6detail15normal_iteratorINS9_10device_ptrIiEEEENSB_INSC_ItEEEESG_tNS9_4plusIvEENS9_8equal_toIvEEtEE10hipError_tPvRmT2_T3_T4_T5_mT6_T7_P12ihipStream_tbENKUlT_T0_E_clISt17integral_constantIbLb0EES11_EEDaSW_SX_EUlSW_E_NS1_11comp_targetILNS1_3genE3ELNS1_11target_archE908ELNS1_3gpuE7ELNS1_3repE0EEENS1_30default_config_static_selectorELNS0_4arch9wavefront6targetE0EEEvT1_
	.p2align	8
	.type	_ZN7rocprim17ROCPRIM_400000_NS6detail17trampoline_kernelINS0_14default_configENS1_27scan_by_key_config_selectorIitEEZZNS1_16scan_by_key_implILNS1_25lookback_scan_determinismE0ELb0ES3_N6thrust23THRUST_200600_302600_NS6detail15normal_iteratorINS9_10device_ptrIiEEEENSB_INSC_ItEEEESG_tNS9_4plusIvEENS9_8equal_toIvEEtEE10hipError_tPvRmT2_T3_T4_T5_mT6_T7_P12ihipStream_tbENKUlT_T0_E_clISt17integral_constantIbLb0EES11_EEDaSW_SX_EUlSW_E_NS1_11comp_targetILNS1_3genE3ELNS1_11target_archE908ELNS1_3gpuE7ELNS1_3repE0EEENS1_30default_config_static_selectorELNS0_4arch9wavefront6targetE0EEEvT1_,@function
_ZN7rocprim17ROCPRIM_400000_NS6detail17trampoline_kernelINS0_14default_configENS1_27scan_by_key_config_selectorIitEEZZNS1_16scan_by_key_implILNS1_25lookback_scan_determinismE0ELb0ES3_N6thrust23THRUST_200600_302600_NS6detail15normal_iteratorINS9_10device_ptrIiEEEENSB_INSC_ItEEEESG_tNS9_4plusIvEENS9_8equal_toIvEEtEE10hipError_tPvRmT2_T3_T4_T5_mT6_T7_P12ihipStream_tbENKUlT_T0_E_clISt17integral_constantIbLb0EES11_EEDaSW_SX_EUlSW_E_NS1_11comp_targetILNS1_3genE3ELNS1_11target_archE908ELNS1_3gpuE7ELNS1_3repE0EEENS1_30default_config_static_selectorELNS0_4arch9wavefront6targetE0EEEvT1_: ; @_ZN7rocprim17ROCPRIM_400000_NS6detail17trampoline_kernelINS0_14default_configENS1_27scan_by_key_config_selectorIitEEZZNS1_16scan_by_key_implILNS1_25lookback_scan_determinismE0ELb0ES3_N6thrust23THRUST_200600_302600_NS6detail15normal_iteratorINS9_10device_ptrIiEEEENSB_INSC_ItEEEESG_tNS9_4plusIvEENS9_8equal_toIvEEtEE10hipError_tPvRmT2_T3_T4_T5_mT6_T7_P12ihipStream_tbENKUlT_T0_E_clISt17integral_constantIbLb0EES11_EEDaSW_SX_EUlSW_E_NS1_11comp_targetILNS1_3genE3ELNS1_11target_archE908ELNS1_3gpuE7ELNS1_3repE0EEENS1_30default_config_static_selectorELNS0_4arch9wavefront6targetE0EEEvT1_
; %bb.0:
	.section	.rodata,"a",@progbits
	.p2align	6, 0x0
	.amdhsa_kernel _ZN7rocprim17ROCPRIM_400000_NS6detail17trampoline_kernelINS0_14default_configENS1_27scan_by_key_config_selectorIitEEZZNS1_16scan_by_key_implILNS1_25lookback_scan_determinismE0ELb0ES3_N6thrust23THRUST_200600_302600_NS6detail15normal_iteratorINS9_10device_ptrIiEEEENSB_INSC_ItEEEESG_tNS9_4plusIvEENS9_8equal_toIvEEtEE10hipError_tPvRmT2_T3_T4_T5_mT6_T7_P12ihipStream_tbENKUlT_T0_E_clISt17integral_constantIbLb0EES11_EEDaSW_SX_EUlSW_E_NS1_11comp_targetILNS1_3genE3ELNS1_11target_archE908ELNS1_3gpuE7ELNS1_3repE0EEENS1_30default_config_static_selectorELNS0_4arch9wavefront6targetE0EEEvT1_
		.amdhsa_group_segment_fixed_size 0
		.amdhsa_private_segment_fixed_size 0
		.amdhsa_kernarg_size 112
		.amdhsa_user_sgpr_count 2
		.amdhsa_user_sgpr_dispatch_ptr 0
		.amdhsa_user_sgpr_queue_ptr 0
		.amdhsa_user_sgpr_kernarg_segment_ptr 1
		.amdhsa_user_sgpr_dispatch_id 0
		.amdhsa_user_sgpr_kernarg_preload_length 0
		.amdhsa_user_sgpr_kernarg_preload_offset 0
		.amdhsa_user_sgpr_private_segment_size 0
		.amdhsa_wavefront_size32 1
		.amdhsa_uses_dynamic_stack 0
		.amdhsa_enable_private_segment 0
		.amdhsa_system_sgpr_workgroup_id_x 1
		.amdhsa_system_sgpr_workgroup_id_y 0
		.amdhsa_system_sgpr_workgroup_id_z 0
		.amdhsa_system_sgpr_workgroup_info 0
		.amdhsa_system_vgpr_workitem_id 0
		.amdhsa_next_free_vgpr 1
		.amdhsa_next_free_sgpr 1
		.amdhsa_named_barrier_count 0
		.amdhsa_reserve_vcc 0
		.amdhsa_float_round_mode_32 0
		.amdhsa_float_round_mode_16_64 0
		.amdhsa_float_denorm_mode_32 3
		.amdhsa_float_denorm_mode_16_64 3
		.amdhsa_fp16_overflow 0
		.amdhsa_memory_ordered 1
		.amdhsa_forward_progress 1
		.amdhsa_inst_pref_size 0
		.amdhsa_round_robin_scheduling 0
		.amdhsa_exception_fp_ieee_invalid_op 0
		.amdhsa_exception_fp_denorm_src 0
		.amdhsa_exception_fp_ieee_div_zero 0
		.amdhsa_exception_fp_ieee_overflow 0
		.amdhsa_exception_fp_ieee_underflow 0
		.amdhsa_exception_fp_ieee_inexact 0
		.amdhsa_exception_int_div_zero 0
	.end_amdhsa_kernel
	.section	.text._ZN7rocprim17ROCPRIM_400000_NS6detail17trampoline_kernelINS0_14default_configENS1_27scan_by_key_config_selectorIitEEZZNS1_16scan_by_key_implILNS1_25lookback_scan_determinismE0ELb0ES3_N6thrust23THRUST_200600_302600_NS6detail15normal_iteratorINS9_10device_ptrIiEEEENSB_INSC_ItEEEESG_tNS9_4plusIvEENS9_8equal_toIvEEtEE10hipError_tPvRmT2_T3_T4_T5_mT6_T7_P12ihipStream_tbENKUlT_T0_E_clISt17integral_constantIbLb0EES11_EEDaSW_SX_EUlSW_E_NS1_11comp_targetILNS1_3genE3ELNS1_11target_archE908ELNS1_3gpuE7ELNS1_3repE0EEENS1_30default_config_static_selectorELNS0_4arch9wavefront6targetE0EEEvT1_,"axG",@progbits,_ZN7rocprim17ROCPRIM_400000_NS6detail17trampoline_kernelINS0_14default_configENS1_27scan_by_key_config_selectorIitEEZZNS1_16scan_by_key_implILNS1_25lookback_scan_determinismE0ELb0ES3_N6thrust23THRUST_200600_302600_NS6detail15normal_iteratorINS9_10device_ptrIiEEEENSB_INSC_ItEEEESG_tNS9_4plusIvEENS9_8equal_toIvEEtEE10hipError_tPvRmT2_T3_T4_T5_mT6_T7_P12ihipStream_tbENKUlT_T0_E_clISt17integral_constantIbLb0EES11_EEDaSW_SX_EUlSW_E_NS1_11comp_targetILNS1_3genE3ELNS1_11target_archE908ELNS1_3gpuE7ELNS1_3repE0EEENS1_30default_config_static_selectorELNS0_4arch9wavefront6targetE0EEEvT1_,comdat
.Lfunc_end1271:
	.size	_ZN7rocprim17ROCPRIM_400000_NS6detail17trampoline_kernelINS0_14default_configENS1_27scan_by_key_config_selectorIitEEZZNS1_16scan_by_key_implILNS1_25lookback_scan_determinismE0ELb0ES3_N6thrust23THRUST_200600_302600_NS6detail15normal_iteratorINS9_10device_ptrIiEEEENSB_INSC_ItEEEESG_tNS9_4plusIvEENS9_8equal_toIvEEtEE10hipError_tPvRmT2_T3_T4_T5_mT6_T7_P12ihipStream_tbENKUlT_T0_E_clISt17integral_constantIbLb0EES11_EEDaSW_SX_EUlSW_E_NS1_11comp_targetILNS1_3genE3ELNS1_11target_archE908ELNS1_3gpuE7ELNS1_3repE0EEENS1_30default_config_static_selectorELNS0_4arch9wavefront6targetE0EEEvT1_, .Lfunc_end1271-_ZN7rocprim17ROCPRIM_400000_NS6detail17trampoline_kernelINS0_14default_configENS1_27scan_by_key_config_selectorIitEEZZNS1_16scan_by_key_implILNS1_25lookback_scan_determinismE0ELb0ES3_N6thrust23THRUST_200600_302600_NS6detail15normal_iteratorINS9_10device_ptrIiEEEENSB_INSC_ItEEEESG_tNS9_4plusIvEENS9_8equal_toIvEEtEE10hipError_tPvRmT2_T3_T4_T5_mT6_T7_P12ihipStream_tbENKUlT_T0_E_clISt17integral_constantIbLb0EES11_EEDaSW_SX_EUlSW_E_NS1_11comp_targetILNS1_3genE3ELNS1_11target_archE908ELNS1_3gpuE7ELNS1_3repE0EEENS1_30default_config_static_selectorELNS0_4arch9wavefront6targetE0EEEvT1_
                                        ; -- End function
	.set _ZN7rocprim17ROCPRIM_400000_NS6detail17trampoline_kernelINS0_14default_configENS1_27scan_by_key_config_selectorIitEEZZNS1_16scan_by_key_implILNS1_25lookback_scan_determinismE0ELb0ES3_N6thrust23THRUST_200600_302600_NS6detail15normal_iteratorINS9_10device_ptrIiEEEENSB_INSC_ItEEEESG_tNS9_4plusIvEENS9_8equal_toIvEEtEE10hipError_tPvRmT2_T3_T4_T5_mT6_T7_P12ihipStream_tbENKUlT_T0_E_clISt17integral_constantIbLb0EES11_EEDaSW_SX_EUlSW_E_NS1_11comp_targetILNS1_3genE3ELNS1_11target_archE908ELNS1_3gpuE7ELNS1_3repE0EEENS1_30default_config_static_selectorELNS0_4arch9wavefront6targetE0EEEvT1_.num_vgpr, 0
	.set _ZN7rocprim17ROCPRIM_400000_NS6detail17trampoline_kernelINS0_14default_configENS1_27scan_by_key_config_selectorIitEEZZNS1_16scan_by_key_implILNS1_25lookback_scan_determinismE0ELb0ES3_N6thrust23THRUST_200600_302600_NS6detail15normal_iteratorINS9_10device_ptrIiEEEENSB_INSC_ItEEEESG_tNS9_4plusIvEENS9_8equal_toIvEEtEE10hipError_tPvRmT2_T3_T4_T5_mT6_T7_P12ihipStream_tbENKUlT_T0_E_clISt17integral_constantIbLb0EES11_EEDaSW_SX_EUlSW_E_NS1_11comp_targetILNS1_3genE3ELNS1_11target_archE908ELNS1_3gpuE7ELNS1_3repE0EEENS1_30default_config_static_selectorELNS0_4arch9wavefront6targetE0EEEvT1_.num_agpr, 0
	.set _ZN7rocprim17ROCPRIM_400000_NS6detail17trampoline_kernelINS0_14default_configENS1_27scan_by_key_config_selectorIitEEZZNS1_16scan_by_key_implILNS1_25lookback_scan_determinismE0ELb0ES3_N6thrust23THRUST_200600_302600_NS6detail15normal_iteratorINS9_10device_ptrIiEEEENSB_INSC_ItEEEESG_tNS9_4plusIvEENS9_8equal_toIvEEtEE10hipError_tPvRmT2_T3_T4_T5_mT6_T7_P12ihipStream_tbENKUlT_T0_E_clISt17integral_constantIbLb0EES11_EEDaSW_SX_EUlSW_E_NS1_11comp_targetILNS1_3genE3ELNS1_11target_archE908ELNS1_3gpuE7ELNS1_3repE0EEENS1_30default_config_static_selectorELNS0_4arch9wavefront6targetE0EEEvT1_.numbered_sgpr, 0
	.set _ZN7rocprim17ROCPRIM_400000_NS6detail17trampoline_kernelINS0_14default_configENS1_27scan_by_key_config_selectorIitEEZZNS1_16scan_by_key_implILNS1_25lookback_scan_determinismE0ELb0ES3_N6thrust23THRUST_200600_302600_NS6detail15normal_iteratorINS9_10device_ptrIiEEEENSB_INSC_ItEEEESG_tNS9_4plusIvEENS9_8equal_toIvEEtEE10hipError_tPvRmT2_T3_T4_T5_mT6_T7_P12ihipStream_tbENKUlT_T0_E_clISt17integral_constantIbLb0EES11_EEDaSW_SX_EUlSW_E_NS1_11comp_targetILNS1_3genE3ELNS1_11target_archE908ELNS1_3gpuE7ELNS1_3repE0EEENS1_30default_config_static_selectorELNS0_4arch9wavefront6targetE0EEEvT1_.num_named_barrier, 0
	.set _ZN7rocprim17ROCPRIM_400000_NS6detail17trampoline_kernelINS0_14default_configENS1_27scan_by_key_config_selectorIitEEZZNS1_16scan_by_key_implILNS1_25lookback_scan_determinismE0ELb0ES3_N6thrust23THRUST_200600_302600_NS6detail15normal_iteratorINS9_10device_ptrIiEEEENSB_INSC_ItEEEESG_tNS9_4plusIvEENS9_8equal_toIvEEtEE10hipError_tPvRmT2_T3_T4_T5_mT6_T7_P12ihipStream_tbENKUlT_T0_E_clISt17integral_constantIbLb0EES11_EEDaSW_SX_EUlSW_E_NS1_11comp_targetILNS1_3genE3ELNS1_11target_archE908ELNS1_3gpuE7ELNS1_3repE0EEENS1_30default_config_static_selectorELNS0_4arch9wavefront6targetE0EEEvT1_.private_seg_size, 0
	.set _ZN7rocprim17ROCPRIM_400000_NS6detail17trampoline_kernelINS0_14default_configENS1_27scan_by_key_config_selectorIitEEZZNS1_16scan_by_key_implILNS1_25lookback_scan_determinismE0ELb0ES3_N6thrust23THRUST_200600_302600_NS6detail15normal_iteratorINS9_10device_ptrIiEEEENSB_INSC_ItEEEESG_tNS9_4plusIvEENS9_8equal_toIvEEtEE10hipError_tPvRmT2_T3_T4_T5_mT6_T7_P12ihipStream_tbENKUlT_T0_E_clISt17integral_constantIbLb0EES11_EEDaSW_SX_EUlSW_E_NS1_11comp_targetILNS1_3genE3ELNS1_11target_archE908ELNS1_3gpuE7ELNS1_3repE0EEENS1_30default_config_static_selectorELNS0_4arch9wavefront6targetE0EEEvT1_.uses_vcc, 0
	.set _ZN7rocprim17ROCPRIM_400000_NS6detail17trampoline_kernelINS0_14default_configENS1_27scan_by_key_config_selectorIitEEZZNS1_16scan_by_key_implILNS1_25lookback_scan_determinismE0ELb0ES3_N6thrust23THRUST_200600_302600_NS6detail15normal_iteratorINS9_10device_ptrIiEEEENSB_INSC_ItEEEESG_tNS9_4plusIvEENS9_8equal_toIvEEtEE10hipError_tPvRmT2_T3_T4_T5_mT6_T7_P12ihipStream_tbENKUlT_T0_E_clISt17integral_constantIbLb0EES11_EEDaSW_SX_EUlSW_E_NS1_11comp_targetILNS1_3genE3ELNS1_11target_archE908ELNS1_3gpuE7ELNS1_3repE0EEENS1_30default_config_static_selectorELNS0_4arch9wavefront6targetE0EEEvT1_.uses_flat_scratch, 0
	.set _ZN7rocprim17ROCPRIM_400000_NS6detail17trampoline_kernelINS0_14default_configENS1_27scan_by_key_config_selectorIitEEZZNS1_16scan_by_key_implILNS1_25lookback_scan_determinismE0ELb0ES3_N6thrust23THRUST_200600_302600_NS6detail15normal_iteratorINS9_10device_ptrIiEEEENSB_INSC_ItEEEESG_tNS9_4plusIvEENS9_8equal_toIvEEtEE10hipError_tPvRmT2_T3_T4_T5_mT6_T7_P12ihipStream_tbENKUlT_T0_E_clISt17integral_constantIbLb0EES11_EEDaSW_SX_EUlSW_E_NS1_11comp_targetILNS1_3genE3ELNS1_11target_archE908ELNS1_3gpuE7ELNS1_3repE0EEENS1_30default_config_static_selectorELNS0_4arch9wavefront6targetE0EEEvT1_.has_dyn_sized_stack, 0
	.set _ZN7rocprim17ROCPRIM_400000_NS6detail17trampoline_kernelINS0_14default_configENS1_27scan_by_key_config_selectorIitEEZZNS1_16scan_by_key_implILNS1_25lookback_scan_determinismE0ELb0ES3_N6thrust23THRUST_200600_302600_NS6detail15normal_iteratorINS9_10device_ptrIiEEEENSB_INSC_ItEEEESG_tNS9_4plusIvEENS9_8equal_toIvEEtEE10hipError_tPvRmT2_T3_T4_T5_mT6_T7_P12ihipStream_tbENKUlT_T0_E_clISt17integral_constantIbLb0EES11_EEDaSW_SX_EUlSW_E_NS1_11comp_targetILNS1_3genE3ELNS1_11target_archE908ELNS1_3gpuE7ELNS1_3repE0EEENS1_30default_config_static_selectorELNS0_4arch9wavefront6targetE0EEEvT1_.has_recursion, 0
	.set _ZN7rocprim17ROCPRIM_400000_NS6detail17trampoline_kernelINS0_14default_configENS1_27scan_by_key_config_selectorIitEEZZNS1_16scan_by_key_implILNS1_25lookback_scan_determinismE0ELb0ES3_N6thrust23THRUST_200600_302600_NS6detail15normal_iteratorINS9_10device_ptrIiEEEENSB_INSC_ItEEEESG_tNS9_4plusIvEENS9_8equal_toIvEEtEE10hipError_tPvRmT2_T3_T4_T5_mT6_T7_P12ihipStream_tbENKUlT_T0_E_clISt17integral_constantIbLb0EES11_EEDaSW_SX_EUlSW_E_NS1_11comp_targetILNS1_3genE3ELNS1_11target_archE908ELNS1_3gpuE7ELNS1_3repE0EEENS1_30default_config_static_selectorELNS0_4arch9wavefront6targetE0EEEvT1_.has_indirect_call, 0
	.section	.AMDGPU.csdata,"",@progbits
; Kernel info:
; codeLenInByte = 0
; TotalNumSgprs: 0
; NumVgprs: 0
; ScratchSize: 0
; MemoryBound: 0
; FloatMode: 240
; IeeeMode: 1
; LDSByteSize: 0 bytes/workgroup (compile time only)
; SGPRBlocks: 0
; VGPRBlocks: 0
; NumSGPRsForWavesPerEU: 1
; NumVGPRsForWavesPerEU: 1
; NamedBarCnt: 0
; Occupancy: 16
; WaveLimiterHint : 0
; COMPUTE_PGM_RSRC2:SCRATCH_EN: 0
; COMPUTE_PGM_RSRC2:USER_SGPR: 2
; COMPUTE_PGM_RSRC2:TRAP_HANDLER: 0
; COMPUTE_PGM_RSRC2:TGID_X_EN: 1
; COMPUTE_PGM_RSRC2:TGID_Y_EN: 0
; COMPUTE_PGM_RSRC2:TGID_Z_EN: 0
; COMPUTE_PGM_RSRC2:TIDIG_COMP_CNT: 0
	.section	.text._ZN7rocprim17ROCPRIM_400000_NS6detail17trampoline_kernelINS0_14default_configENS1_27scan_by_key_config_selectorIitEEZZNS1_16scan_by_key_implILNS1_25lookback_scan_determinismE0ELb0ES3_N6thrust23THRUST_200600_302600_NS6detail15normal_iteratorINS9_10device_ptrIiEEEENSB_INSC_ItEEEESG_tNS9_4plusIvEENS9_8equal_toIvEEtEE10hipError_tPvRmT2_T3_T4_T5_mT6_T7_P12ihipStream_tbENKUlT_T0_E_clISt17integral_constantIbLb0EES11_EEDaSW_SX_EUlSW_E_NS1_11comp_targetILNS1_3genE2ELNS1_11target_archE906ELNS1_3gpuE6ELNS1_3repE0EEENS1_30default_config_static_selectorELNS0_4arch9wavefront6targetE0EEEvT1_,"axG",@progbits,_ZN7rocprim17ROCPRIM_400000_NS6detail17trampoline_kernelINS0_14default_configENS1_27scan_by_key_config_selectorIitEEZZNS1_16scan_by_key_implILNS1_25lookback_scan_determinismE0ELb0ES3_N6thrust23THRUST_200600_302600_NS6detail15normal_iteratorINS9_10device_ptrIiEEEENSB_INSC_ItEEEESG_tNS9_4plusIvEENS9_8equal_toIvEEtEE10hipError_tPvRmT2_T3_T4_T5_mT6_T7_P12ihipStream_tbENKUlT_T0_E_clISt17integral_constantIbLb0EES11_EEDaSW_SX_EUlSW_E_NS1_11comp_targetILNS1_3genE2ELNS1_11target_archE906ELNS1_3gpuE6ELNS1_3repE0EEENS1_30default_config_static_selectorELNS0_4arch9wavefront6targetE0EEEvT1_,comdat
	.protected	_ZN7rocprim17ROCPRIM_400000_NS6detail17trampoline_kernelINS0_14default_configENS1_27scan_by_key_config_selectorIitEEZZNS1_16scan_by_key_implILNS1_25lookback_scan_determinismE0ELb0ES3_N6thrust23THRUST_200600_302600_NS6detail15normal_iteratorINS9_10device_ptrIiEEEENSB_INSC_ItEEEESG_tNS9_4plusIvEENS9_8equal_toIvEEtEE10hipError_tPvRmT2_T3_T4_T5_mT6_T7_P12ihipStream_tbENKUlT_T0_E_clISt17integral_constantIbLb0EES11_EEDaSW_SX_EUlSW_E_NS1_11comp_targetILNS1_3genE2ELNS1_11target_archE906ELNS1_3gpuE6ELNS1_3repE0EEENS1_30default_config_static_selectorELNS0_4arch9wavefront6targetE0EEEvT1_ ; -- Begin function _ZN7rocprim17ROCPRIM_400000_NS6detail17trampoline_kernelINS0_14default_configENS1_27scan_by_key_config_selectorIitEEZZNS1_16scan_by_key_implILNS1_25lookback_scan_determinismE0ELb0ES3_N6thrust23THRUST_200600_302600_NS6detail15normal_iteratorINS9_10device_ptrIiEEEENSB_INSC_ItEEEESG_tNS9_4plusIvEENS9_8equal_toIvEEtEE10hipError_tPvRmT2_T3_T4_T5_mT6_T7_P12ihipStream_tbENKUlT_T0_E_clISt17integral_constantIbLb0EES11_EEDaSW_SX_EUlSW_E_NS1_11comp_targetILNS1_3genE2ELNS1_11target_archE906ELNS1_3gpuE6ELNS1_3repE0EEENS1_30default_config_static_selectorELNS0_4arch9wavefront6targetE0EEEvT1_
	.globl	_ZN7rocprim17ROCPRIM_400000_NS6detail17trampoline_kernelINS0_14default_configENS1_27scan_by_key_config_selectorIitEEZZNS1_16scan_by_key_implILNS1_25lookback_scan_determinismE0ELb0ES3_N6thrust23THRUST_200600_302600_NS6detail15normal_iteratorINS9_10device_ptrIiEEEENSB_INSC_ItEEEESG_tNS9_4plusIvEENS9_8equal_toIvEEtEE10hipError_tPvRmT2_T3_T4_T5_mT6_T7_P12ihipStream_tbENKUlT_T0_E_clISt17integral_constantIbLb0EES11_EEDaSW_SX_EUlSW_E_NS1_11comp_targetILNS1_3genE2ELNS1_11target_archE906ELNS1_3gpuE6ELNS1_3repE0EEENS1_30default_config_static_selectorELNS0_4arch9wavefront6targetE0EEEvT1_
	.p2align	8
	.type	_ZN7rocprim17ROCPRIM_400000_NS6detail17trampoline_kernelINS0_14default_configENS1_27scan_by_key_config_selectorIitEEZZNS1_16scan_by_key_implILNS1_25lookback_scan_determinismE0ELb0ES3_N6thrust23THRUST_200600_302600_NS6detail15normal_iteratorINS9_10device_ptrIiEEEENSB_INSC_ItEEEESG_tNS9_4plusIvEENS9_8equal_toIvEEtEE10hipError_tPvRmT2_T3_T4_T5_mT6_T7_P12ihipStream_tbENKUlT_T0_E_clISt17integral_constantIbLb0EES11_EEDaSW_SX_EUlSW_E_NS1_11comp_targetILNS1_3genE2ELNS1_11target_archE906ELNS1_3gpuE6ELNS1_3repE0EEENS1_30default_config_static_selectorELNS0_4arch9wavefront6targetE0EEEvT1_,@function
_ZN7rocprim17ROCPRIM_400000_NS6detail17trampoline_kernelINS0_14default_configENS1_27scan_by_key_config_selectorIitEEZZNS1_16scan_by_key_implILNS1_25lookback_scan_determinismE0ELb0ES3_N6thrust23THRUST_200600_302600_NS6detail15normal_iteratorINS9_10device_ptrIiEEEENSB_INSC_ItEEEESG_tNS9_4plusIvEENS9_8equal_toIvEEtEE10hipError_tPvRmT2_T3_T4_T5_mT6_T7_P12ihipStream_tbENKUlT_T0_E_clISt17integral_constantIbLb0EES11_EEDaSW_SX_EUlSW_E_NS1_11comp_targetILNS1_3genE2ELNS1_11target_archE906ELNS1_3gpuE6ELNS1_3repE0EEENS1_30default_config_static_selectorELNS0_4arch9wavefront6targetE0EEEvT1_: ; @_ZN7rocprim17ROCPRIM_400000_NS6detail17trampoline_kernelINS0_14default_configENS1_27scan_by_key_config_selectorIitEEZZNS1_16scan_by_key_implILNS1_25lookback_scan_determinismE0ELb0ES3_N6thrust23THRUST_200600_302600_NS6detail15normal_iteratorINS9_10device_ptrIiEEEENSB_INSC_ItEEEESG_tNS9_4plusIvEENS9_8equal_toIvEEtEE10hipError_tPvRmT2_T3_T4_T5_mT6_T7_P12ihipStream_tbENKUlT_T0_E_clISt17integral_constantIbLb0EES11_EEDaSW_SX_EUlSW_E_NS1_11comp_targetILNS1_3genE2ELNS1_11target_archE906ELNS1_3gpuE6ELNS1_3repE0EEENS1_30default_config_static_selectorELNS0_4arch9wavefront6targetE0EEEvT1_
; %bb.0:
	.section	.rodata,"a",@progbits
	.p2align	6, 0x0
	.amdhsa_kernel _ZN7rocprim17ROCPRIM_400000_NS6detail17trampoline_kernelINS0_14default_configENS1_27scan_by_key_config_selectorIitEEZZNS1_16scan_by_key_implILNS1_25lookback_scan_determinismE0ELb0ES3_N6thrust23THRUST_200600_302600_NS6detail15normal_iteratorINS9_10device_ptrIiEEEENSB_INSC_ItEEEESG_tNS9_4plusIvEENS9_8equal_toIvEEtEE10hipError_tPvRmT2_T3_T4_T5_mT6_T7_P12ihipStream_tbENKUlT_T0_E_clISt17integral_constantIbLb0EES11_EEDaSW_SX_EUlSW_E_NS1_11comp_targetILNS1_3genE2ELNS1_11target_archE906ELNS1_3gpuE6ELNS1_3repE0EEENS1_30default_config_static_selectorELNS0_4arch9wavefront6targetE0EEEvT1_
		.amdhsa_group_segment_fixed_size 0
		.amdhsa_private_segment_fixed_size 0
		.amdhsa_kernarg_size 112
		.amdhsa_user_sgpr_count 2
		.amdhsa_user_sgpr_dispatch_ptr 0
		.amdhsa_user_sgpr_queue_ptr 0
		.amdhsa_user_sgpr_kernarg_segment_ptr 1
		.amdhsa_user_sgpr_dispatch_id 0
		.amdhsa_user_sgpr_kernarg_preload_length 0
		.amdhsa_user_sgpr_kernarg_preload_offset 0
		.amdhsa_user_sgpr_private_segment_size 0
		.amdhsa_wavefront_size32 1
		.amdhsa_uses_dynamic_stack 0
		.amdhsa_enable_private_segment 0
		.amdhsa_system_sgpr_workgroup_id_x 1
		.amdhsa_system_sgpr_workgroup_id_y 0
		.amdhsa_system_sgpr_workgroup_id_z 0
		.amdhsa_system_sgpr_workgroup_info 0
		.amdhsa_system_vgpr_workitem_id 0
		.amdhsa_next_free_vgpr 1
		.amdhsa_next_free_sgpr 1
		.amdhsa_named_barrier_count 0
		.amdhsa_reserve_vcc 0
		.amdhsa_float_round_mode_32 0
		.amdhsa_float_round_mode_16_64 0
		.amdhsa_float_denorm_mode_32 3
		.amdhsa_float_denorm_mode_16_64 3
		.amdhsa_fp16_overflow 0
		.amdhsa_memory_ordered 1
		.amdhsa_forward_progress 1
		.amdhsa_inst_pref_size 0
		.amdhsa_round_robin_scheduling 0
		.amdhsa_exception_fp_ieee_invalid_op 0
		.amdhsa_exception_fp_denorm_src 0
		.amdhsa_exception_fp_ieee_div_zero 0
		.amdhsa_exception_fp_ieee_overflow 0
		.amdhsa_exception_fp_ieee_underflow 0
		.amdhsa_exception_fp_ieee_inexact 0
		.amdhsa_exception_int_div_zero 0
	.end_amdhsa_kernel
	.section	.text._ZN7rocprim17ROCPRIM_400000_NS6detail17trampoline_kernelINS0_14default_configENS1_27scan_by_key_config_selectorIitEEZZNS1_16scan_by_key_implILNS1_25lookback_scan_determinismE0ELb0ES3_N6thrust23THRUST_200600_302600_NS6detail15normal_iteratorINS9_10device_ptrIiEEEENSB_INSC_ItEEEESG_tNS9_4plusIvEENS9_8equal_toIvEEtEE10hipError_tPvRmT2_T3_T4_T5_mT6_T7_P12ihipStream_tbENKUlT_T0_E_clISt17integral_constantIbLb0EES11_EEDaSW_SX_EUlSW_E_NS1_11comp_targetILNS1_3genE2ELNS1_11target_archE906ELNS1_3gpuE6ELNS1_3repE0EEENS1_30default_config_static_selectorELNS0_4arch9wavefront6targetE0EEEvT1_,"axG",@progbits,_ZN7rocprim17ROCPRIM_400000_NS6detail17trampoline_kernelINS0_14default_configENS1_27scan_by_key_config_selectorIitEEZZNS1_16scan_by_key_implILNS1_25lookback_scan_determinismE0ELb0ES3_N6thrust23THRUST_200600_302600_NS6detail15normal_iteratorINS9_10device_ptrIiEEEENSB_INSC_ItEEEESG_tNS9_4plusIvEENS9_8equal_toIvEEtEE10hipError_tPvRmT2_T3_T4_T5_mT6_T7_P12ihipStream_tbENKUlT_T0_E_clISt17integral_constantIbLb0EES11_EEDaSW_SX_EUlSW_E_NS1_11comp_targetILNS1_3genE2ELNS1_11target_archE906ELNS1_3gpuE6ELNS1_3repE0EEENS1_30default_config_static_selectorELNS0_4arch9wavefront6targetE0EEEvT1_,comdat
.Lfunc_end1272:
	.size	_ZN7rocprim17ROCPRIM_400000_NS6detail17trampoline_kernelINS0_14default_configENS1_27scan_by_key_config_selectorIitEEZZNS1_16scan_by_key_implILNS1_25lookback_scan_determinismE0ELb0ES3_N6thrust23THRUST_200600_302600_NS6detail15normal_iteratorINS9_10device_ptrIiEEEENSB_INSC_ItEEEESG_tNS9_4plusIvEENS9_8equal_toIvEEtEE10hipError_tPvRmT2_T3_T4_T5_mT6_T7_P12ihipStream_tbENKUlT_T0_E_clISt17integral_constantIbLb0EES11_EEDaSW_SX_EUlSW_E_NS1_11comp_targetILNS1_3genE2ELNS1_11target_archE906ELNS1_3gpuE6ELNS1_3repE0EEENS1_30default_config_static_selectorELNS0_4arch9wavefront6targetE0EEEvT1_, .Lfunc_end1272-_ZN7rocprim17ROCPRIM_400000_NS6detail17trampoline_kernelINS0_14default_configENS1_27scan_by_key_config_selectorIitEEZZNS1_16scan_by_key_implILNS1_25lookback_scan_determinismE0ELb0ES3_N6thrust23THRUST_200600_302600_NS6detail15normal_iteratorINS9_10device_ptrIiEEEENSB_INSC_ItEEEESG_tNS9_4plusIvEENS9_8equal_toIvEEtEE10hipError_tPvRmT2_T3_T4_T5_mT6_T7_P12ihipStream_tbENKUlT_T0_E_clISt17integral_constantIbLb0EES11_EEDaSW_SX_EUlSW_E_NS1_11comp_targetILNS1_3genE2ELNS1_11target_archE906ELNS1_3gpuE6ELNS1_3repE0EEENS1_30default_config_static_selectorELNS0_4arch9wavefront6targetE0EEEvT1_
                                        ; -- End function
	.set _ZN7rocprim17ROCPRIM_400000_NS6detail17trampoline_kernelINS0_14default_configENS1_27scan_by_key_config_selectorIitEEZZNS1_16scan_by_key_implILNS1_25lookback_scan_determinismE0ELb0ES3_N6thrust23THRUST_200600_302600_NS6detail15normal_iteratorINS9_10device_ptrIiEEEENSB_INSC_ItEEEESG_tNS9_4plusIvEENS9_8equal_toIvEEtEE10hipError_tPvRmT2_T3_T4_T5_mT6_T7_P12ihipStream_tbENKUlT_T0_E_clISt17integral_constantIbLb0EES11_EEDaSW_SX_EUlSW_E_NS1_11comp_targetILNS1_3genE2ELNS1_11target_archE906ELNS1_3gpuE6ELNS1_3repE0EEENS1_30default_config_static_selectorELNS0_4arch9wavefront6targetE0EEEvT1_.num_vgpr, 0
	.set _ZN7rocprim17ROCPRIM_400000_NS6detail17trampoline_kernelINS0_14default_configENS1_27scan_by_key_config_selectorIitEEZZNS1_16scan_by_key_implILNS1_25lookback_scan_determinismE0ELb0ES3_N6thrust23THRUST_200600_302600_NS6detail15normal_iteratorINS9_10device_ptrIiEEEENSB_INSC_ItEEEESG_tNS9_4plusIvEENS9_8equal_toIvEEtEE10hipError_tPvRmT2_T3_T4_T5_mT6_T7_P12ihipStream_tbENKUlT_T0_E_clISt17integral_constantIbLb0EES11_EEDaSW_SX_EUlSW_E_NS1_11comp_targetILNS1_3genE2ELNS1_11target_archE906ELNS1_3gpuE6ELNS1_3repE0EEENS1_30default_config_static_selectorELNS0_4arch9wavefront6targetE0EEEvT1_.num_agpr, 0
	.set _ZN7rocprim17ROCPRIM_400000_NS6detail17trampoline_kernelINS0_14default_configENS1_27scan_by_key_config_selectorIitEEZZNS1_16scan_by_key_implILNS1_25lookback_scan_determinismE0ELb0ES3_N6thrust23THRUST_200600_302600_NS6detail15normal_iteratorINS9_10device_ptrIiEEEENSB_INSC_ItEEEESG_tNS9_4plusIvEENS9_8equal_toIvEEtEE10hipError_tPvRmT2_T3_T4_T5_mT6_T7_P12ihipStream_tbENKUlT_T0_E_clISt17integral_constantIbLb0EES11_EEDaSW_SX_EUlSW_E_NS1_11comp_targetILNS1_3genE2ELNS1_11target_archE906ELNS1_3gpuE6ELNS1_3repE0EEENS1_30default_config_static_selectorELNS0_4arch9wavefront6targetE0EEEvT1_.numbered_sgpr, 0
	.set _ZN7rocprim17ROCPRIM_400000_NS6detail17trampoline_kernelINS0_14default_configENS1_27scan_by_key_config_selectorIitEEZZNS1_16scan_by_key_implILNS1_25lookback_scan_determinismE0ELb0ES3_N6thrust23THRUST_200600_302600_NS6detail15normal_iteratorINS9_10device_ptrIiEEEENSB_INSC_ItEEEESG_tNS9_4plusIvEENS9_8equal_toIvEEtEE10hipError_tPvRmT2_T3_T4_T5_mT6_T7_P12ihipStream_tbENKUlT_T0_E_clISt17integral_constantIbLb0EES11_EEDaSW_SX_EUlSW_E_NS1_11comp_targetILNS1_3genE2ELNS1_11target_archE906ELNS1_3gpuE6ELNS1_3repE0EEENS1_30default_config_static_selectorELNS0_4arch9wavefront6targetE0EEEvT1_.num_named_barrier, 0
	.set _ZN7rocprim17ROCPRIM_400000_NS6detail17trampoline_kernelINS0_14default_configENS1_27scan_by_key_config_selectorIitEEZZNS1_16scan_by_key_implILNS1_25lookback_scan_determinismE0ELb0ES3_N6thrust23THRUST_200600_302600_NS6detail15normal_iteratorINS9_10device_ptrIiEEEENSB_INSC_ItEEEESG_tNS9_4plusIvEENS9_8equal_toIvEEtEE10hipError_tPvRmT2_T3_T4_T5_mT6_T7_P12ihipStream_tbENKUlT_T0_E_clISt17integral_constantIbLb0EES11_EEDaSW_SX_EUlSW_E_NS1_11comp_targetILNS1_3genE2ELNS1_11target_archE906ELNS1_3gpuE6ELNS1_3repE0EEENS1_30default_config_static_selectorELNS0_4arch9wavefront6targetE0EEEvT1_.private_seg_size, 0
	.set _ZN7rocprim17ROCPRIM_400000_NS6detail17trampoline_kernelINS0_14default_configENS1_27scan_by_key_config_selectorIitEEZZNS1_16scan_by_key_implILNS1_25lookback_scan_determinismE0ELb0ES3_N6thrust23THRUST_200600_302600_NS6detail15normal_iteratorINS9_10device_ptrIiEEEENSB_INSC_ItEEEESG_tNS9_4plusIvEENS9_8equal_toIvEEtEE10hipError_tPvRmT2_T3_T4_T5_mT6_T7_P12ihipStream_tbENKUlT_T0_E_clISt17integral_constantIbLb0EES11_EEDaSW_SX_EUlSW_E_NS1_11comp_targetILNS1_3genE2ELNS1_11target_archE906ELNS1_3gpuE6ELNS1_3repE0EEENS1_30default_config_static_selectorELNS0_4arch9wavefront6targetE0EEEvT1_.uses_vcc, 0
	.set _ZN7rocprim17ROCPRIM_400000_NS6detail17trampoline_kernelINS0_14default_configENS1_27scan_by_key_config_selectorIitEEZZNS1_16scan_by_key_implILNS1_25lookback_scan_determinismE0ELb0ES3_N6thrust23THRUST_200600_302600_NS6detail15normal_iteratorINS9_10device_ptrIiEEEENSB_INSC_ItEEEESG_tNS9_4plusIvEENS9_8equal_toIvEEtEE10hipError_tPvRmT2_T3_T4_T5_mT6_T7_P12ihipStream_tbENKUlT_T0_E_clISt17integral_constantIbLb0EES11_EEDaSW_SX_EUlSW_E_NS1_11comp_targetILNS1_3genE2ELNS1_11target_archE906ELNS1_3gpuE6ELNS1_3repE0EEENS1_30default_config_static_selectorELNS0_4arch9wavefront6targetE0EEEvT1_.uses_flat_scratch, 0
	.set _ZN7rocprim17ROCPRIM_400000_NS6detail17trampoline_kernelINS0_14default_configENS1_27scan_by_key_config_selectorIitEEZZNS1_16scan_by_key_implILNS1_25lookback_scan_determinismE0ELb0ES3_N6thrust23THRUST_200600_302600_NS6detail15normal_iteratorINS9_10device_ptrIiEEEENSB_INSC_ItEEEESG_tNS9_4plusIvEENS9_8equal_toIvEEtEE10hipError_tPvRmT2_T3_T4_T5_mT6_T7_P12ihipStream_tbENKUlT_T0_E_clISt17integral_constantIbLb0EES11_EEDaSW_SX_EUlSW_E_NS1_11comp_targetILNS1_3genE2ELNS1_11target_archE906ELNS1_3gpuE6ELNS1_3repE0EEENS1_30default_config_static_selectorELNS0_4arch9wavefront6targetE0EEEvT1_.has_dyn_sized_stack, 0
	.set _ZN7rocprim17ROCPRIM_400000_NS6detail17trampoline_kernelINS0_14default_configENS1_27scan_by_key_config_selectorIitEEZZNS1_16scan_by_key_implILNS1_25lookback_scan_determinismE0ELb0ES3_N6thrust23THRUST_200600_302600_NS6detail15normal_iteratorINS9_10device_ptrIiEEEENSB_INSC_ItEEEESG_tNS9_4plusIvEENS9_8equal_toIvEEtEE10hipError_tPvRmT2_T3_T4_T5_mT6_T7_P12ihipStream_tbENKUlT_T0_E_clISt17integral_constantIbLb0EES11_EEDaSW_SX_EUlSW_E_NS1_11comp_targetILNS1_3genE2ELNS1_11target_archE906ELNS1_3gpuE6ELNS1_3repE0EEENS1_30default_config_static_selectorELNS0_4arch9wavefront6targetE0EEEvT1_.has_recursion, 0
	.set _ZN7rocprim17ROCPRIM_400000_NS6detail17trampoline_kernelINS0_14default_configENS1_27scan_by_key_config_selectorIitEEZZNS1_16scan_by_key_implILNS1_25lookback_scan_determinismE0ELb0ES3_N6thrust23THRUST_200600_302600_NS6detail15normal_iteratorINS9_10device_ptrIiEEEENSB_INSC_ItEEEESG_tNS9_4plusIvEENS9_8equal_toIvEEtEE10hipError_tPvRmT2_T3_T4_T5_mT6_T7_P12ihipStream_tbENKUlT_T0_E_clISt17integral_constantIbLb0EES11_EEDaSW_SX_EUlSW_E_NS1_11comp_targetILNS1_3genE2ELNS1_11target_archE906ELNS1_3gpuE6ELNS1_3repE0EEENS1_30default_config_static_selectorELNS0_4arch9wavefront6targetE0EEEvT1_.has_indirect_call, 0
	.section	.AMDGPU.csdata,"",@progbits
; Kernel info:
; codeLenInByte = 0
; TotalNumSgprs: 0
; NumVgprs: 0
; ScratchSize: 0
; MemoryBound: 0
; FloatMode: 240
; IeeeMode: 1
; LDSByteSize: 0 bytes/workgroup (compile time only)
; SGPRBlocks: 0
; VGPRBlocks: 0
; NumSGPRsForWavesPerEU: 1
; NumVGPRsForWavesPerEU: 1
; NamedBarCnt: 0
; Occupancy: 16
; WaveLimiterHint : 0
; COMPUTE_PGM_RSRC2:SCRATCH_EN: 0
; COMPUTE_PGM_RSRC2:USER_SGPR: 2
; COMPUTE_PGM_RSRC2:TRAP_HANDLER: 0
; COMPUTE_PGM_RSRC2:TGID_X_EN: 1
; COMPUTE_PGM_RSRC2:TGID_Y_EN: 0
; COMPUTE_PGM_RSRC2:TGID_Z_EN: 0
; COMPUTE_PGM_RSRC2:TIDIG_COMP_CNT: 0
	.section	.text._ZN7rocprim17ROCPRIM_400000_NS6detail17trampoline_kernelINS0_14default_configENS1_27scan_by_key_config_selectorIitEEZZNS1_16scan_by_key_implILNS1_25lookback_scan_determinismE0ELb0ES3_N6thrust23THRUST_200600_302600_NS6detail15normal_iteratorINS9_10device_ptrIiEEEENSB_INSC_ItEEEESG_tNS9_4plusIvEENS9_8equal_toIvEEtEE10hipError_tPvRmT2_T3_T4_T5_mT6_T7_P12ihipStream_tbENKUlT_T0_E_clISt17integral_constantIbLb0EES11_EEDaSW_SX_EUlSW_E_NS1_11comp_targetILNS1_3genE10ELNS1_11target_archE1200ELNS1_3gpuE4ELNS1_3repE0EEENS1_30default_config_static_selectorELNS0_4arch9wavefront6targetE0EEEvT1_,"axG",@progbits,_ZN7rocprim17ROCPRIM_400000_NS6detail17trampoline_kernelINS0_14default_configENS1_27scan_by_key_config_selectorIitEEZZNS1_16scan_by_key_implILNS1_25lookback_scan_determinismE0ELb0ES3_N6thrust23THRUST_200600_302600_NS6detail15normal_iteratorINS9_10device_ptrIiEEEENSB_INSC_ItEEEESG_tNS9_4plusIvEENS9_8equal_toIvEEtEE10hipError_tPvRmT2_T3_T4_T5_mT6_T7_P12ihipStream_tbENKUlT_T0_E_clISt17integral_constantIbLb0EES11_EEDaSW_SX_EUlSW_E_NS1_11comp_targetILNS1_3genE10ELNS1_11target_archE1200ELNS1_3gpuE4ELNS1_3repE0EEENS1_30default_config_static_selectorELNS0_4arch9wavefront6targetE0EEEvT1_,comdat
	.protected	_ZN7rocprim17ROCPRIM_400000_NS6detail17trampoline_kernelINS0_14default_configENS1_27scan_by_key_config_selectorIitEEZZNS1_16scan_by_key_implILNS1_25lookback_scan_determinismE0ELb0ES3_N6thrust23THRUST_200600_302600_NS6detail15normal_iteratorINS9_10device_ptrIiEEEENSB_INSC_ItEEEESG_tNS9_4plusIvEENS9_8equal_toIvEEtEE10hipError_tPvRmT2_T3_T4_T5_mT6_T7_P12ihipStream_tbENKUlT_T0_E_clISt17integral_constantIbLb0EES11_EEDaSW_SX_EUlSW_E_NS1_11comp_targetILNS1_3genE10ELNS1_11target_archE1200ELNS1_3gpuE4ELNS1_3repE0EEENS1_30default_config_static_selectorELNS0_4arch9wavefront6targetE0EEEvT1_ ; -- Begin function _ZN7rocprim17ROCPRIM_400000_NS6detail17trampoline_kernelINS0_14default_configENS1_27scan_by_key_config_selectorIitEEZZNS1_16scan_by_key_implILNS1_25lookback_scan_determinismE0ELb0ES3_N6thrust23THRUST_200600_302600_NS6detail15normal_iteratorINS9_10device_ptrIiEEEENSB_INSC_ItEEEESG_tNS9_4plusIvEENS9_8equal_toIvEEtEE10hipError_tPvRmT2_T3_T4_T5_mT6_T7_P12ihipStream_tbENKUlT_T0_E_clISt17integral_constantIbLb0EES11_EEDaSW_SX_EUlSW_E_NS1_11comp_targetILNS1_3genE10ELNS1_11target_archE1200ELNS1_3gpuE4ELNS1_3repE0EEENS1_30default_config_static_selectorELNS0_4arch9wavefront6targetE0EEEvT1_
	.globl	_ZN7rocprim17ROCPRIM_400000_NS6detail17trampoline_kernelINS0_14default_configENS1_27scan_by_key_config_selectorIitEEZZNS1_16scan_by_key_implILNS1_25lookback_scan_determinismE0ELb0ES3_N6thrust23THRUST_200600_302600_NS6detail15normal_iteratorINS9_10device_ptrIiEEEENSB_INSC_ItEEEESG_tNS9_4plusIvEENS9_8equal_toIvEEtEE10hipError_tPvRmT2_T3_T4_T5_mT6_T7_P12ihipStream_tbENKUlT_T0_E_clISt17integral_constantIbLb0EES11_EEDaSW_SX_EUlSW_E_NS1_11comp_targetILNS1_3genE10ELNS1_11target_archE1200ELNS1_3gpuE4ELNS1_3repE0EEENS1_30default_config_static_selectorELNS0_4arch9wavefront6targetE0EEEvT1_
	.p2align	8
	.type	_ZN7rocprim17ROCPRIM_400000_NS6detail17trampoline_kernelINS0_14default_configENS1_27scan_by_key_config_selectorIitEEZZNS1_16scan_by_key_implILNS1_25lookback_scan_determinismE0ELb0ES3_N6thrust23THRUST_200600_302600_NS6detail15normal_iteratorINS9_10device_ptrIiEEEENSB_INSC_ItEEEESG_tNS9_4plusIvEENS9_8equal_toIvEEtEE10hipError_tPvRmT2_T3_T4_T5_mT6_T7_P12ihipStream_tbENKUlT_T0_E_clISt17integral_constantIbLb0EES11_EEDaSW_SX_EUlSW_E_NS1_11comp_targetILNS1_3genE10ELNS1_11target_archE1200ELNS1_3gpuE4ELNS1_3repE0EEENS1_30default_config_static_selectorELNS0_4arch9wavefront6targetE0EEEvT1_,@function
_ZN7rocprim17ROCPRIM_400000_NS6detail17trampoline_kernelINS0_14default_configENS1_27scan_by_key_config_selectorIitEEZZNS1_16scan_by_key_implILNS1_25lookback_scan_determinismE0ELb0ES3_N6thrust23THRUST_200600_302600_NS6detail15normal_iteratorINS9_10device_ptrIiEEEENSB_INSC_ItEEEESG_tNS9_4plusIvEENS9_8equal_toIvEEtEE10hipError_tPvRmT2_T3_T4_T5_mT6_T7_P12ihipStream_tbENKUlT_T0_E_clISt17integral_constantIbLb0EES11_EEDaSW_SX_EUlSW_E_NS1_11comp_targetILNS1_3genE10ELNS1_11target_archE1200ELNS1_3gpuE4ELNS1_3repE0EEENS1_30default_config_static_selectorELNS0_4arch9wavefront6targetE0EEEvT1_: ; @_ZN7rocprim17ROCPRIM_400000_NS6detail17trampoline_kernelINS0_14default_configENS1_27scan_by_key_config_selectorIitEEZZNS1_16scan_by_key_implILNS1_25lookback_scan_determinismE0ELb0ES3_N6thrust23THRUST_200600_302600_NS6detail15normal_iteratorINS9_10device_ptrIiEEEENSB_INSC_ItEEEESG_tNS9_4plusIvEENS9_8equal_toIvEEtEE10hipError_tPvRmT2_T3_T4_T5_mT6_T7_P12ihipStream_tbENKUlT_T0_E_clISt17integral_constantIbLb0EES11_EEDaSW_SX_EUlSW_E_NS1_11comp_targetILNS1_3genE10ELNS1_11target_archE1200ELNS1_3gpuE4ELNS1_3repE0EEENS1_30default_config_static_selectorELNS0_4arch9wavefront6targetE0EEEvT1_
; %bb.0:
	.section	.rodata,"a",@progbits
	.p2align	6, 0x0
	.amdhsa_kernel _ZN7rocprim17ROCPRIM_400000_NS6detail17trampoline_kernelINS0_14default_configENS1_27scan_by_key_config_selectorIitEEZZNS1_16scan_by_key_implILNS1_25lookback_scan_determinismE0ELb0ES3_N6thrust23THRUST_200600_302600_NS6detail15normal_iteratorINS9_10device_ptrIiEEEENSB_INSC_ItEEEESG_tNS9_4plusIvEENS9_8equal_toIvEEtEE10hipError_tPvRmT2_T3_T4_T5_mT6_T7_P12ihipStream_tbENKUlT_T0_E_clISt17integral_constantIbLb0EES11_EEDaSW_SX_EUlSW_E_NS1_11comp_targetILNS1_3genE10ELNS1_11target_archE1200ELNS1_3gpuE4ELNS1_3repE0EEENS1_30default_config_static_selectorELNS0_4arch9wavefront6targetE0EEEvT1_
		.amdhsa_group_segment_fixed_size 0
		.amdhsa_private_segment_fixed_size 0
		.amdhsa_kernarg_size 112
		.amdhsa_user_sgpr_count 2
		.amdhsa_user_sgpr_dispatch_ptr 0
		.amdhsa_user_sgpr_queue_ptr 0
		.amdhsa_user_sgpr_kernarg_segment_ptr 1
		.amdhsa_user_sgpr_dispatch_id 0
		.amdhsa_user_sgpr_kernarg_preload_length 0
		.amdhsa_user_sgpr_kernarg_preload_offset 0
		.amdhsa_user_sgpr_private_segment_size 0
		.amdhsa_wavefront_size32 1
		.amdhsa_uses_dynamic_stack 0
		.amdhsa_enable_private_segment 0
		.amdhsa_system_sgpr_workgroup_id_x 1
		.amdhsa_system_sgpr_workgroup_id_y 0
		.amdhsa_system_sgpr_workgroup_id_z 0
		.amdhsa_system_sgpr_workgroup_info 0
		.amdhsa_system_vgpr_workitem_id 0
		.amdhsa_next_free_vgpr 1
		.amdhsa_next_free_sgpr 1
		.amdhsa_named_barrier_count 0
		.amdhsa_reserve_vcc 0
		.amdhsa_float_round_mode_32 0
		.amdhsa_float_round_mode_16_64 0
		.amdhsa_float_denorm_mode_32 3
		.amdhsa_float_denorm_mode_16_64 3
		.amdhsa_fp16_overflow 0
		.amdhsa_memory_ordered 1
		.amdhsa_forward_progress 1
		.amdhsa_inst_pref_size 0
		.amdhsa_round_robin_scheduling 0
		.amdhsa_exception_fp_ieee_invalid_op 0
		.amdhsa_exception_fp_denorm_src 0
		.amdhsa_exception_fp_ieee_div_zero 0
		.amdhsa_exception_fp_ieee_overflow 0
		.amdhsa_exception_fp_ieee_underflow 0
		.amdhsa_exception_fp_ieee_inexact 0
		.amdhsa_exception_int_div_zero 0
	.end_amdhsa_kernel
	.section	.text._ZN7rocprim17ROCPRIM_400000_NS6detail17trampoline_kernelINS0_14default_configENS1_27scan_by_key_config_selectorIitEEZZNS1_16scan_by_key_implILNS1_25lookback_scan_determinismE0ELb0ES3_N6thrust23THRUST_200600_302600_NS6detail15normal_iteratorINS9_10device_ptrIiEEEENSB_INSC_ItEEEESG_tNS9_4plusIvEENS9_8equal_toIvEEtEE10hipError_tPvRmT2_T3_T4_T5_mT6_T7_P12ihipStream_tbENKUlT_T0_E_clISt17integral_constantIbLb0EES11_EEDaSW_SX_EUlSW_E_NS1_11comp_targetILNS1_3genE10ELNS1_11target_archE1200ELNS1_3gpuE4ELNS1_3repE0EEENS1_30default_config_static_selectorELNS0_4arch9wavefront6targetE0EEEvT1_,"axG",@progbits,_ZN7rocprim17ROCPRIM_400000_NS6detail17trampoline_kernelINS0_14default_configENS1_27scan_by_key_config_selectorIitEEZZNS1_16scan_by_key_implILNS1_25lookback_scan_determinismE0ELb0ES3_N6thrust23THRUST_200600_302600_NS6detail15normal_iteratorINS9_10device_ptrIiEEEENSB_INSC_ItEEEESG_tNS9_4plusIvEENS9_8equal_toIvEEtEE10hipError_tPvRmT2_T3_T4_T5_mT6_T7_P12ihipStream_tbENKUlT_T0_E_clISt17integral_constantIbLb0EES11_EEDaSW_SX_EUlSW_E_NS1_11comp_targetILNS1_3genE10ELNS1_11target_archE1200ELNS1_3gpuE4ELNS1_3repE0EEENS1_30default_config_static_selectorELNS0_4arch9wavefront6targetE0EEEvT1_,comdat
.Lfunc_end1273:
	.size	_ZN7rocprim17ROCPRIM_400000_NS6detail17trampoline_kernelINS0_14default_configENS1_27scan_by_key_config_selectorIitEEZZNS1_16scan_by_key_implILNS1_25lookback_scan_determinismE0ELb0ES3_N6thrust23THRUST_200600_302600_NS6detail15normal_iteratorINS9_10device_ptrIiEEEENSB_INSC_ItEEEESG_tNS9_4plusIvEENS9_8equal_toIvEEtEE10hipError_tPvRmT2_T3_T4_T5_mT6_T7_P12ihipStream_tbENKUlT_T0_E_clISt17integral_constantIbLb0EES11_EEDaSW_SX_EUlSW_E_NS1_11comp_targetILNS1_3genE10ELNS1_11target_archE1200ELNS1_3gpuE4ELNS1_3repE0EEENS1_30default_config_static_selectorELNS0_4arch9wavefront6targetE0EEEvT1_, .Lfunc_end1273-_ZN7rocprim17ROCPRIM_400000_NS6detail17trampoline_kernelINS0_14default_configENS1_27scan_by_key_config_selectorIitEEZZNS1_16scan_by_key_implILNS1_25lookback_scan_determinismE0ELb0ES3_N6thrust23THRUST_200600_302600_NS6detail15normal_iteratorINS9_10device_ptrIiEEEENSB_INSC_ItEEEESG_tNS9_4plusIvEENS9_8equal_toIvEEtEE10hipError_tPvRmT2_T3_T4_T5_mT6_T7_P12ihipStream_tbENKUlT_T0_E_clISt17integral_constantIbLb0EES11_EEDaSW_SX_EUlSW_E_NS1_11comp_targetILNS1_3genE10ELNS1_11target_archE1200ELNS1_3gpuE4ELNS1_3repE0EEENS1_30default_config_static_selectorELNS0_4arch9wavefront6targetE0EEEvT1_
                                        ; -- End function
	.set _ZN7rocprim17ROCPRIM_400000_NS6detail17trampoline_kernelINS0_14default_configENS1_27scan_by_key_config_selectorIitEEZZNS1_16scan_by_key_implILNS1_25lookback_scan_determinismE0ELb0ES3_N6thrust23THRUST_200600_302600_NS6detail15normal_iteratorINS9_10device_ptrIiEEEENSB_INSC_ItEEEESG_tNS9_4plusIvEENS9_8equal_toIvEEtEE10hipError_tPvRmT2_T3_T4_T5_mT6_T7_P12ihipStream_tbENKUlT_T0_E_clISt17integral_constantIbLb0EES11_EEDaSW_SX_EUlSW_E_NS1_11comp_targetILNS1_3genE10ELNS1_11target_archE1200ELNS1_3gpuE4ELNS1_3repE0EEENS1_30default_config_static_selectorELNS0_4arch9wavefront6targetE0EEEvT1_.num_vgpr, 0
	.set _ZN7rocprim17ROCPRIM_400000_NS6detail17trampoline_kernelINS0_14default_configENS1_27scan_by_key_config_selectorIitEEZZNS1_16scan_by_key_implILNS1_25lookback_scan_determinismE0ELb0ES3_N6thrust23THRUST_200600_302600_NS6detail15normal_iteratorINS9_10device_ptrIiEEEENSB_INSC_ItEEEESG_tNS9_4plusIvEENS9_8equal_toIvEEtEE10hipError_tPvRmT2_T3_T4_T5_mT6_T7_P12ihipStream_tbENKUlT_T0_E_clISt17integral_constantIbLb0EES11_EEDaSW_SX_EUlSW_E_NS1_11comp_targetILNS1_3genE10ELNS1_11target_archE1200ELNS1_3gpuE4ELNS1_3repE0EEENS1_30default_config_static_selectorELNS0_4arch9wavefront6targetE0EEEvT1_.num_agpr, 0
	.set _ZN7rocprim17ROCPRIM_400000_NS6detail17trampoline_kernelINS0_14default_configENS1_27scan_by_key_config_selectorIitEEZZNS1_16scan_by_key_implILNS1_25lookback_scan_determinismE0ELb0ES3_N6thrust23THRUST_200600_302600_NS6detail15normal_iteratorINS9_10device_ptrIiEEEENSB_INSC_ItEEEESG_tNS9_4plusIvEENS9_8equal_toIvEEtEE10hipError_tPvRmT2_T3_T4_T5_mT6_T7_P12ihipStream_tbENKUlT_T0_E_clISt17integral_constantIbLb0EES11_EEDaSW_SX_EUlSW_E_NS1_11comp_targetILNS1_3genE10ELNS1_11target_archE1200ELNS1_3gpuE4ELNS1_3repE0EEENS1_30default_config_static_selectorELNS0_4arch9wavefront6targetE0EEEvT1_.numbered_sgpr, 0
	.set _ZN7rocprim17ROCPRIM_400000_NS6detail17trampoline_kernelINS0_14default_configENS1_27scan_by_key_config_selectorIitEEZZNS1_16scan_by_key_implILNS1_25lookback_scan_determinismE0ELb0ES3_N6thrust23THRUST_200600_302600_NS6detail15normal_iteratorINS9_10device_ptrIiEEEENSB_INSC_ItEEEESG_tNS9_4plusIvEENS9_8equal_toIvEEtEE10hipError_tPvRmT2_T3_T4_T5_mT6_T7_P12ihipStream_tbENKUlT_T0_E_clISt17integral_constantIbLb0EES11_EEDaSW_SX_EUlSW_E_NS1_11comp_targetILNS1_3genE10ELNS1_11target_archE1200ELNS1_3gpuE4ELNS1_3repE0EEENS1_30default_config_static_selectorELNS0_4arch9wavefront6targetE0EEEvT1_.num_named_barrier, 0
	.set _ZN7rocprim17ROCPRIM_400000_NS6detail17trampoline_kernelINS0_14default_configENS1_27scan_by_key_config_selectorIitEEZZNS1_16scan_by_key_implILNS1_25lookback_scan_determinismE0ELb0ES3_N6thrust23THRUST_200600_302600_NS6detail15normal_iteratorINS9_10device_ptrIiEEEENSB_INSC_ItEEEESG_tNS9_4plusIvEENS9_8equal_toIvEEtEE10hipError_tPvRmT2_T3_T4_T5_mT6_T7_P12ihipStream_tbENKUlT_T0_E_clISt17integral_constantIbLb0EES11_EEDaSW_SX_EUlSW_E_NS1_11comp_targetILNS1_3genE10ELNS1_11target_archE1200ELNS1_3gpuE4ELNS1_3repE0EEENS1_30default_config_static_selectorELNS0_4arch9wavefront6targetE0EEEvT1_.private_seg_size, 0
	.set _ZN7rocprim17ROCPRIM_400000_NS6detail17trampoline_kernelINS0_14default_configENS1_27scan_by_key_config_selectorIitEEZZNS1_16scan_by_key_implILNS1_25lookback_scan_determinismE0ELb0ES3_N6thrust23THRUST_200600_302600_NS6detail15normal_iteratorINS9_10device_ptrIiEEEENSB_INSC_ItEEEESG_tNS9_4plusIvEENS9_8equal_toIvEEtEE10hipError_tPvRmT2_T3_T4_T5_mT6_T7_P12ihipStream_tbENKUlT_T0_E_clISt17integral_constantIbLb0EES11_EEDaSW_SX_EUlSW_E_NS1_11comp_targetILNS1_3genE10ELNS1_11target_archE1200ELNS1_3gpuE4ELNS1_3repE0EEENS1_30default_config_static_selectorELNS0_4arch9wavefront6targetE0EEEvT1_.uses_vcc, 0
	.set _ZN7rocprim17ROCPRIM_400000_NS6detail17trampoline_kernelINS0_14default_configENS1_27scan_by_key_config_selectorIitEEZZNS1_16scan_by_key_implILNS1_25lookback_scan_determinismE0ELb0ES3_N6thrust23THRUST_200600_302600_NS6detail15normal_iteratorINS9_10device_ptrIiEEEENSB_INSC_ItEEEESG_tNS9_4plusIvEENS9_8equal_toIvEEtEE10hipError_tPvRmT2_T3_T4_T5_mT6_T7_P12ihipStream_tbENKUlT_T0_E_clISt17integral_constantIbLb0EES11_EEDaSW_SX_EUlSW_E_NS1_11comp_targetILNS1_3genE10ELNS1_11target_archE1200ELNS1_3gpuE4ELNS1_3repE0EEENS1_30default_config_static_selectorELNS0_4arch9wavefront6targetE0EEEvT1_.uses_flat_scratch, 0
	.set _ZN7rocprim17ROCPRIM_400000_NS6detail17trampoline_kernelINS0_14default_configENS1_27scan_by_key_config_selectorIitEEZZNS1_16scan_by_key_implILNS1_25lookback_scan_determinismE0ELb0ES3_N6thrust23THRUST_200600_302600_NS6detail15normal_iteratorINS9_10device_ptrIiEEEENSB_INSC_ItEEEESG_tNS9_4plusIvEENS9_8equal_toIvEEtEE10hipError_tPvRmT2_T3_T4_T5_mT6_T7_P12ihipStream_tbENKUlT_T0_E_clISt17integral_constantIbLb0EES11_EEDaSW_SX_EUlSW_E_NS1_11comp_targetILNS1_3genE10ELNS1_11target_archE1200ELNS1_3gpuE4ELNS1_3repE0EEENS1_30default_config_static_selectorELNS0_4arch9wavefront6targetE0EEEvT1_.has_dyn_sized_stack, 0
	.set _ZN7rocprim17ROCPRIM_400000_NS6detail17trampoline_kernelINS0_14default_configENS1_27scan_by_key_config_selectorIitEEZZNS1_16scan_by_key_implILNS1_25lookback_scan_determinismE0ELb0ES3_N6thrust23THRUST_200600_302600_NS6detail15normal_iteratorINS9_10device_ptrIiEEEENSB_INSC_ItEEEESG_tNS9_4plusIvEENS9_8equal_toIvEEtEE10hipError_tPvRmT2_T3_T4_T5_mT6_T7_P12ihipStream_tbENKUlT_T0_E_clISt17integral_constantIbLb0EES11_EEDaSW_SX_EUlSW_E_NS1_11comp_targetILNS1_3genE10ELNS1_11target_archE1200ELNS1_3gpuE4ELNS1_3repE0EEENS1_30default_config_static_selectorELNS0_4arch9wavefront6targetE0EEEvT1_.has_recursion, 0
	.set _ZN7rocprim17ROCPRIM_400000_NS6detail17trampoline_kernelINS0_14default_configENS1_27scan_by_key_config_selectorIitEEZZNS1_16scan_by_key_implILNS1_25lookback_scan_determinismE0ELb0ES3_N6thrust23THRUST_200600_302600_NS6detail15normal_iteratorINS9_10device_ptrIiEEEENSB_INSC_ItEEEESG_tNS9_4plusIvEENS9_8equal_toIvEEtEE10hipError_tPvRmT2_T3_T4_T5_mT6_T7_P12ihipStream_tbENKUlT_T0_E_clISt17integral_constantIbLb0EES11_EEDaSW_SX_EUlSW_E_NS1_11comp_targetILNS1_3genE10ELNS1_11target_archE1200ELNS1_3gpuE4ELNS1_3repE0EEENS1_30default_config_static_selectorELNS0_4arch9wavefront6targetE0EEEvT1_.has_indirect_call, 0
	.section	.AMDGPU.csdata,"",@progbits
; Kernel info:
; codeLenInByte = 0
; TotalNumSgprs: 0
; NumVgprs: 0
; ScratchSize: 0
; MemoryBound: 0
; FloatMode: 240
; IeeeMode: 1
; LDSByteSize: 0 bytes/workgroup (compile time only)
; SGPRBlocks: 0
; VGPRBlocks: 0
; NumSGPRsForWavesPerEU: 1
; NumVGPRsForWavesPerEU: 1
; NamedBarCnt: 0
; Occupancy: 16
; WaveLimiterHint : 0
; COMPUTE_PGM_RSRC2:SCRATCH_EN: 0
; COMPUTE_PGM_RSRC2:USER_SGPR: 2
; COMPUTE_PGM_RSRC2:TRAP_HANDLER: 0
; COMPUTE_PGM_RSRC2:TGID_X_EN: 1
; COMPUTE_PGM_RSRC2:TGID_Y_EN: 0
; COMPUTE_PGM_RSRC2:TGID_Z_EN: 0
; COMPUTE_PGM_RSRC2:TIDIG_COMP_CNT: 0
	.section	.text._ZN7rocprim17ROCPRIM_400000_NS6detail17trampoline_kernelINS0_14default_configENS1_27scan_by_key_config_selectorIitEEZZNS1_16scan_by_key_implILNS1_25lookback_scan_determinismE0ELb0ES3_N6thrust23THRUST_200600_302600_NS6detail15normal_iteratorINS9_10device_ptrIiEEEENSB_INSC_ItEEEESG_tNS9_4plusIvEENS9_8equal_toIvEEtEE10hipError_tPvRmT2_T3_T4_T5_mT6_T7_P12ihipStream_tbENKUlT_T0_E_clISt17integral_constantIbLb0EES11_EEDaSW_SX_EUlSW_E_NS1_11comp_targetILNS1_3genE9ELNS1_11target_archE1100ELNS1_3gpuE3ELNS1_3repE0EEENS1_30default_config_static_selectorELNS0_4arch9wavefront6targetE0EEEvT1_,"axG",@progbits,_ZN7rocprim17ROCPRIM_400000_NS6detail17trampoline_kernelINS0_14default_configENS1_27scan_by_key_config_selectorIitEEZZNS1_16scan_by_key_implILNS1_25lookback_scan_determinismE0ELb0ES3_N6thrust23THRUST_200600_302600_NS6detail15normal_iteratorINS9_10device_ptrIiEEEENSB_INSC_ItEEEESG_tNS9_4plusIvEENS9_8equal_toIvEEtEE10hipError_tPvRmT2_T3_T4_T5_mT6_T7_P12ihipStream_tbENKUlT_T0_E_clISt17integral_constantIbLb0EES11_EEDaSW_SX_EUlSW_E_NS1_11comp_targetILNS1_3genE9ELNS1_11target_archE1100ELNS1_3gpuE3ELNS1_3repE0EEENS1_30default_config_static_selectorELNS0_4arch9wavefront6targetE0EEEvT1_,comdat
	.protected	_ZN7rocprim17ROCPRIM_400000_NS6detail17trampoline_kernelINS0_14default_configENS1_27scan_by_key_config_selectorIitEEZZNS1_16scan_by_key_implILNS1_25lookback_scan_determinismE0ELb0ES3_N6thrust23THRUST_200600_302600_NS6detail15normal_iteratorINS9_10device_ptrIiEEEENSB_INSC_ItEEEESG_tNS9_4plusIvEENS9_8equal_toIvEEtEE10hipError_tPvRmT2_T3_T4_T5_mT6_T7_P12ihipStream_tbENKUlT_T0_E_clISt17integral_constantIbLb0EES11_EEDaSW_SX_EUlSW_E_NS1_11comp_targetILNS1_3genE9ELNS1_11target_archE1100ELNS1_3gpuE3ELNS1_3repE0EEENS1_30default_config_static_selectorELNS0_4arch9wavefront6targetE0EEEvT1_ ; -- Begin function _ZN7rocprim17ROCPRIM_400000_NS6detail17trampoline_kernelINS0_14default_configENS1_27scan_by_key_config_selectorIitEEZZNS1_16scan_by_key_implILNS1_25lookback_scan_determinismE0ELb0ES3_N6thrust23THRUST_200600_302600_NS6detail15normal_iteratorINS9_10device_ptrIiEEEENSB_INSC_ItEEEESG_tNS9_4plusIvEENS9_8equal_toIvEEtEE10hipError_tPvRmT2_T3_T4_T5_mT6_T7_P12ihipStream_tbENKUlT_T0_E_clISt17integral_constantIbLb0EES11_EEDaSW_SX_EUlSW_E_NS1_11comp_targetILNS1_3genE9ELNS1_11target_archE1100ELNS1_3gpuE3ELNS1_3repE0EEENS1_30default_config_static_selectorELNS0_4arch9wavefront6targetE0EEEvT1_
	.globl	_ZN7rocprim17ROCPRIM_400000_NS6detail17trampoline_kernelINS0_14default_configENS1_27scan_by_key_config_selectorIitEEZZNS1_16scan_by_key_implILNS1_25lookback_scan_determinismE0ELb0ES3_N6thrust23THRUST_200600_302600_NS6detail15normal_iteratorINS9_10device_ptrIiEEEENSB_INSC_ItEEEESG_tNS9_4plusIvEENS9_8equal_toIvEEtEE10hipError_tPvRmT2_T3_T4_T5_mT6_T7_P12ihipStream_tbENKUlT_T0_E_clISt17integral_constantIbLb0EES11_EEDaSW_SX_EUlSW_E_NS1_11comp_targetILNS1_3genE9ELNS1_11target_archE1100ELNS1_3gpuE3ELNS1_3repE0EEENS1_30default_config_static_selectorELNS0_4arch9wavefront6targetE0EEEvT1_
	.p2align	8
	.type	_ZN7rocprim17ROCPRIM_400000_NS6detail17trampoline_kernelINS0_14default_configENS1_27scan_by_key_config_selectorIitEEZZNS1_16scan_by_key_implILNS1_25lookback_scan_determinismE0ELb0ES3_N6thrust23THRUST_200600_302600_NS6detail15normal_iteratorINS9_10device_ptrIiEEEENSB_INSC_ItEEEESG_tNS9_4plusIvEENS9_8equal_toIvEEtEE10hipError_tPvRmT2_T3_T4_T5_mT6_T7_P12ihipStream_tbENKUlT_T0_E_clISt17integral_constantIbLb0EES11_EEDaSW_SX_EUlSW_E_NS1_11comp_targetILNS1_3genE9ELNS1_11target_archE1100ELNS1_3gpuE3ELNS1_3repE0EEENS1_30default_config_static_selectorELNS0_4arch9wavefront6targetE0EEEvT1_,@function
_ZN7rocprim17ROCPRIM_400000_NS6detail17trampoline_kernelINS0_14default_configENS1_27scan_by_key_config_selectorIitEEZZNS1_16scan_by_key_implILNS1_25lookback_scan_determinismE0ELb0ES3_N6thrust23THRUST_200600_302600_NS6detail15normal_iteratorINS9_10device_ptrIiEEEENSB_INSC_ItEEEESG_tNS9_4plusIvEENS9_8equal_toIvEEtEE10hipError_tPvRmT2_T3_T4_T5_mT6_T7_P12ihipStream_tbENKUlT_T0_E_clISt17integral_constantIbLb0EES11_EEDaSW_SX_EUlSW_E_NS1_11comp_targetILNS1_3genE9ELNS1_11target_archE1100ELNS1_3gpuE3ELNS1_3repE0EEENS1_30default_config_static_selectorELNS0_4arch9wavefront6targetE0EEEvT1_: ; @_ZN7rocprim17ROCPRIM_400000_NS6detail17trampoline_kernelINS0_14default_configENS1_27scan_by_key_config_selectorIitEEZZNS1_16scan_by_key_implILNS1_25lookback_scan_determinismE0ELb0ES3_N6thrust23THRUST_200600_302600_NS6detail15normal_iteratorINS9_10device_ptrIiEEEENSB_INSC_ItEEEESG_tNS9_4plusIvEENS9_8equal_toIvEEtEE10hipError_tPvRmT2_T3_T4_T5_mT6_T7_P12ihipStream_tbENKUlT_T0_E_clISt17integral_constantIbLb0EES11_EEDaSW_SX_EUlSW_E_NS1_11comp_targetILNS1_3genE9ELNS1_11target_archE1100ELNS1_3gpuE3ELNS1_3repE0EEENS1_30default_config_static_selectorELNS0_4arch9wavefront6targetE0EEEvT1_
; %bb.0:
	.section	.rodata,"a",@progbits
	.p2align	6, 0x0
	.amdhsa_kernel _ZN7rocprim17ROCPRIM_400000_NS6detail17trampoline_kernelINS0_14default_configENS1_27scan_by_key_config_selectorIitEEZZNS1_16scan_by_key_implILNS1_25lookback_scan_determinismE0ELb0ES3_N6thrust23THRUST_200600_302600_NS6detail15normal_iteratorINS9_10device_ptrIiEEEENSB_INSC_ItEEEESG_tNS9_4plusIvEENS9_8equal_toIvEEtEE10hipError_tPvRmT2_T3_T4_T5_mT6_T7_P12ihipStream_tbENKUlT_T0_E_clISt17integral_constantIbLb0EES11_EEDaSW_SX_EUlSW_E_NS1_11comp_targetILNS1_3genE9ELNS1_11target_archE1100ELNS1_3gpuE3ELNS1_3repE0EEENS1_30default_config_static_selectorELNS0_4arch9wavefront6targetE0EEEvT1_
		.amdhsa_group_segment_fixed_size 0
		.amdhsa_private_segment_fixed_size 0
		.amdhsa_kernarg_size 112
		.amdhsa_user_sgpr_count 2
		.amdhsa_user_sgpr_dispatch_ptr 0
		.amdhsa_user_sgpr_queue_ptr 0
		.amdhsa_user_sgpr_kernarg_segment_ptr 1
		.amdhsa_user_sgpr_dispatch_id 0
		.amdhsa_user_sgpr_kernarg_preload_length 0
		.amdhsa_user_sgpr_kernarg_preload_offset 0
		.amdhsa_user_sgpr_private_segment_size 0
		.amdhsa_wavefront_size32 1
		.amdhsa_uses_dynamic_stack 0
		.amdhsa_enable_private_segment 0
		.amdhsa_system_sgpr_workgroup_id_x 1
		.amdhsa_system_sgpr_workgroup_id_y 0
		.amdhsa_system_sgpr_workgroup_id_z 0
		.amdhsa_system_sgpr_workgroup_info 0
		.amdhsa_system_vgpr_workitem_id 0
		.amdhsa_next_free_vgpr 1
		.amdhsa_next_free_sgpr 1
		.amdhsa_named_barrier_count 0
		.amdhsa_reserve_vcc 0
		.amdhsa_float_round_mode_32 0
		.amdhsa_float_round_mode_16_64 0
		.amdhsa_float_denorm_mode_32 3
		.amdhsa_float_denorm_mode_16_64 3
		.amdhsa_fp16_overflow 0
		.amdhsa_memory_ordered 1
		.amdhsa_forward_progress 1
		.amdhsa_inst_pref_size 0
		.amdhsa_round_robin_scheduling 0
		.amdhsa_exception_fp_ieee_invalid_op 0
		.amdhsa_exception_fp_denorm_src 0
		.amdhsa_exception_fp_ieee_div_zero 0
		.amdhsa_exception_fp_ieee_overflow 0
		.amdhsa_exception_fp_ieee_underflow 0
		.amdhsa_exception_fp_ieee_inexact 0
		.amdhsa_exception_int_div_zero 0
	.end_amdhsa_kernel
	.section	.text._ZN7rocprim17ROCPRIM_400000_NS6detail17trampoline_kernelINS0_14default_configENS1_27scan_by_key_config_selectorIitEEZZNS1_16scan_by_key_implILNS1_25lookback_scan_determinismE0ELb0ES3_N6thrust23THRUST_200600_302600_NS6detail15normal_iteratorINS9_10device_ptrIiEEEENSB_INSC_ItEEEESG_tNS9_4plusIvEENS9_8equal_toIvEEtEE10hipError_tPvRmT2_T3_T4_T5_mT6_T7_P12ihipStream_tbENKUlT_T0_E_clISt17integral_constantIbLb0EES11_EEDaSW_SX_EUlSW_E_NS1_11comp_targetILNS1_3genE9ELNS1_11target_archE1100ELNS1_3gpuE3ELNS1_3repE0EEENS1_30default_config_static_selectorELNS0_4arch9wavefront6targetE0EEEvT1_,"axG",@progbits,_ZN7rocprim17ROCPRIM_400000_NS6detail17trampoline_kernelINS0_14default_configENS1_27scan_by_key_config_selectorIitEEZZNS1_16scan_by_key_implILNS1_25lookback_scan_determinismE0ELb0ES3_N6thrust23THRUST_200600_302600_NS6detail15normal_iteratorINS9_10device_ptrIiEEEENSB_INSC_ItEEEESG_tNS9_4plusIvEENS9_8equal_toIvEEtEE10hipError_tPvRmT2_T3_T4_T5_mT6_T7_P12ihipStream_tbENKUlT_T0_E_clISt17integral_constantIbLb0EES11_EEDaSW_SX_EUlSW_E_NS1_11comp_targetILNS1_3genE9ELNS1_11target_archE1100ELNS1_3gpuE3ELNS1_3repE0EEENS1_30default_config_static_selectorELNS0_4arch9wavefront6targetE0EEEvT1_,comdat
.Lfunc_end1274:
	.size	_ZN7rocprim17ROCPRIM_400000_NS6detail17trampoline_kernelINS0_14default_configENS1_27scan_by_key_config_selectorIitEEZZNS1_16scan_by_key_implILNS1_25lookback_scan_determinismE0ELb0ES3_N6thrust23THRUST_200600_302600_NS6detail15normal_iteratorINS9_10device_ptrIiEEEENSB_INSC_ItEEEESG_tNS9_4plusIvEENS9_8equal_toIvEEtEE10hipError_tPvRmT2_T3_T4_T5_mT6_T7_P12ihipStream_tbENKUlT_T0_E_clISt17integral_constantIbLb0EES11_EEDaSW_SX_EUlSW_E_NS1_11comp_targetILNS1_3genE9ELNS1_11target_archE1100ELNS1_3gpuE3ELNS1_3repE0EEENS1_30default_config_static_selectorELNS0_4arch9wavefront6targetE0EEEvT1_, .Lfunc_end1274-_ZN7rocprim17ROCPRIM_400000_NS6detail17trampoline_kernelINS0_14default_configENS1_27scan_by_key_config_selectorIitEEZZNS1_16scan_by_key_implILNS1_25lookback_scan_determinismE0ELb0ES3_N6thrust23THRUST_200600_302600_NS6detail15normal_iteratorINS9_10device_ptrIiEEEENSB_INSC_ItEEEESG_tNS9_4plusIvEENS9_8equal_toIvEEtEE10hipError_tPvRmT2_T3_T4_T5_mT6_T7_P12ihipStream_tbENKUlT_T0_E_clISt17integral_constantIbLb0EES11_EEDaSW_SX_EUlSW_E_NS1_11comp_targetILNS1_3genE9ELNS1_11target_archE1100ELNS1_3gpuE3ELNS1_3repE0EEENS1_30default_config_static_selectorELNS0_4arch9wavefront6targetE0EEEvT1_
                                        ; -- End function
	.set _ZN7rocprim17ROCPRIM_400000_NS6detail17trampoline_kernelINS0_14default_configENS1_27scan_by_key_config_selectorIitEEZZNS1_16scan_by_key_implILNS1_25lookback_scan_determinismE0ELb0ES3_N6thrust23THRUST_200600_302600_NS6detail15normal_iteratorINS9_10device_ptrIiEEEENSB_INSC_ItEEEESG_tNS9_4plusIvEENS9_8equal_toIvEEtEE10hipError_tPvRmT2_T3_T4_T5_mT6_T7_P12ihipStream_tbENKUlT_T0_E_clISt17integral_constantIbLb0EES11_EEDaSW_SX_EUlSW_E_NS1_11comp_targetILNS1_3genE9ELNS1_11target_archE1100ELNS1_3gpuE3ELNS1_3repE0EEENS1_30default_config_static_selectorELNS0_4arch9wavefront6targetE0EEEvT1_.num_vgpr, 0
	.set _ZN7rocprim17ROCPRIM_400000_NS6detail17trampoline_kernelINS0_14default_configENS1_27scan_by_key_config_selectorIitEEZZNS1_16scan_by_key_implILNS1_25lookback_scan_determinismE0ELb0ES3_N6thrust23THRUST_200600_302600_NS6detail15normal_iteratorINS9_10device_ptrIiEEEENSB_INSC_ItEEEESG_tNS9_4plusIvEENS9_8equal_toIvEEtEE10hipError_tPvRmT2_T3_T4_T5_mT6_T7_P12ihipStream_tbENKUlT_T0_E_clISt17integral_constantIbLb0EES11_EEDaSW_SX_EUlSW_E_NS1_11comp_targetILNS1_3genE9ELNS1_11target_archE1100ELNS1_3gpuE3ELNS1_3repE0EEENS1_30default_config_static_selectorELNS0_4arch9wavefront6targetE0EEEvT1_.num_agpr, 0
	.set _ZN7rocprim17ROCPRIM_400000_NS6detail17trampoline_kernelINS0_14default_configENS1_27scan_by_key_config_selectorIitEEZZNS1_16scan_by_key_implILNS1_25lookback_scan_determinismE0ELb0ES3_N6thrust23THRUST_200600_302600_NS6detail15normal_iteratorINS9_10device_ptrIiEEEENSB_INSC_ItEEEESG_tNS9_4plusIvEENS9_8equal_toIvEEtEE10hipError_tPvRmT2_T3_T4_T5_mT6_T7_P12ihipStream_tbENKUlT_T0_E_clISt17integral_constantIbLb0EES11_EEDaSW_SX_EUlSW_E_NS1_11comp_targetILNS1_3genE9ELNS1_11target_archE1100ELNS1_3gpuE3ELNS1_3repE0EEENS1_30default_config_static_selectorELNS0_4arch9wavefront6targetE0EEEvT1_.numbered_sgpr, 0
	.set _ZN7rocprim17ROCPRIM_400000_NS6detail17trampoline_kernelINS0_14default_configENS1_27scan_by_key_config_selectorIitEEZZNS1_16scan_by_key_implILNS1_25lookback_scan_determinismE0ELb0ES3_N6thrust23THRUST_200600_302600_NS6detail15normal_iteratorINS9_10device_ptrIiEEEENSB_INSC_ItEEEESG_tNS9_4plusIvEENS9_8equal_toIvEEtEE10hipError_tPvRmT2_T3_T4_T5_mT6_T7_P12ihipStream_tbENKUlT_T0_E_clISt17integral_constantIbLb0EES11_EEDaSW_SX_EUlSW_E_NS1_11comp_targetILNS1_3genE9ELNS1_11target_archE1100ELNS1_3gpuE3ELNS1_3repE0EEENS1_30default_config_static_selectorELNS0_4arch9wavefront6targetE0EEEvT1_.num_named_barrier, 0
	.set _ZN7rocprim17ROCPRIM_400000_NS6detail17trampoline_kernelINS0_14default_configENS1_27scan_by_key_config_selectorIitEEZZNS1_16scan_by_key_implILNS1_25lookback_scan_determinismE0ELb0ES3_N6thrust23THRUST_200600_302600_NS6detail15normal_iteratorINS9_10device_ptrIiEEEENSB_INSC_ItEEEESG_tNS9_4plusIvEENS9_8equal_toIvEEtEE10hipError_tPvRmT2_T3_T4_T5_mT6_T7_P12ihipStream_tbENKUlT_T0_E_clISt17integral_constantIbLb0EES11_EEDaSW_SX_EUlSW_E_NS1_11comp_targetILNS1_3genE9ELNS1_11target_archE1100ELNS1_3gpuE3ELNS1_3repE0EEENS1_30default_config_static_selectorELNS0_4arch9wavefront6targetE0EEEvT1_.private_seg_size, 0
	.set _ZN7rocprim17ROCPRIM_400000_NS6detail17trampoline_kernelINS0_14default_configENS1_27scan_by_key_config_selectorIitEEZZNS1_16scan_by_key_implILNS1_25lookback_scan_determinismE0ELb0ES3_N6thrust23THRUST_200600_302600_NS6detail15normal_iteratorINS9_10device_ptrIiEEEENSB_INSC_ItEEEESG_tNS9_4plusIvEENS9_8equal_toIvEEtEE10hipError_tPvRmT2_T3_T4_T5_mT6_T7_P12ihipStream_tbENKUlT_T0_E_clISt17integral_constantIbLb0EES11_EEDaSW_SX_EUlSW_E_NS1_11comp_targetILNS1_3genE9ELNS1_11target_archE1100ELNS1_3gpuE3ELNS1_3repE0EEENS1_30default_config_static_selectorELNS0_4arch9wavefront6targetE0EEEvT1_.uses_vcc, 0
	.set _ZN7rocprim17ROCPRIM_400000_NS6detail17trampoline_kernelINS0_14default_configENS1_27scan_by_key_config_selectorIitEEZZNS1_16scan_by_key_implILNS1_25lookback_scan_determinismE0ELb0ES3_N6thrust23THRUST_200600_302600_NS6detail15normal_iteratorINS9_10device_ptrIiEEEENSB_INSC_ItEEEESG_tNS9_4plusIvEENS9_8equal_toIvEEtEE10hipError_tPvRmT2_T3_T4_T5_mT6_T7_P12ihipStream_tbENKUlT_T0_E_clISt17integral_constantIbLb0EES11_EEDaSW_SX_EUlSW_E_NS1_11comp_targetILNS1_3genE9ELNS1_11target_archE1100ELNS1_3gpuE3ELNS1_3repE0EEENS1_30default_config_static_selectorELNS0_4arch9wavefront6targetE0EEEvT1_.uses_flat_scratch, 0
	.set _ZN7rocprim17ROCPRIM_400000_NS6detail17trampoline_kernelINS0_14default_configENS1_27scan_by_key_config_selectorIitEEZZNS1_16scan_by_key_implILNS1_25lookback_scan_determinismE0ELb0ES3_N6thrust23THRUST_200600_302600_NS6detail15normal_iteratorINS9_10device_ptrIiEEEENSB_INSC_ItEEEESG_tNS9_4plusIvEENS9_8equal_toIvEEtEE10hipError_tPvRmT2_T3_T4_T5_mT6_T7_P12ihipStream_tbENKUlT_T0_E_clISt17integral_constantIbLb0EES11_EEDaSW_SX_EUlSW_E_NS1_11comp_targetILNS1_3genE9ELNS1_11target_archE1100ELNS1_3gpuE3ELNS1_3repE0EEENS1_30default_config_static_selectorELNS0_4arch9wavefront6targetE0EEEvT1_.has_dyn_sized_stack, 0
	.set _ZN7rocprim17ROCPRIM_400000_NS6detail17trampoline_kernelINS0_14default_configENS1_27scan_by_key_config_selectorIitEEZZNS1_16scan_by_key_implILNS1_25lookback_scan_determinismE0ELb0ES3_N6thrust23THRUST_200600_302600_NS6detail15normal_iteratorINS9_10device_ptrIiEEEENSB_INSC_ItEEEESG_tNS9_4plusIvEENS9_8equal_toIvEEtEE10hipError_tPvRmT2_T3_T4_T5_mT6_T7_P12ihipStream_tbENKUlT_T0_E_clISt17integral_constantIbLb0EES11_EEDaSW_SX_EUlSW_E_NS1_11comp_targetILNS1_3genE9ELNS1_11target_archE1100ELNS1_3gpuE3ELNS1_3repE0EEENS1_30default_config_static_selectorELNS0_4arch9wavefront6targetE0EEEvT1_.has_recursion, 0
	.set _ZN7rocprim17ROCPRIM_400000_NS6detail17trampoline_kernelINS0_14default_configENS1_27scan_by_key_config_selectorIitEEZZNS1_16scan_by_key_implILNS1_25lookback_scan_determinismE0ELb0ES3_N6thrust23THRUST_200600_302600_NS6detail15normal_iteratorINS9_10device_ptrIiEEEENSB_INSC_ItEEEESG_tNS9_4plusIvEENS9_8equal_toIvEEtEE10hipError_tPvRmT2_T3_T4_T5_mT6_T7_P12ihipStream_tbENKUlT_T0_E_clISt17integral_constantIbLb0EES11_EEDaSW_SX_EUlSW_E_NS1_11comp_targetILNS1_3genE9ELNS1_11target_archE1100ELNS1_3gpuE3ELNS1_3repE0EEENS1_30default_config_static_selectorELNS0_4arch9wavefront6targetE0EEEvT1_.has_indirect_call, 0
	.section	.AMDGPU.csdata,"",@progbits
; Kernel info:
; codeLenInByte = 0
; TotalNumSgprs: 0
; NumVgprs: 0
; ScratchSize: 0
; MemoryBound: 0
; FloatMode: 240
; IeeeMode: 1
; LDSByteSize: 0 bytes/workgroup (compile time only)
; SGPRBlocks: 0
; VGPRBlocks: 0
; NumSGPRsForWavesPerEU: 1
; NumVGPRsForWavesPerEU: 1
; NamedBarCnt: 0
; Occupancy: 16
; WaveLimiterHint : 0
; COMPUTE_PGM_RSRC2:SCRATCH_EN: 0
; COMPUTE_PGM_RSRC2:USER_SGPR: 2
; COMPUTE_PGM_RSRC2:TRAP_HANDLER: 0
; COMPUTE_PGM_RSRC2:TGID_X_EN: 1
; COMPUTE_PGM_RSRC2:TGID_Y_EN: 0
; COMPUTE_PGM_RSRC2:TGID_Z_EN: 0
; COMPUTE_PGM_RSRC2:TIDIG_COMP_CNT: 0
	.section	.text._ZN7rocprim17ROCPRIM_400000_NS6detail17trampoline_kernelINS0_14default_configENS1_27scan_by_key_config_selectorIitEEZZNS1_16scan_by_key_implILNS1_25lookback_scan_determinismE0ELb0ES3_N6thrust23THRUST_200600_302600_NS6detail15normal_iteratorINS9_10device_ptrIiEEEENSB_INSC_ItEEEESG_tNS9_4plusIvEENS9_8equal_toIvEEtEE10hipError_tPvRmT2_T3_T4_T5_mT6_T7_P12ihipStream_tbENKUlT_T0_E_clISt17integral_constantIbLb0EES11_EEDaSW_SX_EUlSW_E_NS1_11comp_targetILNS1_3genE8ELNS1_11target_archE1030ELNS1_3gpuE2ELNS1_3repE0EEENS1_30default_config_static_selectorELNS0_4arch9wavefront6targetE0EEEvT1_,"axG",@progbits,_ZN7rocprim17ROCPRIM_400000_NS6detail17trampoline_kernelINS0_14default_configENS1_27scan_by_key_config_selectorIitEEZZNS1_16scan_by_key_implILNS1_25lookback_scan_determinismE0ELb0ES3_N6thrust23THRUST_200600_302600_NS6detail15normal_iteratorINS9_10device_ptrIiEEEENSB_INSC_ItEEEESG_tNS9_4plusIvEENS9_8equal_toIvEEtEE10hipError_tPvRmT2_T3_T4_T5_mT6_T7_P12ihipStream_tbENKUlT_T0_E_clISt17integral_constantIbLb0EES11_EEDaSW_SX_EUlSW_E_NS1_11comp_targetILNS1_3genE8ELNS1_11target_archE1030ELNS1_3gpuE2ELNS1_3repE0EEENS1_30default_config_static_selectorELNS0_4arch9wavefront6targetE0EEEvT1_,comdat
	.protected	_ZN7rocprim17ROCPRIM_400000_NS6detail17trampoline_kernelINS0_14default_configENS1_27scan_by_key_config_selectorIitEEZZNS1_16scan_by_key_implILNS1_25lookback_scan_determinismE0ELb0ES3_N6thrust23THRUST_200600_302600_NS6detail15normal_iteratorINS9_10device_ptrIiEEEENSB_INSC_ItEEEESG_tNS9_4plusIvEENS9_8equal_toIvEEtEE10hipError_tPvRmT2_T3_T4_T5_mT6_T7_P12ihipStream_tbENKUlT_T0_E_clISt17integral_constantIbLb0EES11_EEDaSW_SX_EUlSW_E_NS1_11comp_targetILNS1_3genE8ELNS1_11target_archE1030ELNS1_3gpuE2ELNS1_3repE0EEENS1_30default_config_static_selectorELNS0_4arch9wavefront6targetE0EEEvT1_ ; -- Begin function _ZN7rocprim17ROCPRIM_400000_NS6detail17trampoline_kernelINS0_14default_configENS1_27scan_by_key_config_selectorIitEEZZNS1_16scan_by_key_implILNS1_25lookback_scan_determinismE0ELb0ES3_N6thrust23THRUST_200600_302600_NS6detail15normal_iteratorINS9_10device_ptrIiEEEENSB_INSC_ItEEEESG_tNS9_4plusIvEENS9_8equal_toIvEEtEE10hipError_tPvRmT2_T3_T4_T5_mT6_T7_P12ihipStream_tbENKUlT_T0_E_clISt17integral_constantIbLb0EES11_EEDaSW_SX_EUlSW_E_NS1_11comp_targetILNS1_3genE8ELNS1_11target_archE1030ELNS1_3gpuE2ELNS1_3repE0EEENS1_30default_config_static_selectorELNS0_4arch9wavefront6targetE0EEEvT1_
	.globl	_ZN7rocprim17ROCPRIM_400000_NS6detail17trampoline_kernelINS0_14default_configENS1_27scan_by_key_config_selectorIitEEZZNS1_16scan_by_key_implILNS1_25lookback_scan_determinismE0ELb0ES3_N6thrust23THRUST_200600_302600_NS6detail15normal_iteratorINS9_10device_ptrIiEEEENSB_INSC_ItEEEESG_tNS9_4plusIvEENS9_8equal_toIvEEtEE10hipError_tPvRmT2_T3_T4_T5_mT6_T7_P12ihipStream_tbENKUlT_T0_E_clISt17integral_constantIbLb0EES11_EEDaSW_SX_EUlSW_E_NS1_11comp_targetILNS1_3genE8ELNS1_11target_archE1030ELNS1_3gpuE2ELNS1_3repE0EEENS1_30default_config_static_selectorELNS0_4arch9wavefront6targetE0EEEvT1_
	.p2align	8
	.type	_ZN7rocprim17ROCPRIM_400000_NS6detail17trampoline_kernelINS0_14default_configENS1_27scan_by_key_config_selectorIitEEZZNS1_16scan_by_key_implILNS1_25lookback_scan_determinismE0ELb0ES3_N6thrust23THRUST_200600_302600_NS6detail15normal_iteratorINS9_10device_ptrIiEEEENSB_INSC_ItEEEESG_tNS9_4plusIvEENS9_8equal_toIvEEtEE10hipError_tPvRmT2_T3_T4_T5_mT6_T7_P12ihipStream_tbENKUlT_T0_E_clISt17integral_constantIbLb0EES11_EEDaSW_SX_EUlSW_E_NS1_11comp_targetILNS1_3genE8ELNS1_11target_archE1030ELNS1_3gpuE2ELNS1_3repE0EEENS1_30default_config_static_selectorELNS0_4arch9wavefront6targetE0EEEvT1_,@function
_ZN7rocprim17ROCPRIM_400000_NS6detail17trampoline_kernelINS0_14default_configENS1_27scan_by_key_config_selectorIitEEZZNS1_16scan_by_key_implILNS1_25lookback_scan_determinismE0ELb0ES3_N6thrust23THRUST_200600_302600_NS6detail15normal_iteratorINS9_10device_ptrIiEEEENSB_INSC_ItEEEESG_tNS9_4plusIvEENS9_8equal_toIvEEtEE10hipError_tPvRmT2_T3_T4_T5_mT6_T7_P12ihipStream_tbENKUlT_T0_E_clISt17integral_constantIbLb0EES11_EEDaSW_SX_EUlSW_E_NS1_11comp_targetILNS1_3genE8ELNS1_11target_archE1030ELNS1_3gpuE2ELNS1_3repE0EEENS1_30default_config_static_selectorELNS0_4arch9wavefront6targetE0EEEvT1_: ; @_ZN7rocprim17ROCPRIM_400000_NS6detail17trampoline_kernelINS0_14default_configENS1_27scan_by_key_config_selectorIitEEZZNS1_16scan_by_key_implILNS1_25lookback_scan_determinismE0ELb0ES3_N6thrust23THRUST_200600_302600_NS6detail15normal_iteratorINS9_10device_ptrIiEEEENSB_INSC_ItEEEESG_tNS9_4plusIvEENS9_8equal_toIvEEtEE10hipError_tPvRmT2_T3_T4_T5_mT6_T7_P12ihipStream_tbENKUlT_T0_E_clISt17integral_constantIbLb0EES11_EEDaSW_SX_EUlSW_E_NS1_11comp_targetILNS1_3genE8ELNS1_11target_archE1030ELNS1_3gpuE2ELNS1_3repE0EEENS1_30default_config_static_selectorELNS0_4arch9wavefront6targetE0EEEvT1_
; %bb.0:
	.section	.rodata,"a",@progbits
	.p2align	6, 0x0
	.amdhsa_kernel _ZN7rocprim17ROCPRIM_400000_NS6detail17trampoline_kernelINS0_14default_configENS1_27scan_by_key_config_selectorIitEEZZNS1_16scan_by_key_implILNS1_25lookback_scan_determinismE0ELb0ES3_N6thrust23THRUST_200600_302600_NS6detail15normal_iteratorINS9_10device_ptrIiEEEENSB_INSC_ItEEEESG_tNS9_4plusIvEENS9_8equal_toIvEEtEE10hipError_tPvRmT2_T3_T4_T5_mT6_T7_P12ihipStream_tbENKUlT_T0_E_clISt17integral_constantIbLb0EES11_EEDaSW_SX_EUlSW_E_NS1_11comp_targetILNS1_3genE8ELNS1_11target_archE1030ELNS1_3gpuE2ELNS1_3repE0EEENS1_30default_config_static_selectorELNS0_4arch9wavefront6targetE0EEEvT1_
		.amdhsa_group_segment_fixed_size 0
		.amdhsa_private_segment_fixed_size 0
		.amdhsa_kernarg_size 112
		.amdhsa_user_sgpr_count 2
		.amdhsa_user_sgpr_dispatch_ptr 0
		.amdhsa_user_sgpr_queue_ptr 0
		.amdhsa_user_sgpr_kernarg_segment_ptr 1
		.amdhsa_user_sgpr_dispatch_id 0
		.amdhsa_user_sgpr_kernarg_preload_length 0
		.amdhsa_user_sgpr_kernarg_preload_offset 0
		.amdhsa_user_sgpr_private_segment_size 0
		.amdhsa_wavefront_size32 1
		.amdhsa_uses_dynamic_stack 0
		.amdhsa_enable_private_segment 0
		.amdhsa_system_sgpr_workgroup_id_x 1
		.amdhsa_system_sgpr_workgroup_id_y 0
		.amdhsa_system_sgpr_workgroup_id_z 0
		.amdhsa_system_sgpr_workgroup_info 0
		.amdhsa_system_vgpr_workitem_id 0
		.amdhsa_next_free_vgpr 1
		.amdhsa_next_free_sgpr 1
		.amdhsa_named_barrier_count 0
		.amdhsa_reserve_vcc 0
		.amdhsa_float_round_mode_32 0
		.amdhsa_float_round_mode_16_64 0
		.amdhsa_float_denorm_mode_32 3
		.amdhsa_float_denorm_mode_16_64 3
		.amdhsa_fp16_overflow 0
		.amdhsa_memory_ordered 1
		.amdhsa_forward_progress 1
		.amdhsa_inst_pref_size 0
		.amdhsa_round_robin_scheduling 0
		.amdhsa_exception_fp_ieee_invalid_op 0
		.amdhsa_exception_fp_denorm_src 0
		.amdhsa_exception_fp_ieee_div_zero 0
		.amdhsa_exception_fp_ieee_overflow 0
		.amdhsa_exception_fp_ieee_underflow 0
		.amdhsa_exception_fp_ieee_inexact 0
		.amdhsa_exception_int_div_zero 0
	.end_amdhsa_kernel
	.section	.text._ZN7rocprim17ROCPRIM_400000_NS6detail17trampoline_kernelINS0_14default_configENS1_27scan_by_key_config_selectorIitEEZZNS1_16scan_by_key_implILNS1_25lookback_scan_determinismE0ELb0ES3_N6thrust23THRUST_200600_302600_NS6detail15normal_iteratorINS9_10device_ptrIiEEEENSB_INSC_ItEEEESG_tNS9_4plusIvEENS9_8equal_toIvEEtEE10hipError_tPvRmT2_T3_T4_T5_mT6_T7_P12ihipStream_tbENKUlT_T0_E_clISt17integral_constantIbLb0EES11_EEDaSW_SX_EUlSW_E_NS1_11comp_targetILNS1_3genE8ELNS1_11target_archE1030ELNS1_3gpuE2ELNS1_3repE0EEENS1_30default_config_static_selectorELNS0_4arch9wavefront6targetE0EEEvT1_,"axG",@progbits,_ZN7rocprim17ROCPRIM_400000_NS6detail17trampoline_kernelINS0_14default_configENS1_27scan_by_key_config_selectorIitEEZZNS1_16scan_by_key_implILNS1_25lookback_scan_determinismE0ELb0ES3_N6thrust23THRUST_200600_302600_NS6detail15normal_iteratorINS9_10device_ptrIiEEEENSB_INSC_ItEEEESG_tNS9_4plusIvEENS9_8equal_toIvEEtEE10hipError_tPvRmT2_T3_T4_T5_mT6_T7_P12ihipStream_tbENKUlT_T0_E_clISt17integral_constantIbLb0EES11_EEDaSW_SX_EUlSW_E_NS1_11comp_targetILNS1_3genE8ELNS1_11target_archE1030ELNS1_3gpuE2ELNS1_3repE0EEENS1_30default_config_static_selectorELNS0_4arch9wavefront6targetE0EEEvT1_,comdat
.Lfunc_end1275:
	.size	_ZN7rocprim17ROCPRIM_400000_NS6detail17trampoline_kernelINS0_14default_configENS1_27scan_by_key_config_selectorIitEEZZNS1_16scan_by_key_implILNS1_25lookback_scan_determinismE0ELb0ES3_N6thrust23THRUST_200600_302600_NS6detail15normal_iteratorINS9_10device_ptrIiEEEENSB_INSC_ItEEEESG_tNS9_4plusIvEENS9_8equal_toIvEEtEE10hipError_tPvRmT2_T3_T4_T5_mT6_T7_P12ihipStream_tbENKUlT_T0_E_clISt17integral_constantIbLb0EES11_EEDaSW_SX_EUlSW_E_NS1_11comp_targetILNS1_3genE8ELNS1_11target_archE1030ELNS1_3gpuE2ELNS1_3repE0EEENS1_30default_config_static_selectorELNS0_4arch9wavefront6targetE0EEEvT1_, .Lfunc_end1275-_ZN7rocprim17ROCPRIM_400000_NS6detail17trampoline_kernelINS0_14default_configENS1_27scan_by_key_config_selectorIitEEZZNS1_16scan_by_key_implILNS1_25lookback_scan_determinismE0ELb0ES3_N6thrust23THRUST_200600_302600_NS6detail15normal_iteratorINS9_10device_ptrIiEEEENSB_INSC_ItEEEESG_tNS9_4plusIvEENS9_8equal_toIvEEtEE10hipError_tPvRmT2_T3_T4_T5_mT6_T7_P12ihipStream_tbENKUlT_T0_E_clISt17integral_constantIbLb0EES11_EEDaSW_SX_EUlSW_E_NS1_11comp_targetILNS1_3genE8ELNS1_11target_archE1030ELNS1_3gpuE2ELNS1_3repE0EEENS1_30default_config_static_selectorELNS0_4arch9wavefront6targetE0EEEvT1_
                                        ; -- End function
	.set _ZN7rocprim17ROCPRIM_400000_NS6detail17trampoline_kernelINS0_14default_configENS1_27scan_by_key_config_selectorIitEEZZNS1_16scan_by_key_implILNS1_25lookback_scan_determinismE0ELb0ES3_N6thrust23THRUST_200600_302600_NS6detail15normal_iteratorINS9_10device_ptrIiEEEENSB_INSC_ItEEEESG_tNS9_4plusIvEENS9_8equal_toIvEEtEE10hipError_tPvRmT2_T3_T4_T5_mT6_T7_P12ihipStream_tbENKUlT_T0_E_clISt17integral_constantIbLb0EES11_EEDaSW_SX_EUlSW_E_NS1_11comp_targetILNS1_3genE8ELNS1_11target_archE1030ELNS1_3gpuE2ELNS1_3repE0EEENS1_30default_config_static_selectorELNS0_4arch9wavefront6targetE0EEEvT1_.num_vgpr, 0
	.set _ZN7rocprim17ROCPRIM_400000_NS6detail17trampoline_kernelINS0_14default_configENS1_27scan_by_key_config_selectorIitEEZZNS1_16scan_by_key_implILNS1_25lookback_scan_determinismE0ELb0ES3_N6thrust23THRUST_200600_302600_NS6detail15normal_iteratorINS9_10device_ptrIiEEEENSB_INSC_ItEEEESG_tNS9_4plusIvEENS9_8equal_toIvEEtEE10hipError_tPvRmT2_T3_T4_T5_mT6_T7_P12ihipStream_tbENKUlT_T0_E_clISt17integral_constantIbLb0EES11_EEDaSW_SX_EUlSW_E_NS1_11comp_targetILNS1_3genE8ELNS1_11target_archE1030ELNS1_3gpuE2ELNS1_3repE0EEENS1_30default_config_static_selectorELNS0_4arch9wavefront6targetE0EEEvT1_.num_agpr, 0
	.set _ZN7rocprim17ROCPRIM_400000_NS6detail17trampoline_kernelINS0_14default_configENS1_27scan_by_key_config_selectorIitEEZZNS1_16scan_by_key_implILNS1_25lookback_scan_determinismE0ELb0ES3_N6thrust23THRUST_200600_302600_NS6detail15normal_iteratorINS9_10device_ptrIiEEEENSB_INSC_ItEEEESG_tNS9_4plusIvEENS9_8equal_toIvEEtEE10hipError_tPvRmT2_T3_T4_T5_mT6_T7_P12ihipStream_tbENKUlT_T0_E_clISt17integral_constantIbLb0EES11_EEDaSW_SX_EUlSW_E_NS1_11comp_targetILNS1_3genE8ELNS1_11target_archE1030ELNS1_3gpuE2ELNS1_3repE0EEENS1_30default_config_static_selectorELNS0_4arch9wavefront6targetE0EEEvT1_.numbered_sgpr, 0
	.set _ZN7rocprim17ROCPRIM_400000_NS6detail17trampoline_kernelINS0_14default_configENS1_27scan_by_key_config_selectorIitEEZZNS1_16scan_by_key_implILNS1_25lookback_scan_determinismE0ELb0ES3_N6thrust23THRUST_200600_302600_NS6detail15normal_iteratorINS9_10device_ptrIiEEEENSB_INSC_ItEEEESG_tNS9_4plusIvEENS9_8equal_toIvEEtEE10hipError_tPvRmT2_T3_T4_T5_mT6_T7_P12ihipStream_tbENKUlT_T0_E_clISt17integral_constantIbLb0EES11_EEDaSW_SX_EUlSW_E_NS1_11comp_targetILNS1_3genE8ELNS1_11target_archE1030ELNS1_3gpuE2ELNS1_3repE0EEENS1_30default_config_static_selectorELNS0_4arch9wavefront6targetE0EEEvT1_.num_named_barrier, 0
	.set _ZN7rocprim17ROCPRIM_400000_NS6detail17trampoline_kernelINS0_14default_configENS1_27scan_by_key_config_selectorIitEEZZNS1_16scan_by_key_implILNS1_25lookback_scan_determinismE0ELb0ES3_N6thrust23THRUST_200600_302600_NS6detail15normal_iteratorINS9_10device_ptrIiEEEENSB_INSC_ItEEEESG_tNS9_4plusIvEENS9_8equal_toIvEEtEE10hipError_tPvRmT2_T3_T4_T5_mT6_T7_P12ihipStream_tbENKUlT_T0_E_clISt17integral_constantIbLb0EES11_EEDaSW_SX_EUlSW_E_NS1_11comp_targetILNS1_3genE8ELNS1_11target_archE1030ELNS1_3gpuE2ELNS1_3repE0EEENS1_30default_config_static_selectorELNS0_4arch9wavefront6targetE0EEEvT1_.private_seg_size, 0
	.set _ZN7rocprim17ROCPRIM_400000_NS6detail17trampoline_kernelINS0_14default_configENS1_27scan_by_key_config_selectorIitEEZZNS1_16scan_by_key_implILNS1_25lookback_scan_determinismE0ELb0ES3_N6thrust23THRUST_200600_302600_NS6detail15normal_iteratorINS9_10device_ptrIiEEEENSB_INSC_ItEEEESG_tNS9_4plusIvEENS9_8equal_toIvEEtEE10hipError_tPvRmT2_T3_T4_T5_mT6_T7_P12ihipStream_tbENKUlT_T0_E_clISt17integral_constantIbLb0EES11_EEDaSW_SX_EUlSW_E_NS1_11comp_targetILNS1_3genE8ELNS1_11target_archE1030ELNS1_3gpuE2ELNS1_3repE0EEENS1_30default_config_static_selectorELNS0_4arch9wavefront6targetE0EEEvT1_.uses_vcc, 0
	.set _ZN7rocprim17ROCPRIM_400000_NS6detail17trampoline_kernelINS0_14default_configENS1_27scan_by_key_config_selectorIitEEZZNS1_16scan_by_key_implILNS1_25lookback_scan_determinismE0ELb0ES3_N6thrust23THRUST_200600_302600_NS6detail15normal_iteratorINS9_10device_ptrIiEEEENSB_INSC_ItEEEESG_tNS9_4plusIvEENS9_8equal_toIvEEtEE10hipError_tPvRmT2_T3_T4_T5_mT6_T7_P12ihipStream_tbENKUlT_T0_E_clISt17integral_constantIbLb0EES11_EEDaSW_SX_EUlSW_E_NS1_11comp_targetILNS1_3genE8ELNS1_11target_archE1030ELNS1_3gpuE2ELNS1_3repE0EEENS1_30default_config_static_selectorELNS0_4arch9wavefront6targetE0EEEvT1_.uses_flat_scratch, 0
	.set _ZN7rocprim17ROCPRIM_400000_NS6detail17trampoline_kernelINS0_14default_configENS1_27scan_by_key_config_selectorIitEEZZNS1_16scan_by_key_implILNS1_25lookback_scan_determinismE0ELb0ES3_N6thrust23THRUST_200600_302600_NS6detail15normal_iteratorINS9_10device_ptrIiEEEENSB_INSC_ItEEEESG_tNS9_4plusIvEENS9_8equal_toIvEEtEE10hipError_tPvRmT2_T3_T4_T5_mT6_T7_P12ihipStream_tbENKUlT_T0_E_clISt17integral_constantIbLb0EES11_EEDaSW_SX_EUlSW_E_NS1_11comp_targetILNS1_3genE8ELNS1_11target_archE1030ELNS1_3gpuE2ELNS1_3repE0EEENS1_30default_config_static_selectorELNS0_4arch9wavefront6targetE0EEEvT1_.has_dyn_sized_stack, 0
	.set _ZN7rocprim17ROCPRIM_400000_NS6detail17trampoline_kernelINS0_14default_configENS1_27scan_by_key_config_selectorIitEEZZNS1_16scan_by_key_implILNS1_25lookback_scan_determinismE0ELb0ES3_N6thrust23THRUST_200600_302600_NS6detail15normal_iteratorINS9_10device_ptrIiEEEENSB_INSC_ItEEEESG_tNS9_4plusIvEENS9_8equal_toIvEEtEE10hipError_tPvRmT2_T3_T4_T5_mT6_T7_P12ihipStream_tbENKUlT_T0_E_clISt17integral_constantIbLb0EES11_EEDaSW_SX_EUlSW_E_NS1_11comp_targetILNS1_3genE8ELNS1_11target_archE1030ELNS1_3gpuE2ELNS1_3repE0EEENS1_30default_config_static_selectorELNS0_4arch9wavefront6targetE0EEEvT1_.has_recursion, 0
	.set _ZN7rocprim17ROCPRIM_400000_NS6detail17trampoline_kernelINS0_14default_configENS1_27scan_by_key_config_selectorIitEEZZNS1_16scan_by_key_implILNS1_25lookback_scan_determinismE0ELb0ES3_N6thrust23THRUST_200600_302600_NS6detail15normal_iteratorINS9_10device_ptrIiEEEENSB_INSC_ItEEEESG_tNS9_4plusIvEENS9_8equal_toIvEEtEE10hipError_tPvRmT2_T3_T4_T5_mT6_T7_P12ihipStream_tbENKUlT_T0_E_clISt17integral_constantIbLb0EES11_EEDaSW_SX_EUlSW_E_NS1_11comp_targetILNS1_3genE8ELNS1_11target_archE1030ELNS1_3gpuE2ELNS1_3repE0EEENS1_30default_config_static_selectorELNS0_4arch9wavefront6targetE0EEEvT1_.has_indirect_call, 0
	.section	.AMDGPU.csdata,"",@progbits
; Kernel info:
; codeLenInByte = 0
; TotalNumSgprs: 0
; NumVgprs: 0
; ScratchSize: 0
; MemoryBound: 0
; FloatMode: 240
; IeeeMode: 1
; LDSByteSize: 0 bytes/workgroup (compile time only)
; SGPRBlocks: 0
; VGPRBlocks: 0
; NumSGPRsForWavesPerEU: 1
; NumVGPRsForWavesPerEU: 1
; NamedBarCnt: 0
; Occupancy: 16
; WaveLimiterHint : 0
; COMPUTE_PGM_RSRC2:SCRATCH_EN: 0
; COMPUTE_PGM_RSRC2:USER_SGPR: 2
; COMPUTE_PGM_RSRC2:TRAP_HANDLER: 0
; COMPUTE_PGM_RSRC2:TGID_X_EN: 1
; COMPUTE_PGM_RSRC2:TGID_Y_EN: 0
; COMPUTE_PGM_RSRC2:TGID_Z_EN: 0
; COMPUTE_PGM_RSRC2:TIDIG_COMP_CNT: 0
	.section	.text._ZN7rocprim17ROCPRIM_400000_NS6detail30init_device_scan_by_key_kernelINS1_19lookback_scan_stateINS0_5tupleIJtbEEELb1ELb1EEEN6thrust23THRUST_200600_302600_NS6detail15normal_iteratorINS8_10device_ptrIiEEEEjNS1_16block_id_wrapperIjLb1EEEEEvT_jjPNSG_10value_typeET0_PNSt15iterator_traitsISJ_E10value_typeEmT1_T2_,"axG",@progbits,_ZN7rocprim17ROCPRIM_400000_NS6detail30init_device_scan_by_key_kernelINS1_19lookback_scan_stateINS0_5tupleIJtbEEELb1ELb1EEEN6thrust23THRUST_200600_302600_NS6detail15normal_iteratorINS8_10device_ptrIiEEEEjNS1_16block_id_wrapperIjLb1EEEEEvT_jjPNSG_10value_typeET0_PNSt15iterator_traitsISJ_E10value_typeEmT1_T2_,comdat
	.protected	_ZN7rocprim17ROCPRIM_400000_NS6detail30init_device_scan_by_key_kernelINS1_19lookback_scan_stateINS0_5tupleIJtbEEELb1ELb1EEEN6thrust23THRUST_200600_302600_NS6detail15normal_iteratorINS8_10device_ptrIiEEEEjNS1_16block_id_wrapperIjLb1EEEEEvT_jjPNSG_10value_typeET0_PNSt15iterator_traitsISJ_E10value_typeEmT1_T2_ ; -- Begin function _ZN7rocprim17ROCPRIM_400000_NS6detail30init_device_scan_by_key_kernelINS1_19lookback_scan_stateINS0_5tupleIJtbEEELb1ELb1EEEN6thrust23THRUST_200600_302600_NS6detail15normal_iteratorINS8_10device_ptrIiEEEEjNS1_16block_id_wrapperIjLb1EEEEEvT_jjPNSG_10value_typeET0_PNSt15iterator_traitsISJ_E10value_typeEmT1_T2_
	.globl	_ZN7rocprim17ROCPRIM_400000_NS6detail30init_device_scan_by_key_kernelINS1_19lookback_scan_stateINS0_5tupleIJtbEEELb1ELb1EEEN6thrust23THRUST_200600_302600_NS6detail15normal_iteratorINS8_10device_ptrIiEEEEjNS1_16block_id_wrapperIjLb1EEEEEvT_jjPNSG_10value_typeET0_PNSt15iterator_traitsISJ_E10value_typeEmT1_T2_
	.p2align	8
	.type	_ZN7rocprim17ROCPRIM_400000_NS6detail30init_device_scan_by_key_kernelINS1_19lookback_scan_stateINS0_5tupleIJtbEEELb1ELb1EEEN6thrust23THRUST_200600_302600_NS6detail15normal_iteratorINS8_10device_ptrIiEEEEjNS1_16block_id_wrapperIjLb1EEEEEvT_jjPNSG_10value_typeET0_PNSt15iterator_traitsISJ_E10value_typeEmT1_T2_,@function
_ZN7rocprim17ROCPRIM_400000_NS6detail30init_device_scan_by_key_kernelINS1_19lookback_scan_stateINS0_5tupleIJtbEEELb1ELb1EEEN6thrust23THRUST_200600_302600_NS6detail15normal_iteratorINS8_10device_ptrIiEEEEjNS1_16block_id_wrapperIjLb1EEEEEvT_jjPNSG_10value_typeET0_PNSt15iterator_traitsISJ_E10value_typeEmT1_T2_: ; @_ZN7rocprim17ROCPRIM_400000_NS6detail30init_device_scan_by_key_kernelINS1_19lookback_scan_stateINS0_5tupleIJtbEEELb1ELb1EEEN6thrust23THRUST_200600_302600_NS6detail15normal_iteratorINS8_10device_ptrIiEEEEjNS1_16block_id_wrapperIjLb1EEEEEvT_jjPNSG_10value_typeET0_PNSt15iterator_traitsISJ_E10value_typeEmT1_T2_
; %bb.0:
	s_clause 0x2
	s_load_b32 s2, s[0:1], 0x4c
	s_load_b32 s12, s[0:1], 0x40
	s_load_b256 s[4:11], s[0:1], 0x0
	s_bfe_u32 s3, ttmp6, 0x4000c
	s_and_b32 s14, ttmp6, 15
	s_add_co_i32 s3, s3, 1
	s_getreg_b32 s15, hwreg(HW_REG_IB_STS2, 6, 4)
	s_mul_i32 s3, ttmp9, s3
	s_delay_alu instid0(SALU_CYCLE_1)
	s_add_co_i32 s14, s14, s3
	s_wait_kmcnt 0x0
	s_and_b32 s13, s2, 0xffff
	s_cmp_eq_u32 s15, 0
	s_cselect_b32 s2, ttmp9, s14
	s_cmp_eq_u64 s[8:9], 0
	v_mad_u32 v0, s2, s13, v0
	s_cbranch_scc1 .LBB1276_9
; %bb.1:
	s_cmp_lt_u32 s7, s6
	s_mov_b32 s14, exec_lo
	s_cselect_b32 s2, s7, 0
	s_delay_alu instid0(VALU_DEP_1) | instid1(SALU_CYCLE_1)
	v_cmpx_eq_u32_e64 s2, v0
	s_cbranch_execz .LBB1276_8
; %bb.2:
	s_add_co_i32 s2, s7, 32
	s_delay_alu instid0(SALU_CYCLE_1) | instskip(SKIP_3) | instid1(VALU_DEP_1)
	v_dual_mov_b32 v2, 0 :: v_dual_mov_b32 v1, s2
	global_load_b64 v[4:5], v1, s[4:5] scale_offset scope:SCOPE_DEV
	s_wait_loadcnt 0x0
	v_and_b32_e32 v3, 0xff, v5
	v_cmp_ne_u64_e32 vcc_lo, 0, v[2:3]
	s_cbranch_vccnz .LBB1276_7
; %bb.3:
	s_mov_b32 s3, 0
	s_mov_b32 s7, 1
	s_lshl_b64 s[2:3], s[2:3], 3
	s_delay_alu instid0(SALU_CYCLE_1)
	s_add_nc_u64 s[2:3], s[4:5], s[2:3]
.LBB1276_4:                             ; =>This Loop Header: Depth=1
                                        ;     Child Loop BB1276_5 Depth 2
	s_mov_b32 s15, s7
.LBB1276_5:                             ;   Parent Loop BB1276_4 Depth=1
                                        ; =>  This Inner Loop Header: Depth=2
	s_delay_alu instid0(SALU_CYCLE_1)
	s_add_co_i32 s15, s15, -1
	s_sleep 1
	s_cmp_eq_u32 s15, 0
	s_cbranch_scc0 .LBB1276_5
; %bb.6:                                ;   in Loop: Header=BB1276_4 Depth=1
	global_load_b64 v[4:5], v2, s[2:3] scope:SCOPE_DEV
	s_cmp_lt_u32 s7, 32
	s_cselect_b32 s15, -1, 0
	s_delay_alu instid0(SALU_CYCLE_1) | instskip(SKIP_3) | instid1(VALU_DEP_1)
	s_cmp_lg_u32 s15, 0
	s_add_co_ci_u32 s7, s7, 0
	s_wait_loadcnt 0x0
	v_and_b32_e32 v3, 0xff, v5
	v_cmp_ne_u64_e32 vcc_lo, 0, v[2:3]
	s_cbranch_vccz .LBB1276_4
.LBB1276_7:
	v_mov_b32_e32 v1, 0
	s_clause 0x1
	global_store_b16 v1, v4, s[8:9]
	global_store_d16_hi_b8 v1, v4, s[8:9] offset:2
.LBB1276_8:
	s_wait_xcnt 0x0
	s_or_b32 exec_lo, exec_lo, s14
.LBB1276_9:
	s_delay_alu instid0(SALU_CYCLE_1) | instskip(NEXT) | instid1(VALU_DEP_1)
	s_mov_b32 s2, exec_lo
	v_cmpx_eq_u32_e32 0, v0
	s_cbranch_execz .LBB1276_11
; %bb.10:
	s_load_b64 s[8:9], s[0:1], 0x38
	v_mov_b32_e32 v1, 0
	s_wait_kmcnt 0x0
	global_store_b32 v1, v1, s[8:9]
.LBB1276_11:
	s_wait_xcnt 0x0
	s_or_b32 exec_lo, exec_lo, s2
	s_delay_alu instid0(SALU_CYCLE_1)
	s_mov_b32 s2, exec_lo
	v_cmpx_gt_u32_e64 s6, v0
	s_cbranch_execz .LBB1276_13
; %bb.12:
	v_mov_b64_e32 v[2:3], 0
	v_add_nc_u32_e32 v1, 32, v0
	global_store_b64 v1, v[2:3], s[4:5] scale_offset
.LBB1276_13:
	s_wait_xcnt 0x0
	s_or_b32 exec_lo, exec_lo, s2
	v_mov_b32_e32 v1, 0
	s_mov_b32 s2, exec_lo
	v_cmpx_gt_u32_e32 32, v0
	s_cbranch_execz .LBB1276_15
; %bb.14:
	v_mov_b64_e32 v[2:3], 0xff00000000
	v_lshl_add_u64 v[4:5], v[0:1], 3, s[4:5]
	global_store_b64 v[4:5], v[2:3], off
.LBB1276_15:
	s_wait_xcnt 0x0
	s_or_b32 exec_lo, exec_lo, s2
	s_load_b64 s[2:3], s[0:1], 0x28
	s_mov_b32 s4, exec_lo
	s_wait_kmcnt 0x0
	v_cmpx_gt_u64_e64 s[2:3], v[0:1]
	s_cbranch_execz .LBB1276_18
; %bb.16:
	s_clause 0x1
	s_load_b32 s4, s[0:1], 0x30
	s_load_b64 s[6:7], s[0:1], 0x20
	s_mov_b32 s5, 0
	s_wait_xcnt 0x0
	s_mul_i32 s0, s12, s13
	s_mov_b32 s9, s5
	s_mov_b32 s1, s5
	s_wait_kmcnt 0x0
	v_mul_u64_e32 v[2:3], s[4:5], v[0:1]
	s_add_co_i32 s8, s4, -1
	v_lshl_add_u64 v[4:5], v[0:1], 2, s[6:7]
	s_lshl_b64 s[8:9], s[8:9], 2
	s_delay_alu instid0(SALU_CYCLE_1) | instskip(SKIP_1) | instid1(SALU_CYCLE_1)
	s_add_nc_u64 s[8:9], s[10:11], s[8:9]
	s_mul_u64 s[10:11], s[4:5], s[0:1]
	s_lshl_b64 s[6:7], s[10:11], 2
	s_delay_alu instid0(VALU_DEP_2)
	v_lshl_add_u64 v[2:3], v[2:3], 2, s[8:9]
	s_lshl_b64 s[8:9], s[0:1], 2
.LBB1276_17:                            ; =>This Inner Loop Header: Depth=1
	global_load_b32 v6, v[2:3], off
	v_add_nc_u64_e32 v[0:1], s[0:1], v[0:1]
	s_wait_xcnt 0x0
	v_add_nc_u64_e32 v[2:3], s[6:7], v[2:3]
	s_delay_alu instid0(VALU_DEP_2)
	v_cmp_le_u64_e32 vcc_lo, s[2:3], v[0:1]
	s_or_b32 s5, vcc_lo, s5
	s_wait_loadcnt 0x0
	global_store_b32 v[4:5], v6, off
	s_wait_xcnt 0x0
	v_add_nc_u64_e32 v[4:5], s[8:9], v[4:5]
	s_and_not1_b32 exec_lo, exec_lo, s5
	s_cbranch_execnz .LBB1276_17
.LBB1276_18:
	s_endpgm
	.section	.rodata,"a",@progbits
	.p2align	6, 0x0
	.amdhsa_kernel _ZN7rocprim17ROCPRIM_400000_NS6detail30init_device_scan_by_key_kernelINS1_19lookback_scan_stateINS0_5tupleIJtbEEELb1ELb1EEEN6thrust23THRUST_200600_302600_NS6detail15normal_iteratorINS8_10device_ptrIiEEEEjNS1_16block_id_wrapperIjLb1EEEEEvT_jjPNSG_10value_typeET0_PNSt15iterator_traitsISJ_E10value_typeEmT1_T2_
		.amdhsa_group_segment_fixed_size 0
		.amdhsa_private_segment_fixed_size 0
		.amdhsa_kernarg_size 320
		.amdhsa_user_sgpr_count 2
		.amdhsa_user_sgpr_dispatch_ptr 0
		.amdhsa_user_sgpr_queue_ptr 0
		.amdhsa_user_sgpr_kernarg_segment_ptr 1
		.amdhsa_user_sgpr_dispatch_id 0
		.amdhsa_user_sgpr_kernarg_preload_length 0
		.amdhsa_user_sgpr_kernarg_preload_offset 0
		.amdhsa_user_sgpr_private_segment_size 0
		.amdhsa_wavefront_size32 1
		.amdhsa_uses_dynamic_stack 0
		.amdhsa_enable_private_segment 0
		.amdhsa_system_sgpr_workgroup_id_x 1
		.amdhsa_system_sgpr_workgroup_id_y 0
		.amdhsa_system_sgpr_workgroup_id_z 0
		.amdhsa_system_sgpr_workgroup_info 0
		.amdhsa_system_vgpr_workitem_id 0
		.amdhsa_next_free_vgpr 7
		.amdhsa_next_free_sgpr 16
		.amdhsa_named_barrier_count 0
		.amdhsa_reserve_vcc 1
		.amdhsa_float_round_mode_32 0
		.amdhsa_float_round_mode_16_64 0
		.amdhsa_float_denorm_mode_32 3
		.amdhsa_float_denorm_mode_16_64 3
		.amdhsa_fp16_overflow 0
		.amdhsa_memory_ordered 1
		.amdhsa_forward_progress 1
		.amdhsa_inst_pref_size 6
		.amdhsa_round_robin_scheduling 0
		.amdhsa_exception_fp_ieee_invalid_op 0
		.amdhsa_exception_fp_denorm_src 0
		.amdhsa_exception_fp_ieee_div_zero 0
		.amdhsa_exception_fp_ieee_overflow 0
		.amdhsa_exception_fp_ieee_underflow 0
		.amdhsa_exception_fp_ieee_inexact 0
		.amdhsa_exception_int_div_zero 0
	.end_amdhsa_kernel
	.section	.text._ZN7rocprim17ROCPRIM_400000_NS6detail30init_device_scan_by_key_kernelINS1_19lookback_scan_stateINS0_5tupleIJtbEEELb1ELb1EEEN6thrust23THRUST_200600_302600_NS6detail15normal_iteratorINS8_10device_ptrIiEEEEjNS1_16block_id_wrapperIjLb1EEEEEvT_jjPNSG_10value_typeET0_PNSt15iterator_traitsISJ_E10value_typeEmT1_T2_,"axG",@progbits,_ZN7rocprim17ROCPRIM_400000_NS6detail30init_device_scan_by_key_kernelINS1_19lookback_scan_stateINS0_5tupleIJtbEEELb1ELb1EEEN6thrust23THRUST_200600_302600_NS6detail15normal_iteratorINS8_10device_ptrIiEEEEjNS1_16block_id_wrapperIjLb1EEEEEvT_jjPNSG_10value_typeET0_PNSt15iterator_traitsISJ_E10value_typeEmT1_T2_,comdat
.Lfunc_end1276:
	.size	_ZN7rocprim17ROCPRIM_400000_NS6detail30init_device_scan_by_key_kernelINS1_19lookback_scan_stateINS0_5tupleIJtbEEELb1ELb1EEEN6thrust23THRUST_200600_302600_NS6detail15normal_iteratorINS8_10device_ptrIiEEEEjNS1_16block_id_wrapperIjLb1EEEEEvT_jjPNSG_10value_typeET0_PNSt15iterator_traitsISJ_E10value_typeEmT1_T2_, .Lfunc_end1276-_ZN7rocprim17ROCPRIM_400000_NS6detail30init_device_scan_by_key_kernelINS1_19lookback_scan_stateINS0_5tupleIJtbEEELb1ELb1EEEN6thrust23THRUST_200600_302600_NS6detail15normal_iteratorINS8_10device_ptrIiEEEEjNS1_16block_id_wrapperIjLb1EEEEEvT_jjPNSG_10value_typeET0_PNSt15iterator_traitsISJ_E10value_typeEmT1_T2_
                                        ; -- End function
	.set _ZN7rocprim17ROCPRIM_400000_NS6detail30init_device_scan_by_key_kernelINS1_19lookback_scan_stateINS0_5tupleIJtbEEELb1ELb1EEEN6thrust23THRUST_200600_302600_NS6detail15normal_iteratorINS8_10device_ptrIiEEEEjNS1_16block_id_wrapperIjLb1EEEEEvT_jjPNSG_10value_typeET0_PNSt15iterator_traitsISJ_E10value_typeEmT1_T2_.num_vgpr, 7
	.set _ZN7rocprim17ROCPRIM_400000_NS6detail30init_device_scan_by_key_kernelINS1_19lookback_scan_stateINS0_5tupleIJtbEEELb1ELb1EEEN6thrust23THRUST_200600_302600_NS6detail15normal_iteratorINS8_10device_ptrIiEEEEjNS1_16block_id_wrapperIjLb1EEEEEvT_jjPNSG_10value_typeET0_PNSt15iterator_traitsISJ_E10value_typeEmT1_T2_.num_agpr, 0
	.set _ZN7rocprim17ROCPRIM_400000_NS6detail30init_device_scan_by_key_kernelINS1_19lookback_scan_stateINS0_5tupleIJtbEEELb1ELb1EEEN6thrust23THRUST_200600_302600_NS6detail15normal_iteratorINS8_10device_ptrIiEEEEjNS1_16block_id_wrapperIjLb1EEEEEvT_jjPNSG_10value_typeET0_PNSt15iterator_traitsISJ_E10value_typeEmT1_T2_.numbered_sgpr, 16
	.set _ZN7rocprim17ROCPRIM_400000_NS6detail30init_device_scan_by_key_kernelINS1_19lookback_scan_stateINS0_5tupleIJtbEEELb1ELb1EEEN6thrust23THRUST_200600_302600_NS6detail15normal_iteratorINS8_10device_ptrIiEEEEjNS1_16block_id_wrapperIjLb1EEEEEvT_jjPNSG_10value_typeET0_PNSt15iterator_traitsISJ_E10value_typeEmT1_T2_.num_named_barrier, 0
	.set _ZN7rocprim17ROCPRIM_400000_NS6detail30init_device_scan_by_key_kernelINS1_19lookback_scan_stateINS0_5tupleIJtbEEELb1ELb1EEEN6thrust23THRUST_200600_302600_NS6detail15normal_iteratorINS8_10device_ptrIiEEEEjNS1_16block_id_wrapperIjLb1EEEEEvT_jjPNSG_10value_typeET0_PNSt15iterator_traitsISJ_E10value_typeEmT1_T2_.private_seg_size, 0
	.set _ZN7rocprim17ROCPRIM_400000_NS6detail30init_device_scan_by_key_kernelINS1_19lookback_scan_stateINS0_5tupleIJtbEEELb1ELb1EEEN6thrust23THRUST_200600_302600_NS6detail15normal_iteratorINS8_10device_ptrIiEEEEjNS1_16block_id_wrapperIjLb1EEEEEvT_jjPNSG_10value_typeET0_PNSt15iterator_traitsISJ_E10value_typeEmT1_T2_.uses_vcc, 1
	.set _ZN7rocprim17ROCPRIM_400000_NS6detail30init_device_scan_by_key_kernelINS1_19lookback_scan_stateINS0_5tupleIJtbEEELb1ELb1EEEN6thrust23THRUST_200600_302600_NS6detail15normal_iteratorINS8_10device_ptrIiEEEEjNS1_16block_id_wrapperIjLb1EEEEEvT_jjPNSG_10value_typeET0_PNSt15iterator_traitsISJ_E10value_typeEmT1_T2_.uses_flat_scratch, 0
	.set _ZN7rocprim17ROCPRIM_400000_NS6detail30init_device_scan_by_key_kernelINS1_19lookback_scan_stateINS0_5tupleIJtbEEELb1ELb1EEEN6thrust23THRUST_200600_302600_NS6detail15normal_iteratorINS8_10device_ptrIiEEEEjNS1_16block_id_wrapperIjLb1EEEEEvT_jjPNSG_10value_typeET0_PNSt15iterator_traitsISJ_E10value_typeEmT1_T2_.has_dyn_sized_stack, 0
	.set _ZN7rocprim17ROCPRIM_400000_NS6detail30init_device_scan_by_key_kernelINS1_19lookback_scan_stateINS0_5tupleIJtbEEELb1ELb1EEEN6thrust23THRUST_200600_302600_NS6detail15normal_iteratorINS8_10device_ptrIiEEEEjNS1_16block_id_wrapperIjLb1EEEEEvT_jjPNSG_10value_typeET0_PNSt15iterator_traitsISJ_E10value_typeEmT1_T2_.has_recursion, 0
	.set _ZN7rocprim17ROCPRIM_400000_NS6detail30init_device_scan_by_key_kernelINS1_19lookback_scan_stateINS0_5tupleIJtbEEELb1ELb1EEEN6thrust23THRUST_200600_302600_NS6detail15normal_iteratorINS8_10device_ptrIiEEEEjNS1_16block_id_wrapperIjLb1EEEEEvT_jjPNSG_10value_typeET0_PNSt15iterator_traitsISJ_E10value_typeEmT1_T2_.has_indirect_call, 0
	.section	.AMDGPU.csdata,"",@progbits
; Kernel info:
; codeLenInByte = 660
; TotalNumSgprs: 18
; NumVgprs: 7
; ScratchSize: 0
; MemoryBound: 0
; FloatMode: 240
; IeeeMode: 1
; LDSByteSize: 0 bytes/workgroup (compile time only)
; SGPRBlocks: 0
; VGPRBlocks: 0
; NumSGPRsForWavesPerEU: 18
; NumVGPRsForWavesPerEU: 7
; NamedBarCnt: 0
; Occupancy: 16
; WaveLimiterHint : 0
; COMPUTE_PGM_RSRC2:SCRATCH_EN: 0
; COMPUTE_PGM_RSRC2:USER_SGPR: 2
; COMPUTE_PGM_RSRC2:TRAP_HANDLER: 0
; COMPUTE_PGM_RSRC2:TGID_X_EN: 1
; COMPUTE_PGM_RSRC2:TGID_Y_EN: 0
; COMPUTE_PGM_RSRC2:TGID_Z_EN: 0
; COMPUTE_PGM_RSRC2:TIDIG_COMP_CNT: 0
	.section	.text._ZN7rocprim17ROCPRIM_400000_NS6detail30init_device_scan_by_key_kernelINS1_19lookback_scan_stateINS0_5tupleIJtbEEELb1ELb1EEENS1_16block_id_wrapperIjLb1EEEEEvT_jjPNS9_10value_typeET0_,"axG",@progbits,_ZN7rocprim17ROCPRIM_400000_NS6detail30init_device_scan_by_key_kernelINS1_19lookback_scan_stateINS0_5tupleIJtbEEELb1ELb1EEENS1_16block_id_wrapperIjLb1EEEEEvT_jjPNS9_10value_typeET0_,comdat
	.protected	_ZN7rocprim17ROCPRIM_400000_NS6detail30init_device_scan_by_key_kernelINS1_19lookback_scan_stateINS0_5tupleIJtbEEELb1ELb1EEENS1_16block_id_wrapperIjLb1EEEEEvT_jjPNS9_10value_typeET0_ ; -- Begin function _ZN7rocprim17ROCPRIM_400000_NS6detail30init_device_scan_by_key_kernelINS1_19lookback_scan_stateINS0_5tupleIJtbEEELb1ELb1EEENS1_16block_id_wrapperIjLb1EEEEEvT_jjPNS9_10value_typeET0_
	.globl	_ZN7rocprim17ROCPRIM_400000_NS6detail30init_device_scan_by_key_kernelINS1_19lookback_scan_stateINS0_5tupleIJtbEEELb1ELb1EEENS1_16block_id_wrapperIjLb1EEEEEvT_jjPNS9_10value_typeET0_
	.p2align	8
	.type	_ZN7rocprim17ROCPRIM_400000_NS6detail30init_device_scan_by_key_kernelINS1_19lookback_scan_stateINS0_5tupleIJtbEEELb1ELb1EEENS1_16block_id_wrapperIjLb1EEEEEvT_jjPNS9_10value_typeET0_,@function
_ZN7rocprim17ROCPRIM_400000_NS6detail30init_device_scan_by_key_kernelINS1_19lookback_scan_stateINS0_5tupleIJtbEEELb1ELb1EEENS1_16block_id_wrapperIjLb1EEEEEvT_jjPNS9_10value_typeET0_: ; @_ZN7rocprim17ROCPRIM_400000_NS6detail30init_device_scan_by_key_kernelINS1_19lookback_scan_stateINS0_5tupleIJtbEEELb1ELb1EEENS1_16block_id_wrapperIjLb1EEEEEvT_jjPNS9_10value_typeET0_
; %bb.0:
	s_clause 0x1
	s_load_b32 s2, s[0:1], 0x2c
	s_load_b256 s[4:11], s[0:1], 0x0
	s_wait_xcnt 0x0
	s_bfe_u32 s0, ttmp6, 0x4000c
	s_and_b32 s1, ttmp6, 15
	s_add_co_i32 s0, s0, 1
	s_getreg_b32 s3, hwreg(HW_REG_IB_STS2, 6, 4)
	s_mul_i32 s0, ttmp9, s0
	s_delay_alu instid0(SALU_CYCLE_1)
	s_add_co_i32 s1, s1, s0
	s_wait_kmcnt 0x0
	s_and_b32 s2, s2, 0xffff
	s_cmp_eq_u32 s3, 0
	s_cselect_b32 s0, ttmp9, s1
	s_cmp_eq_u64 s[8:9], 0
	v_mad_u32 v4, s0, s2, v0
	s_cbranch_scc1 .LBB1277_9
; %bb.1:
	s_cmp_lt_u32 s7, s6
	s_mov_b32 s2, exec_lo
	s_cselect_b32 s0, s7, 0
	s_delay_alu instid0(VALU_DEP_1) | instid1(SALU_CYCLE_1)
	v_cmpx_eq_u32_e64 s0, v4
	s_cbranch_execz .LBB1277_8
; %bb.2:
	s_add_co_i32 s0, s7, 32
	s_delay_alu instid0(SALU_CYCLE_1)
	v_mov_b32_e32 v0, s0
	global_load_b64 v[2:3], v0, s[4:5] scale_offset scope:SCOPE_DEV
	s_wait_xcnt 0x0
	v_mov_b32_e32 v0, 0
	s_wait_loadcnt 0x0
	v_and_b32_e32 v1, 0xff, v3
	s_delay_alu instid0(VALU_DEP_1)
	v_cmp_ne_u64_e32 vcc_lo, 0, v[0:1]
	s_cbranch_vccnz .LBB1277_7
; %bb.3:
	s_mov_b32 s1, 0
	s_mov_b32 s3, 1
	s_lshl_b64 s[0:1], s[0:1], 3
	s_delay_alu instid0(SALU_CYCLE_1)
	s_add_nc_u64 s[0:1], s[4:5], s[0:1]
.LBB1277_4:                             ; =>This Loop Header: Depth=1
                                        ;     Child Loop BB1277_5 Depth 2
	s_mov_b32 s7, s3
.LBB1277_5:                             ;   Parent Loop BB1277_4 Depth=1
                                        ; =>  This Inner Loop Header: Depth=2
	s_delay_alu instid0(SALU_CYCLE_1)
	s_add_co_i32 s7, s7, -1
	s_sleep 1
	s_cmp_eq_u32 s7, 0
	s_cbranch_scc0 .LBB1277_5
; %bb.6:                                ;   in Loop: Header=BB1277_4 Depth=1
	global_load_b64 v[2:3], v0, s[0:1] scope:SCOPE_DEV
	s_cmp_lt_u32 s3, 32
	s_cselect_b32 s7, -1, 0
	s_delay_alu instid0(SALU_CYCLE_1) | instskip(SKIP_3) | instid1(VALU_DEP_1)
	s_cmp_lg_u32 s7, 0
	s_add_co_ci_u32 s3, s3, 0
	s_wait_loadcnt 0x0
	v_and_b32_e32 v1, 0xff, v3
	v_cmp_ne_u64_e32 vcc_lo, 0, v[0:1]
	s_cbranch_vccz .LBB1277_4
.LBB1277_7:
	v_mov_b32_e32 v0, 0
	s_clause 0x1
	global_store_b16 v0, v2, s[8:9]
	global_store_d16_hi_b8 v0, v2, s[8:9] offset:2
.LBB1277_8:
	s_wait_xcnt 0x0
	s_or_b32 exec_lo, exec_lo, s2
.LBB1277_9:
	s_delay_alu instid0(SALU_CYCLE_1) | instskip(NEXT) | instid1(VALU_DEP_1)
	s_mov_b32 s0, exec_lo
	v_cmpx_eq_u32_e32 0, v4
	s_cbranch_execz .LBB1277_11
; %bb.10:
	v_mov_b32_e32 v0, 0
	global_store_b32 v0, v0, s[10:11]
.LBB1277_11:
	s_wait_xcnt 0x0
	s_or_b32 exec_lo, exec_lo, s0
	s_delay_alu instid0(SALU_CYCLE_1)
	s_mov_b32 s0, exec_lo
	v_cmpx_gt_u32_e64 s6, v4
	s_cbranch_execz .LBB1277_13
; %bb.12:
	v_mov_b64_e32 v[0:1], 0
	v_add_nc_u32_e32 v2, 32, v4
	global_store_b64 v2, v[0:1], s[4:5] scale_offset
.LBB1277_13:
	s_wait_xcnt 0x0
	s_or_b32 exec_lo, exec_lo, s0
	s_delay_alu instid0(SALU_CYCLE_1)
	s_mov_b32 s0, exec_lo
	v_cmpx_gt_u32_e32 32, v4
	s_cbranch_execz .LBB1277_15
; %bb.14:
	v_mov_b64_e32 v[0:1], 0xff00000000
	global_store_b64 v4, v[0:1], s[4:5] scale_offset
.LBB1277_15:
	s_endpgm
	.section	.rodata,"a",@progbits
	.p2align	6, 0x0
	.amdhsa_kernel _ZN7rocprim17ROCPRIM_400000_NS6detail30init_device_scan_by_key_kernelINS1_19lookback_scan_stateINS0_5tupleIJtbEEELb1ELb1EEENS1_16block_id_wrapperIjLb1EEEEEvT_jjPNS9_10value_typeET0_
		.amdhsa_group_segment_fixed_size 0
		.amdhsa_private_segment_fixed_size 0
		.amdhsa_kernarg_size 288
		.amdhsa_user_sgpr_count 2
		.amdhsa_user_sgpr_dispatch_ptr 0
		.amdhsa_user_sgpr_queue_ptr 0
		.amdhsa_user_sgpr_kernarg_segment_ptr 1
		.amdhsa_user_sgpr_dispatch_id 0
		.amdhsa_user_sgpr_kernarg_preload_length 0
		.amdhsa_user_sgpr_kernarg_preload_offset 0
		.amdhsa_user_sgpr_private_segment_size 0
		.amdhsa_wavefront_size32 1
		.amdhsa_uses_dynamic_stack 0
		.amdhsa_enable_private_segment 0
		.amdhsa_system_sgpr_workgroup_id_x 1
		.amdhsa_system_sgpr_workgroup_id_y 0
		.amdhsa_system_sgpr_workgroup_id_z 0
		.amdhsa_system_sgpr_workgroup_info 0
		.amdhsa_system_vgpr_workitem_id 0
		.amdhsa_next_free_vgpr 5
		.amdhsa_next_free_sgpr 12
		.amdhsa_named_barrier_count 0
		.amdhsa_reserve_vcc 1
		.amdhsa_float_round_mode_32 0
		.amdhsa_float_round_mode_16_64 0
		.amdhsa_float_denorm_mode_32 3
		.amdhsa_float_denorm_mode_16_64 3
		.amdhsa_fp16_overflow 0
		.amdhsa_memory_ordered 1
		.amdhsa_forward_progress 1
		.amdhsa_inst_pref_size 4
		.amdhsa_round_robin_scheduling 0
		.amdhsa_exception_fp_ieee_invalid_op 0
		.amdhsa_exception_fp_denorm_src 0
		.amdhsa_exception_fp_ieee_div_zero 0
		.amdhsa_exception_fp_ieee_overflow 0
		.amdhsa_exception_fp_ieee_underflow 0
		.amdhsa_exception_fp_ieee_inexact 0
		.amdhsa_exception_int_div_zero 0
	.end_amdhsa_kernel
	.section	.text._ZN7rocprim17ROCPRIM_400000_NS6detail30init_device_scan_by_key_kernelINS1_19lookback_scan_stateINS0_5tupleIJtbEEELb1ELb1EEENS1_16block_id_wrapperIjLb1EEEEEvT_jjPNS9_10value_typeET0_,"axG",@progbits,_ZN7rocprim17ROCPRIM_400000_NS6detail30init_device_scan_by_key_kernelINS1_19lookback_scan_stateINS0_5tupleIJtbEEELb1ELb1EEENS1_16block_id_wrapperIjLb1EEEEEvT_jjPNS9_10value_typeET0_,comdat
.Lfunc_end1277:
	.size	_ZN7rocprim17ROCPRIM_400000_NS6detail30init_device_scan_by_key_kernelINS1_19lookback_scan_stateINS0_5tupleIJtbEEELb1ELb1EEENS1_16block_id_wrapperIjLb1EEEEEvT_jjPNS9_10value_typeET0_, .Lfunc_end1277-_ZN7rocprim17ROCPRIM_400000_NS6detail30init_device_scan_by_key_kernelINS1_19lookback_scan_stateINS0_5tupleIJtbEEELb1ELb1EEENS1_16block_id_wrapperIjLb1EEEEEvT_jjPNS9_10value_typeET0_
                                        ; -- End function
	.set _ZN7rocprim17ROCPRIM_400000_NS6detail30init_device_scan_by_key_kernelINS1_19lookback_scan_stateINS0_5tupleIJtbEEELb1ELb1EEENS1_16block_id_wrapperIjLb1EEEEEvT_jjPNS9_10value_typeET0_.num_vgpr, 5
	.set _ZN7rocprim17ROCPRIM_400000_NS6detail30init_device_scan_by_key_kernelINS1_19lookback_scan_stateINS0_5tupleIJtbEEELb1ELb1EEENS1_16block_id_wrapperIjLb1EEEEEvT_jjPNS9_10value_typeET0_.num_agpr, 0
	.set _ZN7rocprim17ROCPRIM_400000_NS6detail30init_device_scan_by_key_kernelINS1_19lookback_scan_stateINS0_5tupleIJtbEEELb1ELb1EEENS1_16block_id_wrapperIjLb1EEEEEvT_jjPNS9_10value_typeET0_.numbered_sgpr, 12
	.set _ZN7rocprim17ROCPRIM_400000_NS6detail30init_device_scan_by_key_kernelINS1_19lookback_scan_stateINS0_5tupleIJtbEEELb1ELb1EEENS1_16block_id_wrapperIjLb1EEEEEvT_jjPNS9_10value_typeET0_.num_named_barrier, 0
	.set _ZN7rocprim17ROCPRIM_400000_NS6detail30init_device_scan_by_key_kernelINS1_19lookback_scan_stateINS0_5tupleIJtbEEELb1ELb1EEENS1_16block_id_wrapperIjLb1EEEEEvT_jjPNS9_10value_typeET0_.private_seg_size, 0
	.set _ZN7rocprim17ROCPRIM_400000_NS6detail30init_device_scan_by_key_kernelINS1_19lookback_scan_stateINS0_5tupleIJtbEEELb1ELb1EEENS1_16block_id_wrapperIjLb1EEEEEvT_jjPNS9_10value_typeET0_.uses_vcc, 1
	.set _ZN7rocprim17ROCPRIM_400000_NS6detail30init_device_scan_by_key_kernelINS1_19lookback_scan_stateINS0_5tupleIJtbEEELb1ELb1EEENS1_16block_id_wrapperIjLb1EEEEEvT_jjPNS9_10value_typeET0_.uses_flat_scratch, 0
	.set _ZN7rocprim17ROCPRIM_400000_NS6detail30init_device_scan_by_key_kernelINS1_19lookback_scan_stateINS0_5tupleIJtbEEELb1ELb1EEENS1_16block_id_wrapperIjLb1EEEEEvT_jjPNS9_10value_typeET0_.has_dyn_sized_stack, 0
	.set _ZN7rocprim17ROCPRIM_400000_NS6detail30init_device_scan_by_key_kernelINS1_19lookback_scan_stateINS0_5tupleIJtbEEELb1ELb1EEENS1_16block_id_wrapperIjLb1EEEEEvT_jjPNS9_10value_typeET0_.has_recursion, 0
	.set _ZN7rocprim17ROCPRIM_400000_NS6detail30init_device_scan_by_key_kernelINS1_19lookback_scan_stateINS0_5tupleIJtbEEELb1ELb1EEENS1_16block_id_wrapperIjLb1EEEEEvT_jjPNS9_10value_typeET0_.has_indirect_call, 0
	.section	.AMDGPU.csdata,"",@progbits
; Kernel info:
; codeLenInByte = 444
; TotalNumSgprs: 14
; NumVgprs: 5
; ScratchSize: 0
; MemoryBound: 0
; FloatMode: 240
; IeeeMode: 1
; LDSByteSize: 0 bytes/workgroup (compile time only)
; SGPRBlocks: 0
; VGPRBlocks: 0
; NumSGPRsForWavesPerEU: 14
; NumVGPRsForWavesPerEU: 5
; NamedBarCnt: 0
; Occupancy: 16
; WaveLimiterHint : 0
; COMPUTE_PGM_RSRC2:SCRATCH_EN: 0
; COMPUTE_PGM_RSRC2:USER_SGPR: 2
; COMPUTE_PGM_RSRC2:TRAP_HANDLER: 0
; COMPUTE_PGM_RSRC2:TGID_X_EN: 1
; COMPUTE_PGM_RSRC2:TGID_Y_EN: 0
; COMPUTE_PGM_RSRC2:TGID_Z_EN: 0
; COMPUTE_PGM_RSRC2:TIDIG_COMP_CNT: 0
	.section	.text._ZN7rocprim17ROCPRIM_400000_NS6detail17trampoline_kernelINS0_14default_configENS1_27scan_by_key_config_selectorIitEEZZNS1_16scan_by_key_implILNS1_25lookback_scan_determinismE0ELb0ES3_N6thrust23THRUST_200600_302600_NS6detail15normal_iteratorINS9_10device_ptrIiEEEENSB_INSC_ItEEEESG_tNS9_4plusIvEENS9_8equal_toIvEEtEE10hipError_tPvRmT2_T3_T4_T5_mT6_T7_P12ihipStream_tbENKUlT_T0_E_clISt17integral_constantIbLb1EES11_EEDaSW_SX_EUlSW_E_NS1_11comp_targetILNS1_3genE0ELNS1_11target_archE4294967295ELNS1_3gpuE0ELNS1_3repE0EEENS1_30default_config_static_selectorELNS0_4arch9wavefront6targetE0EEEvT1_,"axG",@progbits,_ZN7rocprim17ROCPRIM_400000_NS6detail17trampoline_kernelINS0_14default_configENS1_27scan_by_key_config_selectorIitEEZZNS1_16scan_by_key_implILNS1_25lookback_scan_determinismE0ELb0ES3_N6thrust23THRUST_200600_302600_NS6detail15normal_iteratorINS9_10device_ptrIiEEEENSB_INSC_ItEEEESG_tNS9_4plusIvEENS9_8equal_toIvEEtEE10hipError_tPvRmT2_T3_T4_T5_mT6_T7_P12ihipStream_tbENKUlT_T0_E_clISt17integral_constantIbLb1EES11_EEDaSW_SX_EUlSW_E_NS1_11comp_targetILNS1_3genE0ELNS1_11target_archE4294967295ELNS1_3gpuE0ELNS1_3repE0EEENS1_30default_config_static_selectorELNS0_4arch9wavefront6targetE0EEEvT1_,comdat
	.protected	_ZN7rocprim17ROCPRIM_400000_NS6detail17trampoline_kernelINS0_14default_configENS1_27scan_by_key_config_selectorIitEEZZNS1_16scan_by_key_implILNS1_25lookback_scan_determinismE0ELb0ES3_N6thrust23THRUST_200600_302600_NS6detail15normal_iteratorINS9_10device_ptrIiEEEENSB_INSC_ItEEEESG_tNS9_4plusIvEENS9_8equal_toIvEEtEE10hipError_tPvRmT2_T3_T4_T5_mT6_T7_P12ihipStream_tbENKUlT_T0_E_clISt17integral_constantIbLb1EES11_EEDaSW_SX_EUlSW_E_NS1_11comp_targetILNS1_3genE0ELNS1_11target_archE4294967295ELNS1_3gpuE0ELNS1_3repE0EEENS1_30default_config_static_selectorELNS0_4arch9wavefront6targetE0EEEvT1_ ; -- Begin function _ZN7rocprim17ROCPRIM_400000_NS6detail17trampoline_kernelINS0_14default_configENS1_27scan_by_key_config_selectorIitEEZZNS1_16scan_by_key_implILNS1_25lookback_scan_determinismE0ELb0ES3_N6thrust23THRUST_200600_302600_NS6detail15normal_iteratorINS9_10device_ptrIiEEEENSB_INSC_ItEEEESG_tNS9_4plusIvEENS9_8equal_toIvEEtEE10hipError_tPvRmT2_T3_T4_T5_mT6_T7_P12ihipStream_tbENKUlT_T0_E_clISt17integral_constantIbLb1EES11_EEDaSW_SX_EUlSW_E_NS1_11comp_targetILNS1_3genE0ELNS1_11target_archE4294967295ELNS1_3gpuE0ELNS1_3repE0EEENS1_30default_config_static_selectorELNS0_4arch9wavefront6targetE0EEEvT1_
	.globl	_ZN7rocprim17ROCPRIM_400000_NS6detail17trampoline_kernelINS0_14default_configENS1_27scan_by_key_config_selectorIitEEZZNS1_16scan_by_key_implILNS1_25lookback_scan_determinismE0ELb0ES3_N6thrust23THRUST_200600_302600_NS6detail15normal_iteratorINS9_10device_ptrIiEEEENSB_INSC_ItEEEESG_tNS9_4plusIvEENS9_8equal_toIvEEtEE10hipError_tPvRmT2_T3_T4_T5_mT6_T7_P12ihipStream_tbENKUlT_T0_E_clISt17integral_constantIbLb1EES11_EEDaSW_SX_EUlSW_E_NS1_11comp_targetILNS1_3genE0ELNS1_11target_archE4294967295ELNS1_3gpuE0ELNS1_3repE0EEENS1_30default_config_static_selectorELNS0_4arch9wavefront6targetE0EEEvT1_
	.p2align	8
	.type	_ZN7rocprim17ROCPRIM_400000_NS6detail17trampoline_kernelINS0_14default_configENS1_27scan_by_key_config_selectorIitEEZZNS1_16scan_by_key_implILNS1_25lookback_scan_determinismE0ELb0ES3_N6thrust23THRUST_200600_302600_NS6detail15normal_iteratorINS9_10device_ptrIiEEEENSB_INSC_ItEEEESG_tNS9_4plusIvEENS9_8equal_toIvEEtEE10hipError_tPvRmT2_T3_T4_T5_mT6_T7_P12ihipStream_tbENKUlT_T0_E_clISt17integral_constantIbLb1EES11_EEDaSW_SX_EUlSW_E_NS1_11comp_targetILNS1_3genE0ELNS1_11target_archE4294967295ELNS1_3gpuE0ELNS1_3repE0EEENS1_30default_config_static_selectorELNS0_4arch9wavefront6targetE0EEEvT1_,@function
_ZN7rocprim17ROCPRIM_400000_NS6detail17trampoline_kernelINS0_14default_configENS1_27scan_by_key_config_selectorIitEEZZNS1_16scan_by_key_implILNS1_25lookback_scan_determinismE0ELb0ES3_N6thrust23THRUST_200600_302600_NS6detail15normal_iteratorINS9_10device_ptrIiEEEENSB_INSC_ItEEEESG_tNS9_4plusIvEENS9_8equal_toIvEEtEE10hipError_tPvRmT2_T3_T4_T5_mT6_T7_P12ihipStream_tbENKUlT_T0_E_clISt17integral_constantIbLb1EES11_EEDaSW_SX_EUlSW_E_NS1_11comp_targetILNS1_3genE0ELNS1_11target_archE4294967295ELNS1_3gpuE0ELNS1_3repE0EEENS1_30default_config_static_selectorELNS0_4arch9wavefront6targetE0EEEvT1_: ; @_ZN7rocprim17ROCPRIM_400000_NS6detail17trampoline_kernelINS0_14default_configENS1_27scan_by_key_config_selectorIitEEZZNS1_16scan_by_key_implILNS1_25lookback_scan_determinismE0ELb0ES3_N6thrust23THRUST_200600_302600_NS6detail15normal_iteratorINS9_10device_ptrIiEEEENSB_INSC_ItEEEESG_tNS9_4plusIvEENS9_8equal_toIvEEtEE10hipError_tPvRmT2_T3_T4_T5_mT6_T7_P12ihipStream_tbENKUlT_T0_E_clISt17integral_constantIbLb1EES11_EEDaSW_SX_EUlSW_E_NS1_11comp_targetILNS1_3genE0ELNS1_11target_archE4294967295ELNS1_3gpuE0ELNS1_3repE0EEENS1_30default_config_static_selectorELNS0_4arch9wavefront6targetE0EEEvT1_
; %bb.0:
	s_endpgm
	.section	.rodata,"a",@progbits
	.p2align	6, 0x0
	.amdhsa_kernel _ZN7rocprim17ROCPRIM_400000_NS6detail17trampoline_kernelINS0_14default_configENS1_27scan_by_key_config_selectorIitEEZZNS1_16scan_by_key_implILNS1_25lookback_scan_determinismE0ELb0ES3_N6thrust23THRUST_200600_302600_NS6detail15normal_iteratorINS9_10device_ptrIiEEEENSB_INSC_ItEEEESG_tNS9_4plusIvEENS9_8equal_toIvEEtEE10hipError_tPvRmT2_T3_T4_T5_mT6_T7_P12ihipStream_tbENKUlT_T0_E_clISt17integral_constantIbLb1EES11_EEDaSW_SX_EUlSW_E_NS1_11comp_targetILNS1_3genE0ELNS1_11target_archE4294967295ELNS1_3gpuE0ELNS1_3repE0EEENS1_30default_config_static_selectorELNS0_4arch9wavefront6targetE0EEEvT1_
		.amdhsa_group_segment_fixed_size 0
		.amdhsa_private_segment_fixed_size 0
		.amdhsa_kernarg_size 112
		.amdhsa_user_sgpr_count 2
		.amdhsa_user_sgpr_dispatch_ptr 0
		.amdhsa_user_sgpr_queue_ptr 0
		.amdhsa_user_sgpr_kernarg_segment_ptr 1
		.amdhsa_user_sgpr_dispatch_id 0
		.amdhsa_user_sgpr_kernarg_preload_length 0
		.amdhsa_user_sgpr_kernarg_preload_offset 0
		.amdhsa_user_sgpr_private_segment_size 0
		.amdhsa_wavefront_size32 1
		.amdhsa_uses_dynamic_stack 0
		.amdhsa_enable_private_segment 0
		.amdhsa_system_sgpr_workgroup_id_x 1
		.amdhsa_system_sgpr_workgroup_id_y 0
		.amdhsa_system_sgpr_workgroup_id_z 0
		.amdhsa_system_sgpr_workgroup_info 0
		.amdhsa_system_vgpr_workitem_id 0
		.amdhsa_next_free_vgpr 1
		.amdhsa_next_free_sgpr 1
		.amdhsa_named_barrier_count 0
		.amdhsa_reserve_vcc 0
		.amdhsa_float_round_mode_32 0
		.amdhsa_float_round_mode_16_64 0
		.amdhsa_float_denorm_mode_32 3
		.amdhsa_float_denorm_mode_16_64 3
		.amdhsa_fp16_overflow 0
		.amdhsa_memory_ordered 1
		.amdhsa_forward_progress 1
		.amdhsa_inst_pref_size 1
		.amdhsa_round_robin_scheduling 0
		.amdhsa_exception_fp_ieee_invalid_op 0
		.amdhsa_exception_fp_denorm_src 0
		.amdhsa_exception_fp_ieee_div_zero 0
		.amdhsa_exception_fp_ieee_overflow 0
		.amdhsa_exception_fp_ieee_underflow 0
		.amdhsa_exception_fp_ieee_inexact 0
		.amdhsa_exception_int_div_zero 0
	.end_amdhsa_kernel
	.section	.text._ZN7rocprim17ROCPRIM_400000_NS6detail17trampoline_kernelINS0_14default_configENS1_27scan_by_key_config_selectorIitEEZZNS1_16scan_by_key_implILNS1_25lookback_scan_determinismE0ELb0ES3_N6thrust23THRUST_200600_302600_NS6detail15normal_iteratorINS9_10device_ptrIiEEEENSB_INSC_ItEEEESG_tNS9_4plusIvEENS9_8equal_toIvEEtEE10hipError_tPvRmT2_T3_T4_T5_mT6_T7_P12ihipStream_tbENKUlT_T0_E_clISt17integral_constantIbLb1EES11_EEDaSW_SX_EUlSW_E_NS1_11comp_targetILNS1_3genE0ELNS1_11target_archE4294967295ELNS1_3gpuE0ELNS1_3repE0EEENS1_30default_config_static_selectorELNS0_4arch9wavefront6targetE0EEEvT1_,"axG",@progbits,_ZN7rocprim17ROCPRIM_400000_NS6detail17trampoline_kernelINS0_14default_configENS1_27scan_by_key_config_selectorIitEEZZNS1_16scan_by_key_implILNS1_25lookback_scan_determinismE0ELb0ES3_N6thrust23THRUST_200600_302600_NS6detail15normal_iteratorINS9_10device_ptrIiEEEENSB_INSC_ItEEEESG_tNS9_4plusIvEENS9_8equal_toIvEEtEE10hipError_tPvRmT2_T3_T4_T5_mT6_T7_P12ihipStream_tbENKUlT_T0_E_clISt17integral_constantIbLb1EES11_EEDaSW_SX_EUlSW_E_NS1_11comp_targetILNS1_3genE0ELNS1_11target_archE4294967295ELNS1_3gpuE0ELNS1_3repE0EEENS1_30default_config_static_selectorELNS0_4arch9wavefront6targetE0EEEvT1_,comdat
.Lfunc_end1278:
	.size	_ZN7rocprim17ROCPRIM_400000_NS6detail17trampoline_kernelINS0_14default_configENS1_27scan_by_key_config_selectorIitEEZZNS1_16scan_by_key_implILNS1_25lookback_scan_determinismE0ELb0ES3_N6thrust23THRUST_200600_302600_NS6detail15normal_iteratorINS9_10device_ptrIiEEEENSB_INSC_ItEEEESG_tNS9_4plusIvEENS9_8equal_toIvEEtEE10hipError_tPvRmT2_T3_T4_T5_mT6_T7_P12ihipStream_tbENKUlT_T0_E_clISt17integral_constantIbLb1EES11_EEDaSW_SX_EUlSW_E_NS1_11comp_targetILNS1_3genE0ELNS1_11target_archE4294967295ELNS1_3gpuE0ELNS1_3repE0EEENS1_30default_config_static_selectorELNS0_4arch9wavefront6targetE0EEEvT1_, .Lfunc_end1278-_ZN7rocprim17ROCPRIM_400000_NS6detail17trampoline_kernelINS0_14default_configENS1_27scan_by_key_config_selectorIitEEZZNS1_16scan_by_key_implILNS1_25lookback_scan_determinismE0ELb0ES3_N6thrust23THRUST_200600_302600_NS6detail15normal_iteratorINS9_10device_ptrIiEEEENSB_INSC_ItEEEESG_tNS9_4plusIvEENS9_8equal_toIvEEtEE10hipError_tPvRmT2_T3_T4_T5_mT6_T7_P12ihipStream_tbENKUlT_T0_E_clISt17integral_constantIbLb1EES11_EEDaSW_SX_EUlSW_E_NS1_11comp_targetILNS1_3genE0ELNS1_11target_archE4294967295ELNS1_3gpuE0ELNS1_3repE0EEENS1_30default_config_static_selectorELNS0_4arch9wavefront6targetE0EEEvT1_
                                        ; -- End function
	.set _ZN7rocprim17ROCPRIM_400000_NS6detail17trampoline_kernelINS0_14default_configENS1_27scan_by_key_config_selectorIitEEZZNS1_16scan_by_key_implILNS1_25lookback_scan_determinismE0ELb0ES3_N6thrust23THRUST_200600_302600_NS6detail15normal_iteratorINS9_10device_ptrIiEEEENSB_INSC_ItEEEESG_tNS9_4plusIvEENS9_8equal_toIvEEtEE10hipError_tPvRmT2_T3_T4_T5_mT6_T7_P12ihipStream_tbENKUlT_T0_E_clISt17integral_constantIbLb1EES11_EEDaSW_SX_EUlSW_E_NS1_11comp_targetILNS1_3genE0ELNS1_11target_archE4294967295ELNS1_3gpuE0ELNS1_3repE0EEENS1_30default_config_static_selectorELNS0_4arch9wavefront6targetE0EEEvT1_.num_vgpr, 0
	.set _ZN7rocprim17ROCPRIM_400000_NS6detail17trampoline_kernelINS0_14default_configENS1_27scan_by_key_config_selectorIitEEZZNS1_16scan_by_key_implILNS1_25lookback_scan_determinismE0ELb0ES3_N6thrust23THRUST_200600_302600_NS6detail15normal_iteratorINS9_10device_ptrIiEEEENSB_INSC_ItEEEESG_tNS9_4plusIvEENS9_8equal_toIvEEtEE10hipError_tPvRmT2_T3_T4_T5_mT6_T7_P12ihipStream_tbENKUlT_T0_E_clISt17integral_constantIbLb1EES11_EEDaSW_SX_EUlSW_E_NS1_11comp_targetILNS1_3genE0ELNS1_11target_archE4294967295ELNS1_3gpuE0ELNS1_3repE0EEENS1_30default_config_static_selectorELNS0_4arch9wavefront6targetE0EEEvT1_.num_agpr, 0
	.set _ZN7rocprim17ROCPRIM_400000_NS6detail17trampoline_kernelINS0_14default_configENS1_27scan_by_key_config_selectorIitEEZZNS1_16scan_by_key_implILNS1_25lookback_scan_determinismE0ELb0ES3_N6thrust23THRUST_200600_302600_NS6detail15normal_iteratorINS9_10device_ptrIiEEEENSB_INSC_ItEEEESG_tNS9_4plusIvEENS9_8equal_toIvEEtEE10hipError_tPvRmT2_T3_T4_T5_mT6_T7_P12ihipStream_tbENKUlT_T0_E_clISt17integral_constantIbLb1EES11_EEDaSW_SX_EUlSW_E_NS1_11comp_targetILNS1_3genE0ELNS1_11target_archE4294967295ELNS1_3gpuE0ELNS1_3repE0EEENS1_30default_config_static_selectorELNS0_4arch9wavefront6targetE0EEEvT1_.numbered_sgpr, 0
	.set _ZN7rocprim17ROCPRIM_400000_NS6detail17trampoline_kernelINS0_14default_configENS1_27scan_by_key_config_selectorIitEEZZNS1_16scan_by_key_implILNS1_25lookback_scan_determinismE0ELb0ES3_N6thrust23THRUST_200600_302600_NS6detail15normal_iteratorINS9_10device_ptrIiEEEENSB_INSC_ItEEEESG_tNS9_4plusIvEENS9_8equal_toIvEEtEE10hipError_tPvRmT2_T3_T4_T5_mT6_T7_P12ihipStream_tbENKUlT_T0_E_clISt17integral_constantIbLb1EES11_EEDaSW_SX_EUlSW_E_NS1_11comp_targetILNS1_3genE0ELNS1_11target_archE4294967295ELNS1_3gpuE0ELNS1_3repE0EEENS1_30default_config_static_selectorELNS0_4arch9wavefront6targetE0EEEvT1_.num_named_barrier, 0
	.set _ZN7rocprim17ROCPRIM_400000_NS6detail17trampoline_kernelINS0_14default_configENS1_27scan_by_key_config_selectorIitEEZZNS1_16scan_by_key_implILNS1_25lookback_scan_determinismE0ELb0ES3_N6thrust23THRUST_200600_302600_NS6detail15normal_iteratorINS9_10device_ptrIiEEEENSB_INSC_ItEEEESG_tNS9_4plusIvEENS9_8equal_toIvEEtEE10hipError_tPvRmT2_T3_T4_T5_mT6_T7_P12ihipStream_tbENKUlT_T0_E_clISt17integral_constantIbLb1EES11_EEDaSW_SX_EUlSW_E_NS1_11comp_targetILNS1_3genE0ELNS1_11target_archE4294967295ELNS1_3gpuE0ELNS1_3repE0EEENS1_30default_config_static_selectorELNS0_4arch9wavefront6targetE0EEEvT1_.private_seg_size, 0
	.set _ZN7rocprim17ROCPRIM_400000_NS6detail17trampoline_kernelINS0_14default_configENS1_27scan_by_key_config_selectorIitEEZZNS1_16scan_by_key_implILNS1_25lookback_scan_determinismE0ELb0ES3_N6thrust23THRUST_200600_302600_NS6detail15normal_iteratorINS9_10device_ptrIiEEEENSB_INSC_ItEEEESG_tNS9_4plusIvEENS9_8equal_toIvEEtEE10hipError_tPvRmT2_T3_T4_T5_mT6_T7_P12ihipStream_tbENKUlT_T0_E_clISt17integral_constantIbLb1EES11_EEDaSW_SX_EUlSW_E_NS1_11comp_targetILNS1_3genE0ELNS1_11target_archE4294967295ELNS1_3gpuE0ELNS1_3repE0EEENS1_30default_config_static_selectorELNS0_4arch9wavefront6targetE0EEEvT1_.uses_vcc, 0
	.set _ZN7rocprim17ROCPRIM_400000_NS6detail17trampoline_kernelINS0_14default_configENS1_27scan_by_key_config_selectorIitEEZZNS1_16scan_by_key_implILNS1_25lookback_scan_determinismE0ELb0ES3_N6thrust23THRUST_200600_302600_NS6detail15normal_iteratorINS9_10device_ptrIiEEEENSB_INSC_ItEEEESG_tNS9_4plusIvEENS9_8equal_toIvEEtEE10hipError_tPvRmT2_T3_T4_T5_mT6_T7_P12ihipStream_tbENKUlT_T0_E_clISt17integral_constantIbLb1EES11_EEDaSW_SX_EUlSW_E_NS1_11comp_targetILNS1_3genE0ELNS1_11target_archE4294967295ELNS1_3gpuE0ELNS1_3repE0EEENS1_30default_config_static_selectorELNS0_4arch9wavefront6targetE0EEEvT1_.uses_flat_scratch, 0
	.set _ZN7rocprim17ROCPRIM_400000_NS6detail17trampoline_kernelINS0_14default_configENS1_27scan_by_key_config_selectorIitEEZZNS1_16scan_by_key_implILNS1_25lookback_scan_determinismE0ELb0ES3_N6thrust23THRUST_200600_302600_NS6detail15normal_iteratorINS9_10device_ptrIiEEEENSB_INSC_ItEEEESG_tNS9_4plusIvEENS9_8equal_toIvEEtEE10hipError_tPvRmT2_T3_T4_T5_mT6_T7_P12ihipStream_tbENKUlT_T0_E_clISt17integral_constantIbLb1EES11_EEDaSW_SX_EUlSW_E_NS1_11comp_targetILNS1_3genE0ELNS1_11target_archE4294967295ELNS1_3gpuE0ELNS1_3repE0EEENS1_30default_config_static_selectorELNS0_4arch9wavefront6targetE0EEEvT1_.has_dyn_sized_stack, 0
	.set _ZN7rocprim17ROCPRIM_400000_NS6detail17trampoline_kernelINS0_14default_configENS1_27scan_by_key_config_selectorIitEEZZNS1_16scan_by_key_implILNS1_25lookback_scan_determinismE0ELb0ES3_N6thrust23THRUST_200600_302600_NS6detail15normal_iteratorINS9_10device_ptrIiEEEENSB_INSC_ItEEEESG_tNS9_4plusIvEENS9_8equal_toIvEEtEE10hipError_tPvRmT2_T3_T4_T5_mT6_T7_P12ihipStream_tbENKUlT_T0_E_clISt17integral_constantIbLb1EES11_EEDaSW_SX_EUlSW_E_NS1_11comp_targetILNS1_3genE0ELNS1_11target_archE4294967295ELNS1_3gpuE0ELNS1_3repE0EEENS1_30default_config_static_selectorELNS0_4arch9wavefront6targetE0EEEvT1_.has_recursion, 0
	.set _ZN7rocprim17ROCPRIM_400000_NS6detail17trampoline_kernelINS0_14default_configENS1_27scan_by_key_config_selectorIitEEZZNS1_16scan_by_key_implILNS1_25lookback_scan_determinismE0ELb0ES3_N6thrust23THRUST_200600_302600_NS6detail15normal_iteratorINS9_10device_ptrIiEEEENSB_INSC_ItEEEESG_tNS9_4plusIvEENS9_8equal_toIvEEtEE10hipError_tPvRmT2_T3_T4_T5_mT6_T7_P12ihipStream_tbENKUlT_T0_E_clISt17integral_constantIbLb1EES11_EEDaSW_SX_EUlSW_E_NS1_11comp_targetILNS1_3genE0ELNS1_11target_archE4294967295ELNS1_3gpuE0ELNS1_3repE0EEENS1_30default_config_static_selectorELNS0_4arch9wavefront6targetE0EEEvT1_.has_indirect_call, 0
	.section	.AMDGPU.csdata,"",@progbits
; Kernel info:
; codeLenInByte = 4
; TotalNumSgprs: 0
; NumVgprs: 0
; ScratchSize: 0
; MemoryBound: 0
; FloatMode: 240
; IeeeMode: 1
; LDSByteSize: 0 bytes/workgroup (compile time only)
; SGPRBlocks: 0
; VGPRBlocks: 0
; NumSGPRsForWavesPerEU: 1
; NumVGPRsForWavesPerEU: 1
; NamedBarCnt: 0
; Occupancy: 16
; WaveLimiterHint : 0
; COMPUTE_PGM_RSRC2:SCRATCH_EN: 0
; COMPUTE_PGM_RSRC2:USER_SGPR: 2
; COMPUTE_PGM_RSRC2:TRAP_HANDLER: 0
; COMPUTE_PGM_RSRC2:TGID_X_EN: 1
; COMPUTE_PGM_RSRC2:TGID_Y_EN: 0
; COMPUTE_PGM_RSRC2:TGID_Z_EN: 0
; COMPUTE_PGM_RSRC2:TIDIG_COMP_CNT: 0
	.section	.text._ZN7rocprim17ROCPRIM_400000_NS6detail17trampoline_kernelINS0_14default_configENS1_27scan_by_key_config_selectorIitEEZZNS1_16scan_by_key_implILNS1_25lookback_scan_determinismE0ELb0ES3_N6thrust23THRUST_200600_302600_NS6detail15normal_iteratorINS9_10device_ptrIiEEEENSB_INSC_ItEEEESG_tNS9_4plusIvEENS9_8equal_toIvEEtEE10hipError_tPvRmT2_T3_T4_T5_mT6_T7_P12ihipStream_tbENKUlT_T0_E_clISt17integral_constantIbLb1EES11_EEDaSW_SX_EUlSW_E_NS1_11comp_targetILNS1_3genE10ELNS1_11target_archE1201ELNS1_3gpuE5ELNS1_3repE0EEENS1_30default_config_static_selectorELNS0_4arch9wavefront6targetE0EEEvT1_,"axG",@progbits,_ZN7rocprim17ROCPRIM_400000_NS6detail17trampoline_kernelINS0_14default_configENS1_27scan_by_key_config_selectorIitEEZZNS1_16scan_by_key_implILNS1_25lookback_scan_determinismE0ELb0ES3_N6thrust23THRUST_200600_302600_NS6detail15normal_iteratorINS9_10device_ptrIiEEEENSB_INSC_ItEEEESG_tNS9_4plusIvEENS9_8equal_toIvEEtEE10hipError_tPvRmT2_T3_T4_T5_mT6_T7_P12ihipStream_tbENKUlT_T0_E_clISt17integral_constantIbLb1EES11_EEDaSW_SX_EUlSW_E_NS1_11comp_targetILNS1_3genE10ELNS1_11target_archE1201ELNS1_3gpuE5ELNS1_3repE0EEENS1_30default_config_static_selectorELNS0_4arch9wavefront6targetE0EEEvT1_,comdat
	.protected	_ZN7rocprim17ROCPRIM_400000_NS6detail17trampoline_kernelINS0_14default_configENS1_27scan_by_key_config_selectorIitEEZZNS1_16scan_by_key_implILNS1_25lookback_scan_determinismE0ELb0ES3_N6thrust23THRUST_200600_302600_NS6detail15normal_iteratorINS9_10device_ptrIiEEEENSB_INSC_ItEEEESG_tNS9_4plusIvEENS9_8equal_toIvEEtEE10hipError_tPvRmT2_T3_T4_T5_mT6_T7_P12ihipStream_tbENKUlT_T0_E_clISt17integral_constantIbLb1EES11_EEDaSW_SX_EUlSW_E_NS1_11comp_targetILNS1_3genE10ELNS1_11target_archE1201ELNS1_3gpuE5ELNS1_3repE0EEENS1_30default_config_static_selectorELNS0_4arch9wavefront6targetE0EEEvT1_ ; -- Begin function _ZN7rocprim17ROCPRIM_400000_NS6detail17trampoline_kernelINS0_14default_configENS1_27scan_by_key_config_selectorIitEEZZNS1_16scan_by_key_implILNS1_25lookback_scan_determinismE0ELb0ES3_N6thrust23THRUST_200600_302600_NS6detail15normal_iteratorINS9_10device_ptrIiEEEENSB_INSC_ItEEEESG_tNS9_4plusIvEENS9_8equal_toIvEEtEE10hipError_tPvRmT2_T3_T4_T5_mT6_T7_P12ihipStream_tbENKUlT_T0_E_clISt17integral_constantIbLb1EES11_EEDaSW_SX_EUlSW_E_NS1_11comp_targetILNS1_3genE10ELNS1_11target_archE1201ELNS1_3gpuE5ELNS1_3repE0EEENS1_30default_config_static_selectorELNS0_4arch9wavefront6targetE0EEEvT1_
	.globl	_ZN7rocprim17ROCPRIM_400000_NS6detail17trampoline_kernelINS0_14default_configENS1_27scan_by_key_config_selectorIitEEZZNS1_16scan_by_key_implILNS1_25lookback_scan_determinismE0ELb0ES3_N6thrust23THRUST_200600_302600_NS6detail15normal_iteratorINS9_10device_ptrIiEEEENSB_INSC_ItEEEESG_tNS9_4plusIvEENS9_8equal_toIvEEtEE10hipError_tPvRmT2_T3_T4_T5_mT6_T7_P12ihipStream_tbENKUlT_T0_E_clISt17integral_constantIbLb1EES11_EEDaSW_SX_EUlSW_E_NS1_11comp_targetILNS1_3genE10ELNS1_11target_archE1201ELNS1_3gpuE5ELNS1_3repE0EEENS1_30default_config_static_selectorELNS0_4arch9wavefront6targetE0EEEvT1_
	.p2align	8
	.type	_ZN7rocprim17ROCPRIM_400000_NS6detail17trampoline_kernelINS0_14default_configENS1_27scan_by_key_config_selectorIitEEZZNS1_16scan_by_key_implILNS1_25lookback_scan_determinismE0ELb0ES3_N6thrust23THRUST_200600_302600_NS6detail15normal_iteratorINS9_10device_ptrIiEEEENSB_INSC_ItEEEESG_tNS9_4plusIvEENS9_8equal_toIvEEtEE10hipError_tPvRmT2_T3_T4_T5_mT6_T7_P12ihipStream_tbENKUlT_T0_E_clISt17integral_constantIbLb1EES11_EEDaSW_SX_EUlSW_E_NS1_11comp_targetILNS1_3genE10ELNS1_11target_archE1201ELNS1_3gpuE5ELNS1_3repE0EEENS1_30default_config_static_selectorELNS0_4arch9wavefront6targetE0EEEvT1_,@function
_ZN7rocprim17ROCPRIM_400000_NS6detail17trampoline_kernelINS0_14default_configENS1_27scan_by_key_config_selectorIitEEZZNS1_16scan_by_key_implILNS1_25lookback_scan_determinismE0ELb0ES3_N6thrust23THRUST_200600_302600_NS6detail15normal_iteratorINS9_10device_ptrIiEEEENSB_INSC_ItEEEESG_tNS9_4plusIvEENS9_8equal_toIvEEtEE10hipError_tPvRmT2_T3_T4_T5_mT6_T7_P12ihipStream_tbENKUlT_T0_E_clISt17integral_constantIbLb1EES11_EEDaSW_SX_EUlSW_E_NS1_11comp_targetILNS1_3genE10ELNS1_11target_archE1201ELNS1_3gpuE5ELNS1_3repE0EEENS1_30default_config_static_selectorELNS0_4arch9wavefront6targetE0EEEvT1_: ; @_ZN7rocprim17ROCPRIM_400000_NS6detail17trampoline_kernelINS0_14default_configENS1_27scan_by_key_config_selectorIitEEZZNS1_16scan_by_key_implILNS1_25lookback_scan_determinismE0ELb0ES3_N6thrust23THRUST_200600_302600_NS6detail15normal_iteratorINS9_10device_ptrIiEEEENSB_INSC_ItEEEESG_tNS9_4plusIvEENS9_8equal_toIvEEtEE10hipError_tPvRmT2_T3_T4_T5_mT6_T7_P12ihipStream_tbENKUlT_T0_E_clISt17integral_constantIbLb1EES11_EEDaSW_SX_EUlSW_E_NS1_11comp_targetILNS1_3genE10ELNS1_11target_archE1201ELNS1_3gpuE5ELNS1_3repE0EEENS1_30default_config_static_selectorELNS0_4arch9wavefront6targetE0EEEvT1_
; %bb.0:
	.section	.rodata,"a",@progbits
	.p2align	6, 0x0
	.amdhsa_kernel _ZN7rocprim17ROCPRIM_400000_NS6detail17trampoline_kernelINS0_14default_configENS1_27scan_by_key_config_selectorIitEEZZNS1_16scan_by_key_implILNS1_25lookback_scan_determinismE0ELb0ES3_N6thrust23THRUST_200600_302600_NS6detail15normal_iteratorINS9_10device_ptrIiEEEENSB_INSC_ItEEEESG_tNS9_4plusIvEENS9_8equal_toIvEEtEE10hipError_tPvRmT2_T3_T4_T5_mT6_T7_P12ihipStream_tbENKUlT_T0_E_clISt17integral_constantIbLb1EES11_EEDaSW_SX_EUlSW_E_NS1_11comp_targetILNS1_3genE10ELNS1_11target_archE1201ELNS1_3gpuE5ELNS1_3repE0EEENS1_30default_config_static_selectorELNS0_4arch9wavefront6targetE0EEEvT1_
		.amdhsa_group_segment_fixed_size 0
		.amdhsa_private_segment_fixed_size 0
		.amdhsa_kernarg_size 112
		.amdhsa_user_sgpr_count 2
		.amdhsa_user_sgpr_dispatch_ptr 0
		.amdhsa_user_sgpr_queue_ptr 0
		.amdhsa_user_sgpr_kernarg_segment_ptr 1
		.amdhsa_user_sgpr_dispatch_id 0
		.amdhsa_user_sgpr_kernarg_preload_length 0
		.amdhsa_user_sgpr_kernarg_preload_offset 0
		.amdhsa_user_sgpr_private_segment_size 0
		.amdhsa_wavefront_size32 1
		.amdhsa_uses_dynamic_stack 0
		.amdhsa_enable_private_segment 0
		.amdhsa_system_sgpr_workgroup_id_x 1
		.amdhsa_system_sgpr_workgroup_id_y 0
		.amdhsa_system_sgpr_workgroup_id_z 0
		.amdhsa_system_sgpr_workgroup_info 0
		.amdhsa_system_vgpr_workitem_id 0
		.amdhsa_next_free_vgpr 1
		.amdhsa_next_free_sgpr 1
		.amdhsa_named_barrier_count 0
		.amdhsa_reserve_vcc 0
		.amdhsa_float_round_mode_32 0
		.amdhsa_float_round_mode_16_64 0
		.amdhsa_float_denorm_mode_32 3
		.amdhsa_float_denorm_mode_16_64 3
		.amdhsa_fp16_overflow 0
		.amdhsa_memory_ordered 1
		.amdhsa_forward_progress 1
		.amdhsa_inst_pref_size 0
		.amdhsa_round_robin_scheduling 0
		.amdhsa_exception_fp_ieee_invalid_op 0
		.amdhsa_exception_fp_denorm_src 0
		.amdhsa_exception_fp_ieee_div_zero 0
		.amdhsa_exception_fp_ieee_overflow 0
		.amdhsa_exception_fp_ieee_underflow 0
		.amdhsa_exception_fp_ieee_inexact 0
		.amdhsa_exception_int_div_zero 0
	.end_amdhsa_kernel
	.section	.text._ZN7rocprim17ROCPRIM_400000_NS6detail17trampoline_kernelINS0_14default_configENS1_27scan_by_key_config_selectorIitEEZZNS1_16scan_by_key_implILNS1_25lookback_scan_determinismE0ELb0ES3_N6thrust23THRUST_200600_302600_NS6detail15normal_iteratorINS9_10device_ptrIiEEEENSB_INSC_ItEEEESG_tNS9_4plusIvEENS9_8equal_toIvEEtEE10hipError_tPvRmT2_T3_T4_T5_mT6_T7_P12ihipStream_tbENKUlT_T0_E_clISt17integral_constantIbLb1EES11_EEDaSW_SX_EUlSW_E_NS1_11comp_targetILNS1_3genE10ELNS1_11target_archE1201ELNS1_3gpuE5ELNS1_3repE0EEENS1_30default_config_static_selectorELNS0_4arch9wavefront6targetE0EEEvT1_,"axG",@progbits,_ZN7rocprim17ROCPRIM_400000_NS6detail17trampoline_kernelINS0_14default_configENS1_27scan_by_key_config_selectorIitEEZZNS1_16scan_by_key_implILNS1_25lookback_scan_determinismE0ELb0ES3_N6thrust23THRUST_200600_302600_NS6detail15normal_iteratorINS9_10device_ptrIiEEEENSB_INSC_ItEEEESG_tNS9_4plusIvEENS9_8equal_toIvEEtEE10hipError_tPvRmT2_T3_T4_T5_mT6_T7_P12ihipStream_tbENKUlT_T0_E_clISt17integral_constantIbLb1EES11_EEDaSW_SX_EUlSW_E_NS1_11comp_targetILNS1_3genE10ELNS1_11target_archE1201ELNS1_3gpuE5ELNS1_3repE0EEENS1_30default_config_static_selectorELNS0_4arch9wavefront6targetE0EEEvT1_,comdat
.Lfunc_end1279:
	.size	_ZN7rocprim17ROCPRIM_400000_NS6detail17trampoline_kernelINS0_14default_configENS1_27scan_by_key_config_selectorIitEEZZNS1_16scan_by_key_implILNS1_25lookback_scan_determinismE0ELb0ES3_N6thrust23THRUST_200600_302600_NS6detail15normal_iteratorINS9_10device_ptrIiEEEENSB_INSC_ItEEEESG_tNS9_4plusIvEENS9_8equal_toIvEEtEE10hipError_tPvRmT2_T3_T4_T5_mT6_T7_P12ihipStream_tbENKUlT_T0_E_clISt17integral_constantIbLb1EES11_EEDaSW_SX_EUlSW_E_NS1_11comp_targetILNS1_3genE10ELNS1_11target_archE1201ELNS1_3gpuE5ELNS1_3repE0EEENS1_30default_config_static_selectorELNS0_4arch9wavefront6targetE0EEEvT1_, .Lfunc_end1279-_ZN7rocprim17ROCPRIM_400000_NS6detail17trampoline_kernelINS0_14default_configENS1_27scan_by_key_config_selectorIitEEZZNS1_16scan_by_key_implILNS1_25lookback_scan_determinismE0ELb0ES3_N6thrust23THRUST_200600_302600_NS6detail15normal_iteratorINS9_10device_ptrIiEEEENSB_INSC_ItEEEESG_tNS9_4plusIvEENS9_8equal_toIvEEtEE10hipError_tPvRmT2_T3_T4_T5_mT6_T7_P12ihipStream_tbENKUlT_T0_E_clISt17integral_constantIbLb1EES11_EEDaSW_SX_EUlSW_E_NS1_11comp_targetILNS1_3genE10ELNS1_11target_archE1201ELNS1_3gpuE5ELNS1_3repE0EEENS1_30default_config_static_selectorELNS0_4arch9wavefront6targetE0EEEvT1_
                                        ; -- End function
	.set _ZN7rocprim17ROCPRIM_400000_NS6detail17trampoline_kernelINS0_14default_configENS1_27scan_by_key_config_selectorIitEEZZNS1_16scan_by_key_implILNS1_25lookback_scan_determinismE0ELb0ES3_N6thrust23THRUST_200600_302600_NS6detail15normal_iteratorINS9_10device_ptrIiEEEENSB_INSC_ItEEEESG_tNS9_4plusIvEENS9_8equal_toIvEEtEE10hipError_tPvRmT2_T3_T4_T5_mT6_T7_P12ihipStream_tbENKUlT_T0_E_clISt17integral_constantIbLb1EES11_EEDaSW_SX_EUlSW_E_NS1_11comp_targetILNS1_3genE10ELNS1_11target_archE1201ELNS1_3gpuE5ELNS1_3repE0EEENS1_30default_config_static_selectorELNS0_4arch9wavefront6targetE0EEEvT1_.num_vgpr, 0
	.set _ZN7rocprim17ROCPRIM_400000_NS6detail17trampoline_kernelINS0_14default_configENS1_27scan_by_key_config_selectorIitEEZZNS1_16scan_by_key_implILNS1_25lookback_scan_determinismE0ELb0ES3_N6thrust23THRUST_200600_302600_NS6detail15normal_iteratorINS9_10device_ptrIiEEEENSB_INSC_ItEEEESG_tNS9_4plusIvEENS9_8equal_toIvEEtEE10hipError_tPvRmT2_T3_T4_T5_mT6_T7_P12ihipStream_tbENKUlT_T0_E_clISt17integral_constantIbLb1EES11_EEDaSW_SX_EUlSW_E_NS1_11comp_targetILNS1_3genE10ELNS1_11target_archE1201ELNS1_3gpuE5ELNS1_3repE0EEENS1_30default_config_static_selectorELNS0_4arch9wavefront6targetE0EEEvT1_.num_agpr, 0
	.set _ZN7rocprim17ROCPRIM_400000_NS6detail17trampoline_kernelINS0_14default_configENS1_27scan_by_key_config_selectorIitEEZZNS1_16scan_by_key_implILNS1_25lookback_scan_determinismE0ELb0ES3_N6thrust23THRUST_200600_302600_NS6detail15normal_iteratorINS9_10device_ptrIiEEEENSB_INSC_ItEEEESG_tNS9_4plusIvEENS9_8equal_toIvEEtEE10hipError_tPvRmT2_T3_T4_T5_mT6_T7_P12ihipStream_tbENKUlT_T0_E_clISt17integral_constantIbLb1EES11_EEDaSW_SX_EUlSW_E_NS1_11comp_targetILNS1_3genE10ELNS1_11target_archE1201ELNS1_3gpuE5ELNS1_3repE0EEENS1_30default_config_static_selectorELNS0_4arch9wavefront6targetE0EEEvT1_.numbered_sgpr, 0
	.set _ZN7rocprim17ROCPRIM_400000_NS6detail17trampoline_kernelINS0_14default_configENS1_27scan_by_key_config_selectorIitEEZZNS1_16scan_by_key_implILNS1_25lookback_scan_determinismE0ELb0ES3_N6thrust23THRUST_200600_302600_NS6detail15normal_iteratorINS9_10device_ptrIiEEEENSB_INSC_ItEEEESG_tNS9_4plusIvEENS9_8equal_toIvEEtEE10hipError_tPvRmT2_T3_T4_T5_mT6_T7_P12ihipStream_tbENKUlT_T0_E_clISt17integral_constantIbLb1EES11_EEDaSW_SX_EUlSW_E_NS1_11comp_targetILNS1_3genE10ELNS1_11target_archE1201ELNS1_3gpuE5ELNS1_3repE0EEENS1_30default_config_static_selectorELNS0_4arch9wavefront6targetE0EEEvT1_.num_named_barrier, 0
	.set _ZN7rocprim17ROCPRIM_400000_NS6detail17trampoline_kernelINS0_14default_configENS1_27scan_by_key_config_selectorIitEEZZNS1_16scan_by_key_implILNS1_25lookback_scan_determinismE0ELb0ES3_N6thrust23THRUST_200600_302600_NS6detail15normal_iteratorINS9_10device_ptrIiEEEENSB_INSC_ItEEEESG_tNS9_4plusIvEENS9_8equal_toIvEEtEE10hipError_tPvRmT2_T3_T4_T5_mT6_T7_P12ihipStream_tbENKUlT_T0_E_clISt17integral_constantIbLb1EES11_EEDaSW_SX_EUlSW_E_NS1_11comp_targetILNS1_3genE10ELNS1_11target_archE1201ELNS1_3gpuE5ELNS1_3repE0EEENS1_30default_config_static_selectorELNS0_4arch9wavefront6targetE0EEEvT1_.private_seg_size, 0
	.set _ZN7rocprim17ROCPRIM_400000_NS6detail17trampoline_kernelINS0_14default_configENS1_27scan_by_key_config_selectorIitEEZZNS1_16scan_by_key_implILNS1_25lookback_scan_determinismE0ELb0ES3_N6thrust23THRUST_200600_302600_NS6detail15normal_iteratorINS9_10device_ptrIiEEEENSB_INSC_ItEEEESG_tNS9_4plusIvEENS9_8equal_toIvEEtEE10hipError_tPvRmT2_T3_T4_T5_mT6_T7_P12ihipStream_tbENKUlT_T0_E_clISt17integral_constantIbLb1EES11_EEDaSW_SX_EUlSW_E_NS1_11comp_targetILNS1_3genE10ELNS1_11target_archE1201ELNS1_3gpuE5ELNS1_3repE0EEENS1_30default_config_static_selectorELNS0_4arch9wavefront6targetE0EEEvT1_.uses_vcc, 0
	.set _ZN7rocprim17ROCPRIM_400000_NS6detail17trampoline_kernelINS0_14default_configENS1_27scan_by_key_config_selectorIitEEZZNS1_16scan_by_key_implILNS1_25lookback_scan_determinismE0ELb0ES3_N6thrust23THRUST_200600_302600_NS6detail15normal_iteratorINS9_10device_ptrIiEEEENSB_INSC_ItEEEESG_tNS9_4plusIvEENS9_8equal_toIvEEtEE10hipError_tPvRmT2_T3_T4_T5_mT6_T7_P12ihipStream_tbENKUlT_T0_E_clISt17integral_constantIbLb1EES11_EEDaSW_SX_EUlSW_E_NS1_11comp_targetILNS1_3genE10ELNS1_11target_archE1201ELNS1_3gpuE5ELNS1_3repE0EEENS1_30default_config_static_selectorELNS0_4arch9wavefront6targetE0EEEvT1_.uses_flat_scratch, 0
	.set _ZN7rocprim17ROCPRIM_400000_NS6detail17trampoline_kernelINS0_14default_configENS1_27scan_by_key_config_selectorIitEEZZNS1_16scan_by_key_implILNS1_25lookback_scan_determinismE0ELb0ES3_N6thrust23THRUST_200600_302600_NS6detail15normal_iteratorINS9_10device_ptrIiEEEENSB_INSC_ItEEEESG_tNS9_4plusIvEENS9_8equal_toIvEEtEE10hipError_tPvRmT2_T3_T4_T5_mT6_T7_P12ihipStream_tbENKUlT_T0_E_clISt17integral_constantIbLb1EES11_EEDaSW_SX_EUlSW_E_NS1_11comp_targetILNS1_3genE10ELNS1_11target_archE1201ELNS1_3gpuE5ELNS1_3repE0EEENS1_30default_config_static_selectorELNS0_4arch9wavefront6targetE0EEEvT1_.has_dyn_sized_stack, 0
	.set _ZN7rocprim17ROCPRIM_400000_NS6detail17trampoline_kernelINS0_14default_configENS1_27scan_by_key_config_selectorIitEEZZNS1_16scan_by_key_implILNS1_25lookback_scan_determinismE0ELb0ES3_N6thrust23THRUST_200600_302600_NS6detail15normal_iteratorINS9_10device_ptrIiEEEENSB_INSC_ItEEEESG_tNS9_4plusIvEENS9_8equal_toIvEEtEE10hipError_tPvRmT2_T3_T4_T5_mT6_T7_P12ihipStream_tbENKUlT_T0_E_clISt17integral_constantIbLb1EES11_EEDaSW_SX_EUlSW_E_NS1_11comp_targetILNS1_3genE10ELNS1_11target_archE1201ELNS1_3gpuE5ELNS1_3repE0EEENS1_30default_config_static_selectorELNS0_4arch9wavefront6targetE0EEEvT1_.has_recursion, 0
	.set _ZN7rocprim17ROCPRIM_400000_NS6detail17trampoline_kernelINS0_14default_configENS1_27scan_by_key_config_selectorIitEEZZNS1_16scan_by_key_implILNS1_25lookback_scan_determinismE0ELb0ES3_N6thrust23THRUST_200600_302600_NS6detail15normal_iteratorINS9_10device_ptrIiEEEENSB_INSC_ItEEEESG_tNS9_4plusIvEENS9_8equal_toIvEEtEE10hipError_tPvRmT2_T3_T4_T5_mT6_T7_P12ihipStream_tbENKUlT_T0_E_clISt17integral_constantIbLb1EES11_EEDaSW_SX_EUlSW_E_NS1_11comp_targetILNS1_3genE10ELNS1_11target_archE1201ELNS1_3gpuE5ELNS1_3repE0EEENS1_30default_config_static_selectorELNS0_4arch9wavefront6targetE0EEEvT1_.has_indirect_call, 0
	.section	.AMDGPU.csdata,"",@progbits
; Kernel info:
; codeLenInByte = 0
; TotalNumSgprs: 0
; NumVgprs: 0
; ScratchSize: 0
; MemoryBound: 0
; FloatMode: 240
; IeeeMode: 1
; LDSByteSize: 0 bytes/workgroup (compile time only)
; SGPRBlocks: 0
; VGPRBlocks: 0
; NumSGPRsForWavesPerEU: 1
; NumVGPRsForWavesPerEU: 1
; NamedBarCnt: 0
; Occupancy: 16
; WaveLimiterHint : 0
; COMPUTE_PGM_RSRC2:SCRATCH_EN: 0
; COMPUTE_PGM_RSRC2:USER_SGPR: 2
; COMPUTE_PGM_RSRC2:TRAP_HANDLER: 0
; COMPUTE_PGM_RSRC2:TGID_X_EN: 1
; COMPUTE_PGM_RSRC2:TGID_Y_EN: 0
; COMPUTE_PGM_RSRC2:TGID_Z_EN: 0
; COMPUTE_PGM_RSRC2:TIDIG_COMP_CNT: 0
	.section	.text._ZN7rocprim17ROCPRIM_400000_NS6detail17trampoline_kernelINS0_14default_configENS1_27scan_by_key_config_selectorIitEEZZNS1_16scan_by_key_implILNS1_25lookback_scan_determinismE0ELb0ES3_N6thrust23THRUST_200600_302600_NS6detail15normal_iteratorINS9_10device_ptrIiEEEENSB_INSC_ItEEEESG_tNS9_4plusIvEENS9_8equal_toIvEEtEE10hipError_tPvRmT2_T3_T4_T5_mT6_T7_P12ihipStream_tbENKUlT_T0_E_clISt17integral_constantIbLb1EES11_EEDaSW_SX_EUlSW_E_NS1_11comp_targetILNS1_3genE5ELNS1_11target_archE942ELNS1_3gpuE9ELNS1_3repE0EEENS1_30default_config_static_selectorELNS0_4arch9wavefront6targetE0EEEvT1_,"axG",@progbits,_ZN7rocprim17ROCPRIM_400000_NS6detail17trampoline_kernelINS0_14default_configENS1_27scan_by_key_config_selectorIitEEZZNS1_16scan_by_key_implILNS1_25lookback_scan_determinismE0ELb0ES3_N6thrust23THRUST_200600_302600_NS6detail15normal_iteratorINS9_10device_ptrIiEEEENSB_INSC_ItEEEESG_tNS9_4plusIvEENS9_8equal_toIvEEtEE10hipError_tPvRmT2_T3_T4_T5_mT6_T7_P12ihipStream_tbENKUlT_T0_E_clISt17integral_constantIbLb1EES11_EEDaSW_SX_EUlSW_E_NS1_11comp_targetILNS1_3genE5ELNS1_11target_archE942ELNS1_3gpuE9ELNS1_3repE0EEENS1_30default_config_static_selectorELNS0_4arch9wavefront6targetE0EEEvT1_,comdat
	.protected	_ZN7rocprim17ROCPRIM_400000_NS6detail17trampoline_kernelINS0_14default_configENS1_27scan_by_key_config_selectorIitEEZZNS1_16scan_by_key_implILNS1_25lookback_scan_determinismE0ELb0ES3_N6thrust23THRUST_200600_302600_NS6detail15normal_iteratorINS9_10device_ptrIiEEEENSB_INSC_ItEEEESG_tNS9_4plusIvEENS9_8equal_toIvEEtEE10hipError_tPvRmT2_T3_T4_T5_mT6_T7_P12ihipStream_tbENKUlT_T0_E_clISt17integral_constantIbLb1EES11_EEDaSW_SX_EUlSW_E_NS1_11comp_targetILNS1_3genE5ELNS1_11target_archE942ELNS1_3gpuE9ELNS1_3repE0EEENS1_30default_config_static_selectorELNS0_4arch9wavefront6targetE0EEEvT1_ ; -- Begin function _ZN7rocprim17ROCPRIM_400000_NS6detail17trampoline_kernelINS0_14default_configENS1_27scan_by_key_config_selectorIitEEZZNS1_16scan_by_key_implILNS1_25lookback_scan_determinismE0ELb0ES3_N6thrust23THRUST_200600_302600_NS6detail15normal_iteratorINS9_10device_ptrIiEEEENSB_INSC_ItEEEESG_tNS9_4plusIvEENS9_8equal_toIvEEtEE10hipError_tPvRmT2_T3_T4_T5_mT6_T7_P12ihipStream_tbENKUlT_T0_E_clISt17integral_constantIbLb1EES11_EEDaSW_SX_EUlSW_E_NS1_11comp_targetILNS1_3genE5ELNS1_11target_archE942ELNS1_3gpuE9ELNS1_3repE0EEENS1_30default_config_static_selectorELNS0_4arch9wavefront6targetE0EEEvT1_
	.globl	_ZN7rocprim17ROCPRIM_400000_NS6detail17trampoline_kernelINS0_14default_configENS1_27scan_by_key_config_selectorIitEEZZNS1_16scan_by_key_implILNS1_25lookback_scan_determinismE0ELb0ES3_N6thrust23THRUST_200600_302600_NS6detail15normal_iteratorINS9_10device_ptrIiEEEENSB_INSC_ItEEEESG_tNS9_4plusIvEENS9_8equal_toIvEEtEE10hipError_tPvRmT2_T3_T4_T5_mT6_T7_P12ihipStream_tbENKUlT_T0_E_clISt17integral_constantIbLb1EES11_EEDaSW_SX_EUlSW_E_NS1_11comp_targetILNS1_3genE5ELNS1_11target_archE942ELNS1_3gpuE9ELNS1_3repE0EEENS1_30default_config_static_selectorELNS0_4arch9wavefront6targetE0EEEvT1_
	.p2align	8
	.type	_ZN7rocprim17ROCPRIM_400000_NS6detail17trampoline_kernelINS0_14default_configENS1_27scan_by_key_config_selectorIitEEZZNS1_16scan_by_key_implILNS1_25lookback_scan_determinismE0ELb0ES3_N6thrust23THRUST_200600_302600_NS6detail15normal_iteratorINS9_10device_ptrIiEEEENSB_INSC_ItEEEESG_tNS9_4plusIvEENS9_8equal_toIvEEtEE10hipError_tPvRmT2_T3_T4_T5_mT6_T7_P12ihipStream_tbENKUlT_T0_E_clISt17integral_constantIbLb1EES11_EEDaSW_SX_EUlSW_E_NS1_11comp_targetILNS1_3genE5ELNS1_11target_archE942ELNS1_3gpuE9ELNS1_3repE0EEENS1_30default_config_static_selectorELNS0_4arch9wavefront6targetE0EEEvT1_,@function
_ZN7rocprim17ROCPRIM_400000_NS6detail17trampoline_kernelINS0_14default_configENS1_27scan_by_key_config_selectorIitEEZZNS1_16scan_by_key_implILNS1_25lookback_scan_determinismE0ELb0ES3_N6thrust23THRUST_200600_302600_NS6detail15normal_iteratorINS9_10device_ptrIiEEEENSB_INSC_ItEEEESG_tNS9_4plusIvEENS9_8equal_toIvEEtEE10hipError_tPvRmT2_T3_T4_T5_mT6_T7_P12ihipStream_tbENKUlT_T0_E_clISt17integral_constantIbLb1EES11_EEDaSW_SX_EUlSW_E_NS1_11comp_targetILNS1_3genE5ELNS1_11target_archE942ELNS1_3gpuE9ELNS1_3repE0EEENS1_30default_config_static_selectorELNS0_4arch9wavefront6targetE0EEEvT1_: ; @_ZN7rocprim17ROCPRIM_400000_NS6detail17trampoline_kernelINS0_14default_configENS1_27scan_by_key_config_selectorIitEEZZNS1_16scan_by_key_implILNS1_25lookback_scan_determinismE0ELb0ES3_N6thrust23THRUST_200600_302600_NS6detail15normal_iteratorINS9_10device_ptrIiEEEENSB_INSC_ItEEEESG_tNS9_4plusIvEENS9_8equal_toIvEEtEE10hipError_tPvRmT2_T3_T4_T5_mT6_T7_P12ihipStream_tbENKUlT_T0_E_clISt17integral_constantIbLb1EES11_EEDaSW_SX_EUlSW_E_NS1_11comp_targetILNS1_3genE5ELNS1_11target_archE942ELNS1_3gpuE9ELNS1_3repE0EEENS1_30default_config_static_selectorELNS0_4arch9wavefront6targetE0EEEvT1_
; %bb.0:
	.section	.rodata,"a",@progbits
	.p2align	6, 0x0
	.amdhsa_kernel _ZN7rocprim17ROCPRIM_400000_NS6detail17trampoline_kernelINS0_14default_configENS1_27scan_by_key_config_selectorIitEEZZNS1_16scan_by_key_implILNS1_25lookback_scan_determinismE0ELb0ES3_N6thrust23THRUST_200600_302600_NS6detail15normal_iteratorINS9_10device_ptrIiEEEENSB_INSC_ItEEEESG_tNS9_4plusIvEENS9_8equal_toIvEEtEE10hipError_tPvRmT2_T3_T4_T5_mT6_T7_P12ihipStream_tbENKUlT_T0_E_clISt17integral_constantIbLb1EES11_EEDaSW_SX_EUlSW_E_NS1_11comp_targetILNS1_3genE5ELNS1_11target_archE942ELNS1_3gpuE9ELNS1_3repE0EEENS1_30default_config_static_selectorELNS0_4arch9wavefront6targetE0EEEvT1_
		.amdhsa_group_segment_fixed_size 0
		.amdhsa_private_segment_fixed_size 0
		.amdhsa_kernarg_size 112
		.amdhsa_user_sgpr_count 2
		.amdhsa_user_sgpr_dispatch_ptr 0
		.amdhsa_user_sgpr_queue_ptr 0
		.amdhsa_user_sgpr_kernarg_segment_ptr 1
		.amdhsa_user_sgpr_dispatch_id 0
		.amdhsa_user_sgpr_kernarg_preload_length 0
		.amdhsa_user_sgpr_kernarg_preload_offset 0
		.amdhsa_user_sgpr_private_segment_size 0
		.amdhsa_wavefront_size32 1
		.amdhsa_uses_dynamic_stack 0
		.amdhsa_enable_private_segment 0
		.amdhsa_system_sgpr_workgroup_id_x 1
		.amdhsa_system_sgpr_workgroup_id_y 0
		.amdhsa_system_sgpr_workgroup_id_z 0
		.amdhsa_system_sgpr_workgroup_info 0
		.amdhsa_system_vgpr_workitem_id 0
		.amdhsa_next_free_vgpr 1
		.amdhsa_next_free_sgpr 1
		.amdhsa_named_barrier_count 0
		.amdhsa_reserve_vcc 0
		.amdhsa_float_round_mode_32 0
		.amdhsa_float_round_mode_16_64 0
		.amdhsa_float_denorm_mode_32 3
		.amdhsa_float_denorm_mode_16_64 3
		.amdhsa_fp16_overflow 0
		.amdhsa_memory_ordered 1
		.amdhsa_forward_progress 1
		.amdhsa_inst_pref_size 0
		.amdhsa_round_robin_scheduling 0
		.amdhsa_exception_fp_ieee_invalid_op 0
		.amdhsa_exception_fp_denorm_src 0
		.amdhsa_exception_fp_ieee_div_zero 0
		.amdhsa_exception_fp_ieee_overflow 0
		.amdhsa_exception_fp_ieee_underflow 0
		.amdhsa_exception_fp_ieee_inexact 0
		.amdhsa_exception_int_div_zero 0
	.end_amdhsa_kernel
	.section	.text._ZN7rocprim17ROCPRIM_400000_NS6detail17trampoline_kernelINS0_14default_configENS1_27scan_by_key_config_selectorIitEEZZNS1_16scan_by_key_implILNS1_25lookback_scan_determinismE0ELb0ES3_N6thrust23THRUST_200600_302600_NS6detail15normal_iteratorINS9_10device_ptrIiEEEENSB_INSC_ItEEEESG_tNS9_4plusIvEENS9_8equal_toIvEEtEE10hipError_tPvRmT2_T3_T4_T5_mT6_T7_P12ihipStream_tbENKUlT_T0_E_clISt17integral_constantIbLb1EES11_EEDaSW_SX_EUlSW_E_NS1_11comp_targetILNS1_3genE5ELNS1_11target_archE942ELNS1_3gpuE9ELNS1_3repE0EEENS1_30default_config_static_selectorELNS0_4arch9wavefront6targetE0EEEvT1_,"axG",@progbits,_ZN7rocprim17ROCPRIM_400000_NS6detail17trampoline_kernelINS0_14default_configENS1_27scan_by_key_config_selectorIitEEZZNS1_16scan_by_key_implILNS1_25lookback_scan_determinismE0ELb0ES3_N6thrust23THRUST_200600_302600_NS6detail15normal_iteratorINS9_10device_ptrIiEEEENSB_INSC_ItEEEESG_tNS9_4plusIvEENS9_8equal_toIvEEtEE10hipError_tPvRmT2_T3_T4_T5_mT6_T7_P12ihipStream_tbENKUlT_T0_E_clISt17integral_constantIbLb1EES11_EEDaSW_SX_EUlSW_E_NS1_11comp_targetILNS1_3genE5ELNS1_11target_archE942ELNS1_3gpuE9ELNS1_3repE0EEENS1_30default_config_static_selectorELNS0_4arch9wavefront6targetE0EEEvT1_,comdat
.Lfunc_end1280:
	.size	_ZN7rocprim17ROCPRIM_400000_NS6detail17trampoline_kernelINS0_14default_configENS1_27scan_by_key_config_selectorIitEEZZNS1_16scan_by_key_implILNS1_25lookback_scan_determinismE0ELb0ES3_N6thrust23THRUST_200600_302600_NS6detail15normal_iteratorINS9_10device_ptrIiEEEENSB_INSC_ItEEEESG_tNS9_4plusIvEENS9_8equal_toIvEEtEE10hipError_tPvRmT2_T3_T4_T5_mT6_T7_P12ihipStream_tbENKUlT_T0_E_clISt17integral_constantIbLb1EES11_EEDaSW_SX_EUlSW_E_NS1_11comp_targetILNS1_3genE5ELNS1_11target_archE942ELNS1_3gpuE9ELNS1_3repE0EEENS1_30default_config_static_selectorELNS0_4arch9wavefront6targetE0EEEvT1_, .Lfunc_end1280-_ZN7rocprim17ROCPRIM_400000_NS6detail17trampoline_kernelINS0_14default_configENS1_27scan_by_key_config_selectorIitEEZZNS1_16scan_by_key_implILNS1_25lookback_scan_determinismE0ELb0ES3_N6thrust23THRUST_200600_302600_NS6detail15normal_iteratorINS9_10device_ptrIiEEEENSB_INSC_ItEEEESG_tNS9_4plusIvEENS9_8equal_toIvEEtEE10hipError_tPvRmT2_T3_T4_T5_mT6_T7_P12ihipStream_tbENKUlT_T0_E_clISt17integral_constantIbLb1EES11_EEDaSW_SX_EUlSW_E_NS1_11comp_targetILNS1_3genE5ELNS1_11target_archE942ELNS1_3gpuE9ELNS1_3repE0EEENS1_30default_config_static_selectorELNS0_4arch9wavefront6targetE0EEEvT1_
                                        ; -- End function
	.set _ZN7rocprim17ROCPRIM_400000_NS6detail17trampoline_kernelINS0_14default_configENS1_27scan_by_key_config_selectorIitEEZZNS1_16scan_by_key_implILNS1_25lookback_scan_determinismE0ELb0ES3_N6thrust23THRUST_200600_302600_NS6detail15normal_iteratorINS9_10device_ptrIiEEEENSB_INSC_ItEEEESG_tNS9_4plusIvEENS9_8equal_toIvEEtEE10hipError_tPvRmT2_T3_T4_T5_mT6_T7_P12ihipStream_tbENKUlT_T0_E_clISt17integral_constantIbLb1EES11_EEDaSW_SX_EUlSW_E_NS1_11comp_targetILNS1_3genE5ELNS1_11target_archE942ELNS1_3gpuE9ELNS1_3repE0EEENS1_30default_config_static_selectorELNS0_4arch9wavefront6targetE0EEEvT1_.num_vgpr, 0
	.set _ZN7rocprim17ROCPRIM_400000_NS6detail17trampoline_kernelINS0_14default_configENS1_27scan_by_key_config_selectorIitEEZZNS1_16scan_by_key_implILNS1_25lookback_scan_determinismE0ELb0ES3_N6thrust23THRUST_200600_302600_NS6detail15normal_iteratorINS9_10device_ptrIiEEEENSB_INSC_ItEEEESG_tNS9_4plusIvEENS9_8equal_toIvEEtEE10hipError_tPvRmT2_T3_T4_T5_mT6_T7_P12ihipStream_tbENKUlT_T0_E_clISt17integral_constantIbLb1EES11_EEDaSW_SX_EUlSW_E_NS1_11comp_targetILNS1_3genE5ELNS1_11target_archE942ELNS1_3gpuE9ELNS1_3repE0EEENS1_30default_config_static_selectorELNS0_4arch9wavefront6targetE0EEEvT1_.num_agpr, 0
	.set _ZN7rocprim17ROCPRIM_400000_NS6detail17trampoline_kernelINS0_14default_configENS1_27scan_by_key_config_selectorIitEEZZNS1_16scan_by_key_implILNS1_25lookback_scan_determinismE0ELb0ES3_N6thrust23THRUST_200600_302600_NS6detail15normal_iteratorINS9_10device_ptrIiEEEENSB_INSC_ItEEEESG_tNS9_4plusIvEENS9_8equal_toIvEEtEE10hipError_tPvRmT2_T3_T4_T5_mT6_T7_P12ihipStream_tbENKUlT_T0_E_clISt17integral_constantIbLb1EES11_EEDaSW_SX_EUlSW_E_NS1_11comp_targetILNS1_3genE5ELNS1_11target_archE942ELNS1_3gpuE9ELNS1_3repE0EEENS1_30default_config_static_selectorELNS0_4arch9wavefront6targetE0EEEvT1_.numbered_sgpr, 0
	.set _ZN7rocprim17ROCPRIM_400000_NS6detail17trampoline_kernelINS0_14default_configENS1_27scan_by_key_config_selectorIitEEZZNS1_16scan_by_key_implILNS1_25lookback_scan_determinismE0ELb0ES3_N6thrust23THRUST_200600_302600_NS6detail15normal_iteratorINS9_10device_ptrIiEEEENSB_INSC_ItEEEESG_tNS9_4plusIvEENS9_8equal_toIvEEtEE10hipError_tPvRmT2_T3_T4_T5_mT6_T7_P12ihipStream_tbENKUlT_T0_E_clISt17integral_constantIbLb1EES11_EEDaSW_SX_EUlSW_E_NS1_11comp_targetILNS1_3genE5ELNS1_11target_archE942ELNS1_3gpuE9ELNS1_3repE0EEENS1_30default_config_static_selectorELNS0_4arch9wavefront6targetE0EEEvT1_.num_named_barrier, 0
	.set _ZN7rocprim17ROCPRIM_400000_NS6detail17trampoline_kernelINS0_14default_configENS1_27scan_by_key_config_selectorIitEEZZNS1_16scan_by_key_implILNS1_25lookback_scan_determinismE0ELb0ES3_N6thrust23THRUST_200600_302600_NS6detail15normal_iteratorINS9_10device_ptrIiEEEENSB_INSC_ItEEEESG_tNS9_4plusIvEENS9_8equal_toIvEEtEE10hipError_tPvRmT2_T3_T4_T5_mT6_T7_P12ihipStream_tbENKUlT_T0_E_clISt17integral_constantIbLb1EES11_EEDaSW_SX_EUlSW_E_NS1_11comp_targetILNS1_3genE5ELNS1_11target_archE942ELNS1_3gpuE9ELNS1_3repE0EEENS1_30default_config_static_selectorELNS0_4arch9wavefront6targetE0EEEvT1_.private_seg_size, 0
	.set _ZN7rocprim17ROCPRIM_400000_NS6detail17trampoline_kernelINS0_14default_configENS1_27scan_by_key_config_selectorIitEEZZNS1_16scan_by_key_implILNS1_25lookback_scan_determinismE0ELb0ES3_N6thrust23THRUST_200600_302600_NS6detail15normal_iteratorINS9_10device_ptrIiEEEENSB_INSC_ItEEEESG_tNS9_4plusIvEENS9_8equal_toIvEEtEE10hipError_tPvRmT2_T3_T4_T5_mT6_T7_P12ihipStream_tbENKUlT_T0_E_clISt17integral_constantIbLb1EES11_EEDaSW_SX_EUlSW_E_NS1_11comp_targetILNS1_3genE5ELNS1_11target_archE942ELNS1_3gpuE9ELNS1_3repE0EEENS1_30default_config_static_selectorELNS0_4arch9wavefront6targetE0EEEvT1_.uses_vcc, 0
	.set _ZN7rocprim17ROCPRIM_400000_NS6detail17trampoline_kernelINS0_14default_configENS1_27scan_by_key_config_selectorIitEEZZNS1_16scan_by_key_implILNS1_25lookback_scan_determinismE0ELb0ES3_N6thrust23THRUST_200600_302600_NS6detail15normal_iteratorINS9_10device_ptrIiEEEENSB_INSC_ItEEEESG_tNS9_4plusIvEENS9_8equal_toIvEEtEE10hipError_tPvRmT2_T3_T4_T5_mT6_T7_P12ihipStream_tbENKUlT_T0_E_clISt17integral_constantIbLb1EES11_EEDaSW_SX_EUlSW_E_NS1_11comp_targetILNS1_3genE5ELNS1_11target_archE942ELNS1_3gpuE9ELNS1_3repE0EEENS1_30default_config_static_selectorELNS0_4arch9wavefront6targetE0EEEvT1_.uses_flat_scratch, 0
	.set _ZN7rocprim17ROCPRIM_400000_NS6detail17trampoline_kernelINS0_14default_configENS1_27scan_by_key_config_selectorIitEEZZNS1_16scan_by_key_implILNS1_25lookback_scan_determinismE0ELb0ES3_N6thrust23THRUST_200600_302600_NS6detail15normal_iteratorINS9_10device_ptrIiEEEENSB_INSC_ItEEEESG_tNS9_4plusIvEENS9_8equal_toIvEEtEE10hipError_tPvRmT2_T3_T4_T5_mT6_T7_P12ihipStream_tbENKUlT_T0_E_clISt17integral_constantIbLb1EES11_EEDaSW_SX_EUlSW_E_NS1_11comp_targetILNS1_3genE5ELNS1_11target_archE942ELNS1_3gpuE9ELNS1_3repE0EEENS1_30default_config_static_selectorELNS0_4arch9wavefront6targetE0EEEvT1_.has_dyn_sized_stack, 0
	.set _ZN7rocprim17ROCPRIM_400000_NS6detail17trampoline_kernelINS0_14default_configENS1_27scan_by_key_config_selectorIitEEZZNS1_16scan_by_key_implILNS1_25lookback_scan_determinismE0ELb0ES3_N6thrust23THRUST_200600_302600_NS6detail15normal_iteratorINS9_10device_ptrIiEEEENSB_INSC_ItEEEESG_tNS9_4plusIvEENS9_8equal_toIvEEtEE10hipError_tPvRmT2_T3_T4_T5_mT6_T7_P12ihipStream_tbENKUlT_T0_E_clISt17integral_constantIbLb1EES11_EEDaSW_SX_EUlSW_E_NS1_11comp_targetILNS1_3genE5ELNS1_11target_archE942ELNS1_3gpuE9ELNS1_3repE0EEENS1_30default_config_static_selectorELNS0_4arch9wavefront6targetE0EEEvT1_.has_recursion, 0
	.set _ZN7rocprim17ROCPRIM_400000_NS6detail17trampoline_kernelINS0_14default_configENS1_27scan_by_key_config_selectorIitEEZZNS1_16scan_by_key_implILNS1_25lookback_scan_determinismE0ELb0ES3_N6thrust23THRUST_200600_302600_NS6detail15normal_iteratorINS9_10device_ptrIiEEEENSB_INSC_ItEEEESG_tNS9_4plusIvEENS9_8equal_toIvEEtEE10hipError_tPvRmT2_T3_T4_T5_mT6_T7_P12ihipStream_tbENKUlT_T0_E_clISt17integral_constantIbLb1EES11_EEDaSW_SX_EUlSW_E_NS1_11comp_targetILNS1_3genE5ELNS1_11target_archE942ELNS1_3gpuE9ELNS1_3repE0EEENS1_30default_config_static_selectorELNS0_4arch9wavefront6targetE0EEEvT1_.has_indirect_call, 0
	.section	.AMDGPU.csdata,"",@progbits
; Kernel info:
; codeLenInByte = 0
; TotalNumSgprs: 0
; NumVgprs: 0
; ScratchSize: 0
; MemoryBound: 0
; FloatMode: 240
; IeeeMode: 1
; LDSByteSize: 0 bytes/workgroup (compile time only)
; SGPRBlocks: 0
; VGPRBlocks: 0
; NumSGPRsForWavesPerEU: 1
; NumVGPRsForWavesPerEU: 1
; NamedBarCnt: 0
; Occupancy: 16
; WaveLimiterHint : 0
; COMPUTE_PGM_RSRC2:SCRATCH_EN: 0
; COMPUTE_PGM_RSRC2:USER_SGPR: 2
; COMPUTE_PGM_RSRC2:TRAP_HANDLER: 0
; COMPUTE_PGM_RSRC2:TGID_X_EN: 1
; COMPUTE_PGM_RSRC2:TGID_Y_EN: 0
; COMPUTE_PGM_RSRC2:TGID_Z_EN: 0
; COMPUTE_PGM_RSRC2:TIDIG_COMP_CNT: 0
	.section	.text._ZN7rocprim17ROCPRIM_400000_NS6detail17trampoline_kernelINS0_14default_configENS1_27scan_by_key_config_selectorIitEEZZNS1_16scan_by_key_implILNS1_25lookback_scan_determinismE0ELb0ES3_N6thrust23THRUST_200600_302600_NS6detail15normal_iteratorINS9_10device_ptrIiEEEENSB_INSC_ItEEEESG_tNS9_4plusIvEENS9_8equal_toIvEEtEE10hipError_tPvRmT2_T3_T4_T5_mT6_T7_P12ihipStream_tbENKUlT_T0_E_clISt17integral_constantIbLb1EES11_EEDaSW_SX_EUlSW_E_NS1_11comp_targetILNS1_3genE4ELNS1_11target_archE910ELNS1_3gpuE8ELNS1_3repE0EEENS1_30default_config_static_selectorELNS0_4arch9wavefront6targetE0EEEvT1_,"axG",@progbits,_ZN7rocprim17ROCPRIM_400000_NS6detail17trampoline_kernelINS0_14default_configENS1_27scan_by_key_config_selectorIitEEZZNS1_16scan_by_key_implILNS1_25lookback_scan_determinismE0ELb0ES3_N6thrust23THRUST_200600_302600_NS6detail15normal_iteratorINS9_10device_ptrIiEEEENSB_INSC_ItEEEESG_tNS9_4plusIvEENS9_8equal_toIvEEtEE10hipError_tPvRmT2_T3_T4_T5_mT6_T7_P12ihipStream_tbENKUlT_T0_E_clISt17integral_constantIbLb1EES11_EEDaSW_SX_EUlSW_E_NS1_11comp_targetILNS1_3genE4ELNS1_11target_archE910ELNS1_3gpuE8ELNS1_3repE0EEENS1_30default_config_static_selectorELNS0_4arch9wavefront6targetE0EEEvT1_,comdat
	.protected	_ZN7rocprim17ROCPRIM_400000_NS6detail17trampoline_kernelINS0_14default_configENS1_27scan_by_key_config_selectorIitEEZZNS1_16scan_by_key_implILNS1_25lookback_scan_determinismE0ELb0ES3_N6thrust23THRUST_200600_302600_NS6detail15normal_iteratorINS9_10device_ptrIiEEEENSB_INSC_ItEEEESG_tNS9_4plusIvEENS9_8equal_toIvEEtEE10hipError_tPvRmT2_T3_T4_T5_mT6_T7_P12ihipStream_tbENKUlT_T0_E_clISt17integral_constantIbLb1EES11_EEDaSW_SX_EUlSW_E_NS1_11comp_targetILNS1_3genE4ELNS1_11target_archE910ELNS1_3gpuE8ELNS1_3repE0EEENS1_30default_config_static_selectorELNS0_4arch9wavefront6targetE0EEEvT1_ ; -- Begin function _ZN7rocprim17ROCPRIM_400000_NS6detail17trampoline_kernelINS0_14default_configENS1_27scan_by_key_config_selectorIitEEZZNS1_16scan_by_key_implILNS1_25lookback_scan_determinismE0ELb0ES3_N6thrust23THRUST_200600_302600_NS6detail15normal_iteratorINS9_10device_ptrIiEEEENSB_INSC_ItEEEESG_tNS9_4plusIvEENS9_8equal_toIvEEtEE10hipError_tPvRmT2_T3_T4_T5_mT6_T7_P12ihipStream_tbENKUlT_T0_E_clISt17integral_constantIbLb1EES11_EEDaSW_SX_EUlSW_E_NS1_11comp_targetILNS1_3genE4ELNS1_11target_archE910ELNS1_3gpuE8ELNS1_3repE0EEENS1_30default_config_static_selectorELNS0_4arch9wavefront6targetE0EEEvT1_
	.globl	_ZN7rocprim17ROCPRIM_400000_NS6detail17trampoline_kernelINS0_14default_configENS1_27scan_by_key_config_selectorIitEEZZNS1_16scan_by_key_implILNS1_25lookback_scan_determinismE0ELb0ES3_N6thrust23THRUST_200600_302600_NS6detail15normal_iteratorINS9_10device_ptrIiEEEENSB_INSC_ItEEEESG_tNS9_4plusIvEENS9_8equal_toIvEEtEE10hipError_tPvRmT2_T3_T4_T5_mT6_T7_P12ihipStream_tbENKUlT_T0_E_clISt17integral_constantIbLb1EES11_EEDaSW_SX_EUlSW_E_NS1_11comp_targetILNS1_3genE4ELNS1_11target_archE910ELNS1_3gpuE8ELNS1_3repE0EEENS1_30default_config_static_selectorELNS0_4arch9wavefront6targetE0EEEvT1_
	.p2align	8
	.type	_ZN7rocprim17ROCPRIM_400000_NS6detail17trampoline_kernelINS0_14default_configENS1_27scan_by_key_config_selectorIitEEZZNS1_16scan_by_key_implILNS1_25lookback_scan_determinismE0ELb0ES3_N6thrust23THRUST_200600_302600_NS6detail15normal_iteratorINS9_10device_ptrIiEEEENSB_INSC_ItEEEESG_tNS9_4plusIvEENS9_8equal_toIvEEtEE10hipError_tPvRmT2_T3_T4_T5_mT6_T7_P12ihipStream_tbENKUlT_T0_E_clISt17integral_constantIbLb1EES11_EEDaSW_SX_EUlSW_E_NS1_11comp_targetILNS1_3genE4ELNS1_11target_archE910ELNS1_3gpuE8ELNS1_3repE0EEENS1_30default_config_static_selectorELNS0_4arch9wavefront6targetE0EEEvT1_,@function
_ZN7rocprim17ROCPRIM_400000_NS6detail17trampoline_kernelINS0_14default_configENS1_27scan_by_key_config_selectorIitEEZZNS1_16scan_by_key_implILNS1_25lookback_scan_determinismE0ELb0ES3_N6thrust23THRUST_200600_302600_NS6detail15normal_iteratorINS9_10device_ptrIiEEEENSB_INSC_ItEEEESG_tNS9_4plusIvEENS9_8equal_toIvEEtEE10hipError_tPvRmT2_T3_T4_T5_mT6_T7_P12ihipStream_tbENKUlT_T0_E_clISt17integral_constantIbLb1EES11_EEDaSW_SX_EUlSW_E_NS1_11comp_targetILNS1_3genE4ELNS1_11target_archE910ELNS1_3gpuE8ELNS1_3repE0EEENS1_30default_config_static_selectorELNS0_4arch9wavefront6targetE0EEEvT1_: ; @_ZN7rocprim17ROCPRIM_400000_NS6detail17trampoline_kernelINS0_14default_configENS1_27scan_by_key_config_selectorIitEEZZNS1_16scan_by_key_implILNS1_25lookback_scan_determinismE0ELb0ES3_N6thrust23THRUST_200600_302600_NS6detail15normal_iteratorINS9_10device_ptrIiEEEENSB_INSC_ItEEEESG_tNS9_4plusIvEENS9_8equal_toIvEEtEE10hipError_tPvRmT2_T3_T4_T5_mT6_T7_P12ihipStream_tbENKUlT_T0_E_clISt17integral_constantIbLb1EES11_EEDaSW_SX_EUlSW_E_NS1_11comp_targetILNS1_3genE4ELNS1_11target_archE910ELNS1_3gpuE8ELNS1_3repE0EEENS1_30default_config_static_selectorELNS0_4arch9wavefront6targetE0EEEvT1_
; %bb.0:
	.section	.rodata,"a",@progbits
	.p2align	6, 0x0
	.amdhsa_kernel _ZN7rocprim17ROCPRIM_400000_NS6detail17trampoline_kernelINS0_14default_configENS1_27scan_by_key_config_selectorIitEEZZNS1_16scan_by_key_implILNS1_25lookback_scan_determinismE0ELb0ES3_N6thrust23THRUST_200600_302600_NS6detail15normal_iteratorINS9_10device_ptrIiEEEENSB_INSC_ItEEEESG_tNS9_4plusIvEENS9_8equal_toIvEEtEE10hipError_tPvRmT2_T3_T4_T5_mT6_T7_P12ihipStream_tbENKUlT_T0_E_clISt17integral_constantIbLb1EES11_EEDaSW_SX_EUlSW_E_NS1_11comp_targetILNS1_3genE4ELNS1_11target_archE910ELNS1_3gpuE8ELNS1_3repE0EEENS1_30default_config_static_selectorELNS0_4arch9wavefront6targetE0EEEvT1_
		.amdhsa_group_segment_fixed_size 0
		.amdhsa_private_segment_fixed_size 0
		.amdhsa_kernarg_size 112
		.amdhsa_user_sgpr_count 2
		.amdhsa_user_sgpr_dispatch_ptr 0
		.amdhsa_user_sgpr_queue_ptr 0
		.amdhsa_user_sgpr_kernarg_segment_ptr 1
		.amdhsa_user_sgpr_dispatch_id 0
		.amdhsa_user_sgpr_kernarg_preload_length 0
		.amdhsa_user_sgpr_kernarg_preload_offset 0
		.amdhsa_user_sgpr_private_segment_size 0
		.amdhsa_wavefront_size32 1
		.amdhsa_uses_dynamic_stack 0
		.amdhsa_enable_private_segment 0
		.amdhsa_system_sgpr_workgroup_id_x 1
		.amdhsa_system_sgpr_workgroup_id_y 0
		.amdhsa_system_sgpr_workgroup_id_z 0
		.amdhsa_system_sgpr_workgroup_info 0
		.amdhsa_system_vgpr_workitem_id 0
		.amdhsa_next_free_vgpr 1
		.amdhsa_next_free_sgpr 1
		.amdhsa_named_barrier_count 0
		.amdhsa_reserve_vcc 0
		.amdhsa_float_round_mode_32 0
		.amdhsa_float_round_mode_16_64 0
		.amdhsa_float_denorm_mode_32 3
		.amdhsa_float_denorm_mode_16_64 3
		.amdhsa_fp16_overflow 0
		.amdhsa_memory_ordered 1
		.amdhsa_forward_progress 1
		.amdhsa_inst_pref_size 0
		.amdhsa_round_robin_scheduling 0
		.amdhsa_exception_fp_ieee_invalid_op 0
		.amdhsa_exception_fp_denorm_src 0
		.amdhsa_exception_fp_ieee_div_zero 0
		.amdhsa_exception_fp_ieee_overflow 0
		.amdhsa_exception_fp_ieee_underflow 0
		.amdhsa_exception_fp_ieee_inexact 0
		.amdhsa_exception_int_div_zero 0
	.end_amdhsa_kernel
	.section	.text._ZN7rocprim17ROCPRIM_400000_NS6detail17trampoline_kernelINS0_14default_configENS1_27scan_by_key_config_selectorIitEEZZNS1_16scan_by_key_implILNS1_25lookback_scan_determinismE0ELb0ES3_N6thrust23THRUST_200600_302600_NS6detail15normal_iteratorINS9_10device_ptrIiEEEENSB_INSC_ItEEEESG_tNS9_4plusIvEENS9_8equal_toIvEEtEE10hipError_tPvRmT2_T3_T4_T5_mT6_T7_P12ihipStream_tbENKUlT_T0_E_clISt17integral_constantIbLb1EES11_EEDaSW_SX_EUlSW_E_NS1_11comp_targetILNS1_3genE4ELNS1_11target_archE910ELNS1_3gpuE8ELNS1_3repE0EEENS1_30default_config_static_selectorELNS0_4arch9wavefront6targetE0EEEvT1_,"axG",@progbits,_ZN7rocprim17ROCPRIM_400000_NS6detail17trampoline_kernelINS0_14default_configENS1_27scan_by_key_config_selectorIitEEZZNS1_16scan_by_key_implILNS1_25lookback_scan_determinismE0ELb0ES3_N6thrust23THRUST_200600_302600_NS6detail15normal_iteratorINS9_10device_ptrIiEEEENSB_INSC_ItEEEESG_tNS9_4plusIvEENS9_8equal_toIvEEtEE10hipError_tPvRmT2_T3_T4_T5_mT6_T7_P12ihipStream_tbENKUlT_T0_E_clISt17integral_constantIbLb1EES11_EEDaSW_SX_EUlSW_E_NS1_11comp_targetILNS1_3genE4ELNS1_11target_archE910ELNS1_3gpuE8ELNS1_3repE0EEENS1_30default_config_static_selectorELNS0_4arch9wavefront6targetE0EEEvT1_,comdat
.Lfunc_end1281:
	.size	_ZN7rocprim17ROCPRIM_400000_NS6detail17trampoline_kernelINS0_14default_configENS1_27scan_by_key_config_selectorIitEEZZNS1_16scan_by_key_implILNS1_25lookback_scan_determinismE0ELb0ES3_N6thrust23THRUST_200600_302600_NS6detail15normal_iteratorINS9_10device_ptrIiEEEENSB_INSC_ItEEEESG_tNS9_4plusIvEENS9_8equal_toIvEEtEE10hipError_tPvRmT2_T3_T4_T5_mT6_T7_P12ihipStream_tbENKUlT_T0_E_clISt17integral_constantIbLb1EES11_EEDaSW_SX_EUlSW_E_NS1_11comp_targetILNS1_3genE4ELNS1_11target_archE910ELNS1_3gpuE8ELNS1_3repE0EEENS1_30default_config_static_selectorELNS0_4arch9wavefront6targetE0EEEvT1_, .Lfunc_end1281-_ZN7rocprim17ROCPRIM_400000_NS6detail17trampoline_kernelINS0_14default_configENS1_27scan_by_key_config_selectorIitEEZZNS1_16scan_by_key_implILNS1_25lookback_scan_determinismE0ELb0ES3_N6thrust23THRUST_200600_302600_NS6detail15normal_iteratorINS9_10device_ptrIiEEEENSB_INSC_ItEEEESG_tNS9_4plusIvEENS9_8equal_toIvEEtEE10hipError_tPvRmT2_T3_T4_T5_mT6_T7_P12ihipStream_tbENKUlT_T0_E_clISt17integral_constantIbLb1EES11_EEDaSW_SX_EUlSW_E_NS1_11comp_targetILNS1_3genE4ELNS1_11target_archE910ELNS1_3gpuE8ELNS1_3repE0EEENS1_30default_config_static_selectorELNS0_4arch9wavefront6targetE0EEEvT1_
                                        ; -- End function
	.set _ZN7rocprim17ROCPRIM_400000_NS6detail17trampoline_kernelINS0_14default_configENS1_27scan_by_key_config_selectorIitEEZZNS1_16scan_by_key_implILNS1_25lookback_scan_determinismE0ELb0ES3_N6thrust23THRUST_200600_302600_NS6detail15normal_iteratorINS9_10device_ptrIiEEEENSB_INSC_ItEEEESG_tNS9_4plusIvEENS9_8equal_toIvEEtEE10hipError_tPvRmT2_T3_T4_T5_mT6_T7_P12ihipStream_tbENKUlT_T0_E_clISt17integral_constantIbLb1EES11_EEDaSW_SX_EUlSW_E_NS1_11comp_targetILNS1_3genE4ELNS1_11target_archE910ELNS1_3gpuE8ELNS1_3repE0EEENS1_30default_config_static_selectorELNS0_4arch9wavefront6targetE0EEEvT1_.num_vgpr, 0
	.set _ZN7rocprim17ROCPRIM_400000_NS6detail17trampoline_kernelINS0_14default_configENS1_27scan_by_key_config_selectorIitEEZZNS1_16scan_by_key_implILNS1_25lookback_scan_determinismE0ELb0ES3_N6thrust23THRUST_200600_302600_NS6detail15normal_iteratorINS9_10device_ptrIiEEEENSB_INSC_ItEEEESG_tNS9_4plusIvEENS9_8equal_toIvEEtEE10hipError_tPvRmT2_T3_T4_T5_mT6_T7_P12ihipStream_tbENKUlT_T0_E_clISt17integral_constantIbLb1EES11_EEDaSW_SX_EUlSW_E_NS1_11comp_targetILNS1_3genE4ELNS1_11target_archE910ELNS1_3gpuE8ELNS1_3repE0EEENS1_30default_config_static_selectorELNS0_4arch9wavefront6targetE0EEEvT1_.num_agpr, 0
	.set _ZN7rocprim17ROCPRIM_400000_NS6detail17trampoline_kernelINS0_14default_configENS1_27scan_by_key_config_selectorIitEEZZNS1_16scan_by_key_implILNS1_25lookback_scan_determinismE0ELb0ES3_N6thrust23THRUST_200600_302600_NS6detail15normal_iteratorINS9_10device_ptrIiEEEENSB_INSC_ItEEEESG_tNS9_4plusIvEENS9_8equal_toIvEEtEE10hipError_tPvRmT2_T3_T4_T5_mT6_T7_P12ihipStream_tbENKUlT_T0_E_clISt17integral_constantIbLb1EES11_EEDaSW_SX_EUlSW_E_NS1_11comp_targetILNS1_3genE4ELNS1_11target_archE910ELNS1_3gpuE8ELNS1_3repE0EEENS1_30default_config_static_selectorELNS0_4arch9wavefront6targetE0EEEvT1_.numbered_sgpr, 0
	.set _ZN7rocprim17ROCPRIM_400000_NS6detail17trampoline_kernelINS0_14default_configENS1_27scan_by_key_config_selectorIitEEZZNS1_16scan_by_key_implILNS1_25lookback_scan_determinismE0ELb0ES3_N6thrust23THRUST_200600_302600_NS6detail15normal_iteratorINS9_10device_ptrIiEEEENSB_INSC_ItEEEESG_tNS9_4plusIvEENS9_8equal_toIvEEtEE10hipError_tPvRmT2_T3_T4_T5_mT6_T7_P12ihipStream_tbENKUlT_T0_E_clISt17integral_constantIbLb1EES11_EEDaSW_SX_EUlSW_E_NS1_11comp_targetILNS1_3genE4ELNS1_11target_archE910ELNS1_3gpuE8ELNS1_3repE0EEENS1_30default_config_static_selectorELNS0_4arch9wavefront6targetE0EEEvT1_.num_named_barrier, 0
	.set _ZN7rocprim17ROCPRIM_400000_NS6detail17trampoline_kernelINS0_14default_configENS1_27scan_by_key_config_selectorIitEEZZNS1_16scan_by_key_implILNS1_25lookback_scan_determinismE0ELb0ES3_N6thrust23THRUST_200600_302600_NS6detail15normal_iteratorINS9_10device_ptrIiEEEENSB_INSC_ItEEEESG_tNS9_4plusIvEENS9_8equal_toIvEEtEE10hipError_tPvRmT2_T3_T4_T5_mT6_T7_P12ihipStream_tbENKUlT_T0_E_clISt17integral_constantIbLb1EES11_EEDaSW_SX_EUlSW_E_NS1_11comp_targetILNS1_3genE4ELNS1_11target_archE910ELNS1_3gpuE8ELNS1_3repE0EEENS1_30default_config_static_selectorELNS0_4arch9wavefront6targetE0EEEvT1_.private_seg_size, 0
	.set _ZN7rocprim17ROCPRIM_400000_NS6detail17trampoline_kernelINS0_14default_configENS1_27scan_by_key_config_selectorIitEEZZNS1_16scan_by_key_implILNS1_25lookback_scan_determinismE0ELb0ES3_N6thrust23THRUST_200600_302600_NS6detail15normal_iteratorINS9_10device_ptrIiEEEENSB_INSC_ItEEEESG_tNS9_4plusIvEENS9_8equal_toIvEEtEE10hipError_tPvRmT2_T3_T4_T5_mT6_T7_P12ihipStream_tbENKUlT_T0_E_clISt17integral_constantIbLb1EES11_EEDaSW_SX_EUlSW_E_NS1_11comp_targetILNS1_3genE4ELNS1_11target_archE910ELNS1_3gpuE8ELNS1_3repE0EEENS1_30default_config_static_selectorELNS0_4arch9wavefront6targetE0EEEvT1_.uses_vcc, 0
	.set _ZN7rocprim17ROCPRIM_400000_NS6detail17trampoline_kernelINS0_14default_configENS1_27scan_by_key_config_selectorIitEEZZNS1_16scan_by_key_implILNS1_25lookback_scan_determinismE0ELb0ES3_N6thrust23THRUST_200600_302600_NS6detail15normal_iteratorINS9_10device_ptrIiEEEENSB_INSC_ItEEEESG_tNS9_4plusIvEENS9_8equal_toIvEEtEE10hipError_tPvRmT2_T3_T4_T5_mT6_T7_P12ihipStream_tbENKUlT_T0_E_clISt17integral_constantIbLb1EES11_EEDaSW_SX_EUlSW_E_NS1_11comp_targetILNS1_3genE4ELNS1_11target_archE910ELNS1_3gpuE8ELNS1_3repE0EEENS1_30default_config_static_selectorELNS0_4arch9wavefront6targetE0EEEvT1_.uses_flat_scratch, 0
	.set _ZN7rocprim17ROCPRIM_400000_NS6detail17trampoline_kernelINS0_14default_configENS1_27scan_by_key_config_selectorIitEEZZNS1_16scan_by_key_implILNS1_25lookback_scan_determinismE0ELb0ES3_N6thrust23THRUST_200600_302600_NS6detail15normal_iteratorINS9_10device_ptrIiEEEENSB_INSC_ItEEEESG_tNS9_4plusIvEENS9_8equal_toIvEEtEE10hipError_tPvRmT2_T3_T4_T5_mT6_T7_P12ihipStream_tbENKUlT_T0_E_clISt17integral_constantIbLb1EES11_EEDaSW_SX_EUlSW_E_NS1_11comp_targetILNS1_3genE4ELNS1_11target_archE910ELNS1_3gpuE8ELNS1_3repE0EEENS1_30default_config_static_selectorELNS0_4arch9wavefront6targetE0EEEvT1_.has_dyn_sized_stack, 0
	.set _ZN7rocprim17ROCPRIM_400000_NS6detail17trampoline_kernelINS0_14default_configENS1_27scan_by_key_config_selectorIitEEZZNS1_16scan_by_key_implILNS1_25lookback_scan_determinismE0ELb0ES3_N6thrust23THRUST_200600_302600_NS6detail15normal_iteratorINS9_10device_ptrIiEEEENSB_INSC_ItEEEESG_tNS9_4plusIvEENS9_8equal_toIvEEtEE10hipError_tPvRmT2_T3_T4_T5_mT6_T7_P12ihipStream_tbENKUlT_T0_E_clISt17integral_constantIbLb1EES11_EEDaSW_SX_EUlSW_E_NS1_11comp_targetILNS1_3genE4ELNS1_11target_archE910ELNS1_3gpuE8ELNS1_3repE0EEENS1_30default_config_static_selectorELNS0_4arch9wavefront6targetE0EEEvT1_.has_recursion, 0
	.set _ZN7rocprim17ROCPRIM_400000_NS6detail17trampoline_kernelINS0_14default_configENS1_27scan_by_key_config_selectorIitEEZZNS1_16scan_by_key_implILNS1_25lookback_scan_determinismE0ELb0ES3_N6thrust23THRUST_200600_302600_NS6detail15normal_iteratorINS9_10device_ptrIiEEEENSB_INSC_ItEEEESG_tNS9_4plusIvEENS9_8equal_toIvEEtEE10hipError_tPvRmT2_T3_T4_T5_mT6_T7_P12ihipStream_tbENKUlT_T0_E_clISt17integral_constantIbLb1EES11_EEDaSW_SX_EUlSW_E_NS1_11comp_targetILNS1_3genE4ELNS1_11target_archE910ELNS1_3gpuE8ELNS1_3repE0EEENS1_30default_config_static_selectorELNS0_4arch9wavefront6targetE0EEEvT1_.has_indirect_call, 0
	.section	.AMDGPU.csdata,"",@progbits
; Kernel info:
; codeLenInByte = 0
; TotalNumSgprs: 0
; NumVgprs: 0
; ScratchSize: 0
; MemoryBound: 0
; FloatMode: 240
; IeeeMode: 1
; LDSByteSize: 0 bytes/workgroup (compile time only)
; SGPRBlocks: 0
; VGPRBlocks: 0
; NumSGPRsForWavesPerEU: 1
; NumVGPRsForWavesPerEU: 1
; NamedBarCnt: 0
; Occupancy: 16
; WaveLimiterHint : 0
; COMPUTE_PGM_RSRC2:SCRATCH_EN: 0
; COMPUTE_PGM_RSRC2:USER_SGPR: 2
; COMPUTE_PGM_RSRC2:TRAP_HANDLER: 0
; COMPUTE_PGM_RSRC2:TGID_X_EN: 1
; COMPUTE_PGM_RSRC2:TGID_Y_EN: 0
; COMPUTE_PGM_RSRC2:TGID_Z_EN: 0
; COMPUTE_PGM_RSRC2:TIDIG_COMP_CNT: 0
	.section	.text._ZN7rocprim17ROCPRIM_400000_NS6detail17trampoline_kernelINS0_14default_configENS1_27scan_by_key_config_selectorIitEEZZNS1_16scan_by_key_implILNS1_25lookback_scan_determinismE0ELb0ES3_N6thrust23THRUST_200600_302600_NS6detail15normal_iteratorINS9_10device_ptrIiEEEENSB_INSC_ItEEEESG_tNS9_4plusIvEENS9_8equal_toIvEEtEE10hipError_tPvRmT2_T3_T4_T5_mT6_T7_P12ihipStream_tbENKUlT_T0_E_clISt17integral_constantIbLb1EES11_EEDaSW_SX_EUlSW_E_NS1_11comp_targetILNS1_3genE3ELNS1_11target_archE908ELNS1_3gpuE7ELNS1_3repE0EEENS1_30default_config_static_selectorELNS0_4arch9wavefront6targetE0EEEvT1_,"axG",@progbits,_ZN7rocprim17ROCPRIM_400000_NS6detail17trampoline_kernelINS0_14default_configENS1_27scan_by_key_config_selectorIitEEZZNS1_16scan_by_key_implILNS1_25lookback_scan_determinismE0ELb0ES3_N6thrust23THRUST_200600_302600_NS6detail15normal_iteratorINS9_10device_ptrIiEEEENSB_INSC_ItEEEESG_tNS9_4plusIvEENS9_8equal_toIvEEtEE10hipError_tPvRmT2_T3_T4_T5_mT6_T7_P12ihipStream_tbENKUlT_T0_E_clISt17integral_constantIbLb1EES11_EEDaSW_SX_EUlSW_E_NS1_11comp_targetILNS1_3genE3ELNS1_11target_archE908ELNS1_3gpuE7ELNS1_3repE0EEENS1_30default_config_static_selectorELNS0_4arch9wavefront6targetE0EEEvT1_,comdat
	.protected	_ZN7rocprim17ROCPRIM_400000_NS6detail17trampoline_kernelINS0_14default_configENS1_27scan_by_key_config_selectorIitEEZZNS1_16scan_by_key_implILNS1_25lookback_scan_determinismE0ELb0ES3_N6thrust23THRUST_200600_302600_NS6detail15normal_iteratorINS9_10device_ptrIiEEEENSB_INSC_ItEEEESG_tNS9_4plusIvEENS9_8equal_toIvEEtEE10hipError_tPvRmT2_T3_T4_T5_mT6_T7_P12ihipStream_tbENKUlT_T0_E_clISt17integral_constantIbLb1EES11_EEDaSW_SX_EUlSW_E_NS1_11comp_targetILNS1_3genE3ELNS1_11target_archE908ELNS1_3gpuE7ELNS1_3repE0EEENS1_30default_config_static_selectorELNS0_4arch9wavefront6targetE0EEEvT1_ ; -- Begin function _ZN7rocprim17ROCPRIM_400000_NS6detail17trampoline_kernelINS0_14default_configENS1_27scan_by_key_config_selectorIitEEZZNS1_16scan_by_key_implILNS1_25lookback_scan_determinismE0ELb0ES3_N6thrust23THRUST_200600_302600_NS6detail15normal_iteratorINS9_10device_ptrIiEEEENSB_INSC_ItEEEESG_tNS9_4plusIvEENS9_8equal_toIvEEtEE10hipError_tPvRmT2_T3_T4_T5_mT6_T7_P12ihipStream_tbENKUlT_T0_E_clISt17integral_constantIbLb1EES11_EEDaSW_SX_EUlSW_E_NS1_11comp_targetILNS1_3genE3ELNS1_11target_archE908ELNS1_3gpuE7ELNS1_3repE0EEENS1_30default_config_static_selectorELNS0_4arch9wavefront6targetE0EEEvT1_
	.globl	_ZN7rocprim17ROCPRIM_400000_NS6detail17trampoline_kernelINS0_14default_configENS1_27scan_by_key_config_selectorIitEEZZNS1_16scan_by_key_implILNS1_25lookback_scan_determinismE0ELb0ES3_N6thrust23THRUST_200600_302600_NS6detail15normal_iteratorINS9_10device_ptrIiEEEENSB_INSC_ItEEEESG_tNS9_4plusIvEENS9_8equal_toIvEEtEE10hipError_tPvRmT2_T3_T4_T5_mT6_T7_P12ihipStream_tbENKUlT_T0_E_clISt17integral_constantIbLb1EES11_EEDaSW_SX_EUlSW_E_NS1_11comp_targetILNS1_3genE3ELNS1_11target_archE908ELNS1_3gpuE7ELNS1_3repE0EEENS1_30default_config_static_selectorELNS0_4arch9wavefront6targetE0EEEvT1_
	.p2align	8
	.type	_ZN7rocprim17ROCPRIM_400000_NS6detail17trampoline_kernelINS0_14default_configENS1_27scan_by_key_config_selectorIitEEZZNS1_16scan_by_key_implILNS1_25lookback_scan_determinismE0ELb0ES3_N6thrust23THRUST_200600_302600_NS6detail15normal_iteratorINS9_10device_ptrIiEEEENSB_INSC_ItEEEESG_tNS9_4plusIvEENS9_8equal_toIvEEtEE10hipError_tPvRmT2_T3_T4_T5_mT6_T7_P12ihipStream_tbENKUlT_T0_E_clISt17integral_constantIbLb1EES11_EEDaSW_SX_EUlSW_E_NS1_11comp_targetILNS1_3genE3ELNS1_11target_archE908ELNS1_3gpuE7ELNS1_3repE0EEENS1_30default_config_static_selectorELNS0_4arch9wavefront6targetE0EEEvT1_,@function
_ZN7rocprim17ROCPRIM_400000_NS6detail17trampoline_kernelINS0_14default_configENS1_27scan_by_key_config_selectorIitEEZZNS1_16scan_by_key_implILNS1_25lookback_scan_determinismE0ELb0ES3_N6thrust23THRUST_200600_302600_NS6detail15normal_iteratorINS9_10device_ptrIiEEEENSB_INSC_ItEEEESG_tNS9_4plusIvEENS9_8equal_toIvEEtEE10hipError_tPvRmT2_T3_T4_T5_mT6_T7_P12ihipStream_tbENKUlT_T0_E_clISt17integral_constantIbLb1EES11_EEDaSW_SX_EUlSW_E_NS1_11comp_targetILNS1_3genE3ELNS1_11target_archE908ELNS1_3gpuE7ELNS1_3repE0EEENS1_30default_config_static_selectorELNS0_4arch9wavefront6targetE0EEEvT1_: ; @_ZN7rocprim17ROCPRIM_400000_NS6detail17trampoline_kernelINS0_14default_configENS1_27scan_by_key_config_selectorIitEEZZNS1_16scan_by_key_implILNS1_25lookback_scan_determinismE0ELb0ES3_N6thrust23THRUST_200600_302600_NS6detail15normal_iteratorINS9_10device_ptrIiEEEENSB_INSC_ItEEEESG_tNS9_4plusIvEENS9_8equal_toIvEEtEE10hipError_tPvRmT2_T3_T4_T5_mT6_T7_P12ihipStream_tbENKUlT_T0_E_clISt17integral_constantIbLb1EES11_EEDaSW_SX_EUlSW_E_NS1_11comp_targetILNS1_3genE3ELNS1_11target_archE908ELNS1_3gpuE7ELNS1_3repE0EEENS1_30default_config_static_selectorELNS0_4arch9wavefront6targetE0EEEvT1_
; %bb.0:
	.section	.rodata,"a",@progbits
	.p2align	6, 0x0
	.amdhsa_kernel _ZN7rocprim17ROCPRIM_400000_NS6detail17trampoline_kernelINS0_14default_configENS1_27scan_by_key_config_selectorIitEEZZNS1_16scan_by_key_implILNS1_25lookback_scan_determinismE0ELb0ES3_N6thrust23THRUST_200600_302600_NS6detail15normal_iteratorINS9_10device_ptrIiEEEENSB_INSC_ItEEEESG_tNS9_4plusIvEENS9_8equal_toIvEEtEE10hipError_tPvRmT2_T3_T4_T5_mT6_T7_P12ihipStream_tbENKUlT_T0_E_clISt17integral_constantIbLb1EES11_EEDaSW_SX_EUlSW_E_NS1_11comp_targetILNS1_3genE3ELNS1_11target_archE908ELNS1_3gpuE7ELNS1_3repE0EEENS1_30default_config_static_selectorELNS0_4arch9wavefront6targetE0EEEvT1_
		.amdhsa_group_segment_fixed_size 0
		.amdhsa_private_segment_fixed_size 0
		.amdhsa_kernarg_size 112
		.amdhsa_user_sgpr_count 2
		.amdhsa_user_sgpr_dispatch_ptr 0
		.amdhsa_user_sgpr_queue_ptr 0
		.amdhsa_user_sgpr_kernarg_segment_ptr 1
		.amdhsa_user_sgpr_dispatch_id 0
		.amdhsa_user_sgpr_kernarg_preload_length 0
		.amdhsa_user_sgpr_kernarg_preload_offset 0
		.amdhsa_user_sgpr_private_segment_size 0
		.amdhsa_wavefront_size32 1
		.amdhsa_uses_dynamic_stack 0
		.amdhsa_enable_private_segment 0
		.amdhsa_system_sgpr_workgroup_id_x 1
		.amdhsa_system_sgpr_workgroup_id_y 0
		.amdhsa_system_sgpr_workgroup_id_z 0
		.amdhsa_system_sgpr_workgroup_info 0
		.amdhsa_system_vgpr_workitem_id 0
		.amdhsa_next_free_vgpr 1
		.amdhsa_next_free_sgpr 1
		.amdhsa_named_barrier_count 0
		.amdhsa_reserve_vcc 0
		.amdhsa_float_round_mode_32 0
		.amdhsa_float_round_mode_16_64 0
		.amdhsa_float_denorm_mode_32 3
		.amdhsa_float_denorm_mode_16_64 3
		.amdhsa_fp16_overflow 0
		.amdhsa_memory_ordered 1
		.amdhsa_forward_progress 1
		.amdhsa_inst_pref_size 0
		.amdhsa_round_robin_scheduling 0
		.amdhsa_exception_fp_ieee_invalid_op 0
		.amdhsa_exception_fp_denorm_src 0
		.amdhsa_exception_fp_ieee_div_zero 0
		.amdhsa_exception_fp_ieee_overflow 0
		.amdhsa_exception_fp_ieee_underflow 0
		.amdhsa_exception_fp_ieee_inexact 0
		.amdhsa_exception_int_div_zero 0
	.end_amdhsa_kernel
	.section	.text._ZN7rocprim17ROCPRIM_400000_NS6detail17trampoline_kernelINS0_14default_configENS1_27scan_by_key_config_selectorIitEEZZNS1_16scan_by_key_implILNS1_25lookback_scan_determinismE0ELb0ES3_N6thrust23THRUST_200600_302600_NS6detail15normal_iteratorINS9_10device_ptrIiEEEENSB_INSC_ItEEEESG_tNS9_4plusIvEENS9_8equal_toIvEEtEE10hipError_tPvRmT2_T3_T4_T5_mT6_T7_P12ihipStream_tbENKUlT_T0_E_clISt17integral_constantIbLb1EES11_EEDaSW_SX_EUlSW_E_NS1_11comp_targetILNS1_3genE3ELNS1_11target_archE908ELNS1_3gpuE7ELNS1_3repE0EEENS1_30default_config_static_selectorELNS0_4arch9wavefront6targetE0EEEvT1_,"axG",@progbits,_ZN7rocprim17ROCPRIM_400000_NS6detail17trampoline_kernelINS0_14default_configENS1_27scan_by_key_config_selectorIitEEZZNS1_16scan_by_key_implILNS1_25lookback_scan_determinismE0ELb0ES3_N6thrust23THRUST_200600_302600_NS6detail15normal_iteratorINS9_10device_ptrIiEEEENSB_INSC_ItEEEESG_tNS9_4plusIvEENS9_8equal_toIvEEtEE10hipError_tPvRmT2_T3_T4_T5_mT6_T7_P12ihipStream_tbENKUlT_T0_E_clISt17integral_constantIbLb1EES11_EEDaSW_SX_EUlSW_E_NS1_11comp_targetILNS1_3genE3ELNS1_11target_archE908ELNS1_3gpuE7ELNS1_3repE0EEENS1_30default_config_static_selectorELNS0_4arch9wavefront6targetE0EEEvT1_,comdat
.Lfunc_end1282:
	.size	_ZN7rocprim17ROCPRIM_400000_NS6detail17trampoline_kernelINS0_14default_configENS1_27scan_by_key_config_selectorIitEEZZNS1_16scan_by_key_implILNS1_25lookback_scan_determinismE0ELb0ES3_N6thrust23THRUST_200600_302600_NS6detail15normal_iteratorINS9_10device_ptrIiEEEENSB_INSC_ItEEEESG_tNS9_4plusIvEENS9_8equal_toIvEEtEE10hipError_tPvRmT2_T3_T4_T5_mT6_T7_P12ihipStream_tbENKUlT_T0_E_clISt17integral_constantIbLb1EES11_EEDaSW_SX_EUlSW_E_NS1_11comp_targetILNS1_3genE3ELNS1_11target_archE908ELNS1_3gpuE7ELNS1_3repE0EEENS1_30default_config_static_selectorELNS0_4arch9wavefront6targetE0EEEvT1_, .Lfunc_end1282-_ZN7rocprim17ROCPRIM_400000_NS6detail17trampoline_kernelINS0_14default_configENS1_27scan_by_key_config_selectorIitEEZZNS1_16scan_by_key_implILNS1_25lookback_scan_determinismE0ELb0ES3_N6thrust23THRUST_200600_302600_NS6detail15normal_iteratorINS9_10device_ptrIiEEEENSB_INSC_ItEEEESG_tNS9_4plusIvEENS9_8equal_toIvEEtEE10hipError_tPvRmT2_T3_T4_T5_mT6_T7_P12ihipStream_tbENKUlT_T0_E_clISt17integral_constantIbLb1EES11_EEDaSW_SX_EUlSW_E_NS1_11comp_targetILNS1_3genE3ELNS1_11target_archE908ELNS1_3gpuE7ELNS1_3repE0EEENS1_30default_config_static_selectorELNS0_4arch9wavefront6targetE0EEEvT1_
                                        ; -- End function
	.set _ZN7rocprim17ROCPRIM_400000_NS6detail17trampoline_kernelINS0_14default_configENS1_27scan_by_key_config_selectorIitEEZZNS1_16scan_by_key_implILNS1_25lookback_scan_determinismE0ELb0ES3_N6thrust23THRUST_200600_302600_NS6detail15normal_iteratorINS9_10device_ptrIiEEEENSB_INSC_ItEEEESG_tNS9_4plusIvEENS9_8equal_toIvEEtEE10hipError_tPvRmT2_T3_T4_T5_mT6_T7_P12ihipStream_tbENKUlT_T0_E_clISt17integral_constantIbLb1EES11_EEDaSW_SX_EUlSW_E_NS1_11comp_targetILNS1_3genE3ELNS1_11target_archE908ELNS1_3gpuE7ELNS1_3repE0EEENS1_30default_config_static_selectorELNS0_4arch9wavefront6targetE0EEEvT1_.num_vgpr, 0
	.set _ZN7rocprim17ROCPRIM_400000_NS6detail17trampoline_kernelINS0_14default_configENS1_27scan_by_key_config_selectorIitEEZZNS1_16scan_by_key_implILNS1_25lookback_scan_determinismE0ELb0ES3_N6thrust23THRUST_200600_302600_NS6detail15normal_iteratorINS9_10device_ptrIiEEEENSB_INSC_ItEEEESG_tNS9_4plusIvEENS9_8equal_toIvEEtEE10hipError_tPvRmT2_T3_T4_T5_mT6_T7_P12ihipStream_tbENKUlT_T0_E_clISt17integral_constantIbLb1EES11_EEDaSW_SX_EUlSW_E_NS1_11comp_targetILNS1_3genE3ELNS1_11target_archE908ELNS1_3gpuE7ELNS1_3repE0EEENS1_30default_config_static_selectorELNS0_4arch9wavefront6targetE0EEEvT1_.num_agpr, 0
	.set _ZN7rocprim17ROCPRIM_400000_NS6detail17trampoline_kernelINS0_14default_configENS1_27scan_by_key_config_selectorIitEEZZNS1_16scan_by_key_implILNS1_25lookback_scan_determinismE0ELb0ES3_N6thrust23THRUST_200600_302600_NS6detail15normal_iteratorINS9_10device_ptrIiEEEENSB_INSC_ItEEEESG_tNS9_4plusIvEENS9_8equal_toIvEEtEE10hipError_tPvRmT2_T3_T4_T5_mT6_T7_P12ihipStream_tbENKUlT_T0_E_clISt17integral_constantIbLb1EES11_EEDaSW_SX_EUlSW_E_NS1_11comp_targetILNS1_3genE3ELNS1_11target_archE908ELNS1_3gpuE7ELNS1_3repE0EEENS1_30default_config_static_selectorELNS0_4arch9wavefront6targetE0EEEvT1_.numbered_sgpr, 0
	.set _ZN7rocprim17ROCPRIM_400000_NS6detail17trampoline_kernelINS0_14default_configENS1_27scan_by_key_config_selectorIitEEZZNS1_16scan_by_key_implILNS1_25lookback_scan_determinismE0ELb0ES3_N6thrust23THRUST_200600_302600_NS6detail15normal_iteratorINS9_10device_ptrIiEEEENSB_INSC_ItEEEESG_tNS9_4plusIvEENS9_8equal_toIvEEtEE10hipError_tPvRmT2_T3_T4_T5_mT6_T7_P12ihipStream_tbENKUlT_T0_E_clISt17integral_constantIbLb1EES11_EEDaSW_SX_EUlSW_E_NS1_11comp_targetILNS1_3genE3ELNS1_11target_archE908ELNS1_3gpuE7ELNS1_3repE0EEENS1_30default_config_static_selectorELNS0_4arch9wavefront6targetE0EEEvT1_.num_named_barrier, 0
	.set _ZN7rocprim17ROCPRIM_400000_NS6detail17trampoline_kernelINS0_14default_configENS1_27scan_by_key_config_selectorIitEEZZNS1_16scan_by_key_implILNS1_25lookback_scan_determinismE0ELb0ES3_N6thrust23THRUST_200600_302600_NS6detail15normal_iteratorINS9_10device_ptrIiEEEENSB_INSC_ItEEEESG_tNS9_4plusIvEENS9_8equal_toIvEEtEE10hipError_tPvRmT2_T3_T4_T5_mT6_T7_P12ihipStream_tbENKUlT_T0_E_clISt17integral_constantIbLb1EES11_EEDaSW_SX_EUlSW_E_NS1_11comp_targetILNS1_3genE3ELNS1_11target_archE908ELNS1_3gpuE7ELNS1_3repE0EEENS1_30default_config_static_selectorELNS0_4arch9wavefront6targetE0EEEvT1_.private_seg_size, 0
	.set _ZN7rocprim17ROCPRIM_400000_NS6detail17trampoline_kernelINS0_14default_configENS1_27scan_by_key_config_selectorIitEEZZNS1_16scan_by_key_implILNS1_25lookback_scan_determinismE0ELb0ES3_N6thrust23THRUST_200600_302600_NS6detail15normal_iteratorINS9_10device_ptrIiEEEENSB_INSC_ItEEEESG_tNS9_4plusIvEENS9_8equal_toIvEEtEE10hipError_tPvRmT2_T3_T4_T5_mT6_T7_P12ihipStream_tbENKUlT_T0_E_clISt17integral_constantIbLb1EES11_EEDaSW_SX_EUlSW_E_NS1_11comp_targetILNS1_3genE3ELNS1_11target_archE908ELNS1_3gpuE7ELNS1_3repE0EEENS1_30default_config_static_selectorELNS0_4arch9wavefront6targetE0EEEvT1_.uses_vcc, 0
	.set _ZN7rocprim17ROCPRIM_400000_NS6detail17trampoline_kernelINS0_14default_configENS1_27scan_by_key_config_selectorIitEEZZNS1_16scan_by_key_implILNS1_25lookback_scan_determinismE0ELb0ES3_N6thrust23THRUST_200600_302600_NS6detail15normal_iteratorINS9_10device_ptrIiEEEENSB_INSC_ItEEEESG_tNS9_4plusIvEENS9_8equal_toIvEEtEE10hipError_tPvRmT2_T3_T4_T5_mT6_T7_P12ihipStream_tbENKUlT_T0_E_clISt17integral_constantIbLb1EES11_EEDaSW_SX_EUlSW_E_NS1_11comp_targetILNS1_3genE3ELNS1_11target_archE908ELNS1_3gpuE7ELNS1_3repE0EEENS1_30default_config_static_selectorELNS0_4arch9wavefront6targetE0EEEvT1_.uses_flat_scratch, 0
	.set _ZN7rocprim17ROCPRIM_400000_NS6detail17trampoline_kernelINS0_14default_configENS1_27scan_by_key_config_selectorIitEEZZNS1_16scan_by_key_implILNS1_25lookback_scan_determinismE0ELb0ES3_N6thrust23THRUST_200600_302600_NS6detail15normal_iteratorINS9_10device_ptrIiEEEENSB_INSC_ItEEEESG_tNS9_4plusIvEENS9_8equal_toIvEEtEE10hipError_tPvRmT2_T3_T4_T5_mT6_T7_P12ihipStream_tbENKUlT_T0_E_clISt17integral_constantIbLb1EES11_EEDaSW_SX_EUlSW_E_NS1_11comp_targetILNS1_3genE3ELNS1_11target_archE908ELNS1_3gpuE7ELNS1_3repE0EEENS1_30default_config_static_selectorELNS0_4arch9wavefront6targetE0EEEvT1_.has_dyn_sized_stack, 0
	.set _ZN7rocprim17ROCPRIM_400000_NS6detail17trampoline_kernelINS0_14default_configENS1_27scan_by_key_config_selectorIitEEZZNS1_16scan_by_key_implILNS1_25lookback_scan_determinismE0ELb0ES3_N6thrust23THRUST_200600_302600_NS6detail15normal_iteratorINS9_10device_ptrIiEEEENSB_INSC_ItEEEESG_tNS9_4plusIvEENS9_8equal_toIvEEtEE10hipError_tPvRmT2_T3_T4_T5_mT6_T7_P12ihipStream_tbENKUlT_T0_E_clISt17integral_constantIbLb1EES11_EEDaSW_SX_EUlSW_E_NS1_11comp_targetILNS1_3genE3ELNS1_11target_archE908ELNS1_3gpuE7ELNS1_3repE0EEENS1_30default_config_static_selectorELNS0_4arch9wavefront6targetE0EEEvT1_.has_recursion, 0
	.set _ZN7rocprim17ROCPRIM_400000_NS6detail17trampoline_kernelINS0_14default_configENS1_27scan_by_key_config_selectorIitEEZZNS1_16scan_by_key_implILNS1_25lookback_scan_determinismE0ELb0ES3_N6thrust23THRUST_200600_302600_NS6detail15normal_iteratorINS9_10device_ptrIiEEEENSB_INSC_ItEEEESG_tNS9_4plusIvEENS9_8equal_toIvEEtEE10hipError_tPvRmT2_T3_T4_T5_mT6_T7_P12ihipStream_tbENKUlT_T0_E_clISt17integral_constantIbLb1EES11_EEDaSW_SX_EUlSW_E_NS1_11comp_targetILNS1_3genE3ELNS1_11target_archE908ELNS1_3gpuE7ELNS1_3repE0EEENS1_30default_config_static_selectorELNS0_4arch9wavefront6targetE0EEEvT1_.has_indirect_call, 0
	.section	.AMDGPU.csdata,"",@progbits
; Kernel info:
; codeLenInByte = 0
; TotalNumSgprs: 0
; NumVgprs: 0
; ScratchSize: 0
; MemoryBound: 0
; FloatMode: 240
; IeeeMode: 1
; LDSByteSize: 0 bytes/workgroup (compile time only)
; SGPRBlocks: 0
; VGPRBlocks: 0
; NumSGPRsForWavesPerEU: 1
; NumVGPRsForWavesPerEU: 1
; NamedBarCnt: 0
; Occupancy: 16
; WaveLimiterHint : 0
; COMPUTE_PGM_RSRC2:SCRATCH_EN: 0
; COMPUTE_PGM_RSRC2:USER_SGPR: 2
; COMPUTE_PGM_RSRC2:TRAP_HANDLER: 0
; COMPUTE_PGM_RSRC2:TGID_X_EN: 1
; COMPUTE_PGM_RSRC2:TGID_Y_EN: 0
; COMPUTE_PGM_RSRC2:TGID_Z_EN: 0
; COMPUTE_PGM_RSRC2:TIDIG_COMP_CNT: 0
	.section	.text._ZN7rocprim17ROCPRIM_400000_NS6detail17trampoline_kernelINS0_14default_configENS1_27scan_by_key_config_selectorIitEEZZNS1_16scan_by_key_implILNS1_25lookback_scan_determinismE0ELb0ES3_N6thrust23THRUST_200600_302600_NS6detail15normal_iteratorINS9_10device_ptrIiEEEENSB_INSC_ItEEEESG_tNS9_4plusIvEENS9_8equal_toIvEEtEE10hipError_tPvRmT2_T3_T4_T5_mT6_T7_P12ihipStream_tbENKUlT_T0_E_clISt17integral_constantIbLb1EES11_EEDaSW_SX_EUlSW_E_NS1_11comp_targetILNS1_3genE2ELNS1_11target_archE906ELNS1_3gpuE6ELNS1_3repE0EEENS1_30default_config_static_selectorELNS0_4arch9wavefront6targetE0EEEvT1_,"axG",@progbits,_ZN7rocprim17ROCPRIM_400000_NS6detail17trampoline_kernelINS0_14default_configENS1_27scan_by_key_config_selectorIitEEZZNS1_16scan_by_key_implILNS1_25lookback_scan_determinismE0ELb0ES3_N6thrust23THRUST_200600_302600_NS6detail15normal_iteratorINS9_10device_ptrIiEEEENSB_INSC_ItEEEESG_tNS9_4plusIvEENS9_8equal_toIvEEtEE10hipError_tPvRmT2_T3_T4_T5_mT6_T7_P12ihipStream_tbENKUlT_T0_E_clISt17integral_constantIbLb1EES11_EEDaSW_SX_EUlSW_E_NS1_11comp_targetILNS1_3genE2ELNS1_11target_archE906ELNS1_3gpuE6ELNS1_3repE0EEENS1_30default_config_static_selectorELNS0_4arch9wavefront6targetE0EEEvT1_,comdat
	.protected	_ZN7rocprim17ROCPRIM_400000_NS6detail17trampoline_kernelINS0_14default_configENS1_27scan_by_key_config_selectorIitEEZZNS1_16scan_by_key_implILNS1_25lookback_scan_determinismE0ELb0ES3_N6thrust23THRUST_200600_302600_NS6detail15normal_iteratorINS9_10device_ptrIiEEEENSB_INSC_ItEEEESG_tNS9_4plusIvEENS9_8equal_toIvEEtEE10hipError_tPvRmT2_T3_T4_T5_mT6_T7_P12ihipStream_tbENKUlT_T0_E_clISt17integral_constantIbLb1EES11_EEDaSW_SX_EUlSW_E_NS1_11comp_targetILNS1_3genE2ELNS1_11target_archE906ELNS1_3gpuE6ELNS1_3repE0EEENS1_30default_config_static_selectorELNS0_4arch9wavefront6targetE0EEEvT1_ ; -- Begin function _ZN7rocprim17ROCPRIM_400000_NS6detail17trampoline_kernelINS0_14default_configENS1_27scan_by_key_config_selectorIitEEZZNS1_16scan_by_key_implILNS1_25lookback_scan_determinismE0ELb0ES3_N6thrust23THRUST_200600_302600_NS6detail15normal_iteratorINS9_10device_ptrIiEEEENSB_INSC_ItEEEESG_tNS9_4plusIvEENS9_8equal_toIvEEtEE10hipError_tPvRmT2_T3_T4_T5_mT6_T7_P12ihipStream_tbENKUlT_T0_E_clISt17integral_constantIbLb1EES11_EEDaSW_SX_EUlSW_E_NS1_11comp_targetILNS1_3genE2ELNS1_11target_archE906ELNS1_3gpuE6ELNS1_3repE0EEENS1_30default_config_static_selectorELNS0_4arch9wavefront6targetE0EEEvT1_
	.globl	_ZN7rocprim17ROCPRIM_400000_NS6detail17trampoline_kernelINS0_14default_configENS1_27scan_by_key_config_selectorIitEEZZNS1_16scan_by_key_implILNS1_25lookback_scan_determinismE0ELb0ES3_N6thrust23THRUST_200600_302600_NS6detail15normal_iteratorINS9_10device_ptrIiEEEENSB_INSC_ItEEEESG_tNS9_4plusIvEENS9_8equal_toIvEEtEE10hipError_tPvRmT2_T3_T4_T5_mT6_T7_P12ihipStream_tbENKUlT_T0_E_clISt17integral_constantIbLb1EES11_EEDaSW_SX_EUlSW_E_NS1_11comp_targetILNS1_3genE2ELNS1_11target_archE906ELNS1_3gpuE6ELNS1_3repE0EEENS1_30default_config_static_selectorELNS0_4arch9wavefront6targetE0EEEvT1_
	.p2align	8
	.type	_ZN7rocprim17ROCPRIM_400000_NS6detail17trampoline_kernelINS0_14default_configENS1_27scan_by_key_config_selectorIitEEZZNS1_16scan_by_key_implILNS1_25lookback_scan_determinismE0ELb0ES3_N6thrust23THRUST_200600_302600_NS6detail15normal_iteratorINS9_10device_ptrIiEEEENSB_INSC_ItEEEESG_tNS9_4plusIvEENS9_8equal_toIvEEtEE10hipError_tPvRmT2_T3_T4_T5_mT6_T7_P12ihipStream_tbENKUlT_T0_E_clISt17integral_constantIbLb1EES11_EEDaSW_SX_EUlSW_E_NS1_11comp_targetILNS1_3genE2ELNS1_11target_archE906ELNS1_3gpuE6ELNS1_3repE0EEENS1_30default_config_static_selectorELNS0_4arch9wavefront6targetE0EEEvT1_,@function
_ZN7rocprim17ROCPRIM_400000_NS6detail17trampoline_kernelINS0_14default_configENS1_27scan_by_key_config_selectorIitEEZZNS1_16scan_by_key_implILNS1_25lookback_scan_determinismE0ELb0ES3_N6thrust23THRUST_200600_302600_NS6detail15normal_iteratorINS9_10device_ptrIiEEEENSB_INSC_ItEEEESG_tNS9_4plusIvEENS9_8equal_toIvEEtEE10hipError_tPvRmT2_T3_T4_T5_mT6_T7_P12ihipStream_tbENKUlT_T0_E_clISt17integral_constantIbLb1EES11_EEDaSW_SX_EUlSW_E_NS1_11comp_targetILNS1_3genE2ELNS1_11target_archE906ELNS1_3gpuE6ELNS1_3repE0EEENS1_30default_config_static_selectorELNS0_4arch9wavefront6targetE0EEEvT1_: ; @_ZN7rocprim17ROCPRIM_400000_NS6detail17trampoline_kernelINS0_14default_configENS1_27scan_by_key_config_selectorIitEEZZNS1_16scan_by_key_implILNS1_25lookback_scan_determinismE0ELb0ES3_N6thrust23THRUST_200600_302600_NS6detail15normal_iteratorINS9_10device_ptrIiEEEENSB_INSC_ItEEEESG_tNS9_4plusIvEENS9_8equal_toIvEEtEE10hipError_tPvRmT2_T3_T4_T5_mT6_T7_P12ihipStream_tbENKUlT_T0_E_clISt17integral_constantIbLb1EES11_EEDaSW_SX_EUlSW_E_NS1_11comp_targetILNS1_3genE2ELNS1_11target_archE906ELNS1_3gpuE6ELNS1_3repE0EEENS1_30default_config_static_selectorELNS0_4arch9wavefront6targetE0EEEvT1_
; %bb.0:
	.section	.rodata,"a",@progbits
	.p2align	6, 0x0
	.amdhsa_kernel _ZN7rocprim17ROCPRIM_400000_NS6detail17trampoline_kernelINS0_14default_configENS1_27scan_by_key_config_selectorIitEEZZNS1_16scan_by_key_implILNS1_25lookback_scan_determinismE0ELb0ES3_N6thrust23THRUST_200600_302600_NS6detail15normal_iteratorINS9_10device_ptrIiEEEENSB_INSC_ItEEEESG_tNS9_4plusIvEENS9_8equal_toIvEEtEE10hipError_tPvRmT2_T3_T4_T5_mT6_T7_P12ihipStream_tbENKUlT_T0_E_clISt17integral_constantIbLb1EES11_EEDaSW_SX_EUlSW_E_NS1_11comp_targetILNS1_3genE2ELNS1_11target_archE906ELNS1_3gpuE6ELNS1_3repE0EEENS1_30default_config_static_selectorELNS0_4arch9wavefront6targetE0EEEvT1_
		.amdhsa_group_segment_fixed_size 0
		.amdhsa_private_segment_fixed_size 0
		.amdhsa_kernarg_size 112
		.amdhsa_user_sgpr_count 2
		.amdhsa_user_sgpr_dispatch_ptr 0
		.amdhsa_user_sgpr_queue_ptr 0
		.amdhsa_user_sgpr_kernarg_segment_ptr 1
		.amdhsa_user_sgpr_dispatch_id 0
		.amdhsa_user_sgpr_kernarg_preload_length 0
		.amdhsa_user_sgpr_kernarg_preload_offset 0
		.amdhsa_user_sgpr_private_segment_size 0
		.amdhsa_wavefront_size32 1
		.amdhsa_uses_dynamic_stack 0
		.amdhsa_enable_private_segment 0
		.amdhsa_system_sgpr_workgroup_id_x 1
		.amdhsa_system_sgpr_workgroup_id_y 0
		.amdhsa_system_sgpr_workgroup_id_z 0
		.amdhsa_system_sgpr_workgroup_info 0
		.amdhsa_system_vgpr_workitem_id 0
		.amdhsa_next_free_vgpr 1
		.amdhsa_next_free_sgpr 1
		.amdhsa_named_barrier_count 0
		.amdhsa_reserve_vcc 0
		.amdhsa_float_round_mode_32 0
		.amdhsa_float_round_mode_16_64 0
		.amdhsa_float_denorm_mode_32 3
		.amdhsa_float_denorm_mode_16_64 3
		.amdhsa_fp16_overflow 0
		.amdhsa_memory_ordered 1
		.amdhsa_forward_progress 1
		.amdhsa_inst_pref_size 0
		.amdhsa_round_robin_scheduling 0
		.amdhsa_exception_fp_ieee_invalid_op 0
		.amdhsa_exception_fp_denorm_src 0
		.amdhsa_exception_fp_ieee_div_zero 0
		.amdhsa_exception_fp_ieee_overflow 0
		.amdhsa_exception_fp_ieee_underflow 0
		.amdhsa_exception_fp_ieee_inexact 0
		.amdhsa_exception_int_div_zero 0
	.end_amdhsa_kernel
	.section	.text._ZN7rocprim17ROCPRIM_400000_NS6detail17trampoline_kernelINS0_14default_configENS1_27scan_by_key_config_selectorIitEEZZNS1_16scan_by_key_implILNS1_25lookback_scan_determinismE0ELb0ES3_N6thrust23THRUST_200600_302600_NS6detail15normal_iteratorINS9_10device_ptrIiEEEENSB_INSC_ItEEEESG_tNS9_4plusIvEENS9_8equal_toIvEEtEE10hipError_tPvRmT2_T3_T4_T5_mT6_T7_P12ihipStream_tbENKUlT_T0_E_clISt17integral_constantIbLb1EES11_EEDaSW_SX_EUlSW_E_NS1_11comp_targetILNS1_3genE2ELNS1_11target_archE906ELNS1_3gpuE6ELNS1_3repE0EEENS1_30default_config_static_selectorELNS0_4arch9wavefront6targetE0EEEvT1_,"axG",@progbits,_ZN7rocprim17ROCPRIM_400000_NS6detail17trampoline_kernelINS0_14default_configENS1_27scan_by_key_config_selectorIitEEZZNS1_16scan_by_key_implILNS1_25lookback_scan_determinismE0ELb0ES3_N6thrust23THRUST_200600_302600_NS6detail15normal_iteratorINS9_10device_ptrIiEEEENSB_INSC_ItEEEESG_tNS9_4plusIvEENS9_8equal_toIvEEtEE10hipError_tPvRmT2_T3_T4_T5_mT6_T7_P12ihipStream_tbENKUlT_T0_E_clISt17integral_constantIbLb1EES11_EEDaSW_SX_EUlSW_E_NS1_11comp_targetILNS1_3genE2ELNS1_11target_archE906ELNS1_3gpuE6ELNS1_3repE0EEENS1_30default_config_static_selectorELNS0_4arch9wavefront6targetE0EEEvT1_,comdat
.Lfunc_end1283:
	.size	_ZN7rocprim17ROCPRIM_400000_NS6detail17trampoline_kernelINS0_14default_configENS1_27scan_by_key_config_selectorIitEEZZNS1_16scan_by_key_implILNS1_25lookback_scan_determinismE0ELb0ES3_N6thrust23THRUST_200600_302600_NS6detail15normal_iteratorINS9_10device_ptrIiEEEENSB_INSC_ItEEEESG_tNS9_4plusIvEENS9_8equal_toIvEEtEE10hipError_tPvRmT2_T3_T4_T5_mT6_T7_P12ihipStream_tbENKUlT_T0_E_clISt17integral_constantIbLb1EES11_EEDaSW_SX_EUlSW_E_NS1_11comp_targetILNS1_3genE2ELNS1_11target_archE906ELNS1_3gpuE6ELNS1_3repE0EEENS1_30default_config_static_selectorELNS0_4arch9wavefront6targetE0EEEvT1_, .Lfunc_end1283-_ZN7rocprim17ROCPRIM_400000_NS6detail17trampoline_kernelINS0_14default_configENS1_27scan_by_key_config_selectorIitEEZZNS1_16scan_by_key_implILNS1_25lookback_scan_determinismE0ELb0ES3_N6thrust23THRUST_200600_302600_NS6detail15normal_iteratorINS9_10device_ptrIiEEEENSB_INSC_ItEEEESG_tNS9_4plusIvEENS9_8equal_toIvEEtEE10hipError_tPvRmT2_T3_T4_T5_mT6_T7_P12ihipStream_tbENKUlT_T0_E_clISt17integral_constantIbLb1EES11_EEDaSW_SX_EUlSW_E_NS1_11comp_targetILNS1_3genE2ELNS1_11target_archE906ELNS1_3gpuE6ELNS1_3repE0EEENS1_30default_config_static_selectorELNS0_4arch9wavefront6targetE0EEEvT1_
                                        ; -- End function
	.set _ZN7rocprim17ROCPRIM_400000_NS6detail17trampoline_kernelINS0_14default_configENS1_27scan_by_key_config_selectorIitEEZZNS1_16scan_by_key_implILNS1_25lookback_scan_determinismE0ELb0ES3_N6thrust23THRUST_200600_302600_NS6detail15normal_iteratorINS9_10device_ptrIiEEEENSB_INSC_ItEEEESG_tNS9_4plusIvEENS9_8equal_toIvEEtEE10hipError_tPvRmT2_T3_T4_T5_mT6_T7_P12ihipStream_tbENKUlT_T0_E_clISt17integral_constantIbLb1EES11_EEDaSW_SX_EUlSW_E_NS1_11comp_targetILNS1_3genE2ELNS1_11target_archE906ELNS1_3gpuE6ELNS1_3repE0EEENS1_30default_config_static_selectorELNS0_4arch9wavefront6targetE0EEEvT1_.num_vgpr, 0
	.set _ZN7rocprim17ROCPRIM_400000_NS6detail17trampoline_kernelINS0_14default_configENS1_27scan_by_key_config_selectorIitEEZZNS1_16scan_by_key_implILNS1_25lookback_scan_determinismE0ELb0ES3_N6thrust23THRUST_200600_302600_NS6detail15normal_iteratorINS9_10device_ptrIiEEEENSB_INSC_ItEEEESG_tNS9_4plusIvEENS9_8equal_toIvEEtEE10hipError_tPvRmT2_T3_T4_T5_mT6_T7_P12ihipStream_tbENKUlT_T0_E_clISt17integral_constantIbLb1EES11_EEDaSW_SX_EUlSW_E_NS1_11comp_targetILNS1_3genE2ELNS1_11target_archE906ELNS1_3gpuE6ELNS1_3repE0EEENS1_30default_config_static_selectorELNS0_4arch9wavefront6targetE0EEEvT1_.num_agpr, 0
	.set _ZN7rocprim17ROCPRIM_400000_NS6detail17trampoline_kernelINS0_14default_configENS1_27scan_by_key_config_selectorIitEEZZNS1_16scan_by_key_implILNS1_25lookback_scan_determinismE0ELb0ES3_N6thrust23THRUST_200600_302600_NS6detail15normal_iteratorINS9_10device_ptrIiEEEENSB_INSC_ItEEEESG_tNS9_4plusIvEENS9_8equal_toIvEEtEE10hipError_tPvRmT2_T3_T4_T5_mT6_T7_P12ihipStream_tbENKUlT_T0_E_clISt17integral_constantIbLb1EES11_EEDaSW_SX_EUlSW_E_NS1_11comp_targetILNS1_3genE2ELNS1_11target_archE906ELNS1_3gpuE6ELNS1_3repE0EEENS1_30default_config_static_selectorELNS0_4arch9wavefront6targetE0EEEvT1_.numbered_sgpr, 0
	.set _ZN7rocprim17ROCPRIM_400000_NS6detail17trampoline_kernelINS0_14default_configENS1_27scan_by_key_config_selectorIitEEZZNS1_16scan_by_key_implILNS1_25lookback_scan_determinismE0ELb0ES3_N6thrust23THRUST_200600_302600_NS6detail15normal_iteratorINS9_10device_ptrIiEEEENSB_INSC_ItEEEESG_tNS9_4plusIvEENS9_8equal_toIvEEtEE10hipError_tPvRmT2_T3_T4_T5_mT6_T7_P12ihipStream_tbENKUlT_T0_E_clISt17integral_constantIbLb1EES11_EEDaSW_SX_EUlSW_E_NS1_11comp_targetILNS1_3genE2ELNS1_11target_archE906ELNS1_3gpuE6ELNS1_3repE0EEENS1_30default_config_static_selectorELNS0_4arch9wavefront6targetE0EEEvT1_.num_named_barrier, 0
	.set _ZN7rocprim17ROCPRIM_400000_NS6detail17trampoline_kernelINS0_14default_configENS1_27scan_by_key_config_selectorIitEEZZNS1_16scan_by_key_implILNS1_25lookback_scan_determinismE0ELb0ES3_N6thrust23THRUST_200600_302600_NS6detail15normal_iteratorINS9_10device_ptrIiEEEENSB_INSC_ItEEEESG_tNS9_4plusIvEENS9_8equal_toIvEEtEE10hipError_tPvRmT2_T3_T4_T5_mT6_T7_P12ihipStream_tbENKUlT_T0_E_clISt17integral_constantIbLb1EES11_EEDaSW_SX_EUlSW_E_NS1_11comp_targetILNS1_3genE2ELNS1_11target_archE906ELNS1_3gpuE6ELNS1_3repE0EEENS1_30default_config_static_selectorELNS0_4arch9wavefront6targetE0EEEvT1_.private_seg_size, 0
	.set _ZN7rocprim17ROCPRIM_400000_NS6detail17trampoline_kernelINS0_14default_configENS1_27scan_by_key_config_selectorIitEEZZNS1_16scan_by_key_implILNS1_25lookback_scan_determinismE0ELb0ES3_N6thrust23THRUST_200600_302600_NS6detail15normal_iteratorINS9_10device_ptrIiEEEENSB_INSC_ItEEEESG_tNS9_4plusIvEENS9_8equal_toIvEEtEE10hipError_tPvRmT2_T3_T4_T5_mT6_T7_P12ihipStream_tbENKUlT_T0_E_clISt17integral_constantIbLb1EES11_EEDaSW_SX_EUlSW_E_NS1_11comp_targetILNS1_3genE2ELNS1_11target_archE906ELNS1_3gpuE6ELNS1_3repE0EEENS1_30default_config_static_selectorELNS0_4arch9wavefront6targetE0EEEvT1_.uses_vcc, 0
	.set _ZN7rocprim17ROCPRIM_400000_NS6detail17trampoline_kernelINS0_14default_configENS1_27scan_by_key_config_selectorIitEEZZNS1_16scan_by_key_implILNS1_25lookback_scan_determinismE0ELb0ES3_N6thrust23THRUST_200600_302600_NS6detail15normal_iteratorINS9_10device_ptrIiEEEENSB_INSC_ItEEEESG_tNS9_4plusIvEENS9_8equal_toIvEEtEE10hipError_tPvRmT2_T3_T4_T5_mT6_T7_P12ihipStream_tbENKUlT_T0_E_clISt17integral_constantIbLb1EES11_EEDaSW_SX_EUlSW_E_NS1_11comp_targetILNS1_3genE2ELNS1_11target_archE906ELNS1_3gpuE6ELNS1_3repE0EEENS1_30default_config_static_selectorELNS0_4arch9wavefront6targetE0EEEvT1_.uses_flat_scratch, 0
	.set _ZN7rocprim17ROCPRIM_400000_NS6detail17trampoline_kernelINS0_14default_configENS1_27scan_by_key_config_selectorIitEEZZNS1_16scan_by_key_implILNS1_25lookback_scan_determinismE0ELb0ES3_N6thrust23THRUST_200600_302600_NS6detail15normal_iteratorINS9_10device_ptrIiEEEENSB_INSC_ItEEEESG_tNS9_4plusIvEENS9_8equal_toIvEEtEE10hipError_tPvRmT2_T3_T4_T5_mT6_T7_P12ihipStream_tbENKUlT_T0_E_clISt17integral_constantIbLb1EES11_EEDaSW_SX_EUlSW_E_NS1_11comp_targetILNS1_3genE2ELNS1_11target_archE906ELNS1_3gpuE6ELNS1_3repE0EEENS1_30default_config_static_selectorELNS0_4arch9wavefront6targetE0EEEvT1_.has_dyn_sized_stack, 0
	.set _ZN7rocprim17ROCPRIM_400000_NS6detail17trampoline_kernelINS0_14default_configENS1_27scan_by_key_config_selectorIitEEZZNS1_16scan_by_key_implILNS1_25lookback_scan_determinismE0ELb0ES3_N6thrust23THRUST_200600_302600_NS6detail15normal_iteratorINS9_10device_ptrIiEEEENSB_INSC_ItEEEESG_tNS9_4plusIvEENS9_8equal_toIvEEtEE10hipError_tPvRmT2_T3_T4_T5_mT6_T7_P12ihipStream_tbENKUlT_T0_E_clISt17integral_constantIbLb1EES11_EEDaSW_SX_EUlSW_E_NS1_11comp_targetILNS1_3genE2ELNS1_11target_archE906ELNS1_3gpuE6ELNS1_3repE0EEENS1_30default_config_static_selectorELNS0_4arch9wavefront6targetE0EEEvT1_.has_recursion, 0
	.set _ZN7rocprim17ROCPRIM_400000_NS6detail17trampoline_kernelINS0_14default_configENS1_27scan_by_key_config_selectorIitEEZZNS1_16scan_by_key_implILNS1_25lookback_scan_determinismE0ELb0ES3_N6thrust23THRUST_200600_302600_NS6detail15normal_iteratorINS9_10device_ptrIiEEEENSB_INSC_ItEEEESG_tNS9_4plusIvEENS9_8equal_toIvEEtEE10hipError_tPvRmT2_T3_T4_T5_mT6_T7_P12ihipStream_tbENKUlT_T0_E_clISt17integral_constantIbLb1EES11_EEDaSW_SX_EUlSW_E_NS1_11comp_targetILNS1_3genE2ELNS1_11target_archE906ELNS1_3gpuE6ELNS1_3repE0EEENS1_30default_config_static_selectorELNS0_4arch9wavefront6targetE0EEEvT1_.has_indirect_call, 0
	.section	.AMDGPU.csdata,"",@progbits
; Kernel info:
; codeLenInByte = 0
; TotalNumSgprs: 0
; NumVgprs: 0
; ScratchSize: 0
; MemoryBound: 0
; FloatMode: 240
; IeeeMode: 1
; LDSByteSize: 0 bytes/workgroup (compile time only)
; SGPRBlocks: 0
; VGPRBlocks: 0
; NumSGPRsForWavesPerEU: 1
; NumVGPRsForWavesPerEU: 1
; NamedBarCnt: 0
; Occupancy: 16
; WaveLimiterHint : 0
; COMPUTE_PGM_RSRC2:SCRATCH_EN: 0
; COMPUTE_PGM_RSRC2:USER_SGPR: 2
; COMPUTE_PGM_RSRC2:TRAP_HANDLER: 0
; COMPUTE_PGM_RSRC2:TGID_X_EN: 1
; COMPUTE_PGM_RSRC2:TGID_Y_EN: 0
; COMPUTE_PGM_RSRC2:TGID_Z_EN: 0
; COMPUTE_PGM_RSRC2:TIDIG_COMP_CNT: 0
	.section	.text._ZN7rocprim17ROCPRIM_400000_NS6detail17trampoline_kernelINS0_14default_configENS1_27scan_by_key_config_selectorIitEEZZNS1_16scan_by_key_implILNS1_25lookback_scan_determinismE0ELb0ES3_N6thrust23THRUST_200600_302600_NS6detail15normal_iteratorINS9_10device_ptrIiEEEENSB_INSC_ItEEEESG_tNS9_4plusIvEENS9_8equal_toIvEEtEE10hipError_tPvRmT2_T3_T4_T5_mT6_T7_P12ihipStream_tbENKUlT_T0_E_clISt17integral_constantIbLb1EES11_EEDaSW_SX_EUlSW_E_NS1_11comp_targetILNS1_3genE10ELNS1_11target_archE1200ELNS1_3gpuE4ELNS1_3repE0EEENS1_30default_config_static_selectorELNS0_4arch9wavefront6targetE0EEEvT1_,"axG",@progbits,_ZN7rocprim17ROCPRIM_400000_NS6detail17trampoline_kernelINS0_14default_configENS1_27scan_by_key_config_selectorIitEEZZNS1_16scan_by_key_implILNS1_25lookback_scan_determinismE0ELb0ES3_N6thrust23THRUST_200600_302600_NS6detail15normal_iteratorINS9_10device_ptrIiEEEENSB_INSC_ItEEEESG_tNS9_4plusIvEENS9_8equal_toIvEEtEE10hipError_tPvRmT2_T3_T4_T5_mT6_T7_P12ihipStream_tbENKUlT_T0_E_clISt17integral_constantIbLb1EES11_EEDaSW_SX_EUlSW_E_NS1_11comp_targetILNS1_3genE10ELNS1_11target_archE1200ELNS1_3gpuE4ELNS1_3repE0EEENS1_30default_config_static_selectorELNS0_4arch9wavefront6targetE0EEEvT1_,comdat
	.protected	_ZN7rocprim17ROCPRIM_400000_NS6detail17trampoline_kernelINS0_14default_configENS1_27scan_by_key_config_selectorIitEEZZNS1_16scan_by_key_implILNS1_25lookback_scan_determinismE0ELb0ES3_N6thrust23THRUST_200600_302600_NS6detail15normal_iteratorINS9_10device_ptrIiEEEENSB_INSC_ItEEEESG_tNS9_4plusIvEENS9_8equal_toIvEEtEE10hipError_tPvRmT2_T3_T4_T5_mT6_T7_P12ihipStream_tbENKUlT_T0_E_clISt17integral_constantIbLb1EES11_EEDaSW_SX_EUlSW_E_NS1_11comp_targetILNS1_3genE10ELNS1_11target_archE1200ELNS1_3gpuE4ELNS1_3repE0EEENS1_30default_config_static_selectorELNS0_4arch9wavefront6targetE0EEEvT1_ ; -- Begin function _ZN7rocprim17ROCPRIM_400000_NS6detail17trampoline_kernelINS0_14default_configENS1_27scan_by_key_config_selectorIitEEZZNS1_16scan_by_key_implILNS1_25lookback_scan_determinismE0ELb0ES3_N6thrust23THRUST_200600_302600_NS6detail15normal_iteratorINS9_10device_ptrIiEEEENSB_INSC_ItEEEESG_tNS9_4plusIvEENS9_8equal_toIvEEtEE10hipError_tPvRmT2_T3_T4_T5_mT6_T7_P12ihipStream_tbENKUlT_T0_E_clISt17integral_constantIbLb1EES11_EEDaSW_SX_EUlSW_E_NS1_11comp_targetILNS1_3genE10ELNS1_11target_archE1200ELNS1_3gpuE4ELNS1_3repE0EEENS1_30default_config_static_selectorELNS0_4arch9wavefront6targetE0EEEvT1_
	.globl	_ZN7rocprim17ROCPRIM_400000_NS6detail17trampoline_kernelINS0_14default_configENS1_27scan_by_key_config_selectorIitEEZZNS1_16scan_by_key_implILNS1_25lookback_scan_determinismE0ELb0ES3_N6thrust23THRUST_200600_302600_NS6detail15normal_iteratorINS9_10device_ptrIiEEEENSB_INSC_ItEEEESG_tNS9_4plusIvEENS9_8equal_toIvEEtEE10hipError_tPvRmT2_T3_T4_T5_mT6_T7_P12ihipStream_tbENKUlT_T0_E_clISt17integral_constantIbLb1EES11_EEDaSW_SX_EUlSW_E_NS1_11comp_targetILNS1_3genE10ELNS1_11target_archE1200ELNS1_3gpuE4ELNS1_3repE0EEENS1_30default_config_static_selectorELNS0_4arch9wavefront6targetE0EEEvT1_
	.p2align	8
	.type	_ZN7rocprim17ROCPRIM_400000_NS6detail17trampoline_kernelINS0_14default_configENS1_27scan_by_key_config_selectorIitEEZZNS1_16scan_by_key_implILNS1_25lookback_scan_determinismE0ELb0ES3_N6thrust23THRUST_200600_302600_NS6detail15normal_iteratorINS9_10device_ptrIiEEEENSB_INSC_ItEEEESG_tNS9_4plusIvEENS9_8equal_toIvEEtEE10hipError_tPvRmT2_T3_T4_T5_mT6_T7_P12ihipStream_tbENKUlT_T0_E_clISt17integral_constantIbLb1EES11_EEDaSW_SX_EUlSW_E_NS1_11comp_targetILNS1_3genE10ELNS1_11target_archE1200ELNS1_3gpuE4ELNS1_3repE0EEENS1_30default_config_static_selectorELNS0_4arch9wavefront6targetE0EEEvT1_,@function
_ZN7rocprim17ROCPRIM_400000_NS6detail17trampoline_kernelINS0_14default_configENS1_27scan_by_key_config_selectorIitEEZZNS1_16scan_by_key_implILNS1_25lookback_scan_determinismE0ELb0ES3_N6thrust23THRUST_200600_302600_NS6detail15normal_iteratorINS9_10device_ptrIiEEEENSB_INSC_ItEEEESG_tNS9_4plusIvEENS9_8equal_toIvEEtEE10hipError_tPvRmT2_T3_T4_T5_mT6_T7_P12ihipStream_tbENKUlT_T0_E_clISt17integral_constantIbLb1EES11_EEDaSW_SX_EUlSW_E_NS1_11comp_targetILNS1_3genE10ELNS1_11target_archE1200ELNS1_3gpuE4ELNS1_3repE0EEENS1_30default_config_static_selectorELNS0_4arch9wavefront6targetE0EEEvT1_: ; @_ZN7rocprim17ROCPRIM_400000_NS6detail17trampoline_kernelINS0_14default_configENS1_27scan_by_key_config_selectorIitEEZZNS1_16scan_by_key_implILNS1_25lookback_scan_determinismE0ELb0ES3_N6thrust23THRUST_200600_302600_NS6detail15normal_iteratorINS9_10device_ptrIiEEEENSB_INSC_ItEEEESG_tNS9_4plusIvEENS9_8equal_toIvEEtEE10hipError_tPvRmT2_T3_T4_T5_mT6_T7_P12ihipStream_tbENKUlT_T0_E_clISt17integral_constantIbLb1EES11_EEDaSW_SX_EUlSW_E_NS1_11comp_targetILNS1_3genE10ELNS1_11target_archE1200ELNS1_3gpuE4ELNS1_3repE0EEENS1_30default_config_static_selectorELNS0_4arch9wavefront6targetE0EEEvT1_
; %bb.0:
	.section	.rodata,"a",@progbits
	.p2align	6, 0x0
	.amdhsa_kernel _ZN7rocprim17ROCPRIM_400000_NS6detail17trampoline_kernelINS0_14default_configENS1_27scan_by_key_config_selectorIitEEZZNS1_16scan_by_key_implILNS1_25lookback_scan_determinismE0ELb0ES3_N6thrust23THRUST_200600_302600_NS6detail15normal_iteratorINS9_10device_ptrIiEEEENSB_INSC_ItEEEESG_tNS9_4plusIvEENS9_8equal_toIvEEtEE10hipError_tPvRmT2_T3_T4_T5_mT6_T7_P12ihipStream_tbENKUlT_T0_E_clISt17integral_constantIbLb1EES11_EEDaSW_SX_EUlSW_E_NS1_11comp_targetILNS1_3genE10ELNS1_11target_archE1200ELNS1_3gpuE4ELNS1_3repE0EEENS1_30default_config_static_selectorELNS0_4arch9wavefront6targetE0EEEvT1_
		.amdhsa_group_segment_fixed_size 0
		.amdhsa_private_segment_fixed_size 0
		.amdhsa_kernarg_size 112
		.amdhsa_user_sgpr_count 2
		.amdhsa_user_sgpr_dispatch_ptr 0
		.amdhsa_user_sgpr_queue_ptr 0
		.amdhsa_user_sgpr_kernarg_segment_ptr 1
		.amdhsa_user_sgpr_dispatch_id 0
		.amdhsa_user_sgpr_kernarg_preload_length 0
		.amdhsa_user_sgpr_kernarg_preload_offset 0
		.amdhsa_user_sgpr_private_segment_size 0
		.amdhsa_wavefront_size32 1
		.amdhsa_uses_dynamic_stack 0
		.amdhsa_enable_private_segment 0
		.amdhsa_system_sgpr_workgroup_id_x 1
		.amdhsa_system_sgpr_workgroup_id_y 0
		.amdhsa_system_sgpr_workgroup_id_z 0
		.amdhsa_system_sgpr_workgroup_info 0
		.amdhsa_system_vgpr_workitem_id 0
		.amdhsa_next_free_vgpr 1
		.amdhsa_next_free_sgpr 1
		.amdhsa_named_barrier_count 0
		.amdhsa_reserve_vcc 0
		.amdhsa_float_round_mode_32 0
		.amdhsa_float_round_mode_16_64 0
		.amdhsa_float_denorm_mode_32 3
		.amdhsa_float_denorm_mode_16_64 3
		.amdhsa_fp16_overflow 0
		.amdhsa_memory_ordered 1
		.amdhsa_forward_progress 1
		.amdhsa_inst_pref_size 0
		.amdhsa_round_robin_scheduling 0
		.amdhsa_exception_fp_ieee_invalid_op 0
		.amdhsa_exception_fp_denorm_src 0
		.amdhsa_exception_fp_ieee_div_zero 0
		.amdhsa_exception_fp_ieee_overflow 0
		.amdhsa_exception_fp_ieee_underflow 0
		.amdhsa_exception_fp_ieee_inexact 0
		.amdhsa_exception_int_div_zero 0
	.end_amdhsa_kernel
	.section	.text._ZN7rocprim17ROCPRIM_400000_NS6detail17trampoline_kernelINS0_14default_configENS1_27scan_by_key_config_selectorIitEEZZNS1_16scan_by_key_implILNS1_25lookback_scan_determinismE0ELb0ES3_N6thrust23THRUST_200600_302600_NS6detail15normal_iteratorINS9_10device_ptrIiEEEENSB_INSC_ItEEEESG_tNS9_4plusIvEENS9_8equal_toIvEEtEE10hipError_tPvRmT2_T3_T4_T5_mT6_T7_P12ihipStream_tbENKUlT_T0_E_clISt17integral_constantIbLb1EES11_EEDaSW_SX_EUlSW_E_NS1_11comp_targetILNS1_3genE10ELNS1_11target_archE1200ELNS1_3gpuE4ELNS1_3repE0EEENS1_30default_config_static_selectorELNS0_4arch9wavefront6targetE0EEEvT1_,"axG",@progbits,_ZN7rocprim17ROCPRIM_400000_NS6detail17trampoline_kernelINS0_14default_configENS1_27scan_by_key_config_selectorIitEEZZNS1_16scan_by_key_implILNS1_25lookback_scan_determinismE0ELb0ES3_N6thrust23THRUST_200600_302600_NS6detail15normal_iteratorINS9_10device_ptrIiEEEENSB_INSC_ItEEEESG_tNS9_4plusIvEENS9_8equal_toIvEEtEE10hipError_tPvRmT2_T3_T4_T5_mT6_T7_P12ihipStream_tbENKUlT_T0_E_clISt17integral_constantIbLb1EES11_EEDaSW_SX_EUlSW_E_NS1_11comp_targetILNS1_3genE10ELNS1_11target_archE1200ELNS1_3gpuE4ELNS1_3repE0EEENS1_30default_config_static_selectorELNS0_4arch9wavefront6targetE0EEEvT1_,comdat
.Lfunc_end1284:
	.size	_ZN7rocprim17ROCPRIM_400000_NS6detail17trampoline_kernelINS0_14default_configENS1_27scan_by_key_config_selectorIitEEZZNS1_16scan_by_key_implILNS1_25lookback_scan_determinismE0ELb0ES3_N6thrust23THRUST_200600_302600_NS6detail15normal_iteratorINS9_10device_ptrIiEEEENSB_INSC_ItEEEESG_tNS9_4plusIvEENS9_8equal_toIvEEtEE10hipError_tPvRmT2_T3_T4_T5_mT6_T7_P12ihipStream_tbENKUlT_T0_E_clISt17integral_constantIbLb1EES11_EEDaSW_SX_EUlSW_E_NS1_11comp_targetILNS1_3genE10ELNS1_11target_archE1200ELNS1_3gpuE4ELNS1_3repE0EEENS1_30default_config_static_selectorELNS0_4arch9wavefront6targetE0EEEvT1_, .Lfunc_end1284-_ZN7rocprim17ROCPRIM_400000_NS6detail17trampoline_kernelINS0_14default_configENS1_27scan_by_key_config_selectorIitEEZZNS1_16scan_by_key_implILNS1_25lookback_scan_determinismE0ELb0ES3_N6thrust23THRUST_200600_302600_NS6detail15normal_iteratorINS9_10device_ptrIiEEEENSB_INSC_ItEEEESG_tNS9_4plusIvEENS9_8equal_toIvEEtEE10hipError_tPvRmT2_T3_T4_T5_mT6_T7_P12ihipStream_tbENKUlT_T0_E_clISt17integral_constantIbLb1EES11_EEDaSW_SX_EUlSW_E_NS1_11comp_targetILNS1_3genE10ELNS1_11target_archE1200ELNS1_3gpuE4ELNS1_3repE0EEENS1_30default_config_static_selectorELNS0_4arch9wavefront6targetE0EEEvT1_
                                        ; -- End function
	.set _ZN7rocprim17ROCPRIM_400000_NS6detail17trampoline_kernelINS0_14default_configENS1_27scan_by_key_config_selectorIitEEZZNS1_16scan_by_key_implILNS1_25lookback_scan_determinismE0ELb0ES3_N6thrust23THRUST_200600_302600_NS6detail15normal_iteratorINS9_10device_ptrIiEEEENSB_INSC_ItEEEESG_tNS9_4plusIvEENS9_8equal_toIvEEtEE10hipError_tPvRmT2_T3_T4_T5_mT6_T7_P12ihipStream_tbENKUlT_T0_E_clISt17integral_constantIbLb1EES11_EEDaSW_SX_EUlSW_E_NS1_11comp_targetILNS1_3genE10ELNS1_11target_archE1200ELNS1_3gpuE4ELNS1_3repE0EEENS1_30default_config_static_selectorELNS0_4arch9wavefront6targetE0EEEvT1_.num_vgpr, 0
	.set _ZN7rocprim17ROCPRIM_400000_NS6detail17trampoline_kernelINS0_14default_configENS1_27scan_by_key_config_selectorIitEEZZNS1_16scan_by_key_implILNS1_25lookback_scan_determinismE0ELb0ES3_N6thrust23THRUST_200600_302600_NS6detail15normal_iteratorINS9_10device_ptrIiEEEENSB_INSC_ItEEEESG_tNS9_4plusIvEENS9_8equal_toIvEEtEE10hipError_tPvRmT2_T3_T4_T5_mT6_T7_P12ihipStream_tbENKUlT_T0_E_clISt17integral_constantIbLb1EES11_EEDaSW_SX_EUlSW_E_NS1_11comp_targetILNS1_3genE10ELNS1_11target_archE1200ELNS1_3gpuE4ELNS1_3repE0EEENS1_30default_config_static_selectorELNS0_4arch9wavefront6targetE0EEEvT1_.num_agpr, 0
	.set _ZN7rocprim17ROCPRIM_400000_NS6detail17trampoline_kernelINS0_14default_configENS1_27scan_by_key_config_selectorIitEEZZNS1_16scan_by_key_implILNS1_25lookback_scan_determinismE0ELb0ES3_N6thrust23THRUST_200600_302600_NS6detail15normal_iteratorINS9_10device_ptrIiEEEENSB_INSC_ItEEEESG_tNS9_4plusIvEENS9_8equal_toIvEEtEE10hipError_tPvRmT2_T3_T4_T5_mT6_T7_P12ihipStream_tbENKUlT_T0_E_clISt17integral_constantIbLb1EES11_EEDaSW_SX_EUlSW_E_NS1_11comp_targetILNS1_3genE10ELNS1_11target_archE1200ELNS1_3gpuE4ELNS1_3repE0EEENS1_30default_config_static_selectorELNS0_4arch9wavefront6targetE0EEEvT1_.numbered_sgpr, 0
	.set _ZN7rocprim17ROCPRIM_400000_NS6detail17trampoline_kernelINS0_14default_configENS1_27scan_by_key_config_selectorIitEEZZNS1_16scan_by_key_implILNS1_25lookback_scan_determinismE0ELb0ES3_N6thrust23THRUST_200600_302600_NS6detail15normal_iteratorINS9_10device_ptrIiEEEENSB_INSC_ItEEEESG_tNS9_4plusIvEENS9_8equal_toIvEEtEE10hipError_tPvRmT2_T3_T4_T5_mT6_T7_P12ihipStream_tbENKUlT_T0_E_clISt17integral_constantIbLb1EES11_EEDaSW_SX_EUlSW_E_NS1_11comp_targetILNS1_3genE10ELNS1_11target_archE1200ELNS1_3gpuE4ELNS1_3repE0EEENS1_30default_config_static_selectorELNS0_4arch9wavefront6targetE0EEEvT1_.num_named_barrier, 0
	.set _ZN7rocprim17ROCPRIM_400000_NS6detail17trampoline_kernelINS0_14default_configENS1_27scan_by_key_config_selectorIitEEZZNS1_16scan_by_key_implILNS1_25lookback_scan_determinismE0ELb0ES3_N6thrust23THRUST_200600_302600_NS6detail15normal_iteratorINS9_10device_ptrIiEEEENSB_INSC_ItEEEESG_tNS9_4plusIvEENS9_8equal_toIvEEtEE10hipError_tPvRmT2_T3_T4_T5_mT6_T7_P12ihipStream_tbENKUlT_T0_E_clISt17integral_constantIbLb1EES11_EEDaSW_SX_EUlSW_E_NS1_11comp_targetILNS1_3genE10ELNS1_11target_archE1200ELNS1_3gpuE4ELNS1_3repE0EEENS1_30default_config_static_selectorELNS0_4arch9wavefront6targetE0EEEvT1_.private_seg_size, 0
	.set _ZN7rocprim17ROCPRIM_400000_NS6detail17trampoline_kernelINS0_14default_configENS1_27scan_by_key_config_selectorIitEEZZNS1_16scan_by_key_implILNS1_25lookback_scan_determinismE0ELb0ES3_N6thrust23THRUST_200600_302600_NS6detail15normal_iteratorINS9_10device_ptrIiEEEENSB_INSC_ItEEEESG_tNS9_4plusIvEENS9_8equal_toIvEEtEE10hipError_tPvRmT2_T3_T4_T5_mT6_T7_P12ihipStream_tbENKUlT_T0_E_clISt17integral_constantIbLb1EES11_EEDaSW_SX_EUlSW_E_NS1_11comp_targetILNS1_3genE10ELNS1_11target_archE1200ELNS1_3gpuE4ELNS1_3repE0EEENS1_30default_config_static_selectorELNS0_4arch9wavefront6targetE0EEEvT1_.uses_vcc, 0
	.set _ZN7rocprim17ROCPRIM_400000_NS6detail17trampoline_kernelINS0_14default_configENS1_27scan_by_key_config_selectorIitEEZZNS1_16scan_by_key_implILNS1_25lookback_scan_determinismE0ELb0ES3_N6thrust23THRUST_200600_302600_NS6detail15normal_iteratorINS9_10device_ptrIiEEEENSB_INSC_ItEEEESG_tNS9_4plusIvEENS9_8equal_toIvEEtEE10hipError_tPvRmT2_T3_T4_T5_mT6_T7_P12ihipStream_tbENKUlT_T0_E_clISt17integral_constantIbLb1EES11_EEDaSW_SX_EUlSW_E_NS1_11comp_targetILNS1_3genE10ELNS1_11target_archE1200ELNS1_3gpuE4ELNS1_3repE0EEENS1_30default_config_static_selectorELNS0_4arch9wavefront6targetE0EEEvT1_.uses_flat_scratch, 0
	.set _ZN7rocprim17ROCPRIM_400000_NS6detail17trampoline_kernelINS0_14default_configENS1_27scan_by_key_config_selectorIitEEZZNS1_16scan_by_key_implILNS1_25lookback_scan_determinismE0ELb0ES3_N6thrust23THRUST_200600_302600_NS6detail15normal_iteratorINS9_10device_ptrIiEEEENSB_INSC_ItEEEESG_tNS9_4plusIvEENS9_8equal_toIvEEtEE10hipError_tPvRmT2_T3_T4_T5_mT6_T7_P12ihipStream_tbENKUlT_T0_E_clISt17integral_constantIbLb1EES11_EEDaSW_SX_EUlSW_E_NS1_11comp_targetILNS1_3genE10ELNS1_11target_archE1200ELNS1_3gpuE4ELNS1_3repE0EEENS1_30default_config_static_selectorELNS0_4arch9wavefront6targetE0EEEvT1_.has_dyn_sized_stack, 0
	.set _ZN7rocprim17ROCPRIM_400000_NS6detail17trampoline_kernelINS0_14default_configENS1_27scan_by_key_config_selectorIitEEZZNS1_16scan_by_key_implILNS1_25lookback_scan_determinismE0ELb0ES3_N6thrust23THRUST_200600_302600_NS6detail15normal_iteratorINS9_10device_ptrIiEEEENSB_INSC_ItEEEESG_tNS9_4plusIvEENS9_8equal_toIvEEtEE10hipError_tPvRmT2_T3_T4_T5_mT6_T7_P12ihipStream_tbENKUlT_T0_E_clISt17integral_constantIbLb1EES11_EEDaSW_SX_EUlSW_E_NS1_11comp_targetILNS1_3genE10ELNS1_11target_archE1200ELNS1_3gpuE4ELNS1_3repE0EEENS1_30default_config_static_selectorELNS0_4arch9wavefront6targetE0EEEvT1_.has_recursion, 0
	.set _ZN7rocprim17ROCPRIM_400000_NS6detail17trampoline_kernelINS0_14default_configENS1_27scan_by_key_config_selectorIitEEZZNS1_16scan_by_key_implILNS1_25lookback_scan_determinismE0ELb0ES3_N6thrust23THRUST_200600_302600_NS6detail15normal_iteratorINS9_10device_ptrIiEEEENSB_INSC_ItEEEESG_tNS9_4plusIvEENS9_8equal_toIvEEtEE10hipError_tPvRmT2_T3_T4_T5_mT6_T7_P12ihipStream_tbENKUlT_T0_E_clISt17integral_constantIbLb1EES11_EEDaSW_SX_EUlSW_E_NS1_11comp_targetILNS1_3genE10ELNS1_11target_archE1200ELNS1_3gpuE4ELNS1_3repE0EEENS1_30default_config_static_selectorELNS0_4arch9wavefront6targetE0EEEvT1_.has_indirect_call, 0
	.section	.AMDGPU.csdata,"",@progbits
; Kernel info:
; codeLenInByte = 0
; TotalNumSgprs: 0
; NumVgprs: 0
; ScratchSize: 0
; MemoryBound: 0
; FloatMode: 240
; IeeeMode: 1
; LDSByteSize: 0 bytes/workgroup (compile time only)
; SGPRBlocks: 0
; VGPRBlocks: 0
; NumSGPRsForWavesPerEU: 1
; NumVGPRsForWavesPerEU: 1
; NamedBarCnt: 0
; Occupancy: 16
; WaveLimiterHint : 0
; COMPUTE_PGM_RSRC2:SCRATCH_EN: 0
; COMPUTE_PGM_RSRC2:USER_SGPR: 2
; COMPUTE_PGM_RSRC2:TRAP_HANDLER: 0
; COMPUTE_PGM_RSRC2:TGID_X_EN: 1
; COMPUTE_PGM_RSRC2:TGID_Y_EN: 0
; COMPUTE_PGM_RSRC2:TGID_Z_EN: 0
; COMPUTE_PGM_RSRC2:TIDIG_COMP_CNT: 0
	.section	.text._ZN7rocprim17ROCPRIM_400000_NS6detail17trampoline_kernelINS0_14default_configENS1_27scan_by_key_config_selectorIitEEZZNS1_16scan_by_key_implILNS1_25lookback_scan_determinismE0ELb0ES3_N6thrust23THRUST_200600_302600_NS6detail15normal_iteratorINS9_10device_ptrIiEEEENSB_INSC_ItEEEESG_tNS9_4plusIvEENS9_8equal_toIvEEtEE10hipError_tPvRmT2_T3_T4_T5_mT6_T7_P12ihipStream_tbENKUlT_T0_E_clISt17integral_constantIbLb1EES11_EEDaSW_SX_EUlSW_E_NS1_11comp_targetILNS1_3genE9ELNS1_11target_archE1100ELNS1_3gpuE3ELNS1_3repE0EEENS1_30default_config_static_selectorELNS0_4arch9wavefront6targetE0EEEvT1_,"axG",@progbits,_ZN7rocprim17ROCPRIM_400000_NS6detail17trampoline_kernelINS0_14default_configENS1_27scan_by_key_config_selectorIitEEZZNS1_16scan_by_key_implILNS1_25lookback_scan_determinismE0ELb0ES3_N6thrust23THRUST_200600_302600_NS6detail15normal_iteratorINS9_10device_ptrIiEEEENSB_INSC_ItEEEESG_tNS9_4plusIvEENS9_8equal_toIvEEtEE10hipError_tPvRmT2_T3_T4_T5_mT6_T7_P12ihipStream_tbENKUlT_T0_E_clISt17integral_constantIbLb1EES11_EEDaSW_SX_EUlSW_E_NS1_11comp_targetILNS1_3genE9ELNS1_11target_archE1100ELNS1_3gpuE3ELNS1_3repE0EEENS1_30default_config_static_selectorELNS0_4arch9wavefront6targetE0EEEvT1_,comdat
	.protected	_ZN7rocprim17ROCPRIM_400000_NS6detail17trampoline_kernelINS0_14default_configENS1_27scan_by_key_config_selectorIitEEZZNS1_16scan_by_key_implILNS1_25lookback_scan_determinismE0ELb0ES3_N6thrust23THRUST_200600_302600_NS6detail15normal_iteratorINS9_10device_ptrIiEEEENSB_INSC_ItEEEESG_tNS9_4plusIvEENS9_8equal_toIvEEtEE10hipError_tPvRmT2_T3_T4_T5_mT6_T7_P12ihipStream_tbENKUlT_T0_E_clISt17integral_constantIbLb1EES11_EEDaSW_SX_EUlSW_E_NS1_11comp_targetILNS1_3genE9ELNS1_11target_archE1100ELNS1_3gpuE3ELNS1_3repE0EEENS1_30default_config_static_selectorELNS0_4arch9wavefront6targetE0EEEvT1_ ; -- Begin function _ZN7rocprim17ROCPRIM_400000_NS6detail17trampoline_kernelINS0_14default_configENS1_27scan_by_key_config_selectorIitEEZZNS1_16scan_by_key_implILNS1_25lookback_scan_determinismE0ELb0ES3_N6thrust23THRUST_200600_302600_NS6detail15normal_iteratorINS9_10device_ptrIiEEEENSB_INSC_ItEEEESG_tNS9_4plusIvEENS9_8equal_toIvEEtEE10hipError_tPvRmT2_T3_T4_T5_mT6_T7_P12ihipStream_tbENKUlT_T0_E_clISt17integral_constantIbLb1EES11_EEDaSW_SX_EUlSW_E_NS1_11comp_targetILNS1_3genE9ELNS1_11target_archE1100ELNS1_3gpuE3ELNS1_3repE0EEENS1_30default_config_static_selectorELNS0_4arch9wavefront6targetE0EEEvT1_
	.globl	_ZN7rocprim17ROCPRIM_400000_NS6detail17trampoline_kernelINS0_14default_configENS1_27scan_by_key_config_selectorIitEEZZNS1_16scan_by_key_implILNS1_25lookback_scan_determinismE0ELb0ES3_N6thrust23THRUST_200600_302600_NS6detail15normal_iteratorINS9_10device_ptrIiEEEENSB_INSC_ItEEEESG_tNS9_4plusIvEENS9_8equal_toIvEEtEE10hipError_tPvRmT2_T3_T4_T5_mT6_T7_P12ihipStream_tbENKUlT_T0_E_clISt17integral_constantIbLb1EES11_EEDaSW_SX_EUlSW_E_NS1_11comp_targetILNS1_3genE9ELNS1_11target_archE1100ELNS1_3gpuE3ELNS1_3repE0EEENS1_30default_config_static_selectorELNS0_4arch9wavefront6targetE0EEEvT1_
	.p2align	8
	.type	_ZN7rocprim17ROCPRIM_400000_NS6detail17trampoline_kernelINS0_14default_configENS1_27scan_by_key_config_selectorIitEEZZNS1_16scan_by_key_implILNS1_25lookback_scan_determinismE0ELb0ES3_N6thrust23THRUST_200600_302600_NS6detail15normal_iteratorINS9_10device_ptrIiEEEENSB_INSC_ItEEEESG_tNS9_4plusIvEENS9_8equal_toIvEEtEE10hipError_tPvRmT2_T3_T4_T5_mT6_T7_P12ihipStream_tbENKUlT_T0_E_clISt17integral_constantIbLb1EES11_EEDaSW_SX_EUlSW_E_NS1_11comp_targetILNS1_3genE9ELNS1_11target_archE1100ELNS1_3gpuE3ELNS1_3repE0EEENS1_30default_config_static_selectorELNS0_4arch9wavefront6targetE0EEEvT1_,@function
_ZN7rocprim17ROCPRIM_400000_NS6detail17trampoline_kernelINS0_14default_configENS1_27scan_by_key_config_selectorIitEEZZNS1_16scan_by_key_implILNS1_25lookback_scan_determinismE0ELb0ES3_N6thrust23THRUST_200600_302600_NS6detail15normal_iteratorINS9_10device_ptrIiEEEENSB_INSC_ItEEEESG_tNS9_4plusIvEENS9_8equal_toIvEEtEE10hipError_tPvRmT2_T3_T4_T5_mT6_T7_P12ihipStream_tbENKUlT_T0_E_clISt17integral_constantIbLb1EES11_EEDaSW_SX_EUlSW_E_NS1_11comp_targetILNS1_3genE9ELNS1_11target_archE1100ELNS1_3gpuE3ELNS1_3repE0EEENS1_30default_config_static_selectorELNS0_4arch9wavefront6targetE0EEEvT1_: ; @_ZN7rocprim17ROCPRIM_400000_NS6detail17trampoline_kernelINS0_14default_configENS1_27scan_by_key_config_selectorIitEEZZNS1_16scan_by_key_implILNS1_25lookback_scan_determinismE0ELb0ES3_N6thrust23THRUST_200600_302600_NS6detail15normal_iteratorINS9_10device_ptrIiEEEENSB_INSC_ItEEEESG_tNS9_4plusIvEENS9_8equal_toIvEEtEE10hipError_tPvRmT2_T3_T4_T5_mT6_T7_P12ihipStream_tbENKUlT_T0_E_clISt17integral_constantIbLb1EES11_EEDaSW_SX_EUlSW_E_NS1_11comp_targetILNS1_3genE9ELNS1_11target_archE1100ELNS1_3gpuE3ELNS1_3repE0EEENS1_30default_config_static_selectorELNS0_4arch9wavefront6targetE0EEEvT1_
; %bb.0:
	.section	.rodata,"a",@progbits
	.p2align	6, 0x0
	.amdhsa_kernel _ZN7rocprim17ROCPRIM_400000_NS6detail17trampoline_kernelINS0_14default_configENS1_27scan_by_key_config_selectorIitEEZZNS1_16scan_by_key_implILNS1_25lookback_scan_determinismE0ELb0ES3_N6thrust23THRUST_200600_302600_NS6detail15normal_iteratorINS9_10device_ptrIiEEEENSB_INSC_ItEEEESG_tNS9_4plusIvEENS9_8equal_toIvEEtEE10hipError_tPvRmT2_T3_T4_T5_mT6_T7_P12ihipStream_tbENKUlT_T0_E_clISt17integral_constantIbLb1EES11_EEDaSW_SX_EUlSW_E_NS1_11comp_targetILNS1_3genE9ELNS1_11target_archE1100ELNS1_3gpuE3ELNS1_3repE0EEENS1_30default_config_static_selectorELNS0_4arch9wavefront6targetE0EEEvT1_
		.amdhsa_group_segment_fixed_size 0
		.amdhsa_private_segment_fixed_size 0
		.amdhsa_kernarg_size 112
		.amdhsa_user_sgpr_count 2
		.amdhsa_user_sgpr_dispatch_ptr 0
		.amdhsa_user_sgpr_queue_ptr 0
		.amdhsa_user_sgpr_kernarg_segment_ptr 1
		.amdhsa_user_sgpr_dispatch_id 0
		.amdhsa_user_sgpr_kernarg_preload_length 0
		.amdhsa_user_sgpr_kernarg_preload_offset 0
		.amdhsa_user_sgpr_private_segment_size 0
		.amdhsa_wavefront_size32 1
		.amdhsa_uses_dynamic_stack 0
		.amdhsa_enable_private_segment 0
		.amdhsa_system_sgpr_workgroup_id_x 1
		.amdhsa_system_sgpr_workgroup_id_y 0
		.amdhsa_system_sgpr_workgroup_id_z 0
		.amdhsa_system_sgpr_workgroup_info 0
		.amdhsa_system_vgpr_workitem_id 0
		.amdhsa_next_free_vgpr 1
		.amdhsa_next_free_sgpr 1
		.amdhsa_named_barrier_count 0
		.amdhsa_reserve_vcc 0
		.amdhsa_float_round_mode_32 0
		.amdhsa_float_round_mode_16_64 0
		.amdhsa_float_denorm_mode_32 3
		.amdhsa_float_denorm_mode_16_64 3
		.amdhsa_fp16_overflow 0
		.amdhsa_memory_ordered 1
		.amdhsa_forward_progress 1
		.amdhsa_inst_pref_size 0
		.amdhsa_round_robin_scheduling 0
		.amdhsa_exception_fp_ieee_invalid_op 0
		.amdhsa_exception_fp_denorm_src 0
		.amdhsa_exception_fp_ieee_div_zero 0
		.amdhsa_exception_fp_ieee_overflow 0
		.amdhsa_exception_fp_ieee_underflow 0
		.amdhsa_exception_fp_ieee_inexact 0
		.amdhsa_exception_int_div_zero 0
	.end_amdhsa_kernel
	.section	.text._ZN7rocprim17ROCPRIM_400000_NS6detail17trampoline_kernelINS0_14default_configENS1_27scan_by_key_config_selectorIitEEZZNS1_16scan_by_key_implILNS1_25lookback_scan_determinismE0ELb0ES3_N6thrust23THRUST_200600_302600_NS6detail15normal_iteratorINS9_10device_ptrIiEEEENSB_INSC_ItEEEESG_tNS9_4plusIvEENS9_8equal_toIvEEtEE10hipError_tPvRmT2_T3_T4_T5_mT6_T7_P12ihipStream_tbENKUlT_T0_E_clISt17integral_constantIbLb1EES11_EEDaSW_SX_EUlSW_E_NS1_11comp_targetILNS1_3genE9ELNS1_11target_archE1100ELNS1_3gpuE3ELNS1_3repE0EEENS1_30default_config_static_selectorELNS0_4arch9wavefront6targetE0EEEvT1_,"axG",@progbits,_ZN7rocprim17ROCPRIM_400000_NS6detail17trampoline_kernelINS0_14default_configENS1_27scan_by_key_config_selectorIitEEZZNS1_16scan_by_key_implILNS1_25lookback_scan_determinismE0ELb0ES3_N6thrust23THRUST_200600_302600_NS6detail15normal_iteratorINS9_10device_ptrIiEEEENSB_INSC_ItEEEESG_tNS9_4plusIvEENS9_8equal_toIvEEtEE10hipError_tPvRmT2_T3_T4_T5_mT6_T7_P12ihipStream_tbENKUlT_T0_E_clISt17integral_constantIbLb1EES11_EEDaSW_SX_EUlSW_E_NS1_11comp_targetILNS1_3genE9ELNS1_11target_archE1100ELNS1_3gpuE3ELNS1_3repE0EEENS1_30default_config_static_selectorELNS0_4arch9wavefront6targetE0EEEvT1_,comdat
.Lfunc_end1285:
	.size	_ZN7rocprim17ROCPRIM_400000_NS6detail17trampoline_kernelINS0_14default_configENS1_27scan_by_key_config_selectorIitEEZZNS1_16scan_by_key_implILNS1_25lookback_scan_determinismE0ELb0ES3_N6thrust23THRUST_200600_302600_NS6detail15normal_iteratorINS9_10device_ptrIiEEEENSB_INSC_ItEEEESG_tNS9_4plusIvEENS9_8equal_toIvEEtEE10hipError_tPvRmT2_T3_T4_T5_mT6_T7_P12ihipStream_tbENKUlT_T0_E_clISt17integral_constantIbLb1EES11_EEDaSW_SX_EUlSW_E_NS1_11comp_targetILNS1_3genE9ELNS1_11target_archE1100ELNS1_3gpuE3ELNS1_3repE0EEENS1_30default_config_static_selectorELNS0_4arch9wavefront6targetE0EEEvT1_, .Lfunc_end1285-_ZN7rocprim17ROCPRIM_400000_NS6detail17trampoline_kernelINS0_14default_configENS1_27scan_by_key_config_selectorIitEEZZNS1_16scan_by_key_implILNS1_25lookback_scan_determinismE0ELb0ES3_N6thrust23THRUST_200600_302600_NS6detail15normal_iteratorINS9_10device_ptrIiEEEENSB_INSC_ItEEEESG_tNS9_4plusIvEENS9_8equal_toIvEEtEE10hipError_tPvRmT2_T3_T4_T5_mT6_T7_P12ihipStream_tbENKUlT_T0_E_clISt17integral_constantIbLb1EES11_EEDaSW_SX_EUlSW_E_NS1_11comp_targetILNS1_3genE9ELNS1_11target_archE1100ELNS1_3gpuE3ELNS1_3repE0EEENS1_30default_config_static_selectorELNS0_4arch9wavefront6targetE0EEEvT1_
                                        ; -- End function
	.set _ZN7rocprim17ROCPRIM_400000_NS6detail17trampoline_kernelINS0_14default_configENS1_27scan_by_key_config_selectorIitEEZZNS1_16scan_by_key_implILNS1_25lookback_scan_determinismE0ELb0ES3_N6thrust23THRUST_200600_302600_NS6detail15normal_iteratorINS9_10device_ptrIiEEEENSB_INSC_ItEEEESG_tNS9_4plusIvEENS9_8equal_toIvEEtEE10hipError_tPvRmT2_T3_T4_T5_mT6_T7_P12ihipStream_tbENKUlT_T0_E_clISt17integral_constantIbLb1EES11_EEDaSW_SX_EUlSW_E_NS1_11comp_targetILNS1_3genE9ELNS1_11target_archE1100ELNS1_3gpuE3ELNS1_3repE0EEENS1_30default_config_static_selectorELNS0_4arch9wavefront6targetE0EEEvT1_.num_vgpr, 0
	.set _ZN7rocprim17ROCPRIM_400000_NS6detail17trampoline_kernelINS0_14default_configENS1_27scan_by_key_config_selectorIitEEZZNS1_16scan_by_key_implILNS1_25lookback_scan_determinismE0ELb0ES3_N6thrust23THRUST_200600_302600_NS6detail15normal_iteratorINS9_10device_ptrIiEEEENSB_INSC_ItEEEESG_tNS9_4plusIvEENS9_8equal_toIvEEtEE10hipError_tPvRmT2_T3_T4_T5_mT6_T7_P12ihipStream_tbENKUlT_T0_E_clISt17integral_constantIbLb1EES11_EEDaSW_SX_EUlSW_E_NS1_11comp_targetILNS1_3genE9ELNS1_11target_archE1100ELNS1_3gpuE3ELNS1_3repE0EEENS1_30default_config_static_selectorELNS0_4arch9wavefront6targetE0EEEvT1_.num_agpr, 0
	.set _ZN7rocprim17ROCPRIM_400000_NS6detail17trampoline_kernelINS0_14default_configENS1_27scan_by_key_config_selectorIitEEZZNS1_16scan_by_key_implILNS1_25lookback_scan_determinismE0ELb0ES3_N6thrust23THRUST_200600_302600_NS6detail15normal_iteratorINS9_10device_ptrIiEEEENSB_INSC_ItEEEESG_tNS9_4plusIvEENS9_8equal_toIvEEtEE10hipError_tPvRmT2_T3_T4_T5_mT6_T7_P12ihipStream_tbENKUlT_T0_E_clISt17integral_constantIbLb1EES11_EEDaSW_SX_EUlSW_E_NS1_11comp_targetILNS1_3genE9ELNS1_11target_archE1100ELNS1_3gpuE3ELNS1_3repE0EEENS1_30default_config_static_selectorELNS0_4arch9wavefront6targetE0EEEvT1_.numbered_sgpr, 0
	.set _ZN7rocprim17ROCPRIM_400000_NS6detail17trampoline_kernelINS0_14default_configENS1_27scan_by_key_config_selectorIitEEZZNS1_16scan_by_key_implILNS1_25lookback_scan_determinismE0ELb0ES3_N6thrust23THRUST_200600_302600_NS6detail15normal_iteratorINS9_10device_ptrIiEEEENSB_INSC_ItEEEESG_tNS9_4plusIvEENS9_8equal_toIvEEtEE10hipError_tPvRmT2_T3_T4_T5_mT6_T7_P12ihipStream_tbENKUlT_T0_E_clISt17integral_constantIbLb1EES11_EEDaSW_SX_EUlSW_E_NS1_11comp_targetILNS1_3genE9ELNS1_11target_archE1100ELNS1_3gpuE3ELNS1_3repE0EEENS1_30default_config_static_selectorELNS0_4arch9wavefront6targetE0EEEvT1_.num_named_barrier, 0
	.set _ZN7rocprim17ROCPRIM_400000_NS6detail17trampoline_kernelINS0_14default_configENS1_27scan_by_key_config_selectorIitEEZZNS1_16scan_by_key_implILNS1_25lookback_scan_determinismE0ELb0ES3_N6thrust23THRUST_200600_302600_NS6detail15normal_iteratorINS9_10device_ptrIiEEEENSB_INSC_ItEEEESG_tNS9_4plusIvEENS9_8equal_toIvEEtEE10hipError_tPvRmT2_T3_T4_T5_mT6_T7_P12ihipStream_tbENKUlT_T0_E_clISt17integral_constantIbLb1EES11_EEDaSW_SX_EUlSW_E_NS1_11comp_targetILNS1_3genE9ELNS1_11target_archE1100ELNS1_3gpuE3ELNS1_3repE0EEENS1_30default_config_static_selectorELNS0_4arch9wavefront6targetE0EEEvT1_.private_seg_size, 0
	.set _ZN7rocprim17ROCPRIM_400000_NS6detail17trampoline_kernelINS0_14default_configENS1_27scan_by_key_config_selectorIitEEZZNS1_16scan_by_key_implILNS1_25lookback_scan_determinismE0ELb0ES3_N6thrust23THRUST_200600_302600_NS6detail15normal_iteratorINS9_10device_ptrIiEEEENSB_INSC_ItEEEESG_tNS9_4plusIvEENS9_8equal_toIvEEtEE10hipError_tPvRmT2_T3_T4_T5_mT6_T7_P12ihipStream_tbENKUlT_T0_E_clISt17integral_constantIbLb1EES11_EEDaSW_SX_EUlSW_E_NS1_11comp_targetILNS1_3genE9ELNS1_11target_archE1100ELNS1_3gpuE3ELNS1_3repE0EEENS1_30default_config_static_selectorELNS0_4arch9wavefront6targetE0EEEvT1_.uses_vcc, 0
	.set _ZN7rocprim17ROCPRIM_400000_NS6detail17trampoline_kernelINS0_14default_configENS1_27scan_by_key_config_selectorIitEEZZNS1_16scan_by_key_implILNS1_25lookback_scan_determinismE0ELb0ES3_N6thrust23THRUST_200600_302600_NS6detail15normal_iteratorINS9_10device_ptrIiEEEENSB_INSC_ItEEEESG_tNS9_4plusIvEENS9_8equal_toIvEEtEE10hipError_tPvRmT2_T3_T4_T5_mT6_T7_P12ihipStream_tbENKUlT_T0_E_clISt17integral_constantIbLb1EES11_EEDaSW_SX_EUlSW_E_NS1_11comp_targetILNS1_3genE9ELNS1_11target_archE1100ELNS1_3gpuE3ELNS1_3repE0EEENS1_30default_config_static_selectorELNS0_4arch9wavefront6targetE0EEEvT1_.uses_flat_scratch, 0
	.set _ZN7rocprim17ROCPRIM_400000_NS6detail17trampoline_kernelINS0_14default_configENS1_27scan_by_key_config_selectorIitEEZZNS1_16scan_by_key_implILNS1_25lookback_scan_determinismE0ELb0ES3_N6thrust23THRUST_200600_302600_NS6detail15normal_iteratorINS9_10device_ptrIiEEEENSB_INSC_ItEEEESG_tNS9_4plusIvEENS9_8equal_toIvEEtEE10hipError_tPvRmT2_T3_T4_T5_mT6_T7_P12ihipStream_tbENKUlT_T0_E_clISt17integral_constantIbLb1EES11_EEDaSW_SX_EUlSW_E_NS1_11comp_targetILNS1_3genE9ELNS1_11target_archE1100ELNS1_3gpuE3ELNS1_3repE0EEENS1_30default_config_static_selectorELNS0_4arch9wavefront6targetE0EEEvT1_.has_dyn_sized_stack, 0
	.set _ZN7rocprim17ROCPRIM_400000_NS6detail17trampoline_kernelINS0_14default_configENS1_27scan_by_key_config_selectorIitEEZZNS1_16scan_by_key_implILNS1_25lookback_scan_determinismE0ELb0ES3_N6thrust23THRUST_200600_302600_NS6detail15normal_iteratorINS9_10device_ptrIiEEEENSB_INSC_ItEEEESG_tNS9_4plusIvEENS9_8equal_toIvEEtEE10hipError_tPvRmT2_T3_T4_T5_mT6_T7_P12ihipStream_tbENKUlT_T0_E_clISt17integral_constantIbLb1EES11_EEDaSW_SX_EUlSW_E_NS1_11comp_targetILNS1_3genE9ELNS1_11target_archE1100ELNS1_3gpuE3ELNS1_3repE0EEENS1_30default_config_static_selectorELNS0_4arch9wavefront6targetE0EEEvT1_.has_recursion, 0
	.set _ZN7rocprim17ROCPRIM_400000_NS6detail17trampoline_kernelINS0_14default_configENS1_27scan_by_key_config_selectorIitEEZZNS1_16scan_by_key_implILNS1_25lookback_scan_determinismE0ELb0ES3_N6thrust23THRUST_200600_302600_NS6detail15normal_iteratorINS9_10device_ptrIiEEEENSB_INSC_ItEEEESG_tNS9_4plusIvEENS9_8equal_toIvEEtEE10hipError_tPvRmT2_T3_T4_T5_mT6_T7_P12ihipStream_tbENKUlT_T0_E_clISt17integral_constantIbLb1EES11_EEDaSW_SX_EUlSW_E_NS1_11comp_targetILNS1_3genE9ELNS1_11target_archE1100ELNS1_3gpuE3ELNS1_3repE0EEENS1_30default_config_static_selectorELNS0_4arch9wavefront6targetE0EEEvT1_.has_indirect_call, 0
	.section	.AMDGPU.csdata,"",@progbits
; Kernel info:
; codeLenInByte = 0
; TotalNumSgprs: 0
; NumVgprs: 0
; ScratchSize: 0
; MemoryBound: 0
; FloatMode: 240
; IeeeMode: 1
; LDSByteSize: 0 bytes/workgroup (compile time only)
; SGPRBlocks: 0
; VGPRBlocks: 0
; NumSGPRsForWavesPerEU: 1
; NumVGPRsForWavesPerEU: 1
; NamedBarCnt: 0
; Occupancy: 16
; WaveLimiterHint : 0
; COMPUTE_PGM_RSRC2:SCRATCH_EN: 0
; COMPUTE_PGM_RSRC2:USER_SGPR: 2
; COMPUTE_PGM_RSRC2:TRAP_HANDLER: 0
; COMPUTE_PGM_RSRC2:TGID_X_EN: 1
; COMPUTE_PGM_RSRC2:TGID_Y_EN: 0
; COMPUTE_PGM_RSRC2:TGID_Z_EN: 0
; COMPUTE_PGM_RSRC2:TIDIG_COMP_CNT: 0
	.section	.text._ZN7rocprim17ROCPRIM_400000_NS6detail17trampoline_kernelINS0_14default_configENS1_27scan_by_key_config_selectorIitEEZZNS1_16scan_by_key_implILNS1_25lookback_scan_determinismE0ELb0ES3_N6thrust23THRUST_200600_302600_NS6detail15normal_iteratorINS9_10device_ptrIiEEEENSB_INSC_ItEEEESG_tNS9_4plusIvEENS9_8equal_toIvEEtEE10hipError_tPvRmT2_T3_T4_T5_mT6_T7_P12ihipStream_tbENKUlT_T0_E_clISt17integral_constantIbLb1EES11_EEDaSW_SX_EUlSW_E_NS1_11comp_targetILNS1_3genE8ELNS1_11target_archE1030ELNS1_3gpuE2ELNS1_3repE0EEENS1_30default_config_static_selectorELNS0_4arch9wavefront6targetE0EEEvT1_,"axG",@progbits,_ZN7rocprim17ROCPRIM_400000_NS6detail17trampoline_kernelINS0_14default_configENS1_27scan_by_key_config_selectorIitEEZZNS1_16scan_by_key_implILNS1_25lookback_scan_determinismE0ELb0ES3_N6thrust23THRUST_200600_302600_NS6detail15normal_iteratorINS9_10device_ptrIiEEEENSB_INSC_ItEEEESG_tNS9_4plusIvEENS9_8equal_toIvEEtEE10hipError_tPvRmT2_T3_T4_T5_mT6_T7_P12ihipStream_tbENKUlT_T0_E_clISt17integral_constantIbLb1EES11_EEDaSW_SX_EUlSW_E_NS1_11comp_targetILNS1_3genE8ELNS1_11target_archE1030ELNS1_3gpuE2ELNS1_3repE0EEENS1_30default_config_static_selectorELNS0_4arch9wavefront6targetE0EEEvT1_,comdat
	.protected	_ZN7rocprim17ROCPRIM_400000_NS6detail17trampoline_kernelINS0_14default_configENS1_27scan_by_key_config_selectorIitEEZZNS1_16scan_by_key_implILNS1_25lookback_scan_determinismE0ELb0ES3_N6thrust23THRUST_200600_302600_NS6detail15normal_iteratorINS9_10device_ptrIiEEEENSB_INSC_ItEEEESG_tNS9_4plusIvEENS9_8equal_toIvEEtEE10hipError_tPvRmT2_T3_T4_T5_mT6_T7_P12ihipStream_tbENKUlT_T0_E_clISt17integral_constantIbLb1EES11_EEDaSW_SX_EUlSW_E_NS1_11comp_targetILNS1_3genE8ELNS1_11target_archE1030ELNS1_3gpuE2ELNS1_3repE0EEENS1_30default_config_static_selectorELNS0_4arch9wavefront6targetE0EEEvT1_ ; -- Begin function _ZN7rocprim17ROCPRIM_400000_NS6detail17trampoline_kernelINS0_14default_configENS1_27scan_by_key_config_selectorIitEEZZNS1_16scan_by_key_implILNS1_25lookback_scan_determinismE0ELb0ES3_N6thrust23THRUST_200600_302600_NS6detail15normal_iteratorINS9_10device_ptrIiEEEENSB_INSC_ItEEEESG_tNS9_4plusIvEENS9_8equal_toIvEEtEE10hipError_tPvRmT2_T3_T4_T5_mT6_T7_P12ihipStream_tbENKUlT_T0_E_clISt17integral_constantIbLb1EES11_EEDaSW_SX_EUlSW_E_NS1_11comp_targetILNS1_3genE8ELNS1_11target_archE1030ELNS1_3gpuE2ELNS1_3repE0EEENS1_30default_config_static_selectorELNS0_4arch9wavefront6targetE0EEEvT1_
	.globl	_ZN7rocprim17ROCPRIM_400000_NS6detail17trampoline_kernelINS0_14default_configENS1_27scan_by_key_config_selectorIitEEZZNS1_16scan_by_key_implILNS1_25lookback_scan_determinismE0ELb0ES3_N6thrust23THRUST_200600_302600_NS6detail15normal_iteratorINS9_10device_ptrIiEEEENSB_INSC_ItEEEESG_tNS9_4plusIvEENS9_8equal_toIvEEtEE10hipError_tPvRmT2_T3_T4_T5_mT6_T7_P12ihipStream_tbENKUlT_T0_E_clISt17integral_constantIbLb1EES11_EEDaSW_SX_EUlSW_E_NS1_11comp_targetILNS1_3genE8ELNS1_11target_archE1030ELNS1_3gpuE2ELNS1_3repE0EEENS1_30default_config_static_selectorELNS0_4arch9wavefront6targetE0EEEvT1_
	.p2align	8
	.type	_ZN7rocprim17ROCPRIM_400000_NS6detail17trampoline_kernelINS0_14default_configENS1_27scan_by_key_config_selectorIitEEZZNS1_16scan_by_key_implILNS1_25lookback_scan_determinismE0ELb0ES3_N6thrust23THRUST_200600_302600_NS6detail15normal_iteratorINS9_10device_ptrIiEEEENSB_INSC_ItEEEESG_tNS9_4plusIvEENS9_8equal_toIvEEtEE10hipError_tPvRmT2_T3_T4_T5_mT6_T7_P12ihipStream_tbENKUlT_T0_E_clISt17integral_constantIbLb1EES11_EEDaSW_SX_EUlSW_E_NS1_11comp_targetILNS1_3genE8ELNS1_11target_archE1030ELNS1_3gpuE2ELNS1_3repE0EEENS1_30default_config_static_selectorELNS0_4arch9wavefront6targetE0EEEvT1_,@function
_ZN7rocprim17ROCPRIM_400000_NS6detail17trampoline_kernelINS0_14default_configENS1_27scan_by_key_config_selectorIitEEZZNS1_16scan_by_key_implILNS1_25lookback_scan_determinismE0ELb0ES3_N6thrust23THRUST_200600_302600_NS6detail15normal_iteratorINS9_10device_ptrIiEEEENSB_INSC_ItEEEESG_tNS9_4plusIvEENS9_8equal_toIvEEtEE10hipError_tPvRmT2_T3_T4_T5_mT6_T7_P12ihipStream_tbENKUlT_T0_E_clISt17integral_constantIbLb1EES11_EEDaSW_SX_EUlSW_E_NS1_11comp_targetILNS1_3genE8ELNS1_11target_archE1030ELNS1_3gpuE2ELNS1_3repE0EEENS1_30default_config_static_selectorELNS0_4arch9wavefront6targetE0EEEvT1_: ; @_ZN7rocprim17ROCPRIM_400000_NS6detail17trampoline_kernelINS0_14default_configENS1_27scan_by_key_config_selectorIitEEZZNS1_16scan_by_key_implILNS1_25lookback_scan_determinismE0ELb0ES3_N6thrust23THRUST_200600_302600_NS6detail15normal_iteratorINS9_10device_ptrIiEEEENSB_INSC_ItEEEESG_tNS9_4plusIvEENS9_8equal_toIvEEtEE10hipError_tPvRmT2_T3_T4_T5_mT6_T7_P12ihipStream_tbENKUlT_T0_E_clISt17integral_constantIbLb1EES11_EEDaSW_SX_EUlSW_E_NS1_11comp_targetILNS1_3genE8ELNS1_11target_archE1030ELNS1_3gpuE2ELNS1_3repE0EEENS1_30default_config_static_selectorELNS0_4arch9wavefront6targetE0EEEvT1_
; %bb.0:
	.section	.rodata,"a",@progbits
	.p2align	6, 0x0
	.amdhsa_kernel _ZN7rocprim17ROCPRIM_400000_NS6detail17trampoline_kernelINS0_14default_configENS1_27scan_by_key_config_selectorIitEEZZNS1_16scan_by_key_implILNS1_25lookback_scan_determinismE0ELb0ES3_N6thrust23THRUST_200600_302600_NS6detail15normal_iteratorINS9_10device_ptrIiEEEENSB_INSC_ItEEEESG_tNS9_4plusIvEENS9_8equal_toIvEEtEE10hipError_tPvRmT2_T3_T4_T5_mT6_T7_P12ihipStream_tbENKUlT_T0_E_clISt17integral_constantIbLb1EES11_EEDaSW_SX_EUlSW_E_NS1_11comp_targetILNS1_3genE8ELNS1_11target_archE1030ELNS1_3gpuE2ELNS1_3repE0EEENS1_30default_config_static_selectorELNS0_4arch9wavefront6targetE0EEEvT1_
		.amdhsa_group_segment_fixed_size 0
		.amdhsa_private_segment_fixed_size 0
		.amdhsa_kernarg_size 112
		.amdhsa_user_sgpr_count 2
		.amdhsa_user_sgpr_dispatch_ptr 0
		.amdhsa_user_sgpr_queue_ptr 0
		.amdhsa_user_sgpr_kernarg_segment_ptr 1
		.amdhsa_user_sgpr_dispatch_id 0
		.amdhsa_user_sgpr_kernarg_preload_length 0
		.amdhsa_user_sgpr_kernarg_preload_offset 0
		.amdhsa_user_sgpr_private_segment_size 0
		.amdhsa_wavefront_size32 1
		.amdhsa_uses_dynamic_stack 0
		.amdhsa_enable_private_segment 0
		.amdhsa_system_sgpr_workgroup_id_x 1
		.amdhsa_system_sgpr_workgroup_id_y 0
		.amdhsa_system_sgpr_workgroup_id_z 0
		.amdhsa_system_sgpr_workgroup_info 0
		.amdhsa_system_vgpr_workitem_id 0
		.amdhsa_next_free_vgpr 1
		.amdhsa_next_free_sgpr 1
		.amdhsa_named_barrier_count 0
		.amdhsa_reserve_vcc 0
		.amdhsa_float_round_mode_32 0
		.amdhsa_float_round_mode_16_64 0
		.amdhsa_float_denorm_mode_32 3
		.amdhsa_float_denorm_mode_16_64 3
		.amdhsa_fp16_overflow 0
		.amdhsa_memory_ordered 1
		.amdhsa_forward_progress 1
		.amdhsa_inst_pref_size 0
		.amdhsa_round_robin_scheduling 0
		.amdhsa_exception_fp_ieee_invalid_op 0
		.amdhsa_exception_fp_denorm_src 0
		.amdhsa_exception_fp_ieee_div_zero 0
		.amdhsa_exception_fp_ieee_overflow 0
		.amdhsa_exception_fp_ieee_underflow 0
		.amdhsa_exception_fp_ieee_inexact 0
		.amdhsa_exception_int_div_zero 0
	.end_amdhsa_kernel
	.section	.text._ZN7rocprim17ROCPRIM_400000_NS6detail17trampoline_kernelINS0_14default_configENS1_27scan_by_key_config_selectorIitEEZZNS1_16scan_by_key_implILNS1_25lookback_scan_determinismE0ELb0ES3_N6thrust23THRUST_200600_302600_NS6detail15normal_iteratorINS9_10device_ptrIiEEEENSB_INSC_ItEEEESG_tNS9_4plusIvEENS9_8equal_toIvEEtEE10hipError_tPvRmT2_T3_T4_T5_mT6_T7_P12ihipStream_tbENKUlT_T0_E_clISt17integral_constantIbLb1EES11_EEDaSW_SX_EUlSW_E_NS1_11comp_targetILNS1_3genE8ELNS1_11target_archE1030ELNS1_3gpuE2ELNS1_3repE0EEENS1_30default_config_static_selectorELNS0_4arch9wavefront6targetE0EEEvT1_,"axG",@progbits,_ZN7rocprim17ROCPRIM_400000_NS6detail17trampoline_kernelINS0_14default_configENS1_27scan_by_key_config_selectorIitEEZZNS1_16scan_by_key_implILNS1_25lookback_scan_determinismE0ELb0ES3_N6thrust23THRUST_200600_302600_NS6detail15normal_iteratorINS9_10device_ptrIiEEEENSB_INSC_ItEEEESG_tNS9_4plusIvEENS9_8equal_toIvEEtEE10hipError_tPvRmT2_T3_T4_T5_mT6_T7_P12ihipStream_tbENKUlT_T0_E_clISt17integral_constantIbLb1EES11_EEDaSW_SX_EUlSW_E_NS1_11comp_targetILNS1_3genE8ELNS1_11target_archE1030ELNS1_3gpuE2ELNS1_3repE0EEENS1_30default_config_static_selectorELNS0_4arch9wavefront6targetE0EEEvT1_,comdat
.Lfunc_end1286:
	.size	_ZN7rocprim17ROCPRIM_400000_NS6detail17trampoline_kernelINS0_14default_configENS1_27scan_by_key_config_selectorIitEEZZNS1_16scan_by_key_implILNS1_25lookback_scan_determinismE0ELb0ES3_N6thrust23THRUST_200600_302600_NS6detail15normal_iteratorINS9_10device_ptrIiEEEENSB_INSC_ItEEEESG_tNS9_4plusIvEENS9_8equal_toIvEEtEE10hipError_tPvRmT2_T3_T4_T5_mT6_T7_P12ihipStream_tbENKUlT_T0_E_clISt17integral_constantIbLb1EES11_EEDaSW_SX_EUlSW_E_NS1_11comp_targetILNS1_3genE8ELNS1_11target_archE1030ELNS1_3gpuE2ELNS1_3repE0EEENS1_30default_config_static_selectorELNS0_4arch9wavefront6targetE0EEEvT1_, .Lfunc_end1286-_ZN7rocprim17ROCPRIM_400000_NS6detail17trampoline_kernelINS0_14default_configENS1_27scan_by_key_config_selectorIitEEZZNS1_16scan_by_key_implILNS1_25lookback_scan_determinismE0ELb0ES3_N6thrust23THRUST_200600_302600_NS6detail15normal_iteratorINS9_10device_ptrIiEEEENSB_INSC_ItEEEESG_tNS9_4plusIvEENS9_8equal_toIvEEtEE10hipError_tPvRmT2_T3_T4_T5_mT6_T7_P12ihipStream_tbENKUlT_T0_E_clISt17integral_constantIbLb1EES11_EEDaSW_SX_EUlSW_E_NS1_11comp_targetILNS1_3genE8ELNS1_11target_archE1030ELNS1_3gpuE2ELNS1_3repE0EEENS1_30default_config_static_selectorELNS0_4arch9wavefront6targetE0EEEvT1_
                                        ; -- End function
	.set _ZN7rocprim17ROCPRIM_400000_NS6detail17trampoline_kernelINS0_14default_configENS1_27scan_by_key_config_selectorIitEEZZNS1_16scan_by_key_implILNS1_25lookback_scan_determinismE0ELb0ES3_N6thrust23THRUST_200600_302600_NS6detail15normal_iteratorINS9_10device_ptrIiEEEENSB_INSC_ItEEEESG_tNS9_4plusIvEENS9_8equal_toIvEEtEE10hipError_tPvRmT2_T3_T4_T5_mT6_T7_P12ihipStream_tbENKUlT_T0_E_clISt17integral_constantIbLb1EES11_EEDaSW_SX_EUlSW_E_NS1_11comp_targetILNS1_3genE8ELNS1_11target_archE1030ELNS1_3gpuE2ELNS1_3repE0EEENS1_30default_config_static_selectorELNS0_4arch9wavefront6targetE0EEEvT1_.num_vgpr, 0
	.set _ZN7rocprim17ROCPRIM_400000_NS6detail17trampoline_kernelINS0_14default_configENS1_27scan_by_key_config_selectorIitEEZZNS1_16scan_by_key_implILNS1_25lookback_scan_determinismE0ELb0ES3_N6thrust23THRUST_200600_302600_NS6detail15normal_iteratorINS9_10device_ptrIiEEEENSB_INSC_ItEEEESG_tNS9_4plusIvEENS9_8equal_toIvEEtEE10hipError_tPvRmT2_T3_T4_T5_mT6_T7_P12ihipStream_tbENKUlT_T0_E_clISt17integral_constantIbLb1EES11_EEDaSW_SX_EUlSW_E_NS1_11comp_targetILNS1_3genE8ELNS1_11target_archE1030ELNS1_3gpuE2ELNS1_3repE0EEENS1_30default_config_static_selectorELNS0_4arch9wavefront6targetE0EEEvT1_.num_agpr, 0
	.set _ZN7rocprim17ROCPRIM_400000_NS6detail17trampoline_kernelINS0_14default_configENS1_27scan_by_key_config_selectorIitEEZZNS1_16scan_by_key_implILNS1_25lookback_scan_determinismE0ELb0ES3_N6thrust23THRUST_200600_302600_NS6detail15normal_iteratorINS9_10device_ptrIiEEEENSB_INSC_ItEEEESG_tNS9_4plusIvEENS9_8equal_toIvEEtEE10hipError_tPvRmT2_T3_T4_T5_mT6_T7_P12ihipStream_tbENKUlT_T0_E_clISt17integral_constantIbLb1EES11_EEDaSW_SX_EUlSW_E_NS1_11comp_targetILNS1_3genE8ELNS1_11target_archE1030ELNS1_3gpuE2ELNS1_3repE0EEENS1_30default_config_static_selectorELNS0_4arch9wavefront6targetE0EEEvT1_.numbered_sgpr, 0
	.set _ZN7rocprim17ROCPRIM_400000_NS6detail17trampoline_kernelINS0_14default_configENS1_27scan_by_key_config_selectorIitEEZZNS1_16scan_by_key_implILNS1_25lookback_scan_determinismE0ELb0ES3_N6thrust23THRUST_200600_302600_NS6detail15normal_iteratorINS9_10device_ptrIiEEEENSB_INSC_ItEEEESG_tNS9_4plusIvEENS9_8equal_toIvEEtEE10hipError_tPvRmT2_T3_T4_T5_mT6_T7_P12ihipStream_tbENKUlT_T0_E_clISt17integral_constantIbLb1EES11_EEDaSW_SX_EUlSW_E_NS1_11comp_targetILNS1_3genE8ELNS1_11target_archE1030ELNS1_3gpuE2ELNS1_3repE0EEENS1_30default_config_static_selectorELNS0_4arch9wavefront6targetE0EEEvT1_.num_named_barrier, 0
	.set _ZN7rocprim17ROCPRIM_400000_NS6detail17trampoline_kernelINS0_14default_configENS1_27scan_by_key_config_selectorIitEEZZNS1_16scan_by_key_implILNS1_25lookback_scan_determinismE0ELb0ES3_N6thrust23THRUST_200600_302600_NS6detail15normal_iteratorINS9_10device_ptrIiEEEENSB_INSC_ItEEEESG_tNS9_4plusIvEENS9_8equal_toIvEEtEE10hipError_tPvRmT2_T3_T4_T5_mT6_T7_P12ihipStream_tbENKUlT_T0_E_clISt17integral_constantIbLb1EES11_EEDaSW_SX_EUlSW_E_NS1_11comp_targetILNS1_3genE8ELNS1_11target_archE1030ELNS1_3gpuE2ELNS1_3repE0EEENS1_30default_config_static_selectorELNS0_4arch9wavefront6targetE0EEEvT1_.private_seg_size, 0
	.set _ZN7rocprim17ROCPRIM_400000_NS6detail17trampoline_kernelINS0_14default_configENS1_27scan_by_key_config_selectorIitEEZZNS1_16scan_by_key_implILNS1_25lookback_scan_determinismE0ELb0ES3_N6thrust23THRUST_200600_302600_NS6detail15normal_iteratorINS9_10device_ptrIiEEEENSB_INSC_ItEEEESG_tNS9_4plusIvEENS9_8equal_toIvEEtEE10hipError_tPvRmT2_T3_T4_T5_mT6_T7_P12ihipStream_tbENKUlT_T0_E_clISt17integral_constantIbLb1EES11_EEDaSW_SX_EUlSW_E_NS1_11comp_targetILNS1_3genE8ELNS1_11target_archE1030ELNS1_3gpuE2ELNS1_3repE0EEENS1_30default_config_static_selectorELNS0_4arch9wavefront6targetE0EEEvT1_.uses_vcc, 0
	.set _ZN7rocprim17ROCPRIM_400000_NS6detail17trampoline_kernelINS0_14default_configENS1_27scan_by_key_config_selectorIitEEZZNS1_16scan_by_key_implILNS1_25lookback_scan_determinismE0ELb0ES3_N6thrust23THRUST_200600_302600_NS6detail15normal_iteratorINS9_10device_ptrIiEEEENSB_INSC_ItEEEESG_tNS9_4plusIvEENS9_8equal_toIvEEtEE10hipError_tPvRmT2_T3_T4_T5_mT6_T7_P12ihipStream_tbENKUlT_T0_E_clISt17integral_constantIbLb1EES11_EEDaSW_SX_EUlSW_E_NS1_11comp_targetILNS1_3genE8ELNS1_11target_archE1030ELNS1_3gpuE2ELNS1_3repE0EEENS1_30default_config_static_selectorELNS0_4arch9wavefront6targetE0EEEvT1_.uses_flat_scratch, 0
	.set _ZN7rocprim17ROCPRIM_400000_NS6detail17trampoline_kernelINS0_14default_configENS1_27scan_by_key_config_selectorIitEEZZNS1_16scan_by_key_implILNS1_25lookback_scan_determinismE0ELb0ES3_N6thrust23THRUST_200600_302600_NS6detail15normal_iteratorINS9_10device_ptrIiEEEENSB_INSC_ItEEEESG_tNS9_4plusIvEENS9_8equal_toIvEEtEE10hipError_tPvRmT2_T3_T4_T5_mT6_T7_P12ihipStream_tbENKUlT_T0_E_clISt17integral_constantIbLb1EES11_EEDaSW_SX_EUlSW_E_NS1_11comp_targetILNS1_3genE8ELNS1_11target_archE1030ELNS1_3gpuE2ELNS1_3repE0EEENS1_30default_config_static_selectorELNS0_4arch9wavefront6targetE0EEEvT1_.has_dyn_sized_stack, 0
	.set _ZN7rocprim17ROCPRIM_400000_NS6detail17trampoline_kernelINS0_14default_configENS1_27scan_by_key_config_selectorIitEEZZNS1_16scan_by_key_implILNS1_25lookback_scan_determinismE0ELb0ES3_N6thrust23THRUST_200600_302600_NS6detail15normal_iteratorINS9_10device_ptrIiEEEENSB_INSC_ItEEEESG_tNS9_4plusIvEENS9_8equal_toIvEEtEE10hipError_tPvRmT2_T3_T4_T5_mT6_T7_P12ihipStream_tbENKUlT_T0_E_clISt17integral_constantIbLb1EES11_EEDaSW_SX_EUlSW_E_NS1_11comp_targetILNS1_3genE8ELNS1_11target_archE1030ELNS1_3gpuE2ELNS1_3repE0EEENS1_30default_config_static_selectorELNS0_4arch9wavefront6targetE0EEEvT1_.has_recursion, 0
	.set _ZN7rocprim17ROCPRIM_400000_NS6detail17trampoline_kernelINS0_14default_configENS1_27scan_by_key_config_selectorIitEEZZNS1_16scan_by_key_implILNS1_25lookback_scan_determinismE0ELb0ES3_N6thrust23THRUST_200600_302600_NS6detail15normal_iteratorINS9_10device_ptrIiEEEENSB_INSC_ItEEEESG_tNS9_4plusIvEENS9_8equal_toIvEEtEE10hipError_tPvRmT2_T3_T4_T5_mT6_T7_P12ihipStream_tbENKUlT_T0_E_clISt17integral_constantIbLb1EES11_EEDaSW_SX_EUlSW_E_NS1_11comp_targetILNS1_3genE8ELNS1_11target_archE1030ELNS1_3gpuE2ELNS1_3repE0EEENS1_30default_config_static_selectorELNS0_4arch9wavefront6targetE0EEEvT1_.has_indirect_call, 0
	.section	.AMDGPU.csdata,"",@progbits
; Kernel info:
; codeLenInByte = 0
; TotalNumSgprs: 0
; NumVgprs: 0
; ScratchSize: 0
; MemoryBound: 0
; FloatMode: 240
; IeeeMode: 1
; LDSByteSize: 0 bytes/workgroup (compile time only)
; SGPRBlocks: 0
; VGPRBlocks: 0
; NumSGPRsForWavesPerEU: 1
; NumVGPRsForWavesPerEU: 1
; NamedBarCnt: 0
; Occupancy: 16
; WaveLimiterHint : 0
; COMPUTE_PGM_RSRC2:SCRATCH_EN: 0
; COMPUTE_PGM_RSRC2:USER_SGPR: 2
; COMPUTE_PGM_RSRC2:TRAP_HANDLER: 0
; COMPUTE_PGM_RSRC2:TGID_X_EN: 1
; COMPUTE_PGM_RSRC2:TGID_Y_EN: 0
; COMPUTE_PGM_RSRC2:TGID_Z_EN: 0
; COMPUTE_PGM_RSRC2:TIDIG_COMP_CNT: 0
	.section	.text._ZN7rocprim17ROCPRIM_400000_NS6detail30init_device_scan_by_key_kernelINS1_19lookback_scan_stateINS0_5tupleIJtbEEELb1ELb1EEEN6thrust23THRUST_200600_302600_NS6detail15normal_iteratorINS8_10device_ptrIiEEEEjNS1_16block_id_wrapperIjLb0EEEEEvT_jjPNSG_10value_typeET0_PNSt15iterator_traitsISJ_E10value_typeEmT1_T2_,"axG",@progbits,_ZN7rocprim17ROCPRIM_400000_NS6detail30init_device_scan_by_key_kernelINS1_19lookback_scan_stateINS0_5tupleIJtbEEELb1ELb1EEEN6thrust23THRUST_200600_302600_NS6detail15normal_iteratorINS8_10device_ptrIiEEEEjNS1_16block_id_wrapperIjLb0EEEEEvT_jjPNSG_10value_typeET0_PNSt15iterator_traitsISJ_E10value_typeEmT1_T2_,comdat
	.protected	_ZN7rocprim17ROCPRIM_400000_NS6detail30init_device_scan_by_key_kernelINS1_19lookback_scan_stateINS0_5tupleIJtbEEELb1ELb1EEEN6thrust23THRUST_200600_302600_NS6detail15normal_iteratorINS8_10device_ptrIiEEEEjNS1_16block_id_wrapperIjLb0EEEEEvT_jjPNSG_10value_typeET0_PNSt15iterator_traitsISJ_E10value_typeEmT1_T2_ ; -- Begin function _ZN7rocprim17ROCPRIM_400000_NS6detail30init_device_scan_by_key_kernelINS1_19lookback_scan_stateINS0_5tupleIJtbEEELb1ELb1EEEN6thrust23THRUST_200600_302600_NS6detail15normal_iteratorINS8_10device_ptrIiEEEEjNS1_16block_id_wrapperIjLb0EEEEEvT_jjPNSG_10value_typeET0_PNSt15iterator_traitsISJ_E10value_typeEmT1_T2_
	.globl	_ZN7rocprim17ROCPRIM_400000_NS6detail30init_device_scan_by_key_kernelINS1_19lookback_scan_stateINS0_5tupleIJtbEEELb1ELb1EEEN6thrust23THRUST_200600_302600_NS6detail15normal_iteratorINS8_10device_ptrIiEEEEjNS1_16block_id_wrapperIjLb0EEEEEvT_jjPNSG_10value_typeET0_PNSt15iterator_traitsISJ_E10value_typeEmT1_T2_
	.p2align	8
	.type	_ZN7rocprim17ROCPRIM_400000_NS6detail30init_device_scan_by_key_kernelINS1_19lookback_scan_stateINS0_5tupleIJtbEEELb1ELb1EEEN6thrust23THRUST_200600_302600_NS6detail15normal_iteratorINS8_10device_ptrIiEEEEjNS1_16block_id_wrapperIjLb0EEEEEvT_jjPNSG_10value_typeET0_PNSt15iterator_traitsISJ_E10value_typeEmT1_T2_,@function
_ZN7rocprim17ROCPRIM_400000_NS6detail30init_device_scan_by_key_kernelINS1_19lookback_scan_stateINS0_5tupleIJtbEEELb1ELb1EEEN6thrust23THRUST_200600_302600_NS6detail15normal_iteratorINS8_10device_ptrIiEEEEjNS1_16block_id_wrapperIjLb0EEEEEvT_jjPNSG_10value_typeET0_PNSt15iterator_traitsISJ_E10value_typeEmT1_T2_: ; @_ZN7rocprim17ROCPRIM_400000_NS6detail30init_device_scan_by_key_kernelINS1_19lookback_scan_stateINS0_5tupleIJtbEEELb1ELb1EEEN6thrust23THRUST_200600_302600_NS6detail15normal_iteratorINS8_10device_ptrIiEEEEjNS1_16block_id_wrapperIjLb0EEEEEvT_jjPNSG_10value_typeET0_PNSt15iterator_traitsISJ_E10value_typeEmT1_T2_
; %bb.0:
	s_clause 0x2
	s_load_b32 s2, s[0:1], 0x44
	s_load_b32 s12, s[0:1], 0x38
	s_load_b256 s[4:11], s[0:1], 0x0
	s_bfe_u32 s3, ttmp6, 0x4000c
	s_and_b32 s14, ttmp6, 15
	s_add_co_i32 s3, s3, 1
	s_getreg_b32 s15, hwreg(HW_REG_IB_STS2, 6, 4)
	s_mul_i32 s3, ttmp9, s3
	s_delay_alu instid0(SALU_CYCLE_1)
	s_add_co_i32 s14, s14, s3
	s_wait_kmcnt 0x0
	s_and_b32 s13, s2, 0xffff
	s_cmp_eq_u32 s15, 0
	s_cselect_b32 s2, ttmp9, s14
	s_cmp_eq_u64 s[8:9], 0
	v_mad_u32 v0, s2, s13, v0
	s_cbranch_scc1 .LBB1287_9
; %bb.1:
	s_cmp_lt_u32 s7, s6
	s_mov_b32 s14, exec_lo
	s_cselect_b32 s2, s7, 0
	s_delay_alu instid0(VALU_DEP_1) | instid1(SALU_CYCLE_1)
	v_cmpx_eq_u32_e64 s2, v0
	s_cbranch_execz .LBB1287_8
; %bb.2:
	s_add_co_i32 s2, s7, 32
	s_delay_alu instid0(SALU_CYCLE_1) | instskip(SKIP_3) | instid1(VALU_DEP_1)
	v_dual_mov_b32 v2, 0 :: v_dual_mov_b32 v1, s2
	global_load_b64 v[4:5], v1, s[4:5] scale_offset scope:SCOPE_DEV
	s_wait_loadcnt 0x0
	v_and_b32_e32 v3, 0xff, v5
	v_cmp_ne_u64_e32 vcc_lo, 0, v[2:3]
	s_cbranch_vccnz .LBB1287_7
; %bb.3:
	s_mov_b32 s3, 0
	s_mov_b32 s7, 1
	s_lshl_b64 s[2:3], s[2:3], 3
	s_delay_alu instid0(SALU_CYCLE_1)
	s_add_nc_u64 s[2:3], s[4:5], s[2:3]
.LBB1287_4:                             ; =>This Loop Header: Depth=1
                                        ;     Child Loop BB1287_5 Depth 2
	s_mov_b32 s15, s7
.LBB1287_5:                             ;   Parent Loop BB1287_4 Depth=1
                                        ; =>  This Inner Loop Header: Depth=2
	s_delay_alu instid0(SALU_CYCLE_1)
	s_add_co_i32 s15, s15, -1
	s_sleep 1
	s_cmp_eq_u32 s15, 0
	s_cbranch_scc0 .LBB1287_5
; %bb.6:                                ;   in Loop: Header=BB1287_4 Depth=1
	global_load_b64 v[4:5], v2, s[2:3] scope:SCOPE_DEV
	s_cmp_lt_u32 s7, 32
	s_cselect_b32 s15, -1, 0
	s_delay_alu instid0(SALU_CYCLE_1) | instskip(SKIP_3) | instid1(VALU_DEP_1)
	s_cmp_lg_u32 s15, 0
	s_add_co_ci_u32 s7, s7, 0
	s_wait_loadcnt 0x0
	v_and_b32_e32 v3, 0xff, v5
	v_cmp_ne_u64_e32 vcc_lo, 0, v[2:3]
	s_cbranch_vccz .LBB1287_4
.LBB1287_7:
	v_mov_b32_e32 v1, 0
	s_clause 0x1
	global_store_b16 v1, v4, s[8:9]
	global_store_d16_hi_b8 v1, v4, s[8:9] offset:2
.LBB1287_8:
	s_wait_xcnt 0x0
	s_or_b32 exec_lo, exec_lo, s14
.LBB1287_9:
	s_delay_alu instid0(SALU_CYCLE_1) | instskip(NEXT) | instid1(VALU_DEP_1)
	s_mov_b32 s2, exec_lo
	v_cmpx_gt_u32_e64 s6, v0
	s_cbranch_execz .LBB1287_11
; %bb.10:
	v_mov_b64_e32 v[2:3], 0
	v_add_nc_u32_e32 v1, 32, v0
	global_store_b64 v1, v[2:3], s[4:5] scale_offset
.LBB1287_11:
	s_wait_xcnt 0x0
	s_or_b32 exec_lo, exec_lo, s2
	v_mov_b32_e32 v1, 0
	s_mov_b32 s2, exec_lo
	v_cmpx_gt_u32_e32 32, v0
	s_cbranch_execz .LBB1287_13
; %bb.12:
	v_mov_b64_e32 v[2:3], 0xff00000000
	v_lshl_add_u64 v[4:5], v[0:1], 3, s[4:5]
	global_store_b64 v[4:5], v[2:3], off
.LBB1287_13:
	s_wait_xcnt 0x0
	s_or_b32 exec_lo, exec_lo, s2
	s_load_b64 s[2:3], s[0:1], 0x28
	s_mov_b32 s4, exec_lo
	s_wait_kmcnt 0x0
	v_cmpx_gt_u64_e64 s[2:3], v[0:1]
	s_cbranch_execz .LBB1287_16
; %bb.14:
	s_clause 0x1
	s_load_b32 s4, s[0:1], 0x30
	s_load_b64 s[6:7], s[0:1], 0x20
	s_mov_b32 s5, 0
	s_wait_xcnt 0x0
	s_mul_i32 s0, s12, s13
	s_mov_b32 s9, s5
	s_mov_b32 s1, s5
	s_wait_kmcnt 0x0
	v_mul_u64_e32 v[2:3], s[4:5], v[0:1]
	s_add_co_i32 s8, s4, -1
	v_lshl_add_u64 v[4:5], v[0:1], 2, s[6:7]
	s_lshl_b64 s[8:9], s[8:9], 2
	s_delay_alu instid0(SALU_CYCLE_1) | instskip(SKIP_1) | instid1(SALU_CYCLE_1)
	s_add_nc_u64 s[8:9], s[10:11], s[8:9]
	s_mul_u64 s[10:11], s[4:5], s[0:1]
	s_lshl_b64 s[6:7], s[10:11], 2
	s_delay_alu instid0(VALU_DEP_2)
	v_lshl_add_u64 v[2:3], v[2:3], 2, s[8:9]
	s_lshl_b64 s[8:9], s[0:1], 2
.LBB1287_15:                            ; =>This Inner Loop Header: Depth=1
	global_load_b32 v6, v[2:3], off
	v_add_nc_u64_e32 v[0:1], s[0:1], v[0:1]
	s_wait_xcnt 0x0
	v_add_nc_u64_e32 v[2:3], s[6:7], v[2:3]
	s_delay_alu instid0(VALU_DEP_2)
	v_cmp_le_u64_e32 vcc_lo, s[2:3], v[0:1]
	s_or_b32 s5, vcc_lo, s5
	s_wait_loadcnt 0x0
	global_store_b32 v[4:5], v6, off
	s_wait_xcnt 0x0
	v_add_nc_u64_e32 v[4:5], s[8:9], v[4:5]
	s_and_not1_b32 exec_lo, exec_lo, s5
	s_cbranch_execnz .LBB1287_15
.LBB1287_16:
	s_endpgm
	.section	.rodata,"a",@progbits
	.p2align	6, 0x0
	.amdhsa_kernel _ZN7rocprim17ROCPRIM_400000_NS6detail30init_device_scan_by_key_kernelINS1_19lookback_scan_stateINS0_5tupleIJtbEEELb1ELb1EEEN6thrust23THRUST_200600_302600_NS6detail15normal_iteratorINS8_10device_ptrIiEEEEjNS1_16block_id_wrapperIjLb0EEEEEvT_jjPNSG_10value_typeET0_PNSt15iterator_traitsISJ_E10value_typeEmT1_T2_
		.amdhsa_group_segment_fixed_size 0
		.amdhsa_private_segment_fixed_size 0
		.amdhsa_kernarg_size 312
		.amdhsa_user_sgpr_count 2
		.amdhsa_user_sgpr_dispatch_ptr 0
		.amdhsa_user_sgpr_queue_ptr 0
		.amdhsa_user_sgpr_kernarg_segment_ptr 1
		.amdhsa_user_sgpr_dispatch_id 0
		.amdhsa_user_sgpr_kernarg_preload_length 0
		.amdhsa_user_sgpr_kernarg_preload_offset 0
		.amdhsa_user_sgpr_private_segment_size 0
		.amdhsa_wavefront_size32 1
		.amdhsa_uses_dynamic_stack 0
		.amdhsa_enable_private_segment 0
		.amdhsa_system_sgpr_workgroup_id_x 1
		.amdhsa_system_sgpr_workgroup_id_y 0
		.amdhsa_system_sgpr_workgroup_id_z 0
		.amdhsa_system_sgpr_workgroup_info 0
		.amdhsa_system_vgpr_workitem_id 0
		.amdhsa_next_free_vgpr 7
		.amdhsa_next_free_sgpr 16
		.amdhsa_named_barrier_count 0
		.amdhsa_reserve_vcc 1
		.amdhsa_float_round_mode_32 0
		.amdhsa_float_round_mode_16_64 0
		.amdhsa_float_denorm_mode_32 3
		.amdhsa_float_denorm_mode_16_64 3
		.amdhsa_fp16_overflow 0
		.amdhsa_memory_ordered 1
		.amdhsa_forward_progress 1
		.amdhsa_inst_pref_size 5
		.amdhsa_round_robin_scheduling 0
		.amdhsa_exception_fp_ieee_invalid_op 0
		.amdhsa_exception_fp_denorm_src 0
		.amdhsa_exception_fp_ieee_div_zero 0
		.amdhsa_exception_fp_ieee_overflow 0
		.amdhsa_exception_fp_ieee_underflow 0
		.amdhsa_exception_fp_ieee_inexact 0
		.amdhsa_exception_int_div_zero 0
	.end_amdhsa_kernel
	.section	.text._ZN7rocprim17ROCPRIM_400000_NS6detail30init_device_scan_by_key_kernelINS1_19lookback_scan_stateINS0_5tupleIJtbEEELb1ELb1EEEN6thrust23THRUST_200600_302600_NS6detail15normal_iteratorINS8_10device_ptrIiEEEEjNS1_16block_id_wrapperIjLb0EEEEEvT_jjPNSG_10value_typeET0_PNSt15iterator_traitsISJ_E10value_typeEmT1_T2_,"axG",@progbits,_ZN7rocprim17ROCPRIM_400000_NS6detail30init_device_scan_by_key_kernelINS1_19lookback_scan_stateINS0_5tupleIJtbEEELb1ELb1EEEN6thrust23THRUST_200600_302600_NS6detail15normal_iteratorINS8_10device_ptrIiEEEEjNS1_16block_id_wrapperIjLb0EEEEEvT_jjPNSG_10value_typeET0_PNSt15iterator_traitsISJ_E10value_typeEmT1_T2_,comdat
.Lfunc_end1287:
	.size	_ZN7rocprim17ROCPRIM_400000_NS6detail30init_device_scan_by_key_kernelINS1_19lookback_scan_stateINS0_5tupleIJtbEEELb1ELb1EEEN6thrust23THRUST_200600_302600_NS6detail15normal_iteratorINS8_10device_ptrIiEEEEjNS1_16block_id_wrapperIjLb0EEEEEvT_jjPNSG_10value_typeET0_PNSt15iterator_traitsISJ_E10value_typeEmT1_T2_, .Lfunc_end1287-_ZN7rocprim17ROCPRIM_400000_NS6detail30init_device_scan_by_key_kernelINS1_19lookback_scan_stateINS0_5tupleIJtbEEELb1ELb1EEEN6thrust23THRUST_200600_302600_NS6detail15normal_iteratorINS8_10device_ptrIiEEEEjNS1_16block_id_wrapperIjLb0EEEEEvT_jjPNSG_10value_typeET0_PNSt15iterator_traitsISJ_E10value_typeEmT1_T2_
                                        ; -- End function
	.set _ZN7rocprim17ROCPRIM_400000_NS6detail30init_device_scan_by_key_kernelINS1_19lookback_scan_stateINS0_5tupleIJtbEEELb1ELb1EEEN6thrust23THRUST_200600_302600_NS6detail15normal_iteratorINS8_10device_ptrIiEEEEjNS1_16block_id_wrapperIjLb0EEEEEvT_jjPNSG_10value_typeET0_PNSt15iterator_traitsISJ_E10value_typeEmT1_T2_.num_vgpr, 7
	.set _ZN7rocprim17ROCPRIM_400000_NS6detail30init_device_scan_by_key_kernelINS1_19lookback_scan_stateINS0_5tupleIJtbEEELb1ELb1EEEN6thrust23THRUST_200600_302600_NS6detail15normal_iteratorINS8_10device_ptrIiEEEEjNS1_16block_id_wrapperIjLb0EEEEEvT_jjPNSG_10value_typeET0_PNSt15iterator_traitsISJ_E10value_typeEmT1_T2_.num_agpr, 0
	.set _ZN7rocprim17ROCPRIM_400000_NS6detail30init_device_scan_by_key_kernelINS1_19lookback_scan_stateINS0_5tupleIJtbEEELb1ELb1EEEN6thrust23THRUST_200600_302600_NS6detail15normal_iteratorINS8_10device_ptrIiEEEEjNS1_16block_id_wrapperIjLb0EEEEEvT_jjPNSG_10value_typeET0_PNSt15iterator_traitsISJ_E10value_typeEmT1_T2_.numbered_sgpr, 16
	.set _ZN7rocprim17ROCPRIM_400000_NS6detail30init_device_scan_by_key_kernelINS1_19lookback_scan_stateINS0_5tupleIJtbEEELb1ELb1EEEN6thrust23THRUST_200600_302600_NS6detail15normal_iteratorINS8_10device_ptrIiEEEEjNS1_16block_id_wrapperIjLb0EEEEEvT_jjPNSG_10value_typeET0_PNSt15iterator_traitsISJ_E10value_typeEmT1_T2_.num_named_barrier, 0
	.set _ZN7rocprim17ROCPRIM_400000_NS6detail30init_device_scan_by_key_kernelINS1_19lookback_scan_stateINS0_5tupleIJtbEEELb1ELb1EEEN6thrust23THRUST_200600_302600_NS6detail15normal_iteratorINS8_10device_ptrIiEEEEjNS1_16block_id_wrapperIjLb0EEEEEvT_jjPNSG_10value_typeET0_PNSt15iterator_traitsISJ_E10value_typeEmT1_T2_.private_seg_size, 0
	.set _ZN7rocprim17ROCPRIM_400000_NS6detail30init_device_scan_by_key_kernelINS1_19lookback_scan_stateINS0_5tupleIJtbEEELb1ELb1EEEN6thrust23THRUST_200600_302600_NS6detail15normal_iteratorINS8_10device_ptrIiEEEEjNS1_16block_id_wrapperIjLb0EEEEEvT_jjPNSG_10value_typeET0_PNSt15iterator_traitsISJ_E10value_typeEmT1_T2_.uses_vcc, 1
	.set _ZN7rocprim17ROCPRIM_400000_NS6detail30init_device_scan_by_key_kernelINS1_19lookback_scan_stateINS0_5tupleIJtbEEELb1ELb1EEEN6thrust23THRUST_200600_302600_NS6detail15normal_iteratorINS8_10device_ptrIiEEEEjNS1_16block_id_wrapperIjLb0EEEEEvT_jjPNSG_10value_typeET0_PNSt15iterator_traitsISJ_E10value_typeEmT1_T2_.uses_flat_scratch, 0
	.set _ZN7rocprim17ROCPRIM_400000_NS6detail30init_device_scan_by_key_kernelINS1_19lookback_scan_stateINS0_5tupleIJtbEEELb1ELb1EEEN6thrust23THRUST_200600_302600_NS6detail15normal_iteratorINS8_10device_ptrIiEEEEjNS1_16block_id_wrapperIjLb0EEEEEvT_jjPNSG_10value_typeET0_PNSt15iterator_traitsISJ_E10value_typeEmT1_T2_.has_dyn_sized_stack, 0
	.set _ZN7rocprim17ROCPRIM_400000_NS6detail30init_device_scan_by_key_kernelINS1_19lookback_scan_stateINS0_5tupleIJtbEEELb1ELb1EEEN6thrust23THRUST_200600_302600_NS6detail15normal_iteratorINS8_10device_ptrIiEEEEjNS1_16block_id_wrapperIjLb0EEEEEvT_jjPNSG_10value_typeET0_PNSt15iterator_traitsISJ_E10value_typeEmT1_T2_.has_recursion, 0
	.set _ZN7rocprim17ROCPRIM_400000_NS6detail30init_device_scan_by_key_kernelINS1_19lookback_scan_stateINS0_5tupleIJtbEEELb1ELb1EEEN6thrust23THRUST_200600_302600_NS6detail15normal_iteratorINS8_10device_ptrIiEEEEjNS1_16block_id_wrapperIjLb0EEEEEvT_jjPNSG_10value_typeET0_PNSt15iterator_traitsISJ_E10value_typeEmT1_T2_.has_indirect_call, 0
	.section	.AMDGPU.csdata,"",@progbits
; Kernel info:
; codeLenInByte = 608
; TotalNumSgprs: 18
; NumVgprs: 7
; ScratchSize: 0
; MemoryBound: 0
; FloatMode: 240
; IeeeMode: 1
; LDSByteSize: 0 bytes/workgroup (compile time only)
; SGPRBlocks: 0
; VGPRBlocks: 0
; NumSGPRsForWavesPerEU: 18
; NumVGPRsForWavesPerEU: 7
; NamedBarCnt: 0
; Occupancy: 16
; WaveLimiterHint : 0
; COMPUTE_PGM_RSRC2:SCRATCH_EN: 0
; COMPUTE_PGM_RSRC2:USER_SGPR: 2
; COMPUTE_PGM_RSRC2:TRAP_HANDLER: 0
; COMPUTE_PGM_RSRC2:TGID_X_EN: 1
; COMPUTE_PGM_RSRC2:TGID_Y_EN: 0
; COMPUTE_PGM_RSRC2:TGID_Z_EN: 0
; COMPUTE_PGM_RSRC2:TIDIG_COMP_CNT: 0
	.section	.text._ZN7rocprim17ROCPRIM_400000_NS6detail30init_device_scan_by_key_kernelINS1_19lookback_scan_stateINS0_5tupleIJtbEEELb1ELb1EEENS1_16block_id_wrapperIjLb0EEEEEvT_jjPNS9_10value_typeET0_,"axG",@progbits,_ZN7rocprim17ROCPRIM_400000_NS6detail30init_device_scan_by_key_kernelINS1_19lookback_scan_stateINS0_5tupleIJtbEEELb1ELb1EEENS1_16block_id_wrapperIjLb0EEEEEvT_jjPNS9_10value_typeET0_,comdat
	.protected	_ZN7rocprim17ROCPRIM_400000_NS6detail30init_device_scan_by_key_kernelINS1_19lookback_scan_stateINS0_5tupleIJtbEEELb1ELb1EEENS1_16block_id_wrapperIjLb0EEEEEvT_jjPNS9_10value_typeET0_ ; -- Begin function _ZN7rocprim17ROCPRIM_400000_NS6detail30init_device_scan_by_key_kernelINS1_19lookback_scan_stateINS0_5tupleIJtbEEELb1ELb1EEENS1_16block_id_wrapperIjLb0EEEEEvT_jjPNS9_10value_typeET0_
	.globl	_ZN7rocprim17ROCPRIM_400000_NS6detail30init_device_scan_by_key_kernelINS1_19lookback_scan_stateINS0_5tupleIJtbEEELb1ELb1EEENS1_16block_id_wrapperIjLb0EEEEEvT_jjPNS9_10value_typeET0_
	.p2align	8
	.type	_ZN7rocprim17ROCPRIM_400000_NS6detail30init_device_scan_by_key_kernelINS1_19lookback_scan_stateINS0_5tupleIJtbEEELb1ELb1EEENS1_16block_id_wrapperIjLb0EEEEEvT_jjPNS9_10value_typeET0_,@function
_ZN7rocprim17ROCPRIM_400000_NS6detail30init_device_scan_by_key_kernelINS1_19lookback_scan_stateINS0_5tupleIJtbEEELb1ELb1EEENS1_16block_id_wrapperIjLb0EEEEEvT_jjPNS9_10value_typeET0_: ; @_ZN7rocprim17ROCPRIM_400000_NS6detail30init_device_scan_by_key_kernelINS1_19lookback_scan_stateINS0_5tupleIJtbEEELb1ELb1EEENS1_16block_id_wrapperIjLb0EEEEEvT_jjPNS9_10value_typeET0_
; %bb.0:
	s_clause 0x2
	s_load_b32 s8, s[0:1], 0x2c
	s_load_b128 s[4:7], s[0:1], 0x0
	s_load_b64 s[2:3], s[0:1], 0x10
	s_wait_xcnt 0x0
	s_bfe_u32 s0, ttmp6, 0x4000c
	s_and_b32 s1, ttmp6, 15
	s_add_co_i32 s0, s0, 1
	s_getreg_b32 s9, hwreg(HW_REG_IB_STS2, 6, 4)
	s_mul_i32 s0, ttmp9, s0
	s_delay_alu instid0(SALU_CYCLE_1)
	s_add_co_i32 s1, s1, s0
	s_wait_kmcnt 0x0
	s_and_b32 s8, s8, 0xffff
	s_cmp_eq_u32 s9, 0
	s_cselect_b32 s0, ttmp9, s1
	s_cmp_eq_u64 s[2:3], 0
	v_mad_u32 v4, s0, s8, v0
	s_cbranch_scc1 .LBB1288_9
; %bb.1:
	s_cmp_lt_u32 s7, s6
	s_mov_b32 s8, exec_lo
	s_cselect_b32 s0, s7, 0
	s_delay_alu instid0(VALU_DEP_1) | instid1(SALU_CYCLE_1)
	v_cmpx_eq_u32_e64 s0, v4
	s_cbranch_execz .LBB1288_8
; %bb.2:
	s_add_co_i32 s0, s7, 32
	s_delay_alu instid0(SALU_CYCLE_1)
	v_mov_b32_e32 v0, s0
	global_load_b64 v[2:3], v0, s[4:5] scale_offset scope:SCOPE_DEV
	s_wait_xcnt 0x0
	v_mov_b32_e32 v0, 0
	s_wait_loadcnt 0x0
	v_and_b32_e32 v1, 0xff, v3
	s_delay_alu instid0(VALU_DEP_1)
	v_cmp_ne_u64_e32 vcc_lo, 0, v[0:1]
	s_cbranch_vccnz .LBB1288_7
; %bb.3:
	s_mov_b32 s1, 0
	s_mov_b32 s7, 1
	s_lshl_b64 s[0:1], s[0:1], 3
	s_delay_alu instid0(SALU_CYCLE_1)
	s_add_nc_u64 s[0:1], s[4:5], s[0:1]
.LBB1288_4:                             ; =>This Loop Header: Depth=1
                                        ;     Child Loop BB1288_5 Depth 2
	s_mov_b32 s9, s7
.LBB1288_5:                             ;   Parent Loop BB1288_4 Depth=1
                                        ; =>  This Inner Loop Header: Depth=2
	s_delay_alu instid0(SALU_CYCLE_1)
	s_add_co_i32 s9, s9, -1
	s_sleep 1
	s_cmp_eq_u32 s9, 0
	s_cbranch_scc0 .LBB1288_5
; %bb.6:                                ;   in Loop: Header=BB1288_4 Depth=1
	global_load_b64 v[2:3], v0, s[0:1] scope:SCOPE_DEV
	s_cmp_lt_u32 s7, 32
	s_cselect_b32 s9, -1, 0
	s_delay_alu instid0(SALU_CYCLE_1) | instskip(SKIP_3) | instid1(VALU_DEP_1)
	s_cmp_lg_u32 s9, 0
	s_add_co_ci_u32 s7, s7, 0
	s_wait_loadcnt 0x0
	v_and_b32_e32 v1, 0xff, v3
	v_cmp_ne_u64_e32 vcc_lo, 0, v[0:1]
	s_cbranch_vccz .LBB1288_4
.LBB1288_7:
	v_mov_b32_e32 v0, 0
	s_clause 0x1
	global_store_b16 v0, v2, s[2:3]
	global_store_d16_hi_b8 v0, v2, s[2:3] offset:2
.LBB1288_8:
	s_wait_xcnt 0x0
	s_or_b32 exec_lo, exec_lo, s8
.LBB1288_9:
	s_delay_alu instid0(SALU_CYCLE_1) | instskip(NEXT) | instid1(VALU_DEP_1)
	s_mov_b32 s0, exec_lo
	v_cmpx_gt_u32_e64 s6, v4
	s_cbranch_execz .LBB1288_11
; %bb.10:
	v_mov_b64_e32 v[0:1], 0
	v_add_nc_u32_e32 v2, 32, v4
	global_store_b64 v2, v[0:1], s[4:5] scale_offset
.LBB1288_11:
	s_wait_xcnt 0x0
	s_or_b32 exec_lo, exec_lo, s0
	s_delay_alu instid0(SALU_CYCLE_1)
	s_mov_b32 s0, exec_lo
	v_cmpx_gt_u32_e32 32, v4
	s_cbranch_execz .LBB1288_13
; %bb.12:
	v_mov_b64_e32 v[0:1], 0xff00000000
	global_store_b64 v4, v[0:1], s[4:5] scale_offset
.LBB1288_13:
	s_endpgm
	.section	.rodata,"a",@progbits
	.p2align	6, 0x0
	.amdhsa_kernel _ZN7rocprim17ROCPRIM_400000_NS6detail30init_device_scan_by_key_kernelINS1_19lookback_scan_stateINS0_5tupleIJtbEEELb1ELb1EEENS1_16block_id_wrapperIjLb0EEEEEvT_jjPNS9_10value_typeET0_
		.amdhsa_group_segment_fixed_size 0
		.amdhsa_private_segment_fixed_size 0
		.amdhsa_kernarg_size 288
		.amdhsa_user_sgpr_count 2
		.amdhsa_user_sgpr_dispatch_ptr 0
		.amdhsa_user_sgpr_queue_ptr 0
		.amdhsa_user_sgpr_kernarg_segment_ptr 1
		.amdhsa_user_sgpr_dispatch_id 0
		.amdhsa_user_sgpr_kernarg_preload_length 0
		.amdhsa_user_sgpr_kernarg_preload_offset 0
		.amdhsa_user_sgpr_private_segment_size 0
		.amdhsa_wavefront_size32 1
		.amdhsa_uses_dynamic_stack 0
		.amdhsa_enable_private_segment 0
		.amdhsa_system_sgpr_workgroup_id_x 1
		.amdhsa_system_sgpr_workgroup_id_y 0
		.amdhsa_system_sgpr_workgroup_id_z 0
		.amdhsa_system_sgpr_workgroup_info 0
		.amdhsa_system_vgpr_workitem_id 0
		.amdhsa_next_free_vgpr 5
		.amdhsa_next_free_sgpr 10
		.amdhsa_named_barrier_count 0
		.amdhsa_reserve_vcc 1
		.amdhsa_float_round_mode_32 0
		.amdhsa_float_round_mode_16_64 0
		.amdhsa_float_denorm_mode_32 3
		.amdhsa_float_denorm_mode_16_64 3
		.amdhsa_fp16_overflow 0
		.amdhsa_memory_ordered 1
		.amdhsa_forward_progress 1
		.amdhsa_inst_pref_size 4
		.amdhsa_round_robin_scheduling 0
		.amdhsa_exception_fp_ieee_invalid_op 0
		.amdhsa_exception_fp_denorm_src 0
		.amdhsa_exception_fp_ieee_div_zero 0
		.amdhsa_exception_fp_ieee_overflow 0
		.amdhsa_exception_fp_ieee_underflow 0
		.amdhsa_exception_fp_ieee_inexact 0
		.amdhsa_exception_int_div_zero 0
	.end_amdhsa_kernel
	.section	.text._ZN7rocprim17ROCPRIM_400000_NS6detail30init_device_scan_by_key_kernelINS1_19lookback_scan_stateINS0_5tupleIJtbEEELb1ELb1EEENS1_16block_id_wrapperIjLb0EEEEEvT_jjPNS9_10value_typeET0_,"axG",@progbits,_ZN7rocprim17ROCPRIM_400000_NS6detail30init_device_scan_by_key_kernelINS1_19lookback_scan_stateINS0_5tupleIJtbEEELb1ELb1EEENS1_16block_id_wrapperIjLb0EEEEEvT_jjPNS9_10value_typeET0_,comdat
.Lfunc_end1288:
	.size	_ZN7rocprim17ROCPRIM_400000_NS6detail30init_device_scan_by_key_kernelINS1_19lookback_scan_stateINS0_5tupleIJtbEEELb1ELb1EEENS1_16block_id_wrapperIjLb0EEEEEvT_jjPNS9_10value_typeET0_, .Lfunc_end1288-_ZN7rocprim17ROCPRIM_400000_NS6detail30init_device_scan_by_key_kernelINS1_19lookback_scan_stateINS0_5tupleIJtbEEELb1ELb1EEENS1_16block_id_wrapperIjLb0EEEEEvT_jjPNS9_10value_typeET0_
                                        ; -- End function
	.set _ZN7rocprim17ROCPRIM_400000_NS6detail30init_device_scan_by_key_kernelINS1_19lookback_scan_stateINS0_5tupleIJtbEEELb1ELb1EEENS1_16block_id_wrapperIjLb0EEEEEvT_jjPNS9_10value_typeET0_.num_vgpr, 5
	.set _ZN7rocprim17ROCPRIM_400000_NS6detail30init_device_scan_by_key_kernelINS1_19lookback_scan_stateINS0_5tupleIJtbEEELb1ELb1EEENS1_16block_id_wrapperIjLb0EEEEEvT_jjPNS9_10value_typeET0_.num_agpr, 0
	.set _ZN7rocprim17ROCPRIM_400000_NS6detail30init_device_scan_by_key_kernelINS1_19lookback_scan_stateINS0_5tupleIJtbEEELb1ELb1EEENS1_16block_id_wrapperIjLb0EEEEEvT_jjPNS9_10value_typeET0_.numbered_sgpr, 10
	.set _ZN7rocprim17ROCPRIM_400000_NS6detail30init_device_scan_by_key_kernelINS1_19lookback_scan_stateINS0_5tupleIJtbEEELb1ELb1EEENS1_16block_id_wrapperIjLb0EEEEEvT_jjPNS9_10value_typeET0_.num_named_barrier, 0
	.set _ZN7rocprim17ROCPRIM_400000_NS6detail30init_device_scan_by_key_kernelINS1_19lookback_scan_stateINS0_5tupleIJtbEEELb1ELb1EEENS1_16block_id_wrapperIjLb0EEEEEvT_jjPNS9_10value_typeET0_.private_seg_size, 0
	.set _ZN7rocprim17ROCPRIM_400000_NS6detail30init_device_scan_by_key_kernelINS1_19lookback_scan_stateINS0_5tupleIJtbEEELb1ELb1EEENS1_16block_id_wrapperIjLb0EEEEEvT_jjPNS9_10value_typeET0_.uses_vcc, 1
	.set _ZN7rocprim17ROCPRIM_400000_NS6detail30init_device_scan_by_key_kernelINS1_19lookback_scan_stateINS0_5tupleIJtbEEELb1ELb1EEENS1_16block_id_wrapperIjLb0EEEEEvT_jjPNS9_10value_typeET0_.uses_flat_scratch, 0
	.set _ZN7rocprim17ROCPRIM_400000_NS6detail30init_device_scan_by_key_kernelINS1_19lookback_scan_stateINS0_5tupleIJtbEEELb1ELb1EEENS1_16block_id_wrapperIjLb0EEEEEvT_jjPNS9_10value_typeET0_.has_dyn_sized_stack, 0
	.set _ZN7rocprim17ROCPRIM_400000_NS6detail30init_device_scan_by_key_kernelINS1_19lookback_scan_stateINS0_5tupleIJtbEEELb1ELb1EEENS1_16block_id_wrapperIjLb0EEEEEvT_jjPNS9_10value_typeET0_.has_recursion, 0
	.set _ZN7rocprim17ROCPRIM_400000_NS6detail30init_device_scan_by_key_kernelINS1_19lookback_scan_stateINS0_5tupleIJtbEEELb1ELb1EEENS1_16block_id_wrapperIjLb0EEEEEvT_jjPNS9_10value_typeET0_.has_indirect_call, 0
	.section	.AMDGPU.csdata,"",@progbits
; Kernel info:
; codeLenInByte = 412
; TotalNumSgprs: 12
; NumVgprs: 5
; ScratchSize: 0
; MemoryBound: 0
; FloatMode: 240
; IeeeMode: 1
; LDSByteSize: 0 bytes/workgroup (compile time only)
; SGPRBlocks: 0
; VGPRBlocks: 0
; NumSGPRsForWavesPerEU: 12
; NumVGPRsForWavesPerEU: 5
; NamedBarCnt: 0
; Occupancy: 16
; WaveLimiterHint : 0
; COMPUTE_PGM_RSRC2:SCRATCH_EN: 0
; COMPUTE_PGM_RSRC2:USER_SGPR: 2
; COMPUTE_PGM_RSRC2:TRAP_HANDLER: 0
; COMPUTE_PGM_RSRC2:TGID_X_EN: 1
; COMPUTE_PGM_RSRC2:TGID_Y_EN: 0
; COMPUTE_PGM_RSRC2:TGID_Z_EN: 0
; COMPUTE_PGM_RSRC2:TIDIG_COMP_CNT: 0
	.section	.text._ZN7rocprim17ROCPRIM_400000_NS6detail17trampoline_kernelINS0_14default_configENS1_27scan_by_key_config_selectorIitEEZZNS1_16scan_by_key_implILNS1_25lookback_scan_determinismE0ELb0ES3_N6thrust23THRUST_200600_302600_NS6detail15normal_iteratorINS9_10device_ptrIiEEEENSB_INSC_ItEEEESG_tNS9_4plusIvEENS9_8equal_toIvEEtEE10hipError_tPvRmT2_T3_T4_T5_mT6_T7_P12ihipStream_tbENKUlT_T0_E_clISt17integral_constantIbLb1EES10_IbLb0EEEEDaSW_SX_EUlSW_E_NS1_11comp_targetILNS1_3genE0ELNS1_11target_archE4294967295ELNS1_3gpuE0ELNS1_3repE0EEENS1_30default_config_static_selectorELNS0_4arch9wavefront6targetE0EEEvT1_,"axG",@progbits,_ZN7rocprim17ROCPRIM_400000_NS6detail17trampoline_kernelINS0_14default_configENS1_27scan_by_key_config_selectorIitEEZZNS1_16scan_by_key_implILNS1_25lookback_scan_determinismE0ELb0ES3_N6thrust23THRUST_200600_302600_NS6detail15normal_iteratorINS9_10device_ptrIiEEEENSB_INSC_ItEEEESG_tNS9_4plusIvEENS9_8equal_toIvEEtEE10hipError_tPvRmT2_T3_T4_T5_mT6_T7_P12ihipStream_tbENKUlT_T0_E_clISt17integral_constantIbLb1EES10_IbLb0EEEEDaSW_SX_EUlSW_E_NS1_11comp_targetILNS1_3genE0ELNS1_11target_archE4294967295ELNS1_3gpuE0ELNS1_3repE0EEENS1_30default_config_static_selectorELNS0_4arch9wavefront6targetE0EEEvT1_,comdat
	.protected	_ZN7rocprim17ROCPRIM_400000_NS6detail17trampoline_kernelINS0_14default_configENS1_27scan_by_key_config_selectorIitEEZZNS1_16scan_by_key_implILNS1_25lookback_scan_determinismE0ELb0ES3_N6thrust23THRUST_200600_302600_NS6detail15normal_iteratorINS9_10device_ptrIiEEEENSB_INSC_ItEEEESG_tNS9_4plusIvEENS9_8equal_toIvEEtEE10hipError_tPvRmT2_T3_T4_T5_mT6_T7_P12ihipStream_tbENKUlT_T0_E_clISt17integral_constantIbLb1EES10_IbLb0EEEEDaSW_SX_EUlSW_E_NS1_11comp_targetILNS1_3genE0ELNS1_11target_archE4294967295ELNS1_3gpuE0ELNS1_3repE0EEENS1_30default_config_static_selectorELNS0_4arch9wavefront6targetE0EEEvT1_ ; -- Begin function _ZN7rocprim17ROCPRIM_400000_NS6detail17trampoline_kernelINS0_14default_configENS1_27scan_by_key_config_selectorIitEEZZNS1_16scan_by_key_implILNS1_25lookback_scan_determinismE0ELb0ES3_N6thrust23THRUST_200600_302600_NS6detail15normal_iteratorINS9_10device_ptrIiEEEENSB_INSC_ItEEEESG_tNS9_4plusIvEENS9_8equal_toIvEEtEE10hipError_tPvRmT2_T3_T4_T5_mT6_T7_P12ihipStream_tbENKUlT_T0_E_clISt17integral_constantIbLb1EES10_IbLb0EEEEDaSW_SX_EUlSW_E_NS1_11comp_targetILNS1_3genE0ELNS1_11target_archE4294967295ELNS1_3gpuE0ELNS1_3repE0EEENS1_30default_config_static_selectorELNS0_4arch9wavefront6targetE0EEEvT1_
	.globl	_ZN7rocprim17ROCPRIM_400000_NS6detail17trampoline_kernelINS0_14default_configENS1_27scan_by_key_config_selectorIitEEZZNS1_16scan_by_key_implILNS1_25lookback_scan_determinismE0ELb0ES3_N6thrust23THRUST_200600_302600_NS6detail15normal_iteratorINS9_10device_ptrIiEEEENSB_INSC_ItEEEESG_tNS9_4plusIvEENS9_8equal_toIvEEtEE10hipError_tPvRmT2_T3_T4_T5_mT6_T7_P12ihipStream_tbENKUlT_T0_E_clISt17integral_constantIbLb1EES10_IbLb0EEEEDaSW_SX_EUlSW_E_NS1_11comp_targetILNS1_3genE0ELNS1_11target_archE4294967295ELNS1_3gpuE0ELNS1_3repE0EEENS1_30default_config_static_selectorELNS0_4arch9wavefront6targetE0EEEvT1_
	.p2align	8
	.type	_ZN7rocprim17ROCPRIM_400000_NS6detail17trampoline_kernelINS0_14default_configENS1_27scan_by_key_config_selectorIitEEZZNS1_16scan_by_key_implILNS1_25lookback_scan_determinismE0ELb0ES3_N6thrust23THRUST_200600_302600_NS6detail15normal_iteratorINS9_10device_ptrIiEEEENSB_INSC_ItEEEESG_tNS9_4plusIvEENS9_8equal_toIvEEtEE10hipError_tPvRmT2_T3_T4_T5_mT6_T7_P12ihipStream_tbENKUlT_T0_E_clISt17integral_constantIbLb1EES10_IbLb0EEEEDaSW_SX_EUlSW_E_NS1_11comp_targetILNS1_3genE0ELNS1_11target_archE4294967295ELNS1_3gpuE0ELNS1_3repE0EEENS1_30default_config_static_selectorELNS0_4arch9wavefront6targetE0EEEvT1_,@function
_ZN7rocprim17ROCPRIM_400000_NS6detail17trampoline_kernelINS0_14default_configENS1_27scan_by_key_config_selectorIitEEZZNS1_16scan_by_key_implILNS1_25lookback_scan_determinismE0ELb0ES3_N6thrust23THRUST_200600_302600_NS6detail15normal_iteratorINS9_10device_ptrIiEEEENSB_INSC_ItEEEESG_tNS9_4plusIvEENS9_8equal_toIvEEtEE10hipError_tPvRmT2_T3_T4_T5_mT6_T7_P12ihipStream_tbENKUlT_T0_E_clISt17integral_constantIbLb1EES10_IbLb0EEEEDaSW_SX_EUlSW_E_NS1_11comp_targetILNS1_3genE0ELNS1_11target_archE4294967295ELNS1_3gpuE0ELNS1_3repE0EEENS1_30default_config_static_selectorELNS0_4arch9wavefront6targetE0EEEvT1_: ; @_ZN7rocprim17ROCPRIM_400000_NS6detail17trampoline_kernelINS0_14default_configENS1_27scan_by_key_config_selectorIitEEZZNS1_16scan_by_key_implILNS1_25lookback_scan_determinismE0ELb0ES3_N6thrust23THRUST_200600_302600_NS6detail15normal_iteratorINS9_10device_ptrIiEEEENSB_INSC_ItEEEESG_tNS9_4plusIvEENS9_8equal_toIvEEtEE10hipError_tPvRmT2_T3_T4_T5_mT6_T7_P12ihipStream_tbENKUlT_T0_E_clISt17integral_constantIbLb1EES10_IbLb0EEEEDaSW_SX_EUlSW_E_NS1_11comp_targetILNS1_3genE0ELNS1_11target_archE4294967295ELNS1_3gpuE0ELNS1_3repE0EEENS1_30default_config_static_selectorELNS0_4arch9wavefront6targetE0EEEvT1_
; %bb.0:
	s_endpgm
	.section	.rodata,"a",@progbits
	.p2align	6, 0x0
	.amdhsa_kernel _ZN7rocprim17ROCPRIM_400000_NS6detail17trampoline_kernelINS0_14default_configENS1_27scan_by_key_config_selectorIitEEZZNS1_16scan_by_key_implILNS1_25lookback_scan_determinismE0ELb0ES3_N6thrust23THRUST_200600_302600_NS6detail15normal_iteratorINS9_10device_ptrIiEEEENSB_INSC_ItEEEESG_tNS9_4plusIvEENS9_8equal_toIvEEtEE10hipError_tPvRmT2_T3_T4_T5_mT6_T7_P12ihipStream_tbENKUlT_T0_E_clISt17integral_constantIbLb1EES10_IbLb0EEEEDaSW_SX_EUlSW_E_NS1_11comp_targetILNS1_3genE0ELNS1_11target_archE4294967295ELNS1_3gpuE0ELNS1_3repE0EEENS1_30default_config_static_selectorELNS0_4arch9wavefront6targetE0EEEvT1_
		.amdhsa_group_segment_fixed_size 0
		.amdhsa_private_segment_fixed_size 0
		.amdhsa_kernarg_size 112
		.amdhsa_user_sgpr_count 2
		.amdhsa_user_sgpr_dispatch_ptr 0
		.amdhsa_user_sgpr_queue_ptr 0
		.amdhsa_user_sgpr_kernarg_segment_ptr 1
		.amdhsa_user_sgpr_dispatch_id 0
		.amdhsa_user_sgpr_kernarg_preload_length 0
		.amdhsa_user_sgpr_kernarg_preload_offset 0
		.amdhsa_user_sgpr_private_segment_size 0
		.amdhsa_wavefront_size32 1
		.amdhsa_uses_dynamic_stack 0
		.amdhsa_enable_private_segment 0
		.amdhsa_system_sgpr_workgroup_id_x 1
		.amdhsa_system_sgpr_workgroup_id_y 0
		.amdhsa_system_sgpr_workgroup_id_z 0
		.amdhsa_system_sgpr_workgroup_info 0
		.amdhsa_system_vgpr_workitem_id 0
		.amdhsa_next_free_vgpr 1
		.amdhsa_next_free_sgpr 1
		.amdhsa_named_barrier_count 0
		.amdhsa_reserve_vcc 0
		.amdhsa_float_round_mode_32 0
		.amdhsa_float_round_mode_16_64 0
		.amdhsa_float_denorm_mode_32 3
		.amdhsa_float_denorm_mode_16_64 3
		.amdhsa_fp16_overflow 0
		.amdhsa_memory_ordered 1
		.amdhsa_forward_progress 1
		.amdhsa_inst_pref_size 1
		.amdhsa_round_robin_scheduling 0
		.amdhsa_exception_fp_ieee_invalid_op 0
		.amdhsa_exception_fp_denorm_src 0
		.amdhsa_exception_fp_ieee_div_zero 0
		.amdhsa_exception_fp_ieee_overflow 0
		.amdhsa_exception_fp_ieee_underflow 0
		.amdhsa_exception_fp_ieee_inexact 0
		.amdhsa_exception_int_div_zero 0
	.end_amdhsa_kernel
	.section	.text._ZN7rocprim17ROCPRIM_400000_NS6detail17trampoline_kernelINS0_14default_configENS1_27scan_by_key_config_selectorIitEEZZNS1_16scan_by_key_implILNS1_25lookback_scan_determinismE0ELb0ES3_N6thrust23THRUST_200600_302600_NS6detail15normal_iteratorINS9_10device_ptrIiEEEENSB_INSC_ItEEEESG_tNS9_4plusIvEENS9_8equal_toIvEEtEE10hipError_tPvRmT2_T3_T4_T5_mT6_T7_P12ihipStream_tbENKUlT_T0_E_clISt17integral_constantIbLb1EES10_IbLb0EEEEDaSW_SX_EUlSW_E_NS1_11comp_targetILNS1_3genE0ELNS1_11target_archE4294967295ELNS1_3gpuE0ELNS1_3repE0EEENS1_30default_config_static_selectorELNS0_4arch9wavefront6targetE0EEEvT1_,"axG",@progbits,_ZN7rocprim17ROCPRIM_400000_NS6detail17trampoline_kernelINS0_14default_configENS1_27scan_by_key_config_selectorIitEEZZNS1_16scan_by_key_implILNS1_25lookback_scan_determinismE0ELb0ES3_N6thrust23THRUST_200600_302600_NS6detail15normal_iteratorINS9_10device_ptrIiEEEENSB_INSC_ItEEEESG_tNS9_4plusIvEENS9_8equal_toIvEEtEE10hipError_tPvRmT2_T3_T4_T5_mT6_T7_P12ihipStream_tbENKUlT_T0_E_clISt17integral_constantIbLb1EES10_IbLb0EEEEDaSW_SX_EUlSW_E_NS1_11comp_targetILNS1_3genE0ELNS1_11target_archE4294967295ELNS1_3gpuE0ELNS1_3repE0EEENS1_30default_config_static_selectorELNS0_4arch9wavefront6targetE0EEEvT1_,comdat
.Lfunc_end1289:
	.size	_ZN7rocprim17ROCPRIM_400000_NS6detail17trampoline_kernelINS0_14default_configENS1_27scan_by_key_config_selectorIitEEZZNS1_16scan_by_key_implILNS1_25lookback_scan_determinismE0ELb0ES3_N6thrust23THRUST_200600_302600_NS6detail15normal_iteratorINS9_10device_ptrIiEEEENSB_INSC_ItEEEESG_tNS9_4plusIvEENS9_8equal_toIvEEtEE10hipError_tPvRmT2_T3_T4_T5_mT6_T7_P12ihipStream_tbENKUlT_T0_E_clISt17integral_constantIbLb1EES10_IbLb0EEEEDaSW_SX_EUlSW_E_NS1_11comp_targetILNS1_3genE0ELNS1_11target_archE4294967295ELNS1_3gpuE0ELNS1_3repE0EEENS1_30default_config_static_selectorELNS0_4arch9wavefront6targetE0EEEvT1_, .Lfunc_end1289-_ZN7rocprim17ROCPRIM_400000_NS6detail17trampoline_kernelINS0_14default_configENS1_27scan_by_key_config_selectorIitEEZZNS1_16scan_by_key_implILNS1_25lookback_scan_determinismE0ELb0ES3_N6thrust23THRUST_200600_302600_NS6detail15normal_iteratorINS9_10device_ptrIiEEEENSB_INSC_ItEEEESG_tNS9_4plusIvEENS9_8equal_toIvEEtEE10hipError_tPvRmT2_T3_T4_T5_mT6_T7_P12ihipStream_tbENKUlT_T0_E_clISt17integral_constantIbLb1EES10_IbLb0EEEEDaSW_SX_EUlSW_E_NS1_11comp_targetILNS1_3genE0ELNS1_11target_archE4294967295ELNS1_3gpuE0ELNS1_3repE0EEENS1_30default_config_static_selectorELNS0_4arch9wavefront6targetE0EEEvT1_
                                        ; -- End function
	.set _ZN7rocprim17ROCPRIM_400000_NS6detail17trampoline_kernelINS0_14default_configENS1_27scan_by_key_config_selectorIitEEZZNS1_16scan_by_key_implILNS1_25lookback_scan_determinismE0ELb0ES3_N6thrust23THRUST_200600_302600_NS6detail15normal_iteratorINS9_10device_ptrIiEEEENSB_INSC_ItEEEESG_tNS9_4plusIvEENS9_8equal_toIvEEtEE10hipError_tPvRmT2_T3_T4_T5_mT6_T7_P12ihipStream_tbENKUlT_T0_E_clISt17integral_constantIbLb1EES10_IbLb0EEEEDaSW_SX_EUlSW_E_NS1_11comp_targetILNS1_3genE0ELNS1_11target_archE4294967295ELNS1_3gpuE0ELNS1_3repE0EEENS1_30default_config_static_selectorELNS0_4arch9wavefront6targetE0EEEvT1_.num_vgpr, 0
	.set _ZN7rocprim17ROCPRIM_400000_NS6detail17trampoline_kernelINS0_14default_configENS1_27scan_by_key_config_selectorIitEEZZNS1_16scan_by_key_implILNS1_25lookback_scan_determinismE0ELb0ES3_N6thrust23THRUST_200600_302600_NS6detail15normal_iteratorINS9_10device_ptrIiEEEENSB_INSC_ItEEEESG_tNS9_4plusIvEENS9_8equal_toIvEEtEE10hipError_tPvRmT2_T3_T4_T5_mT6_T7_P12ihipStream_tbENKUlT_T0_E_clISt17integral_constantIbLb1EES10_IbLb0EEEEDaSW_SX_EUlSW_E_NS1_11comp_targetILNS1_3genE0ELNS1_11target_archE4294967295ELNS1_3gpuE0ELNS1_3repE0EEENS1_30default_config_static_selectorELNS0_4arch9wavefront6targetE0EEEvT1_.num_agpr, 0
	.set _ZN7rocprim17ROCPRIM_400000_NS6detail17trampoline_kernelINS0_14default_configENS1_27scan_by_key_config_selectorIitEEZZNS1_16scan_by_key_implILNS1_25lookback_scan_determinismE0ELb0ES3_N6thrust23THRUST_200600_302600_NS6detail15normal_iteratorINS9_10device_ptrIiEEEENSB_INSC_ItEEEESG_tNS9_4plusIvEENS9_8equal_toIvEEtEE10hipError_tPvRmT2_T3_T4_T5_mT6_T7_P12ihipStream_tbENKUlT_T0_E_clISt17integral_constantIbLb1EES10_IbLb0EEEEDaSW_SX_EUlSW_E_NS1_11comp_targetILNS1_3genE0ELNS1_11target_archE4294967295ELNS1_3gpuE0ELNS1_3repE0EEENS1_30default_config_static_selectorELNS0_4arch9wavefront6targetE0EEEvT1_.numbered_sgpr, 0
	.set _ZN7rocprim17ROCPRIM_400000_NS6detail17trampoline_kernelINS0_14default_configENS1_27scan_by_key_config_selectorIitEEZZNS1_16scan_by_key_implILNS1_25lookback_scan_determinismE0ELb0ES3_N6thrust23THRUST_200600_302600_NS6detail15normal_iteratorINS9_10device_ptrIiEEEENSB_INSC_ItEEEESG_tNS9_4plusIvEENS9_8equal_toIvEEtEE10hipError_tPvRmT2_T3_T4_T5_mT6_T7_P12ihipStream_tbENKUlT_T0_E_clISt17integral_constantIbLb1EES10_IbLb0EEEEDaSW_SX_EUlSW_E_NS1_11comp_targetILNS1_3genE0ELNS1_11target_archE4294967295ELNS1_3gpuE0ELNS1_3repE0EEENS1_30default_config_static_selectorELNS0_4arch9wavefront6targetE0EEEvT1_.num_named_barrier, 0
	.set _ZN7rocprim17ROCPRIM_400000_NS6detail17trampoline_kernelINS0_14default_configENS1_27scan_by_key_config_selectorIitEEZZNS1_16scan_by_key_implILNS1_25lookback_scan_determinismE0ELb0ES3_N6thrust23THRUST_200600_302600_NS6detail15normal_iteratorINS9_10device_ptrIiEEEENSB_INSC_ItEEEESG_tNS9_4plusIvEENS9_8equal_toIvEEtEE10hipError_tPvRmT2_T3_T4_T5_mT6_T7_P12ihipStream_tbENKUlT_T0_E_clISt17integral_constantIbLb1EES10_IbLb0EEEEDaSW_SX_EUlSW_E_NS1_11comp_targetILNS1_3genE0ELNS1_11target_archE4294967295ELNS1_3gpuE0ELNS1_3repE0EEENS1_30default_config_static_selectorELNS0_4arch9wavefront6targetE0EEEvT1_.private_seg_size, 0
	.set _ZN7rocprim17ROCPRIM_400000_NS6detail17trampoline_kernelINS0_14default_configENS1_27scan_by_key_config_selectorIitEEZZNS1_16scan_by_key_implILNS1_25lookback_scan_determinismE0ELb0ES3_N6thrust23THRUST_200600_302600_NS6detail15normal_iteratorINS9_10device_ptrIiEEEENSB_INSC_ItEEEESG_tNS9_4plusIvEENS9_8equal_toIvEEtEE10hipError_tPvRmT2_T3_T4_T5_mT6_T7_P12ihipStream_tbENKUlT_T0_E_clISt17integral_constantIbLb1EES10_IbLb0EEEEDaSW_SX_EUlSW_E_NS1_11comp_targetILNS1_3genE0ELNS1_11target_archE4294967295ELNS1_3gpuE0ELNS1_3repE0EEENS1_30default_config_static_selectorELNS0_4arch9wavefront6targetE0EEEvT1_.uses_vcc, 0
	.set _ZN7rocprim17ROCPRIM_400000_NS6detail17trampoline_kernelINS0_14default_configENS1_27scan_by_key_config_selectorIitEEZZNS1_16scan_by_key_implILNS1_25lookback_scan_determinismE0ELb0ES3_N6thrust23THRUST_200600_302600_NS6detail15normal_iteratorINS9_10device_ptrIiEEEENSB_INSC_ItEEEESG_tNS9_4plusIvEENS9_8equal_toIvEEtEE10hipError_tPvRmT2_T3_T4_T5_mT6_T7_P12ihipStream_tbENKUlT_T0_E_clISt17integral_constantIbLb1EES10_IbLb0EEEEDaSW_SX_EUlSW_E_NS1_11comp_targetILNS1_3genE0ELNS1_11target_archE4294967295ELNS1_3gpuE0ELNS1_3repE0EEENS1_30default_config_static_selectorELNS0_4arch9wavefront6targetE0EEEvT1_.uses_flat_scratch, 0
	.set _ZN7rocprim17ROCPRIM_400000_NS6detail17trampoline_kernelINS0_14default_configENS1_27scan_by_key_config_selectorIitEEZZNS1_16scan_by_key_implILNS1_25lookback_scan_determinismE0ELb0ES3_N6thrust23THRUST_200600_302600_NS6detail15normal_iteratorINS9_10device_ptrIiEEEENSB_INSC_ItEEEESG_tNS9_4plusIvEENS9_8equal_toIvEEtEE10hipError_tPvRmT2_T3_T4_T5_mT6_T7_P12ihipStream_tbENKUlT_T0_E_clISt17integral_constantIbLb1EES10_IbLb0EEEEDaSW_SX_EUlSW_E_NS1_11comp_targetILNS1_3genE0ELNS1_11target_archE4294967295ELNS1_3gpuE0ELNS1_3repE0EEENS1_30default_config_static_selectorELNS0_4arch9wavefront6targetE0EEEvT1_.has_dyn_sized_stack, 0
	.set _ZN7rocprim17ROCPRIM_400000_NS6detail17trampoline_kernelINS0_14default_configENS1_27scan_by_key_config_selectorIitEEZZNS1_16scan_by_key_implILNS1_25lookback_scan_determinismE0ELb0ES3_N6thrust23THRUST_200600_302600_NS6detail15normal_iteratorINS9_10device_ptrIiEEEENSB_INSC_ItEEEESG_tNS9_4plusIvEENS9_8equal_toIvEEtEE10hipError_tPvRmT2_T3_T4_T5_mT6_T7_P12ihipStream_tbENKUlT_T0_E_clISt17integral_constantIbLb1EES10_IbLb0EEEEDaSW_SX_EUlSW_E_NS1_11comp_targetILNS1_3genE0ELNS1_11target_archE4294967295ELNS1_3gpuE0ELNS1_3repE0EEENS1_30default_config_static_selectorELNS0_4arch9wavefront6targetE0EEEvT1_.has_recursion, 0
	.set _ZN7rocprim17ROCPRIM_400000_NS6detail17trampoline_kernelINS0_14default_configENS1_27scan_by_key_config_selectorIitEEZZNS1_16scan_by_key_implILNS1_25lookback_scan_determinismE0ELb0ES3_N6thrust23THRUST_200600_302600_NS6detail15normal_iteratorINS9_10device_ptrIiEEEENSB_INSC_ItEEEESG_tNS9_4plusIvEENS9_8equal_toIvEEtEE10hipError_tPvRmT2_T3_T4_T5_mT6_T7_P12ihipStream_tbENKUlT_T0_E_clISt17integral_constantIbLb1EES10_IbLb0EEEEDaSW_SX_EUlSW_E_NS1_11comp_targetILNS1_3genE0ELNS1_11target_archE4294967295ELNS1_3gpuE0ELNS1_3repE0EEENS1_30default_config_static_selectorELNS0_4arch9wavefront6targetE0EEEvT1_.has_indirect_call, 0
	.section	.AMDGPU.csdata,"",@progbits
; Kernel info:
; codeLenInByte = 4
; TotalNumSgprs: 0
; NumVgprs: 0
; ScratchSize: 0
; MemoryBound: 0
; FloatMode: 240
; IeeeMode: 1
; LDSByteSize: 0 bytes/workgroup (compile time only)
; SGPRBlocks: 0
; VGPRBlocks: 0
; NumSGPRsForWavesPerEU: 1
; NumVGPRsForWavesPerEU: 1
; NamedBarCnt: 0
; Occupancy: 16
; WaveLimiterHint : 0
; COMPUTE_PGM_RSRC2:SCRATCH_EN: 0
; COMPUTE_PGM_RSRC2:USER_SGPR: 2
; COMPUTE_PGM_RSRC2:TRAP_HANDLER: 0
; COMPUTE_PGM_RSRC2:TGID_X_EN: 1
; COMPUTE_PGM_RSRC2:TGID_Y_EN: 0
; COMPUTE_PGM_RSRC2:TGID_Z_EN: 0
; COMPUTE_PGM_RSRC2:TIDIG_COMP_CNT: 0
	.section	.text._ZN7rocprim17ROCPRIM_400000_NS6detail17trampoline_kernelINS0_14default_configENS1_27scan_by_key_config_selectorIitEEZZNS1_16scan_by_key_implILNS1_25lookback_scan_determinismE0ELb0ES3_N6thrust23THRUST_200600_302600_NS6detail15normal_iteratorINS9_10device_ptrIiEEEENSB_INSC_ItEEEESG_tNS9_4plusIvEENS9_8equal_toIvEEtEE10hipError_tPvRmT2_T3_T4_T5_mT6_T7_P12ihipStream_tbENKUlT_T0_E_clISt17integral_constantIbLb1EES10_IbLb0EEEEDaSW_SX_EUlSW_E_NS1_11comp_targetILNS1_3genE10ELNS1_11target_archE1201ELNS1_3gpuE5ELNS1_3repE0EEENS1_30default_config_static_selectorELNS0_4arch9wavefront6targetE0EEEvT1_,"axG",@progbits,_ZN7rocprim17ROCPRIM_400000_NS6detail17trampoline_kernelINS0_14default_configENS1_27scan_by_key_config_selectorIitEEZZNS1_16scan_by_key_implILNS1_25lookback_scan_determinismE0ELb0ES3_N6thrust23THRUST_200600_302600_NS6detail15normal_iteratorINS9_10device_ptrIiEEEENSB_INSC_ItEEEESG_tNS9_4plusIvEENS9_8equal_toIvEEtEE10hipError_tPvRmT2_T3_T4_T5_mT6_T7_P12ihipStream_tbENKUlT_T0_E_clISt17integral_constantIbLb1EES10_IbLb0EEEEDaSW_SX_EUlSW_E_NS1_11comp_targetILNS1_3genE10ELNS1_11target_archE1201ELNS1_3gpuE5ELNS1_3repE0EEENS1_30default_config_static_selectorELNS0_4arch9wavefront6targetE0EEEvT1_,comdat
	.protected	_ZN7rocprim17ROCPRIM_400000_NS6detail17trampoline_kernelINS0_14default_configENS1_27scan_by_key_config_selectorIitEEZZNS1_16scan_by_key_implILNS1_25lookback_scan_determinismE0ELb0ES3_N6thrust23THRUST_200600_302600_NS6detail15normal_iteratorINS9_10device_ptrIiEEEENSB_INSC_ItEEEESG_tNS9_4plusIvEENS9_8equal_toIvEEtEE10hipError_tPvRmT2_T3_T4_T5_mT6_T7_P12ihipStream_tbENKUlT_T0_E_clISt17integral_constantIbLb1EES10_IbLb0EEEEDaSW_SX_EUlSW_E_NS1_11comp_targetILNS1_3genE10ELNS1_11target_archE1201ELNS1_3gpuE5ELNS1_3repE0EEENS1_30default_config_static_selectorELNS0_4arch9wavefront6targetE0EEEvT1_ ; -- Begin function _ZN7rocprim17ROCPRIM_400000_NS6detail17trampoline_kernelINS0_14default_configENS1_27scan_by_key_config_selectorIitEEZZNS1_16scan_by_key_implILNS1_25lookback_scan_determinismE0ELb0ES3_N6thrust23THRUST_200600_302600_NS6detail15normal_iteratorINS9_10device_ptrIiEEEENSB_INSC_ItEEEESG_tNS9_4plusIvEENS9_8equal_toIvEEtEE10hipError_tPvRmT2_T3_T4_T5_mT6_T7_P12ihipStream_tbENKUlT_T0_E_clISt17integral_constantIbLb1EES10_IbLb0EEEEDaSW_SX_EUlSW_E_NS1_11comp_targetILNS1_3genE10ELNS1_11target_archE1201ELNS1_3gpuE5ELNS1_3repE0EEENS1_30default_config_static_selectorELNS0_4arch9wavefront6targetE0EEEvT1_
	.globl	_ZN7rocprim17ROCPRIM_400000_NS6detail17trampoline_kernelINS0_14default_configENS1_27scan_by_key_config_selectorIitEEZZNS1_16scan_by_key_implILNS1_25lookback_scan_determinismE0ELb0ES3_N6thrust23THRUST_200600_302600_NS6detail15normal_iteratorINS9_10device_ptrIiEEEENSB_INSC_ItEEEESG_tNS9_4plusIvEENS9_8equal_toIvEEtEE10hipError_tPvRmT2_T3_T4_T5_mT6_T7_P12ihipStream_tbENKUlT_T0_E_clISt17integral_constantIbLb1EES10_IbLb0EEEEDaSW_SX_EUlSW_E_NS1_11comp_targetILNS1_3genE10ELNS1_11target_archE1201ELNS1_3gpuE5ELNS1_3repE0EEENS1_30default_config_static_selectorELNS0_4arch9wavefront6targetE0EEEvT1_
	.p2align	8
	.type	_ZN7rocprim17ROCPRIM_400000_NS6detail17trampoline_kernelINS0_14default_configENS1_27scan_by_key_config_selectorIitEEZZNS1_16scan_by_key_implILNS1_25lookback_scan_determinismE0ELb0ES3_N6thrust23THRUST_200600_302600_NS6detail15normal_iteratorINS9_10device_ptrIiEEEENSB_INSC_ItEEEESG_tNS9_4plusIvEENS9_8equal_toIvEEtEE10hipError_tPvRmT2_T3_T4_T5_mT6_T7_P12ihipStream_tbENKUlT_T0_E_clISt17integral_constantIbLb1EES10_IbLb0EEEEDaSW_SX_EUlSW_E_NS1_11comp_targetILNS1_3genE10ELNS1_11target_archE1201ELNS1_3gpuE5ELNS1_3repE0EEENS1_30default_config_static_selectorELNS0_4arch9wavefront6targetE0EEEvT1_,@function
_ZN7rocprim17ROCPRIM_400000_NS6detail17trampoline_kernelINS0_14default_configENS1_27scan_by_key_config_selectorIitEEZZNS1_16scan_by_key_implILNS1_25lookback_scan_determinismE0ELb0ES3_N6thrust23THRUST_200600_302600_NS6detail15normal_iteratorINS9_10device_ptrIiEEEENSB_INSC_ItEEEESG_tNS9_4plusIvEENS9_8equal_toIvEEtEE10hipError_tPvRmT2_T3_T4_T5_mT6_T7_P12ihipStream_tbENKUlT_T0_E_clISt17integral_constantIbLb1EES10_IbLb0EEEEDaSW_SX_EUlSW_E_NS1_11comp_targetILNS1_3genE10ELNS1_11target_archE1201ELNS1_3gpuE5ELNS1_3repE0EEENS1_30default_config_static_selectorELNS0_4arch9wavefront6targetE0EEEvT1_: ; @_ZN7rocprim17ROCPRIM_400000_NS6detail17trampoline_kernelINS0_14default_configENS1_27scan_by_key_config_selectorIitEEZZNS1_16scan_by_key_implILNS1_25lookback_scan_determinismE0ELb0ES3_N6thrust23THRUST_200600_302600_NS6detail15normal_iteratorINS9_10device_ptrIiEEEENSB_INSC_ItEEEESG_tNS9_4plusIvEENS9_8equal_toIvEEtEE10hipError_tPvRmT2_T3_T4_T5_mT6_T7_P12ihipStream_tbENKUlT_T0_E_clISt17integral_constantIbLb1EES10_IbLb0EEEEDaSW_SX_EUlSW_E_NS1_11comp_targetILNS1_3genE10ELNS1_11target_archE1201ELNS1_3gpuE5ELNS1_3repE0EEENS1_30default_config_static_selectorELNS0_4arch9wavefront6targetE0EEEvT1_
; %bb.0:
	.section	.rodata,"a",@progbits
	.p2align	6, 0x0
	.amdhsa_kernel _ZN7rocprim17ROCPRIM_400000_NS6detail17trampoline_kernelINS0_14default_configENS1_27scan_by_key_config_selectorIitEEZZNS1_16scan_by_key_implILNS1_25lookback_scan_determinismE0ELb0ES3_N6thrust23THRUST_200600_302600_NS6detail15normal_iteratorINS9_10device_ptrIiEEEENSB_INSC_ItEEEESG_tNS9_4plusIvEENS9_8equal_toIvEEtEE10hipError_tPvRmT2_T3_T4_T5_mT6_T7_P12ihipStream_tbENKUlT_T0_E_clISt17integral_constantIbLb1EES10_IbLb0EEEEDaSW_SX_EUlSW_E_NS1_11comp_targetILNS1_3genE10ELNS1_11target_archE1201ELNS1_3gpuE5ELNS1_3repE0EEENS1_30default_config_static_selectorELNS0_4arch9wavefront6targetE0EEEvT1_
		.amdhsa_group_segment_fixed_size 0
		.amdhsa_private_segment_fixed_size 0
		.amdhsa_kernarg_size 112
		.amdhsa_user_sgpr_count 2
		.amdhsa_user_sgpr_dispatch_ptr 0
		.amdhsa_user_sgpr_queue_ptr 0
		.amdhsa_user_sgpr_kernarg_segment_ptr 1
		.amdhsa_user_sgpr_dispatch_id 0
		.amdhsa_user_sgpr_kernarg_preload_length 0
		.amdhsa_user_sgpr_kernarg_preload_offset 0
		.amdhsa_user_sgpr_private_segment_size 0
		.amdhsa_wavefront_size32 1
		.amdhsa_uses_dynamic_stack 0
		.amdhsa_enable_private_segment 0
		.amdhsa_system_sgpr_workgroup_id_x 1
		.amdhsa_system_sgpr_workgroup_id_y 0
		.amdhsa_system_sgpr_workgroup_id_z 0
		.amdhsa_system_sgpr_workgroup_info 0
		.amdhsa_system_vgpr_workitem_id 0
		.amdhsa_next_free_vgpr 1
		.amdhsa_next_free_sgpr 1
		.amdhsa_named_barrier_count 0
		.amdhsa_reserve_vcc 0
		.amdhsa_float_round_mode_32 0
		.amdhsa_float_round_mode_16_64 0
		.amdhsa_float_denorm_mode_32 3
		.amdhsa_float_denorm_mode_16_64 3
		.amdhsa_fp16_overflow 0
		.amdhsa_memory_ordered 1
		.amdhsa_forward_progress 1
		.amdhsa_inst_pref_size 0
		.amdhsa_round_robin_scheduling 0
		.amdhsa_exception_fp_ieee_invalid_op 0
		.amdhsa_exception_fp_denorm_src 0
		.amdhsa_exception_fp_ieee_div_zero 0
		.amdhsa_exception_fp_ieee_overflow 0
		.amdhsa_exception_fp_ieee_underflow 0
		.amdhsa_exception_fp_ieee_inexact 0
		.amdhsa_exception_int_div_zero 0
	.end_amdhsa_kernel
	.section	.text._ZN7rocprim17ROCPRIM_400000_NS6detail17trampoline_kernelINS0_14default_configENS1_27scan_by_key_config_selectorIitEEZZNS1_16scan_by_key_implILNS1_25lookback_scan_determinismE0ELb0ES3_N6thrust23THRUST_200600_302600_NS6detail15normal_iteratorINS9_10device_ptrIiEEEENSB_INSC_ItEEEESG_tNS9_4plusIvEENS9_8equal_toIvEEtEE10hipError_tPvRmT2_T3_T4_T5_mT6_T7_P12ihipStream_tbENKUlT_T0_E_clISt17integral_constantIbLb1EES10_IbLb0EEEEDaSW_SX_EUlSW_E_NS1_11comp_targetILNS1_3genE10ELNS1_11target_archE1201ELNS1_3gpuE5ELNS1_3repE0EEENS1_30default_config_static_selectorELNS0_4arch9wavefront6targetE0EEEvT1_,"axG",@progbits,_ZN7rocprim17ROCPRIM_400000_NS6detail17trampoline_kernelINS0_14default_configENS1_27scan_by_key_config_selectorIitEEZZNS1_16scan_by_key_implILNS1_25lookback_scan_determinismE0ELb0ES3_N6thrust23THRUST_200600_302600_NS6detail15normal_iteratorINS9_10device_ptrIiEEEENSB_INSC_ItEEEESG_tNS9_4plusIvEENS9_8equal_toIvEEtEE10hipError_tPvRmT2_T3_T4_T5_mT6_T7_P12ihipStream_tbENKUlT_T0_E_clISt17integral_constantIbLb1EES10_IbLb0EEEEDaSW_SX_EUlSW_E_NS1_11comp_targetILNS1_3genE10ELNS1_11target_archE1201ELNS1_3gpuE5ELNS1_3repE0EEENS1_30default_config_static_selectorELNS0_4arch9wavefront6targetE0EEEvT1_,comdat
.Lfunc_end1290:
	.size	_ZN7rocprim17ROCPRIM_400000_NS6detail17trampoline_kernelINS0_14default_configENS1_27scan_by_key_config_selectorIitEEZZNS1_16scan_by_key_implILNS1_25lookback_scan_determinismE0ELb0ES3_N6thrust23THRUST_200600_302600_NS6detail15normal_iteratorINS9_10device_ptrIiEEEENSB_INSC_ItEEEESG_tNS9_4plusIvEENS9_8equal_toIvEEtEE10hipError_tPvRmT2_T3_T4_T5_mT6_T7_P12ihipStream_tbENKUlT_T0_E_clISt17integral_constantIbLb1EES10_IbLb0EEEEDaSW_SX_EUlSW_E_NS1_11comp_targetILNS1_3genE10ELNS1_11target_archE1201ELNS1_3gpuE5ELNS1_3repE0EEENS1_30default_config_static_selectorELNS0_4arch9wavefront6targetE0EEEvT1_, .Lfunc_end1290-_ZN7rocprim17ROCPRIM_400000_NS6detail17trampoline_kernelINS0_14default_configENS1_27scan_by_key_config_selectorIitEEZZNS1_16scan_by_key_implILNS1_25lookback_scan_determinismE0ELb0ES3_N6thrust23THRUST_200600_302600_NS6detail15normal_iteratorINS9_10device_ptrIiEEEENSB_INSC_ItEEEESG_tNS9_4plusIvEENS9_8equal_toIvEEtEE10hipError_tPvRmT2_T3_T4_T5_mT6_T7_P12ihipStream_tbENKUlT_T0_E_clISt17integral_constantIbLb1EES10_IbLb0EEEEDaSW_SX_EUlSW_E_NS1_11comp_targetILNS1_3genE10ELNS1_11target_archE1201ELNS1_3gpuE5ELNS1_3repE0EEENS1_30default_config_static_selectorELNS0_4arch9wavefront6targetE0EEEvT1_
                                        ; -- End function
	.set _ZN7rocprim17ROCPRIM_400000_NS6detail17trampoline_kernelINS0_14default_configENS1_27scan_by_key_config_selectorIitEEZZNS1_16scan_by_key_implILNS1_25lookback_scan_determinismE0ELb0ES3_N6thrust23THRUST_200600_302600_NS6detail15normal_iteratorINS9_10device_ptrIiEEEENSB_INSC_ItEEEESG_tNS9_4plusIvEENS9_8equal_toIvEEtEE10hipError_tPvRmT2_T3_T4_T5_mT6_T7_P12ihipStream_tbENKUlT_T0_E_clISt17integral_constantIbLb1EES10_IbLb0EEEEDaSW_SX_EUlSW_E_NS1_11comp_targetILNS1_3genE10ELNS1_11target_archE1201ELNS1_3gpuE5ELNS1_3repE0EEENS1_30default_config_static_selectorELNS0_4arch9wavefront6targetE0EEEvT1_.num_vgpr, 0
	.set _ZN7rocprim17ROCPRIM_400000_NS6detail17trampoline_kernelINS0_14default_configENS1_27scan_by_key_config_selectorIitEEZZNS1_16scan_by_key_implILNS1_25lookback_scan_determinismE0ELb0ES3_N6thrust23THRUST_200600_302600_NS6detail15normal_iteratorINS9_10device_ptrIiEEEENSB_INSC_ItEEEESG_tNS9_4plusIvEENS9_8equal_toIvEEtEE10hipError_tPvRmT2_T3_T4_T5_mT6_T7_P12ihipStream_tbENKUlT_T0_E_clISt17integral_constantIbLb1EES10_IbLb0EEEEDaSW_SX_EUlSW_E_NS1_11comp_targetILNS1_3genE10ELNS1_11target_archE1201ELNS1_3gpuE5ELNS1_3repE0EEENS1_30default_config_static_selectorELNS0_4arch9wavefront6targetE0EEEvT1_.num_agpr, 0
	.set _ZN7rocprim17ROCPRIM_400000_NS6detail17trampoline_kernelINS0_14default_configENS1_27scan_by_key_config_selectorIitEEZZNS1_16scan_by_key_implILNS1_25lookback_scan_determinismE0ELb0ES3_N6thrust23THRUST_200600_302600_NS6detail15normal_iteratorINS9_10device_ptrIiEEEENSB_INSC_ItEEEESG_tNS9_4plusIvEENS9_8equal_toIvEEtEE10hipError_tPvRmT2_T3_T4_T5_mT6_T7_P12ihipStream_tbENKUlT_T0_E_clISt17integral_constantIbLb1EES10_IbLb0EEEEDaSW_SX_EUlSW_E_NS1_11comp_targetILNS1_3genE10ELNS1_11target_archE1201ELNS1_3gpuE5ELNS1_3repE0EEENS1_30default_config_static_selectorELNS0_4arch9wavefront6targetE0EEEvT1_.numbered_sgpr, 0
	.set _ZN7rocprim17ROCPRIM_400000_NS6detail17trampoline_kernelINS0_14default_configENS1_27scan_by_key_config_selectorIitEEZZNS1_16scan_by_key_implILNS1_25lookback_scan_determinismE0ELb0ES3_N6thrust23THRUST_200600_302600_NS6detail15normal_iteratorINS9_10device_ptrIiEEEENSB_INSC_ItEEEESG_tNS9_4plusIvEENS9_8equal_toIvEEtEE10hipError_tPvRmT2_T3_T4_T5_mT6_T7_P12ihipStream_tbENKUlT_T0_E_clISt17integral_constantIbLb1EES10_IbLb0EEEEDaSW_SX_EUlSW_E_NS1_11comp_targetILNS1_3genE10ELNS1_11target_archE1201ELNS1_3gpuE5ELNS1_3repE0EEENS1_30default_config_static_selectorELNS0_4arch9wavefront6targetE0EEEvT1_.num_named_barrier, 0
	.set _ZN7rocprim17ROCPRIM_400000_NS6detail17trampoline_kernelINS0_14default_configENS1_27scan_by_key_config_selectorIitEEZZNS1_16scan_by_key_implILNS1_25lookback_scan_determinismE0ELb0ES3_N6thrust23THRUST_200600_302600_NS6detail15normal_iteratorINS9_10device_ptrIiEEEENSB_INSC_ItEEEESG_tNS9_4plusIvEENS9_8equal_toIvEEtEE10hipError_tPvRmT2_T3_T4_T5_mT6_T7_P12ihipStream_tbENKUlT_T0_E_clISt17integral_constantIbLb1EES10_IbLb0EEEEDaSW_SX_EUlSW_E_NS1_11comp_targetILNS1_3genE10ELNS1_11target_archE1201ELNS1_3gpuE5ELNS1_3repE0EEENS1_30default_config_static_selectorELNS0_4arch9wavefront6targetE0EEEvT1_.private_seg_size, 0
	.set _ZN7rocprim17ROCPRIM_400000_NS6detail17trampoline_kernelINS0_14default_configENS1_27scan_by_key_config_selectorIitEEZZNS1_16scan_by_key_implILNS1_25lookback_scan_determinismE0ELb0ES3_N6thrust23THRUST_200600_302600_NS6detail15normal_iteratorINS9_10device_ptrIiEEEENSB_INSC_ItEEEESG_tNS9_4plusIvEENS9_8equal_toIvEEtEE10hipError_tPvRmT2_T3_T4_T5_mT6_T7_P12ihipStream_tbENKUlT_T0_E_clISt17integral_constantIbLb1EES10_IbLb0EEEEDaSW_SX_EUlSW_E_NS1_11comp_targetILNS1_3genE10ELNS1_11target_archE1201ELNS1_3gpuE5ELNS1_3repE0EEENS1_30default_config_static_selectorELNS0_4arch9wavefront6targetE0EEEvT1_.uses_vcc, 0
	.set _ZN7rocprim17ROCPRIM_400000_NS6detail17trampoline_kernelINS0_14default_configENS1_27scan_by_key_config_selectorIitEEZZNS1_16scan_by_key_implILNS1_25lookback_scan_determinismE0ELb0ES3_N6thrust23THRUST_200600_302600_NS6detail15normal_iteratorINS9_10device_ptrIiEEEENSB_INSC_ItEEEESG_tNS9_4plusIvEENS9_8equal_toIvEEtEE10hipError_tPvRmT2_T3_T4_T5_mT6_T7_P12ihipStream_tbENKUlT_T0_E_clISt17integral_constantIbLb1EES10_IbLb0EEEEDaSW_SX_EUlSW_E_NS1_11comp_targetILNS1_3genE10ELNS1_11target_archE1201ELNS1_3gpuE5ELNS1_3repE0EEENS1_30default_config_static_selectorELNS0_4arch9wavefront6targetE0EEEvT1_.uses_flat_scratch, 0
	.set _ZN7rocprim17ROCPRIM_400000_NS6detail17trampoline_kernelINS0_14default_configENS1_27scan_by_key_config_selectorIitEEZZNS1_16scan_by_key_implILNS1_25lookback_scan_determinismE0ELb0ES3_N6thrust23THRUST_200600_302600_NS6detail15normal_iteratorINS9_10device_ptrIiEEEENSB_INSC_ItEEEESG_tNS9_4plusIvEENS9_8equal_toIvEEtEE10hipError_tPvRmT2_T3_T4_T5_mT6_T7_P12ihipStream_tbENKUlT_T0_E_clISt17integral_constantIbLb1EES10_IbLb0EEEEDaSW_SX_EUlSW_E_NS1_11comp_targetILNS1_3genE10ELNS1_11target_archE1201ELNS1_3gpuE5ELNS1_3repE0EEENS1_30default_config_static_selectorELNS0_4arch9wavefront6targetE0EEEvT1_.has_dyn_sized_stack, 0
	.set _ZN7rocprim17ROCPRIM_400000_NS6detail17trampoline_kernelINS0_14default_configENS1_27scan_by_key_config_selectorIitEEZZNS1_16scan_by_key_implILNS1_25lookback_scan_determinismE0ELb0ES3_N6thrust23THRUST_200600_302600_NS6detail15normal_iteratorINS9_10device_ptrIiEEEENSB_INSC_ItEEEESG_tNS9_4plusIvEENS9_8equal_toIvEEtEE10hipError_tPvRmT2_T3_T4_T5_mT6_T7_P12ihipStream_tbENKUlT_T0_E_clISt17integral_constantIbLb1EES10_IbLb0EEEEDaSW_SX_EUlSW_E_NS1_11comp_targetILNS1_3genE10ELNS1_11target_archE1201ELNS1_3gpuE5ELNS1_3repE0EEENS1_30default_config_static_selectorELNS0_4arch9wavefront6targetE0EEEvT1_.has_recursion, 0
	.set _ZN7rocprim17ROCPRIM_400000_NS6detail17trampoline_kernelINS0_14default_configENS1_27scan_by_key_config_selectorIitEEZZNS1_16scan_by_key_implILNS1_25lookback_scan_determinismE0ELb0ES3_N6thrust23THRUST_200600_302600_NS6detail15normal_iteratorINS9_10device_ptrIiEEEENSB_INSC_ItEEEESG_tNS9_4plusIvEENS9_8equal_toIvEEtEE10hipError_tPvRmT2_T3_T4_T5_mT6_T7_P12ihipStream_tbENKUlT_T0_E_clISt17integral_constantIbLb1EES10_IbLb0EEEEDaSW_SX_EUlSW_E_NS1_11comp_targetILNS1_3genE10ELNS1_11target_archE1201ELNS1_3gpuE5ELNS1_3repE0EEENS1_30default_config_static_selectorELNS0_4arch9wavefront6targetE0EEEvT1_.has_indirect_call, 0
	.section	.AMDGPU.csdata,"",@progbits
; Kernel info:
; codeLenInByte = 0
; TotalNumSgprs: 0
; NumVgprs: 0
; ScratchSize: 0
; MemoryBound: 0
; FloatMode: 240
; IeeeMode: 1
; LDSByteSize: 0 bytes/workgroup (compile time only)
; SGPRBlocks: 0
; VGPRBlocks: 0
; NumSGPRsForWavesPerEU: 1
; NumVGPRsForWavesPerEU: 1
; NamedBarCnt: 0
; Occupancy: 16
; WaveLimiterHint : 0
; COMPUTE_PGM_RSRC2:SCRATCH_EN: 0
; COMPUTE_PGM_RSRC2:USER_SGPR: 2
; COMPUTE_PGM_RSRC2:TRAP_HANDLER: 0
; COMPUTE_PGM_RSRC2:TGID_X_EN: 1
; COMPUTE_PGM_RSRC2:TGID_Y_EN: 0
; COMPUTE_PGM_RSRC2:TGID_Z_EN: 0
; COMPUTE_PGM_RSRC2:TIDIG_COMP_CNT: 0
	.section	.text._ZN7rocprim17ROCPRIM_400000_NS6detail17trampoline_kernelINS0_14default_configENS1_27scan_by_key_config_selectorIitEEZZNS1_16scan_by_key_implILNS1_25lookback_scan_determinismE0ELb0ES3_N6thrust23THRUST_200600_302600_NS6detail15normal_iteratorINS9_10device_ptrIiEEEENSB_INSC_ItEEEESG_tNS9_4plusIvEENS9_8equal_toIvEEtEE10hipError_tPvRmT2_T3_T4_T5_mT6_T7_P12ihipStream_tbENKUlT_T0_E_clISt17integral_constantIbLb1EES10_IbLb0EEEEDaSW_SX_EUlSW_E_NS1_11comp_targetILNS1_3genE5ELNS1_11target_archE942ELNS1_3gpuE9ELNS1_3repE0EEENS1_30default_config_static_selectorELNS0_4arch9wavefront6targetE0EEEvT1_,"axG",@progbits,_ZN7rocprim17ROCPRIM_400000_NS6detail17trampoline_kernelINS0_14default_configENS1_27scan_by_key_config_selectorIitEEZZNS1_16scan_by_key_implILNS1_25lookback_scan_determinismE0ELb0ES3_N6thrust23THRUST_200600_302600_NS6detail15normal_iteratorINS9_10device_ptrIiEEEENSB_INSC_ItEEEESG_tNS9_4plusIvEENS9_8equal_toIvEEtEE10hipError_tPvRmT2_T3_T4_T5_mT6_T7_P12ihipStream_tbENKUlT_T0_E_clISt17integral_constantIbLb1EES10_IbLb0EEEEDaSW_SX_EUlSW_E_NS1_11comp_targetILNS1_3genE5ELNS1_11target_archE942ELNS1_3gpuE9ELNS1_3repE0EEENS1_30default_config_static_selectorELNS0_4arch9wavefront6targetE0EEEvT1_,comdat
	.protected	_ZN7rocprim17ROCPRIM_400000_NS6detail17trampoline_kernelINS0_14default_configENS1_27scan_by_key_config_selectorIitEEZZNS1_16scan_by_key_implILNS1_25lookback_scan_determinismE0ELb0ES3_N6thrust23THRUST_200600_302600_NS6detail15normal_iteratorINS9_10device_ptrIiEEEENSB_INSC_ItEEEESG_tNS9_4plusIvEENS9_8equal_toIvEEtEE10hipError_tPvRmT2_T3_T4_T5_mT6_T7_P12ihipStream_tbENKUlT_T0_E_clISt17integral_constantIbLb1EES10_IbLb0EEEEDaSW_SX_EUlSW_E_NS1_11comp_targetILNS1_3genE5ELNS1_11target_archE942ELNS1_3gpuE9ELNS1_3repE0EEENS1_30default_config_static_selectorELNS0_4arch9wavefront6targetE0EEEvT1_ ; -- Begin function _ZN7rocprim17ROCPRIM_400000_NS6detail17trampoline_kernelINS0_14default_configENS1_27scan_by_key_config_selectorIitEEZZNS1_16scan_by_key_implILNS1_25lookback_scan_determinismE0ELb0ES3_N6thrust23THRUST_200600_302600_NS6detail15normal_iteratorINS9_10device_ptrIiEEEENSB_INSC_ItEEEESG_tNS9_4plusIvEENS9_8equal_toIvEEtEE10hipError_tPvRmT2_T3_T4_T5_mT6_T7_P12ihipStream_tbENKUlT_T0_E_clISt17integral_constantIbLb1EES10_IbLb0EEEEDaSW_SX_EUlSW_E_NS1_11comp_targetILNS1_3genE5ELNS1_11target_archE942ELNS1_3gpuE9ELNS1_3repE0EEENS1_30default_config_static_selectorELNS0_4arch9wavefront6targetE0EEEvT1_
	.globl	_ZN7rocprim17ROCPRIM_400000_NS6detail17trampoline_kernelINS0_14default_configENS1_27scan_by_key_config_selectorIitEEZZNS1_16scan_by_key_implILNS1_25lookback_scan_determinismE0ELb0ES3_N6thrust23THRUST_200600_302600_NS6detail15normal_iteratorINS9_10device_ptrIiEEEENSB_INSC_ItEEEESG_tNS9_4plusIvEENS9_8equal_toIvEEtEE10hipError_tPvRmT2_T3_T4_T5_mT6_T7_P12ihipStream_tbENKUlT_T0_E_clISt17integral_constantIbLb1EES10_IbLb0EEEEDaSW_SX_EUlSW_E_NS1_11comp_targetILNS1_3genE5ELNS1_11target_archE942ELNS1_3gpuE9ELNS1_3repE0EEENS1_30default_config_static_selectorELNS0_4arch9wavefront6targetE0EEEvT1_
	.p2align	8
	.type	_ZN7rocprim17ROCPRIM_400000_NS6detail17trampoline_kernelINS0_14default_configENS1_27scan_by_key_config_selectorIitEEZZNS1_16scan_by_key_implILNS1_25lookback_scan_determinismE0ELb0ES3_N6thrust23THRUST_200600_302600_NS6detail15normal_iteratorINS9_10device_ptrIiEEEENSB_INSC_ItEEEESG_tNS9_4plusIvEENS9_8equal_toIvEEtEE10hipError_tPvRmT2_T3_T4_T5_mT6_T7_P12ihipStream_tbENKUlT_T0_E_clISt17integral_constantIbLb1EES10_IbLb0EEEEDaSW_SX_EUlSW_E_NS1_11comp_targetILNS1_3genE5ELNS1_11target_archE942ELNS1_3gpuE9ELNS1_3repE0EEENS1_30default_config_static_selectorELNS0_4arch9wavefront6targetE0EEEvT1_,@function
_ZN7rocprim17ROCPRIM_400000_NS6detail17trampoline_kernelINS0_14default_configENS1_27scan_by_key_config_selectorIitEEZZNS1_16scan_by_key_implILNS1_25lookback_scan_determinismE0ELb0ES3_N6thrust23THRUST_200600_302600_NS6detail15normal_iteratorINS9_10device_ptrIiEEEENSB_INSC_ItEEEESG_tNS9_4plusIvEENS9_8equal_toIvEEtEE10hipError_tPvRmT2_T3_T4_T5_mT6_T7_P12ihipStream_tbENKUlT_T0_E_clISt17integral_constantIbLb1EES10_IbLb0EEEEDaSW_SX_EUlSW_E_NS1_11comp_targetILNS1_3genE5ELNS1_11target_archE942ELNS1_3gpuE9ELNS1_3repE0EEENS1_30default_config_static_selectorELNS0_4arch9wavefront6targetE0EEEvT1_: ; @_ZN7rocprim17ROCPRIM_400000_NS6detail17trampoline_kernelINS0_14default_configENS1_27scan_by_key_config_selectorIitEEZZNS1_16scan_by_key_implILNS1_25lookback_scan_determinismE0ELb0ES3_N6thrust23THRUST_200600_302600_NS6detail15normal_iteratorINS9_10device_ptrIiEEEENSB_INSC_ItEEEESG_tNS9_4plusIvEENS9_8equal_toIvEEtEE10hipError_tPvRmT2_T3_T4_T5_mT6_T7_P12ihipStream_tbENKUlT_T0_E_clISt17integral_constantIbLb1EES10_IbLb0EEEEDaSW_SX_EUlSW_E_NS1_11comp_targetILNS1_3genE5ELNS1_11target_archE942ELNS1_3gpuE9ELNS1_3repE0EEENS1_30default_config_static_selectorELNS0_4arch9wavefront6targetE0EEEvT1_
; %bb.0:
	.section	.rodata,"a",@progbits
	.p2align	6, 0x0
	.amdhsa_kernel _ZN7rocprim17ROCPRIM_400000_NS6detail17trampoline_kernelINS0_14default_configENS1_27scan_by_key_config_selectorIitEEZZNS1_16scan_by_key_implILNS1_25lookback_scan_determinismE0ELb0ES3_N6thrust23THRUST_200600_302600_NS6detail15normal_iteratorINS9_10device_ptrIiEEEENSB_INSC_ItEEEESG_tNS9_4plusIvEENS9_8equal_toIvEEtEE10hipError_tPvRmT2_T3_T4_T5_mT6_T7_P12ihipStream_tbENKUlT_T0_E_clISt17integral_constantIbLb1EES10_IbLb0EEEEDaSW_SX_EUlSW_E_NS1_11comp_targetILNS1_3genE5ELNS1_11target_archE942ELNS1_3gpuE9ELNS1_3repE0EEENS1_30default_config_static_selectorELNS0_4arch9wavefront6targetE0EEEvT1_
		.amdhsa_group_segment_fixed_size 0
		.amdhsa_private_segment_fixed_size 0
		.amdhsa_kernarg_size 112
		.amdhsa_user_sgpr_count 2
		.amdhsa_user_sgpr_dispatch_ptr 0
		.amdhsa_user_sgpr_queue_ptr 0
		.amdhsa_user_sgpr_kernarg_segment_ptr 1
		.amdhsa_user_sgpr_dispatch_id 0
		.amdhsa_user_sgpr_kernarg_preload_length 0
		.amdhsa_user_sgpr_kernarg_preload_offset 0
		.amdhsa_user_sgpr_private_segment_size 0
		.amdhsa_wavefront_size32 1
		.amdhsa_uses_dynamic_stack 0
		.amdhsa_enable_private_segment 0
		.amdhsa_system_sgpr_workgroup_id_x 1
		.amdhsa_system_sgpr_workgroup_id_y 0
		.amdhsa_system_sgpr_workgroup_id_z 0
		.amdhsa_system_sgpr_workgroup_info 0
		.amdhsa_system_vgpr_workitem_id 0
		.amdhsa_next_free_vgpr 1
		.amdhsa_next_free_sgpr 1
		.amdhsa_named_barrier_count 0
		.amdhsa_reserve_vcc 0
		.amdhsa_float_round_mode_32 0
		.amdhsa_float_round_mode_16_64 0
		.amdhsa_float_denorm_mode_32 3
		.amdhsa_float_denorm_mode_16_64 3
		.amdhsa_fp16_overflow 0
		.amdhsa_memory_ordered 1
		.amdhsa_forward_progress 1
		.amdhsa_inst_pref_size 0
		.amdhsa_round_robin_scheduling 0
		.amdhsa_exception_fp_ieee_invalid_op 0
		.amdhsa_exception_fp_denorm_src 0
		.amdhsa_exception_fp_ieee_div_zero 0
		.amdhsa_exception_fp_ieee_overflow 0
		.amdhsa_exception_fp_ieee_underflow 0
		.amdhsa_exception_fp_ieee_inexact 0
		.amdhsa_exception_int_div_zero 0
	.end_amdhsa_kernel
	.section	.text._ZN7rocprim17ROCPRIM_400000_NS6detail17trampoline_kernelINS0_14default_configENS1_27scan_by_key_config_selectorIitEEZZNS1_16scan_by_key_implILNS1_25lookback_scan_determinismE0ELb0ES3_N6thrust23THRUST_200600_302600_NS6detail15normal_iteratorINS9_10device_ptrIiEEEENSB_INSC_ItEEEESG_tNS9_4plusIvEENS9_8equal_toIvEEtEE10hipError_tPvRmT2_T3_T4_T5_mT6_T7_P12ihipStream_tbENKUlT_T0_E_clISt17integral_constantIbLb1EES10_IbLb0EEEEDaSW_SX_EUlSW_E_NS1_11comp_targetILNS1_3genE5ELNS1_11target_archE942ELNS1_3gpuE9ELNS1_3repE0EEENS1_30default_config_static_selectorELNS0_4arch9wavefront6targetE0EEEvT1_,"axG",@progbits,_ZN7rocprim17ROCPRIM_400000_NS6detail17trampoline_kernelINS0_14default_configENS1_27scan_by_key_config_selectorIitEEZZNS1_16scan_by_key_implILNS1_25lookback_scan_determinismE0ELb0ES3_N6thrust23THRUST_200600_302600_NS6detail15normal_iteratorINS9_10device_ptrIiEEEENSB_INSC_ItEEEESG_tNS9_4plusIvEENS9_8equal_toIvEEtEE10hipError_tPvRmT2_T3_T4_T5_mT6_T7_P12ihipStream_tbENKUlT_T0_E_clISt17integral_constantIbLb1EES10_IbLb0EEEEDaSW_SX_EUlSW_E_NS1_11comp_targetILNS1_3genE5ELNS1_11target_archE942ELNS1_3gpuE9ELNS1_3repE0EEENS1_30default_config_static_selectorELNS0_4arch9wavefront6targetE0EEEvT1_,comdat
.Lfunc_end1291:
	.size	_ZN7rocprim17ROCPRIM_400000_NS6detail17trampoline_kernelINS0_14default_configENS1_27scan_by_key_config_selectorIitEEZZNS1_16scan_by_key_implILNS1_25lookback_scan_determinismE0ELb0ES3_N6thrust23THRUST_200600_302600_NS6detail15normal_iteratorINS9_10device_ptrIiEEEENSB_INSC_ItEEEESG_tNS9_4plusIvEENS9_8equal_toIvEEtEE10hipError_tPvRmT2_T3_T4_T5_mT6_T7_P12ihipStream_tbENKUlT_T0_E_clISt17integral_constantIbLb1EES10_IbLb0EEEEDaSW_SX_EUlSW_E_NS1_11comp_targetILNS1_3genE5ELNS1_11target_archE942ELNS1_3gpuE9ELNS1_3repE0EEENS1_30default_config_static_selectorELNS0_4arch9wavefront6targetE0EEEvT1_, .Lfunc_end1291-_ZN7rocprim17ROCPRIM_400000_NS6detail17trampoline_kernelINS0_14default_configENS1_27scan_by_key_config_selectorIitEEZZNS1_16scan_by_key_implILNS1_25lookback_scan_determinismE0ELb0ES3_N6thrust23THRUST_200600_302600_NS6detail15normal_iteratorINS9_10device_ptrIiEEEENSB_INSC_ItEEEESG_tNS9_4plusIvEENS9_8equal_toIvEEtEE10hipError_tPvRmT2_T3_T4_T5_mT6_T7_P12ihipStream_tbENKUlT_T0_E_clISt17integral_constantIbLb1EES10_IbLb0EEEEDaSW_SX_EUlSW_E_NS1_11comp_targetILNS1_3genE5ELNS1_11target_archE942ELNS1_3gpuE9ELNS1_3repE0EEENS1_30default_config_static_selectorELNS0_4arch9wavefront6targetE0EEEvT1_
                                        ; -- End function
	.set _ZN7rocprim17ROCPRIM_400000_NS6detail17trampoline_kernelINS0_14default_configENS1_27scan_by_key_config_selectorIitEEZZNS1_16scan_by_key_implILNS1_25lookback_scan_determinismE0ELb0ES3_N6thrust23THRUST_200600_302600_NS6detail15normal_iteratorINS9_10device_ptrIiEEEENSB_INSC_ItEEEESG_tNS9_4plusIvEENS9_8equal_toIvEEtEE10hipError_tPvRmT2_T3_T4_T5_mT6_T7_P12ihipStream_tbENKUlT_T0_E_clISt17integral_constantIbLb1EES10_IbLb0EEEEDaSW_SX_EUlSW_E_NS1_11comp_targetILNS1_3genE5ELNS1_11target_archE942ELNS1_3gpuE9ELNS1_3repE0EEENS1_30default_config_static_selectorELNS0_4arch9wavefront6targetE0EEEvT1_.num_vgpr, 0
	.set _ZN7rocprim17ROCPRIM_400000_NS6detail17trampoline_kernelINS0_14default_configENS1_27scan_by_key_config_selectorIitEEZZNS1_16scan_by_key_implILNS1_25lookback_scan_determinismE0ELb0ES3_N6thrust23THRUST_200600_302600_NS6detail15normal_iteratorINS9_10device_ptrIiEEEENSB_INSC_ItEEEESG_tNS9_4plusIvEENS9_8equal_toIvEEtEE10hipError_tPvRmT2_T3_T4_T5_mT6_T7_P12ihipStream_tbENKUlT_T0_E_clISt17integral_constantIbLb1EES10_IbLb0EEEEDaSW_SX_EUlSW_E_NS1_11comp_targetILNS1_3genE5ELNS1_11target_archE942ELNS1_3gpuE9ELNS1_3repE0EEENS1_30default_config_static_selectorELNS0_4arch9wavefront6targetE0EEEvT1_.num_agpr, 0
	.set _ZN7rocprim17ROCPRIM_400000_NS6detail17trampoline_kernelINS0_14default_configENS1_27scan_by_key_config_selectorIitEEZZNS1_16scan_by_key_implILNS1_25lookback_scan_determinismE0ELb0ES3_N6thrust23THRUST_200600_302600_NS6detail15normal_iteratorINS9_10device_ptrIiEEEENSB_INSC_ItEEEESG_tNS9_4plusIvEENS9_8equal_toIvEEtEE10hipError_tPvRmT2_T3_T4_T5_mT6_T7_P12ihipStream_tbENKUlT_T0_E_clISt17integral_constantIbLb1EES10_IbLb0EEEEDaSW_SX_EUlSW_E_NS1_11comp_targetILNS1_3genE5ELNS1_11target_archE942ELNS1_3gpuE9ELNS1_3repE0EEENS1_30default_config_static_selectorELNS0_4arch9wavefront6targetE0EEEvT1_.numbered_sgpr, 0
	.set _ZN7rocprim17ROCPRIM_400000_NS6detail17trampoline_kernelINS0_14default_configENS1_27scan_by_key_config_selectorIitEEZZNS1_16scan_by_key_implILNS1_25lookback_scan_determinismE0ELb0ES3_N6thrust23THRUST_200600_302600_NS6detail15normal_iteratorINS9_10device_ptrIiEEEENSB_INSC_ItEEEESG_tNS9_4plusIvEENS9_8equal_toIvEEtEE10hipError_tPvRmT2_T3_T4_T5_mT6_T7_P12ihipStream_tbENKUlT_T0_E_clISt17integral_constantIbLb1EES10_IbLb0EEEEDaSW_SX_EUlSW_E_NS1_11comp_targetILNS1_3genE5ELNS1_11target_archE942ELNS1_3gpuE9ELNS1_3repE0EEENS1_30default_config_static_selectorELNS0_4arch9wavefront6targetE0EEEvT1_.num_named_barrier, 0
	.set _ZN7rocprim17ROCPRIM_400000_NS6detail17trampoline_kernelINS0_14default_configENS1_27scan_by_key_config_selectorIitEEZZNS1_16scan_by_key_implILNS1_25lookback_scan_determinismE0ELb0ES3_N6thrust23THRUST_200600_302600_NS6detail15normal_iteratorINS9_10device_ptrIiEEEENSB_INSC_ItEEEESG_tNS9_4plusIvEENS9_8equal_toIvEEtEE10hipError_tPvRmT2_T3_T4_T5_mT6_T7_P12ihipStream_tbENKUlT_T0_E_clISt17integral_constantIbLb1EES10_IbLb0EEEEDaSW_SX_EUlSW_E_NS1_11comp_targetILNS1_3genE5ELNS1_11target_archE942ELNS1_3gpuE9ELNS1_3repE0EEENS1_30default_config_static_selectorELNS0_4arch9wavefront6targetE0EEEvT1_.private_seg_size, 0
	.set _ZN7rocprim17ROCPRIM_400000_NS6detail17trampoline_kernelINS0_14default_configENS1_27scan_by_key_config_selectorIitEEZZNS1_16scan_by_key_implILNS1_25lookback_scan_determinismE0ELb0ES3_N6thrust23THRUST_200600_302600_NS6detail15normal_iteratorINS9_10device_ptrIiEEEENSB_INSC_ItEEEESG_tNS9_4plusIvEENS9_8equal_toIvEEtEE10hipError_tPvRmT2_T3_T4_T5_mT6_T7_P12ihipStream_tbENKUlT_T0_E_clISt17integral_constantIbLb1EES10_IbLb0EEEEDaSW_SX_EUlSW_E_NS1_11comp_targetILNS1_3genE5ELNS1_11target_archE942ELNS1_3gpuE9ELNS1_3repE0EEENS1_30default_config_static_selectorELNS0_4arch9wavefront6targetE0EEEvT1_.uses_vcc, 0
	.set _ZN7rocprim17ROCPRIM_400000_NS6detail17trampoline_kernelINS0_14default_configENS1_27scan_by_key_config_selectorIitEEZZNS1_16scan_by_key_implILNS1_25lookback_scan_determinismE0ELb0ES3_N6thrust23THRUST_200600_302600_NS6detail15normal_iteratorINS9_10device_ptrIiEEEENSB_INSC_ItEEEESG_tNS9_4plusIvEENS9_8equal_toIvEEtEE10hipError_tPvRmT2_T3_T4_T5_mT6_T7_P12ihipStream_tbENKUlT_T0_E_clISt17integral_constantIbLb1EES10_IbLb0EEEEDaSW_SX_EUlSW_E_NS1_11comp_targetILNS1_3genE5ELNS1_11target_archE942ELNS1_3gpuE9ELNS1_3repE0EEENS1_30default_config_static_selectorELNS0_4arch9wavefront6targetE0EEEvT1_.uses_flat_scratch, 0
	.set _ZN7rocprim17ROCPRIM_400000_NS6detail17trampoline_kernelINS0_14default_configENS1_27scan_by_key_config_selectorIitEEZZNS1_16scan_by_key_implILNS1_25lookback_scan_determinismE0ELb0ES3_N6thrust23THRUST_200600_302600_NS6detail15normal_iteratorINS9_10device_ptrIiEEEENSB_INSC_ItEEEESG_tNS9_4plusIvEENS9_8equal_toIvEEtEE10hipError_tPvRmT2_T3_T4_T5_mT6_T7_P12ihipStream_tbENKUlT_T0_E_clISt17integral_constantIbLb1EES10_IbLb0EEEEDaSW_SX_EUlSW_E_NS1_11comp_targetILNS1_3genE5ELNS1_11target_archE942ELNS1_3gpuE9ELNS1_3repE0EEENS1_30default_config_static_selectorELNS0_4arch9wavefront6targetE0EEEvT1_.has_dyn_sized_stack, 0
	.set _ZN7rocprim17ROCPRIM_400000_NS6detail17trampoline_kernelINS0_14default_configENS1_27scan_by_key_config_selectorIitEEZZNS1_16scan_by_key_implILNS1_25lookback_scan_determinismE0ELb0ES3_N6thrust23THRUST_200600_302600_NS6detail15normal_iteratorINS9_10device_ptrIiEEEENSB_INSC_ItEEEESG_tNS9_4plusIvEENS9_8equal_toIvEEtEE10hipError_tPvRmT2_T3_T4_T5_mT6_T7_P12ihipStream_tbENKUlT_T0_E_clISt17integral_constantIbLb1EES10_IbLb0EEEEDaSW_SX_EUlSW_E_NS1_11comp_targetILNS1_3genE5ELNS1_11target_archE942ELNS1_3gpuE9ELNS1_3repE0EEENS1_30default_config_static_selectorELNS0_4arch9wavefront6targetE0EEEvT1_.has_recursion, 0
	.set _ZN7rocprim17ROCPRIM_400000_NS6detail17trampoline_kernelINS0_14default_configENS1_27scan_by_key_config_selectorIitEEZZNS1_16scan_by_key_implILNS1_25lookback_scan_determinismE0ELb0ES3_N6thrust23THRUST_200600_302600_NS6detail15normal_iteratorINS9_10device_ptrIiEEEENSB_INSC_ItEEEESG_tNS9_4plusIvEENS9_8equal_toIvEEtEE10hipError_tPvRmT2_T3_T4_T5_mT6_T7_P12ihipStream_tbENKUlT_T0_E_clISt17integral_constantIbLb1EES10_IbLb0EEEEDaSW_SX_EUlSW_E_NS1_11comp_targetILNS1_3genE5ELNS1_11target_archE942ELNS1_3gpuE9ELNS1_3repE0EEENS1_30default_config_static_selectorELNS0_4arch9wavefront6targetE0EEEvT1_.has_indirect_call, 0
	.section	.AMDGPU.csdata,"",@progbits
; Kernel info:
; codeLenInByte = 0
; TotalNumSgprs: 0
; NumVgprs: 0
; ScratchSize: 0
; MemoryBound: 0
; FloatMode: 240
; IeeeMode: 1
; LDSByteSize: 0 bytes/workgroup (compile time only)
; SGPRBlocks: 0
; VGPRBlocks: 0
; NumSGPRsForWavesPerEU: 1
; NumVGPRsForWavesPerEU: 1
; NamedBarCnt: 0
; Occupancy: 16
; WaveLimiterHint : 0
; COMPUTE_PGM_RSRC2:SCRATCH_EN: 0
; COMPUTE_PGM_RSRC2:USER_SGPR: 2
; COMPUTE_PGM_RSRC2:TRAP_HANDLER: 0
; COMPUTE_PGM_RSRC2:TGID_X_EN: 1
; COMPUTE_PGM_RSRC2:TGID_Y_EN: 0
; COMPUTE_PGM_RSRC2:TGID_Z_EN: 0
; COMPUTE_PGM_RSRC2:TIDIG_COMP_CNT: 0
	.section	.text._ZN7rocprim17ROCPRIM_400000_NS6detail17trampoline_kernelINS0_14default_configENS1_27scan_by_key_config_selectorIitEEZZNS1_16scan_by_key_implILNS1_25lookback_scan_determinismE0ELb0ES3_N6thrust23THRUST_200600_302600_NS6detail15normal_iteratorINS9_10device_ptrIiEEEENSB_INSC_ItEEEESG_tNS9_4plusIvEENS9_8equal_toIvEEtEE10hipError_tPvRmT2_T3_T4_T5_mT6_T7_P12ihipStream_tbENKUlT_T0_E_clISt17integral_constantIbLb1EES10_IbLb0EEEEDaSW_SX_EUlSW_E_NS1_11comp_targetILNS1_3genE4ELNS1_11target_archE910ELNS1_3gpuE8ELNS1_3repE0EEENS1_30default_config_static_selectorELNS0_4arch9wavefront6targetE0EEEvT1_,"axG",@progbits,_ZN7rocprim17ROCPRIM_400000_NS6detail17trampoline_kernelINS0_14default_configENS1_27scan_by_key_config_selectorIitEEZZNS1_16scan_by_key_implILNS1_25lookback_scan_determinismE0ELb0ES3_N6thrust23THRUST_200600_302600_NS6detail15normal_iteratorINS9_10device_ptrIiEEEENSB_INSC_ItEEEESG_tNS9_4plusIvEENS9_8equal_toIvEEtEE10hipError_tPvRmT2_T3_T4_T5_mT6_T7_P12ihipStream_tbENKUlT_T0_E_clISt17integral_constantIbLb1EES10_IbLb0EEEEDaSW_SX_EUlSW_E_NS1_11comp_targetILNS1_3genE4ELNS1_11target_archE910ELNS1_3gpuE8ELNS1_3repE0EEENS1_30default_config_static_selectorELNS0_4arch9wavefront6targetE0EEEvT1_,comdat
	.protected	_ZN7rocprim17ROCPRIM_400000_NS6detail17trampoline_kernelINS0_14default_configENS1_27scan_by_key_config_selectorIitEEZZNS1_16scan_by_key_implILNS1_25lookback_scan_determinismE0ELb0ES3_N6thrust23THRUST_200600_302600_NS6detail15normal_iteratorINS9_10device_ptrIiEEEENSB_INSC_ItEEEESG_tNS9_4plusIvEENS9_8equal_toIvEEtEE10hipError_tPvRmT2_T3_T4_T5_mT6_T7_P12ihipStream_tbENKUlT_T0_E_clISt17integral_constantIbLb1EES10_IbLb0EEEEDaSW_SX_EUlSW_E_NS1_11comp_targetILNS1_3genE4ELNS1_11target_archE910ELNS1_3gpuE8ELNS1_3repE0EEENS1_30default_config_static_selectorELNS0_4arch9wavefront6targetE0EEEvT1_ ; -- Begin function _ZN7rocprim17ROCPRIM_400000_NS6detail17trampoline_kernelINS0_14default_configENS1_27scan_by_key_config_selectorIitEEZZNS1_16scan_by_key_implILNS1_25lookback_scan_determinismE0ELb0ES3_N6thrust23THRUST_200600_302600_NS6detail15normal_iteratorINS9_10device_ptrIiEEEENSB_INSC_ItEEEESG_tNS9_4plusIvEENS9_8equal_toIvEEtEE10hipError_tPvRmT2_T3_T4_T5_mT6_T7_P12ihipStream_tbENKUlT_T0_E_clISt17integral_constantIbLb1EES10_IbLb0EEEEDaSW_SX_EUlSW_E_NS1_11comp_targetILNS1_3genE4ELNS1_11target_archE910ELNS1_3gpuE8ELNS1_3repE0EEENS1_30default_config_static_selectorELNS0_4arch9wavefront6targetE0EEEvT1_
	.globl	_ZN7rocprim17ROCPRIM_400000_NS6detail17trampoline_kernelINS0_14default_configENS1_27scan_by_key_config_selectorIitEEZZNS1_16scan_by_key_implILNS1_25lookback_scan_determinismE0ELb0ES3_N6thrust23THRUST_200600_302600_NS6detail15normal_iteratorINS9_10device_ptrIiEEEENSB_INSC_ItEEEESG_tNS9_4plusIvEENS9_8equal_toIvEEtEE10hipError_tPvRmT2_T3_T4_T5_mT6_T7_P12ihipStream_tbENKUlT_T0_E_clISt17integral_constantIbLb1EES10_IbLb0EEEEDaSW_SX_EUlSW_E_NS1_11comp_targetILNS1_3genE4ELNS1_11target_archE910ELNS1_3gpuE8ELNS1_3repE0EEENS1_30default_config_static_selectorELNS0_4arch9wavefront6targetE0EEEvT1_
	.p2align	8
	.type	_ZN7rocprim17ROCPRIM_400000_NS6detail17trampoline_kernelINS0_14default_configENS1_27scan_by_key_config_selectorIitEEZZNS1_16scan_by_key_implILNS1_25lookback_scan_determinismE0ELb0ES3_N6thrust23THRUST_200600_302600_NS6detail15normal_iteratorINS9_10device_ptrIiEEEENSB_INSC_ItEEEESG_tNS9_4plusIvEENS9_8equal_toIvEEtEE10hipError_tPvRmT2_T3_T4_T5_mT6_T7_P12ihipStream_tbENKUlT_T0_E_clISt17integral_constantIbLb1EES10_IbLb0EEEEDaSW_SX_EUlSW_E_NS1_11comp_targetILNS1_3genE4ELNS1_11target_archE910ELNS1_3gpuE8ELNS1_3repE0EEENS1_30default_config_static_selectorELNS0_4arch9wavefront6targetE0EEEvT1_,@function
_ZN7rocprim17ROCPRIM_400000_NS6detail17trampoline_kernelINS0_14default_configENS1_27scan_by_key_config_selectorIitEEZZNS1_16scan_by_key_implILNS1_25lookback_scan_determinismE0ELb0ES3_N6thrust23THRUST_200600_302600_NS6detail15normal_iteratorINS9_10device_ptrIiEEEENSB_INSC_ItEEEESG_tNS9_4plusIvEENS9_8equal_toIvEEtEE10hipError_tPvRmT2_T3_T4_T5_mT6_T7_P12ihipStream_tbENKUlT_T0_E_clISt17integral_constantIbLb1EES10_IbLb0EEEEDaSW_SX_EUlSW_E_NS1_11comp_targetILNS1_3genE4ELNS1_11target_archE910ELNS1_3gpuE8ELNS1_3repE0EEENS1_30default_config_static_selectorELNS0_4arch9wavefront6targetE0EEEvT1_: ; @_ZN7rocprim17ROCPRIM_400000_NS6detail17trampoline_kernelINS0_14default_configENS1_27scan_by_key_config_selectorIitEEZZNS1_16scan_by_key_implILNS1_25lookback_scan_determinismE0ELb0ES3_N6thrust23THRUST_200600_302600_NS6detail15normal_iteratorINS9_10device_ptrIiEEEENSB_INSC_ItEEEESG_tNS9_4plusIvEENS9_8equal_toIvEEtEE10hipError_tPvRmT2_T3_T4_T5_mT6_T7_P12ihipStream_tbENKUlT_T0_E_clISt17integral_constantIbLb1EES10_IbLb0EEEEDaSW_SX_EUlSW_E_NS1_11comp_targetILNS1_3genE4ELNS1_11target_archE910ELNS1_3gpuE8ELNS1_3repE0EEENS1_30default_config_static_selectorELNS0_4arch9wavefront6targetE0EEEvT1_
; %bb.0:
	.section	.rodata,"a",@progbits
	.p2align	6, 0x0
	.amdhsa_kernel _ZN7rocprim17ROCPRIM_400000_NS6detail17trampoline_kernelINS0_14default_configENS1_27scan_by_key_config_selectorIitEEZZNS1_16scan_by_key_implILNS1_25lookback_scan_determinismE0ELb0ES3_N6thrust23THRUST_200600_302600_NS6detail15normal_iteratorINS9_10device_ptrIiEEEENSB_INSC_ItEEEESG_tNS9_4plusIvEENS9_8equal_toIvEEtEE10hipError_tPvRmT2_T3_T4_T5_mT6_T7_P12ihipStream_tbENKUlT_T0_E_clISt17integral_constantIbLb1EES10_IbLb0EEEEDaSW_SX_EUlSW_E_NS1_11comp_targetILNS1_3genE4ELNS1_11target_archE910ELNS1_3gpuE8ELNS1_3repE0EEENS1_30default_config_static_selectorELNS0_4arch9wavefront6targetE0EEEvT1_
		.amdhsa_group_segment_fixed_size 0
		.amdhsa_private_segment_fixed_size 0
		.amdhsa_kernarg_size 112
		.amdhsa_user_sgpr_count 2
		.amdhsa_user_sgpr_dispatch_ptr 0
		.amdhsa_user_sgpr_queue_ptr 0
		.amdhsa_user_sgpr_kernarg_segment_ptr 1
		.amdhsa_user_sgpr_dispatch_id 0
		.amdhsa_user_sgpr_kernarg_preload_length 0
		.amdhsa_user_sgpr_kernarg_preload_offset 0
		.amdhsa_user_sgpr_private_segment_size 0
		.amdhsa_wavefront_size32 1
		.amdhsa_uses_dynamic_stack 0
		.amdhsa_enable_private_segment 0
		.amdhsa_system_sgpr_workgroup_id_x 1
		.amdhsa_system_sgpr_workgroup_id_y 0
		.amdhsa_system_sgpr_workgroup_id_z 0
		.amdhsa_system_sgpr_workgroup_info 0
		.amdhsa_system_vgpr_workitem_id 0
		.amdhsa_next_free_vgpr 1
		.amdhsa_next_free_sgpr 1
		.amdhsa_named_barrier_count 0
		.amdhsa_reserve_vcc 0
		.amdhsa_float_round_mode_32 0
		.amdhsa_float_round_mode_16_64 0
		.amdhsa_float_denorm_mode_32 3
		.amdhsa_float_denorm_mode_16_64 3
		.amdhsa_fp16_overflow 0
		.amdhsa_memory_ordered 1
		.amdhsa_forward_progress 1
		.amdhsa_inst_pref_size 0
		.amdhsa_round_robin_scheduling 0
		.amdhsa_exception_fp_ieee_invalid_op 0
		.amdhsa_exception_fp_denorm_src 0
		.amdhsa_exception_fp_ieee_div_zero 0
		.amdhsa_exception_fp_ieee_overflow 0
		.amdhsa_exception_fp_ieee_underflow 0
		.amdhsa_exception_fp_ieee_inexact 0
		.amdhsa_exception_int_div_zero 0
	.end_amdhsa_kernel
	.section	.text._ZN7rocprim17ROCPRIM_400000_NS6detail17trampoline_kernelINS0_14default_configENS1_27scan_by_key_config_selectorIitEEZZNS1_16scan_by_key_implILNS1_25lookback_scan_determinismE0ELb0ES3_N6thrust23THRUST_200600_302600_NS6detail15normal_iteratorINS9_10device_ptrIiEEEENSB_INSC_ItEEEESG_tNS9_4plusIvEENS9_8equal_toIvEEtEE10hipError_tPvRmT2_T3_T4_T5_mT6_T7_P12ihipStream_tbENKUlT_T0_E_clISt17integral_constantIbLb1EES10_IbLb0EEEEDaSW_SX_EUlSW_E_NS1_11comp_targetILNS1_3genE4ELNS1_11target_archE910ELNS1_3gpuE8ELNS1_3repE0EEENS1_30default_config_static_selectorELNS0_4arch9wavefront6targetE0EEEvT1_,"axG",@progbits,_ZN7rocprim17ROCPRIM_400000_NS6detail17trampoline_kernelINS0_14default_configENS1_27scan_by_key_config_selectorIitEEZZNS1_16scan_by_key_implILNS1_25lookback_scan_determinismE0ELb0ES3_N6thrust23THRUST_200600_302600_NS6detail15normal_iteratorINS9_10device_ptrIiEEEENSB_INSC_ItEEEESG_tNS9_4plusIvEENS9_8equal_toIvEEtEE10hipError_tPvRmT2_T3_T4_T5_mT6_T7_P12ihipStream_tbENKUlT_T0_E_clISt17integral_constantIbLb1EES10_IbLb0EEEEDaSW_SX_EUlSW_E_NS1_11comp_targetILNS1_3genE4ELNS1_11target_archE910ELNS1_3gpuE8ELNS1_3repE0EEENS1_30default_config_static_selectorELNS0_4arch9wavefront6targetE0EEEvT1_,comdat
.Lfunc_end1292:
	.size	_ZN7rocprim17ROCPRIM_400000_NS6detail17trampoline_kernelINS0_14default_configENS1_27scan_by_key_config_selectorIitEEZZNS1_16scan_by_key_implILNS1_25lookback_scan_determinismE0ELb0ES3_N6thrust23THRUST_200600_302600_NS6detail15normal_iteratorINS9_10device_ptrIiEEEENSB_INSC_ItEEEESG_tNS9_4plusIvEENS9_8equal_toIvEEtEE10hipError_tPvRmT2_T3_T4_T5_mT6_T7_P12ihipStream_tbENKUlT_T0_E_clISt17integral_constantIbLb1EES10_IbLb0EEEEDaSW_SX_EUlSW_E_NS1_11comp_targetILNS1_3genE4ELNS1_11target_archE910ELNS1_3gpuE8ELNS1_3repE0EEENS1_30default_config_static_selectorELNS0_4arch9wavefront6targetE0EEEvT1_, .Lfunc_end1292-_ZN7rocprim17ROCPRIM_400000_NS6detail17trampoline_kernelINS0_14default_configENS1_27scan_by_key_config_selectorIitEEZZNS1_16scan_by_key_implILNS1_25lookback_scan_determinismE0ELb0ES3_N6thrust23THRUST_200600_302600_NS6detail15normal_iteratorINS9_10device_ptrIiEEEENSB_INSC_ItEEEESG_tNS9_4plusIvEENS9_8equal_toIvEEtEE10hipError_tPvRmT2_T3_T4_T5_mT6_T7_P12ihipStream_tbENKUlT_T0_E_clISt17integral_constantIbLb1EES10_IbLb0EEEEDaSW_SX_EUlSW_E_NS1_11comp_targetILNS1_3genE4ELNS1_11target_archE910ELNS1_3gpuE8ELNS1_3repE0EEENS1_30default_config_static_selectorELNS0_4arch9wavefront6targetE0EEEvT1_
                                        ; -- End function
	.set _ZN7rocprim17ROCPRIM_400000_NS6detail17trampoline_kernelINS0_14default_configENS1_27scan_by_key_config_selectorIitEEZZNS1_16scan_by_key_implILNS1_25lookback_scan_determinismE0ELb0ES3_N6thrust23THRUST_200600_302600_NS6detail15normal_iteratorINS9_10device_ptrIiEEEENSB_INSC_ItEEEESG_tNS9_4plusIvEENS9_8equal_toIvEEtEE10hipError_tPvRmT2_T3_T4_T5_mT6_T7_P12ihipStream_tbENKUlT_T0_E_clISt17integral_constantIbLb1EES10_IbLb0EEEEDaSW_SX_EUlSW_E_NS1_11comp_targetILNS1_3genE4ELNS1_11target_archE910ELNS1_3gpuE8ELNS1_3repE0EEENS1_30default_config_static_selectorELNS0_4arch9wavefront6targetE0EEEvT1_.num_vgpr, 0
	.set _ZN7rocprim17ROCPRIM_400000_NS6detail17trampoline_kernelINS0_14default_configENS1_27scan_by_key_config_selectorIitEEZZNS1_16scan_by_key_implILNS1_25lookback_scan_determinismE0ELb0ES3_N6thrust23THRUST_200600_302600_NS6detail15normal_iteratorINS9_10device_ptrIiEEEENSB_INSC_ItEEEESG_tNS9_4plusIvEENS9_8equal_toIvEEtEE10hipError_tPvRmT2_T3_T4_T5_mT6_T7_P12ihipStream_tbENKUlT_T0_E_clISt17integral_constantIbLb1EES10_IbLb0EEEEDaSW_SX_EUlSW_E_NS1_11comp_targetILNS1_3genE4ELNS1_11target_archE910ELNS1_3gpuE8ELNS1_3repE0EEENS1_30default_config_static_selectorELNS0_4arch9wavefront6targetE0EEEvT1_.num_agpr, 0
	.set _ZN7rocprim17ROCPRIM_400000_NS6detail17trampoline_kernelINS0_14default_configENS1_27scan_by_key_config_selectorIitEEZZNS1_16scan_by_key_implILNS1_25lookback_scan_determinismE0ELb0ES3_N6thrust23THRUST_200600_302600_NS6detail15normal_iteratorINS9_10device_ptrIiEEEENSB_INSC_ItEEEESG_tNS9_4plusIvEENS9_8equal_toIvEEtEE10hipError_tPvRmT2_T3_T4_T5_mT6_T7_P12ihipStream_tbENKUlT_T0_E_clISt17integral_constantIbLb1EES10_IbLb0EEEEDaSW_SX_EUlSW_E_NS1_11comp_targetILNS1_3genE4ELNS1_11target_archE910ELNS1_3gpuE8ELNS1_3repE0EEENS1_30default_config_static_selectorELNS0_4arch9wavefront6targetE0EEEvT1_.numbered_sgpr, 0
	.set _ZN7rocprim17ROCPRIM_400000_NS6detail17trampoline_kernelINS0_14default_configENS1_27scan_by_key_config_selectorIitEEZZNS1_16scan_by_key_implILNS1_25lookback_scan_determinismE0ELb0ES3_N6thrust23THRUST_200600_302600_NS6detail15normal_iteratorINS9_10device_ptrIiEEEENSB_INSC_ItEEEESG_tNS9_4plusIvEENS9_8equal_toIvEEtEE10hipError_tPvRmT2_T3_T4_T5_mT6_T7_P12ihipStream_tbENKUlT_T0_E_clISt17integral_constantIbLb1EES10_IbLb0EEEEDaSW_SX_EUlSW_E_NS1_11comp_targetILNS1_3genE4ELNS1_11target_archE910ELNS1_3gpuE8ELNS1_3repE0EEENS1_30default_config_static_selectorELNS0_4arch9wavefront6targetE0EEEvT1_.num_named_barrier, 0
	.set _ZN7rocprim17ROCPRIM_400000_NS6detail17trampoline_kernelINS0_14default_configENS1_27scan_by_key_config_selectorIitEEZZNS1_16scan_by_key_implILNS1_25lookback_scan_determinismE0ELb0ES3_N6thrust23THRUST_200600_302600_NS6detail15normal_iteratorINS9_10device_ptrIiEEEENSB_INSC_ItEEEESG_tNS9_4plusIvEENS9_8equal_toIvEEtEE10hipError_tPvRmT2_T3_T4_T5_mT6_T7_P12ihipStream_tbENKUlT_T0_E_clISt17integral_constantIbLb1EES10_IbLb0EEEEDaSW_SX_EUlSW_E_NS1_11comp_targetILNS1_3genE4ELNS1_11target_archE910ELNS1_3gpuE8ELNS1_3repE0EEENS1_30default_config_static_selectorELNS0_4arch9wavefront6targetE0EEEvT1_.private_seg_size, 0
	.set _ZN7rocprim17ROCPRIM_400000_NS6detail17trampoline_kernelINS0_14default_configENS1_27scan_by_key_config_selectorIitEEZZNS1_16scan_by_key_implILNS1_25lookback_scan_determinismE0ELb0ES3_N6thrust23THRUST_200600_302600_NS6detail15normal_iteratorINS9_10device_ptrIiEEEENSB_INSC_ItEEEESG_tNS9_4plusIvEENS9_8equal_toIvEEtEE10hipError_tPvRmT2_T3_T4_T5_mT6_T7_P12ihipStream_tbENKUlT_T0_E_clISt17integral_constantIbLb1EES10_IbLb0EEEEDaSW_SX_EUlSW_E_NS1_11comp_targetILNS1_3genE4ELNS1_11target_archE910ELNS1_3gpuE8ELNS1_3repE0EEENS1_30default_config_static_selectorELNS0_4arch9wavefront6targetE0EEEvT1_.uses_vcc, 0
	.set _ZN7rocprim17ROCPRIM_400000_NS6detail17trampoline_kernelINS0_14default_configENS1_27scan_by_key_config_selectorIitEEZZNS1_16scan_by_key_implILNS1_25lookback_scan_determinismE0ELb0ES3_N6thrust23THRUST_200600_302600_NS6detail15normal_iteratorINS9_10device_ptrIiEEEENSB_INSC_ItEEEESG_tNS9_4plusIvEENS9_8equal_toIvEEtEE10hipError_tPvRmT2_T3_T4_T5_mT6_T7_P12ihipStream_tbENKUlT_T0_E_clISt17integral_constantIbLb1EES10_IbLb0EEEEDaSW_SX_EUlSW_E_NS1_11comp_targetILNS1_3genE4ELNS1_11target_archE910ELNS1_3gpuE8ELNS1_3repE0EEENS1_30default_config_static_selectorELNS0_4arch9wavefront6targetE0EEEvT1_.uses_flat_scratch, 0
	.set _ZN7rocprim17ROCPRIM_400000_NS6detail17trampoline_kernelINS0_14default_configENS1_27scan_by_key_config_selectorIitEEZZNS1_16scan_by_key_implILNS1_25lookback_scan_determinismE0ELb0ES3_N6thrust23THRUST_200600_302600_NS6detail15normal_iteratorINS9_10device_ptrIiEEEENSB_INSC_ItEEEESG_tNS9_4plusIvEENS9_8equal_toIvEEtEE10hipError_tPvRmT2_T3_T4_T5_mT6_T7_P12ihipStream_tbENKUlT_T0_E_clISt17integral_constantIbLb1EES10_IbLb0EEEEDaSW_SX_EUlSW_E_NS1_11comp_targetILNS1_3genE4ELNS1_11target_archE910ELNS1_3gpuE8ELNS1_3repE0EEENS1_30default_config_static_selectorELNS0_4arch9wavefront6targetE0EEEvT1_.has_dyn_sized_stack, 0
	.set _ZN7rocprim17ROCPRIM_400000_NS6detail17trampoline_kernelINS0_14default_configENS1_27scan_by_key_config_selectorIitEEZZNS1_16scan_by_key_implILNS1_25lookback_scan_determinismE0ELb0ES3_N6thrust23THRUST_200600_302600_NS6detail15normal_iteratorINS9_10device_ptrIiEEEENSB_INSC_ItEEEESG_tNS9_4plusIvEENS9_8equal_toIvEEtEE10hipError_tPvRmT2_T3_T4_T5_mT6_T7_P12ihipStream_tbENKUlT_T0_E_clISt17integral_constantIbLb1EES10_IbLb0EEEEDaSW_SX_EUlSW_E_NS1_11comp_targetILNS1_3genE4ELNS1_11target_archE910ELNS1_3gpuE8ELNS1_3repE0EEENS1_30default_config_static_selectorELNS0_4arch9wavefront6targetE0EEEvT1_.has_recursion, 0
	.set _ZN7rocprim17ROCPRIM_400000_NS6detail17trampoline_kernelINS0_14default_configENS1_27scan_by_key_config_selectorIitEEZZNS1_16scan_by_key_implILNS1_25lookback_scan_determinismE0ELb0ES3_N6thrust23THRUST_200600_302600_NS6detail15normal_iteratorINS9_10device_ptrIiEEEENSB_INSC_ItEEEESG_tNS9_4plusIvEENS9_8equal_toIvEEtEE10hipError_tPvRmT2_T3_T4_T5_mT6_T7_P12ihipStream_tbENKUlT_T0_E_clISt17integral_constantIbLb1EES10_IbLb0EEEEDaSW_SX_EUlSW_E_NS1_11comp_targetILNS1_3genE4ELNS1_11target_archE910ELNS1_3gpuE8ELNS1_3repE0EEENS1_30default_config_static_selectorELNS0_4arch9wavefront6targetE0EEEvT1_.has_indirect_call, 0
	.section	.AMDGPU.csdata,"",@progbits
; Kernel info:
; codeLenInByte = 0
; TotalNumSgprs: 0
; NumVgprs: 0
; ScratchSize: 0
; MemoryBound: 0
; FloatMode: 240
; IeeeMode: 1
; LDSByteSize: 0 bytes/workgroup (compile time only)
; SGPRBlocks: 0
; VGPRBlocks: 0
; NumSGPRsForWavesPerEU: 1
; NumVGPRsForWavesPerEU: 1
; NamedBarCnt: 0
; Occupancy: 16
; WaveLimiterHint : 0
; COMPUTE_PGM_RSRC2:SCRATCH_EN: 0
; COMPUTE_PGM_RSRC2:USER_SGPR: 2
; COMPUTE_PGM_RSRC2:TRAP_HANDLER: 0
; COMPUTE_PGM_RSRC2:TGID_X_EN: 1
; COMPUTE_PGM_RSRC2:TGID_Y_EN: 0
; COMPUTE_PGM_RSRC2:TGID_Z_EN: 0
; COMPUTE_PGM_RSRC2:TIDIG_COMP_CNT: 0
	.section	.text._ZN7rocprim17ROCPRIM_400000_NS6detail17trampoline_kernelINS0_14default_configENS1_27scan_by_key_config_selectorIitEEZZNS1_16scan_by_key_implILNS1_25lookback_scan_determinismE0ELb0ES3_N6thrust23THRUST_200600_302600_NS6detail15normal_iteratorINS9_10device_ptrIiEEEENSB_INSC_ItEEEESG_tNS9_4plusIvEENS9_8equal_toIvEEtEE10hipError_tPvRmT2_T3_T4_T5_mT6_T7_P12ihipStream_tbENKUlT_T0_E_clISt17integral_constantIbLb1EES10_IbLb0EEEEDaSW_SX_EUlSW_E_NS1_11comp_targetILNS1_3genE3ELNS1_11target_archE908ELNS1_3gpuE7ELNS1_3repE0EEENS1_30default_config_static_selectorELNS0_4arch9wavefront6targetE0EEEvT1_,"axG",@progbits,_ZN7rocprim17ROCPRIM_400000_NS6detail17trampoline_kernelINS0_14default_configENS1_27scan_by_key_config_selectorIitEEZZNS1_16scan_by_key_implILNS1_25lookback_scan_determinismE0ELb0ES3_N6thrust23THRUST_200600_302600_NS6detail15normal_iteratorINS9_10device_ptrIiEEEENSB_INSC_ItEEEESG_tNS9_4plusIvEENS9_8equal_toIvEEtEE10hipError_tPvRmT2_T3_T4_T5_mT6_T7_P12ihipStream_tbENKUlT_T0_E_clISt17integral_constantIbLb1EES10_IbLb0EEEEDaSW_SX_EUlSW_E_NS1_11comp_targetILNS1_3genE3ELNS1_11target_archE908ELNS1_3gpuE7ELNS1_3repE0EEENS1_30default_config_static_selectorELNS0_4arch9wavefront6targetE0EEEvT1_,comdat
	.protected	_ZN7rocprim17ROCPRIM_400000_NS6detail17trampoline_kernelINS0_14default_configENS1_27scan_by_key_config_selectorIitEEZZNS1_16scan_by_key_implILNS1_25lookback_scan_determinismE0ELb0ES3_N6thrust23THRUST_200600_302600_NS6detail15normal_iteratorINS9_10device_ptrIiEEEENSB_INSC_ItEEEESG_tNS9_4plusIvEENS9_8equal_toIvEEtEE10hipError_tPvRmT2_T3_T4_T5_mT6_T7_P12ihipStream_tbENKUlT_T0_E_clISt17integral_constantIbLb1EES10_IbLb0EEEEDaSW_SX_EUlSW_E_NS1_11comp_targetILNS1_3genE3ELNS1_11target_archE908ELNS1_3gpuE7ELNS1_3repE0EEENS1_30default_config_static_selectorELNS0_4arch9wavefront6targetE0EEEvT1_ ; -- Begin function _ZN7rocprim17ROCPRIM_400000_NS6detail17trampoline_kernelINS0_14default_configENS1_27scan_by_key_config_selectorIitEEZZNS1_16scan_by_key_implILNS1_25lookback_scan_determinismE0ELb0ES3_N6thrust23THRUST_200600_302600_NS6detail15normal_iteratorINS9_10device_ptrIiEEEENSB_INSC_ItEEEESG_tNS9_4plusIvEENS9_8equal_toIvEEtEE10hipError_tPvRmT2_T3_T4_T5_mT6_T7_P12ihipStream_tbENKUlT_T0_E_clISt17integral_constantIbLb1EES10_IbLb0EEEEDaSW_SX_EUlSW_E_NS1_11comp_targetILNS1_3genE3ELNS1_11target_archE908ELNS1_3gpuE7ELNS1_3repE0EEENS1_30default_config_static_selectorELNS0_4arch9wavefront6targetE0EEEvT1_
	.globl	_ZN7rocprim17ROCPRIM_400000_NS6detail17trampoline_kernelINS0_14default_configENS1_27scan_by_key_config_selectorIitEEZZNS1_16scan_by_key_implILNS1_25lookback_scan_determinismE0ELb0ES3_N6thrust23THRUST_200600_302600_NS6detail15normal_iteratorINS9_10device_ptrIiEEEENSB_INSC_ItEEEESG_tNS9_4plusIvEENS9_8equal_toIvEEtEE10hipError_tPvRmT2_T3_T4_T5_mT6_T7_P12ihipStream_tbENKUlT_T0_E_clISt17integral_constantIbLb1EES10_IbLb0EEEEDaSW_SX_EUlSW_E_NS1_11comp_targetILNS1_3genE3ELNS1_11target_archE908ELNS1_3gpuE7ELNS1_3repE0EEENS1_30default_config_static_selectorELNS0_4arch9wavefront6targetE0EEEvT1_
	.p2align	8
	.type	_ZN7rocprim17ROCPRIM_400000_NS6detail17trampoline_kernelINS0_14default_configENS1_27scan_by_key_config_selectorIitEEZZNS1_16scan_by_key_implILNS1_25lookback_scan_determinismE0ELb0ES3_N6thrust23THRUST_200600_302600_NS6detail15normal_iteratorINS9_10device_ptrIiEEEENSB_INSC_ItEEEESG_tNS9_4plusIvEENS9_8equal_toIvEEtEE10hipError_tPvRmT2_T3_T4_T5_mT6_T7_P12ihipStream_tbENKUlT_T0_E_clISt17integral_constantIbLb1EES10_IbLb0EEEEDaSW_SX_EUlSW_E_NS1_11comp_targetILNS1_3genE3ELNS1_11target_archE908ELNS1_3gpuE7ELNS1_3repE0EEENS1_30default_config_static_selectorELNS0_4arch9wavefront6targetE0EEEvT1_,@function
_ZN7rocprim17ROCPRIM_400000_NS6detail17trampoline_kernelINS0_14default_configENS1_27scan_by_key_config_selectorIitEEZZNS1_16scan_by_key_implILNS1_25lookback_scan_determinismE0ELb0ES3_N6thrust23THRUST_200600_302600_NS6detail15normal_iteratorINS9_10device_ptrIiEEEENSB_INSC_ItEEEESG_tNS9_4plusIvEENS9_8equal_toIvEEtEE10hipError_tPvRmT2_T3_T4_T5_mT6_T7_P12ihipStream_tbENKUlT_T0_E_clISt17integral_constantIbLb1EES10_IbLb0EEEEDaSW_SX_EUlSW_E_NS1_11comp_targetILNS1_3genE3ELNS1_11target_archE908ELNS1_3gpuE7ELNS1_3repE0EEENS1_30default_config_static_selectorELNS0_4arch9wavefront6targetE0EEEvT1_: ; @_ZN7rocprim17ROCPRIM_400000_NS6detail17trampoline_kernelINS0_14default_configENS1_27scan_by_key_config_selectorIitEEZZNS1_16scan_by_key_implILNS1_25lookback_scan_determinismE0ELb0ES3_N6thrust23THRUST_200600_302600_NS6detail15normal_iteratorINS9_10device_ptrIiEEEENSB_INSC_ItEEEESG_tNS9_4plusIvEENS9_8equal_toIvEEtEE10hipError_tPvRmT2_T3_T4_T5_mT6_T7_P12ihipStream_tbENKUlT_T0_E_clISt17integral_constantIbLb1EES10_IbLb0EEEEDaSW_SX_EUlSW_E_NS1_11comp_targetILNS1_3genE3ELNS1_11target_archE908ELNS1_3gpuE7ELNS1_3repE0EEENS1_30default_config_static_selectorELNS0_4arch9wavefront6targetE0EEEvT1_
; %bb.0:
	.section	.rodata,"a",@progbits
	.p2align	6, 0x0
	.amdhsa_kernel _ZN7rocprim17ROCPRIM_400000_NS6detail17trampoline_kernelINS0_14default_configENS1_27scan_by_key_config_selectorIitEEZZNS1_16scan_by_key_implILNS1_25lookback_scan_determinismE0ELb0ES3_N6thrust23THRUST_200600_302600_NS6detail15normal_iteratorINS9_10device_ptrIiEEEENSB_INSC_ItEEEESG_tNS9_4plusIvEENS9_8equal_toIvEEtEE10hipError_tPvRmT2_T3_T4_T5_mT6_T7_P12ihipStream_tbENKUlT_T0_E_clISt17integral_constantIbLb1EES10_IbLb0EEEEDaSW_SX_EUlSW_E_NS1_11comp_targetILNS1_3genE3ELNS1_11target_archE908ELNS1_3gpuE7ELNS1_3repE0EEENS1_30default_config_static_selectorELNS0_4arch9wavefront6targetE0EEEvT1_
		.amdhsa_group_segment_fixed_size 0
		.amdhsa_private_segment_fixed_size 0
		.amdhsa_kernarg_size 112
		.amdhsa_user_sgpr_count 2
		.amdhsa_user_sgpr_dispatch_ptr 0
		.amdhsa_user_sgpr_queue_ptr 0
		.amdhsa_user_sgpr_kernarg_segment_ptr 1
		.amdhsa_user_sgpr_dispatch_id 0
		.amdhsa_user_sgpr_kernarg_preload_length 0
		.amdhsa_user_sgpr_kernarg_preload_offset 0
		.amdhsa_user_sgpr_private_segment_size 0
		.amdhsa_wavefront_size32 1
		.amdhsa_uses_dynamic_stack 0
		.amdhsa_enable_private_segment 0
		.amdhsa_system_sgpr_workgroup_id_x 1
		.amdhsa_system_sgpr_workgroup_id_y 0
		.amdhsa_system_sgpr_workgroup_id_z 0
		.amdhsa_system_sgpr_workgroup_info 0
		.amdhsa_system_vgpr_workitem_id 0
		.amdhsa_next_free_vgpr 1
		.amdhsa_next_free_sgpr 1
		.amdhsa_named_barrier_count 0
		.amdhsa_reserve_vcc 0
		.amdhsa_float_round_mode_32 0
		.amdhsa_float_round_mode_16_64 0
		.amdhsa_float_denorm_mode_32 3
		.amdhsa_float_denorm_mode_16_64 3
		.amdhsa_fp16_overflow 0
		.amdhsa_memory_ordered 1
		.amdhsa_forward_progress 1
		.amdhsa_inst_pref_size 0
		.amdhsa_round_robin_scheduling 0
		.amdhsa_exception_fp_ieee_invalid_op 0
		.amdhsa_exception_fp_denorm_src 0
		.amdhsa_exception_fp_ieee_div_zero 0
		.amdhsa_exception_fp_ieee_overflow 0
		.amdhsa_exception_fp_ieee_underflow 0
		.amdhsa_exception_fp_ieee_inexact 0
		.amdhsa_exception_int_div_zero 0
	.end_amdhsa_kernel
	.section	.text._ZN7rocprim17ROCPRIM_400000_NS6detail17trampoline_kernelINS0_14default_configENS1_27scan_by_key_config_selectorIitEEZZNS1_16scan_by_key_implILNS1_25lookback_scan_determinismE0ELb0ES3_N6thrust23THRUST_200600_302600_NS6detail15normal_iteratorINS9_10device_ptrIiEEEENSB_INSC_ItEEEESG_tNS9_4plusIvEENS9_8equal_toIvEEtEE10hipError_tPvRmT2_T3_T4_T5_mT6_T7_P12ihipStream_tbENKUlT_T0_E_clISt17integral_constantIbLb1EES10_IbLb0EEEEDaSW_SX_EUlSW_E_NS1_11comp_targetILNS1_3genE3ELNS1_11target_archE908ELNS1_3gpuE7ELNS1_3repE0EEENS1_30default_config_static_selectorELNS0_4arch9wavefront6targetE0EEEvT1_,"axG",@progbits,_ZN7rocprim17ROCPRIM_400000_NS6detail17trampoline_kernelINS0_14default_configENS1_27scan_by_key_config_selectorIitEEZZNS1_16scan_by_key_implILNS1_25lookback_scan_determinismE0ELb0ES3_N6thrust23THRUST_200600_302600_NS6detail15normal_iteratorINS9_10device_ptrIiEEEENSB_INSC_ItEEEESG_tNS9_4plusIvEENS9_8equal_toIvEEtEE10hipError_tPvRmT2_T3_T4_T5_mT6_T7_P12ihipStream_tbENKUlT_T0_E_clISt17integral_constantIbLb1EES10_IbLb0EEEEDaSW_SX_EUlSW_E_NS1_11comp_targetILNS1_3genE3ELNS1_11target_archE908ELNS1_3gpuE7ELNS1_3repE0EEENS1_30default_config_static_selectorELNS0_4arch9wavefront6targetE0EEEvT1_,comdat
.Lfunc_end1293:
	.size	_ZN7rocprim17ROCPRIM_400000_NS6detail17trampoline_kernelINS0_14default_configENS1_27scan_by_key_config_selectorIitEEZZNS1_16scan_by_key_implILNS1_25lookback_scan_determinismE0ELb0ES3_N6thrust23THRUST_200600_302600_NS6detail15normal_iteratorINS9_10device_ptrIiEEEENSB_INSC_ItEEEESG_tNS9_4plusIvEENS9_8equal_toIvEEtEE10hipError_tPvRmT2_T3_T4_T5_mT6_T7_P12ihipStream_tbENKUlT_T0_E_clISt17integral_constantIbLb1EES10_IbLb0EEEEDaSW_SX_EUlSW_E_NS1_11comp_targetILNS1_3genE3ELNS1_11target_archE908ELNS1_3gpuE7ELNS1_3repE0EEENS1_30default_config_static_selectorELNS0_4arch9wavefront6targetE0EEEvT1_, .Lfunc_end1293-_ZN7rocprim17ROCPRIM_400000_NS6detail17trampoline_kernelINS0_14default_configENS1_27scan_by_key_config_selectorIitEEZZNS1_16scan_by_key_implILNS1_25lookback_scan_determinismE0ELb0ES3_N6thrust23THRUST_200600_302600_NS6detail15normal_iteratorINS9_10device_ptrIiEEEENSB_INSC_ItEEEESG_tNS9_4plusIvEENS9_8equal_toIvEEtEE10hipError_tPvRmT2_T3_T4_T5_mT6_T7_P12ihipStream_tbENKUlT_T0_E_clISt17integral_constantIbLb1EES10_IbLb0EEEEDaSW_SX_EUlSW_E_NS1_11comp_targetILNS1_3genE3ELNS1_11target_archE908ELNS1_3gpuE7ELNS1_3repE0EEENS1_30default_config_static_selectorELNS0_4arch9wavefront6targetE0EEEvT1_
                                        ; -- End function
	.set _ZN7rocprim17ROCPRIM_400000_NS6detail17trampoline_kernelINS0_14default_configENS1_27scan_by_key_config_selectorIitEEZZNS1_16scan_by_key_implILNS1_25lookback_scan_determinismE0ELb0ES3_N6thrust23THRUST_200600_302600_NS6detail15normal_iteratorINS9_10device_ptrIiEEEENSB_INSC_ItEEEESG_tNS9_4plusIvEENS9_8equal_toIvEEtEE10hipError_tPvRmT2_T3_T4_T5_mT6_T7_P12ihipStream_tbENKUlT_T0_E_clISt17integral_constantIbLb1EES10_IbLb0EEEEDaSW_SX_EUlSW_E_NS1_11comp_targetILNS1_3genE3ELNS1_11target_archE908ELNS1_3gpuE7ELNS1_3repE0EEENS1_30default_config_static_selectorELNS0_4arch9wavefront6targetE0EEEvT1_.num_vgpr, 0
	.set _ZN7rocprim17ROCPRIM_400000_NS6detail17trampoline_kernelINS0_14default_configENS1_27scan_by_key_config_selectorIitEEZZNS1_16scan_by_key_implILNS1_25lookback_scan_determinismE0ELb0ES3_N6thrust23THRUST_200600_302600_NS6detail15normal_iteratorINS9_10device_ptrIiEEEENSB_INSC_ItEEEESG_tNS9_4plusIvEENS9_8equal_toIvEEtEE10hipError_tPvRmT2_T3_T4_T5_mT6_T7_P12ihipStream_tbENKUlT_T0_E_clISt17integral_constantIbLb1EES10_IbLb0EEEEDaSW_SX_EUlSW_E_NS1_11comp_targetILNS1_3genE3ELNS1_11target_archE908ELNS1_3gpuE7ELNS1_3repE0EEENS1_30default_config_static_selectorELNS0_4arch9wavefront6targetE0EEEvT1_.num_agpr, 0
	.set _ZN7rocprim17ROCPRIM_400000_NS6detail17trampoline_kernelINS0_14default_configENS1_27scan_by_key_config_selectorIitEEZZNS1_16scan_by_key_implILNS1_25lookback_scan_determinismE0ELb0ES3_N6thrust23THRUST_200600_302600_NS6detail15normal_iteratorINS9_10device_ptrIiEEEENSB_INSC_ItEEEESG_tNS9_4plusIvEENS9_8equal_toIvEEtEE10hipError_tPvRmT2_T3_T4_T5_mT6_T7_P12ihipStream_tbENKUlT_T0_E_clISt17integral_constantIbLb1EES10_IbLb0EEEEDaSW_SX_EUlSW_E_NS1_11comp_targetILNS1_3genE3ELNS1_11target_archE908ELNS1_3gpuE7ELNS1_3repE0EEENS1_30default_config_static_selectorELNS0_4arch9wavefront6targetE0EEEvT1_.numbered_sgpr, 0
	.set _ZN7rocprim17ROCPRIM_400000_NS6detail17trampoline_kernelINS0_14default_configENS1_27scan_by_key_config_selectorIitEEZZNS1_16scan_by_key_implILNS1_25lookback_scan_determinismE0ELb0ES3_N6thrust23THRUST_200600_302600_NS6detail15normal_iteratorINS9_10device_ptrIiEEEENSB_INSC_ItEEEESG_tNS9_4plusIvEENS9_8equal_toIvEEtEE10hipError_tPvRmT2_T3_T4_T5_mT6_T7_P12ihipStream_tbENKUlT_T0_E_clISt17integral_constantIbLb1EES10_IbLb0EEEEDaSW_SX_EUlSW_E_NS1_11comp_targetILNS1_3genE3ELNS1_11target_archE908ELNS1_3gpuE7ELNS1_3repE0EEENS1_30default_config_static_selectorELNS0_4arch9wavefront6targetE0EEEvT1_.num_named_barrier, 0
	.set _ZN7rocprim17ROCPRIM_400000_NS6detail17trampoline_kernelINS0_14default_configENS1_27scan_by_key_config_selectorIitEEZZNS1_16scan_by_key_implILNS1_25lookback_scan_determinismE0ELb0ES3_N6thrust23THRUST_200600_302600_NS6detail15normal_iteratorINS9_10device_ptrIiEEEENSB_INSC_ItEEEESG_tNS9_4plusIvEENS9_8equal_toIvEEtEE10hipError_tPvRmT2_T3_T4_T5_mT6_T7_P12ihipStream_tbENKUlT_T0_E_clISt17integral_constantIbLb1EES10_IbLb0EEEEDaSW_SX_EUlSW_E_NS1_11comp_targetILNS1_3genE3ELNS1_11target_archE908ELNS1_3gpuE7ELNS1_3repE0EEENS1_30default_config_static_selectorELNS0_4arch9wavefront6targetE0EEEvT1_.private_seg_size, 0
	.set _ZN7rocprim17ROCPRIM_400000_NS6detail17trampoline_kernelINS0_14default_configENS1_27scan_by_key_config_selectorIitEEZZNS1_16scan_by_key_implILNS1_25lookback_scan_determinismE0ELb0ES3_N6thrust23THRUST_200600_302600_NS6detail15normal_iteratorINS9_10device_ptrIiEEEENSB_INSC_ItEEEESG_tNS9_4plusIvEENS9_8equal_toIvEEtEE10hipError_tPvRmT2_T3_T4_T5_mT6_T7_P12ihipStream_tbENKUlT_T0_E_clISt17integral_constantIbLb1EES10_IbLb0EEEEDaSW_SX_EUlSW_E_NS1_11comp_targetILNS1_3genE3ELNS1_11target_archE908ELNS1_3gpuE7ELNS1_3repE0EEENS1_30default_config_static_selectorELNS0_4arch9wavefront6targetE0EEEvT1_.uses_vcc, 0
	.set _ZN7rocprim17ROCPRIM_400000_NS6detail17trampoline_kernelINS0_14default_configENS1_27scan_by_key_config_selectorIitEEZZNS1_16scan_by_key_implILNS1_25lookback_scan_determinismE0ELb0ES3_N6thrust23THRUST_200600_302600_NS6detail15normal_iteratorINS9_10device_ptrIiEEEENSB_INSC_ItEEEESG_tNS9_4plusIvEENS9_8equal_toIvEEtEE10hipError_tPvRmT2_T3_T4_T5_mT6_T7_P12ihipStream_tbENKUlT_T0_E_clISt17integral_constantIbLb1EES10_IbLb0EEEEDaSW_SX_EUlSW_E_NS1_11comp_targetILNS1_3genE3ELNS1_11target_archE908ELNS1_3gpuE7ELNS1_3repE0EEENS1_30default_config_static_selectorELNS0_4arch9wavefront6targetE0EEEvT1_.uses_flat_scratch, 0
	.set _ZN7rocprim17ROCPRIM_400000_NS6detail17trampoline_kernelINS0_14default_configENS1_27scan_by_key_config_selectorIitEEZZNS1_16scan_by_key_implILNS1_25lookback_scan_determinismE0ELb0ES3_N6thrust23THRUST_200600_302600_NS6detail15normal_iteratorINS9_10device_ptrIiEEEENSB_INSC_ItEEEESG_tNS9_4plusIvEENS9_8equal_toIvEEtEE10hipError_tPvRmT2_T3_T4_T5_mT6_T7_P12ihipStream_tbENKUlT_T0_E_clISt17integral_constantIbLb1EES10_IbLb0EEEEDaSW_SX_EUlSW_E_NS1_11comp_targetILNS1_3genE3ELNS1_11target_archE908ELNS1_3gpuE7ELNS1_3repE0EEENS1_30default_config_static_selectorELNS0_4arch9wavefront6targetE0EEEvT1_.has_dyn_sized_stack, 0
	.set _ZN7rocprim17ROCPRIM_400000_NS6detail17trampoline_kernelINS0_14default_configENS1_27scan_by_key_config_selectorIitEEZZNS1_16scan_by_key_implILNS1_25lookback_scan_determinismE0ELb0ES3_N6thrust23THRUST_200600_302600_NS6detail15normal_iteratorINS9_10device_ptrIiEEEENSB_INSC_ItEEEESG_tNS9_4plusIvEENS9_8equal_toIvEEtEE10hipError_tPvRmT2_T3_T4_T5_mT6_T7_P12ihipStream_tbENKUlT_T0_E_clISt17integral_constantIbLb1EES10_IbLb0EEEEDaSW_SX_EUlSW_E_NS1_11comp_targetILNS1_3genE3ELNS1_11target_archE908ELNS1_3gpuE7ELNS1_3repE0EEENS1_30default_config_static_selectorELNS0_4arch9wavefront6targetE0EEEvT1_.has_recursion, 0
	.set _ZN7rocprim17ROCPRIM_400000_NS6detail17trampoline_kernelINS0_14default_configENS1_27scan_by_key_config_selectorIitEEZZNS1_16scan_by_key_implILNS1_25lookback_scan_determinismE0ELb0ES3_N6thrust23THRUST_200600_302600_NS6detail15normal_iteratorINS9_10device_ptrIiEEEENSB_INSC_ItEEEESG_tNS9_4plusIvEENS9_8equal_toIvEEtEE10hipError_tPvRmT2_T3_T4_T5_mT6_T7_P12ihipStream_tbENKUlT_T0_E_clISt17integral_constantIbLb1EES10_IbLb0EEEEDaSW_SX_EUlSW_E_NS1_11comp_targetILNS1_3genE3ELNS1_11target_archE908ELNS1_3gpuE7ELNS1_3repE0EEENS1_30default_config_static_selectorELNS0_4arch9wavefront6targetE0EEEvT1_.has_indirect_call, 0
	.section	.AMDGPU.csdata,"",@progbits
; Kernel info:
; codeLenInByte = 0
; TotalNumSgprs: 0
; NumVgprs: 0
; ScratchSize: 0
; MemoryBound: 0
; FloatMode: 240
; IeeeMode: 1
; LDSByteSize: 0 bytes/workgroup (compile time only)
; SGPRBlocks: 0
; VGPRBlocks: 0
; NumSGPRsForWavesPerEU: 1
; NumVGPRsForWavesPerEU: 1
; NamedBarCnt: 0
; Occupancy: 16
; WaveLimiterHint : 0
; COMPUTE_PGM_RSRC2:SCRATCH_EN: 0
; COMPUTE_PGM_RSRC2:USER_SGPR: 2
; COMPUTE_PGM_RSRC2:TRAP_HANDLER: 0
; COMPUTE_PGM_RSRC2:TGID_X_EN: 1
; COMPUTE_PGM_RSRC2:TGID_Y_EN: 0
; COMPUTE_PGM_RSRC2:TGID_Z_EN: 0
; COMPUTE_PGM_RSRC2:TIDIG_COMP_CNT: 0
	.section	.text._ZN7rocprim17ROCPRIM_400000_NS6detail17trampoline_kernelINS0_14default_configENS1_27scan_by_key_config_selectorIitEEZZNS1_16scan_by_key_implILNS1_25lookback_scan_determinismE0ELb0ES3_N6thrust23THRUST_200600_302600_NS6detail15normal_iteratorINS9_10device_ptrIiEEEENSB_INSC_ItEEEESG_tNS9_4plusIvEENS9_8equal_toIvEEtEE10hipError_tPvRmT2_T3_T4_T5_mT6_T7_P12ihipStream_tbENKUlT_T0_E_clISt17integral_constantIbLb1EES10_IbLb0EEEEDaSW_SX_EUlSW_E_NS1_11comp_targetILNS1_3genE2ELNS1_11target_archE906ELNS1_3gpuE6ELNS1_3repE0EEENS1_30default_config_static_selectorELNS0_4arch9wavefront6targetE0EEEvT1_,"axG",@progbits,_ZN7rocprim17ROCPRIM_400000_NS6detail17trampoline_kernelINS0_14default_configENS1_27scan_by_key_config_selectorIitEEZZNS1_16scan_by_key_implILNS1_25lookback_scan_determinismE0ELb0ES3_N6thrust23THRUST_200600_302600_NS6detail15normal_iteratorINS9_10device_ptrIiEEEENSB_INSC_ItEEEESG_tNS9_4plusIvEENS9_8equal_toIvEEtEE10hipError_tPvRmT2_T3_T4_T5_mT6_T7_P12ihipStream_tbENKUlT_T0_E_clISt17integral_constantIbLb1EES10_IbLb0EEEEDaSW_SX_EUlSW_E_NS1_11comp_targetILNS1_3genE2ELNS1_11target_archE906ELNS1_3gpuE6ELNS1_3repE0EEENS1_30default_config_static_selectorELNS0_4arch9wavefront6targetE0EEEvT1_,comdat
	.protected	_ZN7rocprim17ROCPRIM_400000_NS6detail17trampoline_kernelINS0_14default_configENS1_27scan_by_key_config_selectorIitEEZZNS1_16scan_by_key_implILNS1_25lookback_scan_determinismE0ELb0ES3_N6thrust23THRUST_200600_302600_NS6detail15normal_iteratorINS9_10device_ptrIiEEEENSB_INSC_ItEEEESG_tNS9_4plusIvEENS9_8equal_toIvEEtEE10hipError_tPvRmT2_T3_T4_T5_mT6_T7_P12ihipStream_tbENKUlT_T0_E_clISt17integral_constantIbLb1EES10_IbLb0EEEEDaSW_SX_EUlSW_E_NS1_11comp_targetILNS1_3genE2ELNS1_11target_archE906ELNS1_3gpuE6ELNS1_3repE0EEENS1_30default_config_static_selectorELNS0_4arch9wavefront6targetE0EEEvT1_ ; -- Begin function _ZN7rocprim17ROCPRIM_400000_NS6detail17trampoline_kernelINS0_14default_configENS1_27scan_by_key_config_selectorIitEEZZNS1_16scan_by_key_implILNS1_25lookback_scan_determinismE0ELb0ES3_N6thrust23THRUST_200600_302600_NS6detail15normal_iteratorINS9_10device_ptrIiEEEENSB_INSC_ItEEEESG_tNS9_4plusIvEENS9_8equal_toIvEEtEE10hipError_tPvRmT2_T3_T4_T5_mT6_T7_P12ihipStream_tbENKUlT_T0_E_clISt17integral_constantIbLb1EES10_IbLb0EEEEDaSW_SX_EUlSW_E_NS1_11comp_targetILNS1_3genE2ELNS1_11target_archE906ELNS1_3gpuE6ELNS1_3repE0EEENS1_30default_config_static_selectorELNS0_4arch9wavefront6targetE0EEEvT1_
	.globl	_ZN7rocprim17ROCPRIM_400000_NS6detail17trampoline_kernelINS0_14default_configENS1_27scan_by_key_config_selectorIitEEZZNS1_16scan_by_key_implILNS1_25lookback_scan_determinismE0ELb0ES3_N6thrust23THRUST_200600_302600_NS6detail15normal_iteratorINS9_10device_ptrIiEEEENSB_INSC_ItEEEESG_tNS9_4plusIvEENS9_8equal_toIvEEtEE10hipError_tPvRmT2_T3_T4_T5_mT6_T7_P12ihipStream_tbENKUlT_T0_E_clISt17integral_constantIbLb1EES10_IbLb0EEEEDaSW_SX_EUlSW_E_NS1_11comp_targetILNS1_3genE2ELNS1_11target_archE906ELNS1_3gpuE6ELNS1_3repE0EEENS1_30default_config_static_selectorELNS0_4arch9wavefront6targetE0EEEvT1_
	.p2align	8
	.type	_ZN7rocprim17ROCPRIM_400000_NS6detail17trampoline_kernelINS0_14default_configENS1_27scan_by_key_config_selectorIitEEZZNS1_16scan_by_key_implILNS1_25lookback_scan_determinismE0ELb0ES3_N6thrust23THRUST_200600_302600_NS6detail15normal_iteratorINS9_10device_ptrIiEEEENSB_INSC_ItEEEESG_tNS9_4plusIvEENS9_8equal_toIvEEtEE10hipError_tPvRmT2_T3_T4_T5_mT6_T7_P12ihipStream_tbENKUlT_T0_E_clISt17integral_constantIbLb1EES10_IbLb0EEEEDaSW_SX_EUlSW_E_NS1_11comp_targetILNS1_3genE2ELNS1_11target_archE906ELNS1_3gpuE6ELNS1_3repE0EEENS1_30default_config_static_selectorELNS0_4arch9wavefront6targetE0EEEvT1_,@function
_ZN7rocprim17ROCPRIM_400000_NS6detail17trampoline_kernelINS0_14default_configENS1_27scan_by_key_config_selectorIitEEZZNS1_16scan_by_key_implILNS1_25lookback_scan_determinismE0ELb0ES3_N6thrust23THRUST_200600_302600_NS6detail15normal_iteratorINS9_10device_ptrIiEEEENSB_INSC_ItEEEESG_tNS9_4plusIvEENS9_8equal_toIvEEtEE10hipError_tPvRmT2_T3_T4_T5_mT6_T7_P12ihipStream_tbENKUlT_T0_E_clISt17integral_constantIbLb1EES10_IbLb0EEEEDaSW_SX_EUlSW_E_NS1_11comp_targetILNS1_3genE2ELNS1_11target_archE906ELNS1_3gpuE6ELNS1_3repE0EEENS1_30default_config_static_selectorELNS0_4arch9wavefront6targetE0EEEvT1_: ; @_ZN7rocprim17ROCPRIM_400000_NS6detail17trampoline_kernelINS0_14default_configENS1_27scan_by_key_config_selectorIitEEZZNS1_16scan_by_key_implILNS1_25lookback_scan_determinismE0ELb0ES3_N6thrust23THRUST_200600_302600_NS6detail15normal_iteratorINS9_10device_ptrIiEEEENSB_INSC_ItEEEESG_tNS9_4plusIvEENS9_8equal_toIvEEtEE10hipError_tPvRmT2_T3_T4_T5_mT6_T7_P12ihipStream_tbENKUlT_T0_E_clISt17integral_constantIbLb1EES10_IbLb0EEEEDaSW_SX_EUlSW_E_NS1_11comp_targetILNS1_3genE2ELNS1_11target_archE906ELNS1_3gpuE6ELNS1_3repE0EEENS1_30default_config_static_selectorELNS0_4arch9wavefront6targetE0EEEvT1_
; %bb.0:
	.section	.rodata,"a",@progbits
	.p2align	6, 0x0
	.amdhsa_kernel _ZN7rocprim17ROCPRIM_400000_NS6detail17trampoline_kernelINS0_14default_configENS1_27scan_by_key_config_selectorIitEEZZNS1_16scan_by_key_implILNS1_25lookback_scan_determinismE0ELb0ES3_N6thrust23THRUST_200600_302600_NS6detail15normal_iteratorINS9_10device_ptrIiEEEENSB_INSC_ItEEEESG_tNS9_4plusIvEENS9_8equal_toIvEEtEE10hipError_tPvRmT2_T3_T4_T5_mT6_T7_P12ihipStream_tbENKUlT_T0_E_clISt17integral_constantIbLb1EES10_IbLb0EEEEDaSW_SX_EUlSW_E_NS1_11comp_targetILNS1_3genE2ELNS1_11target_archE906ELNS1_3gpuE6ELNS1_3repE0EEENS1_30default_config_static_selectorELNS0_4arch9wavefront6targetE0EEEvT1_
		.amdhsa_group_segment_fixed_size 0
		.amdhsa_private_segment_fixed_size 0
		.amdhsa_kernarg_size 112
		.amdhsa_user_sgpr_count 2
		.amdhsa_user_sgpr_dispatch_ptr 0
		.amdhsa_user_sgpr_queue_ptr 0
		.amdhsa_user_sgpr_kernarg_segment_ptr 1
		.amdhsa_user_sgpr_dispatch_id 0
		.amdhsa_user_sgpr_kernarg_preload_length 0
		.amdhsa_user_sgpr_kernarg_preload_offset 0
		.amdhsa_user_sgpr_private_segment_size 0
		.amdhsa_wavefront_size32 1
		.amdhsa_uses_dynamic_stack 0
		.amdhsa_enable_private_segment 0
		.amdhsa_system_sgpr_workgroup_id_x 1
		.amdhsa_system_sgpr_workgroup_id_y 0
		.amdhsa_system_sgpr_workgroup_id_z 0
		.amdhsa_system_sgpr_workgroup_info 0
		.amdhsa_system_vgpr_workitem_id 0
		.amdhsa_next_free_vgpr 1
		.amdhsa_next_free_sgpr 1
		.amdhsa_named_barrier_count 0
		.amdhsa_reserve_vcc 0
		.amdhsa_float_round_mode_32 0
		.amdhsa_float_round_mode_16_64 0
		.amdhsa_float_denorm_mode_32 3
		.amdhsa_float_denorm_mode_16_64 3
		.amdhsa_fp16_overflow 0
		.amdhsa_memory_ordered 1
		.amdhsa_forward_progress 1
		.amdhsa_inst_pref_size 0
		.amdhsa_round_robin_scheduling 0
		.amdhsa_exception_fp_ieee_invalid_op 0
		.amdhsa_exception_fp_denorm_src 0
		.amdhsa_exception_fp_ieee_div_zero 0
		.amdhsa_exception_fp_ieee_overflow 0
		.amdhsa_exception_fp_ieee_underflow 0
		.amdhsa_exception_fp_ieee_inexact 0
		.amdhsa_exception_int_div_zero 0
	.end_amdhsa_kernel
	.section	.text._ZN7rocprim17ROCPRIM_400000_NS6detail17trampoline_kernelINS0_14default_configENS1_27scan_by_key_config_selectorIitEEZZNS1_16scan_by_key_implILNS1_25lookback_scan_determinismE0ELb0ES3_N6thrust23THRUST_200600_302600_NS6detail15normal_iteratorINS9_10device_ptrIiEEEENSB_INSC_ItEEEESG_tNS9_4plusIvEENS9_8equal_toIvEEtEE10hipError_tPvRmT2_T3_T4_T5_mT6_T7_P12ihipStream_tbENKUlT_T0_E_clISt17integral_constantIbLb1EES10_IbLb0EEEEDaSW_SX_EUlSW_E_NS1_11comp_targetILNS1_3genE2ELNS1_11target_archE906ELNS1_3gpuE6ELNS1_3repE0EEENS1_30default_config_static_selectorELNS0_4arch9wavefront6targetE0EEEvT1_,"axG",@progbits,_ZN7rocprim17ROCPRIM_400000_NS6detail17trampoline_kernelINS0_14default_configENS1_27scan_by_key_config_selectorIitEEZZNS1_16scan_by_key_implILNS1_25lookback_scan_determinismE0ELb0ES3_N6thrust23THRUST_200600_302600_NS6detail15normal_iteratorINS9_10device_ptrIiEEEENSB_INSC_ItEEEESG_tNS9_4plusIvEENS9_8equal_toIvEEtEE10hipError_tPvRmT2_T3_T4_T5_mT6_T7_P12ihipStream_tbENKUlT_T0_E_clISt17integral_constantIbLb1EES10_IbLb0EEEEDaSW_SX_EUlSW_E_NS1_11comp_targetILNS1_3genE2ELNS1_11target_archE906ELNS1_3gpuE6ELNS1_3repE0EEENS1_30default_config_static_selectorELNS0_4arch9wavefront6targetE0EEEvT1_,comdat
.Lfunc_end1294:
	.size	_ZN7rocprim17ROCPRIM_400000_NS6detail17trampoline_kernelINS0_14default_configENS1_27scan_by_key_config_selectorIitEEZZNS1_16scan_by_key_implILNS1_25lookback_scan_determinismE0ELb0ES3_N6thrust23THRUST_200600_302600_NS6detail15normal_iteratorINS9_10device_ptrIiEEEENSB_INSC_ItEEEESG_tNS9_4plusIvEENS9_8equal_toIvEEtEE10hipError_tPvRmT2_T3_T4_T5_mT6_T7_P12ihipStream_tbENKUlT_T0_E_clISt17integral_constantIbLb1EES10_IbLb0EEEEDaSW_SX_EUlSW_E_NS1_11comp_targetILNS1_3genE2ELNS1_11target_archE906ELNS1_3gpuE6ELNS1_3repE0EEENS1_30default_config_static_selectorELNS0_4arch9wavefront6targetE0EEEvT1_, .Lfunc_end1294-_ZN7rocprim17ROCPRIM_400000_NS6detail17trampoline_kernelINS0_14default_configENS1_27scan_by_key_config_selectorIitEEZZNS1_16scan_by_key_implILNS1_25lookback_scan_determinismE0ELb0ES3_N6thrust23THRUST_200600_302600_NS6detail15normal_iteratorINS9_10device_ptrIiEEEENSB_INSC_ItEEEESG_tNS9_4plusIvEENS9_8equal_toIvEEtEE10hipError_tPvRmT2_T3_T4_T5_mT6_T7_P12ihipStream_tbENKUlT_T0_E_clISt17integral_constantIbLb1EES10_IbLb0EEEEDaSW_SX_EUlSW_E_NS1_11comp_targetILNS1_3genE2ELNS1_11target_archE906ELNS1_3gpuE6ELNS1_3repE0EEENS1_30default_config_static_selectorELNS0_4arch9wavefront6targetE0EEEvT1_
                                        ; -- End function
	.set _ZN7rocprim17ROCPRIM_400000_NS6detail17trampoline_kernelINS0_14default_configENS1_27scan_by_key_config_selectorIitEEZZNS1_16scan_by_key_implILNS1_25lookback_scan_determinismE0ELb0ES3_N6thrust23THRUST_200600_302600_NS6detail15normal_iteratorINS9_10device_ptrIiEEEENSB_INSC_ItEEEESG_tNS9_4plusIvEENS9_8equal_toIvEEtEE10hipError_tPvRmT2_T3_T4_T5_mT6_T7_P12ihipStream_tbENKUlT_T0_E_clISt17integral_constantIbLb1EES10_IbLb0EEEEDaSW_SX_EUlSW_E_NS1_11comp_targetILNS1_3genE2ELNS1_11target_archE906ELNS1_3gpuE6ELNS1_3repE0EEENS1_30default_config_static_selectorELNS0_4arch9wavefront6targetE0EEEvT1_.num_vgpr, 0
	.set _ZN7rocprim17ROCPRIM_400000_NS6detail17trampoline_kernelINS0_14default_configENS1_27scan_by_key_config_selectorIitEEZZNS1_16scan_by_key_implILNS1_25lookback_scan_determinismE0ELb0ES3_N6thrust23THRUST_200600_302600_NS6detail15normal_iteratorINS9_10device_ptrIiEEEENSB_INSC_ItEEEESG_tNS9_4plusIvEENS9_8equal_toIvEEtEE10hipError_tPvRmT2_T3_T4_T5_mT6_T7_P12ihipStream_tbENKUlT_T0_E_clISt17integral_constantIbLb1EES10_IbLb0EEEEDaSW_SX_EUlSW_E_NS1_11comp_targetILNS1_3genE2ELNS1_11target_archE906ELNS1_3gpuE6ELNS1_3repE0EEENS1_30default_config_static_selectorELNS0_4arch9wavefront6targetE0EEEvT1_.num_agpr, 0
	.set _ZN7rocprim17ROCPRIM_400000_NS6detail17trampoline_kernelINS0_14default_configENS1_27scan_by_key_config_selectorIitEEZZNS1_16scan_by_key_implILNS1_25lookback_scan_determinismE0ELb0ES3_N6thrust23THRUST_200600_302600_NS6detail15normal_iteratorINS9_10device_ptrIiEEEENSB_INSC_ItEEEESG_tNS9_4plusIvEENS9_8equal_toIvEEtEE10hipError_tPvRmT2_T3_T4_T5_mT6_T7_P12ihipStream_tbENKUlT_T0_E_clISt17integral_constantIbLb1EES10_IbLb0EEEEDaSW_SX_EUlSW_E_NS1_11comp_targetILNS1_3genE2ELNS1_11target_archE906ELNS1_3gpuE6ELNS1_3repE0EEENS1_30default_config_static_selectorELNS0_4arch9wavefront6targetE0EEEvT1_.numbered_sgpr, 0
	.set _ZN7rocprim17ROCPRIM_400000_NS6detail17trampoline_kernelINS0_14default_configENS1_27scan_by_key_config_selectorIitEEZZNS1_16scan_by_key_implILNS1_25lookback_scan_determinismE0ELb0ES3_N6thrust23THRUST_200600_302600_NS6detail15normal_iteratorINS9_10device_ptrIiEEEENSB_INSC_ItEEEESG_tNS9_4plusIvEENS9_8equal_toIvEEtEE10hipError_tPvRmT2_T3_T4_T5_mT6_T7_P12ihipStream_tbENKUlT_T0_E_clISt17integral_constantIbLb1EES10_IbLb0EEEEDaSW_SX_EUlSW_E_NS1_11comp_targetILNS1_3genE2ELNS1_11target_archE906ELNS1_3gpuE6ELNS1_3repE0EEENS1_30default_config_static_selectorELNS0_4arch9wavefront6targetE0EEEvT1_.num_named_barrier, 0
	.set _ZN7rocprim17ROCPRIM_400000_NS6detail17trampoline_kernelINS0_14default_configENS1_27scan_by_key_config_selectorIitEEZZNS1_16scan_by_key_implILNS1_25lookback_scan_determinismE0ELb0ES3_N6thrust23THRUST_200600_302600_NS6detail15normal_iteratorINS9_10device_ptrIiEEEENSB_INSC_ItEEEESG_tNS9_4plusIvEENS9_8equal_toIvEEtEE10hipError_tPvRmT2_T3_T4_T5_mT6_T7_P12ihipStream_tbENKUlT_T0_E_clISt17integral_constantIbLb1EES10_IbLb0EEEEDaSW_SX_EUlSW_E_NS1_11comp_targetILNS1_3genE2ELNS1_11target_archE906ELNS1_3gpuE6ELNS1_3repE0EEENS1_30default_config_static_selectorELNS0_4arch9wavefront6targetE0EEEvT1_.private_seg_size, 0
	.set _ZN7rocprim17ROCPRIM_400000_NS6detail17trampoline_kernelINS0_14default_configENS1_27scan_by_key_config_selectorIitEEZZNS1_16scan_by_key_implILNS1_25lookback_scan_determinismE0ELb0ES3_N6thrust23THRUST_200600_302600_NS6detail15normal_iteratorINS9_10device_ptrIiEEEENSB_INSC_ItEEEESG_tNS9_4plusIvEENS9_8equal_toIvEEtEE10hipError_tPvRmT2_T3_T4_T5_mT6_T7_P12ihipStream_tbENKUlT_T0_E_clISt17integral_constantIbLb1EES10_IbLb0EEEEDaSW_SX_EUlSW_E_NS1_11comp_targetILNS1_3genE2ELNS1_11target_archE906ELNS1_3gpuE6ELNS1_3repE0EEENS1_30default_config_static_selectorELNS0_4arch9wavefront6targetE0EEEvT1_.uses_vcc, 0
	.set _ZN7rocprim17ROCPRIM_400000_NS6detail17trampoline_kernelINS0_14default_configENS1_27scan_by_key_config_selectorIitEEZZNS1_16scan_by_key_implILNS1_25lookback_scan_determinismE0ELb0ES3_N6thrust23THRUST_200600_302600_NS6detail15normal_iteratorINS9_10device_ptrIiEEEENSB_INSC_ItEEEESG_tNS9_4plusIvEENS9_8equal_toIvEEtEE10hipError_tPvRmT2_T3_T4_T5_mT6_T7_P12ihipStream_tbENKUlT_T0_E_clISt17integral_constantIbLb1EES10_IbLb0EEEEDaSW_SX_EUlSW_E_NS1_11comp_targetILNS1_3genE2ELNS1_11target_archE906ELNS1_3gpuE6ELNS1_3repE0EEENS1_30default_config_static_selectorELNS0_4arch9wavefront6targetE0EEEvT1_.uses_flat_scratch, 0
	.set _ZN7rocprim17ROCPRIM_400000_NS6detail17trampoline_kernelINS0_14default_configENS1_27scan_by_key_config_selectorIitEEZZNS1_16scan_by_key_implILNS1_25lookback_scan_determinismE0ELb0ES3_N6thrust23THRUST_200600_302600_NS6detail15normal_iteratorINS9_10device_ptrIiEEEENSB_INSC_ItEEEESG_tNS9_4plusIvEENS9_8equal_toIvEEtEE10hipError_tPvRmT2_T3_T4_T5_mT6_T7_P12ihipStream_tbENKUlT_T0_E_clISt17integral_constantIbLb1EES10_IbLb0EEEEDaSW_SX_EUlSW_E_NS1_11comp_targetILNS1_3genE2ELNS1_11target_archE906ELNS1_3gpuE6ELNS1_3repE0EEENS1_30default_config_static_selectorELNS0_4arch9wavefront6targetE0EEEvT1_.has_dyn_sized_stack, 0
	.set _ZN7rocprim17ROCPRIM_400000_NS6detail17trampoline_kernelINS0_14default_configENS1_27scan_by_key_config_selectorIitEEZZNS1_16scan_by_key_implILNS1_25lookback_scan_determinismE0ELb0ES3_N6thrust23THRUST_200600_302600_NS6detail15normal_iteratorINS9_10device_ptrIiEEEENSB_INSC_ItEEEESG_tNS9_4plusIvEENS9_8equal_toIvEEtEE10hipError_tPvRmT2_T3_T4_T5_mT6_T7_P12ihipStream_tbENKUlT_T0_E_clISt17integral_constantIbLb1EES10_IbLb0EEEEDaSW_SX_EUlSW_E_NS1_11comp_targetILNS1_3genE2ELNS1_11target_archE906ELNS1_3gpuE6ELNS1_3repE0EEENS1_30default_config_static_selectorELNS0_4arch9wavefront6targetE0EEEvT1_.has_recursion, 0
	.set _ZN7rocprim17ROCPRIM_400000_NS6detail17trampoline_kernelINS0_14default_configENS1_27scan_by_key_config_selectorIitEEZZNS1_16scan_by_key_implILNS1_25lookback_scan_determinismE0ELb0ES3_N6thrust23THRUST_200600_302600_NS6detail15normal_iteratorINS9_10device_ptrIiEEEENSB_INSC_ItEEEESG_tNS9_4plusIvEENS9_8equal_toIvEEtEE10hipError_tPvRmT2_T3_T4_T5_mT6_T7_P12ihipStream_tbENKUlT_T0_E_clISt17integral_constantIbLb1EES10_IbLb0EEEEDaSW_SX_EUlSW_E_NS1_11comp_targetILNS1_3genE2ELNS1_11target_archE906ELNS1_3gpuE6ELNS1_3repE0EEENS1_30default_config_static_selectorELNS0_4arch9wavefront6targetE0EEEvT1_.has_indirect_call, 0
	.section	.AMDGPU.csdata,"",@progbits
; Kernel info:
; codeLenInByte = 0
; TotalNumSgprs: 0
; NumVgprs: 0
; ScratchSize: 0
; MemoryBound: 0
; FloatMode: 240
; IeeeMode: 1
; LDSByteSize: 0 bytes/workgroup (compile time only)
; SGPRBlocks: 0
; VGPRBlocks: 0
; NumSGPRsForWavesPerEU: 1
; NumVGPRsForWavesPerEU: 1
; NamedBarCnt: 0
; Occupancy: 16
; WaveLimiterHint : 0
; COMPUTE_PGM_RSRC2:SCRATCH_EN: 0
; COMPUTE_PGM_RSRC2:USER_SGPR: 2
; COMPUTE_PGM_RSRC2:TRAP_HANDLER: 0
; COMPUTE_PGM_RSRC2:TGID_X_EN: 1
; COMPUTE_PGM_RSRC2:TGID_Y_EN: 0
; COMPUTE_PGM_RSRC2:TGID_Z_EN: 0
; COMPUTE_PGM_RSRC2:TIDIG_COMP_CNT: 0
	.section	.text._ZN7rocprim17ROCPRIM_400000_NS6detail17trampoline_kernelINS0_14default_configENS1_27scan_by_key_config_selectorIitEEZZNS1_16scan_by_key_implILNS1_25lookback_scan_determinismE0ELb0ES3_N6thrust23THRUST_200600_302600_NS6detail15normal_iteratorINS9_10device_ptrIiEEEENSB_INSC_ItEEEESG_tNS9_4plusIvEENS9_8equal_toIvEEtEE10hipError_tPvRmT2_T3_T4_T5_mT6_T7_P12ihipStream_tbENKUlT_T0_E_clISt17integral_constantIbLb1EES10_IbLb0EEEEDaSW_SX_EUlSW_E_NS1_11comp_targetILNS1_3genE10ELNS1_11target_archE1200ELNS1_3gpuE4ELNS1_3repE0EEENS1_30default_config_static_selectorELNS0_4arch9wavefront6targetE0EEEvT1_,"axG",@progbits,_ZN7rocprim17ROCPRIM_400000_NS6detail17trampoline_kernelINS0_14default_configENS1_27scan_by_key_config_selectorIitEEZZNS1_16scan_by_key_implILNS1_25lookback_scan_determinismE0ELb0ES3_N6thrust23THRUST_200600_302600_NS6detail15normal_iteratorINS9_10device_ptrIiEEEENSB_INSC_ItEEEESG_tNS9_4plusIvEENS9_8equal_toIvEEtEE10hipError_tPvRmT2_T3_T4_T5_mT6_T7_P12ihipStream_tbENKUlT_T0_E_clISt17integral_constantIbLb1EES10_IbLb0EEEEDaSW_SX_EUlSW_E_NS1_11comp_targetILNS1_3genE10ELNS1_11target_archE1200ELNS1_3gpuE4ELNS1_3repE0EEENS1_30default_config_static_selectorELNS0_4arch9wavefront6targetE0EEEvT1_,comdat
	.protected	_ZN7rocprim17ROCPRIM_400000_NS6detail17trampoline_kernelINS0_14default_configENS1_27scan_by_key_config_selectorIitEEZZNS1_16scan_by_key_implILNS1_25lookback_scan_determinismE0ELb0ES3_N6thrust23THRUST_200600_302600_NS6detail15normal_iteratorINS9_10device_ptrIiEEEENSB_INSC_ItEEEESG_tNS9_4plusIvEENS9_8equal_toIvEEtEE10hipError_tPvRmT2_T3_T4_T5_mT6_T7_P12ihipStream_tbENKUlT_T0_E_clISt17integral_constantIbLb1EES10_IbLb0EEEEDaSW_SX_EUlSW_E_NS1_11comp_targetILNS1_3genE10ELNS1_11target_archE1200ELNS1_3gpuE4ELNS1_3repE0EEENS1_30default_config_static_selectorELNS0_4arch9wavefront6targetE0EEEvT1_ ; -- Begin function _ZN7rocprim17ROCPRIM_400000_NS6detail17trampoline_kernelINS0_14default_configENS1_27scan_by_key_config_selectorIitEEZZNS1_16scan_by_key_implILNS1_25lookback_scan_determinismE0ELb0ES3_N6thrust23THRUST_200600_302600_NS6detail15normal_iteratorINS9_10device_ptrIiEEEENSB_INSC_ItEEEESG_tNS9_4plusIvEENS9_8equal_toIvEEtEE10hipError_tPvRmT2_T3_T4_T5_mT6_T7_P12ihipStream_tbENKUlT_T0_E_clISt17integral_constantIbLb1EES10_IbLb0EEEEDaSW_SX_EUlSW_E_NS1_11comp_targetILNS1_3genE10ELNS1_11target_archE1200ELNS1_3gpuE4ELNS1_3repE0EEENS1_30default_config_static_selectorELNS0_4arch9wavefront6targetE0EEEvT1_
	.globl	_ZN7rocprim17ROCPRIM_400000_NS6detail17trampoline_kernelINS0_14default_configENS1_27scan_by_key_config_selectorIitEEZZNS1_16scan_by_key_implILNS1_25lookback_scan_determinismE0ELb0ES3_N6thrust23THRUST_200600_302600_NS6detail15normal_iteratorINS9_10device_ptrIiEEEENSB_INSC_ItEEEESG_tNS9_4plusIvEENS9_8equal_toIvEEtEE10hipError_tPvRmT2_T3_T4_T5_mT6_T7_P12ihipStream_tbENKUlT_T0_E_clISt17integral_constantIbLb1EES10_IbLb0EEEEDaSW_SX_EUlSW_E_NS1_11comp_targetILNS1_3genE10ELNS1_11target_archE1200ELNS1_3gpuE4ELNS1_3repE0EEENS1_30default_config_static_selectorELNS0_4arch9wavefront6targetE0EEEvT1_
	.p2align	8
	.type	_ZN7rocprim17ROCPRIM_400000_NS6detail17trampoline_kernelINS0_14default_configENS1_27scan_by_key_config_selectorIitEEZZNS1_16scan_by_key_implILNS1_25lookback_scan_determinismE0ELb0ES3_N6thrust23THRUST_200600_302600_NS6detail15normal_iteratorINS9_10device_ptrIiEEEENSB_INSC_ItEEEESG_tNS9_4plusIvEENS9_8equal_toIvEEtEE10hipError_tPvRmT2_T3_T4_T5_mT6_T7_P12ihipStream_tbENKUlT_T0_E_clISt17integral_constantIbLb1EES10_IbLb0EEEEDaSW_SX_EUlSW_E_NS1_11comp_targetILNS1_3genE10ELNS1_11target_archE1200ELNS1_3gpuE4ELNS1_3repE0EEENS1_30default_config_static_selectorELNS0_4arch9wavefront6targetE0EEEvT1_,@function
_ZN7rocprim17ROCPRIM_400000_NS6detail17trampoline_kernelINS0_14default_configENS1_27scan_by_key_config_selectorIitEEZZNS1_16scan_by_key_implILNS1_25lookback_scan_determinismE0ELb0ES3_N6thrust23THRUST_200600_302600_NS6detail15normal_iteratorINS9_10device_ptrIiEEEENSB_INSC_ItEEEESG_tNS9_4plusIvEENS9_8equal_toIvEEtEE10hipError_tPvRmT2_T3_T4_T5_mT6_T7_P12ihipStream_tbENKUlT_T0_E_clISt17integral_constantIbLb1EES10_IbLb0EEEEDaSW_SX_EUlSW_E_NS1_11comp_targetILNS1_3genE10ELNS1_11target_archE1200ELNS1_3gpuE4ELNS1_3repE0EEENS1_30default_config_static_selectorELNS0_4arch9wavefront6targetE0EEEvT1_: ; @_ZN7rocprim17ROCPRIM_400000_NS6detail17trampoline_kernelINS0_14default_configENS1_27scan_by_key_config_selectorIitEEZZNS1_16scan_by_key_implILNS1_25lookback_scan_determinismE0ELb0ES3_N6thrust23THRUST_200600_302600_NS6detail15normal_iteratorINS9_10device_ptrIiEEEENSB_INSC_ItEEEESG_tNS9_4plusIvEENS9_8equal_toIvEEtEE10hipError_tPvRmT2_T3_T4_T5_mT6_T7_P12ihipStream_tbENKUlT_T0_E_clISt17integral_constantIbLb1EES10_IbLb0EEEEDaSW_SX_EUlSW_E_NS1_11comp_targetILNS1_3genE10ELNS1_11target_archE1200ELNS1_3gpuE4ELNS1_3repE0EEENS1_30default_config_static_selectorELNS0_4arch9wavefront6targetE0EEEvT1_
; %bb.0:
	.section	.rodata,"a",@progbits
	.p2align	6, 0x0
	.amdhsa_kernel _ZN7rocprim17ROCPRIM_400000_NS6detail17trampoline_kernelINS0_14default_configENS1_27scan_by_key_config_selectorIitEEZZNS1_16scan_by_key_implILNS1_25lookback_scan_determinismE0ELb0ES3_N6thrust23THRUST_200600_302600_NS6detail15normal_iteratorINS9_10device_ptrIiEEEENSB_INSC_ItEEEESG_tNS9_4plusIvEENS9_8equal_toIvEEtEE10hipError_tPvRmT2_T3_T4_T5_mT6_T7_P12ihipStream_tbENKUlT_T0_E_clISt17integral_constantIbLb1EES10_IbLb0EEEEDaSW_SX_EUlSW_E_NS1_11comp_targetILNS1_3genE10ELNS1_11target_archE1200ELNS1_3gpuE4ELNS1_3repE0EEENS1_30default_config_static_selectorELNS0_4arch9wavefront6targetE0EEEvT1_
		.amdhsa_group_segment_fixed_size 0
		.amdhsa_private_segment_fixed_size 0
		.amdhsa_kernarg_size 112
		.amdhsa_user_sgpr_count 2
		.amdhsa_user_sgpr_dispatch_ptr 0
		.amdhsa_user_sgpr_queue_ptr 0
		.amdhsa_user_sgpr_kernarg_segment_ptr 1
		.amdhsa_user_sgpr_dispatch_id 0
		.amdhsa_user_sgpr_kernarg_preload_length 0
		.amdhsa_user_sgpr_kernarg_preload_offset 0
		.amdhsa_user_sgpr_private_segment_size 0
		.amdhsa_wavefront_size32 1
		.amdhsa_uses_dynamic_stack 0
		.amdhsa_enable_private_segment 0
		.amdhsa_system_sgpr_workgroup_id_x 1
		.amdhsa_system_sgpr_workgroup_id_y 0
		.amdhsa_system_sgpr_workgroup_id_z 0
		.amdhsa_system_sgpr_workgroup_info 0
		.amdhsa_system_vgpr_workitem_id 0
		.amdhsa_next_free_vgpr 1
		.amdhsa_next_free_sgpr 1
		.amdhsa_named_barrier_count 0
		.amdhsa_reserve_vcc 0
		.amdhsa_float_round_mode_32 0
		.amdhsa_float_round_mode_16_64 0
		.amdhsa_float_denorm_mode_32 3
		.amdhsa_float_denorm_mode_16_64 3
		.amdhsa_fp16_overflow 0
		.amdhsa_memory_ordered 1
		.amdhsa_forward_progress 1
		.amdhsa_inst_pref_size 0
		.amdhsa_round_robin_scheduling 0
		.amdhsa_exception_fp_ieee_invalid_op 0
		.amdhsa_exception_fp_denorm_src 0
		.amdhsa_exception_fp_ieee_div_zero 0
		.amdhsa_exception_fp_ieee_overflow 0
		.amdhsa_exception_fp_ieee_underflow 0
		.amdhsa_exception_fp_ieee_inexact 0
		.amdhsa_exception_int_div_zero 0
	.end_amdhsa_kernel
	.section	.text._ZN7rocprim17ROCPRIM_400000_NS6detail17trampoline_kernelINS0_14default_configENS1_27scan_by_key_config_selectorIitEEZZNS1_16scan_by_key_implILNS1_25lookback_scan_determinismE0ELb0ES3_N6thrust23THRUST_200600_302600_NS6detail15normal_iteratorINS9_10device_ptrIiEEEENSB_INSC_ItEEEESG_tNS9_4plusIvEENS9_8equal_toIvEEtEE10hipError_tPvRmT2_T3_T4_T5_mT6_T7_P12ihipStream_tbENKUlT_T0_E_clISt17integral_constantIbLb1EES10_IbLb0EEEEDaSW_SX_EUlSW_E_NS1_11comp_targetILNS1_3genE10ELNS1_11target_archE1200ELNS1_3gpuE4ELNS1_3repE0EEENS1_30default_config_static_selectorELNS0_4arch9wavefront6targetE0EEEvT1_,"axG",@progbits,_ZN7rocprim17ROCPRIM_400000_NS6detail17trampoline_kernelINS0_14default_configENS1_27scan_by_key_config_selectorIitEEZZNS1_16scan_by_key_implILNS1_25lookback_scan_determinismE0ELb0ES3_N6thrust23THRUST_200600_302600_NS6detail15normal_iteratorINS9_10device_ptrIiEEEENSB_INSC_ItEEEESG_tNS9_4plusIvEENS9_8equal_toIvEEtEE10hipError_tPvRmT2_T3_T4_T5_mT6_T7_P12ihipStream_tbENKUlT_T0_E_clISt17integral_constantIbLb1EES10_IbLb0EEEEDaSW_SX_EUlSW_E_NS1_11comp_targetILNS1_3genE10ELNS1_11target_archE1200ELNS1_3gpuE4ELNS1_3repE0EEENS1_30default_config_static_selectorELNS0_4arch9wavefront6targetE0EEEvT1_,comdat
.Lfunc_end1295:
	.size	_ZN7rocprim17ROCPRIM_400000_NS6detail17trampoline_kernelINS0_14default_configENS1_27scan_by_key_config_selectorIitEEZZNS1_16scan_by_key_implILNS1_25lookback_scan_determinismE0ELb0ES3_N6thrust23THRUST_200600_302600_NS6detail15normal_iteratorINS9_10device_ptrIiEEEENSB_INSC_ItEEEESG_tNS9_4plusIvEENS9_8equal_toIvEEtEE10hipError_tPvRmT2_T3_T4_T5_mT6_T7_P12ihipStream_tbENKUlT_T0_E_clISt17integral_constantIbLb1EES10_IbLb0EEEEDaSW_SX_EUlSW_E_NS1_11comp_targetILNS1_3genE10ELNS1_11target_archE1200ELNS1_3gpuE4ELNS1_3repE0EEENS1_30default_config_static_selectorELNS0_4arch9wavefront6targetE0EEEvT1_, .Lfunc_end1295-_ZN7rocprim17ROCPRIM_400000_NS6detail17trampoline_kernelINS0_14default_configENS1_27scan_by_key_config_selectorIitEEZZNS1_16scan_by_key_implILNS1_25lookback_scan_determinismE0ELb0ES3_N6thrust23THRUST_200600_302600_NS6detail15normal_iteratorINS9_10device_ptrIiEEEENSB_INSC_ItEEEESG_tNS9_4plusIvEENS9_8equal_toIvEEtEE10hipError_tPvRmT2_T3_T4_T5_mT6_T7_P12ihipStream_tbENKUlT_T0_E_clISt17integral_constantIbLb1EES10_IbLb0EEEEDaSW_SX_EUlSW_E_NS1_11comp_targetILNS1_3genE10ELNS1_11target_archE1200ELNS1_3gpuE4ELNS1_3repE0EEENS1_30default_config_static_selectorELNS0_4arch9wavefront6targetE0EEEvT1_
                                        ; -- End function
	.set _ZN7rocprim17ROCPRIM_400000_NS6detail17trampoline_kernelINS0_14default_configENS1_27scan_by_key_config_selectorIitEEZZNS1_16scan_by_key_implILNS1_25lookback_scan_determinismE0ELb0ES3_N6thrust23THRUST_200600_302600_NS6detail15normal_iteratorINS9_10device_ptrIiEEEENSB_INSC_ItEEEESG_tNS9_4plusIvEENS9_8equal_toIvEEtEE10hipError_tPvRmT2_T3_T4_T5_mT6_T7_P12ihipStream_tbENKUlT_T0_E_clISt17integral_constantIbLb1EES10_IbLb0EEEEDaSW_SX_EUlSW_E_NS1_11comp_targetILNS1_3genE10ELNS1_11target_archE1200ELNS1_3gpuE4ELNS1_3repE0EEENS1_30default_config_static_selectorELNS0_4arch9wavefront6targetE0EEEvT1_.num_vgpr, 0
	.set _ZN7rocprim17ROCPRIM_400000_NS6detail17trampoline_kernelINS0_14default_configENS1_27scan_by_key_config_selectorIitEEZZNS1_16scan_by_key_implILNS1_25lookback_scan_determinismE0ELb0ES3_N6thrust23THRUST_200600_302600_NS6detail15normal_iteratorINS9_10device_ptrIiEEEENSB_INSC_ItEEEESG_tNS9_4plusIvEENS9_8equal_toIvEEtEE10hipError_tPvRmT2_T3_T4_T5_mT6_T7_P12ihipStream_tbENKUlT_T0_E_clISt17integral_constantIbLb1EES10_IbLb0EEEEDaSW_SX_EUlSW_E_NS1_11comp_targetILNS1_3genE10ELNS1_11target_archE1200ELNS1_3gpuE4ELNS1_3repE0EEENS1_30default_config_static_selectorELNS0_4arch9wavefront6targetE0EEEvT1_.num_agpr, 0
	.set _ZN7rocprim17ROCPRIM_400000_NS6detail17trampoline_kernelINS0_14default_configENS1_27scan_by_key_config_selectorIitEEZZNS1_16scan_by_key_implILNS1_25lookback_scan_determinismE0ELb0ES3_N6thrust23THRUST_200600_302600_NS6detail15normal_iteratorINS9_10device_ptrIiEEEENSB_INSC_ItEEEESG_tNS9_4plusIvEENS9_8equal_toIvEEtEE10hipError_tPvRmT2_T3_T4_T5_mT6_T7_P12ihipStream_tbENKUlT_T0_E_clISt17integral_constantIbLb1EES10_IbLb0EEEEDaSW_SX_EUlSW_E_NS1_11comp_targetILNS1_3genE10ELNS1_11target_archE1200ELNS1_3gpuE4ELNS1_3repE0EEENS1_30default_config_static_selectorELNS0_4arch9wavefront6targetE0EEEvT1_.numbered_sgpr, 0
	.set _ZN7rocprim17ROCPRIM_400000_NS6detail17trampoline_kernelINS0_14default_configENS1_27scan_by_key_config_selectorIitEEZZNS1_16scan_by_key_implILNS1_25lookback_scan_determinismE0ELb0ES3_N6thrust23THRUST_200600_302600_NS6detail15normal_iteratorINS9_10device_ptrIiEEEENSB_INSC_ItEEEESG_tNS9_4plusIvEENS9_8equal_toIvEEtEE10hipError_tPvRmT2_T3_T4_T5_mT6_T7_P12ihipStream_tbENKUlT_T0_E_clISt17integral_constantIbLb1EES10_IbLb0EEEEDaSW_SX_EUlSW_E_NS1_11comp_targetILNS1_3genE10ELNS1_11target_archE1200ELNS1_3gpuE4ELNS1_3repE0EEENS1_30default_config_static_selectorELNS0_4arch9wavefront6targetE0EEEvT1_.num_named_barrier, 0
	.set _ZN7rocprim17ROCPRIM_400000_NS6detail17trampoline_kernelINS0_14default_configENS1_27scan_by_key_config_selectorIitEEZZNS1_16scan_by_key_implILNS1_25lookback_scan_determinismE0ELb0ES3_N6thrust23THRUST_200600_302600_NS6detail15normal_iteratorINS9_10device_ptrIiEEEENSB_INSC_ItEEEESG_tNS9_4plusIvEENS9_8equal_toIvEEtEE10hipError_tPvRmT2_T3_T4_T5_mT6_T7_P12ihipStream_tbENKUlT_T0_E_clISt17integral_constantIbLb1EES10_IbLb0EEEEDaSW_SX_EUlSW_E_NS1_11comp_targetILNS1_3genE10ELNS1_11target_archE1200ELNS1_3gpuE4ELNS1_3repE0EEENS1_30default_config_static_selectorELNS0_4arch9wavefront6targetE0EEEvT1_.private_seg_size, 0
	.set _ZN7rocprim17ROCPRIM_400000_NS6detail17trampoline_kernelINS0_14default_configENS1_27scan_by_key_config_selectorIitEEZZNS1_16scan_by_key_implILNS1_25lookback_scan_determinismE0ELb0ES3_N6thrust23THRUST_200600_302600_NS6detail15normal_iteratorINS9_10device_ptrIiEEEENSB_INSC_ItEEEESG_tNS9_4plusIvEENS9_8equal_toIvEEtEE10hipError_tPvRmT2_T3_T4_T5_mT6_T7_P12ihipStream_tbENKUlT_T0_E_clISt17integral_constantIbLb1EES10_IbLb0EEEEDaSW_SX_EUlSW_E_NS1_11comp_targetILNS1_3genE10ELNS1_11target_archE1200ELNS1_3gpuE4ELNS1_3repE0EEENS1_30default_config_static_selectorELNS0_4arch9wavefront6targetE0EEEvT1_.uses_vcc, 0
	.set _ZN7rocprim17ROCPRIM_400000_NS6detail17trampoline_kernelINS0_14default_configENS1_27scan_by_key_config_selectorIitEEZZNS1_16scan_by_key_implILNS1_25lookback_scan_determinismE0ELb0ES3_N6thrust23THRUST_200600_302600_NS6detail15normal_iteratorINS9_10device_ptrIiEEEENSB_INSC_ItEEEESG_tNS9_4plusIvEENS9_8equal_toIvEEtEE10hipError_tPvRmT2_T3_T4_T5_mT6_T7_P12ihipStream_tbENKUlT_T0_E_clISt17integral_constantIbLb1EES10_IbLb0EEEEDaSW_SX_EUlSW_E_NS1_11comp_targetILNS1_3genE10ELNS1_11target_archE1200ELNS1_3gpuE4ELNS1_3repE0EEENS1_30default_config_static_selectorELNS0_4arch9wavefront6targetE0EEEvT1_.uses_flat_scratch, 0
	.set _ZN7rocprim17ROCPRIM_400000_NS6detail17trampoline_kernelINS0_14default_configENS1_27scan_by_key_config_selectorIitEEZZNS1_16scan_by_key_implILNS1_25lookback_scan_determinismE0ELb0ES3_N6thrust23THRUST_200600_302600_NS6detail15normal_iteratorINS9_10device_ptrIiEEEENSB_INSC_ItEEEESG_tNS9_4plusIvEENS9_8equal_toIvEEtEE10hipError_tPvRmT2_T3_T4_T5_mT6_T7_P12ihipStream_tbENKUlT_T0_E_clISt17integral_constantIbLb1EES10_IbLb0EEEEDaSW_SX_EUlSW_E_NS1_11comp_targetILNS1_3genE10ELNS1_11target_archE1200ELNS1_3gpuE4ELNS1_3repE0EEENS1_30default_config_static_selectorELNS0_4arch9wavefront6targetE0EEEvT1_.has_dyn_sized_stack, 0
	.set _ZN7rocprim17ROCPRIM_400000_NS6detail17trampoline_kernelINS0_14default_configENS1_27scan_by_key_config_selectorIitEEZZNS1_16scan_by_key_implILNS1_25lookback_scan_determinismE0ELb0ES3_N6thrust23THRUST_200600_302600_NS6detail15normal_iteratorINS9_10device_ptrIiEEEENSB_INSC_ItEEEESG_tNS9_4plusIvEENS9_8equal_toIvEEtEE10hipError_tPvRmT2_T3_T4_T5_mT6_T7_P12ihipStream_tbENKUlT_T0_E_clISt17integral_constantIbLb1EES10_IbLb0EEEEDaSW_SX_EUlSW_E_NS1_11comp_targetILNS1_3genE10ELNS1_11target_archE1200ELNS1_3gpuE4ELNS1_3repE0EEENS1_30default_config_static_selectorELNS0_4arch9wavefront6targetE0EEEvT1_.has_recursion, 0
	.set _ZN7rocprim17ROCPRIM_400000_NS6detail17trampoline_kernelINS0_14default_configENS1_27scan_by_key_config_selectorIitEEZZNS1_16scan_by_key_implILNS1_25lookback_scan_determinismE0ELb0ES3_N6thrust23THRUST_200600_302600_NS6detail15normal_iteratorINS9_10device_ptrIiEEEENSB_INSC_ItEEEESG_tNS9_4plusIvEENS9_8equal_toIvEEtEE10hipError_tPvRmT2_T3_T4_T5_mT6_T7_P12ihipStream_tbENKUlT_T0_E_clISt17integral_constantIbLb1EES10_IbLb0EEEEDaSW_SX_EUlSW_E_NS1_11comp_targetILNS1_3genE10ELNS1_11target_archE1200ELNS1_3gpuE4ELNS1_3repE0EEENS1_30default_config_static_selectorELNS0_4arch9wavefront6targetE0EEEvT1_.has_indirect_call, 0
	.section	.AMDGPU.csdata,"",@progbits
; Kernel info:
; codeLenInByte = 0
; TotalNumSgprs: 0
; NumVgprs: 0
; ScratchSize: 0
; MemoryBound: 0
; FloatMode: 240
; IeeeMode: 1
; LDSByteSize: 0 bytes/workgroup (compile time only)
; SGPRBlocks: 0
; VGPRBlocks: 0
; NumSGPRsForWavesPerEU: 1
; NumVGPRsForWavesPerEU: 1
; NamedBarCnt: 0
; Occupancy: 16
; WaveLimiterHint : 0
; COMPUTE_PGM_RSRC2:SCRATCH_EN: 0
; COMPUTE_PGM_RSRC2:USER_SGPR: 2
; COMPUTE_PGM_RSRC2:TRAP_HANDLER: 0
; COMPUTE_PGM_RSRC2:TGID_X_EN: 1
; COMPUTE_PGM_RSRC2:TGID_Y_EN: 0
; COMPUTE_PGM_RSRC2:TGID_Z_EN: 0
; COMPUTE_PGM_RSRC2:TIDIG_COMP_CNT: 0
	.section	.text._ZN7rocprim17ROCPRIM_400000_NS6detail17trampoline_kernelINS0_14default_configENS1_27scan_by_key_config_selectorIitEEZZNS1_16scan_by_key_implILNS1_25lookback_scan_determinismE0ELb0ES3_N6thrust23THRUST_200600_302600_NS6detail15normal_iteratorINS9_10device_ptrIiEEEENSB_INSC_ItEEEESG_tNS9_4plusIvEENS9_8equal_toIvEEtEE10hipError_tPvRmT2_T3_T4_T5_mT6_T7_P12ihipStream_tbENKUlT_T0_E_clISt17integral_constantIbLb1EES10_IbLb0EEEEDaSW_SX_EUlSW_E_NS1_11comp_targetILNS1_3genE9ELNS1_11target_archE1100ELNS1_3gpuE3ELNS1_3repE0EEENS1_30default_config_static_selectorELNS0_4arch9wavefront6targetE0EEEvT1_,"axG",@progbits,_ZN7rocprim17ROCPRIM_400000_NS6detail17trampoline_kernelINS0_14default_configENS1_27scan_by_key_config_selectorIitEEZZNS1_16scan_by_key_implILNS1_25lookback_scan_determinismE0ELb0ES3_N6thrust23THRUST_200600_302600_NS6detail15normal_iteratorINS9_10device_ptrIiEEEENSB_INSC_ItEEEESG_tNS9_4plusIvEENS9_8equal_toIvEEtEE10hipError_tPvRmT2_T3_T4_T5_mT6_T7_P12ihipStream_tbENKUlT_T0_E_clISt17integral_constantIbLb1EES10_IbLb0EEEEDaSW_SX_EUlSW_E_NS1_11comp_targetILNS1_3genE9ELNS1_11target_archE1100ELNS1_3gpuE3ELNS1_3repE0EEENS1_30default_config_static_selectorELNS0_4arch9wavefront6targetE0EEEvT1_,comdat
	.protected	_ZN7rocprim17ROCPRIM_400000_NS6detail17trampoline_kernelINS0_14default_configENS1_27scan_by_key_config_selectorIitEEZZNS1_16scan_by_key_implILNS1_25lookback_scan_determinismE0ELb0ES3_N6thrust23THRUST_200600_302600_NS6detail15normal_iteratorINS9_10device_ptrIiEEEENSB_INSC_ItEEEESG_tNS9_4plusIvEENS9_8equal_toIvEEtEE10hipError_tPvRmT2_T3_T4_T5_mT6_T7_P12ihipStream_tbENKUlT_T0_E_clISt17integral_constantIbLb1EES10_IbLb0EEEEDaSW_SX_EUlSW_E_NS1_11comp_targetILNS1_3genE9ELNS1_11target_archE1100ELNS1_3gpuE3ELNS1_3repE0EEENS1_30default_config_static_selectorELNS0_4arch9wavefront6targetE0EEEvT1_ ; -- Begin function _ZN7rocprim17ROCPRIM_400000_NS6detail17trampoline_kernelINS0_14default_configENS1_27scan_by_key_config_selectorIitEEZZNS1_16scan_by_key_implILNS1_25lookback_scan_determinismE0ELb0ES3_N6thrust23THRUST_200600_302600_NS6detail15normal_iteratorINS9_10device_ptrIiEEEENSB_INSC_ItEEEESG_tNS9_4plusIvEENS9_8equal_toIvEEtEE10hipError_tPvRmT2_T3_T4_T5_mT6_T7_P12ihipStream_tbENKUlT_T0_E_clISt17integral_constantIbLb1EES10_IbLb0EEEEDaSW_SX_EUlSW_E_NS1_11comp_targetILNS1_3genE9ELNS1_11target_archE1100ELNS1_3gpuE3ELNS1_3repE0EEENS1_30default_config_static_selectorELNS0_4arch9wavefront6targetE0EEEvT1_
	.globl	_ZN7rocprim17ROCPRIM_400000_NS6detail17trampoline_kernelINS0_14default_configENS1_27scan_by_key_config_selectorIitEEZZNS1_16scan_by_key_implILNS1_25lookback_scan_determinismE0ELb0ES3_N6thrust23THRUST_200600_302600_NS6detail15normal_iteratorINS9_10device_ptrIiEEEENSB_INSC_ItEEEESG_tNS9_4plusIvEENS9_8equal_toIvEEtEE10hipError_tPvRmT2_T3_T4_T5_mT6_T7_P12ihipStream_tbENKUlT_T0_E_clISt17integral_constantIbLb1EES10_IbLb0EEEEDaSW_SX_EUlSW_E_NS1_11comp_targetILNS1_3genE9ELNS1_11target_archE1100ELNS1_3gpuE3ELNS1_3repE0EEENS1_30default_config_static_selectorELNS0_4arch9wavefront6targetE0EEEvT1_
	.p2align	8
	.type	_ZN7rocprim17ROCPRIM_400000_NS6detail17trampoline_kernelINS0_14default_configENS1_27scan_by_key_config_selectorIitEEZZNS1_16scan_by_key_implILNS1_25lookback_scan_determinismE0ELb0ES3_N6thrust23THRUST_200600_302600_NS6detail15normal_iteratorINS9_10device_ptrIiEEEENSB_INSC_ItEEEESG_tNS9_4plusIvEENS9_8equal_toIvEEtEE10hipError_tPvRmT2_T3_T4_T5_mT6_T7_P12ihipStream_tbENKUlT_T0_E_clISt17integral_constantIbLb1EES10_IbLb0EEEEDaSW_SX_EUlSW_E_NS1_11comp_targetILNS1_3genE9ELNS1_11target_archE1100ELNS1_3gpuE3ELNS1_3repE0EEENS1_30default_config_static_selectorELNS0_4arch9wavefront6targetE0EEEvT1_,@function
_ZN7rocprim17ROCPRIM_400000_NS6detail17trampoline_kernelINS0_14default_configENS1_27scan_by_key_config_selectorIitEEZZNS1_16scan_by_key_implILNS1_25lookback_scan_determinismE0ELb0ES3_N6thrust23THRUST_200600_302600_NS6detail15normal_iteratorINS9_10device_ptrIiEEEENSB_INSC_ItEEEESG_tNS9_4plusIvEENS9_8equal_toIvEEtEE10hipError_tPvRmT2_T3_T4_T5_mT6_T7_P12ihipStream_tbENKUlT_T0_E_clISt17integral_constantIbLb1EES10_IbLb0EEEEDaSW_SX_EUlSW_E_NS1_11comp_targetILNS1_3genE9ELNS1_11target_archE1100ELNS1_3gpuE3ELNS1_3repE0EEENS1_30default_config_static_selectorELNS0_4arch9wavefront6targetE0EEEvT1_: ; @_ZN7rocprim17ROCPRIM_400000_NS6detail17trampoline_kernelINS0_14default_configENS1_27scan_by_key_config_selectorIitEEZZNS1_16scan_by_key_implILNS1_25lookback_scan_determinismE0ELb0ES3_N6thrust23THRUST_200600_302600_NS6detail15normal_iteratorINS9_10device_ptrIiEEEENSB_INSC_ItEEEESG_tNS9_4plusIvEENS9_8equal_toIvEEtEE10hipError_tPvRmT2_T3_T4_T5_mT6_T7_P12ihipStream_tbENKUlT_T0_E_clISt17integral_constantIbLb1EES10_IbLb0EEEEDaSW_SX_EUlSW_E_NS1_11comp_targetILNS1_3genE9ELNS1_11target_archE1100ELNS1_3gpuE3ELNS1_3repE0EEENS1_30default_config_static_selectorELNS0_4arch9wavefront6targetE0EEEvT1_
; %bb.0:
	.section	.rodata,"a",@progbits
	.p2align	6, 0x0
	.amdhsa_kernel _ZN7rocprim17ROCPRIM_400000_NS6detail17trampoline_kernelINS0_14default_configENS1_27scan_by_key_config_selectorIitEEZZNS1_16scan_by_key_implILNS1_25lookback_scan_determinismE0ELb0ES3_N6thrust23THRUST_200600_302600_NS6detail15normal_iteratorINS9_10device_ptrIiEEEENSB_INSC_ItEEEESG_tNS9_4plusIvEENS9_8equal_toIvEEtEE10hipError_tPvRmT2_T3_T4_T5_mT6_T7_P12ihipStream_tbENKUlT_T0_E_clISt17integral_constantIbLb1EES10_IbLb0EEEEDaSW_SX_EUlSW_E_NS1_11comp_targetILNS1_3genE9ELNS1_11target_archE1100ELNS1_3gpuE3ELNS1_3repE0EEENS1_30default_config_static_selectorELNS0_4arch9wavefront6targetE0EEEvT1_
		.amdhsa_group_segment_fixed_size 0
		.amdhsa_private_segment_fixed_size 0
		.amdhsa_kernarg_size 112
		.amdhsa_user_sgpr_count 2
		.amdhsa_user_sgpr_dispatch_ptr 0
		.amdhsa_user_sgpr_queue_ptr 0
		.amdhsa_user_sgpr_kernarg_segment_ptr 1
		.amdhsa_user_sgpr_dispatch_id 0
		.amdhsa_user_sgpr_kernarg_preload_length 0
		.amdhsa_user_sgpr_kernarg_preload_offset 0
		.amdhsa_user_sgpr_private_segment_size 0
		.amdhsa_wavefront_size32 1
		.amdhsa_uses_dynamic_stack 0
		.amdhsa_enable_private_segment 0
		.amdhsa_system_sgpr_workgroup_id_x 1
		.amdhsa_system_sgpr_workgroup_id_y 0
		.amdhsa_system_sgpr_workgroup_id_z 0
		.amdhsa_system_sgpr_workgroup_info 0
		.amdhsa_system_vgpr_workitem_id 0
		.amdhsa_next_free_vgpr 1
		.amdhsa_next_free_sgpr 1
		.amdhsa_named_barrier_count 0
		.amdhsa_reserve_vcc 0
		.amdhsa_float_round_mode_32 0
		.amdhsa_float_round_mode_16_64 0
		.amdhsa_float_denorm_mode_32 3
		.amdhsa_float_denorm_mode_16_64 3
		.amdhsa_fp16_overflow 0
		.amdhsa_memory_ordered 1
		.amdhsa_forward_progress 1
		.amdhsa_inst_pref_size 0
		.amdhsa_round_robin_scheduling 0
		.amdhsa_exception_fp_ieee_invalid_op 0
		.amdhsa_exception_fp_denorm_src 0
		.amdhsa_exception_fp_ieee_div_zero 0
		.amdhsa_exception_fp_ieee_overflow 0
		.amdhsa_exception_fp_ieee_underflow 0
		.amdhsa_exception_fp_ieee_inexact 0
		.amdhsa_exception_int_div_zero 0
	.end_amdhsa_kernel
	.section	.text._ZN7rocprim17ROCPRIM_400000_NS6detail17trampoline_kernelINS0_14default_configENS1_27scan_by_key_config_selectorIitEEZZNS1_16scan_by_key_implILNS1_25lookback_scan_determinismE0ELb0ES3_N6thrust23THRUST_200600_302600_NS6detail15normal_iteratorINS9_10device_ptrIiEEEENSB_INSC_ItEEEESG_tNS9_4plusIvEENS9_8equal_toIvEEtEE10hipError_tPvRmT2_T3_T4_T5_mT6_T7_P12ihipStream_tbENKUlT_T0_E_clISt17integral_constantIbLb1EES10_IbLb0EEEEDaSW_SX_EUlSW_E_NS1_11comp_targetILNS1_3genE9ELNS1_11target_archE1100ELNS1_3gpuE3ELNS1_3repE0EEENS1_30default_config_static_selectorELNS0_4arch9wavefront6targetE0EEEvT1_,"axG",@progbits,_ZN7rocprim17ROCPRIM_400000_NS6detail17trampoline_kernelINS0_14default_configENS1_27scan_by_key_config_selectorIitEEZZNS1_16scan_by_key_implILNS1_25lookback_scan_determinismE0ELb0ES3_N6thrust23THRUST_200600_302600_NS6detail15normal_iteratorINS9_10device_ptrIiEEEENSB_INSC_ItEEEESG_tNS9_4plusIvEENS9_8equal_toIvEEtEE10hipError_tPvRmT2_T3_T4_T5_mT6_T7_P12ihipStream_tbENKUlT_T0_E_clISt17integral_constantIbLb1EES10_IbLb0EEEEDaSW_SX_EUlSW_E_NS1_11comp_targetILNS1_3genE9ELNS1_11target_archE1100ELNS1_3gpuE3ELNS1_3repE0EEENS1_30default_config_static_selectorELNS0_4arch9wavefront6targetE0EEEvT1_,comdat
.Lfunc_end1296:
	.size	_ZN7rocprim17ROCPRIM_400000_NS6detail17trampoline_kernelINS0_14default_configENS1_27scan_by_key_config_selectorIitEEZZNS1_16scan_by_key_implILNS1_25lookback_scan_determinismE0ELb0ES3_N6thrust23THRUST_200600_302600_NS6detail15normal_iteratorINS9_10device_ptrIiEEEENSB_INSC_ItEEEESG_tNS9_4plusIvEENS9_8equal_toIvEEtEE10hipError_tPvRmT2_T3_T4_T5_mT6_T7_P12ihipStream_tbENKUlT_T0_E_clISt17integral_constantIbLb1EES10_IbLb0EEEEDaSW_SX_EUlSW_E_NS1_11comp_targetILNS1_3genE9ELNS1_11target_archE1100ELNS1_3gpuE3ELNS1_3repE0EEENS1_30default_config_static_selectorELNS0_4arch9wavefront6targetE0EEEvT1_, .Lfunc_end1296-_ZN7rocprim17ROCPRIM_400000_NS6detail17trampoline_kernelINS0_14default_configENS1_27scan_by_key_config_selectorIitEEZZNS1_16scan_by_key_implILNS1_25lookback_scan_determinismE0ELb0ES3_N6thrust23THRUST_200600_302600_NS6detail15normal_iteratorINS9_10device_ptrIiEEEENSB_INSC_ItEEEESG_tNS9_4plusIvEENS9_8equal_toIvEEtEE10hipError_tPvRmT2_T3_T4_T5_mT6_T7_P12ihipStream_tbENKUlT_T0_E_clISt17integral_constantIbLb1EES10_IbLb0EEEEDaSW_SX_EUlSW_E_NS1_11comp_targetILNS1_3genE9ELNS1_11target_archE1100ELNS1_3gpuE3ELNS1_3repE0EEENS1_30default_config_static_selectorELNS0_4arch9wavefront6targetE0EEEvT1_
                                        ; -- End function
	.set _ZN7rocprim17ROCPRIM_400000_NS6detail17trampoline_kernelINS0_14default_configENS1_27scan_by_key_config_selectorIitEEZZNS1_16scan_by_key_implILNS1_25lookback_scan_determinismE0ELb0ES3_N6thrust23THRUST_200600_302600_NS6detail15normal_iteratorINS9_10device_ptrIiEEEENSB_INSC_ItEEEESG_tNS9_4plusIvEENS9_8equal_toIvEEtEE10hipError_tPvRmT2_T3_T4_T5_mT6_T7_P12ihipStream_tbENKUlT_T0_E_clISt17integral_constantIbLb1EES10_IbLb0EEEEDaSW_SX_EUlSW_E_NS1_11comp_targetILNS1_3genE9ELNS1_11target_archE1100ELNS1_3gpuE3ELNS1_3repE0EEENS1_30default_config_static_selectorELNS0_4arch9wavefront6targetE0EEEvT1_.num_vgpr, 0
	.set _ZN7rocprim17ROCPRIM_400000_NS6detail17trampoline_kernelINS0_14default_configENS1_27scan_by_key_config_selectorIitEEZZNS1_16scan_by_key_implILNS1_25lookback_scan_determinismE0ELb0ES3_N6thrust23THRUST_200600_302600_NS6detail15normal_iteratorINS9_10device_ptrIiEEEENSB_INSC_ItEEEESG_tNS9_4plusIvEENS9_8equal_toIvEEtEE10hipError_tPvRmT2_T3_T4_T5_mT6_T7_P12ihipStream_tbENKUlT_T0_E_clISt17integral_constantIbLb1EES10_IbLb0EEEEDaSW_SX_EUlSW_E_NS1_11comp_targetILNS1_3genE9ELNS1_11target_archE1100ELNS1_3gpuE3ELNS1_3repE0EEENS1_30default_config_static_selectorELNS0_4arch9wavefront6targetE0EEEvT1_.num_agpr, 0
	.set _ZN7rocprim17ROCPRIM_400000_NS6detail17trampoline_kernelINS0_14default_configENS1_27scan_by_key_config_selectorIitEEZZNS1_16scan_by_key_implILNS1_25lookback_scan_determinismE0ELb0ES3_N6thrust23THRUST_200600_302600_NS6detail15normal_iteratorINS9_10device_ptrIiEEEENSB_INSC_ItEEEESG_tNS9_4plusIvEENS9_8equal_toIvEEtEE10hipError_tPvRmT2_T3_T4_T5_mT6_T7_P12ihipStream_tbENKUlT_T0_E_clISt17integral_constantIbLb1EES10_IbLb0EEEEDaSW_SX_EUlSW_E_NS1_11comp_targetILNS1_3genE9ELNS1_11target_archE1100ELNS1_3gpuE3ELNS1_3repE0EEENS1_30default_config_static_selectorELNS0_4arch9wavefront6targetE0EEEvT1_.numbered_sgpr, 0
	.set _ZN7rocprim17ROCPRIM_400000_NS6detail17trampoline_kernelINS0_14default_configENS1_27scan_by_key_config_selectorIitEEZZNS1_16scan_by_key_implILNS1_25lookback_scan_determinismE0ELb0ES3_N6thrust23THRUST_200600_302600_NS6detail15normal_iteratorINS9_10device_ptrIiEEEENSB_INSC_ItEEEESG_tNS9_4plusIvEENS9_8equal_toIvEEtEE10hipError_tPvRmT2_T3_T4_T5_mT6_T7_P12ihipStream_tbENKUlT_T0_E_clISt17integral_constantIbLb1EES10_IbLb0EEEEDaSW_SX_EUlSW_E_NS1_11comp_targetILNS1_3genE9ELNS1_11target_archE1100ELNS1_3gpuE3ELNS1_3repE0EEENS1_30default_config_static_selectorELNS0_4arch9wavefront6targetE0EEEvT1_.num_named_barrier, 0
	.set _ZN7rocprim17ROCPRIM_400000_NS6detail17trampoline_kernelINS0_14default_configENS1_27scan_by_key_config_selectorIitEEZZNS1_16scan_by_key_implILNS1_25lookback_scan_determinismE0ELb0ES3_N6thrust23THRUST_200600_302600_NS6detail15normal_iteratorINS9_10device_ptrIiEEEENSB_INSC_ItEEEESG_tNS9_4plusIvEENS9_8equal_toIvEEtEE10hipError_tPvRmT2_T3_T4_T5_mT6_T7_P12ihipStream_tbENKUlT_T0_E_clISt17integral_constantIbLb1EES10_IbLb0EEEEDaSW_SX_EUlSW_E_NS1_11comp_targetILNS1_3genE9ELNS1_11target_archE1100ELNS1_3gpuE3ELNS1_3repE0EEENS1_30default_config_static_selectorELNS0_4arch9wavefront6targetE0EEEvT1_.private_seg_size, 0
	.set _ZN7rocprim17ROCPRIM_400000_NS6detail17trampoline_kernelINS0_14default_configENS1_27scan_by_key_config_selectorIitEEZZNS1_16scan_by_key_implILNS1_25lookback_scan_determinismE0ELb0ES3_N6thrust23THRUST_200600_302600_NS6detail15normal_iteratorINS9_10device_ptrIiEEEENSB_INSC_ItEEEESG_tNS9_4plusIvEENS9_8equal_toIvEEtEE10hipError_tPvRmT2_T3_T4_T5_mT6_T7_P12ihipStream_tbENKUlT_T0_E_clISt17integral_constantIbLb1EES10_IbLb0EEEEDaSW_SX_EUlSW_E_NS1_11comp_targetILNS1_3genE9ELNS1_11target_archE1100ELNS1_3gpuE3ELNS1_3repE0EEENS1_30default_config_static_selectorELNS0_4arch9wavefront6targetE0EEEvT1_.uses_vcc, 0
	.set _ZN7rocprim17ROCPRIM_400000_NS6detail17trampoline_kernelINS0_14default_configENS1_27scan_by_key_config_selectorIitEEZZNS1_16scan_by_key_implILNS1_25lookback_scan_determinismE0ELb0ES3_N6thrust23THRUST_200600_302600_NS6detail15normal_iteratorINS9_10device_ptrIiEEEENSB_INSC_ItEEEESG_tNS9_4plusIvEENS9_8equal_toIvEEtEE10hipError_tPvRmT2_T3_T4_T5_mT6_T7_P12ihipStream_tbENKUlT_T0_E_clISt17integral_constantIbLb1EES10_IbLb0EEEEDaSW_SX_EUlSW_E_NS1_11comp_targetILNS1_3genE9ELNS1_11target_archE1100ELNS1_3gpuE3ELNS1_3repE0EEENS1_30default_config_static_selectorELNS0_4arch9wavefront6targetE0EEEvT1_.uses_flat_scratch, 0
	.set _ZN7rocprim17ROCPRIM_400000_NS6detail17trampoline_kernelINS0_14default_configENS1_27scan_by_key_config_selectorIitEEZZNS1_16scan_by_key_implILNS1_25lookback_scan_determinismE0ELb0ES3_N6thrust23THRUST_200600_302600_NS6detail15normal_iteratorINS9_10device_ptrIiEEEENSB_INSC_ItEEEESG_tNS9_4plusIvEENS9_8equal_toIvEEtEE10hipError_tPvRmT2_T3_T4_T5_mT6_T7_P12ihipStream_tbENKUlT_T0_E_clISt17integral_constantIbLb1EES10_IbLb0EEEEDaSW_SX_EUlSW_E_NS1_11comp_targetILNS1_3genE9ELNS1_11target_archE1100ELNS1_3gpuE3ELNS1_3repE0EEENS1_30default_config_static_selectorELNS0_4arch9wavefront6targetE0EEEvT1_.has_dyn_sized_stack, 0
	.set _ZN7rocprim17ROCPRIM_400000_NS6detail17trampoline_kernelINS0_14default_configENS1_27scan_by_key_config_selectorIitEEZZNS1_16scan_by_key_implILNS1_25lookback_scan_determinismE0ELb0ES3_N6thrust23THRUST_200600_302600_NS6detail15normal_iteratorINS9_10device_ptrIiEEEENSB_INSC_ItEEEESG_tNS9_4plusIvEENS9_8equal_toIvEEtEE10hipError_tPvRmT2_T3_T4_T5_mT6_T7_P12ihipStream_tbENKUlT_T0_E_clISt17integral_constantIbLb1EES10_IbLb0EEEEDaSW_SX_EUlSW_E_NS1_11comp_targetILNS1_3genE9ELNS1_11target_archE1100ELNS1_3gpuE3ELNS1_3repE0EEENS1_30default_config_static_selectorELNS0_4arch9wavefront6targetE0EEEvT1_.has_recursion, 0
	.set _ZN7rocprim17ROCPRIM_400000_NS6detail17trampoline_kernelINS0_14default_configENS1_27scan_by_key_config_selectorIitEEZZNS1_16scan_by_key_implILNS1_25lookback_scan_determinismE0ELb0ES3_N6thrust23THRUST_200600_302600_NS6detail15normal_iteratorINS9_10device_ptrIiEEEENSB_INSC_ItEEEESG_tNS9_4plusIvEENS9_8equal_toIvEEtEE10hipError_tPvRmT2_T3_T4_T5_mT6_T7_P12ihipStream_tbENKUlT_T0_E_clISt17integral_constantIbLb1EES10_IbLb0EEEEDaSW_SX_EUlSW_E_NS1_11comp_targetILNS1_3genE9ELNS1_11target_archE1100ELNS1_3gpuE3ELNS1_3repE0EEENS1_30default_config_static_selectorELNS0_4arch9wavefront6targetE0EEEvT1_.has_indirect_call, 0
	.section	.AMDGPU.csdata,"",@progbits
; Kernel info:
; codeLenInByte = 0
; TotalNumSgprs: 0
; NumVgprs: 0
; ScratchSize: 0
; MemoryBound: 0
; FloatMode: 240
; IeeeMode: 1
; LDSByteSize: 0 bytes/workgroup (compile time only)
; SGPRBlocks: 0
; VGPRBlocks: 0
; NumSGPRsForWavesPerEU: 1
; NumVGPRsForWavesPerEU: 1
; NamedBarCnt: 0
; Occupancy: 16
; WaveLimiterHint : 0
; COMPUTE_PGM_RSRC2:SCRATCH_EN: 0
; COMPUTE_PGM_RSRC2:USER_SGPR: 2
; COMPUTE_PGM_RSRC2:TRAP_HANDLER: 0
; COMPUTE_PGM_RSRC2:TGID_X_EN: 1
; COMPUTE_PGM_RSRC2:TGID_Y_EN: 0
; COMPUTE_PGM_RSRC2:TGID_Z_EN: 0
; COMPUTE_PGM_RSRC2:TIDIG_COMP_CNT: 0
	.section	.text._ZN7rocprim17ROCPRIM_400000_NS6detail17trampoline_kernelINS0_14default_configENS1_27scan_by_key_config_selectorIitEEZZNS1_16scan_by_key_implILNS1_25lookback_scan_determinismE0ELb0ES3_N6thrust23THRUST_200600_302600_NS6detail15normal_iteratorINS9_10device_ptrIiEEEENSB_INSC_ItEEEESG_tNS9_4plusIvEENS9_8equal_toIvEEtEE10hipError_tPvRmT2_T3_T4_T5_mT6_T7_P12ihipStream_tbENKUlT_T0_E_clISt17integral_constantIbLb1EES10_IbLb0EEEEDaSW_SX_EUlSW_E_NS1_11comp_targetILNS1_3genE8ELNS1_11target_archE1030ELNS1_3gpuE2ELNS1_3repE0EEENS1_30default_config_static_selectorELNS0_4arch9wavefront6targetE0EEEvT1_,"axG",@progbits,_ZN7rocprim17ROCPRIM_400000_NS6detail17trampoline_kernelINS0_14default_configENS1_27scan_by_key_config_selectorIitEEZZNS1_16scan_by_key_implILNS1_25lookback_scan_determinismE0ELb0ES3_N6thrust23THRUST_200600_302600_NS6detail15normal_iteratorINS9_10device_ptrIiEEEENSB_INSC_ItEEEESG_tNS9_4plusIvEENS9_8equal_toIvEEtEE10hipError_tPvRmT2_T3_T4_T5_mT6_T7_P12ihipStream_tbENKUlT_T0_E_clISt17integral_constantIbLb1EES10_IbLb0EEEEDaSW_SX_EUlSW_E_NS1_11comp_targetILNS1_3genE8ELNS1_11target_archE1030ELNS1_3gpuE2ELNS1_3repE0EEENS1_30default_config_static_selectorELNS0_4arch9wavefront6targetE0EEEvT1_,comdat
	.protected	_ZN7rocprim17ROCPRIM_400000_NS6detail17trampoline_kernelINS0_14default_configENS1_27scan_by_key_config_selectorIitEEZZNS1_16scan_by_key_implILNS1_25lookback_scan_determinismE0ELb0ES3_N6thrust23THRUST_200600_302600_NS6detail15normal_iteratorINS9_10device_ptrIiEEEENSB_INSC_ItEEEESG_tNS9_4plusIvEENS9_8equal_toIvEEtEE10hipError_tPvRmT2_T3_T4_T5_mT6_T7_P12ihipStream_tbENKUlT_T0_E_clISt17integral_constantIbLb1EES10_IbLb0EEEEDaSW_SX_EUlSW_E_NS1_11comp_targetILNS1_3genE8ELNS1_11target_archE1030ELNS1_3gpuE2ELNS1_3repE0EEENS1_30default_config_static_selectorELNS0_4arch9wavefront6targetE0EEEvT1_ ; -- Begin function _ZN7rocprim17ROCPRIM_400000_NS6detail17trampoline_kernelINS0_14default_configENS1_27scan_by_key_config_selectorIitEEZZNS1_16scan_by_key_implILNS1_25lookback_scan_determinismE0ELb0ES3_N6thrust23THRUST_200600_302600_NS6detail15normal_iteratorINS9_10device_ptrIiEEEENSB_INSC_ItEEEESG_tNS9_4plusIvEENS9_8equal_toIvEEtEE10hipError_tPvRmT2_T3_T4_T5_mT6_T7_P12ihipStream_tbENKUlT_T0_E_clISt17integral_constantIbLb1EES10_IbLb0EEEEDaSW_SX_EUlSW_E_NS1_11comp_targetILNS1_3genE8ELNS1_11target_archE1030ELNS1_3gpuE2ELNS1_3repE0EEENS1_30default_config_static_selectorELNS0_4arch9wavefront6targetE0EEEvT1_
	.globl	_ZN7rocprim17ROCPRIM_400000_NS6detail17trampoline_kernelINS0_14default_configENS1_27scan_by_key_config_selectorIitEEZZNS1_16scan_by_key_implILNS1_25lookback_scan_determinismE0ELb0ES3_N6thrust23THRUST_200600_302600_NS6detail15normal_iteratorINS9_10device_ptrIiEEEENSB_INSC_ItEEEESG_tNS9_4plusIvEENS9_8equal_toIvEEtEE10hipError_tPvRmT2_T3_T4_T5_mT6_T7_P12ihipStream_tbENKUlT_T0_E_clISt17integral_constantIbLb1EES10_IbLb0EEEEDaSW_SX_EUlSW_E_NS1_11comp_targetILNS1_3genE8ELNS1_11target_archE1030ELNS1_3gpuE2ELNS1_3repE0EEENS1_30default_config_static_selectorELNS0_4arch9wavefront6targetE0EEEvT1_
	.p2align	8
	.type	_ZN7rocprim17ROCPRIM_400000_NS6detail17trampoline_kernelINS0_14default_configENS1_27scan_by_key_config_selectorIitEEZZNS1_16scan_by_key_implILNS1_25lookback_scan_determinismE0ELb0ES3_N6thrust23THRUST_200600_302600_NS6detail15normal_iteratorINS9_10device_ptrIiEEEENSB_INSC_ItEEEESG_tNS9_4plusIvEENS9_8equal_toIvEEtEE10hipError_tPvRmT2_T3_T4_T5_mT6_T7_P12ihipStream_tbENKUlT_T0_E_clISt17integral_constantIbLb1EES10_IbLb0EEEEDaSW_SX_EUlSW_E_NS1_11comp_targetILNS1_3genE8ELNS1_11target_archE1030ELNS1_3gpuE2ELNS1_3repE0EEENS1_30default_config_static_selectorELNS0_4arch9wavefront6targetE0EEEvT1_,@function
_ZN7rocprim17ROCPRIM_400000_NS6detail17trampoline_kernelINS0_14default_configENS1_27scan_by_key_config_selectorIitEEZZNS1_16scan_by_key_implILNS1_25lookback_scan_determinismE0ELb0ES3_N6thrust23THRUST_200600_302600_NS6detail15normal_iteratorINS9_10device_ptrIiEEEENSB_INSC_ItEEEESG_tNS9_4plusIvEENS9_8equal_toIvEEtEE10hipError_tPvRmT2_T3_T4_T5_mT6_T7_P12ihipStream_tbENKUlT_T0_E_clISt17integral_constantIbLb1EES10_IbLb0EEEEDaSW_SX_EUlSW_E_NS1_11comp_targetILNS1_3genE8ELNS1_11target_archE1030ELNS1_3gpuE2ELNS1_3repE0EEENS1_30default_config_static_selectorELNS0_4arch9wavefront6targetE0EEEvT1_: ; @_ZN7rocprim17ROCPRIM_400000_NS6detail17trampoline_kernelINS0_14default_configENS1_27scan_by_key_config_selectorIitEEZZNS1_16scan_by_key_implILNS1_25lookback_scan_determinismE0ELb0ES3_N6thrust23THRUST_200600_302600_NS6detail15normal_iteratorINS9_10device_ptrIiEEEENSB_INSC_ItEEEESG_tNS9_4plusIvEENS9_8equal_toIvEEtEE10hipError_tPvRmT2_T3_T4_T5_mT6_T7_P12ihipStream_tbENKUlT_T0_E_clISt17integral_constantIbLb1EES10_IbLb0EEEEDaSW_SX_EUlSW_E_NS1_11comp_targetILNS1_3genE8ELNS1_11target_archE1030ELNS1_3gpuE2ELNS1_3repE0EEENS1_30default_config_static_selectorELNS0_4arch9wavefront6targetE0EEEvT1_
; %bb.0:
	.section	.rodata,"a",@progbits
	.p2align	6, 0x0
	.amdhsa_kernel _ZN7rocprim17ROCPRIM_400000_NS6detail17trampoline_kernelINS0_14default_configENS1_27scan_by_key_config_selectorIitEEZZNS1_16scan_by_key_implILNS1_25lookback_scan_determinismE0ELb0ES3_N6thrust23THRUST_200600_302600_NS6detail15normal_iteratorINS9_10device_ptrIiEEEENSB_INSC_ItEEEESG_tNS9_4plusIvEENS9_8equal_toIvEEtEE10hipError_tPvRmT2_T3_T4_T5_mT6_T7_P12ihipStream_tbENKUlT_T0_E_clISt17integral_constantIbLb1EES10_IbLb0EEEEDaSW_SX_EUlSW_E_NS1_11comp_targetILNS1_3genE8ELNS1_11target_archE1030ELNS1_3gpuE2ELNS1_3repE0EEENS1_30default_config_static_selectorELNS0_4arch9wavefront6targetE0EEEvT1_
		.amdhsa_group_segment_fixed_size 0
		.amdhsa_private_segment_fixed_size 0
		.amdhsa_kernarg_size 112
		.amdhsa_user_sgpr_count 2
		.amdhsa_user_sgpr_dispatch_ptr 0
		.amdhsa_user_sgpr_queue_ptr 0
		.amdhsa_user_sgpr_kernarg_segment_ptr 1
		.amdhsa_user_sgpr_dispatch_id 0
		.amdhsa_user_sgpr_kernarg_preload_length 0
		.amdhsa_user_sgpr_kernarg_preload_offset 0
		.amdhsa_user_sgpr_private_segment_size 0
		.amdhsa_wavefront_size32 1
		.amdhsa_uses_dynamic_stack 0
		.amdhsa_enable_private_segment 0
		.amdhsa_system_sgpr_workgroup_id_x 1
		.amdhsa_system_sgpr_workgroup_id_y 0
		.amdhsa_system_sgpr_workgroup_id_z 0
		.amdhsa_system_sgpr_workgroup_info 0
		.amdhsa_system_vgpr_workitem_id 0
		.amdhsa_next_free_vgpr 1
		.amdhsa_next_free_sgpr 1
		.amdhsa_named_barrier_count 0
		.amdhsa_reserve_vcc 0
		.amdhsa_float_round_mode_32 0
		.amdhsa_float_round_mode_16_64 0
		.amdhsa_float_denorm_mode_32 3
		.amdhsa_float_denorm_mode_16_64 3
		.amdhsa_fp16_overflow 0
		.amdhsa_memory_ordered 1
		.amdhsa_forward_progress 1
		.amdhsa_inst_pref_size 0
		.amdhsa_round_robin_scheduling 0
		.amdhsa_exception_fp_ieee_invalid_op 0
		.amdhsa_exception_fp_denorm_src 0
		.amdhsa_exception_fp_ieee_div_zero 0
		.amdhsa_exception_fp_ieee_overflow 0
		.amdhsa_exception_fp_ieee_underflow 0
		.amdhsa_exception_fp_ieee_inexact 0
		.amdhsa_exception_int_div_zero 0
	.end_amdhsa_kernel
	.section	.text._ZN7rocprim17ROCPRIM_400000_NS6detail17trampoline_kernelINS0_14default_configENS1_27scan_by_key_config_selectorIitEEZZNS1_16scan_by_key_implILNS1_25lookback_scan_determinismE0ELb0ES3_N6thrust23THRUST_200600_302600_NS6detail15normal_iteratorINS9_10device_ptrIiEEEENSB_INSC_ItEEEESG_tNS9_4plusIvEENS9_8equal_toIvEEtEE10hipError_tPvRmT2_T3_T4_T5_mT6_T7_P12ihipStream_tbENKUlT_T0_E_clISt17integral_constantIbLb1EES10_IbLb0EEEEDaSW_SX_EUlSW_E_NS1_11comp_targetILNS1_3genE8ELNS1_11target_archE1030ELNS1_3gpuE2ELNS1_3repE0EEENS1_30default_config_static_selectorELNS0_4arch9wavefront6targetE0EEEvT1_,"axG",@progbits,_ZN7rocprim17ROCPRIM_400000_NS6detail17trampoline_kernelINS0_14default_configENS1_27scan_by_key_config_selectorIitEEZZNS1_16scan_by_key_implILNS1_25lookback_scan_determinismE0ELb0ES3_N6thrust23THRUST_200600_302600_NS6detail15normal_iteratorINS9_10device_ptrIiEEEENSB_INSC_ItEEEESG_tNS9_4plusIvEENS9_8equal_toIvEEtEE10hipError_tPvRmT2_T3_T4_T5_mT6_T7_P12ihipStream_tbENKUlT_T0_E_clISt17integral_constantIbLb1EES10_IbLb0EEEEDaSW_SX_EUlSW_E_NS1_11comp_targetILNS1_3genE8ELNS1_11target_archE1030ELNS1_3gpuE2ELNS1_3repE0EEENS1_30default_config_static_selectorELNS0_4arch9wavefront6targetE0EEEvT1_,comdat
.Lfunc_end1297:
	.size	_ZN7rocprim17ROCPRIM_400000_NS6detail17trampoline_kernelINS0_14default_configENS1_27scan_by_key_config_selectorIitEEZZNS1_16scan_by_key_implILNS1_25lookback_scan_determinismE0ELb0ES3_N6thrust23THRUST_200600_302600_NS6detail15normal_iteratorINS9_10device_ptrIiEEEENSB_INSC_ItEEEESG_tNS9_4plusIvEENS9_8equal_toIvEEtEE10hipError_tPvRmT2_T3_T4_T5_mT6_T7_P12ihipStream_tbENKUlT_T0_E_clISt17integral_constantIbLb1EES10_IbLb0EEEEDaSW_SX_EUlSW_E_NS1_11comp_targetILNS1_3genE8ELNS1_11target_archE1030ELNS1_3gpuE2ELNS1_3repE0EEENS1_30default_config_static_selectorELNS0_4arch9wavefront6targetE0EEEvT1_, .Lfunc_end1297-_ZN7rocprim17ROCPRIM_400000_NS6detail17trampoline_kernelINS0_14default_configENS1_27scan_by_key_config_selectorIitEEZZNS1_16scan_by_key_implILNS1_25lookback_scan_determinismE0ELb0ES3_N6thrust23THRUST_200600_302600_NS6detail15normal_iteratorINS9_10device_ptrIiEEEENSB_INSC_ItEEEESG_tNS9_4plusIvEENS9_8equal_toIvEEtEE10hipError_tPvRmT2_T3_T4_T5_mT6_T7_P12ihipStream_tbENKUlT_T0_E_clISt17integral_constantIbLb1EES10_IbLb0EEEEDaSW_SX_EUlSW_E_NS1_11comp_targetILNS1_3genE8ELNS1_11target_archE1030ELNS1_3gpuE2ELNS1_3repE0EEENS1_30default_config_static_selectorELNS0_4arch9wavefront6targetE0EEEvT1_
                                        ; -- End function
	.set _ZN7rocprim17ROCPRIM_400000_NS6detail17trampoline_kernelINS0_14default_configENS1_27scan_by_key_config_selectorIitEEZZNS1_16scan_by_key_implILNS1_25lookback_scan_determinismE0ELb0ES3_N6thrust23THRUST_200600_302600_NS6detail15normal_iteratorINS9_10device_ptrIiEEEENSB_INSC_ItEEEESG_tNS9_4plusIvEENS9_8equal_toIvEEtEE10hipError_tPvRmT2_T3_T4_T5_mT6_T7_P12ihipStream_tbENKUlT_T0_E_clISt17integral_constantIbLb1EES10_IbLb0EEEEDaSW_SX_EUlSW_E_NS1_11comp_targetILNS1_3genE8ELNS1_11target_archE1030ELNS1_3gpuE2ELNS1_3repE0EEENS1_30default_config_static_selectorELNS0_4arch9wavefront6targetE0EEEvT1_.num_vgpr, 0
	.set _ZN7rocprim17ROCPRIM_400000_NS6detail17trampoline_kernelINS0_14default_configENS1_27scan_by_key_config_selectorIitEEZZNS1_16scan_by_key_implILNS1_25lookback_scan_determinismE0ELb0ES3_N6thrust23THRUST_200600_302600_NS6detail15normal_iteratorINS9_10device_ptrIiEEEENSB_INSC_ItEEEESG_tNS9_4plusIvEENS9_8equal_toIvEEtEE10hipError_tPvRmT2_T3_T4_T5_mT6_T7_P12ihipStream_tbENKUlT_T0_E_clISt17integral_constantIbLb1EES10_IbLb0EEEEDaSW_SX_EUlSW_E_NS1_11comp_targetILNS1_3genE8ELNS1_11target_archE1030ELNS1_3gpuE2ELNS1_3repE0EEENS1_30default_config_static_selectorELNS0_4arch9wavefront6targetE0EEEvT1_.num_agpr, 0
	.set _ZN7rocprim17ROCPRIM_400000_NS6detail17trampoline_kernelINS0_14default_configENS1_27scan_by_key_config_selectorIitEEZZNS1_16scan_by_key_implILNS1_25lookback_scan_determinismE0ELb0ES3_N6thrust23THRUST_200600_302600_NS6detail15normal_iteratorINS9_10device_ptrIiEEEENSB_INSC_ItEEEESG_tNS9_4plusIvEENS9_8equal_toIvEEtEE10hipError_tPvRmT2_T3_T4_T5_mT6_T7_P12ihipStream_tbENKUlT_T0_E_clISt17integral_constantIbLb1EES10_IbLb0EEEEDaSW_SX_EUlSW_E_NS1_11comp_targetILNS1_3genE8ELNS1_11target_archE1030ELNS1_3gpuE2ELNS1_3repE0EEENS1_30default_config_static_selectorELNS0_4arch9wavefront6targetE0EEEvT1_.numbered_sgpr, 0
	.set _ZN7rocprim17ROCPRIM_400000_NS6detail17trampoline_kernelINS0_14default_configENS1_27scan_by_key_config_selectorIitEEZZNS1_16scan_by_key_implILNS1_25lookback_scan_determinismE0ELb0ES3_N6thrust23THRUST_200600_302600_NS6detail15normal_iteratorINS9_10device_ptrIiEEEENSB_INSC_ItEEEESG_tNS9_4plusIvEENS9_8equal_toIvEEtEE10hipError_tPvRmT2_T3_T4_T5_mT6_T7_P12ihipStream_tbENKUlT_T0_E_clISt17integral_constantIbLb1EES10_IbLb0EEEEDaSW_SX_EUlSW_E_NS1_11comp_targetILNS1_3genE8ELNS1_11target_archE1030ELNS1_3gpuE2ELNS1_3repE0EEENS1_30default_config_static_selectorELNS0_4arch9wavefront6targetE0EEEvT1_.num_named_barrier, 0
	.set _ZN7rocprim17ROCPRIM_400000_NS6detail17trampoline_kernelINS0_14default_configENS1_27scan_by_key_config_selectorIitEEZZNS1_16scan_by_key_implILNS1_25lookback_scan_determinismE0ELb0ES3_N6thrust23THRUST_200600_302600_NS6detail15normal_iteratorINS9_10device_ptrIiEEEENSB_INSC_ItEEEESG_tNS9_4plusIvEENS9_8equal_toIvEEtEE10hipError_tPvRmT2_T3_T4_T5_mT6_T7_P12ihipStream_tbENKUlT_T0_E_clISt17integral_constantIbLb1EES10_IbLb0EEEEDaSW_SX_EUlSW_E_NS1_11comp_targetILNS1_3genE8ELNS1_11target_archE1030ELNS1_3gpuE2ELNS1_3repE0EEENS1_30default_config_static_selectorELNS0_4arch9wavefront6targetE0EEEvT1_.private_seg_size, 0
	.set _ZN7rocprim17ROCPRIM_400000_NS6detail17trampoline_kernelINS0_14default_configENS1_27scan_by_key_config_selectorIitEEZZNS1_16scan_by_key_implILNS1_25lookback_scan_determinismE0ELb0ES3_N6thrust23THRUST_200600_302600_NS6detail15normal_iteratorINS9_10device_ptrIiEEEENSB_INSC_ItEEEESG_tNS9_4plusIvEENS9_8equal_toIvEEtEE10hipError_tPvRmT2_T3_T4_T5_mT6_T7_P12ihipStream_tbENKUlT_T0_E_clISt17integral_constantIbLb1EES10_IbLb0EEEEDaSW_SX_EUlSW_E_NS1_11comp_targetILNS1_3genE8ELNS1_11target_archE1030ELNS1_3gpuE2ELNS1_3repE0EEENS1_30default_config_static_selectorELNS0_4arch9wavefront6targetE0EEEvT1_.uses_vcc, 0
	.set _ZN7rocprim17ROCPRIM_400000_NS6detail17trampoline_kernelINS0_14default_configENS1_27scan_by_key_config_selectorIitEEZZNS1_16scan_by_key_implILNS1_25lookback_scan_determinismE0ELb0ES3_N6thrust23THRUST_200600_302600_NS6detail15normal_iteratorINS9_10device_ptrIiEEEENSB_INSC_ItEEEESG_tNS9_4plusIvEENS9_8equal_toIvEEtEE10hipError_tPvRmT2_T3_T4_T5_mT6_T7_P12ihipStream_tbENKUlT_T0_E_clISt17integral_constantIbLb1EES10_IbLb0EEEEDaSW_SX_EUlSW_E_NS1_11comp_targetILNS1_3genE8ELNS1_11target_archE1030ELNS1_3gpuE2ELNS1_3repE0EEENS1_30default_config_static_selectorELNS0_4arch9wavefront6targetE0EEEvT1_.uses_flat_scratch, 0
	.set _ZN7rocprim17ROCPRIM_400000_NS6detail17trampoline_kernelINS0_14default_configENS1_27scan_by_key_config_selectorIitEEZZNS1_16scan_by_key_implILNS1_25lookback_scan_determinismE0ELb0ES3_N6thrust23THRUST_200600_302600_NS6detail15normal_iteratorINS9_10device_ptrIiEEEENSB_INSC_ItEEEESG_tNS9_4plusIvEENS9_8equal_toIvEEtEE10hipError_tPvRmT2_T3_T4_T5_mT6_T7_P12ihipStream_tbENKUlT_T0_E_clISt17integral_constantIbLb1EES10_IbLb0EEEEDaSW_SX_EUlSW_E_NS1_11comp_targetILNS1_3genE8ELNS1_11target_archE1030ELNS1_3gpuE2ELNS1_3repE0EEENS1_30default_config_static_selectorELNS0_4arch9wavefront6targetE0EEEvT1_.has_dyn_sized_stack, 0
	.set _ZN7rocprim17ROCPRIM_400000_NS6detail17trampoline_kernelINS0_14default_configENS1_27scan_by_key_config_selectorIitEEZZNS1_16scan_by_key_implILNS1_25lookback_scan_determinismE0ELb0ES3_N6thrust23THRUST_200600_302600_NS6detail15normal_iteratorINS9_10device_ptrIiEEEENSB_INSC_ItEEEESG_tNS9_4plusIvEENS9_8equal_toIvEEtEE10hipError_tPvRmT2_T3_T4_T5_mT6_T7_P12ihipStream_tbENKUlT_T0_E_clISt17integral_constantIbLb1EES10_IbLb0EEEEDaSW_SX_EUlSW_E_NS1_11comp_targetILNS1_3genE8ELNS1_11target_archE1030ELNS1_3gpuE2ELNS1_3repE0EEENS1_30default_config_static_selectorELNS0_4arch9wavefront6targetE0EEEvT1_.has_recursion, 0
	.set _ZN7rocprim17ROCPRIM_400000_NS6detail17trampoline_kernelINS0_14default_configENS1_27scan_by_key_config_selectorIitEEZZNS1_16scan_by_key_implILNS1_25lookback_scan_determinismE0ELb0ES3_N6thrust23THRUST_200600_302600_NS6detail15normal_iteratorINS9_10device_ptrIiEEEENSB_INSC_ItEEEESG_tNS9_4plusIvEENS9_8equal_toIvEEtEE10hipError_tPvRmT2_T3_T4_T5_mT6_T7_P12ihipStream_tbENKUlT_T0_E_clISt17integral_constantIbLb1EES10_IbLb0EEEEDaSW_SX_EUlSW_E_NS1_11comp_targetILNS1_3genE8ELNS1_11target_archE1030ELNS1_3gpuE2ELNS1_3repE0EEENS1_30default_config_static_selectorELNS0_4arch9wavefront6targetE0EEEvT1_.has_indirect_call, 0
	.section	.AMDGPU.csdata,"",@progbits
; Kernel info:
; codeLenInByte = 0
; TotalNumSgprs: 0
; NumVgprs: 0
; ScratchSize: 0
; MemoryBound: 0
; FloatMode: 240
; IeeeMode: 1
; LDSByteSize: 0 bytes/workgroup (compile time only)
; SGPRBlocks: 0
; VGPRBlocks: 0
; NumSGPRsForWavesPerEU: 1
; NumVGPRsForWavesPerEU: 1
; NamedBarCnt: 0
; Occupancy: 16
; WaveLimiterHint : 0
; COMPUTE_PGM_RSRC2:SCRATCH_EN: 0
; COMPUTE_PGM_RSRC2:USER_SGPR: 2
; COMPUTE_PGM_RSRC2:TRAP_HANDLER: 0
; COMPUTE_PGM_RSRC2:TGID_X_EN: 1
; COMPUTE_PGM_RSRC2:TGID_Y_EN: 0
; COMPUTE_PGM_RSRC2:TGID_Z_EN: 0
; COMPUTE_PGM_RSRC2:TIDIG_COMP_CNT: 0
	.section	.text._ZN7rocprim17ROCPRIM_400000_NS6detail30init_device_scan_by_key_kernelINS1_19lookback_scan_stateINS0_5tupleIJtbEEELb0ELb1EEEN6thrust23THRUST_200600_302600_NS6detail15normal_iteratorINS8_10device_ptrIiEEEEjNS1_16block_id_wrapperIjLb1EEEEEvT_jjPNSG_10value_typeET0_PNSt15iterator_traitsISJ_E10value_typeEmT1_T2_,"axG",@progbits,_ZN7rocprim17ROCPRIM_400000_NS6detail30init_device_scan_by_key_kernelINS1_19lookback_scan_stateINS0_5tupleIJtbEEELb0ELb1EEEN6thrust23THRUST_200600_302600_NS6detail15normal_iteratorINS8_10device_ptrIiEEEEjNS1_16block_id_wrapperIjLb1EEEEEvT_jjPNSG_10value_typeET0_PNSt15iterator_traitsISJ_E10value_typeEmT1_T2_,comdat
	.protected	_ZN7rocprim17ROCPRIM_400000_NS6detail30init_device_scan_by_key_kernelINS1_19lookback_scan_stateINS0_5tupleIJtbEEELb0ELb1EEEN6thrust23THRUST_200600_302600_NS6detail15normal_iteratorINS8_10device_ptrIiEEEEjNS1_16block_id_wrapperIjLb1EEEEEvT_jjPNSG_10value_typeET0_PNSt15iterator_traitsISJ_E10value_typeEmT1_T2_ ; -- Begin function _ZN7rocprim17ROCPRIM_400000_NS6detail30init_device_scan_by_key_kernelINS1_19lookback_scan_stateINS0_5tupleIJtbEEELb0ELb1EEEN6thrust23THRUST_200600_302600_NS6detail15normal_iteratorINS8_10device_ptrIiEEEEjNS1_16block_id_wrapperIjLb1EEEEEvT_jjPNSG_10value_typeET0_PNSt15iterator_traitsISJ_E10value_typeEmT1_T2_
	.globl	_ZN7rocprim17ROCPRIM_400000_NS6detail30init_device_scan_by_key_kernelINS1_19lookback_scan_stateINS0_5tupleIJtbEEELb0ELb1EEEN6thrust23THRUST_200600_302600_NS6detail15normal_iteratorINS8_10device_ptrIiEEEEjNS1_16block_id_wrapperIjLb1EEEEEvT_jjPNSG_10value_typeET0_PNSt15iterator_traitsISJ_E10value_typeEmT1_T2_
	.p2align	8
	.type	_ZN7rocprim17ROCPRIM_400000_NS6detail30init_device_scan_by_key_kernelINS1_19lookback_scan_stateINS0_5tupleIJtbEEELb0ELb1EEEN6thrust23THRUST_200600_302600_NS6detail15normal_iteratorINS8_10device_ptrIiEEEEjNS1_16block_id_wrapperIjLb1EEEEEvT_jjPNSG_10value_typeET0_PNSt15iterator_traitsISJ_E10value_typeEmT1_T2_,@function
_ZN7rocprim17ROCPRIM_400000_NS6detail30init_device_scan_by_key_kernelINS1_19lookback_scan_stateINS0_5tupleIJtbEEELb0ELb1EEEN6thrust23THRUST_200600_302600_NS6detail15normal_iteratorINS8_10device_ptrIiEEEEjNS1_16block_id_wrapperIjLb1EEEEEvT_jjPNSG_10value_typeET0_PNSt15iterator_traitsISJ_E10value_typeEmT1_T2_: ; @_ZN7rocprim17ROCPRIM_400000_NS6detail30init_device_scan_by_key_kernelINS1_19lookback_scan_stateINS0_5tupleIJtbEEELb0ELb1EEEN6thrust23THRUST_200600_302600_NS6detail15normal_iteratorINS8_10device_ptrIiEEEEjNS1_16block_id_wrapperIjLb1EEEEEvT_jjPNSG_10value_typeET0_PNSt15iterator_traitsISJ_E10value_typeEmT1_T2_
; %bb.0:
	s_clause 0x2
	s_load_b32 s2, s[0:1], 0x4c
	s_load_b32 s12, s[0:1], 0x40
	s_load_b256 s[4:11], s[0:1], 0x0
	s_bfe_u32 s3, ttmp6, 0x4000c
	s_and_b32 s14, ttmp6, 15
	s_add_co_i32 s3, s3, 1
	s_getreg_b32 s15, hwreg(HW_REG_IB_STS2, 6, 4)
	s_mul_i32 s3, ttmp9, s3
	s_delay_alu instid0(SALU_CYCLE_1)
	s_add_co_i32 s14, s14, s3
	s_wait_kmcnt 0x0
	s_and_b32 s13, s2, 0xffff
	s_cmp_eq_u32 s15, 0
	s_cselect_b32 s2, ttmp9, s14
	s_cmp_eq_u64 s[8:9], 0
	v_mad_u32 v0, s2, s13, v0
	s_cbranch_scc1 .LBB1298_7
; %bb.1:
	s_cmp_lt_u32 s7, s6
	s_mov_b32 s14, exec_lo
	s_cselect_b32 s2, s7, 0
	s_delay_alu instid0(VALU_DEP_1) | instid1(SALU_CYCLE_1)
	v_cmpx_eq_u32_e64 s2, v0
	s_cbranch_execz .LBB1298_6
; %bb.2:
	s_add_co_i32 s2, s7, 32
	s_delay_alu instid0(SALU_CYCLE_1) | instskip(SKIP_3) | instid1(VALU_DEP_1)
	v_dual_mov_b32 v4, 0 :: v_dual_mov_b32 v1, s2
	global_load_b64 v[2:3], v1, s[4:5] scale_offset scope:SCOPE_DEV
	s_wait_loadcnt 0x0
	v_and_b32_e32 v5, 0xff, v3
	v_cmp_ne_u64_e32 vcc_lo, 0, v[4:5]
	s_cbranch_vccnz .LBB1298_5
; %bb.3:
	s_mov_b32 s3, 0
	s_delay_alu instid0(SALU_CYCLE_1) | instskip(NEXT) | instid1(SALU_CYCLE_1)
	s_lshl_b64 s[2:3], s[2:3], 3
	s_add_nc_u64 s[2:3], s[4:5], s[2:3]
.LBB1298_4:                             ; =>This Inner Loop Header: Depth=1
	global_load_b64 v[2:3], v4, s[2:3] scope:SCOPE_DEV
	s_wait_loadcnt 0x0
	v_and_b32_e32 v5, 0xff, v3
	s_delay_alu instid0(VALU_DEP_1)
	v_cmp_eq_u64_e32 vcc_lo, 0, v[4:5]
	s_cbranch_vccnz .LBB1298_4
.LBB1298_5:
	v_mov_b32_e32 v1, 0
	s_clause 0x1
	global_store_b16 v1, v2, s[8:9]
	global_store_d16_hi_b8 v1, v2, s[8:9] offset:2
.LBB1298_6:
	s_wait_xcnt 0x0
	s_or_b32 exec_lo, exec_lo, s14
.LBB1298_7:
	s_delay_alu instid0(SALU_CYCLE_1) | instskip(NEXT) | instid1(VALU_DEP_1)
	s_mov_b32 s2, exec_lo
	v_cmpx_eq_u32_e32 0, v0
	s_cbranch_execz .LBB1298_9
; %bb.8:
	s_load_b64 s[8:9], s[0:1], 0x38
	v_mov_b32_e32 v1, 0
	s_wait_kmcnt 0x0
	global_store_b32 v1, v1, s[8:9]
.LBB1298_9:
	s_wait_xcnt 0x0
	s_or_b32 exec_lo, exec_lo, s2
	s_delay_alu instid0(SALU_CYCLE_1)
	s_mov_b32 s2, exec_lo
	v_cmpx_gt_u32_e64 s6, v0
	s_cbranch_execz .LBB1298_11
; %bb.10:
	v_mov_b64_e32 v[2:3], 0
	v_add_nc_u32_e32 v1, 32, v0
	global_store_b64 v1, v[2:3], s[4:5] scale_offset
.LBB1298_11:
	s_wait_xcnt 0x0
	s_or_b32 exec_lo, exec_lo, s2
	v_mov_b32_e32 v1, 0
	s_mov_b32 s2, exec_lo
	v_cmpx_gt_u32_e32 32, v0
	s_cbranch_execz .LBB1298_13
; %bb.12:
	v_mov_b64_e32 v[2:3], 0xff00000000
	v_lshl_add_u64 v[4:5], v[0:1], 3, s[4:5]
	global_store_b64 v[4:5], v[2:3], off
.LBB1298_13:
	s_wait_xcnt 0x0
	s_or_b32 exec_lo, exec_lo, s2
	s_load_b64 s[2:3], s[0:1], 0x28
	s_mov_b32 s4, exec_lo
	s_wait_kmcnt 0x0
	v_cmpx_gt_u64_e64 s[2:3], v[0:1]
	s_cbranch_execz .LBB1298_16
; %bb.14:
	s_clause 0x1
	s_load_b32 s4, s[0:1], 0x30
	s_load_b64 s[6:7], s[0:1], 0x20
	s_mov_b32 s5, 0
	s_wait_xcnt 0x0
	s_mul_i32 s0, s12, s13
	s_mov_b32 s9, s5
	s_mov_b32 s1, s5
	s_wait_kmcnt 0x0
	v_mul_u64_e32 v[2:3], s[4:5], v[0:1]
	s_add_co_i32 s8, s4, -1
	v_lshl_add_u64 v[4:5], v[0:1], 2, s[6:7]
	s_lshl_b64 s[8:9], s[8:9], 2
	s_delay_alu instid0(SALU_CYCLE_1) | instskip(SKIP_1) | instid1(SALU_CYCLE_1)
	s_add_nc_u64 s[8:9], s[10:11], s[8:9]
	s_mul_u64 s[10:11], s[4:5], s[0:1]
	s_lshl_b64 s[6:7], s[10:11], 2
	s_delay_alu instid0(VALU_DEP_2)
	v_lshl_add_u64 v[2:3], v[2:3], 2, s[8:9]
	s_lshl_b64 s[8:9], s[0:1], 2
.LBB1298_15:                            ; =>This Inner Loop Header: Depth=1
	global_load_b32 v6, v[2:3], off
	v_add_nc_u64_e32 v[0:1], s[0:1], v[0:1]
	s_wait_xcnt 0x0
	v_add_nc_u64_e32 v[2:3], s[6:7], v[2:3]
	s_delay_alu instid0(VALU_DEP_2)
	v_cmp_le_u64_e32 vcc_lo, s[2:3], v[0:1]
	s_or_b32 s5, vcc_lo, s5
	s_wait_loadcnt 0x0
	global_store_b32 v[4:5], v6, off
	s_wait_xcnt 0x0
	v_add_nc_u64_e32 v[4:5], s[8:9], v[4:5]
	s_and_not1_b32 exec_lo, exec_lo, s5
	s_cbranch_execnz .LBB1298_15
.LBB1298_16:
	s_endpgm
	.section	.rodata,"a",@progbits
	.p2align	6, 0x0
	.amdhsa_kernel _ZN7rocprim17ROCPRIM_400000_NS6detail30init_device_scan_by_key_kernelINS1_19lookback_scan_stateINS0_5tupleIJtbEEELb0ELb1EEEN6thrust23THRUST_200600_302600_NS6detail15normal_iteratorINS8_10device_ptrIiEEEEjNS1_16block_id_wrapperIjLb1EEEEEvT_jjPNSG_10value_typeET0_PNSt15iterator_traitsISJ_E10value_typeEmT1_T2_
		.amdhsa_group_segment_fixed_size 0
		.amdhsa_private_segment_fixed_size 0
		.amdhsa_kernarg_size 320
		.amdhsa_user_sgpr_count 2
		.amdhsa_user_sgpr_dispatch_ptr 0
		.amdhsa_user_sgpr_queue_ptr 0
		.amdhsa_user_sgpr_kernarg_segment_ptr 1
		.amdhsa_user_sgpr_dispatch_id 0
		.amdhsa_user_sgpr_kernarg_preload_length 0
		.amdhsa_user_sgpr_kernarg_preload_offset 0
		.amdhsa_user_sgpr_private_segment_size 0
		.amdhsa_wavefront_size32 1
		.amdhsa_uses_dynamic_stack 0
		.amdhsa_enable_private_segment 0
		.amdhsa_system_sgpr_workgroup_id_x 1
		.amdhsa_system_sgpr_workgroup_id_y 0
		.amdhsa_system_sgpr_workgroup_id_z 0
		.amdhsa_system_sgpr_workgroup_info 0
		.amdhsa_system_vgpr_workitem_id 0
		.amdhsa_next_free_vgpr 7
		.amdhsa_next_free_sgpr 16
		.amdhsa_named_barrier_count 0
		.amdhsa_reserve_vcc 1
		.amdhsa_float_round_mode_32 0
		.amdhsa_float_round_mode_16_64 0
		.amdhsa_float_denorm_mode_32 3
		.amdhsa_float_denorm_mode_16_64 3
		.amdhsa_fp16_overflow 0
		.amdhsa_memory_ordered 1
		.amdhsa_forward_progress 1
		.amdhsa_inst_pref_size 5
		.amdhsa_round_robin_scheduling 0
		.amdhsa_exception_fp_ieee_invalid_op 0
		.amdhsa_exception_fp_denorm_src 0
		.amdhsa_exception_fp_ieee_div_zero 0
		.amdhsa_exception_fp_ieee_overflow 0
		.amdhsa_exception_fp_ieee_underflow 0
		.amdhsa_exception_fp_ieee_inexact 0
		.amdhsa_exception_int_div_zero 0
	.end_amdhsa_kernel
	.section	.text._ZN7rocprim17ROCPRIM_400000_NS6detail30init_device_scan_by_key_kernelINS1_19lookback_scan_stateINS0_5tupleIJtbEEELb0ELb1EEEN6thrust23THRUST_200600_302600_NS6detail15normal_iteratorINS8_10device_ptrIiEEEEjNS1_16block_id_wrapperIjLb1EEEEEvT_jjPNSG_10value_typeET0_PNSt15iterator_traitsISJ_E10value_typeEmT1_T2_,"axG",@progbits,_ZN7rocprim17ROCPRIM_400000_NS6detail30init_device_scan_by_key_kernelINS1_19lookback_scan_stateINS0_5tupleIJtbEEELb0ELb1EEEN6thrust23THRUST_200600_302600_NS6detail15normal_iteratorINS8_10device_ptrIiEEEEjNS1_16block_id_wrapperIjLb1EEEEEvT_jjPNSG_10value_typeET0_PNSt15iterator_traitsISJ_E10value_typeEmT1_T2_,comdat
.Lfunc_end1298:
	.size	_ZN7rocprim17ROCPRIM_400000_NS6detail30init_device_scan_by_key_kernelINS1_19lookback_scan_stateINS0_5tupleIJtbEEELb0ELb1EEEN6thrust23THRUST_200600_302600_NS6detail15normal_iteratorINS8_10device_ptrIiEEEEjNS1_16block_id_wrapperIjLb1EEEEEvT_jjPNSG_10value_typeET0_PNSt15iterator_traitsISJ_E10value_typeEmT1_T2_, .Lfunc_end1298-_ZN7rocprim17ROCPRIM_400000_NS6detail30init_device_scan_by_key_kernelINS1_19lookback_scan_stateINS0_5tupleIJtbEEELb0ELb1EEEN6thrust23THRUST_200600_302600_NS6detail15normal_iteratorINS8_10device_ptrIiEEEEjNS1_16block_id_wrapperIjLb1EEEEEvT_jjPNSG_10value_typeET0_PNSt15iterator_traitsISJ_E10value_typeEmT1_T2_
                                        ; -- End function
	.set _ZN7rocprim17ROCPRIM_400000_NS6detail30init_device_scan_by_key_kernelINS1_19lookback_scan_stateINS0_5tupleIJtbEEELb0ELb1EEEN6thrust23THRUST_200600_302600_NS6detail15normal_iteratorINS8_10device_ptrIiEEEEjNS1_16block_id_wrapperIjLb1EEEEEvT_jjPNSG_10value_typeET0_PNSt15iterator_traitsISJ_E10value_typeEmT1_T2_.num_vgpr, 7
	.set _ZN7rocprim17ROCPRIM_400000_NS6detail30init_device_scan_by_key_kernelINS1_19lookback_scan_stateINS0_5tupleIJtbEEELb0ELb1EEEN6thrust23THRUST_200600_302600_NS6detail15normal_iteratorINS8_10device_ptrIiEEEEjNS1_16block_id_wrapperIjLb1EEEEEvT_jjPNSG_10value_typeET0_PNSt15iterator_traitsISJ_E10value_typeEmT1_T2_.num_agpr, 0
	.set _ZN7rocprim17ROCPRIM_400000_NS6detail30init_device_scan_by_key_kernelINS1_19lookback_scan_stateINS0_5tupleIJtbEEELb0ELb1EEEN6thrust23THRUST_200600_302600_NS6detail15normal_iteratorINS8_10device_ptrIiEEEEjNS1_16block_id_wrapperIjLb1EEEEEvT_jjPNSG_10value_typeET0_PNSt15iterator_traitsISJ_E10value_typeEmT1_T2_.numbered_sgpr, 16
	.set _ZN7rocprim17ROCPRIM_400000_NS6detail30init_device_scan_by_key_kernelINS1_19lookback_scan_stateINS0_5tupleIJtbEEELb0ELb1EEEN6thrust23THRUST_200600_302600_NS6detail15normal_iteratorINS8_10device_ptrIiEEEEjNS1_16block_id_wrapperIjLb1EEEEEvT_jjPNSG_10value_typeET0_PNSt15iterator_traitsISJ_E10value_typeEmT1_T2_.num_named_barrier, 0
	.set _ZN7rocprim17ROCPRIM_400000_NS6detail30init_device_scan_by_key_kernelINS1_19lookback_scan_stateINS0_5tupleIJtbEEELb0ELb1EEEN6thrust23THRUST_200600_302600_NS6detail15normal_iteratorINS8_10device_ptrIiEEEEjNS1_16block_id_wrapperIjLb1EEEEEvT_jjPNSG_10value_typeET0_PNSt15iterator_traitsISJ_E10value_typeEmT1_T2_.private_seg_size, 0
	.set _ZN7rocprim17ROCPRIM_400000_NS6detail30init_device_scan_by_key_kernelINS1_19lookback_scan_stateINS0_5tupleIJtbEEELb0ELb1EEEN6thrust23THRUST_200600_302600_NS6detail15normal_iteratorINS8_10device_ptrIiEEEEjNS1_16block_id_wrapperIjLb1EEEEEvT_jjPNSG_10value_typeET0_PNSt15iterator_traitsISJ_E10value_typeEmT1_T2_.uses_vcc, 1
	.set _ZN7rocprim17ROCPRIM_400000_NS6detail30init_device_scan_by_key_kernelINS1_19lookback_scan_stateINS0_5tupleIJtbEEELb0ELb1EEEN6thrust23THRUST_200600_302600_NS6detail15normal_iteratorINS8_10device_ptrIiEEEEjNS1_16block_id_wrapperIjLb1EEEEEvT_jjPNSG_10value_typeET0_PNSt15iterator_traitsISJ_E10value_typeEmT1_T2_.uses_flat_scratch, 0
	.set _ZN7rocprim17ROCPRIM_400000_NS6detail30init_device_scan_by_key_kernelINS1_19lookback_scan_stateINS0_5tupleIJtbEEELb0ELb1EEEN6thrust23THRUST_200600_302600_NS6detail15normal_iteratorINS8_10device_ptrIiEEEEjNS1_16block_id_wrapperIjLb1EEEEEvT_jjPNSG_10value_typeET0_PNSt15iterator_traitsISJ_E10value_typeEmT1_T2_.has_dyn_sized_stack, 0
	.set _ZN7rocprim17ROCPRIM_400000_NS6detail30init_device_scan_by_key_kernelINS1_19lookback_scan_stateINS0_5tupleIJtbEEELb0ELb1EEEN6thrust23THRUST_200600_302600_NS6detail15normal_iteratorINS8_10device_ptrIiEEEEjNS1_16block_id_wrapperIjLb1EEEEEvT_jjPNSG_10value_typeET0_PNSt15iterator_traitsISJ_E10value_typeEmT1_T2_.has_recursion, 0
	.set _ZN7rocprim17ROCPRIM_400000_NS6detail30init_device_scan_by_key_kernelINS1_19lookback_scan_stateINS0_5tupleIJtbEEELb0ELb1EEEN6thrust23THRUST_200600_302600_NS6detail15normal_iteratorINS8_10device_ptrIiEEEEjNS1_16block_id_wrapperIjLb1EEEEEvT_jjPNSG_10value_typeET0_PNSt15iterator_traitsISJ_E10value_typeEmT1_T2_.has_indirect_call, 0
	.section	.AMDGPU.csdata,"",@progbits
; Kernel info:
; codeLenInByte = 616
; TotalNumSgprs: 18
; NumVgprs: 7
; ScratchSize: 0
; MemoryBound: 0
; FloatMode: 240
; IeeeMode: 1
; LDSByteSize: 0 bytes/workgroup (compile time only)
; SGPRBlocks: 0
; VGPRBlocks: 0
; NumSGPRsForWavesPerEU: 18
; NumVGPRsForWavesPerEU: 7
; NamedBarCnt: 0
; Occupancy: 16
; WaveLimiterHint : 0
; COMPUTE_PGM_RSRC2:SCRATCH_EN: 0
; COMPUTE_PGM_RSRC2:USER_SGPR: 2
; COMPUTE_PGM_RSRC2:TRAP_HANDLER: 0
; COMPUTE_PGM_RSRC2:TGID_X_EN: 1
; COMPUTE_PGM_RSRC2:TGID_Y_EN: 0
; COMPUTE_PGM_RSRC2:TGID_Z_EN: 0
; COMPUTE_PGM_RSRC2:TIDIG_COMP_CNT: 0
	.section	.text._ZN7rocprim17ROCPRIM_400000_NS6detail30init_device_scan_by_key_kernelINS1_19lookback_scan_stateINS0_5tupleIJtbEEELb0ELb1EEENS1_16block_id_wrapperIjLb1EEEEEvT_jjPNS9_10value_typeET0_,"axG",@progbits,_ZN7rocprim17ROCPRIM_400000_NS6detail30init_device_scan_by_key_kernelINS1_19lookback_scan_stateINS0_5tupleIJtbEEELb0ELb1EEENS1_16block_id_wrapperIjLb1EEEEEvT_jjPNS9_10value_typeET0_,comdat
	.protected	_ZN7rocprim17ROCPRIM_400000_NS6detail30init_device_scan_by_key_kernelINS1_19lookback_scan_stateINS0_5tupleIJtbEEELb0ELb1EEENS1_16block_id_wrapperIjLb1EEEEEvT_jjPNS9_10value_typeET0_ ; -- Begin function _ZN7rocprim17ROCPRIM_400000_NS6detail30init_device_scan_by_key_kernelINS1_19lookback_scan_stateINS0_5tupleIJtbEEELb0ELb1EEENS1_16block_id_wrapperIjLb1EEEEEvT_jjPNS9_10value_typeET0_
	.globl	_ZN7rocprim17ROCPRIM_400000_NS6detail30init_device_scan_by_key_kernelINS1_19lookback_scan_stateINS0_5tupleIJtbEEELb0ELb1EEENS1_16block_id_wrapperIjLb1EEEEEvT_jjPNS9_10value_typeET0_
	.p2align	8
	.type	_ZN7rocprim17ROCPRIM_400000_NS6detail30init_device_scan_by_key_kernelINS1_19lookback_scan_stateINS0_5tupleIJtbEEELb0ELb1EEENS1_16block_id_wrapperIjLb1EEEEEvT_jjPNS9_10value_typeET0_,@function
_ZN7rocprim17ROCPRIM_400000_NS6detail30init_device_scan_by_key_kernelINS1_19lookback_scan_stateINS0_5tupleIJtbEEELb0ELb1EEENS1_16block_id_wrapperIjLb1EEEEEvT_jjPNS9_10value_typeET0_: ; @_ZN7rocprim17ROCPRIM_400000_NS6detail30init_device_scan_by_key_kernelINS1_19lookback_scan_stateINS0_5tupleIJtbEEELb0ELb1EEENS1_16block_id_wrapperIjLb1EEEEEvT_jjPNS9_10value_typeET0_
; %bb.0:
	s_clause 0x1
	s_load_b32 s2, s[0:1], 0x2c
	s_load_b256 s[4:11], s[0:1], 0x0
	s_wait_xcnt 0x0
	s_bfe_u32 s0, ttmp6, 0x4000c
	s_and_b32 s1, ttmp6, 15
	s_add_co_i32 s0, s0, 1
	s_getreg_b32 s3, hwreg(HW_REG_IB_STS2, 6, 4)
	s_mul_i32 s0, ttmp9, s0
	s_delay_alu instid0(SALU_CYCLE_1)
	s_add_co_i32 s1, s1, s0
	s_wait_kmcnt 0x0
	s_and_b32 s2, s2, 0xffff
	s_cmp_eq_u32 s3, 0
	s_cselect_b32 s0, ttmp9, s1
	s_cmp_eq_u64 s[8:9], 0
	v_mad_u32 v4, s0, s2, v0
	s_cbranch_scc1 .LBB1299_7
; %bb.1:
	s_cmp_lt_u32 s7, s6
	s_mov_b32 s2, exec_lo
	s_cselect_b32 s0, s7, 0
	s_delay_alu instid0(VALU_DEP_1) | instid1(SALU_CYCLE_1)
	v_cmpx_eq_u32_e64 s0, v4
	s_cbranch_execz .LBB1299_6
; %bb.2:
	s_add_co_i32 s0, s7, 32
	s_delay_alu instid0(SALU_CYCLE_1) | instskip(SKIP_3) | instid1(VALU_DEP_1)
	v_dual_mov_b32 v2, 0 :: v_dual_mov_b32 v0, s0
	global_load_b64 v[0:1], v0, s[4:5] scale_offset scope:SCOPE_DEV
	s_wait_loadcnt 0x0
	v_and_b32_e32 v3, 0xff, v1
	v_cmp_ne_u64_e32 vcc_lo, 0, v[2:3]
	s_cbranch_vccnz .LBB1299_5
; %bb.3:
	s_mov_b32 s1, 0
	s_delay_alu instid0(SALU_CYCLE_1) | instskip(NEXT) | instid1(SALU_CYCLE_1)
	s_lshl_b64 s[0:1], s[0:1], 3
	s_add_nc_u64 s[0:1], s[4:5], s[0:1]
.LBB1299_4:                             ; =>This Inner Loop Header: Depth=1
	global_load_b64 v[0:1], v2, s[0:1] scope:SCOPE_DEV
	s_wait_loadcnt 0x0
	v_and_b32_e32 v3, 0xff, v1
	s_delay_alu instid0(VALU_DEP_1)
	v_cmp_eq_u64_e32 vcc_lo, 0, v[2:3]
	s_cbranch_vccnz .LBB1299_4
.LBB1299_5:
	v_mov_b32_e32 v1, 0
	s_clause 0x1
	global_store_b16 v1, v0, s[8:9]
	global_store_d16_hi_b8 v1, v0, s[8:9] offset:2
.LBB1299_6:
	s_wait_xcnt 0x0
	s_or_b32 exec_lo, exec_lo, s2
.LBB1299_7:
	s_delay_alu instid0(SALU_CYCLE_1) | instskip(NEXT) | instid1(VALU_DEP_1)
	s_mov_b32 s0, exec_lo
	v_cmpx_eq_u32_e32 0, v4
	s_cbranch_execz .LBB1299_9
; %bb.8:
	v_mov_b32_e32 v0, 0
	global_store_b32 v0, v0, s[10:11]
.LBB1299_9:
	s_wait_xcnt 0x0
	s_or_b32 exec_lo, exec_lo, s0
	s_delay_alu instid0(SALU_CYCLE_1)
	s_mov_b32 s0, exec_lo
	v_cmpx_gt_u32_e64 s6, v4
	s_cbranch_execz .LBB1299_11
; %bb.10:
	v_mov_b64_e32 v[0:1], 0
	v_add_nc_u32_e32 v2, 32, v4
	global_store_b64 v2, v[0:1], s[4:5] scale_offset
.LBB1299_11:
	s_wait_xcnt 0x0
	s_or_b32 exec_lo, exec_lo, s0
	s_delay_alu instid0(SALU_CYCLE_1)
	s_mov_b32 s0, exec_lo
	v_cmpx_gt_u32_e32 32, v4
	s_cbranch_execz .LBB1299_13
; %bb.12:
	v_mov_b64_e32 v[0:1], 0xff00000000
	global_store_b64 v4, v[0:1], s[4:5] scale_offset
.LBB1299_13:
	s_endpgm
	.section	.rodata,"a",@progbits
	.p2align	6, 0x0
	.amdhsa_kernel _ZN7rocprim17ROCPRIM_400000_NS6detail30init_device_scan_by_key_kernelINS1_19lookback_scan_stateINS0_5tupleIJtbEEELb0ELb1EEENS1_16block_id_wrapperIjLb1EEEEEvT_jjPNS9_10value_typeET0_
		.amdhsa_group_segment_fixed_size 0
		.amdhsa_private_segment_fixed_size 0
		.amdhsa_kernarg_size 288
		.amdhsa_user_sgpr_count 2
		.amdhsa_user_sgpr_dispatch_ptr 0
		.amdhsa_user_sgpr_queue_ptr 0
		.amdhsa_user_sgpr_kernarg_segment_ptr 1
		.amdhsa_user_sgpr_dispatch_id 0
		.amdhsa_user_sgpr_kernarg_preload_length 0
		.amdhsa_user_sgpr_kernarg_preload_offset 0
		.amdhsa_user_sgpr_private_segment_size 0
		.amdhsa_wavefront_size32 1
		.amdhsa_uses_dynamic_stack 0
		.amdhsa_enable_private_segment 0
		.amdhsa_system_sgpr_workgroup_id_x 1
		.amdhsa_system_sgpr_workgroup_id_y 0
		.amdhsa_system_sgpr_workgroup_id_z 0
		.amdhsa_system_sgpr_workgroup_info 0
		.amdhsa_system_vgpr_workitem_id 0
		.amdhsa_next_free_vgpr 5
		.amdhsa_next_free_sgpr 12
		.amdhsa_named_barrier_count 0
		.amdhsa_reserve_vcc 1
		.amdhsa_float_round_mode_32 0
		.amdhsa_float_round_mode_16_64 0
		.amdhsa_float_denorm_mode_32 3
		.amdhsa_float_denorm_mode_16_64 3
		.amdhsa_fp16_overflow 0
		.amdhsa_memory_ordered 1
		.amdhsa_forward_progress 1
		.amdhsa_inst_pref_size 4
		.amdhsa_round_robin_scheduling 0
		.amdhsa_exception_fp_ieee_invalid_op 0
		.amdhsa_exception_fp_denorm_src 0
		.amdhsa_exception_fp_ieee_div_zero 0
		.amdhsa_exception_fp_ieee_overflow 0
		.amdhsa_exception_fp_ieee_underflow 0
		.amdhsa_exception_fp_ieee_inexact 0
		.amdhsa_exception_int_div_zero 0
	.end_amdhsa_kernel
	.section	.text._ZN7rocprim17ROCPRIM_400000_NS6detail30init_device_scan_by_key_kernelINS1_19lookback_scan_stateINS0_5tupleIJtbEEELb0ELb1EEENS1_16block_id_wrapperIjLb1EEEEEvT_jjPNS9_10value_typeET0_,"axG",@progbits,_ZN7rocprim17ROCPRIM_400000_NS6detail30init_device_scan_by_key_kernelINS1_19lookback_scan_stateINS0_5tupleIJtbEEELb0ELb1EEENS1_16block_id_wrapperIjLb1EEEEEvT_jjPNS9_10value_typeET0_,comdat
.Lfunc_end1299:
	.size	_ZN7rocprim17ROCPRIM_400000_NS6detail30init_device_scan_by_key_kernelINS1_19lookback_scan_stateINS0_5tupleIJtbEEELb0ELb1EEENS1_16block_id_wrapperIjLb1EEEEEvT_jjPNS9_10value_typeET0_, .Lfunc_end1299-_ZN7rocprim17ROCPRIM_400000_NS6detail30init_device_scan_by_key_kernelINS1_19lookback_scan_stateINS0_5tupleIJtbEEELb0ELb1EEENS1_16block_id_wrapperIjLb1EEEEEvT_jjPNS9_10value_typeET0_
                                        ; -- End function
	.set _ZN7rocprim17ROCPRIM_400000_NS6detail30init_device_scan_by_key_kernelINS1_19lookback_scan_stateINS0_5tupleIJtbEEELb0ELb1EEENS1_16block_id_wrapperIjLb1EEEEEvT_jjPNS9_10value_typeET0_.num_vgpr, 5
	.set _ZN7rocprim17ROCPRIM_400000_NS6detail30init_device_scan_by_key_kernelINS1_19lookback_scan_stateINS0_5tupleIJtbEEELb0ELb1EEENS1_16block_id_wrapperIjLb1EEEEEvT_jjPNS9_10value_typeET0_.num_agpr, 0
	.set _ZN7rocprim17ROCPRIM_400000_NS6detail30init_device_scan_by_key_kernelINS1_19lookback_scan_stateINS0_5tupleIJtbEEELb0ELb1EEENS1_16block_id_wrapperIjLb1EEEEEvT_jjPNS9_10value_typeET0_.numbered_sgpr, 12
	.set _ZN7rocprim17ROCPRIM_400000_NS6detail30init_device_scan_by_key_kernelINS1_19lookback_scan_stateINS0_5tupleIJtbEEELb0ELb1EEENS1_16block_id_wrapperIjLb1EEEEEvT_jjPNS9_10value_typeET0_.num_named_barrier, 0
	.set _ZN7rocprim17ROCPRIM_400000_NS6detail30init_device_scan_by_key_kernelINS1_19lookback_scan_stateINS0_5tupleIJtbEEELb0ELb1EEENS1_16block_id_wrapperIjLb1EEEEEvT_jjPNS9_10value_typeET0_.private_seg_size, 0
	.set _ZN7rocprim17ROCPRIM_400000_NS6detail30init_device_scan_by_key_kernelINS1_19lookback_scan_stateINS0_5tupleIJtbEEELb0ELb1EEENS1_16block_id_wrapperIjLb1EEEEEvT_jjPNS9_10value_typeET0_.uses_vcc, 1
	.set _ZN7rocprim17ROCPRIM_400000_NS6detail30init_device_scan_by_key_kernelINS1_19lookback_scan_stateINS0_5tupleIJtbEEELb0ELb1EEENS1_16block_id_wrapperIjLb1EEEEEvT_jjPNS9_10value_typeET0_.uses_flat_scratch, 0
	.set _ZN7rocprim17ROCPRIM_400000_NS6detail30init_device_scan_by_key_kernelINS1_19lookback_scan_stateINS0_5tupleIJtbEEELb0ELb1EEENS1_16block_id_wrapperIjLb1EEEEEvT_jjPNS9_10value_typeET0_.has_dyn_sized_stack, 0
	.set _ZN7rocprim17ROCPRIM_400000_NS6detail30init_device_scan_by_key_kernelINS1_19lookback_scan_stateINS0_5tupleIJtbEEELb0ELb1EEENS1_16block_id_wrapperIjLb1EEEEEvT_jjPNS9_10value_typeET0_.has_recursion, 0
	.set _ZN7rocprim17ROCPRIM_400000_NS6detail30init_device_scan_by_key_kernelINS1_19lookback_scan_stateINS0_5tupleIJtbEEELb0ELb1EEENS1_16block_id_wrapperIjLb1EEEEEvT_jjPNS9_10value_typeET0_.has_indirect_call, 0
	.section	.AMDGPU.csdata,"",@progbits
; Kernel info:
; codeLenInByte = 396
; TotalNumSgprs: 14
; NumVgprs: 5
; ScratchSize: 0
; MemoryBound: 0
; FloatMode: 240
; IeeeMode: 1
; LDSByteSize: 0 bytes/workgroup (compile time only)
; SGPRBlocks: 0
; VGPRBlocks: 0
; NumSGPRsForWavesPerEU: 14
; NumVGPRsForWavesPerEU: 5
; NamedBarCnt: 0
; Occupancy: 16
; WaveLimiterHint : 0
; COMPUTE_PGM_RSRC2:SCRATCH_EN: 0
; COMPUTE_PGM_RSRC2:USER_SGPR: 2
; COMPUTE_PGM_RSRC2:TRAP_HANDLER: 0
; COMPUTE_PGM_RSRC2:TGID_X_EN: 1
; COMPUTE_PGM_RSRC2:TGID_Y_EN: 0
; COMPUTE_PGM_RSRC2:TGID_Z_EN: 0
; COMPUTE_PGM_RSRC2:TIDIG_COMP_CNT: 0
	.section	.text._ZN7rocprim17ROCPRIM_400000_NS6detail17trampoline_kernelINS0_14default_configENS1_27scan_by_key_config_selectorIitEEZZNS1_16scan_by_key_implILNS1_25lookback_scan_determinismE0ELb0ES3_N6thrust23THRUST_200600_302600_NS6detail15normal_iteratorINS9_10device_ptrIiEEEENSB_INSC_ItEEEESG_tNS9_4plusIvEENS9_8equal_toIvEEtEE10hipError_tPvRmT2_T3_T4_T5_mT6_T7_P12ihipStream_tbENKUlT_T0_E_clISt17integral_constantIbLb0EES10_IbLb1EEEEDaSW_SX_EUlSW_E_NS1_11comp_targetILNS1_3genE0ELNS1_11target_archE4294967295ELNS1_3gpuE0ELNS1_3repE0EEENS1_30default_config_static_selectorELNS0_4arch9wavefront6targetE0EEEvT1_,"axG",@progbits,_ZN7rocprim17ROCPRIM_400000_NS6detail17trampoline_kernelINS0_14default_configENS1_27scan_by_key_config_selectorIitEEZZNS1_16scan_by_key_implILNS1_25lookback_scan_determinismE0ELb0ES3_N6thrust23THRUST_200600_302600_NS6detail15normal_iteratorINS9_10device_ptrIiEEEENSB_INSC_ItEEEESG_tNS9_4plusIvEENS9_8equal_toIvEEtEE10hipError_tPvRmT2_T3_T4_T5_mT6_T7_P12ihipStream_tbENKUlT_T0_E_clISt17integral_constantIbLb0EES10_IbLb1EEEEDaSW_SX_EUlSW_E_NS1_11comp_targetILNS1_3genE0ELNS1_11target_archE4294967295ELNS1_3gpuE0ELNS1_3repE0EEENS1_30default_config_static_selectorELNS0_4arch9wavefront6targetE0EEEvT1_,comdat
	.protected	_ZN7rocprim17ROCPRIM_400000_NS6detail17trampoline_kernelINS0_14default_configENS1_27scan_by_key_config_selectorIitEEZZNS1_16scan_by_key_implILNS1_25lookback_scan_determinismE0ELb0ES3_N6thrust23THRUST_200600_302600_NS6detail15normal_iteratorINS9_10device_ptrIiEEEENSB_INSC_ItEEEESG_tNS9_4plusIvEENS9_8equal_toIvEEtEE10hipError_tPvRmT2_T3_T4_T5_mT6_T7_P12ihipStream_tbENKUlT_T0_E_clISt17integral_constantIbLb0EES10_IbLb1EEEEDaSW_SX_EUlSW_E_NS1_11comp_targetILNS1_3genE0ELNS1_11target_archE4294967295ELNS1_3gpuE0ELNS1_3repE0EEENS1_30default_config_static_selectorELNS0_4arch9wavefront6targetE0EEEvT1_ ; -- Begin function _ZN7rocprim17ROCPRIM_400000_NS6detail17trampoline_kernelINS0_14default_configENS1_27scan_by_key_config_selectorIitEEZZNS1_16scan_by_key_implILNS1_25lookback_scan_determinismE0ELb0ES3_N6thrust23THRUST_200600_302600_NS6detail15normal_iteratorINS9_10device_ptrIiEEEENSB_INSC_ItEEEESG_tNS9_4plusIvEENS9_8equal_toIvEEtEE10hipError_tPvRmT2_T3_T4_T5_mT6_T7_P12ihipStream_tbENKUlT_T0_E_clISt17integral_constantIbLb0EES10_IbLb1EEEEDaSW_SX_EUlSW_E_NS1_11comp_targetILNS1_3genE0ELNS1_11target_archE4294967295ELNS1_3gpuE0ELNS1_3repE0EEENS1_30default_config_static_selectorELNS0_4arch9wavefront6targetE0EEEvT1_
	.globl	_ZN7rocprim17ROCPRIM_400000_NS6detail17trampoline_kernelINS0_14default_configENS1_27scan_by_key_config_selectorIitEEZZNS1_16scan_by_key_implILNS1_25lookback_scan_determinismE0ELb0ES3_N6thrust23THRUST_200600_302600_NS6detail15normal_iteratorINS9_10device_ptrIiEEEENSB_INSC_ItEEEESG_tNS9_4plusIvEENS9_8equal_toIvEEtEE10hipError_tPvRmT2_T3_T4_T5_mT6_T7_P12ihipStream_tbENKUlT_T0_E_clISt17integral_constantIbLb0EES10_IbLb1EEEEDaSW_SX_EUlSW_E_NS1_11comp_targetILNS1_3genE0ELNS1_11target_archE4294967295ELNS1_3gpuE0ELNS1_3repE0EEENS1_30default_config_static_selectorELNS0_4arch9wavefront6targetE0EEEvT1_
	.p2align	8
	.type	_ZN7rocprim17ROCPRIM_400000_NS6detail17trampoline_kernelINS0_14default_configENS1_27scan_by_key_config_selectorIitEEZZNS1_16scan_by_key_implILNS1_25lookback_scan_determinismE0ELb0ES3_N6thrust23THRUST_200600_302600_NS6detail15normal_iteratorINS9_10device_ptrIiEEEENSB_INSC_ItEEEESG_tNS9_4plusIvEENS9_8equal_toIvEEtEE10hipError_tPvRmT2_T3_T4_T5_mT6_T7_P12ihipStream_tbENKUlT_T0_E_clISt17integral_constantIbLb0EES10_IbLb1EEEEDaSW_SX_EUlSW_E_NS1_11comp_targetILNS1_3genE0ELNS1_11target_archE4294967295ELNS1_3gpuE0ELNS1_3repE0EEENS1_30default_config_static_selectorELNS0_4arch9wavefront6targetE0EEEvT1_,@function
_ZN7rocprim17ROCPRIM_400000_NS6detail17trampoline_kernelINS0_14default_configENS1_27scan_by_key_config_selectorIitEEZZNS1_16scan_by_key_implILNS1_25lookback_scan_determinismE0ELb0ES3_N6thrust23THRUST_200600_302600_NS6detail15normal_iteratorINS9_10device_ptrIiEEEENSB_INSC_ItEEEESG_tNS9_4plusIvEENS9_8equal_toIvEEtEE10hipError_tPvRmT2_T3_T4_T5_mT6_T7_P12ihipStream_tbENKUlT_T0_E_clISt17integral_constantIbLb0EES10_IbLb1EEEEDaSW_SX_EUlSW_E_NS1_11comp_targetILNS1_3genE0ELNS1_11target_archE4294967295ELNS1_3gpuE0ELNS1_3repE0EEENS1_30default_config_static_selectorELNS0_4arch9wavefront6targetE0EEEvT1_: ; @_ZN7rocprim17ROCPRIM_400000_NS6detail17trampoline_kernelINS0_14default_configENS1_27scan_by_key_config_selectorIitEEZZNS1_16scan_by_key_implILNS1_25lookback_scan_determinismE0ELb0ES3_N6thrust23THRUST_200600_302600_NS6detail15normal_iteratorINS9_10device_ptrIiEEEENSB_INSC_ItEEEESG_tNS9_4plusIvEENS9_8equal_toIvEEtEE10hipError_tPvRmT2_T3_T4_T5_mT6_T7_P12ihipStream_tbENKUlT_T0_E_clISt17integral_constantIbLb0EES10_IbLb1EEEEDaSW_SX_EUlSW_E_NS1_11comp_targetILNS1_3genE0ELNS1_11target_archE4294967295ELNS1_3gpuE0ELNS1_3repE0EEENS1_30default_config_static_selectorELNS0_4arch9wavefront6targetE0EEEvT1_
; %bb.0:
	s_clause 0x1
	s_load_b128 s[28:31], s[0:1], 0x28
	s_load_b64 s[36:37], s[0:1], 0x38
	v_cmp_ne_u32_e64 s3, 0, v0
	v_cmp_eq_u32_e64 s2, 0, v0
	s_and_saveexec_b32 s4, s2
	s_cbranch_execz .LBB1300_4
; %bb.1:
	s_mov_b32 s6, exec_lo
	s_mov_b32 s5, exec_lo
	v_mbcnt_lo_u32_b32 v1, s6, 0
                                        ; implicit-def: $vgpr2
	s_delay_alu instid0(VALU_DEP_1)
	v_cmpx_eq_u32_e32 0, v1
	s_cbranch_execz .LBB1300_3
; %bb.2:
	s_load_b64 s[8:9], s[0:1], 0x68
	s_bcnt1_i32_b32 s6, s6
	s_delay_alu instid0(SALU_CYCLE_1)
	v_dual_mov_b32 v2, 0 :: v_dual_mov_b32 v3, s6
	s_wait_xcnt 0x0
	s_wait_kmcnt 0x0
	global_atomic_add_u32 v2, v2, v3, s[8:9] th:TH_ATOMIC_RETURN scope:SCOPE_DEV
.LBB1300_3:
	s_wait_xcnt 0x0
	s_or_b32 exec_lo, exec_lo, s5
	s_wait_loadcnt 0x0
	v_readfirstlane_b32 s5, v2
	s_delay_alu instid0(VALU_DEP_1)
	v_dual_mov_b32 v2, 0 :: v_dual_add_nc_u32 v1, s5, v1
	ds_store_b32 v2, v1
.LBB1300_4:
	s_or_b32 exec_lo, exec_lo, s4
	v_mov_b32_e32 v2, 0
	s_clause 0x2
	s_load_b256 s[12:19], s[0:1], 0x0
	s_load_b32 s4, s[0:1], 0x40
	s_load_b256 s[20:27], s[0:1], 0x48
	s_wait_dscnt 0x0
	s_barrier_signal -1
	s_barrier_wait -1
	ds_load_b32 v1, v2
	s_mov_b32 s5, 0
	s_wait_dscnt 0x0
	s_mov_b32 s11, s5
	s_barrier_signal -1
	s_barrier_wait -1
	s_barrier_signal -1
	s_barrier_wait -1
	s_wait_kmcnt 0x0
	s_lshl_b64 s[0:1], s[14:15], 2
	s_mul_u64 s[8:9], s[36:37], s[4:5]
	s_lshl_b64 s[34:35], s[14:15], 1
	s_cmp_lg_u64 s[24:25], 0
	s_add_nc_u64 s[0:1], s[12:13], s[0:1]
	s_add_nc_u64 s[6:7], s[16:17], s[34:35]
	s_cselect_b32 s42, -1, 0
	v_readfirstlane_b32 s4, v1
	s_add_nc_u64 s[38:39], s[8:9], s[4:5]
	s_add_nc_u64 s[8:9], s[20:21], -1
	s_mul_i32 s10, s4, 0xe00
	v_cmp_ge_u64_e64 s31, s[38:39], s[8:9]
	s_lshl_b64 s[12:13], s[10:11], 2
	s_lshl_b64 s[16:17], s[10:11], 1
	s_add_nc_u64 s[24:25], s[0:1], s[12:13]
	s_add_nc_u64 s[20:21], s[6:7], s[16:17]
	s_mul_i32 s33, s8, 0xfffff200
	s_and_b32 vcc_lo, exec_lo, s31
	s_cbranch_vccz .LBB1300_36
; %bb.5:
	flat_load_b32 v2, v2, s[24:25]
	s_add_co_i32 s43, s33, s30
	s_delay_alu instid0(SALU_CYCLE_1)
	v_cmp_gt_u32_e64 s0, s43, v0
	s_wait_loadcnt_dscnt 0x0
	v_mov_b32_e32 v3, v2
	s_and_saveexec_b32 s1, s0
	s_cbranch_execz .LBB1300_7
; %bb.6:
	flat_load_b32 v3, v0, s[24:25] scale_offset
.LBB1300_7:
	s_wait_xcnt 0x0
	s_or_b32 exec_lo, exec_lo, s1
	v_or_b32_e32 v4, 0x100, v0
	s_delay_alu instid0(VALU_DEP_1)
	v_cmp_gt_u32_e64 s1, s43, v4
	v_mov_b32_e32 v4, v2
	s_and_saveexec_b32 s4, s1
	s_cbranch_execz .LBB1300_9
; %bb.8:
	flat_load_b32 v4, v0, s[24:25] offset:1024 scale_offset
.LBB1300_9:
	s_wait_xcnt 0x0
	s_or_b32 exec_lo, exec_lo, s4
	v_or_b32_e32 v5, 0x200, v0
	s_delay_alu instid0(VALU_DEP_1)
	v_cmp_gt_u32_e64 s4, s43, v5
	v_mov_b32_e32 v5, v2
	s_and_saveexec_b32 s5, s4
	s_cbranch_execz .LBB1300_11
; %bb.10:
	flat_load_b32 v5, v0, s[24:25] offset:2048 scale_offset
.LBB1300_11:
	;; [unrolled: 11-line block ×12, first 2 shown]
	s_wait_xcnt 0x0
	s_or_b32 exec_lo, exec_lo, s15
	v_or_b32_e32 v16, 0xd00, v0
	s_mov_b32 s40, exec_lo
	s_delay_alu instid0(VALU_DEP_1) | instskip(SKIP_2) | instid1(SALU_CYCLE_1)
	v_cmp_gt_u32_e64 s15, s43, v16
	v_cmpx_le_u32_e64 s43, v16
	s_xor_b32 s40, exec_lo, s40
	s_and_not1_saveexec_b32 s40, s40
	s_cbranch_execz .LBB1300_33
; %bb.32:
	flat_load_b32 v2, v0, s[24:25] offset:13312 scale_offset
.LBB1300_33:
	s_wait_xcnt 0x0
	s_or_b32 exec_lo, exec_lo, s40
	v_lshlrev_b32_e32 v16, 2, v0
	s_cmp_eq_u64 s[38:39], 0
	s_mov_b64 s[40:41], s[24:25]
	s_wait_loadcnt_dscnt 0x0
	ds_store_2addr_stride64_b32 v16, v3, v4 offset1:4
	ds_store_2addr_stride64_b32 v16, v5, v6 offset0:8 offset1:12
	ds_store_2addr_stride64_b32 v16, v7, v8 offset0:16 offset1:20
	;; [unrolled: 1-line block ×6, first 2 shown]
	v_mad_u32_u24 v2, v0, 52, v16
	s_wait_dscnt 0x0
	s_barrier_signal -1
	s_barrier_wait -1
	ds_load_2addr_b64 v[22:25], v2 offset1:1
	ds_load_2addr_b64 v[18:21], v2 offset0:2 offset1:3
	ds_load_2addr_b64 v[14:17], v2 offset0:4 offset1:5
	ds_load_b64 v[30:31], v2 offset:48
	s_cbranch_scc1 .LBB1300_39
; %bb.34:
	s_and_not1_b32 vcc_lo, exec_lo, s42
	s_cbranch_vccnz .LBB1300_37
; %bb.35:
	s_lshl_b64 s[40:41], s[38:39], 2
	s_mov_b32 s44, 0
	s_add_nc_u64 s[40:41], s[26:27], s[40:41]
	s_delay_alu instid0(SALU_CYCLE_1)
	s_add_nc_u64 s[40:41], s[40:41], -4
	s_branch .LBB1300_38
.LBB1300_36:
                                        ; implicit-def: $sgpr6
                                        ; implicit-def: $vgpr2_vgpr3_vgpr4_vgpr5
                                        ; implicit-def: $vgpr6_vgpr7_vgpr8_vgpr9
                                        ; implicit-def: $vgpr34
                                        ; implicit-def: $vgpr28
                                        ; implicit-def: $vgpr10_vgpr11_vgpr12_vgpr13
                                        ; implicit-def: $vgpr26
	s_cbranch_execnz .LBB1300_83
	s_branch .LBB1300_104
.LBB1300_37:
	s_add_nc_u64 s[40:41], s[24:25], -4
	s_mov_b32 s44, -1
.LBB1300_38:
	s_delay_alu instid0(SALU_CYCLE_1)
	s_and_not1_b32 vcc_lo, exec_lo, s44
.LBB1300_39:
	v_mov_b32_e32 v3, 0
	v_mad_i32_i24 v2, 0xffffffcc, v0, v2
	flat_load_b32 v27, v3, s[40:41]
	s_wait_dscnt 0x1
	ds_store_b32 v2, v31 offset:14336
	s_wait_loadcnt_dscnt 0x0
	s_barrier_signal -1
	s_barrier_wait -1
	s_and_saveexec_b32 s40, s3
; %bb.40:
	ds_load_b32 v27, v2 offset:14332
; %bb.41:
	s_or_b32 exec_lo, exec_lo, s40
	s_wait_dscnt 0x0
	s_barrier_signal -1
	s_barrier_wait -1
                                        ; implicit-def: $vgpr3
	s_and_saveexec_b32 s40, s0
	s_cbranch_execnz .LBB1300_86
; %bb.42:
	s_or_b32 exec_lo, exec_lo, s40
                                        ; implicit-def: $vgpr4
	s_and_saveexec_b32 s0, s1
	s_cbranch_execnz .LBB1300_87
.LBB1300_43:
	s_or_b32 exec_lo, exec_lo, s0
                                        ; implicit-def: $vgpr5
	s_and_saveexec_b32 s0, s4
	s_cbranch_execnz .LBB1300_88
.LBB1300_44:
	s_or_b32 exec_lo, exec_lo, s0
                                        ; implicit-def: $vgpr6
	s_and_saveexec_b32 s0, s5
	s_cbranch_execnz .LBB1300_89
.LBB1300_45:
	s_or_b32 exec_lo, exec_lo, s0
                                        ; implicit-def: $vgpr7
	s_and_saveexec_b32 s0, s6
	s_cbranch_execnz .LBB1300_90
.LBB1300_46:
	s_or_b32 exec_lo, exec_lo, s0
                                        ; implicit-def: $vgpr8
	s_and_saveexec_b32 s0, s7
	s_cbranch_execnz .LBB1300_91
.LBB1300_47:
	s_or_b32 exec_lo, exec_lo, s0
                                        ; implicit-def: $vgpr9
	s_and_saveexec_b32 s0, s8
	s_cbranch_execnz .LBB1300_92
.LBB1300_48:
	s_or_b32 exec_lo, exec_lo, s0
                                        ; implicit-def: $vgpr10
	s_and_saveexec_b32 s0, s9
	s_cbranch_execnz .LBB1300_93
.LBB1300_49:
	s_or_b32 exec_lo, exec_lo, s0
                                        ; implicit-def: $vgpr11
	s_and_saveexec_b32 s0, s10
	s_cbranch_execnz .LBB1300_94
.LBB1300_50:
	s_or_b32 exec_lo, exec_lo, s0
                                        ; implicit-def: $vgpr12
	s_and_saveexec_b32 s0, s11
	s_cbranch_execnz .LBB1300_95
.LBB1300_51:
	s_or_b32 exec_lo, exec_lo, s0
                                        ; implicit-def: $vgpr13
	s_and_saveexec_b32 s0, s12
	s_cbranch_execnz .LBB1300_96
.LBB1300_52:
	s_or_b32 exec_lo, exec_lo, s0
                                        ; implicit-def: $vgpr26
	s_and_saveexec_b32 s0, s13
	s_cbranch_execnz .LBB1300_97
.LBB1300_53:
	s_or_b32 exec_lo, exec_lo, s0
                                        ; implicit-def: $vgpr28
	s_and_saveexec_b32 s0, s14
	s_cbranch_execnz .LBB1300_98
.LBB1300_54:
	s_or_b32 exec_lo, exec_lo, s0
                                        ; implicit-def: $vgpr32
	s_and_saveexec_b32 s0, s15
	s_cbranch_execz .LBB1300_56
.LBB1300_55:
	flat_load_u16 v32, v0, s[20:21] offset:6656 scale_offset
.LBB1300_56:
	s_wait_xcnt 0x0
	s_or_b32 exec_lo, exec_lo, s0
	v_lshlrev_b32_e32 v29, 1, v0
	v_mul_u32_u24_e32 v35, 14, v0
	s_mov_b32 s0, 0
	s_mov_b32 s5, 0
	s_mov_b32 s1, exec_lo
	v_dual_mov_b32 v2, 0 :: v_dual_sub_nc_u32 v29, v2, v29
                                        ; implicit-def: $sgpr6
                                        ; implicit-def: $vgpr34
	s_wait_loadcnt_dscnt 0x0
	ds_store_b16 v29, v3
	ds_store_b16 v29, v4 offset:512
	ds_store_b16 v29, v5 offset:1024
	ds_store_b16 v29, v6 offset:1536
	ds_store_b16 v29, v7 offset:2048
	ds_store_b16 v29, v8 offset:2560
	ds_store_b16 v29, v9 offset:3072
	ds_store_b16 v29, v10 offset:3584
	v_dual_mov_b32 v4, v2 :: v_dual_mov_b32 v5, v2
	v_mov_b32_e32 v3, v2
	ds_store_b16 v29, v11 offset:4096
	ds_store_b16 v29, v12 offset:4608
	;; [unrolled: 1-line block ×6, first 2 shown]
	v_dual_mov_b32 v28, v2 :: v_dual_mov_b32 v26, v2
	v_mov_b64_e32 v[8:9], v[4:5]
	v_mov_b64_e32 v[12:13], v[4:5]
	;; [unrolled: 1-line block ×4, first 2 shown]
	s_wait_dscnt 0x0
	s_barrier_signal -1
	s_barrier_wait -1
	v_cmpx_gt_u32_e64 s43, v35
	s_cbranch_execz .LBB1300_82
; %bb.57:
	v_mad_u32_u24 v2, v0, 26, v29
	v_dual_mov_b32 v4, 0 :: v_dual_bitop2_b32 v6, 1, v35 bitop3:0x54
	v_cmp_eq_u32_e32 vcc_lo, v27, v22
                                        ; implicit-def: $sgpr6
                                        ; implicit-def: $vgpr34
	ds_load_u16 v32, v2
	v_dual_mov_b32 v5, v4 :: v_dual_mov_b32 v2, v4
	v_mov_b32_e32 v3, v4
	v_cndmask_b32_e64 v33, 0x10000, 0, vcc_lo
	v_cmp_gt_u32_e32 vcc_lo, s43, v6
	s_delay_alu instid0(VALU_DEP_4)
	v_mov_b64_e32 v[8:9], v[4:5]
	v_mov_b64_e32 v[12:13], v[4:5]
	;; [unrolled: 1-line block ×4, first 2 shown]
	s_and_saveexec_b32 s4, vcc_lo
	s_cbranch_execz .LBB1300_81
; %bb.58:
	v_mul_u32_u24_e32 v2, 26, v0
	v_cmp_eq_u32_e32 vcc_lo, v22, v23
	v_dual_mov_b32 v8, v4 :: v_dual_mov_b32 v9, v4
	v_dual_mov_b32 v6, v4 :: v_dual_mov_b32 v7, v4
	s_delay_alu instid0(VALU_DEP_4)
	v_dual_add_nc_u32 v36, v29, v2 :: v_dual_add_nc_u32 v10, 2, v35
	v_cndmask_b32_e64 v2, 0x10000, 0, vcc_lo
	v_dual_mov_b32 v3, v4 :: v_dual_mov_b32 v5, v4
	ds_load_b128 v[26:29], v36 offset:2
	v_cmp_gt_u32_e32 vcc_lo, s43, v10
	v_mov_b64_e32 v[12:13], v[8:9]
	v_mov_b64_e32 v[10:11], v[6:7]
	s_mov_b32 s7, 0
                                        ; implicit-def: $sgpr6
                                        ; implicit-def: $vgpr34
	s_wait_dscnt 0x0
	v_and_or_b32 v2, 0xffff, v26, v2
	s_and_saveexec_b32 s5, vcc_lo
	s_cbranch_execz .LBB1300_80
; %bb.59:
	v_dual_mov_b32 v6, 0 :: v_dual_lshrrev_b32 v3, 16, v26
	v_cmp_eq_u32_e32 vcc_lo, v23, v24
	v_add_nc_u32_e32 v10, 3, v35
	s_mov_b32 s8, 0
	s_delay_alu instid0(VALU_DEP_3) | instskip(SKIP_3) | instid1(VALU_DEP_4)
	v_dual_mov_b32 v8, v6 :: v_dual_mov_b32 v9, v6
	v_mov_b32_e32 v7, v6
	v_cndmask_b32_e64 v5, 0x10000, 0, vcc_lo
	v_cmp_gt_u32_e32 vcc_lo, s43, v10
                                        ; implicit-def: $sgpr6
                                        ; implicit-def: $vgpr34
	v_mov_b64_e32 v[12:13], v[8:9]
	s_delay_alu instid0(VALU_DEP_4) | instskip(NEXT) | instid1(VALU_DEP_4)
	v_mov_b64_e32 v[10:11], v[6:7]
	v_dual_mov_b32 v5, v4 :: v_dual_bitop2_b32 v3, v5, v3 bitop3:0x54
	s_and_saveexec_b32 s7, vcc_lo
	s_cbranch_execz .LBB1300_79
; %bb.60:
	v_cmp_eq_u32_e32 vcc_lo, v24, v25
	v_dual_mov_b32 v8, v6 :: v_dual_mov_b32 v9, v6
	v_dual_add_nc_u32 v5, 4, v35 :: v_dual_mov_b32 v7, v6
	v_cndmask_b32_e64 v4, 0x10000, 0, vcc_lo
	s_mov_b32 s9, 0
	s_delay_alu instid0(VALU_DEP_3) | instskip(NEXT) | instid1(VALU_DEP_3)
	v_mov_b64_e32 v[12:13], v[8:9]
	v_cmp_gt_u32_e32 vcc_lo, s43, v5
	v_mov_b64_e32 v[10:11], v[6:7]
	v_and_or_b32 v4, 0xffff, v27, v4
	v_mov_b32_e32 v5, s9
                                        ; implicit-def: $sgpr6
                                        ; implicit-def: $vgpr34
	s_and_saveexec_b32 s8, vcc_lo
	s_cbranch_execz .LBB1300_78
; %bb.61:
	v_dual_mov_b32 v8, 0 :: v_dual_lshrrev_b32 v5, 16, v27
	v_cmp_eq_u32_e32 vcc_lo, v25, v18
	v_add_nc_u32_e32 v11, 5, v35
	s_mov_b32 s10, 0
	s_delay_alu instid0(VALU_DEP_3) | instskip(SKIP_3) | instid1(VALU_DEP_3)
	v_dual_mov_b32 v7, v8 :: v_dual_mov_b32 v9, v8
	v_cndmask_b32_e64 v10, 0x10000, 0, vcc_lo
	v_mov_b32_e32 v6, v8
	v_cmp_gt_u32_e32 vcc_lo, s43, v11
                                        ; implicit-def: $sgpr6
                                        ; implicit-def: $vgpr34
	v_or_b32_e32 v5, v10, v5
	v_mov_b64_e32 v[12:13], v[8:9]
	s_delay_alu instid0(VALU_DEP_4)
	v_mov_b64_e32 v[10:11], v[6:7]
	s_and_saveexec_b32 s9, vcc_lo
	s_cbranch_execz .LBB1300_77
; %bb.62:
	v_cmp_eq_u32_e32 vcc_lo, v18, v19
	v_dual_add_nc_u32 v9, 6, v35 :: v_dual_mov_b32 v7, v8
	v_dual_mov_b32 v11, v8 :: v_dual_mov_b32 v12, v8
	v_cndmask_b32_e64 v6, 0x10000, 0, vcc_lo
	s_delay_alu instid0(VALU_DEP_3) | instskip(SKIP_2) | instid1(VALU_DEP_4)
	v_cmp_gt_u32_e32 vcc_lo, s43, v9
	v_dual_mov_b32 v9, v8 :: v_dual_mov_b32 v10, v8
	v_mov_b32_e32 v13, v8
	v_and_or_b32 v6, 0xffff, v28, v6
	s_mov_b32 s11, 0
                                        ; implicit-def: $sgpr6
                                        ; implicit-def: $vgpr34
	s_and_saveexec_b32 s10, vcc_lo
	s_cbranch_execz .LBB1300_76
; %bb.63:
	v_cmp_eq_u32_e32 vcc_lo, v19, v20
	v_dual_lshrrev_b32 v7, 16, v28 :: v_dual_add_nc_u32 v11, 7, v35
	s_mov_b32 s12, 0
                                        ; implicit-def: $sgpr6
                                        ; implicit-def: $vgpr34
	v_cndmask_b32_e64 v9, 0x10000, 0, vcc_lo
	v_mov_b32_e32 v10, 0
	s_delay_alu instid0(VALU_DEP_3) | instskip(NEXT) | instid1(VALU_DEP_3)
	v_cmp_gt_u32_e32 vcc_lo, s43, v11
	v_dual_mov_b32 v9, v8 :: v_dual_bitop2_b32 v7, v9, v7 bitop3:0x54
	s_delay_alu instid0(VALU_DEP_3)
	v_dual_mov_b32 v11, v10 :: v_dual_mov_b32 v12, v10
	v_mov_b32_e32 v13, v10
	s_and_saveexec_b32 s11, vcc_lo
	s_cbranch_execz .LBB1300_75
; %bb.64:
	v_cmp_eq_u32_e32 vcc_lo, v20, v21
	v_dual_add_nc_u32 v9, 8, v35 :: v_dual_mov_b32 v11, v10
	s_mov_b32 s13, 0
	v_mov_b32_e32 v13, v10
	v_cndmask_b32_e64 v8, 0x10000, 0, vcc_lo
	s_delay_alu instid0(VALU_DEP_3) | instskip(SKIP_1) | instid1(VALU_DEP_3)
	v_cmp_gt_u32_e32 vcc_lo, s43, v9
	v_dual_mov_b32 v9, s13 :: v_dual_mov_b32 v12, v10
                                        ; implicit-def: $sgpr6
                                        ; implicit-def: $vgpr34
	v_and_or_b32 v8, 0xffff, v29, v8
	s_and_saveexec_b32 s12, vcc_lo
	s_cbranch_execz .LBB1300_74
; %bb.65:
	v_cmp_eq_u32_e32 vcc_lo, v21, v14
	v_dual_lshrrev_b32 v9, 16, v29 :: v_dual_add_nc_u32 v11, 9, v35
	s_mov_b32 s14, 0
                                        ; implicit-def: $sgpr6
                                        ; implicit-def: $vgpr34
	v_cndmask_b32_e64 v10, 0x10000, 0, vcc_lo
	v_mov_b32_e32 v12, 0
	s_delay_alu instid0(VALU_DEP_3) | instskip(NEXT) | instid1(VALU_DEP_2)
	v_cmp_gt_u32_e32 vcc_lo, s43, v11
	v_dual_mov_b32 v10, v12 :: v_dual_bitop2_b32 v9, v10, v9 bitop3:0x54
	v_dual_mov_b32 v11, v12 :: v_dual_mov_b32 v13, v12
	s_and_saveexec_b32 s13, vcc_lo
	s_cbranch_execz .LBB1300_73
; %bb.66:
	ds_load_b64 v[18:19], v36 offset:18
	v_cmp_eq_u32_e32 vcc_lo, v14, v15
	v_dual_mov_b32 v11, v12 :: v_dual_add_nc_u32 v10, 10, v35
	s_mov_b32 s15, 0
                                        ; implicit-def: $sgpr6
                                        ; implicit-def: $vgpr34
	v_cndmask_b32_e64 v13, 0x10000, 0, vcc_lo
	s_delay_alu instid0(VALU_DEP_2) | instskip(SKIP_1) | instid1(VALU_DEP_2)
	v_cmp_gt_u32_e32 vcc_lo, s43, v10
	s_wait_dscnt 0x0
	v_and_or_b32 v10, 0xffff, v18, v13
	v_mov_b32_e32 v13, v12
	s_and_saveexec_b32 s14, vcc_lo
	s_cbranch_execz .LBB1300_72
; %bb.67:
	v_cmp_eq_u32_e32 vcc_lo, v15, v16
	v_dual_lshrrev_b32 v11, 16, v18 :: v_dual_add_nc_u32 v14, 11, v35
	s_mov_b32 s40, 0
	s_mov_b32 s15, exec_lo
	v_cndmask_b32_e64 v13, 0x10000, 0, vcc_lo
                                        ; implicit-def: $sgpr6
                                        ; implicit-def: $vgpr34
	s_delay_alu instid0(VALU_DEP_1)
	v_dual_mov_b32 v13, v12 :: v_dual_bitop2_b32 v11, v13, v11 bitop3:0x54
	v_cmpx_gt_u32_e64 s43, v14
	s_cbranch_execz .LBB1300_71
; %bb.68:
	v_cmp_eq_u32_e32 vcc_lo, v16, v17
	v_add_nc_u32_e32 v13, 12, v35
                                        ; implicit-def: $sgpr6
                                        ; implicit-def: $vgpr34
	v_cndmask_b32_e64 v12, 0x10000, 0, vcc_lo
	s_delay_alu instid0(VALU_DEP_2) | instskip(SKIP_1) | instid1(VALU_DEP_3)
	v_cmp_gt_u32_e32 vcc_lo, s43, v13
	v_mov_b32_e32 v13, s40
	v_and_or_b32 v12, 0xffff, v19, v12
	s_and_saveexec_b32 s41, vcc_lo
	s_delay_alu instid0(SALU_CYCLE_1)
	s_xor_b32 s41, exec_lo, s41
	s_cbranch_execz .LBB1300_70
; %bb.69:
	ds_load_u16 v34, v36 offset:26
	v_cmp_eq_u32_e32 vcc_lo, v17, v30
	v_lshrrev_b32_e32 v13, 16, v19
	v_cmp_ne_u32_e64 s6, v30, v31
	v_cndmask_b32_e64 v15, 0x10000, 0, vcc_lo
	s_delay_alu instid0(VALU_DEP_1) | instskip(NEXT) | instid1(VALU_DEP_1)
	v_dual_add_nc_u32 v14, 13, v35 :: v_dual_bitop2_b32 v13, v15, v13 bitop3:0x54
	v_cmp_gt_u32_e32 vcc_lo, s43, v14
	s_and_b32 s40, vcc_lo, exec_lo
.LBB1300_70:
	s_or_b32 exec_lo, exec_lo, s41
	s_delay_alu instid0(SALU_CYCLE_1)
	s_and_b32 s40, s40, exec_lo
.LBB1300_71:
	s_or_b32 exec_lo, exec_lo, s15
	s_delay_alu instid0(SALU_CYCLE_1)
	s_and_b32 s15, s40, exec_lo
.LBB1300_72:
	s_or_b32 exec_lo, exec_lo, s14
	s_delay_alu instid0(SALU_CYCLE_1)
	s_and_b32 s14, s15, exec_lo
.LBB1300_73:
	s_or_b32 exec_lo, exec_lo, s13
	s_delay_alu instid0(SALU_CYCLE_1)
	s_and_b32 s13, s14, exec_lo
.LBB1300_74:
	s_or_b32 exec_lo, exec_lo, s12
	s_delay_alu instid0(SALU_CYCLE_1)
	s_and_b32 s12, s13, exec_lo
.LBB1300_75:
	s_or_b32 exec_lo, exec_lo, s11
	s_delay_alu instid0(SALU_CYCLE_1)
	s_and_b32 s11, s12, exec_lo
.LBB1300_76:
	s_or_b32 exec_lo, exec_lo, s10
	s_delay_alu instid0(SALU_CYCLE_1)
	s_and_b32 s10, s11, exec_lo
.LBB1300_77:
	s_or_b32 exec_lo, exec_lo, s9
	s_delay_alu instid0(SALU_CYCLE_1)
	s_and_b32 s9, s10, exec_lo
.LBB1300_78:
	s_or_b32 exec_lo, exec_lo, s8
	s_delay_alu instid0(SALU_CYCLE_1)
	s_and_b32 s8, s9, exec_lo
.LBB1300_79:
	s_or_b32 exec_lo, exec_lo, s7
	s_delay_alu instid0(SALU_CYCLE_1)
	s_and_b32 s7, s8, exec_lo
.LBB1300_80:
	s_or_b32 exec_lo, exec_lo, s5
	s_delay_alu instid0(SALU_CYCLE_1)
	s_and_b32 s5, s7, exec_lo
.LBB1300_81:
	s_or_b32 exec_lo, exec_lo, s4
	s_wait_dscnt 0x0
	v_or_b32_e32 v28, v33, v32
	s_and_b32 s5, s5, exec_lo
	s_delay_alu instid0(VALU_DEP_1)
	v_mov_b32_e32 v26, v28
.LBB1300_82:
	s_or_b32 exec_lo, exec_lo, s1
	s_delay_alu instid0(SALU_CYCLE_1)
	s_and_b32 vcc_lo, exec_lo, s0
	s_cbranch_vccz .LBB1300_104
.LBB1300_83:
	s_clause 0xd
	flat_load_b32 v2, v0, s[24:25] scale_offset
	flat_load_b32 v3, v0, s[24:25] offset:1024 scale_offset
	flat_load_b32 v4, v0, s[24:25] offset:2048 scale_offset
	;; [unrolled: 1-line block ×13, first 2 shown]
	v_dual_lshlrev_b32 v16, 2, v0 :: v_dual_mov_b32 v20, 0
	s_cmp_eq_u64 s[38:39], 0
	s_wait_loadcnt_dscnt 0xc0c
	ds_store_2addr_stride64_b32 v16, v2, v3 offset1:4
	s_wait_loadcnt_dscnt 0xa0b
	ds_store_2addr_stride64_b32 v16, v4, v5 offset0:8 offset1:12
	s_wait_loadcnt_dscnt 0x80a
	ds_store_2addr_stride64_b32 v16, v6, v7 offset0:16 offset1:20
	;; [unrolled: 2-line block ×6, first 2 shown]
	v_mad_u32_u24 v19, v0, 52, v16
	s_wait_dscnt 0x0
	s_barrier_signal -1
	s_barrier_wait -1
	ds_load_2addr_b64 v[10:13], v19 offset1:1
	ds_load_2addr_b64 v[6:9], v19 offset0:2 offset1:3
	ds_load_2addr_b64 v[2:5], v19 offset0:4 offset1:5
	ds_load_2addr_b32 v[16:17], v19 offset0:9 offset1:10
	ds_load_2addr_b32 v[14:15], v19 offset0:11 offset1:12
	ds_load_b32 v18, v19 offset:52
	s_cbranch_scc1 .LBB1300_101
; %bb.84:
	s_and_not1_b32 vcc_lo, exec_lo, s42
	s_cbranch_vccnz .LBB1300_99
; %bb.85:
	s_lshl_b64 s[0:1], s[38:39], 2
	s_delay_alu instid0(SALU_CYCLE_1) | instskip(NEXT) | instid1(SALU_CYCLE_1)
	s_add_nc_u64 s[0:1], s[26:27], s[0:1]
	s_add_nc_u64 s[24:25], s[0:1], -4
	s_mov_b32 s0, 0
	s_branch .LBB1300_100
.LBB1300_86:
	flat_load_u16 v3, v0, s[20:21] scale_offset
	s_wait_xcnt 0x0
	s_or_b32 exec_lo, exec_lo, s40
                                        ; implicit-def: $vgpr4
	s_and_saveexec_b32 s0, s1
	s_cbranch_execz .LBB1300_43
.LBB1300_87:
	flat_load_u16 v4, v0, s[20:21] offset:512 scale_offset
	s_wait_xcnt 0x0
	s_or_b32 exec_lo, exec_lo, s0
                                        ; implicit-def: $vgpr5
	s_and_saveexec_b32 s0, s4
	s_cbranch_execz .LBB1300_44
.LBB1300_88:
	flat_load_u16 v5, v0, s[20:21] offset:1024 scale_offset
	s_wait_xcnt 0x0
	s_or_b32 exec_lo, exec_lo, s0
                                        ; implicit-def: $vgpr6
	s_and_saveexec_b32 s0, s5
	s_cbranch_execz .LBB1300_45
.LBB1300_89:
	flat_load_u16 v6, v0, s[20:21] offset:1536 scale_offset
	s_wait_xcnt 0x0
	s_or_b32 exec_lo, exec_lo, s0
                                        ; implicit-def: $vgpr7
	s_and_saveexec_b32 s0, s6
	s_cbranch_execz .LBB1300_46
.LBB1300_90:
	flat_load_u16 v7, v0, s[20:21] offset:2048 scale_offset
	s_wait_xcnt 0x0
	s_or_b32 exec_lo, exec_lo, s0
                                        ; implicit-def: $vgpr8
	s_and_saveexec_b32 s0, s7
	s_cbranch_execz .LBB1300_47
.LBB1300_91:
	flat_load_u16 v8, v0, s[20:21] offset:2560 scale_offset
	s_wait_xcnt 0x0
	s_or_b32 exec_lo, exec_lo, s0
                                        ; implicit-def: $vgpr9
	s_and_saveexec_b32 s0, s8
	s_cbranch_execz .LBB1300_48
.LBB1300_92:
	flat_load_u16 v9, v0, s[20:21] offset:3072 scale_offset
	s_wait_xcnt 0x0
	s_or_b32 exec_lo, exec_lo, s0
                                        ; implicit-def: $vgpr10
	s_and_saveexec_b32 s0, s9
	s_cbranch_execz .LBB1300_49
.LBB1300_93:
	flat_load_u16 v10, v0, s[20:21] offset:3584 scale_offset
	s_wait_xcnt 0x0
	s_or_b32 exec_lo, exec_lo, s0
                                        ; implicit-def: $vgpr11
	s_and_saveexec_b32 s0, s10
	s_cbranch_execz .LBB1300_50
.LBB1300_94:
	flat_load_u16 v11, v0, s[20:21] offset:4096 scale_offset
	s_wait_xcnt 0x0
	s_or_b32 exec_lo, exec_lo, s0
                                        ; implicit-def: $vgpr12
	s_and_saveexec_b32 s0, s11
	s_cbranch_execz .LBB1300_51
.LBB1300_95:
	flat_load_u16 v12, v0, s[20:21] offset:4608 scale_offset
	s_wait_xcnt 0x0
	s_or_b32 exec_lo, exec_lo, s0
                                        ; implicit-def: $vgpr13
	s_and_saveexec_b32 s0, s12
	s_cbranch_execz .LBB1300_52
.LBB1300_96:
	flat_load_u16 v13, v0, s[20:21] offset:5120 scale_offset
	s_wait_xcnt 0x0
	s_or_b32 exec_lo, exec_lo, s0
                                        ; implicit-def: $vgpr26
	s_and_saveexec_b32 s0, s13
	s_cbranch_execz .LBB1300_53
.LBB1300_97:
	flat_load_u16 v26, v0, s[20:21] offset:5632 scale_offset
	s_wait_xcnt 0x0
	s_or_b32 exec_lo, exec_lo, s0
                                        ; implicit-def: $vgpr28
	s_and_saveexec_b32 s0, s14
	s_cbranch_execz .LBB1300_54
.LBB1300_98:
	flat_load_u16 v28, v0, s[20:21] offset:6144 scale_offset
	s_wait_xcnt 0x0
	s_or_b32 exec_lo, exec_lo, s0
                                        ; implicit-def: $vgpr32
	s_and_saveexec_b32 s0, s15
	s_cbranch_execnz .LBB1300_55
	s_branch .LBB1300_56
.LBB1300_99:
	s_add_nc_u64 s[24:25], s[24:25], -4
	s_mov_b32 s0, -1
.LBB1300_100:
	s_delay_alu instid0(SALU_CYCLE_1)
	s_and_not1_b32 vcc_lo, exec_lo, s0
.LBB1300_101:
	flat_load_b32 v20, v20, s[24:25]
	v_mad_i32_i24 v19, 0xffffffcc, v0, v19
	s_wait_dscnt 0x1
	ds_store_b32 v19, v18 offset:14336
	s_wait_loadcnt_dscnt 0x0
	s_barrier_signal -1
	s_barrier_wait -1
	s_and_saveexec_b32 s0, s3
; %bb.102:
	ds_load_b32 v20, v19 offset:14332
; %bb.103:
	s_or_b32 exec_lo, exec_lo, s0
	s_wait_dscnt 0x0
	s_barrier_signal -1
	s_barrier_wait -1
	s_clause 0xd
	flat_load_u16 v21, v0, s[20:21] scale_offset
	flat_load_u16 v22, v0, s[20:21] offset:512 scale_offset
	flat_load_u16 v23, v0, s[20:21] offset:1024 scale_offset
	;; [unrolled: 1-line block ×13, first 2 shown]
	v_cmp_eq_u32_e32 vcc_lo, v20, v10
	v_cmp_ne_u32_e64 s6, v15, v18
	s_mov_b32 s5, -1
	v_cndmask_b32_e64 v20, 0x10000, 0, vcc_lo
	v_cmp_ne_u32_e32 vcc_lo, v11, v12
	v_lshlrev_b32_e32 v18, 1, v0
	v_cndmask_b32_e64 v35, 0, 0x10000, vcc_lo
	v_cmp_ne_u32_e32 vcc_lo, v13, v6
	s_delay_alu instid0(VALU_DEP_3)
	v_sub_nc_u32_e32 v18, v19, v18
	s_wait_loadcnt_dscnt 0xd0d
	ds_store_b16 v18, v21
	s_wait_loadcnt_dscnt 0xc0d
	ds_store_b16 v18, v22 offset:512
	s_wait_loadcnt_dscnt 0xb0d
	ds_store_b16 v18, v23 offset:1024
	s_wait_loadcnt_dscnt 0xa0d
	ds_store_b16 v18, v24 offset:1536
	s_wait_loadcnt_dscnt 0x90d
	ds_store_b16 v18, v25 offset:2048
	s_wait_loadcnt_dscnt 0x80d
	ds_store_b16 v18, v26 offset:2560
	s_wait_loadcnt_dscnt 0x70d
	ds_store_b16 v18, v27 offset:3072
	s_wait_loadcnt_dscnt 0x60d
	ds_store_b16 v18, v28 offset:3584
	s_wait_loadcnt_dscnt 0x50d
	ds_store_b16 v18, v29 offset:4096
	s_wait_loadcnt_dscnt 0x40d
	ds_store_b16 v18, v30 offset:4608
	s_wait_loadcnt_dscnt 0x30d
	ds_store_b16 v18, v31 offset:5120
	s_wait_loadcnt_dscnt 0x20d
	ds_store_b16 v18, v32 offset:5632
	s_wait_loadcnt_dscnt 0x10d
	ds_store_b16 v18, v33 offset:6144
	s_wait_loadcnt_dscnt 0xd
	ds_store_b16 v18, v34 offset:6656
	v_cndmask_b32_e64 v36, 0, 0x10000, vcc_lo
	v_cmp_ne_u32_e32 vcc_lo, v10, v11
	v_mad_u32_u24 v39, v0, 26, v18
	s_wait_dscnt 0x0
	s_barrier_signal -1
	s_barrier_wait -1
	v_cndmask_b32_e64 v37, 0, 0x10000, vcc_lo
	v_cmp_ne_u32_e32 vcc_lo, v12, v13
	ds_load_u16 v21, v39
	ds_load_b128 v[10:13], v39 offset:2
	ds_load_b64 v[18:19], v39 offset:18
	ds_load_u16 v34, v39 offset:26
	v_cndmask_b32_e64 v38, 0, 0x10000, vcc_lo
	v_cmp_ne_u32_e32 vcc_lo, v7, v8
	v_cndmask_b32_e64 v22, 0, 0x10000, vcc_lo
	v_cmp_ne_u32_e32 vcc_lo, v9, v2
	;; [unrolled: 2-line block ×3, first 2 shown]
	s_wait_dscnt 0x3
	v_or_b32_e32 v28, v20, v21
	v_cndmask_b32_e64 v6, 0, 0x10000, vcc_lo
	v_cmp_ne_u32_e32 vcc_lo, v8, v9
	s_wait_dscnt 0x2
	v_lshrrev_b32_e32 v9, 16, v10
	s_wait_dscnt 0x1
	v_dual_lshrrev_b32 v20, 16, v18 :: v_dual_mov_b32 v26, v28
	v_and_or_b32 v6, 0xffff, v12, v6
	v_cndmask_b32_e64 v7, 0, 0x10000, vcc_lo
	v_cmp_ne_u32_e32 vcc_lo, v3, v17
	s_delay_alu instid0(VALU_DEP_2)
	v_and_or_b32 v8, 0xffff, v13, v7
	v_cndmask_b32_e64 v17, 0, 0x10000, vcc_lo
	v_cmp_ne_u32_e32 vcc_lo, v5, v15
	v_cndmask_b32_e64 v15, 0, 0x10000, vcc_lo
	v_cmp_ne_u32_e32 vcc_lo, v2, v16
	v_lshrrev_b32_e32 v16, 16, v13
	v_and_or_b32 v2, 0xffff, v10, v37
	v_cndmask_b32_e64 v3, 0, 0x10000, vcc_lo
	v_cmp_ne_u32_e32 vcc_lo, v4, v14
	v_lshrrev_b32_e32 v14, 16, v11
	v_and_or_b32 v4, 0xffff, v11, v38
	v_dual_lshrrev_b32 v11, 16, v12 :: v_dual_lshrrev_b32 v13, 16, v19
	v_cndmask_b32_e64 v5, 0, 0x10000, vcc_lo
	v_and_or_b32 v10, 0xffff, v18, v3
	v_or_b32_e32 v3, v35, v9
	v_or_b32_e32 v9, v23, v16
	;; [unrolled: 1-line block ×3, first 2 shown]
	v_and_or_b32 v12, 0xffff, v19, v5
	v_or_b32_e32 v5, v36, v14
	v_or_b32_e32 v13, v15, v13
	;; [unrolled: 1-line block ×3, first 2 shown]
.LBB1300_104:
	v_mov_b32_e32 v22, 0
	s_and_saveexec_b32 s0, s5
	s_cbranch_execz .LBB1300_106
; %bb.105:
	s_wait_dscnt 0x0
	v_and_b32_e32 v14, 0xffff, v34
	v_cndmask_b32_e64 v15, 0, 0x10000, s6
	s_delay_alu instid0(VALU_DEP_1)
	v_dual_mov_b32 v26, v28 :: v_dual_bitop2_b32 v22, v15, v14 bitop3:0x54
.LBB1300_106:
	s_or_b32 exec_lo, exec_lo, s0
	v_cmp_ne_u32_e32 vcc_lo, 0, v1
	v_cmp_gt_u32_e64 s14, 0x10000, v2
	v_cmp_gt_u32_e64 s13, 0x10000, v3
	;; [unrolled: 1-line block ×13, first 2 shown]
	v_lshrrev_b32_e32 v28, 3, v0
	v_cmp_gt_u32_e64 s15, 32, v0
	s_wait_dscnt 0x0
	s_barrier_signal -1
	s_barrier_wait -1
	s_cbranch_vccz .LBB1300_156
; %bb.107:
	v_dual_cndmask_b32 v14, 0, v26, s14 :: v_dual_bitop2_b32 v15, v8, v9 bitop3:0x54
	v_or3_b32 v16, v12, v13, v11
	v_dual_lshrrev_b32 v23, 16, v26 :: v_dual_bitop2_b32 v17, 28, v28 bitop3:0x40
	s_delay_alu instid0(VALU_DEP_3) | instskip(NEXT) | instid1(VALU_DEP_4)
	v_add_nc_u16 v14, v14, v2
	v_or3_b32 v15, v15, v7, v6
	s_delay_alu instid0(VALU_DEP_4) | instskip(NEXT) | instid1(VALU_DEP_3)
	v_or3_b32 v16, v16, v10, v22
	v_cndmask_b32_e64 v14, 0, v14, s13
	s_delay_alu instid0(VALU_DEP_3) | instskip(NEXT) | instid1(VALU_DEP_2)
	v_or3_b32 v15, v15, v5, v4
	v_add_nc_u16 v14, v14, v3
	s_delay_alu instid0(VALU_DEP_2) | instskip(NEXT) | instid1(VALU_DEP_1)
	v_or3_b32 v15, v15, v3, v2
	v_bitop3_b32 v15, v16, 0xff0000, v15 bitop3:0xc8
	v_lshl_add_u32 v16, v0, 2, v17
	s_delay_alu instid0(VALU_DEP_2) | instskip(SKIP_1) | instid1(VALU_DEP_1)
	v_cmp_eq_u32_e32 vcc_lo, 0, v15
	v_dual_cndmask_b32 v14, 0, v14, s12 :: v_dual_cndmask_b32 v25, 1, v23, vcc_lo
	v_add_nc_u16 v14, v14, v4
	s_delay_alu instid0(VALU_DEP_1) | instskip(NEXT) | instid1(VALU_DEP_1)
	v_cndmask_b32_e64 v14, 0, v14, s11
	v_add_nc_u16 v14, v14, v5
	s_delay_alu instid0(VALU_DEP_1) | instskip(NEXT) | instid1(VALU_DEP_1)
	v_cndmask_b32_e64 v14, 0, v14, s10
	;; [unrolled: 3-line block ×10, first 2 shown]
	v_add_nc_u16 v24, v14, v22
	ds_store_b16 v16, v24
	ds_store_b8 v16, v25 offset:2
	s_wait_dscnt 0x0
	s_barrier_signal -1
	s_barrier_wait -1
	s_and_saveexec_b32 s20, s15
	s_cbranch_execz .LBB1300_119
; %bb.108:
	v_and_b32_e32 v14, 0xfc, v0
	v_lshlrev_b32_e32 v15, 5, v0
	s_mov_b32 s21, exec_lo
	s_delay_alu instid0(VALU_DEP_1)
	v_add_nc_u32_e32 v14, v14, v15
	ds_load_u8 v16, v14 offset:6
	ds_load_b32 v15, v14
	ds_load_u16 v17, v14 offset:4
	ds_load_u8 v18, v14 offset:10
	ds_load_u16 v19, v14 offset:8
	ds_load_u16 v20, v14 offset:12
	ds_load_u8 v21, v14 offset:14
	ds_load_u16 v27, v14 offset:16
	s_wait_dscnt 0x7
	v_cmp_eq_u16_e32 vcc_lo, 0, v16
	s_wait_dscnt 0x4
	v_dual_cndmask_b32 v29, 0, v15, vcc_lo :: v_dual_bitop2_b32 v16, v18, v16 bitop3:0x54
	v_cmp_eq_u16_e32 vcc_lo, 0, v18
	s_delay_alu instid0(VALU_DEP_2) | instskip(SKIP_4) | instid1(VALU_DEP_2)
	v_add_nc_u16 v17, v29, v17
	ds_load_u8 v29, v14 offset:18
	v_cndmask_b32_e32 v17, 0, v17, vcc_lo
	s_wait_dscnt 0x2
	v_cmp_eq_u16_e32 vcc_lo, 0, v21
	v_add_nc_u16 v17, v17, v19
	ds_load_u8 v19, v14 offset:22
	v_cndmask_b32_e32 v17, 0, v17, vcc_lo
	s_delay_alu instid0(VALU_DEP_1)
	v_add_nc_u16 v17, v17, v20
	s_wait_dscnt 0x1
	v_cmp_eq_u16_e32 vcc_lo, 0, v29
	ds_load_u16 v20, v14 offset:20
	ds_load_u16 v30, v14 offset:24
	ds_load_u8 v31, v14 offset:26
	ds_load_u16 v32, v14 offset:28
	ds_load_u8 v33, v14 offset:30
	v_bitop3_b16 v18, v16, v29, v21 bitop3:0xfe
	v_and_b32_e32 v16, 0x10000, v15
	v_cndmask_b32_e32 v17, 0, v17, vcc_lo
	s_delay_alu instid0(VALU_DEP_1) | instskip(SKIP_2) | instid1(VALU_DEP_2)
	v_add_nc_u16 v17, v17, v27
	s_wait_dscnt 0x5
	v_cmp_eq_u16_e32 vcc_lo, 0, v19
	v_cndmask_b32_e32 v17, 0, v17, vcc_lo
	s_wait_dscnt 0x2
	v_cmp_eq_u16_e32 vcc_lo, 0, v31
	v_bitop3_b16 v18, v18, v31, v19 bitop3:0xfe
	s_delay_alu instid0(VALU_DEP_3) | instskip(SKIP_2) | instid1(VALU_DEP_2)
	v_add_nc_u16 v17, v17, v20
	s_wait_dscnt 0x0
	v_and_b32_e32 v19, 1, v33
	v_cndmask_b32_e32 v17, 0, v17, vcc_lo
	v_cmp_eq_u16_e32 vcc_lo, 0, v33
	s_delay_alu instid0(VALU_DEP_2) | instskip(NEXT) | instid1(VALU_DEP_1)
	v_add_nc_u16 v17, v17, v30
	v_cndmask_b32_e32 v17, 0, v17, vcc_lo
	v_cmp_eq_u16_e32 vcc_lo, 0, v18
	s_delay_alu instid0(VALU_DEP_2)
	v_add_nc_u16 v18, v17, v32
	v_cndmask_b32_e32 v20, 0x10000, v16, vcc_lo
	v_cmp_eq_u32_e32 vcc_lo, 1, v19
	v_and_b32_e32 v17, 0xff000000, v15
	v_mbcnt_lo_u32_b32 v19, -1, 0
	v_and_b32_e32 v21, 0xffff, v18
	v_cndmask_b32_e64 v20, v20, 0x10000, vcc_lo
	s_delay_alu instid0(VALU_DEP_1) | instskip(NEXT) | instid1(VALU_DEP_3)
	v_or_b32_e32 v27, v20, v17
	v_or3_b32 v29, v17, v21, v20
	v_and_b32_e32 v20, 15, v19
	s_delay_alu instid0(VALU_DEP_3) | instskip(NEXT) | instid1(VALU_DEP_3)
	v_lshrrev_b32_e32 v21, 16, v27
	v_mov_b32_dpp v30, v29 row_shr:1 row_mask:0xf bank_mask:0xf
	s_delay_alu instid0(VALU_DEP_3)
	v_cmpx_ne_u32_e32 0, v20
	s_cbranch_execz .LBB1300_110
; %bb.109:
	s_delay_alu instid0(VALU_DEP_2) | instskip(SKIP_1) | instid1(VALU_DEP_2)
	v_dual_lshrrev_b32 v21, 16, v27 :: v_dual_lshrrev_b32 v29, 16, v30
	v_and_b32_e32 v27, 0x10000, v27
	v_and_b32_e32 v21, 0xff, v21
	s_delay_alu instid0(VALU_DEP_1) | instskip(NEXT) | instid1(VALU_DEP_4)
	v_cmp_eq_u16_e32 vcc_lo, 0, v21
	v_dual_cndmask_b32 v30, 0, v30, vcc_lo :: v_dual_bitop2_b32 v29, 1, v29 bitop3:0x40
	s_delay_alu instid0(VALU_DEP_4) | instskip(NEXT) | instid1(VALU_DEP_2)
	v_cmp_ne_u32_e32 vcc_lo, 0, v27
	v_add_nc_u16 v18, v30, v18
	s_delay_alu instid0(VALU_DEP_3) | instskip(NEXT) | instid1(VALU_DEP_2)
	v_cndmask_b32_e64 v21, v29, 1, vcc_lo
	v_and_b32_e32 v29, 0xffff, v18
	s_delay_alu instid0(VALU_DEP_2) | instskip(NEXT) | instid1(VALU_DEP_1)
	v_lshlrev_b32_e32 v27, 16, v21
	v_or3_b32 v29, v27, v29, v17
.LBB1300_110:
	s_or_b32 exec_lo, exec_lo, s21
	s_delay_alu instid0(VALU_DEP_1)
	v_lshrrev_b32_e32 v27, 16, v29
	v_mov_b32_dpp v30, v29 row_shr:2 row_mask:0xf bank_mask:0xf
	s_mov_b32 s21, exec_lo
	v_cmpx_lt_u32_e32 1, v20
	s_cbranch_execz .LBB1300_112
; %bb.111:
	v_and_b32_e32 v27, 0xff, v27
	v_and_b32_e32 v29, 0x10000, v29
	s_delay_alu instid0(VALU_DEP_2) | instskip(SKIP_1) | instid1(VALU_DEP_1)
	v_cmp_eq_u16_e32 vcc_lo, 0, v27
	v_dual_lshrrev_b32 v21, 16, v30 :: v_dual_cndmask_b32 v27, 0, v30, vcc_lo
	v_and_b32_e32 v21, 1, v21
	s_delay_alu instid0(VALU_DEP_4) | instskip(NEXT) | instid1(VALU_DEP_3)
	v_cmp_ne_u32_e32 vcc_lo, 0, v29
	v_add_nc_u16 v18, v27, v18
	s_delay_alu instid0(VALU_DEP_3) | instskip(NEXT) | instid1(VALU_DEP_2)
	v_cndmask_b32_e64 v21, v21, 1, vcc_lo
	v_and_b32_e32 v29, 0xffff, v18
	s_delay_alu instid0(VALU_DEP_2) | instskip(NEXT) | instid1(VALU_DEP_1)
	v_lshlrev_b32_e32 v27, 16, v21
	v_or3_b32 v29, v27, v29, v17
	v_mov_b32_e32 v27, v21
.LBB1300_112:
	s_or_b32 exec_lo, exec_lo, s21
	s_delay_alu instid0(VALU_DEP_2)
	v_mov_b32_dpp v30, v29 row_shr:4 row_mask:0xf bank_mask:0xf
	s_mov_b32 s21, exec_lo
	v_cmpx_lt_u32_e32 3, v20
	s_cbranch_execz .LBB1300_114
; %bb.113:
	v_and_b32_e32 v29, 0xff, v27
	v_dual_lshrrev_b32 v21, 16, v30 :: v_dual_bitop2_b32 v27, 1, v27 bitop3:0x40
	s_delay_alu instid0(VALU_DEP_2) | instskip(NEXT) | instid1(VALU_DEP_2)
	v_cmp_eq_u16_e32 vcc_lo, 0, v29
	v_dual_cndmask_b32 v29, 0, v30, vcc_lo :: v_dual_bitop2_b32 v21, 1, v21 bitop3:0x40
	s_delay_alu instid0(VALU_DEP_3) | instskip(NEXT) | instid1(VALU_DEP_2)
	v_cmp_eq_u32_e32 vcc_lo, 1, v27
	v_add_nc_u16 v18, v29, v18
	s_delay_alu instid0(VALU_DEP_3) | instskip(NEXT) | instid1(VALU_DEP_2)
	v_cndmask_b32_e64 v21, v21, 1, vcc_lo
	v_and_b32_e32 v29, 0xffff, v18
	s_delay_alu instid0(VALU_DEP_2) | instskip(NEXT) | instid1(VALU_DEP_1)
	v_lshlrev_b32_e32 v27, 16, v21
	v_or3_b32 v29, v27, v29, v17
	v_mov_b32_e32 v27, v21
.LBB1300_114:
	s_or_b32 exec_lo, exec_lo, s21
	s_delay_alu instid0(VALU_DEP_2)
	v_mov_b32_dpp v30, v29 row_shr:8 row_mask:0xf bank_mask:0xf
	s_mov_b32 s21, exec_lo
	v_cmpx_lt_u32_e32 7, v20
	s_cbranch_execz .LBB1300_116
; %bb.115:
	v_and_b32_e32 v21, 0xff, v27
	v_dual_lshrrev_b32 v20, 16, v30 :: v_dual_bitop2_b32 v27, 1, v27 bitop3:0x40
	s_delay_alu instid0(VALU_DEP_2) | instskip(NEXT) | instid1(VALU_DEP_2)
	v_cmp_eq_u16_e32 vcc_lo, 0, v21
	v_dual_cndmask_b32 v29, 0, v30, vcc_lo :: v_dual_bitop2_b32 v20, 1, v20 bitop3:0x40
	s_delay_alu instid0(VALU_DEP_3) | instskip(NEXT) | instid1(VALU_DEP_2)
	v_cmp_eq_u32_e32 vcc_lo, 1, v27
	v_add_nc_u16 v18, v29, v18
	s_delay_alu instid0(VALU_DEP_3) | instskip(NEXT) | instid1(VALU_DEP_2)
	v_cndmask_b32_e64 v21, v20, 1, vcc_lo
	v_and_b32_e32 v27, 0xffff, v18
	s_delay_alu instid0(VALU_DEP_2) | instskip(NEXT) | instid1(VALU_DEP_1)
	v_lshlrev_b32_e32 v20, 16, v21
	v_or3_b32 v29, v20, v27, v17
	v_mov_b32_e32 v27, v21
.LBB1300_116:
	s_or_b32 exec_lo, exec_lo, s21
	ds_swizzle_b32 v20, v29 offset:swizzle(BROADCAST,32,15)
	v_and_b32_e32 v29, 16, v19
	s_mov_b32 s21, exec_lo
	s_delay_alu instid0(VALU_DEP_1)
	v_cmpx_ne_u32_e32 0, v29
	s_cbranch_execz .LBB1300_118
; %bb.117:
	v_and_b32_e32 v21, 0xff, v27
	s_delay_alu instid0(VALU_DEP_1) | instskip(SKIP_2) | instid1(VALU_DEP_1)
	v_cmp_eq_u16_e32 vcc_lo, 0, v21
	s_wait_dscnt 0x0
	v_dual_lshrrev_b32 v29, 16, v20 :: v_dual_bitop2_b32 v21, 1, v27 bitop3:0x40
	v_dual_cndmask_b32 v20, 0, v20, vcc_lo :: v_dual_bitop2_b32 v27, 1, v29 bitop3:0x40
	s_delay_alu instid0(VALU_DEP_2) | instskip(NEXT) | instid1(VALU_DEP_2)
	v_cmp_eq_u32_e32 vcc_lo, 1, v21
	v_add_nc_u16 v18, v20, v18
	s_delay_alu instid0(VALU_DEP_3)
	v_cndmask_b32_e64 v21, v27, 1, vcc_lo
.LBB1300_118:
	s_or_b32 exec_lo, exec_lo, s21
	s_wait_dscnt 0x0
	s_delay_alu instid0(VALU_DEP_1) | instskip(SKIP_2) | instid1(VALU_DEP_3)
	v_and_b32_e32 v20, 0xff, v21
	v_add_nc_u32_e32 v21, -1, v19
	v_and_b32_e32 v18, 0xffff, v18
	; wave barrier
	v_lshlrev_b32_e32 v20, 16, v20
	s_delay_alu instid0(VALU_DEP_3) | instskip(NEXT) | instid1(VALU_DEP_2)
	v_cmp_gt_i32_e32 vcc_lo, 0, v21
	v_or3_b32 v17, v20, v18, v17
	v_cndmask_b32_e32 v19, v21, v19, vcc_lo
	s_delay_alu instid0(VALU_DEP_1) | instskip(SKIP_2) | instid1(VALU_DEP_1)
	v_lshlrev_b32_e32 v18, 2, v19
	ds_bpermute_b32 v17, v18, v17
	v_and_b32_e32 v18, 0xff0000, v15
	v_cmp_eq_u32_e32 vcc_lo, 0, v18
	s_wait_dscnt 0x0
	v_dual_lshrrev_b32 v19, 16, v17 :: v_dual_cndmask_b32 v17, 0, v17, vcc_lo
	v_cmp_eq_u32_e32 vcc_lo, 0, v16
	s_delay_alu instid0(VALU_DEP_2) | instskip(NEXT) | instid1(VALU_DEP_1)
	v_add_nc_u16 v15, v17, v15
	v_dual_cndmask_b32 v15, v15, v24, s2 :: v_dual_bitop2_b32 v18, 1, v19 bitop3:0x40
	s_delay_alu instid0(VALU_DEP_1) | instskip(NEXT) | instid1(VALU_DEP_1)
	v_cndmask_b32_e32 v16, 1, v18, vcc_lo
	v_cndmask_b32_e64 v16, v16, v25, s2
	ds_store_b16 v14, v15
	ds_store_b8 v14, v16 offset:2
	; wave barrier
	ds_load_u8 v17, v14 offset:6
	ds_load_u16 v18, v14 offset:4
	ds_load_u8 v19, v14 offset:10
	ds_load_u16 v20, v14 offset:8
	ds_load_u16 v21, v14 offset:12
	ds_load_u8 v27, v14 offset:14
	ds_load_u16 v29, v14 offset:16
	ds_load_u8 v30, v14 offset:18
	s_wait_dscnt 0x7
	v_cmp_eq_u16_e32 vcc_lo, 0, v17
	v_cndmask_b32_e32 v15, 0, v15, vcc_lo
	s_wait_dscnt 0x5
	v_cmp_eq_u16_e32 vcc_lo, 0, v19
	s_delay_alu instid0(VALU_DEP_2) | instskip(NEXT) | instid1(VALU_DEP_1)
	v_add_nc_u16 v15, v15, v18
	v_cndmask_b32_e32 v18, 0, v15, vcc_lo
	s_wait_dscnt 0x2
	v_cmp_eq_u16_e32 vcc_lo, 0, v27
	s_delay_alu instid0(VALU_DEP_2)
	v_add_nc_u16 v18, v18, v20
	v_and_b32_e32 v17, 1, v17
	ds_load_u8 v20, v14 offset:22
	ds_load_u16 v32, v14 offset:20
	ds_load_u8 v33, v14 offset:26
	ds_load_u8 v34, v14 offset:30
	v_cndmask_b32_e32 v31, 0, v18, vcc_lo
	v_cmp_eq_u32_e32 vcc_lo, 1, v17
	v_and_b32_e32 v17, 1, v27
	s_delay_alu instid0(VALU_DEP_3)
	v_add_nc_u16 v21, v31, v21
	v_cndmask_b32_e64 v16, v16, 1, vcc_lo
	s_wait_dscnt 0x4
	v_cmp_eq_u16_e32 vcc_lo, 0, v30
	v_and_b32_e32 v19, 1, v19
	ds_load_u16 v31, v14 offset:24
	ds_load_u16 v35, v14 offset:28
	v_cndmask_b32_e32 v27, 0, v21, vcc_lo
	v_cmp_eq_u32_e32 vcc_lo, 1, v19
	s_delay_alu instid0(VALU_DEP_2)
	v_add_nc_u16 v27, v27, v29
	v_cndmask_b32_e64 v19, v16, 1, vcc_lo
	v_cmp_eq_u32_e32 vcc_lo, 1, v17
	v_and_b32_e32 v29, 1, v30
	s_wait_dscnt 0x2
	v_and_b32_e32 v36, 1, v34
	v_cndmask_b32_e64 v17, v19, 1, vcc_lo
	v_cmp_eq_u16_e32 vcc_lo, 0, v20
	v_dual_cndmask_b32 v30, 0, v27, vcc_lo :: v_dual_bitop2_b32 v20, 1, v20 bitop3:0x40
	v_cmp_eq_u32_e32 vcc_lo, 1, v29
	s_delay_alu instid0(VALU_DEP_2) | instskip(SKIP_1) | instid1(VALU_DEP_4)
	v_add_nc_u16 v30, v30, v32
	v_cndmask_b32_e64 v29, v17, 1, vcc_lo
	v_cmp_eq_u32_e32 vcc_lo, 1, v20
	v_and_b32_e32 v32, 1, v33
	ds_store_b16 v14, v15 offset:4
	ds_store_b8 v14, v16 offset:6
	ds_store_b16 v14, v18 offset:8
	ds_store_b8 v14, v19 offset:10
	;; [unrolled: 2-line block ×4, first 2 shown]
	v_cndmask_b32_e64 v20, v29, 1, vcc_lo
	v_cmp_eq_u16_e32 vcc_lo, 0, v33
	v_cndmask_b32_e32 v33, 0, v30, vcc_lo
	v_cmp_eq_u32_e32 vcc_lo, 1, v32
	s_wait_dscnt 0x9
	s_delay_alu instid0(VALU_DEP_2) | instskip(SKIP_2) | instid1(VALU_DEP_2)
	v_add_nc_u16 v31, v33, v31
	v_cndmask_b32_e64 v32, v20, 1, vcc_lo
	v_cmp_eq_u32_e32 vcc_lo, 1, v36
	v_cndmask_b32_e64 v33, v32, 1, vcc_lo
	v_cmp_eq_u16_e32 vcc_lo, 0, v34
	v_cndmask_b32_e32 v34, 0, v31, vcc_lo
	s_wait_dscnt 0x8
	s_delay_alu instid0(VALU_DEP_1)
	v_add_nc_u16 v15, v34, v35
	ds_store_b16 v14, v30 offset:20
	ds_store_b8 v14, v20 offset:22
	ds_store_b16 v14, v31 offset:24
	ds_store_b8 v14, v32 offset:26
	;; [unrolled: 2-line block ×3, first 2 shown]
.LBB1300_119:
	s_or_b32 exec_lo, exec_lo, s20
	s_wait_dscnt 0x0
	s_barrier_signal -1
	s_barrier_wait -1
	s_and_saveexec_b32 s20, s3
	s_cbranch_execz .LBB1300_121
; %bb.120:
	v_add_nc_u32_e32 v14, -1, v0
	s_delay_alu instid0(VALU_DEP_1) | instskip(NEXT) | instid1(VALU_DEP_1)
	v_lshrrev_b32_e32 v15, 3, v14
	v_and_b32_e32 v15, 0x1ffffffc, v15
	s_delay_alu instid0(VALU_DEP_1)
	v_lshl_add_u32 v14, v14, 2, v15
	ds_load_u16 v24, v14
	ds_load_u8 v25, v14 offset:2
.LBB1300_121:
	s_or_b32 exec_lo, exec_lo, s20
	s_and_saveexec_b32 s20, s15
	s_cbranch_execz .LBB1300_161
; %bb.122:
	v_dual_mov_b32 v21, 0 :: v_dual_add_nc_u32 v27, 32, v1
	v_mbcnt_lo_u32_b32 v29, -1, 0
	ds_load_b32 v14, v21 offset:1048
	v_cmp_eq_u32_e64 s15, 0, v29
	s_and_saveexec_b32 s21, s15
	s_cbranch_execz .LBB1300_124
; %bb.123:
	v_mov_b32_e32 v15, 1
	s_wait_dscnt 0x0
	global_store_b64 v27, v[14:15], s[28:29] scale_offset scope:SCOPE_DEV
.LBB1300_124:
	s_wait_xcnt 0x0
	s_or_b32 exec_lo, exec_lo, s21
	v_xad_u32 v16, v29, -1, v1
	s_mov_b32 s21, exec_lo
	s_delay_alu instid0(VALU_DEP_1) | instskip(SKIP_4) | instid1(VALU_DEP_1)
	v_add_nc_u32_e32 v20, 32, v16
	global_load_b64 v[18:19], v20, s[28:29] scale_offset scope:SCOPE_DEV
	s_wait_loadcnt 0x0
	v_and_b32_e32 v1, 0xff, v19
	s_wait_xcnt 0x0
	v_cmpx_eq_u16_e32 0, v1
	s_cbranch_execz .LBB1300_128
; %bb.125:
	v_lshl_add_u64 v[20:21], v[20:21], 3, s[28:29]
	s_mov_b32 s24, 0
.LBB1300_126:                           ; =>This Inner Loop Header: Depth=1
	global_load_b64 v[18:19], v[20:21], off scope:SCOPE_DEV
	s_wait_loadcnt 0x0
	v_and_b32_e32 v1, 0xff, v19
	s_delay_alu instid0(VALU_DEP_1)
	v_cmp_ne_u16_e32 vcc_lo, 0, v1
	s_or_b32 s24, vcc_lo, s24
	s_wait_xcnt 0x0
	s_and_not1_b32 exec_lo, exec_lo, s24
	s_cbranch_execnz .LBB1300_126
; %bb.127:
	s_or_b32 exec_lo, exec_lo, s24
.LBB1300_128:
	s_delay_alu instid0(SALU_CYCLE_1)
	s_or_b32 exec_lo, exec_lo, s21
	v_cmp_ne_u32_e32 vcc_lo, 31, v29
	v_and_b32_e32 v37, 0xffffff, v18
	v_and_b32_e32 v15, 0xff, v19
	v_bfe_u32 v21, v18, 16, 8
	s_mov_b32 s21, exec_lo
	v_add_co_ci_u32_e64 v1, null, 0, v29, vcc_lo
	s_delay_alu instid0(VALU_DEP_3) | instskip(SKIP_1) | instid1(VALU_DEP_3)
	v_cmp_eq_u16_e32 vcc_lo, 2, v15
	v_lshlrev_b32_e64 v15, v29, -1
	v_dual_lshrrev_b32 v20, 16, v18 :: v_dual_lshlrev_b32 v1, 2, v1
	s_delay_alu instid0(VALU_DEP_2) | instskip(SKIP_2) | instid1(VALU_DEP_1)
	v_and_or_b32 v17, vcc_lo, v15, 0x80000000
	ds_bpermute_b32 v30, v1, v37
	v_ctz_i32_b32_e32 v17, v17
	v_cmpx_lt_u32_e64 v29, v17
	s_cbranch_execz .LBB1300_130
; %bb.129:
	v_and_b32_e32 v20, 0xff0000, v18
	s_delay_alu instid0(VALU_DEP_1) | instskip(SKIP_3) | instid1(VALU_DEP_1)
	v_and_b32_e32 v31, 0x10000, v20
	v_cmp_eq_u32_e32 vcc_lo, 0, v20
	s_wait_dscnt 0x0
	v_dual_cndmask_b32 v30, 0, v30 :: v_dual_lshrrev_b32 v21, 16, v30
	v_and_b32_e32 v21, 1, v21
	v_cmp_ne_u32_e32 vcc_lo, 0, v31
	s_delay_alu instid0(VALU_DEP_3) | instskip(NEXT) | instid1(VALU_DEP_3)
	v_add_nc_u16 v18, v30, v18
	v_cndmask_b32_e64 v20, v21, 1, vcc_lo
	s_delay_alu instid0(VALU_DEP_2) | instskip(NEXT) | instid1(VALU_DEP_2)
	v_and_b32_e32 v30, 0xffff, v18
	v_lshlrev_b32_e32 v21, 16, v20
	s_delay_alu instid0(VALU_DEP_1)
	v_dual_mov_b32 v21, v20 :: v_dual_bitop2_b32 v37, v21, v30 bitop3:0x54
.LBB1300_130:
	s_or_b32 exec_lo, exec_lo, s21
	v_cmp_gt_u32_e32 vcc_lo, 30, v29
	v_add_nc_u32_e32 v31, 2, v29
	s_mov_b32 s21, exec_lo
	s_wait_dscnt 0x0
	v_cndmask_b32_e64 v30, 0, 2, vcc_lo
	s_delay_alu instid0(VALU_DEP_1)
	v_add_lshl_u32 v30, v30, v29, 2
	ds_bpermute_b32 v32, v30, v37
	v_cmpx_le_u32_e64 v31, v17
	s_cbranch_execz .LBB1300_132
; %bb.131:
	v_cmp_eq_u16_e32 vcc_lo, 0, v21
	s_wait_dscnt 0x0
	v_dual_lshrrev_b32 v20, 16, v32 :: v_dual_bitop2_b32 v21, 1, v21 bitop3:0x40
	v_cndmask_b32_e32 v32, 0, v32, vcc_lo
	s_delay_alu instid0(VALU_DEP_2) | instskip(NEXT) | instid1(VALU_DEP_3)
	v_and_b32_e32 v20, 1, v20
	v_cmp_eq_u32_e32 vcc_lo, 1, v21
	s_delay_alu instid0(VALU_DEP_3) | instskip(NEXT) | instid1(VALU_DEP_3)
	v_add_nc_u16 v18, v32, v18
	v_cndmask_b32_e64 v20, v20, 1, vcc_lo
	s_delay_alu instid0(VALU_DEP_2) | instskip(NEXT) | instid1(VALU_DEP_2)
	v_and_b32_e32 v21, 0xffff, v18
	v_lshlrev_b32_e32 v32, 16, v20
	s_delay_alu instid0(VALU_DEP_1)
	v_or_b32_e32 v37, v32, v21
	v_mov_b32_e32 v21, v20
.LBB1300_132:
	s_or_b32 exec_lo, exec_lo, s21
	v_cmp_gt_u32_e32 vcc_lo, 28, v29
	v_add_nc_u32_e32 v33, 4, v29
	s_mov_b32 s21, exec_lo
	s_wait_dscnt 0x0
	v_cndmask_b32_e64 v32, 0, 4, vcc_lo
	s_delay_alu instid0(VALU_DEP_1)
	v_add_lshl_u32 v32, v32, v29, 2
	ds_bpermute_b32 v34, v32, v37
	v_cmpx_le_u32_e64 v33, v17
	s_cbranch_execz .LBB1300_134
; %bb.133:
	v_cmp_eq_u16_e32 vcc_lo, 0, v21
	s_wait_dscnt 0x0
	v_dual_lshrrev_b32 v20, 16, v34 :: v_dual_bitop2_b32 v21, 1, v21 bitop3:0x40
	s_delay_alu instid0(VALU_DEP_1) | instskip(NEXT) | instid1(VALU_DEP_2)
	v_dual_cndmask_b32 v34, 0, v34, vcc_lo :: v_dual_bitop2_b32 v20, 1, v20 bitop3:0x40
	v_cmp_eq_u32_e32 vcc_lo, 1, v21
	s_delay_alu instid0(VALU_DEP_2) | instskip(NEXT) | instid1(VALU_DEP_3)
	v_add_nc_u16 v18, v34, v18
	v_cndmask_b32_e64 v20, v20, 1, vcc_lo
	s_delay_alu instid0(VALU_DEP_2) | instskip(NEXT) | instid1(VALU_DEP_2)
	v_and_b32_e32 v21, 0xffff, v18
	v_lshlrev_b32_e32 v34, 16, v20
	s_delay_alu instid0(VALU_DEP_1)
	v_dual_mov_b32 v21, v20 :: v_dual_bitop2_b32 v37, v34, v21 bitop3:0x54
.LBB1300_134:
	s_or_b32 exec_lo, exec_lo, s21
	v_cmp_gt_u32_e32 vcc_lo, 24, v29
	v_add_nc_u32_e32 v35, 8, v29
	s_mov_b32 s21, exec_lo
	s_wait_dscnt 0x0
	v_cndmask_b32_e64 v34, 0, 8, vcc_lo
	s_delay_alu instid0(VALU_DEP_1)
	v_add_lshl_u32 v34, v34, v29, 2
	ds_bpermute_b32 v36, v34, v37
	v_cmpx_le_u32_e64 v35, v17
	s_cbranch_execz .LBB1300_136
; %bb.135:
	v_cmp_eq_u16_e32 vcc_lo, 0, v21
	s_wait_dscnt 0x0
	v_dual_lshrrev_b32 v20, 16, v36 :: v_dual_bitop2_b32 v21, 1, v21 bitop3:0x40
	v_cndmask_b32_e32 v36, 0, v36, vcc_lo
	s_delay_alu instid0(VALU_DEP_2) | instskip(NEXT) | instid1(VALU_DEP_3)
	v_and_b32_e32 v20, 1, v20
	v_cmp_eq_u32_e32 vcc_lo, 1, v21
	s_delay_alu instid0(VALU_DEP_3) | instskip(NEXT) | instid1(VALU_DEP_3)
	v_add_nc_u16 v18, v36, v18
	v_cndmask_b32_e64 v20, v20, 1, vcc_lo
	s_delay_alu instid0(VALU_DEP_2) | instskip(NEXT) | instid1(VALU_DEP_2)
	v_and_b32_e32 v21, 0xffff, v18
	v_lshlrev_b32_e32 v36, 16, v20
	s_delay_alu instid0(VALU_DEP_1)
	v_or_b32_e32 v37, v36, v21
	v_mov_b32_e32 v21, v20
.LBB1300_136:
	s_or_b32 exec_lo, exec_lo, s21
	s_wait_dscnt 0x0
	v_lshl_or_b32 v36, v29, 2, 64
	s_mov_b32 s21, exec_lo
	ds_bpermute_b32 v38, v36, v37
	v_add_nc_u32_e32 v37, 16, v29
	s_delay_alu instid0(VALU_DEP_1)
	v_cmpx_le_u32_e64 v37, v17
	s_cbranch_execz .LBB1300_138
; %bb.137:
	v_cmp_eq_u16_e32 vcc_lo, 0, v21
	s_wait_dscnt 0x0
	v_dual_lshrrev_b32 v17, 16, v38 :: v_dual_bitop2_b32 v21, 1, v21 bitop3:0x40
	s_delay_alu instid0(VALU_DEP_1) | instskip(NEXT) | instid1(VALU_DEP_2)
	v_dual_cndmask_b32 v20, 0, v38, vcc_lo :: v_dual_bitop2_b32 v17, 1, v17 bitop3:0x40
	v_cmp_eq_u32_e32 vcc_lo, 1, v21
	s_delay_alu instid0(VALU_DEP_2) | instskip(NEXT) | instid1(VALU_DEP_3)
	v_add_nc_u16 v18, v20, v18
	v_cndmask_b32_e64 v20, v17, 1, vcc_lo
.LBB1300_138:
	s_or_b32 exec_lo, exec_lo, s21
	v_mov_b32_e32 v17, 0
	s_branch .LBB1300_141
.LBB1300_139:                           ;   in Loop: Header=BB1300_141 Depth=1
	s_or_b32 exec_lo, exec_lo, s21
	v_and_b32_e32 v20, 0xff, v38
	v_subrev_nc_u32_e32 v16, 32, v16
	s_mov_b32 s21, 0
	v_and_b32_e32 v21, 1, v21
	s_delay_alu instid0(VALU_DEP_3) | instskip(SKIP_2) | instid1(VALU_DEP_2)
	v_cmp_eq_u16_e32 vcc_lo, 0, v20
	v_and_b32_e32 v20, 1, v38
	v_cndmask_b32_e32 v18, 0, v18, vcc_lo
	v_cmp_eq_u32_e32 vcc_lo, 1, v20
	s_delay_alu instid0(VALU_DEP_2)
	v_add_nc_u16 v18, v18, v39
	v_cndmask_b32_e64 v20, v21, 1, vcc_lo
.LBB1300_140:                           ;   in Loop: Header=BB1300_141 Depth=1
	s_and_b32 vcc_lo, exec_lo, s21
	s_cbranch_vccnz .LBB1300_157
.LBB1300_141:                           ; =>This Loop Header: Depth=1
                                        ;     Child Loop BB1300_144 Depth 2
	v_and_b32_e32 v19, 0xff, v19
	s_wait_dscnt 0x0
	v_dual_mov_b32 v38, v20 :: v_dual_mov_b32 v39, v18
	s_mov_b32 s21, -1
                                        ; implicit-def: $vgpr20
	s_delay_alu instid0(VALU_DEP_2)
	v_cmp_ne_u16_e32 vcc_lo, 2, v19
                                        ; implicit-def: $vgpr18
	s_cmp_lg_u32 vcc_lo, exec_lo
	s_cbranch_scc1 .LBB1300_140
; %bb.142:                              ;   in Loop: Header=BB1300_141 Depth=1
	global_load_b64 v[18:19], v16, s[28:29] scale_offset scope:SCOPE_DEV
	s_mov_b32 s21, exec_lo
	s_wait_loadcnt 0x0
	v_and_b32_e32 v20, 0xff, v19
	s_wait_xcnt 0x0
	s_delay_alu instid0(VALU_DEP_1)
	v_cmpx_eq_u16_e32 0, v20
	s_cbranch_execz .LBB1300_146
; %bb.143:                              ;   in Loop: Header=BB1300_141 Depth=1
	v_lshl_add_u64 v[20:21], v[16:17], 3, s[28:29]
	s_mov_b32 s24, 0
.LBB1300_144:                           ;   Parent Loop BB1300_141 Depth=1
                                        ; =>  This Inner Loop Header: Depth=2
	global_load_b64 v[18:19], v[20:21], off scope:SCOPE_DEV
	s_wait_loadcnt 0x0
	v_and_b32_e32 v40, 0xff, v19
	s_delay_alu instid0(VALU_DEP_1)
	v_cmp_ne_u16_e32 vcc_lo, 0, v40
	s_or_b32 s24, vcc_lo, s24
	s_wait_xcnt 0x0
	s_and_not1_b32 exec_lo, exec_lo, s24
	s_cbranch_execnz .LBB1300_144
; %bb.145:                              ;   in Loop: Header=BB1300_141 Depth=1
	s_or_b32 exec_lo, exec_lo, s24
.LBB1300_146:                           ;   in Loop: Header=BB1300_141 Depth=1
	s_delay_alu instid0(SALU_CYCLE_1)
	s_or_b32 exec_lo, exec_lo, s21
	v_and_b32_e32 v41, 0xffffff, v18
	v_and_b32_e32 v20, 0xff, v19
	v_lshrrev_b32_e32 v21, 16, v18
	v_bfe_u32 v40, v18, 16, 8
	s_mov_b32 s21, exec_lo
	ds_bpermute_b32 v42, v1, v41
	v_cmp_eq_u16_e32 vcc_lo, 2, v20
	v_and_or_b32 v20, vcc_lo, v15, 0x80000000
	s_delay_alu instid0(VALU_DEP_1) | instskip(NEXT) | instid1(VALU_DEP_1)
	v_ctz_i32_b32_e32 v20, v20
	v_cmpx_lt_u32_e64 v29, v20
	s_cbranch_execz .LBB1300_148
; %bb.147:                              ;   in Loop: Header=BB1300_141 Depth=1
	v_and_b32_e32 v21, 0xff0000, v18
	s_delay_alu instid0(VALU_DEP_1) | instskip(SKIP_3) | instid1(VALU_DEP_1)
	v_and_b32_e32 v41, 0x10000, v21
	v_cmp_eq_u32_e32 vcc_lo, 0, v21
	s_wait_dscnt 0x0
	v_dual_lshrrev_b32 v40, 16, v42 :: v_dual_cndmask_b32 v42, 0, v42, vcc_lo
	v_and_b32_e32 v40, 1, v40
	v_cmp_ne_u32_e32 vcc_lo, 0, v41
	s_delay_alu instid0(VALU_DEP_3) | instskip(NEXT) | instid1(VALU_DEP_3)
	v_add_nc_u16 v18, v42, v18
	v_cndmask_b32_e64 v21, v40, 1, vcc_lo
	s_delay_alu instid0(VALU_DEP_2) | instskip(NEXT) | instid1(VALU_DEP_2)
	v_and_b32_e32 v41, 0xffff, v18
	v_lshlrev_b32_e32 v40, 16, v21
	s_delay_alu instid0(VALU_DEP_1)
	v_dual_mov_b32 v40, v21 :: v_dual_bitop2_b32 v41, v40, v41 bitop3:0x54
.LBB1300_148:                           ;   in Loop: Header=BB1300_141 Depth=1
	s_or_b32 exec_lo, exec_lo, s21
	s_wait_dscnt 0x0
	ds_bpermute_b32 v42, v30, v41
	s_mov_b32 s21, exec_lo
	v_cmpx_le_u32_e64 v31, v20
	s_cbranch_execz .LBB1300_150
; %bb.149:                              ;   in Loop: Header=BB1300_141 Depth=1
	v_cmp_eq_u16_e32 vcc_lo, 0, v40
	s_wait_dscnt 0x0
	v_dual_lshrrev_b32 v21, 16, v42 :: v_dual_bitop2_b32 v40, 1, v40 bitop3:0x40
	s_delay_alu instid0(VALU_DEP_1) | instskip(NEXT) | instid1(VALU_DEP_2)
	v_dual_cndmask_b32 v41, 0, v42, vcc_lo :: v_dual_bitop2_b32 v21, 1, v21 bitop3:0x40
	v_cmp_eq_u32_e32 vcc_lo, 1, v40
	s_delay_alu instid0(VALU_DEP_2) | instskip(NEXT) | instid1(VALU_DEP_3)
	v_add_nc_u16 v18, v41, v18
	v_cndmask_b32_e64 v21, v21, 1, vcc_lo
	s_delay_alu instid0(VALU_DEP_2) | instskip(NEXT) | instid1(VALU_DEP_2)
	v_and_b32_e32 v40, 0xffff, v18
	v_lshlrev_b32_e32 v41, 16, v21
	s_delay_alu instid0(VALU_DEP_1)
	v_or_b32_e32 v41, v41, v40
	v_mov_b32_e32 v40, v21
.LBB1300_150:                           ;   in Loop: Header=BB1300_141 Depth=1
	s_or_b32 exec_lo, exec_lo, s21
	s_wait_dscnt 0x0
	ds_bpermute_b32 v42, v32, v41
	s_mov_b32 s21, exec_lo
	v_cmpx_le_u32_e64 v33, v20
	s_cbranch_execz .LBB1300_152
; %bb.151:                              ;   in Loop: Header=BB1300_141 Depth=1
	v_cmp_eq_u16_e32 vcc_lo, 0, v40
	s_wait_dscnt 0x0
	v_dual_lshrrev_b32 v21, 16, v42 :: v_dual_bitop2_b32 v40, 1, v40 bitop3:0x40
	s_delay_alu instid0(VALU_DEP_1) | instskip(NEXT) | instid1(VALU_DEP_2)
	v_dual_cndmask_b32 v41, 0, v42, vcc_lo :: v_dual_bitop2_b32 v21, 1, v21 bitop3:0x40
	v_cmp_eq_u32_e32 vcc_lo, 1, v40
	s_delay_alu instid0(VALU_DEP_2) | instskip(NEXT) | instid1(VALU_DEP_3)
	v_add_nc_u16 v18, v41, v18
	v_cndmask_b32_e64 v21, v21, 1, vcc_lo
	s_delay_alu instid0(VALU_DEP_2) | instskip(NEXT) | instid1(VALU_DEP_2)
	v_and_b32_e32 v40, 0xffff, v18
	v_lshlrev_b32_e32 v41, 16, v21
	s_delay_alu instid0(VALU_DEP_1)
	v_or_b32_e32 v41, v41, v40
	v_mov_b32_e32 v40, v21
.LBB1300_152:                           ;   in Loop: Header=BB1300_141 Depth=1
	s_or_b32 exec_lo, exec_lo, s21
	s_wait_dscnt 0x0
	ds_bpermute_b32 v42, v34, v41
	s_mov_b32 s21, exec_lo
	v_cmpx_le_u32_e64 v35, v20
	s_cbranch_execz .LBB1300_154
; %bb.153:                              ;   in Loop: Header=BB1300_141 Depth=1
	v_cmp_eq_u16_e32 vcc_lo, 0, v40
	s_wait_dscnt 0x0
	v_dual_lshrrev_b32 v21, 16, v42 :: v_dual_bitop2_b32 v40, 1, v40 bitop3:0x40
	s_delay_alu instid0(VALU_DEP_1) | instskip(NEXT) | instid1(VALU_DEP_2)
	v_dual_cndmask_b32 v41, 0, v42, vcc_lo :: v_dual_bitop2_b32 v21, 1, v21 bitop3:0x40
	v_cmp_eq_u32_e32 vcc_lo, 1, v40
	s_delay_alu instid0(VALU_DEP_2) | instskip(NEXT) | instid1(VALU_DEP_3)
	v_add_nc_u16 v18, v41, v18
	v_cndmask_b32_e64 v21, v21, 1, vcc_lo
	s_delay_alu instid0(VALU_DEP_2) | instskip(NEXT) | instid1(VALU_DEP_2)
	v_and_b32_e32 v40, 0xffff, v18
	v_lshlrev_b32_e32 v41, 16, v21
	s_delay_alu instid0(VALU_DEP_1)
	v_or_b32_e32 v41, v41, v40
	v_mov_b32_e32 v40, v21
.LBB1300_154:                           ;   in Loop: Header=BB1300_141 Depth=1
	s_or_b32 exec_lo, exec_lo, s21
	ds_bpermute_b32 v41, v36, v41
	s_mov_b32 s21, exec_lo
	v_cmpx_le_u32_e64 v37, v20
	s_cbranch_execz .LBB1300_139
; %bb.155:                              ;   in Loop: Header=BB1300_141 Depth=1
	v_cmp_eq_u16_e32 vcc_lo, 0, v40
	s_wait_dscnt 0x0
	v_dual_lshrrev_b32 v40, 16, v41 :: v_dual_bitop2_b32 v21, 1, v40 bitop3:0x40
	v_cndmask_b32_e32 v20, 0, v41, vcc_lo
	s_delay_alu instid0(VALU_DEP_2) | instskip(NEXT) | instid1(VALU_DEP_2)
	v_cmp_eq_u32_e32 vcc_lo, 1, v21
	v_add_nc_u16 v18, v20, v18
	s_delay_alu instid0(VALU_DEP_4)
	v_cndmask_b32_e64 v21, v40, 1, vcc_lo
	s_branch .LBB1300_139
.LBB1300_156:
                                        ; implicit-def: $vgpr29
                                        ; implicit-def: $vgpr1
                                        ; implicit-def: $vgpr14
                                        ; implicit-def: $vgpr15
                                        ; implicit-def: $vgpr16
                                        ; implicit-def: $vgpr17
                                        ; implicit-def: $vgpr18
                                        ; implicit-def: $vgpr19
                                        ; implicit-def: $vgpr20
                                        ; implicit-def: $vgpr21
                                        ; implicit-def: $vgpr23
                                        ; implicit-def: $vgpr24
                                        ; implicit-def: $vgpr25
                                        ; implicit-def: $vgpr27
	s_cbranch_execnz .LBB1300_162
	s_branch .LBB1300_181
.LBB1300_157:
	s_and_saveexec_b32 s21, s15
	s_cbranch_execz .LBB1300_159
; %bb.158:
	v_and_b32_e32 v1, 0xff0000, v14
	v_and_b32_e32 v16, 0x10000, v14
	s_delay_alu instid0(VALU_DEP_2) | instskip(SKIP_1) | instid1(VALU_DEP_3)
	v_cmp_eq_u32_e32 vcc_lo, 0, v1
	v_dual_cndmask_b32 v1, 0, v39, vcc_lo :: v_dual_bitop2_b32 v15, 1, v38 bitop3:0x40
	v_cmp_eq_u32_e32 vcc_lo, 0, v16
	s_delay_alu instid0(VALU_DEP_2) | instskip(NEXT) | instid1(VALU_DEP_1)
	v_add_nc_u16 v1, v1, v14
	v_and_b32_e32 v1, 0xffff, v1
	s_delay_alu instid0(VALU_DEP_4) | instskip(NEXT) | instid1(VALU_DEP_1)
	v_lshlrev_b32_e32 v15, 16, v15
	v_dual_cndmask_b32 v14, 0x10000, v15 :: v_dual_mov_b32 v15, 2
	s_delay_alu instid0(VALU_DEP_1)
	v_or_b32_e32 v14, v14, v1
	global_store_b64 v27, v[14:15], s[28:29] scale_offset scope:SCOPE_DEV
.LBB1300_159:
	s_wait_xcnt 0x0
	s_or_b32 exec_lo, exec_lo, s21
	s_delay_alu instid0(SALU_CYCLE_1)
	s_and_b32 exec_lo, exec_lo, s2
	s_cbranch_execz .LBB1300_161
; %bb.160:
	v_mov_b32_e32 v1, 0
	ds_store_b16 v1, v39
	ds_store_b8 v1, v38 offset:2
.LBB1300_161:
	s_or_b32 exec_lo, exec_lo, s20
	v_and_b32_e32 v14, 0x10000, v26
	s_wait_storecnt_dscnt 0x0
	s_barrier_signal -1
	s_barrier_wait -1
	s_delay_alu instid0(VALU_DEP_1)
	v_cmp_ne_u32_e32 vcc_lo, 0, v14
	v_cndmask_b32_e64 v14, v25, 1, vcc_lo
	v_cmp_gt_u32_e32 vcc_lo, 0x10000, v26
	v_dual_mov_b32 v1, 0 :: v_dual_cndmask_b32 v15, 0, v24, vcc_lo
	ds_load_b32 v1, v1
	v_cndmask_b32_e64 v14, v14, v23, s2
	v_cndmask_b32_e64 v15, v15, 0, s2
	s_delay_alu instid0(VALU_DEP_2) | instskip(NEXT) | instid1(VALU_DEP_2)
	v_and_b32_e32 v14, 0xff, v14
	v_add_nc_u16 v15, v15, v26
	s_delay_alu instid0(VALU_DEP_2) | instskip(SKIP_2) | instid1(VALU_DEP_1)
	v_cmp_eq_u16_e32 vcc_lo, 0, v14
	s_wait_dscnt 0x0
	v_cndmask_b32_e32 v1, 0, v1, vcc_lo
	v_add_nc_u16 v27, v15, v1
	s_delay_alu instid0(VALU_DEP_1) | instskip(SKIP_1) | instid1(VALU_DEP_2)
	v_cndmask_b32_e64 v1, 0, v27, s14
	v_and_b32_e32 v29, 0xffff, v27
	v_add_nc_u16 v1, v1, v2
	s_delay_alu instid0(VALU_DEP_1) | instskip(NEXT) | instid1(VALU_DEP_1)
	v_cndmask_b32_e64 v14, 0, v1, s13
	v_add_nc_u16 v14, v14, v3
	s_delay_alu instid0(VALU_DEP_1) | instskip(NEXT) | instid1(VALU_DEP_1)
	v_cndmask_b32_e64 v15, 0, v14, s12
	;; [unrolled: 3-line block ×12, first 2 shown]
	v_add_nc_u16 v27, v30, v22
	s_branch .LBB1300_181
.LBB1300_162:
	s_cmp_lg_u64 s[36:37], 0
	s_cselect_b32 s0, -1, 0
	s_cmp_lg_u64 s[22:23], 0
	s_cselect_b32 s1, -1, 0
	s_delay_alu instid0(SALU_CYCLE_1) | instskip(NEXT) | instid1(SALU_CYCLE_1)
	s_and_b32 s0, s0, s1
	s_and_b32 s1, s2, s0
	s_delay_alu instid0(SALU_CYCLE_1)
	s_and_saveexec_b32 s0, s1
	s_cbranch_execz .LBB1300_164
; %bb.163:
	v_mov_b32_e32 v1, 0
	v_cmp_gt_u32_e32 vcc_lo, 0x10000, v26
	s_clause 0x1
	global_load_u16 v14, v1, s[22:23]
	global_load_u8 v15, v1, s[22:23] offset:2
	s_wait_loadcnt 0x0
	v_dual_cndmask_b32 v1, 0, v14, vcc_lo :: v_dual_bitop2_b32 v14, 1, v15 bitop3:0x40
	v_and_b32_e32 v15, 0x10000, v26
	s_delay_alu instid0(VALU_DEP_2) | instskip(NEXT) | instid1(VALU_DEP_3)
	v_lshlrev_b32_e32 v14, 16, v14
	v_add_nc_u16 v1, v1, v26
	s_delay_alu instid0(VALU_DEP_3) | instskip(NEXT) | instid1(VALU_DEP_2)
	v_cmp_eq_u32_e32 vcc_lo, 0, v15
	v_and_b32_e32 v1, 0xffff, v1
	s_delay_alu instid0(VALU_DEP_4) | instskip(NEXT) | instid1(VALU_DEP_1)
	v_cndmask_b32_e32 v14, 0x10000, v14, vcc_lo
	v_or_b32_e32 v26, v14, v1
.LBB1300_164:
	s_or_b32 exec_lo, exec_lo, s0
	v_cmp_gt_u32_e32 vcc_lo, 0x10000, v2
	v_cmp_gt_u32_e64 s4, 0x10000, v5
	v_cmp_gt_u32_e64 s0, 0x10000, v3
	;; [unrolled: 1-line block ×4, first 2 shown]
	v_cndmask_b32_e32 v1, 0, v26, vcc_lo
	v_cmp_gt_u32_e64 s6, 0x10000, v7
	v_cmp_gt_u32_e64 s7, 0x10000, v8
	;; [unrolled: 1-line block ×4, first 2 shown]
	v_add_nc_u16 v1, v1, v2
	v_cmp_gt_u32_e64 s10, 0x10000, v11
	v_cmp_gt_u32_e64 s11, 0x10000, v12
	v_or_b32_e32 v25, v9, v5
	v_or_b32_e32 v30, v11, v13
	v_cndmask_b32_e64 v14, 0, v1, s0
	v_cmp_gt_u32_e64 s13, 0x10000, v22
	v_or_b32_e32 v31, v10, v12
	v_cmp_gt_u32_e64 s12, 0x10000, v13
	v_and_b32_e32 v28, 28, v28
	v_add_nc_u16 v14, v14, v3
	s_mov_b32 s15, exec_lo
	v_or3_b32 v30, v31, v30, v22
	v_lshrrev_b32_e32 v31, 16, v26
	v_or3_b32 v33, v7, v3, v25
	v_cndmask_b32_e64 v15, 0, v14, s1
	v_lshl_add_u32 v28, v0, 2, v28
	v_or_b32_e32 v27, v8, v4
	s_delay_alu instid0(VALU_DEP_3) | instskip(NEXT) | instid1(VALU_DEP_1)
	v_add_nc_u16 v15, v15, v4
	v_cndmask_b32_e64 v16, 0, v15, s4
	s_delay_alu instid0(VALU_DEP_1) | instskip(NEXT) | instid1(VALU_DEP_1)
	v_add_nc_u16 v16, v16, v5
	v_cndmask_b32_e64 v17, 0, v16, s5
	s_delay_alu instid0(VALU_DEP_1) | instskip(NEXT) | instid1(VALU_DEP_1)
	;; [unrolled: 3-line block ×8, first 2 shown]
	v_add_nc_u16 v24, v24, v12
	v_dual_cndmask_b32 v32, 0, v24, s12 :: v_dual_bitop2_b32 v29, v6, v2 bitop3:0x54
	s_delay_alu instid0(VALU_DEP_1) | instskip(NEXT) | instid1(VALU_DEP_2)
	v_or3_b32 v27, v29, v27, v33
	v_add_nc_u16 v25, v32, v13
	s_delay_alu instid0(VALU_DEP_2) | instskip(NEXT) | instid1(VALU_DEP_2)
	v_bitop3_b32 v30, v30, 0xff0000, v27 bitop3:0xc8
	v_cndmask_b32_e64 v29, 0, v25, s13
	s_delay_alu instid0(VALU_DEP_2) | instskip(NEXT) | instid1(VALU_DEP_2)
	v_cmp_eq_u32_e64 s14, 0, v30
	v_add_nc_u16 v27, v29, v22
	s_delay_alu instid0(VALU_DEP_2)
	v_cndmask_b32_e64 v29, 1, v31, s14
	ds_store_b16 v28, v27
	ds_store_b8 v28, v29 offset:2
	s_wait_dscnt 0x0
	s_barrier_signal -1
	s_barrier_wait -1
	v_cmpx_gt_u32_e32 32, v0
	s_cbranch_execz .LBB1300_176
; %bb.165:
	v_and_b32_e32 v28, 0xfc, v0
	v_lshlrev_b32_e32 v30, 5, v0
	s_mov_b32 s20, exec_lo
	s_delay_alu instid0(VALU_DEP_1)
	v_add_nc_u32_e32 v28, v28, v30
	ds_load_u8 v31, v28 offset:6
	ds_load_b32 v30, v28
	ds_load_u16 v32, v28 offset:4
	ds_load_u8 v33, v28 offset:10
	ds_load_u16 v34, v28 offset:8
	ds_load_u16 v35, v28 offset:12
	ds_load_u8 v36, v28 offset:14
	ds_load_u16 v37, v28 offset:16
	s_wait_dscnt 0x7
	v_cmp_eq_u16_e64 s14, 0, v31
	s_wait_dscnt 0x4
	s_delay_alu instid0(VALU_DEP_1) | instskip(SKIP_1) | instid1(VALU_DEP_2)
	v_dual_cndmask_b32 v38, 0, v30, s14 :: v_dual_bitop2_b32 v31, v33, v31 bitop3:0x54
	v_cmp_eq_u16_e64 s14, 0, v33
	v_add_nc_u16 v32, v38, v32
	ds_load_u8 v38, v28 offset:18
	v_cndmask_b32_e64 v32, 0, v32, s14
	s_wait_dscnt 0x2
	v_cmp_eq_u16_e64 s14, 0, v36
	s_delay_alu instid0(VALU_DEP_2) | instskip(SKIP_2) | instid1(VALU_DEP_1)
	v_add_nc_u16 v32, v32, v34
	ds_load_u8 v34, v28 offset:22
	v_cndmask_b32_e64 v32, 0, v32, s14
	v_add_nc_u16 v32, v32, v35
	s_wait_dscnt 0x1
	v_cmp_eq_u16_e64 s14, 0, v38
	ds_load_u16 v35, v28 offset:20
	ds_load_u16 v39, v28 offset:24
	ds_load_u8 v40, v28 offset:26
	ds_load_u16 v41, v28 offset:28
	ds_load_u8 v42, v28 offset:30
	v_bitop3_b16 v33, v31, v38, v36 bitop3:0xfe
	v_and_b32_e32 v31, 0x10000, v30
	v_cndmask_b32_e64 v32, 0, v32, s14
	s_delay_alu instid0(VALU_DEP_1) | instskip(SKIP_2) | instid1(VALU_DEP_1)
	v_add_nc_u16 v32, v32, v37
	s_wait_dscnt 0x5
	v_cmp_eq_u16_e64 s14, 0, v34
	v_cndmask_b32_e64 v32, 0, v32, s14
	s_wait_dscnt 0x2
	v_cmp_eq_u16_e64 s14, 0, v40
	v_bitop3_b16 v33, v33, v40, v34 bitop3:0xfe
	s_delay_alu instid0(VALU_DEP_3) | instskip(SKIP_1) | instid1(VALU_DEP_1)
	v_add_nc_u16 v32, v32, v35
	s_wait_dscnt 0x0
	v_dual_cndmask_b32 v32, 0, v32, s14 :: v_dual_bitop2_b32 v34, 1, v42 bitop3:0x40
	v_cmp_eq_u16_e64 s14, 0, v42
	s_delay_alu instid0(VALU_DEP_2) | instskip(NEXT) | instid1(VALU_DEP_1)
	v_add_nc_u16 v32, v32, v39
	v_cndmask_b32_e64 v32, 0, v32, s14
	v_cmp_eq_u16_e64 s14, 0, v33
	s_delay_alu instid0(VALU_DEP_2) | instskip(NEXT) | instid1(VALU_DEP_2)
	v_add_nc_u16 v33, v32, v41
	v_cndmask_b32_e64 v35, 0x10000, v31, s14
	v_cmp_eq_u32_e64 s14, 1, v34
	v_and_b32_e32 v32, 0xff000000, v30
	v_mbcnt_lo_u32_b32 v34, -1, 0
	v_and_b32_e32 v36, 0xffff, v33
	s_delay_alu instid0(VALU_DEP_4) | instskip(NEXT) | instid1(VALU_DEP_1)
	v_cndmask_b32_e64 v35, v35, 0x10000, s14
	v_or_b32_e32 v37, v35, v32
	s_delay_alu instid0(VALU_DEP_3) | instskip(NEXT) | instid1(VALU_DEP_2)
	v_or3_b32 v38, v32, v36, v35
	v_dual_lshrrev_b32 v36, 16, v37 :: v_dual_bitop2_b32 v35, 15, v34 bitop3:0x40
	s_delay_alu instid0(VALU_DEP_2) | instskip(NEXT) | instid1(VALU_DEP_2)
	v_mov_b32_dpp v39, v38 row_shr:1 row_mask:0xf bank_mask:0xf
	v_cmpx_ne_u32_e32 0, v35
	s_cbranch_execz .LBB1300_167
; %bb.166:
	s_delay_alu instid0(VALU_DEP_2) | instskip(SKIP_1) | instid1(VALU_DEP_2)
	v_dual_lshrrev_b32 v36, 16, v37 :: v_dual_lshrrev_b32 v38, 16, v39
	v_and_b32_e32 v37, 0x10000, v37
	v_and_b32_e32 v36, 0xff, v36
	s_delay_alu instid0(VALU_DEP_1) | instskip(NEXT) | instid1(VALU_DEP_1)
	v_cmp_eq_u16_e64 s14, 0, v36
	v_dual_cndmask_b32 v39, 0, v39, s14 :: v_dual_bitop2_b32 v38, 1, v38 bitop3:0x40
	s_delay_alu instid0(VALU_DEP_4) | instskip(NEXT) | instid1(VALU_DEP_2)
	v_cmp_ne_u32_e64 s14, 0, v37
	v_add_nc_u16 v33, v39, v33
	s_delay_alu instid0(VALU_DEP_2) | instskip(NEXT) | instid1(VALU_DEP_2)
	v_cndmask_b32_e64 v36, v38, 1, s14
	v_and_b32_e32 v38, 0xffff, v33
	s_delay_alu instid0(VALU_DEP_2) | instskip(NEXT) | instid1(VALU_DEP_1)
	v_lshlrev_b32_e32 v37, 16, v36
	v_or3_b32 v38, v37, v38, v32
.LBB1300_167:
	s_or_b32 exec_lo, exec_lo, s20
	s_delay_alu instid0(VALU_DEP_1)
	v_lshrrev_b32_e32 v37, 16, v38
	v_mov_b32_dpp v39, v38 row_shr:2 row_mask:0xf bank_mask:0xf
	s_mov_b32 s20, exec_lo
	v_cmpx_lt_u32_e32 1, v35
	s_cbranch_execz .LBB1300_169
; %bb.168:
	v_and_b32_e32 v37, 0xff, v37
	v_and_b32_e32 v38, 0x10000, v38
	s_delay_alu instid0(VALU_DEP_2) | instskip(NEXT) | instid1(VALU_DEP_1)
	v_cmp_eq_u16_e64 s14, 0, v37
	v_dual_lshrrev_b32 v36, 16, v39 :: v_dual_cndmask_b32 v37, 0, v39, s14
	s_delay_alu instid0(VALU_DEP_1) | instskip(NEXT) | instid1(VALU_DEP_4)
	v_and_b32_e32 v36, 1, v36
	v_cmp_ne_u32_e64 s14, 0, v38
	s_delay_alu instid0(VALU_DEP_3) | instskip(NEXT) | instid1(VALU_DEP_2)
	v_add_nc_u16 v33, v37, v33
	v_cndmask_b32_e64 v36, v36, 1, s14
	s_delay_alu instid0(VALU_DEP_2) | instskip(NEXT) | instid1(VALU_DEP_2)
	v_and_b32_e32 v38, 0xffff, v33
	v_lshlrev_b32_e32 v37, 16, v36
	s_delay_alu instid0(VALU_DEP_1)
	v_or3_b32 v38, v37, v38, v32
	v_mov_b32_e32 v37, v36
.LBB1300_169:
	s_or_b32 exec_lo, exec_lo, s20
	s_delay_alu instid0(VALU_DEP_2)
	v_mov_b32_dpp v39, v38 row_shr:4 row_mask:0xf bank_mask:0xf
	s_mov_b32 s20, exec_lo
	v_cmpx_lt_u32_e32 3, v35
	s_cbranch_execz .LBB1300_171
; %bb.170:
	v_and_b32_e32 v38, 0xff, v37
	v_dual_lshrrev_b32 v36, 16, v39 :: v_dual_bitop2_b32 v37, 1, v37 bitop3:0x40
	s_delay_alu instid0(VALU_DEP_2) | instskip(NEXT) | instid1(VALU_DEP_1)
	v_cmp_eq_u16_e64 s14, 0, v38
	v_dual_cndmask_b32 v38, 0, v39, s14 :: v_dual_bitop2_b32 v36, 1, v36 bitop3:0x40
	s_delay_alu instid0(VALU_DEP_3) | instskip(NEXT) | instid1(VALU_DEP_2)
	v_cmp_eq_u32_e64 s14, 1, v37
	v_add_nc_u16 v33, v38, v33
	s_delay_alu instid0(VALU_DEP_2) | instskip(NEXT) | instid1(VALU_DEP_2)
	v_cndmask_b32_e64 v36, v36, 1, s14
	v_and_b32_e32 v38, 0xffff, v33
	s_delay_alu instid0(VALU_DEP_2) | instskip(NEXT) | instid1(VALU_DEP_1)
	v_lshlrev_b32_e32 v37, 16, v36
	v_or3_b32 v38, v37, v38, v32
	v_mov_b32_e32 v37, v36
.LBB1300_171:
	s_or_b32 exec_lo, exec_lo, s20
	s_delay_alu instid0(VALU_DEP_2)
	v_mov_b32_dpp v39, v38 row_shr:8 row_mask:0xf bank_mask:0xf
	s_mov_b32 s20, exec_lo
	v_cmpx_lt_u32_e32 7, v35
	s_cbranch_execz .LBB1300_173
; %bb.172:
	v_and_b32_e32 v36, 0xff, v37
	v_dual_lshrrev_b32 v35, 16, v39 :: v_dual_bitop2_b32 v37, 1, v37 bitop3:0x40
	s_delay_alu instid0(VALU_DEP_2) | instskip(NEXT) | instid1(VALU_DEP_2)
	v_cmp_eq_u16_e64 s14, 0, v36
	v_and_b32_e32 v35, 1, v35
	s_delay_alu instid0(VALU_DEP_2) | instskip(NEXT) | instid1(VALU_DEP_4)
	v_cndmask_b32_e64 v38, 0, v39, s14
	v_cmp_eq_u32_e64 s14, 1, v37
	s_delay_alu instid0(VALU_DEP_1) | instskip(NEXT) | instid1(VALU_DEP_1)
	v_cndmask_b32_e64 v36, v35, 1, s14
	v_lshlrev_b32_e32 v35, 16, v36
	s_delay_alu instid0(VALU_DEP_4) | instskip(NEXT) | instid1(VALU_DEP_1)
	v_add_nc_u16 v33, v38, v33
	v_and_b32_e32 v37, 0xffff, v33
	s_delay_alu instid0(VALU_DEP_1)
	v_or3_b32 v38, v35, v37, v32
	v_mov_b32_e32 v37, v36
.LBB1300_173:
	s_or_b32 exec_lo, exec_lo, s20
	ds_swizzle_b32 v35, v38 offset:swizzle(BROADCAST,32,15)
	v_and_b32_e32 v38, 16, v34
	s_mov_b32 s20, exec_lo
	s_delay_alu instid0(VALU_DEP_1)
	v_cmpx_ne_u32_e32 0, v38
	s_cbranch_execz .LBB1300_175
; %bb.174:
	v_and_b32_e32 v36, 0xff, v37
	s_delay_alu instid0(VALU_DEP_1) | instskip(SKIP_2) | instid1(VALU_DEP_1)
	v_cmp_eq_u16_e64 s14, 0, v36
	s_wait_dscnt 0x0
	v_dual_lshrrev_b32 v38, 16, v35 :: v_dual_bitop2_b32 v36, 1, v37 bitop3:0x40
	v_dual_cndmask_b32 v35, 0, v35, s14 :: v_dual_bitop2_b32 v37, 1, v38 bitop3:0x40
	s_delay_alu instid0(VALU_DEP_2) | instskip(NEXT) | instid1(VALU_DEP_2)
	v_cmp_eq_u32_e64 s14, 1, v36
	v_add_nc_u16 v33, v35, v33
	s_delay_alu instid0(VALU_DEP_2)
	v_cndmask_b32_e64 v36, v37, 1, s14
.LBB1300_175:
	s_or_b32 exec_lo, exec_lo, s20
	s_wait_dscnt 0x0
	s_delay_alu instid0(VALU_DEP_1) | instskip(SKIP_2) | instid1(VALU_DEP_3)
	v_and_b32_e32 v35, 0xff, v36
	v_add_nc_u32_e32 v36, -1, v34
	v_and_b32_e32 v33, 0xffff, v33
	; wave barrier
	v_lshlrev_b32_e32 v35, 16, v35
	s_delay_alu instid0(VALU_DEP_3) | instskip(NEXT) | instid1(VALU_DEP_2)
	v_cmp_gt_i32_e64 s14, 0, v36
	v_or3_b32 v32, v35, v33, v32
	s_delay_alu instid0(VALU_DEP_2) | instskip(NEXT) | instid1(VALU_DEP_1)
	v_cndmask_b32_e64 v34, v36, v34, s14
	v_lshlrev_b32_e32 v33, 2, v34
	ds_bpermute_b32 v32, v33, v32
	v_and_b32_e32 v33, 0xff0000, v30
	s_delay_alu instid0(VALU_DEP_1) | instskip(SKIP_1) | instid1(VALU_DEP_1)
	v_cmp_eq_u32_e64 s14, 0, v33
	s_wait_dscnt 0x0
	v_dual_lshrrev_b32 v34, 16, v32 :: v_dual_cndmask_b32 v32, 0, v32, s14
	v_cmp_eq_u32_e64 s14, 0, v31
	s_delay_alu instid0(VALU_DEP_2) | instskip(NEXT) | instid1(VALU_DEP_1)
	v_add_nc_u16 v30, v32, v30
	v_dual_cndmask_b32 v30, v30, v27, s2 :: v_dual_bitop2_b32 v33, 1, v34 bitop3:0x40
	s_delay_alu instid0(VALU_DEP_1) | instskip(NEXT) | instid1(VALU_DEP_1)
	v_cndmask_b32_e64 v31, 1, v33, s14
	v_cndmask_b32_e64 v29, v31, v29, s2
	ds_store_b16 v28, v30
	ds_store_b8 v28, v29 offset:2
	; wave barrier
	ds_load_u8 v31, v28 offset:6
	ds_load_u16 v32, v28 offset:4
	ds_load_u8 v33, v28 offset:10
	ds_load_u16 v34, v28 offset:8
	ds_load_u16 v35, v28 offset:12
	ds_load_u8 v36, v28 offset:14
	ds_load_u16 v37, v28 offset:16
	ds_load_u8 v38, v28 offset:18
	s_wait_dscnt 0x7
	v_cmp_eq_u16_e64 s14, 0, v31
	s_delay_alu instid0(VALU_DEP_1) | instskip(SKIP_2) | instid1(VALU_DEP_2)
	v_cndmask_b32_e64 v30, 0, v30, s14
	s_wait_dscnt 0x5
	v_cmp_eq_u16_e64 s14, 0, v33
	v_add_nc_u16 v30, v30, v32
	s_delay_alu instid0(VALU_DEP_1) | instskip(SKIP_2) | instid1(VALU_DEP_2)
	v_cndmask_b32_e64 v32, 0, v30, s14
	s_wait_dscnt 0x2
	v_cmp_eq_u16_e64 s14, 0, v36
	v_add_nc_u16 v32, v32, v34
	v_and_b32_e32 v31, 1, v31
	ds_load_u8 v34, v28 offset:22
	ds_load_u16 v40, v28 offset:20
	ds_load_u8 v41, v28 offset:26
	ds_load_u8 v42, v28 offset:30
	v_cndmask_b32_e64 v39, 0, v32, s14
	v_cmp_eq_u32_e64 s14, 1, v31
	v_and_b32_e32 v31, 1, v36
	s_delay_alu instid0(VALU_DEP_3) | instskip(NEXT) | instid1(VALU_DEP_3)
	v_add_nc_u16 v35, v39, v35
	v_cndmask_b32_e64 v29, v29, 1, s14
	s_wait_dscnt 0x4
	v_cmp_eq_u16_e64 s14, 0, v38
	v_and_b32_e32 v33, 1, v33
	ds_load_u16 v39, v28 offset:24
	ds_load_u16 v43, v28 offset:28
	v_cndmask_b32_e64 v36, 0, v35, s14
	v_cmp_eq_u32_e64 s14, 1, v33
	s_delay_alu instid0(VALU_DEP_2) | instskip(NEXT) | instid1(VALU_DEP_2)
	v_add_nc_u16 v36, v36, v37
	v_cndmask_b32_e64 v33, v29, 1, s14
	v_cmp_eq_u32_e64 s14, 1, v31
	v_and_b32_e32 v37, 1, v38
	s_wait_dscnt 0x2
	v_and_b32_e32 v44, 1, v42
	s_delay_alu instid0(VALU_DEP_3) | instskip(SKIP_1) | instid1(VALU_DEP_1)
	v_cndmask_b32_e64 v31, v33, 1, s14
	v_cmp_eq_u16_e64 s14, 0, v34
	v_dual_cndmask_b32 v38, 0, v36, s14 :: v_dual_bitop2_b32 v34, 1, v34 bitop3:0x40
	v_cmp_eq_u32_e64 s14, 1, v37
	s_delay_alu instid0(VALU_DEP_2) | instskip(NEXT) | instid1(VALU_DEP_2)
	v_add_nc_u16 v38, v38, v40
	v_cndmask_b32_e64 v37, v31, 1, s14
	s_delay_alu instid0(VALU_DEP_4)
	v_cmp_eq_u32_e64 s14, 1, v34
	v_and_b32_e32 v40, 1, v41
	ds_store_b16 v28, v30 offset:4
	ds_store_b8 v28, v29 offset:6
	ds_store_b16 v28, v32 offset:8
	ds_store_b8 v28, v33 offset:10
	;; [unrolled: 2-line block ×4, first 2 shown]
	v_cndmask_b32_e64 v34, v37, 1, s14
	v_cmp_eq_u16_e64 s14, 0, v41
	s_delay_alu instid0(VALU_DEP_1) | instskip(SKIP_2) | instid1(VALU_DEP_2)
	v_cndmask_b32_e64 v41, 0, v38, s14
	v_cmp_eq_u32_e64 s14, 1, v40
	s_wait_dscnt 0x9
	v_add_nc_u16 v39, v41, v39
	s_delay_alu instid0(VALU_DEP_2) | instskip(SKIP_1) | instid1(VALU_DEP_1)
	v_cndmask_b32_e64 v40, v34, 1, s14
	v_cmp_eq_u32_e64 s14, 1, v44
	v_cndmask_b32_e64 v41, v40, 1, s14
	v_cmp_eq_u16_e64 s14, 0, v42
	s_delay_alu instid0(VALU_DEP_1) | instskip(SKIP_1) | instid1(VALU_DEP_1)
	v_cndmask_b32_e64 v42, 0, v39, s14
	s_wait_dscnt 0x8
	v_add_nc_u16 v29, v42, v43
	ds_store_b16 v28, v38 offset:20
	ds_store_b8 v28, v34 offset:22
	ds_store_b16 v28, v39 offset:24
	ds_store_b8 v28, v40 offset:26
	;; [unrolled: 2-line block ×3, first 2 shown]
.LBB1300_176:
	s_or_b32 exec_lo, exec_lo, s15
	s_wait_dscnt 0x0
	s_barrier_signal -1
	s_barrier_wait -1
	s_and_saveexec_b32 s14, s3
	s_cbranch_execz .LBB1300_178
; %bb.177:
	v_add_nc_u32_e32 v1, -1, v0
	v_cmp_gt_u32_e64 s3, 0x10000, v26
	s_delay_alu instid0(VALU_DEP_2) | instskip(NEXT) | instid1(VALU_DEP_1)
	v_lshrrev_b32_e32 v14, 3, v1
	v_and_b32_e32 v14, 0x1ffffffc, v14
	s_delay_alu instid0(VALU_DEP_1) | instskip(SKIP_4) | instid1(VALU_DEP_1)
	v_lshl_add_u32 v1, v1, 2, v14
	ds_load_u16 v1, v1
	;;#ASMSTART
	;;#ASMEND
	s_wait_dscnt 0x0
	v_cndmask_b32_e64 v1, 0, v1, s3
	v_add_nc_u32_e32 v26, v1, v26
	s_delay_alu instid0(VALU_DEP_1) | instskip(NEXT) | instid1(VALU_DEP_1)
	v_cndmask_b32_e32 v1, 0, v26, vcc_lo
	v_add_nc_u16 v1, v1, v2
	s_delay_alu instid0(VALU_DEP_1) | instskip(NEXT) | instid1(VALU_DEP_1)
	v_cndmask_b32_e64 v2, 0, v1, s0
	v_add_nc_u16 v14, v2, v3
	s_delay_alu instid0(VALU_DEP_1) | instskip(NEXT) | instid1(VALU_DEP_1)
	v_cndmask_b32_e64 v2, 0, v14, s1
	v_add_nc_u16 v15, v2, v4
	s_delay_alu instid0(VALU_DEP_1) | instskip(NEXT) | instid1(VALU_DEP_1)
	v_cndmask_b32_e64 v2, 0, v15, s4
	v_add_nc_u16 v16, v2, v5
	s_delay_alu instid0(VALU_DEP_1) | instskip(NEXT) | instid1(VALU_DEP_1)
	v_cndmask_b32_e64 v2, 0, v16, s5
	v_add_nc_u16 v17, v2, v6
	s_delay_alu instid0(VALU_DEP_1) | instskip(NEXT) | instid1(VALU_DEP_1)
	v_cndmask_b32_e64 v2, 0, v17, s6
	v_add_nc_u16 v18, v2, v7
	s_delay_alu instid0(VALU_DEP_1) | instskip(NEXT) | instid1(VALU_DEP_1)
	v_cndmask_b32_e64 v2, 0, v18, s7
	v_add_nc_u16 v19, v2, v8
	s_delay_alu instid0(VALU_DEP_1) | instskip(NEXT) | instid1(VALU_DEP_1)
	v_cndmask_b32_e64 v2, 0, v19, s8
	v_add_nc_u16 v20, v2, v9
	s_delay_alu instid0(VALU_DEP_1) | instskip(NEXT) | instid1(VALU_DEP_1)
	v_cndmask_b32_e64 v2, 0, v20, s9
	v_add_nc_u16 v21, v2, v10
	s_delay_alu instid0(VALU_DEP_1) | instskip(NEXT) | instid1(VALU_DEP_1)
	v_cndmask_b32_e64 v2, 0, v21, s10
	v_add_nc_u16 v23, v2, v11
	s_delay_alu instid0(VALU_DEP_1) | instskip(NEXT) | instid1(VALU_DEP_1)
	v_cndmask_b32_e64 v2, 0, v23, s11
	v_add_nc_u16 v24, v2, v12
	s_delay_alu instid0(VALU_DEP_1) | instskip(NEXT) | instid1(VALU_DEP_1)
	v_cndmask_b32_e64 v2, 0, v24, s12
	v_add_nc_u16 v25, v2, v13
	s_delay_alu instid0(VALU_DEP_1) | instskip(NEXT) | instid1(VALU_DEP_1)
	v_cndmask_b32_e64 v2, 0, v25, s13
	v_add_nc_u16 v27, v2, v22
.LBB1300_178:
	s_or_b32 exec_lo, exec_lo, s14
	s_and_saveexec_b32 s0, s2
	s_cbranch_execz .LBB1300_180
; %bb.179:
	v_mov_b32_e32 v4, 0
	ds_load_u8 v2, v4 offset:1050
	ds_load_u16 v3, v4 offset:1048
	s_wait_dscnt 0x1
	v_lshlrev_b32_e32 v2, 16, v2
	s_wait_dscnt 0x0
	v_and_b32_e32 v3, 0xffff, v3
	s_delay_alu instid0(VALU_DEP_1)
	v_dual_mov_b32 v3, 2 :: v_dual_bitop2_b32 v2, v2, v3 bitop3:0x54
	global_store_b64 v4, v[2:3], s[28:29] offset:256 scope:SCOPE_DEV
.LBB1300_180:
	s_wait_xcnt 0x0
	s_or_b32 exec_lo, exec_lo, s0
	v_mov_b32_e32 v29, v26
.LBB1300_181:
	v_mov_b32_e32 v2, 0
	s_add_nc_u64 s[0:1], s[18:19], s[34:35]
	s_and_b32 vcc_lo, exec_lo, s31
	s_add_nc_u64 s[0:1], s[0:1], s[16:17]
	s_cbranch_vccz .LBB1300_237
; %bb.182:
	v_mul_u32_u24_e32 v3, 14, v0
	v_dual_mov_b32 v4, 0 :: v_dual_mov_b32 v5, 0
	v_dual_mov_b32 v6, 0 :: v_dual_mov_b32 v7, 0
	;; [unrolled: 1-line block ×3, first 2 shown]
	s_add_co_i32 s33, s33, s30
	s_mov_b32 s2, exec_lo
	v_cmpx_gt_u32_e64 s33, v3
	s_cbranch_execz .LBB1300_210
; %bb.183:
	v_dual_mov_b32 v4, 0 :: v_dual_bitop2_b32 v7, 1, v3 bitop3:0x54
	v_and_b32_e32 v2, 0xffff, v29
	v_dual_mov_b32 v5, 0 :: v_dual_mov_b32 v6, 0
	s_delay_alu instid0(VALU_DEP_3)
	v_cmp_gt_u32_e32 vcc_lo, s33, v7
	v_dual_mov_b32 v7, 0 :: v_dual_mov_b32 v8, 0
	v_mov_b32_e32 v9, 0
	s_and_saveexec_b32 s3, vcc_lo
	s_cbranch_execz .LBB1300_209
; %bb.184:
	v_perm_b32 v2, v1, v2, 0x5040100
	v_dual_mov_b32 v9, 0 :: v_dual_mov_b32 v8, 0
	v_dual_mov_b32 v7, 0 :: v_dual_add_nc_u32 v10, 2, v3
	v_dual_mov_b32 v6, 0 :: v_dual_mov_b32 v5, 0
	v_mov_b32_e32 v4, 0
	s_mov_b32 s4, exec_lo
	s_delay_alu instid0(VALU_DEP_3)
	v_cmpx_gt_u32_e64 s33, v10
	s_cbranch_execz .LBB1300_208
; %bb.185:
	v_bfi_b32 v4, 0xffff, v14, 0
	v_dual_mov_b32 v9, 0 :: v_dual_add_nc_u32 v10, 3, v3
	v_dual_mov_b32 v8, 0 :: v_dual_mov_b32 v7, 0
	v_dual_mov_b32 v6, 0 :: v_dual_mov_b32 v5, 0
	s_mov_b32 s5, exec_lo
	s_delay_alu instid0(VALU_DEP_3)
	v_cmpx_gt_u32_e64 s33, v10
	s_cbranch_execz .LBB1300_207
; %bb.186:
	v_perm_b32 v4, v15, v4, 0x5040100
	v_dual_mov_b32 v9, 0 :: v_dual_add_nc_u32 v10, 4, v3
	v_dual_mov_b32 v8, 0 :: v_dual_mov_b32 v7, 0
	v_dual_mov_b32 v6, 0 :: v_dual_mov_b32 v5, 0
	s_mov_b32 s6, exec_lo
	s_delay_alu instid0(VALU_DEP_3)
	v_cmpx_gt_u32_e64 s33, v10
	s_cbranch_execz .LBB1300_206
; %bb.187:
	v_bfi_b32 v5, 0xffff, v16, 0
	v_dual_mov_b32 v9, 0 :: v_dual_add_nc_u32 v10, 5, v3
	v_dual_mov_b32 v8, 0 :: v_dual_mov_b32 v7, 0
	v_mov_b32_e32 v6, 0
	s_mov_b32 s7, exec_lo
	s_delay_alu instid0(VALU_DEP_3)
	v_cmpx_gt_u32_e64 s33, v10
	s_cbranch_execz .LBB1300_205
; %bb.188:
	v_perm_b32 v5, v17, v5, 0x5040100
	v_dual_mov_b32 v9, 0 :: v_dual_add_nc_u32 v10, 6, v3
	v_dual_mov_b32 v8, 0 :: v_dual_mov_b32 v7, 0
	v_mov_b32_e32 v6, 0
	s_mov_b32 s8, exec_lo
	s_delay_alu instid0(VALU_DEP_3)
	v_cmpx_gt_u32_e64 s33, v10
	s_cbranch_execz .LBB1300_204
; %bb.189:
	v_dual_mov_b32 v9, 0 :: v_dual_add_nc_u32 v10, 7, v3
	v_bfi_b32 v6, 0xffff, v18, 0
	v_dual_mov_b32 v8, 0 :: v_dual_mov_b32 v7, 0
	s_mov_b32 s9, exec_lo
	s_delay_alu instid0(VALU_DEP_3)
	v_cmpx_gt_u32_e64 s33, v10
	s_cbranch_execz .LBB1300_203
; %bb.190:
	v_dual_mov_b32 v9, 0 :: v_dual_add_nc_u32 v10, 8, v3
	v_perm_b32 v6, v19, v6, 0x5040100
	v_dual_mov_b32 v8, 0 :: v_dual_mov_b32 v7, 0
	s_mov_b32 s10, exec_lo
	s_delay_alu instid0(VALU_DEP_3)
	v_cmpx_gt_u32_e64 s33, v10
	s_cbranch_execz .LBB1300_202
; %bb.191:
	v_dual_mov_b32 v9, 0 :: v_dual_add_nc_u32 v10, 9, v3
	v_bfi_b32 v7, 0xffff, v20, 0
	v_mov_b32_e32 v8, 0
	s_mov_b32 s11, exec_lo
	s_delay_alu instid0(VALU_DEP_3)
	v_cmpx_gt_u32_e64 s33, v10
	s_cbranch_execz .LBB1300_201
; %bb.192:
	v_dual_mov_b32 v9, 0 :: v_dual_add_nc_u32 v10, 10, v3
	v_perm_b32 v7, v21, v7, 0x5040100
	v_mov_b32_e32 v8, 0
	s_mov_b32 s12, exec_lo
	s_delay_alu instid0(VALU_DEP_3)
	v_cmpx_gt_u32_e64 s33, v10
	s_cbranch_execz .LBB1300_200
; %bb.193:
	v_dual_mov_b32 v9, 0 :: v_dual_add_nc_u32 v10, 11, v3
	v_bfi_b32 v8, 0xffff, v23, 0
	s_mov_b32 s13, exec_lo
	s_delay_alu instid0(VALU_DEP_2)
	v_cmpx_gt_u32_e64 s33, v10
	s_cbranch_execz .LBB1300_199
; %bb.194:
	v_dual_mov_b32 v9, 0 :: v_dual_add_nc_u32 v10, 12, v3
	v_perm_b32 v8, v24, v8, 0x5040100
	s_mov_b32 s14, exec_lo
	s_delay_alu instid0(VALU_DEP_2)
	v_cmpx_gt_u32_e64 s33, v10
	s_cbranch_execz .LBB1300_198
; %bb.195:
	v_add_nc_u32_e32 v10, 13, v3
	v_bfi_b32 v9, 0xffff, v25, 0
	s_mov_b32 s15, exec_lo
	s_delay_alu instid0(VALU_DEP_2)
	v_cmpx_gt_u32_e64 s33, v10
; %bb.196:
	s_delay_alu instid0(VALU_DEP_2)
	v_perm_b32 v9, v27, v9, 0x5040100
; %bb.197:
	s_or_b32 exec_lo, exec_lo, s15
.LBB1300_198:
	s_delay_alu instid0(SALU_CYCLE_1)
	s_or_b32 exec_lo, exec_lo, s14
.LBB1300_199:
	s_delay_alu instid0(SALU_CYCLE_1)
	s_or_b32 exec_lo, exec_lo, s13
.LBB1300_200:
	s_delay_alu instid0(SALU_CYCLE_1)
	s_or_b32 exec_lo, exec_lo, s12
.LBB1300_201:
	s_delay_alu instid0(SALU_CYCLE_1)
	s_or_b32 exec_lo, exec_lo, s11
.LBB1300_202:
	s_delay_alu instid0(SALU_CYCLE_1)
	s_or_b32 exec_lo, exec_lo, s10
.LBB1300_203:
	s_delay_alu instid0(SALU_CYCLE_1)
	s_or_b32 exec_lo, exec_lo, s9
.LBB1300_204:
	s_delay_alu instid0(SALU_CYCLE_1)
	s_or_b32 exec_lo, exec_lo, s8
.LBB1300_205:
	s_delay_alu instid0(SALU_CYCLE_1)
	s_or_b32 exec_lo, exec_lo, s7
.LBB1300_206:
	s_delay_alu instid0(SALU_CYCLE_1)
	s_or_b32 exec_lo, exec_lo, s6
.LBB1300_207:
	s_delay_alu instid0(SALU_CYCLE_1)
	s_or_b32 exec_lo, exec_lo, s5
.LBB1300_208:
	s_delay_alu instid0(SALU_CYCLE_1)
	s_or_b32 exec_lo, exec_lo, s4
.LBB1300_209:
	s_delay_alu instid0(SALU_CYCLE_1)
	s_or_b32 exec_lo, exec_lo, s3
.LBB1300_210:
	s_delay_alu instid0(SALU_CYCLE_1)
	s_or_b32 exec_lo, exec_lo, s2
	v_dual_mov_b32 v3, 0 :: v_dual_lshlrev_b32 v28, 1, v3
	s_wait_storecnt 0x0
	s_barrier_signal -1
	s_barrier_wait -1
	ds_store_2addr_b32 v28, v2, v4 offset1:1
	ds_store_2addr_b32 v28, v5, v6 offset0:2 offset1:3
	ds_store_2addr_b32 v28, v7, v8 offset0:4 offset1:5
	ds_store_b32 v28, v9 offset:24
	v_mad_i32_i24 v2, 0xffffffe6, v0, v28
	s_wait_dscnt 0x0
	s_barrier_signal -1
	s_barrier_wait -1
	ds_load_u16 v30, v2 offset:512
	ds_load_u16 v26, v2 offset:1024
	;; [unrolled: 1-line block ×13, first 2 shown]
	v_lshlrev_b32_e32 v2, 1, v0
	s_mov_b32 s2, exec_lo
	s_delay_alu instid0(VALU_DEP_1)
	v_add_nc_u64_e32 v[2:3], s[0:1], v[2:3]
	v_cmpx_gt_u32_e64 s33, v0
	s_cbranch_execz .LBB1300_212
; %bb.211:
	v_mul_i32_i24_e32 v31, 0xffffffe6, v0
	s_delay_alu instid0(VALU_DEP_1)
	v_add_nc_u32_e32 v28, v28, v31
	ds_load_u16 v28, v28
	s_wait_dscnt 0x0
	flat_store_b16 v[2:3], v28
.LBB1300_212:
	s_wait_xcnt 0x0
	s_or_b32 exec_lo, exec_lo, s2
	v_or_b32_e32 v28, 0x100, v0
	s_mov_b32 s2, exec_lo
	s_delay_alu instid0(VALU_DEP_1)
	v_cmpx_gt_u32_e64 s33, v28
	s_cbranch_execz .LBB1300_214
; %bb.213:
	s_wait_dscnt 0xc
	flat_store_b16 v[2:3], v30 offset:512
.LBB1300_214:
	s_wait_xcnt 0x0
	s_or_b32 exec_lo, exec_lo, s2
	v_or_b32_e32 v28, 0x200, v0
	s_mov_b32 s2, exec_lo
	s_delay_alu instid0(VALU_DEP_1)
	v_cmpx_gt_u32_e64 s33, v28
	s_cbranch_execz .LBB1300_216
; %bb.215:
	s_wait_dscnt 0xb
	flat_store_b16 v[2:3], v26 offset:1024
.LBB1300_216:
	s_wait_xcnt 0x0
	s_or_b32 exec_lo, exec_lo, s2
	s_wait_dscnt 0xb
	v_or_b32_e32 v26, 0x300, v0
	s_mov_b32 s2, exec_lo
	s_delay_alu instid0(VALU_DEP_1)
	v_cmpx_gt_u32_e64 s33, v26
	s_cbranch_execz .LBB1300_218
; %bb.217:
	s_wait_dscnt 0xa
	flat_store_b16 v[2:3], v22 offset:1536
.LBB1300_218:
	s_wait_xcnt 0x0
	s_or_b32 exec_lo, exec_lo, s2
	s_wait_dscnt 0xa
	;; [unrolled: 12-line block ×10, first 2 shown]
	v_or_b32_e32 v6, 0xc00, v0
	s_mov_b32 s2, exec_lo
	s_delay_alu instid0(VALU_DEP_1)
	v_cmpx_gt_u32_e64 s33, v6
	s_cbranch_execz .LBB1300_236
; %bb.235:
	s_wait_dscnt 0x1
	flat_store_b16 v[2:3], v5 offset:6144
.LBB1300_236:
	s_wait_xcnt 0x0
	s_or_b32 exec_lo, exec_lo, s2
	v_or_b32_e32 v2, 0xd00, v0
	s_delay_alu instid0(VALU_DEP_1)
	v_cmp_gt_u32_e64 s2, s33, v2
	s_branch .LBB1300_239
.LBB1300_237:
	s_mov_b32 s2, 0
                                        ; implicit-def: $vgpr4
	s_cbranch_execz .LBB1300_239
; %bb.238:
	v_mul_u32_u24_e32 v2, 28, v0
	v_perm_b32 v3, v15, v14, 0x5040100
	v_perm_b32 v1, v1, v29, 0x5040100
	v_mul_i32_i24_e32 v9, 0xffffffe6, v0
	s_wait_dscnt 0x0
	v_perm_b32 v4, v19, v18, 0x5040100
	v_perm_b32 v5, v17, v16, 0x5040100
	;; [unrolled: 1-line block ×5, first 2 shown]
	s_wait_storecnt 0x0
	s_barrier_signal -1
	s_barrier_wait -1
	ds_store_2addr_b32 v2, v1, v3 offset1:1
	ds_store_2addr_b32 v2, v5, v4 offset0:2 offset1:3
	ds_store_2addr_b32 v2, v7, v6 offset0:4 offset1:5
	ds_store_b32 v2, v8 offset:24
	v_mad_u32_u24 v1, v0, 28, v9
	s_wait_dscnt 0x0
	s_barrier_signal -1
	s_barrier_wait -1
	ds_load_u16 v2, v1
	ds_load_u16 v3, v1 offset:512
	ds_load_u16 v5, v1 offset:1024
	;; [unrolled: 1-line block ×13, first 2 shown]
	s_or_b32 s2, s2, exec_lo
	s_wait_dscnt 0xd
	flat_store_b16 v0, v2, s[0:1] scale_offset
	s_wait_dscnt 0xd
	flat_store_b16 v0, v3, s[0:1] offset:512 scale_offset
	s_wait_dscnt 0xd
	flat_store_b16 v0, v5, s[0:1] offset:1024 scale_offset
	;; [unrolled: 2-line block ×12, first 2 shown]
.LBB1300_239:
	s_wait_xcnt 0x0
	s_delay_alu instid0(VALU_DEP_1)
	s_and_saveexec_b32 s3, s2
	s_cbranch_execnz .LBB1300_241
; %bb.240:
	s_endpgm
.LBB1300_241:
	s_wait_dscnt 0x0
	flat_store_b16 v0, v4, s[0:1] offset:6656 scale_offset
	s_endpgm
	.section	.rodata,"a",@progbits
	.p2align	6, 0x0
	.amdhsa_kernel _ZN7rocprim17ROCPRIM_400000_NS6detail17trampoline_kernelINS0_14default_configENS1_27scan_by_key_config_selectorIitEEZZNS1_16scan_by_key_implILNS1_25lookback_scan_determinismE0ELb0ES3_N6thrust23THRUST_200600_302600_NS6detail15normal_iteratorINS9_10device_ptrIiEEEENSB_INSC_ItEEEESG_tNS9_4plusIvEENS9_8equal_toIvEEtEE10hipError_tPvRmT2_T3_T4_T5_mT6_T7_P12ihipStream_tbENKUlT_T0_E_clISt17integral_constantIbLb0EES10_IbLb1EEEEDaSW_SX_EUlSW_E_NS1_11comp_targetILNS1_3genE0ELNS1_11target_archE4294967295ELNS1_3gpuE0ELNS1_3repE0EEENS1_30default_config_static_selectorELNS0_4arch9wavefront6targetE0EEEvT1_
		.amdhsa_group_segment_fixed_size 16384
		.amdhsa_private_segment_fixed_size 0
		.amdhsa_kernarg_size 112
		.amdhsa_user_sgpr_count 2
		.amdhsa_user_sgpr_dispatch_ptr 0
		.amdhsa_user_sgpr_queue_ptr 0
		.amdhsa_user_sgpr_kernarg_segment_ptr 1
		.amdhsa_user_sgpr_dispatch_id 0
		.amdhsa_user_sgpr_kernarg_preload_length 0
		.amdhsa_user_sgpr_kernarg_preload_offset 0
		.amdhsa_user_sgpr_private_segment_size 0
		.amdhsa_wavefront_size32 1
		.amdhsa_uses_dynamic_stack 0
		.amdhsa_enable_private_segment 0
		.amdhsa_system_sgpr_workgroup_id_x 1
		.amdhsa_system_sgpr_workgroup_id_y 0
		.amdhsa_system_sgpr_workgroup_id_z 0
		.amdhsa_system_sgpr_workgroup_info 0
		.amdhsa_system_vgpr_workitem_id 0
		.amdhsa_next_free_vgpr 45
		.amdhsa_next_free_sgpr 45
		.amdhsa_named_barrier_count 0
		.amdhsa_reserve_vcc 1
		.amdhsa_float_round_mode_32 0
		.amdhsa_float_round_mode_16_64 0
		.amdhsa_float_denorm_mode_32 3
		.amdhsa_float_denorm_mode_16_64 3
		.amdhsa_fp16_overflow 0
		.amdhsa_memory_ordered 1
		.amdhsa_forward_progress 1
		.amdhsa_inst_pref_size 115
		.amdhsa_round_robin_scheduling 0
		.amdhsa_exception_fp_ieee_invalid_op 0
		.amdhsa_exception_fp_denorm_src 0
		.amdhsa_exception_fp_ieee_div_zero 0
		.amdhsa_exception_fp_ieee_overflow 0
		.amdhsa_exception_fp_ieee_underflow 0
		.amdhsa_exception_fp_ieee_inexact 0
		.amdhsa_exception_int_div_zero 0
	.end_amdhsa_kernel
	.section	.text._ZN7rocprim17ROCPRIM_400000_NS6detail17trampoline_kernelINS0_14default_configENS1_27scan_by_key_config_selectorIitEEZZNS1_16scan_by_key_implILNS1_25lookback_scan_determinismE0ELb0ES3_N6thrust23THRUST_200600_302600_NS6detail15normal_iteratorINS9_10device_ptrIiEEEENSB_INSC_ItEEEESG_tNS9_4plusIvEENS9_8equal_toIvEEtEE10hipError_tPvRmT2_T3_T4_T5_mT6_T7_P12ihipStream_tbENKUlT_T0_E_clISt17integral_constantIbLb0EES10_IbLb1EEEEDaSW_SX_EUlSW_E_NS1_11comp_targetILNS1_3genE0ELNS1_11target_archE4294967295ELNS1_3gpuE0ELNS1_3repE0EEENS1_30default_config_static_selectorELNS0_4arch9wavefront6targetE0EEEvT1_,"axG",@progbits,_ZN7rocprim17ROCPRIM_400000_NS6detail17trampoline_kernelINS0_14default_configENS1_27scan_by_key_config_selectorIitEEZZNS1_16scan_by_key_implILNS1_25lookback_scan_determinismE0ELb0ES3_N6thrust23THRUST_200600_302600_NS6detail15normal_iteratorINS9_10device_ptrIiEEEENSB_INSC_ItEEEESG_tNS9_4plusIvEENS9_8equal_toIvEEtEE10hipError_tPvRmT2_T3_T4_T5_mT6_T7_P12ihipStream_tbENKUlT_T0_E_clISt17integral_constantIbLb0EES10_IbLb1EEEEDaSW_SX_EUlSW_E_NS1_11comp_targetILNS1_3genE0ELNS1_11target_archE4294967295ELNS1_3gpuE0ELNS1_3repE0EEENS1_30default_config_static_selectorELNS0_4arch9wavefront6targetE0EEEvT1_,comdat
.Lfunc_end1300:
	.size	_ZN7rocprim17ROCPRIM_400000_NS6detail17trampoline_kernelINS0_14default_configENS1_27scan_by_key_config_selectorIitEEZZNS1_16scan_by_key_implILNS1_25lookback_scan_determinismE0ELb0ES3_N6thrust23THRUST_200600_302600_NS6detail15normal_iteratorINS9_10device_ptrIiEEEENSB_INSC_ItEEEESG_tNS9_4plusIvEENS9_8equal_toIvEEtEE10hipError_tPvRmT2_T3_T4_T5_mT6_T7_P12ihipStream_tbENKUlT_T0_E_clISt17integral_constantIbLb0EES10_IbLb1EEEEDaSW_SX_EUlSW_E_NS1_11comp_targetILNS1_3genE0ELNS1_11target_archE4294967295ELNS1_3gpuE0ELNS1_3repE0EEENS1_30default_config_static_selectorELNS0_4arch9wavefront6targetE0EEEvT1_, .Lfunc_end1300-_ZN7rocprim17ROCPRIM_400000_NS6detail17trampoline_kernelINS0_14default_configENS1_27scan_by_key_config_selectorIitEEZZNS1_16scan_by_key_implILNS1_25lookback_scan_determinismE0ELb0ES3_N6thrust23THRUST_200600_302600_NS6detail15normal_iteratorINS9_10device_ptrIiEEEENSB_INSC_ItEEEESG_tNS9_4plusIvEENS9_8equal_toIvEEtEE10hipError_tPvRmT2_T3_T4_T5_mT6_T7_P12ihipStream_tbENKUlT_T0_E_clISt17integral_constantIbLb0EES10_IbLb1EEEEDaSW_SX_EUlSW_E_NS1_11comp_targetILNS1_3genE0ELNS1_11target_archE4294967295ELNS1_3gpuE0ELNS1_3repE0EEENS1_30default_config_static_selectorELNS0_4arch9wavefront6targetE0EEEvT1_
                                        ; -- End function
	.set _ZN7rocprim17ROCPRIM_400000_NS6detail17trampoline_kernelINS0_14default_configENS1_27scan_by_key_config_selectorIitEEZZNS1_16scan_by_key_implILNS1_25lookback_scan_determinismE0ELb0ES3_N6thrust23THRUST_200600_302600_NS6detail15normal_iteratorINS9_10device_ptrIiEEEENSB_INSC_ItEEEESG_tNS9_4plusIvEENS9_8equal_toIvEEtEE10hipError_tPvRmT2_T3_T4_T5_mT6_T7_P12ihipStream_tbENKUlT_T0_E_clISt17integral_constantIbLb0EES10_IbLb1EEEEDaSW_SX_EUlSW_E_NS1_11comp_targetILNS1_3genE0ELNS1_11target_archE4294967295ELNS1_3gpuE0ELNS1_3repE0EEENS1_30default_config_static_selectorELNS0_4arch9wavefront6targetE0EEEvT1_.num_vgpr, 45
	.set _ZN7rocprim17ROCPRIM_400000_NS6detail17trampoline_kernelINS0_14default_configENS1_27scan_by_key_config_selectorIitEEZZNS1_16scan_by_key_implILNS1_25lookback_scan_determinismE0ELb0ES3_N6thrust23THRUST_200600_302600_NS6detail15normal_iteratorINS9_10device_ptrIiEEEENSB_INSC_ItEEEESG_tNS9_4plusIvEENS9_8equal_toIvEEtEE10hipError_tPvRmT2_T3_T4_T5_mT6_T7_P12ihipStream_tbENKUlT_T0_E_clISt17integral_constantIbLb0EES10_IbLb1EEEEDaSW_SX_EUlSW_E_NS1_11comp_targetILNS1_3genE0ELNS1_11target_archE4294967295ELNS1_3gpuE0ELNS1_3repE0EEENS1_30default_config_static_selectorELNS0_4arch9wavefront6targetE0EEEvT1_.num_agpr, 0
	.set _ZN7rocprim17ROCPRIM_400000_NS6detail17trampoline_kernelINS0_14default_configENS1_27scan_by_key_config_selectorIitEEZZNS1_16scan_by_key_implILNS1_25lookback_scan_determinismE0ELb0ES3_N6thrust23THRUST_200600_302600_NS6detail15normal_iteratorINS9_10device_ptrIiEEEENSB_INSC_ItEEEESG_tNS9_4plusIvEENS9_8equal_toIvEEtEE10hipError_tPvRmT2_T3_T4_T5_mT6_T7_P12ihipStream_tbENKUlT_T0_E_clISt17integral_constantIbLb0EES10_IbLb1EEEEDaSW_SX_EUlSW_E_NS1_11comp_targetILNS1_3genE0ELNS1_11target_archE4294967295ELNS1_3gpuE0ELNS1_3repE0EEENS1_30default_config_static_selectorELNS0_4arch9wavefront6targetE0EEEvT1_.numbered_sgpr, 45
	.set _ZN7rocprim17ROCPRIM_400000_NS6detail17trampoline_kernelINS0_14default_configENS1_27scan_by_key_config_selectorIitEEZZNS1_16scan_by_key_implILNS1_25lookback_scan_determinismE0ELb0ES3_N6thrust23THRUST_200600_302600_NS6detail15normal_iteratorINS9_10device_ptrIiEEEENSB_INSC_ItEEEESG_tNS9_4plusIvEENS9_8equal_toIvEEtEE10hipError_tPvRmT2_T3_T4_T5_mT6_T7_P12ihipStream_tbENKUlT_T0_E_clISt17integral_constantIbLb0EES10_IbLb1EEEEDaSW_SX_EUlSW_E_NS1_11comp_targetILNS1_3genE0ELNS1_11target_archE4294967295ELNS1_3gpuE0ELNS1_3repE0EEENS1_30default_config_static_selectorELNS0_4arch9wavefront6targetE0EEEvT1_.num_named_barrier, 0
	.set _ZN7rocprim17ROCPRIM_400000_NS6detail17trampoline_kernelINS0_14default_configENS1_27scan_by_key_config_selectorIitEEZZNS1_16scan_by_key_implILNS1_25lookback_scan_determinismE0ELb0ES3_N6thrust23THRUST_200600_302600_NS6detail15normal_iteratorINS9_10device_ptrIiEEEENSB_INSC_ItEEEESG_tNS9_4plusIvEENS9_8equal_toIvEEtEE10hipError_tPvRmT2_T3_T4_T5_mT6_T7_P12ihipStream_tbENKUlT_T0_E_clISt17integral_constantIbLb0EES10_IbLb1EEEEDaSW_SX_EUlSW_E_NS1_11comp_targetILNS1_3genE0ELNS1_11target_archE4294967295ELNS1_3gpuE0ELNS1_3repE0EEENS1_30default_config_static_selectorELNS0_4arch9wavefront6targetE0EEEvT1_.private_seg_size, 0
	.set _ZN7rocprim17ROCPRIM_400000_NS6detail17trampoline_kernelINS0_14default_configENS1_27scan_by_key_config_selectorIitEEZZNS1_16scan_by_key_implILNS1_25lookback_scan_determinismE0ELb0ES3_N6thrust23THRUST_200600_302600_NS6detail15normal_iteratorINS9_10device_ptrIiEEEENSB_INSC_ItEEEESG_tNS9_4plusIvEENS9_8equal_toIvEEtEE10hipError_tPvRmT2_T3_T4_T5_mT6_T7_P12ihipStream_tbENKUlT_T0_E_clISt17integral_constantIbLb0EES10_IbLb1EEEEDaSW_SX_EUlSW_E_NS1_11comp_targetILNS1_3genE0ELNS1_11target_archE4294967295ELNS1_3gpuE0ELNS1_3repE0EEENS1_30default_config_static_selectorELNS0_4arch9wavefront6targetE0EEEvT1_.uses_vcc, 1
	.set _ZN7rocprim17ROCPRIM_400000_NS6detail17trampoline_kernelINS0_14default_configENS1_27scan_by_key_config_selectorIitEEZZNS1_16scan_by_key_implILNS1_25lookback_scan_determinismE0ELb0ES3_N6thrust23THRUST_200600_302600_NS6detail15normal_iteratorINS9_10device_ptrIiEEEENSB_INSC_ItEEEESG_tNS9_4plusIvEENS9_8equal_toIvEEtEE10hipError_tPvRmT2_T3_T4_T5_mT6_T7_P12ihipStream_tbENKUlT_T0_E_clISt17integral_constantIbLb0EES10_IbLb1EEEEDaSW_SX_EUlSW_E_NS1_11comp_targetILNS1_3genE0ELNS1_11target_archE4294967295ELNS1_3gpuE0ELNS1_3repE0EEENS1_30default_config_static_selectorELNS0_4arch9wavefront6targetE0EEEvT1_.uses_flat_scratch, 1
	.set _ZN7rocprim17ROCPRIM_400000_NS6detail17trampoline_kernelINS0_14default_configENS1_27scan_by_key_config_selectorIitEEZZNS1_16scan_by_key_implILNS1_25lookback_scan_determinismE0ELb0ES3_N6thrust23THRUST_200600_302600_NS6detail15normal_iteratorINS9_10device_ptrIiEEEENSB_INSC_ItEEEESG_tNS9_4plusIvEENS9_8equal_toIvEEtEE10hipError_tPvRmT2_T3_T4_T5_mT6_T7_P12ihipStream_tbENKUlT_T0_E_clISt17integral_constantIbLb0EES10_IbLb1EEEEDaSW_SX_EUlSW_E_NS1_11comp_targetILNS1_3genE0ELNS1_11target_archE4294967295ELNS1_3gpuE0ELNS1_3repE0EEENS1_30default_config_static_selectorELNS0_4arch9wavefront6targetE0EEEvT1_.has_dyn_sized_stack, 0
	.set _ZN7rocprim17ROCPRIM_400000_NS6detail17trampoline_kernelINS0_14default_configENS1_27scan_by_key_config_selectorIitEEZZNS1_16scan_by_key_implILNS1_25lookback_scan_determinismE0ELb0ES3_N6thrust23THRUST_200600_302600_NS6detail15normal_iteratorINS9_10device_ptrIiEEEENSB_INSC_ItEEEESG_tNS9_4plusIvEENS9_8equal_toIvEEtEE10hipError_tPvRmT2_T3_T4_T5_mT6_T7_P12ihipStream_tbENKUlT_T0_E_clISt17integral_constantIbLb0EES10_IbLb1EEEEDaSW_SX_EUlSW_E_NS1_11comp_targetILNS1_3genE0ELNS1_11target_archE4294967295ELNS1_3gpuE0ELNS1_3repE0EEENS1_30default_config_static_selectorELNS0_4arch9wavefront6targetE0EEEvT1_.has_recursion, 0
	.set _ZN7rocprim17ROCPRIM_400000_NS6detail17trampoline_kernelINS0_14default_configENS1_27scan_by_key_config_selectorIitEEZZNS1_16scan_by_key_implILNS1_25lookback_scan_determinismE0ELb0ES3_N6thrust23THRUST_200600_302600_NS6detail15normal_iteratorINS9_10device_ptrIiEEEENSB_INSC_ItEEEESG_tNS9_4plusIvEENS9_8equal_toIvEEtEE10hipError_tPvRmT2_T3_T4_T5_mT6_T7_P12ihipStream_tbENKUlT_T0_E_clISt17integral_constantIbLb0EES10_IbLb1EEEEDaSW_SX_EUlSW_E_NS1_11comp_targetILNS1_3genE0ELNS1_11target_archE4294967295ELNS1_3gpuE0ELNS1_3repE0EEENS1_30default_config_static_selectorELNS0_4arch9wavefront6targetE0EEEvT1_.has_indirect_call, 0
	.section	.AMDGPU.csdata,"",@progbits
; Kernel info:
; codeLenInByte = 14668
; TotalNumSgprs: 47
; NumVgprs: 45
; ScratchSize: 0
; MemoryBound: 0
; FloatMode: 240
; IeeeMode: 1
; LDSByteSize: 16384 bytes/workgroup (compile time only)
; SGPRBlocks: 0
; VGPRBlocks: 2
; NumSGPRsForWavesPerEU: 47
; NumVGPRsForWavesPerEU: 45
; NamedBarCnt: 0
; Occupancy: 16
; WaveLimiterHint : 1
; COMPUTE_PGM_RSRC2:SCRATCH_EN: 0
; COMPUTE_PGM_RSRC2:USER_SGPR: 2
; COMPUTE_PGM_RSRC2:TRAP_HANDLER: 0
; COMPUTE_PGM_RSRC2:TGID_X_EN: 1
; COMPUTE_PGM_RSRC2:TGID_Y_EN: 0
; COMPUTE_PGM_RSRC2:TGID_Z_EN: 0
; COMPUTE_PGM_RSRC2:TIDIG_COMP_CNT: 0
	.section	.text._ZN7rocprim17ROCPRIM_400000_NS6detail17trampoline_kernelINS0_14default_configENS1_27scan_by_key_config_selectorIitEEZZNS1_16scan_by_key_implILNS1_25lookback_scan_determinismE0ELb0ES3_N6thrust23THRUST_200600_302600_NS6detail15normal_iteratorINS9_10device_ptrIiEEEENSB_INSC_ItEEEESG_tNS9_4plusIvEENS9_8equal_toIvEEtEE10hipError_tPvRmT2_T3_T4_T5_mT6_T7_P12ihipStream_tbENKUlT_T0_E_clISt17integral_constantIbLb0EES10_IbLb1EEEEDaSW_SX_EUlSW_E_NS1_11comp_targetILNS1_3genE10ELNS1_11target_archE1201ELNS1_3gpuE5ELNS1_3repE0EEENS1_30default_config_static_selectorELNS0_4arch9wavefront6targetE0EEEvT1_,"axG",@progbits,_ZN7rocprim17ROCPRIM_400000_NS6detail17trampoline_kernelINS0_14default_configENS1_27scan_by_key_config_selectorIitEEZZNS1_16scan_by_key_implILNS1_25lookback_scan_determinismE0ELb0ES3_N6thrust23THRUST_200600_302600_NS6detail15normal_iteratorINS9_10device_ptrIiEEEENSB_INSC_ItEEEESG_tNS9_4plusIvEENS9_8equal_toIvEEtEE10hipError_tPvRmT2_T3_T4_T5_mT6_T7_P12ihipStream_tbENKUlT_T0_E_clISt17integral_constantIbLb0EES10_IbLb1EEEEDaSW_SX_EUlSW_E_NS1_11comp_targetILNS1_3genE10ELNS1_11target_archE1201ELNS1_3gpuE5ELNS1_3repE0EEENS1_30default_config_static_selectorELNS0_4arch9wavefront6targetE0EEEvT1_,comdat
	.protected	_ZN7rocprim17ROCPRIM_400000_NS6detail17trampoline_kernelINS0_14default_configENS1_27scan_by_key_config_selectorIitEEZZNS1_16scan_by_key_implILNS1_25lookback_scan_determinismE0ELb0ES3_N6thrust23THRUST_200600_302600_NS6detail15normal_iteratorINS9_10device_ptrIiEEEENSB_INSC_ItEEEESG_tNS9_4plusIvEENS9_8equal_toIvEEtEE10hipError_tPvRmT2_T3_T4_T5_mT6_T7_P12ihipStream_tbENKUlT_T0_E_clISt17integral_constantIbLb0EES10_IbLb1EEEEDaSW_SX_EUlSW_E_NS1_11comp_targetILNS1_3genE10ELNS1_11target_archE1201ELNS1_3gpuE5ELNS1_3repE0EEENS1_30default_config_static_selectorELNS0_4arch9wavefront6targetE0EEEvT1_ ; -- Begin function _ZN7rocprim17ROCPRIM_400000_NS6detail17trampoline_kernelINS0_14default_configENS1_27scan_by_key_config_selectorIitEEZZNS1_16scan_by_key_implILNS1_25lookback_scan_determinismE0ELb0ES3_N6thrust23THRUST_200600_302600_NS6detail15normal_iteratorINS9_10device_ptrIiEEEENSB_INSC_ItEEEESG_tNS9_4plusIvEENS9_8equal_toIvEEtEE10hipError_tPvRmT2_T3_T4_T5_mT6_T7_P12ihipStream_tbENKUlT_T0_E_clISt17integral_constantIbLb0EES10_IbLb1EEEEDaSW_SX_EUlSW_E_NS1_11comp_targetILNS1_3genE10ELNS1_11target_archE1201ELNS1_3gpuE5ELNS1_3repE0EEENS1_30default_config_static_selectorELNS0_4arch9wavefront6targetE0EEEvT1_
	.globl	_ZN7rocprim17ROCPRIM_400000_NS6detail17trampoline_kernelINS0_14default_configENS1_27scan_by_key_config_selectorIitEEZZNS1_16scan_by_key_implILNS1_25lookback_scan_determinismE0ELb0ES3_N6thrust23THRUST_200600_302600_NS6detail15normal_iteratorINS9_10device_ptrIiEEEENSB_INSC_ItEEEESG_tNS9_4plusIvEENS9_8equal_toIvEEtEE10hipError_tPvRmT2_T3_T4_T5_mT6_T7_P12ihipStream_tbENKUlT_T0_E_clISt17integral_constantIbLb0EES10_IbLb1EEEEDaSW_SX_EUlSW_E_NS1_11comp_targetILNS1_3genE10ELNS1_11target_archE1201ELNS1_3gpuE5ELNS1_3repE0EEENS1_30default_config_static_selectorELNS0_4arch9wavefront6targetE0EEEvT1_
	.p2align	8
	.type	_ZN7rocprim17ROCPRIM_400000_NS6detail17trampoline_kernelINS0_14default_configENS1_27scan_by_key_config_selectorIitEEZZNS1_16scan_by_key_implILNS1_25lookback_scan_determinismE0ELb0ES3_N6thrust23THRUST_200600_302600_NS6detail15normal_iteratorINS9_10device_ptrIiEEEENSB_INSC_ItEEEESG_tNS9_4plusIvEENS9_8equal_toIvEEtEE10hipError_tPvRmT2_T3_T4_T5_mT6_T7_P12ihipStream_tbENKUlT_T0_E_clISt17integral_constantIbLb0EES10_IbLb1EEEEDaSW_SX_EUlSW_E_NS1_11comp_targetILNS1_3genE10ELNS1_11target_archE1201ELNS1_3gpuE5ELNS1_3repE0EEENS1_30default_config_static_selectorELNS0_4arch9wavefront6targetE0EEEvT1_,@function
_ZN7rocprim17ROCPRIM_400000_NS6detail17trampoline_kernelINS0_14default_configENS1_27scan_by_key_config_selectorIitEEZZNS1_16scan_by_key_implILNS1_25lookback_scan_determinismE0ELb0ES3_N6thrust23THRUST_200600_302600_NS6detail15normal_iteratorINS9_10device_ptrIiEEEENSB_INSC_ItEEEESG_tNS9_4plusIvEENS9_8equal_toIvEEtEE10hipError_tPvRmT2_T3_T4_T5_mT6_T7_P12ihipStream_tbENKUlT_T0_E_clISt17integral_constantIbLb0EES10_IbLb1EEEEDaSW_SX_EUlSW_E_NS1_11comp_targetILNS1_3genE10ELNS1_11target_archE1201ELNS1_3gpuE5ELNS1_3repE0EEENS1_30default_config_static_selectorELNS0_4arch9wavefront6targetE0EEEvT1_: ; @_ZN7rocprim17ROCPRIM_400000_NS6detail17trampoline_kernelINS0_14default_configENS1_27scan_by_key_config_selectorIitEEZZNS1_16scan_by_key_implILNS1_25lookback_scan_determinismE0ELb0ES3_N6thrust23THRUST_200600_302600_NS6detail15normal_iteratorINS9_10device_ptrIiEEEENSB_INSC_ItEEEESG_tNS9_4plusIvEENS9_8equal_toIvEEtEE10hipError_tPvRmT2_T3_T4_T5_mT6_T7_P12ihipStream_tbENKUlT_T0_E_clISt17integral_constantIbLb0EES10_IbLb1EEEEDaSW_SX_EUlSW_E_NS1_11comp_targetILNS1_3genE10ELNS1_11target_archE1201ELNS1_3gpuE5ELNS1_3repE0EEENS1_30default_config_static_selectorELNS0_4arch9wavefront6targetE0EEEvT1_
; %bb.0:
	.section	.rodata,"a",@progbits
	.p2align	6, 0x0
	.amdhsa_kernel _ZN7rocprim17ROCPRIM_400000_NS6detail17trampoline_kernelINS0_14default_configENS1_27scan_by_key_config_selectorIitEEZZNS1_16scan_by_key_implILNS1_25lookback_scan_determinismE0ELb0ES3_N6thrust23THRUST_200600_302600_NS6detail15normal_iteratorINS9_10device_ptrIiEEEENSB_INSC_ItEEEESG_tNS9_4plusIvEENS9_8equal_toIvEEtEE10hipError_tPvRmT2_T3_T4_T5_mT6_T7_P12ihipStream_tbENKUlT_T0_E_clISt17integral_constantIbLb0EES10_IbLb1EEEEDaSW_SX_EUlSW_E_NS1_11comp_targetILNS1_3genE10ELNS1_11target_archE1201ELNS1_3gpuE5ELNS1_3repE0EEENS1_30default_config_static_selectorELNS0_4arch9wavefront6targetE0EEEvT1_
		.amdhsa_group_segment_fixed_size 0
		.amdhsa_private_segment_fixed_size 0
		.amdhsa_kernarg_size 112
		.amdhsa_user_sgpr_count 2
		.amdhsa_user_sgpr_dispatch_ptr 0
		.amdhsa_user_sgpr_queue_ptr 0
		.amdhsa_user_sgpr_kernarg_segment_ptr 1
		.amdhsa_user_sgpr_dispatch_id 0
		.amdhsa_user_sgpr_kernarg_preload_length 0
		.amdhsa_user_sgpr_kernarg_preload_offset 0
		.amdhsa_user_sgpr_private_segment_size 0
		.amdhsa_wavefront_size32 1
		.amdhsa_uses_dynamic_stack 0
		.amdhsa_enable_private_segment 0
		.amdhsa_system_sgpr_workgroup_id_x 1
		.amdhsa_system_sgpr_workgroup_id_y 0
		.amdhsa_system_sgpr_workgroup_id_z 0
		.amdhsa_system_sgpr_workgroup_info 0
		.amdhsa_system_vgpr_workitem_id 0
		.amdhsa_next_free_vgpr 1
		.amdhsa_next_free_sgpr 1
		.amdhsa_named_barrier_count 0
		.amdhsa_reserve_vcc 0
		.amdhsa_float_round_mode_32 0
		.amdhsa_float_round_mode_16_64 0
		.amdhsa_float_denorm_mode_32 3
		.amdhsa_float_denorm_mode_16_64 3
		.amdhsa_fp16_overflow 0
		.amdhsa_memory_ordered 1
		.amdhsa_forward_progress 1
		.amdhsa_inst_pref_size 0
		.amdhsa_round_robin_scheduling 0
		.amdhsa_exception_fp_ieee_invalid_op 0
		.amdhsa_exception_fp_denorm_src 0
		.amdhsa_exception_fp_ieee_div_zero 0
		.amdhsa_exception_fp_ieee_overflow 0
		.amdhsa_exception_fp_ieee_underflow 0
		.amdhsa_exception_fp_ieee_inexact 0
		.amdhsa_exception_int_div_zero 0
	.end_amdhsa_kernel
	.section	.text._ZN7rocprim17ROCPRIM_400000_NS6detail17trampoline_kernelINS0_14default_configENS1_27scan_by_key_config_selectorIitEEZZNS1_16scan_by_key_implILNS1_25lookback_scan_determinismE0ELb0ES3_N6thrust23THRUST_200600_302600_NS6detail15normal_iteratorINS9_10device_ptrIiEEEENSB_INSC_ItEEEESG_tNS9_4plusIvEENS9_8equal_toIvEEtEE10hipError_tPvRmT2_T3_T4_T5_mT6_T7_P12ihipStream_tbENKUlT_T0_E_clISt17integral_constantIbLb0EES10_IbLb1EEEEDaSW_SX_EUlSW_E_NS1_11comp_targetILNS1_3genE10ELNS1_11target_archE1201ELNS1_3gpuE5ELNS1_3repE0EEENS1_30default_config_static_selectorELNS0_4arch9wavefront6targetE0EEEvT1_,"axG",@progbits,_ZN7rocprim17ROCPRIM_400000_NS6detail17trampoline_kernelINS0_14default_configENS1_27scan_by_key_config_selectorIitEEZZNS1_16scan_by_key_implILNS1_25lookback_scan_determinismE0ELb0ES3_N6thrust23THRUST_200600_302600_NS6detail15normal_iteratorINS9_10device_ptrIiEEEENSB_INSC_ItEEEESG_tNS9_4plusIvEENS9_8equal_toIvEEtEE10hipError_tPvRmT2_T3_T4_T5_mT6_T7_P12ihipStream_tbENKUlT_T0_E_clISt17integral_constantIbLb0EES10_IbLb1EEEEDaSW_SX_EUlSW_E_NS1_11comp_targetILNS1_3genE10ELNS1_11target_archE1201ELNS1_3gpuE5ELNS1_3repE0EEENS1_30default_config_static_selectorELNS0_4arch9wavefront6targetE0EEEvT1_,comdat
.Lfunc_end1301:
	.size	_ZN7rocprim17ROCPRIM_400000_NS6detail17trampoline_kernelINS0_14default_configENS1_27scan_by_key_config_selectorIitEEZZNS1_16scan_by_key_implILNS1_25lookback_scan_determinismE0ELb0ES3_N6thrust23THRUST_200600_302600_NS6detail15normal_iteratorINS9_10device_ptrIiEEEENSB_INSC_ItEEEESG_tNS9_4plusIvEENS9_8equal_toIvEEtEE10hipError_tPvRmT2_T3_T4_T5_mT6_T7_P12ihipStream_tbENKUlT_T0_E_clISt17integral_constantIbLb0EES10_IbLb1EEEEDaSW_SX_EUlSW_E_NS1_11comp_targetILNS1_3genE10ELNS1_11target_archE1201ELNS1_3gpuE5ELNS1_3repE0EEENS1_30default_config_static_selectorELNS0_4arch9wavefront6targetE0EEEvT1_, .Lfunc_end1301-_ZN7rocprim17ROCPRIM_400000_NS6detail17trampoline_kernelINS0_14default_configENS1_27scan_by_key_config_selectorIitEEZZNS1_16scan_by_key_implILNS1_25lookback_scan_determinismE0ELb0ES3_N6thrust23THRUST_200600_302600_NS6detail15normal_iteratorINS9_10device_ptrIiEEEENSB_INSC_ItEEEESG_tNS9_4plusIvEENS9_8equal_toIvEEtEE10hipError_tPvRmT2_T3_T4_T5_mT6_T7_P12ihipStream_tbENKUlT_T0_E_clISt17integral_constantIbLb0EES10_IbLb1EEEEDaSW_SX_EUlSW_E_NS1_11comp_targetILNS1_3genE10ELNS1_11target_archE1201ELNS1_3gpuE5ELNS1_3repE0EEENS1_30default_config_static_selectorELNS0_4arch9wavefront6targetE0EEEvT1_
                                        ; -- End function
	.set _ZN7rocprim17ROCPRIM_400000_NS6detail17trampoline_kernelINS0_14default_configENS1_27scan_by_key_config_selectorIitEEZZNS1_16scan_by_key_implILNS1_25lookback_scan_determinismE0ELb0ES3_N6thrust23THRUST_200600_302600_NS6detail15normal_iteratorINS9_10device_ptrIiEEEENSB_INSC_ItEEEESG_tNS9_4plusIvEENS9_8equal_toIvEEtEE10hipError_tPvRmT2_T3_T4_T5_mT6_T7_P12ihipStream_tbENKUlT_T0_E_clISt17integral_constantIbLb0EES10_IbLb1EEEEDaSW_SX_EUlSW_E_NS1_11comp_targetILNS1_3genE10ELNS1_11target_archE1201ELNS1_3gpuE5ELNS1_3repE0EEENS1_30default_config_static_selectorELNS0_4arch9wavefront6targetE0EEEvT1_.num_vgpr, 0
	.set _ZN7rocprim17ROCPRIM_400000_NS6detail17trampoline_kernelINS0_14default_configENS1_27scan_by_key_config_selectorIitEEZZNS1_16scan_by_key_implILNS1_25lookback_scan_determinismE0ELb0ES3_N6thrust23THRUST_200600_302600_NS6detail15normal_iteratorINS9_10device_ptrIiEEEENSB_INSC_ItEEEESG_tNS9_4plusIvEENS9_8equal_toIvEEtEE10hipError_tPvRmT2_T3_T4_T5_mT6_T7_P12ihipStream_tbENKUlT_T0_E_clISt17integral_constantIbLb0EES10_IbLb1EEEEDaSW_SX_EUlSW_E_NS1_11comp_targetILNS1_3genE10ELNS1_11target_archE1201ELNS1_3gpuE5ELNS1_3repE0EEENS1_30default_config_static_selectorELNS0_4arch9wavefront6targetE0EEEvT1_.num_agpr, 0
	.set _ZN7rocprim17ROCPRIM_400000_NS6detail17trampoline_kernelINS0_14default_configENS1_27scan_by_key_config_selectorIitEEZZNS1_16scan_by_key_implILNS1_25lookback_scan_determinismE0ELb0ES3_N6thrust23THRUST_200600_302600_NS6detail15normal_iteratorINS9_10device_ptrIiEEEENSB_INSC_ItEEEESG_tNS9_4plusIvEENS9_8equal_toIvEEtEE10hipError_tPvRmT2_T3_T4_T5_mT6_T7_P12ihipStream_tbENKUlT_T0_E_clISt17integral_constantIbLb0EES10_IbLb1EEEEDaSW_SX_EUlSW_E_NS1_11comp_targetILNS1_3genE10ELNS1_11target_archE1201ELNS1_3gpuE5ELNS1_3repE0EEENS1_30default_config_static_selectorELNS0_4arch9wavefront6targetE0EEEvT1_.numbered_sgpr, 0
	.set _ZN7rocprim17ROCPRIM_400000_NS6detail17trampoline_kernelINS0_14default_configENS1_27scan_by_key_config_selectorIitEEZZNS1_16scan_by_key_implILNS1_25lookback_scan_determinismE0ELb0ES3_N6thrust23THRUST_200600_302600_NS6detail15normal_iteratorINS9_10device_ptrIiEEEENSB_INSC_ItEEEESG_tNS9_4plusIvEENS9_8equal_toIvEEtEE10hipError_tPvRmT2_T3_T4_T5_mT6_T7_P12ihipStream_tbENKUlT_T0_E_clISt17integral_constantIbLb0EES10_IbLb1EEEEDaSW_SX_EUlSW_E_NS1_11comp_targetILNS1_3genE10ELNS1_11target_archE1201ELNS1_3gpuE5ELNS1_3repE0EEENS1_30default_config_static_selectorELNS0_4arch9wavefront6targetE0EEEvT1_.num_named_barrier, 0
	.set _ZN7rocprim17ROCPRIM_400000_NS6detail17trampoline_kernelINS0_14default_configENS1_27scan_by_key_config_selectorIitEEZZNS1_16scan_by_key_implILNS1_25lookback_scan_determinismE0ELb0ES3_N6thrust23THRUST_200600_302600_NS6detail15normal_iteratorINS9_10device_ptrIiEEEENSB_INSC_ItEEEESG_tNS9_4plusIvEENS9_8equal_toIvEEtEE10hipError_tPvRmT2_T3_T4_T5_mT6_T7_P12ihipStream_tbENKUlT_T0_E_clISt17integral_constantIbLb0EES10_IbLb1EEEEDaSW_SX_EUlSW_E_NS1_11comp_targetILNS1_3genE10ELNS1_11target_archE1201ELNS1_3gpuE5ELNS1_3repE0EEENS1_30default_config_static_selectorELNS0_4arch9wavefront6targetE0EEEvT1_.private_seg_size, 0
	.set _ZN7rocprim17ROCPRIM_400000_NS6detail17trampoline_kernelINS0_14default_configENS1_27scan_by_key_config_selectorIitEEZZNS1_16scan_by_key_implILNS1_25lookback_scan_determinismE0ELb0ES3_N6thrust23THRUST_200600_302600_NS6detail15normal_iteratorINS9_10device_ptrIiEEEENSB_INSC_ItEEEESG_tNS9_4plusIvEENS9_8equal_toIvEEtEE10hipError_tPvRmT2_T3_T4_T5_mT6_T7_P12ihipStream_tbENKUlT_T0_E_clISt17integral_constantIbLb0EES10_IbLb1EEEEDaSW_SX_EUlSW_E_NS1_11comp_targetILNS1_3genE10ELNS1_11target_archE1201ELNS1_3gpuE5ELNS1_3repE0EEENS1_30default_config_static_selectorELNS0_4arch9wavefront6targetE0EEEvT1_.uses_vcc, 0
	.set _ZN7rocprim17ROCPRIM_400000_NS6detail17trampoline_kernelINS0_14default_configENS1_27scan_by_key_config_selectorIitEEZZNS1_16scan_by_key_implILNS1_25lookback_scan_determinismE0ELb0ES3_N6thrust23THRUST_200600_302600_NS6detail15normal_iteratorINS9_10device_ptrIiEEEENSB_INSC_ItEEEESG_tNS9_4plusIvEENS9_8equal_toIvEEtEE10hipError_tPvRmT2_T3_T4_T5_mT6_T7_P12ihipStream_tbENKUlT_T0_E_clISt17integral_constantIbLb0EES10_IbLb1EEEEDaSW_SX_EUlSW_E_NS1_11comp_targetILNS1_3genE10ELNS1_11target_archE1201ELNS1_3gpuE5ELNS1_3repE0EEENS1_30default_config_static_selectorELNS0_4arch9wavefront6targetE0EEEvT1_.uses_flat_scratch, 0
	.set _ZN7rocprim17ROCPRIM_400000_NS6detail17trampoline_kernelINS0_14default_configENS1_27scan_by_key_config_selectorIitEEZZNS1_16scan_by_key_implILNS1_25lookback_scan_determinismE0ELb0ES3_N6thrust23THRUST_200600_302600_NS6detail15normal_iteratorINS9_10device_ptrIiEEEENSB_INSC_ItEEEESG_tNS9_4plusIvEENS9_8equal_toIvEEtEE10hipError_tPvRmT2_T3_T4_T5_mT6_T7_P12ihipStream_tbENKUlT_T0_E_clISt17integral_constantIbLb0EES10_IbLb1EEEEDaSW_SX_EUlSW_E_NS1_11comp_targetILNS1_3genE10ELNS1_11target_archE1201ELNS1_3gpuE5ELNS1_3repE0EEENS1_30default_config_static_selectorELNS0_4arch9wavefront6targetE0EEEvT1_.has_dyn_sized_stack, 0
	.set _ZN7rocprim17ROCPRIM_400000_NS6detail17trampoline_kernelINS0_14default_configENS1_27scan_by_key_config_selectorIitEEZZNS1_16scan_by_key_implILNS1_25lookback_scan_determinismE0ELb0ES3_N6thrust23THRUST_200600_302600_NS6detail15normal_iteratorINS9_10device_ptrIiEEEENSB_INSC_ItEEEESG_tNS9_4plusIvEENS9_8equal_toIvEEtEE10hipError_tPvRmT2_T3_T4_T5_mT6_T7_P12ihipStream_tbENKUlT_T0_E_clISt17integral_constantIbLb0EES10_IbLb1EEEEDaSW_SX_EUlSW_E_NS1_11comp_targetILNS1_3genE10ELNS1_11target_archE1201ELNS1_3gpuE5ELNS1_3repE0EEENS1_30default_config_static_selectorELNS0_4arch9wavefront6targetE0EEEvT1_.has_recursion, 0
	.set _ZN7rocprim17ROCPRIM_400000_NS6detail17trampoline_kernelINS0_14default_configENS1_27scan_by_key_config_selectorIitEEZZNS1_16scan_by_key_implILNS1_25lookback_scan_determinismE0ELb0ES3_N6thrust23THRUST_200600_302600_NS6detail15normal_iteratorINS9_10device_ptrIiEEEENSB_INSC_ItEEEESG_tNS9_4plusIvEENS9_8equal_toIvEEtEE10hipError_tPvRmT2_T3_T4_T5_mT6_T7_P12ihipStream_tbENKUlT_T0_E_clISt17integral_constantIbLb0EES10_IbLb1EEEEDaSW_SX_EUlSW_E_NS1_11comp_targetILNS1_3genE10ELNS1_11target_archE1201ELNS1_3gpuE5ELNS1_3repE0EEENS1_30default_config_static_selectorELNS0_4arch9wavefront6targetE0EEEvT1_.has_indirect_call, 0
	.section	.AMDGPU.csdata,"",@progbits
; Kernel info:
; codeLenInByte = 0
; TotalNumSgprs: 0
; NumVgprs: 0
; ScratchSize: 0
; MemoryBound: 0
; FloatMode: 240
; IeeeMode: 1
; LDSByteSize: 0 bytes/workgroup (compile time only)
; SGPRBlocks: 0
; VGPRBlocks: 0
; NumSGPRsForWavesPerEU: 1
; NumVGPRsForWavesPerEU: 1
; NamedBarCnt: 0
; Occupancy: 16
; WaveLimiterHint : 0
; COMPUTE_PGM_RSRC2:SCRATCH_EN: 0
; COMPUTE_PGM_RSRC2:USER_SGPR: 2
; COMPUTE_PGM_RSRC2:TRAP_HANDLER: 0
; COMPUTE_PGM_RSRC2:TGID_X_EN: 1
; COMPUTE_PGM_RSRC2:TGID_Y_EN: 0
; COMPUTE_PGM_RSRC2:TGID_Z_EN: 0
; COMPUTE_PGM_RSRC2:TIDIG_COMP_CNT: 0
	.section	.text._ZN7rocprim17ROCPRIM_400000_NS6detail17trampoline_kernelINS0_14default_configENS1_27scan_by_key_config_selectorIitEEZZNS1_16scan_by_key_implILNS1_25lookback_scan_determinismE0ELb0ES3_N6thrust23THRUST_200600_302600_NS6detail15normal_iteratorINS9_10device_ptrIiEEEENSB_INSC_ItEEEESG_tNS9_4plusIvEENS9_8equal_toIvEEtEE10hipError_tPvRmT2_T3_T4_T5_mT6_T7_P12ihipStream_tbENKUlT_T0_E_clISt17integral_constantIbLb0EES10_IbLb1EEEEDaSW_SX_EUlSW_E_NS1_11comp_targetILNS1_3genE5ELNS1_11target_archE942ELNS1_3gpuE9ELNS1_3repE0EEENS1_30default_config_static_selectorELNS0_4arch9wavefront6targetE0EEEvT1_,"axG",@progbits,_ZN7rocprim17ROCPRIM_400000_NS6detail17trampoline_kernelINS0_14default_configENS1_27scan_by_key_config_selectorIitEEZZNS1_16scan_by_key_implILNS1_25lookback_scan_determinismE0ELb0ES3_N6thrust23THRUST_200600_302600_NS6detail15normal_iteratorINS9_10device_ptrIiEEEENSB_INSC_ItEEEESG_tNS9_4plusIvEENS9_8equal_toIvEEtEE10hipError_tPvRmT2_T3_T4_T5_mT6_T7_P12ihipStream_tbENKUlT_T0_E_clISt17integral_constantIbLb0EES10_IbLb1EEEEDaSW_SX_EUlSW_E_NS1_11comp_targetILNS1_3genE5ELNS1_11target_archE942ELNS1_3gpuE9ELNS1_3repE0EEENS1_30default_config_static_selectorELNS0_4arch9wavefront6targetE0EEEvT1_,comdat
	.protected	_ZN7rocprim17ROCPRIM_400000_NS6detail17trampoline_kernelINS0_14default_configENS1_27scan_by_key_config_selectorIitEEZZNS1_16scan_by_key_implILNS1_25lookback_scan_determinismE0ELb0ES3_N6thrust23THRUST_200600_302600_NS6detail15normal_iteratorINS9_10device_ptrIiEEEENSB_INSC_ItEEEESG_tNS9_4plusIvEENS9_8equal_toIvEEtEE10hipError_tPvRmT2_T3_T4_T5_mT6_T7_P12ihipStream_tbENKUlT_T0_E_clISt17integral_constantIbLb0EES10_IbLb1EEEEDaSW_SX_EUlSW_E_NS1_11comp_targetILNS1_3genE5ELNS1_11target_archE942ELNS1_3gpuE9ELNS1_3repE0EEENS1_30default_config_static_selectorELNS0_4arch9wavefront6targetE0EEEvT1_ ; -- Begin function _ZN7rocprim17ROCPRIM_400000_NS6detail17trampoline_kernelINS0_14default_configENS1_27scan_by_key_config_selectorIitEEZZNS1_16scan_by_key_implILNS1_25lookback_scan_determinismE0ELb0ES3_N6thrust23THRUST_200600_302600_NS6detail15normal_iteratorINS9_10device_ptrIiEEEENSB_INSC_ItEEEESG_tNS9_4plusIvEENS9_8equal_toIvEEtEE10hipError_tPvRmT2_T3_T4_T5_mT6_T7_P12ihipStream_tbENKUlT_T0_E_clISt17integral_constantIbLb0EES10_IbLb1EEEEDaSW_SX_EUlSW_E_NS1_11comp_targetILNS1_3genE5ELNS1_11target_archE942ELNS1_3gpuE9ELNS1_3repE0EEENS1_30default_config_static_selectorELNS0_4arch9wavefront6targetE0EEEvT1_
	.globl	_ZN7rocprim17ROCPRIM_400000_NS6detail17trampoline_kernelINS0_14default_configENS1_27scan_by_key_config_selectorIitEEZZNS1_16scan_by_key_implILNS1_25lookback_scan_determinismE0ELb0ES3_N6thrust23THRUST_200600_302600_NS6detail15normal_iteratorINS9_10device_ptrIiEEEENSB_INSC_ItEEEESG_tNS9_4plusIvEENS9_8equal_toIvEEtEE10hipError_tPvRmT2_T3_T4_T5_mT6_T7_P12ihipStream_tbENKUlT_T0_E_clISt17integral_constantIbLb0EES10_IbLb1EEEEDaSW_SX_EUlSW_E_NS1_11comp_targetILNS1_3genE5ELNS1_11target_archE942ELNS1_3gpuE9ELNS1_3repE0EEENS1_30default_config_static_selectorELNS0_4arch9wavefront6targetE0EEEvT1_
	.p2align	8
	.type	_ZN7rocprim17ROCPRIM_400000_NS6detail17trampoline_kernelINS0_14default_configENS1_27scan_by_key_config_selectorIitEEZZNS1_16scan_by_key_implILNS1_25lookback_scan_determinismE0ELb0ES3_N6thrust23THRUST_200600_302600_NS6detail15normal_iteratorINS9_10device_ptrIiEEEENSB_INSC_ItEEEESG_tNS9_4plusIvEENS9_8equal_toIvEEtEE10hipError_tPvRmT2_T3_T4_T5_mT6_T7_P12ihipStream_tbENKUlT_T0_E_clISt17integral_constantIbLb0EES10_IbLb1EEEEDaSW_SX_EUlSW_E_NS1_11comp_targetILNS1_3genE5ELNS1_11target_archE942ELNS1_3gpuE9ELNS1_3repE0EEENS1_30default_config_static_selectorELNS0_4arch9wavefront6targetE0EEEvT1_,@function
_ZN7rocprim17ROCPRIM_400000_NS6detail17trampoline_kernelINS0_14default_configENS1_27scan_by_key_config_selectorIitEEZZNS1_16scan_by_key_implILNS1_25lookback_scan_determinismE0ELb0ES3_N6thrust23THRUST_200600_302600_NS6detail15normal_iteratorINS9_10device_ptrIiEEEENSB_INSC_ItEEEESG_tNS9_4plusIvEENS9_8equal_toIvEEtEE10hipError_tPvRmT2_T3_T4_T5_mT6_T7_P12ihipStream_tbENKUlT_T0_E_clISt17integral_constantIbLb0EES10_IbLb1EEEEDaSW_SX_EUlSW_E_NS1_11comp_targetILNS1_3genE5ELNS1_11target_archE942ELNS1_3gpuE9ELNS1_3repE0EEENS1_30default_config_static_selectorELNS0_4arch9wavefront6targetE0EEEvT1_: ; @_ZN7rocprim17ROCPRIM_400000_NS6detail17trampoline_kernelINS0_14default_configENS1_27scan_by_key_config_selectorIitEEZZNS1_16scan_by_key_implILNS1_25lookback_scan_determinismE0ELb0ES3_N6thrust23THRUST_200600_302600_NS6detail15normal_iteratorINS9_10device_ptrIiEEEENSB_INSC_ItEEEESG_tNS9_4plusIvEENS9_8equal_toIvEEtEE10hipError_tPvRmT2_T3_T4_T5_mT6_T7_P12ihipStream_tbENKUlT_T0_E_clISt17integral_constantIbLb0EES10_IbLb1EEEEDaSW_SX_EUlSW_E_NS1_11comp_targetILNS1_3genE5ELNS1_11target_archE942ELNS1_3gpuE9ELNS1_3repE0EEENS1_30default_config_static_selectorELNS0_4arch9wavefront6targetE0EEEvT1_
; %bb.0:
	.section	.rodata,"a",@progbits
	.p2align	6, 0x0
	.amdhsa_kernel _ZN7rocprim17ROCPRIM_400000_NS6detail17trampoline_kernelINS0_14default_configENS1_27scan_by_key_config_selectorIitEEZZNS1_16scan_by_key_implILNS1_25lookback_scan_determinismE0ELb0ES3_N6thrust23THRUST_200600_302600_NS6detail15normal_iteratorINS9_10device_ptrIiEEEENSB_INSC_ItEEEESG_tNS9_4plusIvEENS9_8equal_toIvEEtEE10hipError_tPvRmT2_T3_T4_T5_mT6_T7_P12ihipStream_tbENKUlT_T0_E_clISt17integral_constantIbLb0EES10_IbLb1EEEEDaSW_SX_EUlSW_E_NS1_11comp_targetILNS1_3genE5ELNS1_11target_archE942ELNS1_3gpuE9ELNS1_3repE0EEENS1_30default_config_static_selectorELNS0_4arch9wavefront6targetE0EEEvT1_
		.amdhsa_group_segment_fixed_size 0
		.amdhsa_private_segment_fixed_size 0
		.amdhsa_kernarg_size 112
		.amdhsa_user_sgpr_count 2
		.amdhsa_user_sgpr_dispatch_ptr 0
		.amdhsa_user_sgpr_queue_ptr 0
		.amdhsa_user_sgpr_kernarg_segment_ptr 1
		.amdhsa_user_sgpr_dispatch_id 0
		.amdhsa_user_sgpr_kernarg_preload_length 0
		.amdhsa_user_sgpr_kernarg_preload_offset 0
		.amdhsa_user_sgpr_private_segment_size 0
		.amdhsa_wavefront_size32 1
		.amdhsa_uses_dynamic_stack 0
		.amdhsa_enable_private_segment 0
		.amdhsa_system_sgpr_workgroup_id_x 1
		.amdhsa_system_sgpr_workgroup_id_y 0
		.amdhsa_system_sgpr_workgroup_id_z 0
		.amdhsa_system_sgpr_workgroup_info 0
		.amdhsa_system_vgpr_workitem_id 0
		.amdhsa_next_free_vgpr 1
		.amdhsa_next_free_sgpr 1
		.amdhsa_named_barrier_count 0
		.amdhsa_reserve_vcc 0
		.amdhsa_float_round_mode_32 0
		.amdhsa_float_round_mode_16_64 0
		.amdhsa_float_denorm_mode_32 3
		.amdhsa_float_denorm_mode_16_64 3
		.amdhsa_fp16_overflow 0
		.amdhsa_memory_ordered 1
		.amdhsa_forward_progress 1
		.amdhsa_inst_pref_size 0
		.amdhsa_round_robin_scheduling 0
		.amdhsa_exception_fp_ieee_invalid_op 0
		.amdhsa_exception_fp_denorm_src 0
		.amdhsa_exception_fp_ieee_div_zero 0
		.amdhsa_exception_fp_ieee_overflow 0
		.amdhsa_exception_fp_ieee_underflow 0
		.amdhsa_exception_fp_ieee_inexact 0
		.amdhsa_exception_int_div_zero 0
	.end_amdhsa_kernel
	.section	.text._ZN7rocprim17ROCPRIM_400000_NS6detail17trampoline_kernelINS0_14default_configENS1_27scan_by_key_config_selectorIitEEZZNS1_16scan_by_key_implILNS1_25lookback_scan_determinismE0ELb0ES3_N6thrust23THRUST_200600_302600_NS6detail15normal_iteratorINS9_10device_ptrIiEEEENSB_INSC_ItEEEESG_tNS9_4plusIvEENS9_8equal_toIvEEtEE10hipError_tPvRmT2_T3_T4_T5_mT6_T7_P12ihipStream_tbENKUlT_T0_E_clISt17integral_constantIbLb0EES10_IbLb1EEEEDaSW_SX_EUlSW_E_NS1_11comp_targetILNS1_3genE5ELNS1_11target_archE942ELNS1_3gpuE9ELNS1_3repE0EEENS1_30default_config_static_selectorELNS0_4arch9wavefront6targetE0EEEvT1_,"axG",@progbits,_ZN7rocprim17ROCPRIM_400000_NS6detail17trampoline_kernelINS0_14default_configENS1_27scan_by_key_config_selectorIitEEZZNS1_16scan_by_key_implILNS1_25lookback_scan_determinismE0ELb0ES3_N6thrust23THRUST_200600_302600_NS6detail15normal_iteratorINS9_10device_ptrIiEEEENSB_INSC_ItEEEESG_tNS9_4plusIvEENS9_8equal_toIvEEtEE10hipError_tPvRmT2_T3_T4_T5_mT6_T7_P12ihipStream_tbENKUlT_T0_E_clISt17integral_constantIbLb0EES10_IbLb1EEEEDaSW_SX_EUlSW_E_NS1_11comp_targetILNS1_3genE5ELNS1_11target_archE942ELNS1_3gpuE9ELNS1_3repE0EEENS1_30default_config_static_selectorELNS0_4arch9wavefront6targetE0EEEvT1_,comdat
.Lfunc_end1302:
	.size	_ZN7rocprim17ROCPRIM_400000_NS6detail17trampoline_kernelINS0_14default_configENS1_27scan_by_key_config_selectorIitEEZZNS1_16scan_by_key_implILNS1_25lookback_scan_determinismE0ELb0ES3_N6thrust23THRUST_200600_302600_NS6detail15normal_iteratorINS9_10device_ptrIiEEEENSB_INSC_ItEEEESG_tNS9_4plusIvEENS9_8equal_toIvEEtEE10hipError_tPvRmT2_T3_T4_T5_mT6_T7_P12ihipStream_tbENKUlT_T0_E_clISt17integral_constantIbLb0EES10_IbLb1EEEEDaSW_SX_EUlSW_E_NS1_11comp_targetILNS1_3genE5ELNS1_11target_archE942ELNS1_3gpuE9ELNS1_3repE0EEENS1_30default_config_static_selectorELNS0_4arch9wavefront6targetE0EEEvT1_, .Lfunc_end1302-_ZN7rocprim17ROCPRIM_400000_NS6detail17trampoline_kernelINS0_14default_configENS1_27scan_by_key_config_selectorIitEEZZNS1_16scan_by_key_implILNS1_25lookback_scan_determinismE0ELb0ES3_N6thrust23THRUST_200600_302600_NS6detail15normal_iteratorINS9_10device_ptrIiEEEENSB_INSC_ItEEEESG_tNS9_4plusIvEENS9_8equal_toIvEEtEE10hipError_tPvRmT2_T3_T4_T5_mT6_T7_P12ihipStream_tbENKUlT_T0_E_clISt17integral_constantIbLb0EES10_IbLb1EEEEDaSW_SX_EUlSW_E_NS1_11comp_targetILNS1_3genE5ELNS1_11target_archE942ELNS1_3gpuE9ELNS1_3repE0EEENS1_30default_config_static_selectorELNS0_4arch9wavefront6targetE0EEEvT1_
                                        ; -- End function
	.set _ZN7rocprim17ROCPRIM_400000_NS6detail17trampoline_kernelINS0_14default_configENS1_27scan_by_key_config_selectorIitEEZZNS1_16scan_by_key_implILNS1_25lookback_scan_determinismE0ELb0ES3_N6thrust23THRUST_200600_302600_NS6detail15normal_iteratorINS9_10device_ptrIiEEEENSB_INSC_ItEEEESG_tNS9_4plusIvEENS9_8equal_toIvEEtEE10hipError_tPvRmT2_T3_T4_T5_mT6_T7_P12ihipStream_tbENKUlT_T0_E_clISt17integral_constantIbLb0EES10_IbLb1EEEEDaSW_SX_EUlSW_E_NS1_11comp_targetILNS1_3genE5ELNS1_11target_archE942ELNS1_3gpuE9ELNS1_3repE0EEENS1_30default_config_static_selectorELNS0_4arch9wavefront6targetE0EEEvT1_.num_vgpr, 0
	.set _ZN7rocprim17ROCPRIM_400000_NS6detail17trampoline_kernelINS0_14default_configENS1_27scan_by_key_config_selectorIitEEZZNS1_16scan_by_key_implILNS1_25lookback_scan_determinismE0ELb0ES3_N6thrust23THRUST_200600_302600_NS6detail15normal_iteratorINS9_10device_ptrIiEEEENSB_INSC_ItEEEESG_tNS9_4plusIvEENS9_8equal_toIvEEtEE10hipError_tPvRmT2_T3_T4_T5_mT6_T7_P12ihipStream_tbENKUlT_T0_E_clISt17integral_constantIbLb0EES10_IbLb1EEEEDaSW_SX_EUlSW_E_NS1_11comp_targetILNS1_3genE5ELNS1_11target_archE942ELNS1_3gpuE9ELNS1_3repE0EEENS1_30default_config_static_selectorELNS0_4arch9wavefront6targetE0EEEvT1_.num_agpr, 0
	.set _ZN7rocprim17ROCPRIM_400000_NS6detail17trampoline_kernelINS0_14default_configENS1_27scan_by_key_config_selectorIitEEZZNS1_16scan_by_key_implILNS1_25lookback_scan_determinismE0ELb0ES3_N6thrust23THRUST_200600_302600_NS6detail15normal_iteratorINS9_10device_ptrIiEEEENSB_INSC_ItEEEESG_tNS9_4plusIvEENS9_8equal_toIvEEtEE10hipError_tPvRmT2_T3_T4_T5_mT6_T7_P12ihipStream_tbENKUlT_T0_E_clISt17integral_constantIbLb0EES10_IbLb1EEEEDaSW_SX_EUlSW_E_NS1_11comp_targetILNS1_3genE5ELNS1_11target_archE942ELNS1_3gpuE9ELNS1_3repE0EEENS1_30default_config_static_selectorELNS0_4arch9wavefront6targetE0EEEvT1_.numbered_sgpr, 0
	.set _ZN7rocprim17ROCPRIM_400000_NS6detail17trampoline_kernelINS0_14default_configENS1_27scan_by_key_config_selectorIitEEZZNS1_16scan_by_key_implILNS1_25lookback_scan_determinismE0ELb0ES3_N6thrust23THRUST_200600_302600_NS6detail15normal_iteratorINS9_10device_ptrIiEEEENSB_INSC_ItEEEESG_tNS9_4plusIvEENS9_8equal_toIvEEtEE10hipError_tPvRmT2_T3_T4_T5_mT6_T7_P12ihipStream_tbENKUlT_T0_E_clISt17integral_constantIbLb0EES10_IbLb1EEEEDaSW_SX_EUlSW_E_NS1_11comp_targetILNS1_3genE5ELNS1_11target_archE942ELNS1_3gpuE9ELNS1_3repE0EEENS1_30default_config_static_selectorELNS0_4arch9wavefront6targetE0EEEvT1_.num_named_barrier, 0
	.set _ZN7rocprim17ROCPRIM_400000_NS6detail17trampoline_kernelINS0_14default_configENS1_27scan_by_key_config_selectorIitEEZZNS1_16scan_by_key_implILNS1_25lookback_scan_determinismE0ELb0ES3_N6thrust23THRUST_200600_302600_NS6detail15normal_iteratorINS9_10device_ptrIiEEEENSB_INSC_ItEEEESG_tNS9_4plusIvEENS9_8equal_toIvEEtEE10hipError_tPvRmT2_T3_T4_T5_mT6_T7_P12ihipStream_tbENKUlT_T0_E_clISt17integral_constantIbLb0EES10_IbLb1EEEEDaSW_SX_EUlSW_E_NS1_11comp_targetILNS1_3genE5ELNS1_11target_archE942ELNS1_3gpuE9ELNS1_3repE0EEENS1_30default_config_static_selectorELNS0_4arch9wavefront6targetE0EEEvT1_.private_seg_size, 0
	.set _ZN7rocprim17ROCPRIM_400000_NS6detail17trampoline_kernelINS0_14default_configENS1_27scan_by_key_config_selectorIitEEZZNS1_16scan_by_key_implILNS1_25lookback_scan_determinismE0ELb0ES3_N6thrust23THRUST_200600_302600_NS6detail15normal_iteratorINS9_10device_ptrIiEEEENSB_INSC_ItEEEESG_tNS9_4plusIvEENS9_8equal_toIvEEtEE10hipError_tPvRmT2_T3_T4_T5_mT6_T7_P12ihipStream_tbENKUlT_T0_E_clISt17integral_constantIbLb0EES10_IbLb1EEEEDaSW_SX_EUlSW_E_NS1_11comp_targetILNS1_3genE5ELNS1_11target_archE942ELNS1_3gpuE9ELNS1_3repE0EEENS1_30default_config_static_selectorELNS0_4arch9wavefront6targetE0EEEvT1_.uses_vcc, 0
	.set _ZN7rocprim17ROCPRIM_400000_NS6detail17trampoline_kernelINS0_14default_configENS1_27scan_by_key_config_selectorIitEEZZNS1_16scan_by_key_implILNS1_25lookback_scan_determinismE0ELb0ES3_N6thrust23THRUST_200600_302600_NS6detail15normal_iteratorINS9_10device_ptrIiEEEENSB_INSC_ItEEEESG_tNS9_4plusIvEENS9_8equal_toIvEEtEE10hipError_tPvRmT2_T3_T4_T5_mT6_T7_P12ihipStream_tbENKUlT_T0_E_clISt17integral_constantIbLb0EES10_IbLb1EEEEDaSW_SX_EUlSW_E_NS1_11comp_targetILNS1_3genE5ELNS1_11target_archE942ELNS1_3gpuE9ELNS1_3repE0EEENS1_30default_config_static_selectorELNS0_4arch9wavefront6targetE0EEEvT1_.uses_flat_scratch, 0
	.set _ZN7rocprim17ROCPRIM_400000_NS6detail17trampoline_kernelINS0_14default_configENS1_27scan_by_key_config_selectorIitEEZZNS1_16scan_by_key_implILNS1_25lookback_scan_determinismE0ELb0ES3_N6thrust23THRUST_200600_302600_NS6detail15normal_iteratorINS9_10device_ptrIiEEEENSB_INSC_ItEEEESG_tNS9_4plusIvEENS9_8equal_toIvEEtEE10hipError_tPvRmT2_T3_T4_T5_mT6_T7_P12ihipStream_tbENKUlT_T0_E_clISt17integral_constantIbLb0EES10_IbLb1EEEEDaSW_SX_EUlSW_E_NS1_11comp_targetILNS1_3genE5ELNS1_11target_archE942ELNS1_3gpuE9ELNS1_3repE0EEENS1_30default_config_static_selectorELNS0_4arch9wavefront6targetE0EEEvT1_.has_dyn_sized_stack, 0
	.set _ZN7rocprim17ROCPRIM_400000_NS6detail17trampoline_kernelINS0_14default_configENS1_27scan_by_key_config_selectorIitEEZZNS1_16scan_by_key_implILNS1_25lookback_scan_determinismE0ELb0ES3_N6thrust23THRUST_200600_302600_NS6detail15normal_iteratorINS9_10device_ptrIiEEEENSB_INSC_ItEEEESG_tNS9_4plusIvEENS9_8equal_toIvEEtEE10hipError_tPvRmT2_T3_T4_T5_mT6_T7_P12ihipStream_tbENKUlT_T0_E_clISt17integral_constantIbLb0EES10_IbLb1EEEEDaSW_SX_EUlSW_E_NS1_11comp_targetILNS1_3genE5ELNS1_11target_archE942ELNS1_3gpuE9ELNS1_3repE0EEENS1_30default_config_static_selectorELNS0_4arch9wavefront6targetE0EEEvT1_.has_recursion, 0
	.set _ZN7rocprim17ROCPRIM_400000_NS6detail17trampoline_kernelINS0_14default_configENS1_27scan_by_key_config_selectorIitEEZZNS1_16scan_by_key_implILNS1_25lookback_scan_determinismE0ELb0ES3_N6thrust23THRUST_200600_302600_NS6detail15normal_iteratorINS9_10device_ptrIiEEEENSB_INSC_ItEEEESG_tNS9_4plusIvEENS9_8equal_toIvEEtEE10hipError_tPvRmT2_T3_T4_T5_mT6_T7_P12ihipStream_tbENKUlT_T0_E_clISt17integral_constantIbLb0EES10_IbLb1EEEEDaSW_SX_EUlSW_E_NS1_11comp_targetILNS1_3genE5ELNS1_11target_archE942ELNS1_3gpuE9ELNS1_3repE0EEENS1_30default_config_static_selectorELNS0_4arch9wavefront6targetE0EEEvT1_.has_indirect_call, 0
	.section	.AMDGPU.csdata,"",@progbits
; Kernel info:
; codeLenInByte = 0
; TotalNumSgprs: 0
; NumVgprs: 0
; ScratchSize: 0
; MemoryBound: 0
; FloatMode: 240
; IeeeMode: 1
; LDSByteSize: 0 bytes/workgroup (compile time only)
; SGPRBlocks: 0
; VGPRBlocks: 0
; NumSGPRsForWavesPerEU: 1
; NumVGPRsForWavesPerEU: 1
; NamedBarCnt: 0
; Occupancy: 16
; WaveLimiterHint : 0
; COMPUTE_PGM_RSRC2:SCRATCH_EN: 0
; COMPUTE_PGM_RSRC2:USER_SGPR: 2
; COMPUTE_PGM_RSRC2:TRAP_HANDLER: 0
; COMPUTE_PGM_RSRC2:TGID_X_EN: 1
; COMPUTE_PGM_RSRC2:TGID_Y_EN: 0
; COMPUTE_PGM_RSRC2:TGID_Z_EN: 0
; COMPUTE_PGM_RSRC2:TIDIG_COMP_CNT: 0
	.section	.text._ZN7rocprim17ROCPRIM_400000_NS6detail17trampoline_kernelINS0_14default_configENS1_27scan_by_key_config_selectorIitEEZZNS1_16scan_by_key_implILNS1_25lookback_scan_determinismE0ELb0ES3_N6thrust23THRUST_200600_302600_NS6detail15normal_iteratorINS9_10device_ptrIiEEEENSB_INSC_ItEEEESG_tNS9_4plusIvEENS9_8equal_toIvEEtEE10hipError_tPvRmT2_T3_T4_T5_mT6_T7_P12ihipStream_tbENKUlT_T0_E_clISt17integral_constantIbLb0EES10_IbLb1EEEEDaSW_SX_EUlSW_E_NS1_11comp_targetILNS1_3genE4ELNS1_11target_archE910ELNS1_3gpuE8ELNS1_3repE0EEENS1_30default_config_static_selectorELNS0_4arch9wavefront6targetE0EEEvT1_,"axG",@progbits,_ZN7rocprim17ROCPRIM_400000_NS6detail17trampoline_kernelINS0_14default_configENS1_27scan_by_key_config_selectorIitEEZZNS1_16scan_by_key_implILNS1_25lookback_scan_determinismE0ELb0ES3_N6thrust23THRUST_200600_302600_NS6detail15normal_iteratorINS9_10device_ptrIiEEEENSB_INSC_ItEEEESG_tNS9_4plusIvEENS9_8equal_toIvEEtEE10hipError_tPvRmT2_T3_T4_T5_mT6_T7_P12ihipStream_tbENKUlT_T0_E_clISt17integral_constantIbLb0EES10_IbLb1EEEEDaSW_SX_EUlSW_E_NS1_11comp_targetILNS1_3genE4ELNS1_11target_archE910ELNS1_3gpuE8ELNS1_3repE0EEENS1_30default_config_static_selectorELNS0_4arch9wavefront6targetE0EEEvT1_,comdat
	.protected	_ZN7rocprim17ROCPRIM_400000_NS6detail17trampoline_kernelINS0_14default_configENS1_27scan_by_key_config_selectorIitEEZZNS1_16scan_by_key_implILNS1_25lookback_scan_determinismE0ELb0ES3_N6thrust23THRUST_200600_302600_NS6detail15normal_iteratorINS9_10device_ptrIiEEEENSB_INSC_ItEEEESG_tNS9_4plusIvEENS9_8equal_toIvEEtEE10hipError_tPvRmT2_T3_T4_T5_mT6_T7_P12ihipStream_tbENKUlT_T0_E_clISt17integral_constantIbLb0EES10_IbLb1EEEEDaSW_SX_EUlSW_E_NS1_11comp_targetILNS1_3genE4ELNS1_11target_archE910ELNS1_3gpuE8ELNS1_3repE0EEENS1_30default_config_static_selectorELNS0_4arch9wavefront6targetE0EEEvT1_ ; -- Begin function _ZN7rocprim17ROCPRIM_400000_NS6detail17trampoline_kernelINS0_14default_configENS1_27scan_by_key_config_selectorIitEEZZNS1_16scan_by_key_implILNS1_25lookback_scan_determinismE0ELb0ES3_N6thrust23THRUST_200600_302600_NS6detail15normal_iteratorINS9_10device_ptrIiEEEENSB_INSC_ItEEEESG_tNS9_4plusIvEENS9_8equal_toIvEEtEE10hipError_tPvRmT2_T3_T4_T5_mT6_T7_P12ihipStream_tbENKUlT_T0_E_clISt17integral_constantIbLb0EES10_IbLb1EEEEDaSW_SX_EUlSW_E_NS1_11comp_targetILNS1_3genE4ELNS1_11target_archE910ELNS1_3gpuE8ELNS1_3repE0EEENS1_30default_config_static_selectorELNS0_4arch9wavefront6targetE0EEEvT1_
	.globl	_ZN7rocprim17ROCPRIM_400000_NS6detail17trampoline_kernelINS0_14default_configENS1_27scan_by_key_config_selectorIitEEZZNS1_16scan_by_key_implILNS1_25lookback_scan_determinismE0ELb0ES3_N6thrust23THRUST_200600_302600_NS6detail15normal_iteratorINS9_10device_ptrIiEEEENSB_INSC_ItEEEESG_tNS9_4plusIvEENS9_8equal_toIvEEtEE10hipError_tPvRmT2_T3_T4_T5_mT6_T7_P12ihipStream_tbENKUlT_T0_E_clISt17integral_constantIbLb0EES10_IbLb1EEEEDaSW_SX_EUlSW_E_NS1_11comp_targetILNS1_3genE4ELNS1_11target_archE910ELNS1_3gpuE8ELNS1_3repE0EEENS1_30default_config_static_selectorELNS0_4arch9wavefront6targetE0EEEvT1_
	.p2align	8
	.type	_ZN7rocprim17ROCPRIM_400000_NS6detail17trampoline_kernelINS0_14default_configENS1_27scan_by_key_config_selectorIitEEZZNS1_16scan_by_key_implILNS1_25lookback_scan_determinismE0ELb0ES3_N6thrust23THRUST_200600_302600_NS6detail15normal_iteratorINS9_10device_ptrIiEEEENSB_INSC_ItEEEESG_tNS9_4plusIvEENS9_8equal_toIvEEtEE10hipError_tPvRmT2_T3_T4_T5_mT6_T7_P12ihipStream_tbENKUlT_T0_E_clISt17integral_constantIbLb0EES10_IbLb1EEEEDaSW_SX_EUlSW_E_NS1_11comp_targetILNS1_3genE4ELNS1_11target_archE910ELNS1_3gpuE8ELNS1_3repE0EEENS1_30default_config_static_selectorELNS0_4arch9wavefront6targetE0EEEvT1_,@function
_ZN7rocprim17ROCPRIM_400000_NS6detail17trampoline_kernelINS0_14default_configENS1_27scan_by_key_config_selectorIitEEZZNS1_16scan_by_key_implILNS1_25lookback_scan_determinismE0ELb0ES3_N6thrust23THRUST_200600_302600_NS6detail15normal_iteratorINS9_10device_ptrIiEEEENSB_INSC_ItEEEESG_tNS9_4plusIvEENS9_8equal_toIvEEtEE10hipError_tPvRmT2_T3_T4_T5_mT6_T7_P12ihipStream_tbENKUlT_T0_E_clISt17integral_constantIbLb0EES10_IbLb1EEEEDaSW_SX_EUlSW_E_NS1_11comp_targetILNS1_3genE4ELNS1_11target_archE910ELNS1_3gpuE8ELNS1_3repE0EEENS1_30default_config_static_selectorELNS0_4arch9wavefront6targetE0EEEvT1_: ; @_ZN7rocprim17ROCPRIM_400000_NS6detail17trampoline_kernelINS0_14default_configENS1_27scan_by_key_config_selectorIitEEZZNS1_16scan_by_key_implILNS1_25lookback_scan_determinismE0ELb0ES3_N6thrust23THRUST_200600_302600_NS6detail15normal_iteratorINS9_10device_ptrIiEEEENSB_INSC_ItEEEESG_tNS9_4plusIvEENS9_8equal_toIvEEtEE10hipError_tPvRmT2_T3_T4_T5_mT6_T7_P12ihipStream_tbENKUlT_T0_E_clISt17integral_constantIbLb0EES10_IbLb1EEEEDaSW_SX_EUlSW_E_NS1_11comp_targetILNS1_3genE4ELNS1_11target_archE910ELNS1_3gpuE8ELNS1_3repE0EEENS1_30default_config_static_selectorELNS0_4arch9wavefront6targetE0EEEvT1_
; %bb.0:
	.section	.rodata,"a",@progbits
	.p2align	6, 0x0
	.amdhsa_kernel _ZN7rocprim17ROCPRIM_400000_NS6detail17trampoline_kernelINS0_14default_configENS1_27scan_by_key_config_selectorIitEEZZNS1_16scan_by_key_implILNS1_25lookback_scan_determinismE0ELb0ES3_N6thrust23THRUST_200600_302600_NS6detail15normal_iteratorINS9_10device_ptrIiEEEENSB_INSC_ItEEEESG_tNS9_4plusIvEENS9_8equal_toIvEEtEE10hipError_tPvRmT2_T3_T4_T5_mT6_T7_P12ihipStream_tbENKUlT_T0_E_clISt17integral_constantIbLb0EES10_IbLb1EEEEDaSW_SX_EUlSW_E_NS1_11comp_targetILNS1_3genE4ELNS1_11target_archE910ELNS1_3gpuE8ELNS1_3repE0EEENS1_30default_config_static_selectorELNS0_4arch9wavefront6targetE0EEEvT1_
		.amdhsa_group_segment_fixed_size 0
		.amdhsa_private_segment_fixed_size 0
		.amdhsa_kernarg_size 112
		.amdhsa_user_sgpr_count 2
		.amdhsa_user_sgpr_dispatch_ptr 0
		.amdhsa_user_sgpr_queue_ptr 0
		.amdhsa_user_sgpr_kernarg_segment_ptr 1
		.amdhsa_user_sgpr_dispatch_id 0
		.amdhsa_user_sgpr_kernarg_preload_length 0
		.amdhsa_user_sgpr_kernarg_preload_offset 0
		.amdhsa_user_sgpr_private_segment_size 0
		.amdhsa_wavefront_size32 1
		.amdhsa_uses_dynamic_stack 0
		.amdhsa_enable_private_segment 0
		.amdhsa_system_sgpr_workgroup_id_x 1
		.amdhsa_system_sgpr_workgroup_id_y 0
		.amdhsa_system_sgpr_workgroup_id_z 0
		.amdhsa_system_sgpr_workgroup_info 0
		.amdhsa_system_vgpr_workitem_id 0
		.amdhsa_next_free_vgpr 1
		.amdhsa_next_free_sgpr 1
		.amdhsa_named_barrier_count 0
		.amdhsa_reserve_vcc 0
		.amdhsa_float_round_mode_32 0
		.amdhsa_float_round_mode_16_64 0
		.amdhsa_float_denorm_mode_32 3
		.amdhsa_float_denorm_mode_16_64 3
		.amdhsa_fp16_overflow 0
		.amdhsa_memory_ordered 1
		.amdhsa_forward_progress 1
		.amdhsa_inst_pref_size 0
		.amdhsa_round_robin_scheduling 0
		.amdhsa_exception_fp_ieee_invalid_op 0
		.amdhsa_exception_fp_denorm_src 0
		.amdhsa_exception_fp_ieee_div_zero 0
		.amdhsa_exception_fp_ieee_overflow 0
		.amdhsa_exception_fp_ieee_underflow 0
		.amdhsa_exception_fp_ieee_inexact 0
		.amdhsa_exception_int_div_zero 0
	.end_amdhsa_kernel
	.section	.text._ZN7rocprim17ROCPRIM_400000_NS6detail17trampoline_kernelINS0_14default_configENS1_27scan_by_key_config_selectorIitEEZZNS1_16scan_by_key_implILNS1_25lookback_scan_determinismE0ELb0ES3_N6thrust23THRUST_200600_302600_NS6detail15normal_iteratorINS9_10device_ptrIiEEEENSB_INSC_ItEEEESG_tNS9_4plusIvEENS9_8equal_toIvEEtEE10hipError_tPvRmT2_T3_T4_T5_mT6_T7_P12ihipStream_tbENKUlT_T0_E_clISt17integral_constantIbLb0EES10_IbLb1EEEEDaSW_SX_EUlSW_E_NS1_11comp_targetILNS1_3genE4ELNS1_11target_archE910ELNS1_3gpuE8ELNS1_3repE0EEENS1_30default_config_static_selectorELNS0_4arch9wavefront6targetE0EEEvT1_,"axG",@progbits,_ZN7rocprim17ROCPRIM_400000_NS6detail17trampoline_kernelINS0_14default_configENS1_27scan_by_key_config_selectorIitEEZZNS1_16scan_by_key_implILNS1_25lookback_scan_determinismE0ELb0ES3_N6thrust23THRUST_200600_302600_NS6detail15normal_iteratorINS9_10device_ptrIiEEEENSB_INSC_ItEEEESG_tNS9_4plusIvEENS9_8equal_toIvEEtEE10hipError_tPvRmT2_T3_T4_T5_mT6_T7_P12ihipStream_tbENKUlT_T0_E_clISt17integral_constantIbLb0EES10_IbLb1EEEEDaSW_SX_EUlSW_E_NS1_11comp_targetILNS1_3genE4ELNS1_11target_archE910ELNS1_3gpuE8ELNS1_3repE0EEENS1_30default_config_static_selectorELNS0_4arch9wavefront6targetE0EEEvT1_,comdat
.Lfunc_end1303:
	.size	_ZN7rocprim17ROCPRIM_400000_NS6detail17trampoline_kernelINS0_14default_configENS1_27scan_by_key_config_selectorIitEEZZNS1_16scan_by_key_implILNS1_25lookback_scan_determinismE0ELb0ES3_N6thrust23THRUST_200600_302600_NS6detail15normal_iteratorINS9_10device_ptrIiEEEENSB_INSC_ItEEEESG_tNS9_4plusIvEENS9_8equal_toIvEEtEE10hipError_tPvRmT2_T3_T4_T5_mT6_T7_P12ihipStream_tbENKUlT_T0_E_clISt17integral_constantIbLb0EES10_IbLb1EEEEDaSW_SX_EUlSW_E_NS1_11comp_targetILNS1_3genE4ELNS1_11target_archE910ELNS1_3gpuE8ELNS1_3repE0EEENS1_30default_config_static_selectorELNS0_4arch9wavefront6targetE0EEEvT1_, .Lfunc_end1303-_ZN7rocprim17ROCPRIM_400000_NS6detail17trampoline_kernelINS0_14default_configENS1_27scan_by_key_config_selectorIitEEZZNS1_16scan_by_key_implILNS1_25lookback_scan_determinismE0ELb0ES3_N6thrust23THRUST_200600_302600_NS6detail15normal_iteratorINS9_10device_ptrIiEEEENSB_INSC_ItEEEESG_tNS9_4plusIvEENS9_8equal_toIvEEtEE10hipError_tPvRmT2_T3_T4_T5_mT6_T7_P12ihipStream_tbENKUlT_T0_E_clISt17integral_constantIbLb0EES10_IbLb1EEEEDaSW_SX_EUlSW_E_NS1_11comp_targetILNS1_3genE4ELNS1_11target_archE910ELNS1_3gpuE8ELNS1_3repE0EEENS1_30default_config_static_selectorELNS0_4arch9wavefront6targetE0EEEvT1_
                                        ; -- End function
	.set _ZN7rocprim17ROCPRIM_400000_NS6detail17trampoline_kernelINS0_14default_configENS1_27scan_by_key_config_selectorIitEEZZNS1_16scan_by_key_implILNS1_25lookback_scan_determinismE0ELb0ES3_N6thrust23THRUST_200600_302600_NS6detail15normal_iteratorINS9_10device_ptrIiEEEENSB_INSC_ItEEEESG_tNS9_4plusIvEENS9_8equal_toIvEEtEE10hipError_tPvRmT2_T3_T4_T5_mT6_T7_P12ihipStream_tbENKUlT_T0_E_clISt17integral_constantIbLb0EES10_IbLb1EEEEDaSW_SX_EUlSW_E_NS1_11comp_targetILNS1_3genE4ELNS1_11target_archE910ELNS1_3gpuE8ELNS1_3repE0EEENS1_30default_config_static_selectorELNS0_4arch9wavefront6targetE0EEEvT1_.num_vgpr, 0
	.set _ZN7rocprim17ROCPRIM_400000_NS6detail17trampoline_kernelINS0_14default_configENS1_27scan_by_key_config_selectorIitEEZZNS1_16scan_by_key_implILNS1_25lookback_scan_determinismE0ELb0ES3_N6thrust23THRUST_200600_302600_NS6detail15normal_iteratorINS9_10device_ptrIiEEEENSB_INSC_ItEEEESG_tNS9_4plusIvEENS9_8equal_toIvEEtEE10hipError_tPvRmT2_T3_T4_T5_mT6_T7_P12ihipStream_tbENKUlT_T0_E_clISt17integral_constantIbLb0EES10_IbLb1EEEEDaSW_SX_EUlSW_E_NS1_11comp_targetILNS1_3genE4ELNS1_11target_archE910ELNS1_3gpuE8ELNS1_3repE0EEENS1_30default_config_static_selectorELNS0_4arch9wavefront6targetE0EEEvT1_.num_agpr, 0
	.set _ZN7rocprim17ROCPRIM_400000_NS6detail17trampoline_kernelINS0_14default_configENS1_27scan_by_key_config_selectorIitEEZZNS1_16scan_by_key_implILNS1_25lookback_scan_determinismE0ELb0ES3_N6thrust23THRUST_200600_302600_NS6detail15normal_iteratorINS9_10device_ptrIiEEEENSB_INSC_ItEEEESG_tNS9_4plusIvEENS9_8equal_toIvEEtEE10hipError_tPvRmT2_T3_T4_T5_mT6_T7_P12ihipStream_tbENKUlT_T0_E_clISt17integral_constantIbLb0EES10_IbLb1EEEEDaSW_SX_EUlSW_E_NS1_11comp_targetILNS1_3genE4ELNS1_11target_archE910ELNS1_3gpuE8ELNS1_3repE0EEENS1_30default_config_static_selectorELNS0_4arch9wavefront6targetE0EEEvT1_.numbered_sgpr, 0
	.set _ZN7rocprim17ROCPRIM_400000_NS6detail17trampoline_kernelINS0_14default_configENS1_27scan_by_key_config_selectorIitEEZZNS1_16scan_by_key_implILNS1_25lookback_scan_determinismE0ELb0ES3_N6thrust23THRUST_200600_302600_NS6detail15normal_iteratorINS9_10device_ptrIiEEEENSB_INSC_ItEEEESG_tNS9_4plusIvEENS9_8equal_toIvEEtEE10hipError_tPvRmT2_T3_T4_T5_mT6_T7_P12ihipStream_tbENKUlT_T0_E_clISt17integral_constantIbLb0EES10_IbLb1EEEEDaSW_SX_EUlSW_E_NS1_11comp_targetILNS1_3genE4ELNS1_11target_archE910ELNS1_3gpuE8ELNS1_3repE0EEENS1_30default_config_static_selectorELNS0_4arch9wavefront6targetE0EEEvT1_.num_named_barrier, 0
	.set _ZN7rocprim17ROCPRIM_400000_NS6detail17trampoline_kernelINS0_14default_configENS1_27scan_by_key_config_selectorIitEEZZNS1_16scan_by_key_implILNS1_25lookback_scan_determinismE0ELb0ES3_N6thrust23THRUST_200600_302600_NS6detail15normal_iteratorINS9_10device_ptrIiEEEENSB_INSC_ItEEEESG_tNS9_4plusIvEENS9_8equal_toIvEEtEE10hipError_tPvRmT2_T3_T4_T5_mT6_T7_P12ihipStream_tbENKUlT_T0_E_clISt17integral_constantIbLb0EES10_IbLb1EEEEDaSW_SX_EUlSW_E_NS1_11comp_targetILNS1_3genE4ELNS1_11target_archE910ELNS1_3gpuE8ELNS1_3repE0EEENS1_30default_config_static_selectorELNS0_4arch9wavefront6targetE0EEEvT1_.private_seg_size, 0
	.set _ZN7rocprim17ROCPRIM_400000_NS6detail17trampoline_kernelINS0_14default_configENS1_27scan_by_key_config_selectorIitEEZZNS1_16scan_by_key_implILNS1_25lookback_scan_determinismE0ELb0ES3_N6thrust23THRUST_200600_302600_NS6detail15normal_iteratorINS9_10device_ptrIiEEEENSB_INSC_ItEEEESG_tNS9_4plusIvEENS9_8equal_toIvEEtEE10hipError_tPvRmT2_T3_T4_T5_mT6_T7_P12ihipStream_tbENKUlT_T0_E_clISt17integral_constantIbLb0EES10_IbLb1EEEEDaSW_SX_EUlSW_E_NS1_11comp_targetILNS1_3genE4ELNS1_11target_archE910ELNS1_3gpuE8ELNS1_3repE0EEENS1_30default_config_static_selectorELNS0_4arch9wavefront6targetE0EEEvT1_.uses_vcc, 0
	.set _ZN7rocprim17ROCPRIM_400000_NS6detail17trampoline_kernelINS0_14default_configENS1_27scan_by_key_config_selectorIitEEZZNS1_16scan_by_key_implILNS1_25lookback_scan_determinismE0ELb0ES3_N6thrust23THRUST_200600_302600_NS6detail15normal_iteratorINS9_10device_ptrIiEEEENSB_INSC_ItEEEESG_tNS9_4plusIvEENS9_8equal_toIvEEtEE10hipError_tPvRmT2_T3_T4_T5_mT6_T7_P12ihipStream_tbENKUlT_T0_E_clISt17integral_constantIbLb0EES10_IbLb1EEEEDaSW_SX_EUlSW_E_NS1_11comp_targetILNS1_3genE4ELNS1_11target_archE910ELNS1_3gpuE8ELNS1_3repE0EEENS1_30default_config_static_selectorELNS0_4arch9wavefront6targetE0EEEvT1_.uses_flat_scratch, 0
	.set _ZN7rocprim17ROCPRIM_400000_NS6detail17trampoline_kernelINS0_14default_configENS1_27scan_by_key_config_selectorIitEEZZNS1_16scan_by_key_implILNS1_25lookback_scan_determinismE0ELb0ES3_N6thrust23THRUST_200600_302600_NS6detail15normal_iteratorINS9_10device_ptrIiEEEENSB_INSC_ItEEEESG_tNS9_4plusIvEENS9_8equal_toIvEEtEE10hipError_tPvRmT2_T3_T4_T5_mT6_T7_P12ihipStream_tbENKUlT_T0_E_clISt17integral_constantIbLb0EES10_IbLb1EEEEDaSW_SX_EUlSW_E_NS1_11comp_targetILNS1_3genE4ELNS1_11target_archE910ELNS1_3gpuE8ELNS1_3repE0EEENS1_30default_config_static_selectorELNS0_4arch9wavefront6targetE0EEEvT1_.has_dyn_sized_stack, 0
	.set _ZN7rocprim17ROCPRIM_400000_NS6detail17trampoline_kernelINS0_14default_configENS1_27scan_by_key_config_selectorIitEEZZNS1_16scan_by_key_implILNS1_25lookback_scan_determinismE0ELb0ES3_N6thrust23THRUST_200600_302600_NS6detail15normal_iteratorINS9_10device_ptrIiEEEENSB_INSC_ItEEEESG_tNS9_4plusIvEENS9_8equal_toIvEEtEE10hipError_tPvRmT2_T3_T4_T5_mT6_T7_P12ihipStream_tbENKUlT_T0_E_clISt17integral_constantIbLb0EES10_IbLb1EEEEDaSW_SX_EUlSW_E_NS1_11comp_targetILNS1_3genE4ELNS1_11target_archE910ELNS1_3gpuE8ELNS1_3repE0EEENS1_30default_config_static_selectorELNS0_4arch9wavefront6targetE0EEEvT1_.has_recursion, 0
	.set _ZN7rocprim17ROCPRIM_400000_NS6detail17trampoline_kernelINS0_14default_configENS1_27scan_by_key_config_selectorIitEEZZNS1_16scan_by_key_implILNS1_25lookback_scan_determinismE0ELb0ES3_N6thrust23THRUST_200600_302600_NS6detail15normal_iteratorINS9_10device_ptrIiEEEENSB_INSC_ItEEEESG_tNS9_4plusIvEENS9_8equal_toIvEEtEE10hipError_tPvRmT2_T3_T4_T5_mT6_T7_P12ihipStream_tbENKUlT_T0_E_clISt17integral_constantIbLb0EES10_IbLb1EEEEDaSW_SX_EUlSW_E_NS1_11comp_targetILNS1_3genE4ELNS1_11target_archE910ELNS1_3gpuE8ELNS1_3repE0EEENS1_30default_config_static_selectorELNS0_4arch9wavefront6targetE0EEEvT1_.has_indirect_call, 0
	.section	.AMDGPU.csdata,"",@progbits
; Kernel info:
; codeLenInByte = 0
; TotalNumSgprs: 0
; NumVgprs: 0
; ScratchSize: 0
; MemoryBound: 0
; FloatMode: 240
; IeeeMode: 1
; LDSByteSize: 0 bytes/workgroup (compile time only)
; SGPRBlocks: 0
; VGPRBlocks: 0
; NumSGPRsForWavesPerEU: 1
; NumVGPRsForWavesPerEU: 1
; NamedBarCnt: 0
; Occupancy: 16
; WaveLimiterHint : 0
; COMPUTE_PGM_RSRC2:SCRATCH_EN: 0
; COMPUTE_PGM_RSRC2:USER_SGPR: 2
; COMPUTE_PGM_RSRC2:TRAP_HANDLER: 0
; COMPUTE_PGM_RSRC2:TGID_X_EN: 1
; COMPUTE_PGM_RSRC2:TGID_Y_EN: 0
; COMPUTE_PGM_RSRC2:TGID_Z_EN: 0
; COMPUTE_PGM_RSRC2:TIDIG_COMP_CNT: 0
	.section	.text._ZN7rocprim17ROCPRIM_400000_NS6detail17trampoline_kernelINS0_14default_configENS1_27scan_by_key_config_selectorIitEEZZNS1_16scan_by_key_implILNS1_25lookback_scan_determinismE0ELb0ES3_N6thrust23THRUST_200600_302600_NS6detail15normal_iteratorINS9_10device_ptrIiEEEENSB_INSC_ItEEEESG_tNS9_4plusIvEENS9_8equal_toIvEEtEE10hipError_tPvRmT2_T3_T4_T5_mT6_T7_P12ihipStream_tbENKUlT_T0_E_clISt17integral_constantIbLb0EES10_IbLb1EEEEDaSW_SX_EUlSW_E_NS1_11comp_targetILNS1_3genE3ELNS1_11target_archE908ELNS1_3gpuE7ELNS1_3repE0EEENS1_30default_config_static_selectorELNS0_4arch9wavefront6targetE0EEEvT1_,"axG",@progbits,_ZN7rocprim17ROCPRIM_400000_NS6detail17trampoline_kernelINS0_14default_configENS1_27scan_by_key_config_selectorIitEEZZNS1_16scan_by_key_implILNS1_25lookback_scan_determinismE0ELb0ES3_N6thrust23THRUST_200600_302600_NS6detail15normal_iteratorINS9_10device_ptrIiEEEENSB_INSC_ItEEEESG_tNS9_4plusIvEENS9_8equal_toIvEEtEE10hipError_tPvRmT2_T3_T4_T5_mT6_T7_P12ihipStream_tbENKUlT_T0_E_clISt17integral_constantIbLb0EES10_IbLb1EEEEDaSW_SX_EUlSW_E_NS1_11comp_targetILNS1_3genE3ELNS1_11target_archE908ELNS1_3gpuE7ELNS1_3repE0EEENS1_30default_config_static_selectorELNS0_4arch9wavefront6targetE0EEEvT1_,comdat
	.protected	_ZN7rocprim17ROCPRIM_400000_NS6detail17trampoline_kernelINS0_14default_configENS1_27scan_by_key_config_selectorIitEEZZNS1_16scan_by_key_implILNS1_25lookback_scan_determinismE0ELb0ES3_N6thrust23THRUST_200600_302600_NS6detail15normal_iteratorINS9_10device_ptrIiEEEENSB_INSC_ItEEEESG_tNS9_4plusIvEENS9_8equal_toIvEEtEE10hipError_tPvRmT2_T3_T4_T5_mT6_T7_P12ihipStream_tbENKUlT_T0_E_clISt17integral_constantIbLb0EES10_IbLb1EEEEDaSW_SX_EUlSW_E_NS1_11comp_targetILNS1_3genE3ELNS1_11target_archE908ELNS1_3gpuE7ELNS1_3repE0EEENS1_30default_config_static_selectorELNS0_4arch9wavefront6targetE0EEEvT1_ ; -- Begin function _ZN7rocprim17ROCPRIM_400000_NS6detail17trampoline_kernelINS0_14default_configENS1_27scan_by_key_config_selectorIitEEZZNS1_16scan_by_key_implILNS1_25lookback_scan_determinismE0ELb0ES3_N6thrust23THRUST_200600_302600_NS6detail15normal_iteratorINS9_10device_ptrIiEEEENSB_INSC_ItEEEESG_tNS9_4plusIvEENS9_8equal_toIvEEtEE10hipError_tPvRmT2_T3_T4_T5_mT6_T7_P12ihipStream_tbENKUlT_T0_E_clISt17integral_constantIbLb0EES10_IbLb1EEEEDaSW_SX_EUlSW_E_NS1_11comp_targetILNS1_3genE3ELNS1_11target_archE908ELNS1_3gpuE7ELNS1_3repE0EEENS1_30default_config_static_selectorELNS0_4arch9wavefront6targetE0EEEvT1_
	.globl	_ZN7rocprim17ROCPRIM_400000_NS6detail17trampoline_kernelINS0_14default_configENS1_27scan_by_key_config_selectorIitEEZZNS1_16scan_by_key_implILNS1_25lookback_scan_determinismE0ELb0ES3_N6thrust23THRUST_200600_302600_NS6detail15normal_iteratorINS9_10device_ptrIiEEEENSB_INSC_ItEEEESG_tNS9_4plusIvEENS9_8equal_toIvEEtEE10hipError_tPvRmT2_T3_T4_T5_mT6_T7_P12ihipStream_tbENKUlT_T0_E_clISt17integral_constantIbLb0EES10_IbLb1EEEEDaSW_SX_EUlSW_E_NS1_11comp_targetILNS1_3genE3ELNS1_11target_archE908ELNS1_3gpuE7ELNS1_3repE0EEENS1_30default_config_static_selectorELNS0_4arch9wavefront6targetE0EEEvT1_
	.p2align	8
	.type	_ZN7rocprim17ROCPRIM_400000_NS6detail17trampoline_kernelINS0_14default_configENS1_27scan_by_key_config_selectorIitEEZZNS1_16scan_by_key_implILNS1_25lookback_scan_determinismE0ELb0ES3_N6thrust23THRUST_200600_302600_NS6detail15normal_iteratorINS9_10device_ptrIiEEEENSB_INSC_ItEEEESG_tNS9_4plusIvEENS9_8equal_toIvEEtEE10hipError_tPvRmT2_T3_T4_T5_mT6_T7_P12ihipStream_tbENKUlT_T0_E_clISt17integral_constantIbLb0EES10_IbLb1EEEEDaSW_SX_EUlSW_E_NS1_11comp_targetILNS1_3genE3ELNS1_11target_archE908ELNS1_3gpuE7ELNS1_3repE0EEENS1_30default_config_static_selectorELNS0_4arch9wavefront6targetE0EEEvT1_,@function
_ZN7rocprim17ROCPRIM_400000_NS6detail17trampoline_kernelINS0_14default_configENS1_27scan_by_key_config_selectorIitEEZZNS1_16scan_by_key_implILNS1_25lookback_scan_determinismE0ELb0ES3_N6thrust23THRUST_200600_302600_NS6detail15normal_iteratorINS9_10device_ptrIiEEEENSB_INSC_ItEEEESG_tNS9_4plusIvEENS9_8equal_toIvEEtEE10hipError_tPvRmT2_T3_T4_T5_mT6_T7_P12ihipStream_tbENKUlT_T0_E_clISt17integral_constantIbLb0EES10_IbLb1EEEEDaSW_SX_EUlSW_E_NS1_11comp_targetILNS1_3genE3ELNS1_11target_archE908ELNS1_3gpuE7ELNS1_3repE0EEENS1_30default_config_static_selectorELNS0_4arch9wavefront6targetE0EEEvT1_: ; @_ZN7rocprim17ROCPRIM_400000_NS6detail17trampoline_kernelINS0_14default_configENS1_27scan_by_key_config_selectorIitEEZZNS1_16scan_by_key_implILNS1_25lookback_scan_determinismE0ELb0ES3_N6thrust23THRUST_200600_302600_NS6detail15normal_iteratorINS9_10device_ptrIiEEEENSB_INSC_ItEEEESG_tNS9_4plusIvEENS9_8equal_toIvEEtEE10hipError_tPvRmT2_T3_T4_T5_mT6_T7_P12ihipStream_tbENKUlT_T0_E_clISt17integral_constantIbLb0EES10_IbLb1EEEEDaSW_SX_EUlSW_E_NS1_11comp_targetILNS1_3genE3ELNS1_11target_archE908ELNS1_3gpuE7ELNS1_3repE0EEENS1_30default_config_static_selectorELNS0_4arch9wavefront6targetE0EEEvT1_
; %bb.0:
	.section	.rodata,"a",@progbits
	.p2align	6, 0x0
	.amdhsa_kernel _ZN7rocprim17ROCPRIM_400000_NS6detail17trampoline_kernelINS0_14default_configENS1_27scan_by_key_config_selectorIitEEZZNS1_16scan_by_key_implILNS1_25lookback_scan_determinismE0ELb0ES3_N6thrust23THRUST_200600_302600_NS6detail15normal_iteratorINS9_10device_ptrIiEEEENSB_INSC_ItEEEESG_tNS9_4plusIvEENS9_8equal_toIvEEtEE10hipError_tPvRmT2_T3_T4_T5_mT6_T7_P12ihipStream_tbENKUlT_T0_E_clISt17integral_constantIbLb0EES10_IbLb1EEEEDaSW_SX_EUlSW_E_NS1_11comp_targetILNS1_3genE3ELNS1_11target_archE908ELNS1_3gpuE7ELNS1_3repE0EEENS1_30default_config_static_selectorELNS0_4arch9wavefront6targetE0EEEvT1_
		.amdhsa_group_segment_fixed_size 0
		.amdhsa_private_segment_fixed_size 0
		.amdhsa_kernarg_size 112
		.amdhsa_user_sgpr_count 2
		.amdhsa_user_sgpr_dispatch_ptr 0
		.amdhsa_user_sgpr_queue_ptr 0
		.amdhsa_user_sgpr_kernarg_segment_ptr 1
		.amdhsa_user_sgpr_dispatch_id 0
		.amdhsa_user_sgpr_kernarg_preload_length 0
		.amdhsa_user_sgpr_kernarg_preload_offset 0
		.amdhsa_user_sgpr_private_segment_size 0
		.amdhsa_wavefront_size32 1
		.amdhsa_uses_dynamic_stack 0
		.amdhsa_enable_private_segment 0
		.amdhsa_system_sgpr_workgroup_id_x 1
		.amdhsa_system_sgpr_workgroup_id_y 0
		.amdhsa_system_sgpr_workgroup_id_z 0
		.amdhsa_system_sgpr_workgroup_info 0
		.amdhsa_system_vgpr_workitem_id 0
		.amdhsa_next_free_vgpr 1
		.amdhsa_next_free_sgpr 1
		.amdhsa_named_barrier_count 0
		.amdhsa_reserve_vcc 0
		.amdhsa_float_round_mode_32 0
		.amdhsa_float_round_mode_16_64 0
		.amdhsa_float_denorm_mode_32 3
		.amdhsa_float_denorm_mode_16_64 3
		.amdhsa_fp16_overflow 0
		.amdhsa_memory_ordered 1
		.amdhsa_forward_progress 1
		.amdhsa_inst_pref_size 0
		.amdhsa_round_robin_scheduling 0
		.amdhsa_exception_fp_ieee_invalid_op 0
		.amdhsa_exception_fp_denorm_src 0
		.amdhsa_exception_fp_ieee_div_zero 0
		.amdhsa_exception_fp_ieee_overflow 0
		.amdhsa_exception_fp_ieee_underflow 0
		.amdhsa_exception_fp_ieee_inexact 0
		.amdhsa_exception_int_div_zero 0
	.end_amdhsa_kernel
	.section	.text._ZN7rocprim17ROCPRIM_400000_NS6detail17trampoline_kernelINS0_14default_configENS1_27scan_by_key_config_selectorIitEEZZNS1_16scan_by_key_implILNS1_25lookback_scan_determinismE0ELb0ES3_N6thrust23THRUST_200600_302600_NS6detail15normal_iteratorINS9_10device_ptrIiEEEENSB_INSC_ItEEEESG_tNS9_4plusIvEENS9_8equal_toIvEEtEE10hipError_tPvRmT2_T3_T4_T5_mT6_T7_P12ihipStream_tbENKUlT_T0_E_clISt17integral_constantIbLb0EES10_IbLb1EEEEDaSW_SX_EUlSW_E_NS1_11comp_targetILNS1_3genE3ELNS1_11target_archE908ELNS1_3gpuE7ELNS1_3repE0EEENS1_30default_config_static_selectorELNS0_4arch9wavefront6targetE0EEEvT1_,"axG",@progbits,_ZN7rocprim17ROCPRIM_400000_NS6detail17trampoline_kernelINS0_14default_configENS1_27scan_by_key_config_selectorIitEEZZNS1_16scan_by_key_implILNS1_25lookback_scan_determinismE0ELb0ES3_N6thrust23THRUST_200600_302600_NS6detail15normal_iteratorINS9_10device_ptrIiEEEENSB_INSC_ItEEEESG_tNS9_4plusIvEENS9_8equal_toIvEEtEE10hipError_tPvRmT2_T3_T4_T5_mT6_T7_P12ihipStream_tbENKUlT_T0_E_clISt17integral_constantIbLb0EES10_IbLb1EEEEDaSW_SX_EUlSW_E_NS1_11comp_targetILNS1_3genE3ELNS1_11target_archE908ELNS1_3gpuE7ELNS1_3repE0EEENS1_30default_config_static_selectorELNS0_4arch9wavefront6targetE0EEEvT1_,comdat
.Lfunc_end1304:
	.size	_ZN7rocprim17ROCPRIM_400000_NS6detail17trampoline_kernelINS0_14default_configENS1_27scan_by_key_config_selectorIitEEZZNS1_16scan_by_key_implILNS1_25lookback_scan_determinismE0ELb0ES3_N6thrust23THRUST_200600_302600_NS6detail15normal_iteratorINS9_10device_ptrIiEEEENSB_INSC_ItEEEESG_tNS9_4plusIvEENS9_8equal_toIvEEtEE10hipError_tPvRmT2_T3_T4_T5_mT6_T7_P12ihipStream_tbENKUlT_T0_E_clISt17integral_constantIbLb0EES10_IbLb1EEEEDaSW_SX_EUlSW_E_NS1_11comp_targetILNS1_3genE3ELNS1_11target_archE908ELNS1_3gpuE7ELNS1_3repE0EEENS1_30default_config_static_selectorELNS0_4arch9wavefront6targetE0EEEvT1_, .Lfunc_end1304-_ZN7rocprim17ROCPRIM_400000_NS6detail17trampoline_kernelINS0_14default_configENS1_27scan_by_key_config_selectorIitEEZZNS1_16scan_by_key_implILNS1_25lookback_scan_determinismE0ELb0ES3_N6thrust23THRUST_200600_302600_NS6detail15normal_iteratorINS9_10device_ptrIiEEEENSB_INSC_ItEEEESG_tNS9_4plusIvEENS9_8equal_toIvEEtEE10hipError_tPvRmT2_T3_T4_T5_mT6_T7_P12ihipStream_tbENKUlT_T0_E_clISt17integral_constantIbLb0EES10_IbLb1EEEEDaSW_SX_EUlSW_E_NS1_11comp_targetILNS1_3genE3ELNS1_11target_archE908ELNS1_3gpuE7ELNS1_3repE0EEENS1_30default_config_static_selectorELNS0_4arch9wavefront6targetE0EEEvT1_
                                        ; -- End function
	.set _ZN7rocprim17ROCPRIM_400000_NS6detail17trampoline_kernelINS0_14default_configENS1_27scan_by_key_config_selectorIitEEZZNS1_16scan_by_key_implILNS1_25lookback_scan_determinismE0ELb0ES3_N6thrust23THRUST_200600_302600_NS6detail15normal_iteratorINS9_10device_ptrIiEEEENSB_INSC_ItEEEESG_tNS9_4plusIvEENS9_8equal_toIvEEtEE10hipError_tPvRmT2_T3_T4_T5_mT6_T7_P12ihipStream_tbENKUlT_T0_E_clISt17integral_constantIbLb0EES10_IbLb1EEEEDaSW_SX_EUlSW_E_NS1_11comp_targetILNS1_3genE3ELNS1_11target_archE908ELNS1_3gpuE7ELNS1_3repE0EEENS1_30default_config_static_selectorELNS0_4arch9wavefront6targetE0EEEvT1_.num_vgpr, 0
	.set _ZN7rocprim17ROCPRIM_400000_NS6detail17trampoline_kernelINS0_14default_configENS1_27scan_by_key_config_selectorIitEEZZNS1_16scan_by_key_implILNS1_25lookback_scan_determinismE0ELb0ES3_N6thrust23THRUST_200600_302600_NS6detail15normal_iteratorINS9_10device_ptrIiEEEENSB_INSC_ItEEEESG_tNS9_4plusIvEENS9_8equal_toIvEEtEE10hipError_tPvRmT2_T3_T4_T5_mT6_T7_P12ihipStream_tbENKUlT_T0_E_clISt17integral_constantIbLb0EES10_IbLb1EEEEDaSW_SX_EUlSW_E_NS1_11comp_targetILNS1_3genE3ELNS1_11target_archE908ELNS1_3gpuE7ELNS1_3repE0EEENS1_30default_config_static_selectorELNS0_4arch9wavefront6targetE0EEEvT1_.num_agpr, 0
	.set _ZN7rocprim17ROCPRIM_400000_NS6detail17trampoline_kernelINS0_14default_configENS1_27scan_by_key_config_selectorIitEEZZNS1_16scan_by_key_implILNS1_25lookback_scan_determinismE0ELb0ES3_N6thrust23THRUST_200600_302600_NS6detail15normal_iteratorINS9_10device_ptrIiEEEENSB_INSC_ItEEEESG_tNS9_4plusIvEENS9_8equal_toIvEEtEE10hipError_tPvRmT2_T3_T4_T5_mT6_T7_P12ihipStream_tbENKUlT_T0_E_clISt17integral_constantIbLb0EES10_IbLb1EEEEDaSW_SX_EUlSW_E_NS1_11comp_targetILNS1_3genE3ELNS1_11target_archE908ELNS1_3gpuE7ELNS1_3repE0EEENS1_30default_config_static_selectorELNS0_4arch9wavefront6targetE0EEEvT1_.numbered_sgpr, 0
	.set _ZN7rocprim17ROCPRIM_400000_NS6detail17trampoline_kernelINS0_14default_configENS1_27scan_by_key_config_selectorIitEEZZNS1_16scan_by_key_implILNS1_25lookback_scan_determinismE0ELb0ES3_N6thrust23THRUST_200600_302600_NS6detail15normal_iteratorINS9_10device_ptrIiEEEENSB_INSC_ItEEEESG_tNS9_4plusIvEENS9_8equal_toIvEEtEE10hipError_tPvRmT2_T3_T4_T5_mT6_T7_P12ihipStream_tbENKUlT_T0_E_clISt17integral_constantIbLb0EES10_IbLb1EEEEDaSW_SX_EUlSW_E_NS1_11comp_targetILNS1_3genE3ELNS1_11target_archE908ELNS1_3gpuE7ELNS1_3repE0EEENS1_30default_config_static_selectorELNS0_4arch9wavefront6targetE0EEEvT1_.num_named_barrier, 0
	.set _ZN7rocprim17ROCPRIM_400000_NS6detail17trampoline_kernelINS0_14default_configENS1_27scan_by_key_config_selectorIitEEZZNS1_16scan_by_key_implILNS1_25lookback_scan_determinismE0ELb0ES3_N6thrust23THRUST_200600_302600_NS6detail15normal_iteratorINS9_10device_ptrIiEEEENSB_INSC_ItEEEESG_tNS9_4plusIvEENS9_8equal_toIvEEtEE10hipError_tPvRmT2_T3_T4_T5_mT6_T7_P12ihipStream_tbENKUlT_T0_E_clISt17integral_constantIbLb0EES10_IbLb1EEEEDaSW_SX_EUlSW_E_NS1_11comp_targetILNS1_3genE3ELNS1_11target_archE908ELNS1_3gpuE7ELNS1_3repE0EEENS1_30default_config_static_selectorELNS0_4arch9wavefront6targetE0EEEvT1_.private_seg_size, 0
	.set _ZN7rocprim17ROCPRIM_400000_NS6detail17trampoline_kernelINS0_14default_configENS1_27scan_by_key_config_selectorIitEEZZNS1_16scan_by_key_implILNS1_25lookback_scan_determinismE0ELb0ES3_N6thrust23THRUST_200600_302600_NS6detail15normal_iteratorINS9_10device_ptrIiEEEENSB_INSC_ItEEEESG_tNS9_4plusIvEENS9_8equal_toIvEEtEE10hipError_tPvRmT2_T3_T4_T5_mT6_T7_P12ihipStream_tbENKUlT_T0_E_clISt17integral_constantIbLb0EES10_IbLb1EEEEDaSW_SX_EUlSW_E_NS1_11comp_targetILNS1_3genE3ELNS1_11target_archE908ELNS1_3gpuE7ELNS1_3repE0EEENS1_30default_config_static_selectorELNS0_4arch9wavefront6targetE0EEEvT1_.uses_vcc, 0
	.set _ZN7rocprim17ROCPRIM_400000_NS6detail17trampoline_kernelINS0_14default_configENS1_27scan_by_key_config_selectorIitEEZZNS1_16scan_by_key_implILNS1_25lookback_scan_determinismE0ELb0ES3_N6thrust23THRUST_200600_302600_NS6detail15normal_iteratorINS9_10device_ptrIiEEEENSB_INSC_ItEEEESG_tNS9_4plusIvEENS9_8equal_toIvEEtEE10hipError_tPvRmT2_T3_T4_T5_mT6_T7_P12ihipStream_tbENKUlT_T0_E_clISt17integral_constantIbLb0EES10_IbLb1EEEEDaSW_SX_EUlSW_E_NS1_11comp_targetILNS1_3genE3ELNS1_11target_archE908ELNS1_3gpuE7ELNS1_3repE0EEENS1_30default_config_static_selectorELNS0_4arch9wavefront6targetE0EEEvT1_.uses_flat_scratch, 0
	.set _ZN7rocprim17ROCPRIM_400000_NS6detail17trampoline_kernelINS0_14default_configENS1_27scan_by_key_config_selectorIitEEZZNS1_16scan_by_key_implILNS1_25lookback_scan_determinismE0ELb0ES3_N6thrust23THRUST_200600_302600_NS6detail15normal_iteratorINS9_10device_ptrIiEEEENSB_INSC_ItEEEESG_tNS9_4plusIvEENS9_8equal_toIvEEtEE10hipError_tPvRmT2_T3_T4_T5_mT6_T7_P12ihipStream_tbENKUlT_T0_E_clISt17integral_constantIbLb0EES10_IbLb1EEEEDaSW_SX_EUlSW_E_NS1_11comp_targetILNS1_3genE3ELNS1_11target_archE908ELNS1_3gpuE7ELNS1_3repE0EEENS1_30default_config_static_selectorELNS0_4arch9wavefront6targetE0EEEvT1_.has_dyn_sized_stack, 0
	.set _ZN7rocprim17ROCPRIM_400000_NS6detail17trampoline_kernelINS0_14default_configENS1_27scan_by_key_config_selectorIitEEZZNS1_16scan_by_key_implILNS1_25lookback_scan_determinismE0ELb0ES3_N6thrust23THRUST_200600_302600_NS6detail15normal_iteratorINS9_10device_ptrIiEEEENSB_INSC_ItEEEESG_tNS9_4plusIvEENS9_8equal_toIvEEtEE10hipError_tPvRmT2_T3_T4_T5_mT6_T7_P12ihipStream_tbENKUlT_T0_E_clISt17integral_constantIbLb0EES10_IbLb1EEEEDaSW_SX_EUlSW_E_NS1_11comp_targetILNS1_3genE3ELNS1_11target_archE908ELNS1_3gpuE7ELNS1_3repE0EEENS1_30default_config_static_selectorELNS0_4arch9wavefront6targetE0EEEvT1_.has_recursion, 0
	.set _ZN7rocprim17ROCPRIM_400000_NS6detail17trampoline_kernelINS0_14default_configENS1_27scan_by_key_config_selectorIitEEZZNS1_16scan_by_key_implILNS1_25lookback_scan_determinismE0ELb0ES3_N6thrust23THRUST_200600_302600_NS6detail15normal_iteratorINS9_10device_ptrIiEEEENSB_INSC_ItEEEESG_tNS9_4plusIvEENS9_8equal_toIvEEtEE10hipError_tPvRmT2_T3_T4_T5_mT6_T7_P12ihipStream_tbENKUlT_T0_E_clISt17integral_constantIbLb0EES10_IbLb1EEEEDaSW_SX_EUlSW_E_NS1_11comp_targetILNS1_3genE3ELNS1_11target_archE908ELNS1_3gpuE7ELNS1_3repE0EEENS1_30default_config_static_selectorELNS0_4arch9wavefront6targetE0EEEvT1_.has_indirect_call, 0
	.section	.AMDGPU.csdata,"",@progbits
; Kernel info:
; codeLenInByte = 0
; TotalNumSgprs: 0
; NumVgprs: 0
; ScratchSize: 0
; MemoryBound: 0
; FloatMode: 240
; IeeeMode: 1
; LDSByteSize: 0 bytes/workgroup (compile time only)
; SGPRBlocks: 0
; VGPRBlocks: 0
; NumSGPRsForWavesPerEU: 1
; NumVGPRsForWavesPerEU: 1
; NamedBarCnt: 0
; Occupancy: 16
; WaveLimiterHint : 0
; COMPUTE_PGM_RSRC2:SCRATCH_EN: 0
; COMPUTE_PGM_RSRC2:USER_SGPR: 2
; COMPUTE_PGM_RSRC2:TRAP_HANDLER: 0
; COMPUTE_PGM_RSRC2:TGID_X_EN: 1
; COMPUTE_PGM_RSRC2:TGID_Y_EN: 0
; COMPUTE_PGM_RSRC2:TGID_Z_EN: 0
; COMPUTE_PGM_RSRC2:TIDIG_COMP_CNT: 0
	.section	.text._ZN7rocprim17ROCPRIM_400000_NS6detail17trampoline_kernelINS0_14default_configENS1_27scan_by_key_config_selectorIitEEZZNS1_16scan_by_key_implILNS1_25lookback_scan_determinismE0ELb0ES3_N6thrust23THRUST_200600_302600_NS6detail15normal_iteratorINS9_10device_ptrIiEEEENSB_INSC_ItEEEESG_tNS9_4plusIvEENS9_8equal_toIvEEtEE10hipError_tPvRmT2_T3_T4_T5_mT6_T7_P12ihipStream_tbENKUlT_T0_E_clISt17integral_constantIbLb0EES10_IbLb1EEEEDaSW_SX_EUlSW_E_NS1_11comp_targetILNS1_3genE2ELNS1_11target_archE906ELNS1_3gpuE6ELNS1_3repE0EEENS1_30default_config_static_selectorELNS0_4arch9wavefront6targetE0EEEvT1_,"axG",@progbits,_ZN7rocprim17ROCPRIM_400000_NS6detail17trampoline_kernelINS0_14default_configENS1_27scan_by_key_config_selectorIitEEZZNS1_16scan_by_key_implILNS1_25lookback_scan_determinismE0ELb0ES3_N6thrust23THRUST_200600_302600_NS6detail15normal_iteratorINS9_10device_ptrIiEEEENSB_INSC_ItEEEESG_tNS9_4plusIvEENS9_8equal_toIvEEtEE10hipError_tPvRmT2_T3_T4_T5_mT6_T7_P12ihipStream_tbENKUlT_T0_E_clISt17integral_constantIbLb0EES10_IbLb1EEEEDaSW_SX_EUlSW_E_NS1_11comp_targetILNS1_3genE2ELNS1_11target_archE906ELNS1_3gpuE6ELNS1_3repE0EEENS1_30default_config_static_selectorELNS0_4arch9wavefront6targetE0EEEvT1_,comdat
	.protected	_ZN7rocprim17ROCPRIM_400000_NS6detail17trampoline_kernelINS0_14default_configENS1_27scan_by_key_config_selectorIitEEZZNS1_16scan_by_key_implILNS1_25lookback_scan_determinismE0ELb0ES3_N6thrust23THRUST_200600_302600_NS6detail15normal_iteratorINS9_10device_ptrIiEEEENSB_INSC_ItEEEESG_tNS9_4plusIvEENS9_8equal_toIvEEtEE10hipError_tPvRmT2_T3_T4_T5_mT6_T7_P12ihipStream_tbENKUlT_T0_E_clISt17integral_constantIbLb0EES10_IbLb1EEEEDaSW_SX_EUlSW_E_NS1_11comp_targetILNS1_3genE2ELNS1_11target_archE906ELNS1_3gpuE6ELNS1_3repE0EEENS1_30default_config_static_selectorELNS0_4arch9wavefront6targetE0EEEvT1_ ; -- Begin function _ZN7rocprim17ROCPRIM_400000_NS6detail17trampoline_kernelINS0_14default_configENS1_27scan_by_key_config_selectorIitEEZZNS1_16scan_by_key_implILNS1_25lookback_scan_determinismE0ELb0ES3_N6thrust23THRUST_200600_302600_NS6detail15normal_iteratorINS9_10device_ptrIiEEEENSB_INSC_ItEEEESG_tNS9_4plusIvEENS9_8equal_toIvEEtEE10hipError_tPvRmT2_T3_T4_T5_mT6_T7_P12ihipStream_tbENKUlT_T0_E_clISt17integral_constantIbLb0EES10_IbLb1EEEEDaSW_SX_EUlSW_E_NS1_11comp_targetILNS1_3genE2ELNS1_11target_archE906ELNS1_3gpuE6ELNS1_3repE0EEENS1_30default_config_static_selectorELNS0_4arch9wavefront6targetE0EEEvT1_
	.globl	_ZN7rocprim17ROCPRIM_400000_NS6detail17trampoline_kernelINS0_14default_configENS1_27scan_by_key_config_selectorIitEEZZNS1_16scan_by_key_implILNS1_25lookback_scan_determinismE0ELb0ES3_N6thrust23THRUST_200600_302600_NS6detail15normal_iteratorINS9_10device_ptrIiEEEENSB_INSC_ItEEEESG_tNS9_4plusIvEENS9_8equal_toIvEEtEE10hipError_tPvRmT2_T3_T4_T5_mT6_T7_P12ihipStream_tbENKUlT_T0_E_clISt17integral_constantIbLb0EES10_IbLb1EEEEDaSW_SX_EUlSW_E_NS1_11comp_targetILNS1_3genE2ELNS1_11target_archE906ELNS1_3gpuE6ELNS1_3repE0EEENS1_30default_config_static_selectorELNS0_4arch9wavefront6targetE0EEEvT1_
	.p2align	8
	.type	_ZN7rocprim17ROCPRIM_400000_NS6detail17trampoline_kernelINS0_14default_configENS1_27scan_by_key_config_selectorIitEEZZNS1_16scan_by_key_implILNS1_25lookback_scan_determinismE0ELb0ES3_N6thrust23THRUST_200600_302600_NS6detail15normal_iteratorINS9_10device_ptrIiEEEENSB_INSC_ItEEEESG_tNS9_4plusIvEENS9_8equal_toIvEEtEE10hipError_tPvRmT2_T3_T4_T5_mT6_T7_P12ihipStream_tbENKUlT_T0_E_clISt17integral_constantIbLb0EES10_IbLb1EEEEDaSW_SX_EUlSW_E_NS1_11comp_targetILNS1_3genE2ELNS1_11target_archE906ELNS1_3gpuE6ELNS1_3repE0EEENS1_30default_config_static_selectorELNS0_4arch9wavefront6targetE0EEEvT1_,@function
_ZN7rocprim17ROCPRIM_400000_NS6detail17trampoline_kernelINS0_14default_configENS1_27scan_by_key_config_selectorIitEEZZNS1_16scan_by_key_implILNS1_25lookback_scan_determinismE0ELb0ES3_N6thrust23THRUST_200600_302600_NS6detail15normal_iteratorINS9_10device_ptrIiEEEENSB_INSC_ItEEEESG_tNS9_4plusIvEENS9_8equal_toIvEEtEE10hipError_tPvRmT2_T3_T4_T5_mT6_T7_P12ihipStream_tbENKUlT_T0_E_clISt17integral_constantIbLb0EES10_IbLb1EEEEDaSW_SX_EUlSW_E_NS1_11comp_targetILNS1_3genE2ELNS1_11target_archE906ELNS1_3gpuE6ELNS1_3repE0EEENS1_30default_config_static_selectorELNS0_4arch9wavefront6targetE0EEEvT1_: ; @_ZN7rocprim17ROCPRIM_400000_NS6detail17trampoline_kernelINS0_14default_configENS1_27scan_by_key_config_selectorIitEEZZNS1_16scan_by_key_implILNS1_25lookback_scan_determinismE0ELb0ES3_N6thrust23THRUST_200600_302600_NS6detail15normal_iteratorINS9_10device_ptrIiEEEENSB_INSC_ItEEEESG_tNS9_4plusIvEENS9_8equal_toIvEEtEE10hipError_tPvRmT2_T3_T4_T5_mT6_T7_P12ihipStream_tbENKUlT_T0_E_clISt17integral_constantIbLb0EES10_IbLb1EEEEDaSW_SX_EUlSW_E_NS1_11comp_targetILNS1_3genE2ELNS1_11target_archE906ELNS1_3gpuE6ELNS1_3repE0EEENS1_30default_config_static_selectorELNS0_4arch9wavefront6targetE0EEEvT1_
; %bb.0:
	.section	.rodata,"a",@progbits
	.p2align	6, 0x0
	.amdhsa_kernel _ZN7rocprim17ROCPRIM_400000_NS6detail17trampoline_kernelINS0_14default_configENS1_27scan_by_key_config_selectorIitEEZZNS1_16scan_by_key_implILNS1_25lookback_scan_determinismE0ELb0ES3_N6thrust23THRUST_200600_302600_NS6detail15normal_iteratorINS9_10device_ptrIiEEEENSB_INSC_ItEEEESG_tNS9_4plusIvEENS9_8equal_toIvEEtEE10hipError_tPvRmT2_T3_T4_T5_mT6_T7_P12ihipStream_tbENKUlT_T0_E_clISt17integral_constantIbLb0EES10_IbLb1EEEEDaSW_SX_EUlSW_E_NS1_11comp_targetILNS1_3genE2ELNS1_11target_archE906ELNS1_3gpuE6ELNS1_3repE0EEENS1_30default_config_static_selectorELNS0_4arch9wavefront6targetE0EEEvT1_
		.amdhsa_group_segment_fixed_size 0
		.amdhsa_private_segment_fixed_size 0
		.amdhsa_kernarg_size 112
		.amdhsa_user_sgpr_count 2
		.amdhsa_user_sgpr_dispatch_ptr 0
		.amdhsa_user_sgpr_queue_ptr 0
		.amdhsa_user_sgpr_kernarg_segment_ptr 1
		.amdhsa_user_sgpr_dispatch_id 0
		.amdhsa_user_sgpr_kernarg_preload_length 0
		.amdhsa_user_sgpr_kernarg_preload_offset 0
		.amdhsa_user_sgpr_private_segment_size 0
		.amdhsa_wavefront_size32 1
		.amdhsa_uses_dynamic_stack 0
		.amdhsa_enable_private_segment 0
		.amdhsa_system_sgpr_workgroup_id_x 1
		.amdhsa_system_sgpr_workgroup_id_y 0
		.amdhsa_system_sgpr_workgroup_id_z 0
		.amdhsa_system_sgpr_workgroup_info 0
		.amdhsa_system_vgpr_workitem_id 0
		.amdhsa_next_free_vgpr 1
		.amdhsa_next_free_sgpr 1
		.amdhsa_named_barrier_count 0
		.amdhsa_reserve_vcc 0
		.amdhsa_float_round_mode_32 0
		.amdhsa_float_round_mode_16_64 0
		.amdhsa_float_denorm_mode_32 3
		.amdhsa_float_denorm_mode_16_64 3
		.amdhsa_fp16_overflow 0
		.amdhsa_memory_ordered 1
		.amdhsa_forward_progress 1
		.amdhsa_inst_pref_size 0
		.amdhsa_round_robin_scheduling 0
		.amdhsa_exception_fp_ieee_invalid_op 0
		.amdhsa_exception_fp_denorm_src 0
		.amdhsa_exception_fp_ieee_div_zero 0
		.amdhsa_exception_fp_ieee_overflow 0
		.amdhsa_exception_fp_ieee_underflow 0
		.amdhsa_exception_fp_ieee_inexact 0
		.amdhsa_exception_int_div_zero 0
	.end_amdhsa_kernel
	.section	.text._ZN7rocprim17ROCPRIM_400000_NS6detail17trampoline_kernelINS0_14default_configENS1_27scan_by_key_config_selectorIitEEZZNS1_16scan_by_key_implILNS1_25lookback_scan_determinismE0ELb0ES3_N6thrust23THRUST_200600_302600_NS6detail15normal_iteratorINS9_10device_ptrIiEEEENSB_INSC_ItEEEESG_tNS9_4plusIvEENS9_8equal_toIvEEtEE10hipError_tPvRmT2_T3_T4_T5_mT6_T7_P12ihipStream_tbENKUlT_T0_E_clISt17integral_constantIbLb0EES10_IbLb1EEEEDaSW_SX_EUlSW_E_NS1_11comp_targetILNS1_3genE2ELNS1_11target_archE906ELNS1_3gpuE6ELNS1_3repE0EEENS1_30default_config_static_selectorELNS0_4arch9wavefront6targetE0EEEvT1_,"axG",@progbits,_ZN7rocprim17ROCPRIM_400000_NS6detail17trampoline_kernelINS0_14default_configENS1_27scan_by_key_config_selectorIitEEZZNS1_16scan_by_key_implILNS1_25lookback_scan_determinismE0ELb0ES3_N6thrust23THRUST_200600_302600_NS6detail15normal_iteratorINS9_10device_ptrIiEEEENSB_INSC_ItEEEESG_tNS9_4plusIvEENS9_8equal_toIvEEtEE10hipError_tPvRmT2_T3_T4_T5_mT6_T7_P12ihipStream_tbENKUlT_T0_E_clISt17integral_constantIbLb0EES10_IbLb1EEEEDaSW_SX_EUlSW_E_NS1_11comp_targetILNS1_3genE2ELNS1_11target_archE906ELNS1_3gpuE6ELNS1_3repE0EEENS1_30default_config_static_selectorELNS0_4arch9wavefront6targetE0EEEvT1_,comdat
.Lfunc_end1305:
	.size	_ZN7rocprim17ROCPRIM_400000_NS6detail17trampoline_kernelINS0_14default_configENS1_27scan_by_key_config_selectorIitEEZZNS1_16scan_by_key_implILNS1_25lookback_scan_determinismE0ELb0ES3_N6thrust23THRUST_200600_302600_NS6detail15normal_iteratorINS9_10device_ptrIiEEEENSB_INSC_ItEEEESG_tNS9_4plusIvEENS9_8equal_toIvEEtEE10hipError_tPvRmT2_T3_T4_T5_mT6_T7_P12ihipStream_tbENKUlT_T0_E_clISt17integral_constantIbLb0EES10_IbLb1EEEEDaSW_SX_EUlSW_E_NS1_11comp_targetILNS1_3genE2ELNS1_11target_archE906ELNS1_3gpuE6ELNS1_3repE0EEENS1_30default_config_static_selectorELNS0_4arch9wavefront6targetE0EEEvT1_, .Lfunc_end1305-_ZN7rocprim17ROCPRIM_400000_NS6detail17trampoline_kernelINS0_14default_configENS1_27scan_by_key_config_selectorIitEEZZNS1_16scan_by_key_implILNS1_25lookback_scan_determinismE0ELb0ES3_N6thrust23THRUST_200600_302600_NS6detail15normal_iteratorINS9_10device_ptrIiEEEENSB_INSC_ItEEEESG_tNS9_4plusIvEENS9_8equal_toIvEEtEE10hipError_tPvRmT2_T3_T4_T5_mT6_T7_P12ihipStream_tbENKUlT_T0_E_clISt17integral_constantIbLb0EES10_IbLb1EEEEDaSW_SX_EUlSW_E_NS1_11comp_targetILNS1_3genE2ELNS1_11target_archE906ELNS1_3gpuE6ELNS1_3repE0EEENS1_30default_config_static_selectorELNS0_4arch9wavefront6targetE0EEEvT1_
                                        ; -- End function
	.set _ZN7rocprim17ROCPRIM_400000_NS6detail17trampoline_kernelINS0_14default_configENS1_27scan_by_key_config_selectorIitEEZZNS1_16scan_by_key_implILNS1_25lookback_scan_determinismE0ELb0ES3_N6thrust23THRUST_200600_302600_NS6detail15normal_iteratorINS9_10device_ptrIiEEEENSB_INSC_ItEEEESG_tNS9_4plusIvEENS9_8equal_toIvEEtEE10hipError_tPvRmT2_T3_T4_T5_mT6_T7_P12ihipStream_tbENKUlT_T0_E_clISt17integral_constantIbLb0EES10_IbLb1EEEEDaSW_SX_EUlSW_E_NS1_11comp_targetILNS1_3genE2ELNS1_11target_archE906ELNS1_3gpuE6ELNS1_3repE0EEENS1_30default_config_static_selectorELNS0_4arch9wavefront6targetE0EEEvT1_.num_vgpr, 0
	.set _ZN7rocprim17ROCPRIM_400000_NS6detail17trampoline_kernelINS0_14default_configENS1_27scan_by_key_config_selectorIitEEZZNS1_16scan_by_key_implILNS1_25lookback_scan_determinismE0ELb0ES3_N6thrust23THRUST_200600_302600_NS6detail15normal_iteratorINS9_10device_ptrIiEEEENSB_INSC_ItEEEESG_tNS9_4plusIvEENS9_8equal_toIvEEtEE10hipError_tPvRmT2_T3_T4_T5_mT6_T7_P12ihipStream_tbENKUlT_T0_E_clISt17integral_constantIbLb0EES10_IbLb1EEEEDaSW_SX_EUlSW_E_NS1_11comp_targetILNS1_3genE2ELNS1_11target_archE906ELNS1_3gpuE6ELNS1_3repE0EEENS1_30default_config_static_selectorELNS0_4arch9wavefront6targetE0EEEvT1_.num_agpr, 0
	.set _ZN7rocprim17ROCPRIM_400000_NS6detail17trampoline_kernelINS0_14default_configENS1_27scan_by_key_config_selectorIitEEZZNS1_16scan_by_key_implILNS1_25lookback_scan_determinismE0ELb0ES3_N6thrust23THRUST_200600_302600_NS6detail15normal_iteratorINS9_10device_ptrIiEEEENSB_INSC_ItEEEESG_tNS9_4plusIvEENS9_8equal_toIvEEtEE10hipError_tPvRmT2_T3_T4_T5_mT6_T7_P12ihipStream_tbENKUlT_T0_E_clISt17integral_constantIbLb0EES10_IbLb1EEEEDaSW_SX_EUlSW_E_NS1_11comp_targetILNS1_3genE2ELNS1_11target_archE906ELNS1_3gpuE6ELNS1_3repE0EEENS1_30default_config_static_selectorELNS0_4arch9wavefront6targetE0EEEvT1_.numbered_sgpr, 0
	.set _ZN7rocprim17ROCPRIM_400000_NS6detail17trampoline_kernelINS0_14default_configENS1_27scan_by_key_config_selectorIitEEZZNS1_16scan_by_key_implILNS1_25lookback_scan_determinismE0ELb0ES3_N6thrust23THRUST_200600_302600_NS6detail15normal_iteratorINS9_10device_ptrIiEEEENSB_INSC_ItEEEESG_tNS9_4plusIvEENS9_8equal_toIvEEtEE10hipError_tPvRmT2_T3_T4_T5_mT6_T7_P12ihipStream_tbENKUlT_T0_E_clISt17integral_constantIbLb0EES10_IbLb1EEEEDaSW_SX_EUlSW_E_NS1_11comp_targetILNS1_3genE2ELNS1_11target_archE906ELNS1_3gpuE6ELNS1_3repE0EEENS1_30default_config_static_selectorELNS0_4arch9wavefront6targetE0EEEvT1_.num_named_barrier, 0
	.set _ZN7rocprim17ROCPRIM_400000_NS6detail17trampoline_kernelINS0_14default_configENS1_27scan_by_key_config_selectorIitEEZZNS1_16scan_by_key_implILNS1_25lookback_scan_determinismE0ELb0ES3_N6thrust23THRUST_200600_302600_NS6detail15normal_iteratorINS9_10device_ptrIiEEEENSB_INSC_ItEEEESG_tNS9_4plusIvEENS9_8equal_toIvEEtEE10hipError_tPvRmT2_T3_T4_T5_mT6_T7_P12ihipStream_tbENKUlT_T0_E_clISt17integral_constantIbLb0EES10_IbLb1EEEEDaSW_SX_EUlSW_E_NS1_11comp_targetILNS1_3genE2ELNS1_11target_archE906ELNS1_3gpuE6ELNS1_3repE0EEENS1_30default_config_static_selectorELNS0_4arch9wavefront6targetE0EEEvT1_.private_seg_size, 0
	.set _ZN7rocprim17ROCPRIM_400000_NS6detail17trampoline_kernelINS0_14default_configENS1_27scan_by_key_config_selectorIitEEZZNS1_16scan_by_key_implILNS1_25lookback_scan_determinismE0ELb0ES3_N6thrust23THRUST_200600_302600_NS6detail15normal_iteratorINS9_10device_ptrIiEEEENSB_INSC_ItEEEESG_tNS9_4plusIvEENS9_8equal_toIvEEtEE10hipError_tPvRmT2_T3_T4_T5_mT6_T7_P12ihipStream_tbENKUlT_T0_E_clISt17integral_constantIbLb0EES10_IbLb1EEEEDaSW_SX_EUlSW_E_NS1_11comp_targetILNS1_3genE2ELNS1_11target_archE906ELNS1_3gpuE6ELNS1_3repE0EEENS1_30default_config_static_selectorELNS0_4arch9wavefront6targetE0EEEvT1_.uses_vcc, 0
	.set _ZN7rocprim17ROCPRIM_400000_NS6detail17trampoline_kernelINS0_14default_configENS1_27scan_by_key_config_selectorIitEEZZNS1_16scan_by_key_implILNS1_25lookback_scan_determinismE0ELb0ES3_N6thrust23THRUST_200600_302600_NS6detail15normal_iteratorINS9_10device_ptrIiEEEENSB_INSC_ItEEEESG_tNS9_4plusIvEENS9_8equal_toIvEEtEE10hipError_tPvRmT2_T3_T4_T5_mT6_T7_P12ihipStream_tbENKUlT_T0_E_clISt17integral_constantIbLb0EES10_IbLb1EEEEDaSW_SX_EUlSW_E_NS1_11comp_targetILNS1_3genE2ELNS1_11target_archE906ELNS1_3gpuE6ELNS1_3repE0EEENS1_30default_config_static_selectorELNS0_4arch9wavefront6targetE0EEEvT1_.uses_flat_scratch, 0
	.set _ZN7rocprim17ROCPRIM_400000_NS6detail17trampoline_kernelINS0_14default_configENS1_27scan_by_key_config_selectorIitEEZZNS1_16scan_by_key_implILNS1_25lookback_scan_determinismE0ELb0ES3_N6thrust23THRUST_200600_302600_NS6detail15normal_iteratorINS9_10device_ptrIiEEEENSB_INSC_ItEEEESG_tNS9_4plusIvEENS9_8equal_toIvEEtEE10hipError_tPvRmT2_T3_T4_T5_mT6_T7_P12ihipStream_tbENKUlT_T0_E_clISt17integral_constantIbLb0EES10_IbLb1EEEEDaSW_SX_EUlSW_E_NS1_11comp_targetILNS1_3genE2ELNS1_11target_archE906ELNS1_3gpuE6ELNS1_3repE0EEENS1_30default_config_static_selectorELNS0_4arch9wavefront6targetE0EEEvT1_.has_dyn_sized_stack, 0
	.set _ZN7rocprim17ROCPRIM_400000_NS6detail17trampoline_kernelINS0_14default_configENS1_27scan_by_key_config_selectorIitEEZZNS1_16scan_by_key_implILNS1_25lookback_scan_determinismE0ELb0ES3_N6thrust23THRUST_200600_302600_NS6detail15normal_iteratorINS9_10device_ptrIiEEEENSB_INSC_ItEEEESG_tNS9_4plusIvEENS9_8equal_toIvEEtEE10hipError_tPvRmT2_T3_T4_T5_mT6_T7_P12ihipStream_tbENKUlT_T0_E_clISt17integral_constantIbLb0EES10_IbLb1EEEEDaSW_SX_EUlSW_E_NS1_11comp_targetILNS1_3genE2ELNS1_11target_archE906ELNS1_3gpuE6ELNS1_3repE0EEENS1_30default_config_static_selectorELNS0_4arch9wavefront6targetE0EEEvT1_.has_recursion, 0
	.set _ZN7rocprim17ROCPRIM_400000_NS6detail17trampoline_kernelINS0_14default_configENS1_27scan_by_key_config_selectorIitEEZZNS1_16scan_by_key_implILNS1_25lookback_scan_determinismE0ELb0ES3_N6thrust23THRUST_200600_302600_NS6detail15normal_iteratorINS9_10device_ptrIiEEEENSB_INSC_ItEEEESG_tNS9_4plusIvEENS9_8equal_toIvEEtEE10hipError_tPvRmT2_T3_T4_T5_mT6_T7_P12ihipStream_tbENKUlT_T0_E_clISt17integral_constantIbLb0EES10_IbLb1EEEEDaSW_SX_EUlSW_E_NS1_11comp_targetILNS1_3genE2ELNS1_11target_archE906ELNS1_3gpuE6ELNS1_3repE0EEENS1_30default_config_static_selectorELNS0_4arch9wavefront6targetE0EEEvT1_.has_indirect_call, 0
	.section	.AMDGPU.csdata,"",@progbits
; Kernel info:
; codeLenInByte = 0
; TotalNumSgprs: 0
; NumVgprs: 0
; ScratchSize: 0
; MemoryBound: 0
; FloatMode: 240
; IeeeMode: 1
; LDSByteSize: 0 bytes/workgroup (compile time only)
; SGPRBlocks: 0
; VGPRBlocks: 0
; NumSGPRsForWavesPerEU: 1
; NumVGPRsForWavesPerEU: 1
; NamedBarCnt: 0
; Occupancy: 16
; WaveLimiterHint : 0
; COMPUTE_PGM_RSRC2:SCRATCH_EN: 0
; COMPUTE_PGM_RSRC2:USER_SGPR: 2
; COMPUTE_PGM_RSRC2:TRAP_HANDLER: 0
; COMPUTE_PGM_RSRC2:TGID_X_EN: 1
; COMPUTE_PGM_RSRC2:TGID_Y_EN: 0
; COMPUTE_PGM_RSRC2:TGID_Z_EN: 0
; COMPUTE_PGM_RSRC2:TIDIG_COMP_CNT: 0
	.section	.text._ZN7rocprim17ROCPRIM_400000_NS6detail17trampoline_kernelINS0_14default_configENS1_27scan_by_key_config_selectorIitEEZZNS1_16scan_by_key_implILNS1_25lookback_scan_determinismE0ELb0ES3_N6thrust23THRUST_200600_302600_NS6detail15normal_iteratorINS9_10device_ptrIiEEEENSB_INSC_ItEEEESG_tNS9_4plusIvEENS9_8equal_toIvEEtEE10hipError_tPvRmT2_T3_T4_T5_mT6_T7_P12ihipStream_tbENKUlT_T0_E_clISt17integral_constantIbLb0EES10_IbLb1EEEEDaSW_SX_EUlSW_E_NS1_11comp_targetILNS1_3genE10ELNS1_11target_archE1200ELNS1_3gpuE4ELNS1_3repE0EEENS1_30default_config_static_selectorELNS0_4arch9wavefront6targetE0EEEvT1_,"axG",@progbits,_ZN7rocprim17ROCPRIM_400000_NS6detail17trampoline_kernelINS0_14default_configENS1_27scan_by_key_config_selectorIitEEZZNS1_16scan_by_key_implILNS1_25lookback_scan_determinismE0ELb0ES3_N6thrust23THRUST_200600_302600_NS6detail15normal_iteratorINS9_10device_ptrIiEEEENSB_INSC_ItEEEESG_tNS9_4plusIvEENS9_8equal_toIvEEtEE10hipError_tPvRmT2_T3_T4_T5_mT6_T7_P12ihipStream_tbENKUlT_T0_E_clISt17integral_constantIbLb0EES10_IbLb1EEEEDaSW_SX_EUlSW_E_NS1_11comp_targetILNS1_3genE10ELNS1_11target_archE1200ELNS1_3gpuE4ELNS1_3repE0EEENS1_30default_config_static_selectorELNS0_4arch9wavefront6targetE0EEEvT1_,comdat
	.protected	_ZN7rocprim17ROCPRIM_400000_NS6detail17trampoline_kernelINS0_14default_configENS1_27scan_by_key_config_selectorIitEEZZNS1_16scan_by_key_implILNS1_25lookback_scan_determinismE0ELb0ES3_N6thrust23THRUST_200600_302600_NS6detail15normal_iteratorINS9_10device_ptrIiEEEENSB_INSC_ItEEEESG_tNS9_4plusIvEENS9_8equal_toIvEEtEE10hipError_tPvRmT2_T3_T4_T5_mT6_T7_P12ihipStream_tbENKUlT_T0_E_clISt17integral_constantIbLb0EES10_IbLb1EEEEDaSW_SX_EUlSW_E_NS1_11comp_targetILNS1_3genE10ELNS1_11target_archE1200ELNS1_3gpuE4ELNS1_3repE0EEENS1_30default_config_static_selectorELNS0_4arch9wavefront6targetE0EEEvT1_ ; -- Begin function _ZN7rocprim17ROCPRIM_400000_NS6detail17trampoline_kernelINS0_14default_configENS1_27scan_by_key_config_selectorIitEEZZNS1_16scan_by_key_implILNS1_25lookback_scan_determinismE0ELb0ES3_N6thrust23THRUST_200600_302600_NS6detail15normal_iteratorINS9_10device_ptrIiEEEENSB_INSC_ItEEEESG_tNS9_4plusIvEENS9_8equal_toIvEEtEE10hipError_tPvRmT2_T3_T4_T5_mT6_T7_P12ihipStream_tbENKUlT_T0_E_clISt17integral_constantIbLb0EES10_IbLb1EEEEDaSW_SX_EUlSW_E_NS1_11comp_targetILNS1_3genE10ELNS1_11target_archE1200ELNS1_3gpuE4ELNS1_3repE0EEENS1_30default_config_static_selectorELNS0_4arch9wavefront6targetE0EEEvT1_
	.globl	_ZN7rocprim17ROCPRIM_400000_NS6detail17trampoline_kernelINS0_14default_configENS1_27scan_by_key_config_selectorIitEEZZNS1_16scan_by_key_implILNS1_25lookback_scan_determinismE0ELb0ES3_N6thrust23THRUST_200600_302600_NS6detail15normal_iteratorINS9_10device_ptrIiEEEENSB_INSC_ItEEEESG_tNS9_4plusIvEENS9_8equal_toIvEEtEE10hipError_tPvRmT2_T3_T4_T5_mT6_T7_P12ihipStream_tbENKUlT_T0_E_clISt17integral_constantIbLb0EES10_IbLb1EEEEDaSW_SX_EUlSW_E_NS1_11comp_targetILNS1_3genE10ELNS1_11target_archE1200ELNS1_3gpuE4ELNS1_3repE0EEENS1_30default_config_static_selectorELNS0_4arch9wavefront6targetE0EEEvT1_
	.p2align	8
	.type	_ZN7rocprim17ROCPRIM_400000_NS6detail17trampoline_kernelINS0_14default_configENS1_27scan_by_key_config_selectorIitEEZZNS1_16scan_by_key_implILNS1_25lookback_scan_determinismE0ELb0ES3_N6thrust23THRUST_200600_302600_NS6detail15normal_iteratorINS9_10device_ptrIiEEEENSB_INSC_ItEEEESG_tNS9_4plusIvEENS9_8equal_toIvEEtEE10hipError_tPvRmT2_T3_T4_T5_mT6_T7_P12ihipStream_tbENKUlT_T0_E_clISt17integral_constantIbLb0EES10_IbLb1EEEEDaSW_SX_EUlSW_E_NS1_11comp_targetILNS1_3genE10ELNS1_11target_archE1200ELNS1_3gpuE4ELNS1_3repE0EEENS1_30default_config_static_selectorELNS0_4arch9wavefront6targetE0EEEvT1_,@function
_ZN7rocprim17ROCPRIM_400000_NS6detail17trampoline_kernelINS0_14default_configENS1_27scan_by_key_config_selectorIitEEZZNS1_16scan_by_key_implILNS1_25lookback_scan_determinismE0ELb0ES3_N6thrust23THRUST_200600_302600_NS6detail15normal_iteratorINS9_10device_ptrIiEEEENSB_INSC_ItEEEESG_tNS9_4plusIvEENS9_8equal_toIvEEtEE10hipError_tPvRmT2_T3_T4_T5_mT6_T7_P12ihipStream_tbENKUlT_T0_E_clISt17integral_constantIbLb0EES10_IbLb1EEEEDaSW_SX_EUlSW_E_NS1_11comp_targetILNS1_3genE10ELNS1_11target_archE1200ELNS1_3gpuE4ELNS1_3repE0EEENS1_30default_config_static_selectorELNS0_4arch9wavefront6targetE0EEEvT1_: ; @_ZN7rocprim17ROCPRIM_400000_NS6detail17trampoline_kernelINS0_14default_configENS1_27scan_by_key_config_selectorIitEEZZNS1_16scan_by_key_implILNS1_25lookback_scan_determinismE0ELb0ES3_N6thrust23THRUST_200600_302600_NS6detail15normal_iteratorINS9_10device_ptrIiEEEENSB_INSC_ItEEEESG_tNS9_4plusIvEENS9_8equal_toIvEEtEE10hipError_tPvRmT2_T3_T4_T5_mT6_T7_P12ihipStream_tbENKUlT_T0_E_clISt17integral_constantIbLb0EES10_IbLb1EEEEDaSW_SX_EUlSW_E_NS1_11comp_targetILNS1_3genE10ELNS1_11target_archE1200ELNS1_3gpuE4ELNS1_3repE0EEENS1_30default_config_static_selectorELNS0_4arch9wavefront6targetE0EEEvT1_
; %bb.0:
	.section	.rodata,"a",@progbits
	.p2align	6, 0x0
	.amdhsa_kernel _ZN7rocprim17ROCPRIM_400000_NS6detail17trampoline_kernelINS0_14default_configENS1_27scan_by_key_config_selectorIitEEZZNS1_16scan_by_key_implILNS1_25lookback_scan_determinismE0ELb0ES3_N6thrust23THRUST_200600_302600_NS6detail15normal_iteratorINS9_10device_ptrIiEEEENSB_INSC_ItEEEESG_tNS9_4plusIvEENS9_8equal_toIvEEtEE10hipError_tPvRmT2_T3_T4_T5_mT6_T7_P12ihipStream_tbENKUlT_T0_E_clISt17integral_constantIbLb0EES10_IbLb1EEEEDaSW_SX_EUlSW_E_NS1_11comp_targetILNS1_3genE10ELNS1_11target_archE1200ELNS1_3gpuE4ELNS1_3repE0EEENS1_30default_config_static_selectorELNS0_4arch9wavefront6targetE0EEEvT1_
		.amdhsa_group_segment_fixed_size 0
		.amdhsa_private_segment_fixed_size 0
		.amdhsa_kernarg_size 112
		.amdhsa_user_sgpr_count 2
		.amdhsa_user_sgpr_dispatch_ptr 0
		.amdhsa_user_sgpr_queue_ptr 0
		.amdhsa_user_sgpr_kernarg_segment_ptr 1
		.amdhsa_user_sgpr_dispatch_id 0
		.amdhsa_user_sgpr_kernarg_preload_length 0
		.amdhsa_user_sgpr_kernarg_preload_offset 0
		.amdhsa_user_sgpr_private_segment_size 0
		.amdhsa_wavefront_size32 1
		.amdhsa_uses_dynamic_stack 0
		.amdhsa_enable_private_segment 0
		.amdhsa_system_sgpr_workgroup_id_x 1
		.amdhsa_system_sgpr_workgroup_id_y 0
		.amdhsa_system_sgpr_workgroup_id_z 0
		.amdhsa_system_sgpr_workgroup_info 0
		.amdhsa_system_vgpr_workitem_id 0
		.amdhsa_next_free_vgpr 1
		.amdhsa_next_free_sgpr 1
		.amdhsa_named_barrier_count 0
		.amdhsa_reserve_vcc 0
		.amdhsa_float_round_mode_32 0
		.amdhsa_float_round_mode_16_64 0
		.amdhsa_float_denorm_mode_32 3
		.amdhsa_float_denorm_mode_16_64 3
		.amdhsa_fp16_overflow 0
		.amdhsa_memory_ordered 1
		.amdhsa_forward_progress 1
		.amdhsa_inst_pref_size 0
		.amdhsa_round_robin_scheduling 0
		.amdhsa_exception_fp_ieee_invalid_op 0
		.amdhsa_exception_fp_denorm_src 0
		.amdhsa_exception_fp_ieee_div_zero 0
		.amdhsa_exception_fp_ieee_overflow 0
		.amdhsa_exception_fp_ieee_underflow 0
		.amdhsa_exception_fp_ieee_inexact 0
		.amdhsa_exception_int_div_zero 0
	.end_amdhsa_kernel
	.section	.text._ZN7rocprim17ROCPRIM_400000_NS6detail17trampoline_kernelINS0_14default_configENS1_27scan_by_key_config_selectorIitEEZZNS1_16scan_by_key_implILNS1_25lookback_scan_determinismE0ELb0ES3_N6thrust23THRUST_200600_302600_NS6detail15normal_iteratorINS9_10device_ptrIiEEEENSB_INSC_ItEEEESG_tNS9_4plusIvEENS9_8equal_toIvEEtEE10hipError_tPvRmT2_T3_T4_T5_mT6_T7_P12ihipStream_tbENKUlT_T0_E_clISt17integral_constantIbLb0EES10_IbLb1EEEEDaSW_SX_EUlSW_E_NS1_11comp_targetILNS1_3genE10ELNS1_11target_archE1200ELNS1_3gpuE4ELNS1_3repE0EEENS1_30default_config_static_selectorELNS0_4arch9wavefront6targetE0EEEvT1_,"axG",@progbits,_ZN7rocprim17ROCPRIM_400000_NS6detail17trampoline_kernelINS0_14default_configENS1_27scan_by_key_config_selectorIitEEZZNS1_16scan_by_key_implILNS1_25lookback_scan_determinismE0ELb0ES3_N6thrust23THRUST_200600_302600_NS6detail15normal_iteratorINS9_10device_ptrIiEEEENSB_INSC_ItEEEESG_tNS9_4plusIvEENS9_8equal_toIvEEtEE10hipError_tPvRmT2_T3_T4_T5_mT6_T7_P12ihipStream_tbENKUlT_T0_E_clISt17integral_constantIbLb0EES10_IbLb1EEEEDaSW_SX_EUlSW_E_NS1_11comp_targetILNS1_3genE10ELNS1_11target_archE1200ELNS1_3gpuE4ELNS1_3repE0EEENS1_30default_config_static_selectorELNS0_4arch9wavefront6targetE0EEEvT1_,comdat
.Lfunc_end1306:
	.size	_ZN7rocprim17ROCPRIM_400000_NS6detail17trampoline_kernelINS0_14default_configENS1_27scan_by_key_config_selectorIitEEZZNS1_16scan_by_key_implILNS1_25lookback_scan_determinismE0ELb0ES3_N6thrust23THRUST_200600_302600_NS6detail15normal_iteratorINS9_10device_ptrIiEEEENSB_INSC_ItEEEESG_tNS9_4plusIvEENS9_8equal_toIvEEtEE10hipError_tPvRmT2_T3_T4_T5_mT6_T7_P12ihipStream_tbENKUlT_T0_E_clISt17integral_constantIbLb0EES10_IbLb1EEEEDaSW_SX_EUlSW_E_NS1_11comp_targetILNS1_3genE10ELNS1_11target_archE1200ELNS1_3gpuE4ELNS1_3repE0EEENS1_30default_config_static_selectorELNS0_4arch9wavefront6targetE0EEEvT1_, .Lfunc_end1306-_ZN7rocprim17ROCPRIM_400000_NS6detail17trampoline_kernelINS0_14default_configENS1_27scan_by_key_config_selectorIitEEZZNS1_16scan_by_key_implILNS1_25lookback_scan_determinismE0ELb0ES3_N6thrust23THRUST_200600_302600_NS6detail15normal_iteratorINS9_10device_ptrIiEEEENSB_INSC_ItEEEESG_tNS9_4plusIvEENS9_8equal_toIvEEtEE10hipError_tPvRmT2_T3_T4_T5_mT6_T7_P12ihipStream_tbENKUlT_T0_E_clISt17integral_constantIbLb0EES10_IbLb1EEEEDaSW_SX_EUlSW_E_NS1_11comp_targetILNS1_3genE10ELNS1_11target_archE1200ELNS1_3gpuE4ELNS1_3repE0EEENS1_30default_config_static_selectorELNS0_4arch9wavefront6targetE0EEEvT1_
                                        ; -- End function
	.set _ZN7rocprim17ROCPRIM_400000_NS6detail17trampoline_kernelINS0_14default_configENS1_27scan_by_key_config_selectorIitEEZZNS1_16scan_by_key_implILNS1_25lookback_scan_determinismE0ELb0ES3_N6thrust23THRUST_200600_302600_NS6detail15normal_iteratorINS9_10device_ptrIiEEEENSB_INSC_ItEEEESG_tNS9_4plusIvEENS9_8equal_toIvEEtEE10hipError_tPvRmT2_T3_T4_T5_mT6_T7_P12ihipStream_tbENKUlT_T0_E_clISt17integral_constantIbLb0EES10_IbLb1EEEEDaSW_SX_EUlSW_E_NS1_11comp_targetILNS1_3genE10ELNS1_11target_archE1200ELNS1_3gpuE4ELNS1_3repE0EEENS1_30default_config_static_selectorELNS0_4arch9wavefront6targetE0EEEvT1_.num_vgpr, 0
	.set _ZN7rocprim17ROCPRIM_400000_NS6detail17trampoline_kernelINS0_14default_configENS1_27scan_by_key_config_selectorIitEEZZNS1_16scan_by_key_implILNS1_25lookback_scan_determinismE0ELb0ES3_N6thrust23THRUST_200600_302600_NS6detail15normal_iteratorINS9_10device_ptrIiEEEENSB_INSC_ItEEEESG_tNS9_4plusIvEENS9_8equal_toIvEEtEE10hipError_tPvRmT2_T3_T4_T5_mT6_T7_P12ihipStream_tbENKUlT_T0_E_clISt17integral_constantIbLb0EES10_IbLb1EEEEDaSW_SX_EUlSW_E_NS1_11comp_targetILNS1_3genE10ELNS1_11target_archE1200ELNS1_3gpuE4ELNS1_3repE0EEENS1_30default_config_static_selectorELNS0_4arch9wavefront6targetE0EEEvT1_.num_agpr, 0
	.set _ZN7rocprim17ROCPRIM_400000_NS6detail17trampoline_kernelINS0_14default_configENS1_27scan_by_key_config_selectorIitEEZZNS1_16scan_by_key_implILNS1_25lookback_scan_determinismE0ELb0ES3_N6thrust23THRUST_200600_302600_NS6detail15normal_iteratorINS9_10device_ptrIiEEEENSB_INSC_ItEEEESG_tNS9_4plusIvEENS9_8equal_toIvEEtEE10hipError_tPvRmT2_T3_T4_T5_mT6_T7_P12ihipStream_tbENKUlT_T0_E_clISt17integral_constantIbLb0EES10_IbLb1EEEEDaSW_SX_EUlSW_E_NS1_11comp_targetILNS1_3genE10ELNS1_11target_archE1200ELNS1_3gpuE4ELNS1_3repE0EEENS1_30default_config_static_selectorELNS0_4arch9wavefront6targetE0EEEvT1_.numbered_sgpr, 0
	.set _ZN7rocprim17ROCPRIM_400000_NS6detail17trampoline_kernelINS0_14default_configENS1_27scan_by_key_config_selectorIitEEZZNS1_16scan_by_key_implILNS1_25lookback_scan_determinismE0ELb0ES3_N6thrust23THRUST_200600_302600_NS6detail15normal_iteratorINS9_10device_ptrIiEEEENSB_INSC_ItEEEESG_tNS9_4plusIvEENS9_8equal_toIvEEtEE10hipError_tPvRmT2_T3_T4_T5_mT6_T7_P12ihipStream_tbENKUlT_T0_E_clISt17integral_constantIbLb0EES10_IbLb1EEEEDaSW_SX_EUlSW_E_NS1_11comp_targetILNS1_3genE10ELNS1_11target_archE1200ELNS1_3gpuE4ELNS1_3repE0EEENS1_30default_config_static_selectorELNS0_4arch9wavefront6targetE0EEEvT1_.num_named_barrier, 0
	.set _ZN7rocprim17ROCPRIM_400000_NS6detail17trampoline_kernelINS0_14default_configENS1_27scan_by_key_config_selectorIitEEZZNS1_16scan_by_key_implILNS1_25lookback_scan_determinismE0ELb0ES3_N6thrust23THRUST_200600_302600_NS6detail15normal_iteratorINS9_10device_ptrIiEEEENSB_INSC_ItEEEESG_tNS9_4plusIvEENS9_8equal_toIvEEtEE10hipError_tPvRmT2_T3_T4_T5_mT6_T7_P12ihipStream_tbENKUlT_T0_E_clISt17integral_constantIbLb0EES10_IbLb1EEEEDaSW_SX_EUlSW_E_NS1_11comp_targetILNS1_3genE10ELNS1_11target_archE1200ELNS1_3gpuE4ELNS1_3repE0EEENS1_30default_config_static_selectorELNS0_4arch9wavefront6targetE0EEEvT1_.private_seg_size, 0
	.set _ZN7rocprim17ROCPRIM_400000_NS6detail17trampoline_kernelINS0_14default_configENS1_27scan_by_key_config_selectorIitEEZZNS1_16scan_by_key_implILNS1_25lookback_scan_determinismE0ELb0ES3_N6thrust23THRUST_200600_302600_NS6detail15normal_iteratorINS9_10device_ptrIiEEEENSB_INSC_ItEEEESG_tNS9_4plusIvEENS9_8equal_toIvEEtEE10hipError_tPvRmT2_T3_T4_T5_mT6_T7_P12ihipStream_tbENKUlT_T0_E_clISt17integral_constantIbLb0EES10_IbLb1EEEEDaSW_SX_EUlSW_E_NS1_11comp_targetILNS1_3genE10ELNS1_11target_archE1200ELNS1_3gpuE4ELNS1_3repE0EEENS1_30default_config_static_selectorELNS0_4arch9wavefront6targetE0EEEvT1_.uses_vcc, 0
	.set _ZN7rocprim17ROCPRIM_400000_NS6detail17trampoline_kernelINS0_14default_configENS1_27scan_by_key_config_selectorIitEEZZNS1_16scan_by_key_implILNS1_25lookback_scan_determinismE0ELb0ES3_N6thrust23THRUST_200600_302600_NS6detail15normal_iteratorINS9_10device_ptrIiEEEENSB_INSC_ItEEEESG_tNS9_4plusIvEENS9_8equal_toIvEEtEE10hipError_tPvRmT2_T3_T4_T5_mT6_T7_P12ihipStream_tbENKUlT_T0_E_clISt17integral_constantIbLb0EES10_IbLb1EEEEDaSW_SX_EUlSW_E_NS1_11comp_targetILNS1_3genE10ELNS1_11target_archE1200ELNS1_3gpuE4ELNS1_3repE0EEENS1_30default_config_static_selectorELNS0_4arch9wavefront6targetE0EEEvT1_.uses_flat_scratch, 0
	.set _ZN7rocprim17ROCPRIM_400000_NS6detail17trampoline_kernelINS0_14default_configENS1_27scan_by_key_config_selectorIitEEZZNS1_16scan_by_key_implILNS1_25lookback_scan_determinismE0ELb0ES3_N6thrust23THRUST_200600_302600_NS6detail15normal_iteratorINS9_10device_ptrIiEEEENSB_INSC_ItEEEESG_tNS9_4plusIvEENS9_8equal_toIvEEtEE10hipError_tPvRmT2_T3_T4_T5_mT6_T7_P12ihipStream_tbENKUlT_T0_E_clISt17integral_constantIbLb0EES10_IbLb1EEEEDaSW_SX_EUlSW_E_NS1_11comp_targetILNS1_3genE10ELNS1_11target_archE1200ELNS1_3gpuE4ELNS1_3repE0EEENS1_30default_config_static_selectorELNS0_4arch9wavefront6targetE0EEEvT1_.has_dyn_sized_stack, 0
	.set _ZN7rocprim17ROCPRIM_400000_NS6detail17trampoline_kernelINS0_14default_configENS1_27scan_by_key_config_selectorIitEEZZNS1_16scan_by_key_implILNS1_25lookback_scan_determinismE0ELb0ES3_N6thrust23THRUST_200600_302600_NS6detail15normal_iteratorINS9_10device_ptrIiEEEENSB_INSC_ItEEEESG_tNS9_4plusIvEENS9_8equal_toIvEEtEE10hipError_tPvRmT2_T3_T4_T5_mT6_T7_P12ihipStream_tbENKUlT_T0_E_clISt17integral_constantIbLb0EES10_IbLb1EEEEDaSW_SX_EUlSW_E_NS1_11comp_targetILNS1_3genE10ELNS1_11target_archE1200ELNS1_3gpuE4ELNS1_3repE0EEENS1_30default_config_static_selectorELNS0_4arch9wavefront6targetE0EEEvT1_.has_recursion, 0
	.set _ZN7rocprim17ROCPRIM_400000_NS6detail17trampoline_kernelINS0_14default_configENS1_27scan_by_key_config_selectorIitEEZZNS1_16scan_by_key_implILNS1_25lookback_scan_determinismE0ELb0ES3_N6thrust23THRUST_200600_302600_NS6detail15normal_iteratorINS9_10device_ptrIiEEEENSB_INSC_ItEEEESG_tNS9_4plusIvEENS9_8equal_toIvEEtEE10hipError_tPvRmT2_T3_T4_T5_mT6_T7_P12ihipStream_tbENKUlT_T0_E_clISt17integral_constantIbLb0EES10_IbLb1EEEEDaSW_SX_EUlSW_E_NS1_11comp_targetILNS1_3genE10ELNS1_11target_archE1200ELNS1_3gpuE4ELNS1_3repE0EEENS1_30default_config_static_selectorELNS0_4arch9wavefront6targetE0EEEvT1_.has_indirect_call, 0
	.section	.AMDGPU.csdata,"",@progbits
; Kernel info:
; codeLenInByte = 0
; TotalNumSgprs: 0
; NumVgprs: 0
; ScratchSize: 0
; MemoryBound: 0
; FloatMode: 240
; IeeeMode: 1
; LDSByteSize: 0 bytes/workgroup (compile time only)
; SGPRBlocks: 0
; VGPRBlocks: 0
; NumSGPRsForWavesPerEU: 1
; NumVGPRsForWavesPerEU: 1
; NamedBarCnt: 0
; Occupancy: 16
; WaveLimiterHint : 0
; COMPUTE_PGM_RSRC2:SCRATCH_EN: 0
; COMPUTE_PGM_RSRC2:USER_SGPR: 2
; COMPUTE_PGM_RSRC2:TRAP_HANDLER: 0
; COMPUTE_PGM_RSRC2:TGID_X_EN: 1
; COMPUTE_PGM_RSRC2:TGID_Y_EN: 0
; COMPUTE_PGM_RSRC2:TGID_Z_EN: 0
; COMPUTE_PGM_RSRC2:TIDIG_COMP_CNT: 0
	.section	.text._ZN7rocprim17ROCPRIM_400000_NS6detail17trampoline_kernelINS0_14default_configENS1_27scan_by_key_config_selectorIitEEZZNS1_16scan_by_key_implILNS1_25lookback_scan_determinismE0ELb0ES3_N6thrust23THRUST_200600_302600_NS6detail15normal_iteratorINS9_10device_ptrIiEEEENSB_INSC_ItEEEESG_tNS9_4plusIvEENS9_8equal_toIvEEtEE10hipError_tPvRmT2_T3_T4_T5_mT6_T7_P12ihipStream_tbENKUlT_T0_E_clISt17integral_constantIbLb0EES10_IbLb1EEEEDaSW_SX_EUlSW_E_NS1_11comp_targetILNS1_3genE9ELNS1_11target_archE1100ELNS1_3gpuE3ELNS1_3repE0EEENS1_30default_config_static_selectorELNS0_4arch9wavefront6targetE0EEEvT1_,"axG",@progbits,_ZN7rocprim17ROCPRIM_400000_NS6detail17trampoline_kernelINS0_14default_configENS1_27scan_by_key_config_selectorIitEEZZNS1_16scan_by_key_implILNS1_25lookback_scan_determinismE0ELb0ES3_N6thrust23THRUST_200600_302600_NS6detail15normal_iteratorINS9_10device_ptrIiEEEENSB_INSC_ItEEEESG_tNS9_4plusIvEENS9_8equal_toIvEEtEE10hipError_tPvRmT2_T3_T4_T5_mT6_T7_P12ihipStream_tbENKUlT_T0_E_clISt17integral_constantIbLb0EES10_IbLb1EEEEDaSW_SX_EUlSW_E_NS1_11comp_targetILNS1_3genE9ELNS1_11target_archE1100ELNS1_3gpuE3ELNS1_3repE0EEENS1_30default_config_static_selectorELNS0_4arch9wavefront6targetE0EEEvT1_,comdat
	.protected	_ZN7rocprim17ROCPRIM_400000_NS6detail17trampoline_kernelINS0_14default_configENS1_27scan_by_key_config_selectorIitEEZZNS1_16scan_by_key_implILNS1_25lookback_scan_determinismE0ELb0ES3_N6thrust23THRUST_200600_302600_NS6detail15normal_iteratorINS9_10device_ptrIiEEEENSB_INSC_ItEEEESG_tNS9_4plusIvEENS9_8equal_toIvEEtEE10hipError_tPvRmT2_T3_T4_T5_mT6_T7_P12ihipStream_tbENKUlT_T0_E_clISt17integral_constantIbLb0EES10_IbLb1EEEEDaSW_SX_EUlSW_E_NS1_11comp_targetILNS1_3genE9ELNS1_11target_archE1100ELNS1_3gpuE3ELNS1_3repE0EEENS1_30default_config_static_selectorELNS0_4arch9wavefront6targetE0EEEvT1_ ; -- Begin function _ZN7rocprim17ROCPRIM_400000_NS6detail17trampoline_kernelINS0_14default_configENS1_27scan_by_key_config_selectorIitEEZZNS1_16scan_by_key_implILNS1_25lookback_scan_determinismE0ELb0ES3_N6thrust23THRUST_200600_302600_NS6detail15normal_iteratorINS9_10device_ptrIiEEEENSB_INSC_ItEEEESG_tNS9_4plusIvEENS9_8equal_toIvEEtEE10hipError_tPvRmT2_T3_T4_T5_mT6_T7_P12ihipStream_tbENKUlT_T0_E_clISt17integral_constantIbLb0EES10_IbLb1EEEEDaSW_SX_EUlSW_E_NS1_11comp_targetILNS1_3genE9ELNS1_11target_archE1100ELNS1_3gpuE3ELNS1_3repE0EEENS1_30default_config_static_selectorELNS0_4arch9wavefront6targetE0EEEvT1_
	.globl	_ZN7rocprim17ROCPRIM_400000_NS6detail17trampoline_kernelINS0_14default_configENS1_27scan_by_key_config_selectorIitEEZZNS1_16scan_by_key_implILNS1_25lookback_scan_determinismE0ELb0ES3_N6thrust23THRUST_200600_302600_NS6detail15normal_iteratorINS9_10device_ptrIiEEEENSB_INSC_ItEEEESG_tNS9_4plusIvEENS9_8equal_toIvEEtEE10hipError_tPvRmT2_T3_T4_T5_mT6_T7_P12ihipStream_tbENKUlT_T0_E_clISt17integral_constantIbLb0EES10_IbLb1EEEEDaSW_SX_EUlSW_E_NS1_11comp_targetILNS1_3genE9ELNS1_11target_archE1100ELNS1_3gpuE3ELNS1_3repE0EEENS1_30default_config_static_selectorELNS0_4arch9wavefront6targetE0EEEvT1_
	.p2align	8
	.type	_ZN7rocprim17ROCPRIM_400000_NS6detail17trampoline_kernelINS0_14default_configENS1_27scan_by_key_config_selectorIitEEZZNS1_16scan_by_key_implILNS1_25lookback_scan_determinismE0ELb0ES3_N6thrust23THRUST_200600_302600_NS6detail15normal_iteratorINS9_10device_ptrIiEEEENSB_INSC_ItEEEESG_tNS9_4plusIvEENS9_8equal_toIvEEtEE10hipError_tPvRmT2_T3_T4_T5_mT6_T7_P12ihipStream_tbENKUlT_T0_E_clISt17integral_constantIbLb0EES10_IbLb1EEEEDaSW_SX_EUlSW_E_NS1_11comp_targetILNS1_3genE9ELNS1_11target_archE1100ELNS1_3gpuE3ELNS1_3repE0EEENS1_30default_config_static_selectorELNS0_4arch9wavefront6targetE0EEEvT1_,@function
_ZN7rocprim17ROCPRIM_400000_NS6detail17trampoline_kernelINS0_14default_configENS1_27scan_by_key_config_selectorIitEEZZNS1_16scan_by_key_implILNS1_25lookback_scan_determinismE0ELb0ES3_N6thrust23THRUST_200600_302600_NS6detail15normal_iteratorINS9_10device_ptrIiEEEENSB_INSC_ItEEEESG_tNS9_4plusIvEENS9_8equal_toIvEEtEE10hipError_tPvRmT2_T3_T4_T5_mT6_T7_P12ihipStream_tbENKUlT_T0_E_clISt17integral_constantIbLb0EES10_IbLb1EEEEDaSW_SX_EUlSW_E_NS1_11comp_targetILNS1_3genE9ELNS1_11target_archE1100ELNS1_3gpuE3ELNS1_3repE0EEENS1_30default_config_static_selectorELNS0_4arch9wavefront6targetE0EEEvT1_: ; @_ZN7rocprim17ROCPRIM_400000_NS6detail17trampoline_kernelINS0_14default_configENS1_27scan_by_key_config_selectorIitEEZZNS1_16scan_by_key_implILNS1_25lookback_scan_determinismE0ELb0ES3_N6thrust23THRUST_200600_302600_NS6detail15normal_iteratorINS9_10device_ptrIiEEEENSB_INSC_ItEEEESG_tNS9_4plusIvEENS9_8equal_toIvEEtEE10hipError_tPvRmT2_T3_T4_T5_mT6_T7_P12ihipStream_tbENKUlT_T0_E_clISt17integral_constantIbLb0EES10_IbLb1EEEEDaSW_SX_EUlSW_E_NS1_11comp_targetILNS1_3genE9ELNS1_11target_archE1100ELNS1_3gpuE3ELNS1_3repE0EEENS1_30default_config_static_selectorELNS0_4arch9wavefront6targetE0EEEvT1_
; %bb.0:
	.section	.rodata,"a",@progbits
	.p2align	6, 0x0
	.amdhsa_kernel _ZN7rocprim17ROCPRIM_400000_NS6detail17trampoline_kernelINS0_14default_configENS1_27scan_by_key_config_selectorIitEEZZNS1_16scan_by_key_implILNS1_25lookback_scan_determinismE0ELb0ES3_N6thrust23THRUST_200600_302600_NS6detail15normal_iteratorINS9_10device_ptrIiEEEENSB_INSC_ItEEEESG_tNS9_4plusIvEENS9_8equal_toIvEEtEE10hipError_tPvRmT2_T3_T4_T5_mT6_T7_P12ihipStream_tbENKUlT_T0_E_clISt17integral_constantIbLb0EES10_IbLb1EEEEDaSW_SX_EUlSW_E_NS1_11comp_targetILNS1_3genE9ELNS1_11target_archE1100ELNS1_3gpuE3ELNS1_3repE0EEENS1_30default_config_static_selectorELNS0_4arch9wavefront6targetE0EEEvT1_
		.amdhsa_group_segment_fixed_size 0
		.amdhsa_private_segment_fixed_size 0
		.amdhsa_kernarg_size 112
		.amdhsa_user_sgpr_count 2
		.amdhsa_user_sgpr_dispatch_ptr 0
		.amdhsa_user_sgpr_queue_ptr 0
		.amdhsa_user_sgpr_kernarg_segment_ptr 1
		.amdhsa_user_sgpr_dispatch_id 0
		.amdhsa_user_sgpr_kernarg_preload_length 0
		.amdhsa_user_sgpr_kernarg_preload_offset 0
		.amdhsa_user_sgpr_private_segment_size 0
		.amdhsa_wavefront_size32 1
		.amdhsa_uses_dynamic_stack 0
		.amdhsa_enable_private_segment 0
		.amdhsa_system_sgpr_workgroup_id_x 1
		.amdhsa_system_sgpr_workgroup_id_y 0
		.amdhsa_system_sgpr_workgroup_id_z 0
		.amdhsa_system_sgpr_workgroup_info 0
		.amdhsa_system_vgpr_workitem_id 0
		.amdhsa_next_free_vgpr 1
		.amdhsa_next_free_sgpr 1
		.amdhsa_named_barrier_count 0
		.amdhsa_reserve_vcc 0
		.amdhsa_float_round_mode_32 0
		.amdhsa_float_round_mode_16_64 0
		.amdhsa_float_denorm_mode_32 3
		.amdhsa_float_denorm_mode_16_64 3
		.amdhsa_fp16_overflow 0
		.amdhsa_memory_ordered 1
		.amdhsa_forward_progress 1
		.amdhsa_inst_pref_size 0
		.amdhsa_round_robin_scheduling 0
		.amdhsa_exception_fp_ieee_invalid_op 0
		.amdhsa_exception_fp_denorm_src 0
		.amdhsa_exception_fp_ieee_div_zero 0
		.amdhsa_exception_fp_ieee_overflow 0
		.amdhsa_exception_fp_ieee_underflow 0
		.amdhsa_exception_fp_ieee_inexact 0
		.amdhsa_exception_int_div_zero 0
	.end_amdhsa_kernel
	.section	.text._ZN7rocprim17ROCPRIM_400000_NS6detail17trampoline_kernelINS0_14default_configENS1_27scan_by_key_config_selectorIitEEZZNS1_16scan_by_key_implILNS1_25lookback_scan_determinismE0ELb0ES3_N6thrust23THRUST_200600_302600_NS6detail15normal_iteratorINS9_10device_ptrIiEEEENSB_INSC_ItEEEESG_tNS9_4plusIvEENS9_8equal_toIvEEtEE10hipError_tPvRmT2_T3_T4_T5_mT6_T7_P12ihipStream_tbENKUlT_T0_E_clISt17integral_constantIbLb0EES10_IbLb1EEEEDaSW_SX_EUlSW_E_NS1_11comp_targetILNS1_3genE9ELNS1_11target_archE1100ELNS1_3gpuE3ELNS1_3repE0EEENS1_30default_config_static_selectorELNS0_4arch9wavefront6targetE0EEEvT1_,"axG",@progbits,_ZN7rocprim17ROCPRIM_400000_NS6detail17trampoline_kernelINS0_14default_configENS1_27scan_by_key_config_selectorIitEEZZNS1_16scan_by_key_implILNS1_25lookback_scan_determinismE0ELb0ES3_N6thrust23THRUST_200600_302600_NS6detail15normal_iteratorINS9_10device_ptrIiEEEENSB_INSC_ItEEEESG_tNS9_4plusIvEENS9_8equal_toIvEEtEE10hipError_tPvRmT2_T3_T4_T5_mT6_T7_P12ihipStream_tbENKUlT_T0_E_clISt17integral_constantIbLb0EES10_IbLb1EEEEDaSW_SX_EUlSW_E_NS1_11comp_targetILNS1_3genE9ELNS1_11target_archE1100ELNS1_3gpuE3ELNS1_3repE0EEENS1_30default_config_static_selectorELNS0_4arch9wavefront6targetE0EEEvT1_,comdat
.Lfunc_end1307:
	.size	_ZN7rocprim17ROCPRIM_400000_NS6detail17trampoline_kernelINS0_14default_configENS1_27scan_by_key_config_selectorIitEEZZNS1_16scan_by_key_implILNS1_25lookback_scan_determinismE0ELb0ES3_N6thrust23THRUST_200600_302600_NS6detail15normal_iteratorINS9_10device_ptrIiEEEENSB_INSC_ItEEEESG_tNS9_4plusIvEENS9_8equal_toIvEEtEE10hipError_tPvRmT2_T3_T4_T5_mT6_T7_P12ihipStream_tbENKUlT_T0_E_clISt17integral_constantIbLb0EES10_IbLb1EEEEDaSW_SX_EUlSW_E_NS1_11comp_targetILNS1_3genE9ELNS1_11target_archE1100ELNS1_3gpuE3ELNS1_3repE0EEENS1_30default_config_static_selectorELNS0_4arch9wavefront6targetE0EEEvT1_, .Lfunc_end1307-_ZN7rocprim17ROCPRIM_400000_NS6detail17trampoline_kernelINS0_14default_configENS1_27scan_by_key_config_selectorIitEEZZNS1_16scan_by_key_implILNS1_25lookback_scan_determinismE0ELb0ES3_N6thrust23THRUST_200600_302600_NS6detail15normal_iteratorINS9_10device_ptrIiEEEENSB_INSC_ItEEEESG_tNS9_4plusIvEENS9_8equal_toIvEEtEE10hipError_tPvRmT2_T3_T4_T5_mT6_T7_P12ihipStream_tbENKUlT_T0_E_clISt17integral_constantIbLb0EES10_IbLb1EEEEDaSW_SX_EUlSW_E_NS1_11comp_targetILNS1_3genE9ELNS1_11target_archE1100ELNS1_3gpuE3ELNS1_3repE0EEENS1_30default_config_static_selectorELNS0_4arch9wavefront6targetE0EEEvT1_
                                        ; -- End function
	.set _ZN7rocprim17ROCPRIM_400000_NS6detail17trampoline_kernelINS0_14default_configENS1_27scan_by_key_config_selectorIitEEZZNS1_16scan_by_key_implILNS1_25lookback_scan_determinismE0ELb0ES3_N6thrust23THRUST_200600_302600_NS6detail15normal_iteratorINS9_10device_ptrIiEEEENSB_INSC_ItEEEESG_tNS9_4plusIvEENS9_8equal_toIvEEtEE10hipError_tPvRmT2_T3_T4_T5_mT6_T7_P12ihipStream_tbENKUlT_T0_E_clISt17integral_constantIbLb0EES10_IbLb1EEEEDaSW_SX_EUlSW_E_NS1_11comp_targetILNS1_3genE9ELNS1_11target_archE1100ELNS1_3gpuE3ELNS1_3repE0EEENS1_30default_config_static_selectorELNS0_4arch9wavefront6targetE0EEEvT1_.num_vgpr, 0
	.set _ZN7rocprim17ROCPRIM_400000_NS6detail17trampoline_kernelINS0_14default_configENS1_27scan_by_key_config_selectorIitEEZZNS1_16scan_by_key_implILNS1_25lookback_scan_determinismE0ELb0ES3_N6thrust23THRUST_200600_302600_NS6detail15normal_iteratorINS9_10device_ptrIiEEEENSB_INSC_ItEEEESG_tNS9_4plusIvEENS9_8equal_toIvEEtEE10hipError_tPvRmT2_T3_T4_T5_mT6_T7_P12ihipStream_tbENKUlT_T0_E_clISt17integral_constantIbLb0EES10_IbLb1EEEEDaSW_SX_EUlSW_E_NS1_11comp_targetILNS1_3genE9ELNS1_11target_archE1100ELNS1_3gpuE3ELNS1_3repE0EEENS1_30default_config_static_selectorELNS0_4arch9wavefront6targetE0EEEvT1_.num_agpr, 0
	.set _ZN7rocprim17ROCPRIM_400000_NS6detail17trampoline_kernelINS0_14default_configENS1_27scan_by_key_config_selectorIitEEZZNS1_16scan_by_key_implILNS1_25lookback_scan_determinismE0ELb0ES3_N6thrust23THRUST_200600_302600_NS6detail15normal_iteratorINS9_10device_ptrIiEEEENSB_INSC_ItEEEESG_tNS9_4plusIvEENS9_8equal_toIvEEtEE10hipError_tPvRmT2_T3_T4_T5_mT6_T7_P12ihipStream_tbENKUlT_T0_E_clISt17integral_constantIbLb0EES10_IbLb1EEEEDaSW_SX_EUlSW_E_NS1_11comp_targetILNS1_3genE9ELNS1_11target_archE1100ELNS1_3gpuE3ELNS1_3repE0EEENS1_30default_config_static_selectorELNS0_4arch9wavefront6targetE0EEEvT1_.numbered_sgpr, 0
	.set _ZN7rocprim17ROCPRIM_400000_NS6detail17trampoline_kernelINS0_14default_configENS1_27scan_by_key_config_selectorIitEEZZNS1_16scan_by_key_implILNS1_25lookback_scan_determinismE0ELb0ES3_N6thrust23THRUST_200600_302600_NS6detail15normal_iteratorINS9_10device_ptrIiEEEENSB_INSC_ItEEEESG_tNS9_4plusIvEENS9_8equal_toIvEEtEE10hipError_tPvRmT2_T3_T4_T5_mT6_T7_P12ihipStream_tbENKUlT_T0_E_clISt17integral_constantIbLb0EES10_IbLb1EEEEDaSW_SX_EUlSW_E_NS1_11comp_targetILNS1_3genE9ELNS1_11target_archE1100ELNS1_3gpuE3ELNS1_3repE0EEENS1_30default_config_static_selectorELNS0_4arch9wavefront6targetE0EEEvT1_.num_named_barrier, 0
	.set _ZN7rocprim17ROCPRIM_400000_NS6detail17trampoline_kernelINS0_14default_configENS1_27scan_by_key_config_selectorIitEEZZNS1_16scan_by_key_implILNS1_25lookback_scan_determinismE0ELb0ES3_N6thrust23THRUST_200600_302600_NS6detail15normal_iteratorINS9_10device_ptrIiEEEENSB_INSC_ItEEEESG_tNS9_4plusIvEENS9_8equal_toIvEEtEE10hipError_tPvRmT2_T3_T4_T5_mT6_T7_P12ihipStream_tbENKUlT_T0_E_clISt17integral_constantIbLb0EES10_IbLb1EEEEDaSW_SX_EUlSW_E_NS1_11comp_targetILNS1_3genE9ELNS1_11target_archE1100ELNS1_3gpuE3ELNS1_3repE0EEENS1_30default_config_static_selectorELNS0_4arch9wavefront6targetE0EEEvT1_.private_seg_size, 0
	.set _ZN7rocprim17ROCPRIM_400000_NS6detail17trampoline_kernelINS0_14default_configENS1_27scan_by_key_config_selectorIitEEZZNS1_16scan_by_key_implILNS1_25lookback_scan_determinismE0ELb0ES3_N6thrust23THRUST_200600_302600_NS6detail15normal_iteratorINS9_10device_ptrIiEEEENSB_INSC_ItEEEESG_tNS9_4plusIvEENS9_8equal_toIvEEtEE10hipError_tPvRmT2_T3_T4_T5_mT6_T7_P12ihipStream_tbENKUlT_T0_E_clISt17integral_constantIbLb0EES10_IbLb1EEEEDaSW_SX_EUlSW_E_NS1_11comp_targetILNS1_3genE9ELNS1_11target_archE1100ELNS1_3gpuE3ELNS1_3repE0EEENS1_30default_config_static_selectorELNS0_4arch9wavefront6targetE0EEEvT1_.uses_vcc, 0
	.set _ZN7rocprim17ROCPRIM_400000_NS6detail17trampoline_kernelINS0_14default_configENS1_27scan_by_key_config_selectorIitEEZZNS1_16scan_by_key_implILNS1_25lookback_scan_determinismE0ELb0ES3_N6thrust23THRUST_200600_302600_NS6detail15normal_iteratorINS9_10device_ptrIiEEEENSB_INSC_ItEEEESG_tNS9_4plusIvEENS9_8equal_toIvEEtEE10hipError_tPvRmT2_T3_T4_T5_mT6_T7_P12ihipStream_tbENKUlT_T0_E_clISt17integral_constantIbLb0EES10_IbLb1EEEEDaSW_SX_EUlSW_E_NS1_11comp_targetILNS1_3genE9ELNS1_11target_archE1100ELNS1_3gpuE3ELNS1_3repE0EEENS1_30default_config_static_selectorELNS0_4arch9wavefront6targetE0EEEvT1_.uses_flat_scratch, 0
	.set _ZN7rocprim17ROCPRIM_400000_NS6detail17trampoline_kernelINS0_14default_configENS1_27scan_by_key_config_selectorIitEEZZNS1_16scan_by_key_implILNS1_25lookback_scan_determinismE0ELb0ES3_N6thrust23THRUST_200600_302600_NS6detail15normal_iteratorINS9_10device_ptrIiEEEENSB_INSC_ItEEEESG_tNS9_4plusIvEENS9_8equal_toIvEEtEE10hipError_tPvRmT2_T3_T4_T5_mT6_T7_P12ihipStream_tbENKUlT_T0_E_clISt17integral_constantIbLb0EES10_IbLb1EEEEDaSW_SX_EUlSW_E_NS1_11comp_targetILNS1_3genE9ELNS1_11target_archE1100ELNS1_3gpuE3ELNS1_3repE0EEENS1_30default_config_static_selectorELNS0_4arch9wavefront6targetE0EEEvT1_.has_dyn_sized_stack, 0
	.set _ZN7rocprim17ROCPRIM_400000_NS6detail17trampoline_kernelINS0_14default_configENS1_27scan_by_key_config_selectorIitEEZZNS1_16scan_by_key_implILNS1_25lookback_scan_determinismE0ELb0ES3_N6thrust23THRUST_200600_302600_NS6detail15normal_iteratorINS9_10device_ptrIiEEEENSB_INSC_ItEEEESG_tNS9_4plusIvEENS9_8equal_toIvEEtEE10hipError_tPvRmT2_T3_T4_T5_mT6_T7_P12ihipStream_tbENKUlT_T0_E_clISt17integral_constantIbLb0EES10_IbLb1EEEEDaSW_SX_EUlSW_E_NS1_11comp_targetILNS1_3genE9ELNS1_11target_archE1100ELNS1_3gpuE3ELNS1_3repE0EEENS1_30default_config_static_selectorELNS0_4arch9wavefront6targetE0EEEvT1_.has_recursion, 0
	.set _ZN7rocprim17ROCPRIM_400000_NS6detail17trampoline_kernelINS0_14default_configENS1_27scan_by_key_config_selectorIitEEZZNS1_16scan_by_key_implILNS1_25lookback_scan_determinismE0ELb0ES3_N6thrust23THRUST_200600_302600_NS6detail15normal_iteratorINS9_10device_ptrIiEEEENSB_INSC_ItEEEESG_tNS9_4plusIvEENS9_8equal_toIvEEtEE10hipError_tPvRmT2_T3_T4_T5_mT6_T7_P12ihipStream_tbENKUlT_T0_E_clISt17integral_constantIbLb0EES10_IbLb1EEEEDaSW_SX_EUlSW_E_NS1_11comp_targetILNS1_3genE9ELNS1_11target_archE1100ELNS1_3gpuE3ELNS1_3repE0EEENS1_30default_config_static_selectorELNS0_4arch9wavefront6targetE0EEEvT1_.has_indirect_call, 0
	.section	.AMDGPU.csdata,"",@progbits
; Kernel info:
; codeLenInByte = 0
; TotalNumSgprs: 0
; NumVgprs: 0
; ScratchSize: 0
; MemoryBound: 0
; FloatMode: 240
; IeeeMode: 1
; LDSByteSize: 0 bytes/workgroup (compile time only)
; SGPRBlocks: 0
; VGPRBlocks: 0
; NumSGPRsForWavesPerEU: 1
; NumVGPRsForWavesPerEU: 1
; NamedBarCnt: 0
; Occupancy: 16
; WaveLimiterHint : 0
; COMPUTE_PGM_RSRC2:SCRATCH_EN: 0
; COMPUTE_PGM_RSRC2:USER_SGPR: 2
; COMPUTE_PGM_RSRC2:TRAP_HANDLER: 0
; COMPUTE_PGM_RSRC2:TGID_X_EN: 1
; COMPUTE_PGM_RSRC2:TGID_Y_EN: 0
; COMPUTE_PGM_RSRC2:TGID_Z_EN: 0
; COMPUTE_PGM_RSRC2:TIDIG_COMP_CNT: 0
	.section	.text._ZN7rocprim17ROCPRIM_400000_NS6detail17trampoline_kernelINS0_14default_configENS1_27scan_by_key_config_selectorIitEEZZNS1_16scan_by_key_implILNS1_25lookback_scan_determinismE0ELb0ES3_N6thrust23THRUST_200600_302600_NS6detail15normal_iteratorINS9_10device_ptrIiEEEENSB_INSC_ItEEEESG_tNS9_4plusIvEENS9_8equal_toIvEEtEE10hipError_tPvRmT2_T3_T4_T5_mT6_T7_P12ihipStream_tbENKUlT_T0_E_clISt17integral_constantIbLb0EES10_IbLb1EEEEDaSW_SX_EUlSW_E_NS1_11comp_targetILNS1_3genE8ELNS1_11target_archE1030ELNS1_3gpuE2ELNS1_3repE0EEENS1_30default_config_static_selectorELNS0_4arch9wavefront6targetE0EEEvT1_,"axG",@progbits,_ZN7rocprim17ROCPRIM_400000_NS6detail17trampoline_kernelINS0_14default_configENS1_27scan_by_key_config_selectorIitEEZZNS1_16scan_by_key_implILNS1_25lookback_scan_determinismE0ELb0ES3_N6thrust23THRUST_200600_302600_NS6detail15normal_iteratorINS9_10device_ptrIiEEEENSB_INSC_ItEEEESG_tNS9_4plusIvEENS9_8equal_toIvEEtEE10hipError_tPvRmT2_T3_T4_T5_mT6_T7_P12ihipStream_tbENKUlT_T0_E_clISt17integral_constantIbLb0EES10_IbLb1EEEEDaSW_SX_EUlSW_E_NS1_11comp_targetILNS1_3genE8ELNS1_11target_archE1030ELNS1_3gpuE2ELNS1_3repE0EEENS1_30default_config_static_selectorELNS0_4arch9wavefront6targetE0EEEvT1_,comdat
	.protected	_ZN7rocprim17ROCPRIM_400000_NS6detail17trampoline_kernelINS0_14default_configENS1_27scan_by_key_config_selectorIitEEZZNS1_16scan_by_key_implILNS1_25lookback_scan_determinismE0ELb0ES3_N6thrust23THRUST_200600_302600_NS6detail15normal_iteratorINS9_10device_ptrIiEEEENSB_INSC_ItEEEESG_tNS9_4plusIvEENS9_8equal_toIvEEtEE10hipError_tPvRmT2_T3_T4_T5_mT6_T7_P12ihipStream_tbENKUlT_T0_E_clISt17integral_constantIbLb0EES10_IbLb1EEEEDaSW_SX_EUlSW_E_NS1_11comp_targetILNS1_3genE8ELNS1_11target_archE1030ELNS1_3gpuE2ELNS1_3repE0EEENS1_30default_config_static_selectorELNS0_4arch9wavefront6targetE0EEEvT1_ ; -- Begin function _ZN7rocprim17ROCPRIM_400000_NS6detail17trampoline_kernelINS0_14default_configENS1_27scan_by_key_config_selectorIitEEZZNS1_16scan_by_key_implILNS1_25lookback_scan_determinismE0ELb0ES3_N6thrust23THRUST_200600_302600_NS6detail15normal_iteratorINS9_10device_ptrIiEEEENSB_INSC_ItEEEESG_tNS9_4plusIvEENS9_8equal_toIvEEtEE10hipError_tPvRmT2_T3_T4_T5_mT6_T7_P12ihipStream_tbENKUlT_T0_E_clISt17integral_constantIbLb0EES10_IbLb1EEEEDaSW_SX_EUlSW_E_NS1_11comp_targetILNS1_3genE8ELNS1_11target_archE1030ELNS1_3gpuE2ELNS1_3repE0EEENS1_30default_config_static_selectorELNS0_4arch9wavefront6targetE0EEEvT1_
	.globl	_ZN7rocprim17ROCPRIM_400000_NS6detail17trampoline_kernelINS0_14default_configENS1_27scan_by_key_config_selectorIitEEZZNS1_16scan_by_key_implILNS1_25lookback_scan_determinismE0ELb0ES3_N6thrust23THRUST_200600_302600_NS6detail15normal_iteratorINS9_10device_ptrIiEEEENSB_INSC_ItEEEESG_tNS9_4plusIvEENS9_8equal_toIvEEtEE10hipError_tPvRmT2_T3_T4_T5_mT6_T7_P12ihipStream_tbENKUlT_T0_E_clISt17integral_constantIbLb0EES10_IbLb1EEEEDaSW_SX_EUlSW_E_NS1_11comp_targetILNS1_3genE8ELNS1_11target_archE1030ELNS1_3gpuE2ELNS1_3repE0EEENS1_30default_config_static_selectorELNS0_4arch9wavefront6targetE0EEEvT1_
	.p2align	8
	.type	_ZN7rocprim17ROCPRIM_400000_NS6detail17trampoline_kernelINS0_14default_configENS1_27scan_by_key_config_selectorIitEEZZNS1_16scan_by_key_implILNS1_25lookback_scan_determinismE0ELb0ES3_N6thrust23THRUST_200600_302600_NS6detail15normal_iteratorINS9_10device_ptrIiEEEENSB_INSC_ItEEEESG_tNS9_4plusIvEENS9_8equal_toIvEEtEE10hipError_tPvRmT2_T3_T4_T5_mT6_T7_P12ihipStream_tbENKUlT_T0_E_clISt17integral_constantIbLb0EES10_IbLb1EEEEDaSW_SX_EUlSW_E_NS1_11comp_targetILNS1_3genE8ELNS1_11target_archE1030ELNS1_3gpuE2ELNS1_3repE0EEENS1_30default_config_static_selectorELNS0_4arch9wavefront6targetE0EEEvT1_,@function
_ZN7rocprim17ROCPRIM_400000_NS6detail17trampoline_kernelINS0_14default_configENS1_27scan_by_key_config_selectorIitEEZZNS1_16scan_by_key_implILNS1_25lookback_scan_determinismE0ELb0ES3_N6thrust23THRUST_200600_302600_NS6detail15normal_iteratorINS9_10device_ptrIiEEEENSB_INSC_ItEEEESG_tNS9_4plusIvEENS9_8equal_toIvEEtEE10hipError_tPvRmT2_T3_T4_T5_mT6_T7_P12ihipStream_tbENKUlT_T0_E_clISt17integral_constantIbLb0EES10_IbLb1EEEEDaSW_SX_EUlSW_E_NS1_11comp_targetILNS1_3genE8ELNS1_11target_archE1030ELNS1_3gpuE2ELNS1_3repE0EEENS1_30default_config_static_selectorELNS0_4arch9wavefront6targetE0EEEvT1_: ; @_ZN7rocprim17ROCPRIM_400000_NS6detail17trampoline_kernelINS0_14default_configENS1_27scan_by_key_config_selectorIitEEZZNS1_16scan_by_key_implILNS1_25lookback_scan_determinismE0ELb0ES3_N6thrust23THRUST_200600_302600_NS6detail15normal_iteratorINS9_10device_ptrIiEEEENSB_INSC_ItEEEESG_tNS9_4plusIvEENS9_8equal_toIvEEtEE10hipError_tPvRmT2_T3_T4_T5_mT6_T7_P12ihipStream_tbENKUlT_T0_E_clISt17integral_constantIbLb0EES10_IbLb1EEEEDaSW_SX_EUlSW_E_NS1_11comp_targetILNS1_3genE8ELNS1_11target_archE1030ELNS1_3gpuE2ELNS1_3repE0EEENS1_30default_config_static_selectorELNS0_4arch9wavefront6targetE0EEEvT1_
; %bb.0:
	.section	.rodata,"a",@progbits
	.p2align	6, 0x0
	.amdhsa_kernel _ZN7rocprim17ROCPRIM_400000_NS6detail17trampoline_kernelINS0_14default_configENS1_27scan_by_key_config_selectorIitEEZZNS1_16scan_by_key_implILNS1_25lookback_scan_determinismE0ELb0ES3_N6thrust23THRUST_200600_302600_NS6detail15normal_iteratorINS9_10device_ptrIiEEEENSB_INSC_ItEEEESG_tNS9_4plusIvEENS9_8equal_toIvEEtEE10hipError_tPvRmT2_T3_T4_T5_mT6_T7_P12ihipStream_tbENKUlT_T0_E_clISt17integral_constantIbLb0EES10_IbLb1EEEEDaSW_SX_EUlSW_E_NS1_11comp_targetILNS1_3genE8ELNS1_11target_archE1030ELNS1_3gpuE2ELNS1_3repE0EEENS1_30default_config_static_selectorELNS0_4arch9wavefront6targetE0EEEvT1_
		.amdhsa_group_segment_fixed_size 0
		.amdhsa_private_segment_fixed_size 0
		.amdhsa_kernarg_size 112
		.amdhsa_user_sgpr_count 2
		.amdhsa_user_sgpr_dispatch_ptr 0
		.amdhsa_user_sgpr_queue_ptr 0
		.amdhsa_user_sgpr_kernarg_segment_ptr 1
		.amdhsa_user_sgpr_dispatch_id 0
		.amdhsa_user_sgpr_kernarg_preload_length 0
		.amdhsa_user_sgpr_kernarg_preload_offset 0
		.amdhsa_user_sgpr_private_segment_size 0
		.amdhsa_wavefront_size32 1
		.amdhsa_uses_dynamic_stack 0
		.amdhsa_enable_private_segment 0
		.amdhsa_system_sgpr_workgroup_id_x 1
		.amdhsa_system_sgpr_workgroup_id_y 0
		.amdhsa_system_sgpr_workgroup_id_z 0
		.amdhsa_system_sgpr_workgroup_info 0
		.amdhsa_system_vgpr_workitem_id 0
		.amdhsa_next_free_vgpr 1
		.amdhsa_next_free_sgpr 1
		.amdhsa_named_barrier_count 0
		.amdhsa_reserve_vcc 0
		.amdhsa_float_round_mode_32 0
		.amdhsa_float_round_mode_16_64 0
		.amdhsa_float_denorm_mode_32 3
		.amdhsa_float_denorm_mode_16_64 3
		.amdhsa_fp16_overflow 0
		.amdhsa_memory_ordered 1
		.amdhsa_forward_progress 1
		.amdhsa_inst_pref_size 0
		.amdhsa_round_robin_scheduling 0
		.amdhsa_exception_fp_ieee_invalid_op 0
		.amdhsa_exception_fp_denorm_src 0
		.amdhsa_exception_fp_ieee_div_zero 0
		.amdhsa_exception_fp_ieee_overflow 0
		.amdhsa_exception_fp_ieee_underflow 0
		.amdhsa_exception_fp_ieee_inexact 0
		.amdhsa_exception_int_div_zero 0
	.end_amdhsa_kernel
	.section	.text._ZN7rocprim17ROCPRIM_400000_NS6detail17trampoline_kernelINS0_14default_configENS1_27scan_by_key_config_selectorIitEEZZNS1_16scan_by_key_implILNS1_25lookback_scan_determinismE0ELb0ES3_N6thrust23THRUST_200600_302600_NS6detail15normal_iteratorINS9_10device_ptrIiEEEENSB_INSC_ItEEEESG_tNS9_4plusIvEENS9_8equal_toIvEEtEE10hipError_tPvRmT2_T3_T4_T5_mT6_T7_P12ihipStream_tbENKUlT_T0_E_clISt17integral_constantIbLb0EES10_IbLb1EEEEDaSW_SX_EUlSW_E_NS1_11comp_targetILNS1_3genE8ELNS1_11target_archE1030ELNS1_3gpuE2ELNS1_3repE0EEENS1_30default_config_static_selectorELNS0_4arch9wavefront6targetE0EEEvT1_,"axG",@progbits,_ZN7rocprim17ROCPRIM_400000_NS6detail17trampoline_kernelINS0_14default_configENS1_27scan_by_key_config_selectorIitEEZZNS1_16scan_by_key_implILNS1_25lookback_scan_determinismE0ELb0ES3_N6thrust23THRUST_200600_302600_NS6detail15normal_iteratorINS9_10device_ptrIiEEEENSB_INSC_ItEEEESG_tNS9_4plusIvEENS9_8equal_toIvEEtEE10hipError_tPvRmT2_T3_T4_T5_mT6_T7_P12ihipStream_tbENKUlT_T0_E_clISt17integral_constantIbLb0EES10_IbLb1EEEEDaSW_SX_EUlSW_E_NS1_11comp_targetILNS1_3genE8ELNS1_11target_archE1030ELNS1_3gpuE2ELNS1_3repE0EEENS1_30default_config_static_selectorELNS0_4arch9wavefront6targetE0EEEvT1_,comdat
.Lfunc_end1308:
	.size	_ZN7rocprim17ROCPRIM_400000_NS6detail17trampoline_kernelINS0_14default_configENS1_27scan_by_key_config_selectorIitEEZZNS1_16scan_by_key_implILNS1_25lookback_scan_determinismE0ELb0ES3_N6thrust23THRUST_200600_302600_NS6detail15normal_iteratorINS9_10device_ptrIiEEEENSB_INSC_ItEEEESG_tNS9_4plusIvEENS9_8equal_toIvEEtEE10hipError_tPvRmT2_T3_T4_T5_mT6_T7_P12ihipStream_tbENKUlT_T0_E_clISt17integral_constantIbLb0EES10_IbLb1EEEEDaSW_SX_EUlSW_E_NS1_11comp_targetILNS1_3genE8ELNS1_11target_archE1030ELNS1_3gpuE2ELNS1_3repE0EEENS1_30default_config_static_selectorELNS0_4arch9wavefront6targetE0EEEvT1_, .Lfunc_end1308-_ZN7rocprim17ROCPRIM_400000_NS6detail17trampoline_kernelINS0_14default_configENS1_27scan_by_key_config_selectorIitEEZZNS1_16scan_by_key_implILNS1_25lookback_scan_determinismE0ELb0ES3_N6thrust23THRUST_200600_302600_NS6detail15normal_iteratorINS9_10device_ptrIiEEEENSB_INSC_ItEEEESG_tNS9_4plusIvEENS9_8equal_toIvEEtEE10hipError_tPvRmT2_T3_T4_T5_mT6_T7_P12ihipStream_tbENKUlT_T0_E_clISt17integral_constantIbLb0EES10_IbLb1EEEEDaSW_SX_EUlSW_E_NS1_11comp_targetILNS1_3genE8ELNS1_11target_archE1030ELNS1_3gpuE2ELNS1_3repE0EEENS1_30default_config_static_selectorELNS0_4arch9wavefront6targetE0EEEvT1_
                                        ; -- End function
	.set _ZN7rocprim17ROCPRIM_400000_NS6detail17trampoline_kernelINS0_14default_configENS1_27scan_by_key_config_selectorIitEEZZNS1_16scan_by_key_implILNS1_25lookback_scan_determinismE0ELb0ES3_N6thrust23THRUST_200600_302600_NS6detail15normal_iteratorINS9_10device_ptrIiEEEENSB_INSC_ItEEEESG_tNS9_4plusIvEENS9_8equal_toIvEEtEE10hipError_tPvRmT2_T3_T4_T5_mT6_T7_P12ihipStream_tbENKUlT_T0_E_clISt17integral_constantIbLb0EES10_IbLb1EEEEDaSW_SX_EUlSW_E_NS1_11comp_targetILNS1_3genE8ELNS1_11target_archE1030ELNS1_3gpuE2ELNS1_3repE0EEENS1_30default_config_static_selectorELNS0_4arch9wavefront6targetE0EEEvT1_.num_vgpr, 0
	.set _ZN7rocprim17ROCPRIM_400000_NS6detail17trampoline_kernelINS0_14default_configENS1_27scan_by_key_config_selectorIitEEZZNS1_16scan_by_key_implILNS1_25lookback_scan_determinismE0ELb0ES3_N6thrust23THRUST_200600_302600_NS6detail15normal_iteratorINS9_10device_ptrIiEEEENSB_INSC_ItEEEESG_tNS9_4plusIvEENS9_8equal_toIvEEtEE10hipError_tPvRmT2_T3_T4_T5_mT6_T7_P12ihipStream_tbENKUlT_T0_E_clISt17integral_constantIbLb0EES10_IbLb1EEEEDaSW_SX_EUlSW_E_NS1_11comp_targetILNS1_3genE8ELNS1_11target_archE1030ELNS1_3gpuE2ELNS1_3repE0EEENS1_30default_config_static_selectorELNS0_4arch9wavefront6targetE0EEEvT1_.num_agpr, 0
	.set _ZN7rocprim17ROCPRIM_400000_NS6detail17trampoline_kernelINS0_14default_configENS1_27scan_by_key_config_selectorIitEEZZNS1_16scan_by_key_implILNS1_25lookback_scan_determinismE0ELb0ES3_N6thrust23THRUST_200600_302600_NS6detail15normal_iteratorINS9_10device_ptrIiEEEENSB_INSC_ItEEEESG_tNS9_4plusIvEENS9_8equal_toIvEEtEE10hipError_tPvRmT2_T3_T4_T5_mT6_T7_P12ihipStream_tbENKUlT_T0_E_clISt17integral_constantIbLb0EES10_IbLb1EEEEDaSW_SX_EUlSW_E_NS1_11comp_targetILNS1_3genE8ELNS1_11target_archE1030ELNS1_3gpuE2ELNS1_3repE0EEENS1_30default_config_static_selectorELNS0_4arch9wavefront6targetE0EEEvT1_.numbered_sgpr, 0
	.set _ZN7rocprim17ROCPRIM_400000_NS6detail17trampoline_kernelINS0_14default_configENS1_27scan_by_key_config_selectorIitEEZZNS1_16scan_by_key_implILNS1_25lookback_scan_determinismE0ELb0ES3_N6thrust23THRUST_200600_302600_NS6detail15normal_iteratorINS9_10device_ptrIiEEEENSB_INSC_ItEEEESG_tNS9_4plusIvEENS9_8equal_toIvEEtEE10hipError_tPvRmT2_T3_T4_T5_mT6_T7_P12ihipStream_tbENKUlT_T0_E_clISt17integral_constantIbLb0EES10_IbLb1EEEEDaSW_SX_EUlSW_E_NS1_11comp_targetILNS1_3genE8ELNS1_11target_archE1030ELNS1_3gpuE2ELNS1_3repE0EEENS1_30default_config_static_selectorELNS0_4arch9wavefront6targetE0EEEvT1_.num_named_barrier, 0
	.set _ZN7rocprim17ROCPRIM_400000_NS6detail17trampoline_kernelINS0_14default_configENS1_27scan_by_key_config_selectorIitEEZZNS1_16scan_by_key_implILNS1_25lookback_scan_determinismE0ELb0ES3_N6thrust23THRUST_200600_302600_NS6detail15normal_iteratorINS9_10device_ptrIiEEEENSB_INSC_ItEEEESG_tNS9_4plusIvEENS9_8equal_toIvEEtEE10hipError_tPvRmT2_T3_T4_T5_mT6_T7_P12ihipStream_tbENKUlT_T0_E_clISt17integral_constantIbLb0EES10_IbLb1EEEEDaSW_SX_EUlSW_E_NS1_11comp_targetILNS1_3genE8ELNS1_11target_archE1030ELNS1_3gpuE2ELNS1_3repE0EEENS1_30default_config_static_selectorELNS0_4arch9wavefront6targetE0EEEvT1_.private_seg_size, 0
	.set _ZN7rocprim17ROCPRIM_400000_NS6detail17trampoline_kernelINS0_14default_configENS1_27scan_by_key_config_selectorIitEEZZNS1_16scan_by_key_implILNS1_25lookback_scan_determinismE0ELb0ES3_N6thrust23THRUST_200600_302600_NS6detail15normal_iteratorINS9_10device_ptrIiEEEENSB_INSC_ItEEEESG_tNS9_4plusIvEENS9_8equal_toIvEEtEE10hipError_tPvRmT2_T3_T4_T5_mT6_T7_P12ihipStream_tbENKUlT_T0_E_clISt17integral_constantIbLb0EES10_IbLb1EEEEDaSW_SX_EUlSW_E_NS1_11comp_targetILNS1_3genE8ELNS1_11target_archE1030ELNS1_3gpuE2ELNS1_3repE0EEENS1_30default_config_static_selectorELNS0_4arch9wavefront6targetE0EEEvT1_.uses_vcc, 0
	.set _ZN7rocprim17ROCPRIM_400000_NS6detail17trampoline_kernelINS0_14default_configENS1_27scan_by_key_config_selectorIitEEZZNS1_16scan_by_key_implILNS1_25lookback_scan_determinismE0ELb0ES3_N6thrust23THRUST_200600_302600_NS6detail15normal_iteratorINS9_10device_ptrIiEEEENSB_INSC_ItEEEESG_tNS9_4plusIvEENS9_8equal_toIvEEtEE10hipError_tPvRmT2_T3_T4_T5_mT6_T7_P12ihipStream_tbENKUlT_T0_E_clISt17integral_constantIbLb0EES10_IbLb1EEEEDaSW_SX_EUlSW_E_NS1_11comp_targetILNS1_3genE8ELNS1_11target_archE1030ELNS1_3gpuE2ELNS1_3repE0EEENS1_30default_config_static_selectorELNS0_4arch9wavefront6targetE0EEEvT1_.uses_flat_scratch, 0
	.set _ZN7rocprim17ROCPRIM_400000_NS6detail17trampoline_kernelINS0_14default_configENS1_27scan_by_key_config_selectorIitEEZZNS1_16scan_by_key_implILNS1_25lookback_scan_determinismE0ELb0ES3_N6thrust23THRUST_200600_302600_NS6detail15normal_iteratorINS9_10device_ptrIiEEEENSB_INSC_ItEEEESG_tNS9_4plusIvEENS9_8equal_toIvEEtEE10hipError_tPvRmT2_T3_T4_T5_mT6_T7_P12ihipStream_tbENKUlT_T0_E_clISt17integral_constantIbLb0EES10_IbLb1EEEEDaSW_SX_EUlSW_E_NS1_11comp_targetILNS1_3genE8ELNS1_11target_archE1030ELNS1_3gpuE2ELNS1_3repE0EEENS1_30default_config_static_selectorELNS0_4arch9wavefront6targetE0EEEvT1_.has_dyn_sized_stack, 0
	.set _ZN7rocprim17ROCPRIM_400000_NS6detail17trampoline_kernelINS0_14default_configENS1_27scan_by_key_config_selectorIitEEZZNS1_16scan_by_key_implILNS1_25lookback_scan_determinismE0ELb0ES3_N6thrust23THRUST_200600_302600_NS6detail15normal_iteratorINS9_10device_ptrIiEEEENSB_INSC_ItEEEESG_tNS9_4plusIvEENS9_8equal_toIvEEtEE10hipError_tPvRmT2_T3_T4_T5_mT6_T7_P12ihipStream_tbENKUlT_T0_E_clISt17integral_constantIbLb0EES10_IbLb1EEEEDaSW_SX_EUlSW_E_NS1_11comp_targetILNS1_3genE8ELNS1_11target_archE1030ELNS1_3gpuE2ELNS1_3repE0EEENS1_30default_config_static_selectorELNS0_4arch9wavefront6targetE0EEEvT1_.has_recursion, 0
	.set _ZN7rocprim17ROCPRIM_400000_NS6detail17trampoline_kernelINS0_14default_configENS1_27scan_by_key_config_selectorIitEEZZNS1_16scan_by_key_implILNS1_25lookback_scan_determinismE0ELb0ES3_N6thrust23THRUST_200600_302600_NS6detail15normal_iteratorINS9_10device_ptrIiEEEENSB_INSC_ItEEEESG_tNS9_4plusIvEENS9_8equal_toIvEEtEE10hipError_tPvRmT2_T3_T4_T5_mT6_T7_P12ihipStream_tbENKUlT_T0_E_clISt17integral_constantIbLb0EES10_IbLb1EEEEDaSW_SX_EUlSW_E_NS1_11comp_targetILNS1_3genE8ELNS1_11target_archE1030ELNS1_3gpuE2ELNS1_3repE0EEENS1_30default_config_static_selectorELNS0_4arch9wavefront6targetE0EEEvT1_.has_indirect_call, 0
	.section	.AMDGPU.csdata,"",@progbits
; Kernel info:
; codeLenInByte = 0
; TotalNumSgprs: 0
; NumVgprs: 0
; ScratchSize: 0
; MemoryBound: 0
; FloatMode: 240
; IeeeMode: 1
; LDSByteSize: 0 bytes/workgroup (compile time only)
; SGPRBlocks: 0
; VGPRBlocks: 0
; NumSGPRsForWavesPerEU: 1
; NumVGPRsForWavesPerEU: 1
; NamedBarCnt: 0
; Occupancy: 16
; WaveLimiterHint : 0
; COMPUTE_PGM_RSRC2:SCRATCH_EN: 0
; COMPUTE_PGM_RSRC2:USER_SGPR: 2
; COMPUTE_PGM_RSRC2:TRAP_HANDLER: 0
; COMPUTE_PGM_RSRC2:TGID_X_EN: 1
; COMPUTE_PGM_RSRC2:TGID_Y_EN: 0
; COMPUTE_PGM_RSRC2:TGID_Z_EN: 0
; COMPUTE_PGM_RSRC2:TIDIG_COMP_CNT: 0
	.section	.text._ZN6thrust23THRUST_200600_302600_NS11hip_rocprim14__parallel_for6kernelILj256ENS1_11__transform17unary_transform_fINS0_7pointerIiNS1_3tagENS0_11use_defaultES8_EENS0_10device_ptrIxEENS4_14no_stencil_tagENS0_8identityIiEENS4_21always_true_predicateEEElLj1EEEvT0_T1_SI_,"axG",@progbits,_ZN6thrust23THRUST_200600_302600_NS11hip_rocprim14__parallel_for6kernelILj256ENS1_11__transform17unary_transform_fINS0_7pointerIiNS1_3tagENS0_11use_defaultES8_EENS0_10device_ptrIxEENS4_14no_stencil_tagENS0_8identityIiEENS4_21always_true_predicateEEElLj1EEEvT0_T1_SI_,comdat
	.protected	_ZN6thrust23THRUST_200600_302600_NS11hip_rocprim14__parallel_for6kernelILj256ENS1_11__transform17unary_transform_fINS0_7pointerIiNS1_3tagENS0_11use_defaultES8_EENS0_10device_ptrIxEENS4_14no_stencil_tagENS0_8identityIiEENS4_21always_true_predicateEEElLj1EEEvT0_T1_SI_ ; -- Begin function _ZN6thrust23THRUST_200600_302600_NS11hip_rocprim14__parallel_for6kernelILj256ENS1_11__transform17unary_transform_fINS0_7pointerIiNS1_3tagENS0_11use_defaultES8_EENS0_10device_ptrIxEENS4_14no_stencil_tagENS0_8identityIiEENS4_21always_true_predicateEEElLj1EEEvT0_T1_SI_
	.globl	_ZN6thrust23THRUST_200600_302600_NS11hip_rocprim14__parallel_for6kernelILj256ENS1_11__transform17unary_transform_fINS0_7pointerIiNS1_3tagENS0_11use_defaultES8_EENS0_10device_ptrIxEENS4_14no_stencil_tagENS0_8identityIiEENS4_21always_true_predicateEEElLj1EEEvT0_T1_SI_
	.p2align	8
	.type	_ZN6thrust23THRUST_200600_302600_NS11hip_rocprim14__parallel_for6kernelILj256ENS1_11__transform17unary_transform_fINS0_7pointerIiNS1_3tagENS0_11use_defaultES8_EENS0_10device_ptrIxEENS4_14no_stencil_tagENS0_8identityIiEENS4_21always_true_predicateEEElLj1EEEvT0_T1_SI_,@function
_ZN6thrust23THRUST_200600_302600_NS11hip_rocprim14__parallel_for6kernelILj256ENS1_11__transform17unary_transform_fINS0_7pointerIiNS1_3tagENS0_11use_defaultES8_EENS0_10device_ptrIxEENS4_14no_stencil_tagENS0_8identityIiEENS4_21always_true_predicateEEElLj1EEEvT0_T1_SI_: ; @_ZN6thrust23THRUST_200600_302600_NS11hip_rocprim14__parallel_for6kernelILj256ENS1_11__transform17unary_transform_fINS0_7pointerIiNS1_3tagENS0_11use_defaultES8_EENS0_10device_ptrIxEENS4_14no_stencil_tagENS0_8identityIiEENS4_21always_true_predicateEEElLj1EEEvT0_T1_SI_
; %bb.0:
	s_load_b128 s[4:7], s[0:1], 0x18
	s_bfe_u32 s2, ttmp6, 0x4000c
	s_and_b32 s3, ttmp6, 15
	s_add_co_i32 s2, s2, 1
	s_getreg_b32 s8, hwreg(HW_REG_IB_STS2, 6, 4)
	s_mul_i32 s2, ttmp9, s2
	s_delay_alu instid0(SALU_CYCLE_1)
	s_add_co_i32 s3, s3, s2
	s_cmp_eq_u32 s8, 0
	s_cselect_b32 s2, ttmp9, s3
	s_mov_b32 s3, 0
	s_lshl_b32 s2, s2, 8
	s_wait_kmcnt 0x0
	s_add_nc_u64 s[2:3], s[6:7], s[2:3]
	s_delay_alu instid0(SALU_CYCLE_1) | instskip(NEXT) | instid1(SALU_CYCLE_1)
	s_sub_nc_u64 s[4:5], s[4:5], s[2:3]
	v_min_i64 v[2:3], 0x100, s[4:5]
	s_load_b128 s[4:7], s[0:1], 0x0
	s_wait_xcnt 0x0
	s_mov_b32 s0, -1
	s_delay_alu instid0(VALU_DEP_1)
	v_cmp_eq_u32_e32 vcc_lo, 0x100, v2
	s_cbranch_vccz .LBB1309_3
; %bb.1:
	s_and_not1_b32 vcc_lo, exec_lo, s0
	s_cbranch_vccz .LBB1309_6
.LBB1309_2:
	s_endpgm
.LBB1309_3:
	s_mov_b32 s0, exec_lo
	v_cmpx_lt_u32_e64 v0, v2
	s_cbranch_execz .LBB1309_5
; %bb.4:
	v_mov_b32_e32 v1, 0
	s_delay_alu instid0(VALU_DEP_1) | instskip(SKIP_1) | instid1(VALU_DEP_1)
	v_add_nc_u64_e32 v[2:3], s[2:3], v[0:1]
	s_wait_kmcnt 0x0
	v_lshl_add_u64 v[4:5], v[2:3], 2, s[4:5]
	v_lshl_add_u64 v[2:3], v[2:3], 3, s[6:7]
	flat_load_b32 v4, v[4:5]
	s_wait_loadcnt_dscnt 0x0
	v_ashrrev_i32_e32 v5, 31, v4
	flat_store_b64 v[2:3], v[4:5]
.LBB1309_5:
	s_wait_xcnt 0x0
	s_or_b32 exec_lo, exec_lo, s0
	s_cbranch_execnz .LBB1309_2
.LBB1309_6:
	v_mov_b32_e32 v1, 0
	s_delay_alu instid0(VALU_DEP_1) | instskip(SKIP_1) | instid1(VALU_DEP_1)
	v_add_nc_u64_e32 v[0:1], s[2:3], v[0:1]
	s_wait_kmcnt 0x0
	v_lshl_add_u64 v[2:3], v[0:1], 2, s[4:5]
	v_lshl_add_u64 v[0:1], v[0:1], 3, s[6:7]
	flat_load_b32 v2, v[2:3]
	s_wait_loadcnt_dscnt 0x0
	v_ashrrev_i32_e32 v3, 31, v2
	flat_store_b64 v[0:1], v[2:3]
	s_endpgm
	.section	.rodata,"a",@progbits
	.p2align	6, 0x0
	.amdhsa_kernel _ZN6thrust23THRUST_200600_302600_NS11hip_rocprim14__parallel_for6kernelILj256ENS1_11__transform17unary_transform_fINS0_7pointerIiNS1_3tagENS0_11use_defaultES8_EENS0_10device_ptrIxEENS4_14no_stencil_tagENS0_8identityIiEENS4_21always_true_predicateEEElLj1EEEvT0_T1_SI_
		.amdhsa_group_segment_fixed_size 0
		.amdhsa_private_segment_fixed_size 0
		.amdhsa_kernarg_size 40
		.amdhsa_user_sgpr_count 2
		.amdhsa_user_sgpr_dispatch_ptr 0
		.amdhsa_user_sgpr_queue_ptr 0
		.amdhsa_user_sgpr_kernarg_segment_ptr 1
		.amdhsa_user_sgpr_dispatch_id 0
		.amdhsa_user_sgpr_kernarg_preload_length 0
		.amdhsa_user_sgpr_kernarg_preload_offset 0
		.amdhsa_user_sgpr_private_segment_size 0
		.amdhsa_wavefront_size32 1
		.amdhsa_uses_dynamic_stack 0
		.amdhsa_enable_private_segment 0
		.amdhsa_system_sgpr_workgroup_id_x 1
		.amdhsa_system_sgpr_workgroup_id_y 0
		.amdhsa_system_sgpr_workgroup_id_z 0
		.amdhsa_system_sgpr_workgroup_info 0
		.amdhsa_system_vgpr_workitem_id 0
		.amdhsa_next_free_vgpr 6
		.amdhsa_next_free_sgpr 9
		.amdhsa_named_barrier_count 0
		.amdhsa_reserve_vcc 1
		.amdhsa_float_round_mode_32 0
		.amdhsa_float_round_mode_16_64 0
		.amdhsa_float_denorm_mode_32 3
		.amdhsa_float_denorm_mode_16_64 3
		.amdhsa_fp16_overflow 0
		.amdhsa_memory_ordered 1
		.amdhsa_forward_progress 1
		.amdhsa_inst_pref_size 3
		.amdhsa_round_robin_scheduling 0
		.amdhsa_exception_fp_ieee_invalid_op 0
		.amdhsa_exception_fp_denorm_src 0
		.amdhsa_exception_fp_ieee_div_zero 0
		.amdhsa_exception_fp_ieee_overflow 0
		.amdhsa_exception_fp_ieee_underflow 0
		.amdhsa_exception_fp_ieee_inexact 0
		.amdhsa_exception_int_div_zero 0
	.end_amdhsa_kernel
	.section	.text._ZN6thrust23THRUST_200600_302600_NS11hip_rocprim14__parallel_for6kernelILj256ENS1_11__transform17unary_transform_fINS0_7pointerIiNS1_3tagENS0_11use_defaultES8_EENS0_10device_ptrIxEENS4_14no_stencil_tagENS0_8identityIiEENS4_21always_true_predicateEEElLj1EEEvT0_T1_SI_,"axG",@progbits,_ZN6thrust23THRUST_200600_302600_NS11hip_rocprim14__parallel_for6kernelILj256ENS1_11__transform17unary_transform_fINS0_7pointerIiNS1_3tagENS0_11use_defaultES8_EENS0_10device_ptrIxEENS4_14no_stencil_tagENS0_8identityIiEENS4_21always_true_predicateEEElLj1EEEvT0_T1_SI_,comdat
.Lfunc_end1309:
	.size	_ZN6thrust23THRUST_200600_302600_NS11hip_rocprim14__parallel_for6kernelILj256ENS1_11__transform17unary_transform_fINS0_7pointerIiNS1_3tagENS0_11use_defaultES8_EENS0_10device_ptrIxEENS4_14no_stencil_tagENS0_8identityIiEENS4_21always_true_predicateEEElLj1EEEvT0_T1_SI_, .Lfunc_end1309-_ZN6thrust23THRUST_200600_302600_NS11hip_rocprim14__parallel_for6kernelILj256ENS1_11__transform17unary_transform_fINS0_7pointerIiNS1_3tagENS0_11use_defaultES8_EENS0_10device_ptrIxEENS4_14no_stencil_tagENS0_8identityIiEENS4_21always_true_predicateEEElLj1EEEvT0_T1_SI_
                                        ; -- End function
	.set _ZN6thrust23THRUST_200600_302600_NS11hip_rocprim14__parallel_for6kernelILj256ENS1_11__transform17unary_transform_fINS0_7pointerIiNS1_3tagENS0_11use_defaultES8_EENS0_10device_ptrIxEENS4_14no_stencil_tagENS0_8identityIiEENS4_21always_true_predicateEEElLj1EEEvT0_T1_SI_.num_vgpr, 6
	.set _ZN6thrust23THRUST_200600_302600_NS11hip_rocprim14__parallel_for6kernelILj256ENS1_11__transform17unary_transform_fINS0_7pointerIiNS1_3tagENS0_11use_defaultES8_EENS0_10device_ptrIxEENS4_14no_stencil_tagENS0_8identityIiEENS4_21always_true_predicateEEElLj1EEEvT0_T1_SI_.num_agpr, 0
	.set _ZN6thrust23THRUST_200600_302600_NS11hip_rocprim14__parallel_for6kernelILj256ENS1_11__transform17unary_transform_fINS0_7pointerIiNS1_3tagENS0_11use_defaultES8_EENS0_10device_ptrIxEENS4_14no_stencil_tagENS0_8identityIiEENS4_21always_true_predicateEEElLj1EEEvT0_T1_SI_.numbered_sgpr, 9
	.set _ZN6thrust23THRUST_200600_302600_NS11hip_rocprim14__parallel_for6kernelILj256ENS1_11__transform17unary_transform_fINS0_7pointerIiNS1_3tagENS0_11use_defaultES8_EENS0_10device_ptrIxEENS4_14no_stencil_tagENS0_8identityIiEENS4_21always_true_predicateEEElLj1EEEvT0_T1_SI_.num_named_barrier, 0
	.set _ZN6thrust23THRUST_200600_302600_NS11hip_rocprim14__parallel_for6kernelILj256ENS1_11__transform17unary_transform_fINS0_7pointerIiNS1_3tagENS0_11use_defaultES8_EENS0_10device_ptrIxEENS4_14no_stencil_tagENS0_8identityIiEENS4_21always_true_predicateEEElLj1EEEvT0_T1_SI_.private_seg_size, 0
	.set _ZN6thrust23THRUST_200600_302600_NS11hip_rocprim14__parallel_for6kernelILj256ENS1_11__transform17unary_transform_fINS0_7pointerIiNS1_3tagENS0_11use_defaultES8_EENS0_10device_ptrIxEENS4_14no_stencil_tagENS0_8identityIiEENS4_21always_true_predicateEEElLj1EEEvT0_T1_SI_.uses_vcc, 1
	.set _ZN6thrust23THRUST_200600_302600_NS11hip_rocprim14__parallel_for6kernelILj256ENS1_11__transform17unary_transform_fINS0_7pointerIiNS1_3tagENS0_11use_defaultES8_EENS0_10device_ptrIxEENS4_14no_stencil_tagENS0_8identityIiEENS4_21always_true_predicateEEElLj1EEEvT0_T1_SI_.uses_flat_scratch, 0
	.set _ZN6thrust23THRUST_200600_302600_NS11hip_rocprim14__parallel_for6kernelILj256ENS1_11__transform17unary_transform_fINS0_7pointerIiNS1_3tagENS0_11use_defaultES8_EENS0_10device_ptrIxEENS4_14no_stencil_tagENS0_8identityIiEENS4_21always_true_predicateEEElLj1EEEvT0_T1_SI_.has_dyn_sized_stack, 0
	.set _ZN6thrust23THRUST_200600_302600_NS11hip_rocprim14__parallel_for6kernelILj256ENS1_11__transform17unary_transform_fINS0_7pointerIiNS1_3tagENS0_11use_defaultES8_EENS0_10device_ptrIxEENS4_14no_stencil_tagENS0_8identityIiEENS4_21always_true_predicateEEElLj1EEEvT0_T1_SI_.has_recursion, 0
	.set _ZN6thrust23THRUST_200600_302600_NS11hip_rocprim14__parallel_for6kernelILj256ENS1_11__transform17unary_transform_fINS0_7pointerIiNS1_3tagENS0_11use_defaultES8_EENS0_10device_ptrIxEENS4_14no_stencil_tagENS0_8identityIiEENS4_21always_true_predicateEEElLj1EEEvT0_T1_SI_.has_indirect_call, 0
	.section	.AMDGPU.csdata,"",@progbits
; Kernel info:
; codeLenInByte = 288
; TotalNumSgprs: 11
; NumVgprs: 6
; ScratchSize: 0
; MemoryBound: 0
; FloatMode: 240
; IeeeMode: 1
; LDSByteSize: 0 bytes/workgroup (compile time only)
; SGPRBlocks: 0
; VGPRBlocks: 0
; NumSGPRsForWavesPerEU: 11
; NumVGPRsForWavesPerEU: 6
; NamedBarCnt: 0
; Occupancy: 16
; WaveLimiterHint : 0
; COMPUTE_PGM_RSRC2:SCRATCH_EN: 0
; COMPUTE_PGM_RSRC2:USER_SGPR: 2
; COMPUTE_PGM_RSRC2:TRAP_HANDLER: 0
; COMPUTE_PGM_RSRC2:TGID_X_EN: 1
; COMPUTE_PGM_RSRC2:TGID_Y_EN: 0
; COMPUTE_PGM_RSRC2:TGID_Z_EN: 0
; COMPUTE_PGM_RSRC2:TIDIG_COMP_CNT: 0
	.section	.text._ZN7rocprim17ROCPRIM_400000_NS6detail30init_device_scan_by_key_kernelINS1_19lookback_scan_stateINS0_5tupleIJxbEEELb0ELb0EEEN6thrust23THRUST_200600_302600_NS6detail15normal_iteratorINS8_10device_ptrIiEEEEjNS1_16block_id_wrapperIjLb0EEEEEvT_jjPNSG_10value_typeET0_PNSt15iterator_traitsISJ_E10value_typeEmT1_T2_,"axG",@progbits,_ZN7rocprim17ROCPRIM_400000_NS6detail30init_device_scan_by_key_kernelINS1_19lookback_scan_stateINS0_5tupleIJxbEEELb0ELb0EEEN6thrust23THRUST_200600_302600_NS6detail15normal_iteratorINS8_10device_ptrIiEEEEjNS1_16block_id_wrapperIjLb0EEEEEvT_jjPNSG_10value_typeET0_PNSt15iterator_traitsISJ_E10value_typeEmT1_T2_,comdat
	.protected	_ZN7rocprim17ROCPRIM_400000_NS6detail30init_device_scan_by_key_kernelINS1_19lookback_scan_stateINS0_5tupleIJxbEEELb0ELb0EEEN6thrust23THRUST_200600_302600_NS6detail15normal_iteratorINS8_10device_ptrIiEEEEjNS1_16block_id_wrapperIjLb0EEEEEvT_jjPNSG_10value_typeET0_PNSt15iterator_traitsISJ_E10value_typeEmT1_T2_ ; -- Begin function _ZN7rocprim17ROCPRIM_400000_NS6detail30init_device_scan_by_key_kernelINS1_19lookback_scan_stateINS0_5tupleIJxbEEELb0ELb0EEEN6thrust23THRUST_200600_302600_NS6detail15normal_iteratorINS8_10device_ptrIiEEEEjNS1_16block_id_wrapperIjLb0EEEEEvT_jjPNSG_10value_typeET0_PNSt15iterator_traitsISJ_E10value_typeEmT1_T2_
	.globl	_ZN7rocprim17ROCPRIM_400000_NS6detail30init_device_scan_by_key_kernelINS1_19lookback_scan_stateINS0_5tupleIJxbEEELb0ELb0EEEN6thrust23THRUST_200600_302600_NS6detail15normal_iteratorINS8_10device_ptrIiEEEEjNS1_16block_id_wrapperIjLb0EEEEEvT_jjPNSG_10value_typeET0_PNSt15iterator_traitsISJ_E10value_typeEmT1_T2_
	.p2align	8
	.type	_ZN7rocprim17ROCPRIM_400000_NS6detail30init_device_scan_by_key_kernelINS1_19lookback_scan_stateINS0_5tupleIJxbEEELb0ELb0EEEN6thrust23THRUST_200600_302600_NS6detail15normal_iteratorINS8_10device_ptrIiEEEEjNS1_16block_id_wrapperIjLb0EEEEEvT_jjPNSG_10value_typeET0_PNSt15iterator_traitsISJ_E10value_typeEmT1_T2_,@function
_ZN7rocprim17ROCPRIM_400000_NS6detail30init_device_scan_by_key_kernelINS1_19lookback_scan_stateINS0_5tupleIJxbEEELb0ELb0EEEN6thrust23THRUST_200600_302600_NS6detail15normal_iteratorINS8_10device_ptrIiEEEEjNS1_16block_id_wrapperIjLb0EEEEEvT_jjPNSG_10value_typeET0_PNSt15iterator_traitsISJ_E10value_typeEmT1_T2_: ; @_ZN7rocprim17ROCPRIM_400000_NS6detail30init_device_scan_by_key_kernelINS1_19lookback_scan_stateINS0_5tupleIJxbEEELb0ELb0EEEN6thrust23THRUST_200600_302600_NS6detail15normal_iteratorINS8_10device_ptrIiEEEEjNS1_16block_id_wrapperIjLb0EEEEEvT_jjPNSG_10value_typeET0_PNSt15iterator_traitsISJ_E10value_typeEmT1_T2_
; %bb.0:
	s_clause 0x2
	s_load_b32 s2, s[0:1], 0x54
	s_load_b32 s18, s[0:1], 0x48
	s_load_b256 s[4:11], s[0:1], 0x10
	s_bfe_u32 s3, ttmp6, 0x4000c
	s_and_b32 s12, ttmp6, 15
	s_add_co_i32 s3, s3, 1
	s_getreg_b32 s13, hwreg(HW_REG_IB_STS2, 6, 4)
	s_mul_i32 s3, ttmp9, s3
	s_delay_alu instid0(SALU_CYCLE_1)
	s_add_co_i32 s12, s12, s3
	s_wait_kmcnt 0x0
	s_and_b32 s19, s2, 0xffff
	s_cmp_eq_u32 s13, 0
	s_cselect_b32 s2, ttmp9, s12
	s_cmp_eq_u64 s[8:9], 0
	v_mad_u32 v0, s2, s19, v0
	s_cbranch_scc1 .LBB1310_7
; %bb.1:
	s_cmp_lt_u32 s7, s6
	s_mov_b32 s20, exec_lo
	s_cselect_b32 s2, s7, 0
	s_delay_alu instid0(VALU_DEP_1) | instid1(SALU_CYCLE_1)
	v_cmpx_eq_u32_e64 s2, v0
	s_cbranch_execz .LBB1310_6
; %bb.2:
	s_add_co_i32 s2, s7, 32
	s_load_b128 s[12:15], s[0:1], 0x0
	v_mov_b32_e32 v1, s2
	s_mov_b32 s3, 0
	global_load_u8 v1, v1, s[4:5] scope:SCOPE_DEV
	s_wait_loadcnt 0x0
	v_and_b32_e32 v2, 0xffff, v1
	v_readfirstlane_b32 s7, v1
	s_delay_alu instid0(VALU_DEP_2)
	v_cmp_ne_u32_e32 vcc_lo, 0, v2
	s_cbranch_vccnz .LBB1310_5
; %bb.3:
	v_mov_b32_e32 v1, 0
	s_add_nc_u64 s[16:17], s[4:5], s[2:3]
.LBB1310_4:                             ; =>This Inner Loop Header: Depth=1
	global_load_u8 v2, v1, s[16:17] scope:SCOPE_DEV
	s_wait_loadcnt 0x0
	v_and_b32_e32 v3, 0xffff, v2
	v_readfirstlane_b32 s7, v2
	s_delay_alu instid0(VALU_DEP_2)
	v_cmp_eq_u32_e32 vcc_lo, 0, v3
	s_cbranch_vccnz .LBB1310_4
.LBB1310_5:
	s_and_b32 s7, 0xffff, s7
	v_mov_b32_e32 v1, 0
	s_cmp_eq_u32 s7, 1
	global_wb scope:SCOPE_DEV
	s_wait_storecnt 0x0
	global_inv scope:SCOPE_DEV
	s_wait_kmcnt 0x0
	s_cselect_b32 s13, s13, s15
	s_cselect_b32 s12, s12, s14
	s_lshl_b64 s[2:3], s[2:3], 4
	s_delay_alu instid0(SALU_CYCLE_1)
	s_add_nc_u64 s[2:3], s[12:13], s[2:3]
	s_clause 0x1
	global_load_b64 v[2:3], v1, s[2:3]
	global_load_u8 v4, v1, s[2:3] offset:8
	s_wait_loadcnt 0x1
	global_store_b64 v1, v[2:3], s[8:9]
	s_wait_loadcnt 0x0
	global_store_b8 v1, v4, s[8:9] offset:8
.LBB1310_6:
	s_wait_xcnt 0x0
	s_or_b32 exec_lo, exec_lo, s20
.LBB1310_7:
	s_delay_alu instid0(SALU_CYCLE_1) | instskip(NEXT) | instid1(VALU_DEP_1)
	s_mov_b32 s2, exec_lo
	v_cmpx_gt_u32_e64 s6, v0
	s_cbranch_execz .LBB1310_9
; %bb.8:
	v_dual_mov_b32 v2, 0 :: v_dual_add_nc_u32 v1, 32, v0
	global_store_b8 v1, v2, s[4:5]
.LBB1310_9:
	s_wait_xcnt 0x0
	s_or_b32 exec_lo, exec_lo, s2
	v_mov_b32_e32 v1, 0
	s_mov_b32 s2, exec_lo
	v_cmpx_gt_u32_e32 32, v0
	s_cbranch_execz .LBB1310_11
; %bb.10:
	s_delay_alu instid0(VALU_DEP_2)
	v_add_nc_u64_e32 v[2:3], s[4:5], v[0:1]
	v_mov_b32_e32 v4, 0xff
	global_store_b8 v[2:3], v4, off
.LBB1310_11:
	s_wait_xcnt 0x0
	s_or_b32 exec_lo, exec_lo, s2
	s_load_b64 s[2:3], s[0:1], 0x38
	s_mov_b32 s4, exec_lo
	s_wait_kmcnt 0x0
	v_cmpx_gt_u64_e64 s[2:3], v[0:1]
	s_cbranch_execz .LBB1310_14
; %bb.12:
	s_clause 0x1
	s_load_b32 s4, s[0:1], 0x40
	s_load_b64 s[6:7], s[0:1], 0x30
	s_mov_b32 s5, 0
	s_wait_xcnt 0x0
	s_mul_i32 s0, s18, s19
	s_mov_b32 s9, s5
	s_mov_b32 s1, s5
	s_wait_kmcnt 0x0
	v_mul_u64_e32 v[2:3], s[4:5], v[0:1]
	s_add_co_i32 s8, s4, -1
	v_lshl_add_u64 v[4:5], v[0:1], 2, s[6:7]
	s_lshl_b64 s[8:9], s[8:9], 2
	s_delay_alu instid0(SALU_CYCLE_1) | instskip(SKIP_1) | instid1(SALU_CYCLE_1)
	s_add_nc_u64 s[8:9], s[10:11], s[8:9]
	s_mul_u64 s[10:11], s[4:5], s[0:1]
	s_lshl_b64 s[6:7], s[10:11], 2
	s_delay_alu instid0(VALU_DEP_2)
	v_lshl_add_u64 v[2:3], v[2:3], 2, s[8:9]
	s_lshl_b64 s[8:9], s[0:1], 2
.LBB1310_13:                            ; =>This Inner Loop Header: Depth=1
	global_load_b32 v6, v[2:3], off
	v_add_nc_u64_e32 v[0:1], s[0:1], v[0:1]
	s_wait_xcnt 0x0
	v_add_nc_u64_e32 v[2:3], s[6:7], v[2:3]
	s_delay_alu instid0(VALU_DEP_2)
	v_cmp_le_u64_e32 vcc_lo, s[2:3], v[0:1]
	s_or_b32 s5, vcc_lo, s5
	s_wait_loadcnt 0x0
	global_store_b32 v[4:5], v6, off
	s_wait_xcnt 0x0
	v_add_nc_u64_e32 v[4:5], s[8:9], v[4:5]
	s_and_not1_b32 exec_lo, exec_lo, s5
	s_cbranch_execnz .LBB1310_13
.LBB1310_14:
	s_endpgm
	.section	.rodata,"a",@progbits
	.p2align	6, 0x0
	.amdhsa_kernel _ZN7rocprim17ROCPRIM_400000_NS6detail30init_device_scan_by_key_kernelINS1_19lookback_scan_stateINS0_5tupleIJxbEEELb0ELb0EEEN6thrust23THRUST_200600_302600_NS6detail15normal_iteratorINS8_10device_ptrIiEEEEjNS1_16block_id_wrapperIjLb0EEEEEvT_jjPNSG_10value_typeET0_PNSt15iterator_traitsISJ_E10value_typeEmT1_T2_
		.amdhsa_group_segment_fixed_size 0
		.amdhsa_private_segment_fixed_size 0
		.amdhsa_kernarg_size 328
		.amdhsa_user_sgpr_count 2
		.amdhsa_user_sgpr_dispatch_ptr 0
		.amdhsa_user_sgpr_queue_ptr 0
		.amdhsa_user_sgpr_kernarg_segment_ptr 1
		.amdhsa_user_sgpr_dispatch_id 0
		.amdhsa_user_sgpr_kernarg_preload_length 0
		.amdhsa_user_sgpr_kernarg_preload_offset 0
		.amdhsa_user_sgpr_private_segment_size 0
		.amdhsa_wavefront_size32 1
		.amdhsa_uses_dynamic_stack 0
		.amdhsa_enable_private_segment 0
		.amdhsa_system_sgpr_workgroup_id_x 1
		.amdhsa_system_sgpr_workgroup_id_y 0
		.amdhsa_system_sgpr_workgroup_id_z 0
		.amdhsa_system_sgpr_workgroup_info 0
		.amdhsa_system_vgpr_workitem_id 0
		.amdhsa_next_free_vgpr 7
		.amdhsa_next_free_sgpr 21
		.amdhsa_named_barrier_count 0
		.amdhsa_reserve_vcc 1
		.amdhsa_float_round_mode_32 0
		.amdhsa_float_round_mode_16_64 0
		.amdhsa_float_denorm_mode_32 3
		.amdhsa_float_denorm_mode_16_64 3
		.amdhsa_fp16_overflow 0
		.amdhsa_memory_ordered 1
		.amdhsa_forward_progress 1
		.amdhsa_inst_pref_size 6
		.amdhsa_round_robin_scheduling 0
		.amdhsa_exception_fp_ieee_invalid_op 0
		.amdhsa_exception_fp_denorm_src 0
		.amdhsa_exception_fp_ieee_div_zero 0
		.amdhsa_exception_fp_ieee_overflow 0
		.amdhsa_exception_fp_ieee_underflow 0
		.amdhsa_exception_fp_ieee_inexact 0
		.amdhsa_exception_int_div_zero 0
	.end_amdhsa_kernel
	.section	.text._ZN7rocprim17ROCPRIM_400000_NS6detail30init_device_scan_by_key_kernelINS1_19lookback_scan_stateINS0_5tupleIJxbEEELb0ELb0EEEN6thrust23THRUST_200600_302600_NS6detail15normal_iteratorINS8_10device_ptrIiEEEEjNS1_16block_id_wrapperIjLb0EEEEEvT_jjPNSG_10value_typeET0_PNSt15iterator_traitsISJ_E10value_typeEmT1_T2_,"axG",@progbits,_ZN7rocprim17ROCPRIM_400000_NS6detail30init_device_scan_by_key_kernelINS1_19lookback_scan_stateINS0_5tupleIJxbEEELb0ELb0EEEN6thrust23THRUST_200600_302600_NS6detail15normal_iteratorINS8_10device_ptrIiEEEEjNS1_16block_id_wrapperIjLb0EEEEEvT_jjPNSG_10value_typeET0_PNSt15iterator_traitsISJ_E10value_typeEmT1_T2_,comdat
.Lfunc_end1310:
	.size	_ZN7rocprim17ROCPRIM_400000_NS6detail30init_device_scan_by_key_kernelINS1_19lookback_scan_stateINS0_5tupleIJxbEEELb0ELb0EEEN6thrust23THRUST_200600_302600_NS6detail15normal_iteratorINS8_10device_ptrIiEEEEjNS1_16block_id_wrapperIjLb0EEEEEvT_jjPNSG_10value_typeET0_PNSt15iterator_traitsISJ_E10value_typeEmT1_T2_, .Lfunc_end1310-_ZN7rocprim17ROCPRIM_400000_NS6detail30init_device_scan_by_key_kernelINS1_19lookback_scan_stateINS0_5tupleIJxbEEELb0ELb0EEEN6thrust23THRUST_200600_302600_NS6detail15normal_iteratorINS8_10device_ptrIiEEEEjNS1_16block_id_wrapperIjLb0EEEEEvT_jjPNSG_10value_typeET0_PNSt15iterator_traitsISJ_E10value_typeEmT1_T2_
                                        ; -- End function
	.set _ZN7rocprim17ROCPRIM_400000_NS6detail30init_device_scan_by_key_kernelINS1_19lookback_scan_stateINS0_5tupleIJxbEEELb0ELb0EEEN6thrust23THRUST_200600_302600_NS6detail15normal_iteratorINS8_10device_ptrIiEEEEjNS1_16block_id_wrapperIjLb0EEEEEvT_jjPNSG_10value_typeET0_PNSt15iterator_traitsISJ_E10value_typeEmT1_T2_.num_vgpr, 7
	.set _ZN7rocprim17ROCPRIM_400000_NS6detail30init_device_scan_by_key_kernelINS1_19lookback_scan_stateINS0_5tupleIJxbEEELb0ELb0EEEN6thrust23THRUST_200600_302600_NS6detail15normal_iteratorINS8_10device_ptrIiEEEEjNS1_16block_id_wrapperIjLb0EEEEEvT_jjPNSG_10value_typeET0_PNSt15iterator_traitsISJ_E10value_typeEmT1_T2_.num_agpr, 0
	.set _ZN7rocprim17ROCPRIM_400000_NS6detail30init_device_scan_by_key_kernelINS1_19lookback_scan_stateINS0_5tupleIJxbEEELb0ELb0EEEN6thrust23THRUST_200600_302600_NS6detail15normal_iteratorINS8_10device_ptrIiEEEEjNS1_16block_id_wrapperIjLb0EEEEEvT_jjPNSG_10value_typeET0_PNSt15iterator_traitsISJ_E10value_typeEmT1_T2_.numbered_sgpr, 21
	.set _ZN7rocprim17ROCPRIM_400000_NS6detail30init_device_scan_by_key_kernelINS1_19lookback_scan_stateINS0_5tupleIJxbEEELb0ELb0EEEN6thrust23THRUST_200600_302600_NS6detail15normal_iteratorINS8_10device_ptrIiEEEEjNS1_16block_id_wrapperIjLb0EEEEEvT_jjPNSG_10value_typeET0_PNSt15iterator_traitsISJ_E10value_typeEmT1_T2_.num_named_barrier, 0
	.set _ZN7rocprim17ROCPRIM_400000_NS6detail30init_device_scan_by_key_kernelINS1_19lookback_scan_stateINS0_5tupleIJxbEEELb0ELb0EEEN6thrust23THRUST_200600_302600_NS6detail15normal_iteratorINS8_10device_ptrIiEEEEjNS1_16block_id_wrapperIjLb0EEEEEvT_jjPNSG_10value_typeET0_PNSt15iterator_traitsISJ_E10value_typeEmT1_T2_.private_seg_size, 0
	.set _ZN7rocprim17ROCPRIM_400000_NS6detail30init_device_scan_by_key_kernelINS1_19lookback_scan_stateINS0_5tupleIJxbEEELb0ELb0EEEN6thrust23THRUST_200600_302600_NS6detail15normal_iteratorINS8_10device_ptrIiEEEEjNS1_16block_id_wrapperIjLb0EEEEEvT_jjPNSG_10value_typeET0_PNSt15iterator_traitsISJ_E10value_typeEmT1_T2_.uses_vcc, 1
	.set _ZN7rocprim17ROCPRIM_400000_NS6detail30init_device_scan_by_key_kernelINS1_19lookback_scan_stateINS0_5tupleIJxbEEELb0ELb0EEEN6thrust23THRUST_200600_302600_NS6detail15normal_iteratorINS8_10device_ptrIiEEEEjNS1_16block_id_wrapperIjLb0EEEEEvT_jjPNSG_10value_typeET0_PNSt15iterator_traitsISJ_E10value_typeEmT1_T2_.uses_flat_scratch, 0
	.set _ZN7rocprim17ROCPRIM_400000_NS6detail30init_device_scan_by_key_kernelINS1_19lookback_scan_stateINS0_5tupleIJxbEEELb0ELb0EEEN6thrust23THRUST_200600_302600_NS6detail15normal_iteratorINS8_10device_ptrIiEEEEjNS1_16block_id_wrapperIjLb0EEEEEvT_jjPNSG_10value_typeET0_PNSt15iterator_traitsISJ_E10value_typeEmT1_T2_.has_dyn_sized_stack, 0
	.set _ZN7rocprim17ROCPRIM_400000_NS6detail30init_device_scan_by_key_kernelINS1_19lookback_scan_stateINS0_5tupleIJxbEEELb0ELb0EEEN6thrust23THRUST_200600_302600_NS6detail15normal_iteratorINS8_10device_ptrIiEEEEjNS1_16block_id_wrapperIjLb0EEEEEvT_jjPNSG_10value_typeET0_PNSt15iterator_traitsISJ_E10value_typeEmT1_T2_.has_recursion, 0
	.set _ZN7rocprim17ROCPRIM_400000_NS6detail30init_device_scan_by_key_kernelINS1_19lookback_scan_stateINS0_5tupleIJxbEEELb0ELb0EEEN6thrust23THRUST_200600_302600_NS6detail15normal_iteratorINS8_10device_ptrIiEEEEjNS1_16block_id_wrapperIjLb0EEEEEvT_jjPNSG_10value_typeET0_PNSt15iterator_traitsISJ_E10value_typeEmT1_T2_.has_indirect_call, 0
	.section	.AMDGPU.csdata,"",@progbits
; Kernel info:
; codeLenInByte = 664
; TotalNumSgprs: 23
; NumVgprs: 7
; ScratchSize: 0
; MemoryBound: 0
; FloatMode: 240
; IeeeMode: 1
; LDSByteSize: 0 bytes/workgroup (compile time only)
; SGPRBlocks: 0
; VGPRBlocks: 0
; NumSGPRsForWavesPerEU: 23
; NumVGPRsForWavesPerEU: 7
; NamedBarCnt: 0
; Occupancy: 16
; WaveLimiterHint : 0
; COMPUTE_PGM_RSRC2:SCRATCH_EN: 0
; COMPUTE_PGM_RSRC2:USER_SGPR: 2
; COMPUTE_PGM_RSRC2:TRAP_HANDLER: 0
; COMPUTE_PGM_RSRC2:TGID_X_EN: 1
; COMPUTE_PGM_RSRC2:TGID_Y_EN: 0
; COMPUTE_PGM_RSRC2:TGID_Z_EN: 0
; COMPUTE_PGM_RSRC2:TIDIG_COMP_CNT: 0
	.section	.text._ZN7rocprim17ROCPRIM_400000_NS6detail17trampoline_kernelINS0_14default_configENS1_27scan_by_key_config_selectorIixEEZZNS1_16scan_by_key_implILNS1_25lookback_scan_determinismE0ELb0ES3_N6thrust23THRUST_200600_302600_NS6detail15normal_iteratorINS9_10device_ptrIiEEEENSB_INSC_IxEEEESG_xNS9_4plusIvEENS9_8equal_toIvEExEE10hipError_tPvRmT2_T3_T4_T5_mT6_T7_P12ihipStream_tbENKUlT_T0_E_clISt17integral_constantIbLb0EES11_EEDaSW_SX_EUlSW_E_NS1_11comp_targetILNS1_3genE0ELNS1_11target_archE4294967295ELNS1_3gpuE0ELNS1_3repE0EEENS1_30default_config_static_selectorELNS0_4arch9wavefront6targetE0EEEvT1_,"axG",@progbits,_ZN7rocprim17ROCPRIM_400000_NS6detail17trampoline_kernelINS0_14default_configENS1_27scan_by_key_config_selectorIixEEZZNS1_16scan_by_key_implILNS1_25lookback_scan_determinismE0ELb0ES3_N6thrust23THRUST_200600_302600_NS6detail15normal_iteratorINS9_10device_ptrIiEEEENSB_INSC_IxEEEESG_xNS9_4plusIvEENS9_8equal_toIvEExEE10hipError_tPvRmT2_T3_T4_T5_mT6_T7_P12ihipStream_tbENKUlT_T0_E_clISt17integral_constantIbLb0EES11_EEDaSW_SX_EUlSW_E_NS1_11comp_targetILNS1_3genE0ELNS1_11target_archE4294967295ELNS1_3gpuE0ELNS1_3repE0EEENS1_30default_config_static_selectorELNS0_4arch9wavefront6targetE0EEEvT1_,comdat
	.protected	_ZN7rocprim17ROCPRIM_400000_NS6detail17trampoline_kernelINS0_14default_configENS1_27scan_by_key_config_selectorIixEEZZNS1_16scan_by_key_implILNS1_25lookback_scan_determinismE0ELb0ES3_N6thrust23THRUST_200600_302600_NS6detail15normal_iteratorINS9_10device_ptrIiEEEENSB_INSC_IxEEEESG_xNS9_4plusIvEENS9_8equal_toIvEExEE10hipError_tPvRmT2_T3_T4_T5_mT6_T7_P12ihipStream_tbENKUlT_T0_E_clISt17integral_constantIbLb0EES11_EEDaSW_SX_EUlSW_E_NS1_11comp_targetILNS1_3genE0ELNS1_11target_archE4294967295ELNS1_3gpuE0ELNS1_3repE0EEENS1_30default_config_static_selectorELNS0_4arch9wavefront6targetE0EEEvT1_ ; -- Begin function _ZN7rocprim17ROCPRIM_400000_NS6detail17trampoline_kernelINS0_14default_configENS1_27scan_by_key_config_selectorIixEEZZNS1_16scan_by_key_implILNS1_25lookback_scan_determinismE0ELb0ES3_N6thrust23THRUST_200600_302600_NS6detail15normal_iteratorINS9_10device_ptrIiEEEENSB_INSC_IxEEEESG_xNS9_4plusIvEENS9_8equal_toIvEExEE10hipError_tPvRmT2_T3_T4_T5_mT6_T7_P12ihipStream_tbENKUlT_T0_E_clISt17integral_constantIbLb0EES11_EEDaSW_SX_EUlSW_E_NS1_11comp_targetILNS1_3genE0ELNS1_11target_archE4294967295ELNS1_3gpuE0ELNS1_3repE0EEENS1_30default_config_static_selectorELNS0_4arch9wavefront6targetE0EEEvT1_
	.globl	_ZN7rocprim17ROCPRIM_400000_NS6detail17trampoline_kernelINS0_14default_configENS1_27scan_by_key_config_selectorIixEEZZNS1_16scan_by_key_implILNS1_25lookback_scan_determinismE0ELb0ES3_N6thrust23THRUST_200600_302600_NS6detail15normal_iteratorINS9_10device_ptrIiEEEENSB_INSC_IxEEEESG_xNS9_4plusIvEENS9_8equal_toIvEExEE10hipError_tPvRmT2_T3_T4_T5_mT6_T7_P12ihipStream_tbENKUlT_T0_E_clISt17integral_constantIbLb0EES11_EEDaSW_SX_EUlSW_E_NS1_11comp_targetILNS1_3genE0ELNS1_11target_archE4294967295ELNS1_3gpuE0ELNS1_3repE0EEENS1_30default_config_static_selectorELNS0_4arch9wavefront6targetE0EEEvT1_
	.p2align	8
	.type	_ZN7rocprim17ROCPRIM_400000_NS6detail17trampoline_kernelINS0_14default_configENS1_27scan_by_key_config_selectorIixEEZZNS1_16scan_by_key_implILNS1_25lookback_scan_determinismE0ELb0ES3_N6thrust23THRUST_200600_302600_NS6detail15normal_iteratorINS9_10device_ptrIiEEEENSB_INSC_IxEEEESG_xNS9_4plusIvEENS9_8equal_toIvEExEE10hipError_tPvRmT2_T3_T4_T5_mT6_T7_P12ihipStream_tbENKUlT_T0_E_clISt17integral_constantIbLb0EES11_EEDaSW_SX_EUlSW_E_NS1_11comp_targetILNS1_3genE0ELNS1_11target_archE4294967295ELNS1_3gpuE0ELNS1_3repE0EEENS1_30default_config_static_selectorELNS0_4arch9wavefront6targetE0EEEvT1_,@function
_ZN7rocprim17ROCPRIM_400000_NS6detail17trampoline_kernelINS0_14default_configENS1_27scan_by_key_config_selectorIixEEZZNS1_16scan_by_key_implILNS1_25lookback_scan_determinismE0ELb0ES3_N6thrust23THRUST_200600_302600_NS6detail15normal_iteratorINS9_10device_ptrIiEEEENSB_INSC_IxEEEESG_xNS9_4plusIvEENS9_8equal_toIvEExEE10hipError_tPvRmT2_T3_T4_T5_mT6_T7_P12ihipStream_tbENKUlT_T0_E_clISt17integral_constantIbLb0EES11_EEDaSW_SX_EUlSW_E_NS1_11comp_targetILNS1_3genE0ELNS1_11target_archE4294967295ELNS1_3gpuE0ELNS1_3repE0EEENS1_30default_config_static_selectorELNS0_4arch9wavefront6targetE0EEEvT1_: ; @_ZN7rocprim17ROCPRIM_400000_NS6detail17trampoline_kernelINS0_14default_configENS1_27scan_by_key_config_selectorIixEEZZNS1_16scan_by_key_implILNS1_25lookback_scan_determinismE0ELb0ES3_N6thrust23THRUST_200600_302600_NS6detail15normal_iteratorINS9_10device_ptrIiEEEENSB_INSC_IxEEEESG_xNS9_4plusIvEENS9_8equal_toIvEExEE10hipError_tPvRmT2_T3_T4_T5_mT6_T7_P12ihipStream_tbENKUlT_T0_E_clISt17integral_constantIbLb0EES11_EEDaSW_SX_EUlSW_E_NS1_11comp_targetILNS1_3genE0ELNS1_11target_archE4294967295ELNS1_3gpuE0ELNS1_3repE0EEENS1_30default_config_static_selectorELNS0_4arch9wavefront6targetE0EEEvT1_
; %bb.0:
	s_clause 0x3
	s_load_b256 s[12:19], s[0:1], 0x0
	s_load_b256 s[36:43], s[0:1], 0x60
	s_load_b96 s[28:30], s[0:1], 0x50
	s_load_b256 s[20:27], s[0:1], 0x30
	s_getreg_b32 s4, hwreg(HW_REG_IB_STS2, 6, 4)
	s_mov_b32 s3, 0
	s_barrier_signal -1
	s_barrier_wait -1
	s_wait_kmcnt 0x0
	s_lshl_b64 s[0:1], s[14:15], 2
	s_lshl_b64 s[34:35], s[14:15], 3
	s_cmp_lg_u64 s[40:41], 0
	s_mov_b32 s2, s30
	s_cselect_b32 s44, -1, 0
	s_bfe_u32 s5, ttmp6, 0x4000c
	s_and_b32 s6, ttmp6, 15
	s_add_co_i32 s5, s5, 1
	s_mov_b32 s41, s3
	s_mul_i32 s5, ttmp9, s5
	s_add_nc_u64 s[0:1], s[12:13], s[0:1]
	s_add_co_i32 s6, s6, s5
	s_cmp_eq_u32 s4, 0
	s_mul_u64 s[4:5], s[28:29], s[2:3]
	s_cselect_b32 s40, ttmp9, s6
	s_add_nc_u64 s[6:7], s[16:17], s[34:35]
	s_add_nc_u64 s[14:15], s[4:5], s[40:41]
	s_add_nc_u64 s[4:5], s[36:37], -1
	s_mul_i32 s2, s40, 0x500
	v_cmp_ge_u64_e64 s27, s[14:15], s[4:5]
	s_lshl_b64 s[8:9], s[2:3], 2
	s_lshl_b64 s[30:31], s[2:3], 3
	s_add_nc_u64 s[12:13], s[0:1], s[8:9]
	s_add_nc_u64 s[10:11], s[6:7], s[30:31]
	s_mul_i32 s33, s4, 0xfffffb00
	s_and_b32 vcc_lo, exec_lo, s27
	s_cbranch_vccz .LBB1311_24
; %bb.1:
	v_mov_b32_e32 v1, 0
	s_add_co_i32 s36, s33, s26
	s_delay_alu instid0(SALU_CYCLE_1)
	v_cmp_gt_u32_e64 s0, s36, v0
	flat_load_b32 v1, v1, s[12:13]
	s_wait_loadcnt_dscnt 0x0
	v_mov_b32_e32 v2, v1
	s_and_saveexec_b32 s1, s0
	s_cbranch_execz .LBB1311_3
; %bb.2:
	flat_load_b32 v2, v0, s[12:13] scale_offset
.LBB1311_3:
	s_wait_xcnt 0x0
	s_or_b32 exec_lo, exec_lo, s1
	v_or_b32_e32 v3, 0x80, v0
	s_delay_alu instid0(VALU_DEP_1)
	v_cmp_gt_u32_e64 s1, s36, v3
	v_mov_b32_e32 v3, v1
	s_and_saveexec_b32 s2, s1
	s_cbranch_execz .LBB1311_5
; %bb.4:
	flat_load_b32 v3, v0, s[12:13] offset:512 scale_offset
.LBB1311_5:
	s_wait_xcnt 0x0
	s_or_b32 exec_lo, exec_lo, s2
	v_or_b32_e32 v4, 0x100, v0
	s_delay_alu instid0(VALU_DEP_1)
	v_cmp_gt_u32_e64 s2, s36, v4
	v_mov_b32_e32 v4, v1
	s_and_saveexec_b32 s3, s2
	s_cbranch_execz .LBB1311_7
; %bb.6:
	flat_load_b32 v4, v0, s[12:13] offset:1024 scale_offset
.LBB1311_7:
	;; [unrolled: 11-line block ×8, first 2 shown]
	s_wait_xcnt 0x0
	s_or_b32 exec_lo, exec_lo, s9
	v_or_b32_e32 v11, 0x480, v0
	s_mov_b32 s16, exec_lo
	s_delay_alu instid0(VALU_DEP_1) | instskip(SKIP_2) | instid1(SALU_CYCLE_1)
	v_cmp_gt_u32_e64 s9, s36, v11
	v_cmpx_le_u32_e64 s36, v11
	s_xor_b32 s16, exec_lo, s16
	s_and_not1_saveexec_b32 s16, s16
	s_cbranch_execz .LBB1311_21
; %bb.20:
	flat_load_b32 v1, v0, s[12:13] offset:4608 scale_offset
.LBB1311_21:
	s_wait_xcnt 0x0
	s_or_b32 exec_lo, exec_lo, s16
	v_lshlrev_b32_e32 v11, 2, v0
	s_cmp_eq_u64 s[14:15], 0
	s_mov_b64 s[16:17], s[12:13]
	s_wait_loadcnt_dscnt 0x0
	ds_store_2addr_stride64_b32 v11, v2, v3 offset1:2
	ds_store_2addr_stride64_b32 v11, v4, v5 offset0:4 offset1:6
	ds_store_2addr_stride64_b32 v11, v6, v7 offset0:8 offset1:10
	;; [unrolled: 1-line block ×4, first 2 shown]
	v_mad_u32_u24 v1, v0, 36, v11
	s_wait_dscnt 0x0
	s_barrier_signal -1
	s_barrier_wait -1
	ds_load_2addr_b64 v[36:39], v1 offset1:1
	ds_load_2addr_b32 v[8:9], v1 offset0:1 offset1:2
	ds_load_2addr_b32 v[16:17], v1 offset0:3 offset1:4
	;; [unrolled: 1-line block ×3, first 2 shown]
	ds_load_b32 v48, v1 offset:36
	ds_load_2addr_b32 v[42:43], v1 offset0:5 offset1:6
	s_cbranch_scc1 .LBB1311_27
; %bb.22:
	s_and_not1_b32 vcc_lo, exec_lo, s44
	s_cbranch_vccnz .LBB1311_25
; %bb.23:
	s_lshl_b64 s[16:17], s[14:15], 2
	s_mov_b32 s37, 0
	s_add_nc_u64 s[16:17], s[42:43], s[16:17]
	s_delay_alu instid0(SALU_CYCLE_1)
	s_add_nc_u64 s[16:17], s[16:17], -4
	s_branch .LBB1311_26
.LBB1311_24:
                                        ; implicit-def: $sgpr5
                                        ; implicit-def: $vgpr51
                                        ; implicit-def: $vgpr46
                                        ; implicit-def: $vgpr49
                                        ; implicit-def: $vgpr50
                                        ; implicit-def: $vgpr16_vgpr17
                                        ; implicit-def: $vgpr26_vgpr27
                                        ; implicit-def: $vgpr30_vgpr31
                                        ; implicit-def: $vgpr34_vgpr35
                                        ; implicit-def: $vgpr4_vgpr5
                                        ; implicit-def: $vgpr58
                                        ; implicit-def: $vgpr59
                                        ; implicit-def: $vgpr63
                                        ; implicit-def: $vgpr54
                                        ; implicit-def: $vgpr55
                                        ; implicit-def: $vgpr47
                                        ; implicit-def: $vgpr56
                                        ; implicit-def: $vgpr57
                                        ; implicit-def: $vgpr53
                                        ; implicit-def: $vgpr22_vgpr23
                                        ; implicit-def: $vgpr44_vgpr45
                                        ; implicit-def: $vgpr18_vgpr19
                                        ; implicit-def: $vgpr20_vgpr21
                                        ; implicit-def: $vgpr10_vgpr11
                                        ; implicit-def: $vgpr12_vgpr13
                                        ; implicit-def: $vgpr6_vgpr7
                                        ; implicit-def: $vgpr1
	s_cbranch_execnz .LBB1311_59
	s_branch .LBB1311_76
.LBB1311_25:
	s_add_nc_u64 s[16:17], s[12:13], -4
	s_mov_b32 s37, -1
.LBB1311_26:
	s_delay_alu instid0(SALU_CYCLE_1)
	s_and_not1_b32 vcc_lo, exec_lo, s37
.LBB1311_27:
	v_mov_b32_e32 v2, 0
	v_mad_i32_i24 v1, 0xffffffdc, v0, v1
	flat_load_b32 v60, v2, s[16:17]
	s_wait_xcnt 0x0
	s_mov_b32 s16, exec_lo
	s_wait_dscnt 0x2
	ds_store_b32 v1, v48 offset:5120
	s_wait_loadcnt_dscnt 0x0
	s_barrier_signal -1
	s_barrier_wait -1
	v_cmpx_ne_u32_e32 0, v0
; %bb.28:
	ds_load_b32 v60, v1 offset:5116
; %bb.29:
	s_or_b32 exec_lo, exec_lo, s16
	s_wait_dscnt 0x0
	s_barrier_signal -1
	s_barrier_wait -1
                                        ; implicit-def: $vgpr2_vgpr3
	s_and_saveexec_b32 s16, s0
	s_cbranch_execnz .LBB1311_62
; %bb.30:
	s_or_b32 exec_lo, exec_lo, s16
                                        ; implicit-def: $vgpr4_vgpr5
	s_and_saveexec_b32 s0, s1
	s_cbranch_execnz .LBB1311_63
.LBB1311_31:
	s_or_b32 exec_lo, exec_lo, s0
                                        ; implicit-def: $vgpr6_vgpr7
	s_and_saveexec_b32 s0, s2
	s_cbranch_execnz .LBB1311_64
.LBB1311_32:
	s_or_b32 exec_lo, exec_lo, s0
                                        ; implicit-def: $vgpr10_vgpr11
	s_and_saveexec_b32 s0, s3
	s_cbranch_execnz .LBB1311_65
.LBB1311_33:
	s_or_b32 exec_lo, exec_lo, s0
                                        ; implicit-def: $vgpr12_vgpr13
	s_and_saveexec_b32 s0, s4
	s_cbranch_execnz .LBB1311_66
.LBB1311_34:
	s_or_b32 exec_lo, exec_lo, s0
                                        ; implicit-def: $vgpr14_vgpr15
	s_and_saveexec_b32 s0, s5
	s_cbranch_execnz .LBB1311_67
.LBB1311_35:
	s_or_b32 exec_lo, exec_lo, s0
                                        ; implicit-def: $vgpr18_vgpr19
	s_and_saveexec_b32 s0, s6
	s_cbranch_execnz .LBB1311_68
.LBB1311_36:
	s_or_b32 exec_lo, exec_lo, s0
                                        ; implicit-def: $vgpr20_vgpr21
	s_and_saveexec_b32 s0, s7
	s_cbranch_execnz .LBB1311_69
.LBB1311_37:
	s_or_b32 exec_lo, exec_lo, s0
                                        ; implicit-def: $vgpr22_vgpr23
	s_and_saveexec_b32 s0, s8
	s_cbranch_execnz .LBB1311_70
.LBB1311_38:
	s_or_b32 exec_lo, exec_lo, s0
                                        ; implicit-def: $vgpr24_vgpr25
	s_and_saveexec_b32 s0, s9
	s_cbranch_execz .LBB1311_40
.LBB1311_39:
	flat_load_b64 v[24:25], v0, s[10:11] offset:9216 scale_offset
.LBB1311_40:
	s_wait_xcnt 0x0
	s_or_b32 exec_lo, exec_lo, s0
	v_lshl_add_u32 v61, v0, 2, v1
	v_mul_u32_u24_e32 v52, 10, v0
	v_mov_b64_e32 v[26:27], 0
	v_mov_b64_e32 v[30:31], 0
	;; [unrolled: 1-line block ×3, first 2 shown]
	s_wait_loadcnt_dscnt 0x0
	ds_store_2addr_stride64_b64 v61, v[2:3], v[4:5] offset1:2
	ds_store_2addr_stride64_b64 v61, v[6:7], v[10:11] offset0:4 offset1:6
	ds_store_2addr_stride64_b64 v61, v[12:13], v[14:15] offset0:8 offset1:10
	ds_store_2addr_stride64_b64 v61, v[18:19], v[20:21] offset0:12 offset1:14
	ds_store_2addr_stride64_b64 v61, v[22:23], v[24:25] offset0:16 offset1:18
	v_mov_b64_e32 v[24:25], 0
	v_mov_b64_e32 v[34:35], 0
	v_mov_b64_e32 v[32:33], 0
	v_mov_b64_e32 v[4:5], 0
	v_mov_b64_e32 v[2:3], 0
	v_mov_b64_e32 v[14:15], 0
	v_mov_b64_e32 v[22:23], 0
	v_mov_b64_e32 v[44:45], 0
	v_mov_b64_e32 v[18:19], 0
	v_mov_b64_e32 v[20:21], 0
	v_mov_b64_e32 v[10:11], 0
	v_mov_b64_e32 v[12:13], 0
	v_mov_b64_e32 v[6:7], 0
	v_cmp_gt_u32_e32 vcc_lo, s36, v52
	v_dual_mov_b32 v51, 0 :: v_dual_mov_b32 v46, 0
	v_dual_mov_b32 v49, 0 :: v_dual_mov_b32 v50, 0
	;; [unrolled: 1-line block ×7, first 2 shown]
	s_mov_b32 s4, 0
	s_mov_b32 s3, 0
	s_wait_dscnt 0x0
	s_barrier_signal -1
	s_barrier_wait -1
                                        ; implicit-def: $sgpr5
	s_and_saveexec_b32 s6, vcc_lo
	s_cbranch_execz .LBB1311_58
; %bb.41:
	v_mad_u32_u24 v1, 0x48, v0, v61
	v_dual_mov_b32 v51, 0 :: v_dual_bitop2_b32 v4, 1, v52 bitop3:0x54
	v_mov_b64_e32 v[26:27], 0
	v_mov_b64_e32 v[24:25], 0
	ds_load_b64 v[2:3], v1
	v_cmp_gt_u32_e64 s0, s36, v4
	v_mov_b64_e32 v[30:31], 0
	v_mov_b64_e32 v[28:29], 0
	;; [unrolled: 1-line block ×13, first 2 shown]
	v_dual_mov_b32 v46, 0 :: v_dual_mov_b32 v49, 0
	v_dual_mov_b32 v50, 0 :: v_dual_mov_b32 v59, 0
	;; [unrolled: 1-line block ×5, first 2 shown]
	s_mov_b32 s1, 0
	v_cmp_ne_u32_e32 vcc_lo, v60, v36
                                        ; implicit-def: $sgpr5
	s_and_saveexec_b32 s3, s0
	s_cbranch_execz .LBB1311_57
; %bb.42:
	v_mul_u32_u24_e32 v1, 0x48, v0
	v_cmp_ne_u32_e64 s0, v38, v16
	v_cmp_ne_u32_e64 s2, v37, v9
	v_mov_b64_e32 v[26:27], 0
	v_mov_b64_e32 v[24:25], 0
	v_dual_add_nc_u32 v16, v61, v1 :: v_dual_add_nc_u32 v5, 2, v52
	s_delay_alu instid0(VALU_DEP_4)
	v_cndmask_b32_e64 v4, 0, 1, s2
	v_cmp_ne_u32_e64 s2, v36, v8
	v_mov_b64_e32 v[30:31], 0
	ds_load_2addr_b64 v[6:9], v16 offset0:1 offset1:2
	v_mov_b64_e32 v[28:29], 0
	v_mov_b64_e32 v[34:35], 0
	;; [unrolled: 1-line block ×10, first 2 shown]
	v_cmp_ne_u32_e64 s1, v39, v17
	v_cndmask_b32_e64 v1, 0, 1, s2
	v_lshlrev_b16 v4, 8, v4
	v_cmp_gt_u32_e64 s2, s36, v5
	v_dual_mov_b32 v46, 0 :: v_dual_mov_b32 v49, 0
	v_dual_mov_b32 v50, 0 :: v_dual_mov_b32 v59, 0
	;; [unrolled: 1-line block ×5, first 2 shown]
	s_mov_b32 s8, 0
                                        ; implicit-def: $sgpr5
	s_and_saveexec_b32 s7, s2
	s_cbranch_execz .LBB1311_56
; %bb.43:
	v_cndmask_b32_e64 v5, 0, 1, s1
	v_cndmask_b32_e64 v10, 0, 1, s0
	v_and_b32_e32 v11, 0xffff, v4
	v_mov_b64_e32 v[26:27], 0
	v_mov_b64_e32 v[24:25], 0
	v_lshlrev_b16 v5, 8, v5
	v_mov_b32_e32 v50, 0
	v_mov_b64_e32 v[30:31], 0
	v_mov_b64_e32 v[28:29], 0
	;; [unrolled: 1-line block ×3, first 2 shown]
	v_or_b32_e32 v5, v10, v5
	v_mov_b64_e32 v[14:15], 0
	v_mov_b64_e32 v[22:23], 0
	;; [unrolled: 1-line block ×4, first 2 shown]
	v_dual_lshlrev_b32 v32, 16, v5 :: v_dual_mov_b32 v54, 0
	v_mov_b64_e32 v[20:21], 0
	v_dual_mov_b32 v49, 0 :: v_dual_add_nc_u32 v12, 3, v52
	s_delay_alu instid0(VALU_DEP_3) | instskip(SKIP_2) | instid1(VALU_DEP_3)
	v_dual_mov_b32 v55, 0 :: v_dual_bitop2_b32 v13, v11, v32 bitop3:0x54
	v_mov_b64_e32 v[10:11], 0
	v_dual_mov_b32 v59, 0 :: v_dual_mov_b32 v63, 0
	v_dual_mov_b32 v53, 0 :: v_dual_lshrrev_b32 v46, 8, v13
	s_mov_b32 s1, 0
	s_mov_b32 s8, exec_lo
                                        ; implicit-def: $sgpr5
	v_cmpx_gt_u32_e64 s36, v12
	s_cbranch_execz .LBB1311_55
; %bb.44:
	ds_load_2addr_b64 v[10:13], v16 offset0:3 offset1:4
	v_dual_add_nc_u32 v14, 4, v52 :: v_dual_mov_b32 v50, 0
	v_mov_b64_e32 v[26:27], 0
	v_mov_b64_e32 v[24:25], 0
	;; [unrolled: 1-line block ×3, first 2 shown]
	s_delay_alu instid0(VALU_DEP_4)
	v_cmp_gt_u32_e64 s0, s36, v14
	v_mov_b64_e32 v[28:29], 0
	v_mov_b64_e32 v[14:15], 0
	;; [unrolled: 1-line block ×6, first 2 shown]
	v_dual_mov_b32 v59, 0 :: v_dual_mov_b32 v63, 0
	v_dual_mov_b32 v54, 0 :: v_dual_mov_b32 v55, 0
                                        ; implicit-def: $sgpr5
	s_and_saveexec_b32 s9, s0
	s_cbranch_execz .LBB1311_54
; %bb.45:
	v_dual_mov_b32 v59, 0 :: v_dual_add_nc_u32 v14, 5, v52
	v_mov_b64_e32 v[26:27], 0
	v_mov_b64_e32 v[24:25], 0
	;; [unrolled: 1-line block ×3, first 2 shown]
	s_delay_alu instid0(VALU_DEP_4)
	v_cmp_gt_u32_e64 s0, s36, v14
	v_mov_b64_e32 v[14:15], 0
	v_mov_b64_e32 v[22:23], 0
	v_mov_b64_e32 v[44:45], 0
	v_mov_b64_e32 v[18:19], 0
	v_dual_mov_b32 v63, 0 :: v_dual_mov_b32 v54, 0
	v_mov_b32_e32 v55, 0
                                        ; implicit-def: $sgpr5
	s_and_saveexec_b32 s16, s0
	s_cbranch_execz .LBB1311_53
; %bb.46:
	ds_load_2addr_b64 v[18:21], v16 offset0:5 offset1:6
	v_cmp_ne_u32_e64 s0, v42, v43
	v_dual_add_nc_u32 v15, 6, v52 :: v_dual_mov_b32 v63, 0
	v_cmp_ne_u32_e64 s2, v17, v42
	v_mov_b64_e32 v[26:27], 0
	s_delay_alu instid0(VALU_DEP_4)
	v_cndmask_b32_e64 v14, 0, 1, s0
	v_mov_b64_e32 v[24:25], 0
	v_mov_b64_e32 v[22:23], 0
	v_cndmask_b32_e64 v29, 0, 1, s2
	v_cmp_gt_u32_e64 s2, s36, v15
	v_lshlrev_b16 v28, 8, v14
	v_mov_b64_e32 v[14:15], 0
	v_mov_b64_e32 v[44:45], 0
	v_cmp_ne_u32_e64 s0, v43, v40
	v_cmp_ne_u32_e64 s1, v40, v41
	v_dual_mov_b32 v54, 0 :: v_dual_mov_b32 v55, 0
	s_mov_b32 s37, 0
                                        ; implicit-def: $sgpr5
	s_and_saveexec_b32 s17, s2
	s_cbranch_execz .LBB1311_52
; %bb.47:
	v_cndmask_b32_e64 v14, 0, 1, s1
	v_cndmask_b32_e64 v15, 0, 1, s0
	v_mov_b64_e32 v[22:23], 0
	s_mov_b32 s2, 0
	s_mov_b32 s1, exec_lo
	v_lshlrev_b16 v14, 8, v14
                                        ; implicit-def: $sgpr5
	v_dual_mov_b32 v54, 0 :: v_dual_add_nc_u32 v17, 7, v52
	s_delay_alu instid0(VALU_DEP_2) | instskip(SKIP_1) | instid1(VALU_DEP_2)
	v_dual_mov_b32 v55, 0 :: v_dual_bitop2_b32 v26, v15, v14 bitop3:0x54
	v_and_b32_e32 v14, 0xffff, v28
	v_lshlrev_b32_e32 v27, 16, v26
	s_delay_alu instid0(VALU_DEP_1) | instskip(SKIP_1) | instid1(VALU_DEP_2)
	v_or_b32_e32 v24, v14, v27
	v_mov_b64_e32 v[14:15], 0
	v_lshrrev_b32_e32 v63, 8, v24
	v_cmpx_gt_u32_e64 s36, v17
	s_cbranch_execz .LBB1311_51
; %bb.48:
	ds_load_2addr_b64 v[22:25], v16 offset0:7 offset1:8
	v_mov_b64_e32 v[14:15], 0
	v_dual_add_nc_u32 v17, 8, v52 :: v_dual_mov_b32 v55, 0
	s_mov_b32 s37, exec_lo
                                        ; implicit-def: $sgpr5
	s_delay_alu instid0(VALU_DEP_1)
	v_cmpx_gt_u32_e64 s36, v17
	s_xor_b32 s37, exec_lo, s37
	s_cbranch_execz .LBB1311_50
; %bb.49:
	ds_load_b64 v[16:17], v16 offset:72
	v_dual_add_nc_u32 v14, 9, v52 :: v_dual_lshrrev_b32 v55, 24, v27
	v_cmp_ne_u32_e64 s5, v41, v48
	s_delay_alu instid0(VALU_DEP_2)
	v_cmp_gt_u32_e64 s0, s36, v14
	s_wait_dscnt 0x1
	v_mov_b64_e32 v[14:15], v[24:25]
	s_and_b32 s2, s0, exec_lo
.LBB1311_50:
	s_or_b32 exec_lo, exec_lo, s37
	v_mov_b32_e32 v54, v26
	s_and_b32 s2, s2, exec_lo
.LBB1311_51:
	s_or_b32 exec_lo, exec_lo, s1
	s_wait_dscnt 0x0
	v_mov_b64_e32 v[26:27], v[22:23]
	v_mov_b64_e32 v[24:25], v[20:21]
	;; [unrolled: 1-line block ×3, first 2 shown]
	s_and_b32 s37, s2, exec_lo
.LBB1311_52:
	s_or_b32 exec_lo, exec_lo, s17
	s_wait_dscnt 0x0
	v_mov_b64_e32 v[30:31], v[18:19]
	v_or_b32_e32 v59, v29, v28
	s_and_b32 s1, s37, exec_lo
.LBB1311_53:
	s_or_b32 exec_lo, exec_lo, s16
	s_wait_dscnt 0x0
	v_mov_b64_e32 v[28:29], v[12:13]
	v_mov_b64_e32 v[20:21], v[12:13]
	v_lshrrev_b32_e32 v50, 24, v32
	s_and_b32 s1, s1, exec_lo
.LBB1311_54:
	s_or_b32 exec_lo, exec_lo, s9
	s_wait_dscnt 0x0
	v_mov_b64_e32 v[34:35], v[10:11]
	v_dual_mov_b32 v49, v5 :: v_dual_mov_b32 v53, v50
	s_and_b32 s1, s1, exec_lo
.LBB1311_55:
	s_or_b32 exec_lo, exec_lo, s8
	s_wait_dscnt 0x0
	v_mov_b64_e32 v[32:33], v[8:9]
	v_mov_b64_e32 v[12:13], v[8:9]
	v_dual_mov_b32 v56, v46 :: v_dual_mov_b32 v57, v49
	s_and_b32 s8, s1, exec_lo
.LBB1311_56:
	s_or_b32 exec_lo, exec_lo, s7
	v_or_b32_e32 v51, v1, v4
	s_wait_dscnt 0x0
	v_mov_b64_e32 v[4:5], v[6:7]
	s_and_b32 s1, s8, exec_lo
.LBB1311_57:
	s_or_b32 exec_lo, exec_lo, s3
	v_cndmask_b32_e64 v58, 0, 1, vcc_lo
	v_mov_b32_e32 v47, v51
	s_and_b32 s3, s1, exec_lo
	s_delay_alu instid0(VALU_DEP_2)
	v_mov_b32_e32 v1, v58
.LBB1311_58:
	s_or_b32 exec_lo, exec_lo, s6
	s_delay_alu instid0(SALU_CYCLE_1)
	s_and_b32 vcc_lo, exec_lo, s4
	s_cbranch_vccz .LBB1311_76
.LBB1311_59:
	flat_load_b32 v1, v0, s[12:13] scale_offset
	s_wait_dscnt 0x1
	s_clause 0x8
	flat_load_b32 v2, v0, s[12:13] offset:512 scale_offset
	flat_load_b32 v3, v0, s[12:13] offset:1024 scale_offset
	;; [unrolled: 1-line block ×9, first 2 shown]
	v_lshlrev_b32_e32 v11, 2, v0
	s_cmp_eq_u64 s[14:15], 0
	s_wait_loadcnt_dscnt 0x808
	ds_store_2addr_stride64_b32 v11, v1, v2 offset1:2
	s_wait_loadcnt_dscnt 0x607
	ds_store_2addr_stride64_b32 v11, v3, v4 offset0:4 offset1:6
	s_wait_loadcnt_dscnt 0x406
	ds_store_2addr_stride64_b32 v11, v5, v6 offset0:8 offset1:10
	;; [unrolled: 2-line block ×4, first 2 shown]
	v_mov_b32_e32 v1, 0
	v_mad_u32_u24 v15, v0, 36, v11
	s_wait_dscnt 0x0
	s_barrier_signal -1
	s_barrier_wait -1
	ds_load_2addr_b64 v[6:9], v15 offset1:1
	ds_load_2addr_b32 v[4:5], v15 offset0:1 offset1:2
	ds_load_2addr_b32 v[2:3], v15 offset0:3 offset1:4
	;; [unrolled: 1-line block ×3, first 2 shown]
	ds_load_b32 v14, v15 offset:36
	ds_load_2addr_b32 v[12:13], v15 offset0:5 offset1:6
	s_cbranch_scc1 .LBB1311_73
; %bb.60:
	s_and_not1_b32 vcc_lo, exec_lo, s44
	s_cbranch_vccnz .LBB1311_71
; %bb.61:
	s_lshl_b64 s[0:1], s[14:15], 2
	s_delay_alu instid0(SALU_CYCLE_1) | instskip(NEXT) | instid1(SALU_CYCLE_1)
	s_add_nc_u64 s[0:1], s[42:43], s[0:1]
	s_add_nc_u64 s[12:13], s[0:1], -4
	s_mov_b32 s0, 0
	s_branch .LBB1311_72
.LBB1311_62:
	flat_load_b64 v[2:3], v0, s[10:11] scale_offset
	s_wait_xcnt 0x0
	s_or_b32 exec_lo, exec_lo, s16
                                        ; implicit-def: $vgpr4_vgpr5
	s_and_saveexec_b32 s0, s1
	s_cbranch_execz .LBB1311_31
.LBB1311_63:
	flat_load_b64 v[4:5], v0, s[10:11] offset:1024 scale_offset
	s_wait_xcnt 0x0
	s_or_b32 exec_lo, exec_lo, s0
                                        ; implicit-def: $vgpr6_vgpr7
	s_and_saveexec_b32 s0, s2
	s_cbranch_execz .LBB1311_32
.LBB1311_64:
	flat_load_b64 v[6:7], v0, s[10:11] offset:2048 scale_offset
	s_wait_xcnt 0x0
	s_or_b32 exec_lo, exec_lo, s0
                                        ; implicit-def: $vgpr10_vgpr11
	s_and_saveexec_b32 s0, s3
	s_cbranch_execz .LBB1311_33
.LBB1311_65:
	flat_load_b64 v[10:11], v0, s[10:11] offset:3072 scale_offset
	s_wait_xcnt 0x0
	s_or_b32 exec_lo, exec_lo, s0
                                        ; implicit-def: $vgpr12_vgpr13
	s_and_saveexec_b32 s0, s4
	s_cbranch_execz .LBB1311_34
.LBB1311_66:
	flat_load_b64 v[12:13], v0, s[10:11] offset:4096 scale_offset
	s_wait_xcnt 0x0
	s_or_b32 exec_lo, exec_lo, s0
                                        ; implicit-def: $vgpr14_vgpr15
	s_and_saveexec_b32 s0, s5
	s_cbranch_execz .LBB1311_35
.LBB1311_67:
	flat_load_b64 v[14:15], v0, s[10:11] offset:5120 scale_offset
	s_wait_xcnt 0x0
	s_or_b32 exec_lo, exec_lo, s0
                                        ; implicit-def: $vgpr18_vgpr19
	s_and_saveexec_b32 s0, s6
	s_cbranch_execz .LBB1311_36
.LBB1311_68:
	flat_load_b64 v[18:19], v0, s[10:11] offset:6144 scale_offset
	s_wait_xcnt 0x0
	s_or_b32 exec_lo, exec_lo, s0
                                        ; implicit-def: $vgpr20_vgpr21
	s_and_saveexec_b32 s0, s7
	s_cbranch_execz .LBB1311_37
.LBB1311_69:
	flat_load_b64 v[20:21], v0, s[10:11] offset:7168 scale_offset
	s_wait_xcnt 0x0
	s_or_b32 exec_lo, exec_lo, s0
                                        ; implicit-def: $vgpr22_vgpr23
	s_and_saveexec_b32 s0, s8
	s_cbranch_execz .LBB1311_38
.LBB1311_70:
	flat_load_b64 v[22:23], v0, s[10:11] offset:8192 scale_offset
	s_wait_xcnt 0x0
	s_or_b32 exec_lo, exec_lo, s0
                                        ; implicit-def: $vgpr24_vgpr25
	s_and_saveexec_b32 s0, s9
	s_cbranch_execnz .LBB1311_39
	s_branch .LBB1311_40
.LBB1311_71:
	s_add_nc_u64 s[12:13], s[12:13], -4
	s_mov_b32 s0, -1
.LBB1311_72:
	s_delay_alu instid0(SALU_CYCLE_1)
	s_and_not1_b32 vcc_lo, exec_lo, s0
.LBB1311_73:
	flat_load_b32 v1, v1, s[12:13]
	v_mad_i32_i24 v15, 0xffffffdc, v0, v15
	s_mov_b32 s0, exec_lo
	s_wait_dscnt 0x2
	ds_store_b32 v15, v14 offset:5120
	s_wait_loadcnt_dscnt 0x0
	s_barrier_signal -1
	s_barrier_wait -1
	v_cmpx_ne_u32_e32 0, v0
; %bb.74:
	ds_load_b32 v1, v15 offset:5116
; %bb.75:
	s_or_b32 exec_lo, exec_lo, s0
	s_wait_dscnt 0x0
	s_barrier_signal -1
	s_barrier_wait -1
	s_clause 0x9
	flat_load_b64 v[16:17], v0, s[10:11] scale_offset
	flat_load_b64 v[18:19], v0, s[10:11] offset:1024 scale_offset
	flat_load_b64 v[20:21], v0, s[10:11] offset:2048 scale_offset
	;; [unrolled: 1-line block ×9, first 2 shown]
	v_cmp_ne_u32_e32 vcc_lo, v12, v13
	v_cmp_ne_u32_e64 s5, v11, v14
	s_mov_b32 s3, -1
	v_cndmask_b32_e64 v14, 0, 1, vcc_lo
	v_cmp_ne_u32_e32 vcc_lo, v3, v12
	v_cndmask_b32_e64 v12, 0, 1, vcc_lo
	v_cmp_ne_u32_e32 vcc_lo, v10, v11
	;; [unrolled: 2-line block ×4, first 2 shown]
	v_lshl_add_u32 v7, v0, 2, v15
	s_wait_loadcnt_dscnt 0x808
	ds_store_2addr_stride64_b64 v7, v[16:17], v[18:19] offset1:2
	s_wait_loadcnt_dscnt 0x607
	ds_store_2addr_stride64_b64 v7, v[20:21], v[22:23] offset0:4 offset1:6
	s_wait_loadcnt_dscnt 0x406
	ds_store_2addr_stride64_b64 v7, v[24:25], v[26:27] offset0:8 offset1:10
	;; [unrolled: 2-line block ×4, first 2 shown]
	v_cndmask_b32_e64 v5, 0, 1, vcc_lo
	v_cmp_ne_u32_e32 vcc_lo, v6, v4
	s_wait_dscnt 0x0
	s_barrier_signal -1
	s_barrier_wait -1
	v_lshlrev_b16 v5, 8, v5
	v_cndmask_b32_e64 v4, 0, 1, vcc_lo
	v_cmp_ne_u32_e32 vcc_lo, v9, v3
	v_lshlrev_b16 v9, 8, v14
	v_cndmask_b32_e64 v3, 0, 1, vcc_lo
	v_cmp_ne_u32_e32 vcc_lo, v8, v2
	v_lshlrev_b16 v8, 8, v11
	v_mad_u32_u24 v11, 0x48, v0, v7
	ds_load_b128 v[28:31], v11 offset:32
	ds_load_b128 v[24:27], v11 offset:48
	v_cndmask_b32_e64 v2, 0, 1, vcc_lo
	v_lshlrev_b16 v3, 8, v3
	v_and_b32_e32 v7, 0xffff, v5
	v_cmp_ne_u32_e32 vcc_lo, v1, v6
	s_delay_alu instid0(VALU_DEP_3) | instskip(SKIP_3) | instid1(VALU_DEP_4)
	v_or_b32_e32 v49, v2, v3
	v_or_b32_e32 v54, v10, v8
	v_and_b32_e32 v8, 0xffff, v9
	v_cndmask_b32_e64 v58, 0, 1, vcc_lo
	v_lshlrev_b32_e32 v10, 16, v49
	s_delay_alu instid0(VALU_DEP_4)
	v_dual_lshlrev_b32 v13, 16, v54 :: v_dual_bitop2_b32 v51, v4, v5 bitop3:0x54
	ds_load_b128 v[2:5], v11
	ds_load_b128 v[32:35], v11 offset:16
	ds_load_b128 v[14:17], v11 offset:64
	v_dual_lshrrev_b32 v50, 24, v10 :: v_dual_bitop2_b32 v59, v12, v9 bitop3:0x54
	v_mov_b32_e32 v47, v51
	v_dual_mov_b32 v57, v49 :: v_dual_bitop2_b32 v1, v7, v10 bitop3:0x54
	v_dual_lshrrev_b32 v55, 24, v13 :: v_dual_bitop2_b32 v6, v8, v13 bitop3:0x54
	s_wait_dscnt 0x3
	v_mov_b64_e32 v[22:23], v[26:27]
	s_delay_alu instid0(VALU_DEP_3)
	v_lshrrev_b32_e32 v46, 8, v1
	v_mov_b64_e32 v[44:45], v[24:25]
	v_lshrrev_b32_e32 v63, 8, v6
	v_mov_b64_e32 v[18:19], v[30:31]
	v_mov_b64_e32 v[20:21], v[28:29]
	v_dual_mov_b32 v53, v50 :: v_dual_mov_b32 v56, v46
	v_mov_b32_e32 v1, v58
	s_wait_dscnt 0x2
	v_mov_b64_e32 v[6:7], v[4:5]
	s_wait_dscnt 0x1
	v_mov_b64_e32 v[10:11], v[34:35]
	v_mov_b64_e32 v[12:13], v[32:33]
.LBB1311_76:
	v_mov_b64_e32 v[8:9], 0
	v_mov_b32_e32 v48, 0
	s_and_saveexec_b32 s0, s3
	s_cbranch_execz .LBB1311_78
; %bb.77:
	v_mov_b64_e32 v[6:7], v[4:5]
	v_mov_b64_e32 v[12:13], v[32:33]
	;; [unrolled: 1-line block ×7, first 2 shown]
	s_wait_dscnt 0x0
	v_mov_b64_e32 v[8:9], v[16:17]
	v_cndmask_b32_e64 v48, 0, 1, s5
	v_dual_mov_b32 v1, v58 :: v_dual_mov_b32 v47, v51
	v_dual_mov_b32 v56, v46 :: v_dual_mov_b32 v57, v49
	v_mov_b32_e32 v53, v50
.LBB1311_78:
	s_or_b32 exec_lo, exec_lo, s0
	v_and_b32_e32 v51, 1, v59
	v_and_b32_e32 v50, 1, v55
	;; [unrolled: 1-line block ×8, first 2 shown]
	v_bitop3_b16 v53, v53, 0xff, v57 bitop3:0xc8
	v_and_b32_e32 v55, 0xff, v55
	v_and_b32_e32 v56, 0xff, v54
	;; [unrolled: 1-line block ×4, first 2 shown]
	v_cmp_eq_u32_e64 s10, 1, v51
	v_bitop3_b16 v54, v54, 0xff, v63 bitop3:0xc8
	v_cmp_eq_u32_e64 s11, 1, v50
	v_cmp_eq_u16_e64 s0, 0, v48
	v_cmp_eq_u32_e64 s9, 1, v49
	v_mbcnt_lo_u32_b32 v46, -1, 0
	s_cmp_lg_u32 s40, 0
	s_wait_dscnt 0x0
	v_cmp_eq_u32_e32 vcc_lo, 1, v52
	s_barrier_signal -1
	s_barrier_wait -1
	s_cbranch_scc0 .LBB1311_134
; %bb.79:
	v_cmp_eq_u16_e64 s1, 0, v62
	v_cmp_eq_u16_e64 s2, 0, v61
	;; [unrolled: 1-line block ×5, first 2 shown]
	v_dual_cndmask_b32 v5, 0, v3, s1 :: v_dual_cndmask_b32 v4, 0, v2, s1
	v_cmp_eq_u16_e64 s6, 0, v57
	v_cmp_eq_u16_e64 s7, 0, v56
	;; [unrolled: 1-line block ×3, first 2 shown]
	v_bitop3_b16 v16, v47, 0xff, v1 bitop3:0xc8
	v_add_nc_u64_e32 v[4:5], v[4:5], v[6:7]
	v_cmp_ne_u16_e64 s13, 0, v54
	v_cmp_ne_u16_e64 s12, 0, v53
	s_delay_alu instid0(VALU_DEP_4) | instskip(SKIP_4) | instid1(SALU_CYCLE_1)
	v_cmp_ne_u16_e64 s14, 0, v16
	s_or_b32 s11, s13, s11
	v_dual_cndmask_b32 v5, 0, v5, s2 :: v_dual_cndmask_b32 v4, 0, v4, s2
	s_or_b32 s10, s12, s10
	s_or_b32 s9, s9, s11
	;; [unrolled: 1-line block ×3, first 2 shown]
	s_delay_alu instid0(VALU_DEP_1) | instskip(SKIP_1) | instid1(SALU_CYCLE_1)
	v_add_nc_u64_e32 v[4:5], v[4:5], v[12:13]
	s_or_b32 s10, s14, vcc_lo
	s_or_b32 s9, s9, s10
	s_mov_b32 s10, exec_lo
	s_delay_alu instid0(VALU_DEP_1) | instskip(NEXT) | instid1(VALU_DEP_1)
	v_dual_cndmask_b32 v5, 0, v5, s3 :: v_dual_cndmask_b32 v4, 0, v4, s3
	v_add_nc_u64_e32 v[4:5], v[4:5], v[10:11]
	s_delay_alu instid0(VALU_DEP_1) | instskip(NEXT) | instid1(VALU_DEP_1)
	v_dual_cndmask_b32 v5, 0, v5, s4 :: v_dual_cndmask_b32 v4, 0, v4, s4
	v_add_nc_u64_e32 v[4:5], v[4:5], v[20:21]
	;; [unrolled: 3-line block ×7, first 2 shown]
	v_cndmask_b32_e64 v4, 0, 1, s9
	v_and_b32_e32 v5, 15, v46
	s_delay_alu instid0(VALU_DEP_2) | instskip(NEXT) | instid1(VALU_DEP_4)
	v_mov_b32_dpp v24, v4 row_shr:1 row_mask:0xf bank_mask:0xf
	v_mov_b32_dpp v25, v16 row_shr:1 row_mask:0xf bank_mask:0xf
	;; [unrolled: 1-line block ×3, first 2 shown]
	s_delay_alu instid0(VALU_DEP_4)
	v_cmpx_ne_u32_e32 0, v5
; %bb.80:
	s_delay_alu instid0(VALU_DEP_2) | instskip(NEXT) | instid1(VALU_DEP_4)
	v_cndmask_b32_e64 v27, v26, 0, s9
	v_cndmask_b32_e64 v26, v25, 0, s9
	v_and_or_b32 v4, v24, 1, v4
	s_delay_alu instid0(VALU_DEP_2)
	v_add_nc_u64_e32 v[16:17], v[26:27], v[16:17]
; %bb.81:
	s_or_b32 exec_lo, exec_lo, s10
	s_delay_alu instid0(VALU_DEP_1) | instskip(NEXT) | instid1(VALU_DEP_2)
	v_mov_b32_dpp v25, v16 row_shr:2 row_mask:0xf bank_mask:0xf
	v_mov_b32_dpp v26, v17 row_shr:2 row_mask:0xf bank_mask:0xf
	v_mov_b32_dpp v24, v4 row_shr:2 row_mask:0xf bank_mask:0xf
	s_mov_b32 s9, exec_lo
	v_cmpx_lt_u32_e32 1, v5
; %bb.82:
	v_cmp_eq_u16_e32 vcc_lo, 0, v4
	s_delay_alu instid0(VALU_DEP_3) | instskip(SKIP_1) | instid1(VALU_DEP_1)
	v_bitop3_b32 v4, v24, 1, v4 bitop3:0xc8
	v_dual_cndmask_b32 v27, 0, v26 :: v_dual_cndmask_b32 v26, 0, v25
	v_add_nc_u64_e32 v[16:17], v[26:27], v[16:17]
; %bb.83:
	s_or_b32 exec_lo, exec_lo, s9
	s_delay_alu instid0(VALU_DEP_1) | instskip(NEXT) | instid1(VALU_DEP_2)
	v_mov_b32_dpp v25, v16 row_shr:4 row_mask:0xf bank_mask:0xf
	v_mov_b32_dpp v26, v17 row_shr:4 row_mask:0xf bank_mask:0xf
	v_mov_b32_dpp v24, v4 row_shr:4 row_mask:0xf bank_mask:0xf
	s_mov_b32 s9, exec_lo
	v_cmpx_lt_u32_e32 3, v5
; %bb.84:
	v_cmp_eq_u16_e32 vcc_lo, 0, v4
	s_delay_alu instid0(VALU_DEP_3) | instskip(SKIP_1) | instid1(VALU_DEP_1)
	v_bitop3_b32 v4, v24, 1, v4 bitop3:0xc8
	v_dual_cndmask_b32 v27, 0, v26 :: v_dual_cndmask_b32 v26, 0, v25
	;; [unrolled: 14-line block ×3, first 2 shown]
	v_add_nc_u64_e32 v[16:17], v[26:27], v[16:17]
; %bb.87:
	s_or_b32 exec_lo, exec_lo, s9
	ds_swizzle_b32 v5, v16 offset:swizzle(BROADCAST,32,15)
	ds_swizzle_b32 v25, v17 offset:swizzle(BROADCAST,32,15)
	;; [unrolled: 1-line block ×3, first 2 shown]
	v_and_b32_e32 v24, 16, v46
	s_delay_alu instid0(VALU_DEP_1)
	v_cmp_ne_u32_e32 vcc_lo, 0, v24
	v_mov_b32_e32 v24, v4
	s_and_saveexec_b32 s10, vcc_lo
	s_cbranch_execz .LBB1311_89
; %bb.88:
	v_cmp_eq_u16_e32 vcc_lo, 0, v4
	v_and_b32_e32 v4, 1, v4
	s_wait_dscnt 0x0
	v_dual_cndmask_b32 v24, 0, v5, vcc_lo :: v_dual_bitop2_b32 v26, 1, v26 bitop3:0x40
	v_cndmask_b32_e32 v25, 0, v25, vcc_lo
	s_delay_alu instid0(VALU_DEP_3) | instskip(NEXT) | instid1(VALU_DEP_3)
	v_cmp_eq_u32_e32 vcc_lo, 1, v4
	v_cmp_eq_u32_e64 s9, 1, v26
	s_delay_alu instid0(VALU_DEP_3) | instskip(SKIP_1) | instid1(SALU_CYCLE_1)
	v_add_nc_u64_e32 v[16:17], v[24:25], v[16:17]
	s_or_b32 s9, vcc_lo, s9
	v_cndmask_b32_e64 v4, 0, 1, s9
	v_cndmask_b32_e64 v24, 0, 1, s9
.LBB1311_89:
	s_or_b32 exec_lo, exec_lo, s10
	s_wait_dscnt 0x1
	v_dual_lshrrev_b32 v25, 5, v0 :: v_dual_bitop2_b32 v5, 31, v0 bitop3:0x54
	s_mov_b32 s9, exec_lo
	s_delay_alu instid0(VALU_DEP_1) | instskip(NEXT) | instid1(VALU_DEP_2)
	v_lshlrev_b32_e32 v25, 4, v25
	v_cmpx_eq_u32_e64 v0, v5
	s_cbranch_execz .LBB1311_91
; %bb.90:
	ds_store_b64 v25, v[16:17]
	ds_store_b8 v25, v4 offset:8
.LBB1311_91:
	s_or_b32 exec_lo, exec_lo, s9
	s_delay_alu instid0(SALU_CYCLE_1)
	s_mov_b32 s10, exec_lo
	s_wait_dscnt 0x0
	s_barrier_signal -1
	s_barrier_wait -1
	v_cmpx_gt_u32_e32 4, v0
	s_cbranch_execz .LBB1311_97
; %bb.92:
	v_dual_lshlrev_b32 v26, 4, v0 :: v_dual_bitop2_b32 v28, 3, v46 bitop3:0x40
	s_mov_b32 s9, exec_lo
	ds_load_b64 v[4:5], v26
	ds_load_b32 v27, v26 offset:8
	s_wait_dscnt 0x1
	v_mov_b32_dpp v32, v4 row_shr:1 row_mask:0xf bank_mask:0xf
	v_mov_b32_dpp v33, v5 row_shr:1 row_mask:0xf bank_mask:0xf
	s_wait_dscnt 0x0
	v_mov_b32_dpp v31, v27 row_shr:1 row_mask:0xf bank_mask:0xf
	v_dual_mov_b32 v30, v27 :: v_dual_mov_b32 v29, v27
	v_cmpx_ne_u32_e32 0, v28
	s_cbranch_execz .LBB1311_94
; %bb.93:
	v_and_b32_e32 v29, 0xff, v27
	v_or_b32_e32 v30, v31, v27
	s_delay_alu instid0(VALU_DEP_2) | instskip(SKIP_1) | instid1(VALU_DEP_3)
	v_cmp_eq_u16_e32 vcc_lo, 0, v29
	v_bitop3_b32 v29, v31, 1, v27 bitop3:0xc8
	v_dual_cndmask_b32 v33, 0, v33, vcc_lo :: v_dual_bitop2_b32 v30, 1, v30 bitop3:0x40
	v_cndmask_b32_e32 v32, 0, v32, vcc_lo
	s_delay_alu instid0(VALU_DEP_3) | instskip(NEXT) | instid1(VALU_DEP_2)
	v_and_or_b32 v27, 0xffffff00, v27, v29
	v_add_nc_u64_e32 v[4:5], v[32:33], v[4:5]
.LBB1311_94:
	s_or_b32 exec_lo, exec_lo, s9
	s_delay_alu instid0(VALU_DEP_1) | instskip(NEXT) | instid1(VALU_DEP_2)
	v_mov_b32_dpp v31, v4 row_shr:2 row_mask:0xf bank_mask:0xf
	v_mov_b32_dpp v32, v5 row_shr:2 row_mask:0xf bank_mask:0xf
	;; [unrolled: 1-line block ×3, first 2 shown]
	s_mov_b32 s11, exec_lo
	v_cmpx_lt_u32_e32 1, v28
	s_cbranch_execz .LBB1311_96
; %bb.95:
	v_and_b32_e32 v28, 0xff, v29
	v_and_b32_e32 v27, 1, v27
	s_delay_alu instid0(VALU_DEP_2) | instskip(SKIP_1) | instid1(VALU_DEP_3)
	v_cmp_eq_u16_e32 vcc_lo, 0, v28
	v_and_b32_e32 v30, 1, v29
	v_cmp_eq_u32_e64 s9, 1, v27
	v_dual_cndmask_b32 v29, 0, v32 :: v_dual_cndmask_b32 v28, 0, v31
	s_delay_alu instid0(VALU_DEP_3) | instskip(NEXT) | instid1(VALU_DEP_2)
	v_cmp_eq_u32_e32 vcc_lo, 1, v30
	v_add_nc_u64_e32 v[4:5], v[28:29], v[4:5]
	s_or_b32 s9, vcc_lo, s9
	s_delay_alu instid0(SALU_CYCLE_1)
	v_cndmask_b32_e64 v30, 0, 1, s9
.LBB1311_96:
	s_or_b32 exec_lo, exec_lo, s11
	ds_store_b64 v26, v[4:5]
	ds_store_b8 v26, v30 offset:8
.LBB1311_97:
	s_or_b32 exec_lo, exec_lo, s10
	v_mov_b64_e32 v[4:5], 0
	v_mov_b32_e32 v31, 0
	s_mov_b32 s10, exec_lo
	v_cmp_gt_u32_e32 vcc_lo, 32, v0
	s_wait_dscnt 0x0
	s_barrier_signal -1
	s_barrier_wait -1
	v_cmpx_lt_u32_e32 31, v0
	s_cbranch_execz .LBB1311_99
; %bb.98:
	v_dual_add_nc_u32 v4, -16, v25 :: v_dual_add_nc_u32 v25, -8, v25
	v_cmp_eq_u32_e64 s9, 0, v24
	ds_load_b64 v[4:5], v4
	ds_load_u8 v25, v25
	s_wait_dscnt 0x1
	v_dual_cndmask_b32 v27, 0, v5, s9 :: v_dual_cndmask_b32 v26, 0, v4, s9
	s_wait_dscnt 0x0
	v_or_b32_e32 v24, v25, v24
	v_and_b32_e32 v31, 1, v25
	s_delay_alu instid0(VALU_DEP_3) | instskip(NEXT) | instid1(VALU_DEP_3)
	v_add_nc_u64_e32 v[16:17], v[26:27], v[16:17]
	v_and_b32_e32 v24, 1, v24
.LBB1311_99:
	s_or_b32 exec_lo, exec_lo, s10
	v_sub_co_u32 v25, s9, v46, 1
	s_delay_alu instid0(VALU_DEP_1) | instskip(NEXT) | instid1(VALU_DEP_1)
	v_cmp_gt_i32_e64 s10, 0, v25
	v_cndmask_b32_e64 v25, v25, v46, s10
	s_delay_alu instid0(VALU_DEP_1)
	v_lshlrev_b32_e32 v25, 2, v25
	ds_bpermute_b32 v30, v25, v16
	ds_bpermute_b32 v32, v25, v17
	;; [unrolled: 1-line block ×3, first 2 shown]
	s_and_saveexec_b32 s12, vcc_lo
	s_cbranch_execz .LBB1311_171
; %bb.100:
	v_mov_b32_e32 v27, 0
	ds_load_b64 v[16:17], v27 offset:48
	ds_load_u8 v34, v27 offset:56
	s_and_saveexec_b32 s10, s9
	s_cbranch_execz .LBB1311_102
; %bb.101:
	s_add_co_i32 s14, s40, 32
	s_mov_b32 s15, 0
	v_dual_mov_b32 v24, 1 :: v_dual_mov_b32 v25, s14
	s_lshl_b64 s[16:17], s[14:15], 4
	s_delay_alu instid0(SALU_CYCLE_1)
	s_add_nc_u64 s[14:15], s[20:21], s[16:17]
	s_wait_dscnt 0x1
	global_store_b64 v27, v[16:17], s[14:15]
	s_wait_dscnt 0x0
	global_store_b8 v27, v34, s[14:15] offset:8
	global_wb scope:SCOPE_DEV
	s_wait_storecnt 0x0
	global_inv scope:SCOPE_DEV
	s_wait_xcnt 0x0
	global_store_b8 v25, v24, s[24:25] scope:SCOPE_DEV
.LBB1311_102:
	s_wait_xcnt 0x0
	s_or_b32 exec_lo, exec_lo, s10
	v_xad_u32 v24, v46, -1, s40
	s_mov_b32 s11, 0
	s_mov_b32 s10, exec_lo
	s_delay_alu instid0(VALU_DEP_1)
	v_add_nc_u32_e32 v26, 32, v24
	global_load_u8 v35, v26, s[24:25] scope:SCOPE_DEV
	s_wait_loadcnt 0x0
	v_cmpx_eq_u16_e32 0, v35
	s_cbranch_execz .LBB1311_106
; %bb.103:
	v_add_nc_u64_e32 v[28:29], s[24:25], v[26:27]
.LBB1311_104:                           ; =>This Inner Loop Header: Depth=1
	global_load_u8 v35, v[28:29], off scope:SCOPE_DEV
	s_wait_loadcnt 0x0
	v_cmp_ne_u16_e32 vcc_lo, 0, v35
	s_or_b32 s11, vcc_lo, s11
	s_wait_xcnt 0x0
	s_and_not1_b32 exec_lo, exec_lo, s11
	s_cbranch_execnz .LBB1311_104
; %bb.105:
	s_or_b32 exec_lo, exec_lo, s11
.LBB1311_106:
	s_delay_alu instid0(SALU_CYCLE_1)
	s_or_b32 exec_lo, exec_lo, s10
	v_dual_mov_b32 v25, s21 :: v_dual_mov_b32 v28, s20
	v_cmp_eq_u16_e32 vcc_lo, 1, v35
	global_wb scope:SCOPE_DEV
	s_wait_storecnt_dscnt 0x0
	global_inv scope:SCOPE_DEV
	v_lshlrev_b32_e64 v37, v46, -1
	s_mov_b32 s10, exec_lo
	v_cndmask_b32_e32 v29, s23, v25, vcc_lo
	v_cndmask_b32_e32 v28, s22, v28, vcc_lo
	v_cmp_ne_u32_e32 vcc_lo, 31, v46
	v_add_co_ci_u32_e64 v25, null, 0, v46, vcc_lo
	v_cmp_eq_u16_e32 vcc_lo, 2, v35
	s_delay_alu instid0(VALU_DEP_2)
	v_lshlrev_b32_e32 v36, 2, v25
	v_lshl_add_u64 v[26:27], v[26:27], 4, v[28:29]
	s_clause 0x1
	global_load_u8 v66, v[26:27], off offset:8
	global_load_b64 v[28:29], v[26:27], off
	v_and_or_b32 v25, vcc_lo, v37, 0x80000000
	s_delay_alu instid0(VALU_DEP_1)
	v_ctz_i32_b32_e32 v25, v25
	s_wait_loadcnt 0x1
	s_wait_xcnt 0x0
	v_and_b32_e32 v26, 1, v66
	s_wait_loadcnt 0x0
	ds_bpermute_b32 v38, v36, v28
	ds_bpermute_b32 v39, v36, v29
	ds_bpermute_b32 v27, v36, v26
	v_cmpx_lt_u32_e64 v46, v25
	s_cbranch_execz .LBB1311_108
; %bb.107:
	v_and_b32_e32 v26, 0xff, v66
	s_wait_dscnt 0x0
	v_bitop3_b16 v66, v27, v66, 1 bitop3:0xec
	s_delay_alu instid0(VALU_DEP_2) | instskip(NEXT) | instid1(VALU_DEP_2)
	v_cmp_eq_u16_e32 vcc_lo, 0, v26
	v_and_b32_e32 v26, 0xff, v66
	v_dual_cndmask_b32 v39, 0, v39 :: v_dual_cndmask_b32 v38, 0, v38
	s_delay_alu instid0(VALU_DEP_1)
	v_add_nc_u64_e32 v[28:29], v[38:39], v[28:29]
.LBB1311_108:
	s_or_b32 exec_lo, exec_lo, s10
	v_cmp_gt_u32_e32 vcc_lo, 30, v46
	s_wait_dscnt 0x1
	v_add_nc_u32_e32 v39, 2, v46
	s_mov_b32 s11, exec_lo
	s_wait_dscnt 0x0
	v_cndmask_b32_e64 v27, 0, 2, vcc_lo
	s_delay_alu instid0(VALU_DEP_1)
	v_add_lshl_u32 v38, v27, v46, 2
	ds_bpermute_b32 v27, v38, v28
	ds_bpermute_b32 v40, v38, v29
	;; [unrolled: 1-line block ×3, first 2 shown]
	v_cmpx_le_u32_e64 v39, v25
	s_cbranch_execz .LBB1311_110
; %bb.109:
	v_and_b32_e32 v26, 0xff, v66
	s_delay_alu instid0(VALU_DEP_1) | instskip(SKIP_3) | instid1(VALU_DEP_2)
	v_cmp_eq_u16_e32 vcc_lo, 0, v26
	v_and_b32_e32 v42, 1, v66
	s_wait_dscnt 0x0
	v_dual_cndmask_b32 v41, 0, v40, vcc_lo :: v_dual_bitop2_b32 v26, 1, v41 bitop3:0x40
	v_cmp_eq_u32_e64 s10, 1, v42
	v_cndmask_b32_e32 v40, 0, v27, vcc_lo
	s_delay_alu instid0(VALU_DEP_3) | instskip(NEXT) | instid1(VALU_DEP_2)
	v_cmp_eq_u32_e32 vcc_lo, 1, v26
	v_add_nc_u64_e32 v[28:29], v[40:41], v[28:29]
	s_or_b32 s10, s10, vcc_lo
	s_delay_alu instid0(SALU_CYCLE_1)
	v_cndmask_b32_e64 v66, 0, 1, s10
	v_cndmask_b32_e64 v26, 0, 1, s10
.LBB1311_110:
	s_or_b32 exec_lo, exec_lo, s11
	v_cmp_gt_u32_e32 vcc_lo, 28, v46
	s_wait_dscnt 0x0
	v_add_nc_u32_e32 v41, 4, v46
	s_mov_b32 s13, exec_lo
	v_cndmask_b32_e64 v27, 0, 4, vcc_lo
	s_delay_alu instid0(VALU_DEP_1)
	v_add_lshl_u32 v40, v27, v46, 2
	ds_bpermute_b32 v27, v40, v28
	ds_bpermute_b32 v42, v40, v29
	;; [unrolled: 1-line block ×3, first 2 shown]
	v_cmpx_le_u32_e64 v41, v25
	s_cbranch_execz .LBB1311_112
; %bb.111:
	v_and_b32_e32 v26, 0xff, v66
	s_wait_dscnt 0x0
	v_and_b32_e32 v43, 1, v43
	s_delay_alu instid0(VALU_DEP_2) | instskip(SKIP_1) | instid1(VALU_DEP_3)
	v_cmp_eq_u16_e32 vcc_lo, 0, v26
	v_and_b32_e32 v63, 1, v66
	v_cmp_eq_u32_e64 s11, 1, v43
	v_dual_cndmask_b32 v43, 0, v42 :: v_dual_cndmask_b32 v42, 0, v27
	s_delay_alu instid0(VALU_DEP_3) | instskip(NEXT) | instid1(VALU_DEP_2)
	v_cmp_eq_u32_e64 s10, 1, v63
	v_add_nc_u64_e32 v[28:29], v[42:43], v[28:29]
	s_or_b32 s10, s10, s11
	s_delay_alu instid0(SALU_CYCLE_1)
	v_cndmask_b32_e64 v66, 0, 1, s10
	v_cndmask_b32_e64 v26, 0, 1, s10
.LBB1311_112:
	s_or_b32 exec_lo, exec_lo, s13
	v_cmp_gt_u32_e32 vcc_lo, 24, v46
	s_wait_dscnt 0x0
	v_add_nc_u32_e32 v43, 8, v46
	s_mov_b32 s11, exec_lo
	v_cndmask_b32_e64 v27, 0, 8, vcc_lo
	s_delay_alu instid0(VALU_DEP_1)
	v_add_lshl_u32 v42, v27, v46, 2
	ds_bpermute_b32 v27, v42, v28
	ds_bpermute_b32 v63, v42, v29
	;; [unrolled: 1-line block ×3, first 2 shown]
	v_cmpx_le_u32_e64 v43, v25
	s_cbranch_execz .LBB1311_114
; %bb.113:
	v_and_b32_e32 v26, 0xff, v66
	s_delay_alu instid0(VALU_DEP_1) | instskip(SKIP_4) | instid1(VALU_DEP_3)
	v_cmp_eq_u16_e32 vcc_lo, 0, v26
	v_and_b32_e32 v66, 1, v66
	s_wait_dscnt 0x0
	v_dual_cndmask_b32 v64, 0, v27, vcc_lo :: v_dual_bitop2_b32 v26, 1, v64 bitop3:0x40
	v_cndmask_b32_e32 v65, 0, v63, vcc_lo
	v_cmp_eq_u32_e64 s10, 1, v66
	s_delay_alu instid0(VALU_DEP_3) | instskip(NEXT) | instid1(VALU_DEP_3)
	v_cmp_eq_u32_e32 vcc_lo, 1, v26
	v_add_nc_u64_e32 v[28:29], v[64:65], v[28:29]
	s_or_b32 s10, s10, vcc_lo
	s_delay_alu instid0(SALU_CYCLE_1)
	v_cndmask_b32_e64 v66, 0, 1, s10
	v_cndmask_b32_e64 v26, 0, 1, s10
.LBB1311_114:
	s_or_b32 exec_lo, exec_lo, s11
	s_wait_dscnt 0x1
	v_lshl_or_b32 v63, v46, 2, 64
	v_add_nc_u32_e32 v65, 16, v46
	s_mov_b32 s11, exec_lo
	ds_bpermute_b32 v27, v63, v28
	s_wait_dscnt 0x1
	ds_bpermute_b32 v64, v63, v29
	ds_bpermute_b32 v26, v63, v26
	v_cmpx_le_u32_e64 v65, v25
	s_cbranch_execz .LBB1311_116
; %bb.115:
	v_and_b32_e32 v25, 0xff, v66
	s_delay_alu instid0(VALU_DEP_1) | instskip(SKIP_4) | instid1(VALU_DEP_3)
	v_cmp_eq_u16_e32 vcc_lo, 0, v25
	v_and_b32_e32 v25, 1, v66
	s_wait_dscnt 0x0
	v_dual_cndmask_b32 v66, 0, v27, vcc_lo :: v_dual_bitop2_b32 v26, 1, v26 bitop3:0x40
	v_cndmask_b32_e32 v67, 0, v64, vcc_lo
	v_cmp_eq_u32_e32 vcc_lo, 1, v25
	s_delay_alu instid0(VALU_DEP_3) | instskip(NEXT) | instid1(VALU_DEP_3)
	v_cmp_eq_u32_e64 s10, 1, v26
	v_add_nc_u64_e32 v[28:29], v[66:67], v[28:29]
	s_or_b32 s10, vcc_lo, s10
	s_delay_alu instid0(SALU_CYCLE_1)
	v_cndmask_b32_e64 v66, 0, 1, s10
.LBB1311_116:
	s_or_b32 exec_lo, exec_lo, s11
	v_mov_b32_e32 v25, 0
	s_branch .LBB1311_119
.LBB1311_117:                           ;   in Loop: Header=BB1311_119 Depth=1
	s_or_b32 exec_lo, exec_lo, s13
	v_and_b32_e32 v66, 0xff, v64
	v_subrev_nc_u32_e32 v24, 32, v24
	s_delay_alu instid0(VALU_DEP_2) | instskip(SKIP_2) | instid1(VALU_DEP_2)
	v_cmp_eq_u16_e32 vcc_lo, 0, v66
	v_dual_cndmask_b32 v29, 0, v29, vcc_lo :: v_dual_bitop2_b32 v66, 1, v64 bitop3:0x40
	v_cndmask_b32_e32 v28, 0, v28, vcc_lo
	v_cmp_eq_u32_e32 vcc_lo, 1, v66
	s_delay_alu instid0(VALU_DEP_2) | instskip(SKIP_1) | instid1(SALU_CYCLE_1)
	v_add_nc_u64_e32 v[28:29], v[28:29], v[26:27]
	s_or_b32 s10, vcc_lo, s11
	v_cndmask_b32_e64 v66, 0, 1, s10
	s_mov_b32 s10, 0
.LBB1311_118:                           ;   in Loop: Header=BB1311_119 Depth=1
	s_delay_alu instid0(SALU_CYCLE_1)
	s_and_b32 vcc_lo, exec_lo, s10
	s_cbranch_vccnz .LBB1311_167
.LBB1311_119:                           ; =>This Loop Header: Depth=1
                                        ;     Child Loop BB1311_122 Depth 2
	s_wait_dscnt 0x0
	v_and_b32_e32 v26, 0xff, v35
	v_mov_b32_e32 v64, v66
	s_mov_b32 s10, -1
                                        ; implicit-def: $vgpr66
                                        ; implicit-def: $vgpr35
	s_delay_alu instid0(VALU_DEP_2)
	v_cmp_ne_u16_e32 vcc_lo, 2, v26
	v_mov_b64_e32 v[26:27], v[28:29]
                                        ; implicit-def: $vgpr28_vgpr29
	s_cmp_lg_u32 vcc_lo, exec_lo
	s_cbranch_scc1 .LBB1311_118
; %bb.120:                              ;   in Loop: Header=BB1311_119 Depth=1
	global_load_u8 v35, v24, s[24:25] scope:SCOPE_DEV
	s_mov_b32 s10, exec_lo
	s_wait_loadcnt 0x0
	v_cmpx_eq_u16_e32 0, v35
	s_cbranch_execz .LBB1311_124
; %bb.121:                              ;   in Loop: Header=BB1311_119 Depth=1
	v_add_nc_u64_e32 v[28:29], s[24:25], v[24:25]
	s_mov_b32 s11, 0
.LBB1311_122:                           ;   Parent Loop BB1311_119 Depth=1
                                        ; =>  This Inner Loop Header: Depth=2
	global_load_u8 v35, v[28:29], off scope:SCOPE_DEV
	s_wait_loadcnt 0x0
	v_cmp_ne_u16_e32 vcc_lo, 0, v35
	s_or_b32 s11, vcc_lo, s11
	s_delay_alu instid0(SALU_CYCLE_1)
	s_and_not1_b32 exec_lo, exec_lo, s11
	s_cbranch_execnz .LBB1311_122
; %bb.123:                              ;   in Loop: Header=BB1311_119 Depth=1
	s_or_b32 exec_lo, exec_lo, s11
.LBB1311_124:                           ;   in Loop: Header=BB1311_119 Depth=1
	s_delay_alu instid0(SALU_CYCLE_1)
	s_or_b32 exec_lo, exec_lo, s10
	v_dual_mov_b32 v28, s21 :: v_dual_mov_b32 v66, s20
	v_cmp_eq_u16_e32 vcc_lo, 1, v35
	global_wb scope:SCOPE_DEV
	s_wait_storecnt 0x0
	global_inv scope:SCOPE_DEV
	s_mov_b32 s10, exec_lo
	v_cndmask_b32_e32 v29, s23, v28, vcc_lo
	v_cndmask_b32_e32 v28, s22, v66, vcc_lo
	v_cmp_eq_u16_e32 vcc_lo, 2, v35
	s_delay_alu instid0(VALU_DEP_2)
	v_lshl_add_u64 v[68:69], v[24:25], 4, v[28:29]
	v_and_or_b32 v66, vcc_lo, v37, 0x80000000
	s_clause 0x1
	global_load_u8 v67, v[68:69], off offset:8
	global_load_b64 v[28:29], v[68:69], off
	v_ctz_i32_b32_e32 v66, v66
	s_wait_loadcnt 0x1
	s_wait_xcnt 0x0
	v_and_b32_e32 v68, 1, v67
	s_wait_loadcnt 0x0
	ds_bpermute_b32 v70, v36, v28
	ds_bpermute_b32 v71, v36, v29
	;; [unrolled: 1-line block ×3, first 2 shown]
	v_cmpx_lt_u32_e64 v46, v66
	s_cbranch_execz .LBB1311_126
; %bb.125:                              ;   in Loop: Header=BB1311_119 Depth=1
	v_and_b32_e32 v68, 0xff, v67
	s_wait_dscnt 0x0
	v_bitop3_b16 v67, v69, v67, 1 bitop3:0xec
	s_delay_alu instid0(VALU_DEP_2) | instskip(NEXT) | instid1(VALU_DEP_2)
	v_cmp_eq_u16_e32 vcc_lo, 0, v68
	v_and_b32_e32 v68, 0xff, v67
	v_dual_cndmask_b32 v71, 0, v71 :: v_dual_cndmask_b32 v70, 0, v70
	s_delay_alu instid0(VALU_DEP_1)
	v_add_nc_u64_e32 v[28:29], v[70:71], v[28:29]
.LBB1311_126:                           ;   in Loop: Header=BB1311_119 Depth=1
	s_or_b32 exec_lo, exec_lo, s10
	s_wait_dscnt 0x0
	ds_bpermute_b32 v69, v38, v28
	ds_bpermute_b32 v70, v38, v29
	ds_bpermute_b32 v71, v38, v68
	v_and_b32_e32 v72, 1, v67
	s_mov_b32 s10, exec_lo
	s_delay_alu instid0(VALU_DEP_1)
	v_cmp_eq_u32_e64 s11, 1, v72
	v_cmpx_le_u32_e64 v39, v66
	s_cbranch_execz .LBB1311_128
; %bb.127:                              ;   in Loop: Header=BB1311_119 Depth=1
	v_and_b32_e32 v67, 0xff, v67
	s_delay_alu instid0(VALU_DEP_1) | instskip(SKIP_3) | instid1(VALU_DEP_2)
	v_cmp_eq_u16_e32 vcc_lo, 0, v67
	s_wait_dscnt 0x0
	v_dual_cndmask_b32 v71, 0, v70, vcc_lo :: v_dual_bitop2_b32 v67, 1, v71 bitop3:0x40
	v_cndmask_b32_e32 v70, 0, v69, vcc_lo
	v_cmp_eq_u32_e32 vcc_lo, 1, v67
	s_delay_alu instid0(VALU_DEP_2)
	v_add_nc_u64_e32 v[28:29], v[70:71], v[28:29]
	s_or_b32 s13, s11, vcc_lo
	s_and_not1_b32 s11, s11, exec_lo
	v_cndmask_b32_e64 v67, 0, 1, s13
	v_cndmask_b32_e64 v68, 0, 1, s13
	s_and_b32 s13, s13, exec_lo
	s_delay_alu instid0(SALU_CYCLE_1)
	s_or_b32 s11, s11, s13
.LBB1311_128:                           ;   in Loop: Header=BB1311_119 Depth=1
	s_or_b32 exec_lo, exec_lo, s10
	s_wait_dscnt 0x2
	ds_bpermute_b32 v69, v40, v28
	s_wait_dscnt 0x2
	ds_bpermute_b32 v70, v40, v29
	;; [unrolled: 2-line block ×3, first 2 shown]
	s_mov_b32 s13, exec_lo
	v_cmpx_le_u32_e64 v41, v66
	s_cbranch_execz .LBB1311_130
; %bb.129:                              ;   in Loop: Header=BB1311_119 Depth=1
	v_and_b32_e32 v68, 0xff, v67
	s_and_not1_b32 s11, s11, exec_lo
	s_delay_alu instid0(VALU_DEP_1) | instskip(SKIP_3) | instid1(VALU_DEP_2)
	v_cmp_eq_u16_e32 vcc_lo, 0, v68
	v_and_b32_e32 v67, 1, v67
	s_wait_dscnt 0x0
	v_dual_cndmask_b32 v71, 0, v70, vcc_lo :: v_dual_bitop2_b32 v68, 1, v71 bitop3:0x40
	v_cmp_eq_u32_e64 s10, 1, v67
	v_cndmask_b32_e32 v70, 0, v69, vcc_lo
	s_delay_alu instid0(VALU_DEP_3) | instskip(NEXT) | instid1(VALU_DEP_2)
	v_cmp_eq_u32_e32 vcc_lo, 1, v68
	v_add_nc_u64_e32 v[28:29], v[70:71], v[28:29]
	s_or_b32 s10, s10, vcc_lo
	s_delay_alu instid0(SALU_CYCLE_1) | instskip(SKIP_2) | instid1(SALU_CYCLE_1)
	v_cndmask_b32_e64 v67, 0, 1, s10
	v_cndmask_b32_e64 v68, 0, 1, s10
	s_and_b32 s10, s10, exec_lo
	s_or_b32 s11, s11, s10
.LBB1311_130:                           ;   in Loop: Header=BB1311_119 Depth=1
	s_or_b32 exec_lo, exec_lo, s13
	s_wait_dscnt 0x2
	ds_bpermute_b32 v69, v42, v28
	s_wait_dscnt 0x2
	ds_bpermute_b32 v70, v42, v29
	;; [unrolled: 2-line block ×3, first 2 shown]
	s_mov_b32 s13, exec_lo
	v_cmpx_le_u32_e64 v43, v66
	s_cbranch_execz .LBB1311_132
; %bb.131:                              ;   in Loop: Header=BB1311_119 Depth=1
	v_and_b32_e32 v68, 0xff, v67
	s_and_not1_b32 s11, s11, exec_lo
	s_delay_alu instid0(VALU_DEP_1) | instskip(SKIP_3) | instid1(VALU_DEP_2)
	v_cmp_eq_u16_e32 vcc_lo, 0, v68
	v_and_b32_e32 v67, 1, v67
	s_wait_dscnt 0x0
	v_dual_cndmask_b32 v71, 0, v70, vcc_lo :: v_dual_bitop2_b32 v68, 1, v71 bitop3:0x40
	v_cmp_eq_u32_e64 s10, 1, v67
	v_cndmask_b32_e32 v70, 0, v69, vcc_lo
	s_delay_alu instid0(VALU_DEP_3) | instskip(NEXT) | instid1(VALU_DEP_2)
	v_cmp_eq_u32_e32 vcc_lo, 1, v68
	v_add_nc_u64_e32 v[28:29], v[70:71], v[28:29]
	s_or_b32 s10, s10, vcc_lo
	s_delay_alu instid0(SALU_CYCLE_1) | instskip(SKIP_2) | instid1(SALU_CYCLE_1)
	v_cndmask_b32_e64 v67, 0, 1, s10
	v_cndmask_b32_e64 v68, 0, 1, s10
	s_and_b32 s10, s10, exec_lo
	s_or_b32 s11, s11, s10
.LBB1311_132:                           ;   in Loop: Header=BB1311_119 Depth=1
	s_or_b32 exec_lo, exec_lo, s13
	s_wait_dscnt 0x2
	ds_bpermute_b32 v69, v63, v28
	s_wait_dscnt 0x2
	ds_bpermute_b32 v70, v63, v29
	ds_bpermute_b32 v68, v63, v68
	s_mov_b32 s13, exec_lo
	v_cmpx_le_u32_e64 v65, v66
	s_cbranch_execz .LBB1311_117
; %bb.133:                              ;   in Loop: Header=BB1311_119 Depth=1
	v_and_b32_e32 v66, 0xff, v67
	s_and_not1_b32 s11, s11, exec_lo
	s_delay_alu instid0(VALU_DEP_1)
	v_cmp_eq_u16_e32 vcc_lo, 0, v66
	s_wait_dscnt 0x3
	v_and_b32_e32 v71, 1, v67
	s_wait_dscnt 0x0
	v_dual_cndmask_b32 v66, 0, v69, vcc_lo :: v_dual_bitop2_b32 v68, 1, v68 bitop3:0x40
	v_cndmask_b32_e32 v67, 0, v70, vcc_lo
	s_delay_alu instid0(VALU_DEP_3) | instskip(NEXT) | instid1(VALU_DEP_3)
	v_cmp_eq_u32_e32 vcc_lo, 1, v71
	v_cmp_eq_u32_e64 s10, 1, v68
	s_delay_alu instid0(VALU_DEP_3) | instskip(SKIP_1) | instid1(SALU_CYCLE_1)
	v_add_nc_u64_e32 v[28:29], v[66:67], v[28:29]
	s_or_b32 s10, vcc_lo, s10
	s_and_b32 s10, s10, exec_lo
	s_delay_alu instid0(SALU_CYCLE_1)
	s_or_b32 s11, s11, s10
	s_branch .LBB1311_117
.LBB1311_134:
                                        ; implicit-def: $vgpr42_vgpr43
                                        ; implicit-def: $vgpr38_vgpr39
                                        ; implicit-def: $vgpr34_vgpr35
                                        ; implicit-def: $vgpr30_vgpr31
                                        ; implicit-def: $vgpr26_vgpr27
	s_cbranch_execnz .LBB1311_172
.LBB1311_135:
	s_add_nc_u64 s[0:1], s[18:19], s[34:35]
	s_and_b32 vcc_lo, exec_lo, s27
	s_add_nc_u64 s[0:1], s[0:1], s[30:31]
	s_cbranch_vccz .LBB1311_199
.LBB1311_136:
	v_mul_u32_u24_e32 v1, 10, v0
	s_add_co_i32 s33, s33, s26
	s_mov_b32 s2, exec_lo
	s_delay_alu instid0(VALU_DEP_1)
	v_cmpx_gt_u32_e64 s33, v1
	s_cbranch_execz .LBB1311_148
; %bb.137:
	v_or_b32_e32 v2, 1, v1
	s_mov_b32 s3, exec_lo
	s_delay_alu instid0(VALU_DEP_1)
	v_cmpx_gt_u32_e64 s33, v2
	s_cbranch_execz .LBB1311_147
; %bb.138:
	v_add_nc_u32_e32 v2, 2, v1
	s_mov_b32 s4, exec_lo
	s_delay_alu instid0(VALU_DEP_1)
	v_cmpx_gt_u32_e64 s33, v2
	s_cbranch_execz .LBB1311_146
; %bb.139:
	v_add_nc_u32_e32 v2, 3, v1
	s_mov_b32 s5, exec_lo
	s_delay_alu instid0(VALU_DEP_1)
	v_cmpx_gt_u32_e64 s33, v2
	s_cbranch_execz .LBB1311_145
; %bb.140:
	v_add_nc_u32_e32 v2, 4, v1
	s_mov_b32 s6, exec_lo
	s_delay_alu instid0(VALU_DEP_1)
	v_cmpx_gt_u32_e64 s33, v2
	s_cbranch_execz .LBB1311_144
; %bb.141:
	v_add_nc_u32_e32 v2, 5, v1
	s_mov_b32 s7, exec_lo
	s_delay_alu instid0(VALU_DEP_1)
	v_cmpx_gt_u32_e64 s33, v2
; %bb.142:
	v_add_nc_u32_e32 v2, 6, v1
	s_mov_b32 s8, exec_lo
	s_delay_alu instid0(VALU_DEP_1)
	v_cmpx_gt_u32_e64 s33, v2
	s_or_b32 exec_lo, exec_lo, s8
; %bb.143:
	s_delay_alu instid0(SALU_CYCLE_1)
	s_or_b32 exec_lo, exec_lo, s7
.LBB1311_144:
	s_delay_alu instid0(SALU_CYCLE_1)
	s_or_b32 exec_lo, exec_lo, s6
.LBB1311_145:
	s_delay_alu instid0(SALU_CYCLE_1)
	s_or_b32 exec_lo, exec_lo, s5
.LBB1311_146:
	s_delay_alu instid0(SALU_CYCLE_1)
	s_or_b32 exec_lo, exec_lo, s4
.LBB1311_147:
	s_delay_alu instid0(SALU_CYCLE_1)
	s_or_b32 exec_lo, exec_lo, s3
.LBB1311_148:
	s_delay_alu instid0(SALU_CYCLE_1)
	s_or_b32 exec_lo, exec_lo, s2
	v_dual_lshlrev_b32 v1, 3, v1 :: v_dual_mov_b32 v3, 0
	s_wait_storecnt 0x0
	s_wait_loadcnt_dscnt 0x0
	s_barrier_signal -1
	s_barrier_wait -1
	v_mad_i32_i24 v2, 0xffffffb8, v0, v1
	ds_store_b128 v1, v[24:27]
	ds_store_b128 v1, v[28:31] offset:16
	ds_store_b128 v1, v[32:35] offset:32
	;; [unrolled: 1-line block ×4, first 2 shown]
	s_wait_dscnt 0x0
	s_barrier_signal -1
	s_barrier_wait -1
	ds_load_2addr_stride64_b64 v[18:21], v2 offset0:2 offset1:4
	ds_load_2addr_stride64_b64 v[14:17], v2 offset0:6 offset1:8
	;; [unrolled: 1-line block ×4, first 2 shown]
	ds_load_b64 v[4:5], v2 offset:9216
	v_lshlrev_b32_e32 v2, 3, v0
	s_mov_b32 s2, exec_lo
	s_delay_alu instid0(VALU_DEP_1)
	v_add_nc_u64_e32 v[2:3], s[0:1], v[2:3]
	v_cmpx_gt_u32_e64 s33, v0
	s_cbranch_execz .LBB1311_150
; %bb.149:
	v_mul_i32_i24_e32 v22, 0xffffffb8, v0
	s_delay_alu instid0(VALU_DEP_1)
	v_add_nc_u32_e32 v1, v1, v22
	ds_load_b64 v[22:23], v1
	s_wait_dscnt 0x0
	flat_store_b64 v[2:3], v[22:23]
.LBB1311_150:
	s_wait_xcnt 0x0
	s_or_b32 exec_lo, exec_lo, s2
	v_or_b32_e32 v1, 0x80, v0
	s_mov_b32 s2, exec_lo
	s_delay_alu instid0(VALU_DEP_1)
	v_cmpx_gt_u32_e64 s33, v1
	s_cbranch_execz .LBB1311_152
; %bb.151:
	s_wait_dscnt 0x4
	flat_store_b64 v[2:3], v[18:19] offset:1024
.LBB1311_152:
	s_wait_xcnt 0x0
	s_or_b32 exec_lo, exec_lo, s2
	v_or_b32_e32 v1, 0x100, v0
	s_mov_b32 s2, exec_lo
	s_delay_alu instid0(VALU_DEP_1)
	v_cmpx_gt_u32_e64 s33, v1
	s_cbranch_execz .LBB1311_154
; %bb.153:
	s_wait_dscnt 0x4
	flat_store_b64 v[2:3], v[20:21] offset:2048
.LBB1311_154:
	s_wait_xcnt 0x0
	s_or_b32 exec_lo, exec_lo, s2
	v_or_b32_e32 v1, 0x180, v0
	s_mov_b32 s2, exec_lo
	s_delay_alu instid0(VALU_DEP_1)
	v_cmpx_gt_u32_e64 s33, v1
	s_cbranch_execz .LBB1311_156
; %bb.155:
	s_wait_dscnt 0x3
	flat_store_b64 v[2:3], v[14:15] offset:3072
.LBB1311_156:
	s_wait_xcnt 0x0
	s_or_b32 exec_lo, exec_lo, s2
	v_or_b32_e32 v1, 0x200, v0
	s_mov_b32 s2, exec_lo
	s_delay_alu instid0(VALU_DEP_1)
	v_cmpx_gt_u32_e64 s33, v1
	s_cbranch_execz .LBB1311_158
; %bb.157:
	s_wait_dscnt 0x3
	flat_store_b64 v[2:3], v[16:17] offset:4096
.LBB1311_158:
	s_wait_xcnt 0x0
	s_or_b32 exec_lo, exec_lo, s2
	v_or_b32_e32 v1, 0x280, v0
	s_mov_b32 s2, exec_lo
	s_delay_alu instid0(VALU_DEP_1)
	v_cmpx_gt_u32_e64 s33, v1
	s_cbranch_execz .LBB1311_160
; %bb.159:
	s_wait_dscnt 0x2
	flat_store_b64 v[2:3], v[10:11] offset:5120
.LBB1311_160:
	s_wait_xcnt 0x0
	s_or_b32 exec_lo, exec_lo, s2
	v_or_b32_e32 v1, 0x300, v0
	s_mov_b32 s2, exec_lo
	s_delay_alu instid0(VALU_DEP_1)
	v_cmpx_gt_u32_e64 s33, v1
	s_cbranch_execz .LBB1311_162
; %bb.161:
	s_wait_dscnt 0x2
	flat_store_b64 v[2:3], v[12:13] offset:6144
.LBB1311_162:
	s_wait_xcnt 0x0
	s_or_b32 exec_lo, exec_lo, s2
	v_or_b32_e32 v1, 0x380, v0
	s_mov_b32 s2, exec_lo
	s_delay_alu instid0(VALU_DEP_1)
	v_cmpx_gt_u32_e64 s33, v1
	s_cbranch_execz .LBB1311_164
; %bb.163:
	s_wait_dscnt 0x1
	flat_store_b64 v[2:3], v[6:7] offset:7168
.LBB1311_164:
	s_wait_xcnt 0x0
	s_or_b32 exec_lo, exec_lo, s2
	v_or_b32_e32 v1, 0x400, v0
	s_mov_b32 s2, exec_lo
	s_delay_alu instid0(VALU_DEP_1)
	v_cmpx_gt_u32_e64 s33, v1
	s_cbranch_execz .LBB1311_166
; %bb.165:
	s_wait_dscnt 0x1
	flat_store_b64 v[2:3], v[8:9] offset:8192
.LBB1311_166:
	s_wait_xcnt 0x0
	s_or_b32 exec_lo, exec_lo, s2
	v_or_b32_e32 v1, 0x480, v0
	s_delay_alu instid0(VALU_DEP_1)
	v_cmp_gt_u32_e64 s2, s33, v1
	s_branch .LBB1311_201
.LBB1311_167:
	s_and_saveexec_b32 s10, s9
	s_cbranch_execz .LBB1311_169
; %bb.168:
	v_and_b32_e32 v24, 0xff, v34
	s_add_co_i32 s14, s40, 32
	s_mov_b32 s15, 0
	v_mov_b32_e32 v29, s14
	v_bitop3_b16 v28, v34, 1, v64 bitop3:0xc8
	v_cmp_eq_u32_e32 vcc_lo, 0, v24
	s_lshl_b64 s[16:17], s[14:15], 4
	s_delay_alu instid0(SALU_CYCLE_1) | instskip(SKIP_1) | instid1(VALU_DEP_1)
	s_add_nc_u64 s[14:15], s[22:23], s[16:17]
	v_dual_cndmask_b32 v25, 0, v27 :: v_dual_cndmask_b32 v24, 0, v26
	v_add_nc_u64_e32 v[16:17], v[24:25], v[16:17]
	v_dual_mov_b32 v24, 0 :: v_dual_mov_b32 v25, 2
	s_clause 0x1
	global_store_b64 v24, v[16:17], s[14:15]
	global_store_b8 v24, v28, s[14:15] offset:8
	global_wb scope:SCOPE_DEV
	s_wait_storecnt_dscnt 0x0
	global_inv scope:SCOPE_DEV
	s_wait_xcnt 0x0
	global_store_b8 v29, v25, s[24:25] scope:SCOPE_DEV
.LBB1311_169:
	s_wait_xcnt 0x0
	s_or_b32 exec_lo, exec_lo, s10
	v_cmp_eq_u32_e32 vcc_lo, 0, v0
	s_and_b32 exec_lo, exec_lo, vcc_lo
	s_cbranch_execz .LBB1311_171
; %bb.170:
	v_mov_b32_e32 v16, 0
	ds_store_b64 v16, v[26:27] offset:48
	ds_store_b8 v16, v64 offset:56
.LBB1311_171:
	s_or_b32 exec_lo, exec_lo, s12
	s_wait_dscnt 0x0
	v_dual_cndmask_b32 v16, v33, v31, s9 :: v_dual_cndmask_b32 v5, v32, v5, s9
	v_dual_mov_b32 v24, 0 :: v_dual_bitop2_b32 v17, 1, v1 bitop3:0x40
	v_cndmask_b32_e64 v4, v30, v4, s9
	v_cmp_eq_u32_e64 s9, 0, v0
	s_delay_alu instid0(VALU_DEP_4) | instskip(NEXT) | instid1(VALU_DEP_4)
	v_and_b32_e32 v16, 1, v16
	v_cmp_eq_u32_e32 vcc_lo, 1, v17
	s_wait_loadcnt 0x0
	s_wait_storecnt 0x0
	s_barrier_signal -1
	s_barrier_wait -1
	v_cmp_eq_u32_e64 s10, 1, v16
	ds_load_b64 v[16:17], v24 offset:48
	v_and_b32_e32 v25, 0xff, v1
	s_or_b32 s10, vcc_lo, s10
	s_delay_alu instid0(SALU_CYCLE_1) | instskip(NEXT) | instid1(VALU_DEP_2)
	v_cndmask_b32_e64 v24, 0, 1, s10
	v_cmp_eq_u16_e32 vcc_lo, 0, v25
	s_delay_alu instid0(VALU_DEP_2) | instskip(SKIP_1) | instid1(VALU_DEP_2)
	v_cndmask_b32_e64 v24, v24, v1, s9
	v_dual_cndmask_b32 v5, 0, v5 :: v_dual_cndmask_b32 v4, 0, v4
	v_and_b32_e32 v24, 0xff, v24
	s_delay_alu instid0(VALU_DEP_2) | instskip(NEXT) | instid1(VALU_DEP_2)
	v_cndmask_b32_e64 v5, v5, 0, s9
	v_cmp_eq_u16_e32 vcc_lo, 0, v24
	s_wait_dscnt 0x0
	v_cndmask_b32_e32 v17, 0, v17, vcc_lo
	v_cndmask_b32_e64 v4, v4, 0, s9
	v_cndmask_b32_e32 v16, 0, v16, vcc_lo
	s_delay_alu instid0(VALU_DEP_2) | instskip(NEXT) | instid1(VALU_DEP_1)
	v_add_nc_u64_e32 v[4:5], v[4:5], v[2:3]
	v_add_nc_u64_e32 v[24:25], v[4:5], v[16:17]
	s_delay_alu instid0(VALU_DEP_1) | instskip(NEXT) | instid1(VALU_DEP_1)
	v_dual_cndmask_b32 v5, 0, v25, s1 :: v_dual_cndmask_b32 v4, 0, v24, s1
	v_add_nc_u64_e32 v[26:27], v[4:5], v[6:7]
	s_delay_alu instid0(VALU_DEP_1) | instskip(NEXT) | instid1(VALU_DEP_1)
	v_dual_cndmask_b32 v5, 0, v27, s2 :: v_dual_cndmask_b32 v4, 0, v26, s2
	;; [unrolled: 3-line block ×9, first 2 shown]
	v_add_nc_u64_e32 v[42:43], v[4:5], v[8:9]
	s_branch .LBB1311_135
.LBB1311_172:
	s_cmp_lg_u64 s[28:29], 0
	v_cmp_eq_u32_e32 vcc_lo, 0, v0
	s_cselect_b32 s1, -1, 0
	s_cmp_lg_u64 s[38:39], 0
	v_cmp_ne_u32_e64 s0, 0, v0
	s_cselect_b32 s2, -1, 0
	s_delay_alu instid0(SALU_CYCLE_1) | instskip(NEXT) | instid1(SALU_CYCLE_1)
	s_and_b32 s1, s1, s2
	s_and_b32 s1, vcc_lo, s1
	s_delay_alu instid0(SALU_CYCLE_1)
	s_and_saveexec_b32 s2, s1
	s_cbranch_execz .LBB1311_174
; %bb.173:
	v_mov_b32_e32 v16, 0
	s_clause 0x1
	global_load_b64 v[4:5], v16, s[38:39]
	global_load_u8 v17, v16, s[38:39] offset:8
	s_wait_xcnt 0x0
	v_and_b32_e32 v16, 0xff, v1
	s_delay_alu instid0(VALU_DEP_1) | instskip(SKIP_1) | instid1(VALU_DEP_1)
	v_cmp_eq_u16_e64 s1, 0, v16
	s_wait_loadcnt 0x1
	v_dual_cndmask_b32 v5, 0, v5, s1 :: v_dual_cndmask_b32 v4, 0, v4, s1
	s_wait_loadcnt 0x0
	v_bitop3_b16 v1, v1, 1, v17 bitop3:0xc8
	s_delay_alu instid0(VALU_DEP_2)
	v_add_nc_u64_e32 v[2:3], v[4:5], v[2:3]
.LBB1311_174:
	s_or_b32 exec_lo, exec_lo, s2
	v_cmp_eq_u16_e64 s1, 0, v62
	v_cmp_eq_u16_e64 s2, 0, v61
	;; [unrolled: 1-line block ×5, first 2 shown]
	v_dual_cndmask_b32 v5, 0, v3, s1 :: v_dual_cndmask_b32 v4, 0, v2, s1
	v_cmp_eq_u16_e64 s6, 0, v57
	v_cmp_eq_u16_e64 s7, 0, v56
	;; [unrolled: 1-line block ×3, first 2 shown]
	v_bitop3_b16 v16, v1, 0xff, v47 bitop3:0xc8
	v_add_nc_u64_e32 v[26:27], v[4:5], v[6:7]
	v_cmp_eq_u16_e64 s9, 0, v48
	v_cmp_ne_u16_e64 s11, 0, v53
	v_cmp_eq_u32_e64 s12, 1, v51
	v_cmp_ne_u16_e64 s13, 0, v54
	v_cmp_eq_u32_e64 s14, 1, v50
	v_cmp_eq_u32_e64 s15, 1, v49
	v_dual_cndmask_b32 v5, 0, v27, s2 :: v_dual_cndmask_b32 v4, 0, v26, s2
	v_cmp_eq_u32_e64 s10, 1, v52
	v_cmp_ne_u16_e64 s16, 0, v16
	s_or_b32 s11, s11, s12
	s_or_b32 s12, s13, s14
	v_add_nc_u64_e32 v[28:29], v[4:5], v[12:13]
	s_or_b32 s12, s15, s12
	s_or_b32 s10, s16, s10
	;; [unrolled: 1-line block ×3, first 2 shown]
	s_mov_b32 s12, exec_lo
	s_or_b32 s11, s11, s10
	s_delay_alu instid0(VALU_DEP_1) | instskip(SKIP_1) | instid1(VALU_DEP_2)
	v_dual_cndmask_b32 v5, 0, v29, s3 :: v_dual_cndmask_b32 v4, 0, v28, s3
	v_cndmask_b32_e64 v24, 0, 1, s11
	v_add_nc_u64_e32 v[30:31], v[4:5], v[10:11]
	s_delay_alu instid0(VALU_DEP_2) | instskip(NEXT) | instid1(VALU_DEP_2)
	v_mov_b32_dpp v47, v24 row_shr:1 row_mask:0xf bank_mask:0xf
	v_dual_cndmask_b32 v5, 0, v31, s4 :: v_dual_cndmask_b32 v4, 0, v30, s4
	s_delay_alu instid0(VALU_DEP_1) | instskip(NEXT) | instid1(VALU_DEP_1)
	v_add_nc_u64_e32 v[32:33], v[4:5], v[20:21]
	v_dual_cndmask_b32 v5, 0, v33, s5 :: v_dual_cndmask_b32 v4, 0, v32, s5
	s_delay_alu instid0(VALU_DEP_1) | instskip(NEXT) | instid1(VALU_DEP_1)
	v_add_nc_u64_e32 v[34:35], v[4:5], v[18:19]
	;; [unrolled: 3-line block ×6, first 2 shown]
	v_dual_mov_b32 v17, v43 :: v_dual_bitop2_b32 v25, 15, v46 bitop3:0x40
	s_delay_alu instid0(VALU_DEP_2)
	v_mov_b64_e32 v[4:5], v[42:43]
	v_mov_b32_dpp v48, v42 row_shr:1 row_mask:0xf bank_mask:0xf
	v_mov_b32_e32 v16, v42
	v_mov_b32_dpp v49, v43 row_shr:1 row_mask:0xf bank_mask:0xf
	v_cmpx_ne_u32_e32 0, v25
; %bb.175:
	s_delay_alu instid0(VALU_DEP_2) | instskip(SKIP_2) | instid1(VALU_DEP_2)
	v_cndmask_b32_e64 v5, v49, 0, s11
	v_cndmask_b32_e64 v4, v48, 0, s11
	v_and_or_b32 v24, v47, 1, v24
	v_add_nc_u64_e32 v[4:5], v[42:43], v[4:5]
	s_delay_alu instid0(VALU_DEP_1)
	v_dual_mov_b32 v17, v5 :: v_dual_mov_b32 v16, v4
; %bb.176:
	s_or_b32 exec_lo, exec_lo, s12
	s_delay_alu instid0(VALU_DEP_1) | instskip(NEXT) | instid1(VALU_DEP_2)
	v_mov_b32_dpp v48, v16 row_shr:2 row_mask:0xf bank_mask:0xf
	v_mov_b32_dpp v49, v17 row_shr:2 row_mask:0xf bank_mask:0xf
	;; [unrolled: 1-line block ×3, first 2 shown]
	s_mov_b32 s11, exec_lo
	v_cmpx_lt_u32_e32 1, v25
; %bb.177:
	v_cmp_eq_u16_e64 s10, 0, v24
	s_delay_alu instid0(VALU_DEP_3) | instskip(NEXT) | instid1(VALU_DEP_2)
	v_bitop3_b32 v24, v47, 1, v24 bitop3:0xc8
	v_dual_cndmask_b32 v17, 0, v49, s10 :: v_dual_cndmask_b32 v16, 0, v48, s10
	s_delay_alu instid0(VALU_DEP_1) | instskip(NEXT) | instid1(VALU_DEP_1)
	v_add_nc_u64_e32 v[16:17], v[16:17], v[4:5]
	v_mov_b64_e32 v[4:5], v[16:17]
; %bb.178:
	s_or_b32 exec_lo, exec_lo, s11
	v_mov_b32_dpp v48, v16 row_shr:4 row_mask:0xf bank_mask:0xf
	v_mov_b32_dpp v49, v17 row_shr:4 row_mask:0xf bank_mask:0xf
	;; [unrolled: 1-line block ×3, first 2 shown]
	s_mov_b32 s11, exec_lo
	v_cmpx_lt_u32_e32 3, v25
; %bb.179:
	v_cmp_eq_u16_e64 s10, 0, v24
	s_delay_alu instid0(VALU_DEP_3) | instskip(NEXT) | instid1(VALU_DEP_2)
	v_bitop3_b32 v24, v47, 1, v24 bitop3:0xc8
	v_dual_cndmask_b32 v17, 0, v49, s10 :: v_dual_cndmask_b32 v16, 0, v48, s10
	s_delay_alu instid0(VALU_DEP_1) | instskip(NEXT) | instid1(VALU_DEP_1)
	v_add_nc_u64_e32 v[16:17], v[16:17], v[4:5]
	v_mov_b64_e32 v[4:5], v[16:17]
; %bb.180:
	s_or_b32 exec_lo, exec_lo, s11
	v_mov_b32_dpp v48, v16 row_shr:8 row_mask:0xf bank_mask:0xf
	v_mov_b32_dpp v49, v17 row_shr:8 row_mask:0xf bank_mask:0xf
	;; [unrolled: 1-line block ×3, first 2 shown]
	s_mov_b32 s11, exec_lo
	v_cmpx_lt_u32_e32 7, v25
; %bb.181:
	v_cmp_eq_u16_e64 s10, 0, v24
	s_delay_alu instid0(VALU_DEP_3) | instskip(NEXT) | instid1(VALU_DEP_2)
	v_bitop3_b32 v24, v47, 1, v24 bitop3:0xc8
	v_dual_cndmask_b32 v17, 0, v49, s10 :: v_dual_cndmask_b32 v16, 0, v48, s10
	s_delay_alu instid0(VALU_DEP_1) | instskip(NEXT) | instid1(VALU_DEP_1)
	v_add_nc_u64_e32 v[4:5], v[16:17], v[4:5]
	v_dual_mov_b32 v17, v5 :: v_dual_mov_b32 v16, v4
; %bb.182:
	s_or_b32 exec_lo, exec_lo, s11
	ds_swizzle_b32 v16, v16 offset:swizzle(BROADCAST,32,15)
	ds_swizzle_b32 v17, v17 offset:swizzle(BROADCAST,32,15)
	;; [unrolled: 1-line block ×3, first 2 shown]
	v_and_b32_e32 v25, 16, v46
	s_delay_alu instid0(VALU_DEP_1)
	v_cmp_ne_u32_e64 s10, 0, v25
	v_mov_b32_e32 v25, v24
	s_and_saveexec_b32 s12, s10
	s_cbranch_execz .LBB1311_184
; %bb.183:
	v_cmp_eq_u16_e64 s10, 0, v24
	v_and_b32_e32 v24, 1, v24
	s_wait_dscnt 0x0
	s_delay_alu instid0(VALU_DEP_2) | instskip(SKIP_1) | instid1(VALU_DEP_3)
	v_dual_cndmask_b32 v16, 0, v16, s10 :: v_dual_bitop2_b32 v25, 1, v47 bitop3:0x40
	v_cndmask_b32_e64 v17, 0, v17, s10
	v_cmp_eq_u32_e64 s10, 1, v24
	s_delay_alu instid0(VALU_DEP_3) | instskip(NEXT) | instid1(VALU_DEP_3)
	v_cmp_eq_u32_e64 s11, 1, v25
	v_add_nc_u64_e32 v[4:5], v[16:17], v[4:5]
	s_or_b32 s10, s10, s11
	s_delay_alu instid0(SALU_CYCLE_1)
	v_cndmask_b32_e64 v24, 0, 1, s10
	v_cndmask_b32_e64 v25, 0, 1, s10
.LBB1311_184:
	s_or_b32 exec_lo, exec_lo, s12
	s_wait_dscnt 0x0
	v_dual_lshrrev_b32 v47, 5, v0 :: v_dual_bitop2_b32 v16, 31, v0 bitop3:0x54
	s_mov_b32 s11, exec_lo
	s_delay_alu instid0(VALU_DEP_1)
	v_cmpx_eq_u32_e64 v0, v16
	s_cbranch_execz .LBB1311_186
; %bb.185:
	s_delay_alu instid0(VALU_DEP_2)
	v_lshlrev_b32_e32 v16, 4, v47
	ds_store_b64 v16, v[4:5]
	ds_store_b8 v16, v24 offset:8
.LBB1311_186:
	s_or_b32 exec_lo, exec_lo, s11
	s_delay_alu instid0(SALU_CYCLE_1)
	s_mov_b32 s12, exec_lo
	s_wait_dscnt 0x0
	s_barrier_signal -1
	s_barrier_wait -1
	v_cmpx_gt_u32_e32 4, v0
	s_cbranch_execz .LBB1311_192
; %bb.187:
	v_dual_lshlrev_b32 v24, 4, v0 :: v_dual_bitop2_b32 v49, 3, v46 bitop3:0x40
	s_mov_b32 s11, exec_lo
	ds_load_b64 v[16:17], v24
	ds_load_b32 v48, v24 offset:8
	s_wait_dscnt 0x1
	v_mov_b32_dpp v53, v16 row_shr:1 row_mask:0xf bank_mask:0xf
	v_mov_b32_dpp v54, v17 row_shr:1 row_mask:0xf bank_mask:0xf
	s_wait_dscnt 0x0
	v_mov_b32_dpp v52, v48 row_shr:1 row_mask:0xf bank_mask:0xf
	v_dual_mov_b32 v51, v48 :: v_dual_mov_b32 v50, v48
	v_cmpx_ne_u32_e32 0, v49
	s_cbranch_execz .LBB1311_189
; %bb.188:
	v_and_b32_e32 v50, 0xff, v48
	v_or_b32_e32 v51, v52, v48
	s_delay_alu instid0(VALU_DEP_2) | instskip(SKIP_1) | instid1(VALU_DEP_2)
	v_cmp_eq_u16_e64 s10, 0, v50
	v_bitop3_b32 v50, v52, 1, v48 bitop3:0xc8
	v_dual_cndmask_b32 v55, 0, v54, s10 :: v_dual_bitop2_b32 v51, 1, v51 bitop3:0x40
	v_cndmask_b32_e64 v54, 0, v53, s10
	s_delay_alu instid0(VALU_DEP_3) | instskip(NEXT) | instid1(VALU_DEP_2)
	v_and_or_b32 v48, 0xffffff00, v48, v50
	v_add_nc_u64_e32 v[16:17], v[54:55], v[16:17]
.LBB1311_189:
	s_or_b32 exec_lo, exec_lo, s11
	s_delay_alu instid0(VALU_DEP_1) | instskip(NEXT) | instid1(VALU_DEP_2)
	v_mov_b32_dpp v52, v16 row_shr:2 row_mask:0xf bank_mask:0xf
	v_mov_b32_dpp v53, v17 row_shr:2 row_mask:0xf bank_mask:0xf
	v_mov_b32_dpp v48, v48 row_shr:2 row_mask:0xf bank_mask:0xf
	s_mov_b32 s13, exec_lo
	v_cmpx_lt_u32_e32 1, v49
	s_cbranch_execz .LBB1311_191
; %bb.190:
	v_and_b32_e32 v49, 0xff, v50
	v_and_b32_e32 v51, 1, v48
	s_delay_alu instid0(VALU_DEP_2) | instskip(SKIP_1) | instid1(VALU_DEP_3)
	v_cmp_eq_u16_e64 s10, 0, v49
	v_and_b32_e32 v50, 1, v50
	v_cmp_eq_u32_e64 s11, 1, v51
	s_delay_alu instid0(VALU_DEP_3) | instskip(NEXT) | instid1(VALU_DEP_3)
	v_dual_cndmask_b32 v49, 0, v53, s10 :: v_dual_cndmask_b32 v48, 0, v52, s10
	v_cmp_eq_u32_e64 s10, 1, v50
	s_delay_alu instid0(VALU_DEP_2) | instskip(SKIP_1) | instid1(SALU_CYCLE_1)
	v_add_nc_u64_e32 v[16:17], v[48:49], v[16:17]
	s_or_b32 s10, s10, s11
	v_cndmask_b32_e64 v51, 0, 1, s10
.LBB1311_191:
	s_or_b32 exec_lo, exec_lo, s13
	ds_store_b64 v24, v[16:17]
	ds_store_b8 v24, v51 offset:8
.LBB1311_192:
	s_or_b32 exec_lo, exec_lo, s12
	v_mov_b64_e32 v[16:17], 0
	s_mov_b32 s11, exec_lo
	s_wait_dscnt 0x0
	s_barrier_signal -1
	s_barrier_wait -1
	v_cmpx_lt_u32_e32 31, v0
	s_cbranch_execz .LBB1311_194
; %bb.193:
	v_lshl_add_u32 v16, v47, 4, -16
	v_cmp_eq_u32_e64 s10, 0, v25
	ds_load_b64 v[16:17], v16
	s_wait_dscnt 0x0
	v_dual_cndmask_b32 v25, 0, v17, s10 :: v_dual_cndmask_b32 v24, 0, v16, s10
	s_delay_alu instid0(VALU_DEP_1)
	v_add_nc_u64_e32 v[4:5], v[24:25], v[4:5]
.LBB1311_194:
	s_or_b32 exec_lo, exec_lo, s11
	v_add_nc_u32_e32 v24, -1, v46
	s_delay_alu instid0(VALU_DEP_1) | instskip(NEXT) | instid1(VALU_DEP_1)
	v_cmp_gt_i32_e64 s10, 0, v24
	v_cndmask_b32_e64 v24, v24, v46, s10
	s_delay_alu instid0(VALU_DEP_1)
	v_lshlrev_b32_e32 v24, 2, v24
	ds_bpermute_b32 v4, v24, v4
	ds_bpermute_b32 v5, v24, v5
	s_and_saveexec_b32 s10, s0
	s_cbranch_execz .LBB1311_196
; %bb.195:
	v_cmp_eq_u32_e64 s0, 0, v46
	v_and_b32_e32 v1, 0xff, v1
	;;#ASMSTART
	;;#ASMEND
	s_wait_dscnt 0x0
	s_delay_alu instid0(VALU_DEP_2) | instskip(NEXT) | instid1(VALU_DEP_2)
	v_dual_cndmask_b32 v4, v4, v16, s0 :: v_dual_cndmask_b32 v5, v5, v17, s0
	v_cmp_eq_u16_e64 s0, 0, v1
	s_delay_alu instid0(VALU_DEP_1) | instskip(NEXT) | instid1(VALU_DEP_1)
	v_dual_cndmask_b32 v5, 0, v5, s0 :: v_dual_cndmask_b32 v4, 0, v4, s0
	v_add_nc_u64_e32 v[2:3], v[4:5], v[2:3]
	s_delay_alu instid0(VALU_DEP_1) | instskip(NEXT) | instid1(VALU_DEP_1)
	v_dual_cndmask_b32 v5, 0, v3, s1 :: v_dual_cndmask_b32 v4, 0, v2, s1
	v_add_nc_u64_e32 v[26:27], v[4:5], v[6:7]
	;; [unrolled: 3-line block ×10, first 2 shown]
.LBB1311_196:
	s_or_b32 exec_lo, exec_lo, s10
	s_and_saveexec_b32 s0, vcc_lo
	s_cbranch_execz .LBB1311_198
; %bb.197:
	v_dual_mov_b32 v1, 0 :: v_dual_mov_b32 v7, 2
	s_wait_dscnt 0x0
	ds_load_b64 v[4:5], v1 offset:48
	ds_load_u8 v6, v1 offset:56
	s_wait_dscnt 0x1
	global_store_b64 v1, v[4:5], s[22:23] offset:512
	s_wait_dscnt 0x0
	global_store_b8 v1, v6, s[22:23] offset:520
	global_wb scope:SCOPE_DEV
	s_wait_storecnt 0x0
	global_inv scope:SCOPE_DEV
	s_wait_xcnt 0x0
	global_store_b8 v1, v7, s[24:25] offset:32 scope:SCOPE_DEV
.LBB1311_198:
	s_wait_xcnt 0x0
	s_or_b32 exec_lo, exec_lo, s0
	v_mov_b64_e32 v[24:25], v[2:3]
	s_add_nc_u64 s[0:1], s[18:19], s[34:35]
	s_and_b32 vcc_lo, exec_lo, s27
	s_add_nc_u64 s[0:1], s[0:1], s[30:31]
	s_cbranch_vccnz .LBB1311_136
.LBB1311_199:
	s_mov_b32 s2, 0
                                        ; implicit-def: $vgpr4_vgpr5
	s_cbranch_execz .LBB1311_201
; %bb.200:
	v_mul_u32_u24_e32 v1, 0x50, v0
	v_mul_i32_i24_e32 v2, 0xffffffb8, v0
	s_wait_storecnt 0x0
	s_wait_loadcnt_dscnt 0x0
	s_barrier_signal -1
	s_barrier_wait -1
	ds_store_b128 v1, v[24:27]
	ds_store_b128 v1, v[28:31] offset:16
	ds_store_b128 v1, v[32:35] offset:32
	;; [unrolled: 1-line block ×4, first 2 shown]
	v_mad_u32_u24 v1, 0x50, v0, v2
	s_wait_dscnt 0x0
	s_barrier_signal -1
	s_barrier_wait -1
	ds_load_2addr_stride64_b64 v[6:9], v1 offset1:2
	ds_load_2addr_stride64_b64 v[10:13], v1 offset0:4 offset1:6
	ds_load_2addr_stride64_b64 v[14:17], v1 offset0:8 offset1:10
	;; [unrolled: 1-line block ×4, first 2 shown]
	s_or_b32 s2, s2, exec_lo
	s_wait_dscnt 0x4
	s_clause 0x1
	flat_store_b64 v0, v[6:7], s[0:1] scale_offset
	flat_store_b64 v0, v[8:9], s[0:1] offset:1024 scale_offset
	s_wait_dscnt 0x5
	s_clause 0x1
	flat_store_b64 v0, v[10:11], s[0:1] offset:2048 scale_offset
	flat_store_b64 v0, v[12:13], s[0:1] offset:3072 scale_offset
	s_wait_dscnt 0x6
	s_clause 0x1
	flat_store_b64 v0, v[14:15], s[0:1] offset:4096 scale_offset
	;; [unrolled: 4-line block ×3, first 2 shown]
	flat_store_b64 v0, v[20:21], s[0:1] offset:7168 scale_offset
	s_wait_dscnt 0x8
	flat_store_b64 v0, v[2:3], s[0:1] offset:8192 scale_offset
.LBB1311_201:
	s_wait_xcnt 0x0
	s_delay_alu instid0(VALU_DEP_1)
	s_and_saveexec_b32 s3, s2
	s_cbranch_execnz .LBB1311_203
; %bb.202:
	s_sendmsg sendmsg(MSG_DEALLOC_VGPRS)
	s_endpgm
.LBB1311_203:
	s_wait_dscnt 0x0
	flat_store_b64 v0, v[4:5], s[0:1] offset:9216 scale_offset
	s_sendmsg sendmsg(MSG_DEALLOC_VGPRS)
	s_endpgm
	.section	.rodata,"a",@progbits
	.p2align	6, 0x0
	.amdhsa_kernel _ZN7rocprim17ROCPRIM_400000_NS6detail17trampoline_kernelINS0_14default_configENS1_27scan_by_key_config_selectorIixEEZZNS1_16scan_by_key_implILNS1_25lookback_scan_determinismE0ELb0ES3_N6thrust23THRUST_200600_302600_NS6detail15normal_iteratorINS9_10device_ptrIiEEEENSB_INSC_IxEEEESG_xNS9_4plusIvEENS9_8equal_toIvEExEE10hipError_tPvRmT2_T3_T4_T5_mT6_T7_P12ihipStream_tbENKUlT_T0_E_clISt17integral_constantIbLb0EES11_EEDaSW_SX_EUlSW_E_NS1_11comp_targetILNS1_3genE0ELNS1_11target_archE4294967295ELNS1_3gpuE0ELNS1_3repE0EEENS1_30default_config_static_selectorELNS0_4arch9wavefront6targetE0EEEvT1_
		.amdhsa_group_segment_fixed_size 10240
		.amdhsa_private_segment_fixed_size 0
		.amdhsa_kernarg_size 136
		.amdhsa_user_sgpr_count 2
		.amdhsa_user_sgpr_dispatch_ptr 0
		.amdhsa_user_sgpr_queue_ptr 0
		.amdhsa_user_sgpr_kernarg_segment_ptr 1
		.amdhsa_user_sgpr_dispatch_id 0
		.amdhsa_user_sgpr_kernarg_preload_length 0
		.amdhsa_user_sgpr_kernarg_preload_offset 0
		.amdhsa_user_sgpr_private_segment_size 0
		.amdhsa_wavefront_size32 1
		.amdhsa_uses_dynamic_stack 0
		.amdhsa_enable_private_segment 0
		.amdhsa_system_sgpr_workgroup_id_x 1
		.amdhsa_system_sgpr_workgroup_id_y 0
		.amdhsa_system_sgpr_workgroup_id_z 0
		.amdhsa_system_sgpr_workgroup_info 0
		.amdhsa_system_vgpr_workitem_id 0
		.amdhsa_next_free_vgpr 73
		.amdhsa_next_free_sgpr 45
		.amdhsa_named_barrier_count 0
		.amdhsa_reserve_vcc 1
		.amdhsa_float_round_mode_32 0
		.amdhsa_float_round_mode_16_64 0
		.amdhsa_float_denorm_mode_32 3
		.amdhsa_float_denorm_mode_16_64 3
		.amdhsa_fp16_overflow 0
		.amdhsa_memory_ordered 1
		.amdhsa_forward_progress 1
		.amdhsa_inst_pref_size 88
		.amdhsa_round_robin_scheduling 0
		.amdhsa_exception_fp_ieee_invalid_op 0
		.amdhsa_exception_fp_denorm_src 0
		.amdhsa_exception_fp_ieee_div_zero 0
		.amdhsa_exception_fp_ieee_overflow 0
		.amdhsa_exception_fp_ieee_underflow 0
		.amdhsa_exception_fp_ieee_inexact 0
		.amdhsa_exception_int_div_zero 0
	.end_amdhsa_kernel
	.section	.text._ZN7rocprim17ROCPRIM_400000_NS6detail17trampoline_kernelINS0_14default_configENS1_27scan_by_key_config_selectorIixEEZZNS1_16scan_by_key_implILNS1_25lookback_scan_determinismE0ELb0ES3_N6thrust23THRUST_200600_302600_NS6detail15normal_iteratorINS9_10device_ptrIiEEEENSB_INSC_IxEEEESG_xNS9_4plusIvEENS9_8equal_toIvEExEE10hipError_tPvRmT2_T3_T4_T5_mT6_T7_P12ihipStream_tbENKUlT_T0_E_clISt17integral_constantIbLb0EES11_EEDaSW_SX_EUlSW_E_NS1_11comp_targetILNS1_3genE0ELNS1_11target_archE4294967295ELNS1_3gpuE0ELNS1_3repE0EEENS1_30default_config_static_selectorELNS0_4arch9wavefront6targetE0EEEvT1_,"axG",@progbits,_ZN7rocprim17ROCPRIM_400000_NS6detail17trampoline_kernelINS0_14default_configENS1_27scan_by_key_config_selectorIixEEZZNS1_16scan_by_key_implILNS1_25lookback_scan_determinismE0ELb0ES3_N6thrust23THRUST_200600_302600_NS6detail15normal_iteratorINS9_10device_ptrIiEEEENSB_INSC_IxEEEESG_xNS9_4plusIvEENS9_8equal_toIvEExEE10hipError_tPvRmT2_T3_T4_T5_mT6_T7_P12ihipStream_tbENKUlT_T0_E_clISt17integral_constantIbLb0EES11_EEDaSW_SX_EUlSW_E_NS1_11comp_targetILNS1_3genE0ELNS1_11target_archE4294967295ELNS1_3gpuE0ELNS1_3repE0EEENS1_30default_config_static_selectorELNS0_4arch9wavefront6targetE0EEEvT1_,comdat
.Lfunc_end1311:
	.size	_ZN7rocprim17ROCPRIM_400000_NS6detail17trampoline_kernelINS0_14default_configENS1_27scan_by_key_config_selectorIixEEZZNS1_16scan_by_key_implILNS1_25lookback_scan_determinismE0ELb0ES3_N6thrust23THRUST_200600_302600_NS6detail15normal_iteratorINS9_10device_ptrIiEEEENSB_INSC_IxEEEESG_xNS9_4plusIvEENS9_8equal_toIvEExEE10hipError_tPvRmT2_T3_T4_T5_mT6_T7_P12ihipStream_tbENKUlT_T0_E_clISt17integral_constantIbLb0EES11_EEDaSW_SX_EUlSW_E_NS1_11comp_targetILNS1_3genE0ELNS1_11target_archE4294967295ELNS1_3gpuE0ELNS1_3repE0EEENS1_30default_config_static_selectorELNS0_4arch9wavefront6targetE0EEEvT1_, .Lfunc_end1311-_ZN7rocprim17ROCPRIM_400000_NS6detail17trampoline_kernelINS0_14default_configENS1_27scan_by_key_config_selectorIixEEZZNS1_16scan_by_key_implILNS1_25lookback_scan_determinismE0ELb0ES3_N6thrust23THRUST_200600_302600_NS6detail15normal_iteratorINS9_10device_ptrIiEEEENSB_INSC_IxEEEESG_xNS9_4plusIvEENS9_8equal_toIvEExEE10hipError_tPvRmT2_T3_T4_T5_mT6_T7_P12ihipStream_tbENKUlT_T0_E_clISt17integral_constantIbLb0EES11_EEDaSW_SX_EUlSW_E_NS1_11comp_targetILNS1_3genE0ELNS1_11target_archE4294967295ELNS1_3gpuE0ELNS1_3repE0EEENS1_30default_config_static_selectorELNS0_4arch9wavefront6targetE0EEEvT1_
                                        ; -- End function
	.set _ZN7rocprim17ROCPRIM_400000_NS6detail17trampoline_kernelINS0_14default_configENS1_27scan_by_key_config_selectorIixEEZZNS1_16scan_by_key_implILNS1_25lookback_scan_determinismE0ELb0ES3_N6thrust23THRUST_200600_302600_NS6detail15normal_iteratorINS9_10device_ptrIiEEEENSB_INSC_IxEEEESG_xNS9_4plusIvEENS9_8equal_toIvEExEE10hipError_tPvRmT2_T3_T4_T5_mT6_T7_P12ihipStream_tbENKUlT_T0_E_clISt17integral_constantIbLb0EES11_EEDaSW_SX_EUlSW_E_NS1_11comp_targetILNS1_3genE0ELNS1_11target_archE4294967295ELNS1_3gpuE0ELNS1_3repE0EEENS1_30default_config_static_selectorELNS0_4arch9wavefront6targetE0EEEvT1_.num_vgpr, 73
	.set _ZN7rocprim17ROCPRIM_400000_NS6detail17trampoline_kernelINS0_14default_configENS1_27scan_by_key_config_selectorIixEEZZNS1_16scan_by_key_implILNS1_25lookback_scan_determinismE0ELb0ES3_N6thrust23THRUST_200600_302600_NS6detail15normal_iteratorINS9_10device_ptrIiEEEENSB_INSC_IxEEEESG_xNS9_4plusIvEENS9_8equal_toIvEExEE10hipError_tPvRmT2_T3_T4_T5_mT6_T7_P12ihipStream_tbENKUlT_T0_E_clISt17integral_constantIbLb0EES11_EEDaSW_SX_EUlSW_E_NS1_11comp_targetILNS1_3genE0ELNS1_11target_archE4294967295ELNS1_3gpuE0ELNS1_3repE0EEENS1_30default_config_static_selectorELNS0_4arch9wavefront6targetE0EEEvT1_.num_agpr, 0
	.set _ZN7rocprim17ROCPRIM_400000_NS6detail17trampoline_kernelINS0_14default_configENS1_27scan_by_key_config_selectorIixEEZZNS1_16scan_by_key_implILNS1_25lookback_scan_determinismE0ELb0ES3_N6thrust23THRUST_200600_302600_NS6detail15normal_iteratorINS9_10device_ptrIiEEEENSB_INSC_IxEEEESG_xNS9_4plusIvEENS9_8equal_toIvEExEE10hipError_tPvRmT2_T3_T4_T5_mT6_T7_P12ihipStream_tbENKUlT_T0_E_clISt17integral_constantIbLb0EES11_EEDaSW_SX_EUlSW_E_NS1_11comp_targetILNS1_3genE0ELNS1_11target_archE4294967295ELNS1_3gpuE0ELNS1_3repE0EEENS1_30default_config_static_selectorELNS0_4arch9wavefront6targetE0EEEvT1_.numbered_sgpr, 45
	.set _ZN7rocprim17ROCPRIM_400000_NS6detail17trampoline_kernelINS0_14default_configENS1_27scan_by_key_config_selectorIixEEZZNS1_16scan_by_key_implILNS1_25lookback_scan_determinismE0ELb0ES3_N6thrust23THRUST_200600_302600_NS6detail15normal_iteratorINS9_10device_ptrIiEEEENSB_INSC_IxEEEESG_xNS9_4plusIvEENS9_8equal_toIvEExEE10hipError_tPvRmT2_T3_T4_T5_mT6_T7_P12ihipStream_tbENKUlT_T0_E_clISt17integral_constantIbLb0EES11_EEDaSW_SX_EUlSW_E_NS1_11comp_targetILNS1_3genE0ELNS1_11target_archE4294967295ELNS1_3gpuE0ELNS1_3repE0EEENS1_30default_config_static_selectorELNS0_4arch9wavefront6targetE0EEEvT1_.num_named_barrier, 0
	.set _ZN7rocprim17ROCPRIM_400000_NS6detail17trampoline_kernelINS0_14default_configENS1_27scan_by_key_config_selectorIixEEZZNS1_16scan_by_key_implILNS1_25lookback_scan_determinismE0ELb0ES3_N6thrust23THRUST_200600_302600_NS6detail15normal_iteratorINS9_10device_ptrIiEEEENSB_INSC_IxEEEESG_xNS9_4plusIvEENS9_8equal_toIvEExEE10hipError_tPvRmT2_T3_T4_T5_mT6_T7_P12ihipStream_tbENKUlT_T0_E_clISt17integral_constantIbLb0EES11_EEDaSW_SX_EUlSW_E_NS1_11comp_targetILNS1_3genE0ELNS1_11target_archE4294967295ELNS1_3gpuE0ELNS1_3repE0EEENS1_30default_config_static_selectorELNS0_4arch9wavefront6targetE0EEEvT1_.private_seg_size, 0
	.set _ZN7rocprim17ROCPRIM_400000_NS6detail17trampoline_kernelINS0_14default_configENS1_27scan_by_key_config_selectorIixEEZZNS1_16scan_by_key_implILNS1_25lookback_scan_determinismE0ELb0ES3_N6thrust23THRUST_200600_302600_NS6detail15normal_iteratorINS9_10device_ptrIiEEEENSB_INSC_IxEEEESG_xNS9_4plusIvEENS9_8equal_toIvEExEE10hipError_tPvRmT2_T3_T4_T5_mT6_T7_P12ihipStream_tbENKUlT_T0_E_clISt17integral_constantIbLb0EES11_EEDaSW_SX_EUlSW_E_NS1_11comp_targetILNS1_3genE0ELNS1_11target_archE4294967295ELNS1_3gpuE0ELNS1_3repE0EEENS1_30default_config_static_selectorELNS0_4arch9wavefront6targetE0EEEvT1_.uses_vcc, 1
	.set _ZN7rocprim17ROCPRIM_400000_NS6detail17trampoline_kernelINS0_14default_configENS1_27scan_by_key_config_selectorIixEEZZNS1_16scan_by_key_implILNS1_25lookback_scan_determinismE0ELb0ES3_N6thrust23THRUST_200600_302600_NS6detail15normal_iteratorINS9_10device_ptrIiEEEENSB_INSC_IxEEEESG_xNS9_4plusIvEENS9_8equal_toIvEExEE10hipError_tPvRmT2_T3_T4_T5_mT6_T7_P12ihipStream_tbENKUlT_T0_E_clISt17integral_constantIbLb0EES11_EEDaSW_SX_EUlSW_E_NS1_11comp_targetILNS1_3genE0ELNS1_11target_archE4294967295ELNS1_3gpuE0ELNS1_3repE0EEENS1_30default_config_static_selectorELNS0_4arch9wavefront6targetE0EEEvT1_.uses_flat_scratch, 1
	.set _ZN7rocprim17ROCPRIM_400000_NS6detail17trampoline_kernelINS0_14default_configENS1_27scan_by_key_config_selectorIixEEZZNS1_16scan_by_key_implILNS1_25lookback_scan_determinismE0ELb0ES3_N6thrust23THRUST_200600_302600_NS6detail15normal_iteratorINS9_10device_ptrIiEEEENSB_INSC_IxEEEESG_xNS9_4plusIvEENS9_8equal_toIvEExEE10hipError_tPvRmT2_T3_T4_T5_mT6_T7_P12ihipStream_tbENKUlT_T0_E_clISt17integral_constantIbLb0EES11_EEDaSW_SX_EUlSW_E_NS1_11comp_targetILNS1_3genE0ELNS1_11target_archE4294967295ELNS1_3gpuE0ELNS1_3repE0EEENS1_30default_config_static_selectorELNS0_4arch9wavefront6targetE0EEEvT1_.has_dyn_sized_stack, 0
	.set _ZN7rocprim17ROCPRIM_400000_NS6detail17trampoline_kernelINS0_14default_configENS1_27scan_by_key_config_selectorIixEEZZNS1_16scan_by_key_implILNS1_25lookback_scan_determinismE0ELb0ES3_N6thrust23THRUST_200600_302600_NS6detail15normal_iteratorINS9_10device_ptrIiEEEENSB_INSC_IxEEEESG_xNS9_4plusIvEENS9_8equal_toIvEExEE10hipError_tPvRmT2_T3_T4_T5_mT6_T7_P12ihipStream_tbENKUlT_T0_E_clISt17integral_constantIbLb0EES11_EEDaSW_SX_EUlSW_E_NS1_11comp_targetILNS1_3genE0ELNS1_11target_archE4294967295ELNS1_3gpuE0ELNS1_3repE0EEENS1_30default_config_static_selectorELNS0_4arch9wavefront6targetE0EEEvT1_.has_recursion, 0
	.set _ZN7rocprim17ROCPRIM_400000_NS6detail17trampoline_kernelINS0_14default_configENS1_27scan_by_key_config_selectorIixEEZZNS1_16scan_by_key_implILNS1_25lookback_scan_determinismE0ELb0ES3_N6thrust23THRUST_200600_302600_NS6detail15normal_iteratorINS9_10device_ptrIiEEEENSB_INSC_IxEEEESG_xNS9_4plusIvEENS9_8equal_toIvEExEE10hipError_tPvRmT2_T3_T4_T5_mT6_T7_P12ihipStream_tbENKUlT_T0_E_clISt17integral_constantIbLb0EES11_EEDaSW_SX_EUlSW_E_NS1_11comp_targetILNS1_3genE0ELNS1_11target_archE4294967295ELNS1_3gpuE0ELNS1_3repE0EEENS1_30default_config_static_selectorELNS0_4arch9wavefront6targetE0EEEvT1_.has_indirect_call, 0
	.section	.AMDGPU.csdata,"",@progbits
; Kernel info:
; codeLenInByte = 11156
; TotalNumSgprs: 47
; NumVgprs: 73
; ScratchSize: 0
; MemoryBound: 0
; FloatMode: 240
; IeeeMode: 1
; LDSByteSize: 10240 bytes/workgroup (compile time only)
; SGPRBlocks: 0
; VGPRBlocks: 4
; NumSGPRsForWavesPerEU: 47
; NumVGPRsForWavesPerEU: 73
; NamedBarCnt: 0
; Occupancy: 12
; WaveLimiterHint : 1
; COMPUTE_PGM_RSRC2:SCRATCH_EN: 0
; COMPUTE_PGM_RSRC2:USER_SGPR: 2
; COMPUTE_PGM_RSRC2:TRAP_HANDLER: 0
; COMPUTE_PGM_RSRC2:TGID_X_EN: 1
; COMPUTE_PGM_RSRC2:TGID_Y_EN: 0
; COMPUTE_PGM_RSRC2:TGID_Z_EN: 0
; COMPUTE_PGM_RSRC2:TIDIG_COMP_CNT: 0
	.section	.text._ZN7rocprim17ROCPRIM_400000_NS6detail17trampoline_kernelINS0_14default_configENS1_27scan_by_key_config_selectorIixEEZZNS1_16scan_by_key_implILNS1_25lookback_scan_determinismE0ELb0ES3_N6thrust23THRUST_200600_302600_NS6detail15normal_iteratorINS9_10device_ptrIiEEEENSB_INSC_IxEEEESG_xNS9_4plusIvEENS9_8equal_toIvEExEE10hipError_tPvRmT2_T3_T4_T5_mT6_T7_P12ihipStream_tbENKUlT_T0_E_clISt17integral_constantIbLb0EES11_EEDaSW_SX_EUlSW_E_NS1_11comp_targetILNS1_3genE10ELNS1_11target_archE1201ELNS1_3gpuE5ELNS1_3repE0EEENS1_30default_config_static_selectorELNS0_4arch9wavefront6targetE0EEEvT1_,"axG",@progbits,_ZN7rocprim17ROCPRIM_400000_NS6detail17trampoline_kernelINS0_14default_configENS1_27scan_by_key_config_selectorIixEEZZNS1_16scan_by_key_implILNS1_25lookback_scan_determinismE0ELb0ES3_N6thrust23THRUST_200600_302600_NS6detail15normal_iteratorINS9_10device_ptrIiEEEENSB_INSC_IxEEEESG_xNS9_4plusIvEENS9_8equal_toIvEExEE10hipError_tPvRmT2_T3_T4_T5_mT6_T7_P12ihipStream_tbENKUlT_T0_E_clISt17integral_constantIbLb0EES11_EEDaSW_SX_EUlSW_E_NS1_11comp_targetILNS1_3genE10ELNS1_11target_archE1201ELNS1_3gpuE5ELNS1_3repE0EEENS1_30default_config_static_selectorELNS0_4arch9wavefront6targetE0EEEvT1_,comdat
	.protected	_ZN7rocprim17ROCPRIM_400000_NS6detail17trampoline_kernelINS0_14default_configENS1_27scan_by_key_config_selectorIixEEZZNS1_16scan_by_key_implILNS1_25lookback_scan_determinismE0ELb0ES3_N6thrust23THRUST_200600_302600_NS6detail15normal_iteratorINS9_10device_ptrIiEEEENSB_INSC_IxEEEESG_xNS9_4plusIvEENS9_8equal_toIvEExEE10hipError_tPvRmT2_T3_T4_T5_mT6_T7_P12ihipStream_tbENKUlT_T0_E_clISt17integral_constantIbLb0EES11_EEDaSW_SX_EUlSW_E_NS1_11comp_targetILNS1_3genE10ELNS1_11target_archE1201ELNS1_3gpuE5ELNS1_3repE0EEENS1_30default_config_static_selectorELNS0_4arch9wavefront6targetE0EEEvT1_ ; -- Begin function _ZN7rocprim17ROCPRIM_400000_NS6detail17trampoline_kernelINS0_14default_configENS1_27scan_by_key_config_selectorIixEEZZNS1_16scan_by_key_implILNS1_25lookback_scan_determinismE0ELb0ES3_N6thrust23THRUST_200600_302600_NS6detail15normal_iteratorINS9_10device_ptrIiEEEENSB_INSC_IxEEEESG_xNS9_4plusIvEENS9_8equal_toIvEExEE10hipError_tPvRmT2_T3_T4_T5_mT6_T7_P12ihipStream_tbENKUlT_T0_E_clISt17integral_constantIbLb0EES11_EEDaSW_SX_EUlSW_E_NS1_11comp_targetILNS1_3genE10ELNS1_11target_archE1201ELNS1_3gpuE5ELNS1_3repE0EEENS1_30default_config_static_selectorELNS0_4arch9wavefront6targetE0EEEvT1_
	.globl	_ZN7rocprim17ROCPRIM_400000_NS6detail17trampoline_kernelINS0_14default_configENS1_27scan_by_key_config_selectorIixEEZZNS1_16scan_by_key_implILNS1_25lookback_scan_determinismE0ELb0ES3_N6thrust23THRUST_200600_302600_NS6detail15normal_iteratorINS9_10device_ptrIiEEEENSB_INSC_IxEEEESG_xNS9_4plusIvEENS9_8equal_toIvEExEE10hipError_tPvRmT2_T3_T4_T5_mT6_T7_P12ihipStream_tbENKUlT_T0_E_clISt17integral_constantIbLb0EES11_EEDaSW_SX_EUlSW_E_NS1_11comp_targetILNS1_3genE10ELNS1_11target_archE1201ELNS1_3gpuE5ELNS1_3repE0EEENS1_30default_config_static_selectorELNS0_4arch9wavefront6targetE0EEEvT1_
	.p2align	8
	.type	_ZN7rocprim17ROCPRIM_400000_NS6detail17trampoline_kernelINS0_14default_configENS1_27scan_by_key_config_selectorIixEEZZNS1_16scan_by_key_implILNS1_25lookback_scan_determinismE0ELb0ES3_N6thrust23THRUST_200600_302600_NS6detail15normal_iteratorINS9_10device_ptrIiEEEENSB_INSC_IxEEEESG_xNS9_4plusIvEENS9_8equal_toIvEExEE10hipError_tPvRmT2_T3_T4_T5_mT6_T7_P12ihipStream_tbENKUlT_T0_E_clISt17integral_constantIbLb0EES11_EEDaSW_SX_EUlSW_E_NS1_11comp_targetILNS1_3genE10ELNS1_11target_archE1201ELNS1_3gpuE5ELNS1_3repE0EEENS1_30default_config_static_selectorELNS0_4arch9wavefront6targetE0EEEvT1_,@function
_ZN7rocprim17ROCPRIM_400000_NS6detail17trampoline_kernelINS0_14default_configENS1_27scan_by_key_config_selectorIixEEZZNS1_16scan_by_key_implILNS1_25lookback_scan_determinismE0ELb0ES3_N6thrust23THRUST_200600_302600_NS6detail15normal_iteratorINS9_10device_ptrIiEEEENSB_INSC_IxEEEESG_xNS9_4plusIvEENS9_8equal_toIvEExEE10hipError_tPvRmT2_T3_T4_T5_mT6_T7_P12ihipStream_tbENKUlT_T0_E_clISt17integral_constantIbLb0EES11_EEDaSW_SX_EUlSW_E_NS1_11comp_targetILNS1_3genE10ELNS1_11target_archE1201ELNS1_3gpuE5ELNS1_3repE0EEENS1_30default_config_static_selectorELNS0_4arch9wavefront6targetE0EEEvT1_: ; @_ZN7rocprim17ROCPRIM_400000_NS6detail17trampoline_kernelINS0_14default_configENS1_27scan_by_key_config_selectorIixEEZZNS1_16scan_by_key_implILNS1_25lookback_scan_determinismE0ELb0ES3_N6thrust23THRUST_200600_302600_NS6detail15normal_iteratorINS9_10device_ptrIiEEEENSB_INSC_IxEEEESG_xNS9_4plusIvEENS9_8equal_toIvEExEE10hipError_tPvRmT2_T3_T4_T5_mT6_T7_P12ihipStream_tbENKUlT_T0_E_clISt17integral_constantIbLb0EES11_EEDaSW_SX_EUlSW_E_NS1_11comp_targetILNS1_3genE10ELNS1_11target_archE1201ELNS1_3gpuE5ELNS1_3repE0EEENS1_30default_config_static_selectorELNS0_4arch9wavefront6targetE0EEEvT1_
; %bb.0:
	.section	.rodata,"a",@progbits
	.p2align	6, 0x0
	.amdhsa_kernel _ZN7rocprim17ROCPRIM_400000_NS6detail17trampoline_kernelINS0_14default_configENS1_27scan_by_key_config_selectorIixEEZZNS1_16scan_by_key_implILNS1_25lookback_scan_determinismE0ELb0ES3_N6thrust23THRUST_200600_302600_NS6detail15normal_iteratorINS9_10device_ptrIiEEEENSB_INSC_IxEEEESG_xNS9_4plusIvEENS9_8equal_toIvEExEE10hipError_tPvRmT2_T3_T4_T5_mT6_T7_P12ihipStream_tbENKUlT_T0_E_clISt17integral_constantIbLb0EES11_EEDaSW_SX_EUlSW_E_NS1_11comp_targetILNS1_3genE10ELNS1_11target_archE1201ELNS1_3gpuE5ELNS1_3repE0EEENS1_30default_config_static_selectorELNS0_4arch9wavefront6targetE0EEEvT1_
		.amdhsa_group_segment_fixed_size 0
		.amdhsa_private_segment_fixed_size 0
		.amdhsa_kernarg_size 136
		.amdhsa_user_sgpr_count 2
		.amdhsa_user_sgpr_dispatch_ptr 0
		.amdhsa_user_sgpr_queue_ptr 0
		.amdhsa_user_sgpr_kernarg_segment_ptr 1
		.amdhsa_user_sgpr_dispatch_id 0
		.amdhsa_user_sgpr_kernarg_preload_length 0
		.amdhsa_user_sgpr_kernarg_preload_offset 0
		.amdhsa_user_sgpr_private_segment_size 0
		.amdhsa_wavefront_size32 1
		.amdhsa_uses_dynamic_stack 0
		.amdhsa_enable_private_segment 0
		.amdhsa_system_sgpr_workgroup_id_x 1
		.amdhsa_system_sgpr_workgroup_id_y 0
		.amdhsa_system_sgpr_workgroup_id_z 0
		.amdhsa_system_sgpr_workgroup_info 0
		.amdhsa_system_vgpr_workitem_id 0
		.amdhsa_next_free_vgpr 1
		.amdhsa_next_free_sgpr 1
		.amdhsa_named_barrier_count 0
		.amdhsa_reserve_vcc 0
		.amdhsa_float_round_mode_32 0
		.amdhsa_float_round_mode_16_64 0
		.amdhsa_float_denorm_mode_32 3
		.amdhsa_float_denorm_mode_16_64 3
		.amdhsa_fp16_overflow 0
		.amdhsa_memory_ordered 1
		.amdhsa_forward_progress 1
		.amdhsa_inst_pref_size 0
		.amdhsa_round_robin_scheduling 0
		.amdhsa_exception_fp_ieee_invalid_op 0
		.amdhsa_exception_fp_denorm_src 0
		.amdhsa_exception_fp_ieee_div_zero 0
		.amdhsa_exception_fp_ieee_overflow 0
		.amdhsa_exception_fp_ieee_underflow 0
		.amdhsa_exception_fp_ieee_inexact 0
		.amdhsa_exception_int_div_zero 0
	.end_amdhsa_kernel
	.section	.text._ZN7rocprim17ROCPRIM_400000_NS6detail17trampoline_kernelINS0_14default_configENS1_27scan_by_key_config_selectorIixEEZZNS1_16scan_by_key_implILNS1_25lookback_scan_determinismE0ELb0ES3_N6thrust23THRUST_200600_302600_NS6detail15normal_iteratorINS9_10device_ptrIiEEEENSB_INSC_IxEEEESG_xNS9_4plusIvEENS9_8equal_toIvEExEE10hipError_tPvRmT2_T3_T4_T5_mT6_T7_P12ihipStream_tbENKUlT_T0_E_clISt17integral_constantIbLb0EES11_EEDaSW_SX_EUlSW_E_NS1_11comp_targetILNS1_3genE10ELNS1_11target_archE1201ELNS1_3gpuE5ELNS1_3repE0EEENS1_30default_config_static_selectorELNS0_4arch9wavefront6targetE0EEEvT1_,"axG",@progbits,_ZN7rocprim17ROCPRIM_400000_NS6detail17trampoline_kernelINS0_14default_configENS1_27scan_by_key_config_selectorIixEEZZNS1_16scan_by_key_implILNS1_25lookback_scan_determinismE0ELb0ES3_N6thrust23THRUST_200600_302600_NS6detail15normal_iteratorINS9_10device_ptrIiEEEENSB_INSC_IxEEEESG_xNS9_4plusIvEENS9_8equal_toIvEExEE10hipError_tPvRmT2_T3_T4_T5_mT6_T7_P12ihipStream_tbENKUlT_T0_E_clISt17integral_constantIbLb0EES11_EEDaSW_SX_EUlSW_E_NS1_11comp_targetILNS1_3genE10ELNS1_11target_archE1201ELNS1_3gpuE5ELNS1_3repE0EEENS1_30default_config_static_selectorELNS0_4arch9wavefront6targetE0EEEvT1_,comdat
.Lfunc_end1312:
	.size	_ZN7rocprim17ROCPRIM_400000_NS6detail17trampoline_kernelINS0_14default_configENS1_27scan_by_key_config_selectorIixEEZZNS1_16scan_by_key_implILNS1_25lookback_scan_determinismE0ELb0ES3_N6thrust23THRUST_200600_302600_NS6detail15normal_iteratorINS9_10device_ptrIiEEEENSB_INSC_IxEEEESG_xNS9_4plusIvEENS9_8equal_toIvEExEE10hipError_tPvRmT2_T3_T4_T5_mT6_T7_P12ihipStream_tbENKUlT_T0_E_clISt17integral_constantIbLb0EES11_EEDaSW_SX_EUlSW_E_NS1_11comp_targetILNS1_3genE10ELNS1_11target_archE1201ELNS1_3gpuE5ELNS1_3repE0EEENS1_30default_config_static_selectorELNS0_4arch9wavefront6targetE0EEEvT1_, .Lfunc_end1312-_ZN7rocprim17ROCPRIM_400000_NS6detail17trampoline_kernelINS0_14default_configENS1_27scan_by_key_config_selectorIixEEZZNS1_16scan_by_key_implILNS1_25lookback_scan_determinismE0ELb0ES3_N6thrust23THRUST_200600_302600_NS6detail15normal_iteratorINS9_10device_ptrIiEEEENSB_INSC_IxEEEESG_xNS9_4plusIvEENS9_8equal_toIvEExEE10hipError_tPvRmT2_T3_T4_T5_mT6_T7_P12ihipStream_tbENKUlT_T0_E_clISt17integral_constantIbLb0EES11_EEDaSW_SX_EUlSW_E_NS1_11comp_targetILNS1_3genE10ELNS1_11target_archE1201ELNS1_3gpuE5ELNS1_3repE0EEENS1_30default_config_static_selectorELNS0_4arch9wavefront6targetE0EEEvT1_
                                        ; -- End function
	.set _ZN7rocprim17ROCPRIM_400000_NS6detail17trampoline_kernelINS0_14default_configENS1_27scan_by_key_config_selectorIixEEZZNS1_16scan_by_key_implILNS1_25lookback_scan_determinismE0ELb0ES3_N6thrust23THRUST_200600_302600_NS6detail15normal_iteratorINS9_10device_ptrIiEEEENSB_INSC_IxEEEESG_xNS9_4plusIvEENS9_8equal_toIvEExEE10hipError_tPvRmT2_T3_T4_T5_mT6_T7_P12ihipStream_tbENKUlT_T0_E_clISt17integral_constantIbLb0EES11_EEDaSW_SX_EUlSW_E_NS1_11comp_targetILNS1_3genE10ELNS1_11target_archE1201ELNS1_3gpuE5ELNS1_3repE0EEENS1_30default_config_static_selectorELNS0_4arch9wavefront6targetE0EEEvT1_.num_vgpr, 0
	.set _ZN7rocprim17ROCPRIM_400000_NS6detail17trampoline_kernelINS0_14default_configENS1_27scan_by_key_config_selectorIixEEZZNS1_16scan_by_key_implILNS1_25lookback_scan_determinismE0ELb0ES3_N6thrust23THRUST_200600_302600_NS6detail15normal_iteratorINS9_10device_ptrIiEEEENSB_INSC_IxEEEESG_xNS9_4plusIvEENS9_8equal_toIvEExEE10hipError_tPvRmT2_T3_T4_T5_mT6_T7_P12ihipStream_tbENKUlT_T0_E_clISt17integral_constantIbLb0EES11_EEDaSW_SX_EUlSW_E_NS1_11comp_targetILNS1_3genE10ELNS1_11target_archE1201ELNS1_3gpuE5ELNS1_3repE0EEENS1_30default_config_static_selectorELNS0_4arch9wavefront6targetE0EEEvT1_.num_agpr, 0
	.set _ZN7rocprim17ROCPRIM_400000_NS6detail17trampoline_kernelINS0_14default_configENS1_27scan_by_key_config_selectorIixEEZZNS1_16scan_by_key_implILNS1_25lookback_scan_determinismE0ELb0ES3_N6thrust23THRUST_200600_302600_NS6detail15normal_iteratorINS9_10device_ptrIiEEEENSB_INSC_IxEEEESG_xNS9_4plusIvEENS9_8equal_toIvEExEE10hipError_tPvRmT2_T3_T4_T5_mT6_T7_P12ihipStream_tbENKUlT_T0_E_clISt17integral_constantIbLb0EES11_EEDaSW_SX_EUlSW_E_NS1_11comp_targetILNS1_3genE10ELNS1_11target_archE1201ELNS1_3gpuE5ELNS1_3repE0EEENS1_30default_config_static_selectorELNS0_4arch9wavefront6targetE0EEEvT1_.numbered_sgpr, 0
	.set _ZN7rocprim17ROCPRIM_400000_NS6detail17trampoline_kernelINS0_14default_configENS1_27scan_by_key_config_selectorIixEEZZNS1_16scan_by_key_implILNS1_25lookback_scan_determinismE0ELb0ES3_N6thrust23THRUST_200600_302600_NS6detail15normal_iteratorINS9_10device_ptrIiEEEENSB_INSC_IxEEEESG_xNS9_4plusIvEENS9_8equal_toIvEExEE10hipError_tPvRmT2_T3_T4_T5_mT6_T7_P12ihipStream_tbENKUlT_T0_E_clISt17integral_constantIbLb0EES11_EEDaSW_SX_EUlSW_E_NS1_11comp_targetILNS1_3genE10ELNS1_11target_archE1201ELNS1_3gpuE5ELNS1_3repE0EEENS1_30default_config_static_selectorELNS0_4arch9wavefront6targetE0EEEvT1_.num_named_barrier, 0
	.set _ZN7rocprim17ROCPRIM_400000_NS6detail17trampoline_kernelINS0_14default_configENS1_27scan_by_key_config_selectorIixEEZZNS1_16scan_by_key_implILNS1_25lookback_scan_determinismE0ELb0ES3_N6thrust23THRUST_200600_302600_NS6detail15normal_iteratorINS9_10device_ptrIiEEEENSB_INSC_IxEEEESG_xNS9_4plusIvEENS9_8equal_toIvEExEE10hipError_tPvRmT2_T3_T4_T5_mT6_T7_P12ihipStream_tbENKUlT_T0_E_clISt17integral_constantIbLb0EES11_EEDaSW_SX_EUlSW_E_NS1_11comp_targetILNS1_3genE10ELNS1_11target_archE1201ELNS1_3gpuE5ELNS1_3repE0EEENS1_30default_config_static_selectorELNS0_4arch9wavefront6targetE0EEEvT1_.private_seg_size, 0
	.set _ZN7rocprim17ROCPRIM_400000_NS6detail17trampoline_kernelINS0_14default_configENS1_27scan_by_key_config_selectorIixEEZZNS1_16scan_by_key_implILNS1_25lookback_scan_determinismE0ELb0ES3_N6thrust23THRUST_200600_302600_NS6detail15normal_iteratorINS9_10device_ptrIiEEEENSB_INSC_IxEEEESG_xNS9_4plusIvEENS9_8equal_toIvEExEE10hipError_tPvRmT2_T3_T4_T5_mT6_T7_P12ihipStream_tbENKUlT_T0_E_clISt17integral_constantIbLb0EES11_EEDaSW_SX_EUlSW_E_NS1_11comp_targetILNS1_3genE10ELNS1_11target_archE1201ELNS1_3gpuE5ELNS1_3repE0EEENS1_30default_config_static_selectorELNS0_4arch9wavefront6targetE0EEEvT1_.uses_vcc, 0
	.set _ZN7rocprim17ROCPRIM_400000_NS6detail17trampoline_kernelINS0_14default_configENS1_27scan_by_key_config_selectorIixEEZZNS1_16scan_by_key_implILNS1_25lookback_scan_determinismE0ELb0ES3_N6thrust23THRUST_200600_302600_NS6detail15normal_iteratorINS9_10device_ptrIiEEEENSB_INSC_IxEEEESG_xNS9_4plusIvEENS9_8equal_toIvEExEE10hipError_tPvRmT2_T3_T4_T5_mT6_T7_P12ihipStream_tbENKUlT_T0_E_clISt17integral_constantIbLb0EES11_EEDaSW_SX_EUlSW_E_NS1_11comp_targetILNS1_3genE10ELNS1_11target_archE1201ELNS1_3gpuE5ELNS1_3repE0EEENS1_30default_config_static_selectorELNS0_4arch9wavefront6targetE0EEEvT1_.uses_flat_scratch, 0
	.set _ZN7rocprim17ROCPRIM_400000_NS6detail17trampoline_kernelINS0_14default_configENS1_27scan_by_key_config_selectorIixEEZZNS1_16scan_by_key_implILNS1_25lookback_scan_determinismE0ELb0ES3_N6thrust23THRUST_200600_302600_NS6detail15normal_iteratorINS9_10device_ptrIiEEEENSB_INSC_IxEEEESG_xNS9_4plusIvEENS9_8equal_toIvEExEE10hipError_tPvRmT2_T3_T4_T5_mT6_T7_P12ihipStream_tbENKUlT_T0_E_clISt17integral_constantIbLb0EES11_EEDaSW_SX_EUlSW_E_NS1_11comp_targetILNS1_3genE10ELNS1_11target_archE1201ELNS1_3gpuE5ELNS1_3repE0EEENS1_30default_config_static_selectorELNS0_4arch9wavefront6targetE0EEEvT1_.has_dyn_sized_stack, 0
	.set _ZN7rocprim17ROCPRIM_400000_NS6detail17trampoline_kernelINS0_14default_configENS1_27scan_by_key_config_selectorIixEEZZNS1_16scan_by_key_implILNS1_25lookback_scan_determinismE0ELb0ES3_N6thrust23THRUST_200600_302600_NS6detail15normal_iteratorINS9_10device_ptrIiEEEENSB_INSC_IxEEEESG_xNS9_4plusIvEENS9_8equal_toIvEExEE10hipError_tPvRmT2_T3_T4_T5_mT6_T7_P12ihipStream_tbENKUlT_T0_E_clISt17integral_constantIbLb0EES11_EEDaSW_SX_EUlSW_E_NS1_11comp_targetILNS1_3genE10ELNS1_11target_archE1201ELNS1_3gpuE5ELNS1_3repE0EEENS1_30default_config_static_selectorELNS0_4arch9wavefront6targetE0EEEvT1_.has_recursion, 0
	.set _ZN7rocprim17ROCPRIM_400000_NS6detail17trampoline_kernelINS0_14default_configENS1_27scan_by_key_config_selectorIixEEZZNS1_16scan_by_key_implILNS1_25lookback_scan_determinismE0ELb0ES3_N6thrust23THRUST_200600_302600_NS6detail15normal_iteratorINS9_10device_ptrIiEEEENSB_INSC_IxEEEESG_xNS9_4plusIvEENS9_8equal_toIvEExEE10hipError_tPvRmT2_T3_T4_T5_mT6_T7_P12ihipStream_tbENKUlT_T0_E_clISt17integral_constantIbLb0EES11_EEDaSW_SX_EUlSW_E_NS1_11comp_targetILNS1_3genE10ELNS1_11target_archE1201ELNS1_3gpuE5ELNS1_3repE0EEENS1_30default_config_static_selectorELNS0_4arch9wavefront6targetE0EEEvT1_.has_indirect_call, 0
	.section	.AMDGPU.csdata,"",@progbits
; Kernel info:
; codeLenInByte = 0
; TotalNumSgprs: 0
; NumVgprs: 0
; ScratchSize: 0
; MemoryBound: 0
; FloatMode: 240
; IeeeMode: 1
; LDSByteSize: 0 bytes/workgroup (compile time only)
; SGPRBlocks: 0
; VGPRBlocks: 0
; NumSGPRsForWavesPerEU: 1
; NumVGPRsForWavesPerEU: 1
; NamedBarCnt: 0
; Occupancy: 16
; WaveLimiterHint : 0
; COMPUTE_PGM_RSRC2:SCRATCH_EN: 0
; COMPUTE_PGM_RSRC2:USER_SGPR: 2
; COMPUTE_PGM_RSRC2:TRAP_HANDLER: 0
; COMPUTE_PGM_RSRC2:TGID_X_EN: 1
; COMPUTE_PGM_RSRC2:TGID_Y_EN: 0
; COMPUTE_PGM_RSRC2:TGID_Z_EN: 0
; COMPUTE_PGM_RSRC2:TIDIG_COMP_CNT: 0
	.section	.text._ZN7rocprim17ROCPRIM_400000_NS6detail17trampoline_kernelINS0_14default_configENS1_27scan_by_key_config_selectorIixEEZZNS1_16scan_by_key_implILNS1_25lookback_scan_determinismE0ELb0ES3_N6thrust23THRUST_200600_302600_NS6detail15normal_iteratorINS9_10device_ptrIiEEEENSB_INSC_IxEEEESG_xNS9_4plusIvEENS9_8equal_toIvEExEE10hipError_tPvRmT2_T3_T4_T5_mT6_T7_P12ihipStream_tbENKUlT_T0_E_clISt17integral_constantIbLb0EES11_EEDaSW_SX_EUlSW_E_NS1_11comp_targetILNS1_3genE5ELNS1_11target_archE942ELNS1_3gpuE9ELNS1_3repE0EEENS1_30default_config_static_selectorELNS0_4arch9wavefront6targetE0EEEvT1_,"axG",@progbits,_ZN7rocprim17ROCPRIM_400000_NS6detail17trampoline_kernelINS0_14default_configENS1_27scan_by_key_config_selectorIixEEZZNS1_16scan_by_key_implILNS1_25lookback_scan_determinismE0ELb0ES3_N6thrust23THRUST_200600_302600_NS6detail15normal_iteratorINS9_10device_ptrIiEEEENSB_INSC_IxEEEESG_xNS9_4plusIvEENS9_8equal_toIvEExEE10hipError_tPvRmT2_T3_T4_T5_mT6_T7_P12ihipStream_tbENKUlT_T0_E_clISt17integral_constantIbLb0EES11_EEDaSW_SX_EUlSW_E_NS1_11comp_targetILNS1_3genE5ELNS1_11target_archE942ELNS1_3gpuE9ELNS1_3repE0EEENS1_30default_config_static_selectorELNS0_4arch9wavefront6targetE0EEEvT1_,comdat
	.protected	_ZN7rocprim17ROCPRIM_400000_NS6detail17trampoline_kernelINS0_14default_configENS1_27scan_by_key_config_selectorIixEEZZNS1_16scan_by_key_implILNS1_25lookback_scan_determinismE0ELb0ES3_N6thrust23THRUST_200600_302600_NS6detail15normal_iteratorINS9_10device_ptrIiEEEENSB_INSC_IxEEEESG_xNS9_4plusIvEENS9_8equal_toIvEExEE10hipError_tPvRmT2_T3_T4_T5_mT6_T7_P12ihipStream_tbENKUlT_T0_E_clISt17integral_constantIbLb0EES11_EEDaSW_SX_EUlSW_E_NS1_11comp_targetILNS1_3genE5ELNS1_11target_archE942ELNS1_3gpuE9ELNS1_3repE0EEENS1_30default_config_static_selectorELNS0_4arch9wavefront6targetE0EEEvT1_ ; -- Begin function _ZN7rocprim17ROCPRIM_400000_NS6detail17trampoline_kernelINS0_14default_configENS1_27scan_by_key_config_selectorIixEEZZNS1_16scan_by_key_implILNS1_25lookback_scan_determinismE0ELb0ES3_N6thrust23THRUST_200600_302600_NS6detail15normal_iteratorINS9_10device_ptrIiEEEENSB_INSC_IxEEEESG_xNS9_4plusIvEENS9_8equal_toIvEExEE10hipError_tPvRmT2_T3_T4_T5_mT6_T7_P12ihipStream_tbENKUlT_T0_E_clISt17integral_constantIbLb0EES11_EEDaSW_SX_EUlSW_E_NS1_11comp_targetILNS1_3genE5ELNS1_11target_archE942ELNS1_3gpuE9ELNS1_3repE0EEENS1_30default_config_static_selectorELNS0_4arch9wavefront6targetE0EEEvT1_
	.globl	_ZN7rocprim17ROCPRIM_400000_NS6detail17trampoline_kernelINS0_14default_configENS1_27scan_by_key_config_selectorIixEEZZNS1_16scan_by_key_implILNS1_25lookback_scan_determinismE0ELb0ES3_N6thrust23THRUST_200600_302600_NS6detail15normal_iteratorINS9_10device_ptrIiEEEENSB_INSC_IxEEEESG_xNS9_4plusIvEENS9_8equal_toIvEExEE10hipError_tPvRmT2_T3_T4_T5_mT6_T7_P12ihipStream_tbENKUlT_T0_E_clISt17integral_constantIbLb0EES11_EEDaSW_SX_EUlSW_E_NS1_11comp_targetILNS1_3genE5ELNS1_11target_archE942ELNS1_3gpuE9ELNS1_3repE0EEENS1_30default_config_static_selectorELNS0_4arch9wavefront6targetE0EEEvT1_
	.p2align	8
	.type	_ZN7rocprim17ROCPRIM_400000_NS6detail17trampoline_kernelINS0_14default_configENS1_27scan_by_key_config_selectorIixEEZZNS1_16scan_by_key_implILNS1_25lookback_scan_determinismE0ELb0ES3_N6thrust23THRUST_200600_302600_NS6detail15normal_iteratorINS9_10device_ptrIiEEEENSB_INSC_IxEEEESG_xNS9_4plusIvEENS9_8equal_toIvEExEE10hipError_tPvRmT2_T3_T4_T5_mT6_T7_P12ihipStream_tbENKUlT_T0_E_clISt17integral_constantIbLb0EES11_EEDaSW_SX_EUlSW_E_NS1_11comp_targetILNS1_3genE5ELNS1_11target_archE942ELNS1_3gpuE9ELNS1_3repE0EEENS1_30default_config_static_selectorELNS0_4arch9wavefront6targetE0EEEvT1_,@function
_ZN7rocprim17ROCPRIM_400000_NS6detail17trampoline_kernelINS0_14default_configENS1_27scan_by_key_config_selectorIixEEZZNS1_16scan_by_key_implILNS1_25lookback_scan_determinismE0ELb0ES3_N6thrust23THRUST_200600_302600_NS6detail15normal_iteratorINS9_10device_ptrIiEEEENSB_INSC_IxEEEESG_xNS9_4plusIvEENS9_8equal_toIvEExEE10hipError_tPvRmT2_T3_T4_T5_mT6_T7_P12ihipStream_tbENKUlT_T0_E_clISt17integral_constantIbLb0EES11_EEDaSW_SX_EUlSW_E_NS1_11comp_targetILNS1_3genE5ELNS1_11target_archE942ELNS1_3gpuE9ELNS1_3repE0EEENS1_30default_config_static_selectorELNS0_4arch9wavefront6targetE0EEEvT1_: ; @_ZN7rocprim17ROCPRIM_400000_NS6detail17trampoline_kernelINS0_14default_configENS1_27scan_by_key_config_selectorIixEEZZNS1_16scan_by_key_implILNS1_25lookback_scan_determinismE0ELb0ES3_N6thrust23THRUST_200600_302600_NS6detail15normal_iteratorINS9_10device_ptrIiEEEENSB_INSC_IxEEEESG_xNS9_4plusIvEENS9_8equal_toIvEExEE10hipError_tPvRmT2_T3_T4_T5_mT6_T7_P12ihipStream_tbENKUlT_T0_E_clISt17integral_constantIbLb0EES11_EEDaSW_SX_EUlSW_E_NS1_11comp_targetILNS1_3genE5ELNS1_11target_archE942ELNS1_3gpuE9ELNS1_3repE0EEENS1_30default_config_static_selectorELNS0_4arch9wavefront6targetE0EEEvT1_
; %bb.0:
	.section	.rodata,"a",@progbits
	.p2align	6, 0x0
	.amdhsa_kernel _ZN7rocprim17ROCPRIM_400000_NS6detail17trampoline_kernelINS0_14default_configENS1_27scan_by_key_config_selectorIixEEZZNS1_16scan_by_key_implILNS1_25lookback_scan_determinismE0ELb0ES3_N6thrust23THRUST_200600_302600_NS6detail15normal_iteratorINS9_10device_ptrIiEEEENSB_INSC_IxEEEESG_xNS9_4plusIvEENS9_8equal_toIvEExEE10hipError_tPvRmT2_T3_T4_T5_mT6_T7_P12ihipStream_tbENKUlT_T0_E_clISt17integral_constantIbLb0EES11_EEDaSW_SX_EUlSW_E_NS1_11comp_targetILNS1_3genE5ELNS1_11target_archE942ELNS1_3gpuE9ELNS1_3repE0EEENS1_30default_config_static_selectorELNS0_4arch9wavefront6targetE0EEEvT1_
		.amdhsa_group_segment_fixed_size 0
		.amdhsa_private_segment_fixed_size 0
		.amdhsa_kernarg_size 136
		.amdhsa_user_sgpr_count 2
		.amdhsa_user_sgpr_dispatch_ptr 0
		.amdhsa_user_sgpr_queue_ptr 0
		.amdhsa_user_sgpr_kernarg_segment_ptr 1
		.amdhsa_user_sgpr_dispatch_id 0
		.amdhsa_user_sgpr_kernarg_preload_length 0
		.amdhsa_user_sgpr_kernarg_preload_offset 0
		.amdhsa_user_sgpr_private_segment_size 0
		.amdhsa_wavefront_size32 1
		.amdhsa_uses_dynamic_stack 0
		.amdhsa_enable_private_segment 0
		.amdhsa_system_sgpr_workgroup_id_x 1
		.amdhsa_system_sgpr_workgroup_id_y 0
		.amdhsa_system_sgpr_workgroup_id_z 0
		.amdhsa_system_sgpr_workgroup_info 0
		.amdhsa_system_vgpr_workitem_id 0
		.amdhsa_next_free_vgpr 1
		.amdhsa_next_free_sgpr 1
		.amdhsa_named_barrier_count 0
		.amdhsa_reserve_vcc 0
		.amdhsa_float_round_mode_32 0
		.amdhsa_float_round_mode_16_64 0
		.amdhsa_float_denorm_mode_32 3
		.amdhsa_float_denorm_mode_16_64 3
		.amdhsa_fp16_overflow 0
		.amdhsa_memory_ordered 1
		.amdhsa_forward_progress 1
		.amdhsa_inst_pref_size 0
		.amdhsa_round_robin_scheduling 0
		.amdhsa_exception_fp_ieee_invalid_op 0
		.amdhsa_exception_fp_denorm_src 0
		.amdhsa_exception_fp_ieee_div_zero 0
		.amdhsa_exception_fp_ieee_overflow 0
		.amdhsa_exception_fp_ieee_underflow 0
		.amdhsa_exception_fp_ieee_inexact 0
		.amdhsa_exception_int_div_zero 0
	.end_amdhsa_kernel
	.section	.text._ZN7rocprim17ROCPRIM_400000_NS6detail17trampoline_kernelINS0_14default_configENS1_27scan_by_key_config_selectorIixEEZZNS1_16scan_by_key_implILNS1_25lookback_scan_determinismE0ELb0ES3_N6thrust23THRUST_200600_302600_NS6detail15normal_iteratorINS9_10device_ptrIiEEEENSB_INSC_IxEEEESG_xNS9_4plusIvEENS9_8equal_toIvEExEE10hipError_tPvRmT2_T3_T4_T5_mT6_T7_P12ihipStream_tbENKUlT_T0_E_clISt17integral_constantIbLb0EES11_EEDaSW_SX_EUlSW_E_NS1_11comp_targetILNS1_3genE5ELNS1_11target_archE942ELNS1_3gpuE9ELNS1_3repE0EEENS1_30default_config_static_selectorELNS0_4arch9wavefront6targetE0EEEvT1_,"axG",@progbits,_ZN7rocprim17ROCPRIM_400000_NS6detail17trampoline_kernelINS0_14default_configENS1_27scan_by_key_config_selectorIixEEZZNS1_16scan_by_key_implILNS1_25lookback_scan_determinismE0ELb0ES3_N6thrust23THRUST_200600_302600_NS6detail15normal_iteratorINS9_10device_ptrIiEEEENSB_INSC_IxEEEESG_xNS9_4plusIvEENS9_8equal_toIvEExEE10hipError_tPvRmT2_T3_T4_T5_mT6_T7_P12ihipStream_tbENKUlT_T0_E_clISt17integral_constantIbLb0EES11_EEDaSW_SX_EUlSW_E_NS1_11comp_targetILNS1_3genE5ELNS1_11target_archE942ELNS1_3gpuE9ELNS1_3repE0EEENS1_30default_config_static_selectorELNS0_4arch9wavefront6targetE0EEEvT1_,comdat
.Lfunc_end1313:
	.size	_ZN7rocprim17ROCPRIM_400000_NS6detail17trampoline_kernelINS0_14default_configENS1_27scan_by_key_config_selectorIixEEZZNS1_16scan_by_key_implILNS1_25lookback_scan_determinismE0ELb0ES3_N6thrust23THRUST_200600_302600_NS6detail15normal_iteratorINS9_10device_ptrIiEEEENSB_INSC_IxEEEESG_xNS9_4plusIvEENS9_8equal_toIvEExEE10hipError_tPvRmT2_T3_T4_T5_mT6_T7_P12ihipStream_tbENKUlT_T0_E_clISt17integral_constantIbLb0EES11_EEDaSW_SX_EUlSW_E_NS1_11comp_targetILNS1_3genE5ELNS1_11target_archE942ELNS1_3gpuE9ELNS1_3repE0EEENS1_30default_config_static_selectorELNS0_4arch9wavefront6targetE0EEEvT1_, .Lfunc_end1313-_ZN7rocprim17ROCPRIM_400000_NS6detail17trampoline_kernelINS0_14default_configENS1_27scan_by_key_config_selectorIixEEZZNS1_16scan_by_key_implILNS1_25lookback_scan_determinismE0ELb0ES3_N6thrust23THRUST_200600_302600_NS6detail15normal_iteratorINS9_10device_ptrIiEEEENSB_INSC_IxEEEESG_xNS9_4plusIvEENS9_8equal_toIvEExEE10hipError_tPvRmT2_T3_T4_T5_mT6_T7_P12ihipStream_tbENKUlT_T0_E_clISt17integral_constantIbLb0EES11_EEDaSW_SX_EUlSW_E_NS1_11comp_targetILNS1_3genE5ELNS1_11target_archE942ELNS1_3gpuE9ELNS1_3repE0EEENS1_30default_config_static_selectorELNS0_4arch9wavefront6targetE0EEEvT1_
                                        ; -- End function
	.set _ZN7rocprim17ROCPRIM_400000_NS6detail17trampoline_kernelINS0_14default_configENS1_27scan_by_key_config_selectorIixEEZZNS1_16scan_by_key_implILNS1_25lookback_scan_determinismE0ELb0ES3_N6thrust23THRUST_200600_302600_NS6detail15normal_iteratorINS9_10device_ptrIiEEEENSB_INSC_IxEEEESG_xNS9_4plusIvEENS9_8equal_toIvEExEE10hipError_tPvRmT2_T3_T4_T5_mT6_T7_P12ihipStream_tbENKUlT_T0_E_clISt17integral_constantIbLb0EES11_EEDaSW_SX_EUlSW_E_NS1_11comp_targetILNS1_3genE5ELNS1_11target_archE942ELNS1_3gpuE9ELNS1_3repE0EEENS1_30default_config_static_selectorELNS0_4arch9wavefront6targetE0EEEvT1_.num_vgpr, 0
	.set _ZN7rocprim17ROCPRIM_400000_NS6detail17trampoline_kernelINS0_14default_configENS1_27scan_by_key_config_selectorIixEEZZNS1_16scan_by_key_implILNS1_25lookback_scan_determinismE0ELb0ES3_N6thrust23THRUST_200600_302600_NS6detail15normal_iteratorINS9_10device_ptrIiEEEENSB_INSC_IxEEEESG_xNS9_4plusIvEENS9_8equal_toIvEExEE10hipError_tPvRmT2_T3_T4_T5_mT6_T7_P12ihipStream_tbENKUlT_T0_E_clISt17integral_constantIbLb0EES11_EEDaSW_SX_EUlSW_E_NS1_11comp_targetILNS1_3genE5ELNS1_11target_archE942ELNS1_3gpuE9ELNS1_3repE0EEENS1_30default_config_static_selectorELNS0_4arch9wavefront6targetE0EEEvT1_.num_agpr, 0
	.set _ZN7rocprim17ROCPRIM_400000_NS6detail17trampoline_kernelINS0_14default_configENS1_27scan_by_key_config_selectorIixEEZZNS1_16scan_by_key_implILNS1_25lookback_scan_determinismE0ELb0ES3_N6thrust23THRUST_200600_302600_NS6detail15normal_iteratorINS9_10device_ptrIiEEEENSB_INSC_IxEEEESG_xNS9_4plusIvEENS9_8equal_toIvEExEE10hipError_tPvRmT2_T3_T4_T5_mT6_T7_P12ihipStream_tbENKUlT_T0_E_clISt17integral_constantIbLb0EES11_EEDaSW_SX_EUlSW_E_NS1_11comp_targetILNS1_3genE5ELNS1_11target_archE942ELNS1_3gpuE9ELNS1_3repE0EEENS1_30default_config_static_selectorELNS0_4arch9wavefront6targetE0EEEvT1_.numbered_sgpr, 0
	.set _ZN7rocprim17ROCPRIM_400000_NS6detail17trampoline_kernelINS0_14default_configENS1_27scan_by_key_config_selectorIixEEZZNS1_16scan_by_key_implILNS1_25lookback_scan_determinismE0ELb0ES3_N6thrust23THRUST_200600_302600_NS6detail15normal_iteratorINS9_10device_ptrIiEEEENSB_INSC_IxEEEESG_xNS9_4plusIvEENS9_8equal_toIvEExEE10hipError_tPvRmT2_T3_T4_T5_mT6_T7_P12ihipStream_tbENKUlT_T0_E_clISt17integral_constantIbLb0EES11_EEDaSW_SX_EUlSW_E_NS1_11comp_targetILNS1_3genE5ELNS1_11target_archE942ELNS1_3gpuE9ELNS1_3repE0EEENS1_30default_config_static_selectorELNS0_4arch9wavefront6targetE0EEEvT1_.num_named_barrier, 0
	.set _ZN7rocprim17ROCPRIM_400000_NS6detail17trampoline_kernelINS0_14default_configENS1_27scan_by_key_config_selectorIixEEZZNS1_16scan_by_key_implILNS1_25lookback_scan_determinismE0ELb0ES3_N6thrust23THRUST_200600_302600_NS6detail15normal_iteratorINS9_10device_ptrIiEEEENSB_INSC_IxEEEESG_xNS9_4plusIvEENS9_8equal_toIvEExEE10hipError_tPvRmT2_T3_T4_T5_mT6_T7_P12ihipStream_tbENKUlT_T0_E_clISt17integral_constantIbLb0EES11_EEDaSW_SX_EUlSW_E_NS1_11comp_targetILNS1_3genE5ELNS1_11target_archE942ELNS1_3gpuE9ELNS1_3repE0EEENS1_30default_config_static_selectorELNS0_4arch9wavefront6targetE0EEEvT1_.private_seg_size, 0
	.set _ZN7rocprim17ROCPRIM_400000_NS6detail17trampoline_kernelINS0_14default_configENS1_27scan_by_key_config_selectorIixEEZZNS1_16scan_by_key_implILNS1_25lookback_scan_determinismE0ELb0ES3_N6thrust23THRUST_200600_302600_NS6detail15normal_iteratorINS9_10device_ptrIiEEEENSB_INSC_IxEEEESG_xNS9_4plusIvEENS9_8equal_toIvEExEE10hipError_tPvRmT2_T3_T4_T5_mT6_T7_P12ihipStream_tbENKUlT_T0_E_clISt17integral_constantIbLb0EES11_EEDaSW_SX_EUlSW_E_NS1_11comp_targetILNS1_3genE5ELNS1_11target_archE942ELNS1_3gpuE9ELNS1_3repE0EEENS1_30default_config_static_selectorELNS0_4arch9wavefront6targetE0EEEvT1_.uses_vcc, 0
	.set _ZN7rocprim17ROCPRIM_400000_NS6detail17trampoline_kernelINS0_14default_configENS1_27scan_by_key_config_selectorIixEEZZNS1_16scan_by_key_implILNS1_25lookback_scan_determinismE0ELb0ES3_N6thrust23THRUST_200600_302600_NS6detail15normal_iteratorINS9_10device_ptrIiEEEENSB_INSC_IxEEEESG_xNS9_4plusIvEENS9_8equal_toIvEExEE10hipError_tPvRmT2_T3_T4_T5_mT6_T7_P12ihipStream_tbENKUlT_T0_E_clISt17integral_constantIbLb0EES11_EEDaSW_SX_EUlSW_E_NS1_11comp_targetILNS1_3genE5ELNS1_11target_archE942ELNS1_3gpuE9ELNS1_3repE0EEENS1_30default_config_static_selectorELNS0_4arch9wavefront6targetE0EEEvT1_.uses_flat_scratch, 0
	.set _ZN7rocprim17ROCPRIM_400000_NS6detail17trampoline_kernelINS0_14default_configENS1_27scan_by_key_config_selectorIixEEZZNS1_16scan_by_key_implILNS1_25lookback_scan_determinismE0ELb0ES3_N6thrust23THRUST_200600_302600_NS6detail15normal_iteratorINS9_10device_ptrIiEEEENSB_INSC_IxEEEESG_xNS9_4plusIvEENS9_8equal_toIvEExEE10hipError_tPvRmT2_T3_T4_T5_mT6_T7_P12ihipStream_tbENKUlT_T0_E_clISt17integral_constantIbLb0EES11_EEDaSW_SX_EUlSW_E_NS1_11comp_targetILNS1_3genE5ELNS1_11target_archE942ELNS1_3gpuE9ELNS1_3repE0EEENS1_30default_config_static_selectorELNS0_4arch9wavefront6targetE0EEEvT1_.has_dyn_sized_stack, 0
	.set _ZN7rocprim17ROCPRIM_400000_NS6detail17trampoline_kernelINS0_14default_configENS1_27scan_by_key_config_selectorIixEEZZNS1_16scan_by_key_implILNS1_25lookback_scan_determinismE0ELb0ES3_N6thrust23THRUST_200600_302600_NS6detail15normal_iteratorINS9_10device_ptrIiEEEENSB_INSC_IxEEEESG_xNS9_4plusIvEENS9_8equal_toIvEExEE10hipError_tPvRmT2_T3_T4_T5_mT6_T7_P12ihipStream_tbENKUlT_T0_E_clISt17integral_constantIbLb0EES11_EEDaSW_SX_EUlSW_E_NS1_11comp_targetILNS1_3genE5ELNS1_11target_archE942ELNS1_3gpuE9ELNS1_3repE0EEENS1_30default_config_static_selectorELNS0_4arch9wavefront6targetE0EEEvT1_.has_recursion, 0
	.set _ZN7rocprim17ROCPRIM_400000_NS6detail17trampoline_kernelINS0_14default_configENS1_27scan_by_key_config_selectorIixEEZZNS1_16scan_by_key_implILNS1_25lookback_scan_determinismE0ELb0ES3_N6thrust23THRUST_200600_302600_NS6detail15normal_iteratorINS9_10device_ptrIiEEEENSB_INSC_IxEEEESG_xNS9_4plusIvEENS9_8equal_toIvEExEE10hipError_tPvRmT2_T3_T4_T5_mT6_T7_P12ihipStream_tbENKUlT_T0_E_clISt17integral_constantIbLb0EES11_EEDaSW_SX_EUlSW_E_NS1_11comp_targetILNS1_3genE5ELNS1_11target_archE942ELNS1_3gpuE9ELNS1_3repE0EEENS1_30default_config_static_selectorELNS0_4arch9wavefront6targetE0EEEvT1_.has_indirect_call, 0
	.section	.AMDGPU.csdata,"",@progbits
; Kernel info:
; codeLenInByte = 0
; TotalNumSgprs: 0
; NumVgprs: 0
; ScratchSize: 0
; MemoryBound: 0
; FloatMode: 240
; IeeeMode: 1
; LDSByteSize: 0 bytes/workgroup (compile time only)
; SGPRBlocks: 0
; VGPRBlocks: 0
; NumSGPRsForWavesPerEU: 1
; NumVGPRsForWavesPerEU: 1
; NamedBarCnt: 0
; Occupancy: 16
; WaveLimiterHint : 0
; COMPUTE_PGM_RSRC2:SCRATCH_EN: 0
; COMPUTE_PGM_RSRC2:USER_SGPR: 2
; COMPUTE_PGM_RSRC2:TRAP_HANDLER: 0
; COMPUTE_PGM_RSRC2:TGID_X_EN: 1
; COMPUTE_PGM_RSRC2:TGID_Y_EN: 0
; COMPUTE_PGM_RSRC2:TGID_Z_EN: 0
; COMPUTE_PGM_RSRC2:TIDIG_COMP_CNT: 0
	.section	.text._ZN7rocprim17ROCPRIM_400000_NS6detail17trampoline_kernelINS0_14default_configENS1_27scan_by_key_config_selectorIixEEZZNS1_16scan_by_key_implILNS1_25lookback_scan_determinismE0ELb0ES3_N6thrust23THRUST_200600_302600_NS6detail15normal_iteratorINS9_10device_ptrIiEEEENSB_INSC_IxEEEESG_xNS9_4plusIvEENS9_8equal_toIvEExEE10hipError_tPvRmT2_T3_T4_T5_mT6_T7_P12ihipStream_tbENKUlT_T0_E_clISt17integral_constantIbLb0EES11_EEDaSW_SX_EUlSW_E_NS1_11comp_targetILNS1_3genE4ELNS1_11target_archE910ELNS1_3gpuE8ELNS1_3repE0EEENS1_30default_config_static_selectorELNS0_4arch9wavefront6targetE0EEEvT1_,"axG",@progbits,_ZN7rocprim17ROCPRIM_400000_NS6detail17trampoline_kernelINS0_14default_configENS1_27scan_by_key_config_selectorIixEEZZNS1_16scan_by_key_implILNS1_25lookback_scan_determinismE0ELb0ES3_N6thrust23THRUST_200600_302600_NS6detail15normal_iteratorINS9_10device_ptrIiEEEENSB_INSC_IxEEEESG_xNS9_4plusIvEENS9_8equal_toIvEExEE10hipError_tPvRmT2_T3_T4_T5_mT6_T7_P12ihipStream_tbENKUlT_T0_E_clISt17integral_constantIbLb0EES11_EEDaSW_SX_EUlSW_E_NS1_11comp_targetILNS1_3genE4ELNS1_11target_archE910ELNS1_3gpuE8ELNS1_3repE0EEENS1_30default_config_static_selectorELNS0_4arch9wavefront6targetE0EEEvT1_,comdat
	.protected	_ZN7rocprim17ROCPRIM_400000_NS6detail17trampoline_kernelINS0_14default_configENS1_27scan_by_key_config_selectorIixEEZZNS1_16scan_by_key_implILNS1_25lookback_scan_determinismE0ELb0ES3_N6thrust23THRUST_200600_302600_NS6detail15normal_iteratorINS9_10device_ptrIiEEEENSB_INSC_IxEEEESG_xNS9_4plusIvEENS9_8equal_toIvEExEE10hipError_tPvRmT2_T3_T4_T5_mT6_T7_P12ihipStream_tbENKUlT_T0_E_clISt17integral_constantIbLb0EES11_EEDaSW_SX_EUlSW_E_NS1_11comp_targetILNS1_3genE4ELNS1_11target_archE910ELNS1_3gpuE8ELNS1_3repE0EEENS1_30default_config_static_selectorELNS0_4arch9wavefront6targetE0EEEvT1_ ; -- Begin function _ZN7rocprim17ROCPRIM_400000_NS6detail17trampoline_kernelINS0_14default_configENS1_27scan_by_key_config_selectorIixEEZZNS1_16scan_by_key_implILNS1_25lookback_scan_determinismE0ELb0ES3_N6thrust23THRUST_200600_302600_NS6detail15normal_iteratorINS9_10device_ptrIiEEEENSB_INSC_IxEEEESG_xNS9_4plusIvEENS9_8equal_toIvEExEE10hipError_tPvRmT2_T3_T4_T5_mT6_T7_P12ihipStream_tbENKUlT_T0_E_clISt17integral_constantIbLb0EES11_EEDaSW_SX_EUlSW_E_NS1_11comp_targetILNS1_3genE4ELNS1_11target_archE910ELNS1_3gpuE8ELNS1_3repE0EEENS1_30default_config_static_selectorELNS0_4arch9wavefront6targetE0EEEvT1_
	.globl	_ZN7rocprim17ROCPRIM_400000_NS6detail17trampoline_kernelINS0_14default_configENS1_27scan_by_key_config_selectorIixEEZZNS1_16scan_by_key_implILNS1_25lookback_scan_determinismE0ELb0ES3_N6thrust23THRUST_200600_302600_NS6detail15normal_iteratorINS9_10device_ptrIiEEEENSB_INSC_IxEEEESG_xNS9_4plusIvEENS9_8equal_toIvEExEE10hipError_tPvRmT2_T3_T4_T5_mT6_T7_P12ihipStream_tbENKUlT_T0_E_clISt17integral_constantIbLb0EES11_EEDaSW_SX_EUlSW_E_NS1_11comp_targetILNS1_3genE4ELNS1_11target_archE910ELNS1_3gpuE8ELNS1_3repE0EEENS1_30default_config_static_selectorELNS0_4arch9wavefront6targetE0EEEvT1_
	.p2align	8
	.type	_ZN7rocprim17ROCPRIM_400000_NS6detail17trampoline_kernelINS0_14default_configENS1_27scan_by_key_config_selectorIixEEZZNS1_16scan_by_key_implILNS1_25lookback_scan_determinismE0ELb0ES3_N6thrust23THRUST_200600_302600_NS6detail15normal_iteratorINS9_10device_ptrIiEEEENSB_INSC_IxEEEESG_xNS9_4plusIvEENS9_8equal_toIvEExEE10hipError_tPvRmT2_T3_T4_T5_mT6_T7_P12ihipStream_tbENKUlT_T0_E_clISt17integral_constantIbLb0EES11_EEDaSW_SX_EUlSW_E_NS1_11comp_targetILNS1_3genE4ELNS1_11target_archE910ELNS1_3gpuE8ELNS1_3repE0EEENS1_30default_config_static_selectorELNS0_4arch9wavefront6targetE0EEEvT1_,@function
_ZN7rocprim17ROCPRIM_400000_NS6detail17trampoline_kernelINS0_14default_configENS1_27scan_by_key_config_selectorIixEEZZNS1_16scan_by_key_implILNS1_25lookback_scan_determinismE0ELb0ES3_N6thrust23THRUST_200600_302600_NS6detail15normal_iteratorINS9_10device_ptrIiEEEENSB_INSC_IxEEEESG_xNS9_4plusIvEENS9_8equal_toIvEExEE10hipError_tPvRmT2_T3_T4_T5_mT6_T7_P12ihipStream_tbENKUlT_T0_E_clISt17integral_constantIbLb0EES11_EEDaSW_SX_EUlSW_E_NS1_11comp_targetILNS1_3genE4ELNS1_11target_archE910ELNS1_3gpuE8ELNS1_3repE0EEENS1_30default_config_static_selectorELNS0_4arch9wavefront6targetE0EEEvT1_: ; @_ZN7rocprim17ROCPRIM_400000_NS6detail17trampoline_kernelINS0_14default_configENS1_27scan_by_key_config_selectorIixEEZZNS1_16scan_by_key_implILNS1_25lookback_scan_determinismE0ELb0ES3_N6thrust23THRUST_200600_302600_NS6detail15normal_iteratorINS9_10device_ptrIiEEEENSB_INSC_IxEEEESG_xNS9_4plusIvEENS9_8equal_toIvEExEE10hipError_tPvRmT2_T3_T4_T5_mT6_T7_P12ihipStream_tbENKUlT_T0_E_clISt17integral_constantIbLb0EES11_EEDaSW_SX_EUlSW_E_NS1_11comp_targetILNS1_3genE4ELNS1_11target_archE910ELNS1_3gpuE8ELNS1_3repE0EEENS1_30default_config_static_selectorELNS0_4arch9wavefront6targetE0EEEvT1_
; %bb.0:
	.section	.rodata,"a",@progbits
	.p2align	6, 0x0
	.amdhsa_kernel _ZN7rocprim17ROCPRIM_400000_NS6detail17trampoline_kernelINS0_14default_configENS1_27scan_by_key_config_selectorIixEEZZNS1_16scan_by_key_implILNS1_25lookback_scan_determinismE0ELb0ES3_N6thrust23THRUST_200600_302600_NS6detail15normal_iteratorINS9_10device_ptrIiEEEENSB_INSC_IxEEEESG_xNS9_4plusIvEENS9_8equal_toIvEExEE10hipError_tPvRmT2_T3_T4_T5_mT6_T7_P12ihipStream_tbENKUlT_T0_E_clISt17integral_constantIbLb0EES11_EEDaSW_SX_EUlSW_E_NS1_11comp_targetILNS1_3genE4ELNS1_11target_archE910ELNS1_3gpuE8ELNS1_3repE0EEENS1_30default_config_static_selectorELNS0_4arch9wavefront6targetE0EEEvT1_
		.amdhsa_group_segment_fixed_size 0
		.amdhsa_private_segment_fixed_size 0
		.amdhsa_kernarg_size 136
		.amdhsa_user_sgpr_count 2
		.amdhsa_user_sgpr_dispatch_ptr 0
		.amdhsa_user_sgpr_queue_ptr 0
		.amdhsa_user_sgpr_kernarg_segment_ptr 1
		.amdhsa_user_sgpr_dispatch_id 0
		.amdhsa_user_sgpr_kernarg_preload_length 0
		.amdhsa_user_sgpr_kernarg_preload_offset 0
		.amdhsa_user_sgpr_private_segment_size 0
		.amdhsa_wavefront_size32 1
		.amdhsa_uses_dynamic_stack 0
		.amdhsa_enable_private_segment 0
		.amdhsa_system_sgpr_workgroup_id_x 1
		.amdhsa_system_sgpr_workgroup_id_y 0
		.amdhsa_system_sgpr_workgroup_id_z 0
		.amdhsa_system_sgpr_workgroup_info 0
		.amdhsa_system_vgpr_workitem_id 0
		.amdhsa_next_free_vgpr 1
		.amdhsa_next_free_sgpr 1
		.amdhsa_named_barrier_count 0
		.amdhsa_reserve_vcc 0
		.amdhsa_float_round_mode_32 0
		.amdhsa_float_round_mode_16_64 0
		.amdhsa_float_denorm_mode_32 3
		.amdhsa_float_denorm_mode_16_64 3
		.amdhsa_fp16_overflow 0
		.amdhsa_memory_ordered 1
		.amdhsa_forward_progress 1
		.amdhsa_inst_pref_size 0
		.amdhsa_round_robin_scheduling 0
		.amdhsa_exception_fp_ieee_invalid_op 0
		.amdhsa_exception_fp_denorm_src 0
		.amdhsa_exception_fp_ieee_div_zero 0
		.amdhsa_exception_fp_ieee_overflow 0
		.amdhsa_exception_fp_ieee_underflow 0
		.amdhsa_exception_fp_ieee_inexact 0
		.amdhsa_exception_int_div_zero 0
	.end_amdhsa_kernel
	.section	.text._ZN7rocprim17ROCPRIM_400000_NS6detail17trampoline_kernelINS0_14default_configENS1_27scan_by_key_config_selectorIixEEZZNS1_16scan_by_key_implILNS1_25lookback_scan_determinismE0ELb0ES3_N6thrust23THRUST_200600_302600_NS6detail15normal_iteratorINS9_10device_ptrIiEEEENSB_INSC_IxEEEESG_xNS9_4plusIvEENS9_8equal_toIvEExEE10hipError_tPvRmT2_T3_T4_T5_mT6_T7_P12ihipStream_tbENKUlT_T0_E_clISt17integral_constantIbLb0EES11_EEDaSW_SX_EUlSW_E_NS1_11comp_targetILNS1_3genE4ELNS1_11target_archE910ELNS1_3gpuE8ELNS1_3repE0EEENS1_30default_config_static_selectorELNS0_4arch9wavefront6targetE0EEEvT1_,"axG",@progbits,_ZN7rocprim17ROCPRIM_400000_NS6detail17trampoline_kernelINS0_14default_configENS1_27scan_by_key_config_selectorIixEEZZNS1_16scan_by_key_implILNS1_25lookback_scan_determinismE0ELb0ES3_N6thrust23THRUST_200600_302600_NS6detail15normal_iteratorINS9_10device_ptrIiEEEENSB_INSC_IxEEEESG_xNS9_4plusIvEENS9_8equal_toIvEExEE10hipError_tPvRmT2_T3_T4_T5_mT6_T7_P12ihipStream_tbENKUlT_T0_E_clISt17integral_constantIbLb0EES11_EEDaSW_SX_EUlSW_E_NS1_11comp_targetILNS1_3genE4ELNS1_11target_archE910ELNS1_3gpuE8ELNS1_3repE0EEENS1_30default_config_static_selectorELNS0_4arch9wavefront6targetE0EEEvT1_,comdat
.Lfunc_end1314:
	.size	_ZN7rocprim17ROCPRIM_400000_NS6detail17trampoline_kernelINS0_14default_configENS1_27scan_by_key_config_selectorIixEEZZNS1_16scan_by_key_implILNS1_25lookback_scan_determinismE0ELb0ES3_N6thrust23THRUST_200600_302600_NS6detail15normal_iteratorINS9_10device_ptrIiEEEENSB_INSC_IxEEEESG_xNS9_4plusIvEENS9_8equal_toIvEExEE10hipError_tPvRmT2_T3_T4_T5_mT6_T7_P12ihipStream_tbENKUlT_T0_E_clISt17integral_constantIbLb0EES11_EEDaSW_SX_EUlSW_E_NS1_11comp_targetILNS1_3genE4ELNS1_11target_archE910ELNS1_3gpuE8ELNS1_3repE0EEENS1_30default_config_static_selectorELNS0_4arch9wavefront6targetE0EEEvT1_, .Lfunc_end1314-_ZN7rocprim17ROCPRIM_400000_NS6detail17trampoline_kernelINS0_14default_configENS1_27scan_by_key_config_selectorIixEEZZNS1_16scan_by_key_implILNS1_25lookback_scan_determinismE0ELb0ES3_N6thrust23THRUST_200600_302600_NS6detail15normal_iteratorINS9_10device_ptrIiEEEENSB_INSC_IxEEEESG_xNS9_4plusIvEENS9_8equal_toIvEExEE10hipError_tPvRmT2_T3_T4_T5_mT6_T7_P12ihipStream_tbENKUlT_T0_E_clISt17integral_constantIbLb0EES11_EEDaSW_SX_EUlSW_E_NS1_11comp_targetILNS1_3genE4ELNS1_11target_archE910ELNS1_3gpuE8ELNS1_3repE0EEENS1_30default_config_static_selectorELNS0_4arch9wavefront6targetE0EEEvT1_
                                        ; -- End function
	.set _ZN7rocprim17ROCPRIM_400000_NS6detail17trampoline_kernelINS0_14default_configENS1_27scan_by_key_config_selectorIixEEZZNS1_16scan_by_key_implILNS1_25lookback_scan_determinismE0ELb0ES3_N6thrust23THRUST_200600_302600_NS6detail15normal_iteratorINS9_10device_ptrIiEEEENSB_INSC_IxEEEESG_xNS9_4plusIvEENS9_8equal_toIvEExEE10hipError_tPvRmT2_T3_T4_T5_mT6_T7_P12ihipStream_tbENKUlT_T0_E_clISt17integral_constantIbLb0EES11_EEDaSW_SX_EUlSW_E_NS1_11comp_targetILNS1_3genE4ELNS1_11target_archE910ELNS1_3gpuE8ELNS1_3repE0EEENS1_30default_config_static_selectorELNS0_4arch9wavefront6targetE0EEEvT1_.num_vgpr, 0
	.set _ZN7rocprim17ROCPRIM_400000_NS6detail17trampoline_kernelINS0_14default_configENS1_27scan_by_key_config_selectorIixEEZZNS1_16scan_by_key_implILNS1_25lookback_scan_determinismE0ELb0ES3_N6thrust23THRUST_200600_302600_NS6detail15normal_iteratorINS9_10device_ptrIiEEEENSB_INSC_IxEEEESG_xNS9_4plusIvEENS9_8equal_toIvEExEE10hipError_tPvRmT2_T3_T4_T5_mT6_T7_P12ihipStream_tbENKUlT_T0_E_clISt17integral_constantIbLb0EES11_EEDaSW_SX_EUlSW_E_NS1_11comp_targetILNS1_3genE4ELNS1_11target_archE910ELNS1_3gpuE8ELNS1_3repE0EEENS1_30default_config_static_selectorELNS0_4arch9wavefront6targetE0EEEvT1_.num_agpr, 0
	.set _ZN7rocprim17ROCPRIM_400000_NS6detail17trampoline_kernelINS0_14default_configENS1_27scan_by_key_config_selectorIixEEZZNS1_16scan_by_key_implILNS1_25lookback_scan_determinismE0ELb0ES3_N6thrust23THRUST_200600_302600_NS6detail15normal_iteratorINS9_10device_ptrIiEEEENSB_INSC_IxEEEESG_xNS9_4plusIvEENS9_8equal_toIvEExEE10hipError_tPvRmT2_T3_T4_T5_mT6_T7_P12ihipStream_tbENKUlT_T0_E_clISt17integral_constantIbLb0EES11_EEDaSW_SX_EUlSW_E_NS1_11comp_targetILNS1_3genE4ELNS1_11target_archE910ELNS1_3gpuE8ELNS1_3repE0EEENS1_30default_config_static_selectorELNS0_4arch9wavefront6targetE0EEEvT1_.numbered_sgpr, 0
	.set _ZN7rocprim17ROCPRIM_400000_NS6detail17trampoline_kernelINS0_14default_configENS1_27scan_by_key_config_selectorIixEEZZNS1_16scan_by_key_implILNS1_25lookback_scan_determinismE0ELb0ES3_N6thrust23THRUST_200600_302600_NS6detail15normal_iteratorINS9_10device_ptrIiEEEENSB_INSC_IxEEEESG_xNS9_4plusIvEENS9_8equal_toIvEExEE10hipError_tPvRmT2_T3_T4_T5_mT6_T7_P12ihipStream_tbENKUlT_T0_E_clISt17integral_constantIbLb0EES11_EEDaSW_SX_EUlSW_E_NS1_11comp_targetILNS1_3genE4ELNS1_11target_archE910ELNS1_3gpuE8ELNS1_3repE0EEENS1_30default_config_static_selectorELNS0_4arch9wavefront6targetE0EEEvT1_.num_named_barrier, 0
	.set _ZN7rocprim17ROCPRIM_400000_NS6detail17trampoline_kernelINS0_14default_configENS1_27scan_by_key_config_selectorIixEEZZNS1_16scan_by_key_implILNS1_25lookback_scan_determinismE0ELb0ES3_N6thrust23THRUST_200600_302600_NS6detail15normal_iteratorINS9_10device_ptrIiEEEENSB_INSC_IxEEEESG_xNS9_4plusIvEENS9_8equal_toIvEExEE10hipError_tPvRmT2_T3_T4_T5_mT6_T7_P12ihipStream_tbENKUlT_T0_E_clISt17integral_constantIbLb0EES11_EEDaSW_SX_EUlSW_E_NS1_11comp_targetILNS1_3genE4ELNS1_11target_archE910ELNS1_3gpuE8ELNS1_3repE0EEENS1_30default_config_static_selectorELNS0_4arch9wavefront6targetE0EEEvT1_.private_seg_size, 0
	.set _ZN7rocprim17ROCPRIM_400000_NS6detail17trampoline_kernelINS0_14default_configENS1_27scan_by_key_config_selectorIixEEZZNS1_16scan_by_key_implILNS1_25lookback_scan_determinismE0ELb0ES3_N6thrust23THRUST_200600_302600_NS6detail15normal_iteratorINS9_10device_ptrIiEEEENSB_INSC_IxEEEESG_xNS9_4plusIvEENS9_8equal_toIvEExEE10hipError_tPvRmT2_T3_T4_T5_mT6_T7_P12ihipStream_tbENKUlT_T0_E_clISt17integral_constantIbLb0EES11_EEDaSW_SX_EUlSW_E_NS1_11comp_targetILNS1_3genE4ELNS1_11target_archE910ELNS1_3gpuE8ELNS1_3repE0EEENS1_30default_config_static_selectorELNS0_4arch9wavefront6targetE0EEEvT1_.uses_vcc, 0
	.set _ZN7rocprim17ROCPRIM_400000_NS6detail17trampoline_kernelINS0_14default_configENS1_27scan_by_key_config_selectorIixEEZZNS1_16scan_by_key_implILNS1_25lookback_scan_determinismE0ELb0ES3_N6thrust23THRUST_200600_302600_NS6detail15normal_iteratorINS9_10device_ptrIiEEEENSB_INSC_IxEEEESG_xNS9_4plusIvEENS9_8equal_toIvEExEE10hipError_tPvRmT2_T3_T4_T5_mT6_T7_P12ihipStream_tbENKUlT_T0_E_clISt17integral_constantIbLb0EES11_EEDaSW_SX_EUlSW_E_NS1_11comp_targetILNS1_3genE4ELNS1_11target_archE910ELNS1_3gpuE8ELNS1_3repE0EEENS1_30default_config_static_selectorELNS0_4arch9wavefront6targetE0EEEvT1_.uses_flat_scratch, 0
	.set _ZN7rocprim17ROCPRIM_400000_NS6detail17trampoline_kernelINS0_14default_configENS1_27scan_by_key_config_selectorIixEEZZNS1_16scan_by_key_implILNS1_25lookback_scan_determinismE0ELb0ES3_N6thrust23THRUST_200600_302600_NS6detail15normal_iteratorINS9_10device_ptrIiEEEENSB_INSC_IxEEEESG_xNS9_4plusIvEENS9_8equal_toIvEExEE10hipError_tPvRmT2_T3_T4_T5_mT6_T7_P12ihipStream_tbENKUlT_T0_E_clISt17integral_constantIbLb0EES11_EEDaSW_SX_EUlSW_E_NS1_11comp_targetILNS1_3genE4ELNS1_11target_archE910ELNS1_3gpuE8ELNS1_3repE0EEENS1_30default_config_static_selectorELNS0_4arch9wavefront6targetE0EEEvT1_.has_dyn_sized_stack, 0
	.set _ZN7rocprim17ROCPRIM_400000_NS6detail17trampoline_kernelINS0_14default_configENS1_27scan_by_key_config_selectorIixEEZZNS1_16scan_by_key_implILNS1_25lookback_scan_determinismE0ELb0ES3_N6thrust23THRUST_200600_302600_NS6detail15normal_iteratorINS9_10device_ptrIiEEEENSB_INSC_IxEEEESG_xNS9_4plusIvEENS9_8equal_toIvEExEE10hipError_tPvRmT2_T3_T4_T5_mT6_T7_P12ihipStream_tbENKUlT_T0_E_clISt17integral_constantIbLb0EES11_EEDaSW_SX_EUlSW_E_NS1_11comp_targetILNS1_3genE4ELNS1_11target_archE910ELNS1_3gpuE8ELNS1_3repE0EEENS1_30default_config_static_selectorELNS0_4arch9wavefront6targetE0EEEvT1_.has_recursion, 0
	.set _ZN7rocprim17ROCPRIM_400000_NS6detail17trampoline_kernelINS0_14default_configENS1_27scan_by_key_config_selectorIixEEZZNS1_16scan_by_key_implILNS1_25lookback_scan_determinismE0ELb0ES3_N6thrust23THRUST_200600_302600_NS6detail15normal_iteratorINS9_10device_ptrIiEEEENSB_INSC_IxEEEESG_xNS9_4plusIvEENS9_8equal_toIvEExEE10hipError_tPvRmT2_T3_T4_T5_mT6_T7_P12ihipStream_tbENKUlT_T0_E_clISt17integral_constantIbLb0EES11_EEDaSW_SX_EUlSW_E_NS1_11comp_targetILNS1_3genE4ELNS1_11target_archE910ELNS1_3gpuE8ELNS1_3repE0EEENS1_30default_config_static_selectorELNS0_4arch9wavefront6targetE0EEEvT1_.has_indirect_call, 0
	.section	.AMDGPU.csdata,"",@progbits
; Kernel info:
; codeLenInByte = 0
; TotalNumSgprs: 0
; NumVgprs: 0
; ScratchSize: 0
; MemoryBound: 0
; FloatMode: 240
; IeeeMode: 1
; LDSByteSize: 0 bytes/workgroup (compile time only)
; SGPRBlocks: 0
; VGPRBlocks: 0
; NumSGPRsForWavesPerEU: 1
; NumVGPRsForWavesPerEU: 1
; NamedBarCnt: 0
; Occupancy: 16
; WaveLimiterHint : 0
; COMPUTE_PGM_RSRC2:SCRATCH_EN: 0
; COMPUTE_PGM_RSRC2:USER_SGPR: 2
; COMPUTE_PGM_RSRC2:TRAP_HANDLER: 0
; COMPUTE_PGM_RSRC2:TGID_X_EN: 1
; COMPUTE_PGM_RSRC2:TGID_Y_EN: 0
; COMPUTE_PGM_RSRC2:TGID_Z_EN: 0
; COMPUTE_PGM_RSRC2:TIDIG_COMP_CNT: 0
	.section	.text._ZN7rocprim17ROCPRIM_400000_NS6detail17trampoline_kernelINS0_14default_configENS1_27scan_by_key_config_selectorIixEEZZNS1_16scan_by_key_implILNS1_25lookback_scan_determinismE0ELb0ES3_N6thrust23THRUST_200600_302600_NS6detail15normal_iteratorINS9_10device_ptrIiEEEENSB_INSC_IxEEEESG_xNS9_4plusIvEENS9_8equal_toIvEExEE10hipError_tPvRmT2_T3_T4_T5_mT6_T7_P12ihipStream_tbENKUlT_T0_E_clISt17integral_constantIbLb0EES11_EEDaSW_SX_EUlSW_E_NS1_11comp_targetILNS1_3genE3ELNS1_11target_archE908ELNS1_3gpuE7ELNS1_3repE0EEENS1_30default_config_static_selectorELNS0_4arch9wavefront6targetE0EEEvT1_,"axG",@progbits,_ZN7rocprim17ROCPRIM_400000_NS6detail17trampoline_kernelINS0_14default_configENS1_27scan_by_key_config_selectorIixEEZZNS1_16scan_by_key_implILNS1_25lookback_scan_determinismE0ELb0ES3_N6thrust23THRUST_200600_302600_NS6detail15normal_iteratorINS9_10device_ptrIiEEEENSB_INSC_IxEEEESG_xNS9_4plusIvEENS9_8equal_toIvEExEE10hipError_tPvRmT2_T3_T4_T5_mT6_T7_P12ihipStream_tbENKUlT_T0_E_clISt17integral_constantIbLb0EES11_EEDaSW_SX_EUlSW_E_NS1_11comp_targetILNS1_3genE3ELNS1_11target_archE908ELNS1_3gpuE7ELNS1_3repE0EEENS1_30default_config_static_selectorELNS0_4arch9wavefront6targetE0EEEvT1_,comdat
	.protected	_ZN7rocprim17ROCPRIM_400000_NS6detail17trampoline_kernelINS0_14default_configENS1_27scan_by_key_config_selectorIixEEZZNS1_16scan_by_key_implILNS1_25lookback_scan_determinismE0ELb0ES3_N6thrust23THRUST_200600_302600_NS6detail15normal_iteratorINS9_10device_ptrIiEEEENSB_INSC_IxEEEESG_xNS9_4plusIvEENS9_8equal_toIvEExEE10hipError_tPvRmT2_T3_T4_T5_mT6_T7_P12ihipStream_tbENKUlT_T0_E_clISt17integral_constantIbLb0EES11_EEDaSW_SX_EUlSW_E_NS1_11comp_targetILNS1_3genE3ELNS1_11target_archE908ELNS1_3gpuE7ELNS1_3repE0EEENS1_30default_config_static_selectorELNS0_4arch9wavefront6targetE0EEEvT1_ ; -- Begin function _ZN7rocprim17ROCPRIM_400000_NS6detail17trampoline_kernelINS0_14default_configENS1_27scan_by_key_config_selectorIixEEZZNS1_16scan_by_key_implILNS1_25lookback_scan_determinismE0ELb0ES3_N6thrust23THRUST_200600_302600_NS6detail15normal_iteratorINS9_10device_ptrIiEEEENSB_INSC_IxEEEESG_xNS9_4plusIvEENS9_8equal_toIvEExEE10hipError_tPvRmT2_T3_T4_T5_mT6_T7_P12ihipStream_tbENKUlT_T0_E_clISt17integral_constantIbLb0EES11_EEDaSW_SX_EUlSW_E_NS1_11comp_targetILNS1_3genE3ELNS1_11target_archE908ELNS1_3gpuE7ELNS1_3repE0EEENS1_30default_config_static_selectorELNS0_4arch9wavefront6targetE0EEEvT1_
	.globl	_ZN7rocprim17ROCPRIM_400000_NS6detail17trampoline_kernelINS0_14default_configENS1_27scan_by_key_config_selectorIixEEZZNS1_16scan_by_key_implILNS1_25lookback_scan_determinismE0ELb0ES3_N6thrust23THRUST_200600_302600_NS6detail15normal_iteratorINS9_10device_ptrIiEEEENSB_INSC_IxEEEESG_xNS9_4plusIvEENS9_8equal_toIvEExEE10hipError_tPvRmT2_T3_T4_T5_mT6_T7_P12ihipStream_tbENKUlT_T0_E_clISt17integral_constantIbLb0EES11_EEDaSW_SX_EUlSW_E_NS1_11comp_targetILNS1_3genE3ELNS1_11target_archE908ELNS1_3gpuE7ELNS1_3repE0EEENS1_30default_config_static_selectorELNS0_4arch9wavefront6targetE0EEEvT1_
	.p2align	8
	.type	_ZN7rocprim17ROCPRIM_400000_NS6detail17trampoline_kernelINS0_14default_configENS1_27scan_by_key_config_selectorIixEEZZNS1_16scan_by_key_implILNS1_25lookback_scan_determinismE0ELb0ES3_N6thrust23THRUST_200600_302600_NS6detail15normal_iteratorINS9_10device_ptrIiEEEENSB_INSC_IxEEEESG_xNS9_4plusIvEENS9_8equal_toIvEExEE10hipError_tPvRmT2_T3_T4_T5_mT6_T7_P12ihipStream_tbENKUlT_T0_E_clISt17integral_constantIbLb0EES11_EEDaSW_SX_EUlSW_E_NS1_11comp_targetILNS1_3genE3ELNS1_11target_archE908ELNS1_3gpuE7ELNS1_3repE0EEENS1_30default_config_static_selectorELNS0_4arch9wavefront6targetE0EEEvT1_,@function
_ZN7rocprim17ROCPRIM_400000_NS6detail17trampoline_kernelINS0_14default_configENS1_27scan_by_key_config_selectorIixEEZZNS1_16scan_by_key_implILNS1_25lookback_scan_determinismE0ELb0ES3_N6thrust23THRUST_200600_302600_NS6detail15normal_iteratorINS9_10device_ptrIiEEEENSB_INSC_IxEEEESG_xNS9_4plusIvEENS9_8equal_toIvEExEE10hipError_tPvRmT2_T3_T4_T5_mT6_T7_P12ihipStream_tbENKUlT_T0_E_clISt17integral_constantIbLb0EES11_EEDaSW_SX_EUlSW_E_NS1_11comp_targetILNS1_3genE3ELNS1_11target_archE908ELNS1_3gpuE7ELNS1_3repE0EEENS1_30default_config_static_selectorELNS0_4arch9wavefront6targetE0EEEvT1_: ; @_ZN7rocprim17ROCPRIM_400000_NS6detail17trampoline_kernelINS0_14default_configENS1_27scan_by_key_config_selectorIixEEZZNS1_16scan_by_key_implILNS1_25lookback_scan_determinismE0ELb0ES3_N6thrust23THRUST_200600_302600_NS6detail15normal_iteratorINS9_10device_ptrIiEEEENSB_INSC_IxEEEESG_xNS9_4plusIvEENS9_8equal_toIvEExEE10hipError_tPvRmT2_T3_T4_T5_mT6_T7_P12ihipStream_tbENKUlT_T0_E_clISt17integral_constantIbLb0EES11_EEDaSW_SX_EUlSW_E_NS1_11comp_targetILNS1_3genE3ELNS1_11target_archE908ELNS1_3gpuE7ELNS1_3repE0EEENS1_30default_config_static_selectorELNS0_4arch9wavefront6targetE0EEEvT1_
; %bb.0:
	.section	.rodata,"a",@progbits
	.p2align	6, 0x0
	.amdhsa_kernel _ZN7rocprim17ROCPRIM_400000_NS6detail17trampoline_kernelINS0_14default_configENS1_27scan_by_key_config_selectorIixEEZZNS1_16scan_by_key_implILNS1_25lookback_scan_determinismE0ELb0ES3_N6thrust23THRUST_200600_302600_NS6detail15normal_iteratorINS9_10device_ptrIiEEEENSB_INSC_IxEEEESG_xNS9_4plusIvEENS9_8equal_toIvEExEE10hipError_tPvRmT2_T3_T4_T5_mT6_T7_P12ihipStream_tbENKUlT_T0_E_clISt17integral_constantIbLb0EES11_EEDaSW_SX_EUlSW_E_NS1_11comp_targetILNS1_3genE3ELNS1_11target_archE908ELNS1_3gpuE7ELNS1_3repE0EEENS1_30default_config_static_selectorELNS0_4arch9wavefront6targetE0EEEvT1_
		.amdhsa_group_segment_fixed_size 0
		.amdhsa_private_segment_fixed_size 0
		.amdhsa_kernarg_size 136
		.amdhsa_user_sgpr_count 2
		.amdhsa_user_sgpr_dispatch_ptr 0
		.amdhsa_user_sgpr_queue_ptr 0
		.amdhsa_user_sgpr_kernarg_segment_ptr 1
		.amdhsa_user_sgpr_dispatch_id 0
		.amdhsa_user_sgpr_kernarg_preload_length 0
		.amdhsa_user_sgpr_kernarg_preload_offset 0
		.amdhsa_user_sgpr_private_segment_size 0
		.amdhsa_wavefront_size32 1
		.amdhsa_uses_dynamic_stack 0
		.amdhsa_enable_private_segment 0
		.amdhsa_system_sgpr_workgroup_id_x 1
		.amdhsa_system_sgpr_workgroup_id_y 0
		.amdhsa_system_sgpr_workgroup_id_z 0
		.amdhsa_system_sgpr_workgroup_info 0
		.amdhsa_system_vgpr_workitem_id 0
		.amdhsa_next_free_vgpr 1
		.amdhsa_next_free_sgpr 1
		.amdhsa_named_barrier_count 0
		.amdhsa_reserve_vcc 0
		.amdhsa_float_round_mode_32 0
		.amdhsa_float_round_mode_16_64 0
		.amdhsa_float_denorm_mode_32 3
		.amdhsa_float_denorm_mode_16_64 3
		.amdhsa_fp16_overflow 0
		.amdhsa_memory_ordered 1
		.amdhsa_forward_progress 1
		.amdhsa_inst_pref_size 0
		.amdhsa_round_robin_scheduling 0
		.amdhsa_exception_fp_ieee_invalid_op 0
		.amdhsa_exception_fp_denorm_src 0
		.amdhsa_exception_fp_ieee_div_zero 0
		.amdhsa_exception_fp_ieee_overflow 0
		.amdhsa_exception_fp_ieee_underflow 0
		.amdhsa_exception_fp_ieee_inexact 0
		.amdhsa_exception_int_div_zero 0
	.end_amdhsa_kernel
	.section	.text._ZN7rocprim17ROCPRIM_400000_NS6detail17trampoline_kernelINS0_14default_configENS1_27scan_by_key_config_selectorIixEEZZNS1_16scan_by_key_implILNS1_25lookback_scan_determinismE0ELb0ES3_N6thrust23THRUST_200600_302600_NS6detail15normal_iteratorINS9_10device_ptrIiEEEENSB_INSC_IxEEEESG_xNS9_4plusIvEENS9_8equal_toIvEExEE10hipError_tPvRmT2_T3_T4_T5_mT6_T7_P12ihipStream_tbENKUlT_T0_E_clISt17integral_constantIbLb0EES11_EEDaSW_SX_EUlSW_E_NS1_11comp_targetILNS1_3genE3ELNS1_11target_archE908ELNS1_3gpuE7ELNS1_3repE0EEENS1_30default_config_static_selectorELNS0_4arch9wavefront6targetE0EEEvT1_,"axG",@progbits,_ZN7rocprim17ROCPRIM_400000_NS6detail17trampoline_kernelINS0_14default_configENS1_27scan_by_key_config_selectorIixEEZZNS1_16scan_by_key_implILNS1_25lookback_scan_determinismE0ELb0ES3_N6thrust23THRUST_200600_302600_NS6detail15normal_iteratorINS9_10device_ptrIiEEEENSB_INSC_IxEEEESG_xNS9_4plusIvEENS9_8equal_toIvEExEE10hipError_tPvRmT2_T3_T4_T5_mT6_T7_P12ihipStream_tbENKUlT_T0_E_clISt17integral_constantIbLb0EES11_EEDaSW_SX_EUlSW_E_NS1_11comp_targetILNS1_3genE3ELNS1_11target_archE908ELNS1_3gpuE7ELNS1_3repE0EEENS1_30default_config_static_selectorELNS0_4arch9wavefront6targetE0EEEvT1_,comdat
.Lfunc_end1315:
	.size	_ZN7rocprim17ROCPRIM_400000_NS6detail17trampoline_kernelINS0_14default_configENS1_27scan_by_key_config_selectorIixEEZZNS1_16scan_by_key_implILNS1_25lookback_scan_determinismE0ELb0ES3_N6thrust23THRUST_200600_302600_NS6detail15normal_iteratorINS9_10device_ptrIiEEEENSB_INSC_IxEEEESG_xNS9_4plusIvEENS9_8equal_toIvEExEE10hipError_tPvRmT2_T3_T4_T5_mT6_T7_P12ihipStream_tbENKUlT_T0_E_clISt17integral_constantIbLb0EES11_EEDaSW_SX_EUlSW_E_NS1_11comp_targetILNS1_3genE3ELNS1_11target_archE908ELNS1_3gpuE7ELNS1_3repE0EEENS1_30default_config_static_selectorELNS0_4arch9wavefront6targetE0EEEvT1_, .Lfunc_end1315-_ZN7rocprim17ROCPRIM_400000_NS6detail17trampoline_kernelINS0_14default_configENS1_27scan_by_key_config_selectorIixEEZZNS1_16scan_by_key_implILNS1_25lookback_scan_determinismE0ELb0ES3_N6thrust23THRUST_200600_302600_NS6detail15normal_iteratorINS9_10device_ptrIiEEEENSB_INSC_IxEEEESG_xNS9_4plusIvEENS9_8equal_toIvEExEE10hipError_tPvRmT2_T3_T4_T5_mT6_T7_P12ihipStream_tbENKUlT_T0_E_clISt17integral_constantIbLb0EES11_EEDaSW_SX_EUlSW_E_NS1_11comp_targetILNS1_3genE3ELNS1_11target_archE908ELNS1_3gpuE7ELNS1_3repE0EEENS1_30default_config_static_selectorELNS0_4arch9wavefront6targetE0EEEvT1_
                                        ; -- End function
	.set _ZN7rocprim17ROCPRIM_400000_NS6detail17trampoline_kernelINS0_14default_configENS1_27scan_by_key_config_selectorIixEEZZNS1_16scan_by_key_implILNS1_25lookback_scan_determinismE0ELb0ES3_N6thrust23THRUST_200600_302600_NS6detail15normal_iteratorINS9_10device_ptrIiEEEENSB_INSC_IxEEEESG_xNS9_4plusIvEENS9_8equal_toIvEExEE10hipError_tPvRmT2_T3_T4_T5_mT6_T7_P12ihipStream_tbENKUlT_T0_E_clISt17integral_constantIbLb0EES11_EEDaSW_SX_EUlSW_E_NS1_11comp_targetILNS1_3genE3ELNS1_11target_archE908ELNS1_3gpuE7ELNS1_3repE0EEENS1_30default_config_static_selectorELNS0_4arch9wavefront6targetE0EEEvT1_.num_vgpr, 0
	.set _ZN7rocprim17ROCPRIM_400000_NS6detail17trampoline_kernelINS0_14default_configENS1_27scan_by_key_config_selectorIixEEZZNS1_16scan_by_key_implILNS1_25lookback_scan_determinismE0ELb0ES3_N6thrust23THRUST_200600_302600_NS6detail15normal_iteratorINS9_10device_ptrIiEEEENSB_INSC_IxEEEESG_xNS9_4plusIvEENS9_8equal_toIvEExEE10hipError_tPvRmT2_T3_T4_T5_mT6_T7_P12ihipStream_tbENKUlT_T0_E_clISt17integral_constantIbLb0EES11_EEDaSW_SX_EUlSW_E_NS1_11comp_targetILNS1_3genE3ELNS1_11target_archE908ELNS1_3gpuE7ELNS1_3repE0EEENS1_30default_config_static_selectorELNS0_4arch9wavefront6targetE0EEEvT1_.num_agpr, 0
	.set _ZN7rocprim17ROCPRIM_400000_NS6detail17trampoline_kernelINS0_14default_configENS1_27scan_by_key_config_selectorIixEEZZNS1_16scan_by_key_implILNS1_25lookback_scan_determinismE0ELb0ES3_N6thrust23THRUST_200600_302600_NS6detail15normal_iteratorINS9_10device_ptrIiEEEENSB_INSC_IxEEEESG_xNS9_4plusIvEENS9_8equal_toIvEExEE10hipError_tPvRmT2_T3_T4_T5_mT6_T7_P12ihipStream_tbENKUlT_T0_E_clISt17integral_constantIbLb0EES11_EEDaSW_SX_EUlSW_E_NS1_11comp_targetILNS1_3genE3ELNS1_11target_archE908ELNS1_3gpuE7ELNS1_3repE0EEENS1_30default_config_static_selectorELNS0_4arch9wavefront6targetE0EEEvT1_.numbered_sgpr, 0
	.set _ZN7rocprim17ROCPRIM_400000_NS6detail17trampoline_kernelINS0_14default_configENS1_27scan_by_key_config_selectorIixEEZZNS1_16scan_by_key_implILNS1_25lookback_scan_determinismE0ELb0ES3_N6thrust23THRUST_200600_302600_NS6detail15normal_iteratorINS9_10device_ptrIiEEEENSB_INSC_IxEEEESG_xNS9_4plusIvEENS9_8equal_toIvEExEE10hipError_tPvRmT2_T3_T4_T5_mT6_T7_P12ihipStream_tbENKUlT_T0_E_clISt17integral_constantIbLb0EES11_EEDaSW_SX_EUlSW_E_NS1_11comp_targetILNS1_3genE3ELNS1_11target_archE908ELNS1_3gpuE7ELNS1_3repE0EEENS1_30default_config_static_selectorELNS0_4arch9wavefront6targetE0EEEvT1_.num_named_barrier, 0
	.set _ZN7rocprim17ROCPRIM_400000_NS6detail17trampoline_kernelINS0_14default_configENS1_27scan_by_key_config_selectorIixEEZZNS1_16scan_by_key_implILNS1_25lookback_scan_determinismE0ELb0ES3_N6thrust23THRUST_200600_302600_NS6detail15normal_iteratorINS9_10device_ptrIiEEEENSB_INSC_IxEEEESG_xNS9_4plusIvEENS9_8equal_toIvEExEE10hipError_tPvRmT2_T3_T4_T5_mT6_T7_P12ihipStream_tbENKUlT_T0_E_clISt17integral_constantIbLb0EES11_EEDaSW_SX_EUlSW_E_NS1_11comp_targetILNS1_3genE3ELNS1_11target_archE908ELNS1_3gpuE7ELNS1_3repE0EEENS1_30default_config_static_selectorELNS0_4arch9wavefront6targetE0EEEvT1_.private_seg_size, 0
	.set _ZN7rocprim17ROCPRIM_400000_NS6detail17trampoline_kernelINS0_14default_configENS1_27scan_by_key_config_selectorIixEEZZNS1_16scan_by_key_implILNS1_25lookback_scan_determinismE0ELb0ES3_N6thrust23THRUST_200600_302600_NS6detail15normal_iteratorINS9_10device_ptrIiEEEENSB_INSC_IxEEEESG_xNS9_4plusIvEENS9_8equal_toIvEExEE10hipError_tPvRmT2_T3_T4_T5_mT6_T7_P12ihipStream_tbENKUlT_T0_E_clISt17integral_constantIbLb0EES11_EEDaSW_SX_EUlSW_E_NS1_11comp_targetILNS1_3genE3ELNS1_11target_archE908ELNS1_3gpuE7ELNS1_3repE0EEENS1_30default_config_static_selectorELNS0_4arch9wavefront6targetE0EEEvT1_.uses_vcc, 0
	.set _ZN7rocprim17ROCPRIM_400000_NS6detail17trampoline_kernelINS0_14default_configENS1_27scan_by_key_config_selectorIixEEZZNS1_16scan_by_key_implILNS1_25lookback_scan_determinismE0ELb0ES3_N6thrust23THRUST_200600_302600_NS6detail15normal_iteratorINS9_10device_ptrIiEEEENSB_INSC_IxEEEESG_xNS9_4plusIvEENS9_8equal_toIvEExEE10hipError_tPvRmT2_T3_T4_T5_mT6_T7_P12ihipStream_tbENKUlT_T0_E_clISt17integral_constantIbLb0EES11_EEDaSW_SX_EUlSW_E_NS1_11comp_targetILNS1_3genE3ELNS1_11target_archE908ELNS1_3gpuE7ELNS1_3repE0EEENS1_30default_config_static_selectorELNS0_4arch9wavefront6targetE0EEEvT1_.uses_flat_scratch, 0
	.set _ZN7rocprim17ROCPRIM_400000_NS6detail17trampoline_kernelINS0_14default_configENS1_27scan_by_key_config_selectorIixEEZZNS1_16scan_by_key_implILNS1_25lookback_scan_determinismE0ELb0ES3_N6thrust23THRUST_200600_302600_NS6detail15normal_iteratorINS9_10device_ptrIiEEEENSB_INSC_IxEEEESG_xNS9_4plusIvEENS9_8equal_toIvEExEE10hipError_tPvRmT2_T3_T4_T5_mT6_T7_P12ihipStream_tbENKUlT_T0_E_clISt17integral_constantIbLb0EES11_EEDaSW_SX_EUlSW_E_NS1_11comp_targetILNS1_3genE3ELNS1_11target_archE908ELNS1_3gpuE7ELNS1_3repE0EEENS1_30default_config_static_selectorELNS0_4arch9wavefront6targetE0EEEvT1_.has_dyn_sized_stack, 0
	.set _ZN7rocprim17ROCPRIM_400000_NS6detail17trampoline_kernelINS0_14default_configENS1_27scan_by_key_config_selectorIixEEZZNS1_16scan_by_key_implILNS1_25lookback_scan_determinismE0ELb0ES3_N6thrust23THRUST_200600_302600_NS6detail15normal_iteratorINS9_10device_ptrIiEEEENSB_INSC_IxEEEESG_xNS9_4plusIvEENS9_8equal_toIvEExEE10hipError_tPvRmT2_T3_T4_T5_mT6_T7_P12ihipStream_tbENKUlT_T0_E_clISt17integral_constantIbLb0EES11_EEDaSW_SX_EUlSW_E_NS1_11comp_targetILNS1_3genE3ELNS1_11target_archE908ELNS1_3gpuE7ELNS1_3repE0EEENS1_30default_config_static_selectorELNS0_4arch9wavefront6targetE0EEEvT1_.has_recursion, 0
	.set _ZN7rocprim17ROCPRIM_400000_NS6detail17trampoline_kernelINS0_14default_configENS1_27scan_by_key_config_selectorIixEEZZNS1_16scan_by_key_implILNS1_25lookback_scan_determinismE0ELb0ES3_N6thrust23THRUST_200600_302600_NS6detail15normal_iteratorINS9_10device_ptrIiEEEENSB_INSC_IxEEEESG_xNS9_4plusIvEENS9_8equal_toIvEExEE10hipError_tPvRmT2_T3_T4_T5_mT6_T7_P12ihipStream_tbENKUlT_T0_E_clISt17integral_constantIbLb0EES11_EEDaSW_SX_EUlSW_E_NS1_11comp_targetILNS1_3genE3ELNS1_11target_archE908ELNS1_3gpuE7ELNS1_3repE0EEENS1_30default_config_static_selectorELNS0_4arch9wavefront6targetE0EEEvT1_.has_indirect_call, 0
	.section	.AMDGPU.csdata,"",@progbits
; Kernel info:
; codeLenInByte = 0
; TotalNumSgprs: 0
; NumVgprs: 0
; ScratchSize: 0
; MemoryBound: 0
; FloatMode: 240
; IeeeMode: 1
; LDSByteSize: 0 bytes/workgroup (compile time only)
; SGPRBlocks: 0
; VGPRBlocks: 0
; NumSGPRsForWavesPerEU: 1
; NumVGPRsForWavesPerEU: 1
; NamedBarCnt: 0
; Occupancy: 16
; WaveLimiterHint : 0
; COMPUTE_PGM_RSRC2:SCRATCH_EN: 0
; COMPUTE_PGM_RSRC2:USER_SGPR: 2
; COMPUTE_PGM_RSRC2:TRAP_HANDLER: 0
; COMPUTE_PGM_RSRC2:TGID_X_EN: 1
; COMPUTE_PGM_RSRC2:TGID_Y_EN: 0
; COMPUTE_PGM_RSRC2:TGID_Z_EN: 0
; COMPUTE_PGM_RSRC2:TIDIG_COMP_CNT: 0
	.section	.text._ZN7rocprim17ROCPRIM_400000_NS6detail17trampoline_kernelINS0_14default_configENS1_27scan_by_key_config_selectorIixEEZZNS1_16scan_by_key_implILNS1_25lookback_scan_determinismE0ELb0ES3_N6thrust23THRUST_200600_302600_NS6detail15normal_iteratorINS9_10device_ptrIiEEEENSB_INSC_IxEEEESG_xNS9_4plusIvEENS9_8equal_toIvEExEE10hipError_tPvRmT2_T3_T4_T5_mT6_T7_P12ihipStream_tbENKUlT_T0_E_clISt17integral_constantIbLb0EES11_EEDaSW_SX_EUlSW_E_NS1_11comp_targetILNS1_3genE2ELNS1_11target_archE906ELNS1_3gpuE6ELNS1_3repE0EEENS1_30default_config_static_selectorELNS0_4arch9wavefront6targetE0EEEvT1_,"axG",@progbits,_ZN7rocprim17ROCPRIM_400000_NS6detail17trampoline_kernelINS0_14default_configENS1_27scan_by_key_config_selectorIixEEZZNS1_16scan_by_key_implILNS1_25lookback_scan_determinismE0ELb0ES3_N6thrust23THRUST_200600_302600_NS6detail15normal_iteratorINS9_10device_ptrIiEEEENSB_INSC_IxEEEESG_xNS9_4plusIvEENS9_8equal_toIvEExEE10hipError_tPvRmT2_T3_T4_T5_mT6_T7_P12ihipStream_tbENKUlT_T0_E_clISt17integral_constantIbLb0EES11_EEDaSW_SX_EUlSW_E_NS1_11comp_targetILNS1_3genE2ELNS1_11target_archE906ELNS1_3gpuE6ELNS1_3repE0EEENS1_30default_config_static_selectorELNS0_4arch9wavefront6targetE0EEEvT1_,comdat
	.protected	_ZN7rocprim17ROCPRIM_400000_NS6detail17trampoline_kernelINS0_14default_configENS1_27scan_by_key_config_selectorIixEEZZNS1_16scan_by_key_implILNS1_25lookback_scan_determinismE0ELb0ES3_N6thrust23THRUST_200600_302600_NS6detail15normal_iteratorINS9_10device_ptrIiEEEENSB_INSC_IxEEEESG_xNS9_4plusIvEENS9_8equal_toIvEExEE10hipError_tPvRmT2_T3_T4_T5_mT6_T7_P12ihipStream_tbENKUlT_T0_E_clISt17integral_constantIbLb0EES11_EEDaSW_SX_EUlSW_E_NS1_11comp_targetILNS1_3genE2ELNS1_11target_archE906ELNS1_3gpuE6ELNS1_3repE0EEENS1_30default_config_static_selectorELNS0_4arch9wavefront6targetE0EEEvT1_ ; -- Begin function _ZN7rocprim17ROCPRIM_400000_NS6detail17trampoline_kernelINS0_14default_configENS1_27scan_by_key_config_selectorIixEEZZNS1_16scan_by_key_implILNS1_25lookback_scan_determinismE0ELb0ES3_N6thrust23THRUST_200600_302600_NS6detail15normal_iteratorINS9_10device_ptrIiEEEENSB_INSC_IxEEEESG_xNS9_4plusIvEENS9_8equal_toIvEExEE10hipError_tPvRmT2_T3_T4_T5_mT6_T7_P12ihipStream_tbENKUlT_T0_E_clISt17integral_constantIbLb0EES11_EEDaSW_SX_EUlSW_E_NS1_11comp_targetILNS1_3genE2ELNS1_11target_archE906ELNS1_3gpuE6ELNS1_3repE0EEENS1_30default_config_static_selectorELNS0_4arch9wavefront6targetE0EEEvT1_
	.globl	_ZN7rocprim17ROCPRIM_400000_NS6detail17trampoline_kernelINS0_14default_configENS1_27scan_by_key_config_selectorIixEEZZNS1_16scan_by_key_implILNS1_25lookback_scan_determinismE0ELb0ES3_N6thrust23THRUST_200600_302600_NS6detail15normal_iteratorINS9_10device_ptrIiEEEENSB_INSC_IxEEEESG_xNS9_4plusIvEENS9_8equal_toIvEExEE10hipError_tPvRmT2_T3_T4_T5_mT6_T7_P12ihipStream_tbENKUlT_T0_E_clISt17integral_constantIbLb0EES11_EEDaSW_SX_EUlSW_E_NS1_11comp_targetILNS1_3genE2ELNS1_11target_archE906ELNS1_3gpuE6ELNS1_3repE0EEENS1_30default_config_static_selectorELNS0_4arch9wavefront6targetE0EEEvT1_
	.p2align	8
	.type	_ZN7rocprim17ROCPRIM_400000_NS6detail17trampoline_kernelINS0_14default_configENS1_27scan_by_key_config_selectorIixEEZZNS1_16scan_by_key_implILNS1_25lookback_scan_determinismE0ELb0ES3_N6thrust23THRUST_200600_302600_NS6detail15normal_iteratorINS9_10device_ptrIiEEEENSB_INSC_IxEEEESG_xNS9_4plusIvEENS9_8equal_toIvEExEE10hipError_tPvRmT2_T3_T4_T5_mT6_T7_P12ihipStream_tbENKUlT_T0_E_clISt17integral_constantIbLb0EES11_EEDaSW_SX_EUlSW_E_NS1_11comp_targetILNS1_3genE2ELNS1_11target_archE906ELNS1_3gpuE6ELNS1_3repE0EEENS1_30default_config_static_selectorELNS0_4arch9wavefront6targetE0EEEvT1_,@function
_ZN7rocprim17ROCPRIM_400000_NS6detail17trampoline_kernelINS0_14default_configENS1_27scan_by_key_config_selectorIixEEZZNS1_16scan_by_key_implILNS1_25lookback_scan_determinismE0ELb0ES3_N6thrust23THRUST_200600_302600_NS6detail15normal_iteratorINS9_10device_ptrIiEEEENSB_INSC_IxEEEESG_xNS9_4plusIvEENS9_8equal_toIvEExEE10hipError_tPvRmT2_T3_T4_T5_mT6_T7_P12ihipStream_tbENKUlT_T0_E_clISt17integral_constantIbLb0EES11_EEDaSW_SX_EUlSW_E_NS1_11comp_targetILNS1_3genE2ELNS1_11target_archE906ELNS1_3gpuE6ELNS1_3repE0EEENS1_30default_config_static_selectorELNS0_4arch9wavefront6targetE0EEEvT1_: ; @_ZN7rocprim17ROCPRIM_400000_NS6detail17trampoline_kernelINS0_14default_configENS1_27scan_by_key_config_selectorIixEEZZNS1_16scan_by_key_implILNS1_25lookback_scan_determinismE0ELb0ES3_N6thrust23THRUST_200600_302600_NS6detail15normal_iteratorINS9_10device_ptrIiEEEENSB_INSC_IxEEEESG_xNS9_4plusIvEENS9_8equal_toIvEExEE10hipError_tPvRmT2_T3_T4_T5_mT6_T7_P12ihipStream_tbENKUlT_T0_E_clISt17integral_constantIbLb0EES11_EEDaSW_SX_EUlSW_E_NS1_11comp_targetILNS1_3genE2ELNS1_11target_archE906ELNS1_3gpuE6ELNS1_3repE0EEENS1_30default_config_static_selectorELNS0_4arch9wavefront6targetE0EEEvT1_
; %bb.0:
	.section	.rodata,"a",@progbits
	.p2align	6, 0x0
	.amdhsa_kernel _ZN7rocprim17ROCPRIM_400000_NS6detail17trampoline_kernelINS0_14default_configENS1_27scan_by_key_config_selectorIixEEZZNS1_16scan_by_key_implILNS1_25lookback_scan_determinismE0ELb0ES3_N6thrust23THRUST_200600_302600_NS6detail15normal_iteratorINS9_10device_ptrIiEEEENSB_INSC_IxEEEESG_xNS9_4plusIvEENS9_8equal_toIvEExEE10hipError_tPvRmT2_T3_T4_T5_mT6_T7_P12ihipStream_tbENKUlT_T0_E_clISt17integral_constantIbLb0EES11_EEDaSW_SX_EUlSW_E_NS1_11comp_targetILNS1_3genE2ELNS1_11target_archE906ELNS1_3gpuE6ELNS1_3repE0EEENS1_30default_config_static_selectorELNS0_4arch9wavefront6targetE0EEEvT1_
		.amdhsa_group_segment_fixed_size 0
		.amdhsa_private_segment_fixed_size 0
		.amdhsa_kernarg_size 136
		.amdhsa_user_sgpr_count 2
		.amdhsa_user_sgpr_dispatch_ptr 0
		.amdhsa_user_sgpr_queue_ptr 0
		.amdhsa_user_sgpr_kernarg_segment_ptr 1
		.amdhsa_user_sgpr_dispatch_id 0
		.amdhsa_user_sgpr_kernarg_preload_length 0
		.amdhsa_user_sgpr_kernarg_preload_offset 0
		.amdhsa_user_sgpr_private_segment_size 0
		.amdhsa_wavefront_size32 1
		.amdhsa_uses_dynamic_stack 0
		.amdhsa_enable_private_segment 0
		.amdhsa_system_sgpr_workgroup_id_x 1
		.amdhsa_system_sgpr_workgroup_id_y 0
		.amdhsa_system_sgpr_workgroup_id_z 0
		.amdhsa_system_sgpr_workgroup_info 0
		.amdhsa_system_vgpr_workitem_id 0
		.amdhsa_next_free_vgpr 1
		.amdhsa_next_free_sgpr 1
		.amdhsa_named_barrier_count 0
		.amdhsa_reserve_vcc 0
		.amdhsa_float_round_mode_32 0
		.amdhsa_float_round_mode_16_64 0
		.amdhsa_float_denorm_mode_32 3
		.amdhsa_float_denorm_mode_16_64 3
		.amdhsa_fp16_overflow 0
		.amdhsa_memory_ordered 1
		.amdhsa_forward_progress 1
		.amdhsa_inst_pref_size 0
		.amdhsa_round_robin_scheduling 0
		.amdhsa_exception_fp_ieee_invalid_op 0
		.amdhsa_exception_fp_denorm_src 0
		.amdhsa_exception_fp_ieee_div_zero 0
		.amdhsa_exception_fp_ieee_overflow 0
		.amdhsa_exception_fp_ieee_underflow 0
		.amdhsa_exception_fp_ieee_inexact 0
		.amdhsa_exception_int_div_zero 0
	.end_amdhsa_kernel
	.section	.text._ZN7rocprim17ROCPRIM_400000_NS6detail17trampoline_kernelINS0_14default_configENS1_27scan_by_key_config_selectorIixEEZZNS1_16scan_by_key_implILNS1_25lookback_scan_determinismE0ELb0ES3_N6thrust23THRUST_200600_302600_NS6detail15normal_iteratorINS9_10device_ptrIiEEEENSB_INSC_IxEEEESG_xNS9_4plusIvEENS9_8equal_toIvEExEE10hipError_tPvRmT2_T3_T4_T5_mT6_T7_P12ihipStream_tbENKUlT_T0_E_clISt17integral_constantIbLb0EES11_EEDaSW_SX_EUlSW_E_NS1_11comp_targetILNS1_3genE2ELNS1_11target_archE906ELNS1_3gpuE6ELNS1_3repE0EEENS1_30default_config_static_selectorELNS0_4arch9wavefront6targetE0EEEvT1_,"axG",@progbits,_ZN7rocprim17ROCPRIM_400000_NS6detail17trampoline_kernelINS0_14default_configENS1_27scan_by_key_config_selectorIixEEZZNS1_16scan_by_key_implILNS1_25lookback_scan_determinismE0ELb0ES3_N6thrust23THRUST_200600_302600_NS6detail15normal_iteratorINS9_10device_ptrIiEEEENSB_INSC_IxEEEESG_xNS9_4plusIvEENS9_8equal_toIvEExEE10hipError_tPvRmT2_T3_T4_T5_mT6_T7_P12ihipStream_tbENKUlT_T0_E_clISt17integral_constantIbLb0EES11_EEDaSW_SX_EUlSW_E_NS1_11comp_targetILNS1_3genE2ELNS1_11target_archE906ELNS1_3gpuE6ELNS1_3repE0EEENS1_30default_config_static_selectorELNS0_4arch9wavefront6targetE0EEEvT1_,comdat
.Lfunc_end1316:
	.size	_ZN7rocprim17ROCPRIM_400000_NS6detail17trampoline_kernelINS0_14default_configENS1_27scan_by_key_config_selectorIixEEZZNS1_16scan_by_key_implILNS1_25lookback_scan_determinismE0ELb0ES3_N6thrust23THRUST_200600_302600_NS6detail15normal_iteratorINS9_10device_ptrIiEEEENSB_INSC_IxEEEESG_xNS9_4plusIvEENS9_8equal_toIvEExEE10hipError_tPvRmT2_T3_T4_T5_mT6_T7_P12ihipStream_tbENKUlT_T0_E_clISt17integral_constantIbLb0EES11_EEDaSW_SX_EUlSW_E_NS1_11comp_targetILNS1_3genE2ELNS1_11target_archE906ELNS1_3gpuE6ELNS1_3repE0EEENS1_30default_config_static_selectorELNS0_4arch9wavefront6targetE0EEEvT1_, .Lfunc_end1316-_ZN7rocprim17ROCPRIM_400000_NS6detail17trampoline_kernelINS0_14default_configENS1_27scan_by_key_config_selectorIixEEZZNS1_16scan_by_key_implILNS1_25lookback_scan_determinismE0ELb0ES3_N6thrust23THRUST_200600_302600_NS6detail15normal_iteratorINS9_10device_ptrIiEEEENSB_INSC_IxEEEESG_xNS9_4plusIvEENS9_8equal_toIvEExEE10hipError_tPvRmT2_T3_T4_T5_mT6_T7_P12ihipStream_tbENKUlT_T0_E_clISt17integral_constantIbLb0EES11_EEDaSW_SX_EUlSW_E_NS1_11comp_targetILNS1_3genE2ELNS1_11target_archE906ELNS1_3gpuE6ELNS1_3repE0EEENS1_30default_config_static_selectorELNS0_4arch9wavefront6targetE0EEEvT1_
                                        ; -- End function
	.set _ZN7rocprim17ROCPRIM_400000_NS6detail17trampoline_kernelINS0_14default_configENS1_27scan_by_key_config_selectorIixEEZZNS1_16scan_by_key_implILNS1_25lookback_scan_determinismE0ELb0ES3_N6thrust23THRUST_200600_302600_NS6detail15normal_iteratorINS9_10device_ptrIiEEEENSB_INSC_IxEEEESG_xNS9_4plusIvEENS9_8equal_toIvEExEE10hipError_tPvRmT2_T3_T4_T5_mT6_T7_P12ihipStream_tbENKUlT_T0_E_clISt17integral_constantIbLb0EES11_EEDaSW_SX_EUlSW_E_NS1_11comp_targetILNS1_3genE2ELNS1_11target_archE906ELNS1_3gpuE6ELNS1_3repE0EEENS1_30default_config_static_selectorELNS0_4arch9wavefront6targetE0EEEvT1_.num_vgpr, 0
	.set _ZN7rocprim17ROCPRIM_400000_NS6detail17trampoline_kernelINS0_14default_configENS1_27scan_by_key_config_selectorIixEEZZNS1_16scan_by_key_implILNS1_25lookback_scan_determinismE0ELb0ES3_N6thrust23THRUST_200600_302600_NS6detail15normal_iteratorINS9_10device_ptrIiEEEENSB_INSC_IxEEEESG_xNS9_4plusIvEENS9_8equal_toIvEExEE10hipError_tPvRmT2_T3_T4_T5_mT6_T7_P12ihipStream_tbENKUlT_T0_E_clISt17integral_constantIbLb0EES11_EEDaSW_SX_EUlSW_E_NS1_11comp_targetILNS1_3genE2ELNS1_11target_archE906ELNS1_3gpuE6ELNS1_3repE0EEENS1_30default_config_static_selectorELNS0_4arch9wavefront6targetE0EEEvT1_.num_agpr, 0
	.set _ZN7rocprim17ROCPRIM_400000_NS6detail17trampoline_kernelINS0_14default_configENS1_27scan_by_key_config_selectorIixEEZZNS1_16scan_by_key_implILNS1_25lookback_scan_determinismE0ELb0ES3_N6thrust23THRUST_200600_302600_NS6detail15normal_iteratorINS9_10device_ptrIiEEEENSB_INSC_IxEEEESG_xNS9_4plusIvEENS9_8equal_toIvEExEE10hipError_tPvRmT2_T3_T4_T5_mT6_T7_P12ihipStream_tbENKUlT_T0_E_clISt17integral_constantIbLb0EES11_EEDaSW_SX_EUlSW_E_NS1_11comp_targetILNS1_3genE2ELNS1_11target_archE906ELNS1_3gpuE6ELNS1_3repE0EEENS1_30default_config_static_selectorELNS0_4arch9wavefront6targetE0EEEvT1_.numbered_sgpr, 0
	.set _ZN7rocprim17ROCPRIM_400000_NS6detail17trampoline_kernelINS0_14default_configENS1_27scan_by_key_config_selectorIixEEZZNS1_16scan_by_key_implILNS1_25lookback_scan_determinismE0ELb0ES3_N6thrust23THRUST_200600_302600_NS6detail15normal_iteratorINS9_10device_ptrIiEEEENSB_INSC_IxEEEESG_xNS9_4plusIvEENS9_8equal_toIvEExEE10hipError_tPvRmT2_T3_T4_T5_mT6_T7_P12ihipStream_tbENKUlT_T0_E_clISt17integral_constantIbLb0EES11_EEDaSW_SX_EUlSW_E_NS1_11comp_targetILNS1_3genE2ELNS1_11target_archE906ELNS1_3gpuE6ELNS1_3repE0EEENS1_30default_config_static_selectorELNS0_4arch9wavefront6targetE0EEEvT1_.num_named_barrier, 0
	.set _ZN7rocprim17ROCPRIM_400000_NS6detail17trampoline_kernelINS0_14default_configENS1_27scan_by_key_config_selectorIixEEZZNS1_16scan_by_key_implILNS1_25lookback_scan_determinismE0ELb0ES3_N6thrust23THRUST_200600_302600_NS6detail15normal_iteratorINS9_10device_ptrIiEEEENSB_INSC_IxEEEESG_xNS9_4plusIvEENS9_8equal_toIvEExEE10hipError_tPvRmT2_T3_T4_T5_mT6_T7_P12ihipStream_tbENKUlT_T0_E_clISt17integral_constantIbLb0EES11_EEDaSW_SX_EUlSW_E_NS1_11comp_targetILNS1_3genE2ELNS1_11target_archE906ELNS1_3gpuE6ELNS1_3repE0EEENS1_30default_config_static_selectorELNS0_4arch9wavefront6targetE0EEEvT1_.private_seg_size, 0
	.set _ZN7rocprim17ROCPRIM_400000_NS6detail17trampoline_kernelINS0_14default_configENS1_27scan_by_key_config_selectorIixEEZZNS1_16scan_by_key_implILNS1_25lookback_scan_determinismE0ELb0ES3_N6thrust23THRUST_200600_302600_NS6detail15normal_iteratorINS9_10device_ptrIiEEEENSB_INSC_IxEEEESG_xNS9_4plusIvEENS9_8equal_toIvEExEE10hipError_tPvRmT2_T3_T4_T5_mT6_T7_P12ihipStream_tbENKUlT_T0_E_clISt17integral_constantIbLb0EES11_EEDaSW_SX_EUlSW_E_NS1_11comp_targetILNS1_3genE2ELNS1_11target_archE906ELNS1_3gpuE6ELNS1_3repE0EEENS1_30default_config_static_selectorELNS0_4arch9wavefront6targetE0EEEvT1_.uses_vcc, 0
	.set _ZN7rocprim17ROCPRIM_400000_NS6detail17trampoline_kernelINS0_14default_configENS1_27scan_by_key_config_selectorIixEEZZNS1_16scan_by_key_implILNS1_25lookback_scan_determinismE0ELb0ES3_N6thrust23THRUST_200600_302600_NS6detail15normal_iteratorINS9_10device_ptrIiEEEENSB_INSC_IxEEEESG_xNS9_4plusIvEENS9_8equal_toIvEExEE10hipError_tPvRmT2_T3_T4_T5_mT6_T7_P12ihipStream_tbENKUlT_T0_E_clISt17integral_constantIbLb0EES11_EEDaSW_SX_EUlSW_E_NS1_11comp_targetILNS1_3genE2ELNS1_11target_archE906ELNS1_3gpuE6ELNS1_3repE0EEENS1_30default_config_static_selectorELNS0_4arch9wavefront6targetE0EEEvT1_.uses_flat_scratch, 0
	.set _ZN7rocprim17ROCPRIM_400000_NS6detail17trampoline_kernelINS0_14default_configENS1_27scan_by_key_config_selectorIixEEZZNS1_16scan_by_key_implILNS1_25lookback_scan_determinismE0ELb0ES3_N6thrust23THRUST_200600_302600_NS6detail15normal_iteratorINS9_10device_ptrIiEEEENSB_INSC_IxEEEESG_xNS9_4plusIvEENS9_8equal_toIvEExEE10hipError_tPvRmT2_T3_T4_T5_mT6_T7_P12ihipStream_tbENKUlT_T0_E_clISt17integral_constantIbLb0EES11_EEDaSW_SX_EUlSW_E_NS1_11comp_targetILNS1_3genE2ELNS1_11target_archE906ELNS1_3gpuE6ELNS1_3repE0EEENS1_30default_config_static_selectorELNS0_4arch9wavefront6targetE0EEEvT1_.has_dyn_sized_stack, 0
	.set _ZN7rocprim17ROCPRIM_400000_NS6detail17trampoline_kernelINS0_14default_configENS1_27scan_by_key_config_selectorIixEEZZNS1_16scan_by_key_implILNS1_25lookback_scan_determinismE0ELb0ES3_N6thrust23THRUST_200600_302600_NS6detail15normal_iteratorINS9_10device_ptrIiEEEENSB_INSC_IxEEEESG_xNS9_4plusIvEENS9_8equal_toIvEExEE10hipError_tPvRmT2_T3_T4_T5_mT6_T7_P12ihipStream_tbENKUlT_T0_E_clISt17integral_constantIbLb0EES11_EEDaSW_SX_EUlSW_E_NS1_11comp_targetILNS1_3genE2ELNS1_11target_archE906ELNS1_3gpuE6ELNS1_3repE0EEENS1_30default_config_static_selectorELNS0_4arch9wavefront6targetE0EEEvT1_.has_recursion, 0
	.set _ZN7rocprim17ROCPRIM_400000_NS6detail17trampoline_kernelINS0_14default_configENS1_27scan_by_key_config_selectorIixEEZZNS1_16scan_by_key_implILNS1_25lookback_scan_determinismE0ELb0ES3_N6thrust23THRUST_200600_302600_NS6detail15normal_iteratorINS9_10device_ptrIiEEEENSB_INSC_IxEEEESG_xNS9_4plusIvEENS9_8equal_toIvEExEE10hipError_tPvRmT2_T3_T4_T5_mT6_T7_P12ihipStream_tbENKUlT_T0_E_clISt17integral_constantIbLb0EES11_EEDaSW_SX_EUlSW_E_NS1_11comp_targetILNS1_3genE2ELNS1_11target_archE906ELNS1_3gpuE6ELNS1_3repE0EEENS1_30default_config_static_selectorELNS0_4arch9wavefront6targetE0EEEvT1_.has_indirect_call, 0
	.section	.AMDGPU.csdata,"",@progbits
; Kernel info:
; codeLenInByte = 0
; TotalNumSgprs: 0
; NumVgprs: 0
; ScratchSize: 0
; MemoryBound: 0
; FloatMode: 240
; IeeeMode: 1
; LDSByteSize: 0 bytes/workgroup (compile time only)
; SGPRBlocks: 0
; VGPRBlocks: 0
; NumSGPRsForWavesPerEU: 1
; NumVGPRsForWavesPerEU: 1
; NamedBarCnt: 0
; Occupancy: 16
; WaveLimiterHint : 0
; COMPUTE_PGM_RSRC2:SCRATCH_EN: 0
; COMPUTE_PGM_RSRC2:USER_SGPR: 2
; COMPUTE_PGM_RSRC2:TRAP_HANDLER: 0
; COMPUTE_PGM_RSRC2:TGID_X_EN: 1
; COMPUTE_PGM_RSRC2:TGID_Y_EN: 0
; COMPUTE_PGM_RSRC2:TGID_Z_EN: 0
; COMPUTE_PGM_RSRC2:TIDIG_COMP_CNT: 0
	.section	.text._ZN7rocprim17ROCPRIM_400000_NS6detail17trampoline_kernelINS0_14default_configENS1_27scan_by_key_config_selectorIixEEZZNS1_16scan_by_key_implILNS1_25lookback_scan_determinismE0ELb0ES3_N6thrust23THRUST_200600_302600_NS6detail15normal_iteratorINS9_10device_ptrIiEEEENSB_INSC_IxEEEESG_xNS9_4plusIvEENS9_8equal_toIvEExEE10hipError_tPvRmT2_T3_T4_T5_mT6_T7_P12ihipStream_tbENKUlT_T0_E_clISt17integral_constantIbLb0EES11_EEDaSW_SX_EUlSW_E_NS1_11comp_targetILNS1_3genE10ELNS1_11target_archE1200ELNS1_3gpuE4ELNS1_3repE0EEENS1_30default_config_static_selectorELNS0_4arch9wavefront6targetE0EEEvT1_,"axG",@progbits,_ZN7rocprim17ROCPRIM_400000_NS6detail17trampoline_kernelINS0_14default_configENS1_27scan_by_key_config_selectorIixEEZZNS1_16scan_by_key_implILNS1_25lookback_scan_determinismE0ELb0ES3_N6thrust23THRUST_200600_302600_NS6detail15normal_iteratorINS9_10device_ptrIiEEEENSB_INSC_IxEEEESG_xNS9_4plusIvEENS9_8equal_toIvEExEE10hipError_tPvRmT2_T3_T4_T5_mT6_T7_P12ihipStream_tbENKUlT_T0_E_clISt17integral_constantIbLb0EES11_EEDaSW_SX_EUlSW_E_NS1_11comp_targetILNS1_3genE10ELNS1_11target_archE1200ELNS1_3gpuE4ELNS1_3repE0EEENS1_30default_config_static_selectorELNS0_4arch9wavefront6targetE0EEEvT1_,comdat
	.protected	_ZN7rocprim17ROCPRIM_400000_NS6detail17trampoline_kernelINS0_14default_configENS1_27scan_by_key_config_selectorIixEEZZNS1_16scan_by_key_implILNS1_25lookback_scan_determinismE0ELb0ES3_N6thrust23THRUST_200600_302600_NS6detail15normal_iteratorINS9_10device_ptrIiEEEENSB_INSC_IxEEEESG_xNS9_4plusIvEENS9_8equal_toIvEExEE10hipError_tPvRmT2_T3_T4_T5_mT6_T7_P12ihipStream_tbENKUlT_T0_E_clISt17integral_constantIbLb0EES11_EEDaSW_SX_EUlSW_E_NS1_11comp_targetILNS1_3genE10ELNS1_11target_archE1200ELNS1_3gpuE4ELNS1_3repE0EEENS1_30default_config_static_selectorELNS0_4arch9wavefront6targetE0EEEvT1_ ; -- Begin function _ZN7rocprim17ROCPRIM_400000_NS6detail17trampoline_kernelINS0_14default_configENS1_27scan_by_key_config_selectorIixEEZZNS1_16scan_by_key_implILNS1_25lookback_scan_determinismE0ELb0ES3_N6thrust23THRUST_200600_302600_NS6detail15normal_iteratorINS9_10device_ptrIiEEEENSB_INSC_IxEEEESG_xNS9_4plusIvEENS9_8equal_toIvEExEE10hipError_tPvRmT2_T3_T4_T5_mT6_T7_P12ihipStream_tbENKUlT_T0_E_clISt17integral_constantIbLb0EES11_EEDaSW_SX_EUlSW_E_NS1_11comp_targetILNS1_3genE10ELNS1_11target_archE1200ELNS1_3gpuE4ELNS1_3repE0EEENS1_30default_config_static_selectorELNS0_4arch9wavefront6targetE0EEEvT1_
	.globl	_ZN7rocprim17ROCPRIM_400000_NS6detail17trampoline_kernelINS0_14default_configENS1_27scan_by_key_config_selectorIixEEZZNS1_16scan_by_key_implILNS1_25lookback_scan_determinismE0ELb0ES3_N6thrust23THRUST_200600_302600_NS6detail15normal_iteratorINS9_10device_ptrIiEEEENSB_INSC_IxEEEESG_xNS9_4plusIvEENS9_8equal_toIvEExEE10hipError_tPvRmT2_T3_T4_T5_mT6_T7_P12ihipStream_tbENKUlT_T0_E_clISt17integral_constantIbLb0EES11_EEDaSW_SX_EUlSW_E_NS1_11comp_targetILNS1_3genE10ELNS1_11target_archE1200ELNS1_3gpuE4ELNS1_3repE0EEENS1_30default_config_static_selectorELNS0_4arch9wavefront6targetE0EEEvT1_
	.p2align	8
	.type	_ZN7rocprim17ROCPRIM_400000_NS6detail17trampoline_kernelINS0_14default_configENS1_27scan_by_key_config_selectorIixEEZZNS1_16scan_by_key_implILNS1_25lookback_scan_determinismE0ELb0ES3_N6thrust23THRUST_200600_302600_NS6detail15normal_iteratorINS9_10device_ptrIiEEEENSB_INSC_IxEEEESG_xNS9_4plusIvEENS9_8equal_toIvEExEE10hipError_tPvRmT2_T3_T4_T5_mT6_T7_P12ihipStream_tbENKUlT_T0_E_clISt17integral_constantIbLb0EES11_EEDaSW_SX_EUlSW_E_NS1_11comp_targetILNS1_3genE10ELNS1_11target_archE1200ELNS1_3gpuE4ELNS1_3repE0EEENS1_30default_config_static_selectorELNS0_4arch9wavefront6targetE0EEEvT1_,@function
_ZN7rocprim17ROCPRIM_400000_NS6detail17trampoline_kernelINS0_14default_configENS1_27scan_by_key_config_selectorIixEEZZNS1_16scan_by_key_implILNS1_25lookback_scan_determinismE0ELb0ES3_N6thrust23THRUST_200600_302600_NS6detail15normal_iteratorINS9_10device_ptrIiEEEENSB_INSC_IxEEEESG_xNS9_4plusIvEENS9_8equal_toIvEExEE10hipError_tPvRmT2_T3_T4_T5_mT6_T7_P12ihipStream_tbENKUlT_T0_E_clISt17integral_constantIbLb0EES11_EEDaSW_SX_EUlSW_E_NS1_11comp_targetILNS1_3genE10ELNS1_11target_archE1200ELNS1_3gpuE4ELNS1_3repE0EEENS1_30default_config_static_selectorELNS0_4arch9wavefront6targetE0EEEvT1_: ; @_ZN7rocprim17ROCPRIM_400000_NS6detail17trampoline_kernelINS0_14default_configENS1_27scan_by_key_config_selectorIixEEZZNS1_16scan_by_key_implILNS1_25lookback_scan_determinismE0ELb0ES3_N6thrust23THRUST_200600_302600_NS6detail15normal_iteratorINS9_10device_ptrIiEEEENSB_INSC_IxEEEESG_xNS9_4plusIvEENS9_8equal_toIvEExEE10hipError_tPvRmT2_T3_T4_T5_mT6_T7_P12ihipStream_tbENKUlT_T0_E_clISt17integral_constantIbLb0EES11_EEDaSW_SX_EUlSW_E_NS1_11comp_targetILNS1_3genE10ELNS1_11target_archE1200ELNS1_3gpuE4ELNS1_3repE0EEENS1_30default_config_static_selectorELNS0_4arch9wavefront6targetE0EEEvT1_
; %bb.0:
	.section	.rodata,"a",@progbits
	.p2align	6, 0x0
	.amdhsa_kernel _ZN7rocprim17ROCPRIM_400000_NS6detail17trampoline_kernelINS0_14default_configENS1_27scan_by_key_config_selectorIixEEZZNS1_16scan_by_key_implILNS1_25lookback_scan_determinismE0ELb0ES3_N6thrust23THRUST_200600_302600_NS6detail15normal_iteratorINS9_10device_ptrIiEEEENSB_INSC_IxEEEESG_xNS9_4plusIvEENS9_8equal_toIvEExEE10hipError_tPvRmT2_T3_T4_T5_mT6_T7_P12ihipStream_tbENKUlT_T0_E_clISt17integral_constantIbLb0EES11_EEDaSW_SX_EUlSW_E_NS1_11comp_targetILNS1_3genE10ELNS1_11target_archE1200ELNS1_3gpuE4ELNS1_3repE0EEENS1_30default_config_static_selectorELNS0_4arch9wavefront6targetE0EEEvT1_
		.amdhsa_group_segment_fixed_size 0
		.amdhsa_private_segment_fixed_size 0
		.amdhsa_kernarg_size 136
		.amdhsa_user_sgpr_count 2
		.amdhsa_user_sgpr_dispatch_ptr 0
		.amdhsa_user_sgpr_queue_ptr 0
		.amdhsa_user_sgpr_kernarg_segment_ptr 1
		.amdhsa_user_sgpr_dispatch_id 0
		.amdhsa_user_sgpr_kernarg_preload_length 0
		.amdhsa_user_sgpr_kernarg_preload_offset 0
		.amdhsa_user_sgpr_private_segment_size 0
		.amdhsa_wavefront_size32 1
		.amdhsa_uses_dynamic_stack 0
		.amdhsa_enable_private_segment 0
		.amdhsa_system_sgpr_workgroup_id_x 1
		.amdhsa_system_sgpr_workgroup_id_y 0
		.amdhsa_system_sgpr_workgroup_id_z 0
		.amdhsa_system_sgpr_workgroup_info 0
		.amdhsa_system_vgpr_workitem_id 0
		.amdhsa_next_free_vgpr 1
		.amdhsa_next_free_sgpr 1
		.amdhsa_named_barrier_count 0
		.amdhsa_reserve_vcc 0
		.amdhsa_float_round_mode_32 0
		.amdhsa_float_round_mode_16_64 0
		.amdhsa_float_denorm_mode_32 3
		.amdhsa_float_denorm_mode_16_64 3
		.amdhsa_fp16_overflow 0
		.amdhsa_memory_ordered 1
		.amdhsa_forward_progress 1
		.amdhsa_inst_pref_size 0
		.amdhsa_round_robin_scheduling 0
		.amdhsa_exception_fp_ieee_invalid_op 0
		.amdhsa_exception_fp_denorm_src 0
		.amdhsa_exception_fp_ieee_div_zero 0
		.amdhsa_exception_fp_ieee_overflow 0
		.amdhsa_exception_fp_ieee_underflow 0
		.amdhsa_exception_fp_ieee_inexact 0
		.amdhsa_exception_int_div_zero 0
	.end_amdhsa_kernel
	.section	.text._ZN7rocprim17ROCPRIM_400000_NS6detail17trampoline_kernelINS0_14default_configENS1_27scan_by_key_config_selectorIixEEZZNS1_16scan_by_key_implILNS1_25lookback_scan_determinismE0ELb0ES3_N6thrust23THRUST_200600_302600_NS6detail15normal_iteratorINS9_10device_ptrIiEEEENSB_INSC_IxEEEESG_xNS9_4plusIvEENS9_8equal_toIvEExEE10hipError_tPvRmT2_T3_T4_T5_mT6_T7_P12ihipStream_tbENKUlT_T0_E_clISt17integral_constantIbLb0EES11_EEDaSW_SX_EUlSW_E_NS1_11comp_targetILNS1_3genE10ELNS1_11target_archE1200ELNS1_3gpuE4ELNS1_3repE0EEENS1_30default_config_static_selectorELNS0_4arch9wavefront6targetE0EEEvT1_,"axG",@progbits,_ZN7rocprim17ROCPRIM_400000_NS6detail17trampoline_kernelINS0_14default_configENS1_27scan_by_key_config_selectorIixEEZZNS1_16scan_by_key_implILNS1_25lookback_scan_determinismE0ELb0ES3_N6thrust23THRUST_200600_302600_NS6detail15normal_iteratorINS9_10device_ptrIiEEEENSB_INSC_IxEEEESG_xNS9_4plusIvEENS9_8equal_toIvEExEE10hipError_tPvRmT2_T3_T4_T5_mT6_T7_P12ihipStream_tbENKUlT_T0_E_clISt17integral_constantIbLb0EES11_EEDaSW_SX_EUlSW_E_NS1_11comp_targetILNS1_3genE10ELNS1_11target_archE1200ELNS1_3gpuE4ELNS1_3repE0EEENS1_30default_config_static_selectorELNS0_4arch9wavefront6targetE0EEEvT1_,comdat
.Lfunc_end1317:
	.size	_ZN7rocprim17ROCPRIM_400000_NS6detail17trampoline_kernelINS0_14default_configENS1_27scan_by_key_config_selectorIixEEZZNS1_16scan_by_key_implILNS1_25lookback_scan_determinismE0ELb0ES3_N6thrust23THRUST_200600_302600_NS6detail15normal_iteratorINS9_10device_ptrIiEEEENSB_INSC_IxEEEESG_xNS9_4plusIvEENS9_8equal_toIvEExEE10hipError_tPvRmT2_T3_T4_T5_mT6_T7_P12ihipStream_tbENKUlT_T0_E_clISt17integral_constantIbLb0EES11_EEDaSW_SX_EUlSW_E_NS1_11comp_targetILNS1_3genE10ELNS1_11target_archE1200ELNS1_3gpuE4ELNS1_3repE0EEENS1_30default_config_static_selectorELNS0_4arch9wavefront6targetE0EEEvT1_, .Lfunc_end1317-_ZN7rocprim17ROCPRIM_400000_NS6detail17trampoline_kernelINS0_14default_configENS1_27scan_by_key_config_selectorIixEEZZNS1_16scan_by_key_implILNS1_25lookback_scan_determinismE0ELb0ES3_N6thrust23THRUST_200600_302600_NS6detail15normal_iteratorINS9_10device_ptrIiEEEENSB_INSC_IxEEEESG_xNS9_4plusIvEENS9_8equal_toIvEExEE10hipError_tPvRmT2_T3_T4_T5_mT6_T7_P12ihipStream_tbENKUlT_T0_E_clISt17integral_constantIbLb0EES11_EEDaSW_SX_EUlSW_E_NS1_11comp_targetILNS1_3genE10ELNS1_11target_archE1200ELNS1_3gpuE4ELNS1_3repE0EEENS1_30default_config_static_selectorELNS0_4arch9wavefront6targetE0EEEvT1_
                                        ; -- End function
	.set _ZN7rocprim17ROCPRIM_400000_NS6detail17trampoline_kernelINS0_14default_configENS1_27scan_by_key_config_selectorIixEEZZNS1_16scan_by_key_implILNS1_25lookback_scan_determinismE0ELb0ES3_N6thrust23THRUST_200600_302600_NS6detail15normal_iteratorINS9_10device_ptrIiEEEENSB_INSC_IxEEEESG_xNS9_4plusIvEENS9_8equal_toIvEExEE10hipError_tPvRmT2_T3_T4_T5_mT6_T7_P12ihipStream_tbENKUlT_T0_E_clISt17integral_constantIbLb0EES11_EEDaSW_SX_EUlSW_E_NS1_11comp_targetILNS1_3genE10ELNS1_11target_archE1200ELNS1_3gpuE4ELNS1_3repE0EEENS1_30default_config_static_selectorELNS0_4arch9wavefront6targetE0EEEvT1_.num_vgpr, 0
	.set _ZN7rocprim17ROCPRIM_400000_NS6detail17trampoline_kernelINS0_14default_configENS1_27scan_by_key_config_selectorIixEEZZNS1_16scan_by_key_implILNS1_25lookback_scan_determinismE0ELb0ES3_N6thrust23THRUST_200600_302600_NS6detail15normal_iteratorINS9_10device_ptrIiEEEENSB_INSC_IxEEEESG_xNS9_4plusIvEENS9_8equal_toIvEExEE10hipError_tPvRmT2_T3_T4_T5_mT6_T7_P12ihipStream_tbENKUlT_T0_E_clISt17integral_constantIbLb0EES11_EEDaSW_SX_EUlSW_E_NS1_11comp_targetILNS1_3genE10ELNS1_11target_archE1200ELNS1_3gpuE4ELNS1_3repE0EEENS1_30default_config_static_selectorELNS0_4arch9wavefront6targetE0EEEvT1_.num_agpr, 0
	.set _ZN7rocprim17ROCPRIM_400000_NS6detail17trampoline_kernelINS0_14default_configENS1_27scan_by_key_config_selectorIixEEZZNS1_16scan_by_key_implILNS1_25lookback_scan_determinismE0ELb0ES3_N6thrust23THRUST_200600_302600_NS6detail15normal_iteratorINS9_10device_ptrIiEEEENSB_INSC_IxEEEESG_xNS9_4plusIvEENS9_8equal_toIvEExEE10hipError_tPvRmT2_T3_T4_T5_mT6_T7_P12ihipStream_tbENKUlT_T0_E_clISt17integral_constantIbLb0EES11_EEDaSW_SX_EUlSW_E_NS1_11comp_targetILNS1_3genE10ELNS1_11target_archE1200ELNS1_3gpuE4ELNS1_3repE0EEENS1_30default_config_static_selectorELNS0_4arch9wavefront6targetE0EEEvT1_.numbered_sgpr, 0
	.set _ZN7rocprim17ROCPRIM_400000_NS6detail17trampoline_kernelINS0_14default_configENS1_27scan_by_key_config_selectorIixEEZZNS1_16scan_by_key_implILNS1_25lookback_scan_determinismE0ELb0ES3_N6thrust23THRUST_200600_302600_NS6detail15normal_iteratorINS9_10device_ptrIiEEEENSB_INSC_IxEEEESG_xNS9_4plusIvEENS9_8equal_toIvEExEE10hipError_tPvRmT2_T3_T4_T5_mT6_T7_P12ihipStream_tbENKUlT_T0_E_clISt17integral_constantIbLb0EES11_EEDaSW_SX_EUlSW_E_NS1_11comp_targetILNS1_3genE10ELNS1_11target_archE1200ELNS1_3gpuE4ELNS1_3repE0EEENS1_30default_config_static_selectorELNS0_4arch9wavefront6targetE0EEEvT1_.num_named_barrier, 0
	.set _ZN7rocprim17ROCPRIM_400000_NS6detail17trampoline_kernelINS0_14default_configENS1_27scan_by_key_config_selectorIixEEZZNS1_16scan_by_key_implILNS1_25lookback_scan_determinismE0ELb0ES3_N6thrust23THRUST_200600_302600_NS6detail15normal_iteratorINS9_10device_ptrIiEEEENSB_INSC_IxEEEESG_xNS9_4plusIvEENS9_8equal_toIvEExEE10hipError_tPvRmT2_T3_T4_T5_mT6_T7_P12ihipStream_tbENKUlT_T0_E_clISt17integral_constantIbLb0EES11_EEDaSW_SX_EUlSW_E_NS1_11comp_targetILNS1_3genE10ELNS1_11target_archE1200ELNS1_3gpuE4ELNS1_3repE0EEENS1_30default_config_static_selectorELNS0_4arch9wavefront6targetE0EEEvT1_.private_seg_size, 0
	.set _ZN7rocprim17ROCPRIM_400000_NS6detail17trampoline_kernelINS0_14default_configENS1_27scan_by_key_config_selectorIixEEZZNS1_16scan_by_key_implILNS1_25lookback_scan_determinismE0ELb0ES3_N6thrust23THRUST_200600_302600_NS6detail15normal_iteratorINS9_10device_ptrIiEEEENSB_INSC_IxEEEESG_xNS9_4plusIvEENS9_8equal_toIvEExEE10hipError_tPvRmT2_T3_T4_T5_mT6_T7_P12ihipStream_tbENKUlT_T0_E_clISt17integral_constantIbLb0EES11_EEDaSW_SX_EUlSW_E_NS1_11comp_targetILNS1_3genE10ELNS1_11target_archE1200ELNS1_3gpuE4ELNS1_3repE0EEENS1_30default_config_static_selectorELNS0_4arch9wavefront6targetE0EEEvT1_.uses_vcc, 0
	.set _ZN7rocprim17ROCPRIM_400000_NS6detail17trampoline_kernelINS0_14default_configENS1_27scan_by_key_config_selectorIixEEZZNS1_16scan_by_key_implILNS1_25lookback_scan_determinismE0ELb0ES3_N6thrust23THRUST_200600_302600_NS6detail15normal_iteratorINS9_10device_ptrIiEEEENSB_INSC_IxEEEESG_xNS9_4plusIvEENS9_8equal_toIvEExEE10hipError_tPvRmT2_T3_T4_T5_mT6_T7_P12ihipStream_tbENKUlT_T0_E_clISt17integral_constantIbLb0EES11_EEDaSW_SX_EUlSW_E_NS1_11comp_targetILNS1_3genE10ELNS1_11target_archE1200ELNS1_3gpuE4ELNS1_3repE0EEENS1_30default_config_static_selectorELNS0_4arch9wavefront6targetE0EEEvT1_.uses_flat_scratch, 0
	.set _ZN7rocprim17ROCPRIM_400000_NS6detail17trampoline_kernelINS0_14default_configENS1_27scan_by_key_config_selectorIixEEZZNS1_16scan_by_key_implILNS1_25lookback_scan_determinismE0ELb0ES3_N6thrust23THRUST_200600_302600_NS6detail15normal_iteratorINS9_10device_ptrIiEEEENSB_INSC_IxEEEESG_xNS9_4plusIvEENS9_8equal_toIvEExEE10hipError_tPvRmT2_T3_T4_T5_mT6_T7_P12ihipStream_tbENKUlT_T0_E_clISt17integral_constantIbLb0EES11_EEDaSW_SX_EUlSW_E_NS1_11comp_targetILNS1_3genE10ELNS1_11target_archE1200ELNS1_3gpuE4ELNS1_3repE0EEENS1_30default_config_static_selectorELNS0_4arch9wavefront6targetE0EEEvT1_.has_dyn_sized_stack, 0
	.set _ZN7rocprim17ROCPRIM_400000_NS6detail17trampoline_kernelINS0_14default_configENS1_27scan_by_key_config_selectorIixEEZZNS1_16scan_by_key_implILNS1_25lookback_scan_determinismE0ELb0ES3_N6thrust23THRUST_200600_302600_NS6detail15normal_iteratorINS9_10device_ptrIiEEEENSB_INSC_IxEEEESG_xNS9_4plusIvEENS9_8equal_toIvEExEE10hipError_tPvRmT2_T3_T4_T5_mT6_T7_P12ihipStream_tbENKUlT_T0_E_clISt17integral_constantIbLb0EES11_EEDaSW_SX_EUlSW_E_NS1_11comp_targetILNS1_3genE10ELNS1_11target_archE1200ELNS1_3gpuE4ELNS1_3repE0EEENS1_30default_config_static_selectorELNS0_4arch9wavefront6targetE0EEEvT1_.has_recursion, 0
	.set _ZN7rocprim17ROCPRIM_400000_NS6detail17trampoline_kernelINS0_14default_configENS1_27scan_by_key_config_selectorIixEEZZNS1_16scan_by_key_implILNS1_25lookback_scan_determinismE0ELb0ES3_N6thrust23THRUST_200600_302600_NS6detail15normal_iteratorINS9_10device_ptrIiEEEENSB_INSC_IxEEEESG_xNS9_4plusIvEENS9_8equal_toIvEExEE10hipError_tPvRmT2_T3_T4_T5_mT6_T7_P12ihipStream_tbENKUlT_T0_E_clISt17integral_constantIbLb0EES11_EEDaSW_SX_EUlSW_E_NS1_11comp_targetILNS1_3genE10ELNS1_11target_archE1200ELNS1_3gpuE4ELNS1_3repE0EEENS1_30default_config_static_selectorELNS0_4arch9wavefront6targetE0EEEvT1_.has_indirect_call, 0
	.section	.AMDGPU.csdata,"",@progbits
; Kernel info:
; codeLenInByte = 0
; TotalNumSgprs: 0
; NumVgprs: 0
; ScratchSize: 0
; MemoryBound: 0
; FloatMode: 240
; IeeeMode: 1
; LDSByteSize: 0 bytes/workgroup (compile time only)
; SGPRBlocks: 0
; VGPRBlocks: 0
; NumSGPRsForWavesPerEU: 1
; NumVGPRsForWavesPerEU: 1
; NamedBarCnt: 0
; Occupancy: 16
; WaveLimiterHint : 0
; COMPUTE_PGM_RSRC2:SCRATCH_EN: 0
; COMPUTE_PGM_RSRC2:USER_SGPR: 2
; COMPUTE_PGM_RSRC2:TRAP_HANDLER: 0
; COMPUTE_PGM_RSRC2:TGID_X_EN: 1
; COMPUTE_PGM_RSRC2:TGID_Y_EN: 0
; COMPUTE_PGM_RSRC2:TGID_Z_EN: 0
; COMPUTE_PGM_RSRC2:TIDIG_COMP_CNT: 0
	.section	.text._ZN7rocprim17ROCPRIM_400000_NS6detail17trampoline_kernelINS0_14default_configENS1_27scan_by_key_config_selectorIixEEZZNS1_16scan_by_key_implILNS1_25lookback_scan_determinismE0ELb0ES3_N6thrust23THRUST_200600_302600_NS6detail15normal_iteratorINS9_10device_ptrIiEEEENSB_INSC_IxEEEESG_xNS9_4plusIvEENS9_8equal_toIvEExEE10hipError_tPvRmT2_T3_T4_T5_mT6_T7_P12ihipStream_tbENKUlT_T0_E_clISt17integral_constantIbLb0EES11_EEDaSW_SX_EUlSW_E_NS1_11comp_targetILNS1_3genE9ELNS1_11target_archE1100ELNS1_3gpuE3ELNS1_3repE0EEENS1_30default_config_static_selectorELNS0_4arch9wavefront6targetE0EEEvT1_,"axG",@progbits,_ZN7rocprim17ROCPRIM_400000_NS6detail17trampoline_kernelINS0_14default_configENS1_27scan_by_key_config_selectorIixEEZZNS1_16scan_by_key_implILNS1_25lookback_scan_determinismE0ELb0ES3_N6thrust23THRUST_200600_302600_NS6detail15normal_iteratorINS9_10device_ptrIiEEEENSB_INSC_IxEEEESG_xNS9_4plusIvEENS9_8equal_toIvEExEE10hipError_tPvRmT2_T3_T4_T5_mT6_T7_P12ihipStream_tbENKUlT_T0_E_clISt17integral_constantIbLb0EES11_EEDaSW_SX_EUlSW_E_NS1_11comp_targetILNS1_3genE9ELNS1_11target_archE1100ELNS1_3gpuE3ELNS1_3repE0EEENS1_30default_config_static_selectorELNS0_4arch9wavefront6targetE0EEEvT1_,comdat
	.protected	_ZN7rocprim17ROCPRIM_400000_NS6detail17trampoline_kernelINS0_14default_configENS1_27scan_by_key_config_selectorIixEEZZNS1_16scan_by_key_implILNS1_25lookback_scan_determinismE0ELb0ES3_N6thrust23THRUST_200600_302600_NS6detail15normal_iteratorINS9_10device_ptrIiEEEENSB_INSC_IxEEEESG_xNS9_4plusIvEENS9_8equal_toIvEExEE10hipError_tPvRmT2_T3_T4_T5_mT6_T7_P12ihipStream_tbENKUlT_T0_E_clISt17integral_constantIbLb0EES11_EEDaSW_SX_EUlSW_E_NS1_11comp_targetILNS1_3genE9ELNS1_11target_archE1100ELNS1_3gpuE3ELNS1_3repE0EEENS1_30default_config_static_selectorELNS0_4arch9wavefront6targetE0EEEvT1_ ; -- Begin function _ZN7rocprim17ROCPRIM_400000_NS6detail17trampoline_kernelINS0_14default_configENS1_27scan_by_key_config_selectorIixEEZZNS1_16scan_by_key_implILNS1_25lookback_scan_determinismE0ELb0ES3_N6thrust23THRUST_200600_302600_NS6detail15normal_iteratorINS9_10device_ptrIiEEEENSB_INSC_IxEEEESG_xNS9_4plusIvEENS9_8equal_toIvEExEE10hipError_tPvRmT2_T3_T4_T5_mT6_T7_P12ihipStream_tbENKUlT_T0_E_clISt17integral_constantIbLb0EES11_EEDaSW_SX_EUlSW_E_NS1_11comp_targetILNS1_3genE9ELNS1_11target_archE1100ELNS1_3gpuE3ELNS1_3repE0EEENS1_30default_config_static_selectorELNS0_4arch9wavefront6targetE0EEEvT1_
	.globl	_ZN7rocprim17ROCPRIM_400000_NS6detail17trampoline_kernelINS0_14default_configENS1_27scan_by_key_config_selectorIixEEZZNS1_16scan_by_key_implILNS1_25lookback_scan_determinismE0ELb0ES3_N6thrust23THRUST_200600_302600_NS6detail15normal_iteratorINS9_10device_ptrIiEEEENSB_INSC_IxEEEESG_xNS9_4plusIvEENS9_8equal_toIvEExEE10hipError_tPvRmT2_T3_T4_T5_mT6_T7_P12ihipStream_tbENKUlT_T0_E_clISt17integral_constantIbLb0EES11_EEDaSW_SX_EUlSW_E_NS1_11comp_targetILNS1_3genE9ELNS1_11target_archE1100ELNS1_3gpuE3ELNS1_3repE0EEENS1_30default_config_static_selectorELNS0_4arch9wavefront6targetE0EEEvT1_
	.p2align	8
	.type	_ZN7rocprim17ROCPRIM_400000_NS6detail17trampoline_kernelINS0_14default_configENS1_27scan_by_key_config_selectorIixEEZZNS1_16scan_by_key_implILNS1_25lookback_scan_determinismE0ELb0ES3_N6thrust23THRUST_200600_302600_NS6detail15normal_iteratorINS9_10device_ptrIiEEEENSB_INSC_IxEEEESG_xNS9_4plusIvEENS9_8equal_toIvEExEE10hipError_tPvRmT2_T3_T4_T5_mT6_T7_P12ihipStream_tbENKUlT_T0_E_clISt17integral_constantIbLb0EES11_EEDaSW_SX_EUlSW_E_NS1_11comp_targetILNS1_3genE9ELNS1_11target_archE1100ELNS1_3gpuE3ELNS1_3repE0EEENS1_30default_config_static_selectorELNS0_4arch9wavefront6targetE0EEEvT1_,@function
_ZN7rocprim17ROCPRIM_400000_NS6detail17trampoline_kernelINS0_14default_configENS1_27scan_by_key_config_selectorIixEEZZNS1_16scan_by_key_implILNS1_25lookback_scan_determinismE0ELb0ES3_N6thrust23THRUST_200600_302600_NS6detail15normal_iteratorINS9_10device_ptrIiEEEENSB_INSC_IxEEEESG_xNS9_4plusIvEENS9_8equal_toIvEExEE10hipError_tPvRmT2_T3_T4_T5_mT6_T7_P12ihipStream_tbENKUlT_T0_E_clISt17integral_constantIbLb0EES11_EEDaSW_SX_EUlSW_E_NS1_11comp_targetILNS1_3genE9ELNS1_11target_archE1100ELNS1_3gpuE3ELNS1_3repE0EEENS1_30default_config_static_selectorELNS0_4arch9wavefront6targetE0EEEvT1_: ; @_ZN7rocprim17ROCPRIM_400000_NS6detail17trampoline_kernelINS0_14default_configENS1_27scan_by_key_config_selectorIixEEZZNS1_16scan_by_key_implILNS1_25lookback_scan_determinismE0ELb0ES3_N6thrust23THRUST_200600_302600_NS6detail15normal_iteratorINS9_10device_ptrIiEEEENSB_INSC_IxEEEESG_xNS9_4plusIvEENS9_8equal_toIvEExEE10hipError_tPvRmT2_T3_T4_T5_mT6_T7_P12ihipStream_tbENKUlT_T0_E_clISt17integral_constantIbLb0EES11_EEDaSW_SX_EUlSW_E_NS1_11comp_targetILNS1_3genE9ELNS1_11target_archE1100ELNS1_3gpuE3ELNS1_3repE0EEENS1_30default_config_static_selectorELNS0_4arch9wavefront6targetE0EEEvT1_
; %bb.0:
	.section	.rodata,"a",@progbits
	.p2align	6, 0x0
	.amdhsa_kernel _ZN7rocprim17ROCPRIM_400000_NS6detail17trampoline_kernelINS0_14default_configENS1_27scan_by_key_config_selectorIixEEZZNS1_16scan_by_key_implILNS1_25lookback_scan_determinismE0ELb0ES3_N6thrust23THRUST_200600_302600_NS6detail15normal_iteratorINS9_10device_ptrIiEEEENSB_INSC_IxEEEESG_xNS9_4plusIvEENS9_8equal_toIvEExEE10hipError_tPvRmT2_T3_T4_T5_mT6_T7_P12ihipStream_tbENKUlT_T0_E_clISt17integral_constantIbLb0EES11_EEDaSW_SX_EUlSW_E_NS1_11comp_targetILNS1_3genE9ELNS1_11target_archE1100ELNS1_3gpuE3ELNS1_3repE0EEENS1_30default_config_static_selectorELNS0_4arch9wavefront6targetE0EEEvT1_
		.amdhsa_group_segment_fixed_size 0
		.amdhsa_private_segment_fixed_size 0
		.amdhsa_kernarg_size 136
		.amdhsa_user_sgpr_count 2
		.amdhsa_user_sgpr_dispatch_ptr 0
		.amdhsa_user_sgpr_queue_ptr 0
		.amdhsa_user_sgpr_kernarg_segment_ptr 1
		.amdhsa_user_sgpr_dispatch_id 0
		.amdhsa_user_sgpr_kernarg_preload_length 0
		.amdhsa_user_sgpr_kernarg_preload_offset 0
		.amdhsa_user_sgpr_private_segment_size 0
		.amdhsa_wavefront_size32 1
		.amdhsa_uses_dynamic_stack 0
		.amdhsa_enable_private_segment 0
		.amdhsa_system_sgpr_workgroup_id_x 1
		.amdhsa_system_sgpr_workgroup_id_y 0
		.amdhsa_system_sgpr_workgroup_id_z 0
		.amdhsa_system_sgpr_workgroup_info 0
		.amdhsa_system_vgpr_workitem_id 0
		.amdhsa_next_free_vgpr 1
		.amdhsa_next_free_sgpr 1
		.amdhsa_named_barrier_count 0
		.amdhsa_reserve_vcc 0
		.amdhsa_float_round_mode_32 0
		.amdhsa_float_round_mode_16_64 0
		.amdhsa_float_denorm_mode_32 3
		.amdhsa_float_denorm_mode_16_64 3
		.amdhsa_fp16_overflow 0
		.amdhsa_memory_ordered 1
		.amdhsa_forward_progress 1
		.amdhsa_inst_pref_size 0
		.amdhsa_round_robin_scheduling 0
		.amdhsa_exception_fp_ieee_invalid_op 0
		.amdhsa_exception_fp_denorm_src 0
		.amdhsa_exception_fp_ieee_div_zero 0
		.amdhsa_exception_fp_ieee_overflow 0
		.amdhsa_exception_fp_ieee_underflow 0
		.amdhsa_exception_fp_ieee_inexact 0
		.amdhsa_exception_int_div_zero 0
	.end_amdhsa_kernel
	.section	.text._ZN7rocprim17ROCPRIM_400000_NS6detail17trampoline_kernelINS0_14default_configENS1_27scan_by_key_config_selectorIixEEZZNS1_16scan_by_key_implILNS1_25lookback_scan_determinismE0ELb0ES3_N6thrust23THRUST_200600_302600_NS6detail15normal_iteratorINS9_10device_ptrIiEEEENSB_INSC_IxEEEESG_xNS9_4plusIvEENS9_8equal_toIvEExEE10hipError_tPvRmT2_T3_T4_T5_mT6_T7_P12ihipStream_tbENKUlT_T0_E_clISt17integral_constantIbLb0EES11_EEDaSW_SX_EUlSW_E_NS1_11comp_targetILNS1_3genE9ELNS1_11target_archE1100ELNS1_3gpuE3ELNS1_3repE0EEENS1_30default_config_static_selectorELNS0_4arch9wavefront6targetE0EEEvT1_,"axG",@progbits,_ZN7rocprim17ROCPRIM_400000_NS6detail17trampoline_kernelINS0_14default_configENS1_27scan_by_key_config_selectorIixEEZZNS1_16scan_by_key_implILNS1_25lookback_scan_determinismE0ELb0ES3_N6thrust23THRUST_200600_302600_NS6detail15normal_iteratorINS9_10device_ptrIiEEEENSB_INSC_IxEEEESG_xNS9_4plusIvEENS9_8equal_toIvEExEE10hipError_tPvRmT2_T3_T4_T5_mT6_T7_P12ihipStream_tbENKUlT_T0_E_clISt17integral_constantIbLb0EES11_EEDaSW_SX_EUlSW_E_NS1_11comp_targetILNS1_3genE9ELNS1_11target_archE1100ELNS1_3gpuE3ELNS1_3repE0EEENS1_30default_config_static_selectorELNS0_4arch9wavefront6targetE0EEEvT1_,comdat
.Lfunc_end1318:
	.size	_ZN7rocprim17ROCPRIM_400000_NS6detail17trampoline_kernelINS0_14default_configENS1_27scan_by_key_config_selectorIixEEZZNS1_16scan_by_key_implILNS1_25lookback_scan_determinismE0ELb0ES3_N6thrust23THRUST_200600_302600_NS6detail15normal_iteratorINS9_10device_ptrIiEEEENSB_INSC_IxEEEESG_xNS9_4plusIvEENS9_8equal_toIvEExEE10hipError_tPvRmT2_T3_T4_T5_mT6_T7_P12ihipStream_tbENKUlT_T0_E_clISt17integral_constantIbLb0EES11_EEDaSW_SX_EUlSW_E_NS1_11comp_targetILNS1_3genE9ELNS1_11target_archE1100ELNS1_3gpuE3ELNS1_3repE0EEENS1_30default_config_static_selectorELNS0_4arch9wavefront6targetE0EEEvT1_, .Lfunc_end1318-_ZN7rocprim17ROCPRIM_400000_NS6detail17trampoline_kernelINS0_14default_configENS1_27scan_by_key_config_selectorIixEEZZNS1_16scan_by_key_implILNS1_25lookback_scan_determinismE0ELb0ES3_N6thrust23THRUST_200600_302600_NS6detail15normal_iteratorINS9_10device_ptrIiEEEENSB_INSC_IxEEEESG_xNS9_4plusIvEENS9_8equal_toIvEExEE10hipError_tPvRmT2_T3_T4_T5_mT6_T7_P12ihipStream_tbENKUlT_T0_E_clISt17integral_constantIbLb0EES11_EEDaSW_SX_EUlSW_E_NS1_11comp_targetILNS1_3genE9ELNS1_11target_archE1100ELNS1_3gpuE3ELNS1_3repE0EEENS1_30default_config_static_selectorELNS0_4arch9wavefront6targetE0EEEvT1_
                                        ; -- End function
	.set _ZN7rocprim17ROCPRIM_400000_NS6detail17trampoline_kernelINS0_14default_configENS1_27scan_by_key_config_selectorIixEEZZNS1_16scan_by_key_implILNS1_25lookback_scan_determinismE0ELb0ES3_N6thrust23THRUST_200600_302600_NS6detail15normal_iteratorINS9_10device_ptrIiEEEENSB_INSC_IxEEEESG_xNS9_4plusIvEENS9_8equal_toIvEExEE10hipError_tPvRmT2_T3_T4_T5_mT6_T7_P12ihipStream_tbENKUlT_T0_E_clISt17integral_constantIbLb0EES11_EEDaSW_SX_EUlSW_E_NS1_11comp_targetILNS1_3genE9ELNS1_11target_archE1100ELNS1_3gpuE3ELNS1_3repE0EEENS1_30default_config_static_selectorELNS0_4arch9wavefront6targetE0EEEvT1_.num_vgpr, 0
	.set _ZN7rocprim17ROCPRIM_400000_NS6detail17trampoline_kernelINS0_14default_configENS1_27scan_by_key_config_selectorIixEEZZNS1_16scan_by_key_implILNS1_25lookback_scan_determinismE0ELb0ES3_N6thrust23THRUST_200600_302600_NS6detail15normal_iteratorINS9_10device_ptrIiEEEENSB_INSC_IxEEEESG_xNS9_4plusIvEENS9_8equal_toIvEExEE10hipError_tPvRmT2_T3_T4_T5_mT6_T7_P12ihipStream_tbENKUlT_T0_E_clISt17integral_constantIbLb0EES11_EEDaSW_SX_EUlSW_E_NS1_11comp_targetILNS1_3genE9ELNS1_11target_archE1100ELNS1_3gpuE3ELNS1_3repE0EEENS1_30default_config_static_selectorELNS0_4arch9wavefront6targetE0EEEvT1_.num_agpr, 0
	.set _ZN7rocprim17ROCPRIM_400000_NS6detail17trampoline_kernelINS0_14default_configENS1_27scan_by_key_config_selectorIixEEZZNS1_16scan_by_key_implILNS1_25lookback_scan_determinismE0ELb0ES3_N6thrust23THRUST_200600_302600_NS6detail15normal_iteratorINS9_10device_ptrIiEEEENSB_INSC_IxEEEESG_xNS9_4plusIvEENS9_8equal_toIvEExEE10hipError_tPvRmT2_T3_T4_T5_mT6_T7_P12ihipStream_tbENKUlT_T0_E_clISt17integral_constantIbLb0EES11_EEDaSW_SX_EUlSW_E_NS1_11comp_targetILNS1_3genE9ELNS1_11target_archE1100ELNS1_3gpuE3ELNS1_3repE0EEENS1_30default_config_static_selectorELNS0_4arch9wavefront6targetE0EEEvT1_.numbered_sgpr, 0
	.set _ZN7rocprim17ROCPRIM_400000_NS6detail17trampoline_kernelINS0_14default_configENS1_27scan_by_key_config_selectorIixEEZZNS1_16scan_by_key_implILNS1_25lookback_scan_determinismE0ELb0ES3_N6thrust23THRUST_200600_302600_NS6detail15normal_iteratorINS9_10device_ptrIiEEEENSB_INSC_IxEEEESG_xNS9_4plusIvEENS9_8equal_toIvEExEE10hipError_tPvRmT2_T3_T4_T5_mT6_T7_P12ihipStream_tbENKUlT_T0_E_clISt17integral_constantIbLb0EES11_EEDaSW_SX_EUlSW_E_NS1_11comp_targetILNS1_3genE9ELNS1_11target_archE1100ELNS1_3gpuE3ELNS1_3repE0EEENS1_30default_config_static_selectorELNS0_4arch9wavefront6targetE0EEEvT1_.num_named_barrier, 0
	.set _ZN7rocprim17ROCPRIM_400000_NS6detail17trampoline_kernelINS0_14default_configENS1_27scan_by_key_config_selectorIixEEZZNS1_16scan_by_key_implILNS1_25lookback_scan_determinismE0ELb0ES3_N6thrust23THRUST_200600_302600_NS6detail15normal_iteratorINS9_10device_ptrIiEEEENSB_INSC_IxEEEESG_xNS9_4plusIvEENS9_8equal_toIvEExEE10hipError_tPvRmT2_T3_T4_T5_mT6_T7_P12ihipStream_tbENKUlT_T0_E_clISt17integral_constantIbLb0EES11_EEDaSW_SX_EUlSW_E_NS1_11comp_targetILNS1_3genE9ELNS1_11target_archE1100ELNS1_3gpuE3ELNS1_3repE0EEENS1_30default_config_static_selectorELNS0_4arch9wavefront6targetE0EEEvT1_.private_seg_size, 0
	.set _ZN7rocprim17ROCPRIM_400000_NS6detail17trampoline_kernelINS0_14default_configENS1_27scan_by_key_config_selectorIixEEZZNS1_16scan_by_key_implILNS1_25lookback_scan_determinismE0ELb0ES3_N6thrust23THRUST_200600_302600_NS6detail15normal_iteratorINS9_10device_ptrIiEEEENSB_INSC_IxEEEESG_xNS9_4plusIvEENS9_8equal_toIvEExEE10hipError_tPvRmT2_T3_T4_T5_mT6_T7_P12ihipStream_tbENKUlT_T0_E_clISt17integral_constantIbLb0EES11_EEDaSW_SX_EUlSW_E_NS1_11comp_targetILNS1_3genE9ELNS1_11target_archE1100ELNS1_3gpuE3ELNS1_3repE0EEENS1_30default_config_static_selectorELNS0_4arch9wavefront6targetE0EEEvT1_.uses_vcc, 0
	.set _ZN7rocprim17ROCPRIM_400000_NS6detail17trampoline_kernelINS0_14default_configENS1_27scan_by_key_config_selectorIixEEZZNS1_16scan_by_key_implILNS1_25lookback_scan_determinismE0ELb0ES3_N6thrust23THRUST_200600_302600_NS6detail15normal_iteratorINS9_10device_ptrIiEEEENSB_INSC_IxEEEESG_xNS9_4plusIvEENS9_8equal_toIvEExEE10hipError_tPvRmT2_T3_T4_T5_mT6_T7_P12ihipStream_tbENKUlT_T0_E_clISt17integral_constantIbLb0EES11_EEDaSW_SX_EUlSW_E_NS1_11comp_targetILNS1_3genE9ELNS1_11target_archE1100ELNS1_3gpuE3ELNS1_3repE0EEENS1_30default_config_static_selectorELNS0_4arch9wavefront6targetE0EEEvT1_.uses_flat_scratch, 0
	.set _ZN7rocprim17ROCPRIM_400000_NS6detail17trampoline_kernelINS0_14default_configENS1_27scan_by_key_config_selectorIixEEZZNS1_16scan_by_key_implILNS1_25lookback_scan_determinismE0ELb0ES3_N6thrust23THRUST_200600_302600_NS6detail15normal_iteratorINS9_10device_ptrIiEEEENSB_INSC_IxEEEESG_xNS9_4plusIvEENS9_8equal_toIvEExEE10hipError_tPvRmT2_T3_T4_T5_mT6_T7_P12ihipStream_tbENKUlT_T0_E_clISt17integral_constantIbLb0EES11_EEDaSW_SX_EUlSW_E_NS1_11comp_targetILNS1_3genE9ELNS1_11target_archE1100ELNS1_3gpuE3ELNS1_3repE0EEENS1_30default_config_static_selectorELNS0_4arch9wavefront6targetE0EEEvT1_.has_dyn_sized_stack, 0
	.set _ZN7rocprim17ROCPRIM_400000_NS6detail17trampoline_kernelINS0_14default_configENS1_27scan_by_key_config_selectorIixEEZZNS1_16scan_by_key_implILNS1_25lookback_scan_determinismE0ELb0ES3_N6thrust23THRUST_200600_302600_NS6detail15normal_iteratorINS9_10device_ptrIiEEEENSB_INSC_IxEEEESG_xNS9_4plusIvEENS9_8equal_toIvEExEE10hipError_tPvRmT2_T3_T4_T5_mT6_T7_P12ihipStream_tbENKUlT_T0_E_clISt17integral_constantIbLb0EES11_EEDaSW_SX_EUlSW_E_NS1_11comp_targetILNS1_3genE9ELNS1_11target_archE1100ELNS1_3gpuE3ELNS1_3repE0EEENS1_30default_config_static_selectorELNS0_4arch9wavefront6targetE0EEEvT1_.has_recursion, 0
	.set _ZN7rocprim17ROCPRIM_400000_NS6detail17trampoline_kernelINS0_14default_configENS1_27scan_by_key_config_selectorIixEEZZNS1_16scan_by_key_implILNS1_25lookback_scan_determinismE0ELb0ES3_N6thrust23THRUST_200600_302600_NS6detail15normal_iteratorINS9_10device_ptrIiEEEENSB_INSC_IxEEEESG_xNS9_4plusIvEENS9_8equal_toIvEExEE10hipError_tPvRmT2_T3_T4_T5_mT6_T7_P12ihipStream_tbENKUlT_T0_E_clISt17integral_constantIbLb0EES11_EEDaSW_SX_EUlSW_E_NS1_11comp_targetILNS1_3genE9ELNS1_11target_archE1100ELNS1_3gpuE3ELNS1_3repE0EEENS1_30default_config_static_selectorELNS0_4arch9wavefront6targetE0EEEvT1_.has_indirect_call, 0
	.section	.AMDGPU.csdata,"",@progbits
; Kernel info:
; codeLenInByte = 0
; TotalNumSgprs: 0
; NumVgprs: 0
; ScratchSize: 0
; MemoryBound: 0
; FloatMode: 240
; IeeeMode: 1
; LDSByteSize: 0 bytes/workgroup (compile time only)
; SGPRBlocks: 0
; VGPRBlocks: 0
; NumSGPRsForWavesPerEU: 1
; NumVGPRsForWavesPerEU: 1
; NamedBarCnt: 0
; Occupancy: 16
; WaveLimiterHint : 0
; COMPUTE_PGM_RSRC2:SCRATCH_EN: 0
; COMPUTE_PGM_RSRC2:USER_SGPR: 2
; COMPUTE_PGM_RSRC2:TRAP_HANDLER: 0
; COMPUTE_PGM_RSRC2:TGID_X_EN: 1
; COMPUTE_PGM_RSRC2:TGID_Y_EN: 0
; COMPUTE_PGM_RSRC2:TGID_Z_EN: 0
; COMPUTE_PGM_RSRC2:TIDIG_COMP_CNT: 0
	.section	.text._ZN7rocprim17ROCPRIM_400000_NS6detail17trampoline_kernelINS0_14default_configENS1_27scan_by_key_config_selectorIixEEZZNS1_16scan_by_key_implILNS1_25lookback_scan_determinismE0ELb0ES3_N6thrust23THRUST_200600_302600_NS6detail15normal_iteratorINS9_10device_ptrIiEEEENSB_INSC_IxEEEESG_xNS9_4plusIvEENS9_8equal_toIvEExEE10hipError_tPvRmT2_T3_T4_T5_mT6_T7_P12ihipStream_tbENKUlT_T0_E_clISt17integral_constantIbLb0EES11_EEDaSW_SX_EUlSW_E_NS1_11comp_targetILNS1_3genE8ELNS1_11target_archE1030ELNS1_3gpuE2ELNS1_3repE0EEENS1_30default_config_static_selectorELNS0_4arch9wavefront6targetE0EEEvT1_,"axG",@progbits,_ZN7rocprim17ROCPRIM_400000_NS6detail17trampoline_kernelINS0_14default_configENS1_27scan_by_key_config_selectorIixEEZZNS1_16scan_by_key_implILNS1_25lookback_scan_determinismE0ELb0ES3_N6thrust23THRUST_200600_302600_NS6detail15normal_iteratorINS9_10device_ptrIiEEEENSB_INSC_IxEEEESG_xNS9_4plusIvEENS9_8equal_toIvEExEE10hipError_tPvRmT2_T3_T4_T5_mT6_T7_P12ihipStream_tbENKUlT_T0_E_clISt17integral_constantIbLb0EES11_EEDaSW_SX_EUlSW_E_NS1_11comp_targetILNS1_3genE8ELNS1_11target_archE1030ELNS1_3gpuE2ELNS1_3repE0EEENS1_30default_config_static_selectorELNS0_4arch9wavefront6targetE0EEEvT1_,comdat
	.protected	_ZN7rocprim17ROCPRIM_400000_NS6detail17trampoline_kernelINS0_14default_configENS1_27scan_by_key_config_selectorIixEEZZNS1_16scan_by_key_implILNS1_25lookback_scan_determinismE0ELb0ES3_N6thrust23THRUST_200600_302600_NS6detail15normal_iteratorINS9_10device_ptrIiEEEENSB_INSC_IxEEEESG_xNS9_4plusIvEENS9_8equal_toIvEExEE10hipError_tPvRmT2_T3_T4_T5_mT6_T7_P12ihipStream_tbENKUlT_T0_E_clISt17integral_constantIbLb0EES11_EEDaSW_SX_EUlSW_E_NS1_11comp_targetILNS1_3genE8ELNS1_11target_archE1030ELNS1_3gpuE2ELNS1_3repE0EEENS1_30default_config_static_selectorELNS0_4arch9wavefront6targetE0EEEvT1_ ; -- Begin function _ZN7rocprim17ROCPRIM_400000_NS6detail17trampoline_kernelINS0_14default_configENS1_27scan_by_key_config_selectorIixEEZZNS1_16scan_by_key_implILNS1_25lookback_scan_determinismE0ELb0ES3_N6thrust23THRUST_200600_302600_NS6detail15normal_iteratorINS9_10device_ptrIiEEEENSB_INSC_IxEEEESG_xNS9_4plusIvEENS9_8equal_toIvEExEE10hipError_tPvRmT2_T3_T4_T5_mT6_T7_P12ihipStream_tbENKUlT_T0_E_clISt17integral_constantIbLb0EES11_EEDaSW_SX_EUlSW_E_NS1_11comp_targetILNS1_3genE8ELNS1_11target_archE1030ELNS1_3gpuE2ELNS1_3repE0EEENS1_30default_config_static_selectorELNS0_4arch9wavefront6targetE0EEEvT1_
	.globl	_ZN7rocprim17ROCPRIM_400000_NS6detail17trampoline_kernelINS0_14default_configENS1_27scan_by_key_config_selectorIixEEZZNS1_16scan_by_key_implILNS1_25lookback_scan_determinismE0ELb0ES3_N6thrust23THRUST_200600_302600_NS6detail15normal_iteratorINS9_10device_ptrIiEEEENSB_INSC_IxEEEESG_xNS9_4plusIvEENS9_8equal_toIvEExEE10hipError_tPvRmT2_T3_T4_T5_mT6_T7_P12ihipStream_tbENKUlT_T0_E_clISt17integral_constantIbLb0EES11_EEDaSW_SX_EUlSW_E_NS1_11comp_targetILNS1_3genE8ELNS1_11target_archE1030ELNS1_3gpuE2ELNS1_3repE0EEENS1_30default_config_static_selectorELNS0_4arch9wavefront6targetE0EEEvT1_
	.p2align	8
	.type	_ZN7rocprim17ROCPRIM_400000_NS6detail17trampoline_kernelINS0_14default_configENS1_27scan_by_key_config_selectorIixEEZZNS1_16scan_by_key_implILNS1_25lookback_scan_determinismE0ELb0ES3_N6thrust23THRUST_200600_302600_NS6detail15normal_iteratorINS9_10device_ptrIiEEEENSB_INSC_IxEEEESG_xNS9_4plusIvEENS9_8equal_toIvEExEE10hipError_tPvRmT2_T3_T4_T5_mT6_T7_P12ihipStream_tbENKUlT_T0_E_clISt17integral_constantIbLb0EES11_EEDaSW_SX_EUlSW_E_NS1_11comp_targetILNS1_3genE8ELNS1_11target_archE1030ELNS1_3gpuE2ELNS1_3repE0EEENS1_30default_config_static_selectorELNS0_4arch9wavefront6targetE0EEEvT1_,@function
_ZN7rocprim17ROCPRIM_400000_NS6detail17trampoline_kernelINS0_14default_configENS1_27scan_by_key_config_selectorIixEEZZNS1_16scan_by_key_implILNS1_25lookback_scan_determinismE0ELb0ES3_N6thrust23THRUST_200600_302600_NS6detail15normal_iteratorINS9_10device_ptrIiEEEENSB_INSC_IxEEEESG_xNS9_4plusIvEENS9_8equal_toIvEExEE10hipError_tPvRmT2_T3_T4_T5_mT6_T7_P12ihipStream_tbENKUlT_T0_E_clISt17integral_constantIbLb0EES11_EEDaSW_SX_EUlSW_E_NS1_11comp_targetILNS1_3genE8ELNS1_11target_archE1030ELNS1_3gpuE2ELNS1_3repE0EEENS1_30default_config_static_selectorELNS0_4arch9wavefront6targetE0EEEvT1_: ; @_ZN7rocprim17ROCPRIM_400000_NS6detail17trampoline_kernelINS0_14default_configENS1_27scan_by_key_config_selectorIixEEZZNS1_16scan_by_key_implILNS1_25lookback_scan_determinismE0ELb0ES3_N6thrust23THRUST_200600_302600_NS6detail15normal_iteratorINS9_10device_ptrIiEEEENSB_INSC_IxEEEESG_xNS9_4plusIvEENS9_8equal_toIvEExEE10hipError_tPvRmT2_T3_T4_T5_mT6_T7_P12ihipStream_tbENKUlT_T0_E_clISt17integral_constantIbLb0EES11_EEDaSW_SX_EUlSW_E_NS1_11comp_targetILNS1_3genE8ELNS1_11target_archE1030ELNS1_3gpuE2ELNS1_3repE0EEENS1_30default_config_static_selectorELNS0_4arch9wavefront6targetE0EEEvT1_
; %bb.0:
	.section	.rodata,"a",@progbits
	.p2align	6, 0x0
	.amdhsa_kernel _ZN7rocprim17ROCPRIM_400000_NS6detail17trampoline_kernelINS0_14default_configENS1_27scan_by_key_config_selectorIixEEZZNS1_16scan_by_key_implILNS1_25lookback_scan_determinismE0ELb0ES3_N6thrust23THRUST_200600_302600_NS6detail15normal_iteratorINS9_10device_ptrIiEEEENSB_INSC_IxEEEESG_xNS9_4plusIvEENS9_8equal_toIvEExEE10hipError_tPvRmT2_T3_T4_T5_mT6_T7_P12ihipStream_tbENKUlT_T0_E_clISt17integral_constantIbLb0EES11_EEDaSW_SX_EUlSW_E_NS1_11comp_targetILNS1_3genE8ELNS1_11target_archE1030ELNS1_3gpuE2ELNS1_3repE0EEENS1_30default_config_static_selectorELNS0_4arch9wavefront6targetE0EEEvT1_
		.amdhsa_group_segment_fixed_size 0
		.amdhsa_private_segment_fixed_size 0
		.amdhsa_kernarg_size 136
		.amdhsa_user_sgpr_count 2
		.amdhsa_user_sgpr_dispatch_ptr 0
		.amdhsa_user_sgpr_queue_ptr 0
		.amdhsa_user_sgpr_kernarg_segment_ptr 1
		.amdhsa_user_sgpr_dispatch_id 0
		.amdhsa_user_sgpr_kernarg_preload_length 0
		.amdhsa_user_sgpr_kernarg_preload_offset 0
		.amdhsa_user_sgpr_private_segment_size 0
		.amdhsa_wavefront_size32 1
		.amdhsa_uses_dynamic_stack 0
		.amdhsa_enable_private_segment 0
		.amdhsa_system_sgpr_workgroup_id_x 1
		.amdhsa_system_sgpr_workgroup_id_y 0
		.amdhsa_system_sgpr_workgroup_id_z 0
		.amdhsa_system_sgpr_workgroup_info 0
		.amdhsa_system_vgpr_workitem_id 0
		.amdhsa_next_free_vgpr 1
		.amdhsa_next_free_sgpr 1
		.amdhsa_named_barrier_count 0
		.amdhsa_reserve_vcc 0
		.amdhsa_float_round_mode_32 0
		.amdhsa_float_round_mode_16_64 0
		.amdhsa_float_denorm_mode_32 3
		.amdhsa_float_denorm_mode_16_64 3
		.amdhsa_fp16_overflow 0
		.amdhsa_memory_ordered 1
		.amdhsa_forward_progress 1
		.amdhsa_inst_pref_size 0
		.amdhsa_round_robin_scheduling 0
		.amdhsa_exception_fp_ieee_invalid_op 0
		.amdhsa_exception_fp_denorm_src 0
		.amdhsa_exception_fp_ieee_div_zero 0
		.amdhsa_exception_fp_ieee_overflow 0
		.amdhsa_exception_fp_ieee_underflow 0
		.amdhsa_exception_fp_ieee_inexact 0
		.amdhsa_exception_int_div_zero 0
	.end_amdhsa_kernel
	.section	.text._ZN7rocprim17ROCPRIM_400000_NS6detail17trampoline_kernelINS0_14default_configENS1_27scan_by_key_config_selectorIixEEZZNS1_16scan_by_key_implILNS1_25lookback_scan_determinismE0ELb0ES3_N6thrust23THRUST_200600_302600_NS6detail15normal_iteratorINS9_10device_ptrIiEEEENSB_INSC_IxEEEESG_xNS9_4plusIvEENS9_8equal_toIvEExEE10hipError_tPvRmT2_T3_T4_T5_mT6_T7_P12ihipStream_tbENKUlT_T0_E_clISt17integral_constantIbLb0EES11_EEDaSW_SX_EUlSW_E_NS1_11comp_targetILNS1_3genE8ELNS1_11target_archE1030ELNS1_3gpuE2ELNS1_3repE0EEENS1_30default_config_static_selectorELNS0_4arch9wavefront6targetE0EEEvT1_,"axG",@progbits,_ZN7rocprim17ROCPRIM_400000_NS6detail17trampoline_kernelINS0_14default_configENS1_27scan_by_key_config_selectorIixEEZZNS1_16scan_by_key_implILNS1_25lookback_scan_determinismE0ELb0ES3_N6thrust23THRUST_200600_302600_NS6detail15normal_iteratorINS9_10device_ptrIiEEEENSB_INSC_IxEEEESG_xNS9_4plusIvEENS9_8equal_toIvEExEE10hipError_tPvRmT2_T3_T4_T5_mT6_T7_P12ihipStream_tbENKUlT_T0_E_clISt17integral_constantIbLb0EES11_EEDaSW_SX_EUlSW_E_NS1_11comp_targetILNS1_3genE8ELNS1_11target_archE1030ELNS1_3gpuE2ELNS1_3repE0EEENS1_30default_config_static_selectorELNS0_4arch9wavefront6targetE0EEEvT1_,comdat
.Lfunc_end1319:
	.size	_ZN7rocprim17ROCPRIM_400000_NS6detail17trampoline_kernelINS0_14default_configENS1_27scan_by_key_config_selectorIixEEZZNS1_16scan_by_key_implILNS1_25lookback_scan_determinismE0ELb0ES3_N6thrust23THRUST_200600_302600_NS6detail15normal_iteratorINS9_10device_ptrIiEEEENSB_INSC_IxEEEESG_xNS9_4plusIvEENS9_8equal_toIvEExEE10hipError_tPvRmT2_T3_T4_T5_mT6_T7_P12ihipStream_tbENKUlT_T0_E_clISt17integral_constantIbLb0EES11_EEDaSW_SX_EUlSW_E_NS1_11comp_targetILNS1_3genE8ELNS1_11target_archE1030ELNS1_3gpuE2ELNS1_3repE0EEENS1_30default_config_static_selectorELNS0_4arch9wavefront6targetE0EEEvT1_, .Lfunc_end1319-_ZN7rocprim17ROCPRIM_400000_NS6detail17trampoline_kernelINS0_14default_configENS1_27scan_by_key_config_selectorIixEEZZNS1_16scan_by_key_implILNS1_25lookback_scan_determinismE0ELb0ES3_N6thrust23THRUST_200600_302600_NS6detail15normal_iteratorINS9_10device_ptrIiEEEENSB_INSC_IxEEEESG_xNS9_4plusIvEENS9_8equal_toIvEExEE10hipError_tPvRmT2_T3_T4_T5_mT6_T7_P12ihipStream_tbENKUlT_T0_E_clISt17integral_constantIbLb0EES11_EEDaSW_SX_EUlSW_E_NS1_11comp_targetILNS1_3genE8ELNS1_11target_archE1030ELNS1_3gpuE2ELNS1_3repE0EEENS1_30default_config_static_selectorELNS0_4arch9wavefront6targetE0EEEvT1_
                                        ; -- End function
	.set _ZN7rocprim17ROCPRIM_400000_NS6detail17trampoline_kernelINS0_14default_configENS1_27scan_by_key_config_selectorIixEEZZNS1_16scan_by_key_implILNS1_25lookback_scan_determinismE0ELb0ES3_N6thrust23THRUST_200600_302600_NS6detail15normal_iteratorINS9_10device_ptrIiEEEENSB_INSC_IxEEEESG_xNS9_4plusIvEENS9_8equal_toIvEExEE10hipError_tPvRmT2_T3_T4_T5_mT6_T7_P12ihipStream_tbENKUlT_T0_E_clISt17integral_constantIbLb0EES11_EEDaSW_SX_EUlSW_E_NS1_11comp_targetILNS1_3genE8ELNS1_11target_archE1030ELNS1_3gpuE2ELNS1_3repE0EEENS1_30default_config_static_selectorELNS0_4arch9wavefront6targetE0EEEvT1_.num_vgpr, 0
	.set _ZN7rocprim17ROCPRIM_400000_NS6detail17trampoline_kernelINS0_14default_configENS1_27scan_by_key_config_selectorIixEEZZNS1_16scan_by_key_implILNS1_25lookback_scan_determinismE0ELb0ES3_N6thrust23THRUST_200600_302600_NS6detail15normal_iteratorINS9_10device_ptrIiEEEENSB_INSC_IxEEEESG_xNS9_4plusIvEENS9_8equal_toIvEExEE10hipError_tPvRmT2_T3_T4_T5_mT6_T7_P12ihipStream_tbENKUlT_T0_E_clISt17integral_constantIbLb0EES11_EEDaSW_SX_EUlSW_E_NS1_11comp_targetILNS1_3genE8ELNS1_11target_archE1030ELNS1_3gpuE2ELNS1_3repE0EEENS1_30default_config_static_selectorELNS0_4arch9wavefront6targetE0EEEvT1_.num_agpr, 0
	.set _ZN7rocprim17ROCPRIM_400000_NS6detail17trampoline_kernelINS0_14default_configENS1_27scan_by_key_config_selectorIixEEZZNS1_16scan_by_key_implILNS1_25lookback_scan_determinismE0ELb0ES3_N6thrust23THRUST_200600_302600_NS6detail15normal_iteratorINS9_10device_ptrIiEEEENSB_INSC_IxEEEESG_xNS9_4plusIvEENS9_8equal_toIvEExEE10hipError_tPvRmT2_T3_T4_T5_mT6_T7_P12ihipStream_tbENKUlT_T0_E_clISt17integral_constantIbLb0EES11_EEDaSW_SX_EUlSW_E_NS1_11comp_targetILNS1_3genE8ELNS1_11target_archE1030ELNS1_3gpuE2ELNS1_3repE0EEENS1_30default_config_static_selectorELNS0_4arch9wavefront6targetE0EEEvT1_.numbered_sgpr, 0
	.set _ZN7rocprim17ROCPRIM_400000_NS6detail17trampoline_kernelINS0_14default_configENS1_27scan_by_key_config_selectorIixEEZZNS1_16scan_by_key_implILNS1_25lookback_scan_determinismE0ELb0ES3_N6thrust23THRUST_200600_302600_NS6detail15normal_iteratorINS9_10device_ptrIiEEEENSB_INSC_IxEEEESG_xNS9_4plusIvEENS9_8equal_toIvEExEE10hipError_tPvRmT2_T3_T4_T5_mT6_T7_P12ihipStream_tbENKUlT_T0_E_clISt17integral_constantIbLb0EES11_EEDaSW_SX_EUlSW_E_NS1_11comp_targetILNS1_3genE8ELNS1_11target_archE1030ELNS1_3gpuE2ELNS1_3repE0EEENS1_30default_config_static_selectorELNS0_4arch9wavefront6targetE0EEEvT1_.num_named_barrier, 0
	.set _ZN7rocprim17ROCPRIM_400000_NS6detail17trampoline_kernelINS0_14default_configENS1_27scan_by_key_config_selectorIixEEZZNS1_16scan_by_key_implILNS1_25lookback_scan_determinismE0ELb0ES3_N6thrust23THRUST_200600_302600_NS6detail15normal_iteratorINS9_10device_ptrIiEEEENSB_INSC_IxEEEESG_xNS9_4plusIvEENS9_8equal_toIvEExEE10hipError_tPvRmT2_T3_T4_T5_mT6_T7_P12ihipStream_tbENKUlT_T0_E_clISt17integral_constantIbLb0EES11_EEDaSW_SX_EUlSW_E_NS1_11comp_targetILNS1_3genE8ELNS1_11target_archE1030ELNS1_3gpuE2ELNS1_3repE0EEENS1_30default_config_static_selectorELNS0_4arch9wavefront6targetE0EEEvT1_.private_seg_size, 0
	.set _ZN7rocprim17ROCPRIM_400000_NS6detail17trampoline_kernelINS0_14default_configENS1_27scan_by_key_config_selectorIixEEZZNS1_16scan_by_key_implILNS1_25lookback_scan_determinismE0ELb0ES3_N6thrust23THRUST_200600_302600_NS6detail15normal_iteratorINS9_10device_ptrIiEEEENSB_INSC_IxEEEESG_xNS9_4plusIvEENS9_8equal_toIvEExEE10hipError_tPvRmT2_T3_T4_T5_mT6_T7_P12ihipStream_tbENKUlT_T0_E_clISt17integral_constantIbLb0EES11_EEDaSW_SX_EUlSW_E_NS1_11comp_targetILNS1_3genE8ELNS1_11target_archE1030ELNS1_3gpuE2ELNS1_3repE0EEENS1_30default_config_static_selectorELNS0_4arch9wavefront6targetE0EEEvT1_.uses_vcc, 0
	.set _ZN7rocprim17ROCPRIM_400000_NS6detail17trampoline_kernelINS0_14default_configENS1_27scan_by_key_config_selectorIixEEZZNS1_16scan_by_key_implILNS1_25lookback_scan_determinismE0ELb0ES3_N6thrust23THRUST_200600_302600_NS6detail15normal_iteratorINS9_10device_ptrIiEEEENSB_INSC_IxEEEESG_xNS9_4plusIvEENS9_8equal_toIvEExEE10hipError_tPvRmT2_T3_T4_T5_mT6_T7_P12ihipStream_tbENKUlT_T0_E_clISt17integral_constantIbLb0EES11_EEDaSW_SX_EUlSW_E_NS1_11comp_targetILNS1_3genE8ELNS1_11target_archE1030ELNS1_3gpuE2ELNS1_3repE0EEENS1_30default_config_static_selectorELNS0_4arch9wavefront6targetE0EEEvT1_.uses_flat_scratch, 0
	.set _ZN7rocprim17ROCPRIM_400000_NS6detail17trampoline_kernelINS0_14default_configENS1_27scan_by_key_config_selectorIixEEZZNS1_16scan_by_key_implILNS1_25lookback_scan_determinismE0ELb0ES3_N6thrust23THRUST_200600_302600_NS6detail15normal_iteratorINS9_10device_ptrIiEEEENSB_INSC_IxEEEESG_xNS9_4plusIvEENS9_8equal_toIvEExEE10hipError_tPvRmT2_T3_T4_T5_mT6_T7_P12ihipStream_tbENKUlT_T0_E_clISt17integral_constantIbLb0EES11_EEDaSW_SX_EUlSW_E_NS1_11comp_targetILNS1_3genE8ELNS1_11target_archE1030ELNS1_3gpuE2ELNS1_3repE0EEENS1_30default_config_static_selectorELNS0_4arch9wavefront6targetE0EEEvT1_.has_dyn_sized_stack, 0
	.set _ZN7rocprim17ROCPRIM_400000_NS6detail17trampoline_kernelINS0_14default_configENS1_27scan_by_key_config_selectorIixEEZZNS1_16scan_by_key_implILNS1_25lookback_scan_determinismE0ELb0ES3_N6thrust23THRUST_200600_302600_NS6detail15normal_iteratorINS9_10device_ptrIiEEEENSB_INSC_IxEEEESG_xNS9_4plusIvEENS9_8equal_toIvEExEE10hipError_tPvRmT2_T3_T4_T5_mT6_T7_P12ihipStream_tbENKUlT_T0_E_clISt17integral_constantIbLb0EES11_EEDaSW_SX_EUlSW_E_NS1_11comp_targetILNS1_3genE8ELNS1_11target_archE1030ELNS1_3gpuE2ELNS1_3repE0EEENS1_30default_config_static_selectorELNS0_4arch9wavefront6targetE0EEEvT1_.has_recursion, 0
	.set _ZN7rocprim17ROCPRIM_400000_NS6detail17trampoline_kernelINS0_14default_configENS1_27scan_by_key_config_selectorIixEEZZNS1_16scan_by_key_implILNS1_25lookback_scan_determinismE0ELb0ES3_N6thrust23THRUST_200600_302600_NS6detail15normal_iteratorINS9_10device_ptrIiEEEENSB_INSC_IxEEEESG_xNS9_4plusIvEENS9_8equal_toIvEExEE10hipError_tPvRmT2_T3_T4_T5_mT6_T7_P12ihipStream_tbENKUlT_T0_E_clISt17integral_constantIbLb0EES11_EEDaSW_SX_EUlSW_E_NS1_11comp_targetILNS1_3genE8ELNS1_11target_archE1030ELNS1_3gpuE2ELNS1_3repE0EEENS1_30default_config_static_selectorELNS0_4arch9wavefront6targetE0EEEvT1_.has_indirect_call, 0
	.section	.AMDGPU.csdata,"",@progbits
; Kernel info:
; codeLenInByte = 0
; TotalNumSgprs: 0
; NumVgprs: 0
; ScratchSize: 0
; MemoryBound: 0
; FloatMode: 240
; IeeeMode: 1
; LDSByteSize: 0 bytes/workgroup (compile time only)
; SGPRBlocks: 0
; VGPRBlocks: 0
; NumSGPRsForWavesPerEU: 1
; NumVGPRsForWavesPerEU: 1
; NamedBarCnt: 0
; Occupancy: 16
; WaveLimiterHint : 0
; COMPUTE_PGM_RSRC2:SCRATCH_EN: 0
; COMPUTE_PGM_RSRC2:USER_SGPR: 2
; COMPUTE_PGM_RSRC2:TRAP_HANDLER: 0
; COMPUTE_PGM_RSRC2:TGID_X_EN: 1
; COMPUTE_PGM_RSRC2:TGID_Y_EN: 0
; COMPUTE_PGM_RSRC2:TGID_Z_EN: 0
; COMPUTE_PGM_RSRC2:TIDIG_COMP_CNT: 0
	.section	.text._ZN7rocprim17ROCPRIM_400000_NS6detail30init_device_scan_by_key_kernelINS1_19lookback_scan_stateINS0_5tupleIJxbEEELb1ELb0EEEN6thrust23THRUST_200600_302600_NS6detail15normal_iteratorINS8_10device_ptrIiEEEEjNS1_16block_id_wrapperIjLb1EEEEEvT_jjPNSG_10value_typeET0_PNSt15iterator_traitsISJ_E10value_typeEmT1_T2_,"axG",@progbits,_ZN7rocprim17ROCPRIM_400000_NS6detail30init_device_scan_by_key_kernelINS1_19lookback_scan_stateINS0_5tupleIJxbEEELb1ELb0EEEN6thrust23THRUST_200600_302600_NS6detail15normal_iteratorINS8_10device_ptrIiEEEEjNS1_16block_id_wrapperIjLb1EEEEEvT_jjPNSG_10value_typeET0_PNSt15iterator_traitsISJ_E10value_typeEmT1_T2_,comdat
	.protected	_ZN7rocprim17ROCPRIM_400000_NS6detail30init_device_scan_by_key_kernelINS1_19lookback_scan_stateINS0_5tupleIJxbEEELb1ELb0EEEN6thrust23THRUST_200600_302600_NS6detail15normal_iteratorINS8_10device_ptrIiEEEEjNS1_16block_id_wrapperIjLb1EEEEEvT_jjPNSG_10value_typeET0_PNSt15iterator_traitsISJ_E10value_typeEmT1_T2_ ; -- Begin function _ZN7rocprim17ROCPRIM_400000_NS6detail30init_device_scan_by_key_kernelINS1_19lookback_scan_stateINS0_5tupleIJxbEEELb1ELb0EEEN6thrust23THRUST_200600_302600_NS6detail15normal_iteratorINS8_10device_ptrIiEEEEjNS1_16block_id_wrapperIjLb1EEEEEvT_jjPNSG_10value_typeET0_PNSt15iterator_traitsISJ_E10value_typeEmT1_T2_
	.globl	_ZN7rocprim17ROCPRIM_400000_NS6detail30init_device_scan_by_key_kernelINS1_19lookback_scan_stateINS0_5tupleIJxbEEELb1ELb0EEEN6thrust23THRUST_200600_302600_NS6detail15normal_iteratorINS8_10device_ptrIiEEEEjNS1_16block_id_wrapperIjLb1EEEEEvT_jjPNSG_10value_typeET0_PNSt15iterator_traitsISJ_E10value_typeEmT1_T2_
	.p2align	8
	.type	_ZN7rocprim17ROCPRIM_400000_NS6detail30init_device_scan_by_key_kernelINS1_19lookback_scan_stateINS0_5tupleIJxbEEELb1ELb0EEEN6thrust23THRUST_200600_302600_NS6detail15normal_iteratorINS8_10device_ptrIiEEEEjNS1_16block_id_wrapperIjLb1EEEEEvT_jjPNSG_10value_typeET0_PNSt15iterator_traitsISJ_E10value_typeEmT1_T2_,@function
_ZN7rocprim17ROCPRIM_400000_NS6detail30init_device_scan_by_key_kernelINS1_19lookback_scan_stateINS0_5tupleIJxbEEELb1ELb0EEEN6thrust23THRUST_200600_302600_NS6detail15normal_iteratorINS8_10device_ptrIiEEEEjNS1_16block_id_wrapperIjLb1EEEEEvT_jjPNSG_10value_typeET0_PNSt15iterator_traitsISJ_E10value_typeEmT1_T2_: ; @_ZN7rocprim17ROCPRIM_400000_NS6detail30init_device_scan_by_key_kernelINS1_19lookback_scan_stateINS0_5tupleIJxbEEELb1ELb0EEEN6thrust23THRUST_200600_302600_NS6detail15normal_iteratorINS8_10device_ptrIiEEEEjNS1_16block_id_wrapperIjLb1EEEEEvT_jjPNSG_10value_typeET0_PNSt15iterator_traitsISJ_E10value_typeEmT1_T2_
; %bb.0:
	s_clause 0x2
	s_load_b32 s2, s[0:1], 0x5c
	s_load_b32 s18, s[0:1], 0x50
	s_load_b256 s[4:11], s[0:1], 0x10
	s_bfe_u32 s3, ttmp6, 0x4000c
	s_and_b32 s12, ttmp6, 15
	s_add_co_i32 s3, s3, 1
	s_getreg_b32 s13, hwreg(HW_REG_IB_STS2, 6, 4)
	s_mul_i32 s3, ttmp9, s3
	s_delay_alu instid0(SALU_CYCLE_1)
	s_add_co_i32 s12, s12, s3
	s_wait_kmcnt 0x0
	s_and_b32 s19, s2, 0xffff
	s_cmp_eq_u32 s13, 0
	s_cselect_b32 s2, ttmp9, s12
	s_cmp_eq_u64 s[8:9], 0
	v_mad_u32 v0, s2, s19, v0
	s_cbranch_scc1 .LBB1320_9
; %bb.1:
	s_cmp_lt_u32 s7, s6
	s_mov_b32 s20, exec_lo
	s_cselect_b32 s2, s7, 0
	s_delay_alu instid0(VALU_DEP_1) | instid1(SALU_CYCLE_1)
	v_cmpx_eq_u32_e64 s2, v0
	s_cbranch_execz .LBB1320_8
; %bb.2:
	s_add_co_i32 s2, s7, 32
	s_load_b128 s[12:15], s[0:1], 0x0
	v_mov_b32_e32 v1, s2
	s_mov_b32 s3, 0
	global_load_u8 v1, v1, s[4:5] scope:SCOPE_DEV
	s_wait_loadcnt 0x0
	v_and_b32_e32 v2, 0xffff, v1
	v_readfirstlane_b32 s21, v1
	s_delay_alu instid0(VALU_DEP_2)
	v_cmp_ne_u32_e32 vcc_lo, 0, v2
	s_cbranch_vccnz .LBB1320_7
; %bb.3:
	v_mov_b32_e32 v1, 0
	s_add_nc_u64 s[16:17], s[4:5], s[2:3]
	s_mov_b32 s7, 1
.LBB1320_4:                             ; =>This Loop Header: Depth=1
                                        ;     Child Loop BB1320_5 Depth 2
	s_delay_alu instid0(SALU_CYCLE_1)
	s_mov_b32 s21, s7
.LBB1320_5:                             ;   Parent Loop BB1320_4 Depth=1
                                        ; =>  This Inner Loop Header: Depth=2
	s_delay_alu instid0(SALU_CYCLE_1)
	s_add_co_i32 s21, s21, -1
	s_sleep 1
	s_cmp_eq_u32 s21, 0
	s_cbranch_scc0 .LBB1320_5
; %bb.6:                                ;   in Loop: Header=BB1320_4 Depth=1
	global_load_u8 v2, v1, s[16:17] scope:SCOPE_DEV
	s_cmp_lt_u32 s7, 32
	s_cselect_b32 s21, -1, 0
	s_delay_alu instid0(SALU_CYCLE_1) | instskip(SKIP_4) | instid1(VALU_DEP_2)
	s_cmp_lg_u32 s21, 0
	s_add_co_ci_u32 s7, s7, 0
	s_wait_loadcnt 0x0
	v_and_b32_e32 v3, 0xffff, v2
	v_readfirstlane_b32 s21, v2
	v_cmp_ne_u32_e32 vcc_lo, 0, v3
	s_cbranch_vccz .LBB1320_4
.LBB1320_7:
	s_and_b32 s7, 0xffff, s21
	v_mov_b32_e32 v1, 0
	s_cmp_eq_u32 s7, 1
	global_wb scope:SCOPE_DEV
	s_wait_storecnt 0x0
	global_inv scope:SCOPE_DEV
	s_wait_kmcnt 0x0
	s_cselect_b32 s13, s13, s15
	s_cselect_b32 s12, s12, s14
	s_lshl_b64 s[2:3], s[2:3], 4
	s_delay_alu instid0(SALU_CYCLE_1)
	s_add_nc_u64 s[2:3], s[12:13], s[2:3]
	s_clause 0x1
	global_load_b64 v[2:3], v1, s[2:3]
	global_load_u8 v4, v1, s[2:3] offset:8
	s_wait_loadcnt 0x1
	global_store_b64 v1, v[2:3], s[8:9]
	s_wait_loadcnt 0x0
	global_store_b8 v1, v4, s[8:9] offset:8
.LBB1320_8:
	s_wait_xcnt 0x0
	s_or_b32 exec_lo, exec_lo, s20
.LBB1320_9:
	s_delay_alu instid0(SALU_CYCLE_1) | instskip(NEXT) | instid1(VALU_DEP_1)
	s_mov_b32 s2, exec_lo
	v_cmpx_eq_u32_e32 0, v0
	s_cbranch_execz .LBB1320_11
; %bb.10:
	s_load_b64 s[8:9], s[0:1], 0x48
	v_mov_b32_e32 v1, 0
	s_wait_kmcnt 0x0
	global_store_b32 v1, v1, s[8:9]
.LBB1320_11:
	s_wait_xcnt 0x0
	s_or_b32 exec_lo, exec_lo, s2
	s_delay_alu instid0(SALU_CYCLE_1)
	s_mov_b32 s2, exec_lo
	v_cmpx_gt_u32_e64 s6, v0
	s_cbranch_execz .LBB1320_13
; %bb.12:
	v_dual_mov_b32 v2, 0 :: v_dual_add_nc_u32 v1, 32, v0
	global_store_b8 v1, v2, s[4:5]
.LBB1320_13:
	s_wait_xcnt 0x0
	s_or_b32 exec_lo, exec_lo, s2
	v_mov_b32_e32 v1, 0
	s_mov_b32 s2, exec_lo
	v_cmpx_gt_u32_e32 32, v0
	s_cbranch_execz .LBB1320_15
; %bb.14:
	s_delay_alu instid0(VALU_DEP_2)
	v_add_nc_u64_e32 v[2:3], s[4:5], v[0:1]
	v_mov_b32_e32 v4, 0xff
	global_store_b8 v[2:3], v4, off
.LBB1320_15:
	s_wait_xcnt 0x0
	s_or_b32 exec_lo, exec_lo, s2
	s_load_b64 s[2:3], s[0:1], 0x38
	s_mov_b32 s4, exec_lo
	s_wait_kmcnt 0x0
	v_cmpx_gt_u64_e64 s[2:3], v[0:1]
	s_cbranch_execz .LBB1320_18
; %bb.16:
	s_clause 0x1
	s_load_b32 s4, s[0:1], 0x40
	s_load_b64 s[6:7], s[0:1], 0x30
	s_mov_b32 s5, 0
	s_wait_xcnt 0x0
	s_mul_i32 s0, s18, s19
	s_mov_b32 s9, s5
	s_mov_b32 s1, s5
	s_wait_kmcnt 0x0
	v_mul_u64_e32 v[2:3], s[4:5], v[0:1]
	s_add_co_i32 s8, s4, -1
	v_lshl_add_u64 v[4:5], v[0:1], 2, s[6:7]
	s_lshl_b64 s[8:9], s[8:9], 2
	s_delay_alu instid0(SALU_CYCLE_1) | instskip(SKIP_1) | instid1(SALU_CYCLE_1)
	s_add_nc_u64 s[8:9], s[10:11], s[8:9]
	s_mul_u64 s[10:11], s[4:5], s[0:1]
	s_lshl_b64 s[6:7], s[10:11], 2
	s_delay_alu instid0(VALU_DEP_2)
	v_lshl_add_u64 v[2:3], v[2:3], 2, s[8:9]
	s_lshl_b64 s[8:9], s[0:1], 2
.LBB1320_17:                            ; =>This Inner Loop Header: Depth=1
	global_load_b32 v6, v[2:3], off
	v_add_nc_u64_e32 v[0:1], s[0:1], v[0:1]
	s_wait_xcnt 0x0
	v_add_nc_u64_e32 v[2:3], s[6:7], v[2:3]
	s_delay_alu instid0(VALU_DEP_2)
	v_cmp_le_u64_e32 vcc_lo, s[2:3], v[0:1]
	s_or_b32 s5, vcc_lo, s5
	s_wait_loadcnt 0x0
	global_store_b32 v[4:5], v6, off
	s_wait_xcnt 0x0
	v_add_nc_u64_e32 v[4:5], s[8:9], v[4:5]
	s_and_not1_b32 exec_lo, exec_lo, s5
	s_cbranch_execnz .LBB1320_17
.LBB1320_18:
	s_endpgm
	.section	.rodata,"a",@progbits
	.p2align	6, 0x0
	.amdhsa_kernel _ZN7rocprim17ROCPRIM_400000_NS6detail30init_device_scan_by_key_kernelINS1_19lookback_scan_stateINS0_5tupleIJxbEEELb1ELb0EEEN6thrust23THRUST_200600_302600_NS6detail15normal_iteratorINS8_10device_ptrIiEEEEjNS1_16block_id_wrapperIjLb1EEEEEvT_jjPNSG_10value_typeET0_PNSt15iterator_traitsISJ_E10value_typeEmT1_T2_
		.amdhsa_group_segment_fixed_size 0
		.amdhsa_private_segment_fixed_size 0
		.amdhsa_kernarg_size 336
		.amdhsa_user_sgpr_count 2
		.amdhsa_user_sgpr_dispatch_ptr 0
		.amdhsa_user_sgpr_queue_ptr 0
		.amdhsa_user_sgpr_kernarg_segment_ptr 1
		.amdhsa_user_sgpr_dispatch_id 0
		.amdhsa_user_sgpr_kernarg_preload_length 0
		.amdhsa_user_sgpr_kernarg_preload_offset 0
		.amdhsa_user_sgpr_private_segment_size 0
		.amdhsa_wavefront_size32 1
		.amdhsa_uses_dynamic_stack 0
		.amdhsa_enable_private_segment 0
		.amdhsa_system_sgpr_workgroup_id_x 1
		.amdhsa_system_sgpr_workgroup_id_y 0
		.amdhsa_system_sgpr_workgroup_id_z 0
		.amdhsa_system_sgpr_workgroup_info 0
		.amdhsa_system_vgpr_workitem_id 0
		.amdhsa_next_free_vgpr 7
		.amdhsa_next_free_sgpr 22
		.amdhsa_named_barrier_count 0
		.amdhsa_reserve_vcc 1
		.amdhsa_float_round_mode_32 0
		.amdhsa_float_round_mode_16_64 0
		.amdhsa_float_denorm_mode_32 3
		.amdhsa_float_denorm_mode_16_64 3
		.amdhsa_fp16_overflow 0
		.amdhsa_memory_ordered 1
		.amdhsa_forward_progress 1
		.amdhsa_inst_pref_size 6
		.amdhsa_round_robin_scheduling 0
		.amdhsa_exception_fp_ieee_invalid_op 0
		.amdhsa_exception_fp_denorm_src 0
		.amdhsa_exception_fp_ieee_div_zero 0
		.amdhsa_exception_fp_ieee_overflow 0
		.amdhsa_exception_fp_ieee_underflow 0
		.amdhsa_exception_fp_ieee_inexact 0
		.amdhsa_exception_int_div_zero 0
	.end_amdhsa_kernel
	.section	.text._ZN7rocprim17ROCPRIM_400000_NS6detail30init_device_scan_by_key_kernelINS1_19lookback_scan_stateINS0_5tupleIJxbEEELb1ELb0EEEN6thrust23THRUST_200600_302600_NS6detail15normal_iteratorINS8_10device_ptrIiEEEEjNS1_16block_id_wrapperIjLb1EEEEEvT_jjPNSG_10value_typeET0_PNSt15iterator_traitsISJ_E10value_typeEmT1_T2_,"axG",@progbits,_ZN7rocprim17ROCPRIM_400000_NS6detail30init_device_scan_by_key_kernelINS1_19lookback_scan_stateINS0_5tupleIJxbEEELb1ELb0EEEN6thrust23THRUST_200600_302600_NS6detail15normal_iteratorINS8_10device_ptrIiEEEEjNS1_16block_id_wrapperIjLb1EEEEEvT_jjPNSG_10value_typeET0_PNSt15iterator_traitsISJ_E10value_typeEmT1_T2_,comdat
.Lfunc_end1320:
	.size	_ZN7rocprim17ROCPRIM_400000_NS6detail30init_device_scan_by_key_kernelINS1_19lookback_scan_stateINS0_5tupleIJxbEEELb1ELb0EEEN6thrust23THRUST_200600_302600_NS6detail15normal_iteratorINS8_10device_ptrIiEEEEjNS1_16block_id_wrapperIjLb1EEEEEvT_jjPNSG_10value_typeET0_PNSt15iterator_traitsISJ_E10value_typeEmT1_T2_, .Lfunc_end1320-_ZN7rocprim17ROCPRIM_400000_NS6detail30init_device_scan_by_key_kernelINS1_19lookback_scan_stateINS0_5tupleIJxbEEELb1ELb0EEEN6thrust23THRUST_200600_302600_NS6detail15normal_iteratorINS8_10device_ptrIiEEEEjNS1_16block_id_wrapperIjLb1EEEEEvT_jjPNSG_10value_typeET0_PNSt15iterator_traitsISJ_E10value_typeEmT1_T2_
                                        ; -- End function
	.set _ZN7rocprim17ROCPRIM_400000_NS6detail30init_device_scan_by_key_kernelINS1_19lookback_scan_stateINS0_5tupleIJxbEEELb1ELb0EEEN6thrust23THRUST_200600_302600_NS6detail15normal_iteratorINS8_10device_ptrIiEEEEjNS1_16block_id_wrapperIjLb1EEEEEvT_jjPNSG_10value_typeET0_PNSt15iterator_traitsISJ_E10value_typeEmT1_T2_.num_vgpr, 7
	.set _ZN7rocprim17ROCPRIM_400000_NS6detail30init_device_scan_by_key_kernelINS1_19lookback_scan_stateINS0_5tupleIJxbEEELb1ELb0EEEN6thrust23THRUST_200600_302600_NS6detail15normal_iteratorINS8_10device_ptrIiEEEEjNS1_16block_id_wrapperIjLb1EEEEEvT_jjPNSG_10value_typeET0_PNSt15iterator_traitsISJ_E10value_typeEmT1_T2_.num_agpr, 0
	.set _ZN7rocprim17ROCPRIM_400000_NS6detail30init_device_scan_by_key_kernelINS1_19lookback_scan_stateINS0_5tupleIJxbEEELb1ELb0EEEN6thrust23THRUST_200600_302600_NS6detail15normal_iteratorINS8_10device_ptrIiEEEEjNS1_16block_id_wrapperIjLb1EEEEEvT_jjPNSG_10value_typeET0_PNSt15iterator_traitsISJ_E10value_typeEmT1_T2_.numbered_sgpr, 22
	.set _ZN7rocprim17ROCPRIM_400000_NS6detail30init_device_scan_by_key_kernelINS1_19lookback_scan_stateINS0_5tupleIJxbEEELb1ELb0EEEN6thrust23THRUST_200600_302600_NS6detail15normal_iteratorINS8_10device_ptrIiEEEEjNS1_16block_id_wrapperIjLb1EEEEEvT_jjPNSG_10value_typeET0_PNSt15iterator_traitsISJ_E10value_typeEmT1_T2_.num_named_barrier, 0
	.set _ZN7rocprim17ROCPRIM_400000_NS6detail30init_device_scan_by_key_kernelINS1_19lookback_scan_stateINS0_5tupleIJxbEEELb1ELb0EEEN6thrust23THRUST_200600_302600_NS6detail15normal_iteratorINS8_10device_ptrIiEEEEjNS1_16block_id_wrapperIjLb1EEEEEvT_jjPNSG_10value_typeET0_PNSt15iterator_traitsISJ_E10value_typeEmT1_T2_.private_seg_size, 0
	.set _ZN7rocprim17ROCPRIM_400000_NS6detail30init_device_scan_by_key_kernelINS1_19lookback_scan_stateINS0_5tupleIJxbEEELb1ELb0EEEN6thrust23THRUST_200600_302600_NS6detail15normal_iteratorINS8_10device_ptrIiEEEEjNS1_16block_id_wrapperIjLb1EEEEEvT_jjPNSG_10value_typeET0_PNSt15iterator_traitsISJ_E10value_typeEmT1_T2_.uses_vcc, 1
	.set _ZN7rocprim17ROCPRIM_400000_NS6detail30init_device_scan_by_key_kernelINS1_19lookback_scan_stateINS0_5tupleIJxbEEELb1ELb0EEEN6thrust23THRUST_200600_302600_NS6detail15normal_iteratorINS8_10device_ptrIiEEEEjNS1_16block_id_wrapperIjLb1EEEEEvT_jjPNSG_10value_typeET0_PNSt15iterator_traitsISJ_E10value_typeEmT1_T2_.uses_flat_scratch, 0
	.set _ZN7rocprim17ROCPRIM_400000_NS6detail30init_device_scan_by_key_kernelINS1_19lookback_scan_stateINS0_5tupleIJxbEEELb1ELb0EEEN6thrust23THRUST_200600_302600_NS6detail15normal_iteratorINS8_10device_ptrIiEEEEjNS1_16block_id_wrapperIjLb1EEEEEvT_jjPNSG_10value_typeET0_PNSt15iterator_traitsISJ_E10value_typeEmT1_T2_.has_dyn_sized_stack, 0
	.set _ZN7rocprim17ROCPRIM_400000_NS6detail30init_device_scan_by_key_kernelINS1_19lookback_scan_stateINS0_5tupleIJxbEEELb1ELb0EEEN6thrust23THRUST_200600_302600_NS6detail15normal_iteratorINS8_10device_ptrIiEEEEjNS1_16block_id_wrapperIjLb1EEEEEvT_jjPNSG_10value_typeET0_PNSt15iterator_traitsISJ_E10value_typeEmT1_T2_.has_recursion, 0
	.set _ZN7rocprim17ROCPRIM_400000_NS6detail30init_device_scan_by_key_kernelINS1_19lookback_scan_stateINS0_5tupleIJxbEEELb1ELb0EEEN6thrust23THRUST_200600_302600_NS6detail15normal_iteratorINS8_10device_ptrIiEEEEjNS1_16block_id_wrapperIjLb1EEEEEvT_jjPNSG_10value_typeET0_PNSt15iterator_traitsISJ_E10value_typeEmT1_T2_.has_indirect_call, 0
	.section	.AMDGPU.csdata,"",@progbits
; Kernel info:
; codeLenInByte = 764
; TotalNumSgprs: 24
; NumVgprs: 7
; ScratchSize: 0
; MemoryBound: 0
; FloatMode: 240
; IeeeMode: 1
; LDSByteSize: 0 bytes/workgroup (compile time only)
; SGPRBlocks: 0
; VGPRBlocks: 0
; NumSGPRsForWavesPerEU: 24
; NumVGPRsForWavesPerEU: 7
; NamedBarCnt: 0
; Occupancy: 16
; WaveLimiterHint : 0
; COMPUTE_PGM_RSRC2:SCRATCH_EN: 0
; COMPUTE_PGM_RSRC2:USER_SGPR: 2
; COMPUTE_PGM_RSRC2:TRAP_HANDLER: 0
; COMPUTE_PGM_RSRC2:TGID_X_EN: 1
; COMPUTE_PGM_RSRC2:TGID_Y_EN: 0
; COMPUTE_PGM_RSRC2:TGID_Z_EN: 0
; COMPUTE_PGM_RSRC2:TIDIG_COMP_CNT: 0
	.section	.text._ZN7rocprim17ROCPRIM_400000_NS6detail17trampoline_kernelINS0_14default_configENS1_27scan_by_key_config_selectorIixEEZZNS1_16scan_by_key_implILNS1_25lookback_scan_determinismE0ELb0ES3_N6thrust23THRUST_200600_302600_NS6detail15normal_iteratorINS9_10device_ptrIiEEEENSB_INSC_IxEEEESG_xNS9_4plusIvEENS9_8equal_toIvEExEE10hipError_tPvRmT2_T3_T4_T5_mT6_T7_P12ihipStream_tbENKUlT_T0_E_clISt17integral_constantIbLb1EES11_EEDaSW_SX_EUlSW_E_NS1_11comp_targetILNS1_3genE0ELNS1_11target_archE4294967295ELNS1_3gpuE0ELNS1_3repE0EEENS1_30default_config_static_selectorELNS0_4arch9wavefront6targetE0EEEvT1_,"axG",@progbits,_ZN7rocprim17ROCPRIM_400000_NS6detail17trampoline_kernelINS0_14default_configENS1_27scan_by_key_config_selectorIixEEZZNS1_16scan_by_key_implILNS1_25lookback_scan_determinismE0ELb0ES3_N6thrust23THRUST_200600_302600_NS6detail15normal_iteratorINS9_10device_ptrIiEEEENSB_INSC_IxEEEESG_xNS9_4plusIvEENS9_8equal_toIvEExEE10hipError_tPvRmT2_T3_T4_T5_mT6_T7_P12ihipStream_tbENKUlT_T0_E_clISt17integral_constantIbLb1EES11_EEDaSW_SX_EUlSW_E_NS1_11comp_targetILNS1_3genE0ELNS1_11target_archE4294967295ELNS1_3gpuE0ELNS1_3repE0EEENS1_30default_config_static_selectorELNS0_4arch9wavefront6targetE0EEEvT1_,comdat
	.protected	_ZN7rocprim17ROCPRIM_400000_NS6detail17trampoline_kernelINS0_14default_configENS1_27scan_by_key_config_selectorIixEEZZNS1_16scan_by_key_implILNS1_25lookback_scan_determinismE0ELb0ES3_N6thrust23THRUST_200600_302600_NS6detail15normal_iteratorINS9_10device_ptrIiEEEENSB_INSC_IxEEEESG_xNS9_4plusIvEENS9_8equal_toIvEExEE10hipError_tPvRmT2_T3_T4_T5_mT6_T7_P12ihipStream_tbENKUlT_T0_E_clISt17integral_constantIbLb1EES11_EEDaSW_SX_EUlSW_E_NS1_11comp_targetILNS1_3genE0ELNS1_11target_archE4294967295ELNS1_3gpuE0ELNS1_3repE0EEENS1_30default_config_static_selectorELNS0_4arch9wavefront6targetE0EEEvT1_ ; -- Begin function _ZN7rocprim17ROCPRIM_400000_NS6detail17trampoline_kernelINS0_14default_configENS1_27scan_by_key_config_selectorIixEEZZNS1_16scan_by_key_implILNS1_25lookback_scan_determinismE0ELb0ES3_N6thrust23THRUST_200600_302600_NS6detail15normal_iteratorINS9_10device_ptrIiEEEENSB_INSC_IxEEEESG_xNS9_4plusIvEENS9_8equal_toIvEExEE10hipError_tPvRmT2_T3_T4_T5_mT6_T7_P12ihipStream_tbENKUlT_T0_E_clISt17integral_constantIbLb1EES11_EEDaSW_SX_EUlSW_E_NS1_11comp_targetILNS1_3genE0ELNS1_11target_archE4294967295ELNS1_3gpuE0ELNS1_3repE0EEENS1_30default_config_static_selectorELNS0_4arch9wavefront6targetE0EEEvT1_
	.globl	_ZN7rocprim17ROCPRIM_400000_NS6detail17trampoline_kernelINS0_14default_configENS1_27scan_by_key_config_selectorIixEEZZNS1_16scan_by_key_implILNS1_25lookback_scan_determinismE0ELb0ES3_N6thrust23THRUST_200600_302600_NS6detail15normal_iteratorINS9_10device_ptrIiEEEENSB_INSC_IxEEEESG_xNS9_4plusIvEENS9_8equal_toIvEExEE10hipError_tPvRmT2_T3_T4_T5_mT6_T7_P12ihipStream_tbENKUlT_T0_E_clISt17integral_constantIbLb1EES11_EEDaSW_SX_EUlSW_E_NS1_11comp_targetILNS1_3genE0ELNS1_11target_archE4294967295ELNS1_3gpuE0ELNS1_3repE0EEENS1_30default_config_static_selectorELNS0_4arch9wavefront6targetE0EEEvT1_
	.p2align	8
	.type	_ZN7rocprim17ROCPRIM_400000_NS6detail17trampoline_kernelINS0_14default_configENS1_27scan_by_key_config_selectorIixEEZZNS1_16scan_by_key_implILNS1_25lookback_scan_determinismE0ELb0ES3_N6thrust23THRUST_200600_302600_NS6detail15normal_iteratorINS9_10device_ptrIiEEEENSB_INSC_IxEEEESG_xNS9_4plusIvEENS9_8equal_toIvEExEE10hipError_tPvRmT2_T3_T4_T5_mT6_T7_P12ihipStream_tbENKUlT_T0_E_clISt17integral_constantIbLb1EES11_EEDaSW_SX_EUlSW_E_NS1_11comp_targetILNS1_3genE0ELNS1_11target_archE4294967295ELNS1_3gpuE0ELNS1_3repE0EEENS1_30default_config_static_selectorELNS0_4arch9wavefront6targetE0EEEvT1_,@function
_ZN7rocprim17ROCPRIM_400000_NS6detail17trampoline_kernelINS0_14default_configENS1_27scan_by_key_config_selectorIixEEZZNS1_16scan_by_key_implILNS1_25lookback_scan_determinismE0ELb0ES3_N6thrust23THRUST_200600_302600_NS6detail15normal_iteratorINS9_10device_ptrIiEEEENSB_INSC_IxEEEESG_xNS9_4plusIvEENS9_8equal_toIvEExEE10hipError_tPvRmT2_T3_T4_T5_mT6_T7_P12ihipStream_tbENKUlT_T0_E_clISt17integral_constantIbLb1EES11_EEDaSW_SX_EUlSW_E_NS1_11comp_targetILNS1_3genE0ELNS1_11target_archE4294967295ELNS1_3gpuE0ELNS1_3repE0EEENS1_30default_config_static_selectorELNS0_4arch9wavefront6targetE0EEEvT1_: ; @_ZN7rocprim17ROCPRIM_400000_NS6detail17trampoline_kernelINS0_14default_configENS1_27scan_by_key_config_selectorIixEEZZNS1_16scan_by_key_implILNS1_25lookback_scan_determinismE0ELb0ES3_N6thrust23THRUST_200600_302600_NS6detail15normal_iteratorINS9_10device_ptrIiEEEENSB_INSC_IxEEEESG_xNS9_4plusIvEENS9_8equal_toIvEExEE10hipError_tPvRmT2_T3_T4_T5_mT6_T7_P12ihipStream_tbENKUlT_T0_E_clISt17integral_constantIbLb1EES11_EEDaSW_SX_EUlSW_E_NS1_11comp_targetILNS1_3genE0ELNS1_11target_archE4294967295ELNS1_3gpuE0ELNS1_3repE0EEENS1_30default_config_static_selectorELNS0_4arch9wavefront6targetE0EEEvT1_
; %bb.0:
	s_endpgm
	.section	.rodata,"a",@progbits
	.p2align	6, 0x0
	.amdhsa_kernel _ZN7rocprim17ROCPRIM_400000_NS6detail17trampoline_kernelINS0_14default_configENS1_27scan_by_key_config_selectorIixEEZZNS1_16scan_by_key_implILNS1_25lookback_scan_determinismE0ELb0ES3_N6thrust23THRUST_200600_302600_NS6detail15normal_iteratorINS9_10device_ptrIiEEEENSB_INSC_IxEEEESG_xNS9_4plusIvEENS9_8equal_toIvEExEE10hipError_tPvRmT2_T3_T4_T5_mT6_T7_P12ihipStream_tbENKUlT_T0_E_clISt17integral_constantIbLb1EES11_EEDaSW_SX_EUlSW_E_NS1_11comp_targetILNS1_3genE0ELNS1_11target_archE4294967295ELNS1_3gpuE0ELNS1_3repE0EEENS1_30default_config_static_selectorELNS0_4arch9wavefront6targetE0EEEvT1_
		.amdhsa_group_segment_fixed_size 0
		.amdhsa_private_segment_fixed_size 0
		.amdhsa_kernarg_size 136
		.amdhsa_user_sgpr_count 2
		.amdhsa_user_sgpr_dispatch_ptr 0
		.amdhsa_user_sgpr_queue_ptr 0
		.amdhsa_user_sgpr_kernarg_segment_ptr 1
		.amdhsa_user_sgpr_dispatch_id 0
		.amdhsa_user_sgpr_kernarg_preload_length 0
		.amdhsa_user_sgpr_kernarg_preload_offset 0
		.amdhsa_user_sgpr_private_segment_size 0
		.amdhsa_wavefront_size32 1
		.amdhsa_uses_dynamic_stack 0
		.amdhsa_enable_private_segment 0
		.amdhsa_system_sgpr_workgroup_id_x 1
		.amdhsa_system_sgpr_workgroup_id_y 0
		.amdhsa_system_sgpr_workgroup_id_z 0
		.amdhsa_system_sgpr_workgroup_info 0
		.amdhsa_system_vgpr_workitem_id 0
		.amdhsa_next_free_vgpr 1
		.amdhsa_next_free_sgpr 1
		.amdhsa_named_barrier_count 0
		.amdhsa_reserve_vcc 0
		.amdhsa_float_round_mode_32 0
		.amdhsa_float_round_mode_16_64 0
		.amdhsa_float_denorm_mode_32 3
		.amdhsa_float_denorm_mode_16_64 3
		.amdhsa_fp16_overflow 0
		.amdhsa_memory_ordered 1
		.amdhsa_forward_progress 1
		.amdhsa_inst_pref_size 1
		.amdhsa_round_robin_scheduling 0
		.amdhsa_exception_fp_ieee_invalid_op 0
		.amdhsa_exception_fp_denorm_src 0
		.amdhsa_exception_fp_ieee_div_zero 0
		.amdhsa_exception_fp_ieee_overflow 0
		.amdhsa_exception_fp_ieee_underflow 0
		.amdhsa_exception_fp_ieee_inexact 0
		.amdhsa_exception_int_div_zero 0
	.end_amdhsa_kernel
	.section	.text._ZN7rocprim17ROCPRIM_400000_NS6detail17trampoline_kernelINS0_14default_configENS1_27scan_by_key_config_selectorIixEEZZNS1_16scan_by_key_implILNS1_25lookback_scan_determinismE0ELb0ES3_N6thrust23THRUST_200600_302600_NS6detail15normal_iteratorINS9_10device_ptrIiEEEENSB_INSC_IxEEEESG_xNS9_4plusIvEENS9_8equal_toIvEExEE10hipError_tPvRmT2_T3_T4_T5_mT6_T7_P12ihipStream_tbENKUlT_T0_E_clISt17integral_constantIbLb1EES11_EEDaSW_SX_EUlSW_E_NS1_11comp_targetILNS1_3genE0ELNS1_11target_archE4294967295ELNS1_3gpuE0ELNS1_3repE0EEENS1_30default_config_static_selectorELNS0_4arch9wavefront6targetE0EEEvT1_,"axG",@progbits,_ZN7rocprim17ROCPRIM_400000_NS6detail17trampoline_kernelINS0_14default_configENS1_27scan_by_key_config_selectorIixEEZZNS1_16scan_by_key_implILNS1_25lookback_scan_determinismE0ELb0ES3_N6thrust23THRUST_200600_302600_NS6detail15normal_iteratorINS9_10device_ptrIiEEEENSB_INSC_IxEEEESG_xNS9_4plusIvEENS9_8equal_toIvEExEE10hipError_tPvRmT2_T3_T4_T5_mT6_T7_P12ihipStream_tbENKUlT_T0_E_clISt17integral_constantIbLb1EES11_EEDaSW_SX_EUlSW_E_NS1_11comp_targetILNS1_3genE0ELNS1_11target_archE4294967295ELNS1_3gpuE0ELNS1_3repE0EEENS1_30default_config_static_selectorELNS0_4arch9wavefront6targetE0EEEvT1_,comdat
.Lfunc_end1321:
	.size	_ZN7rocprim17ROCPRIM_400000_NS6detail17trampoline_kernelINS0_14default_configENS1_27scan_by_key_config_selectorIixEEZZNS1_16scan_by_key_implILNS1_25lookback_scan_determinismE0ELb0ES3_N6thrust23THRUST_200600_302600_NS6detail15normal_iteratorINS9_10device_ptrIiEEEENSB_INSC_IxEEEESG_xNS9_4plusIvEENS9_8equal_toIvEExEE10hipError_tPvRmT2_T3_T4_T5_mT6_T7_P12ihipStream_tbENKUlT_T0_E_clISt17integral_constantIbLb1EES11_EEDaSW_SX_EUlSW_E_NS1_11comp_targetILNS1_3genE0ELNS1_11target_archE4294967295ELNS1_3gpuE0ELNS1_3repE0EEENS1_30default_config_static_selectorELNS0_4arch9wavefront6targetE0EEEvT1_, .Lfunc_end1321-_ZN7rocprim17ROCPRIM_400000_NS6detail17trampoline_kernelINS0_14default_configENS1_27scan_by_key_config_selectorIixEEZZNS1_16scan_by_key_implILNS1_25lookback_scan_determinismE0ELb0ES3_N6thrust23THRUST_200600_302600_NS6detail15normal_iteratorINS9_10device_ptrIiEEEENSB_INSC_IxEEEESG_xNS9_4plusIvEENS9_8equal_toIvEExEE10hipError_tPvRmT2_T3_T4_T5_mT6_T7_P12ihipStream_tbENKUlT_T0_E_clISt17integral_constantIbLb1EES11_EEDaSW_SX_EUlSW_E_NS1_11comp_targetILNS1_3genE0ELNS1_11target_archE4294967295ELNS1_3gpuE0ELNS1_3repE0EEENS1_30default_config_static_selectorELNS0_4arch9wavefront6targetE0EEEvT1_
                                        ; -- End function
	.set _ZN7rocprim17ROCPRIM_400000_NS6detail17trampoline_kernelINS0_14default_configENS1_27scan_by_key_config_selectorIixEEZZNS1_16scan_by_key_implILNS1_25lookback_scan_determinismE0ELb0ES3_N6thrust23THRUST_200600_302600_NS6detail15normal_iteratorINS9_10device_ptrIiEEEENSB_INSC_IxEEEESG_xNS9_4plusIvEENS9_8equal_toIvEExEE10hipError_tPvRmT2_T3_T4_T5_mT6_T7_P12ihipStream_tbENKUlT_T0_E_clISt17integral_constantIbLb1EES11_EEDaSW_SX_EUlSW_E_NS1_11comp_targetILNS1_3genE0ELNS1_11target_archE4294967295ELNS1_3gpuE0ELNS1_3repE0EEENS1_30default_config_static_selectorELNS0_4arch9wavefront6targetE0EEEvT1_.num_vgpr, 0
	.set _ZN7rocprim17ROCPRIM_400000_NS6detail17trampoline_kernelINS0_14default_configENS1_27scan_by_key_config_selectorIixEEZZNS1_16scan_by_key_implILNS1_25lookback_scan_determinismE0ELb0ES3_N6thrust23THRUST_200600_302600_NS6detail15normal_iteratorINS9_10device_ptrIiEEEENSB_INSC_IxEEEESG_xNS9_4plusIvEENS9_8equal_toIvEExEE10hipError_tPvRmT2_T3_T4_T5_mT6_T7_P12ihipStream_tbENKUlT_T0_E_clISt17integral_constantIbLb1EES11_EEDaSW_SX_EUlSW_E_NS1_11comp_targetILNS1_3genE0ELNS1_11target_archE4294967295ELNS1_3gpuE0ELNS1_3repE0EEENS1_30default_config_static_selectorELNS0_4arch9wavefront6targetE0EEEvT1_.num_agpr, 0
	.set _ZN7rocprim17ROCPRIM_400000_NS6detail17trampoline_kernelINS0_14default_configENS1_27scan_by_key_config_selectorIixEEZZNS1_16scan_by_key_implILNS1_25lookback_scan_determinismE0ELb0ES3_N6thrust23THRUST_200600_302600_NS6detail15normal_iteratorINS9_10device_ptrIiEEEENSB_INSC_IxEEEESG_xNS9_4plusIvEENS9_8equal_toIvEExEE10hipError_tPvRmT2_T3_T4_T5_mT6_T7_P12ihipStream_tbENKUlT_T0_E_clISt17integral_constantIbLb1EES11_EEDaSW_SX_EUlSW_E_NS1_11comp_targetILNS1_3genE0ELNS1_11target_archE4294967295ELNS1_3gpuE0ELNS1_3repE0EEENS1_30default_config_static_selectorELNS0_4arch9wavefront6targetE0EEEvT1_.numbered_sgpr, 0
	.set _ZN7rocprim17ROCPRIM_400000_NS6detail17trampoline_kernelINS0_14default_configENS1_27scan_by_key_config_selectorIixEEZZNS1_16scan_by_key_implILNS1_25lookback_scan_determinismE0ELb0ES3_N6thrust23THRUST_200600_302600_NS6detail15normal_iteratorINS9_10device_ptrIiEEEENSB_INSC_IxEEEESG_xNS9_4plusIvEENS9_8equal_toIvEExEE10hipError_tPvRmT2_T3_T4_T5_mT6_T7_P12ihipStream_tbENKUlT_T0_E_clISt17integral_constantIbLb1EES11_EEDaSW_SX_EUlSW_E_NS1_11comp_targetILNS1_3genE0ELNS1_11target_archE4294967295ELNS1_3gpuE0ELNS1_3repE0EEENS1_30default_config_static_selectorELNS0_4arch9wavefront6targetE0EEEvT1_.num_named_barrier, 0
	.set _ZN7rocprim17ROCPRIM_400000_NS6detail17trampoline_kernelINS0_14default_configENS1_27scan_by_key_config_selectorIixEEZZNS1_16scan_by_key_implILNS1_25lookback_scan_determinismE0ELb0ES3_N6thrust23THRUST_200600_302600_NS6detail15normal_iteratorINS9_10device_ptrIiEEEENSB_INSC_IxEEEESG_xNS9_4plusIvEENS9_8equal_toIvEExEE10hipError_tPvRmT2_T3_T4_T5_mT6_T7_P12ihipStream_tbENKUlT_T0_E_clISt17integral_constantIbLb1EES11_EEDaSW_SX_EUlSW_E_NS1_11comp_targetILNS1_3genE0ELNS1_11target_archE4294967295ELNS1_3gpuE0ELNS1_3repE0EEENS1_30default_config_static_selectorELNS0_4arch9wavefront6targetE0EEEvT1_.private_seg_size, 0
	.set _ZN7rocprim17ROCPRIM_400000_NS6detail17trampoline_kernelINS0_14default_configENS1_27scan_by_key_config_selectorIixEEZZNS1_16scan_by_key_implILNS1_25lookback_scan_determinismE0ELb0ES3_N6thrust23THRUST_200600_302600_NS6detail15normal_iteratorINS9_10device_ptrIiEEEENSB_INSC_IxEEEESG_xNS9_4plusIvEENS9_8equal_toIvEExEE10hipError_tPvRmT2_T3_T4_T5_mT6_T7_P12ihipStream_tbENKUlT_T0_E_clISt17integral_constantIbLb1EES11_EEDaSW_SX_EUlSW_E_NS1_11comp_targetILNS1_3genE0ELNS1_11target_archE4294967295ELNS1_3gpuE0ELNS1_3repE0EEENS1_30default_config_static_selectorELNS0_4arch9wavefront6targetE0EEEvT1_.uses_vcc, 0
	.set _ZN7rocprim17ROCPRIM_400000_NS6detail17trampoline_kernelINS0_14default_configENS1_27scan_by_key_config_selectorIixEEZZNS1_16scan_by_key_implILNS1_25lookback_scan_determinismE0ELb0ES3_N6thrust23THRUST_200600_302600_NS6detail15normal_iteratorINS9_10device_ptrIiEEEENSB_INSC_IxEEEESG_xNS9_4plusIvEENS9_8equal_toIvEExEE10hipError_tPvRmT2_T3_T4_T5_mT6_T7_P12ihipStream_tbENKUlT_T0_E_clISt17integral_constantIbLb1EES11_EEDaSW_SX_EUlSW_E_NS1_11comp_targetILNS1_3genE0ELNS1_11target_archE4294967295ELNS1_3gpuE0ELNS1_3repE0EEENS1_30default_config_static_selectorELNS0_4arch9wavefront6targetE0EEEvT1_.uses_flat_scratch, 0
	.set _ZN7rocprim17ROCPRIM_400000_NS6detail17trampoline_kernelINS0_14default_configENS1_27scan_by_key_config_selectorIixEEZZNS1_16scan_by_key_implILNS1_25lookback_scan_determinismE0ELb0ES3_N6thrust23THRUST_200600_302600_NS6detail15normal_iteratorINS9_10device_ptrIiEEEENSB_INSC_IxEEEESG_xNS9_4plusIvEENS9_8equal_toIvEExEE10hipError_tPvRmT2_T3_T4_T5_mT6_T7_P12ihipStream_tbENKUlT_T0_E_clISt17integral_constantIbLb1EES11_EEDaSW_SX_EUlSW_E_NS1_11comp_targetILNS1_3genE0ELNS1_11target_archE4294967295ELNS1_3gpuE0ELNS1_3repE0EEENS1_30default_config_static_selectorELNS0_4arch9wavefront6targetE0EEEvT1_.has_dyn_sized_stack, 0
	.set _ZN7rocprim17ROCPRIM_400000_NS6detail17trampoline_kernelINS0_14default_configENS1_27scan_by_key_config_selectorIixEEZZNS1_16scan_by_key_implILNS1_25lookback_scan_determinismE0ELb0ES3_N6thrust23THRUST_200600_302600_NS6detail15normal_iteratorINS9_10device_ptrIiEEEENSB_INSC_IxEEEESG_xNS9_4plusIvEENS9_8equal_toIvEExEE10hipError_tPvRmT2_T3_T4_T5_mT6_T7_P12ihipStream_tbENKUlT_T0_E_clISt17integral_constantIbLb1EES11_EEDaSW_SX_EUlSW_E_NS1_11comp_targetILNS1_3genE0ELNS1_11target_archE4294967295ELNS1_3gpuE0ELNS1_3repE0EEENS1_30default_config_static_selectorELNS0_4arch9wavefront6targetE0EEEvT1_.has_recursion, 0
	.set _ZN7rocprim17ROCPRIM_400000_NS6detail17trampoline_kernelINS0_14default_configENS1_27scan_by_key_config_selectorIixEEZZNS1_16scan_by_key_implILNS1_25lookback_scan_determinismE0ELb0ES3_N6thrust23THRUST_200600_302600_NS6detail15normal_iteratorINS9_10device_ptrIiEEEENSB_INSC_IxEEEESG_xNS9_4plusIvEENS9_8equal_toIvEExEE10hipError_tPvRmT2_T3_T4_T5_mT6_T7_P12ihipStream_tbENKUlT_T0_E_clISt17integral_constantIbLb1EES11_EEDaSW_SX_EUlSW_E_NS1_11comp_targetILNS1_3genE0ELNS1_11target_archE4294967295ELNS1_3gpuE0ELNS1_3repE0EEENS1_30default_config_static_selectorELNS0_4arch9wavefront6targetE0EEEvT1_.has_indirect_call, 0
	.section	.AMDGPU.csdata,"",@progbits
; Kernel info:
; codeLenInByte = 4
; TotalNumSgprs: 0
; NumVgprs: 0
; ScratchSize: 0
; MemoryBound: 0
; FloatMode: 240
; IeeeMode: 1
; LDSByteSize: 0 bytes/workgroup (compile time only)
; SGPRBlocks: 0
; VGPRBlocks: 0
; NumSGPRsForWavesPerEU: 1
; NumVGPRsForWavesPerEU: 1
; NamedBarCnt: 0
; Occupancy: 16
; WaveLimiterHint : 0
; COMPUTE_PGM_RSRC2:SCRATCH_EN: 0
; COMPUTE_PGM_RSRC2:USER_SGPR: 2
; COMPUTE_PGM_RSRC2:TRAP_HANDLER: 0
; COMPUTE_PGM_RSRC2:TGID_X_EN: 1
; COMPUTE_PGM_RSRC2:TGID_Y_EN: 0
; COMPUTE_PGM_RSRC2:TGID_Z_EN: 0
; COMPUTE_PGM_RSRC2:TIDIG_COMP_CNT: 0
	.section	.text._ZN7rocprim17ROCPRIM_400000_NS6detail17trampoline_kernelINS0_14default_configENS1_27scan_by_key_config_selectorIixEEZZNS1_16scan_by_key_implILNS1_25lookback_scan_determinismE0ELb0ES3_N6thrust23THRUST_200600_302600_NS6detail15normal_iteratorINS9_10device_ptrIiEEEENSB_INSC_IxEEEESG_xNS9_4plusIvEENS9_8equal_toIvEExEE10hipError_tPvRmT2_T3_T4_T5_mT6_T7_P12ihipStream_tbENKUlT_T0_E_clISt17integral_constantIbLb1EES11_EEDaSW_SX_EUlSW_E_NS1_11comp_targetILNS1_3genE10ELNS1_11target_archE1201ELNS1_3gpuE5ELNS1_3repE0EEENS1_30default_config_static_selectorELNS0_4arch9wavefront6targetE0EEEvT1_,"axG",@progbits,_ZN7rocprim17ROCPRIM_400000_NS6detail17trampoline_kernelINS0_14default_configENS1_27scan_by_key_config_selectorIixEEZZNS1_16scan_by_key_implILNS1_25lookback_scan_determinismE0ELb0ES3_N6thrust23THRUST_200600_302600_NS6detail15normal_iteratorINS9_10device_ptrIiEEEENSB_INSC_IxEEEESG_xNS9_4plusIvEENS9_8equal_toIvEExEE10hipError_tPvRmT2_T3_T4_T5_mT6_T7_P12ihipStream_tbENKUlT_T0_E_clISt17integral_constantIbLb1EES11_EEDaSW_SX_EUlSW_E_NS1_11comp_targetILNS1_3genE10ELNS1_11target_archE1201ELNS1_3gpuE5ELNS1_3repE0EEENS1_30default_config_static_selectorELNS0_4arch9wavefront6targetE0EEEvT1_,comdat
	.protected	_ZN7rocprim17ROCPRIM_400000_NS6detail17trampoline_kernelINS0_14default_configENS1_27scan_by_key_config_selectorIixEEZZNS1_16scan_by_key_implILNS1_25lookback_scan_determinismE0ELb0ES3_N6thrust23THRUST_200600_302600_NS6detail15normal_iteratorINS9_10device_ptrIiEEEENSB_INSC_IxEEEESG_xNS9_4plusIvEENS9_8equal_toIvEExEE10hipError_tPvRmT2_T3_T4_T5_mT6_T7_P12ihipStream_tbENKUlT_T0_E_clISt17integral_constantIbLb1EES11_EEDaSW_SX_EUlSW_E_NS1_11comp_targetILNS1_3genE10ELNS1_11target_archE1201ELNS1_3gpuE5ELNS1_3repE0EEENS1_30default_config_static_selectorELNS0_4arch9wavefront6targetE0EEEvT1_ ; -- Begin function _ZN7rocprim17ROCPRIM_400000_NS6detail17trampoline_kernelINS0_14default_configENS1_27scan_by_key_config_selectorIixEEZZNS1_16scan_by_key_implILNS1_25lookback_scan_determinismE0ELb0ES3_N6thrust23THRUST_200600_302600_NS6detail15normal_iteratorINS9_10device_ptrIiEEEENSB_INSC_IxEEEESG_xNS9_4plusIvEENS9_8equal_toIvEExEE10hipError_tPvRmT2_T3_T4_T5_mT6_T7_P12ihipStream_tbENKUlT_T0_E_clISt17integral_constantIbLb1EES11_EEDaSW_SX_EUlSW_E_NS1_11comp_targetILNS1_3genE10ELNS1_11target_archE1201ELNS1_3gpuE5ELNS1_3repE0EEENS1_30default_config_static_selectorELNS0_4arch9wavefront6targetE0EEEvT1_
	.globl	_ZN7rocprim17ROCPRIM_400000_NS6detail17trampoline_kernelINS0_14default_configENS1_27scan_by_key_config_selectorIixEEZZNS1_16scan_by_key_implILNS1_25lookback_scan_determinismE0ELb0ES3_N6thrust23THRUST_200600_302600_NS6detail15normal_iteratorINS9_10device_ptrIiEEEENSB_INSC_IxEEEESG_xNS9_4plusIvEENS9_8equal_toIvEExEE10hipError_tPvRmT2_T3_T4_T5_mT6_T7_P12ihipStream_tbENKUlT_T0_E_clISt17integral_constantIbLb1EES11_EEDaSW_SX_EUlSW_E_NS1_11comp_targetILNS1_3genE10ELNS1_11target_archE1201ELNS1_3gpuE5ELNS1_3repE0EEENS1_30default_config_static_selectorELNS0_4arch9wavefront6targetE0EEEvT1_
	.p2align	8
	.type	_ZN7rocprim17ROCPRIM_400000_NS6detail17trampoline_kernelINS0_14default_configENS1_27scan_by_key_config_selectorIixEEZZNS1_16scan_by_key_implILNS1_25lookback_scan_determinismE0ELb0ES3_N6thrust23THRUST_200600_302600_NS6detail15normal_iteratorINS9_10device_ptrIiEEEENSB_INSC_IxEEEESG_xNS9_4plusIvEENS9_8equal_toIvEExEE10hipError_tPvRmT2_T3_T4_T5_mT6_T7_P12ihipStream_tbENKUlT_T0_E_clISt17integral_constantIbLb1EES11_EEDaSW_SX_EUlSW_E_NS1_11comp_targetILNS1_3genE10ELNS1_11target_archE1201ELNS1_3gpuE5ELNS1_3repE0EEENS1_30default_config_static_selectorELNS0_4arch9wavefront6targetE0EEEvT1_,@function
_ZN7rocprim17ROCPRIM_400000_NS6detail17trampoline_kernelINS0_14default_configENS1_27scan_by_key_config_selectorIixEEZZNS1_16scan_by_key_implILNS1_25lookback_scan_determinismE0ELb0ES3_N6thrust23THRUST_200600_302600_NS6detail15normal_iteratorINS9_10device_ptrIiEEEENSB_INSC_IxEEEESG_xNS9_4plusIvEENS9_8equal_toIvEExEE10hipError_tPvRmT2_T3_T4_T5_mT6_T7_P12ihipStream_tbENKUlT_T0_E_clISt17integral_constantIbLb1EES11_EEDaSW_SX_EUlSW_E_NS1_11comp_targetILNS1_3genE10ELNS1_11target_archE1201ELNS1_3gpuE5ELNS1_3repE0EEENS1_30default_config_static_selectorELNS0_4arch9wavefront6targetE0EEEvT1_: ; @_ZN7rocprim17ROCPRIM_400000_NS6detail17trampoline_kernelINS0_14default_configENS1_27scan_by_key_config_selectorIixEEZZNS1_16scan_by_key_implILNS1_25lookback_scan_determinismE0ELb0ES3_N6thrust23THRUST_200600_302600_NS6detail15normal_iteratorINS9_10device_ptrIiEEEENSB_INSC_IxEEEESG_xNS9_4plusIvEENS9_8equal_toIvEExEE10hipError_tPvRmT2_T3_T4_T5_mT6_T7_P12ihipStream_tbENKUlT_T0_E_clISt17integral_constantIbLb1EES11_EEDaSW_SX_EUlSW_E_NS1_11comp_targetILNS1_3genE10ELNS1_11target_archE1201ELNS1_3gpuE5ELNS1_3repE0EEENS1_30default_config_static_selectorELNS0_4arch9wavefront6targetE0EEEvT1_
; %bb.0:
	.section	.rodata,"a",@progbits
	.p2align	6, 0x0
	.amdhsa_kernel _ZN7rocprim17ROCPRIM_400000_NS6detail17trampoline_kernelINS0_14default_configENS1_27scan_by_key_config_selectorIixEEZZNS1_16scan_by_key_implILNS1_25lookback_scan_determinismE0ELb0ES3_N6thrust23THRUST_200600_302600_NS6detail15normal_iteratorINS9_10device_ptrIiEEEENSB_INSC_IxEEEESG_xNS9_4plusIvEENS9_8equal_toIvEExEE10hipError_tPvRmT2_T3_T4_T5_mT6_T7_P12ihipStream_tbENKUlT_T0_E_clISt17integral_constantIbLb1EES11_EEDaSW_SX_EUlSW_E_NS1_11comp_targetILNS1_3genE10ELNS1_11target_archE1201ELNS1_3gpuE5ELNS1_3repE0EEENS1_30default_config_static_selectorELNS0_4arch9wavefront6targetE0EEEvT1_
		.amdhsa_group_segment_fixed_size 0
		.amdhsa_private_segment_fixed_size 0
		.amdhsa_kernarg_size 136
		.amdhsa_user_sgpr_count 2
		.amdhsa_user_sgpr_dispatch_ptr 0
		.amdhsa_user_sgpr_queue_ptr 0
		.amdhsa_user_sgpr_kernarg_segment_ptr 1
		.amdhsa_user_sgpr_dispatch_id 0
		.amdhsa_user_sgpr_kernarg_preload_length 0
		.amdhsa_user_sgpr_kernarg_preload_offset 0
		.amdhsa_user_sgpr_private_segment_size 0
		.amdhsa_wavefront_size32 1
		.amdhsa_uses_dynamic_stack 0
		.amdhsa_enable_private_segment 0
		.amdhsa_system_sgpr_workgroup_id_x 1
		.amdhsa_system_sgpr_workgroup_id_y 0
		.amdhsa_system_sgpr_workgroup_id_z 0
		.amdhsa_system_sgpr_workgroup_info 0
		.amdhsa_system_vgpr_workitem_id 0
		.amdhsa_next_free_vgpr 1
		.amdhsa_next_free_sgpr 1
		.amdhsa_named_barrier_count 0
		.amdhsa_reserve_vcc 0
		.amdhsa_float_round_mode_32 0
		.amdhsa_float_round_mode_16_64 0
		.amdhsa_float_denorm_mode_32 3
		.amdhsa_float_denorm_mode_16_64 3
		.amdhsa_fp16_overflow 0
		.amdhsa_memory_ordered 1
		.amdhsa_forward_progress 1
		.amdhsa_inst_pref_size 0
		.amdhsa_round_robin_scheduling 0
		.amdhsa_exception_fp_ieee_invalid_op 0
		.amdhsa_exception_fp_denorm_src 0
		.amdhsa_exception_fp_ieee_div_zero 0
		.amdhsa_exception_fp_ieee_overflow 0
		.amdhsa_exception_fp_ieee_underflow 0
		.amdhsa_exception_fp_ieee_inexact 0
		.amdhsa_exception_int_div_zero 0
	.end_amdhsa_kernel
	.section	.text._ZN7rocprim17ROCPRIM_400000_NS6detail17trampoline_kernelINS0_14default_configENS1_27scan_by_key_config_selectorIixEEZZNS1_16scan_by_key_implILNS1_25lookback_scan_determinismE0ELb0ES3_N6thrust23THRUST_200600_302600_NS6detail15normal_iteratorINS9_10device_ptrIiEEEENSB_INSC_IxEEEESG_xNS9_4plusIvEENS9_8equal_toIvEExEE10hipError_tPvRmT2_T3_T4_T5_mT6_T7_P12ihipStream_tbENKUlT_T0_E_clISt17integral_constantIbLb1EES11_EEDaSW_SX_EUlSW_E_NS1_11comp_targetILNS1_3genE10ELNS1_11target_archE1201ELNS1_3gpuE5ELNS1_3repE0EEENS1_30default_config_static_selectorELNS0_4arch9wavefront6targetE0EEEvT1_,"axG",@progbits,_ZN7rocprim17ROCPRIM_400000_NS6detail17trampoline_kernelINS0_14default_configENS1_27scan_by_key_config_selectorIixEEZZNS1_16scan_by_key_implILNS1_25lookback_scan_determinismE0ELb0ES3_N6thrust23THRUST_200600_302600_NS6detail15normal_iteratorINS9_10device_ptrIiEEEENSB_INSC_IxEEEESG_xNS9_4plusIvEENS9_8equal_toIvEExEE10hipError_tPvRmT2_T3_T4_T5_mT6_T7_P12ihipStream_tbENKUlT_T0_E_clISt17integral_constantIbLb1EES11_EEDaSW_SX_EUlSW_E_NS1_11comp_targetILNS1_3genE10ELNS1_11target_archE1201ELNS1_3gpuE5ELNS1_3repE0EEENS1_30default_config_static_selectorELNS0_4arch9wavefront6targetE0EEEvT1_,comdat
.Lfunc_end1322:
	.size	_ZN7rocprim17ROCPRIM_400000_NS6detail17trampoline_kernelINS0_14default_configENS1_27scan_by_key_config_selectorIixEEZZNS1_16scan_by_key_implILNS1_25lookback_scan_determinismE0ELb0ES3_N6thrust23THRUST_200600_302600_NS6detail15normal_iteratorINS9_10device_ptrIiEEEENSB_INSC_IxEEEESG_xNS9_4plusIvEENS9_8equal_toIvEExEE10hipError_tPvRmT2_T3_T4_T5_mT6_T7_P12ihipStream_tbENKUlT_T0_E_clISt17integral_constantIbLb1EES11_EEDaSW_SX_EUlSW_E_NS1_11comp_targetILNS1_3genE10ELNS1_11target_archE1201ELNS1_3gpuE5ELNS1_3repE0EEENS1_30default_config_static_selectorELNS0_4arch9wavefront6targetE0EEEvT1_, .Lfunc_end1322-_ZN7rocprim17ROCPRIM_400000_NS6detail17trampoline_kernelINS0_14default_configENS1_27scan_by_key_config_selectorIixEEZZNS1_16scan_by_key_implILNS1_25lookback_scan_determinismE0ELb0ES3_N6thrust23THRUST_200600_302600_NS6detail15normal_iteratorINS9_10device_ptrIiEEEENSB_INSC_IxEEEESG_xNS9_4plusIvEENS9_8equal_toIvEExEE10hipError_tPvRmT2_T3_T4_T5_mT6_T7_P12ihipStream_tbENKUlT_T0_E_clISt17integral_constantIbLb1EES11_EEDaSW_SX_EUlSW_E_NS1_11comp_targetILNS1_3genE10ELNS1_11target_archE1201ELNS1_3gpuE5ELNS1_3repE0EEENS1_30default_config_static_selectorELNS0_4arch9wavefront6targetE0EEEvT1_
                                        ; -- End function
	.set _ZN7rocprim17ROCPRIM_400000_NS6detail17trampoline_kernelINS0_14default_configENS1_27scan_by_key_config_selectorIixEEZZNS1_16scan_by_key_implILNS1_25lookback_scan_determinismE0ELb0ES3_N6thrust23THRUST_200600_302600_NS6detail15normal_iteratorINS9_10device_ptrIiEEEENSB_INSC_IxEEEESG_xNS9_4plusIvEENS9_8equal_toIvEExEE10hipError_tPvRmT2_T3_T4_T5_mT6_T7_P12ihipStream_tbENKUlT_T0_E_clISt17integral_constantIbLb1EES11_EEDaSW_SX_EUlSW_E_NS1_11comp_targetILNS1_3genE10ELNS1_11target_archE1201ELNS1_3gpuE5ELNS1_3repE0EEENS1_30default_config_static_selectorELNS0_4arch9wavefront6targetE0EEEvT1_.num_vgpr, 0
	.set _ZN7rocprim17ROCPRIM_400000_NS6detail17trampoline_kernelINS0_14default_configENS1_27scan_by_key_config_selectorIixEEZZNS1_16scan_by_key_implILNS1_25lookback_scan_determinismE0ELb0ES3_N6thrust23THRUST_200600_302600_NS6detail15normal_iteratorINS9_10device_ptrIiEEEENSB_INSC_IxEEEESG_xNS9_4plusIvEENS9_8equal_toIvEExEE10hipError_tPvRmT2_T3_T4_T5_mT6_T7_P12ihipStream_tbENKUlT_T0_E_clISt17integral_constantIbLb1EES11_EEDaSW_SX_EUlSW_E_NS1_11comp_targetILNS1_3genE10ELNS1_11target_archE1201ELNS1_3gpuE5ELNS1_3repE0EEENS1_30default_config_static_selectorELNS0_4arch9wavefront6targetE0EEEvT1_.num_agpr, 0
	.set _ZN7rocprim17ROCPRIM_400000_NS6detail17trampoline_kernelINS0_14default_configENS1_27scan_by_key_config_selectorIixEEZZNS1_16scan_by_key_implILNS1_25lookback_scan_determinismE0ELb0ES3_N6thrust23THRUST_200600_302600_NS6detail15normal_iteratorINS9_10device_ptrIiEEEENSB_INSC_IxEEEESG_xNS9_4plusIvEENS9_8equal_toIvEExEE10hipError_tPvRmT2_T3_T4_T5_mT6_T7_P12ihipStream_tbENKUlT_T0_E_clISt17integral_constantIbLb1EES11_EEDaSW_SX_EUlSW_E_NS1_11comp_targetILNS1_3genE10ELNS1_11target_archE1201ELNS1_3gpuE5ELNS1_3repE0EEENS1_30default_config_static_selectorELNS0_4arch9wavefront6targetE0EEEvT1_.numbered_sgpr, 0
	.set _ZN7rocprim17ROCPRIM_400000_NS6detail17trampoline_kernelINS0_14default_configENS1_27scan_by_key_config_selectorIixEEZZNS1_16scan_by_key_implILNS1_25lookback_scan_determinismE0ELb0ES3_N6thrust23THRUST_200600_302600_NS6detail15normal_iteratorINS9_10device_ptrIiEEEENSB_INSC_IxEEEESG_xNS9_4plusIvEENS9_8equal_toIvEExEE10hipError_tPvRmT2_T3_T4_T5_mT6_T7_P12ihipStream_tbENKUlT_T0_E_clISt17integral_constantIbLb1EES11_EEDaSW_SX_EUlSW_E_NS1_11comp_targetILNS1_3genE10ELNS1_11target_archE1201ELNS1_3gpuE5ELNS1_3repE0EEENS1_30default_config_static_selectorELNS0_4arch9wavefront6targetE0EEEvT1_.num_named_barrier, 0
	.set _ZN7rocprim17ROCPRIM_400000_NS6detail17trampoline_kernelINS0_14default_configENS1_27scan_by_key_config_selectorIixEEZZNS1_16scan_by_key_implILNS1_25lookback_scan_determinismE0ELb0ES3_N6thrust23THRUST_200600_302600_NS6detail15normal_iteratorINS9_10device_ptrIiEEEENSB_INSC_IxEEEESG_xNS9_4plusIvEENS9_8equal_toIvEExEE10hipError_tPvRmT2_T3_T4_T5_mT6_T7_P12ihipStream_tbENKUlT_T0_E_clISt17integral_constantIbLb1EES11_EEDaSW_SX_EUlSW_E_NS1_11comp_targetILNS1_3genE10ELNS1_11target_archE1201ELNS1_3gpuE5ELNS1_3repE0EEENS1_30default_config_static_selectorELNS0_4arch9wavefront6targetE0EEEvT1_.private_seg_size, 0
	.set _ZN7rocprim17ROCPRIM_400000_NS6detail17trampoline_kernelINS0_14default_configENS1_27scan_by_key_config_selectorIixEEZZNS1_16scan_by_key_implILNS1_25lookback_scan_determinismE0ELb0ES3_N6thrust23THRUST_200600_302600_NS6detail15normal_iteratorINS9_10device_ptrIiEEEENSB_INSC_IxEEEESG_xNS9_4plusIvEENS9_8equal_toIvEExEE10hipError_tPvRmT2_T3_T4_T5_mT6_T7_P12ihipStream_tbENKUlT_T0_E_clISt17integral_constantIbLb1EES11_EEDaSW_SX_EUlSW_E_NS1_11comp_targetILNS1_3genE10ELNS1_11target_archE1201ELNS1_3gpuE5ELNS1_3repE0EEENS1_30default_config_static_selectorELNS0_4arch9wavefront6targetE0EEEvT1_.uses_vcc, 0
	.set _ZN7rocprim17ROCPRIM_400000_NS6detail17trampoline_kernelINS0_14default_configENS1_27scan_by_key_config_selectorIixEEZZNS1_16scan_by_key_implILNS1_25lookback_scan_determinismE0ELb0ES3_N6thrust23THRUST_200600_302600_NS6detail15normal_iteratorINS9_10device_ptrIiEEEENSB_INSC_IxEEEESG_xNS9_4plusIvEENS9_8equal_toIvEExEE10hipError_tPvRmT2_T3_T4_T5_mT6_T7_P12ihipStream_tbENKUlT_T0_E_clISt17integral_constantIbLb1EES11_EEDaSW_SX_EUlSW_E_NS1_11comp_targetILNS1_3genE10ELNS1_11target_archE1201ELNS1_3gpuE5ELNS1_3repE0EEENS1_30default_config_static_selectorELNS0_4arch9wavefront6targetE0EEEvT1_.uses_flat_scratch, 0
	.set _ZN7rocprim17ROCPRIM_400000_NS6detail17trampoline_kernelINS0_14default_configENS1_27scan_by_key_config_selectorIixEEZZNS1_16scan_by_key_implILNS1_25lookback_scan_determinismE0ELb0ES3_N6thrust23THRUST_200600_302600_NS6detail15normal_iteratorINS9_10device_ptrIiEEEENSB_INSC_IxEEEESG_xNS9_4plusIvEENS9_8equal_toIvEExEE10hipError_tPvRmT2_T3_T4_T5_mT6_T7_P12ihipStream_tbENKUlT_T0_E_clISt17integral_constantIbLb1EES11_EEDaSW_SX_EUlSW_E_NS1_11comp_targetILNS1_3genE10ELNS1_11target_archE1201ELNS1_3gpuE5ELNS1_3repE0EEENS1_30default_config_static_selectorELNS0_4arch9wavefront6targetE0EEEvT1_.has_dyn_sized_stack, 0
	.set _ZN7rocprim17ROCPRIM_400000_NS6detail17trampoline_kernelINS0_14default_configENS1_27scan_by_key_config_selectorIixEEZZNS1_16scan_by_key_implILNS1_25lookback_scan_determinismE0ELb0ES3_N6thrust23THRUST_200600_302600_NS6detail15normal_iteratorINS9_10device_ptrIiEEEENSB_INSC_IxEEEESG_xNS9_4plusIvEENS9_8equal_toIvEExEE10hipError_tPvRmT2_T3_T4_T5_mT6_T7_P12ihipStream_tbENKUlT_T0_E_clISt17integral_constantIbLb1EES11_EEDaSW_SX_EUlSW_E_NS1_11comp_targetILNS1_3genE10ELNS1_11target_archE1201ELNS1_3gpuE5ELNS1_3repE0EEENS1_30default_config_static_selectorELNS0_4arch9wavefront6targetE0EEEvT1_.has_recursion, 0
	.set _ZN7rocprim17ROCPRIM_400000_NS6detail17trampoline_kernelINS0_14default_configENS1_27scan_by_key_config_selectorIixEEZZNS1_16scan_by_key_implILNS1_25lookback_scan_determinismE0ELb0ES3_N6thrust23THRUST_200600_302600_NS6detail15normal_iteratorINS9_10device_ptrIiEEEENSB_INSC_IxEEEESG_xNS9_4plusIvEENS9_8equal_toIvEExEE10hipError_tPvRmT2_T3_T4_T5_mT6_T7_P12ihipStream_tbENKUlT_T0_E_clISt17integral_constantIbLb1EES11_EEDaSW_SX_EUlSW_E_NS1_11comp_targetILNS1_3genE10ELNS1_11target_archE1201ELNS1_3gpuE5ELNS1_3repE0EEENS1_30default_config_static_selectorELNS0_4arch9wavefront6targetE0EEEvT1_.has_indirect_call, 0
	.section	.AMDGPU.csdata,"",@progbits
; Kernel info:
; codeLenInByte = 0
; TotalNumSgprs: 0
; NumVgprs: 0
; ScratchSize: 0
; MemoryBound: 0
; FloatMode: 240
; IeeeMode: 1
; LDSByteSize: 0 bytes/workgroup (compile time only)
; SGPRBlocks: 0
; VGPRBlocks: 0
; NumSGPRsForWavesPerEU: 1
; NumVGPRsForWavesPerEU: 1
; NamedBarCnt: 0
; Occupancy: 16
; WaveLimiterHint : 0
; COMPUTE_PGM_RSRC2:SCRATCH_EN: 0
; COMPUTE_PGM_RSRC2:USER_SGPR: 2
; COMPUTE_PGM_RSRC2:TRAP_HANDLER: 0
; COMPUTE_PGM_RSRC2:TGID_X_EN: 1
; COMPUTE_PGM_RSRC2:TGID_Y_EN: 0
; COMPUTE_PGM_RSRC2:TGID_Z_EN: 0
; COMPUTE_PGM_RSRC2:TIDIG_COMP_CNT: 0
	.section	.text._ZN7rocprim17ROCPRIM_400000_NS6detail17trampoline_kernelINS0_14default_configENS1_27scan_by_key_config_selectorIixEEZZNS1_16scan_by_key_implILNS1_25lookback_scan_determinismE0ELb0ES3_N6thrust23THRUST_200600_302600_NS6detail15normal_iteratorINS9_10device_ptrIiEEEENSB_INSC_IxEEEESG_xNS9_4plusIvEENS9_8equal_toIvEExEE10hipError_tPvRmT2_T3_T4_T5_mT6_T7_P12ihipStream_tbENKUlT_T0_E_clISt17integral_constantIbLb1EES11_EEDaSW_SX_EUlSW_E_NS1_11comp_targetILNS1_3genE5ELNS1_11target_archE942ELNS1_3gpuE9ELNS1_3repE0EEENS1_30default_config_static_selectorELNS0_4arch9wavefront6targetE0EEEvT1_,"axG",@progbits,_ZN7rocprim17ROCPRIM_400000_NS6detail17trampoline_kernelINS0_14default_configENS1_27scan_by_key_config_selectorIixEEZZNS1_16scan_by_key_implILNS1_25lookback_scan_determinismE0ELb0ES3_N6thrust23THRUST_200600_302600_NS6detail15normal_iteratorINS9_10device_ptrIiEEEENSB_INSC_IxEEEESG_xNS9_4plusIvEENS9_8equal_toIvEExEE10hipError_tPvRmT2_T3_T4_T5_mT6_T7_P12ihipStream_tbENKUlT_T0_E_clISt17integral_constantIbLb1EES11_EEDaSW_SX_EUlSW_E_NS1_11comp_targetILNS1_3genE5ELNS1_11target_archE942ELNS1_3gpuE9ELNS1_3repE0EEENS1_30default_config_static_selectorELNS0_4arch9wavefront6targetE0EEEvT1_,comdat
	.protected	_ZN7rocprim17ROCPRIM_400000_NS6detail17trampoline_kernelINS0_14default_configENS1_27scan_by_key_config_selectorIixEEZZNS1_16scan_by_key_implILNS1_25lookback_scan_determinismE0ELb0ES3_N6thrust23THRUST_200600_302600_NS6detail15normal_iteratorINS9_10device_ptrIiEEEENSB_INSC_IxEEEESG_xNS9_4plusIvEENS9_8equal_toIvEExEE10hipError_tPvRmT2_T3_T4_T5_mT6_T7_P12ihipStream_tbENKUlT_T0_E_clISt17integral_constantIbLb1EES11_EEDaSW_SX_EUlSW_E_NS1_11comp_targetILNS1_3genE5ELNS1_11target_archE942ELNS1_3gpuE9ELNS1_3repE0EEENS1_30default_config_static_selectorELNS0_4arch9wavefront6targetE0EEEvT1_ ; -- Begin function _ZN7rocprim17ROCPRIM_400000_NS6detail17trampoline_kernelINS0_14default_configENS1_27scan_by_key_config_selectorIixEEZZNS1_16scan_by_key_implILNS1_25lookback_scan_determinismE0ELb0ES3_N6thrust23THRUST_200600_302600_NS6detail15normal_iteratorINS9_10device_ptrIiEEEENSB_INSC_IxEEEESG_xNS9_4plusIvEENS9_8equal_toIvEExEE10hipError_tPvRmT2_T3_T4_T5_mT6_T7_P12ihipStream_tbENKUlT_T0_E_clISt17integral_constantIbLb1EES11_EEDaSW_SX_EUlSW_E_NS1_11comp_targetILNS1_3genE5ELNS1_11target_archE942ELNS1_3gpuE9ELNS1_3repE0EEENS1_30default_config_static_selectorELNS0_4arch9wavefront6targetE0EEEvT1_
	.globl	_ZN7rocprim17ROCPRIM_400000_NS6detail17trampoline_kernelINS0_14default_configENS1_27scan_by_key_config_selectorIixEEZZNS1_16scan_by_key_implILNS1_25lookback_scan_determinismE0ELb0ES3_N6thrust23THRUST_200600_302600_NS6detail15normal_iteratorINS9_10device_ptrIiEEEENSB_INSC_IxEEEESG_xNS9_4plusIvEENS9_8equal_toIvEExEE10hipError_tPvRmT2_T3_T4_T5_mT6_T7_P12ihipStream_tbENKUlT_T0_E_clISt17integral_constantIbLb1EES11_EEDaSW_SX_EUlSW_E_NS1_11comp_targetILNS1_3genE5ELNS1_11target_archE942ELNS1_3gpuE9ELNS1_3repE0EEENS1_30default_config_static_selectorELNS0_4arch9wavefront6targetE0EEEvT1_
	.p2align	8
	.type	_ZN7rocprim17ROCPRIM_400000_NS6detail17trampoline_kernelINS0_14default_configENS1_27scan_by_key_config_selectorIixEEZZNS1_16scan_by_key_implILNS1_25lookback_scan_determinismE0ELb0ES3_N6thrust23THRUST_200600_302600_NS6detail15normal_iteratorINS9_10device_ptrIiEEEENSB_INSC_IxEEEESG_xNS9_4plusIvEENS9_8equal_toIvEExEE10hipError_tPvRmT2_T3_T4_T5_mT6_T7_P12ihipStream_tbENKUlT_T0_E_clISt17integral_constantIbLb1EES11_EEDaSW_SX_EUlSW_E_NS1_11comp_targetILNS1_3genE5ELNS1_11target_archE942ELNS1_3gpuE9ELNS1_3repE0EEENS1_30default_config_static_selectorELNS0_4arch9wavefront6targetE0EEEvT1_,@function
_ZN7rocprim17ROCPRIM_400000_NS6detail17trampoline_kernelINS0_14default_configENS1_27scan_by_key_config_selectorIixEEZZNS1_16scan_by_key_implILNS1_25lookback_scan_determinismE0ELb0ES3_N6thrust23THRUST_200600_302600_NS6detail15normal_iteratorINS9_10device_ptrIiEEEENSB_INSC_IxEEEESG_xNS9_4plusIvEENS9_8equal_toIvEExEE10hipError_tPvRmT2_T3_T4_T5_mT6_T7_P12ihipStream_tbENKUlT_T0_E_clISt17integral_constantIbLb1EES11_EEDaSW_SX_EUlSW_E_NS1_11comp_targetILNS1_3genE5ELNS1_11target_archE942ELNS1_3gpuE9ELNS1_3repE0EEENS1_30default_config_static_selectorELNS0_4arch9wavefront6targetE0EEEvT1_: ; @_ZN7rocprim17ROCPRIM_400000_NS6detail17trampoline_kernelINS0_14default_configENS1_27scan_by_key_config_selectorIixEEZZNS1_16scan_by_key_implILNS1_25lookback_scan_determinismE0ELb0ES3_N6thrust23THRUST_200600_302600_NS6detail15normal_iteratorINS9_10device_ptrIiEEEENSB_INSC_IxEEEESG_xNS9_4plusIvEENS9_8equal_toIvEExEE10hipError_tPvRmT2_T3_T4_T5_mT6_T7_P12ihipStream_tbENKUlT_T0_E_clISt17integral_constantIbLb1EES11_EEDaSW_SX_EUlSW_E_NS1_11comp_targetILNS1_3genE5ELNS1_11target_archE942ELNS1_3gpuE9ELNS1_3repE0EEENS1_30default_config_static_selectorELNS0_4arch9wavefront6targetE0EEEvT1_
; %bb.0:
	.section	.rodata,"a",@progbits
	.p2align	6, 0x0
	.amdhsa_kernel _ZN7rocprim17ROCPRIM_400000_NS6detail17trampoline_kernelINS0_14default_configENS1_27scan_by_key_config_selectorIixEEZZNS1_16scan_by_key_implILNS1_25lookback_scan_determinismE0ELb0ES3_N6thrust23THRUST_200600_302600_NS6detail15normal_iteratorINS9_10device_ptrIiEEEENSB_INSC_IxEEEESG_xNS9_4plusIvEENS9_8equal_toIvEExEE10hipError_tPvRmT2_T3_T4_T5_mT6_T7_P12ihipStream_tbENKUlT_T0_E_clISt17integral_constantIbLb1EES11_EEDaSW_SX_EUlSW_E_NS1_11comp_targetILNS1_3genE5ELNS1_11target_archE942ELNS1_3gpuE9ELNS1_3repE0EEENS1_30default_config_static_selectorELNS0_4arch9wavefront6targetE0EEEvT1_
		.amdhsa_group_segment_fixed_size 0
		.amdhsa_private_segment_fixed_size 0
		.amdhsa_kernarg_size 136
		.amdhsa_user_sgpr_count 2
		.amdhsa_user_sgpr_dispatch_ptr 0
		.amdhsa_user_sgpr_queue_ptr 0
		.amdhsa_user_sgpr_kernarg_segment_ptr 1
		.amdhsa_user_sgpr_dispatch_id 0
		.amdhsa_user_sgpr_kernarg_preload_length 0
		.amdhsa_user_sgpr_kernarg_preload_offset 0
		.amdhsa_user_sgpr_private_segment_size 0
		.amdhsa_wavefront_size32 1
		.amdhsa_uses_dynamic_stack 0
		.amdhsa_enable_private_segment 0
		.amdhsa_system_sgpr_workgroup_id_x 1
		.amdhsa_system_sgpr_workgroup_id_y 0
		.amdhsa_system_sgpr_workgroup_id_z 0
		.amdhsa_system_sgpr_workgroup_info 0
		.amdhsa_system_vgpr_workitem_id 0
		.amdhsa_next_free_vgpr 1
		.amdhsa_next_free_sgpr 1
		.amdhsa_named_barrier_count 0
		.amdhsa_reserve_vcc 0
		.amdhsa_float_round_mode_32 0
		.amdhsa_float_round_mode_16_64 0
		.amdhsa_float_denorm_mode_32 3
		.amdhsa_float_denorm_mode_16_64 3
		.amdhsa_fp16_overflow 0
		.amdhsa_memory_ordered 1
		.amdhsa_forward_progress 1
		.amdhsa_inst_pref_size 0
		.amdhsa_round_robin_scheduling 0
		.amdhsa_exception_fp_ieee_invalid_op 0
		.amdhsa_exception_fp_denorm_src 0
		.amdhsa_exception_fp_ieee_div_zero 0
		.amdhsa_exception_fp_ieee_overflow 0
		.amdhsa_exception_fp_ieee_underflow 0
		.amdhsa_exception_fp_ieee_inexact 0
		.amdhsa_exception_int_div_zero 0
	.end_amdhsa_kernel
	.section	.text._ZN7rocprim17ROCPRIM_400000_NS6detail17trampoline_kernelINS0_14default_configENS1_27scan_by_key_config_selectorIixEEZZNS1_16scan_by_key_implILNS1_25lookback_scan_determinismE0ELb0ES3_N6thrust23THRUST_200600_302600_NS6detail15normal_iteratorINS9_10device_ptrIiEEEENSB_INSC_IxEEEESG_xNS9_4plusIvEENS9_8equal_toIvEExEE10hipError_tPvRmT2_T3_T4_T5_mT6_T7_P12ihipStream_tbENKUlT_T0_E_clISt17integral_constantIbLb1EES11_EEDaSW_SX_EUlSW_E_NS1_11comp_targetILNS1_3genE5ELNS1_11target_archE942ELNS1_3gpuE9ELNS1_3repE0EEENS1_30default_config_static_selectorELNS0_4arch9wavefront6targetE0EEEvT1_,"axG",@progbits,_ZN7rocprim17ROCPRIM_400000_NS6detail17trampoline_kernelINS0_14default_configENS1_27scan_by_key_config_selectorIixEEZZNS1_16scan_by_key_implILNS1_25lookback_scan_determinismE0ELb0ES3_N6thrust23THRUST_200600_302600_NS6detail15normal_iteratorINS9_10device_ptrIiEEEENSB_INSC_IxEEEESG_xNS9_4plusIvEENS9_8equal_toIvEExEE10hipError_tPvRmT2_T3_T4_T5_mT6_T7_P12ihipStream_tbENKUlT_T0_E_clISt17integral_constantIbLb1EES11_EEDaSW_SX_EUlSW_E_NS1_11comp_targetILNS1_3genE5ELNS1_11target_archE942ELNS1_3gpuE9ELNS1_3repE0EEENS1_30default_config_static_selectorELNS0_4arch9wavefront6targetE0EEEvT1_,comdat
.Lfunc_end1323:
	.size	_ZN7rocprim17ROCPRIM_400000_NS6detail17trampoline_kernelINS0_14default_configENS1_27scan_by_key_config_selectorIixEEZZNS1_16scan_by_key_implILNS1_25lookback_scan_determinismE0ELb0ES3_N6thrust23THRUST_200600_302600_NS6detail15normal_iteratorINS9_10device_ptrIiEEEENSB_INSC_IxEEEESG_xNS9_4plusIvEENS9_8equal_toIvEExEE10hipError_tPvRmT2_T3_T4_T5_mT6_T7_P12ihipStream_tbENKUlT_T0_E_clISt17integral_constantIbLb1EES11_EEDaSW_SX_EUlSW_E_NS1_11comp_targetILNS1_3genE5ELNS1_11target_archE942ELNS1_3gpuE9ELNS1_3repE0EEENS1_30default_config_static_selectorELNS0_4arch9wavefront6targetE0EEEvT1_, .Lfunc_end1323-_ZN7rocprim17ROCPRIM_400000_NS6detail17trampoline_kernelINS0_14default_configENS1_27scan_by_key_config_selectorIixEEZZNS1_16scan_by_key_implILNS1_25lookback_scan_determinismE0ELb0ES3_N6thrust23THRUST_200600_302600_NS6detail15normal_iteratorINS9_10device_ptrIiEEEENSB_INSC_IxEEEESG_xNS9_4plusIvEENS9_8equal_toIvEExEE10hipError_tPvRmT2_T3_T4_T5_mT6_T7_P12ihipStream_tbENKUlT_T0_E_clISt17integral_constantIbLb1EES11_EEDaSW_SX_EUlSW_E_NS1_11comp_targetILNS1_3genE5ELNS1_11target_archE942ELNS1_3gpuE9ELNS1_3repE0EEENS1_30default_config_static_selectorELNS0_4arch9wavefront6targetE0EEEvT1_
                                        ; -- End function
	.set _ZN7rocprim17ROCPRIM_400000_NS6detail17trampoline_kernelINS0_14default_configENS1_27scan_by_key_config_selectorIixEEZZNS1_16scan_by_key_implILNS1_25lookback_scan_determinismE0ELb0ES3_N6thrust23THRUST_200600_302600_NS6detail15normal_iteratorINS9_10device_ptrIiEEEENSB_INSC_IxEEEESG_xNS9_4plusIvEENS9_8equal_toIvEExEE10hipError_tPvRmT2_T3_T4_T5_mT6_T7_P12ihipStream_tbENKUlT_T0_E_clISt17integral_constantIbLb1EES11_EEDaSW_SX_EUlSW_E_NS1_11comp_targetILNS1_3genE5ELNS1_11target_archE942ELNS1_3gpuE9ELNS1_3repE0EEENS1_30default_config_static_selectorELNS0_4arch9wavefront6targetE0EEEvT1_.num_vgpr, 0
	.set _ZN7rocprim17ROCPRIM_400000_NS6detail17trampoline_kernelINS0_14default_configENS1_27scan_by_key_config_selectorIixEEZZNS1_16scan_by_key_implILNS1_25lookback_scan_determinismE0ELb0ES3_N6thrust23THRUST_200600_302600_NS6detail15normal_iteratorINS9_10device_ptrIiEEEENSB_INSC_IxEEEESG_xNS9_4plusIvEENS9_8equal_toIvEExEE10hipError_tPvRmT2_T3_T4_T5_mT6_T7_P12ihipStream_tbENKUlT_T0_E_clISt17integral_constantIbLb1EES11_EEDaSW_SX_EUlSW_E_NS1_11comp_targetILNS1_3genE5ELNS1_11target_archE942ELNS1_3gpuE9ELNS1_3repE0EEENS1_30default_config_static_selectorELNS0_4arch9wavefront6targetE0EEEvT1_.num_agpr, 0
	.set _ZN7rocprim17ROCPRIM_400000_NS6detail17trampoline_kernelINS0_14default_configENS1_27scan_by_key_config_selectorIixEEZZNS1_16scan_by_key_implILNS1_25lookback_scan_determinismE0ELb0ES3_N6thrust23THRUST_200600_302600_NS6detail15normal_iteratorINS9_10device_ptrIiEEEENSB_INSC_IxEEEESG_xNS9_4plusIvEENS9_8equal_toIvEExEE10hipError_tPvRmT2_T3_T4_T5_mT6_T7_P12ihipStream_tbENKUlT_T0_E_clISt17integral_constantIbLb1EES11_EEDaSW_SX_EUlSW_E_NS1_11comp_targetILNS1_3genE5ELNS1_11target_archE942ELNS1_3gpuE9ELNS1_3repE0EEENS1_30default_config_static_selectorELNS0_4arch9wavefront6targetE0EEEvT1_.numbered_sgpr, 0
	.set _ZN7rocprim17ROCPRIM_400000_NS6detail17trampoline_kernelINS0_14default_configENS1_27scan_by_key_config_selectorIixEEZZNS1_16scan_by_key_implILNS1_25lookback_scan_determinismE0ELb0ES3_N6thrust23THRUST_200600_302600_NS6detail15normal_iteratorINS9_10device_ptrIiEEEENSB_INSC_IxEEEESG_xNS9_4plusIvEENS9_8equal_toIvEExEE10hipError_tPvRmT2_T3_T4_T5_mT6_T7_P12ihipStream_tbENKUlT_T0_E_clISt17integral_constantIbLb1EES11_EEDaSW_SX_EUlSW_E_NS1_11comp_targetILNS1_3genE5ELNS1_11target_archE942ELNS1_3gpuE9ELNS1_3repE0EEENS1_30default_config_static_selectorELNS0_4arch9wavefront6targetE0EEEvT1_.num_named_barrier, 0
	.set _ZN7rocprim17ROCPRIM_400000_NS6detail17trampoline_kernelINS0_14default_configENS1_27scan_by_key_config_selectorIixEEZZNS1_16scan_by_key_implILNS1_25lookback_scan_determinismE0ELb0ES3_N6thrust23THRUST_200600_302600_NS6detail15normal_iteratorINS9_10device_ptrIiEEEENSB_INSC_IxEEEESG_xNS9_4plusIvEENS9_8equal_toIvEExEE10hipError_tPvRmT2_T3_T4_T5_mT6_T7_P12ihipStream_tbENKUlT_T0_E_clISt17integral_constantIbLb1EES11_EEDaSW_SX_EUlSW_E_NS1_11comp_targetILNS1_3genE5ELNS1_11target_archE942ELNS1_3gpuE9ELNS1_3repE0EEENS1_30default_config_static_selectorELNS0_4arch9wavefront6targetE0EEEvT1_.private_seg_size, 0
	.set _ZN7rocprim17ROCPRIM_400000_NS6detail17trampoline_kernelINS0_14default_configENS1_27scan_by_key_config_selectorIixEEZZNS1_16scan_by_key_implILNS1_25lookback_scan_determinismE0ELb0ES3_N6thrust23THRUST_200600_302600_NS6detail15normal_iteratorINS9_10device_ptrIiEEEENSB_INSC_IxEEEESG_xNS9_4plusIvEENS9_8equal_toIvEExEE10hipError_tPvRmT2_T3_T4_T5_mT6_T7_P12ihipStream_tbENKUlT_T0_E_clISt17integral_constantIbLb1EES11_EEDaSW_SX_EUlSW_E_NS1_11comp_targetILNS1_3genE5ELNS1_11target_archE942ELNS1_3gpuE9ELNS1_3repE0EEENS1_30default_config_static_selectorELNS0_4arch9wavefront6targetE0EEEvT1_.uses_vcc, 0
	.set _ZN7rocprim17ROCPRIM_400000_NS6detail17trampoline_kernelINS0_14default_configENS1_27scan_by_key_config_selectorIixEEZZNS1_16scan_by_key_implILNS1_25lookback_scan_determinismE0ELb0ES3_N6thrust23THRUST_200600_302600_NS6detail15normal_iteratorINS9_10device_ptrIiEEEENSB_INSC_IxEEEESG_xNS9_4plusIvEENS9_8equal_toIvEExEE10hipError_tPvRmT2_T3_T4_T5_mT6_T7_P12ihipStream_tbENKUlT_T0_E_clISt17integral_constantIbLb1EES11_EEDaSW_SX_EUlSW_E_NS1_11comp_targetILNS1_3genE5ELNS1_11target_archE942ELNS1_3gpuE9ELNS1_3repE0EEENS1_30default_config_static_selectorELNS0_4arch9wavefront6targetE0EEEvT1_.uses_flat_scratch, 0
	.set _ZN7rocprim17ROCPRIM_400000_NS6detail17trampoline_kernelINS0_14default_configENS1_27scan_by_key_config_selectorIixEEZZNS1_16scan_by_key_implILNS1_25lookback_scan_determinismE0ELb0ES3_N6thrust23THRUST_200600_302600_NS6detail15normal_iteratorINS9_10device_ptrIiEEEENSB_INSC_IxEEEESG_xNS9_4plusIvEENS9_8equal_toIvEExEE10hipError_tPvRmT2_T3_T4_T5_mT6_T7_P12ihipStream_tbENKUlT_T0_E_clISt17integral_constantIbLb1EES11_EEDaSW_SX_EUlSW_E_NS1_11comp_targetILNS1_3genE5ELNS1_11target_archE942ELNS1_3gpuE9ELNS1_3repE0EEENS1_30default_config_static_selectorELNS0_4arch9wavefront6targetE0EEEvT1_.has_dyn_sized_stack, 0
	.set _ZN7rocprim17ROCPRIM_400000_NS6detail17trampoline_kernelINS0_14default_configENS1_27scan_by_key_config_selectorIixEEZZNS1_16scan_by_key_implILNS1_25lookback_scan_determinismE0ELb0ES3_N6thrust23THRUST_200600_302600_NS6detail15normal_iteratorINS9_10device_ptrIiEEEENSB_INSC_IxEEEESG_xNS9_4plusIvEENS9_8equal_toIvEExEE10hipError_tPvRmT2_T3_T4_T5_mT6_T7_P12ihipStream_tbENKUlT_T0_E_clISt17integral_constantIbLb1EES11_EEDaSW_SX_EUlSW_E_NS1_11comp_targetILNS1_3genE5ELNS1_11target_archE942ELNS1_3gpuE9ELNS1_3repE0EEENS1_30default_config_static_selectorELNS0_4arch9wavefront6targetE0EEEvT1_.has_recursion, 0
	.set _ZN7rocprim17ROCPRIM_400000_NS6detail17trampoline_kernelINS0_14default_configENS1_27scan_by_key_config_selectorIixEEZZNS1_16scan_by_key_implILNS1_25lookback_scan_determinismE0ELb0ES3_N6thrust23THRUST_200600_302600_NS6detail15normal_iteratorINS9_10device_ptrIiEEEENSB_INSC_IxEEEESG_xNS9_4plusIvEENS9_8equal_toIvEExEE10hipError_tPvRmT2_T3_T4_T5_mT6_T7_P12ihipStream_tbENKUlT_T0_E_clISt17integral_constantIbLb1EES11_EEDaSW_SX_EUlSW_E_NS1_11comp_targetILNS1_3genE5ELNS1_11target_archE942ELNS1_3gpuE9ELNS1_3repE0EEENS1_30default_config_static_selectorELNS0_4arch9wavefront6targetE0EEEvT1_.has_indirect_call, 0
	.section	.AMDGPU.csdata,"",@progbits
; Kernel info:
; codeLenInByte = 0
; TotalNumSgprs: 0
; NumVgprs: 0
; ScratchSize: 0
; MemoryBound: 0
; FloatMode: 240
; IeeeMode: 1
; LDSByteSize: 0 bytes/workgroup (compile time only)
; SGPRBlocks: 0
; VGPRBlocks: 0
; NumSGPRsForWavesPerEU: 1
; NumVGPRsForWavesPerEU: 1
; NamedBarCnt: 0
; Occupancy: 16
; WaveLimiterHint : 0
; COMPUTE_PGM_RSRC2:SCRATCH_EN: 0
; COMPUTE_PGM_RSRC2:USER_SGPR: 2
; COMPUTE_PGM_RSRC2:TRAP_HANDLER: 0
; COMPUTE_PGM_RSRC2:TGID_X_EN: 1
; COMPUTE_PGM_RSRC2:TGID_Y_EN: 0
; COMPUTE_PGM_RSRC2:TGID_Z_EN: 0
; COMPUTE_PGM_RSRC2:TIDIG_COMP_CNT: 0
	.section	.text._ZN7rocprim17ROCPRIM_400000_NS6detail17trampoline_kernelINS0_14default_configENS1_27scan_by_key_config_selectorIixEEZZNS1_16scan_by_key_implILNS1_25lookback_scan_determinismE0ELb0ES3_N6thrust23THRUST_200600_302600_NS6detail15normal_iteratorINS9_10device_ptrIiEEEENSB_INSC_IxEEEESG_xNS9_4plusIvEENS9_8equal_toIvEExEE10hipError_tPvRmT2_T3_T4_T5_mT6_T7_P12ihipStream_tbENKUlT_T0_E_clISt17integral_constantIbLb1EES11_EEDaSW_SX_EUlSW_E_NS1_11comp_targetILNS1_3genE4ELNS1_11target_archE910ELNS1_3gpuE8ELNS1_3repE0EEENS1_30default_config_static_selectorELNS0_4arch9wavefront6targetE0EEEvT1_,"axG",@progbits,_ZN7rocprim17ROCPRIM_400000_NS6detail17trampoline_kernelINS0_14default_configENS1_27scan_by_key_config_selectorIixEEZZNS1_16scan_by_key_implILNS1_25lookback_scan_determinismE0ELb0ES3_N6thrust23THRUST_200600_302600_NS6detail15normal_iteratorINS9_10device_ptrIiEEEENSB_INSC_IxEEEESG_xNS9_4plusIvEENS9_8equal_toIvEExEE10hipError_tPvRmT2_T3_T4_T5_mT6_T7_P12ihipStream_tbENKUlT_T0_E_clISt17integral_constantIbLb1EES11_EEDaSW_SX_EUlSW_E_NS1_11comp_targetILNS1_3genE4ELNS1_11target_archE910ELNS1_3gpuE8ELNS1_3repE0EEENS1_30default_config_static_selectorELNS0_4arch9wavefront6targetE0EEEvT1_,comdat
	.protected	_ZN7rocprim17ROCPRIM_400000_NS6detail17trampoline_kernelINS0_14default_configENS1_27scan_by_key_config_selectorIixEEZZNS1_16scan_by_key_implILNS1_25lookback_scan_determinismE0ELb0ES3_N6thrust23THRUST_200600_302600_NS6detail15normal_iteratorINS9_10device_ptrIiEEEENSB_INSC_IxEEEESG_xNS9_4plusIvEENS9_8equal_toIvEExEE10hipError_tPvRmT2_T3_T4_T5_mT6_T7_P12ihipStream_tbENKUlT_T0_E_clISt17integral_constantIbLb1EES11_EEDaSW_SX_EUlSW_E_NS1_11comp_targetILNS1_3genE4ELNS1_11target_archE910ELNS1_3gpuE8ELNS1_3repE0EEENS1_30default_config_static_selectorELNS0_4arch9wavefront6targetE0EEEvT1_ ; -- Begin function _ZN7rocprim17ROCPRIM_400000_NS6detail17trampoline_kernelINS0_14default_configENS1_27scan_by_key_config_selectorIixEEZZNS1_16scan_by_key_implILNS1_25lookback_scan_determinismE0ELb0ES3_N6thrust23THRUST_200600_302600_NS6detail15normal_iteratorINS9_10device_ptrIiEEEENSB_INSC_IxEEEESG_xNS9_4plusIvEENS9_8equal_toIvEExEE10hipError_tPvRmT2_T3_T4_T5_mT6_T7_P12ihipStream_tbENKUlT_T0_E_clISt17integral_constantIbLb1EES11_EEDaSW_SX_EUlSW_E_NS1_11comp_targetILNS1_3genE4ELNS1_11target_archE910ELNS1_3gpuE8ELNS1_3repE0EEENS1_30default_config_static_selectorELNS0_4arch9wavefront6targetE0EEEvT1_
	.globl	_ZN7rocprim17ROCPRIM_400000_NS6detail17trampoline_kernelINS0_14default_configENS1_27scan_by_key_config_selectorIixEEZZNS1_16scan_by_key_implILNS1_25lookback_scan_determinismE0ELb0ES3_N6thrust23THRUST_200600_302600_NS6detail15normal_iteratorINS9_10device_ptrIiEEEENSB_INSC_IxEEEESG_xNS9_4plusIvEENS9_8equal_toIvEExEE10hipError_tPvRmT2_T3_T4_T5_mT6_T7_P12ihipStream_tbENKUlT_T0_E_clISt17integral_constantIbLb1EES11_EEDaSW_SX_EUlSW_E_NS1_11comp_targetILNS1_3genE4ELNS1_11target_archE910ELNS1_3gpuE8ELNS1_3repE0EEENS1_30default_config_static_selectorELNS0_4arch9wavefront6targetE0EEEvT1_
	.p2align	8
	.type	_ZN7rocprim17ROCPRIM_400000_NS6detail17trampoline_kernelINS0_14default_configENS1_27scan_by_key_config_selectorIixEEZZNS1_16scan_by_key_implILNS1_25lookback_scan_determinismE0ELb0ES3_N6thrust23THRUST_200600_302600_NS6detail15normal_iteratorINS9_10device_ptrIiEEEENSB_INSC_IxEEEESG_xNS9_4plusIvEENS9_8equal_toIvEExEE10hipError_tPvRmT2_T3_T4_T5_mT6_T7_P12ihipStream_tbENKUlT_T0_E_clISt17integral_constantIbLb1EES11_EEDaSW_SX_EUlSW_E_NS1_11comp_targetILNS1_3genE4ELNS1_11target_archE910ELNS1_3gpuE8ELNS1_3repE0EEENS1_30default_config_static_selectorELNS0_4arch9wavefront6targetE0EEEvT1_,@function
_ZN7rocprim17ROCPRIM_400000_NS6detail17trampoline_kernelINS0_14default_configENS1_27scan_by_key_config_selectorIixEEZZNS1_16scan_by_key_implILNS1_25lookback_scan_determinismE0ELb0ES3_N6thrust23THRUST_200600_302600_NS6detail15normal_iteratorINS9_10device_ptrIiEEEENSB_INSC_IxEEEESG_xNS9_4plusIvEENS9_8equal_toIvEExEE10hipError_tPvRmT2_T3_T4_T5_mT6_T7_P12ihipStream_tbENKUlT_T0_E_clISt17integral_constantIbLb1EES11_EEDaSW_SX_EUlSW_E_NS1_11comp_targetILNS1_3genE4ELNS1_11target_archE910ELNS1_3gpuE8ELNS1_3repE0EEENS1_30default_config_static_selectorELNS0_4arch9wavefront6targetE0EEEvT1_: ; @_ZN7rocprim17ROCPRIM_400000_NS6detail17trampoline_kernelINS0_14default_configENS1_27scan_by_key_config_selectorIixEEZZNS1_16scan_by_key_implILNS1_25lookback_scan_determinismE0ELb0ES3_N6thrust23THRUST_200600_302600_NS6detail15normal_iteratorINS9_10device_ptrIiEEEENSB_INSC_IxEEEESG_xNS9_4plusIvEENS9_8equal_toIvEExEE10hipError_tPvRmT2_T3_T4_T5_mT6_T7_P12ihipStream_tbENKUlT_T0_E_clISt17integral_constantIbLb1EES11_EEDaSW_SX_EUlSW_E_NS1_11comp_targetILNS1_3genE4ELNS1_11target_archE910ELNS1_3gpuE8ELNS1_3repE0EEENS1_30default_config_static_selectorELNS0_4arch9wavefront6targetE0EEEvT1_
; %bb.0:
	.section	.rodata,"a",@progbits
	.p2align	6, 0x0
	.amdhsa_kernel _ZN7rocprim17ROCPRIM_400000_NS6detail17trampoline_kernelINS0_14default_configENS1_27scan_by_key_config_selectorIixEEZZNS1_16scan_by_key_implILNS1_25lookback_scan_determinismE0ELb0ES3_N6thrust23THRUST_200600_302600_NS6detail15normal_iteratorINS9_10device_ptrIiEEEENSB_INSC_IxEEEESG_xNS9_4plusIvEENS9_8equal_toIvEExEE10hipError_tPvRmT2_T3_T4_T5_mT6_T7_P12ihipStream_tbENKUlT_T0_E_clISt17integral_constantIbLb1EES11_EEDaSW_SX_EUlSW_E_NS1_11comp_targetILNS1_3genE4ELNS1_11target_archE910ELNS1_3gpuE8ELNS1_3repE0EEENS1_30default_config_static_selectorELNS0_4arch9wavefront6targetE0EEEvT1_
		.amdhsa_group_segment_fixed_size 0
		.amdhsa_private_segment_fixed_size 0
		.amdhsa_kernarg_size 136
		.amdhsa_user_sgpr_count 2
		.amdhsa_user_sgpr_dispatch_ptr 0
		.amdhsa_user_sgpr_queue_ptr 0
		.amdhsa_user_sgpr_kernarg_segment_ptr 1
		.amdhsa_user_sgpr_dispatch_id 0
		.amdhsa_user_sgpr_kernarg_preload_length 0
		.amdhsa_user_sgpr_kernarg_preload_offset 0
		.amdhsa_user_sgpr_private_segment_size 0
		.amdhsa_wavefront_size32 1
		.amdhsa_uses_dynamic_stack 0
		.amdhsa_enable_private_segment 0
		.amdhsa_system_sgpr_workgroup_id_x 1
		.amdhsa_system_sgpr_workgroup_id_y 0
		.amdhsa_system_sgpr_workgroup_id_z 0
		.amdhsa_system_sgpr_workgroup_info 0
		.amdhsa_system_vgpr_workitem_id 0
		.amdhsa_next_free_vgpr 1
		.amdhsa_next_free_sgpr 1
		.amdhsa_named_barrier_count 0
		.amdhsa_reserve_vcc 0
		.amdhsa_float_round_mode_32 0
		.amdhsa_float_round_mode_16_64 0
		.amdhsa_float_denorm_mode_32 3
		.amdhsa_float_denorm_mode_16_64 3
		.amdhsa_fp16_overflow 0
		.amdhsa_memory_ordered 1
		.amdhsa_forward_progress 1
		.amdhsa_inst_pref_size 0
		.amdhsa_round_robin_scheduling 0
		.amdhsa_exception_fp_ieee_invalid_op 0
		.amdhsa_exception_fp_denorm_src 0
		.amdhsa_exception_fp_ieee_div_zero 0
		.amdhsa_exception_fp_ieee_overflow 0
		.amdhsa_exception_fp_ieee_underflow 0
		.amdhsa_exception_fp_ieee_inexact 0
		.amdhsa_exception_int_div_zero 0
	.end_amdhsa_kernel
	.section	.text._ZN7rocprim17ROCPRIM_400000_NS6detail17trampoline_kernelINS0_14default_configENS1_27scan_by_key_config_selectorIixEEZZNS1_16scan_by_key_implILNS1_25lookback_scan_determinismE0ELb0ES3_N6thrust23THRUST_200600_302600_NS6detail15normal_iteratorINS9_10device_ptrIiEEEENSB_INSC_IxEEEESG_xNS9_4plusIvEENS9_8equal_toIvEExEE10hipError_tPvRmT2_T3_T4_T5_mT6_T7_P12ihipStream_tbENKUlT_T0_E_clISt17integral_constantIbLb1EES11_EEDaSW_SX_EUlSW_E_NS1_11comp_targetILNS1_3genE4ELNS1_11target_archE910ELNS1_3gpuE8ELNS1_3repE0EEENS1_30default_config_static_selectorELNS0_4arch9wavefront6targetE0EEEvT1_,"axG",@progbits,_ZN7rocprim17ROCPRIM_400000_NS6detail17trampoline_kernelINS0_14default_configENS1_27scan_by_key_config_selectorIixEEZZNS1_16scan_by_key_implILNS1_25lookback_scan_determinismE0ELb0ES3_N6thrust23THRUST_200600_302600_NS6detail15normal_iteratorINS9_10device_ptrIiEEEENSB_INSC_IxEEEESG_xNS9_4plusIvEENS9_8equal_toIvEExEE10hipError_tPvRmT2_T3_T4_T5_mT6_T7_P12ihipStream_tbENKUlT_T0_E_clISt17integral_constantIbLb1EES11_EEDaSW_SX_EUlSW_E_NS1_11comp_targetILNS1_3genE4ELNS1_11target_archE910ELNS1_3gpuE8ELNS1_3repE0EEENS1_30default_config_static_selectorELNS0_4arch9wavefront6targetE0EEEvT1_,comdat
.Lfunc_end1324:
	.size	_ZN7rocprim17ROCPRIM_400000_NS6detail17trampoline_kernelINS0_14default_configENS1_27scan_by_key_config_selectorIixEEZZNS1_16scan_by_key_implILNS1_25lookback_scan_determinismE0ELb0ES3_N6thrust23THRUST_200600_302600_NS6detail15normal_iteratorINS9_10device_ptrIiEEEENSB_INSC_IxEEEESG_xNS9_4plusIvEENS9_8equal_toIvEExEE10hipError_tPvRmT2_T3_T4_T5_mT6_T7_P12ihipStream_tbENKUlT_T0_E_clISt17integral_constantIbLb1EES11_EEDaSW_SX_EUlSW_E_NS1_11comp_targetILNS1_3genE4ELNS1_11target_archE910ELNS1_3gpuE8ELNS1_3repE0EEENS1_30default_config_static_selectorELNS0_4arch9wavefront6targetE0EEEvT1_, .Lfunc_end1324-_ZN7rocprim17ROCPRIM_400000_NS6detail17trampoline_kernelINS0_14default_configENS1_27scan_by_key_config_selectorIixEEZZNS1_16scan_by_key_implILNS1_25lookback_scan_determinismE0ELb0ES3_N6thrust23THRUST_200600_302600_NS6detail15normal_iteratorINS9_10device_ptrIiEEEENSB_INSC_IxEEEESG_xNS9_4plusIvEENS9_8equal_toIvEExEE10hipError_tPvRmT2_T3_T4_T5_mT6_T7_P12ihipStream_tbENKUlT_T0_E_clISt17integral_constantIbLb1EES11_EEDaSW_SX_EUlSW_E_NS1_11comp_targetILNS1_3genE4ELNS1_11target_archE910ELNS1_3gpuE8ELNS1_3repE0EEENS1_30default_config_static_selectorELNS0_4arch9wavefront6targetE0EEEvT1_
                                        ; -- End function
	.set _ZN7rocprim17ROCPRIM_400000_NS6detail17trampoline_kernelINS0_14default_configENS1_27scan_by_key_config_selectorIixEEZZNS1_16scan_by_key_implILNS1_25lookback_scan_determinismE0ELb0ES3_N6thrust23THRUST_200600_302600_NS6detail15normal_iteratorINS9_10device_ptrIiEEEENSB_INSC_IxEEEESG_xNS9_4plusIvEENS9_8equal_toIvEExEE10hipError_tPvRmT2_T3_T4_T5_mT6_T7_P12ihipStream_tbENKUlT_T0_E_clISt17integral_constantIbLb1EES11_EEDaSW_SX_EUlSW_E_NS1_11comp_targetILNS1_3genE4ELNS1_11target_archE910ELNS1_3gpuE8ELNS1_3repE0EEENS1_30default_config_static_selectorELNS0_4arch9wavefront6targetE0EEEvT1_.num_vgpr, 0
	.set _ZN7rocprim17ROCPRIM_400000_NS6detail17trampoline_kernelINS0_14default_configENS1_27scan_by_key_config_selectorIixEEZZNS1_16scan_by_key_implILNS1_25lookback_scan_determinismE0ELb0ES3_N6thrust23THRUST_200600_302600_NS6detail15normal_iteratorINS9_10device_ptrIiEEEENSB_INSC_IxEEEESG_xNS9_4plusIvEENS9_8equal_toIvEExEE10hipError_tPvRmT2_T3_T4_T5_mT6_T7_P12ihipStream_tbENKUlT_T0_E_clISt17integral_constantIbLb1EES11_EEDaSW_SX_EUlSW_E_NS1_11comp_targetILNS1_3genE4ELNS1_11target_archE910ELNS1_3gpuE8ELNS1_3repE0EEENS1_30default_config_static_selectorELNS0_4arch9wavefront6targetE0EEEvT1_.num_agpr, 0
	.set _ZN7rocprim17ROCPRIM_400000_NS6detail17trampoline_kernelINS0_14default_configENS1_27scan_by_key_config_selectorIixEEZZNS1_16scan_by_key_implILNS1_25lookback_scan_determinismE0ELb0ES3_N6thrust23THRUST_200600_302600_NS6detail15normal_iteratorINS9_10device_ptrIiEEEENSB_INSC_IxEEEESG_xNS9_4plusIvEENS9_8equal_toIvEExEE10hipError_tPvRmT2_T3_T4_T5_mT6_T7_P12ihipStream_tbENKUlT_T0_E_clISt17integral_constantIbLb1EES11_EEDaSW_SX_EUlSW_E_NS1_11comp_targetILNS1_3genE4ELNS1_11target_archE910ELNS1_3gpuE8ELNS1_3repE0EEENS1_30default_config_static_selectorELNS0_4arch9wavefront6targetE0EEEvT1_.numbered_sgpr, 0
	.set _ZN7rocprim17ROCPRIM_400000_NS6detail17trampoline_kernelINS0_14default_configENS1_27scan_by_key_config_selectorIixEEZZNS1_16scan_by_key_implILNS1_25lookback_scan_determinismE0ELb0ES3_N6thrust23THRUST_200600_302600_NS6detail15normal_iteratorINS9_10device_ptrIiEEEENSB_INSC_IxEEEESG_xNS9_4plusIvEENS9_8equal_toIvEExEE10hipError_tPvRmT2_T3_T4_T5_mT6_T7_P12ihipStream_tbENKUlT_T0_E_clISt17integral_constantIbLb1EES11_EEDaSW_SX_EUlSW_E_NS1_11comp_targetILNS1_3genE4ELNS1_11target_archE910ELNS1_3gpuE8ELNS1_3repE0EEENS1_30default_config_static_selectorELNS0_4arch9wavefront6targetE0EEEvT1_.num_named_barrier, 0
	.set _ZN7rocprim17ROCPRIM_400000_NS6detail17trampoline_kernelINS0_14default_configENS1_27scan_by_key_config_selectorIixEEZZNS1_16scan_by_key_implILNS1_25lookback_scan_determinismE0ELb0ES3_N6thrust23THRUST_200600_302600_NS6detail15normal_iteratorINS9_10device_ptrIiEEEENSB_INSC_IxEEEESG_xNS9_4plusIvEENS9_8equal_toIvEExEE10hipError_tPvRmT2_T3_T4_T5_mT6_T7_P12ihipStream_tbENKUlT_T0_E_clISt17integral_constantIbLb1EES11_EEDaSW_SX_EUlSW_E_NS1_11comp_targetILNS1_3genE4ELNS1_11target_archE910ELNS1_3gpuE8ELNS1_3repE0EEENS1_30default_config_static_selectorELNS0_4arch9wavefront6targetE0EEEvT1_.private_seg_size, 0
	.set _ZN7rocprim17ROCPRIM_400000_NS6detail17trampoline_kernelINS0_14default_configENS1_27scan_by_key_config_selectorIixEEZZNS1_16scan_by_key_implILNS1_25lookback_scan_determinismE0ELb0ES3_N6thrust23THRUST_200600_302600_NS6detail15normal_iteratorINS9_10device_ptrIiEEEENSB_INSC_IxEEEESG_xNS9_4plusIvEENS9_8equal_toIvEExEE10hipError_tPvRmT2_T3_T4_T5_mT6_T7_P12ihipStream_tbENKUlT_T0_E_clISt17integral_constantIbLb1EES11_EEDaSW_SX_EUlSW_E_NS1_11comp_targetILNS1_3genE4ELNS1_11target_archE910ELNS1_3gpuE8ELNS1_3repE0EEENS1_30default_config_static_selectorELNS0_4arch9wavefront6targetE0EEEvT1_.uses_vcc, 0
	.set _ZN7rocprim17ROCPRIM_400000_NS6detail17trampoline_kernelINS0_14default_configENS1_27scan_by_key_config_selectorIixEEZZNS1_16scan_by_key_implILNS1_25lookback_scan_determinismE0ELb0ES3_N6thrust23THRUST_200600_302600_NS6detail15normal_iteratorINS9_10device_ptrIiEEEENSB_INSC_IxEEEESG_xNS9_4plusIvEENS9_8equal_toIvEExEE10hipError_tPvRmT2_T3_T4_T5_mT6_T7_P12ihipStream_tbENKUlT_T0_E_clISt17integral_constantIbLb1EES11_EEDaSW_SX_EUlSW_E_NS1_11comp_targetILNS1_3genE4ELNS1_11target_archE910ELNS1_3gpuE8ELNS1_3repE0EEENS1_30default_config_static_selectorELNS0_4arch9wavefront6targetE0EEEvT1_.uses_flat_scratch, 0
	.set _ZN7rocprim17ROCPRIM_400000_NS6detail17trampoline_kernelINS0_14default_configENS1_27scan_by_key_config_selectorIixEEZZNS1_16scan_by_key_implILNS1_25lookback_scan_determinismE0ELb0ES3_N6thrust23THRUST_200600_302600_NS6detail15normal_iteratorINS9_10device_ptrIiEEEENSB_INSC_IxEEEESG_xNS9_4plusIvEENS9_8equal_toIvEExEE10hipError_tPvRmT2_T3_T4_T5_mT6_T7_P12ihipStream_tbENKUlT_T0_E_clISt17integral_constantIbLb1EES11_EEDaSW_SX_EUlSW_E_NS1_11comp_targetILNS1_3genE4ELNS1_11target_archE910ELNS1_3gpuE8ELNS1_3repE0EEENS1_30default_config_static_selectorELNS0_4arch9wavefront6targetE0EEEvT1_.has_dyn_sized_stack, 0
	.set _ZN7rocprim17ROCPRIM_400000_NS6detail17trampoline_kernelINS0_14default_configENS1_27scan_by_key_config_selectorIixEEZZNS1_16scan_by_key_implILNS1_25lookback_scan_determinismE0ELb0ES3_N6thrust23THRUST_200600_302600_NS6detail15normal_iteratorINS9_10device_ptrIiEEEENSB_INSC_IxEEEESG_xNS9_4plusIvEENS9_8equal_toIvEExEE10hipError_tPvRmT2_T3_T4_T5_mT6_T7_P12ihipStream_tbENKUlT_T0_E_clISt17integral_constantIbLb1EES11_EEDaSW_SX_EUlSW_E_NS1_11comp_targetILNS1_3genE4ELNS1_11target_archE910ELNS1_3gpuE8ELNS1_3repE0EEENS1_30default_config_static_selectorELNS0_4arch9wavefront6targetE0EEEvT1_.has_recursion, 0
	.set _ZN7rocprim17ROCPRIM_400000_NS6detail17trampoline_kernelINS0_14default_configENS1_27scan_by_key_config_selectorIixEEZZNS1_16scan_by_key_implILNS1_25lookback_scan_determinismE0ELb0ES3_N6thrust23THRUST_200600_302600_NS6detail15normal_iteratorINS9_10device_ptrIiEEEENSB_INSC_IxEEEESG_xNS9_4plusIvEENS9_8equal_toIvEExEE10hipError_tPvRmT2_T3_T4_T5_mT6_T7_P12ihipStream_tbENKUlT_T0_E_clISt17integral_constantIbLb1EES11_EEDaSW_SX_EUlSW_E_NS1_11comp_targetILNS1_3genE4ELNS1_11target_archE910ELNS1_3gpuE8ELNS1_3repE0EEENS1_30default_config_static_selectorELNS0_4arch9wavefront6targetE0EEEvT1_.has_indirect_call, 0
	.section	.AMDGPU.csdata,"",@progbits
; Kernel info:
; codeLenInByte = 0
; TotalNumSgprs: 0
; NumVgprs: 0
; ScratchSize: 0
; MemoryBound: 0
; FloatMode: 240
; IeeeMode: 1
; LDSByteSize: 0 bytes/workgroup (compile time only)
; SGPRBlocks: 0
; VGPRBlocks: 0
; NumSGPRsForWavesPerEU: 1
; NumVGPRsForWavesPerEU: 1
; NamedBarCnt: 0
; Occupancy: 16
; WaveLimiterHint : 0
; COMPUTE_PGM_RSRC2:SCRATCH_EN: 0
; COMPUTE_PGM_RSRC2:USER_SGPR: 2
; COMPUTE_PGM_RSRC2:TRAP_HANDLER: 0
; COMPUTE_PGM_RSRC2:TGID_X_EN: 1
; COMPUTE_PGM_RSRC2:TGID_Y_EN: 0
; COMPUTE_PGM_RSRC2:TGID_Z_EN: 0
; COMPUTE_PGM_RSRC2:TIDIG_COMP_CNT: 0
	.section	.text._ZN7rocprim17ROCPRIM_400000_NS6detail17trampoline_kernelINS0_14default_configENS1_27scan_by_key_config_selectorIixEEZZNS1_16scan_by_key_implILNS1_25lookback_scan_determinismE0ELb0ES3_N6thrust23THRUST_200600_302600_NS6detail15normal_iteratorINS9_10device_ptrIiEEEENSB_INSC_IxEEEESG_xNS9_4plusIvEENS9_8equal_toIvEExEE10hipError_tPvRmT2_T3_T4_T5_mT6_T7_P12ihipStream_tbENKUlT_T0_E_clISt17integral_constantIbLb1EES11_EEDaSW_SX_EUlSW_E_NS1_11comp_targetILNS1_3genE3ELNS1_11target_archE908ELNS1_3gpuE7ELNS1_3repE0EEENS1_30default_config_static_selectorELNS0_4arch9wavefront6targetE0EEEvT1_,"axG",@progbits,_ZN7rocprim17ROCPRIM_400000_NS6detail17trampoline_kernelINS0_14default_configENS1_27scan_by_key_config_selectorIixEEZZNS1_16scan_by_key_implILNS1_25lookback_scan_determinismE0ELb0ES3_N6thrust23THRUST_200600_302600_NS6detail15normal_iteratorINS9_10device_ptrIiEEEENSB_INSC_IxEEEESG_xNS9_4plusIvEENS9_8equal_toIvEExEE10hipError_tPvRmT2_T3_T4_T5_mT6_T7_P12ihipStream_tbENKUlT_T0_E_clISt17integral_constantIbLb1EES11_EEDaSW_SX_EUlSW_E_NS1_11comp_targetILNS1_3genE3ELNS1_11target_archE908ELNS1_3gpuE7ELNS1_3repE0EEENS1_30default_config_static_selectorELNS0_4arch9wavefront6targetE0EEEvT1_,comdat
	.protected	_ZN7rocprim17ROCPRIM_400000_NS6detail17trampoline_kernelINS0_14default_configENS1_27scan_by_key_config_selectorIixEEZZNS1_16scan_by_key_implILNS1_25lookback_scan_determinismE0ELb0ES3_N6thrust23THRUST_200600_302600_NS6detail15normal_iteratorINS9_10device_ptrIiEEEENSB_INSC_IxEEEESG_xNS9_4plusIvEENS9_8equal_toIvEExEE10hipError_tPvRmT2_T3_T4_T5_mT6_T7_P12ihipStream_tbENKUlT_T0_E_clISt17integral_constantIbLb1EES11_EEDaSW_SX_EUlSW_E_NS1_11comp_targetILNS1_3genE3ELNS1_11target_archE908ELNS1_3gpuE7ELNS1_3repE0EEENS1_30default_config_static_selectorELNS0_4arch9wavefront6targetE0EEEvT1_ ; -- Begin function _ZN7rocprim17ROCPRIM_400000_NS6detail17trampoline_kernelINS0_14default_configENS1_27scan_by_key_config_selectorIixEEZZNS1_16scan_by_key_implILNS1_25lookback_scan_determinismE0ELb0ES3_N6thrust23THRUST_200600_302600_NS6detail15normal_iteratorINS9_10device_ptrIiEEEENSB_INSC_IxEEEESG_xNS9_4plusIvEENS9_8equal_toIvEExEE10hipError_tPvRmT2_T3_T4_T5_mT6_T7_P12ihipStream_tbENKUlT_T0_E_clISt17integral_constantIbLb1EES11_EEDaSW_SX_EUlSW_E_NS1_11comp_targetILNS1_3genE3ELNS1_11target_archE908ELNS1_3gpuE7ELNS1_3repE0EEENS1_30default_config_static_selectorELNS0_4arch9wavefront6targetE0EEEvT1_
	.globl	_ZN7rocprim17ROCPRIM_400000_NS6detail17trampoline_kernelINS0_14default_configENS1_27scan_by_key_config_selectorIixEEZZNS1_16scan_by_key_implILNS1_25lookback_scan_determinismE0ELb0ES3_N6thrust23THRUST_200600_302600_NS6detail15normal_iteratorINS9_10device_ptrIiEEEENSB_INSC_IxEEEESG_xNS9_4plusIvEENS9_8equal_toIvEExEE10hipError_tPvRmT2_T3_T4_T5_mT6_T7_P12ihipStream_tbENKUlT_T0_E_clISt17integral_constantIbLb1EES11_EEDaSW_SX_EUlSW_E_NS1_11comp_targetILNS1_3genE3ELNS1_11target_archE908ELNS1_3gpuE7ELNS1_3repE0EEENS1_30default_config_static_selectorELNS0_4arch9wavefront6targetE0EEEvT1_
	.p2align	8
	.type	_ZN7rocprim17ROCPRIM_400000_NS6detail17trampoline_kernelINS0_14default_configENS1_27scan_by_key_config_selectorIixEEZZNS1_16scan_by_key_implILNS1_25lookback_scan_determinismE0ELb0ES3_N6thrust23THRUST_200600_302600_NS6detail15normal_iteratorINS9_10device_ptrIiEEEENSB_INSC_IxEEEESG_xNS9_4plusIvEENS9_8equal_toIvEExEE10hipError_tPvRmT2_T3_T4_T5_mT6_T7_P12ihipStream_tbENKUlT_T0_E_clISt17integral_constantIbLb1EES11_EEDaSW_SX_EUlSW_E_NS1_11comp_targetILNS1_3genE3ELNS1_11target_archE908ELNS1_3gpuE7ELNS1_3repE0EEENS1_30default_config_static_selectorELNS0_4arch9wavefront6targetE0EEEvT1_,@function
_ZN7rocprim17ROCPRIM_400000_NS6detail17trampoline_kernelINS0_14default_configENS1_27scan_by_key_config_selectorIixEEZZNS1_16scan_by_key_implILNS1_25lookback_scan_determinismE0ELb0ES3_N6thrust23THRUST_200600_302600_NS6detail15normal_iteratorINS9_10device_ptrIiEEEENSB_INSC_IxEEEESG_xNS9_4plusIvEENS9_8equal_toIvEExEE10hipError_tPvRmT2_T3_T4_T5_mT6_T7_P12ihipStream_tbENKUlT_T0_E_clISt17integral_constantIbLb1EES11_EEDaSW_SX_EUlSW_E_NS1_11comp_targetILNS1_3genE3ELNS1_11target_archE908ELNS1_3gpuE7ELNS1_3repE0EEENS1_30default_config_static_selectorELNS0_4arch9wavefront6targetE0EEEvT1_: ; @_ZN7rocprim17ROCPRIM_400000_NS6detail17trampoline_kernelINS0_14default_configENS1_27scan_by_key_config_selectorIixEEZZNS1_16scan_by_key_implILNS1_25lookback_scan_determinismE0ELb0ES3_N6thrust23THRUST_200600_302600_NS6detail15normal_iteratorINS9_10device_ptrIiEEEENSB_INSC_IxEEEESG_xNS9_4plusIvEENS9_8equal_toIvEExEE10hipError_tPvRmT2_T3_T4_T5_mT6_T7_P12ihipStream_tbENKUlT_T0_E_clISt17integral_constantIbLb1EES11_EEDaSW_SX_EUlSW_E_NS1_11comp_targetILNS1_3genE3ELNS1_11target_archE908ELNS1_3gpuE7ELNS1_3repE0EEENS1_30default_config_static_selectorELNS0_4arch9wavefront6targetE0EEEvT1_
; %bb.0:
	.section	.rodata,"a",@progbits
	.p2align	6, 0x0
	.amdhsa_kernel _ZN7rocprim17ROCPRIM_400000_NS6detail17trampoline_kernelINS0_14default_configENS1_27scan_by_key_config_selectorIixEEZZNS1_16scan_by_key_implILNS1_25lookback_scan_determinismE0ELb0ES3_N6thrust23THRUST_200600_302600_NS6detail15normal_iteratorINS9_10device_ptrIiEEEENSB_INSC_IxEEEESG_xNS9_4plusIvEENS9_8equal_toIvEExEE10hipError_tPvRmT2_T3_T4_T5_mT6_T7_P12ihipStream_tbENKUlT_T0_E_clISt17integral_constantIbLb1EES11_EEDaSW_SX_EUlSW_E_NS1_11comp_targetILNS1_3genE3ELNS1_11target_archE908ELNS1_3gpuE7ELNS1_3repE0EEENS1_30default_config_static_selectorELNS0_4arch9wavefront6targetE0EEEvT1_
		.amdhsa_group_segment_fixed_size 0
		.amdhsa_private_segment_fixed_size 0
		.amdhsa_kernarg_size 136
		.amdhsa_user_sgpr_count 2
		.amdhsa_user_sgpr_dispatch_ptr 0
		.amdhsa_user_sgpr_queue_ptr 0
		.amdhsa_user_sgpr_kernarg_segment_ptr 1
		.amdhsa_user_sgpr_dispatch_id 0
		.amdhsa_user_sgpr_kernarg_preload_length 0
		.amdhsa_user_sgpr_kernarg_preload_offset 0
		.amdhsa_user_sgpr_private_segment_size 0
		.amdhsa_wavefront_size32 1
		.amdhsa_uses_dynamic_stack 0
		.amdhsa_enable_private_segment 0
		.amdhsa_system_sgpr_workgroup_id_x 1
		.amdhsa_system_sgpr_workgroup_id_y 0
		.amdhsa_system_sgpr_workgroup_id_z 0
		.amdhsa_system_sgpr_workgroup_info 0
		.amdhsa_system_vgpr_workitem_id 0
		.amdhsa_next_free_vgpr 1
		.amdhsa_next_free_sgpr 1
		.amdhsa_named_barrier_count 0
		.amdhsa_reserve_vcc 0
		.amdhsa_float_round_mode_32 0
		.amdhsa_float_round_mode_16_64 0
		.amdhsa_float_denorm_mode_32 3
		.amdhsa_float_denorm_mode_16_64 3
		.amdhsa_fp16_overflow 0
		.amdhsa_memory_ordered 1
		.amdhsa_forward_progress 1
		.amdhsa_inst_pref_size 0
		.amdhsa_round_robin_scheduling 0
		.amdhsa_exception_fp_ieee_invalid_op 0
		.amdhsa_exception_fp_denorm_src 0
		.amdhsa_exception_fp_ieee_div_zero 0
		.amdhsa_exception_fp_ieee_overflow 0
		.amdhsa_exception_fp_ieee_underflow 0
		.amdhsa_exception_fp_ieee_inexact 0
		.amdhsa_exception_int_div_zero 0
	.end_amdhsa_kernel
	.section	.text._ZN7rocprim17ROCPRIM_400000_NS6detail17trampoline_kernelINS0_14default_configENS1_27scan_by_key_config_selectorIixEEZZNS1_16scan_by_key_implILNS1_25lookback_scan_determinismE0ELb0ES3_N6thrust23THRUST_200600_302600_NS6detail15normal_iteratorINS9_10device_ptrIiEEEENSB_INSC_IxEEEESG_xNS9_4plusIvEENS9_8equal_toIvEExEE10hipError_tPvRmT2_T3_T4_T5_mT6_T7_P12ihipStream_tbENKUlT_T0_E_clISt17integral_constantIbLb1EES11_EEDaSW_SX_EUlSW_E_NS1_11comp_targetILNS1_3genE3ELNS1_11target_archE908ELNS1_3gpuE7ELNS1_3repE0EEENS1_30default_config_static_selectorELNS0_4arch9wavefront6targetE0EEEvT1_,"axG",@progbits,_ZN7rocprim17ROCPRIM_400000_NS6detail17trampoline_kernelINS0_14default_configENS1_27scan_by_key_config_selectorIixEEZZNS1_16scan_by_key_implILNS1_25lookback_scan_determinismE0ELb0ES3_N6thrust23THRUST_200600_302600_NS6detail15normal_iteratorINS9_10device_ptrIiEEEENSB_INSC_IxEEEESG_xNS9_4plusIvEENS9_8equal_toIvEExEE10hipError_tPvRmT2_T3_T4_T5_mT6_T7_P12ihipStream_tbENKUlT_T0_E_clISt17integral_constantIbLb1EES11_EEDaSW_SX_EUlSW_E_NS1_11comp_targetILNS1_3genE3ELNS1_11target_archE908ELNS1_3gpuE7ELNS1_3repE0EEENS1_30default_config_static_selectorELNS0_4arch9wavefront6targetE0EEEvT1_,comdat
.Lfunc_end1325:
	.size	_ZN7rocprim17ROCPRIM_400000_NS6detail17trampoline_kernelINS0_14default_configENS1_27scan_by_key_config_selectorIixEEZZNS1_16scan_by_key_implILNS1_25lookback_scan_determinismE0ELb0ES3_N6thrust23THRUST_200600_302600_NS6detail15normal_iteratorINS9_10device_ptrIiEEEENSB_INSC_IxEEEESG_xNS9_4plusIvEENS9_8equal_toIvEExEE10hipError_tPvRmT2_T3_T4_T5_mT6_T7_P12ihipStream_tbENKUlT_T0_E_clISt17integral_constantIbLb1EES11_EEDaSW_SX_EUlSW_E_NS1_11comp_targetILNS1_3genE3ELNS1_11target_archE908ELNS1_3gpuE7ELNS1_3repE0EEENS1_30default_config_static_selectorELNS0_4arch9wavefront6targetE0EEEvT1_, .Lfunc_end1325-_ZN7rocprim17ROCPRIM_400000_NS6detail17trampoline_kernelINS0_14default_configENS1_27scan_by_key_config_selectorIixEEZZNS1_16scan_by_key_implILNS1_25lookback_scan_determinismE0ELb0ES3_N6thrust23THRUST_200600_302600_NS6detail15normal_iteratorINS9_10device_ptrIiEEEENSB_INSC_IxEEEESG_xNS9_4plusIvEENS9_8equal_toIvEExEE10hipError_tPvRmT2_T3_T4_T5_mT6_T7_P12ihipStream_tbENKUlT_T0_E_clISt17integral_constantIbLb1EES11_EEDaSW_SX_EUlSW_E_NS1_11comp_targetILNS1_3genE3ELNS1_11target_archE908ELNS1_3gpuE7ELNS1_3repE0EEENS1_30default_config_static_selectorELNS0_4arch9wavefront6targetE0EEEvT1_
                                        ; -- End function
	.set _ZN7rocprim17ROCPRIM_400000_NS6detail17trampoline_kernelINS0_14default_configENS1_27scan_by_key_config_selectorIixEEZZNS1_16scan_by_key_implILNS1_25lookback_scan_determinismE0ELb0ES3_N6thrust23THRUST_200600_302600_NS6detail15normal_iteratorINS9_10device_ptrIiEEEENSB_INSC_IxEEEESG_xNS9_4plusIvEENS9_8equal_toIvEExEE10hipError_tPvRmT2_T3_T4_T5_mT6_T7_P12ihipStream_tbENKUlT_T0_E_clISt17integral_constantIbLb1EES11_EEDaSW_SX_EUlSW_E_NS1_11comp_targetILNS1_3genE3ELNS1_11target_archE908ELNS1_3gpuE7ELNS1_3repE0EEENS1_30default_config_static_selectorELNS0_4arch9wavefront6targetE0EEEvT1_.num_vgpr, 0
	.set _ZN7rocprim17ROCPRIM_400000_NS6detail17trampoline_kernelINS0_14default_configENS1_27scan_by_key_config_selectorIixEEZZNS1_16scan_by_key_implILNS1_25lookback_scan_determinismE0ELb0ES3_N6thrust23THRUST_200600_302600_NS6detail15normal_iteratorINS9_10device_ptrIiEEEENSB_INSC_IxEEEESG_xNS9_4plusIvEENS9_8equal_toIvEExEE10hipError_tPvRmT2_T3_T4_T5_mT6_T7_P12ihipStream_tbENKUlT_T0_E_clISt17integral_constantIbLb1EES11_EEDaSW_SX_EUlSW_E_NS1_11comp_targetILNS1_3genE3ELNS1_11target_archE908ELNS1_3gpuE7ELNS1_3repE0EEENS1_30default_config_static_selectorELNS0_4arch9wavefront6targetE0EEEvT1_.num_agpr, 0
	.set _ZN7rocprim17ROCPRIM_400000_NS6detail17trampoline_kernelINS0_14default_configENS1_27scan_by_key_config_selectorIixEEZZNS1_16scan_by_key_implILNS1_25lookback_scan_determinismE0ELb0ES3_N6thrust23THRUST_200600_302600_NS6detail15normal_iteratorINS9_10device_ptrIiEEEENSB_INSC_IxEEEESG_xNS9_4plusIvEENS9_8equal_toIvEExEE10hipError_tPvRmT2_T3_T4_T5_mT6_T7_P12ihipStream_tbENKUlT_T0_E_clISt17integral_constantIbLb1EES11_EEDaSW_SX_EUlSW_E_NS1_11comp_targetILNS1_3genE3ELNS1_11target_archE908ELNS1_3gpuE7ELNS1_3repE0EEENS1_30default_config_static_selectorELNS0_4arch9wavefront6targetE0EEEvT1_.numbered_sgpr, 0
	.set _ZN7rocprim17ROCPRIM_400000_NS6detail17trampoline_kernelINS0_14default_configENS1_27scan_by_key_config_selectorIixEEZZNS1_16scan_by_key_implILNS1_25lookback_scan_determinismE0ELb0ES3_N6thrust23THRUST_200600_302600_NS6detail15normal_iteratorINS9_10device_ptrIiEEEENSB_INSC_IxEEEESG_xNS9_4plusIvEENS9_8equal_toIvEExEE10hipError_tPvRmT2_T3_T4_T5_mT6_T7_P12ihipStream_tbENKUlT_T0_E_clISt17integral_constantIbLb1EES11_EEDaSW_SX_EUlSW_E_NS1_11comp_targetILNS1_3genE3ELNS1_11target_archE908ELNS1_3gpuE7ELNS1_3repE0EEENS1_30default_config_static_selectorELNS0_4arch9wavefront6targetE0EEEvT1_.num_named_barrier, 0
	.set _ZN7rocprim17ROCPRIM_400000_NS6detail17trampoline_kernelINS0_14default_configENS1_27scan_by_key_config_selectorIixEEZZNS1_16scan_by_key_implILNS1_25lookback_scan_determinismE0ELb0ES3_N6thrust23THRUST_200600_302600_NS6detail15normal_iteratorINS9_10device_ptrIiEEEENSB_INSC_IxEEEESG_xNS9_4plusIvEENS9_8equal_toIvEExEE10hipError_tPvRmT2_T3_T4_T5_mT6_T7_P12ihipStream_tbENKUlT_T0_E_clISt17integral_constantIbLb1EES11_EEDaSW_SX_EUlSW_E_NS1_11comp_targetILNS1_3genE3ELNS1_11target_archE908ELNS1_3gpuE7ELNS1_3repE0EEENS1_30default_config_static_selectorELNS0_4arch9wavefront6targetE0EEEvT1_.private_seg_size, 0
	.set _ZN7rocprim17ROCPRIM_400000_NS6detail17trampoline_kernelINS0_14default_configENS1_27scan_by_key_config_selectorIixEEZZNS1_16scan_by_key_implILNS1_25lookback_scan_determinismE0ELb0ES3_N6thrust23THRUST_200600_302600_NS6detail15normal_iteratorINS9_10device_ptrIiEEEENSB_INSC_IxEEEESG_xNS9_4plusIvEENS9_8equal_toIvEExEE10hipError_tPvRmT2_T3_T4_T5_mT6_T7_P12ihipStream_tbENKUlT_T0_E_clISt17integral_constantIbLb1EES11_EEDaSW_SX_EUlSW_E_NS1_11comp_targetILNS1_3genE3ELNS1_11target_archE908ELNS1_3gpuE7ELNS1_3repE0EEENS1_30default_config_static_selectorELNS0_4arch9wavefront6targetE0EEEvT1_.uses_vcc, 0
	.set _ZN7rocprim17ROCPRIM_400000_NS6detail17trampoline_kernelINS0_14default_configENS1_27scan_by_key_config_selectorIixEEZZNS1_16scan_by_key_implILNS1_25lookback_scan_determinismE0ELb0ES3_N6thrust23THRUST_200600_302600_NS6detail15normal_iteratorINS9_10device_ptrIiEEEENSB_INSC_IxEEEESG_xNS9_4plusIvEENS9_8equal_toIvEExEE10hipError_tPvRmT2_T3_T4_T5_mT6_T7_P12ihipStream_tbENKUlT_T0_E_clISt17integral_constantIbLb1EES11_EEDaSW_SX_EUlSW_E_NS1_11comp_targetILNS1_3genE3ELNS1_11target_archE908ELNS1_3gpuE7ELNS1_3repE0EEENS1_30default_config_static_selectorELNS0_4arch9wavefront6targetE0EEEvT1_.uses_flat_scratch, 0
	.set _ZN7rocprim17ROCPRIM_400000_NS6detail17trampoline_kernelINS0_14default_configENS1_27scan_by_key_config_selectorIixEEZZNS1_16scan_by_key_implILNS1_25lookback_scan_determinismE0ELb0ES3_N6thrust23THRUST_200600_302600_NS6detail15normal_iteratorINS9_10device_ptrIiEEEENSB_INSC_IxEEEESG_xNS9_4plusIvEENS9_8equal_toIvEExEE10hipError_tPvRmT2_T3_T4_T5_mT6_T7_P12ihipStream_tbENKUlT_T0_E_clISt17integral_constantIbLb1EES11_EEDaSW_SX_EUlSW_E_NS1_11comp_targetILNS1_3genE3ELNS1_11target_archE908ELNS1_3gpuE7ELNS1_3repE0EEENS1_30default_config_static_selectorELNS0_4arch9wavefront6targetE0EEEvT1_.has_dyn_sized_stack, 0
	.set _ZN7rocprim17ROCPRIM_400000_NS6detail17trampoline_kernelINS0_14default_configENS1_27scan_by_key_config_selectorIixEEZZNS1_16scan_by_key_implILNS1_25lookback_scan_determinismE0ELb0ES3_N6thrust23THRUST_200600_302600_NS6detail15normal_iteratorINS9_10device_ptrIiEEEENSB_INSC_IxEEEESG_xNS9_4plusIvEENS9_8equal_toIvEExEE10hipError_tPvRmT2_T3_T4_T5_mT6_T7_P12ihipStream_tbENKUlT_T0_E_clISt17integral_constantIbLb1EES11_EEDaSW_SX_EUlSW_E_NS1_11comp_targetILNS1_3genE3ELNS1_11target_archE908ELNS1_3gpuE7ELNS1_3repE0EEENS1_30default_config_static_selectorELNS0_4arch9wavefront6targetE0EEEvT1_.has_recursion, 0
	.set _ZN7rocprim17ROCPRIM_400000_NS6detail17trampoline_kernelINS0_14default_configENS1_27scan_by_key_config_selectorIixEEZZNS1_16scan_by_key_implILNS1_25lookback_scan_determinismE0ELb0ES3_N6thrust23THRUST_200600_302600_NS6detail15normal_iteratorINS9_10device_ptrIiEEEENSB_INSC_IxEEEESG_xNS9_4plusIvEENS9_8equal_toIvEExEE10hipError_tPvRmT2_T3_T4_T5_mT6_T7_P12ihipStream_tbENKUlT_T0_E_clISt17integral_constantIbLb1EES11_EEDaSW_SX_EUlSW_E_NS1_11comp_targetILNS1_3genE3ELNS1_11target_archE908ELNS1_3gpuE7ELNS1_3repE0EEENS1_30default_config_static_selectorELNS0_4arch9wavefront6targetE0EEEvT1_.has_indirect_call, 0
	.section	.AMDGPU.csdata,"",@progbits
; Kernel info:
; codeLenInByte = 0
; TotalNumSgprs: 0
; NumVgprs: 0
; ScratchSize: 0
; MemoryBound: 0
; FloatMode: 240
; IeeeMode: 1
; LDSByteSize: 0 bytes/workgroup (compile time only)
; SGPRBlocks: 0
; VGPRBlocks: 0
; NumSGPRsForWavesPerEU: 1
; NumVGPRsForWavesPerEU: 1
; NamedBarCnt: 0
; Occupancy: 16
; WaveLimiterHint : 0
; COMPUTE_PGM_RSRC2:SCRATCH_EN: 0
; COMPUTE_PGM_RSRC2:USER_SGPR: 2
; COMPUTE_PGM_RSRC2:TRAP_HANDLER: 0
; COMPUTE_PGM_RSRC2:TGID_X_EN: 1
; COMPUTE_PGM_RSRC2:TGID_Y_EN: 0
; COMPUTE_PGM_RSRC2:TGID_Z_EN: 0
; COMPUTE_PGM_RSRC2:TIDIG_COMP_CNT: 0
	.section	.text._ZN7rocprim17ROCPRIM_400000_NS6detail17trampoline_kernelINS0_14default_configENS1_27scan_by_key_config_selectorIixEEZZNS1_16scan_by_key_implILNS1_25lookback_scan_determinismE0ELb0ES3_N6thrust23THRUST_200600_302600_NS6detail15normal_iteratorINS9_10device_ptrIiEEEENSB_INSC_IxEEEESG_xNS9_4plusIvEENS9_8equal_toIvEExEE10hipError_tPvRmT2_T3_T4_T5_mT6_T7_P12ihipStream_tbENKUlT_T0_E_clISt17integral_constantIbLb1EES11_EEDaSW_SX_EUlSW_E_NS1_11comp_targetILNS1_3genE2ELNS1_11target_archE906ELNS1_3gpuE6ELNS1_3repE0EEENS1_30default_config_static_selectorELNS0_4arch9wavefront6targetE0EEEvT1_,"axG",@progbits,_ZN7rocprim17ROCPRIM_400000_NS6detail17trampoline_kernelINS0_14default_configENS1_27scan_by_key_config_selectorIixEEZZNS1_16scan_by_key_implILNS1_25lookback_scan_determinismE0ELb0ES3_N6thrust23THRUST_200600_302600_NS6detail15normal_iteratorINS9_10device_ptrIiEEEENSB_INSC_IxEEEESG_xNS9_4plusIvEENS9_8equal_toIvEExEE10hipError_tPvRmT2_T3_T4_T5_mT6_T7_P12ihipStream_tbENKUlT_T0_E_clISt17integral_constantIbLb1EES11_EEDaSW_SX_EUlSW_E_NS1_11comp_targetILNS1_3genE2ELNS1_11target_archE906ELNS1_3gpuE6ELNS1_3repE0EEENS1_30default_config_static_selectorELNS0_4arch9wavefront6targetE0EEEvT1_,comdat
	.protected	_ZN7rocprim17ROCPRIM_400000_NS6detail17trampoline_kernelINS0_14default_configENS1_27scan_by_key_config_selectorIixEEZZNS1_16scan_by_key_implILNS1_25lookback_scan_determinismE0ELb0ES3_N6thrust23THRUST_200600_302600_NS6detail15normal_iteratorINS9_10device_ptrIiEEEENSB_INSC_IxEEEESG_xNS9_4plusIvEENS9_8equal_toIvEExEE10hipError_tPvRmT2_T3_T4_T5_mT6_T7_P12ihipStream_tbENKUlT_T0_E_clISt17integral_constantIbLb1EES11_EEDaSW_SX_EUlSW_E_NS1_11comp_targetILNS1_3genE2ELNS1_11target_archE906ELNS1_3gpuE6ELNS1_3repE0EEENS1_30default_config_static_selectorELNS0_4arch9wavefront6targetE0EEEvT1_ ; -- Begin function _ZN7rocprim17ROCPRIM_400000_NS6detail17trampoline_kernelINS0_14default_configENS1_27scan_by_key_config_selectorIixEEZZNS1_16scan_by_key_implILNS1_25lookback_scan_determinismE0ELb0ES3_N6thrust23THRUST_200600_302600_NS6detail15normal_iteratorINS9_10device_ptrIiEEEENSB_INSC_IxEEEESG_xNS9_4plusIvEENS9_8equal_toIvEExEE10hipError_tPvRmT2_T3_T4_T5_mT6_T7_P12ihipStream_tbENKUlT_T0_E_clISt17integral_constantIbLb1EES11_EEDaSW_SX_EUlSW_E_NS1_11comp_targetILNS1_3genE2ELNS1_11target_archE906ELNS1_3gpuE6ELNS1_3repE0EEENS1_30default_config_static_selectorELNS0_4arch9wavefront6targetE0EEEvT1_
	.globl	_ZN7rocprim17ROCPRIM_400000_NS6detail17trampoline_kernelINS0_14default_configENS1_27scan_by_key_config_selectorIixEEZZNS1_16scan_by_key_implILNS1_25lookback_scan_determinismE0ELb0ES3_N6thrust23THRUST_200600_302600_NS6detail15normal_iteratorINS9_10device_ptrIiEEEENSB_INSC_IxEEEESG_xNS9_4plusIvEENS9_8equal_toIvEExEE10hipError_tPvRmT2_T3_T4_T5_mT6_T7_P12ihipStream_tbENKUlT_T0_E_clISt17integral_constantIbLb1EES11_EEDaSW_SX_EUlSW_E_NS1_11comp_targetILNS1_3genE2ELNS1_11target_archE906ELNS1_3gpuE6ELNS1_3repE0EEENS1_30default_config_static_selectorELNS0_4arch9wavefront6targetE0EEEvT1_
	.p2align	8
	.type	_ZN7rocprim17ROCPRIM_400000_NS6detail17trampoline_kernelINS0_14default_configENS1_27scan_by_key_config_selectorIixEEZZNS1_16scan_by_key_implILNS1_25lookback_scan_determinismE0ELb0ES3_N6thrust23THRUST_200600_302600_NS6detail15normal_iteratorINS9_10device_ptrIiEEEENSB_INSC_IxEEEESG_xNS9_4plusIvEENS9_8equal_toIvEExEE10hipError_tPvRmT2_T3_T4_T5_mT6_T7_P12ihipStream_tbENKUlT_T0_E_clISt17integral_constantIbLb1EES11_EEDaSW_SX_EUlSW_E_NS1_11comp_targetILNS1_3genE2ELNS1_11target_archE906ELNS1_3gpuE6ELNS1_3repE0EEENS1_30default_config_static_selectorELNS0_4arch9wavefront6targetE0EEEvT1_,@function
_ZN7rocprim17ROCPRIM_400000_NS6detail17trampoline_kernelINS0_14default_configENS1_27scan_by_key_config_selectorIixEEZZNS1_16scan_by_key_implILNS1_25lookback_scan_determinismE0ELb0ES3_N6thrust23THRUST_200600_302600_NS6detail15normal_iteratorINS9_10device_ptrIiEEEENSB_INSC_IxEEEESG_xNS9_4plusIvEENS9_8equal_toIvEExEE10hipError_tPvRmT2_T3_T4_T5_mT6_T7_P12ihipStream_tbENKUlT_T0_E_clISt17integral_constantIbLb1EES11_EEDaSW_SX_EUlSW_E_NS1_11comp_targetILNS1_3genE2ELNS1_11target_archE906ELNS1_3gpuE6ELNS1_3repE0EEENS1_30default_config_static_selectorELNS0_4arch9wavefront6targetE0EEEvT1_: ; @_ZN7rocprim17ROCPRIM_400000_NS6detail17trampoline_kernelINS0_14default_configENS1_27scan_by_key_config_selectorIixEEZZNS1_16scan_by_key_implILNS1_25lookback_scan_determinismE0ELb0ES3_N6thrust23THRUST_200600_302600_NS6detail15normal_iteratorINS9_10device_ptrIiEEEENSB_INSC_IxEEEESG_xNS9_4plusIvEENS9_8equal_toIvEExEE10hipError_tPvRmT2_T3_T4_T5_mT6_T7_P12ihipStream_tbENKUlT_T0_E_clISt17integral_constantIbLb1EES11_EEDaSW_SX_EUlSW_E_NS1_11comp_targetILNS1_3genE2ELNS1_11target_archE906ELNS1_3gpuE6ELNS1_3repE0EEENS1_30default_config_static_selectorELNS0_4arch9wavefront6targetE0EEEvT1_
; %bb.0:
	.section	.rodata,"a",@progbits
	.p2align	6, 0x0
	.amdhsa_kernel _ZN7rocprim17ROCPRIM_400000_NS6detail17trampoline_kernelINS0_14default_configENS1_27scan_by_key_config_selectorIixEEZZNS1_16scan_by_key_implILNS1_25lookback_scan_determinismE0ELb0ES3_N6thrust23THRUST_200600_302600_NS6detail15normal_iteratorINS9_10device_ptrIiEEEENSB_INSC_IxEEEESG_xNS9_4plusIvEENS9_8equal_toIvEExEE10hipError_tPvRmT2_T3_T4_T5_mT6_T7_P12ihipStream_tbENKUlT_T0_E_clISt17integral_constantIbLb1EES11_EEDaSW_SX_EUlSW_E_NS1_11comp_targetILNS1_3genE2ELNS1_11target_archE906ELNS1_3gpuE6ELNS1_3repE0EEENS1_30default_config_static_selectorELNS0_4arch9wavefront6targetE0EEEvT1_
		.amdhsa_group_segment_fixed_size 0
		.amdhsa_private_segment_fixed_size 0
		.amdhsa_kernarg_size 136
		.amdhsa_user_sgpr_count 2
		.amdhsa_user_sgpr_dispatch_ptr 0
		.amdhsa_user_sgpr_queue_ptr 0
		.amdhsa_user_sgpr_kernarg_segment_ptr 1
		.amdhsa_user_sgpr_dispatch_id 0
		.amdhsa_user_sgpr_kernarg_preload_length 0
		.amdhsa_user_sgpr_kernarg_preload_offset 0
		.amdhsa_user_sgpr_private_segment_size 0
		.amdhsa_wavefront_size32 1
		.amdhsa_uses_dynamic_stack 0
		.amdhsa_enable_private_segment 0
		.amdhsa_system_sgpr_workgroup_id_x 1
		.amdhsa_system_sgpr_workgroup_id_y 0
		.amdhsa_system_sgpr_workgroup_id_z 0
		.amdhsa_system_sgpr_workgroup_info 0
		.amdhsa_system_vgpr_workitem_id 0
		.amdhsa_next_free_vgpr 1
		.amdhsa_next_free_sgpr 1
		.amdhsa_named_barrier_count 0
		.amdhsa_reserve_vcc 0
		.amdhsa_float_round_mode_32 0
		.amdhsa_float_round_mode_16_64 0
		.amdhsa_float_denorm_mode_32 3
		.amdhsa_float_denorm_mode_16_64 3
		.amdhsa_fp16_overflow 0
		.amdhsa_memory_ordered 1
		.amdhsa_forward_progress 1
		.amdhsa_inst_pref_size 0
		.amdhsa_round_robin_scheduling 0
		.amdhsa_exception_fp_ieee_invalid_op 0
		.amdhsa_exception_fp_denorm_src 0
		.amdhsa_exception_fp_ieee_div_zero 0
		.amdhsa_exception_fp_ieee_overflow 0
		.amdhsa_exception_fp_ieee_underflow 0
		.amdhsa_exception_fp_ieee_inexact 0
		.amdhsa_exception_int_div_zero 0
	.end_amdhsa_kernel
	.section	.text._ZN7rocprim17ROCPRIM_400000_NS6detail17trampoline_kernelINS0_14default_configENS1_27scan_by_key_config_selectorIixEEZZNS1_16scan_by_key_implILNS1_25lookback_scan_determinismE0ELb0ES3_N6thrust23THRUST_200600_302600_NS6detail15normal_iteratorINS9_10device_ptrIiEEEENSB_INSC_IxEEEESG_xNS9_4plusIvEENS9_8equal_toIvEExEE10hipError_tPvRmT2_T3_T4_T5_mT6_T7_P12ihipStream_tbENKUlT_T0_E_clISt17integral_constantIbLb1EES11_EEDaSW_SX_EUlSW_E_NS1_11comp_targetILNS1_3genE2ELNS1_11target_archE906ELNS1_3gpuE6ELNS1_3repE0EEENS1_30default_config_static_selectorELNS0_4arch9wavefront6targetE0EEEvT1_,"axG",@progbits,_ZN7rocprim17ROCPRIM_400000_NS6detail17trampoline_kernelINS0_14default_configENS1_27scan_by_key_config_selectorIixEEZZNS1_16scan_by_key_implILNS1_25lookback_scan_determinismE0ELb0ES3_N6thrust23THRUST_200600_302600_NS6detail15normal_iteratorINS9_10device_ptrIiEEEENSB_INSC_IxEEEESG_xNS9_4plusIvEENS9_8equal_toIvEExEE10hipError_tPvRmT2_T3_T4_T5_mT6_T7_P12ihipStream_tbENKUlT_T0_E_clISt17integral_constantIbLb1EES11_EEDaSW_SX_EUlSW_E_NS1_11comp_targetILNS1_3genE2ELNS1_11target_archE906ELNS1_3gpuE6ELNS1_3repE0EEENS1_30default_config_static_selectorELNS0_4arch9wavefront6targetE0EEEvT1_,comdat
.Lfunc_end1326:
	.size	_ZN7rocprim17ROCPRIM_400000_NS6detail17trampoline_kernelINS0_14default_configENS1_27scan_by_key_config_selectorIixEEZZNS1_16scan_by_key_implILNS1_25lookback_scan_determinismE0ELb0ES3_N6thrust23THRUST_200600_302600_NS6detail15normal_iteratorINS9_10device_ptrIiEEEENSB_INSC_IxEEEESG_xNS9_4plusIvEENS9_8equal_toIvEExEE10hipError_tPvRmT2_T3_T4_T5_mT6_T7_P12ihipStream_tbENKUlT_T0_E_clISt17integral_constantIbLb1EES11_EEDaSW_SX_EUlSW_E_NS1_11comp_targetILNS1_3genE2ELNS1_11target_archE906ELNS1_3gpuE6ELNS1_3repE0EEENS1_30default_config_static_selectorELNS0_4arch9wavefront6targetE0EEEvT1_, .Lfunc_end1326-_ZN7rocprim17ROCPRIM_400000_NS6detail17trampoline_kernelINS0_14default_configENS1_27scan_by_key_config_selectorIixEEZZNS1_16scan_by_key_implILNS1_25lookback_scan_determinismE0ELb0ES3_N6thrust23THRUST_200600_302600_NS6detail15normal_iteratorINS9_10device_ptrIiEEEENSB_INSC_IxEEEESG_xNS9_4plusIvEENS9_8equal_toIvEExEE10hipError_tPvRmT2_T3_T4_T5_mT6_T7_P12ihipStream_tbENKUlT_T0_E_clISt17integral_constantIbLb1EES11_EEDaSW_SX_EUlSW_E_NS1_11comp_targetILNS1_3genE2ELNS1_11target_archE906ELNS1_3gpuE6ELNS1_3repE0EEENS1_30default_config_static_selectorELNS0_4arch9wavefront6targetE0EEEvT1_
                                        ; -- End function
	.set _ZN7rocprim17ROCPRIM_400000_NS6detail17trampoline_kernelINS0_14default_configENS1_27scan_by_key_config_selectorIixEEZZNS1_16scan_by_key_implILNS1_25lookback_scan_determinismE0ELb0ES3_N6thrust23THRUST_200600_302600_NS6detail15normal_iteratorINS9_10device_ptrIiEEEENSB_INSC_IxEEEESG_xNS9_4plusIvEENS9_8equal_toIvEExEE10hipError_tPvRmT2_T3_T4_T5_mT6_T7_P12ihipStream_tbENKUlT_T0_E_clISt17integral_constantIbLb1EES11_EEDaSW_SX_EUlSW_E_NS1_11comp_targetILNS1_3genE2ELNS1_11target_archE906ELNS1_3gpuE6ELNS1_3repE0EEENS1_30default_config_static_selectorELNS0_4arch9wavefront6targetE0EEEvT1_.num_vgpr, 0
	.set _ZN7rocprim17ROCPRIM_400000_NS6detail17trampoline_kernelINS0_14default_configENS1_27scan_by_key_config_selectorIixEEZZNS1_16scan_by_key_implILNS1_25lookback_scan_determinismE0ELb0ES3_N6thrust23THRUST_200600_302600_NS6detail15normal_iteratorINS9_10device_ptrIiEEEENSB_INSC_IxEEEESG_xNS9_4plusIvEENS9_8equal_toIvEExEE10hipError_tPvRmT2_T3_T4_T5_mT6_T7_P12ihipStream_tbENKUlT_T0_E_clISt17integral_constantIbLb1EES11_EEDaSW_SX_EUlSW_E_NS1_11comp_targetILNS1_3genE2ELNS1_11target_archE906ELNS1_3gpuE6ELNS1_3repE0EEENS1_30default_config_static_selectorELNS0_4arch9wavefront6targetE0EEEvT1_.num_agpr, 0
	.set _ZN7rocprim17ROCPRIM_400000_NS6detail17trampoline_kernelINS0_14default_configENS1_27scan_by_key_config_selectorIixEEZZNS1_16scan_by_key_implILNS1_25lookback_scan_determinismE0ELb0ES3_N6thrust23THRUST_200600_302600_NS6detail15normal_iteratorINS9_10device_ptrIiEEEENSB_INSC_IxEEEESG_xNS9_4plusIvEENS9_8equal_toIvEExEE10hipError_tPvRmT2_T3_T4_T5_mT6_T7_P12ihipStream_tbENKUlT_T0_E_clISt17integral_constantIbLb1EES11_EEDaSW_SX_EUlSW_E_NS1_11comp_targetILNS1_3genE2ELNS1_11target_archE906ELNS1_3gpuE6ELNS1_3repE0EEENS1_30default_config_static_selectorELNS0_4arch9wavefront6targetE0EEEvT1_.numbered_sgpr, 0
	.set _ZN7rocprim17ROCPRIM_400000_NS6detail17trampoline_kernelINS0_14default_configENS1_27scan_by_key_config_selectorIixEEZZNS1_16scan_by_key_implILNS1_25lookback_scan_determinismE0ELb0ES3_N6thrust23THRUST_200600_302600_NS6detail15normal_iteratorINS9_10device_ptrIiEEEENSB_INSC_IxEEEESG_xNS9_4plusIvEENS9_8equal_toIvEExEE10hipError_tPvRmT2_T3_T4_T5_mT6_T7_P12ihipStream_tbENKUlT_T0_E_clISt17integral_constantIbLb1EES11_EEDaSW_SX_EUlSW_E_NS1_11comp_targetILNS1_3genE2ELNS1_11target_archE906ELNS1_3gpuE6ELNS1_3repE0EEENS1_30default_config_static_selectorELNS0_4arch9wavefront6targetE0EEEvT1_.num_named_barrier, 0
	.set _ZN7rocprim17ROCPRIM_400000_NS6detail17trampoline_kernelINS0_14default_configENS1_27scan_by_key_config_selectorIixEEZZNS1_16scan_by_key_implILNS1_25lookback_scan_determinismE0ELb0ES3_N6thrust23THRUST_200600_302600_NS6detail15normal_iteratorINS9_10device_ptrIiEEEENSB_INSC_IxEEEESG_xNS9_4plusIvEENS9_8equal_toIvEExEE10hipError_tPvRmT2_T3_T4_T5_mT6_T7_P12ihipStream_tbENKUlT_T0_E_clISt17integral_constantIbLb1EES11_EEDaSW_SX_EUlSW_E_NS1_11comp_targetILNS1_3genE2ELNS1_11target_archE906ELNS1_3gpuE6ELNS1_3repE0EEENS1_30default_config_static_selectorELNS0_4arch9wavefront6targetE0EEEvT1_.private_seg_size, 0
	.set _ZN7rocprim17ROCPRIM_400000_NS6detail17trampoline_kernelINS0_14default_configENS1_27scan_by_key_config_selectorIixEEZZNS1_16scan_by_key_implILNS1_25lookback_scan_determinismE0ELb0ES3_N6thrust23THRUST_200600_302600_NS6detail15normal_iteratorINS9_10device_ptrIiEEEENSB_INSC_IxEEEESG_xNS9_4plusIvEENS9_8equal_toIvEExEE10hipError_tPvRmT2_T3_T4_T5_mT6_T7_P12ihipStream_tbENKUlT_T0_E_clISt17integral_constantIbLb1EES11_EEDaSW_SX_EUlSW_E_NS1_11comp_targetILNS1_3genE2ELNS1_11target_archE906ELNS1_3gpuE6ELNS1_3repE0EEENS1_30default_config_static_selectorELNS0_4arch9wavefront6targetE0EEEvT1_.uses_vcc, 0
	.set _ZN7rocprim17ROCPRIM_400000_NS6detail17trampoline_kernelINS0_14default_configENS1_27scan_by_key_config_selectorIixEEZZNS1_16scan_by_key_implILNS1_25lookback_scan_determinismE0ELb0ES3_N6thrust23THRUST_200600_302600_NS6detail15normal_iteratorINS9_10device_ptrIiEEEENSB_INSC_IxEEEESG_xNS9_4plusIvEENS9_8equal_toIvEExEE10hipError_tPvRmT2_T3_T4_T5_mT6_T7_P12ihipStream_tbENKUlT_T0_E_clISt17integral_constantIbLb1EES11_EEDaSW_SX_EUlSW_E_NS1_11comp_targetILNS1_3genE2ELNS1_11target_archE906ELNS1_3gpuE6ELNS1_3repE0EEENS1_30default_config_static_selectorELNS0_4arch9wavefront6targetE0EEEvT1_.uses_flat_scratch, 0
	.set _ZN7rocprim17ROCPRIM_400000_NS6detail17trampoline_kernelINS0_14default_configENS1_27scan_by_key_config_selectorIixEEZZNS1_16scan_by_key_implILNS1_25lookback_scan_determinismE0ELb0ES3_N6thrust23THRUST_200600_302600_NS6detail15normal_iteratorINS9_10device_ptrIiEEEENSB_INSC_IxEEEESG_xNS9_4plusIvEENS9_8equal_toIvEExEE10hipError_tPvRmT2_T3_T4_T5_mT6_T7_P12ihipStream_tbENKUlT_T0_E_clISt17integral_constantIbLb1EES11_EEDaSW_SX_EUlSW_E_NS1_11comp_targetILNS1_3genE2ELNS1_11target_archE906ELNS1_3gpuE6ELNS1_3repE0EEENS1_30default_config_static_selectorELNS0_4arch9wavefront6targetE0EEEvT1_.has_dyn_sized_stack, 0
	.set _ZN7rocprim17ROCPRIM_400000_NS6detail17trampoline_kernelINS0_14default_configENS1_27scan_by_key_config_selectorIixEEZZNS1_16scan_by_key_implILNS1_25lookback_scan_determinismE0ELb0ES3_N6thrust23THRUST_200600_302600_NS6detail15normal_iteratorINS9_10device_ptrIiEEEENSB_INSC_IxEEEESG_xNS9_4plusIvEENS9_8equal_toIvEExEE10hipError_tPvRmT2_T3_T4_T5_mT6_T7_P12ihipStream_tbENKUlT_T0_E_clISt17integral_constantIbLb1EES11_EEDaSW_SX_EUlSW_E_NS1_11comp_targetILNS1_3genE2ELNS1_11target_archE906ELNS1_3gpuE6ELNS1_3repE0EEENS1_30default_config_static_selectorELNS0_4arch9wavefront6targetE0EEEvT1_.has_recursion, 0
	.set _ZN7rocprim17ROCPRIM_400000_NS6detail17trampoline_kernelINS0_14default_configENS1_27scan_by_key_config_selectorIixEEZZNS1_16scan_by_key_implILNS1_25lookback_scan_determinismE0ELb0ES3_N6thrust23THRUST_200600_302600_NS6detail15normal_iteratorINS9_10device_ptrIiEEEENSB_INSC_IxEEEESG_xNS9_4plusIvEENS9_8equal_toIvEExEE10hipError_tPvRmT2_T3_T4_T5_mT6_T7_P12ihipStream_tbENKUlT_T0_E_clISt17integral_constantIbLb1EES11_EEDaSW_SX_EUlSW_E_NS1_11comp_targetILNS1_3genE2ELNS1_11target_archE906ELNS1_3gpuE6ELNS1_3repE0EEENS1_30default_config_static_selectorELNS0_4arch9wavefront6targetE0EEEvT1_.has_indirect_call, 0
	.section	.AMDGPU.csdata,"",@progbits
; Kernel info:
; codeLenInByte = 0
; TotalNumSgprs: 0
; NumVgprs: 0
; ScratchSize: 0
; MemoryBound: 0
; FloatMode: 240
; IeeeMode: 1
; LDSByteSize: 0 bytes/workgroup (compile time only)
; SGPRBlocks: 0
; VGPRBlocks: 0
; NumSGPRsForWavesPerEU: 1
; NumVGPRsForWavesPerEU: 1
; NamedBarCnt: 0
; Occupancy: 16
; WaveLimiterHint : 0
; COMPUTE_PGM_RSRC2:SCRATCH_EN: 0
; COMPUTE_PGM_RSRC2:USER_SGPR: 2
; COMPUTE_PGM_RSRC2:TRAP_HANDLER: 0
; COMPUTE_PGM_RSRC2:TGID_X_EN: 1
; COMPUTE_PGM_RSRC2:TGID_Y_EN: 0
; COMPUTE_PGM_RSRC2:TGID_Z_EN: 0
; COMPUTE_PGM_RSRC2:TIDIG_COMP_CNT: 0
	.section	.text._ZN7rocprim17ROCPRIM_400000_NS6detail17trampoline_kernelINS0_14default_configENS1_27scan_by_key_config_selectorIixEEZZNS1_16scan_by_key_implILNS1_25lookback_scan_determinismE0ELb0ES3_N6thrust23THRUST_200600_302600_NS6detail15normal_iteratorINS9_10device_ptrIiEEEENSB_INSC_IxEEEESG_xNS9_4plusIvEENS9_8equal_toIvEExEE10hipError_tPvRmT2_T3_T4_T5_mT6_T7_P12ihipStream_tbENKUlT_T0_E_clISt17integral_constantIbLb1EES11_EEDaSW_SX_EUlSW_E_NS1_11comp_targetILNS1_3genE10ELNS1_11target_archE1200ELNS1_3gpuE4ELNS1_3repE0EEENS1_30default_config_static_selectorELNS0_4arch9wavefront6targetE0EEEvT1_,"axG",@progbits,_ZN7rocprim17ROCPRIM_400000_NS6detail17trampoline_kernelINS0_14default_configENS1_27scan_by_key_config_selectorIixEEZZNS1_16scan_by_key_implILNS1_25lookback_scan_determinismE0ELb0ES3_N6thrust23THRUST_200600_302600_NS6detail15normal_iteratorINS9_10device_ptrIiEEEENSB_INSC_IxEEEESG_xNS9_4plusIvEENS9_8equal_toIvEExEE10hipError_tPvRmT2_T3_T4_T5_mT6_T7_P12ihipStream_tbENKUlT_T0_E_clISt17integral_constantIbLb1EES11_EEDaSW_SX_EUlSW_E_NS1_11comp_targetILNS1_3genE10ELNS1_11target_archE1200ELNS1_3gpuE4ELNS1_3repE0EEENS1_30default_config_static_selectorELNS0_4arch9wavefront6targetE0EEEvT1_,comdat
	.protected	_ZN7rocprim17ROCPRIM_400000_NS6detail17trampoline_kernelINS0_14default_configENS1_27scan_by_key_config_selectorIixEEZZNS1_16scan_by_key_implILNS1_25lookback_scan_determinismE0ELb0ES3_N6thrust23THRUST_200600_302600_NS6detail15normal_iteratorINS9_10device_ptrIiEEEENSB_INSC_IxEEEESG_xNS9_4plusIvEENS9_8equal_toIvEExEE10hipError_tPvRmT2_T3_T4_T5_mT6_T7_P12ihipStream_tbENKUlT_T0_E_clISt17integral_constantIbLb1EES11_EEDaSW_SX_EUlSW_E_NS1_11comp_targetILNS1_3genE10ELNS1_11target_archE1200ELNS1_3gpuE4ELNS1_3repE0EEENS1_30default_config_static_selectorELNS0_4arch9wavefront6targetE0EEEvT1_ ; -- Begin function _ZN7rocprim17ROCPRIM_400000_NS6detail17trampoline_kernelINS0_14default_configENS1_27scan_by_key_config_selectorIixEEZZNS1_16scan_by_key_implILNS1_25lookback_scan_determinismE0ELb0ES3_N6thrust23THRUST_200600_302600_NS6detail15normal_iteratorINS9_10device_ptrIiEEEENSB_INSC_IxEEEESG_xNS9_4plusIvEENS9_8equal_toIvEExEE10hipError_tPvRmT2_T3_T4_T5_mT6_T7_P12ihipStream_tbENKUlT_T0_E_clISt17integral_constantIbLb1EES11_EEDaSW_SX_EUlSW_E_NS1_11comp_targetILNS1_3genE10ELNS1_11target_archE1200ELNS1_3gpuE4ELNS1_3repE0EEENS1_30default_config_static_selectorELNS0_4arch9wavefront6targetE0EEEvT1_
	.globl	_ZN7rocprim17ROCPRIM_400000_NS6detail17trampoline_kernelINS0_14default_configENS1_27scan_by_key_config_selectorIixEEZZNS1_16scan_by_key_implILNS1_25lookback_scan_determinismE0ELb0ES3_N6thrust23THRUST_200600_302600_NS6detail15normal_iteratorINS9_10device_ptrIiEEEENSB_INSC_IxEEEESG_xNS9_4plusIvEENS9_8equal_toIvEExEE10hipError_tPvRmT2_T3_T4_T5_mT6_T7_P12ihipStream_tbENKUlT_T0_E_clISt17integral_constantIbLb1EES11_EEDaSW_SX_EUlSW_E_NS1_11comp_targetILNS1_3genE10ELNS1_11target_archE1200ELNS1_3gpuE4ELNS1_3repE0EEENS1_30default_config_static_selectorELNS0_4arch9wavefront6targetE0EEEvT1_
	.p2align	8
	.type	_ZN7rocprim17ROCPRIM_400000_NS6detail17trampoline_kernelINS0_14default_configENS1_27scan_by_key_config_selectorIixEEZZNS1_16scan_by_key_implILNS1_25lookback_scan_determinismE0ELb0ES3_N6thrust23THRUST_200600_302600_NS6detail15normal_iteratorINS9_10device_ptrIiEEEENSB_INSC_IxEEEESG_xNS9_4plusIvEENS9_8equal_toIvEExEE10hipError_tPvRmT2_T3_T4_T5_mT6_T7_P12ihipStream_tbENKUlT_T0_E_clISt17integral_constantIbLb1EES11_EEDaSW_SX_EUlSW_E_NS1_11comp_targetILNS1_3genE10ELNS1_11target_archE1200ELNS1_3gpuE4ELNS1_3repE0EEENS1_30default_config_static_selectorELNS0_4arch9wavefront6targetE0EEEvT1_,@function
_ZN7rocprim17ROCPRIM_400000_NS6detail17trampoline_kernelINS0_14default_configENS1_27scan_by_key_config_selectorIixEEZZNS1_16scan_by_key_implILNS1_25lookback_scan_determinismE0ELb0ES3_N6thrust23THRUST_200600_302600_NS6detail15normal_iteratorINS9_10device_ptrIiEEEENSB_INSC_IxEEEESG_xNS9_4plusIvEENS9_8equal_toIvEExEE10hipError_tPvRmT2_T3_T4_T5_mT6_T7_P12ihipStream_tbENKUlT_T0_E_clISt17integral_constantIbLb1EES11_EEDaSW_SX_EUlSW_E_NS1_11comp_targetILNS1_3genE10ELNS1_11target_archE1200ELNS1_3gpuE4ELNS1_3repE0EEENS1_30default_config_static_selectorELNS0_4arch9wavefront6targetE0EEEvT1_: ; @_ZN7rocprim17ROCPRIM_400000_NS6detail17trampoline_kernelINS0_14default_configENS1_27scan_by_key_config_selectorIixEEZZNS1_16scan_by_key_implILNS1_25lookback_scan_determinismE0ELb0ES3_N6thrust23THRUST_200600_302600_NS6detail15normal_iteratorINS9_10device_ptrIiEEEENSB_INSC_IxEEEESG_xNS9_4plusIvEENS9_8equal_toIvEExEE10hipError_tPvRmT2_T3_T4_T5_mT6_T7_P12ihipStream_tbENKUlT_T0_E_clISt17integral_constantIbLb1EES11_EEDaSW_SX_EUlSW_E_NS1_11comp_targetILNS1_3genE10ELNS1_11target_archE1200ELNS1_3gpuE4ELNS1_3repE0EEENS1_30default_config_static_selectorELNS0_4arch9wavefront6targetE0EEEvT1_
; %bb.0:
	.section	.rodata,"a",@progbits
	.p2align	6, 0x0
	.amdhsa_kernel _ZN7rocprim17ROCPRIM_400000_NS6detail17trampoline_kernelINS0_14default_configENS1_27scan_by_key_config_selectorIixEEZZNS1_16scan_by_key_implILNS1_25lookback_scan_determinismE0ELb0ES3_N6thrust23THRUST_200600_302600_NS6detail15normal_iteratorINS9_10device_ptrIiEEEENSB_INSC_IxEEEESG_xNS9_4plusIvEENS9_8equal_toIvEExEE10hipError_tPvRmT2_T3_T4_T5_mT6_T7_P12ihipStream_tbENKUlT_T0_E_clISt17integral_constantIbLb1EES11_EEDaSW_SX_EUlSW_E_NS1_11comp_targetILNS1_3genE10ELNS1_11target_archE1200ELNS1_3gpuE4ELNS1_3repE0EEENS1_30default_config_static_selectorELNS0_4arch9wavefront6targetE0EEEvT1_
		.amdhsa_group_segment_fixed_size 0
		.amdhsa_private_segment_fixed_size 0
		.amdhsa_kernarg_size 136
		.amdhsa_user_sgpr_count 2
		.amdhsa_user_sgpr_dispatch_ptr 0
		.amdhsa_user_sgpr_queue_ptr 0
		.amdhsa_user_sgpr_kernarg_segment_ptr 1
		.amdhsa_user_sgpr_dispatch_id 0
		.amdhsa_user_sgpr_kernarg_preload_length 0
		.amdhsa_user_sgpr_kernarg_preload_offset 0
		.amdhsa_user_sgpr_private_segment_size 0
		.amdhsa_wavefront_size32 1
		.amdhsa_uses_dynamic_stack 0
		.amdhsa_enable_private_segment 0
		.amdhsa_system_sgpr_workgroup_id_x 1
		.amdhsa_system_sgpr_workgroup_id_y 0
		.amdhsa_system_sgpr_workgroup_id_z 0
		.amdhsa_system_sgpr_workgroup_info 0
		.amdhsa_system_vgpr_workitem_id 0
		.amdhsa_next_free_vgpr 1
		.amdhsa_next_free_sgpr 1
		.amdhsa_named_barrier_count 0
		.amdhsa_reserve_vcc 0
		.amdhsa_float_round_mode_32 0
		.amdhsa_float_round_mode_16_64 0
		.amdhsa_float_denorm_mode_32 3
		.amdhsa_float_denorm_mode_16_64 3
		.amdhsa_fp16_overflow 0
		.amdhsa_memory_ordered 1
		.amdhsa_forward_progress 1
		.amdhsa_inst_pref_size 0
		.amdhsa_round_robin_scheduling 0
		.amdhsa_exception_fp_ieee_invalid_op 0
		.amdhsa_exception_fp_denorm_src 0
		.amdhsa_exception_fp_ieee_div_zero 0
		.amdhsa_exception_fp_ieee_overflow 0
		.amdhsa_exception_fp_ieee_underflow 0
		.amdhsa_exception_fp_ieee_inexact 0
		.amdhsa_exception_int_div_zero 0
	.end_amdhsa_kernel
	.section	.text._ZN7rocprim17ROCPRIM_400000_NS6detail17trampoline_kernelINS0_14default_configENS1_27scan_by_key_config_selectorIixEEZZNS1_16scan_by_key_implILNS1_25lookback_scan_determinismE0ELb0ES3_N6thrust23THRUST_200600_302600_NS6detail15normal_iteratorINS9_10device_ptrIiEEEENSB_INSC_IxEEEESG_xNS9_4plusIvEENS9_8equal_toIvEExEE10hipError_tPvRmT2_T3_T4_T5_mT6_T7_P12ihipStream_tbENKUlT_T0_E_clISt17integral_constantIbLb1EES11_EEDaSW_SX_EUlSW_E_NS1_11comp_targetILNS1_3genE10ELNS1_11target_archE1200ELNS1_3gpuE4ELNS1_3repE0EEENS1_30default_config_static_selectorELNS0_4arch9wavefront6targetE0EEEvT1_,"axG",@progbits,_ZN7rocprim17ROCPRIM_400000_NS6detail17trampoline_kernelINS0_14default_configENS1_27scan_by_key_config_selectorIixEEZZNS1_16scan_by_key_implILNS1_25lookback_scan_determinismE0ELb0ES3_N6thrust23THRUST_200600_302600_NS6detail15normal_iteratorINS9_10device_ptrIiEEEENSB_INSC_IxEEEESG_xNS9_4plusIvEENS9_8equal_toIvEExEE10hipError_tPvRmT2_T3_T4_T5_mT6_T7_P12ihipStream_tbENKUlT_T0_E_clISt17integral_constantIbLb1EES11_EEDaSW_SX_EUlSW_E_NS1_11comp_targetILNS1_3genE10ELNS1_11target_archE1200ELNS1_3gpuE4ELNS1_3repE0EEENS1_30default_config_static_selectorELNS0_4arch9wavefront6targetE0EEEvT1_,comdat
.Lfunc_end1327:
	.size	_ZN7rocprim17ROCPRIM_400000_NS6detail17trampoline_kernelINS0_14default_configENS1_27scan_by_key_config_selectorIixEEZZNS1_16scan_by_key_implILNS1_25lookback_scan_determinismE0ELb0ES3_N6thrust23THRUST_200600_302600_NS6detail15normal_iteratorINS9_10device_ptrIiEEEENSB_INSC_IxEEEESG_xNS9_4plusIvEENS9_8equal_toIvEExEE10hipError_tPvRmT2_T3_T4_T5_mT6_T7_P12ihipStream_tbENKUlT_T0_E_clISt17integral_constantIbLb1EES11_EEDaSW_SX_EUlSW_E_NS1_11comp_targetILNS1_3genE10ELNS1_11target_archE1200ELNS1_3gpuE4ELNS1_3repE0EEENS1_30default_config_static_selectorELNS0_4arch9wavefront6targetE0EEEvT1_, .Lfunc_end1327-_ZN7rocprim17ROCPRIM_400000_NS6detail17trampoline_kernelINS0_14default_configENS1_27scan_by_key_config_selectorIixEEZZNS1_16scan_by_key_implILNS1_25lookback_scan_determinismE0ELb0ES3_N6thrust23THRUST_200600_302600_NS6detail15normal_iteratorINS9_10device_ptrIiEEEENSB_INSC_IxEEEESG_xNS9_4plusIvEENS9_8equal_toIvEExEE10hipError_tPvRmT2_T3_T4_T5_mT6_T7_P12ihipStream_tbENKUlT_T0_E_clISt17integral_constantIbLb1EES11_EEDaSW_SX_EUlSW_E_NS1_11comp_targetILNS1_3genE10ELNS1_11target_archE1200ELNS1_3gpuE4ELNS1_3repE0EEENS1_30default_config_static_selectorELNS0_4arch9wavefront6targetE0EEEvT1_
                                        ; -- End function
	.set _ZN7rocprim17ROCPRIM_400000_NS6detail17trampoline_kernelINS0_14default_configENS1_27scan_by_key_config_selectorIixEEZZNS1_16scan_by_key_implILNS1_25lookback_scan_determinismE0ELb0ES3_N6thrust23THRUST_200600_302600_NS6detail15normal_iteratorINS9_10device_ptrIiEEEENSB_INSC_IxEEEESG_xNS9_4plusIvEENS9_8equal_toIvEExEE10hipError_tPvRmT2_T3_T4_T5_mT6_T7_P12ihipStream_tbENKUlT_T0_E_clISt17integral_constantIbLb1EES11_EEDaSW_SX_EUlSW_E_NS1_11comp_targetILNS1_3genE10ELNS1_11target_archE1200ELNS1_3gpuE4ELNS1_3repE0EEENS1_30default_config_static_selectorELNS0_4arch9wavefront6targetE0EEEvT1_.num_vgpr, 0
	.set _ZN7rocprim17ROCPRIM_400000_NS6detail17trampoline_kernelINS0_14default_configENS1_27scan_by_key_config_selectorIixEEZZNS1_16scan_by_key_implILNS1_25lookback_scan_determinismE0ELb0ES3_N6thrust23THRUST_200600_302600_NS6detail15normal_iteratorINS9_10device_ptrIiEEEENSB_INSC_IxEEEESG_xNS9_4plusIvEENS9_8equal_toIvEExEE10hipError_tPvRmT2_T3_T4_T5_mT6_T7_P12ihipStream_tbENKUlT_T0_E_clISt17integral_constantIbLb1EES11_EEDaSW_SX_EUlSW_E_NS1_11comp_targetILNS1_3genE10ELNS1_11target_archE1200ELNS1_3gpuE4ELNS1_3repE0EEENS1_30default_config_static_selectorELNS0_4arch9wavefront6targetE0EEEvT1_.num_agpr, 0
	.set _ZN7rocprim17ROCPRIM_400000_NS6detail17trampoline_kernelINS0_14default_configENS1_27scan_by_key_config_selectorIixEEZZNS1_16scan_by_key_implILNS1_25lookback_scan_determinismE0ELb0ES3_N6thrust23THRUST_200600_302600_NS6detail15normal_iteratorINS9_10device_ptrIiEEEENSB_INSC_IxEEEESG_xNS9_4plusIvEENS9_8equal_toIvEExEE10hipError_tPvRmT2_T3_T4_T5_mT6_T7_P12ihipStream_tbENKUlT_T0_E_clISt17integral_constantIbLb1EES11_EEDaSW_SX_EUlSW_E_NS1_11comp_targetILNS1_3genE10ELNS1_11target_archE1200ELNS1_3gpuE4ELNS1_3repE0EEENS1_30default_config_static_selectorELNS0_4arch9wavefront6targetE0EEEvT1_.numbered_sgpr, 0
	.set _ZN7rocprim17ROCPRIM_400000_NS6detail17trampoline_kernelINS0_14default_configENS1_27scan_by_key_config_selectorIixEEZZNS1_16scan_by_key_implILNS1_25lookback_scan_determinismE0ELb0ES3_N6thrust23THRUST_200600_302600_NS6detail15normal_iteratorINS9_10device_ptrIiEEEENSB_INSC_IxEEEESG_xNS9_4plusIvEENS9_8equal_toIvEExEE10hipError_tPvRmT2_T3_T4_T5_mT6_T7_P12ihipStream_tbENKUlT_T0_E_clISt17integral_constantIbLb1EES11_EEDaSW_SX_EUlSW_E_NS1_11comp_targetILNS1_3genE10ELNS1_11target_archE1200ELNS1_3gpuE4ELNS1_3repE0EEENS1_30default_config_static_selectorELNS0_4arch9wavefront6targetE0EEEvT1_.num_named_barrier, 0
	.set _ZN7rocprim17ROCPRIM_400000_NS6detail17trampoline_kernelINS0_14default_configENS1_27scan_by_key_config_selectorIixEEZZNS1_16scan_by_key_implILNS1_25lookback_scan_determinismE0ELb0ES3_N6thrust23THRUST_200600_302600_NS6detail15normal_iteratorINS9_10device_ptrIiEEEENSB_INSC_IxEEEESG_xNS9_4plusIvEENS9_8equal_toIvEExEE10hipError_tPvRmT2_T3_T4_T5_mT6_T7_P12ihipStream_tbENKUlT_T0_E_clISt17integral_constantIbLb1EES11_EEDaSW_SX_EUlSW_E_NS1_11comp_targetILNS1_3genE10ELNS1_11target_archE1200ELNS1_3gpuE4ELNS1_3repE0EEENS1_30default_config_static_selectorELNS0_4arch9wavefront6targetE0EEEvT1_.private_seg_size, 0
	.set _ZN7rocprim17ROCPRIM_400000_NS6detail17trampoline_kernelINS0_14default_configENS1_27scan_by_key_config_selectorIixEEZZNS1_16scan_by_key_implILNS1_25lookback_scan_determinismE0ELb0ES3_N6thrust23THRUST_200600_302600_NS6detail15normal_iteratorINS9_10device_ptrIiEEEENSB_INSC_IxEEEESG_xNS9_4plusIvEENS9_8equal_toIvEExEE10hipError_tPvRmT2_T3_T4_T5_mT6_T7_P12ihipStream_tbENKUlT_T0_E_clISt17integral_constantIbLb1EES11_EEDaSW_SX_EUlSW_E_NS1_11comp_targetILNS1_3genE10ELNS1_11target_archE1200ELNS1_3gpuE4ELNS1_3repE0EEENS1_30default_config_static_selectorELNS0_4arch9wavefront6targetE0EEEvT1_.uses_vcc, 0
	.set _ZN7rocprim17ROCPRIM_400000_NS6detail17trampoline_kernelINS0_14default_configENS1_27scan_by_key_config_selectorIixEEZZNS1_16scan_by_key_implILNS1_25lookback_scan_determinismE0ELb0ES3_N6thrust23THRUST_200600_302600_NS6detail15normal_iteratorINS9_10device_ptrIiEEEENSB_INSC_IxEEEESG_xNS9_4plusIvEENS9_8equal_toIvEExEE10hipError_tPvRmT2_T3_T4_T5_mT6_T7_P12ihipStream_tbENKUlT_T0_E_clISt17integral_constantIbLb1EES11_EEDaSW_SX_EUlSW_E_NS1_11comp_targetILNS1_3genE10ELNS1_11target_archE1200ELNS1_3gpuE4ELNS1_3repE0EEENS1_30default_config_static_selectorELNS0_4arch9wavefront6targetE0EEEvT1_.uses_flat_scratch, 0
	.set _ZN7rocprim17ROCPRIM_400000_NS6detail17trampoline_kernelINS0_14default_configENS1_27scan_by_key_config_selectorIixEEZZNS1_16scan_by_key_implILNS1_25lookback_scan_determinismE0ELb0ES3_N6thrust23THRUST_200600_302600_NS6detail15normal_iteratorINS9_10device_ptrIiEEEENSB_INSC_IxEEEESG_xNS9_4plusIvEENS9_8equal_toIvEExEE10hipError_tPvRmT2_T3_T4_T5_mT6_T7_P12ihipStream_tbENKUlT_T0_E_clISt17integral_constantIbLb1EES11_EEDaSW_SX_EUlSW_E_NS1_11comp_targetILNS1_3genE10ELNS1_11target_archE1200ELNS1_3gpuE4ELNS1_3repE0EEENS1_30default_config_static_selectorELNS0_4arch9wavefront6targetE0EEEvT1_.has_dyn_sized_stack, 0
	.set _ZN7rocprim17ROCPRIM_400000_NS6detail17trampoline_kernelINS0_14default_configENS1_27scan_by_key_config_selectorIixEEZZNS1_16scan_by_key_implILNS1_25lookback_scan_determinismE0ELb0ES3_N6thrust23THRUST_200600_302600_NS6detail15normal_iteratorINS9_10device_ptrIiEEEENSB_INSC_IxEEEESG_xNS9_4plusIvEENS9_8equal_toIvEExEE10hipError_tPvRmT2_T3_T4_T5_mT6_T7_P12ihipStream_tbENKUlT_T0_E_clISt17integral_constantIbLb1EES11_EEDaSW_SX_EUlSW_E_NS1_11comp_targetILNS1_3genE10ELNS1_11target_archE1200ELNS1_3gpuE4ELNS1_3repE0EEENS1_30default_config_static_selectorELNS0_4arch9wavefront6targetE0EEEvT1_.has_recursion, 0
	.set _ZN7rocprim17ROCPRIM_400000_NS6detail17trampoline_kernelINS0_14default_configENS1_27scan_by_key_config_selectorIixEEZZNS1_16scan_by_key_implILNS1_25lookback_scan_determinismE0ELb0ES3_N6thrust23THRUST_200600_302600_NS6detail15normal_iteratorINS9_10device_ptrIiEEEENSB_INSC_IxEEEESG_xNS9_4plusIvEENS9_8equal_toIvEExEE10hipError_tPvRmT2_T3_T4_T5_mT6_T7_P12ihipStream_tbENKUlT_T0_E_clISt17integral_constantIbLb1EES11_EEDaSW_SX_EUlSW_E_NS1_11comp_targetILNS1_3genE10ELNS1_11target_archE1200ELNS1_3gpuE4ELNS1_3repE0EEENS1_30default_config_static_selectorELNS0_4arch9wavefront6targetE0EEEvT1_.has_indirect_call, 0
	.section	.AMDGPU.csdata,"",@progbits
; Kernel info:
; codeLenInByte = 0
; TotalNumSgprs: 0
; NumVgprs: 0
; ScratchSize: 0
; MemoryBound: 0
; FloatMode: 240
; IeeeMode: 1
; LDSByteSize: 0 bytes/workgroup (compile time only)
; SGPRBlocks: 0
; VGPRBlocks: 0
; NumSGPRsForWavesPerEU: 1
; NumVGPRsForWavesPerEU: 1
; NamedBarCnt: 0
; Occupancy: 16
; WaveLimiterHint : 0
; COMPUTE_PGM_RSRC2:SCRATCH_EN: 0
; COMPUTE_PGM_RSRC2:USER_SGPR: 2
; COMPUTE_PGM_RSRC2:TRAP_HANDLER: 0
; COMPUTE_PGM_RSRC2:TGID_X_EN: 1
; COMPUTE_PGM_RSRC2:TGID_Y_EN: 0
; COMPUTE_PGM_RSRC2:TGID_Z_EN: 0
; COMPUTE_PGM_RSRC2:TIDIG_COMP_CNT: 0
	.section	.text._ZN7rocprim17ROCPRIM_400000_NS6detail17trampoline_kernelINS0_14default_configENS1_27scan_by_key_config_selectorIixEEZZNS1_16scan_by_key_implILNS1_25lookback_scan_determinismE0ELb0ES3_N6thrust23THRUST_200600_302600_NS6detail15normal_iteratorINS9_10device_ptrIiEEEENSB_INSC_IxEEEESG_xNS9_4plusIvEENS9_8equal_toIvEExEE10hipError_tPvRmT2_T3_T4_T5_mT6_T7_P12ihipStream_tbENKUlT_T0_E_clISt17integral_constantIbLb1EES11_EEDaSW_SX_EUlSW_E_NS1_11comp_targetILNS1_3genE9ELNS1_11target_archE1100ELNS1_3gpuE3ELNS1_3repE0EEENS1_30default_config_static_selectorELNS0_4arch9wavefront6targetE0EEEvT1_,"axG",@progbits,_ZN7rocprim17ROCPRIM_400000_NS6detail17trampoline_kernelINS0_14default_configENS1_27scan_by_key_config_selectorIixEEZZNS1_16scan_by_key_implILNS1_25lookback_scan_determinismE0ELb0ES3_N6thrust23THRUST_200600_302600_NS6detail15normal_iteratorINS9_10device_ptrIiEEEENSB_INSC_IxEEEESG_xNS9_4plusIvEENS9_8equal_toIvEExEE10hipError_tPvRmT2_T3_T4_T5_mT6_T7_P12ihipStream_tbENKUlT_T0_E_clISt17integral_constantIbLb1EES11_EEDaSW_SX_EUlSW_E_NS1_11comp_targetILNS1_3genE9ELNS1_11target_archE1100ELNS1_3gpuE3ELNS1_3repE0EEENS1_30default_config_static_selectorELNS0_4arch9wavefront6targetE0EEEvT1_,comdat
	.protected	_ZN7rocprim17ROCPRIM_400000_NS6detail17trampoline_kernelINS0_14default_configENS1_27scan_by_key_config_selectorIixEEZZNS1_16scan_by_key_implILNS1_25lookback_scan_determinismE0ELb0ES3_N6thrust23THRUST_200600_302600_NS6detail15normal_iteratorINS9_10device_ptrIiEEEENSB_INSC_IxEEEESG_xNS9_4plusIvEENS9_8equal_toIvEExEE10hipError_tPvRmT2_T3_T4_T5_mT6_T7_P12ihipStream_tbENKUlT_T0_E_clISt17integral_constantIbLb1EES11_EEDaSW_SX_EUlSW_E_NS1_11comp_targetILNS1_3genE9ELNS1_11target_archE1100ELNS1_3gpuE3ELNS1_3repE0EEENS1_30default_config_static_selectorELNS0_4arch9wavefront6targetE0EEEvT1_ ; -- Begin function _ZN7rocprim17ROCPRIM_400000_NS6detail17trampoline_kernelINS0_14default_configENS1_27scan_by_key_config_selectorIixEEZZNS1_16scan_by_key_implILNS1_25lookback_scan_determinismE0ELb0ES3_N6thrust23THRUST_200600_302600_NS6detail15normal_iteratorINS9_10device_ptrIiEEEENSB_INSC_IxEEEESG_xNS9_4plusIvEENS9_8equal_toIvEExEE10hipError_tPvRmT2_T3_T4_T5_mT6_T7_P12ihipStream_tbENKUlT_T0_E_clISt17integral_constantIbLb1EES11_EEDaSW_SX_EUlSW_E_NS1_11comp_targetILNS1_3genE9ELNS1_11target_archE1100ELNS1_3gpuE3ELNS1_3repE0EEENS1_30default_config_static_selectorELNS0_4arch9wavefront6targetE0EEEvT1_
	.globl	_ZN7rocprim17ROCPRIM_400000_NS6detail17trampoline_kernelINS0_14default_configENS1_27scan_by_key_config_selectorIixEEZZNS1_16scan_by_key_implILNS1_25lookback_scan_determinismE0ELb0ES3_N6thrust23THRUST_200600_302600_NS6detail15normal_iteratorINS9_10device_ptrIiEEEENSB_INSC_IxEEEESG_xNS9_4plusIvEENS9_8equal_toIvEExEE10hipError_tPvRmT2_T3_T4_T5_mT6_T7_P12ihipStream_tbENKUlT_T0_E_clISt17integral_constantIbLb1EES11_EEDaSW_SX_EUlSW_E_NS1_11comp_targetILNS1_3genE9ELNS1_11target_archE1100ELNS1_3gpuE3ELNS1_3repE0EEENS1_30default_config_static_selectorELNS0_4arch9wavefront6targetE0EEEvT1_
	.p2align	8
	.type	_ZN7rocprim17ROCPRIM_400000_NS6detail17trampoline_kernelINS0_14default_configENS1_27scan_by_key_config_selectorIixEEZZNS1_16scan_by_key_implILNS1_25lookback_scan_determinismE0ELb0ES3_N6thrust23THRUST_200600_302600_NS6detail15normal_iteratorINS9_10device_ptrIiEEEENSB_INSC_IxEEEESG_xNS9_4plusIvEENS9_8equal_toIvEExEE10hipError_tPvRmT2_T3_T4_T5_mT6_T7_P12ihipStream_tbENKUlT_T0_E_clISt17integral_constantIbLb1EES11_EEDaSW_SX_EUlSW_E_NS1_11comp_targetILNS1_3genE9ELNS1_11target_archE1100ELNS1_3gpuE3ELNS1_3repE0EEENS1_30default_config_static_selectorELNS0_4arch9wavefront6targetE0EEEvT1_,@function
_ZN7rocprim17ROCPRIM_400000_NS6detail17trampoline_kernelINS0_14default_configENS1_27scan_by_key_config_selectorIixEEZZNS1_16scan_by_key_implILNS1_25lookback_scan_determinismE0ELb0ES3_N6thrust23THRUST_200600_302600_NS6detail15normal_iteratorINS9_10device_ptrIiEEEENSB_INSC_IxEEEESG_xNS9_4plusIvEENS9_8equal_toIvEExEE10hipError_tPvRmT2_T3_T4_T5_mT6_T7_P12ihipStream_tbENKUlT_T0_E_clISt17integral_constantIbLb1EES11_EEDaSW_SX_EUlSW_E_NS1_11comp_targetILNS1_3genE9ELNS1_11target_archE1100ELNS1_3gpuE3ELNS1_3repE0EEENS1_30default_config_static_selectorELNS0_4arch9wavefront6targetE0EEEvT1_: ; @_ZN7rocprim17ROCPRIM_400000_NS6detail17trampoline_kernelINS0_14default_configENS1_27scan_by_key_config_selectorIixEEZZNS1_16scan_by_key_implILNS1_25lookback_scan_determinismE0ELb0ES3_N6thrust23THRUST_200600_302600_NS6detail15normal_iteratorINS9_10device_ptrIiEEEENSB_INSC_IxEEEESG_xNS9_4plusIvEENS9_8equal_toIvEExEE10hipError_tPvRmT2_T3_T4_T5_mT6_T7_P12ihipStream_tbENKUlT_T0_E_clISt17integral_constantIbLb1EES11_EEDaSW_SX_EUlSW_E_NS1_11comp_targetILNS1_3genE9ELNS1_11target_archE1100ELNS1_3gpuE3ELNS1_3repE0EEENS1_30default_config_static_selectorELNS0_4arch9wavefront6targetE0EEEvT1_
; %bb.0:
	.section	.rodata,"a",@progbits
	.p2align	6, 0x0
	.amdhsa_kernel _ZN7rocprim17ROCPRIM_400000_NS6detail17trampoline_kernelINS0_14default_configENS1_27scan_by_key_config_selectorIixEEZZNS1_16scan_by_key_implILNS1_25lookback_scan_determinismE0ELb0ES3_N6thrust23THRUST_200600_302600_NS6detail15normal_iteratorINS9_10device_ptrIiEEEENSB_INSC_IxEEEESG_xNS9_4plusIvEENS9_8equal_toIvEExEE10hipError_tPvRmT2_T3_T4_T5_mT6_T7_P12ihipStream_tbENKUlT_T0_E_clISt17integral_constantIbLb1EES11_EEDaSW_SX_EUlSW_E_NS1_11comp_targetILNS1_3genE9ELNS1_11target_archE1100ELNS1_3gpuE3ELNS1_3repE0EEENS1_30default_config_static_selectorELNS0_4arch9wavefront6targetE0EEEvT1_
		.amdhsa_group_segment_fixed_size 0
		.amdhsa_private_segment_fixed_size 0
		.amdhsa_kernarg_size 136
		.amdhsa_user_sgpr_count 2
		.amdhsa_user_sgpr_dispatch_ptr 0
		.amdhsa_user_sgpr_queue_ptr 0
		.amdhsa_user_sgpr_kernarg_segment_ptr 1
		.amdhsa_user_sgpr_dispatch_id 0
		.amdhsa_user_sgpr_kernarg_preload_length 0
		.amdhsa_user_sgpr_kernarg_preload_offset 0
		.amdhsa_user_sgpr_private_segment_size 0
		.amdhsa_wavefront_size32 1
		.amdhsa_uses_dynamic_stack 0
		.amdhsa_enable_private_segment 0
		.amdhsa_system_sgpr_workgroup_id_x 1
		.amdhsa_system_sgpr_workgroup_id_y 0
		.amdhsa_system_sgpr_workgroup_id_z 0
		.amdhsa_system_sgpr_workgroup_info 0
		.amdhsa_system_vgpr_workitem_id 0
		.amdhsa_next_free_vgpr 1
		.amdhsa_next_free_sgpr 1
		.amdhsa_named_barrier_count 0
		.amdhsa_reserve_vcc 0
		.amdhsa_float_round_mode_32 0
		.amdhsa_float_round_mode_16_64 0
		.amdhsa_float_denorm_mode_32 3
		.amdhsa_float_denorm_mode_16_64 3
		.amdhsa_fp16_overflow 0
		.amdhsa_memory_ordered 1
		.amdhsa_forward_progress 1
		.amdhsa_inst_pref_size 0
		.amdhsa_round_robin_scheduling 0
		.amdhsa_exception_fp_ieee_invalid_op 0
		.amdhsa_exception_fp_denorm_src 0
		.amdhsa_exception_fp_ieee_div_zero 0
		.amdhsa_exception_fp_ieee_overflow 0
		.amdhsa_exception_fp_ieee_underflow 0
		.amdhsa_exception_fp_ieee_inexact 0
		.amdhsa_exception_int_div_zero 0
	.end_amdhsa_kernel
	.section	.text._ZN7rocprim17ROCPRIM_400000_NS6detail17trampoline_kernelINS0_14default_configENS1_27scan_by_key_config_selectorIixEEZZNS1_16scan_by_key_implILNS1_25lookback_scan_determinismE0ELb0ES3_N6thrust23THRUST_200600_302600_NS6detail15normal_iteratorINS9_10device_ptrIiEEEENSB_INSC_IxEEEESG_xNS9_4plusIvEENS9_8equal_toIvEExEE10hipError_tPvRmT2_T3_T4_T5_mT6_T7_P12ihipStream_tbENKUlT_T0_E_clISt17integral_constantIbLb1EES11_EEDaSW_SX_EUlSW_E_NS1_11comp_targetILNS1_3genE9ELNS1_11target_archE1100ELNS1_3gpuE3ELNS1_3repE0EEENS1_30default_config_static_selectorELNS0_4arch9wavefront6targetE0EEEvT1_,"axG",@progbits,_ZN7rocprim17ROCPRIM_400000_NS6detail17trampoline_kernelINS0_14default_configENS1_27scan_by_key_config_selectorIixEEZZNS1_16scan_by_key_implILNS1_25lookback_scan_determinismE0ELb0ES3_N6thrust23THRUST_200600_302600_NS6detail15normal_iteratorINS9_10device_ptrIiEEEENSB_INSC_IxEEEESG_xNS9_4plusIvEENS9_8equal_toIvEExEE10hipError_tPvRmT2_T3_T4_T5_mT6_T7_P12ihipStream_tbENKUlT_T0_E_clISt17integral_constantIbLb1EES11_EEDaSW_SX_EUlSW_E_NS1_11comp_targetILNS1_3genE9ELNS1_11target_archE1100ELNS1_3gpuE3ELNS1_3repE0EEENS1_30default_config_static_selectorELNS0_4arch9wavefront6targetE0EEEvT1_,comdat
.Lfunc_end1328:
	.size	_ZN7rocprim17ROCPRIM_400000_NS6detail17trampoline_kernelINS0_14default_configENS1_27scan_by_key_config_selectorIixEEZZNS1_16scan_by_key_implILNS1_25lookback_scan_determinismE0ELb0ES3_N6thrust23THRUST_200600_302600_NS6detail15normal_iteratorINS9_10device_ptrIiEEEENSB_INSC_IxEEEESG_xNS9_4plusIvEENS9_8equal_toIvEExEE10hipError_tPvRmT2_T3_T4_T5_mT6_T7_P12ihipStream_tbENKUlT_T0_E_clISt17integral_constantIbLb1EES11_EEDaSW_SX_EUlSW_E_NS1_11comp_targetILNS1_3genE9ELNS1_11target_archE1100ELNS1_3gpuE3ELNS1_3repE0EEENS1_30default_config_static_selectorELNS0_4arch9wavefront6targetE0EEEvT1_, .Lfunc_end1328-_ZN7rocprim17ROCPRIM_400000_NS6detail17trampoline_kernelINS0_14default_configENS1_27scan_by_key_config_selectorIixEEZZNS1_16scan_by_key_implILNS1_25lookback_scan_determinismE0ELb0ES3_N6thrust23THRUST_200600_302600_NS6detail15normal_iteratorINS9_10device_ptrIiEEEENSB_INSC_IxEEEESG_xNS9_4plusIvEENS9_8equal_toIvEExEE10hipError_tPvRmT2_T3_T4_T5_mT6_T7_P12ihipStream_tbENKUlT_T0_E_clISt17integral_constantIbLb1EES11_EEDaSW_SX_EUlSW_E_NS1_11comp_targetILNS1_3genE9ELNS1_11target_archE1100ELNS1_3gpuE3ELNS1_3repE0EEENS1_30default_config_static_selectorELNS0_4arch9wavefront6targetE0EEEvT1_
                                        ; -- End function
	.set _ZN7rocprim17ROCPRIM_400000_NS6detail17trampoline_kernelINS0_14default_configENS1_27scan_by_key_config_selectorIixEEZZNS1_16scan_by_key_implILNS1_25lookback_scan_determinismE0ELb0ES3_N6thrust23THRUST_200600_302600_NS6detail15normal_iteratorINS9_10device_ptrIiEEEENSB_INSC_IxEEEESG_xNS9_4plusIvEENS9_8equal_toIvEExEE10hipError_tPvRmT2_T3_T4_T5_mT6_T7_P12ihipStream_tbENKUlT_T0_E_clISt17integral_constantIbLb1EES11_EEDaSW_SX_EUlSW_E_NS1_11comp_targetILNS1_3genE9ELNS1_11target_archE1100ELNS1_3gpuE3ELNS1_3repE0EEENS1_30default_config_static_selectorELNS0_4arch9wavefront6targetE0EEEvT1_.num_vgpr, 0
	.set _ZN7rocprim17ROCPRIM_400000_NS6detail17trampoline_kernelINS0_14default_configENS1_27scan_by_key_config_selectorIixEEZZNS1_16scan_by_key_implILNS1_25lookback_scan_determinismE0ELb0ES3_N6thrust23THRUST_200600_302600_NS6detail15normal_iteratorINS9_10device_ptrIiEEEENSB_INSC_IxEEEESG_xNS9_4plusIvEENS9_8equal_toIvEExEE10hipError_tPvRmT2_T3_T4_T5_mT6_T7_P12ihipStream_tbENKUlT_T0_E_clISt17integral_constantIbLb1EES11_EEDaSW_SX_EUlSW_E_NS1_11comp_targetILNS1_3genE9ELNS1_11target_archE1100ELNS1_3gpuE3ELNS1_3repE0EEENS1_30default_config_static_selectorELNS0_4arch9wavefront6targetE0EEEvT1_.num_agpr, 0
	.set _ZN7rocprim17ROCPRIM_400000_NS6detail17trampoline_kernelINS0_14default_configENS1_27scan_by_key_config_selectorIixEEZZNS1_16scan_by_key_implILNS1_25lookback_scan_determinismE0ELb0ES3_N6thrust23THRUST_200600_302600_NS6detail15normal_iteratorINS9_10device_ptrIiEEEENSB_INSC_IxEEEESG_xNS9_4plusIvEENS9_8equal_toIvEExEE10hipError_tPvRmT2_T3_T4_T5_mT6_T7_P12ihipStream_tbENKUlT_T0_E_clISt17integral_constantIbLb1EES11_EEDaSW_SX_EUlSW_E_NS1_11comp_targetILNS1_3genE9ELNS1_11target_archE1100ELNS1_3gpuE3ELNS1_3repE0EEENS1_30default_config_static_selectorELNS0_4arch9wavefront6targetE0EEEvT1_.numbered_sgpr, 0
	.set _ZN7rocprim17ROCPRIM_400000_NS6detail17trampoline_kernelINS0_14default_configENS1_27scan_by_key_config_selectorIixEEZZNS1_16scan_by_key_implILNS1_25lookback_scan_determinismE0ELb0ES3_N6thrust23THRUST_200600_302600_NS6detail15normal_iteratorINS9_10device_ptrIiEEEENSB_INSC_IxEEEESG_xNS9_4plusIvEENS9_8equal_toIvEExEE10hipError_tPvRmT2_T3_T4_T5_mT6_T7_P12ihipStream_tbENKUlT_T0_E_clISt17integral_constantIbLb1EES11_EEDaSW_SX_EUlSW_E_NS1_11comp_targetILNS1_3genE9ELNS1_11target_archE1100ELNS1_3gpuE3ELNS1_3repE0EEENS1_30default_config_static_selectorELNS0_4arch9wavefront6targetE0EEEvT1_.num_named_barrier, 0
	.set _ZN7rocprim17ROCPRIM_400000_NS6detail17trampoline_kernelINS0_14default_configENS1_27scan_by_key_config_selectorIixEEZZNS1_16scan_by_key_implILNS1_25lookback_scan_determinismE0ELb0ES3_N6thrust23THRUST_200600_302600_NS6detail15normal_iteratorINS9_10device_ptrIiEEEENSB_INSC_IxEEEESG_xNS9_4plusIvEENS9_8equal_toIvEExEE10hipError_tPvRmT2_T3_T4_T5_mT6_T7_P12ihipStream_tbENKUlT_T0_E_clISt17integral_constantIbLb1EES11_EEDaSW_SX_EUlSW_E_NS1_11comp_targetILNS1_3genE9ELNS1_11target_archE1100ELNS1_3gpuE3ELNS1_3repE0EEENS1_30default_config_static_selectorELNS0_4arch9wavefront6targetE0EEEvT1_.private_seg_size, 0
	.set _ZN7rocprim17ROCPRIM_400000_NS6detail17trampoline_kernelINS0_14default_configENS1_27scan_by_key_config_selectorIixEEZZNS1_16scan_by_key_implILNS1_25lookback_scan_determinismE0ELb0ES3_N6thrust23THRUST_200600_302600_NS6detail15normal_iteratorINS9_10device_ptrIiEEEENSB_INSC_IxEEEESG_xNS9_4plusIvEENS9_8equal_toIvEExEE10hipError_tPvRmT2_T3_T4_T5_mT6_T7_P12ihipStream_tbENKUlT_T0_E_clISt17integral_constantIbLb1EES11_EEDaSW_SX_EUlSW_E_NS1_11comp_targetILNS1_3genE9ELNS1_11target_archE1100ELNS1_3gpuE3ELNS1_3repE0EEENS1_30default_config_static_selectorELNS0_4arch9wavefront6targetE0EEEvT1_.uses_vcc, 0
	.set _ZN7rocprim17ROCPRIM_400000_NS6detail17trampoline_kernelINS0_14default_configENS1_27scan_by_key_config_selectorIixEEZZNS1_16scan_by_key_implILNS1_25lookback_scan_determinismE0ELb0ES3_N6thrust23THRUST_200600_302600_NS6detail15normal_iteratorINS9_10device_ptrIiEEEENSB_INSC_IxEEEESG_xNS9_4plusIvEENS9_8equal_toIvEExEE10hipError_tPvRmT2_T3_T4_T5_mT6_T7_P12ihipStream_tbENKUlT_T0_E_clISt17integral_constantIbLb1EES11_EEDaSW_SX_EUlSW_E_NS1_11comp_targetILNS1_3genE9ELNS1_11target_archE1100ELNS1_3gpuE3ELNS1_3repE0EEENS1_30default_config_static_selectorELNS0_4arch9wavefront6targetE0EEEvT1_.uses_flat_scratch, 0
	.set _ZN7rocprim17ROCPRIM_400000_NS6detail17trampoline_kernelINS0_14default_configENS1_27scan_by_key_config_selectorIixEEZZNS1_16scan_by_key_implILNS1_25lookback_scan_determinismE0ELb0ES3_N6thrust23THRUST_200600_302600_NS6detail15normal_iteratorINS9_10device_ptrIiEEEENSB_INSC_IxEEEESG_xNS9_4plusIvEENS9_8equal_toIvEExEE10hipError_tPvRmT2_T3_T4_T5_mT6_T7_P12ihipStream_tbENKUlT_T0_E_clISt17integral_constantIbLb1EES11_EEDaSW_SX_EUlSW_E_NS1_11comp_targetILNS1_3genE9ELNS1_11target_archE1100ELNS1_3gpuE3ELNS1_3repE0EEENS1_30default_config_static_selectorELNS0_4arch9wavefront6targetE0EEEvT1_.has_dyn_sized_stack, 0
	.set _ZN7rocprim17ROCPRIM_400000_NS6detail17trampoline_kernelINS0_14default_configENS1_27scan_by_key_config_selectorIixEEZZNS1_16scan_by_key_implILNS1_25lookback_scan_determinismE0ELb0ES3_N6thrust23THRUST_200600_302600_NS6detail15normal_iteratorINS9_10device_ptrIiEEEENSB_INSC_IxEEEESG_xNS9_4plusIvEENS9_8equal_toIvEExEE10hipError_tPvRmT2_T3_T4_T5_mT6_T7_P12ihipStream_tbENKUlT_T0_E_clISt17integral_constantIbLb1EES11_EEDaSW_SX_EUlSW_E_NS1_11comp_targetILNS1_3genE9ELNS1_11target_archE1100ELNS1_3gpuE3ELNS1_3repE0EEENS1_30default_config_static_selectorELNS0_4arch9wavefront6targetE0EEEvT1_.has_recursion, 0
	.set _ZN7rocprim17ROCPRIM_400000_NS6detail17trampoline_kernelINS0_14default_configENS1_27scan_by_key_config_selectorIixEEZZNS1_16scan_by_key_implILNS1_25lookback_scan_determinismE0ELb0ES3_N6thrust23THRUST_200600_302600_NS6detail15normal_iteratorINS9_10device_ptrIiEEEENSB_INSC_IxEEEESG_xNS9_4plusIvEENS9_8equal_toIvEExEE10hipError_tPvRmT2_T3_T4_T5_mT6_T7_P12ihipStream_tbENKUlT_T0_E_clISt17integral_constantIbLb1EES11_EEDaSW_SX_EUlSW_E_NS1_11comp_targetILNS1_3genE9ELNS1_11target_archE1100ELNS1_3gpuE3ELNS1_3repE0EEENS1_30default_config_static_selectorELNS0_4arch9wavefront6targetE0EEEvT1_.has_indirect_call, 0
	.section	.AMDGPU.csdata,"",@progbits
; Kernel info:
; codeLenInByte = 0
; TotalNumSgprs: 0
; NumVgprs: 0
; ScratchSize: 0
; MemoryBound: 0
; FloatMode: 240
; IeeeMode: 1
; LDSByteSize: 0 bytes/workgroup (compile time only)
; SGPRBlocks: 0
; VGPRBlocks: 0
; NumSGPRsForWavesPerEU: 1
; NumVGPRsForWavesPerEU: 1
; NamedBarCnt: 0
; Occupancy: 16
; WaveLimiterHint : 0
; COMPUTE_PGM_RSRC2:SCRATCH_EN: 0
; COMPUTE_PGM_RSRC2:USER_SGPR: 2
; COMPUTE_PGM_RSRC2:TRAP_HANDLER: 0
; COMPUTE_PGM_RSRC2:TGID_X_EN: 1
; COMPUTE_PGM_RSRC2:TGID_Y_EN: 0
; COMPUTE_PGM_RSRC2:TGID_Z_EN: 0
; COMPUTE_PGM_RSRC2:TIDIG_COMP_CNT: 0
	.section	.text._ZN7rocprim17ROCPRIM_400000_NS6detail17trampoline_kernelINS0_14default_configENS1_27scan_by_key_config_selectorIixEEZZNS1_16scan_by_key_implILNS1_25lookback_scan_determinismE0ELb0ES3_N6thrust23THRUST_200600_302600_NS6detail15normal_iteratorINS9_10device_ptrIiEEEENSB_INSC_IxEEEESG_xNS9_4plusIvEENS9_8equal_toIvEExEE10hipError_tPvRmT2_T3_T4_T5_mT6_T7_P12ihipStream_tbENKUlT_T0_E_clISt17integral_constantIbLb1EES11_EEDaSW_SX_EUlSW_E_NS1_11comp_targetILNS1_3genE8ELNS1_11target_archE1030ELNS1_3gpuE2ELNS1_3repE0EEENS1_30default_config_static_selectorELNS0_4arch9wavefront6targetE0EEEvT1_,"axG",@progbits,_ZN7rocprim17ROCPRIM_400000_NS6detail17trampoline_kernelINS0_14default_configENS1_27scan_by_key_config_selectorIixEEZZNS1_16scan_by_key_implILNS1_25lookback_scan_determinismE0ELb0ES3_N6thrust23THRUST_200600_302600_NS6detail15normal_iteratorINS9_10device_ptrIiEEEENSB_INSC_IxEEEESG_xNS9_4plusIvEENS9_8equal_toIvEExEE10hipError_tPvRmT2_T3_T4_T5_mT6_T7_P12ihipStream_tbENKUlT_T0_E_clISt17integral_constantIbLb1EES11_EEDaSW_SX_EUlSW_E_NS1_11comp_targetILNS1_3genE8ELNS1_11target_archE1030ELNS1_3gpuE2ELNS1_3repE0EEENS1_30default_config_static_selectorELNS0_4arch9wavefront6targetE0EEEvT1_,comdat
	.protected	_ZN7rocprim17ROCPRIM_400000_NS6detail17trampoline_kernelINS0_14default_configENS1_27scan_by_key_config_selectorIixEEZZNS1_16scan_by_key_implILNS1_25lookback_scan_determinismE0ELb0ES3_N6thrust23THRUST_200600_302600_NS6detail15normal_iteratorINS9_10device_ptrIiEEEENSB_INSC_IxEEEESG_xNS9_4plusIvEENS9_8equal_toIvEExEE10hipError_tPvRmT2_T3_T4_T5_mT6_T7_P12ihipStream_tbENKUlT_T0_E_clISt17integral_constantIbLb1EES11_EEDaSW_SX_EUlSW_E_NS1_11comp_targetILNS1_3genE8ELNS1_11target_archE1030ELNS1_3gpuE2ELNS1_3repE0EEENS1_30default_config_static_selectorELNS0_4arch9wavefront6targetE0EEEvT1_ ; -- Begin function _ZN7rocprim17ROCPRIM_400000_NS6detail17trampoline_kernelINS0_14default_configENS1_27scan_by_key_config_selectorIixEEZZNS1_16scan_by_key_implILNS1_25lookback_scan_determinismE0ELb0ES3_N6thrust23THRUST_200600_302600_NS6detail15normal_iteratorINS9_10device_ptrIiEEEENSB_INSC_IxEEEESG_xNS9_4plusIvEENS9_8equal_toIvEExEE10hipError_tPvRmT2_T3_T4_T5_mT6_T7_P12ihipStream_tbENKUlT_T0_E_clISt17integral_constantIbLb1EES11_EEDaSW_SX_EUlSW_E_NS1_11comp_targetILNS1_3genE8ELNS1_11target_archE1030ELNS1_3gpuE2ELNS1_3repE0EEENS1_30default_config_static_selectorELNS0_4arch9wavefront6targetE0EEEvT1_
	.globl	_ZN7rocprim17ROCPRIM_400000_NS6detail17trampoline_kernelINS0_14default_configENS1_27scan_by_key_config_selectorIixEEZZNS1_16scan_by_key_implILNS1_25lookback_scan_determinismE0ELb0ES3_N6thrust23THRUST_200600_302600_NS6detail15normal_iteratorINS9_10device_ptrIiEEEENSB_INSC_IxEEEESG_xNS9_4plusIvEENS9_8equal_toIvEExEE10hipError_tPvRmT2_T3_T4_T5_mT6_T7_P12ihipStream_tbENKUlT_T0_E_clISt17integral_constantIbLb1EES11_EEDaSW_SX_EUlSW_E_NS1_11comp_targetILNS1_3genE8ELNS1_11target_archE1030ELNS1_3gpuE2ELNS1_3repE0EEENS1_30default_config_static_selectorELNS0_4arch9wavefront6targetE0EEEvT1_
	.p2align	8
	.type	_ZN7rocprim17ROCPRIM_400000_NS6detail17trampoline_kernelINS0_14default_configENS1_27scan_by_key_config_selectorIixEEZZNS1_16scan_by_key_implILNS1_25lookback_scan_determinismE0ELb0ES3_N6thrust23THRUST_200600_302600_NS6detail15normal_iteratorINS9_10device_ptrIiEEEENSB_INSC_IxEEEESG_xNS9_4plusIvEENS9_8equal_toIvEExEE10hipError_tPvRmT2_T3_T4_T5_mT6_T7_P12ihipStream_tbENKUlT_T0_E_clISt17integral_constantIbLb1EES11_EEDaSW_SX_EUlSW_E_NS1_11comp_targetILNS1_3genE8ELNS1_11target_archE1030ELNS1_3gpuE2ELNS1_3repE0EEENS1_30default_config_static_selectorELNS0_4arch9wavefront6targetE0EEEvT1_,@function
_ZN7rocprim17ROCPRIM_400000_NS6detail17trampoline_kernelINS0_14default_configENS1_27scan_by_key_config_selectorIixEEZZNS1_16scan_by_key_implILNS1_25lookback_scan_determinismE0ELb0ES3_N6thrust23THRUST_200600_302600_NS6detail15normal_iteratorINS9_10device_ptrIiEEEENSB_INSC_IxEEEESG_xNS9_4plusIvEENS9_8equal_toIvEExEE10hipError_tPvRmT2_T3_T4_T5_mT6_T7_P12ihipStream_tbENKUlT_T0_E_clISt17integral_constantIbLb1EES11_EEDaSW_SX_EUlSW_E_NS1_11comp_targetILNS1_3genE8ELNS1_11target_archE1030ELNS1_3gpuE2ELNS1_3repE0EEENS1_30default_config_static_selectorELNS0_4arch9wavefront6targetE0EEEvT1_: ; @_ZN7rocprim17ROCPRIM_400000_NS6detail17trampoline_kernelINS0_14default_configENS1_27scan_by_key_config_selectorIixEEZZNS1_16scan_by_key_implILNS1_25lookback_scan_determinismE0ELb0ES3_N6thrust23THRUST_200600_302600_NS6detail15normal_iteratorINS9_10device_ptrIiEEEENSB_INSC_IxEEEESG_xNS9_4plusIvEENS9_8equal_toIvEExEE10hipError_tPvRmT2_T3_T4_T5_mT6_T7_P12ihipStream_tbENKUlT_T0_E_clISt17integral_constantIbLb1EES11_EEDaSW_SX_EUlSW_E_NS1_11comp_targetILNS1_3genE8ELNS1_11target_archE1030ELNS1_3gpuE2ELNS1_3repE0EEENS1_30default_config_static_selectorELNS0_4arch9wavefront6targetE0EEEvT1_
; %bb.0:
	.section	.rodata,"a",@progbits
	.p2align	6, 0x0
	.amdhsa_kernel _ZN7rocprim17ROCPRIM_400000_NS6detail17trampoline_kernelINS0_14default_configENS1_27scan_by_key_config_selectorIixEEZZNS1_16scan_by_key_implILNS1_25lookback_scan_determinismE0ELb0ES3_N6thrust23THRUST_200600_302600_NS6detail15normal_iteratorINS9_10device_ptrIiEEEENSB_INSC_IxEEEESG_xNS9_4plusIvEENS9_8equal_toIvEExEE10hipError_tPvRmT2_T3_T4_T5_mT6_T7_P12ihipStream_tbENKUlT_T0_E_clISt17integral_constantIbLb1EES11_EEDaSW_SX_EUlSW_E_NS1_11comp_targetILNS1_3genE8ELNS1_11target_archE1030ELNS1_3gpuE2ELNS1_3repE0EEENS1_30default_config_static_selectorELNS0_4arch9wavefront6targetE0EEEvT1_
		.amdhsa_group_segment_fixed_size 0
		.amdhsa_private_segment_fixed_size 0
		.amdhsa_kernarg_size 136
		.amdhsa_user_sgpr_count 2
		.amdhsa_user_sgpr_dispatch_ptr 0
		.amdhsa_user_sgpr_queue_ptr 0
		.amdhsa_user_sgpr_kernarg_segment_ptr 1
		.amdhsa_user_sgpr_dispatch_id 0
		.amdhsa_user_sgpr_kernarg_preload_length 0
		.amdhsa_user_sgpr_kernarg_preload_offset 0
		.amdhsa_user_sgpr_private_segment_size 0
		.amdhsa_wavefront_size32 1
		.amdhsa_uses_dynamic_stack 0
		.amdhsa_enable_private_segment 0
		.amdhsa_system_sgpr_workgroup_id_x 1
		.amdhsa_system_sgpr_workgroup_id_y 0
		.amdhsa_system_sgpr_workgroup_id_z 0
		.amdhsa_system_sgpr_workgroup_info 0
		.amdhsa_system_vgpr_workitem_id 0
		.amdhsa_next_free_vgpr 1
		.amdhsa_next_free_sgpr 1
		.amdhsa_named_barrier_count 0
		.amdhsa_reserve_vcc 0
		.amdhsa_float_round_mode_32 0
		.amdhsa_float_round_mode_16_64 0
		.amdhsa_float_denorm_mode_32 3
		.amdhsa_float_denorm_mode_16_64 3
		.amdhsa_fp16_overflow 0
		.amdhsa_memory_ordered 1
		.amdhsa_forward_progress 1
		.amdhsa_inst_pref_size 0
		.amdhsa_round_robin_scheduling 0
		.amdhsa_exception_fp_ieee_invalid_op 0
		.amdhsa_exception_fp_denorm_src 0
		.amdhsa_exception_fp_ieee_div_zero 0
		.amdhsa_exception_fp_ieee_overflow 0
		.amdhsa_exception_fp_ieee_underflow 0
		.amdhsa_exception_fp_ieee_inexact 0
		.amdhsa_exception_int_div_zero 0
	.end_amdhsa_kernel
	.section	.text._ZN7rocprim17ROCPRIM_400000_NS6detail17trampoline_kernelINS0_14default_configENS1_27scan_by_key_config_selectorIixEEZZNS1_16scan_by_key_implILNS1_25lookback_scan_determinismE0ELb0ES3_N6thrust23THRUST_200600_302600_NS6detail15normal_iteratorINS9_10device_ptrIiEEEENSB_INSC_IxEEEESG_xNS9_4plusIvEENS9_8equal_toIvEExEE10hipError_tPvRmT2_T3_T4_T5_mT6_T7_P12ihipStream_tbENKUlT_T0_E_clISt17integral_constantIbLb1EES11_EEDaSW_SX_EUlSW_E_NS1_11comp_targetILNS1_3genE8ELNS1_11target_archE1030ELNS1_3gpuE2ELNS1_3repE0EEENS1_30default_config_static_selectorELNS0_4arch9wavefront6targetE0EEEvT1_,"axG",@progbits,_ZN7rocprim17ROCPRIM_400000_NS6detail17trampoline_kernelINS0_14default_configENS1_27scan_by_key_config_selectorIixEEZZNS1_16scan_by_key_implILNS1_25lookback_scan_determinismE0ELb0ES3_N6thrust23THRUST_200600_302600_NS6detail15normal_iteratorINS9_10device_ptrIiEEEENSB_INSC_IxEEEESG_xNS9_4plusIvEENS9_8equal_toIvEExEE10hipError_tPvRmT2_T3_T4_T5_mT6_T7_P12ihipStream_tbENKUlT_T0_E_clISt17integral_constantIbLb1EES11_EEDaSW_SX_EUlSW_E_NS1_11comp_targetILNS1_3genE8ELNS1_11target_archE1030ELNS1_3gpuE2ELNS1_3repE0EEENS1_30default_config_static_selectorELNS0_4arch9wavefront6targetE0EEEvT1_,comdat
.Lfunc_end1329:
	.size	_ZN7rocprim17ROCPRIM_400000_NS6detail17trampoline_kernelINS0_14default_configENS1_27scan_by_key_config_selectorIixEEZZNS1_16scan_by_key_implILNS1_25lookback_scan_determinismE0ELb0ES3_N6thrust23THRUST_200600_302600_NS6detail15normal_iteratorINS9_10device_ptrIiEEEENSB_INSC_IxEEEESG_xNS9_4plusIvEENS9_8equal_toIvEExEE10hipError_tPvRmT2_T3_T4_T5_mT6_T7_P12ihipStream_tbENKUlT_T0_E_clISt17integral_constantIbLb1EES11_EEDaSW_SX_EUlSW_E_NS1_11comp_targetILNS1_3genE8ELNS1_11target_archE1030ELNS1_3gpuE2ELNS1_3repE0EEENS1_30default_config_static_selectorELNS0_4arch9wavefront6targetE0EEEvT1_, .Lfunc_end1329-_ZN7rocprim17ROCPRIM_400000_NS6detail17trampoline_kernelINS0_14default_configENS1_27scan_by_key_config_selectorIixEEZZNS1_16scan_by_key_implILNS1_25lookback_scan_determinismE0ELb0ES3_N6thrust23THRUST_200600_302600_NS6detail15normal_iteratorINS9_10device_ptrIiEEEENSB_INSC_IxEEEESG_xNS9_4plusIvEENS9_8equal_toIvEExEE10hipError_tPvRmT2_T3_T4_T5_mT6_T7_P12ihipStream_tbENKUlT_T0_E_clISt17integral_constantIbLb1EES11_EEDaSW_SX_EUlSW_E_NS1_11comp_targetILNS1_3genE8ELNS1_11target_archE1030ELNS1_3gpuE2ELNS1_3repE0EEENS1_30default_config_static_selectorELNS0_4arch9wavefront6targetE0EEEvT1_
                                        ; -- End function
	.set _ZN7rocprim17ROCPRIM_400000_NS6detail17trampoline_kernelINS0_14default_configENS1_27scan_by_key_config_selectorIixEEZZNS1_16scan_by_key_implILNS1_25lookback_scan_determinismE0ELb0ES3_N6thrust23THRUST_200600_302600_NS6detail15normal_iteratorINS9_10device_ptrIiEEEENSB_INSC_IxEEEESG_xNS9_4plusIvEENS9_8equal_toIvEExEE10hipError_tPvRmT2_T3_T4_T5_mT6_T7_P12ihipStream_tbENKUlT_T0_E_clISt17integral_constantIbLb1EES11_EEDaSW_SX_EUlSW_E_NS1_11comp_targetILNS1_3genE8ELNS1_11target_archE1030ELNS1_3gpuE2ELNS1_3repE0EEENS1_30default_config_static_selectorELNS0_4arch9wavefront6targetE0EEEvT1_.num_vgpr, 0
	.set _ZN7rocprim17ROCPRIM_400000_NS6detail17trampoline_kernelINS0_14default_configENS1_27scan_by_key_config_selectorIixEEZZNS1_16scan_by_key_implILNS1_25lookback_scan_determinismE0ELb0ES3_N6thrust23THRUST_200600_302600_NS6detail15normal_iteratorINS9_10device_ptrIiEEEENSB_INSC_IxEEEESG_xNS9_4plusIvEENS9_8equal_toIvEExEE10hipError_tPvRmT2_T3_T4_T5_mT6_T7_P12ihipStream_tbENKUlT_T0_E_clISt17integral_constantIbLb1EES11_EEDaSW_SX_EUlSW_E_NS1_11comp_targetILNS1_3genE8ELNS1_11target_archE1030ELNS1_3gpuE2ELNS1_3repE0EEENS1_30default_config_static_selectorELNS0_4arch9wavefront6targetE0EEEvT1_.num_agpr, 0
	.set _ZN7rocprim17ROCPRIM_400000_NS6detail17trampoline_kernelINS0_14default_configENS1_27scan_by_key_config_selectorIixEEZZNS1_16scan_by_key_implILNS1_25lookback_scan_determinismE0ELb0ES3_N6thrust23THRUST_200600_302600_NS6detail15normal_iteratorINS9_10device_ptrIiEEEENSB_INSC_IxEEEESG_xNS9_4plusIvEENS9_8equal_toIvEExEE10hipError_tPvRmT2_T3_T4_T5_mT6_T7_P12ihipStream_tbENKUlT_T0_E_clISt17integral_constantIbLb1EES11_EEDaSW_SX_EUlSW_E_NS1_11comp_targetILNS1_3genE8ELNS1_11target_archE1030ELNS1_3gpuE2ELNS1_3repE0EEENS1_30default_config_static_selectorELNS0_4arch9wavefront6targetE0EEEvT1_.numbered_sgpr, 0
	.set _ZN7rocprim17ROCPRIM_400000_NS6detail17trampoline_kernelINS0_14default_configENS1_27scan_by_key_config_selectorIixEEZZNS1_16scan_by_key_implILNS1_25lookback_scan_determinismE0ELb0ES3_N6thrust23THRUST_200600_302600_NS6detail15normal_iteratorINS9_10device_ptrIiEEEENSB_INSC_IxEEEESG_xNS9_4plusIvEENS9_8equal_toIvEExEE10hipError_tPvRmT2_T3_T4_T5_mT6_T7_P12ihipStream_tbENKUlT_T0_E_clISt17integral_constantIbLb1EES11_EEDaSW_SX_EUlSW_E_NS1_11comp_targetILNS1_3genE8ELNS1_11target_archE1030ELNS1_3gpuE2ELNS1_3repE0EEENS1_30default_config_static_selectorELNS0_4arch9wavefront6targetE0EEEvT1_.num_named_barrier, 0
	.set _ZN7rocprim17ROCPRIM_400000_NS6detail17trampoline_kernelINS0_14default_configENS1_27scan_by_key_config_selectorIixEEZZNS1_16scan_by_key_implILNS1_25lookback_scan_determinismE0ELb0ES3_N6thrust23THRUST_200600_302600_NS6detail15normal_iteratorINS9_10device_ptrIiEEEENSB_INSC_IxEEEESG_xNS9_4plusIvEENS9_8equal_toIvEExEE10hipError_tPvRmT2_T3_T4_T5_mT6_T7_P12ihipStream_tbENKUlT_T0_E_clISt17integral_constantIbLb1EES11_EEDaSW_SX_EUlSW_E_NS1_11comp_targetILNS1_3genE8ELNS1_11target_archE1030ELNS1_3gpuE2ELNS1_3repE0EEENS1_30default_config_static_selectorELNS0_4arch9wavefront6targetE0EEEvT1_.private_seg_size, 0
	.set _ZN7rocprim17ROCPRIM_400000_NS6detail17trampoline_kernelINS0_14default_configENS1_27scan_by_key_config_selectorIixEEZZNS1_16scan_by_key_implILNS1_25lookback_scan_determinismE0ELb0ES3_N6thrust23THRUST_200600_302600_NS6detail15normal_iteratorINS9_10device_ptrIiEEEENSB_INSC_IxEEEESG_xNS9_4plusIvEENS9_8equal_toIvEExEE10hipError_tPvRmT2_T3_T4_T5_mT6_T7_P12ihipStream_tbENKUlT_T0_E_clISt17integral_constantIbLb1EES11_EEDaSW_SX_EUlSW_E_NS1_11comp_targetILNS1_3genE8ELNS1_11target_archE1030ELNS1_3gpuE2ELNS1_3repE0EEENS1_30default_config_static_selectorELNS0_4arch9wavefront6targetE0EEEvT1_.uses_vcc, 0
	.set _ZN7rocprim17ROCPRIM_400000_NS6detail17trampoline_kernelINS0_14default_configENS1_27scan_by_key_config_selectorIixEEZZNS1_16scan_by_key_implILNS1_25lookback_scan_determinismE0ELb0ES3_N6thrust23THRUST_200600_302600_NS6detail15normal_iteratorINS9_10device_ptrIiEEEENSB_INSC_IxEEEESG_xNS9_4plusIvEENS9_8equal_toIvEExEE10hipError_tPvRmT2_T3_T4_T5_mT6_T7_P12ihipStream_tbENKUlT_T0_E_clISt17integral_constantIbLb1EES11_EEDaSW_SX_EUlSW_E_NS1_11comp_targetILNS1_3genE8ELNS1_11target_archE1030ELNS1_3gpuE2ELNS1_3repE0EEENS1_30default_config_static_selectorELNS0_4arch9wavefront6targetE0EEEvT1_.uses_flat_scratch, 0
	.set _ZN7rocprim17ROCPRIM_400000_NS6detail17trampoline_kernelINS0_14default_configENS1_27scan_by_key_config_selectorIixEEZZNS1_16scan_by_key_implILNS1_25lookback_scan_determinismE0ELb0ES3_N6thrust23THRUST_200600_302600_NS6detail15normal_iteratorINS9_10device_ptrIiEEEENSB_INSC_IxEEEESG_xNS9_4plusIvEENS9_8equal_toIvEExEE10hipError_tPvRmT2_T3_T4_T5_mT6_T7_P12ihipStream_tbENKUlT_T0_E_clISt17integral_constantIbLb1EES11_EEDaSW_SX_EUlSW_E_NS1_11comp_targetILNS1_3genE8ELNS1_11target_archE1030ELNS1_3gpuE2ELNS1_3repE0EEENS1_30default_config_static_selectorELNS0_4arch9wavefront6targetE0EEEvT1_.has_dyn_sized_stack, 0
	.set _ZN7rocprim17ROCPRIM_400000_NS6detail17trampoline_kernelINS0_14default_configENS1_27scan_by_key_config_selectorIixEEZZNS1_16scan_by_key_implILNS1_25lookback_scan_determinismE0ELb0ES3_N6thrust23THRUST_200600_302600_NS6detail15normal_iteratorINS9_10device_ptrIiEEEENSB_INSC_IxEEEESG_xNS9_4plusIvEENS9_8equal_toIvEExEE10hipError_tPvRmT2_T3_T4_T5_mT6_T7_P12ihipStream_tbENKUlT_T0_E_clISt17integral_constantIbLb1EES11_EEDaSW_SX_EUlSW_E_NS1_11comp_targetILNS1_3genE8ELNS1_11target_archE1030ELNS1_3gpuE2ELNS1_3repE0EEENS1_30default_config_static_selectorELNS0_4arch9wavefront6targetE0EEEvT1_.has_recursion, 0
	.set _ZN7rocprim17ROCPRIM_400000_NS6detail17trampoline_kernelINS0_14default_configENS1_27scan_by_key_config_selectorIixEEZZNS1_16scan_by_key_implILNS1_25lookback_scan_determinismE0ELb0ES3_N6thrust23THRUST_200600_302600_NS6detail15normal_iteratorINS9_10device_ptrIiEEEENSB_INSC_IxEEEESG_xNS9_4plusIvEENS9_8equal_toIvEExEE10hipError_tPvRmT2_T3_T4_T5_mT6_T7_P12ihipStream_tbENKUlT_T0_E_clISt17integral_constantIbLb1EES11_EEDaSW_SX_EUlSW_E_NS1_11comp_targetILNS1_3genE8ELNS1_11target_archE1030ELNS1_3gpuE2ELNS1_3repE0EEENS1_30default_config_static_selectorELNS0_4arch9wavefront6targetE0EEEvT1_.has_indirect_call, 0
	.section	.AMDGPU.csdata,"",@progbits
; Kernel info:
; codeLenInByte = 0
; TotalNumSgprs: 0
; NumVgprs: 0
; ScratchSize: 0
; MemoryBound: 0
; FloatMode: 240
; IeeeMode: 1
; LDSByteSize: 0 bytes/workgroup (compile time only)
; SGPRBlocks: 0
; VGPRBlocks: 0
; NumSGPRsForWavesPerEU: 1
; NumVGPRsForWavesPerEU: 1
; NamedBarCnt: 0
; Occupancy: 16
; WaveLimiterHint : 0
; COMPUTE_PGM_RSRC2:SCRATCH_EN: 0
; COMPUTE_PGM_RSRC2:USER_SGPR: 2
; COMPUTE_PGM_RSRC2:TRAP_HANDLER: 0
; COMPUTE_PGM_RSRC2:TGID_X_EN: 1
; COMPUTE_PGM_RSRC2:TGID_Y_EN: 0
; COMPUTE_PGM_RSRC2:TGID_Z_EN: 0
; COMPUTE_PGM_RSRC2:TIDIG_COMP_CNT: 0
	.section	.text._ZN7rocprim17ROCPRIM_400000_NS6detail30init_device_scan_by_key_kernelINS1_19lookback_scan_stateINS0_5tupleIJxbEEELb1ELb0EEEN6thrust23THRUST_200600_302600_NS6detail15normal_iteratorINS8_10device_ptrIiEEEEjNS1_16block_id_wrapperIjLb0EEEEEvT_jjPNSG_10value_typeET0_PNSt15iterator_traitsISJ_E10value_typeEmT1_T2_,"axG",@progbits,_ZN7rocprim17ROCPRIM_400000_NS6detail30init_device_scan_by_key_kernelINS1_19lookback_scan_stateINS0_5tupleIJxbEEELb1ELb0EEEN6thrust23THRUST_200600_302600_NS6detail15normal_iteratorINS8_10device_ptrIiEEEEjNS1_16block_id_wrapperIjLb0EEEEEvT_jjPNSG_10value_typeET0_PNSt15iterator_traitsISJ_E10value_typeEmT1_T2_,comdat
	.protected	_ZN7rocprim17ROCPRIM_400000_NS6detail30init_device_scan_by_key_kernelINS1_19lookback_scan_stateINS0_5tupleIJxbEEELb1ELb0EEEN6thrust23THRUST_200600_302600_NS6detail15normal_iteratorINS8_10device_ptrIiEEEEjNS1_16block_id_wrapperIjLb0EEEEEvT_jjPNSG_10value_typeET0_PNSt15iterator_traitsISJ_E10value_typeEmT1_T2_ ; -- Begin function _ZN7rocprim17ROCPRIM_400000_NS6detail30init_device_scan_by_key_kernelINS1_19lookback_scan_stateINS0_5tupleIJxbEEELb1ELb0EEEN6thrust23THRUST_200600_302600_NS6detail15normal_iteratorINS8_10device_ptrIiEEEEjNS1_16block_id_wrapperIjLb0EEEEEvT_jjPNSG_10value_typeET0_PNSt15iterator_traitsISJ_E10value_typeEmT1_T2_
	.globl	_ZN7rocprim17ROCPRIM_400000_NS6detail30init_device_scan_by_key_kernelINS1_19lookback_scan_stateINS0_5tupleIJxbEEELb1ELb0EEEN6thrust23THRUST_200600_302600_NS6detail15normal_iteratorINS8_10device_ptrIiEEEEjNS1_16block_id_wrapperIjLb0EEEEEvT_jjPNSG_10value_typeET0_PNSt15iterator_traitsISJ_E10value_typeEmT1_T2_
	.p2align	8
	.type	_ZN7rocprim17ROCPRIM_400000_NS6detail30init_device_scan_by_key_kernelINS1_19lookback_scan_stateINS0_5tupleIJxbEEELb1ELb0EEEN6thrust23THRUST_200600_302600_NS6detail15normal_iteratorINS8_10device_ptrIiEEEEjNS1_16block_id_wrapperIjLb0EEEEEvT_jjPNSG_10value_typeET0_PNSt15iterator_traitsISJ_E10value_typeEmT1_T2_,@function
_ZN7rocprim17ROCPRIM_400000_NS6detail30init_device_scan_by_key_kernelINS1_19lookback_scan_stateINS0_5tupleIJxbEEELb1ELb0EEEN6thrust23THRUST_200600_302600_NS6detail15normal_iteratorINS8_10device_ptrIiEEEEjNS1_16block_id_wrapperIjLb0EEEEEvT_jjPNSG_10value_typeET0_PNSt15iterator_traitsISJ_E10value_typeEmT1_T2_: ; @_ZN7rocprim17ROCPRIM_400000_NS6detail30init_device_scan_by_key_kernelINS1_19lookback_scan_stateINS0_5tupleIJxbEEELb1ELb0EEEN6thrust23THRUST_200600_302600_NS6detail15normal_iteratorINS8_10device_ptrIiEEEEjNS1_16block_id_wrapperIjLb0EEEEEvT_jjPNSG_10value_typeET0_PNSt15iterator_traitsISJ_E10value_typeEmT1_T2_
; %bb.0:
	s_clause 0x2
	s_load_b32 s2, s[0:1], 0x54
	s_load_b32 s18, s[0:1], 0x48
	s_load_b256 s[4:11], s[0:1], 0x10
	s_bfe_u32 s3, ttmp6, 0x4000c
	s_and_b32 s12, ttmp6, 15
	s_add_co_i32 s3, s3, 1
	s_getreg_b32 s13, hwreg(HW_REG_IB_STS2, 6, 4)
	s_mul_i32 s3, ttmp9, s3
	s_delay_alu instid0(SALU_CYCLE_1)
	s_add_co_i32 s12, s12, s3
	s_wait_kmcnt 0x0
	s_and_b32 s19, s2, 0xffff
	s_cmp_eq_u32 s13, 0
	s_cselect_b32 s2, ttmp9, s12
	s_cmp_eq_u64 s[8:9], 0
	v_mad_u32 v0, s2, s19, v0
	s_cbranch_scc1 .LBB1330_9
; %bb.1:
	s_cmp_lt_u32 s7, s6
	s_mov_b32 s20, exec_lo
	s_cselect_b32 s2, s7, 0
	s_delay_alu instid0(VALU_DEP_1) | instid1(SALU_CYCLE_1)
	v_cmpx_eq_u32_e64 s2, v0
	s_cbranch_execz .LBB1330_8
; %bb.2:
	s_add_co_i32 s2, s7, 32
	s_load_b128 s[12:15], s[0:1], 0x0
	v_mov_b32_e32 v1, s2
	s_mov_b32 s3, 0
	global_load_u8 v1, v1, s[4:5] scope:SCOPE_DEV
	s_wait_loadcnt 0x0
	v_and_b32_e32 v2, 0xffff, v1
	v_readfirstlane_b32 s21, v1
	s_delay_alu instid0(VALU_DEP_2)
	v_cmp_ne_u32_e32 vcc_lo, 0, v2
	s_cbranch_vccnz .LBB1330_7
; %bb.3:
	v_mov_b32_e32 v1, 0
	s_add_nc_u64 s[16:17], s[4:5], s[2:3]
	s_mov_b32 s7, 1
.LBB1330_4:                             ; =>This Loop Header: Depth=1
                                        ;     Child Loop BB1330_5 Depth 2
	s_delay_alu instid0(SALU_CYCLE_1)
	s_mov_b32 s21, s7
.LBB1330_5:                             ;   Parent Loop BB1330_4 Depth=1
                                        ; =>  This Inner Loop Header: Depth=2
	s_delay_alu instid0(SALU_CYCLE_1)
	s_add_co_i32 s21, s21, -1
	s_sleep 1
	s_cmp_eq_u32 s21, 0
	s_cbranch_scc0 .LBB1330_5
; %bb.6:                                ;   in Loop: Header=BB1330_4 Depth=1
	global_load_u8 v2, v1, s[16:17] scope:SCOPE_DEV
	s_cmp_lt_u32 s7, 32
	s_cselect_b32 s21, -1, 0
	s_delay_alu instid0(SALU_CYCLE_1) | instskip(SKIP_4) | instid1(VALU_DEP_2)
	s_cmp_lg_u32 s21, 0
	s_add_co_ci_u32 s7, s7, 0
	s_wait_loadcnt 0x0
	v_and_b32_e32 v3, 0xffff, v2
	v_readfirstlane_b32 s21, v2
	v_cmp_ne_u32_e32 vcc_lo, 0, v3
	s_cbranch_vccz .LBB1330_4
.LBB1330_7:
	s_and_b32 s7, 0xffff, s21
	v_mov_b32_e32 v1, 0
	s_cmp_eq_u32 s7, 1
	global_wb scope:SCOPE_DEV
	s_wait_storecnt 0x0
	global_inv scope:SCOPE_DEV
	s_wait_kmcnt 0x0
	s_cselect_b32 s13, s13, s15
	s_cselect_b32 s12, s12, s14
	s_lshl_b64 s[2:3], s[2:3], 4
	s_delay_alu instid0(SALU_CYCLE_1)
	s_add_nc_u64 s[2:3], s[12:13], s[2:3]
	s_clause 0x1
	global_load_b64 v[2:3], v1, s[2:3]
	global_load_u8 v4, v1, s[2:3] offset:8
	s_wait_loadcnt 0x1
	global_store_b64 v1, v[2:3], s[8:9]
	s_wait_loadcnt 0x0
	global_store_b8 v1, v4, s[8:9] offset:8
.LBB1330_8:
	s_wait_xcnt 0x0
	s_or_b32 exec_lo, exec_lo, s20
.LBB1330_9:
	s_delay_alu instid0(SALU_CYCLE_1) | instskip(NEXT) | instid1(VALU_DEP_1)
	s_mov_b32 s2, exec_lo
	v_cmpx_gt_u32_e64 s6, v0
	s_cbranch_execz .LBB1330_11
; %bb.10:
	v_dual_mov_b32 v2, 0 :: v_dual_add_nc_u32 v1, 32, v0
	global_store_b8 v1, v2, s[4:5]
.LBB1330_11:
	s_wait_xcnt 0x0
	s_or_b32 exec_lo, exec_lo, s2
	v_mov_b32_e32 v1, 0
	s_mov_b32 s2, exec_lo
	v_cmpx_gt_u32_e32 32, v0
	s_cbranch_execz .LBB1330_13
; %bb.12:
	s_delay_alu instid0(VALU_DEP_2)
	v_add_nc_u64_e32 v[2:3], s[4:5], v[0:1]
	v_mov_b32_e32 v4, 0xff
	global_store_b8 v[2:3], v4, off
.LBB1330_13:
	s_wait_xcnt 0x0
	s_or_b32 exec_lo, exec_lo, s2
	s_load_b64 s[2:3], s[0:1], 0x38
	s_mov_b32 s4, exec_lo
	s_wait_kmcnt 0x0
	v_cmpx_gt_u64_e64 s[2:3], v[0:1]
	s_cbranch_execz .LBB1330_16
; %bb.14:
	s_clause 0x1
	s_load_b32 s4, s[0:1], 0x40
	s_load_b64 s[6:7], s[0:1], 0x30
	s_mov_b32 s5, 0
	s_wait_xcnt 0x0
	s_mul_i32 s0, s18, s19
	s_mov_b32 s9, s5
	s_mov_b32 s1, s5
	s_wait_kmcnt 0x0
	v_mul_u64_e32 v[2:3], s[4:5], v[0:1]
	s_add_co_i32 s8, s4, -1
	v_lshl_add_u64 v[4:5], v[0:1], 2, s[6:7]
	s_lshl_b64 s[8:9], s[8:9], 2
	s_delay_alu instid0(SALU_CYCLE_1) | instskip(SKIP_1) | instid1(SALU_CYCLE_1)
	s_add_nc_u64 s[8:9], s[10:11], s[8:9]
	s_mul_u64 s[10:11], s[4:5], s[0:1]
	s_lshl_b64 s[6:7], s[10:11], 2
	s_delay_alu instid0(VALU_DEP_2)
	v_lshl_add_u64 v[2:3], v[2:3], 2, s[8:9]
	s_lshl_b64 s[8:9], s[0:1], 2
.LBB1330_15:                            ; =>This Inner Loop Header: Depth=1
	global_load_b32 v6, v[2:3], off
	v_add_nc_u64_e32 v[0:1], s[0:1], v[0:1]
	s_wait_xcnt 0x0
	v_add_nc_u64_e32 v[2:3], s[6:7], v[2:3]
	s_delay_alu instid0(VALU_DEP_2)
	v_cmp_le_u64_e32 vcc_lo, s[2:3], v[0:1]
	s_or_b32 s5, vcc_lo, s5
	s_wait_loadcnt 0x0
	global_store_b32 v[4:5], v6, off
	s_wait_xcnt 0x0
	v_add_nc_u64_e32 v[4:5], s[8:9], v[4:5]
	s_and_not1_b32 exec_lo, exec_lo, s5
	s_cbranch_execnz .LBB1330_15
.LBB1330_16:
	s_endpgm
	.section	.rodata,"a",@progbits
	.p2align	6, 0x0
	.amdhsa_kernel _ZN7rocprim17ROCPRIM_400000_NS6detail30init_device_scan_by_key_kernelINS1_19lookback_scan_stateINS0_5tupleIJxbEEELb1ELb0EEEN6thrust23THRUST_200600_302600_NS6detail15normal_iteratorINS8_10device_ptrIiEEEEjNS1_16block_id_wrapperIjLb0EEEEEvT_jjPNSG_10value_typeET0_PNSt15iterator_traitsISJ_E10value_typeEmT1_T2_
		.amdhsa_group_segment_fixed_size 0
		.amdhsa_private_segment_fixed_size 0
		.amdhsa_kernarg_size 328
		.amdhsa_user_sgpr_count 2
		.amdhsa_user_sgpr_dispatch_ptr 0
		.amdhsa_user_sgpr_queue_ptr 0
		.amdhsa_user_sgpr_kernarg_segment_ptr 1
		.amdhsa_user_sgpr_dispatch_id 0
		.amdhsa_user_sgpr_kernarg_preload_length 0
		.amdhsa_user_sgpr_kernarg_preload_offset 0
		.amdhsa_user_sgpr_private_segment_size 0
		.amdhsa_wavefront_size32 1
		.amdhsa_uses_dynamic_stack 0
		.amdhsa_enable_private_segment 0
		.amdhsa_system_sgpr_workgroup_id_x 1
		.amdhsa_system_sgpr_workgroup_id_y 0
		.amdhsa_system_sgpr_workgroup_id_z 0
		.amdhsa_system_sgpr_workgroup_info 0
		.amdhsa_system_vgpr_workitem_id 0
		.amdhsa_next_free_vgpr 7
		.amdhsa_next_free_sgpr 22
		.amdhsa_named_barrier_count 0
		.amdhsa_reserve_vcc 1
		.amdhsa_float_round_mode_32 0
		.amdhsa_float_round_mode_16_64 0
		.amdhsa_float_denorm_mode_32 3
		.amdhsa_float_denorm_mode_16_64 3
		.amdhsa_fp16_overflow 0
		.amdhsa_memory_ordered 1
		.amdhsa_forward_progress 1
		.amdhsa_inst_pref_size 6
		.amdhsa_round_robin_scheduling 0
		.amdhsa_exception_fp_ieee_invalid_op 0
		.amdhsa_exception_fp_denorm_src 0
		.amdhsa_exception_fp_ieee_div_zero 0
		.amdhsa_exception_fp_ieee_overflow 0
		.amdhsa_exception_fp_ieee_underflow 0
		.amdhsa_exception_fp_ieee_inexact 0
		.amdhsa_exception_int_div_zero 0
	.end_amdhsa_kernel
	.section	.text._ZN7rocprim17ROCPRIM_400000_NS6detail30init_device_scan_by_key_kernelINS1_19lookback_scan_stateINS0_5tupleIJxbEEELb1ELb0EEEN6thrust23THRUST_200600_302600_NS6detail15normal_iteratorINS8_10device_ptrIiEEEEjNS1_16block_id_wrapperIjLb0EEEEEvT_jjPNSG_10value_typeET0_PNSt15iterator_traitsISJ_E10value_typeEmT1_T2_,"axG",@progbits,_ZN7rocprim17ROCPRIM_400000_NS6detail30init_device_scan_by_key_kernelINS1_19lookback_scan_stateINS0_5tupleIJxbEEELb1ELb0EEEN6thrust23THRUST_200600_302600_NS6detail15normal_iteratorINS8_10device_ptrIiEEEEjNS1_16block_id_wrapperIjLb0EEEEEvT_jjPNSG_10value_typeET0_PNSt15iterator_traitsISJ_E10value_typeEmT1_T2_,comdat
.Lfunc_end1330:
	.size	_ZN7rocprim17ROCPRIM_400000_NS6detail30init_device_scan_by_key_kernelINS1_19lookback_scan_stateINS0_5tupleIJxbEEELb1ELb0EEEN6thrust23THRUST_200600_302600_NS6detail15normal_iteratorINS8_10device_ptrIiEEEEjNS1_16block_id_wrapperIjLb0EEEEEvT_jjPNSG_10value_typeET0_PNSt15iterator_traitsISJ_E10value_typeEmT1_T2_, .Lfunc_end1330-_ZN7rocprim17ROCPRIM_400000_NS6detail30init_device_scan_by_key_kernelINS1_19lookback_scan_stateINS0_5tupleIJxbEEELb1ELb0EEEN6thrust23THRUST_200600_302600_NS6detail15normal_iteratorINS8_10device_ptrIiEEEEjNS1_16block_id_wrapperIjLb0EEEEEvT_jjPNSG_10value_typeET0_PNSt15iterator_traitsISJ_E10value_typeEmT1_T2_
                                        ; -- End function
	.set _ZN7rocprim17ROCPRIM_400000_NS6detail30init_device_scan_by_key_kernelINS1_19lookback_scan_stateINS0_5tupleIJxbEEELb1ELb0EEEN6thrust23THRUST_200600_302600_NS6detail15normal_iteratorINS8_10device_ptrIiEEEEjNS1_16block_id_wrapperIjLb0EEEEEvT_jjPNSG_10value_typeET0_PNSt15iterator_traitsISJ_E10value_typeEmT1_T2_.num_vgpr, 7
	.set _ZN7rocprim17ROCPRIM_400000_NS6detail30init_device_scan_by_key_kernelINS1_19lookback_scan_stateINS0_5tupleIJxbEEELb1ELb0EEEN6thrust23THRUST_200600_302600_NS6detail15normal_iteratorINS8_10device_ptrIiEEEEjNS1_16block_id_wrapperIjLb0EEEEEvT_jjPNSG_10value_typeET0_PNSt15iterator_traitsISJ_E10value_typeEmT1_T2_.num_agpr, 0
	.set _ZN7rocprim17ROCPRIM_400000_NS6detail30init_device_scan_by_key_kernelINS1_19lookback_scan_stateINS0_5tupleIJxbEEELb1ELb0EEEN6thrust23THRUST_200600_302600_NS6detail15normal_iteratorINS8_10device_ptrIiEEEEjNS1_16block_id_wrapperIjLb0EEEEEvT_jjPNSG_10value_typeET0_PNSt15iterator_traitsISJ_E10value_typeEmT1_T2_.numbered_sgpr, 22
	.set _ZN7rocprim17ROCPRIM_400000_NS6detail30init_device_scan_by_key_kernelINS1_19lookback_scan_stateINS0_5tupleIJxbEEELb1ELb0EEEN6thrust23THRUST_200600_302600_NS6detail15normal_iteratorINS8_10device_ptrIiEEEEjNS1_16block_id_wrapperIjLb0EEEEEvT_jjPNSG_10value_typeET0_PNSt15iterator_traitsISJ_E10value_typeEmT1_T2_.num_named_barrier, 0
	.set _ZN7rocprim17ROCPRIM_400000_NS6detail30init_device_scan_by_key_kernelINS1_19lookback_scan_stateINS0_5tupleIJxbEEELb1ELb0EEEN6thrust23THRUST_200600_302600_NS6detail15normal_iteratorINS8_10device_ptrIiEEEEjNS1_16block_id_wrapperIjLb0EEEEEvT_jjPNSG_10value_typeET0_PNSt15iterator_traitsISJ_E10value_typeEmT1_T2_.private_seg_size, 0
	.set _ZN7rocprim17ROCPRIM_400000_NS6detail30init_device_scan_by_key_kernelINS1_19lookback_scan_stateINS0_5tupleIJxbEEELb1ELb0EEEN6thrust23THRUST_200600_302600_NS6detail15normal_iteratorINS8_10device_ptrIiEEEEjNS1_16block_id_wrapperIjLb0EEEEEvT_jjPNSG_10value_typeET0_PNSt15iterator_traitsISJ_E10value_typeEmT1_T2_.uses_vcc, 1
	.set _ZN7rocprim17ROCPRIM_400000_NS6detail30init_device_scan_by_key_kernelINS1_19lookback_scan_stateINS0_5tupleIJxbEEELb1ELb0EEEN6thrust23THRUST_200600_302600_NS6detail15normal_iteratorINS8_10device_ptrIiEEEEjNS1_16block_id_wrapperIjLb0EEEEEvT_jjPNSG_10value_typeET0_PNSt15iterator_traitsISJ_E10value_typeEmT1_T2_.uses_flat_scratch, 0
	.set _ZN7rocprim17ROCPRIM_400000_NS6detail30init_device_scan_by_key_kernelINS1_19lookback_scan_stateINS0_5tupleIJxbEEELb1ELb0EEEN6thrust23THRUST_200600_302600_NS6detail15normal_iteratorINS8_10device_ptrIiEEEEjNS1_16block_id_wrapperIjLb0EEEEEvT_jjPNSG_10value_typeET0_PNSt15iterator_traitsISJ_E10value_typeEmT1_T2_.has_dyn_sized_stack, 0
	.set _ZN7rocprim17ROCPRIM_400000_NS6detail30init_device_scan_by_key_kernelINS1_19lookback_scan_stateINS0_5tupleIJxbEEELb1ELb0EEEN6thrust23THRUST_200600_302600_NS6detail15normal_iteratorINS8_10device_ptrIiEEEEjNS1_16block_id_wrapperIjLb0EEEEEvT_jjPNSG_10value_typeET0_PNSt15iterator_traitsISJ_E10value_typeEmT1_T2_.has_recursion, 0
	.set _ZN7rocprim17ROCPRIM_400000_NS6detail30init_device_scan_by_key_kernelINS1_19lookback_scan_stateINS0_5tupleIJxbEEELb1ELb0EEEN6thrust23THRUST_200600_302600_NS6detail15normal_iteratorINS8_10device_ptrIiEEEEjNS1_16block_id_wrapperIjLb0EEEEEvT_jjPNSG_10value_typeET0_PNSt15iterator_traitsISJ_E10value_typeEmT1_T2_.has_indirect_call, 0
	.section	.AMDGPU.csdata,"",@progbits
; Kernel info:
; codeLenInByte = 712
; TotalNumSgprs: 24
; NumVgprs: 7
; ScratchSize: 0
; MemoryBound: 0
; FloatMode: 240
; IeeeMode: 1
; LDSByteSize: 0 bytes/workgroup (compile time only)
; SGPRBlocks: 0
; VGPRBlocks: 0
; NumSGPRsForWavesPerEU: 24
; NumVGPRsForWavesPerEU: 7
; NamedBarCnt: 0
; Occupancy: 16
; WaveLimiterHint : 0
; COMPUTE_PGM_RSRC2:SCRATCH_EN: 0
; COMPUTE_PGM_RSRC2:USER_SGPR: 2
; COMPUTE_PGM_RSRC2:TRAP_HANDLER: 0
; COMPUTE_PGM_RSRC2:TGID_X_EN: 1
; COMPUTE_PGM_RSRC2:TGID_Y_EN: 0
; COMPUTE_PGM_RSRC2:TGID_Z_EN: 0
; COMPUTE_PGM_RSRC2:TIDIG_COMP_CNT: 0
	.section	.text._ZN7rocprim17ROCPRIM_400000_NS6detail17trampoline_kernelINS0_14default_configENS1_27scan_by_key_config_selectorIixEEZZNS1_16scan_by_key_implILNS1_25lookback_scan_determinismE0ELb0ES3_N6thrust23THRUST_200600_302600_NS6detail15normal_iteratorINS9_10device_ptrIiEEEENSB_INSC_IxEEEESG_xNS9_4plusIvEENS9_8equal_toIvEExEE10hipError_tPvRmT2_T3_T4_T5_mT6_T7_P12ihipStream_tbENKUlT_T0_E_clISt17integral_constantIbLb1EES10_IbLb0EEEEDaSW_SX_EUlSW_E_NS1_11comp_targetILNS1_3genE0ELNS1_11target_archE4294967295ELNS1_3gpuE0ELNS1_3repE0EEENS1_30default_config_static_selectorELNS0_4arch9wavefront6targetE0EEEvT1_,"axG",@progbits,_ZN7rocprim17ROCPRIM_400000_NS6detail17trampoline_kernelINS0_14default_configENS1_27scan_by_key_config_selectorIixEEZZNS1_16scan_by_key_implILNS1_25lookback_scan_determinismE0ELb0ES3_N6thrust23THRUST_200600_302600_NS6detail15normal_iteratorINS9_10device_ptrIiEEEENSB_INSC_IxEEEESG_xNS9_4plusIvEENS9_8equal_toIvEExEE10hipError_tPvRmT2_T3_T4_T5_mT6_T7_P12ihipStream_tbENKUlT_T0_E_clISt17integral_constantIbLb1EES10_IbLb0EEEEDaSW_SX_EUlSW_E_NS1_11comp_targetILNS1_3genE0ELNS1_11target_archE4294967295ELNS1_3gpuE0ELNS1_3repE0EEENS1_30default_config_static_selectorELNS0_4arch9wavefront6targetE0EEEvT1_,comdat
	.protected	_ZN7rocprim17ROCPRIM_400000_NS6detail17trampoline_kernelINS0_14default_configENS1_27scan_by_key_config_selectorIixEEZZNS1_16scan_by_key_implILNS1_25lookback_scan_determinismE0ELb0ES3_N6thrust23THRUST_200600_302600_NS6detail15normal_iteratorINS9_10device_ptrIiEEEENSB_INSC_IxEEEESG_xNS9_4plusIvEENS9_8equal_toIvEExEE10hipError_tPvRmT2_T3_T4_T5_mT6_T7_P12ihipStream_tbENKUlT_T0_E_clISt17integral_constantIbLb1EES10_IbLb0EEEEDaSW_SX_EUlSW_E_NS1_11comp_targetILNS1_3genE0ELNS1_11target_archE4294967295ELNS1_3gpuE0ELNS1_3repE0EEENS1_30default_config_static_selectorELNS0_4arch9wavefront6targetE0EEEvT1_ ; -- Begin function _ZN7rocprim17ROCPRIM_400000_NS6detail17trampoline_kernelINS0_14default_configENS1_27scan_by_key_config_selectorIixEEZZNS1_16scan_by_key_implILNS1_25lookback_scan_determinismE0ELb0ES3_N6thrust23THRUST_200600_302600_NS6detail15normal_iteratorINS9_10device_ptrIiEEEENSB_INSC_IxEEEESG_xNS9_4plusIvEENS9_8equal_toIvEExEE10hipError_tPvRmT2_T3_T4_T5_mT6_T7_P12ihipStream_tbENKUlT_T0_E_clISt17integral_constantIbLb1EES10_IbLb0EEEEDaSW_SX_EUlSW_E_NS1_11comp_targetILNS1_3genE0ELNS1_11target_archE4294967295ELNS1_3gpuE0ELNS1_3repE0EEENS1_30default_config_static_selectorELNS0_4arch9wavefront6targetE0EEEvT1_
	.globl	_ZN7rocprim17ROCPRIM_400000_NS6detail17trampoline_kernelINS0_14default_configENS1_27scan_by_key_config_selectorIixEEZZNS1_16scan_by_key_implILNS1_25lookback_scan_determinismE0ELb0ES3_N6thrust23THRUST_200600_302600_NS6detail15normal_iteratorINS9_10device_ptrIiEEEENSB_INSC_IxEEEESG_xNS9_4plusIvEENS9_8equal_toIvEExEE10hipError_tPvRmT2_T3_T4_T5_mT6_T7_P12ihipStream_tbENKUlT_T0_E_clISt17integral_constantIbLb1EES10_IbLb0EEEEDaSW_SX_EUlSW_E_NS1_11comp_targetILNS1_3genE0ELNS1_11target_archE4294967295ELNS1_3gpuE0ELNS1_3repE0EEENS1_30default_config_static_selectorELNS0_4arch9wavefront6targetE0EEEvT1_
	.p2align	8
	.type	_ZN7rocprim17ROCPRIM_400000_NS6detail17trampoline_kernelINS0_14default_configENS1_27scan_by_key_config_selectorIixEEZZNS1_16scan_by_key_implILNS1_25lookback_scan_determinismE0ELb0ES3_N6thrust23THRUST_200600_302600_NS6detail15normal_iteratorINS9_10device_ptrIiEEEENSB_INSC_IxEEEESG_xNS9_4plusIvEENS9_8equal_toIvEExEE10hipError_tPvRmT2_T3_T4_T5_mT6_T7_P12ihipStream_tbENKUlT_T0_E_clISt17integral_constantIbLb1EES10_IbLb0EEEEDaSW_SX_EUlSW_E_NS1_11comp_targetILNS1_3genE0ELNS1_11target_archE4294967295ELNS1_3gpuE0ELNS1_3repE0EEENS1_30default_config_static_selectorELNS0_4arch9wavefront6targetE0EEEvT1_,@function
_ZN7rocprim17ROCPRIM_400000_NS6detail17trampoline_kernelINS0_14default_configENS1_27scan_by_key_config_selectorIixEEZZNS1_16scan_by_key_implILNS1_25lookback_scan_determinismE0ELb0ES3_N6thrust23THRUST_200600_302600_NS6detail15normal_iteratorINS9_10device_ptrIiEEEENSB_INSC_IxEEEESG_xNS9_4plusIvEENS9_8equal_toIvEExEE10hipError_tPvRmT2_T3_T4_T5_mT6_T7_P12ihipStream_tbENKUlT_T0_E_clISt17integral_constantIbLb1EES10_IbLb0EEEEDaSW_SX_EUlSW_E_NS1_11comp_targetILNS1_3genE0ELNS1_11target_archE4294967295ELNS1_3gpuE0ELNS1_3repE0EEENS1_30default_config_static_selectorELNS0_4arch9wavefront6targetE0EEEvT1_: ; @_ZN7rocprim17ROCPRIM_400000_NS6detail17trampoline_kernelINS0_14default_configENS1_27scan_by_key_config_selectorIixEEZZNS1_16scan_by_key_implILNS1_25lookback_scan_determinismE0ELb0ES3_N6thrust23THRUST_200600_302600_NS6detail15normal_iteratorINS9_10device_ptrIiEEEENSB_INSC_IxEEEESG_xNS9_4plusIvEENS9_8equal_toIvEExEE10hipError_tPvRmT2_T3_T4_T5_mT6_T7_P12ihipStream_tbENKUlT_T0_E_clISt17integral_constantIbLb1EES10_IbLb0EEEEDaSW_SX_EUlSW_E_NS1_11comp_targetILNS1_3genE0ELNS1_11target_archE4294967295ELNS1_3gpuE0ELNS1_3repE0EEENS1_30default_config_static_selectorELNS0_4arch9wavefront6targetE0EEEvT1_
; %bb.0:
	s_endpgm
	.section	.rodata,"a",@progbits
	.p2align	6, 0x0
	.amdhsa_kernel _ZN7rocprim17ROCPRIM_400000_NS6detail17trampoline_kernelINS0_14default_configENS1_27scan_by_key_config_selectorIixEEZZNS1_16scan_by_key_implILNS1_25lookback_scan_determinismE0ELb0ES3_N6thrust23THRUST_200600_302600_NS6detail15normal_iteratorINS9_10device_ptrIiEEEENSB_INSC_IxEEEESG_xNS9_4plusIvEENS9_8equal_toIvEExEE10hipError_tPvRmT2_T3_T4_T5_mT6_T7_P12ihipStream_tbENKUlT_T0_E_clISt17integral_constantIbLb1EES10_IbLb0EEEEDaSW_SX_EUlSW_E_NS1_11comp_targetILNS1_3genE0ELNS1_11target_archE4294967295ELNS1_3gpuE0ELNS1_3repE0EEENS1_30default_config_static_selectorELNS0_4arch9wavefront6targetE0EEEvT1_
		.amdhsa_group_segment_fixed_size 0
		.amdhsa_private_segment_fixed_size 0
		.amdhsa_kernarg_size 136
		.amdhsa_user_sgpr_count 2
		.amdhsa_user_sgpr_dispatch_ptr 0
		.amdhsa_user_sgpr_queue_ptr 0
		.amdhsa_user_sgpr_kernarg_segment_ptr 1
		.amdhsa_user_sgpr_dispatch_id 0
		.amdhsa_user_sgpr_kernarg_preload_length 0
		.amdhsa_user_sgpr_kernarg_preload_offset 0
		.amdhsa_user_sgpr_private_segment_size 0
		.amdhsa_wavefront_size32 1
		.amdhsa_uses_dynamic_stack 0
		.amdhsa_enable_private_segment 0
		.amdhsa_system_sgpr_workgroup_id_x 1
		.amdhsa_system_sgpr_workgroup_id_y 0
		.amdhsa_system_sgpr_workgroup_id_z 0
		.amdhsa_system_sgpr_workgroup_info 0
		.amdhsa_system_vgpr_workitem_id 0
		.amdhsa_next_free_vgpr 1
		.amdhsa_next_free_sgpr 1
		.amdhsa_named_barrier_count 0
		.amdhsa_reserve_vcc 0
		.amdhsa_float_round_mode_32 0
		.amdhsa_float_round_mode_16_64 0
		.amdhsa_float_denorm_mode_32 3
		.amdhsa_float_denorm_mode_16_64 3
		.amdhsa_fp16_overflow 0
		.amdhsa_memory_ordered 1
		.amdhsa_forward_progress 1
		.amdhsa_inst_pref_size 1
		.amdhsa_round_robin_scheduling 0
		.amdhsa_exception_fp_ieee_invalid_op 0
		.amdhsa_exception_fp_denorm_src 0
		.amdhsa_exception_fp_ieee_div_zero 0
		.amdhsa_exception_fp_ieee_overflow 0
		.amdhsa_exception_fp_ieee_underflow 0
		.amdhsa_exception_fp_ieee_inexact 0
		.amdhsa_exception_int_div_zero 0
	.end_amdhsa_kernel
	.section	.text._ZN7rocprim17ROCPRIM_400000_NS6detail17trampoline_kernelINS0_14default_configENS1_27scan_by_key_config_selectorIixEEZZNS1_16scan_by_key_implILNS1_25lookback_scan_determinismE0ELb0ES3_N6thrust23THRUST_200600_302600_NS6detail15normal_iteratorINS9_10device_ptrIiEEEENSB_INSC_IxEEEESG_xNS9_4plusIvEENS9_8equal_toIvEExEE10hipError_tPvRmT2_T3_T4_T5_mT6_T7_P12ihipStream_tbENKUlT_T0_E_clISt17integral_constantIbLb1EES10_IbLb0EEEEDaSW_SX_EUlSW_E_NS1_11comp_targetILNS1_3genE0ELNS1_11target_archE4294967295ELNS1_3gpuE0ELNS1_3repE0EEENS1_30default_config_static_selectorELNS0_4arch9wavefront6targetE0EEEvT1_,"axG",@progbits,_ZN7rocprim17ROCPRIM_400000_NS6detail17trampoline_kernelINS0_14default_configENS1_27scan_by_key_config_selectorIixEEZZNS1_16scan_by_key_implILNS1_25lookback_scan_determinismE0ELb0ES3_N6thrust23THRUST_200600_302600_NS6detail15normal_iteratorINS9_10device_ptrIiEEEENSB_INSC_IxEEEESG_xNS9_4plusIvEENS9_8equal_toIvEExEE10hipError_tPvRmT2_T3_T4_T5_mT6_T7_P12ihipStream_tbENKUlT_T0_E_clISt17integral_constantIbLb1EES10_IbLb0EEEEDaSW_SX_EUlSW_E_NS1_11comp_targetILNS1_3genE0ELNS1_11target_archE4294967295ELNS1_3gpuE0ELNS1_3repE0EEENS1_30default_config_static_selectorELNS0_4arch9wavefront6targetE0EEEvT1_,comdat
.Lfunc_end1331:
	.size	_ZN7rocprim17ROCPRIM_400000_NS6detail17trampoline_kernelINS0_14default_configENS1_27scan_by_key_config_selectorIixEEZZNS1_16scan_by_key_implILNS1_25lookback_scan_determinismE0ELb0ES3_N6thrust23THRUST_200600_302600_NS6detail15normal_iteratorINS9_10device_ptrIiEEEENSB_INSC_IxEEEESG_xNS9_4plusIvEENS9_8equal_toIvEExEE10hipError_tPvRmT2_T3_T4_T5_mT6_T7_P12ihipStream_tbENKUlT_T0_E_clISt17integral_constantIbLb1EES10_IbLb0EEEEDaSW_SX_EUlSW_E_NS1_11comp_targetILNS1_3genE0ELNS1_11target_archE4294967295ELNS1_3gpuE0ELNS1_3repE0EEENS1_30default_config_static_selectorELNS0_4arch9wavefront6targetE0EEEvT1_, .Lfunc_end1331-_ZN7rocprim17ROCPRIM_400000_NS6detail17trampoline_kernelINS0_14default_configENS1_27scan_by_key_config_selectorIixEEZZNS1_16scan_by_key_implILNS1_25lookback_scan_determinismE0ELb0ES3_N6thrust23THRUST_200600_302600_NS6detail15normal_iteratorINS9_10device_ptrIiEEEENSB_INSC_IxEEEESG_xNS9_4plusIvEENS9_8equal_toIvEExEE10hipError_tPvRmT2_T3_T4_T5_mT6_T7_P12ihipStream_tbENKUlT_T0_E_clISt17integral_constantIbLb1EES10_IbLb0EEEEDaSW_SX_EUlSW_E_NS1_11comp_targetILNS1_3genE0ELNS1_11target_archE4294967295ELNS1_3gpuE0ELNS1_3repE0EEENS1_30default_config_static_selectorELNS0_4arch9wavefront6targetE0EEEvT1_
                                        ; -- End function
	.set _ZN7rocprim17ROCPRIM_400000_NS6detail17trampoline_kernelINS0_14default_configENS1_27scan_by_key_config_selectorIixEEZZNS1_16scan_by_key_implILNS1_25lookback_scan_determinismE0ELb0ES3_N6thrust23THRUST_200600_302600_NS6detail15normal_iteratorINS9_10device_ptrIiEEEENSB_INSC_IxEEEESG_xNS9_4plusIvEENS9_8equal_toIvEExEE10hipError_tPvRmT2_T3_T4_T5_mT6_T7_P12ihipStream_tbENKUlT_T0_E_clISt17integral_constantIbLb1EES10_IbLb0EEEEDaSW_SX_EUlSW_E_NS1_11comp_targetILNS1_3genE0ELNS1_11target_archE4294967295ELNS1_3gpuE0ELNS1_3repE0EEENS1_30default_config_static_selectorELNS0_4arch9wavefront6targetE0EEEvT1_.num_vgpr, 0
	.set _ZN7rocprim17ROCPRIM_400000_NS6detail17trampoline_kernelINS0_14default_configENS1_27scan_by_key_config_selectorIixEEZZNS1_16scan_by_key_implILNS1_25lookback_scan_determinismE0ELb0ES3_N6thrust23THRUST_200600_302600_NS6detail15normal_iteratorINS9_10device_ptrIiEEEENSB_INSC_IxEEEESG_xNS9_4plusIvEENS9_8equal_toIvEExEE10hipError_tPvRmT2_T3_T4_T5_mT6_T7_P12ihipStream_tbENKUlT_T0_E_clISt17integral_constantIbLb1EES10_IbLb0EEEEDaSW_SX_EUlSW_E_NS1_11comp_targetILNS1_3genE0ELNS1_11target_archE4294967295ELNS1_3gpuE0ELNS1_3repE0EEENS1_30default_config_static_selectorELNS0_4arch9wavefront6targetE0EEEvT1_.num_agpr, 0
	.set _ZN7rocprim17ROCPRIM_400000_NS6detail17trampoline_kernelINS0_14default_configENS1_27scan_by_key_config_selectorIixEEZZNS1_16scan_by_key_implILNS1_25lookback_scan_determinismE0ELb0ES3_N6thrust23THRUST_200600_302600_NS6detail15normal_iteratorINS9_10device_ptrIiEEEENSB_INSC_IxEEEESG_xNS9_4plusIvEENS9_8equal_toIvEExEE10hipError_tPvRmT2_T3_T4_T5_mT6_T7_P12ihipStream_tbENKUlT_T0_E_clISt17integral_constantIbLb1EES10_IbLb0EEEEDaSW_SX_EUlSW_E_NS1_11comp_targetILNS1_3genE0ELNS1_11target_archE4294967295ELNS1_3gpuE0ELNS1_3repE0EEENS1_30default_config_static_selectorELNS0_4arch9wavefront6targetE0EEEvT1_.numbered_sgpr, 0
	.set _ZN7rocprim17ROCPRIM_400000_NS6detail17trampoline_kernelINS0_14default_configENS1_27scan_by_key_config_selectorIixEEZZNS1_16scan_by_key_implILNS1_25lookback_scan_determinismE0ELb0ES3_N6thrust23THRUST_200600_302600_NS6detail15normal_iteratorINS9_10device_ptrIiEEEENSB_INSC_IxEEEESG_xNS9_4plusIvEENS9_8equal_toIvEExEE10hipError_tPvRmT2_T3_T4_T5_mT6_T7_P12ihipStream_tbENKUlT_T0_E_clISt17integral_constantIbLb1EES10_IbLb0EEEEDaSW_SX_EUlSW_E_NS1_11comp_targetILNS1_3genE0ELNS1_11target_archE4294967295ELNS1_3gpuE0ELNS1_3repE0EEENS1_30default_config_static_selectorELNS0_4arch9wavefront6targetE0EEEvT1_.num_named_barrier, 0
	.set _ZN7rocprim17ROCPRIM_400000_NS6detail17trampoline_kernelINS0_14default_configENS1_27scan_by_key_config_selectorIixEEZZNS1_16scan_by_key_implILNS1_25lookback_scan_determinismE0ELb0ES3_N6thrust23THRUST_200600_302600_NS6detail15normal_iteratorINS9_10device_ptrIiEEEENSB_INSC_IxEEEESG_xNS9_4plusIvEENS9_8equal_toIvEExEE10hipError_tPvRmT2_T3_T4_T5_mT6_T7_P12ihipStream_tbENKUlT_T0_E_clISt17integral_constantIbLb1EES10_IbLb0EEEEDaSW_SX_EUlSW_E_NS1_11comp_targetILNS1_3genE0ELNS1_11target_archE4294967295ELNS1_3gpuE0ELNS1_3repE0EEENS1_30default_config_static_selectorELNS0_4arch9wavefront6targetE0EEEvT1_.private_seg_size, 0
	.set _ZN7rocprim17ROCPRIM_400000_NS6detail17trampoline_kernelINS0_14default_configENS1_27scan_by_key_config_selectorIixEEZZNS1_16scan_by_key_implILNS1_25lookback_scan_determinismE0ELb0ES3_N6thrust23THRUST_200600_302600_NS6detail15normal_iteratorINS9_10device_ptrIiEEEENSB_INSC_IxEEEESG_xNS9_4plusIvEENS9_8equal_toIvEExEE10hipError_tPvRmT2_T3_T4_T5_mT6_T7_P12ihipStream_tbENKUlT_T0_E_clISt17integral_constantIbLb1EES10_IbLb0EEEEDaSW_SX_EUlSW_E_NS1_11comp_targetILNS1_3genE0ELNS1_11target_archE4294967295ELNS1_3gpuE0ELNS1_3repE0EEENS1_30default_config_static_selectorELNS0_4arch9wavefront6targetE0EEEvT1_.uses_vcc, 0
	.set _ZN7rocprim17ROCPRIM_400000_NS6detail17trampoline_kernelINS0_14default_configENS1_27scan_by_key_config_selectorIixEEZZNS1_16scan_by_key_implILNS1_25lookback_scan_determinismE0ELb0ES3_N6thrust23THRUST_200600_302600_NS6detail15normal_iteratorINS9_10device_ptrIiEEEENSB_INSC_IxEEEESG_xNS9_4plusIvEENS9_8equal_toIvEExEE10hipError_tPvRmT2_T3_T4_T5_mT6_T7_P12ihipStream_tbENKUlT_T0_E_clISt17integral_constantIbLb1EES10_IbLb0EEEEDaSW_SX_EUlSW_E_NS1_11comp_targetILNS1_3genE0ELNS1_11target_archE4294967295ELNS1_3gpuE0ELNS1_3repE0EEENS1_30default_config_static_selectorELNS0_4arch9wavefront6targetE0EEEvT1_.uses_flat_scratch, 0
	.set _ZN7rocprim17ROCPRIM_400000_NS6detail17trampoline_kernelINS0_14default_configENS1_27scan_by_key_config_selectorIixEEZZNS1_16scan_by_key_implILNS1_25lookback_scan_determinismE0ELb0ES3_N6thrust23THRUST_200600_302600_NS6detail15normal_iteratorINS9_10device_ptrIiEEEENSB_INSC_IxEEEESG_xNS9_4plusIvEENS9_8equal_toIvEExEE10hipError_tPvRmT2_T3_T4_T5_mT6_T7_P12ihipStream_tbENKUlT_T0_E_clISt17integral_constantIbLb1EES10_IbLb0EEEEDaSW_SX_EUlSW_E_NS1_11comp_targetILNS1_3genE0ELNS1_11target_archE4294967295ELNS1_3gpuE0ELNS1_3repE0EEENS1_30default_config_static_selectorELNS0_4arch9wavefront6targetE0EEEvT1_.has_dyn_sized_stack, 0
	.set _ZN7rocprim17ROCPRIM_400000_NS6detail17trampoline_kernelINS0_14default_configENS1_27scan_by_key_config_selectorIixEEZZNS1_16scan_by_key_implILNS1_25lookback_scan_determinismE0ELb0ES3_N6thrust23THRUST_200600_302600_NS6detail15normal_iteratorINS9_10device_ptrIiEEEENSB_INSC_IxEEEESG_xNS9_4plusIvEENS9_8equal_toIvEExEE10hipError_tPvRmT2_T3_T4_T5_mT6_T7_P12ihipStream_tbENKUlT_T0_E_clISt17integral_constantIbLb1EES10_IbLb0EEEEDaSW_SX_EUlSW_E_NS1_11comp_targetILNS1_3genE0ELNS1_11target_archE4294967295ELNS1_3gpuE0ELNS1_3repE0EEENS1_30default_config_static_selectorELNS0_4arch9wavefront6targetE0EEEvT1_.has_recursion, 0
	.set _ZN7rocprim17ROCPRIM_400000_NS6detail17trampoline_kernelINS0_14default_configENS1_27scan_by_key_config_selectorIixEEZZNS1_16scan_by_key_implILNS1_25lookback_scan_determinismE0ELb0ES3_N6thrust23THRUST_200600_302600_NS6detail15normal_iteratorINS9_10device_ptrIiEEEENSB_INSC_IxEEEESG_xNS9_4plusIvEENS9_8equal_toIvEExEE10hipError_tPvRmT2_T3_T4_T5_mT6_T7_P12ihipStream_tbENKUlT_T0_E_clISt17integral_constantIbLb1EES10_IbLb0EEEEDaSW_SX_EUlSW_E_NS1_11comp_targetILNS1_3genE0ELNS1_11target_archE4294967295ELNS1_3gpuE0ELNS1_3repE0EEENS1_30default_config_static_selectorELNS0_4arch9wavefront6targetE0EEEvT1_.has_indirect_call, 0
	.section	.AMDGPU.csdata,"",@progbits
; Kernel info:
; codeLenInByte = 4
; TotalNumSgprs: 0
; NumVgprs: 0
; ScratchSize: 0
; MemoryBound: 0
; FloatMode: 240
; IeeeMode: 1
; LDSByteSize: 0 bytes/workgroup (compile time only)
; SGPRBlocks: 0
; VGPRBlocks: 0
; NumSGPRsForWavesPerEU: 1
; NumVGPRsForWavesPerEU: 1
; NamedBarCnt: 0
; Occupancy: 16
; WaveLimiterHint : 0
; COMPUTE_PGM_RSRC2:SCRATCH_EN: 0
; COMPUTE_PGM_RSRC2:USER_SGPR: 2
; COMPUTE_PGM_RSRC2:TRAP_HANDLER: 0
; COMPUTE_PGM_RSRC2:TGID_X_EN: 1
; COMPUTE_PGM_RSRC2:TGID_Y_EN: 0
; COMPUTE_PGM_RSRC2:TGID_Z_EN: 0
; COMPUTE_PGM_RSRC2:TIDIG_COMP_CNT: 0
	.section	.text._ZN7rocprim17ROCPRIM_400000_NS6detail17trampoline_kernelINS0_14default_configENS1_27scan_by_key_config_selectorIixEEZZNS1_16scan_by_key_implILNS1_25lookback_scan_determinismE0ELb0ES3_N6thrust23THRUST_200600_302600_NS6detail15normal_iteratorINS9_10device_ptrIiEEEENSB_INSC_IxEEEESG_xNS9_4plusIvEENS9_8equal_toIvEExEE10hipError_tPvRmT2_T3_T4_T5_mT6_T7_P12ihipStream_tbENKUlT_T0_E_clISt17integral_constantIbLb1EES10_IbLb0EEEEDaSW_SX_EUlSW_E_NS1_11comp_targetILNS1_3genE10ELNS1_11target_archE1201ELNS1_3gpuE5ELNS1_3repE0EEENS1_30default_config_static_selectorELNS0_4arch9wavefront6targetE0EEEvT1_,"axG",@progbits,_ZN7rocprim17ROCPRIM_400000_NS6detail17trampoline_kernelINS0_14default_configENS1_27scan_by_key_config_selectorIixEEZZNS1_16scan_by_key_implILNS1_25lookback_scan_determinismE0ELb0ES3_N6thrust23THRUST_200600_302600_NS6detail15normal_iteratorINS9_10device_ptrIiEEEENSB_INSC_IxEEEESG_xNS9_4plusIvEENS9_8equal_toIvEExEE10hipError_tPvRmT2_T3_T4_T5_mT6_T7_P12ihipStream_tbENKUlT_T0_E_clISt17integral_constantIbLb1EES10_IbLb0EEEEDaSW_SX_EUlSW_E_NS1_11comp_targetILNS1_3genE10ELNS1_11target_archE1201ELNS1_3gpuE5ELNS1_3repE0EEENS1_30default_config_static_selectorELNS0_4arch9wavefront6targetE0EEEvT1_,comdat
	.protected	_ZN7rocprim17ROCPRIM_400000_NS6detail17trampoline_kernelINS0_14default_configENS1_27scan_by_key_config_selectorIixEEZZNS1_16scan_by_key_implILNS1_25lookback_scan_determinismE0ELb0ES3_N6thrust23THRUST_200600_302600_NS6detail15normal_iteratorINS9_10device_ptrIiEEEENSB_INSC_IxEEEESG_xNS9_4plusIvEENS9_8equal_toIvEExEE10hipError_tPvRmT2_T3_T4_T5_mT6_T7_P12ihipStream_tbENKUlT_T0_E_clISt17integral_constantIbLb1EES10_IbLb0EEEEDaSW_SX_EUlSW_E_NS1_11comp_targetILNS1_3genE10ELNS1_11target_archE1201ELNS1_3gpuE5ELNS1_3repE0EEENS1_30default_config_static_selectorELNS0_4arch9wavefront6targetE0EEEvT1_ ; -- Begin function _ZN7rocprim17ROCPRIM_400000_NS6detail17trampoline_kernelINS0_14default_configENS1_27scan_by_key_config_selectorIixEEZZNS1_16scan_by_key_implILNS1_25lookback_scan_determinismE0ELb0ES3_N6thrust23THRUST_200600_302600_NS6detail15normal_iteratorINS9_10device_ptrIiEEEENSB_INSC_IxEEEESG_xNS9_4plusIvEENS9_8equal_toIvEExEE10hipError_tPvRmT2_T3_T4_T5_mT6_T7_P12ihipStream_tbENKUlT_T0_E_clISt17integral_constantIbLb1EES10_IbLb0EEEEDaSW_SX_EUlSW_E_NS1_11comp_targetILNS1_3genE10ELNS1_11target_archE1201ELNS1_3gpuE5ELNS1_3repE0EEENS1_30default_config_static_selectorELNS0_4arch9wavefront6targetE0EEEvT1_
	.globl	_ZN7rocprim17ROCPRIM_400000_NS6detail17trampoline_kernelINS0_14default_configENS1_27scan_by_key_config_selectorIixEEZZNS1_16scan_by_key_implILNS1_25lookback_scan_determinismE0ELb0ES3_N6thrust23THRUST_200600_302600_NS6detail15normal_iteratorINS9_10device_ptrIiEEEENSB_INSC_IxEEEESG_xNS9_4plusIvEENS9_8equal_toIvEExEE10hipError_tPvRmT2_T3_T4_T5_mT6_T7_P12ihipStream_tbENKUlT_T0_E_clISt17integral_constantIbLb1EES10_IbLb0EEEEDaSW_SX_EUlSW_E_NS1_11comp_targetILNS1_3genE10ELNS1_11target_archE1201ELNS1_3gpuE5ELNS1_3repE0EEENS1_30default_config_static_selectorELNS0_4arch9wavefront6targetE0EEEvT1_
	.p2align	8
	.type	_ZN7rocprim17ROCPRIM_400000_NS6detail17trampoline_kernelINS0_14default_configENS1_27scan_by_key_config_selectorIixEEZZNS1_16scan_by_key_implILNS1_25lookback_scan_determinismE0ELb0ES3_N6thrust23THRUST_200600_302600_NS6detail15normal_iteratorINS9_10device_ptrIiEEEENSB_INSC_IxEEEESG_xNS9_4plusIvEENS9_8equal_toIvEExEE10hipError_tPvRmT2_T3_T4_T5_mT6_T7_P12ihipStream_tbENKUlT_T0_E_clISt17integral_constantIbLb1EES10_IbLb0EEEEDaSW_SX_EUlSW_E_NS1_11comp_targetILNS1_3genE10ELNS1_11target_archE1201ELNS1_3gpuE5ELNS1_3repE0EEENS1_30default_config_static_selectorELNS0_4arch9wavefront6targetE0EEEvT1_,@function
_ZN7rocprim17ROCPRIM_400000_NS6detail17trampoline_kernelINS0_14default_configENS1_27scan_by_key_config_selectorIixEEZZNS1_16scan_by_key_implILNS1_25lookback_scan_determinismE0ELb0ES3_N6thrust23THRUST_200600_302600_NS6detail15normal_iteratorINS9_10device_ptrIiEEEENSB_INSC_IxEEEESG_xNS9_4plusIvEENS9_8equal_toIvEExEE10hipError_tPvRmT2_T3_T4_T5_mT6_T7_P12ihipStream_tbENKUlT_T0_E_clISt17integral_constantIbLb1EES10_IbLb0EEEEDaSW_SX_EUlSW_E_NS1_11comp_targetILNS1_3genE10ELNS1_11target_archE1201ELNS1_3gpuE5ELNS1_3repE0EEENS1_30default_config_static_selectorELNS0_4arch9wavefront6targetE0EEEvT1_: ; @_ZN7rocprim17ROCPRIM_400000_NS6detail17trampoline_kernelINS0_14default_configENS1_27scan_by_key_config_selectorIixEEZZNS1_16scan_by_key_implILNS1_25lookback_scan_determinismE0ELb0ES3_N6thrust23THRUST_200600_302600_NS6detail15normal_iteratorINS9_10device_ptrIiEEEENSB_INSC_IxEEEESG_xNS9_4plusIvEENS9_8equal_toIvEExEE10hipError_tPvRmT2_T3_T4_T5_mT6_T7_P12ihipStream_tbENKUlT_T0_E_clISt17integral_constantIbLb1EES10_IbLb0EEEEDaSW_SX_EUlSW_E_NS1_11comp_targetILNS1_3genE10ELNS1_11target_archE1201ELNS1_3gpuE5ELNS1_3repE0EEENS1_30default_config_static_selectorELNS0_4arch9wavefront6targetE0EEEvT1_
; %bb.0:
	.section	.rodata,"a",@progbits
	.p2align	6, 0x0
	.amdhsa_kernel _ZN7rocprim17ROCPRIM_400000_NS6detail17trampoline_kernelINS0_14default_configENS1_27scan_by_key_config_selectorIixEEZZNS1_16scan_by_key_implILNS1_25lookback_scan_determinismE0ELb0ES3_N6thrust23THRUST_200600_302600_NS6detail15normal_iteratorINS9_10device_ptrIiEEEENSB_INSC_IxEEEESG_xNS9_4plusIvEENS9_8equal_toIvEExEE10hipError_tPvRmT2_T3_T4_T5_mT6_T7_P12ihipStream_tbENKUlT_T0_E_clISt17integral_constantIbLb1EES10_IbLb0EEEEDaSW_SX_EUlSW_E_NS1_11comp_targetILNS1_3genE10ELNS1_11target_archE1201ELNS1_3gpuE5ELNS1_3repE0EEENS1_30default_config_static_selectorELNS0_4arch9wavefront6targetE0EEEvT1_
		.amdhsa_group_segment_fixed_size 0
		.amdhsa_private_segment_fixed_size 0
		.amdhsa_kernarg_size 136
		.amdhsa_user_sgpr_count 2
		.amdhsa_user_sgpr_dispatch_ptr 0
		.amdhsa_user_sgpr_queue_ptr 0
		.amdhsa_user_sgpr_kernarg_segment_ptr 1
		.amdhsa_user_sgpr_dispatch_id 0
		.amdhsa_user_sgpr_kernarg_preload_length 0
		.amdhsa_user_sgpr_kernarg_preload_offset 0
		.amdhsa_user_sgpr_private_segment_size 0
		.amdhsa_wavefront_size32 1
		.amdhsa_uses_dynamic_stack 0
		.amdhsa_enable_private_segment 0
		.amdhsa_system_sgpr_workgroup_id_x 1
		.amdhsa_system_sgpr_workgroup_id_y 0
		.amdhsa_system_sgpr_workgroup_id_z 0
		.amdhsa_system_sgpr_workgroup_info 0
		.amdhsa_system_vgpr_workitem_id 0
		.amdhsa_next_free_vgpr 1
		.amdhsa_next_free_sgpr 1
		.amdhsa_named_barrier_count 0
		.amdhsa_reserve_vcc 0
		.amdhsa_float_round_mode_32 0
		.amdhsa_float_round_mode_16_64 0
		.amdhsa_float_denorm_mode_32 3
		.amdhsa_float_denorm_mode_16_64 3
		.amdhsa_fp16_overflow 0
		.amdhsa_memory_ordered 1
		.amdhsa_forward_progress 1
		.amdhsa_inst_pref_size 0
		.amdhsa_round_robin_scheduling 0
		.amdhsa_exception_fp_ieee_invalid_op 0
		.amdhsa_exception_fp_denorm_src 0
		.amdhsa_exception_fp_ieee_div_zero 0
		.amdhsa_exception_fp_ieee_overflow 0
		.amdhsa_exception_fp_ieee_underflow 0
		.amdhsa_exception_fp_ieee_inexact 0
		.amdhsa_exception_int_div_zero 0
	.end_amdhsa_kernel
	.section	.text._ZN7rocprim17ROCPRIM_400000_NS6detail17trampoline_kernelINS0_14default_configENS1_27scan_by_key_config_selectorIixEEZZNS1_16scan_by_key_implILNS1_25lookback_scan_determinismE0ELb0ES3_N6thrust23THRUST_200600_302600_NS6detail15normal_iteratorINS9_10device_ptrIiEEEENSB_INSC_IxEEEESG_xNS9_4plusIvEENS9_8equal_toIvEExEE10hipError_tPvRmT2_T3_T4_T5_mT6_T7_P12ihipStream_tbENKUlT_T0_E_clISt17integral_constantIbLb1EES10_IbLb0EEEEDaSW_SX_EUlSW_E_NS1_11comp_targetILNS1_3genE10ELNS1_11target_archE1201ELNS1_3gpuE5ELNS1_3repE0EEENS1_30default_config_static_selectorELNS0_4arch9wavefront6targetE0EEEvT1_,"axG",@progbits,_ZN7rocprim17ROCPRIM_400000_NS6detail17trampoline_kernelINS0_14default_configENS1_27scan_by_key_config_selectorIixEEZZNS1_16scan_by_key_implILNS1_25lookback_scan_determinismE0ELb0ES3_N6thrust23THRUST_200600_302600_NS6detail15normal_iteratorINS9_10device_ptrIiEEEENSB_INSC_IxEEEESG_xNS9_4plusIvEENS9_8equal_toIvEExEE10hipError_tPvRmT2_T3_T4_T5_mT6_T7_P12ihipStream_tbENKUlT_T0_E_clISt17integral_constantIbLb1EES10_IbLb0EEEEDaSW_SX_EUlSW_E_NS1_11comp_targetILNS1_3genE10ELNS1_11target_archE1201ELNS1_3gpuE5ELNS1_3repE0EEENS1_30default_config_static_selectorELNS0_4arch9wavefront6targetE0EEEvT1_,comdat
.Lfunc_end1332:
	.size	_ZN7rocprim17ROCPRIM_400000_NS6detail17trampoline_kernelINS0_14default_configENS1_27scan_by_key_config_selectorIixEEZZNS1_16scan_by_key_implILNS1_25lookback_scan_determinismE0ELb0ES3_N6thrust23THRUST_200600_302600_NS6detail15normal_iteratorINS9_10device_ptrIiEEEENSB_INSC_IxEEEESG_xNS9_4plusIvEENS9_8equal_toIvEExEE10hipError_tPvRmT2_T3_T4_T5_mT6_T7_P12ihipStream_tbENKUlT_T0_E_clISt17integral_constantIbLb1EES10_IbLb0EEEEDaSW_SX_EUlSW_E_NS1_11comp_targetILNS1_3genE10ELNS1_11target_archE1201ELNS1_3gpuE5ELNS1_3repE0EEENS1_30default_config_static_selectorELNS0_4arch9wavefront6targetE0EEEvT1_, .Lfunc_end1332-_ZN7rocprim17ROCPRIM_400000_NS6detail17trampoline_kernelINS0_14default_configENS1_27scan_by_key_config_selectorIixEEZZNS1_16scan_by_key_implILNS1_25lookback_scan_determinismE0ELb0ES3_N6thrust23THRUST_200600_302600_NS6detail15normal_iteratorINS9_10device_ptrIiEEEENSB_INSC_IxEEEESG_xNS9_4plusIvEENS9_8equal_toIvEExEE10hipError_tPvRmT2_T3_T4_T5_mT6_T7_P12ihipStream_tbENKUlT_T0_E_clISt17integral_constantIbLb1EES10_IbLb0EEEEDaSW_SX_EUlSW_E_NS1_11comp_targetILNS1_3genE10ELNS1_11target_archE1201ELNS1_3gpuE5ELNS1_3repE0EEENS1_30default_config_static_selectorELNS0_4arch9wavefront6targetE0EEEvT1_
                                        ; -- End function
	.set _ZN7rocprim17ROCPRIM_400000_NS6detail17trampoline_kernelINS0_14default_configENS1_27scan_by_key_config_selectorIixEEZZNS1_16scan_by_key_implILNS1_25lookback_scan_determinismE0ELb0ES3_N6thrust23THRUST_200600_302600_NS6detail15normal_iteratorINS9_10device_ptrIiEEEENSB_INSC_IxEEEESG_xNS9_4plusIvEENS9_8equal_toIvEExEE10hipError_tPvRmT2_T3_T4_T5_mT6_T7_P12ihipStream_tbENKUlT_T0_E_clISt17integral_constantIbLb1EES10_IbLb0EEEEDaSW_SX_EUlSW_E_NS1_11comp_targetILNS1_3genE10ELNS1_11target_archE1201ELNS1_3gpuE5ELNS1_3repE0EEENS1_30default_config_static_selectorELNS0_4arch9wavefront6targetE0EEEvT1_.num_vgpr, 0
	.set _ZN7rocprim17ROCPRIM_400000_NS6detail17trampoline_kernelINS0_14default_configENS1_27scan_by_key_config_selectorIixEEZZNS1_16scan_by_key_implILNS1_25lookback_scan_determinismE0ELb0ES3_N6thrust23THRUST_200600_302600_NS6detail15normal_iteratorINS9_10device_ptrIiEEEENSB_INSC_IxEEEESG_xNS9_4plusIvEENS9_8equal_toIvEExEE10hipError_tPvRmT2_T3_T4_T5_mT6_T7_P12ihipStream_tbENKUlT_T0_E_clISt17integral_constantIbLb1EES10_IbLb0EEEEDaSW_SX_EUlSW_E_NS1_11comp_targetILNS1_3genE10ELNS1_11target_archE1201ELNS1_3gpuE5ELNS1_3repE0EEENS1_30default_config_static_selectorELNS0_4arch9wavefront6targetE0EEEvT1_.num_agpr, 0
	.set _ZN7rocprim17ROCPRIM_400000_NS6detail17trampoline_kernelINS0_14default_configENS1_27scan_by_key_config_selectorIixEEZZNS1_16scan_by_key_implILNS1_25lookback_scan_determinismE0ELb0ES3_N6thrust23THRUST_200600_302600_NS6detail15normal_iteratorINS9_10device_ptrIiEEEENSB_INSC_IxEEEESG_xNS9_4plusIvEENS9_8equal_toIvEExEE10hipError_tPvRmT2_T3_T4_T5_mT6_T7_P12ihipStream_tbENKUlT_T0_E_clISt17integral_constantIbLb1EES10_IbLb0EEEEDaSW_SX_EUlSW_E_NS1_11comp_targetILNS1_3genE10ELNS1_11target_archE1201ELNS1_3gpuE5ELNS1_3repE0EEENS1_30default_config_static_selectorELNS0_4arch9wavefront6targetE0EEEvT1_.numbered_sgpr, 0
	.set _ZN7rocprim17ROCPRIM_400000_NS6detail17trampoline_kernelINS0_14default_configENS1_27scan_by_key_config_selectorIixEEZZNS1_16scan_by_key_implILNS1_25lookback_scan_determinismE0ELb0ES3_N6thrust23THRUST_200600_302600_NS6detail15normal_iteratorINS9_10device_ptrIiEEEENSB_INSC_IxEEEESG_xNS9_4plusIvEENS9_8equal_toIvEExEE10hipError_tPvRmT2_T3_T4_T5_mT6_T7_P12ihipStream_tbENKUlT_T0_E_clISt17integral_constantIbLb1EES10_IbLb0EEEEDaSW_SX_EUlSW_E_NS1_11comp_targetILNS1_3genE10ELNS1_11target_archE1201ELNS1_3gpuE5ELNS1_3repE0EEENS1_30default_config_static_selectorELNS0_4arch9wavefront6targetE0EEEvT1_.num_named_barrier, 0
	.set _ZN7rocprim17ROCPRIM_400000_NS6detail17trampoline_kernelINS0_14default_configENS1_27scan_by_key_config_selectorIixEEZZNS1_16scan_by_key_implILNS1_25lookback_scan_determinismE0ELb0ES3_N6thrust23THRUST_200600_302600_NS6detail15normal_iteratorINS9_10device_ptrIiEEEENSB_INSC_IxEEEESG_xNS9_4plusIvEENS9_8equal_toIvEExEE10hipError_tPvRmT2_T3_T4_T5_mT6_T7_P12ihipStream_tbENKUlT_T0_E_clISt17integral_constantIbLb1EES10_IbLb0EEEEDaSW_SX_EUlSW_E_NS1_11comp_targetILNS1_3genE10ELNS1_11target_archE1201ELNS1_3gpuE5ELNS1_3repE0EEENS1_30default_config_static_selectorELNS0_4arch9wavefront6targetE0EEEvT1_.private_seg_size, 0
	.set _ZN7rocprim17ROCPRIM_400000_NS6detail17trampoline_kernelINS0_14default_configENS1_27scan_by_key_config_selectorIixEEZZNS1_16scan_by_key_implILNS1_25lookback_scan_determinismE0ELb0ES3_N6thrust23THRUST_200600_302600_NS6detail15normal_iteratorINS9_10device_ptrIiEEEENSB_INSC_IxEEEESG_xNS9_4plusIvEENS9_8equal_toIvEExEE10hipError_tPvRmT2_T3_T4_T5_mT6_T7_P12ihipStream_tbENKUlT_T0_E_clISt17integral_constantIbLb1EES10_IbLb0EEEEDaSW_SX_EUlSW_E_NS1_11comp_targetILNS1_3genE10ELNS1_11target_archE1201ELNS1_3gpuE5ELNS1_3repE0EEENS1_30default_config_static_selectorELNS0_4arch9wavefront6targetE0EEEvT1_.uses_vcc, 0
	.set _ZN7rocprim17ROCPRIM_400000_NS6detail17trampoline_kernelINS0_14default_configENS1_27scan_by_key_config_selectorIixEEZZNS1_16scan_by_key_implILNS1_25lookback_scan_determinismE0ELb0ES3_N6thrust23THRUST_200600_302600_NS6detail15normal_iteratorINS9_10device_ptrIiEEEENSB_INSC_IxEEEESG_xNS9_4plusIvEENS9_8equal_toIvEExEE10hipError_tPvRmT2_T3_T4_T5_mT6_T7_P12ihipStream_tbENKUlT_T0_E_clISt17integral_constantIbLb1EES10_IbLb0EEEEDaSW_SX_EUlSW_E_NS1_11comp_targetILNS1_3genE10ELNS1_11target_archE1201ELNS1_3gpuE5ELNS1_3repE0EEENS1_30default_config_static_selectorELNS0_4arch9wavefront6targetE0EEEvT1_.uses_flat_scratch, 0
	.set _ZN7rocprim17ROCPRIM_400000_NS6detail17trampoline_kernelINS0_14default_configENS1_27scan_by_key_config_selectorIixEEZZNS1_16scan_by_key_implILNS1_25lookback_scan_determinismE0ELb0ES3_N6thrust23THRUST_200600_302600_NS6detail15normal_iteratorINS9_10device_ptrIiEEEENSB_INSC_IxEEEESG_xNS9_4plusIvEENS9_8equal_toIvEExEE10hipError_tPvRmT2_T3_T4_T5_mT6_T7_P12ihipStream_tbENKUlT_T0_E_clISt17integral_constantIbLb1EES10_IbLb0EEEEDaSW_SX_EUlSW_E_NS1_11comp_targetILNS1_3genE10ELNS1_11target_archE1201ELNS1_3gpuE5ELNS1_3repE0EEENS1_30default_config_static_selectorELNS0_4arch9wavefront6targetE0EEEvT1_.has_dyn_sized_stack, 0
	.set _ZN7rocprim17ROCPRIM_400000_NS6detail17trampoline_kernelINS0_14default_configENS1_27scan_by_key_config_selectorIixEEZZNS1_16scan_by_key_implILNS1_25lookback_scan_determinismE0ELb0ES3_N6thrust23THRUST_200600_302600_NS6detail15normal_iteratorINS9_10device_ptrIiEEEENSB_INSC_IxEEEESG_xNS9_4plusIvEENS9_8equal_toIvEExEE10hipError_tPvRmT2_T3_T4_T5_mT6_T7_P12ihipStream_tbENKUlT_T0_E_clISt17integral_constantIbLb1EES10_IbLb0EEEEDaSW_SX_EUlSW_E_NS1_11comp_targetILNS1_3genE10ELNS1_11target_archE1201ELNS1_3gpuE5ELNS1_3repE0EEENS1_30default_config_static_selectorELNS0_4arch9wavefront6targetE0EEEvT1_.has_recursion, 0
	.set _ZN7rocprim17ROCPRIM_400000_NS6detail17trampoline_kernelINS0_14default_configENS1_27scan_by_key_config_selectorIixEEZZNS1_16scan_by_key_implILNS1_25lookback_scan_determinismE0ELb0ES3_N6thrust23THRUST_200600_302600_NS6detail15normal_iteratorINS9_10device_ptrIiEEEENSB_INSC_IxEEEESG_xNS9_4plusIvEENS9_8equal_toIvEExEE10hipError_tPvRmT2_T3_T4_T5_mT6_T7_P12ihipStream_tbENKUlT_T0_E_clISt17integral_constantIbLb1EES10_IbLb0EEEEDaSW_SX_EUlSW_E_NS1_11comp_targetILNS1_3genE10ELNS1_11target_archE1201ELNS1_3gpuE5ELNS1_3repE0EEENS1_30default_config_static_selectorELNS0_4arch9wavefront6targetE0EEEvT1_.has_indirect_call, 0
	.section	.AMDGPU.csdata,"",@progbits
; Kernel info:
; codeLenInByte = 0
; TotalNumSgprs: 0
; NumVgprs: 0
; ScratchSize: 0
; MemoryBound: 0
; FloatMode: 240
; IeeeMode: 1
; LDSByteSize: 0 bytes/workgroup (compile time only)
; SGPRBlocks: 0
; VGPRBlocks: 0
; NumSGPRsForWavesPerEU: 1
; NumVGPRsForWavesPerEU: 1
; NamedBarCnt: 0
; Occupancy: 16
; WaveLimiterHint : 0
; COMPUTE_PGM_RSRC2:SCRATCH_EN: 0
; COMPUTE_PGM_RSRC2:USER_SGPR: 2
; COMPUTE_PGM_RSRC2:TRAP_HANDLER: 0
; COMPUTE_PGM_RSRC2:TGID_X_EN: 1
; COMPUTE_PGM_RSRC2:TGID_Y_EN: 0
; COMPUTE_PGM_RSRC2:TGID_Z_EN: 0
; COMPUTE_PGM_RSRC2:TIDIG_COMP_CNT: 0
	.section	.text._ZN7rocprim17ROCPRIM_400000_NS6detail17trampoline_kernelINS0_14default_configENS1_27scan_by_key_config_selectorIixEEZZNS1_16scan_by_key_implILNS1_25lookback_scan_determinismE0ELb0ES3_N6thrust23THRUST_200600_302600_NS6detail15normal_iteratorINS9_10device_ptrIiEEEENSB_INSC_IxEEEESG_xNS9_4plusIvEENS9_8equal_toIvEExEE10hipError_tPvRmT2_T3_T4_T5_mT6_T7_P12ihipStream_tbENKUlT_T0_E_clISt17integral_constantIbLb1EES10_IbLb0EEEEDaSW_SX_EUlSW_E_NS1_11comp_targetILNS1_3genE5ELNS1_11target_archE942ELNS1_3gpuE9ELNS1_3repE0EEENS1_30default_config_static_selectorELNS0_4arch9wavefront6targetE0EEEvT1_,"axG",@progbits,_ZN7rocprim17ROCPRIM_400000_NS6detail17trampoline_kernelINS0_14default_configENS1_27scan_by_key_config_selectorIixEEZZNS1_16scan_by_key_implILNS1_25lookback_scan_determinismE0ELb0ES3_N6thrust23THRUST_200600_302600_NS6detail15normal_iteratorINS9_10device_ptrIiEEEENSB_INSC_IxEEEESG_xNS9_4plusIvEENS9_8equal_toIvEExEE10hipError_tPvRmT2_T3_T4_T5_mT6_T7_P12ihipStream_tbENKUlT_T0_E_clISt17integral_constantIbLb1EES10_IbLb0EEEEDaSW_SX_EUlSW_E_NS1_11comp_targetILNS1_3genE5ELNS1_11target_archE942ELNS1_3gpuE9ELNS1_3repE0EEENS1_30default_config_static_selectorELNS0_4arch9wavefront6targetE0EEEvT1_,comdat
	.protected	_ZN7rocprim17ROCPRIM_400000_NS6detail17trampoline_kernelINS0_14default_configENS1_27scan_by_key_config_selectorIixEEZZNS1_16scan_by_key_implILNS1_25lookback_scan_determinismE0ELb0ES3_N6thrust23THRUST_200600_302600_NS6detail15normal_iteratorINS9_10device_ptrIiEEEENSB_INSC_IxEEEESG_xNS9_4plusIvEENS9_8equal_toIvEExEE10hipError_tPvRmT2_T3_T4_T5_mT6_T7_P12ihipStream_tbENKUlT_T0_E_clISt17integral_constantIbLb1EES10_IbLb0EEEEDaSW_SX_EUlSW_E_NS1_11comp_targetILNS1_3genE5ELNS1_11target_archE942ELNS1_3gpuE9ELNS1_3repE0EEENS1_30default_config_static_selectorELNS0_4arch9wavefront6targetE0EEEvT1_ ; -- Begin function _ZN7rocprim17ROCPRIM_400000_NS6detail17trampoline_kernelINS0_14default_configENS1_27scan_by_key_config_selectorIixEEZZNS1_16scan_by_key_implILNS1_25lookback_scan_determinismE0ELb0ES3_N6thrust23THRUST_200600_302600_NS6detail15normal_iteratorINS9_10device_ptrIiEEEENSB_INSC_IxEEEESG_xNS9_4plusIvEENS9_8equal_toIvEExEE10hipError_tPvRmT2_T3_T4_T5_mT6_T7_P12ihipStream_tbENKUlT_T0_E_clISt17integral_constantIbLb1EES10_IbLb0EEEEDaSW_SX_EUlSW_E_NS1_11comp_targetILNS1_3genE5ELNS1_11target_archE942ELNS1_3gpuE9ELNS1_3repE0EEENS1_30default_config_static_selectorELNS0_4arch9wavefront6targetE0EEEvT1_
	.globl	_ZN7rocprim17ROCPRIM_400000_NS6detail17trampoline_kernelINS0_14default_configENS1_27scan_by_key_config_selectorIixEEZZNS1_16scan_by_key_implILNS1_25lookback_scan_determinismE0ELb0ES3_N6thrust23THRUST_200600_302600_NS6detail15normal_iteratorINS9_10device_ptrIiEEEENSB_INSC_IxEEEESG_xNS9_4plusIvEENS9_8equal_toIvEExEE10hipError_tPvRmT2_T3_T4_T5_mT6_T7_P12ihipStream_tbENKUlT_T0_E_clISt17integral_constantIbLb1EES10_IbLb0EEEEDaSW_SX_EUlSW_E_NS1_11comp_targetILNS1_3genE5ELNS1_11target_archE942ELNS1_3gpuE9ELNS1_3repE0EEENS1_30default_config_static_selectorELNS0_4arch9wavefront6targetE0EEEvT1_
	.p2align	8
	.type	_ZN7rocprim17ROCPRIM_400000_NS6detail17trampoline_kernelINS0_14default_configENS1_27scan_by_key_config_selectorIixEEZZNS1_16scan_by_key_implILNS1_25lookback_scan_determinismE0ELb0ES3_N6thrust23THRUST_200600_302600_NS6detail15normal_iteratorINS9_10device_ptrIiEEEENSB_INSC_IxEEEESG_xNS9_4plusIvEENS9_8equal_toIvEExEE10hipError_tPvRmT2_T3_T4_T5_mT6_T7_P12ihipStream_tbENKUlT_T0_E_clISt17integral_constantIbLb1EES10_IbLb0EEEEDaSW_SX_EUlSW_E_NS1_11comp_targetILNS1_3genE5ELNS1_11target_archE942ELNS1_3gpuE9ELNS1_3repE0EEENS1_30default_config_static_selectorELNS0_4arch9wavefront6targetE0EEEvT1_,@function
_ZN7rocprim17ROCPRIM_400000_NS6detail17trampoline_kernelINS0_14default_configENS1_27scan_by_key_config_selectorIixEEZZNS1_16scan_by_key_implILNS1_25lookback_scan_determinismE0ELb0ES3_N6thrust23THRUST_200600_302600_NS6detail15normal_iteratorINS9_10device_ptrIiEEEENSB_INSC_IxEEEESG_xNS9_4plusIvEENS9_8equal_toIvEExEE10hipError_tPvRmT2_T3_T4_T5_mT6_T7_P12ihipStream_tbENKUlT_T0_E_clISt17integral_constantIbLb1EES10_IbLb0EEEEDaSW_SX_EUlSW_E_NS1_11comp_targetILNS1_3genE5ELNS1_11target_archE942ELNS1_3gpuE9ELNS1_3repE0EEENS1_30default_config_static_selectorELNS0_4arch9wavefront6targetE0EEEvT1_: ; @_ZN7rocprim17ROCPRIM_400000_NS6detail17trampoline_kernelINS0_14default_configENS1_27scan_by_key_config_selectorIixEEZZNS1_16scan_by_key_implILNS1_25lookback_scan_determinismE0ELb0ES3_N6thrust23THRUST_200600_302600_NS6detail15normal_iteratorINS9_10device_ptrIiEEEENSB_INSC_IxEEEESG_xNS9_4plusIvEENS9_8equal_toIvEExEE10hipError_tPvRmT2_T3_T4_T5_mT6_T7_P12ihipStream_tbENKUlT_T0_E_clISt17integral_constantIbLb1EES10_IbLb0EEEEDaSW_SX_EUlSW_E_NS1_11comp_targetILNS1_3genE5ELNS1_11target_archE942ELNS1_3gpuE9ELNS1_3repE0EEENS1_30default_config_static_selectorELNS0_4arch9wavefront6targetE0EEEvT1_
; %bb.0:
	.section	.rodata,"a",@progbits
	.p2align	6, 0x0
	.amdhsa_kernel _ZN7rocprim17ROCPRIM_400000_NS6detail17trampoline_kernelINS0_14default_configENS1_27scan_by_key_config_selectorIixEEZZNS1_16scan_by_key_implILNS1_25lookback_scan_determinismE0ELb0ES3_N6thrust23THRUST_200600_302600_NS6detail15normal_iteratorINS9_10device_ptrIiEEEENSB_INSC_IxEEEESG_xNS9_4plusIvEENS9_8equal_toIvEExEE10hipError_tPvRmT2_T3_T4_T5_mT6_T7_P12ihipStream_tbENKUlT_T0_E_clISt17integral_constantIbLb1EES10_IbLb0EEEEDaSW_SX_EUlSW_E_NS1_11comp_targetILNS1_3genE5ELNS1_11target_archE942ELNS1_3gpuE9ELNS1_3repE0EEENS1_30default_config_static_selectorELNS0_4arch9wavefront6targetE0EEEvT1_
		.amdhsa_group_segment_fixed_size 0
		.amdhsa_private_segment_fixed_size 0
		.amdhsa_kernarg_size 136
		.amdhsa_user_sgpr_count 2
		.amdhsa_user_sgpr_dispatch_ptr 0
		.amdhsa_user_sgpr_queue_ptr 0
		.amdhsa_user_sgpr_kernarg_segment_ptr 1
		.amdhsa_user_sgpr_dispatch_id 0
		.amdhsa_user_sgpr_kernarg_preload_length 0
		.amdhsa_user_sgpr_kernarg_preload_offset 0
		.amdhsa_user_sgpr_private_segment_size 0
		.amdhsa_wavefront_size32 1
		.amdhsa_uses_dynamic_stack 0
		.amdhsa_enable_private_segment 0
		.amdhsa_system_sgpr_workgroup_id_x 1
		.amdhsa_system_sgpr_workgroup_id_y 0
		.amdhsa_system_sgpr_workgroup_id_z 0
		.amdhsa_system_sgpr_workgroup_info 0
		.amdhsa_system_vgpr_workitem_id 0
		.amdhsa_next_free_vgpr 1
		.amdhsa_next_free_sgpr 1
		.amdhsa_named_barrier_count 0
		.amdhsa_reserve_vcc 0
		.amdhsa_float_round_mode_32 0
		.amdhsa_float_round_mode_16_64 0
		.amdhsa_float_denorm_mode_32 3
		.amdhsa_float_denorm_mode_16_64 3
		.amdhsa_fp16_overflow 0
		.amdhsa_memory_ordered 1
		.amdhsa_forward_progress 1
		.amdhsa_inst_pref_size 0
		.amdhsa_round_robin_scheduling 0
		.amdhsa_exception_fp_ieee_invalid_op 0
		.amdhsa_exception_fp_denorm_src 0
		.amdhsa_exception_fp_ieee_div_zero 0
		.amdhsa_exception_fp_ieee_overflow 0
		.amdhsa_exception_fp_ieee_underflow 0
		.amdhsa_exception_fp_ieee_inexact 0
		.amdhsa_exception_int_div_zero 0
	.end_amdhsa_kernel
	.section	.text._ZN7rocprim17ROCPRIM_400000_NS6detail17trampoline_kernelINS0_14default_configENS1_27scan_by_key_config_selectorIixEEZZNS1_16scan_by_key_implILNS1_25lookback_scan_determinismE0ELb0ES3_N6thrust23THRUST_200600_302600_NS6detail15normal_iteratorINS9_10device_ptrIiEEEENSB_INSC_IxEEEESG_xNS9_4plusIvEENS9_8equal_toIvEExEE10hipError_tPvRmT2_T3_T4_T5_mT6_T7_P12ihipStream_tbENKUlT_T0_E_clISt17integral_constantIbLb1EES10_IbLb0EEEEDaSW_SX_EUlSW_E_NS1_11comp_targetILNS1_3genE5ELNS1_11target_archE942ELNS1_3gpuE9ELNS1_3repE0EEENS1_30default_config_static_selectorELNS0_4arch9wavefront6targetE0EEEvT1_,"axG",@progbits,_ZN7rocprim17ROCPRIM_400000_NS6detail17trampoline_kernelINS0_14default_configENS1_27scan_by_key_config_selectorIixEEZZNS1_16scan_by_key_implILNS1_25lookback_scan_determinismE0ELb0ES3_N6thrust23THRUST_200600_302600_NS6detail15normal_iteratorINS9_10device_ptrIiEEEENSB_INSC_IxEEEESG_xNS9_4plusIvEENS9_8equal_toIvEExEE10hipError_tPvRmT2_T3_T4_T5_mT6_T7_P12ihipStream_tbENKUlT_T0_E_clISt17integral_constantIbLb1EES10_IbLb0EEEEDaSW_SX_EUlSW_E_NS1_11comp_targetILNS1_3genE5ELNS1_11target_archE942ELNS1_3gpuE9ELNS1_3repE0EEENS1_30default_config_static_selectorELNS0_4arch9wavefront6targetE0EEEvT1_,comdat
.Lfunc_end1333:
	.size	_ZN7rocprim17ROCPRIM_400000_NS6detail17trampoline_kernelINS0_14default_configENS1_27scan_by_key_config_selectorIixEEZZNS1_16scan_by_key_implILNS1_25lookback_scan_determinismE0ELb0ES3_N6thrust23THRUST_200600_302600_NS6detail15normal_iteratorINS9_10device_ptrIiEEEENSB_INSC_IxEEEESG_xNS9_4plusIvEENS9_8equal_toIvEExEE10hipError_tPvRmT2_T3_T4_T5_mT6_T7_P12ihipStream_tbENKUlT_T0_E_clISt17integral_constantIbLb1EES10_IbLb0EEEEDaSW_SX_EUlSW_E_NS1_11comp_targetILNS1_3genE5ELNS1_11target_archE942ELNS1_3gpuE9ELNS1_3repE0EEENS1_30default_config_static_selectorELNS0_4arch9wavefront6targetE0EEEvT1_, .Lfunc_end1333-_ZN7rocprim17ROCPRIM_400000_NS6detail17trampoline_kernelINS0_14default_configENS1_27scan_by_key_config_selectorIixEEZZNS1_16scan_by_key_implILNS1_25lookback_scan_determinismE0ELb0ES3_N6thrust23THRUST_200600_302600_NS6detail15normal_iteratorINS9_10device_ptrIiEEEENSB_INSC_IxEEEESG_xNS9_4plusIvEENS9_8equal_toIvEExEE10hipError_tPvRmT2_T3_T4_T5_mT6_T7_P12ihipStream_tbENKUlT_T0_E_clISt17integral_constantIbLb1EES10_IbLb0EEEEDaSW_SX_EUlSW_E_NS1_11comp_targetILNS1_3genE5ELNS1_11target_archE942ELNS1_3gpuE9ELNS1_3repE0EEENS1_30default_config_static_selectorELNS0_4arch9wavefront6targetE0EEEvT1_
                                        ; -- End function
	.set _ZN7rocprim17ROCPRIM_400000_NS6detail17trampoline_kernelINS0_14default_configENS1_27scan_by_key_config_selectorIixEEZZNS1_16scan_by_key_implILNS1_25lookback_scan_determinismE0ELb0ES3_N6thrust23THRUST_200600_302600_NS6detail15normal_iteratorINS9_10device_ptrIiEEEENSB_INSC_IxEEEESG_xNS9_4plusIvEENS9_8equal_toIvEExEE10hipError_tPvRmT2_T3_T4_T5_mT6_T7_P12ihipStream_tbENKUlT_T0_E_clISt17integral_constantIbLb1EES10_IbLb0EEEEDaSW_SX_EUlSW_E_NS1_11comp_targetILNS1_3genE5ELNS1_11target_archE942ELNS1_3gpuE9ELNS1_3repE0EEENS1_30default_config_static_selectorELNS0_4arch9wavefront6targetE0EEEvT1_.num_vgpr, 0
	.set _ZN7rocprim17ROCPRIM_400000_NS6detail17trampoline_kernelINS0_14default_configENS1_27scan_by_key_config_selectorIixEEZZNS1_16scan_by_key_implILNS1_25lookback_scan_determinismE0ELb0ES3_N6thrust23THRUST_200600_302600_NS6detail15normal_iteratorINS9_10device_ptrIiEEEENSB_INSC_IxEEEESG_xNS9_4plusIvEENS9_8equal_toIvEExEE10hipError_tPvRmT2_T3_T4_T5_mT6_T7_P12ihipStream_tbENKUlT_T0_E_clISt17integral_constantIbLb1EES10_IbLb0EEEEDaSW_SX_EUlSW_E_NS1_11comp_targetILNS1_3genE5ELNS1_11target_archE942ELNS1_3gpuE9ELNS1_3repE0EEENS1_30default_config_static_selectorELNS0_4arch9wavefront6targetE0EEEvT1_.num_agpr, 0
	.set _ZN7rocprim17ROCPRIM_400000_NS6detail17trampoline_kernelINS0_14default_configENS1_27scan_by_key_config_selectorIixEEZZNS1_16scan_by_key_implILNS1_25lookback_scan_determinismE0ELb0ES3_N6thrust23THRUST_200600_302600_NS6detail15normal_iteratorINS9_10device_ptrIiEEEENSB_INSC_IxEEEESG_xNS9_4plusIvEENS9_8equal_toIvEExEE10hipError_tPvRmT2_T3_T4_T5_mT6_T7_P12ihipStream_tbENKUlT_T0_E_clISt17integral_constantIbLb1EES10_IbLb0EEEEDaSW_SX_EUlSW_E_NS1_11comp_targetILNS1_3genE5ELNS1_11target_archE942ELNS1_3gpuE9ELNS1_3repE0EEENS1_30default_config_static_selectorELNS0_4arch9wavefront6targetE0EEEvT1_.numbered_sgpr, 0
	.set _ZN7rocprim17ROCPRIM_400000_NS6detail17trampoline_kernelINS0_14default_configENS1_27scan_by_key_config_selectorIixEEZZNS1_16scan_by_key_implILNS1_25lookback_scan_determinismE0ELb0ES3_N6thrust23THRUST_200600_302600_NS6detail15normal_iteratorINS9_10device_ptrIiEEEENSB_INSC_IxEEEESG_xNS9_4plusIvEENS9_8equal_toIvEExEE10hipError_tPvRmT2_T3_T4_T5_mT6_T7_P12ihipStream_tbENKUlT_T0_E_clISt17integral_constantIbLb1EES10_IbLb0EEEEDaSW_SX_EUlSW_E_NS1_11comp_targetILNS1_3genE5ELNS1_11target_archE942ELNS1_3gpuE9ELNS1_3repE0EEENS1_30default_config_static_selectorELNS0_4arch9wavefront6targetE0EEEvT1_.num_named_barrier, 0
	.set _ZN7rocprim17ROCPRIM_400000_NS6detail17trampoline_kernelINS0_14default_configENS1_27scan_by_key_config_selectorIixEEZZNS1_16scan_by_key_implILNS1_25lookback_scan_determinismE0ELb0ES3_N6thrust23THRUST_200600_302600_NS6detail15normal_iteratorINS9_10device_ptrIiEEEENSB_INSC_IxEEEESG_xNS9_4plusIvEENS9_8equal_toIvEExEE10hipError_tPvRmT2_T3_T4_T5_mT6_T7_P12ihipStream_tbENKUlT_T0_E_clISt17integral_constantIbLb1EES10_IbLb0EEEEDaSW_SX_EUlSW_E_NS1_11comp_targetILNS1_3genE5ELNS1_11target_archE942ELNS1_3gpuE9ELNS1_3repE0EEENS1_30default_config_static_selectorELNS0_4arch9wavefront6targetE0EEEvT1_.private_seg_size, 0
	.set _ZN7rocprim17ROCPRIM_400000_NS6detail17trampoline_kernelINS0_14default_configENS1_27scan_by_key_config_selectorIixEEZZNS1_16scan_by_key_implILNS1_25lookback_scan_determinismE0ELb0ES3_N6thrust23THRUST_200600_302600_NS6detail15normal_iteratorINS9_10device_ptrIiEEEENSB_INSC_IxEEEESG_xNS9_4plusIvEENS9_8equal_toIvEExEE10hipError_tPvRmT2_T3_T4_T5_mT6_T7_P12ihipStream_tbENKUlT_T0_E_clISt17integral_constantIbLb1EES10_IbLb0EEEEDaSW_SX_EUlSW_E_NS1_11comp_targetILNS1_3genE5ELNS1_11target_archE942ELNS1_3gpuE9ELNS1_3repE0EEENS1_30default_config_static_selectorELNS0_4arch9wavefront6targetE0EEEvT1_.uses_vcc, 0
	.set _ZN7rocprim17ROCPRIM_400000_NS6detail17trampoline_kernelINS0_14default_configENS1_27scan_by_key_config_selectorIixEEZZNS1_16scan_by_key_implILNS1_25lookback_scan_determinismE0ELb0ES3_N6thrust23THRUST_200600_302600_NS6detail15normal_iteratorINS9_10device_ptrIiEEEENSB_INSC_IxEEEESG_xNS9_4plusIvEENS9_8equal_toIvEExEE10hipError_tPvRmT2_T3_T4_T5_mT6_T7_P12ihipStream_tbENKUlT_T0_E_clISt17integral_constantIbLb1EES10_IbLb0EEEEDaSW_SX_EUlSW_E_NS1_11comp_targetILNS1_3genE5ELNS1_11target_archE942ELNS1_3gpuE9ELNS1_3repE0EEENS1_30default_config_static_selectorELNS0_4arch9wavefront6targetE0EEEvT1_.uses_flat_scratch, 0
	.set _ZN7rocprim17ROCPRIM_400000_NS6detail17trampoline_kernelINS0_14default_configENS1_27scan_by_key_config_selectorIixEEZZNS1_16scan_by_key_implILNS1_25lookback_scan_determinismE0ELb0ES3_N6thrust23THRUST_200600_302600_NS6detail15normal_iteratorINS9_10device_ptrIiEEEENSB_INSC_IxEEEESG_xNS9_4plusIvEENS9_8equal_toIvEExEE10hipError_tPvRmT2_T3_T4_T5_mT6_T7_P12ihipStream_tbENKUlT_T0_E_clISt17integral_constantIbLb1EES10_IbLb0EEEEDaSW_SX_EUlSW_E_NS1_11comp_targetILNS1_3genE5ELNS1_11target_archE942ELNS1_3gpuE9ELNS1_3repE0EEENS1_30default_config_static_selectorELNS0_4arch9wavefront6targetE0EEEvT1_.has_dyn_sized_stack, 0
	.set _ZN7rocprim17ROCPRIM_400000_NS6detail17trampoline_kernelINS0_14default_configENS1_27scan_by_key_config_selectorIixEEZZNS1_16scan_by_key_implILNS1_25lookback_scan_determinismE0ELb0ES3_N6thrust23THRUST_200600_302600_NS6detail15normal_iteratorINS9_10device_ptrIiEEEENSB_INSC_IxEEEESG_xNS9_4plusIvEENS9_8equal_toIvEExEE10hipError_tPvRmT2_T3_T4_T5_mT6_T7_P12ihipStream_tbENKUlT_T0_E_clISt17integral_constantIbLb1EES10_IbLb0EEEEDaSW_SX_EUlSW_E_NS1_11comp_targetILNS1_3genE5ELNS1_11target_archE942ELNS1_3gpuE9ELNS1_3repE0EEENS1_30default_config_static_selectorELNS0_4arch9wavefront6targetE0EEEvT1_.has_recursion, 0
	.set _ZN7rocprim17ROCPRIM_400000_NS6detail17trampoline_kernelINS0_14default_configENS1_27scan_by_key_config_selectorIixEEZZNS1_16scan_by_key_implILNS1_25lookback_scan_determinismE0ELb0ES3_N6thrust23THRUST_200600_302600_NS6detail15normal_iteratorINS9_10device_ptrIiEEEENSB_INSC_IxEEEESG_xNS9_4plusIvEENS9_8equal_toIvEExEE10hipError_tPvRmT2_T3_T4_T5_mT6_T7_P12ihipStream_tbENKUlT_T0_E_clISt17integral_constantIbLb1EES10_IbLb0EEEEDaSW_SX_EUlSW_E_NS1_11comp_targetILNS1_3genE5ELNS1_11target_archE942ELNS1_3gpuE9ELNS1_3repE0EEENS1_30default_config_static_selectorELNS0_4arch9wavefront6targetE0EEEvT1_.has_indirect_call, 0
	.section	.AMDGPU.csdata,"",@progbits
; Kernel info:
; codeLenInByte = 0
; TotalNumSgprs: 0
; NumVgprs: 0
; ScratchSize: 0
; MemoryBound: 0
; FloatMode: 240
; IeeeMode: 1
; LDSByteSize: 0 bytes/workgroup (compile time only)
; SGPRBlocks: 0
; VGPRBlocks: 0
; NumSGPRsForWavesPerEU: 1
; NumVGPRsForWavesPerEU: 1
; NamedBarCnt: 0
; Occupancy: 16
; WaveLimiterHint : 0
; COMPUTE_PGM_RSRC2:SCRATCH_EN: 0
; COMPUTE_PGM_RSRC2:USER_SGPR: 2
; COMPUTE_PGM_RSRC2:TRAP_HANDLER: 0
; COMPUTE_PGM_RSRC2:TGID_X_EN: 1
; COMPUTE_PGM_RSRC2:TGID_Y_EN: 0
; COMPUTE_PGM_RSRC2:TGID_Z_EN: 0
; COMPUTE_PGM_RSRC2:TIDIG_COMP_CNT: 0
	.section	.text._ZN7rocprim17ROCPRIM_400000_NS6detail17trampoline_kernelINS0_14default_configENS1_27scan_by_key_config_selectorIixEEZZNS1_16scan_by_key_implILNS1_25lookback_scan_determinismE0ELb0ES3_N6thrust23THRUST_200600_302600_NS6detail15normal_iteratorINS9_10device_ptrIiEEEENSB_INSC_IxEEEESG_xNS9_4plusIvEENS9_8equal_toIvEExEE10hipError_tPvRmT2_T3_T4_T5_mT6_T7_P12ihipStream_tbENKUlT_T0_E_clISt17integral_constantIbLb1EES10_IbLb0EEEEDaSW_SX_EUlSW_E_NS1_11comp_targetILNS1_3genE4ELNS1_11target_archE910ELNS1_3gpuE8ELNS1_3repE0EEENS1_30default_config_static_selectorELNS0_4arch9wavefront6targetE0EEEvT1_,"axG",@progbits,_ZN7rocprim17ROCPRIM_400000_NS6detail17trampoline_kernelINS0_14default_configENS1_27scan_by_key_config_selectorIixEEZZNS1_16scan_by_key_implILNS1_25lookback_scan_determinismE0ELb0ES3_N6thrust23THRUST_200600_302600_NS6detail15normal_iteratorINS9_10device_ptrIiEEEENSB_INSC_IxEEEESG_xNS9_4plusIvEENS9_8equal_toIvEExEE10hipError_tPvRmT2_T3_T4_T5_mT6_T7_P12ihipStream_tbENKUlT_T0_E_clISt17integral_constantIbLb1EES10_IbLb0EEEEDaSW_SX_EUlSW_E_NS1_11comp_targetILNS1_3genE4ELNS1_11target_archE910ELNS1_3gpuE8ELNS1_3repE0EEENS1_30default_config_static_selectorELNS0_4arch9wavefront6targetE0EEEvT1_,comdat
	.protected	_ZN7rocprim17ROCPRIM_400000_NS6detail17trampoline_kernelINS0_14default_configENS1_27scan_by_key_config_selectorIixEEZZNS1_16scan_by_key_implILNS1_25lookback_scan_determinismE0ELb0ES3_N6thrust23THRUST_200600_302600_NS6detail15normal_iteratorINS9_10device_ptrIiEEEENSB_INSC_IxEEEESG_xNS9_4plusIvEENS9_8equal_toIvEExEE10hipError_tPvRmT2_T3_T4_T5_mT6_T7_P12ihipStream_tbENKUlT_T0_E_clISt17integral_constantIbLb1EES10_IbLb0EEEEDaSW_SX_EUlSW_E_NS1_11comp_targetILNS1_3genE4ELNS1_11target_archE910ELNS1_3gpuE8ELNS1_3repE0EEENS1_30default_config_static_selectorELNS0_4arch9wavefront6targetE0EEEvT1_ ; -- Begin function _ZN7rocprim17ROCPRIM_400000_NS6detail17trampoline_kernelINS0_14default_configENS1_27scan_by_key_config_selectorIixEEZZNS1_16scan_by_key_implILNS1_25lookback_scan_determinismE0ELb0ES3_N6thrust23THRUST_200600_302600_NS6detail15normal_iteratorINS9_10device_ptrIiEEEENSB_INSC_IxEEEESG_xNS9_4plusIvEENS9_8equal_toIvEExEE10hipError_tPvRmT2_T3_T4_T5_mT6_T7_P12ihipStream_tbENKUlT_T0_E_clISt17integral_constantIbLb1EES10_IbLb0EEEEDaSW_SX_EUlSW_E_NS1_11comp_targetILNS1_3genE4ELNS1_11target_archE910ELNS1_3gpuE8ELNS1_3repE0EEENS1_30default_config_static_selectorELNS0_4arch9wavefront6targetE0EEEvT1_
	.globl	_ZN7rocprim17ROCPRIM_400000_NS6detail17trampoline_kernelINS0_14default_configENS1_27scan_by_key_config_selectorIixEEZZNS1_16scan_by_key_implILNS1_25lookback_scan_determinismE0ELb0ES3_N6thrust23THRUST_200600_302600_NS6detail15normal_iteratorINS9_10device_ptrIiEEEENSB_INSC_IxEEEESG_xNS9_4plusIvEENS9_8equal_toIvEExEE10hipError_tPvRmT2_T3_T4_T5_mT6_T7_P12ihipStream_tbENKUlT_T0_E_clISt17integral_constantIbLb1EES10_IbLb0EEEEDaSW_SX_EUlSW_E_NS1_11comp_targetILNS1_3genE4ELNS1_11target_archE910ELNS1_3gpuE8ELNS1_3repE0EEENS1_30default_config_static_selectorELNS0_4arch9wavefront6targetE0EEEvT1_
	.p2align	8
	.type	_ZN7rocprim17ROCPRIM_400000_NS6detail17trampoline_kernelINS0_14default_configENS1_27scan_by_key_config_selectorIixEEZZNS1_16scan_by_key_implILNS1_25lookback_scan_determinismE0ELb0ES3_N6thrust23THRUST_200600_302600_NS6detail15normal_iteratorINS9_10device_ptrIiEEEENSB_INSC_IxEEEESG_xNS9_4plusIvEENS9_8equal_toIvEExEE10hipError_tPvRmT2_T3_T4_T5_mT6_T7_P12ihipStream_tbENKUlT_T0_E_clISt17integral_constantIbLb1EES10_IbLb0EEEEDaSW_SX_EUlSW_E_NS1_11comp_targetILNS1_3genE4ELNS1_11target_archE910ELNS1_3gpuE8ELNS1_3repE0EEENS1_30default_config_static_selectorELNS0_4arch9wavefront6targetE0EEEvT1_,@function
_ZN7rocprim17ROCPRIM_400000_NS6detail17trampoline_kernelINS0_14default_configENS1_27scan_by_key_config_selectorIixEEZZNS1_16scan_by_key_implILNS1_25lookback_scan_determinismE0ELb0ES3_N6thrust23THRUST_200600_302600_NS6detail15normal_iteratorINS9_10device_ptrIiEEEENSB_INSC_IxEEEESG_xNS9_4plusIvEENS9_8equal_toIvEExEE10hipError_tPvRmT2_T3_T4_T5_mT6_T7_P12ihipStream_tbENKUlT_T0_E_clISt17integral_constantIbLb1EES10_IbLb0EEEEDaSW_SX_EUlSW_E_NS1_11comp_targetILNS1_3genE4ELNS1_11target_archE910ELNS1_3gpuE8ELNS1_3repE0EEENS1_30default_config_static_selectorELNS0_4arch9wavefront6targetE0EEEvT1_: ; @_ZN7rocprim17ROCPRIM_400000_NS6detail17trampoline_kernelINS0_14default_configENS1_27scan_by_key_config_selectorIixEEZZNS1_16scan_by_key_implILNS1_25lookback_scan_determinismE0ELb0ES3_N6thrust23THRUST_200600_302600_NS6detail15normal_iteratorINS9_10device_ptrIiEEEENSB_INSC_IxEEEESG_xNS9_4plusIvEENS9_8equal_toIvEExEE10hipError_tPvRmT2_T3_T4_T5_mT6_T7_P12ihipStream_tbENKUlT_T0_E_clISt17integral_constantIbLb1EES10_IbLb0EEEEDaSW_SX_EUlSW_E_NS1_11comp_targetILNS1_3genE4ELNS1_11target_archE910ELNS1_3gpuE8ELNS1_3repE0EEENS1_30default_config_static_selectorELNS0_4arch9wavefront6targetE0EEEvT1_
; %bb.0:
	.section	.rodata,"a",@progbits
	.p2align	6, 0x0
	.amdhsa_kernel _ZN7rocprim17ROCPRIM_400000_NS6detail17trampoline_kernelINS0_14default_configENS1_27scan_by_key_config_selectorIixEEZZNS1_16scan_by_key_implILNS1_25lookback_scan_determinismE0ELb0ES3_N6thrust23THRUST_200600_302600_NS6detail15normal_iteratorINS9_10device_ptrIiEEEENSB_INSC_IxEEEESG_xNS9_4plusIvEENS9_8equal_toIvEExEE10hipError_tPvRmT2_T3_T4_T5_mT6_T7_P12ihipStream_tbENKUlT_T0_E_clISt17integral_constantIbLb1EES10_IbLb0EEEEDaSW_SX_EUlSW_E_NS1_11comp_targetILNS1_3genE4ELNS1_11target_archE910ELNS1_3gpuE8ELNS1_3repE0EEENS1_30default_config_static_selectorELNS0_4arch9wavefront6targetE0EEEvT1_
		.amdhsa_group_segment_fixed_size 0
		.amdhsa_private_segment_fixed_size 0
		.amdhsa_kernarg_size 136
		.amdhsa_user_sgpr_count 2
		.amdhsa_user_sgpr_dispatch_ptr 0
		.amdhsa_user_sgpr_queue_ptr 0
		.amdhsa_user_sgpr_kernarg_segment_ptr 1
		.amdhsa_user_sgpr_dispatch_id 0
		.amdhsa_user_sgpr_kernarg_preload_length 0
		.amdhsa_user_sgpr_kernarg_preload_offset 0
		.amdhsa_user_sgpr_private_segment_size 0
		.amdhsa_wavefront_size32 1
		.amdhsa_uses_dynamic_stack 0
		.amdhsa_enable_private_segment 0
		.amdhsa_system_sgpr_workgroup_id_x 1
		.amdhsa_system_sgpr_workgroup_id_y 0
		.amdhsa_system_sgpr_workgroup_id_z 0
		.amdhsa_system_sgpr_workgroup_info 0
		.amdhsa_system_vgpr_workitem_id 0
		.amdhsa_next_free_vgpr 1
		.amdhsa_next_free_sgpr 1
		.amdhsa_named_barrier_count 0
		.amdhsa_reserve_vcc 0
		.amdhsa_float_round_mode_32 0
		.amdhsa_float_round_mode_16_64 0
		.amdhsa_float_denorm_mode_32 3
		.amdhsa_float_denorm_mode_16_64 3
		.amdhsa_fp16_overflow 0
		.amdhsa_memory_ordered 1
		.amdhsa_forward_progress 1
		.amdhsa_inst_pref_size 0
		.amdhsa_round_robin_scheduling 0
		.amdhsa_exception_fp_ieee_invalid_op 0
		.amdhsa_exception_fp_denorm_src 0
		.amdhsa_exception_fp_ieee_div_zero 0
		.amdhsa_exception_fp_ieee_overflow 0
		.amdhsa_exception_fp_ieee_underflow 0
		.amdhsa_exception_fp_ieee_inexact 0
		.amdhsa_exception_int_div_zero 0
	.end_amdhsa_kernel
	.section	.text._ZN7rocprim17ROCPRIM_400000_NS6detail17trampoline_kernelINS0_14default_configENS1_27scan_by_key_config_selectorIixEEZZNS1_16scan_by_key_implILNS1_25lookback_scan_determinismE0ELb0ES3_N6thrust23THRUST_200600_302600_NS6detail15normal_iteratorINS9_10device_ptrIiEEEENSB_INSC_IxEEEESG_xNS9_4plusIvEENS9_8equal_toIvEExEE10hipError_tPvRmT2_T3_T4_T5_mT6_T7_P12ihipStream_tbENKUlT_T0_E_clISt17integral_constantIbLb1EES10_IbLb0EEEEDaSW_SX_EUlSW_E_NS1_11comp_targetILNS1_3genE4ELNS1_11target_archE910ELNS1_3gpuE8ELNS1_3repE0EEENS1_30default_config_static_selectorELNS0_4arch9wavefront6targetE0EEEvT1_,"axG",@progbits,_ZN7rocprim17ROCPRIM_400000_NS6detail17trampoline_kernelINS0_14default_configENS1_27scan_by_key_config_selectorIixEEZZNS1_16scan_by_key_implILNS1_25lookback_scan_determinismE0ELb0ES3_N6thrust23THRUST_200600_302600_NS6detail15normal_iteratorINS9_10device_ptrIiEEEENSB_INSC_IxEEEESG_xNS9_4plusIvEENS9_8equal_toIvEExEE10hipError_tPvRmT2_T3_T4_T5_mT6_T7_P12ihipStream_tbENKUlT_T0_E_clISt17integral_constantIbLb1EES10_IbLb0EEEEDaSW_SX_EUlSW_E_NS1_11comp_targetILNS1_3genE4ELNS1_11target_archE910ELNS1_3gpuE8ELNS1_3repE0EEENS1_30default_config_static_selectorELNS0_4arch9wavefront6targetE0EEEvT1_,comdat
.Lfunc_end1334:
	.size	_ZN7rocprim17ROCPRIM_400000_NS6detail17trampoline_kernelINS0_14default_configENS1_27scan_by_key_config_selectorIixEEZZNS1_16scan_by_key_implILNS1_25lookback_scan_determinismE0ELb0ES3_N6thrust23THRUST_200600_302600_NS6detail15normal_iteratorINS9_10device_ptrIiEEEENSB_INSC_IxEEEESG_xNS9_4plusIvEENS9_8equal_toIvEExEE10hipError_tPvRmT2_T3_T4_T5_mT6_T7_P12ihipStream_tbENKUlT_T0_E_clISt17integral_constantIbLb1EES10_IbLb0EEEEDaSW_SX_EUlSW_E_NS1_11comp_targetILNS1_3genE4ELNS1_11target_archE910ELNS1_3gpuE8ELNS1_3repE0EEENS1_30default_config_static_selectorELNS0_4arch9wavefront6targetE0EEEvT1_, .Lfunc_end1334-_ZN7rocprim17ROCPRIM_400000_NS6detail17trampoline_kernelINS0_14default_configENS1_27scan_by_key_config_selectorIixEEZZNS1_16scan_by_key_implILNS1_25lookback_scan_determinismE0ELb0ES3_N6thrust23THRUST_200600_302600_NS6detail15normal_iteratorINS9_10device_ptrIiEEEENSB_INSC_IxEEEESG_xNS9_4plusIvEENS9_8equal_toIvEExEE10hipError_tPvRmT2_T3_T4_T5_mT6_T7_P12ihipStream_tbENKUlT_T0_E_clISt17integral_constantIbLb1EES10_IbLb0EEEEDaSW_SX_EUlSW_E_NS1_11comp_targetILNS1_3genE4ELNS1_11target_archE910ELNS1_3gpuE8ELNS1_3repE0EEENS1_30default_config_static_selectorELNS0_4arch9wavefront6targetE0EEEvT1_
                                        ; -- End function
	.set _ZN7rocprim17ROCPRIM_400000_NS6detail17trampoline_kernelINS0_14default_configENS1_27scan_by_key_config_selectorIixEEZZNS1_16scan_by_key_implILNS1_25lookback_scan_determinismE0ELb0ES3_N6thrust23THRUST_200600_302600_NS6detail15normal_iteratorINS9_10device_ptrIiEEEENSB_INSC_IxEEEESG_xNS9_4plusIvEENS9_8equal_toIvEExEE10hipError_tPvRmT2_T3_T4_T5_mT6_T7_P12ihipStream_tbENKUlT_T0_E_clISt17integral_constantIbLb1EES10_IbLb0EEEEDaSW_SX_EUlSW_E_NS1_11comp_targetILNS1_3genE4ELNS1_11target_archE910ELNS1_3gpuE8ELNS1_3repE0EEENS1_30default_config_static_selectorELNS0_4arch9wavefront6targetE0EEEvT1_.num_vgpr, 0
	.set _ZN7rocprim17ROCPRIM_400000_NS6detail17trampoline_kernelINS0_14default_configENS1_27scan_by_key_config_selectorIixEEZZNS1_16scan_by_key_implILNS1_25lookback_scan_determinismE0ELb0ES3_N6thrust23THRUST_200600_302600_NS6detail15normal_iteratorINS9_10device_ptrIiEEEENSB_INSC_IxEEEESG_xNS9_4plusIvEENS9_8equal_toIvEExEE10hipError_tPvRmT2_T3_T4_T5_mT6_T7_P12ihipStream_tbENKUlT_T0_E_clISt17integral_constantIbLb1EES10_IbLb0EEEEDaSW_SX_EUlSW_E_NS1_11comp_targetILNS1_3genE4ELNS1_11target_archE910ELNS1_3gpuE8ELNS1_3repE0EEENS1_30default_config_static_selectorELNS0_4arch9wavefront6targetE0EEEvT1_.num_agpr, 0
	.set _ZN7rocprim17ROCPRIM_400000_NS6detail17trampoline_kernelINS0_14default_configENS1_27scan_by_key_config_selectorIixEEZZNS1_16scan_by_key_implILNS1_25lookback_scan_determinismE0ELb0ES3_N6thrust23THRUST_200600_302600_NS6detail15normal_iteratorINS9_10device_ptrIiEEEENSB_INSC_IxEEEESG_xNS9_4plusIvEENS9_8equal_toIvEExEE10hipError_tPvRmT2_T3_T4_T5_mT6_T7_P12ihipStream_tbENKUlT_T0_E_clISt17integral_constantIbLb1EES10_IbLb0EEEEDaSW_SX_EUlSW_E_NS1_11comp_targetILNS1_3genE4ELNS1_11target_archE910ELNS1_3gpuE8ELNS1_3repE0EEENS1_30default_config_static_selectorELNS0_4arch9wavefront6targetE0EEEvT1_.numbered_sgpr, 0
	.set _ZN7rocprim17ROCPRIM_400000_NS6detail17trampoline_kernelINS0_14default_configENS1_27scan_by_key_config_selectorIixEEZZNS1_16scan_by_key_implILNS1_25lookback_scan_determinismE0ELb0ES3_N6thrust23THRUST_200600_302600_NS6detail15normal_iteratorINS9_10device_ptrIiEEEENSB_INSC_IxEEEESG_xNS9_4plusIvEENS9_8equal_toIvEExEE10hipError_tPvRmT2_T3_T4_T5_mT6_T7_P12ihipStream_tbENKUlT_T0_E_clISt17integral_constantIbLb1EES10_IbLb0EEEEDaSW_SX_EUlSW_E_NS1_11comp_targetILNS1_3genE4ELNS1_11target_archE910ELNS1_3gpuE8ELNS1_3repE0EEENS1_30default_config_static_selectorELNS0_4arch9wavefront6targetE0EEEvT1_.num_named_barrier, 0
	.set _ZN7rocprim17ROCPRIM_400000_NS6detail17trampoline_kernelINS0_14default_configENS1_27scan_by_key_config_selectorIixEEZZNS1_16scan_by_key_implILNS1_25lookback_scan_determinismE0ELb0ES3_N6thrust23THRUST_200600_302600_NS6detail15normal_iteratorINS9_10device_ptrIiEEEENSB_INSC_IxEEEESG_xNS9_4plusIvEENS9_8equal_toIvEExEE10hipError_tPvRmT2_T3_T4_T5_mT6_T7_P12ihipStream_tbENKUlT_T0_E_clISt17integral_constantIbLb1EES10_IbLb0EEEEDaSW_SX_EUlSW_E_NS1_11comp_targetILNS1_3genE4ELNS1_11target_archE910ELNS1_3gpuE8ELNS1_3repE0EEENS1_30default_config_static_selectorELNS0_4arch9wavefront6targetE0EEEvT1_.private_seg_size, 0
	.set _ZN7rocprim17ROCPRIM_400000_NS6detail17trampoline_kernelINS0_14default_configENS1_27scan_by_key_config_selectorIixEEZZNS1_16scan_by_key_implILNS1_25lookback_scan_determinismE0ELb0ES3_N6thrust23THRUST_200600_302600_NS6detail15normal_iteratorINS9_10device_ptrIiEEEENSB_INSC_IxEEEESG_xNS9_4plusIvEENS9_8equal_toIvEExEE10hipError_tPvRmT2_T3_T4_T5_mT6_T7_P12ihipStream_tbENKUlT_T0_E_clISt17integral_constantIbLb1EES10_IbLb0EEEEDaSW_SX_EUlSW_E_NS1_11comp_targetILNS1_3genE4ELNS1_11target_archE910ELNS1_3gpuE8ELNS1_3repE0EEENS1_30default_config_static_selectorELNS0_4arch9wavefront6targetE0EEEvT1_.uses_vcc, 0
	.set _ZN7rocprim17ROCPRIM_400000_NS6detail17trampoline_kernelINS0_14default_configENS1_27scan_by_key_config_selectorIixEEZZNS1_16scan_by_key_implILNS1_25lookback_scan_determinismE0ELb0ES3_N6thrust23THRUST_200600_302600_NS6detail15normal_iteratorINS9_10device_ptrIiEEEENSB_INSC_IxEEEESG_xNS9_4plusIvEENS9_8equal_toIvEExEE10hipError_tPvRmT2_T3_T4_T5_mT6_T7_P12ihipStream_tbENKUlT_T0_E_clISt17integral_constantIbLb1EES10_IbLb0EEEEDaSW_SX_EUlSW_E_NS1_11comp_targetILNS1_3genE4ELNS1_11target_archE910ELNS1_3gpuE8ELNS1_3repE0EEENS1_30default_config_static_selectorELNS0_4arch9wavefront6targetE0EEEvT1_.uses_flat_scratch, 0
	.set _ZN7rocprim17ROCPRIM_400000_NS6detail17trampoline_kernelINS0_14default_configENS1_27scan_by_key_config_selectorIixEEZZNS1_16scan_by_key_implILNS1_25lookback_scan_determinismE0ELb0ES3_N6thrust23THRUST_200600_302600_NS6detail15normal_iteratorINS9_10device_ptrIiEEEENSB_INSC_IxEEEESG_xNS9_4plusIvEENS9_8equal_toIvEExEE10hipError_tPvRmT2_T3_T4_T5_mT6_T7_P12ihipStream_tbENKUlT_T0_E_clISt17integral_constantIbLb1EES10_IbLb0EEEEDaSW_SX_EUlSW_E_NS1_11comp_targetILNS1_3genE4ELNS1_11target_archE910ELNS1_3gpuE8ELNS1_3repE0EEENS1_30default_config_static_selectorELNS0_4arch9wavefront6targetE0EEEvT1_.has_dyn_sized_stack, 0
	.set _ZN7rocprim17ROCPRIM_400000_NS6detail17trampoline_kernelINS0_14default_configENS1_27scan_by_key_config_selectorIixEEZZNS1_16scan_by_key_implILNS1_25lookback_scan_determinismE0ELb0ES3_N6thrust23THRUST_200600_302600_NS6detail15normal_iteratorINS9_10device_ptrIiEEEENSB_INSC_IxEEEESG_xNS9_4plusIvEENS9_8equal_toIvEExEE10hipError_tPvRmT2_T3_T4_T5_mT6_T7_P12ihipStream_tbENKUlT_T0_E_clISt17integral_constantIbLb1EES10_IbLb0EEEEDaSW_SX_EUlSW_E_NS1_11comp_targetILNS1_3genE4ELNS1_11target_archE910ELNS1_3gpuE8ELNS1_3repE0EEENS1_30default_config_static_selectorELNS0_4arch9wavefront6targetE0EEEvT1_.has_recursion, 0
	.set _ZN7rocprim17ROCPRIM_400000_NS6detail17trampoline_kernelINS0_14default_configENS1_27scan_by_key_config_selectorIixEEZZNS1_16scan_by_key_implILNS1_25lookback_scan_determinismE0ELb0ES3_N6thrust23THRUST_200600_302600_NS6detail15normal_iteratorINS9_10device_ptrIiEEEENSB_INSC_IxEEEESG_xNS9_4plusIvEENS9_8equal_toIvEExEE10hipError_tPvRmT2_T3_T4_T5_mT6_T7_P12ihipStream_tbENKUlT_T0_E_clISt17integral_constantIbLb1EES10_IbLb0EEEEDaSW_SX_EUlSW_E_NS1_11comp_targetILNS1_3genE4ELNS1_11target_archE910ELNS1_3gpuE8ELNS1_3repE0EEENS1_30default_config_static_selectorELNS0_4arch9wavefront6targetE0EEEvT1_.has_indirect_call, 0
	.section	.AMDGPU.csdata,"",@progbits
; Kernel info:
; codeLenInByte = 0
; TotalNumSgprs: 0
; NumVgprs: 0
; ScratchSize: 0
; MemoryBound: 0
; FloatMode: 240
; IeeeMode: 1
; LDSByteSize: 0 bytes/workgroup (compile time only)
; SGPRBlocks: 0
; VGPRBlocks: 0
; NumSGPRsForWavesPerEU: 1
; NumVGPRsForWavesPerEU: 1
; NamedBarCnt: 0
; Occupancy: 16
; WaveLimiterHint : 0
; COMPUTE_PGM_RSRC2:SCRATCH_EN: 0
; COMPUTE_PGM_RSRC2:USER_SGPR: 2
; COMPUTE_PGM_RSRC2:TRAP_HANDLER: 0
; COMPUTE_PGM_RSRC2:TGID_X_EN: 1
; COMPUTE_PGM_RSRC2:TGID_Y_EN: 0
; COMPUTE_PGM_RSRC2:TGID_Z_EN: 0
; COMPUTE_PGM_RSRC2:TIDIG_COMP_CNT: 0
	.section	.text._ZN7rocprim17ROCPRIM_400000_NS6detail17trampoline_kernelINS0_14default_configENS1_27scan_by_key_config_selectorIixEEZZNS1_16scan_by_key_implILNS1_25lookback_scan_determinismE0ELb0ES3_N6thrust23THRUST_200600_302600_NS6detail15normal_iteratorINS9_10device_ptrIiEEEENSB_INSC_IxEEEESG_xNS9_4plusIvEENS9_8equal_toIvEExEE10hipError_tPvRmT2_T3_T4_T5_mT6_T7_P12ihipStream_tbENKUlT_T0_E_clISt17integral_constantIbLb1EES10_IbLb0EEEEDaSW_SX_EUlSW_E_NS1_11comp_targetILNS1_3genE3ELNS1_11target_archE908ELNS1_3gpuE7ELNS1_3repE0EEENS1_30default_config_static_selectorELNS0_4arch9wavefront6targetE0EEEvT1_,"axG",@progbits,_ZN7rocprim17ROCPRIM_400000_NS6detail17trampoline_kernelINS0_14default_configENS1_27scan_by_key_config_selectorIixEEZZNS1_16scan_by_key_implILNS1_25lookback_scan_determinismE0ELb0ES3_N6thrust23THRUST_200600_302600_NS6detail15normal_iteratorINS9_10device_ptrIiEEEENSB_INSC_IxEEEESG_xNS9_4plusIvEENS9_8equal_toIvEExEE10hipError_tPvRmT2_T3_T4_T5_mT6_T7_P12ihipStream_tbENKUlT_T0_E_clISt17integral_constantIbLb1EES10_IbLb0EEEEDaSW_SX_EUlSW_E_NS1_11comp_targetILNS1_3genE3ELNS1_11target_archE908ELNS1_3gpuE7ELNS1_3repE0EEENS1_30default_config_static_selectorELNS0_4arch9wavefront6targetE0EEEvT1_,comdat
	.protected	_ZN7rocprim17ROCPRIM_400000_NS6detail17trampoline_kernelINS0_14default_configENS1_27scan_by_key_config_selectorIixEEZZNS1_16scan_by_key_implILNS1_25lookback_scan_determinismE0ELb0ES3_N6thrust23THRUST_200600_302600_NS6detail15normal_iteratorINS9_10device_ptrIiEEEENSB_INSC_IxEEEESG_xNS9_4plusIvEENS9_8equal_toIvEExEE10hipError_tPvRmT2_T3_T4_T5_mT6_T7_P12ihipStream_tbENKUlT_T0_E_clISt17integral_constantIbLb1EES10_IbLb0EEEEDaSW_SX_EUlSW_E_NS1_11comp_targetILNS1_3genE3ELNS1_11target_archE908ELNS1_3gpuE7ELNS1_3repE0EEENS1_30default_config_static_selectorELNS0_4arch9wavefront6targetE0EEEvT1_ ; -- Begin function _ZN7rocprim17ROCPRIM_400000_NS6detail17trampoline_kernelINS0_14default_configENS1_27scan_by_key_config_selectorIixEEZZNS1_16scan_by_key_implILNS1_25lookback_scan_determinismE0ELb0ES3_N6thrust23THRUST_200600_302600_NS6detail15normal_iteratorINS9_10device_ptrIiEEEENSB_INSC_IxEEEESG_xNS9_4plusIvEENS9_8equal_toIvEExEE10hipError_tPvRmT2_T3_T4_T5_mT6_T7_P12ihipStream_tbENKUlT_T0_E_clISt17integral_constantIbLb1EES10_IbLb0EEEEDaSW_SX_EUlSW_E_NS1_11comp_targetILNS1_3genE3ELNS1_11target_archE908ELNS1_3gpuE7ELNS1_3repE0EEENS1_30default_config_static_selectorELNS0_4arch9wavefront6targetE0EEEvT1_
	.globl	_ZN7rocprim17ROCPRIM_400000_NS6detail17trampoline_kernelINS0_14default_configENS1_27scan_by_key_config_selectorIixEEZZNS1_16scan_by_key_implILNS1_25lookback_scan_determinismE0ELb0ES3_N6thrust23THRUST_200600_302600_NS6detail15normal_iteratorINS9_10device_ptrIiEEEENSB_INSC_IxEEEESG_xNS9_4plusIvEENS9_8equal_toIvEExEE10hipError_tPvRmT2_T3_T4_T5_mT6_T7_P12ihipStream_tbENKUlT_T0_E_clISt17integral_constantIbLb1EES10_IbLb0EEEEDaSW_SX_EUlSW_E_NS1_11comp_targetILNS1_3genE3ELNS1_11target_archE908ELNS1_3gpuE7ELNS1_3repE0EEENS1_30default_config_static_selectorELNS0_4arch9wavefront6targetE0EEEvT1_
	.p2align	8
	.type	_ZN7rocprim17ROCPRIM_400000_NS6detail17trampoline_kernelINS0_14default_configENS1_27scan_by_key_config_selectorIixEEZZNS1_16scan_by_key_implILNS1_25lookback_scan_determinismE0ELb0ES3_N6thrust23THRUST_200600_302600_NS6detail15normal_iteratorINS9_10device_ptrIiEEEENSB_INSC_IxEEEESG_xNS9_4plusIvEENS9_8equal_toIvEExEE10hipError_tPvRmT2_T3_T4_T5_mT6_T7_P12ihipStream_tbENKUlT_T0_E_clISt17integral_constantIbLb1EES10_IbLb0EEEEDaSW_SX_EUlSW_E_NS1_11comp_targetILNS1_3genE3ELNS1_11target_archE908ELNS1_3gpuE7ELNS1_3repE0EEENS1_30default_config_static_selectorELNS0_4arch9wavefront6targetE0EEEvT1_,@function
_ZN7rocprim17ROCPRIM_400000_NS6detail17trampoline_kernelINS0_14default_configENS1_27scan_by_key_config_selectorIixEEZZNS1_16scan_by_key_implILNS1_25lookback_scan_determinismE0ELb0ES3_N6thrust23THRUST_200600_302600_NS6detail15normal_iteratorINS9_10device_ptrIiEEEENSB_INSC_IxEEEESG_xNS9_4plusIvEENS9_8equal_toIvEExEE10hipError_tPvRmT2_T3_T4_T5_mT6_T7_P12ihipStream_tbENKUlT_T0_E_clISt17integral_constantIbLb1EES10_IbLb0EEEEDaSW_SX_EUlSW_E_NS1_11comp_targetILNS1_3genE3ELNS1_11target_archE908ELNS1_3gpuE7ELNS1_3repE0EEENS1_30default_config_static_selectorELNS0_4arch9wavefront6targetE0EEEvT1_: ; @_ZN7rocprim17ROCPRIM_400000_NS6detail17trampoline_kernelINS0_14default_configENS1_27scan_by_key_config_selectorIixEEZZNS1_16scan_by_key_implILNS1_25lookback_scan_determinismE0ELb0ES3_N6thrust23THRUST_200600_302600_NS6detail15normal_iteratorINS9_10device_ptrIiEEEENSB_INSC_IxEEEESG_xNS9_4plusIvEENS9_8equal_toIvEExEE10hipError_tPvRmT2_T3_T4_T5_mT6_T7_P12ihipStream_tbENKUlT_T0_E_clISt17integral_constantIbLb1EES10_IbLb0EEEEDaSW_SX_EUlSW_E_NS1_11comp_targetILNS1_3genE3ELNS1_11target_archE908ELNS1_3gpuE7ELNS1_3repE0EEENS1_30default_config_static_selectorELNS0_4arch9wavefront6targetE0EEEvT1_
; %bb.0:
	.section	.rodata,"a",@progbits
	.p2align	6, 0x0
	.amdhsa_kernel _ZN7rocprim17ROCPRIM_400000_NS6detail17trampoline_kernelINS0_14default_configENS1_27scan_by_key_config_selectorIixEEZZNS1_16scan_by_key_implILNS1_25lookback_scan_determinismE0ELb0ES3_N6thrust23THRUST_200600_302600_NS6detail15normal_iteratorINS9_10device_ptrIiEEEENSB_INSC_IxEEEESG_xNS9_4plusIvEENS9_8equal_toIvEExEE10hipError_tPvRmT2_T3_T4_T5_mT6_T7_P12ihipStream_tbENKUlT_T0_E_clISt17integral_constantIbLb1EES10_IbLb0EEEEDaSW_SX_EUlSW_E_NS1_11comp_targetILNS1_3genE3ELNS1_11target_archE908ELNS1_3gpuE7ELNS1_3repE0EEENS1_30default_config_static_selectorELNS0_4arch9wavefront6targetE0EEEvT1_
		.amdhsa_group_segment_fixed_size 0
		.amdhsa_private_segment_fixed_size 0
		.amdhsa_kernarg_size 136
		.amdhsa_user_sgpr_count 2
		.amdhsa_user_sgpr_dispatch_ptr 0
		.amdhsa_user_sgpr_queue_ptr 0
		.amdhsa_user_sgpr_kernarg_segment_ptr 1
		.amdhsa_user_sgpr_dispatch_id 0
		.amdhsa_user_sgpr_kernarg_preload_length 0
		.amdhsa_user_sgpr_kernarg_preload_offset 0
		.amdhsa_user_sgpr_private_segment_size 0
		.amdhsa_wavefront_size32 1
		.amdhsa_uses_dynamic_stack 0
		.amdhsa_enable_private_segment 0
		.amdhsa_system_sgpr_workgroup_id_x 1
		.amdhsa_system_sgpr_workgroup_id_y 0
		.amdhsa_system_sgpr_workgroup_id_z 0
		.amdhsa_system_sgpr_workgroup_info 0
		.amdhsa_system_vgpr_workitem_id 0
		.amdhsa_next_free_vgpr 1
		.amdhsa_next_free_sgpr 1
		.amdhsa_named_barrier_count 0
		.amdhsa_reserve_vcc 0
		.amdhsa_float_round_mode_32 0
		.amdhsa_float_round_mode_16_64 0
		.amdhsa_float_denorm_mode_32 3
		.amdhsa_float_denorm_mode_16_64 3
		.amdhsa_fp16_overflow 0
		.amdhsa_memory_ordered 1
		.amdhsa_forward_progress 1
		.amdhsa_inst_pref_size 0
		.amdhsa_round_robin_scheduling 0
		.amdhsa_exception_fp_ieee_invalid_op 0
		.amdhsa_exception_fp_denorm_src 0
		.amdhsa_exception_fp_ieee_div_zero 0
		.amdhsa_exception_fp_ieee_overflow 0
		.amdhsa_exception_fp_ieee_underflow 0
		.amdhsa_exception_fp_ieee_inexact 0
		.amdhsa_exception_int_div_zero 0
	.end_amdhsa_kernel
	.section	.text._ZN7rocprim17ROCPRIM_400000_NS6detail17trampoline_kernelINS0_14default_configENS1_27scan_by_key_config_selectorIixEEZZNS1_16scan_by_key_implILNS1_25lookback_scan_determinismE0ELb0ES3_N6thrust23THRUST_200600_302600_NS6detail15normal_iteratorINS9_10device_ptrIiEEEENSB_INSC_IxEEEESG_xNS9_4plusIvEENS9_8equal_toIvEExEE10hipError_tPvRmT2_T3_T4_T5_mT6_T7_P12ihipStream_tbENKUlT_T0_E_clISt17integral_constantIbLb1EES10_IbLb0EEEEDaSW_SX_EUlSW_E_NS1_11comp_targetILNS1_3genE3ELNS1_11target_archE908ELNS1_3gpuE7ELNS1_3repE0EEENS1_30default_config_static_selectorELNS0_4arch9wavefront6targetE0EEEvT1_,"axG",@progbits,_ZN7rocprim17ROCPRIM_400000_NS6detail17trampoline_kernelINS0_14default_configENS1_27scan_by_key_config_selectorIixEEZZNS1_16scan_by_key_implILNS1_25lookback_scan_determinismE0ELb0ES3_N6thrust23THRUST_200600_302600_NS6detail15normal_iteratorINS9_10device_ptrIiEEEENSB_INSC_IxEEEESG_xNS9_4plusIvEENS9_8equal_toIvEExEE10hipError_tPvRmT2_T3_T4_T5_mT6_T7_P12ihipStream_tbENKUlT_T0_E_clISt17integral_constantIbLb1EES10_IbLb0EEEEDaSW_SX_EUlSW_E_NS1_11comp_targetILNS1_3genE3ELNS1_11target_archE908ELNS1_3gpuE7ELNS1_3repE0EEENS1_30default_config_static_selectorELNS0_4arch9wavefront6targetE0EEEvT1_,comdat
.Lfunc_end1335:
	.size	_ZN7rocprim17ROCPRIM_400000_NS6detail17trampoline_kernelINS0_14default_configENS1_27scan_by_key_config_selectorIixEEZZNS1_16scan_by_key_implILNS1_25lookback_scan_determinismE0ELb0ES3_N6thrust23THRUST_200600_302600_NS6detail15normal_iteratorINS9_10device_ptrIiEEEENSB_INSC_IxEEEESG_xNS9_4plusIvEENS9_8equal_toIvEExEE10hipError_tPvRmT2_T3_T4_T5_mT6_T7_P12ihipStream_tbENKUlT_T0_E_clISt17integral_constantIbLb1EES10_IbLb0EEEEDaSW_SX_EUlSW_E_NS1_11comp_targetILNS1_3genE3ELNS1_11target_archE908ELNS1_3gpuE7ELNS1_3repE0EEENS1_30default_config_static_selectorELNS0_4arch9wavefront6targetE0EEEvT1_, .Lfunc_end1335-_ZN7rocprim17ROCPRIM_400000_NS6detail17trampoline_kernelINS0_14default_configENS1_27scan_by_key_config_selectorIixEEZZNS1_16scan_by_key_implILNS1_25lookback_scan_determinismE0ELb0ES3_N6thrust23THRUST_200600_302600_NS6detail15normal_iteratorINS9_10device_ptrIiEEEENSB_INSC_IxEEEESG_xNS9_4plusIvEENS9_8equal_toIvEExEE10hipError_tPvRmT2_T3_T4_T5_mT6_T7_P12ihipStream_tbENKUlT_T0_E_clISt17integral_constantIbLb1EES10_IbLb0EEEEDaSW_SX_EUlSW_E_NS1_11comp_targetILNS1_3genE3ELNS1_11target_archE908ELNS1_3gpuE7ELNS1_3repE0EEENS1_30default_config_static_selectorELNS0_4arch9wavefront6targetE0EEEvT1_
                                        ; -- End function
	.set _ZN7rocprim17ROCPRIM_400000_NS6detail17trampoline_kernelINS0_14default_configENS1_27scan_by_key_config_selectorIixEEZZNS1_16scan_by_key_implILNS1_25lookback_scan_determinismE0ELb0ES3_N6thrust23THRUST_200600_302600_NS6detail15normal_iteratorINS9_10device_ptrIiEEEENSB_INSC_IxEEEESG_xNS9_4plusIvEENS9_8equal_toIvEExEE10hipError_tPvRmT2_T3_T4_T5_mT6_T7_P12ihipStream_tbENKUlT_T0_E_clISt17integral_constantIbLb1EES10_IbLb0EEEEDaSW_SX_EUlSW_E_NS1_11comp_targetILNS1_3genE3ELNS1_11target_archE908ELNS1_3gpuE7ELNS1_3repE0EEENS1_30default_config_static_selectorELNS0_4arch9wavefront6targetE0EEEvT1_.num_vgpr, 0
	.set _ZN7rocprim17ROCPRIM_400000_NS6detail17trampoline_kernelINS0_14default_configENS1_27scan_by_key_config_selectorIixEEZZNS1_16scan_by_key_implILNS1_25lookback_scan_determinismE0ELb0ES3_N6thrust23THRUST_200600_302600_NS6detail15normal_iteratorINS9_10device_ptrIiEEEENSB_INSC_IxEEEESG_xNS9_4plusIvEENS9_8equal_toIvEExEE10hipError_tPvRmT2_T3_T4_T5_mT6_T7_P12ihipStream_tbENKUlT_T0_E_clISt17integral_constantIbLb1EES10_IbLb0EEEEDaSW_SX_EUlSW_E_NS1_11comp_targetILNS1_3genE3ELNS1_11target_archE908ELNS1_3gpuE7ELNS1_3repE0EEENS1_30default_config_static_selectorELNS0_4arch9wavefront6targetE0EEEvT1_.num_agpr, 0
	.set _ZN7rocprim17ROCPRIM_400000_NS6detail17trampoline_kernelINS0_14default_configENS1_27scan_by_key_config_selectorIixEEZZNS1_16scan_by_key_implILNS1_25lookback_scan_determinismE0ELb0ES3_N6thrust23THRUST_200600_302600_NS6detail15normal_iteratorINS9_10device_ptrIiEEEENSB_INSC_IxEEEESG_xNS9_4plusIvEENS9_8equal_toIvEExEE10hipError_tPvRmT2_T3_T4_T5_mT6_T7_P12ihipStream_tbENKUlT_T0_E_clISt17integral_constantIbLb1EES10_IbLb0EEEEDaSW_SX_EUlSW_E_NS1_11comp_targetILNS1_3genE3ELNS1_11target_archE908ELNS1_3gpuE7ELNS1_3repE0EEENS1_30default_config_static_selectorELNS0_4arch9wavefront6targetE0EEEvT1_.numbered_sgpr, 0
	.set _ZN7rocprim17ROCPRIM_400000_NS6detail17trampoline_kernelINS0_14default_configENS1_27scan_by_key_config_selectorIixEEZZNS1_16scan_by_key_implILNS1_25lookback_scan_determinismE0ELb0ES3_N6thrust23THRUST_200600_302600_NS6detail15normal_iteratorINS9_10device_ptrIiEEEENSB_INSC_IxEEEESG_xNS9_4plusIvEENS9_8equal_toIvEExEE10hipError_tPvRmT2_T3_T4_T5_mT6_T7_P12ihipStream_tbENKUlT_T0_E_clISt17integral_constantIbLb1EES10_IbLb0EEEEDaSW_SX_EUlSW_E_NS1_11comp_targetILNS1_3genE3ELNS1_11target_archE908ELNS1_3gpuE7ELNS1_3repE0EEENS1_30default_config_static_selectorELNS0_4arch9wavefront6targetE0EEEvT1_.num_named_barrier, 0
	.set _ZN7rocprim17ROCPRIM_400000_NS6detail17trampoline_kernelINS0_14default_configENS1_27scan_by_key_config_selectorIixEEZZNS1_16scan_by_key_implILNS1_25lookback_scan_determinismE0ELb0ES3_N6thrust23THRUST_200600_302600_NS6detail15normal_iteratorINS9_10device_ptrIiEEEENSB_INSC_IxEEEESG_xNS9_4plusIvEENS9_8equal_toIvEExEE10hipError_tPvRmT2_T3_T4_T5_mT6_T7_P12ihipStream_tbENKUlT_T0_E_clISt17integral_constantIbLb1EES10_IbLb0EEEEDaSW_SX_EUlSW_E_NS1_11comp_targetILNS1_3genE3ELNS1_11target_archE908ELNS1_3gpuE7ELNS1_3repE0EEENS1_30default_config_static_selectorELNS0_4arch9wavefront6targetE0EEEvT1_.private_seg_size, 0
	.set _ZN7rocprim17ROCPRIM_400000_NS6detail17trampoline_kernelINS0_14default_configENS1_27scan_by_key_config_selectorIixEEZZNS1_16scan_by_key_implILNS1_25lookback_scan_determinismE0ELb0ES3_N6thrust23THRUST_200600_302600_NS6detail15normal_iteratorINS9_10device_ptrIiEEEENSB_INSC_IxEEEESG_xNS9_4plusIvEENS9_8equal_toIvEExEE10hipError_tPvRmT2_T3_T4_T5_mT6_T7_P12ihipStream_tbENKUlT_T0_E_clISt17integral_constantIbLb1EES10_IbLb0EEEEDaSW_SX_EUlSW_E_NS1_11comp_targetILNS1_3genE3ELNS1_11target_archE908ELNS1_3gpuE7ELNS1_3repE0EEENS1_30default_config_static_selectorELNS0_4arch9wavefront6targetE0EEEvT1_.uses_vcc, 0
	.set _ZN7rocprim17ROCPRIM_400000_NS6detail17trampoline_kernelINS0_14default_configENS1_27scan_by_key_config_selectorIixEEZZNS1_16scan_by_key_implILNS1_25lookback_scan_determinismE0ELb0ES3_N6thrust23THRUST_200600_302600_NS6detail15normal_iteratorINS9_10device_ptrIiEEEENSB_INSC_IxEEEESG_xNS9_4plusIvEENS9_8equal_toIvEExEE10hipError_tPvRmT2_T3_T4_T5_mT6_T7_P12ihipStream_tbENKUlT_T0_E_clISt17integral_constantIbLb1EES10_IbLb0EEEEDaSW_SX_EUlSW_E_NS1_11comp_targetILNS1_3genE3ELNS1_11target_archE908ELNS1_3gpuE7ELNS1_3repE0EEENS1_30default_config_static_selectorELNS0_4arch9wavefront6targetE0EEEvT1_.uses_flat_scratch, 0
	.set _ZN7rocprim17ROCPRIM_400000_NS6detail17trampoline_kernelINS0_14default_configENS1_27scan_by_key_config_selectorIixEEZZNS1_16scan_by_key_implILNS1_25lookback_scan_determinismE0ELb0ES3_N6thrust23THRUST_200600_302600_NS6detail15normal_iteratorINS9_10device_ptrIiEEEENSB_INSC_IxEEEESG_xNS9_4plusIvEENS9_8equal_toIvEExEE10hipError_tPvRmT2_T3_T4_T5_mT6_T7_P12ihipStream_tbENKUlT_T0_E_clISt17integral_constantIbLb1EES10_IbLb0EEEEDaSW_SX_EUlSW_E_NS1_11comp_targetILNS1_3genE3ELNS1_11target_archE908ELNS1_3gpuE7ELNS1_3repE0EEENS1_30default_config_static_selectorELNS0_4arch9wavefront6targetE0EEEvT1_.has_dyn_sized_stack, 0
	.set _ZN7rocprim17ROCPRIM_400000_NS6detail17trampoline_kernelINS0_14default_configENS1_27scan_by_key_config_selectorIixEEZZNS1_16scan_by_key_implILNS1_25lookback_scan_determinismE0ELb0ES3_N6thrust23THRUST_200600_302600_NS6detail15normal_iteratorINS9_10device_ptrIiEEEENSB_INSC_IxEEEESG_xNS9_4plusIvEENS9_8equal_toIvEExEE10hipError_tPvRmT2_T3_T4_T5_mT6_T7_P12ihipStream_tbENKUlT_T0_E_clISt17integral_constantIbLb1EES10_IbLb0EEEEDaSW_SX_EUlSW_E_NS1_11comp_targetILNS1_3genE3ELNS1_11target_archE908ELNS1_3gpuE7ELNS1_3repE0EEENS1_30default_config_static_selectorELNS0_4arch9wavefront6targetE0EEEvT1_.has_recursion, 0
	.set _ZN7rocprim17ROCPRIM_400000_NS6detail17trampoline_kernelINS0_14default_configENS1_27scan_by_key_config_selectorIixEEZZNS1_16scan_by_key_implILNS1_25lookback_scan_determinismE0ELb0ES3_N6thrust23THRUST_200600_302600_NS6detail15normal_iteratorINS9_10device_ptrIiEEEENSB_INSC_IxEEEESG_xNS9_4plusIvEENS9_8equal_toIvEExEE10hipError_tPvRmT2_T3_T4_T5_mT6_T7_P12ihipStream_tbENKUlT_T0_E_clISt17integral_constantIbLb1EES10_IbLb0EEEEDaSW_SX_EUlSW_E_NS1_11comp_targetILNS1_3genE3ELNS1_11target_archE908ELNS1_3gpuE7ELNS1_3repE0EEENS1_30default_config_static_selectorELNS0_4arch9wavefront6targetE0EEEvT1_.has_indirect_call, 0
	.section	.AMDGPU.csdata,"",@progbits
; Kernel info:
; codeLenInByte = 0
; TotalNumSgprs: 0
; NumVgprs: 0
; ScratchSize: 0
; MemoryBound: 0
; FloatMode: 240
; IeeeMode: 1
; LDSByteSize: 0 bytes/workgroup (compile time only)
; SGPRBlocks: 0
; VGPRBlocks: 0
; NumSGPRsForWavesPerEU: 1
; NumVGPRsForWavesPerEU: 1
; NamedBarCnt: 0
; Occupancy: 16
; WaveLimiterHint : 0
; COMPUTE_PGM_RSRC2:SCRATCH_EN: 0
; COMPUTE_PGM_RSRC2:USER_SGPR: 2
; COMPUTE_PGM_RSRC2:TRAP_HANDLER: 0
; COMPUTE_PGM_RSRC2:TGID_X_EN: 1
; COMPUTE_PGM_RSRC2:TGID_Y_EN: 0
; COMPUTE_PGM_RSRC2:TGID_Z_EN: 0
; COMPUTE_PGM_RSRC2:TIDIG_COMP_CNT: 0
	.section	.text._ZN7rocprim17ROCPRIM_400000_NS6detail17trampoline_kernelINS0_14default_configENS1_27scan_by_key_config_selectorIixEEZZNS1_16scan_by_key_implILNS1_25lookback_scan_determinismE0ELb0ES3_N6thrust23THRUST_200600_302600_NS6detail15normal_iteratorINS9_10device_ptrIiEEEENSB_INSC_IxEEEESG_xNS9_4plusIvEENS9_8equal_toIvEExEE10hipError_tPvRmT2_T3_T4_T5_mT6_T7_P12ihipStream_tbENKUlT_T0_E_clISt17integral_constantIbLb1EES10_IbLb0EEEEDaSW_SX_EUlSW_E_NS1_11comp_targetILNS1_3genE2ELNS1_11target_archE906ELNS1_3gpuE6ELNS1_3repE0EEENS1_30default_config_static_selectorELNS0_4arch9wavefront6targetE0EEEvT1_,"axG",@progbits,_ZN7rocprim17ROCPRIM_400000_NS6detail17trampoline_kernelINS0_14default_configENS1_27scan_by_key_config_selectorIixEEZZNS1_16scan_by_key_implILNS1_25lookback_scan_determinismE0ELb0ES3_N6thrust23THRUST_200600_302600_NS6detail15normal_iteratorINS9_10device_ptrIiEEEENSB_INSC_IxEEEESG_xNS9_4plusIvEENS9_8equal_toIvEExEE10hipError_tPvRmT2_T3_T4_T5_mT6_T7_P12ihipStream_tbENKUlT_T0_E_clISt17integral_constantIbLb1EES10_IbLb0EEEEDaSW_SX_EUlSW_E_NS1_11comp_targetILNS1_3genE2ELNS1_11target_archE906ELNS1_3gpuE6ELNS1_3repE0EEENS1_30default_config_static_selectorELNS0_4arch9wavefront6targetE0EEEvT1_,comdat
	.protected	_ZN7rocprim17ROCPRIM_400000_NS6detail17trampoline_kernelINS0_14default_configENS1_27scan_by_key_config_selectorIixEEZZNS1_16scan_by_key_implILNS1_25lookback_scan_determinismE0ELb0ES3_N6thrust23THRUST_200600_302600_NS6detail15normal_iteratorINS9_10device_ptrIiEEEENSB_INSC_IxEEEESG_xNS9_4plusIvEENS9_8equal_toIvEExEE10hipError_tPvRmT2_T3_T4_T5_mT6_T7_P12ihipStream_tbENKUlT_T0_E_clISt17integral_constantIbLb1EES10_IbLb0EEEEDaSW_SX_EUlSW_E_NS1_11comp_targetILNS1_3genE2ELNS1_11target_archE906ELNS1_3gpuE6ELNS1_3repE0EEENS1_30default_config_static_selectorELNS0_4arch9wavefront6targetE0EEEvT1_ ; -- Begin function _ZN7rocprim17ROCPRIM_400000_NS6detail17trampoline_kernelINS0_14default_configENS1_27scan_by_key_config_selectorIixEEZZNS1_16scan_by_key_implILNS1_25lookback_scan_determinismE0ELb0ES3_N6thrust23THRUST_200600_302600_NS6detail15normal_iteratorINS9_10device_ptrIiEEEENSB_INSC_IxEEEESG_xNS9_4plusIvEENS9_8equal_toIvEExEE10hipError_tPvRmT2_T3_T4_T5_mT6_T7_P12ihipStream_tbENKUlT_T0_E_clISt17integral_constantIbLb1EES10_IbLb0EEEEDaSW_SX_EUlSW_E_NS1_11comp_targetILNS1_3genE2ELNS1_11target_archE906ELNS1_3gpuE6ELNS1_3repE0EEENS1_30default_config_static_selectorELNS0_4arch9wavefront6targetE0EEEvT1_
	.globl	_ZN7rocprim17ROCPRIM_400000_NS6detail17trampoline_kernelINS0_14default_configENS1_27scan_by_key_config_selectorIixEEZZNS1_16scan_by_key_implILNS1_25lookback_scan_determinismE0ELb0ES3_N6thrust23THRUST_200600_302600_NS6detail15normal_iteratorINS9_10device_ptrIiEEEENSB_INSC_IxEEEESG_xNS9_4plusIvEENS9_8equal_toIvEExEE10hipError_tPvRmT2_T3_T4_T5_mT6_T7_P12ihipStream_tbENKUlT_T0_E_clISt17integral_constantIbLb1EES10_IbLb0EEEEDaSW_SX_EUlSW_E_NS1_11comp_targetILNS1_3genE2ELNS1_11target_archE906ELNS1_3gpuE6ELNS1_3repE0EEENS1_30default_config_static_selectorELNS0_4arch9wavefront6targetE0EEEvT1_
	.p2align	8
	.type	_ZN7rocprim17ROCPRIM_400000_NS6detail17trampoline_kernelINS0_14default_configENS1_27scan_by_key_config_selectorIixEEZZNS1_16scan_by_key_implILNS1_25lookback_scan_determinismE0ELb0ES3_N6thrust23THRUST_200600_302600_NS6detail15normal_iteratorINS9_10device_ptrIiEEEENSB_INSC_IxEEEESG_xNS9_4plusIvEENS9_8equal_toIvEExEE10hipError_tPvRmT2_T3_T4_T5_mT6_T7_P12ihipStream_tbENKUlT_T0_E_clISt17integral_constantIbLb1EES10_IbLb0EEEEDaSW_SX_EUlSW_E_NS1_11comp_targetILNS1_3genE2ELNS1_11target_archE906ELNS1_3gpuE6ELNS1_3repE0EEENS1_30default_config_static_selectorELNS0_4arch9wavefront6targetE0EEEvT1_,@function
_ZN7rocprim17ROCPRIM_400000_NS6detail17trampoline_kernelINS0_14default_configENS1_27scan_by_key_config_selectorIixEEZZNS1_16scan_by_key_implILNS1_25lookback_scan_determinismE0ELb0ES3_N6thrust23THRUST_200600_302600_NS6detail15normal_iteratorINS9_10device_ptrIiEEEENSB_INSC_IxEEEESG_xNS9_4plusIvEENS9_8equal_toIvEExEE10hipError_tPvRmT2_T3_T4_T5_mT6_T7_P12ihipStream_tbENKUlT_T0_E_clISt17integral_constantIbLb1EES10_IbLb0EEEEDaSW_SX_EUlSW_E_NS1_11comp_targetILNS1_3genE2ELNS1_11target_archE906ELNS1_3gpuE6ELNS1_3repE0EEENS1_30default_config_static_selectorELNS0_4arch9wavefront6targetE0EEEvT1_: ; @_ZN7rocprim17ROCPRIM_400000_NS6detail17trampoline_kernelINS0_14default_configENS1_27scan_by_key_config_selectorIixEEZZNS1_16scan_by_key_implILNS1_25lookback_scan_determinismE0ELb0ES3_N6thrust23THRUST_200600_302600_NS6detail15normal_iteratorINS9_10device_ptrIiEEEENSB_INSC_IxEEEESG_xNS9_4plusIvEENS9_8equal_toIvEExEE10hipError_tPvRmT2_T3_T4_T5_mT6_T7_P12ihipStream_tbENKUlT_T0_E_clISt17integral_constantIbLb1EES10_IbLb0EEEEDaSW_SX_EUlSW_E_NS1_11comp_targetILNS1_3genE2ELNS1_11target_archE906ELNS1_3gpuE6ELNS1_3repE0EEENS1_30default_config_static_selectorELNS0_4arch9wavefront6targetE0EEEvT1_
; %bb.0:
	.section	.rodata,"a",@progbits
	.p2align	6, 0x0
	.amdhsa_kernel _ZN7rocprim17ROCPRIM_400000_NS6detail17trampoline_kernelINS0_14default_configENS1_27scan_by_key_config_selectorIixEEZZNS1_16scan_by_key_implILNS1_25lookback_scan_determinismE0ELb0ES3_N6thrust23THRUST_200600_302600_NS6detail15normal_iteratorINS9_10device_ptrIiEEEENSB_INSC_IxEEEESG_xNS9_4plusIvEENS9_8equal_toIvEExEE10hipError_tPvRmT2_T3_T4_T5_mT6_T7_P12ihipStream_tbENKUlT_T0_E_clISt17integral_constantIbLb1EES10_IbLb0EEEEDaSW_SX_EUlSW_E_NS1_11comp_targetILNS1_3genE2ELNS1_11target_archE906ELNS1_3gpuE6ELNS1_3repE0EEENS1_30default_config_static_selectorELNS0_4arch9wavefront6targetE0EEEvT1_
		.amdhsa_group_segment_fixed_size 0
		.amdhsa_private_segment_fixed_size 0
		.amdhsa_kernarg_size 136
		.amdhsa_user_sgpr_count 2
		.amdhsa_user_sgpr_dispatch_ptr 0
		.amdhsa_user_sgpr_queue_ptr 0
		.amdhsa_user_sgpr_kernarg_segment_ptr 1
		.amdhsa_user_sgpr_dispatch_id 0
		.amdhsa_user_sgpr_kernarg_preload_length 0
		.amdhsa_user_sgpr_kernarg_preload_offset 0
		.amdhsa_user_sgpr_private_segment_size 0
		.amdhsa_wavefront_size32 1
		.amdhsa_uses_dynamic_stack 0
		.amdhsa_enable_private_segment 0
		.amdhsa_system_sgpr_workgroup_id_x 1
		.amdhsa_system_sgpr_workgroup_id_y 0
		.amdhsa_system_sgpr_workgroup_id_z 0
		.amdhsa_system_sgpr_workgroup_info 0
		.amdhsa_system_vgpr_workitem_id 0
		.amdhsa_next_free_vgpr 1
		.amdhsa_next_free_sgpr 1
		.amdhsa_named_barrier_count 0
		.amdhsa_reserve_vcc 0
		.amdhsa_float_round_mode_32 0
		.amdhsa_float_round_mode_16_64 0
		.amdhsa_float_denorm_mode_32 3
		.amdhsa_float_denorm_mode_16_64 3
		.amdhsa_fp16_overflow 0
		.amdhsa_memory_ordered 1
		.amdhsa_forward_progress 1
		.amdhsa_inst_pref_size 0
		.amdhsa_round_robin_scheduling 0
		.amdhsa_exception_fp_ieee_invalid_op 0
		.amdhsa_exception_fp_denorm_src 0
		.amdhsa_exception_fp_ieee_div_zero 0
		.amdhsa_exception_fp_ieee_overflow 0
		.amdhsa_exception_fp_ieee_underflow 0
		.amdhsa_exception_fp_ieee_inexact 0
		.amdhsa_exception_int_div_zero 0
	.end_amdhsa_kernel
	.section	.text._ZN7rocprim17ROCPRIM_400000_NS6detail17trampoline_kernelINS0_14default_configENS1_27scan_by_key_config_selectorIixEEZZNS1_16scan_by_key_implILNS1_25lookback_scan_determinismE0ELb0ES3_N6thrust23THRUST_200600_302600_NS6detail15normal_iteratorINS9_10device_ptrIiEEEENSB_INSC_IxEEEESG_xNS9_4plusIvEENS9_8equal_toIvEExEE10hipError_tPvRmT2_T3_T4_T5_mT6_T7_P12ihipStream_tbENKUlT_T0_E_clISt17integral_constantIbLb1EES10_IbLb0EEEEDaSW_SX_EUlSW_E_NS1_11comp_targetILNS1_3genE2ELNS1_11target_archE906ELNS1_3gpuE6ELNS1_3repE0EEENS1_30default_config_static_selectorELNS0_4arch9wavefront6targetE0EEEvT1_,"axG",@progbits,_ZN7rocprim17ROCPRIM_400000_NS6detail17trampoline_kernelINS0_14default_configENS1_27scan_by_key_config_selectorIixEEZZNS1_16scan_by_key_implILNS1_25lookback_scan_determinismE0ELb0ES3_N6thrust23THRUST_200600_302600_NS6detail15normal_iteratorINS9_10device_ptrIiEEEENSB_INSC_IxEEEESG_xNS9_4plusIvEENS9_8equal_toIvEExEE10hipError_tPvRmT2_T3_T4_T5_mT6_T7_P12ihipStream_tbENKUlT_T0_E_clISt17integral_constantIbLb1EES10_IbLb0EEEEDaSW_SX_EUlSW_E_NS1_11comp_targetILNS1_3genE2ELNS1_11target_archE906ELNS1_3gpuE6ELNS1_3repE0EEENS1_30default_config_static_selectorELNS0_4arch9wavefront6targetE0EEEvT1_,comdat
.Lfunc_end1336:
	.size	_ZN7rocprim17ROCPRIM_400000_NS6detail17trampoline_kernelINS0_14default_configENS1_27scan_by_key_config_selectorIixEEZZNS1_16scan_by_key_implILNS1_25lookback_scan_determinismE0ELb0ES3_N6thrust23THRUST_200600_302600_NS6detail15normal_iteratorINS9_10device_ptrIiEEEENSB_INSC_IxEEEESG_xNS9_4plusIvEENS9_8equal_toIvEExEE10hipError_tPvRmT2_T3_T4_T5_mT6_T7_P12ihipStream_tbENKUlT_T0_E_clISt17integral_constantIbLb1EES10_IbLb0EEEEDaSW_SX_EUlSW_E_NS1_11comp_targetILNS1_3genE2ELNS1_11target_archE906ELNS1_3gpuE6ELNS1_3repE0EEENS1_30default_config_static_selectorELNS0_4arch9wavefront6targetE0EEEvT1_, .Lfunc_end1336-_ZN7rocprim17ROCPRIM_400000_NS6detail17trampoline_kernelINS0_14default_configENS1_27scan_by_key_config_selectorIixEEZZNS1_16scan_by_key_implILNS1_25lookback_scan_determinismE0ELb0ES3_N6thrust23THRUST_200600_302600_NS6detail15normal_iteratorINS9_10device_ptrIiEEEENSB_INSC_IxEEEESG_xNS9_4plusIvEENS9_8equal_toIvEExEE10hipError_tPvRmT2_T3_T4_T5_mT6_T7_P12ihipStream_tbENKUlT_T0_E_clISt17integral_constantIbLb1EES10_IbLb0EEEEDaSW_SX_EUlSW_E_NS1_11comp_targetILNS1_3genE2ELNS1_11target_archE906ELNS1_3gpuE6ELNS1_3repE0EEENS1_30default_config_static_selectorELNS0_4arch9wavefront6targetE0EEEvT1_
                                        ; -- End function
	.set _ZN7rocprim17ROCPRIM_400000_NS6detail17trampoline_kernelINS0_14default_configENS1_27scan_by_key_config_selectorIixEEZZNS1_16scan_by_key_implILNS1_25lookback_scan_determinismE0ELb0ES3_N6thrust23THRUST_200600_302600_NS6detail15normal_iteratorINS9_10device_ptrIiEEEENSB_INSC_IxEEEESG_xNS9_4plusIvEENS9_8equal_toIvEExEE10hipError_tPvRmT2_T3_T4_T5_mT6_T7_P12ihipStream_tbENKUlT_T0_E_clISt17integral_constantIbLb1EES10_IbLb0EEEEDaSW_SX_EUlSW_E_NS1_11comp_targetILNS1_3genE2ELNS1_11target_archE906ELNS1_3gpuE6ELNS1_3repE0EEENS1_30default_config_static_selectorELNS0_4arch9wavefront6targetE0EEEvT1_.num_vgpr, 0
	.set _ZN7rocprim17ROCPRIM_400000_NS6detail17trampoline_kernelINS0_14default_configENS1_27scan_by_key_config_selectorIixEEZZNS1_16scan_by_key_implILNS1_25lookback_scan_determinismE0ELb0ES3_N6thrust23THRUST_200600_302600_NS6detail15normal_iteratorINS9_10device_ptrIiEEEENSB_INSC_IxEEEESG_xNS9_4plusIvEENS9_8equal_toIvEExEE10hipError_tPvRmT2_T3_T4_T5_mT6_T7_P12ihipStream_tbENKUlT_T0_E_clISt17integral_constantIbLb1EES10_IbLb0EEEEDaSW_SX_EUlSW_E_NS1_11comp_targetILNS1_3genE2ELNS1_11target_archE906ELNS1_3gpuE6ELNS1_3repE0EEENS1_30default_config_static_selectorELNS0_4arch9wavefront6targetE0EEEvT1_.num_agpr, 0
	.set _ZN7rocprim17ROCPRIM_400000_NS6detail17trampoline_kernelINS0_14default_configENS1_27scan_by_key_config_selectorIixEEZZNS1_16scan_by_key_implILNS1_25lookback_scan_determinismE0ELb0ES3_N6thrust23THRUST_200600_302600_NS6detail15normal_iteratorINS9_10device_ptrIiEEEENSB_INSC_IxEEEESG_xNS9_4plusIvEENS9_8equal_toIvEExEE10hipError_tPvRmT2_T3_T4_T5_mT6_T7_P12ihipStream_tbENKUlT_T0_E_clISt17integral_constantIbLb1EES10_IbLb0EEEEDaSW_SX_EUlSW_E_NS1_11comp_targetILNS1_3genE2ELNS1_11target_archE906ELNS1_3gpuE6ELNS1_3repE0EEENS1_30default_config_static_selectorELNS0_4arch9wavefront6targetE0EEEvT1_.numbered_sgpr, 0
	.set _ZN7rocprim17ROCPRIM_400000_NS6detail17trampoline_kernelINS0_14default_configENS1_27scan_by_key_config_selectorIixEEZZNS1_16scan_by_key_implILNS1_25lookback_scan_determinismE0ELb0ES3_N6thrust23THRUST_200600_302600_NS6detail15normal_iteratorINS9_10device_ptrIiEEEENSB_INSC_IxEEEESG_xNS9_4plusIvEENS9_8equal_toIvEExEE10hipError_tPvRmT2_T3_T4_T5_mT6_T7_P12ihipStream_tbENKUlT_T0_E_clISt17integral_constantIbLb1EES10_IbLb0EEEEDaSW_SX_EUlSW_E_NS1_11comp_targetILNS1_3genE2ELNS1_11target_archE906ELNS1_3gpuE6ELNS1_3repE0EEENS1_30default_config_static_selectorELNS0_4arch9wavefront6targetE0EEEvT1_.num_named_barrier, 0
	.set _ZN7rocprim17ROCPRIM_400000_NS6detail17trampoline_kernelINS0_14default_configENS1_27scan_by_key_config_selectorIixEEZZNS1_16scan_by_key_implILNS1_25lookback_scan_determinismE0ELb0ES3_N6thrust23THRUST_200600_302600_NS6detail15normal_iteratorINS9_10device_ptrIiEEEENSB_INSC_IxEEEESG_xNS9_4plusIvEENS9_8equal_toIvEExEE10hipError_tPvRmT2_T3_T4_T5_mT6_T7_P12ihipStream_tbENKUlT_T0_E_clISt17integral_constantIbLb1EES10_IbLb0EEEEDaSW_SX_EUlSW_E_NS1_11comp_targetILNS1_3genE2ELNS1_11target_archE906ELNS1_3gpuE6ELNS1_3repE0EEENS1_30default_config_static_selectorELNS0_4arch9wavefront6targetE0EEEvT1_.private_seg_size, 0
	.set _ZN7rocprim17ROCPRIM_400000_NS6detail17trampoline_kernelINS0_14default_configENS1_27scan_by_key_config_selectorIixEEZZNS1_16scan_by_key_implILNS1_25lookback_scan_determinismE0ELb0ES3_N6thrust23THRUST_200600_302600_NS6detail15normal_iteratorINS9_10device_ptrIiEEEENSB_INSC_IxEEEESG_xNS9_4plusIvEENS9_8equal_toIvEExEE10hipError_tPvRmT2_T3_T4_T5_mT6_T7_P12ihipStream_tbENKUlT_T0_E_clISt17integral_constantIbLb1EES10_IbLb0EEEEDaSW_SX_EUlSW_E_NS1_11comp_targetILNS1_3genE2ELNS1_11target_archE906ELNS1_3gpuE6ELNS1_3repE0EEENS1_30default_config_static_selectorELNS0_4arch9wavefront6targetE0EEEvT1_.uses_vcc, 0
	.set _ZN7rocprim17ROCPRIM_400000_NS6detail17trampoline_kernelINS0_14default_configENS1_27scan_by_key_config_selectorIixEEZZNS1_16scan_by_key_implILNS1_25lookback_scan_determinismE0ELb0ES3_N6thrust23THRUST_200600_302600_NS6detail15normal_iteratorINS9_10device_ptrIiEEEENSB_INSC_IxEEEESG_xNS9_4plusIvEENS9_8equal_toIvEExEE10hipError_tPvRmT2_T3_T4_T5_mT6_T7_P12ihipStream_tbENKUlT_T0_E_clISt17integral_constantIbLb1EES10_IbLb0EEEEDaSW_SX_EUlSW_E_NS1_11comp_targetILNS1_3genE2ELNS1_11target_archE906ELNS1_3gpuE6ELNS1_3repE0EEENS1_30default_config_static_selectorELNS0_4arch9wavefront6targetE0EEEvT1_.uses_flat_scratch, 0
	.set _ZN7rocprim17ROCPRIM_400000_NS6detail17trampoline_kernelINS0_14default_configENS1_27scan_by_key_config_selectorIixEEZZNS1_16scan_by_key_implILNS1_25lookback_scan_determinismE0ELb0ES3_N6thrust23THRUST_200600_302600_NS6detail15normal_iteratorINS9_10device_ptrIiEEEENSB_INSC_IxEEEESG_xNS9_4plusIvEENS9_8equal_toIvEExEE10hipError_tPvRmT2_T3_T4_T5_mT6_T7_P12ihipStream_tbENKUlT_T0_E_clISt17integral_constantIbLb1EES10_IbLb0EEEEDaSW_SX_EUlSW_E_NS1_11comp_targetILNS1_3genE2ELNS1_11target_archE906ELNS1_3gpuE6ELNS1_3repE0EEENS1_30default_config_static_selectorELNS0_4arch9wavefront6targetE0EEEvT1_.has_dyn_sized_stack, 0
	.set _ZN7rocprim17ROCPRIM_400000_NS6detail17trampoline_kernelINS0_14default_configENS1_27scan_by_key_config_selectorIixEEZZNS1_16scan_by_key_implILNS1_25lookback_scan_determinismE0ELb0ES3_N6thrust23THRUST_200600_302600_NS6detail15normal_iteratorINS9_10device_ptrIiEEEENSB_INSC_IxEEEESG_xNS9_4plusIvEENS9_8equal_toIvEExEE10hipError_tPvRmT2_T3_T4_T5_mT6_T7_P12ihipStream_tbENKUlT_T0_E_clISt17integral_constantIbLb1EES10_IbLb0EEEEDaSW_SX_EUlSW_E_NS1_11comp_targetILNS1_3genE2ELNS1_11target_archE906ELNS1_3gpuE6ELNS1_3repE0EEENS1_30default_config_static_selectorELNS0_4arch9wavefront6targetE0EEEvT1_.has_recursion, 0
	.set _ZN7rocprim17ROCPRIM_400000_NS6detail17trampoline_kernelINS0_14default_configENS1_27scan_by_key_config_selectorIixEEZZNS1_16scan_by_key_implILNS1_25lookback_scan_determinismE0ELb0ES3_N6thrust23THRUST_200600_302600_NS6detail15normal_iteratorINS9_10device_ptrIiEEEENSB_INSC_IxEEEESG_xNS9_4plusIvEENS9_8equal_toIvEExEE10hipError_tPvRmT2_T3_T4_T5_mT6_T7_P12ihipStream_tbENKUlT_T0_E_clISt17integral_constantIbLb1EES10_IbLb0EEEEDaSW_SX_EUlSW_E_NS1_11comp_targetILNS1_3genE2ELNS1_11target_archE906ELNS1_3gpuE6ELNS1_3repE0EEENS1_30default_config_static_selectorELNS0_4arch9wavefront6targetE0EEEvT1_.has_indirect_call, 0
	.section	.AMDGPU.csdata,"",@progbits
; Kernel info:
; codeLenInByte = 0
; TotalNumSgprs: 0
; NumVgprs: 0
; ScratchSize: 0
; MemoryBound: 0
; FloatMode: 240
; IeeeMode: 1
; LDSByteSize: 0 bytes/workgroup (compile time only)
; SGPRBlocks: 0
; VGPRBlocks: 0
; NumSGPRsForWavesPerEU: 1
; NumVGPRsForWavesPerEU: 1
; NamedBarCnt: 0
; Occupancy: 16
; WaveLimiterHint : 0
; COMPUTE_PGM_RSRC2:SCRATCH_EN: 0
; COMPUTE_PGM_RSRC2:USER_SGPR: 2
; COMPUTE_PGM_RSRC2:TRAP_HANDLER: 0
; COMPUTE_PGM_RSRC2:TGID_X_EN: 1
; COMPUTE_PGM_RSRC2:TGID_Y_EN: 0
; COMPUTE_PGM_RSRC2:TGID_Z_EN: 0
; COMPUTE_PGM_RSRC2:TIDIG_COMP_CNT: 0
	.section	.text._ZN7rocprim17ROCPRIM_400000_NS6detail17trampoline_kernelINS0_14default_configENS1_27scan_by_key_config_selectorIixEEZZNS1_16scan_by_key_implILNS1_25lookback_scan_determinismE0ELb0ES3_N6thrust23THRUST_200600_302600_NS6detail15normal_iteratorINS9_10device_ptrIiEEEENSB_INSC_IxEEEESG_xNS9_4plusIvEENS9_8equal_toIvEExEE10hipError_tPvRmT2_T3_T4_T5_mT6_T7_P12ihipStream_tbENKUlT_T0_E_clISt17integral_constantIbLb1EES10_IbLb0EEEEDaSW_SX_EUlSW_E_NS1_11comp_targetILNS1_3genE10ELNS1_11target_archE1200ELNS1_3gpuE4ELNS1_3repE0EEENS1_30default_config_static_selectorELNS0_4arch9wavefront6targetE0EEEvT1_,"axG",@progbits,_ZN7rocprim17ROCPRIM_400000_NS6detail17trampoline_kernelINS0_14default_configENS1_27scan_by_key_config_selectorIixEEZZNS1_16scan_by_key_implILNS1_25lookback_scan_determinismE0ELb0ES3_N6thrust23THRUST_200600_302600_NS6detail15normal_iteratorINS9_10device_ptrIiEEEENSB_INSC_IxEEEESG_xNS9_4plusIvEENS9_8equal_toIvEExEE10hipError_tPvRmT2_T3_T4_T5_mT6_T7_P12ihipStream_tbENKUlT_T0_E_clISt17integral_constantIbLb1EES10_IbLb0EEEEDaSW_SX_EUlSW_E_NS1_11comp_targetILNS1_3genE10ELNS1_11target_archE1200ELNS1_3gpuE4ELNS1_3repE0EEENS1_30default_config_static_selectorELNS0_4arch9wavefront6targetE0EEEvT1_,comdat
	.protected	_ZN7rocprim17ROCPRIM_400000_NS6detail17trampoline_kernelINS0_14default_configENS1_27scan_by_key_config_selectorIixEEZZNS1_16scan_by_key_implILNS1_25lookback_scan_determinismE0ELb0ES3_N6thrust23THRUST_200600_302600_NS6detail15normal_iteratorINS9_10device_ptrIiEEEENSB_INSC_IxEEEESG_xNS9_4plusIvEENS9_8equal_toIvEExEE10hipError_tPvRmT2_T3_T4_T5_mT6_T7_P12ihipStream_tbENKUlT_T0_E_clISt17integral_constantIbLb1EES10_IbLb0EEEEDaSW_SX_EUlSW_E_NS1_11comp_targetILNS1_3genE10ELNS1_11target_archE1200ELNS1_3gpuE4ELNS1_3repE0EEENS1_30default_config_static_selectorELNS0_4arch9wavefront6targetE0EEEvT1_ ; -- Begin function _ZN7rocprim17ROCPRIM_400000_NS6detail17trampoline_kernelINS0_14default_configENS1_27scan_by_key_config_selectorIixEEZZNS1_16scan_by_key_implILNS1_25lookback_scan_determinismE0ELb0ES3_N6thrust23THRUST_200600_302600_NS6detail15normal_iteratorINS9_10device_ptrIiEEEENSB_INSC_IxEEEESG_xNS9_4plusIvEENS9_8equal_toIvEExEE10hipError_tPvRmT2_T3_T4_T5_mT6_T7_P12ihipStream_tbENKUlT_T0_E_clISt17integral_constantIbLb1EES10_IbLb0EEEEDaSW_SX_EUlSW_E_NS1_11comp_targetILNS1_3genE10ELNS1_11target_archE1200ELNS1_3gpuE4ELNS1_3repE0EEENS1_30default_config_static_selectorELNS0_4arch9wavefront6targetE0EEEvT1_
	.globl	_ZN7rocprim17ROCPRIM_400000_NS6detail17trampoline_kernelINS0_14default_configENS1_27scan_by_key_config_selectorIixEEZZNS1_16scan_by_key_implILNS1_25lookback_scan_determinismE0ELb0ES3_N6thrust23THRUST_200600_302600_NS6detail15normal_iteratorINS9_10device_ptrIiEEEENSB_INSC_IxEEEESG_xNS9_4plusIvEENS9_8equal_toIvEExEE10hipError_tPvRmT2_T3_T4_T5_mT6_T7_P12ihipStream_tbENKUlT_T0_E_clISt17integral_constantIbLb1EES10_IbLb0EEEEDaSW_SX_EUlSW_E_NS1_11comp_targetILNS1_3genE10ELNS1_11target_archE1200ELNS1_3gpuE4ELNS1_3repE0EEENS1_30default_config_static_selectorELNS0_4arch9wavefront6targetE0EEEvT1_
	.p2align	8
	.type	_ZN7rocprim17ROCPRIM_400000_NS6detail17trampoline_kernelINS0_14default_configENS1_27scan_by_key_config_selectorIixEEZZNS1_16scan_by_key_implILNS1_25lookback_scan_determinismE0ELb0ES3_N6thrust23THRUST_200600_302600_NS6detail15normal_iteratorINS9_10device_ptrIiEEEENSB_INSC_IxEEEESG_xNS9_4plusIvEENS9_8equal_toIvEExEE10hipError_tPvRmT2_T3_T4_T5_mT6_T7_P12ihipStream_tbENKUlT_T0_E_clISt17integral_constantIbLb1EES10_IbLb0EEEEDaSW_SX_EUlSW_E_NS1_11comp_targetILNS1_3genE10ELNS1_11target_archE1200ELNS1_3gpuE4ELNS1_3repE0EEENS1_30default_config_static_selectorELNS0_4arch9wavefront6targetE0EEEvT1_,@function
_ZN7rocprim17ROCPRIM_400000_NS6detail17trampoline_kernelINS0_14default_configENS1_27scan_by_key_config_selectorIixEEZZNS1_16scan_by_key_implILNS1_25lookback_scan_determinismE0ELb0ES3_N6thrust23THRUST_200600_302600_NS6detail15normal_iteratorINS9_10device_ptrIiEEEENSB_INSC_IxEEEESG_xNS9_4plusIvEENS9_8equal_toIvEExEE10hipError_tPvRmT2_T3_T4_T5_mT6_T7_P12ihipStream_tbENKUlT_T0_E_clISt17integral_constantIbLb1EES10_IbLb0EEEEDaSW_SX_EUlSW_E_NS1_11comp_targetILNS1_3genE10ELNS1_11target_archE1200ELNS1_3gpuE4ELNS1_3repE0EEENS1_30default_config_static_selectorELNS0_4arch9wavefront6targetE0EEEvT1_: ; @_ZN7rocprim17ROCPRIM_400000_NS6detail17trampoline_kernelINS0_14default_configENS1_27scan_by_key_config_selectorIixEEZZNS1_16scan_by_key_implILNS1_25lookback_scan_determinismE0ELb0ES3_N6thrust23THRUST_200600_302600_NS6detail15normal_iteratorINS9_10device_ptrIiEEEENSB_INSC_IxEEEESG_xNS9_4plusIvEENS9_8equal_toIvEExEE10hipError_tPvRmT2_T3_T4_T5_mT6_T7_P12ihipStream_tbENKUlT_T0_E_clISt17integral_constantIbLb1EES10_IbLb0EEEEDaSW_SX_EUlSW_E_NS1_11comp_targetILNS1_3genE10ELNS1_11target_archE1200ELNS1_3gpuE4ELNS1_3repE0EEENS1_30default_config_static_selectorELNS0_4arch9wavefront6targetE0EEEvT1_
; %bb.0:
	.section	.rodata,"a",@progbits
	.p2align	6, 0x0
	.amdhsa_kernel _ZN7rocprim17ROCPRIM_400000_NS6detail17trampoline_kernelINS0_14default_configENS1_27scan_by_key_config_selectorIixEEZZNS1_16scan_by_key_implILNS1_25lookback_scan_determinismE0ELb0ES3_N6thrust23THRUST_200600_302600_NS6detail15normal_iteratorINS9_10device_ptrIiEEEENSB_INSC_IxEEEESG_xNS9_4plusIvEENS9_8equal_toIvEExEE10hipError_tPvRmT2_T3_T4_T5_mT6_T7_P12ihipStream_tbENKUlT_T0_E_clISt17integral_constantIbLb1EES10_IbLb0EEEEDaSW_SX_EUlSW_E_NS1_11comp_targetILNS1_3genE10ELNS1_11target_archE1200ELNS1_3gpuE4ELNS1_3repE0EEENS1_30default_config_static_selectorELNS0_4arch9wavefront6targetE0EEEvT1_
		.amdhsa_group_segment_fixed_size 0
		.amdhsa_private_segment_fixed_size 0
		.amdhsa_kernarg_size 136
		.amdhsa_user_sgpr_count 2
		.amdhsa_user_sgpr_dispatch_ptr 0
		.amdhsa_user_sgpr_queue_ptr 0
		.amdhsa_user_sgpr_kernarg_segment_ptr 1
		.amdhsa_user_sgpr_dispatch_id 0
		.amdhsa_user_sgpr_kernarg_preload_length 0
		.amdhsa_user_sgpr_kernarg_preload_offset 0
		.amdhsa_user_sgpr_private_segment_size 0
		.amdhsa_wavefront_size32 1
		.amdhsa_uses_dynamic_stack 0
		.amdhsa_enable_private_segment 0
		.amdhsa_system_sgpr_workgroup_id_x 1
		.amdhsa_system_sgpr_workgroup_id_y 0
		.amdhsa_system_sgpr_workgroup_id_z 0
		.amdhsa_system_sgpr_workgroup_info 0
		.amdhsa_system_vgpr_workitem_id 0
		.amdhsa_next_free_vgpr 1
		.amdhsa_next_free_sgpr 1
		.amdhsa_named_barrier_count 0
		.amdhsa_reserve_vcc 0
		.amdhsa_float_round_mode_32 0
		.amdhsa_float_round_mode_16_64 0
		.amdhsa_float_denorm_mode_32 3
		.amdhsa_float_denorm_mode_16_64 3
		.amdhsa_fp16_overflow 0
		.amdhsa_memory_ordered 1
		.amdhsa_forward_progress 1
		.amdhsa_inst_pref_size 0
		.amdhsa_round_robin_scheduling 0
		.amdhsa_exception_fp_ieee_invalid_op 0
		.amdhsa_exception_fp_denorm_src 0
		.amdhsa_exception_fp_ieee_div_zero 0
		.amdhsa_exception_fp_ieee_overflow 0
		.amdhsa_exception_fp_ieee_underflow 0
		.amdhsa_exception_fp_ieee_inexact 0
		.amdhsa_exception_int_div_zero 0
	.end_amdhsa_kernel
	.section	.text._ZN7rocprim17ROCPRIM_400000_NS6detail17trampoline_kernelINS0_14default_configENS1_27scan_by_key_config_selectorIixEEZZNS1_16scan_by_key_implILNS1_25lookback_scan_determinismE0ELb0ES3_N6thrust23THRUST_200600_302600_NS6detail15normal_iteratorINS9_10device_ptrIiEEEENSB_INSC_IxEEEESG_xNS9_4plusIvEENS9_8equal_toIvEExEE10hipError_tPvRmT2_T3_T4_T5_mT6_T7_P12ihipStream_tbENKUlT_T0_E_clISt17integral_constantIbLb1EES10_IbLb0EEEEDaSW_SX_EUlSW_E_NS1_11comp_targetILNS1_3genE10ELNS1_11target_archE1200ELNS1_3gpuE4ELNS1_3repE0EEENS1_30default_config_static_selectorELNS0_4arch9wavefront6targetE0EEEvT1_,"axG",@progbits,_ZN7rocprim17ROCPRIM_400000_NS6detail17trampoline_kernelINS0_14default_configENS1_27scan_by_key_config_selectorIixEEZZNS1_16scan_by_key_implILNS1_25lookback_scan_determinismE0ELb0ES3_N6thrust23THRUST_200600_302600_NS6detail15normal_iteratorINS9_10device_ptrIiEEEENSB_INSC_IxEEEESG_xNS9_4plusIvEENS9_8equal_toIvEExEE10hipError_tPvRmT2_T3_T4_T5_mT6_T7_P12ihipStream_tbENKUlT_T0_E_clISt17integral_constantIbLb1EES10_IbLb0EEEEDaSW_SX_EUlSW_E_NS1_11comp_targetILNS1_3genE10ELNS1_11target_archE1200ELNS1_3gpuE4ELNS1_3repE0EEENS1_30default_config_static_selectorELNS0_4arch9wavefront6targetE0EEEvT1_,comdat
.Lfunc_end1337:
	.size	_ZN7rocprim17ROCPRIM_400000_NS6detail17trampoline_kernelINS0_14default_configENS1_27scan_by_key_config_selectorIixEEZZNS1_16scan_by_key_implILNS1_25lookback_scan_determinismE0ELb0ES3_N6thrust23THRUST_200600_302600_NS6detail15normal_iteratorINS9_10device_ptrIiEEEENSB_INSC_IxEEEESG_xNS9_4plusIvEENS9_8equal_toIvEExEE10hipError_tPvRmT2_T3_T4_T5_mT6_T7_P12ihipStream_tbENKUlT_T0_E_clISt17integral_constantIbLb1EES10_IbLb0EEEEDaSW_SX_EUlSW_E_NS1_11comp_targetILNS1_3genE10ELNS1_11target_archE1200ELNS1_3gpuE4ELNS1_3repE0EEENS1_30default_config_static_selectorELNS0_4arch9wavefront6targetE0EEEvT1_, .Lfunc_end1337-_ZN7rocprim17ROCPRIM_400000_NS6detail17trampoline_kernelINS0_14default_configENS1_27scan_by_key_config_selectorIixEEZZNS1_16scan_by_key_implILNS1_25lookback_scan_determinismE0ELb0ES3_N6thrust23THRUST_200600_302600_NS6detail15normal_iteratorINS9_10device_ptrIiEEEENSB_INSC_IxEEEESG_xNS9_4plusIvEENS9_8equal_toIvEExEE10hipError_tPvRmT2_T3_T4_T5_mT6_T7_P12ihipStream_tbENKUlT_T0_E_clISt17integral_constantIbLb1EES10_IbLb0EEEEDaSW_SX_EUlSW_E_NS1_11comp_targetILNS1_3genE10ELNS1_11target_archE1200ELNS1_3gpuE4ELNS1_3repE0EEENS1_30default_config_static_selectorELNS0_4arch9wavefront6targetE0EEEvT1_
                                        ; -- End function
	.set _ZN7rocprim17ROCPRIM_400000_NS6detail17trampoline_kernelINS0_14default_configENS1_27scan_by_key_config_selectorIixEEZZNS1_16scan_by_key_implILNS1_25lookback_scan_determinismE0ELb0ES3_N6thrust23THRUST_200600_302600_NS6detail15normal_iteratorINS9_10device_ptrIiEEEENSB_INSC_IxEEEESG_xNS9_4plusIvEENS9_8equal_toIvEExEE10hipError_tPvRmT2_T3_T4_T5_mT6_T7_P12ihipStream_tbENKUlT_T0_E_clISt17integral_constantIbLb1EES10_IbLb0EEEEDaSW_SX_EUlSW_E_NS1_11comp_targetILNS1_3genE10ELNS1_11target_archE1200ELNS1_3gpuE4ELNS1_3repE0EEENS1_30default_config_static_selectorELNS0_4arch9wavefront6targetE0EEEvT1_.num_vgpr, 0
	.set _ZN7rocprim17ROCPRIM_400000_NS6detail17trampoline_kernelINS0_14default_configENS1_27scan_by_key_config_selectorIixEEZZNS1_16scan_by_key_implILNS1_25lookback_scan_determinismE0ELb0ES3_N6thrust23THRUST_200600_302600_NS6detail15normal_iteratorINS9_10device_ptrIiEEEENSB_INSC_IxEEEESG_xNS9_4plusIvEENS9_8equal_toIvEExEE10hipError_tPvRmT2_T3_T4_T5_mT6_T7_P12ihipStream_tbENKUlT_T0_E_clISt17integral_constantIbLb1EES10_IbLb0EEEEDaSW_SX_EUlSW_E_NS1_11comp_targetILNS1_3genE10ELNS1_11target_archE1200ELNS1_3gpuE4ELNS1_3repE0EEENS1_30default_config_static_selectorELNS0_4arch9wavefront6targetE0EEEvT1_.num_agpr, 0
	.set _ZN7rocprim17ROCPRIM_400000_NS6detail17trampoline_kernelINS0_14default_configENS1_27scan_by_key_config_selectorIixEEZZNS1_16scan_by_key_implILNS1_25lookback_scan_determinismE0ELb0ES3_N6thrust23THRUST_200600_302600_NS6detail15normal_iteratorINS9_10device_ptrIiEEEENSB_INSC_IxEEEESG_xNS9_4plusIvEENS9_8equal_toIvEExEE10hipError_tPvRmT2_T3_T4_T5_mT6_T7_P12ihipStream_tbENKUlT_T0_E_clISt17integral_constantIbLb1EES10_IbLb0EEEEDaSW_SX_EUlSW_E_NS1_11comp_targetILNS1_3genE10ELNS1_11target_archE1200ELNS1_3gpuE4ELNS1_3repE0EEENS1_30default_config_static_selectorELNS0_4arch9wavefront6targetE0EEEvT1_.numbered_sgpr, 0
	.set _ZN7rocprim17ROCPRIM_400000_NS6detail17trampoline_kernelINS0_14default_configENS1_27scan_by_key_config_selectorIixEEZZNS1_16scan_by_key_implILNS1_25lookback_scan_determinismE0ELb0ES3_N6thrust23THRUST_200600_302600_NS6detail15normal_iteratorINS9_10device_ptrIiEEEENSB_INSC_IxEEEESG_xNS9_4plusIvEENS9_8equal_toIvEExEE10hipError_tPvRmT2_T3_T4_T5_mT6_T7_P12ihipStream_tbENKUlT_T0_E_clISt17integral_constantIbLb1EES10_IbLb0EEEEDaSW_SX_EUlSW_E_NS1_11comp_targetILNS1_3genE10ELNS1_11target_archE1200ELNS1_3gpuE4ELNS1_3repE0EEENS1_30default_config_static_selectorELNS0_4arch9wavefront6targetE0EEEvT1_.num_named_barrier, 0
	.set _ZN7rocprim17ROCPRIM_400000_NS6detail17trampoline_kernelINS0_14default_configENS1_27scan_by_key_config_selectorIixEEZZNS1_16scan_by_key_implILNS1_25lookback_scan_determinismE0ELb0ES3_N6thrust23THRUST_200600_302600_NS6detail15normal_iteratorINS9_10device_ptrIiEEEENSB_INSC_IxEEEESG_xNS9_4plusIvEENS9_8equal_toIvEExEE10hipError_tPvRmT2_T3_T4_T5_mT6_T7_P12ihipStream_tbENKUlT_T0_E_clISt17integral_constantIbLb1EES10_IbLb0EEEEDaSW_SX_EUlSW_E_NS1_11comp_targetILNS1_3genE10ELNS1_11target_archE1200ELNS1_3gpuE4ELNS1_3repE0EEENS1_30default_config_static_selectorELNS0_4arch9wavefront6targetE0EEEvT1_.private_seg_size, 0
	.set _ZN7rocprim17ROCPRIM_400000_NS6detail17trampoline_kernelINS0_14default_configENS1_27scan_by_key_config_selectorIixEEZZNS1_16scan_by_key_implILNS1_25lookback_scan_determinismE0ELb0ES3_N6thrust23THRUST_200600_302600_NS6detail15normal_iteratorINS9_10device_ptrIiEEEENSB_INSC_IxEEEESG_xNS9_4plusIvEENS9_8equal_toIvEExEE10hipError_tPvRmT2_T3_T4_T5_mT6_T7_P12ihipStream_tbENKUlT_T0_E_clISt17integral_constantIbLb1EES10_IbLb0EEEEDaSW_SX_EUlSW_E_NS1_11comp_targetILNS1_3genE10ELNS1_11target_archE1200ELNS1_3gpuE4ELNS1_3repE0EEENS1_30default_config_static_selectorELNS0_4arch9wavefront6targetE0EEEvT1_.uses_vcc, 0
	.set _ZN7rocprim17ROCPRIM_400000_NS6detail17trampoline_kernelINS0_14default_configENS1_27scan_by_key_config_selectorIixEEZZNS1_16scan_by_key_implILNS1_25lookback_scan_determinismE0ELb0ES3_N6thrust23THRUST_200600_302600_NS6detail15normal_iteratorINS9_10device_ptrIiEEEENSB_INSC_IxEEEESG_xNS9_4plusIvEENS9_8equal_toIvEExEE10hipError_tPvRmT2_T3_T4_T5_mT6_T7_P12ihipStream_tbENKUlT_T0_E_clISt17integral_constantIbLb1EES10_IbLb0EEEEDaSW_SX_EUlSW_E_NS1_11comp_targetILNS1_3genE10ELNS1_11target_archE1200ELNS1_3gpuE4ELNS1_3repE0EEENS1_30default_config_static_selectorELNS0_4arch9wavefront6targetE0EEEvT1_.uses_flat_scratch, 0
	.set _ZN7rocprim17ROCPRIM_400000_NS6detail17trampoline_kernelINS0_14default_configENS1_27scan_by_key_config_selectorIixEEZZNS1_16scan_by_key_implILNS1_25lookback_scan_determinismE0ELb0ES3_N6thrust23THRUST_200600_302600_NS6detail15normal_iteratorINS9_10device_ptrIiEEEENSB_INSC_IxEEEESG_xNS9_4plusIvEENS9_8equal_toIvEExEE10hipError_tPvRmT2_T3_T4_T5_mT6_T7_P12ihipStream_tbENKUlT_T0_E_clISt17integral_constantIbLb1EES10_IbLb0EEEEDaSW_SX_EUlSW_E_NS1_11comp_targetILNS1_3genE10ELNS1_11target_archE1200ELNS1_3gpuE4ELNS1_3repE0EEENS1_30default_config_static_selectorELNS0_4arch9wavefront6targetE0EEEvT1_.has_dyn_sized_stack, 0
	.set _ZN7rocprim17ROCPRIM_400000_NS6detail17trampoline_kernelINS0_14default_configENS1_27scan_by_key_config_selectorIixEEZZNS1_16scan_by_key_implILNS1_25lookback_scan_determinismE0ELb0ES3_N6thrust23THRUST_200600_302600_NS6detail15normal_iteratorINS9_10device_ptrIiEEEENSB_INSC_IxEEEESG_xNS9_4plusIvEENS9_8equal_toIvEExEE10hipError_tPvRmT2_T3_T4_T5_mT6_T7_P12ihipStream_tbENKUlT_T0_E_clISt17integral_constantIbLb1EES10_IbLb0EEEEDaSW_SX_EUlSW_E_NS1_11comp_targetILNS1_3genE10ELNS1_11target_archE1200ELNS1_3gpuE4ELNS1_3repE0EEENS1_30default_config_static_selectorELNS0_4arch9wavefront6targetE0EEEvT1_.has_recursion, 0
	.set _ZN7rocprim17ROCPRIM_400000_NS6detail17trampoline_kernelINS0_14default_configENS1_27scan_by_key_config_selectorIixEEZZNS1_16scan_by_key_implILNS1_25lookback_scan_determinismE0ELb0ES3_N6thrust23THRUST_200600_302600_NS6detail15normal_iteratorINS9_10device_ptrIiEEEENSB_INSC_IxEEEESG_xNS9_4plusIvEENS9_8equal_toIvEExEE10hipError_tPvRmT2_T3_T4_T5_mT6_T7_P12ihipStream_tbENKUlT_T0_E_clISt17integral_constantIbLb1EES10_IbLb0EEEEDaSW_SX_EUlSW_E_NS1_11comp_targetILNS1_3genE10ELNS1_11target_archE1200ELNS1_3gpuE4ELNS1_3repE0EEENS1_30default_config_static_selectorELNS0_4arch9wavefront6targetE0EEEvT1_.has_indirect_call, 0
	.section	.AMDGPU.csdata,"",@progbits
; Kernel info:
; codeLenInByte = 0
; TotalNumSgprs: 0
; NumVgprs: 0
; ScratchSize: 0
; MemoryBound: 0
; FloatMode: 240
; IeeeMode: 1
; LDSByteSize: 0 bytes/workgroup (compile time only)
; SGPRBlocks: 0
; VGPRBlocks: 0
; NumSGPRsForWavesPerEU: 1
; NumVGPRsForWavesPerEU: 1
; NamedBarCnt: 0
; Occupancy: 16
; WaveLimiterHint : 0
; COMPUTE_PGM_RSRC2:SCRATCH_EN: 0
; COMPUTE_PGM_RSRC2:USER_SGPR: 2
; COMPUTE_PGM_RSRC2:TRAP_HANDLER: 0
; COMPUTE_PGM_RSRC2:TGID_X_EN: 1
; COMPUTE_PGM_RSRC2:TGID_Y_EN: 0
; COMPUTE_PGM_RSRC2:TGID_Z_EN: 0
; COMPUTE_PGM_RSRC2:TIDIG_COMP_CNT: 0
	.section	.text._ZN7rocprim17ROCPRIM_400000_NS6detail17trampoline_kernelINS0_14default_configENS1_27scan_by_key_config_selectorIixEEZZNS1_16scan_by_key_implILNS1_25lookback_scan_determinismE0ELb0ES3_N6thrust23THRUST_200600_302600_NS6detail15normal_iteratorINS9_10device_ptrIiEEEENSB_INSC_IxEEEESG_xNS9_4plusIvEENS9_8equal_toIvEExEE10hipError_tPvRmT2_T3_T4_T5_mT6_T7_P12ihipStream_tbENKUlT_T0_E_clISt17integral_constantIbLb1EES10_IbLb0EEEEDaSW_SX_EUlSW_E_NS1_11comp_targetILNS1_3genE9ELNS1_11target_archE1100ELNS1_3gpuE3ELNS1_3repE0EEENS1_30default_config_static_selectorELNS0_4arch9wavefront6targetE0EEEvT1_,"axG",@progbits,_ZN7rocprim17ROCPRIM_400000_NS6detail17trampoline_kernelINS0_14default_configENS1_27scan_by_key_config_selectorIixEEZZNS1_16scan_by_key_implILNS1_25lookback_scan_determinismE0ELb0ES3_N6thrust23THRUST_200600_302600_NS6detail15normal_iteratorINS9_10device_ptrIiEEEENSB_INSC_IxEEEESG_xNS9_4plusIvEENS9_8equal_toIvEExEE10hipError_tPvRmT2_T3_T4_T5_mT6_T7_P12ihipStream_tbENKUlT_T0_E_clISt17integral_constantIbLb1EES10_IbLb0EEEEDaSW_SX_EUlSW_E_NS1_11comp_targetILNS1_3genE9ELNS1_11target_archE1100ELNS1_3gpuE3ELNS1_3repE0EEENS1_30default_config_static_selectorELNS0_4arch9wavefront6targetE0EEEvT1_,comdat
	.protected	_ZN7rocprim17ROCPRIM_400000_NS6detail17trampoline_kernelINS0_14default_configENS1_27scan_by_key_config_selectorIixEEZZNS1_16scan_by_key_implILNS1_25lookback_scan_determinismE0ELb0ES3_N6thrust23THRUST_200600_302600_NS6detail15normal_iteratorINS9_10device_ptrIiEEEENSB_INSC_IxEEEESG_xNS9_4plusIvEENS9_8equal_toIvEExEE10hipError_tPvRmT2_T3_T4_T5_mT6_T7_P12ihipStream_tbENKUlT_T0_E_clISt17integral_constantIbLb1EES10_IbLb0EEEEDaSW_SX_EUlSW_E_NS1_11comp_targetILNS1_3genE9ELNS1_11target_archE1100ELNS1_3gpuE3ELNS1_3repE0EEENS1_30default_config_static_selectorELNS0_4arch9wavefront6targetE0EEEvT1_ ; -- Begin function _ZN7rocprim17ROCPRIM_400000_NS6detail17trampoline_kernelINS0_14default_configENS1_27scan_by_key_config_selectorIixEEZZNS1_16scan_by_key_implILNS1_25lookback_scan_determinismE0ELb0ES3_N6thrust23THRUST_200600_302600_NS6detail15normal_iteratorINS9_10device_ptrIiEEEENSB_INSC_IxEEEESG_xNS9_4plusIvEENS9_8equal_toIvEExEE10hipError_tPvRmT2_T3_T4_T5_mT6_T7_P12ihipStream_tbENKUlT_T0_E_clISt17integral_constantIbLb1EES10_IbLb0EEEEDaSW_SX_EUlSW_E_NS1_11comp_targetILNS1_3genE9ELNS1_11target_archE1100ELNS1_3gpuE3ELNS1_3repE0EEENS1_30default_config_static_selectorELNS0_4arch9wavefront6targetE0EEEvT1_
	.globl	_ZN7rocprim17ROCPRIM_400000_NS6detail17trampoline_kernelINS0_14default_configENS1_27scan_by_key_config_selectorIixEEZZNS1_16scan_by_key_implILNS1_25lookback_scan_determinismE0ELb0ES3_N6thrust23THRUST_200600_302600_NS6detail15normal_iteratorINS9_10device_ptrIiEEEENSB_INSC_IxEEEESG_xNS9_4plusIvEENS9_8equal_toIvEExEE10hipError_tPvRmT2_T3_T4_T5_mT6_T7_P12ihipStream_tbENKUlT_T0_E_clISt17integral_constantIbLb1EES10_IbLb0EEEEDaSW_SX_EUlSW_E_NS1_11comp_targetILNS1_3genE9ELNS1_11target_archE1100ELNS1_3gpuE3ELNS1_3repE0EEENS1_30default_config_static_selectorELNS0_4arch9wavefront6targetE0EEEvT1_
	.p2align	8
	.type	_ZN7rocprim17ROCPRIM_400000_NS6detail17trampoline_kernelINS0_14default_configENS1_27scan_by_key_config_selectorIixEEZZNS1_16scan_by_key_implILNS1_25lookback_scan_determinismE0ELb0ES3_N6thrust23THRUST_200600_302600_NS6detail15normal_iteratorINS9_10device_ptrIiEEEENSB_INSC_IxEEEESG_xNS9_4plusIvEENS9_8equal_toIvEExEE10hipError_tPvRmT2_T3_T4_T5_mT6_T7_P12ihipStream_tbENKUlT_T0_E_clISt17integral_constantIbLb1EES10_IbLb0EEEEDaSW_SX_EUlSW_E_NS1_11comp_targetILNS1_3genE9ELNS1_11target_archE1100ELNS1_3gpuE3ELNS1_3repE0EEENS1_30default_config_static_selectorELNS0_4arch9wavefront6targetE0EEEvT1_,@function
_ZN7rocprim17ROCPRIM_400000_NS6detail17trampoline_kernelINS0_14default_configENS1_27scan_by_key_config_selectorIixEEZZNS1_16scan_by_key_implILNS1_25lookback_scan_determinismE0ELb0ES3_N6thrust23THRUST_200600_302600_NS6detail15normal_iteratorINS9_10device_ptrIiEEEENSB_INSC_IxEEEESG_xNS9_4plusIvEENS9_8equal_toIvEExEE10hipError_tPvRmT2_T3_T4_T5_mT6_T7_P12ihipStream_tbENKUlT_T0_E_clISt17integral_constantIbLb1EES10_IbLb0EEEEDaSW_SX_EUlSW_E_NS1_11comp_targetILNS1_3genE9ELNS1_11target_archE1100ELNS1_3gpuE3ELNS1_3repE0EEENS1_30default_config_static_selectorELNS0_4arch9wavefront6targetE0EEEvT1_: ; @_ZN7rocprim17ROCPRIM_400000_NS6detail17trampoline_kernelINS0_14default_configENS1_27scan_by_key_config_selectorIixEEZZNS1_16scan_by_key_implILNS1_25lookback_scan_determinismE0ELb0ES3_N6thrust23THRUST_200600_302600_NS6detail15normal_iteratorINS9_10device_ptrIiEEEENSB_INSC_IxEEEESG_xNS9_4plusIvEENS9_8equal_toIvEExEE10hipError_tPvRmT2_T3_T4_T5_mT6_T7_P12ihipStream_tbENKUlT_T0_E_clISt17integral_constantIbLb1EES10_IbLb0EEEEDaSW_SX_EUlSW_E_NS1_11comp_targetILNS1_3genE9ELNS1_11target_archE1100ELNS1_3gpuE3ELNS1_3repE0EEENS1_30default_config_static_selectorELNS0_4arch9wavefront6targetE0EEEvT1_
; %bb.0:
	.section	.rodata,"a",@progbits
	.p2align	6, 0x0
	.amdhsa_kernel _ZN7rocprim17ROCPRIM_400000_NS6detail17trampoline_kernelINS0_14default_configENS1_27scan_by_key_config_selectorIixEEZZNS1_16scan_by_key_implILNS1_25lookback_scan_determinismE0ELb0ES3_N6thrust23THRUST_200600_302600_NS6detail15normal_iteratorINS9_10device_ptrIiEEEENSB_INSC_IxEEEESG_xNS9_4plusIvEENS9_8equal_toIvEExEE10hipError_tPvRmT2_T3_T4_T5_mT6_T7_P12ihipStream_tbENKUlT_T0_E_clISt17integral_constantIbLb1EES10_IbLb0EEEEDaSW_SX_EUlSW_E_NS1_11comp_targetILNS1_3genE9ELNS1_11target_archE1100ELNS1_3gpuE3ELNS1_3repE0EEENS1_30default_config_static_selectorELNS0_4arch9wavefront6targetE0EEEvT1_
		.amdhsa_group_segment_fixed_size 0
		.amdhsa_private_segment_fixed_size 0
		.amdhsa_kernarg_size 136
		.amdhsa_user_sgpr_count 2
		.amdhsa_user_sgpr_dispatch_ptr 0
		.amdhsa_user_sgpr_queue_ptr 0
		.amdhsa_user_sgpr_kernarg_segment_ptr 1
		.amdhsa_user_sgpr_dispatch_id 0
		.amdhsa_user_sgpr_kernarg_preload_length 0
		.amdhsa_user_sgpr_kernarg_preload_offset 0
		.amdhsa_user_sgpr_private_segment_size 0
		.amdhsa_wavefront_size32 1
		.amdhsa_uses_dynamic_stack 0
		.amdhsa_enable_private_segment 0
		.amdhsa_system_sgpr_workgroup_id_x 1
		.amdhsa_system_sgpr_workgroup_id_y 0
		.amdhsa_system_sgpr_workgroup_id_z 0
		.amdhsa_system_sgpr_workgroup_info 0
		.amdhsa_system_vgpr_workitem_id 0
		.amdhsa_next_free_vgpr 1
		.amdhsa_next_free_sgpr 1
		.amdhsa_named_barrier_count 0
		.amdhsa_reserve_vcc 0
		.amdhsa_float_round_mode_32 0
		.amdhsa_float_round_mode_16_64 0
		.amdhsa_float_denorm_mode_32 3
		.amdhsa_float_denorm_mode_16_64 3
		.amdhsa_fp16_overflow 0
		.amdhsa_memory_ordered 1
		.amdhsa_forward_progress 1
		.amdhsa_inst_pref_size 0
		.amdhsa_round_robin_scheduling 0
		.amdhsa_exception_fp_ieee_invalid_op 0
		.amdhsa_exception_fp_denorm_src 0
		.amdhsa_exception_fp_ieee_div_zero 0
		.amdhsa_exception_fp_ieee_overflow 0
		.amdhsa_exception_fp_ieee_underflow 0
		.amdhsa_exception_fp_ieee_inexact 0
		.amdhsa_exception_int_div_zero 0
	.end_amdhsa_kernel
	.section	.text._ZN7rocprim17ROCPRIM_400000_NS6detail17trampoline_kernelINS0_14default_configENS1_27scan_by_key_config_selectorIixEEZZNS1_16scan_by_key_implILNS1_25lookback_scan_determinismE0ELb0ES3_N6thrust23THRUST_200600_302600_NS6detail15normal_iteratorINS9_10device_ptrIiEEEENSB_INSC_IxEEEESG_xNS9_4plusIvEENS9_8equal_toIvEExEE10hipError_tPvRmT2_T3_T4_T5_mT6_T7_P12ihipStream_tbENKUlT_T0_E_clISt17integral_constantIbLb1EES10_IbLb0EEEEDaSW_SX_EUlSW_E_NS1_11comp_targetILNS1_3genE9ELNS1_11target_archE1100ELNS1_3gpuE3ELNS1_3repE0EEENS1_30default_config_static_selectorELNS0_4arch9wavefront6targetE0EEEvT1_,"axG",@progbits,_ZN7rocprim17ROCPRIM_400000_NS6detail17trampoline_kernelINS0_14default_configENS1_27scan_by_key_config_selectorIixEEZZNS1_16scan_by_key_implILNS1_25lookback_scan_determinismE0ELb0ES3_N6thrust23THRUST_200600_302600_NS6detail15normal_iteratorINS9_10device_ptrIiEEEENSB_INSC_IxEEEESG_xNS9_4plusIvEENS9_8equal_toIvEExEE10hipError_tPvRmT2_T3_T4_T5_mT6_T7_P12ihipStream_tbENKUlT_T0_E_clISt17integral_constantIbLb1EES10_IbLb0EEEEDaSW_SX_EUlSW_E_NS1_11comp_targetILNS1_3genE9ELNS1_11target_archE1100ELNS1_3gpuE3ELNS1_3repE0EEENS1_30default_config_static_selectorELNS0_4arch9wavefront6targetE0EEEvT1_,comdat
.Lfunc_end1338:
	.size	_ZN7rocprim17ROCPRIM_400000_NS6detail17trampoline_kernelINS0_14default_configENS1_27scan_by_key_config_selectorIixEEZZNS1_16scan_by_key_implILNS1_25lookback_scan_determinismE0ELb0ES3_N6thrust23THRUST_200600_302600_NS6detail15normal_iteratorINS9_10device_ptrIiEEEENSB_INSC_IxEEEESG_xNS9_4plusIvEENS9_8equal_toIvEExEE10hipError_tPvRmT2_T3_T4_T5_mT6_T7_P12ihipStream_tbENKUlT_T0_E_clISt17integral_constantIbLb1EES10_IbLb0EEEEDaSW_SX_EUlSW_E_NS1_11comp_targetILNS1_3genE9ELNS1_11target_archE1100ELNS1_3gpuE3ELNS1_3repE0EEENS1_30default_config_static_selectorELNS0_4arch9wavefront6targetE0EEEvT1_, .Lfunc_end1338-_ZN7rocprim17ROCPRIM_400000_NS6detail17trampoline_kernelINS0_14default_configENS1_27scan_by_key_config_selectorIixEEZZNS1_16scan_by_key_implILNS1_25lookback_scan_determinismE0ELb0ES3_N6thrust23THRUST_200600_302600_NS6detail15normal_iteratorINS9_10device_ptrIiEEEENSB_INSC_IxEEEESG_xNS9_4plusIvEENS9_8equal_toIvEExEE10hipError_tPvRmT2_T3_T4_T5_mT6_T7_P12ihipStream_tbENKUlT_T0_E_clISt17integral_constantIbLb1EES10_IbLb0EEEEDaSW_SX_EUlSW_E_NS1_11comp_targetILNS1_3genE9ELNS1_11target_archE1100ELNS1_3gpuE3ELNS1_3repE0EEENS1_30default_config_static_selectorELNS0_4arch9wavefront6targetE0EEEvT1_
                                        ; -- End function
	.set _ZN7rocprim17ROCPRIM_400000_NS6detail17trampoline_kernelINS0_14default_configENS1_27scan_by_key_config_selectorIixEEZZNS1_16scan_by_key_implILNS1_25lookback_scan_determinismE0ELb0ES3_N6thrust23THRUST_200600_302600_NS6detail15normal_iteratorINS9_10device_ptrIiEEEENSB_INSC_IxEEEESG_xNS9_4plusIvEENS9_8equal_toIvEExEE10hipError_tPvRmT2_T3_T4_T5_mT6_T7_P12ihipStream_tbENKUlT_T0_E_clISt17integral_constantIbLb1EES10_IbLb0EEEEDaSW_SX_EUlSW_E_NS1_11comp_targetILNS1_3genE9ELNS1_11target_archE1100ELNS1_3gpuE3ELNS1_3repE0EEENS1_30default_config_static_selectorELNS0_4arch9wavefront6targetE0EEEvT1_.num_vgpr, 0
	.set _ZN7rocprim17ROCPRIM_400000_NS6detail17trampoline_kernelINS0_14default_configENS1_27scan_by_key_config_selectorIixEEZZNS1_16scan_by_key_implILNS1_25lookback_scan_determinismE0ELb0ES3_N6thrust23THRUST_200600_302600_NS6detail15normal_iteratorINS9_10device_ptrIiEEEENSB_INSC_IxEEEESG_xNS9_4plusIvEENS9_8equal_toIvEExEE10hipError_tPvRmT2_T3_T4_T5_mT6_T7_P12ihipStream_tbENKUlT_T0_E_clISt17integral_constantIbLb1EES10_IbLb0EEEEDaSW_SX_EUlSW_E_NS1_11comp_targetILNS1_3genE9ELNS1_11target_archE1100ELNS1_3gpuE3ELNS1_3repE0EEENS1_30default_config_static_selectorELNS0_4arch9wavefront6targetE0EEEvT1_.num_agpr, 0
	.set _ZN7rocprim17ROCPRIM_400000_NS6detail17trampoline_kernelINS0_14default_configENS1_27scan_by_key_config_selectorIixEEZZNS1_16scan_by_key_implILNS1_25lookback_scan_determinismE0ELb0ES3_N6thrust23THRUST_200600_302600_NS6detail15normal_iteratorINS9_10device_ptrIiEEEENSB_INSC_IxEEEESG_xNS9_4plusIvEENS9_8equal_toIvEExEE10hipError_tPvRmT2_T3_T4_T5_mT6_T7_P12ihipStream_tbENKUlT_T0_E_clISt17integral_constantIbLb1EES10_IbLb0EEEEDaSW_SX_EUlSW_E_NS1_11comp_targetILNS1_3genE9ELNS1_11target_archE1100ELNS1_3gpuE3ELNS1_3repE0EEENS1_30default_config_static_selectorELNS0_4arch9wavefront6targetE0EEEvT1_.numbered_sgpr, 0
	.set _ZN7rocprim17ROCPRIM_400000_NS6detail17trampoline_kernelINS0_14default_configENS1_27scan_by_key_config_selectorIixEEZZNS1_16scan_by_key_implILNS1_25lookback_scan_determinismE0ELb0ES3_N6thrust23THRUST_200600_302600_NS6detail15normal_iteratorINS9_10device_ptrIiEEEENSB_INSC_IxEEEESG_xNS9_4plusIvEENS9_8equal_toIvEExEE10hipError_tPvRmT2_T3_T4_T5_mT6_T7_P12ihipStream_tbENKUlT_T0_E_clISt17integral_constantIbLb1EES10_IbLb0EEEEDaSW_SX_EUlSW_E_NS1_11comp_targetILNS1_3genE9ELNS1_11target_archE1100ELNS1_3gpuE3ELNS1_3repE0EEENS1_30default_config_static_selectorELNS0_4arch9wavefront6targetE0EEEvT1_.num_named_barrier, 0
	.set _ZN7rocprim17ROCPRIM_400000_NS6detail17trampoline_kernelINS0_14default_configENS1_27scan_by_key_config_selectorIixEEZZNS1_16scan_by_key_implILNS1_25lookback_scan_determinismE0ELb0ES3_N6thrust23THRUST_200600_302600_NS6detail15normal_iteratorINS9_10device_ptrIiEEEENSB_INSC_IxEEEESG_xNS9_4plusIvEENS9_8equal_toIvEExEE10hipError_tPvRmT2_T3_T4_T5_mT6_T7_P12ihipStream_tbENKUlT_T0_E_clISt17integral_constantIbLb1EES10_IbLb0EEEEDaSW_SX_EUlSW_E_NS1_11comp_targetILNS1_3genE9ELNS1_11target_archE1100ELNS1_3gpuE3ELNS1_3repE0EEENS1_30default_config_static_selectorELNS0_4arch9wavefront6targetE0EEEvT1_.private_seg_size, 0
	.set _ZN7rocprim17ROCPRIM_400000_NS6detail17trampoline_kernelINS0_14default_configENS1_27scan_by_key_config_selectorIixEEZZNS1_16scan_by_key_implILNS1_25lookback_scan_determinismE0ELb0ES3_N6thrust23THRUST_200600_302600_NS6detail15normal_iteratorINS9_10device_ptrIiEEEENSB_INSC_IxEEEESG_xNS9_4plusIvEENS9_8equal_toIvEExEE10hipError_tPvRmT2_T3_T4_T5_mT6_T7_P12ihipStream_tbENKUlT_T0_E_clISt17integral_constantIbLb1EES10_IbLb0EEEEDaSW_SX_EUlSW_E_NS1_11comp_targetILNS1_3genE9ELNS1_11target_archE1100ELNS1_3gpuE3ELNS1_3repE0EEENS1_30default_config_static_selectorELNS0_4arch9wavefront6targetE0EEEvT1_.uses_vcc, 0
	.set _ZN7rocprim17ROCPRIM_400000_NS6detail17trampoline_kernelINS0_14default_configENS1_27scan_by_key_config_selectorIixEEZZNS1_16scan_by_key_implILNS1_25lookback_scan_determinismE0ELb0ES3_N6thrust23THRUST_200600_302600_NS6detail15normal_iteratorINS9_10device_ptrIiEEEENSB_INSC_IxEEEESG_xNS9_4plusIvEENS9_8equal_toIvEExEE10hipError_tPvRmT2_T3_T4_T5_mT6_T7_P12ihipStream_tbENKUlT_T0_E_clISt17integral_constantIbLb1EES10_IbLb0EEEEDaSW_SX_EUlSW_E_NS1_11comp_targetILNS1_3genE9ELNS1_11target_archE1100ELNS1_3gpuE3ELNS1_3repE0EEENS1_30default_config_static_selectorELNS0_4arch9wavefront6targetE0EEEvT1_.uses_flat_scratch, 0
	.set _ZN7rocprim17ROCPRIM_400000_NS6detail17trampoline_kernelINS0_14default_configENS1_27scan_by_key_config_selectorIixEEZZNS1_16scan_by_key_implILNS1_25lookback_scan_determinismE0ELb0ES3_N6thrust23THRUST_200600_302600_NS6detail15normal_iteratorINS9_10device_ptrIiEEEENSB_INSC_IxEEEESG_xNS9_4plusIvEENS9_8equal_toIvEExEE10hipError_tPvRmT2_T3_T4_T5_mT6_T7_P12ihipStream_tbENKUlT_T0_E_clISt17integral_constantIbLb1EES10_IbLb0EEEEDaSW_SX_EUlSW_E_NS1_11comp_targetILNS1_3genE9ELNS1_11target_archE1100ELNS1_3gpuE3ELNS1_3repE0EEENS1_30default_config_static_selectorELNS0_4arch9wavefront6targetE0EEEvT1_.has_dyn_sized_stack, 0
	.set _ZN7rocprim17ROCPRIM_400000_NS6detail17trampoline_kernelINS0_14default_configENS1_27scan_by_key_config_selectorIixEEZZNS1_16scan_by_key_implILNS1_25lookback_scan_determinismE0ELb0ES3_N6thrust23THRUST_200600_302600_NS6detail15normal_iteratorINS9_10device_ptrIiEEEENSB_INSC_IxEEEESG_xNS9_4plusIvEENS9_8equal_toIvEExEE10hipError_tPvRmT2_T3_T4_T5_mT6_T7_P12ihipStream_tbENKUlT_T0_E_clISt17integral_constantIbLb1EES10_IbLb0EEEEDaSW_SX_EUlSW_E_NS1_11comp_targetILNS1_3genE9ELNS1_11target_archE1100ELNS1_3gpuE3ELNS1_3repE0EEENS1_30default_config_static_selectorELNS0_4arch9wavefront6targetE0EEEvT1_.has_recursion, 0
	.set _ZN7rocprim17ROCPRIM_400000_NS6detail17trampoline_kernelINS0_14default_configENS1_27scan_by_key_config_selectorIixEEZZNS1_16scan_by_key_implILNS1_25lookback_scan_determinismE0ELb0ES3_N6thrust23THRUST_200600_302600_NS6detail15normal_iteratorINS9_10device_ptrIiEEEENSB_INSC_IxEEEESG_xNS9_4plusIvEENS9_8equal_toIvEExEE10hipError_tPvRmT2_T3_T4_T5_mT6_T7_P12ihipStream_tbENKUlT_T0_E_clISt17integral_constantIbLb1EES10_IbLb0EEEEDaSW_SX_EUlSW_E_NS1_11comp_targetILNS1_3genE9ELNS1_11target_archE1100ELNS1_3gpuE3ELNS1_3repE0EEENS1_30default_config_static_selectorELNS0_4arch9wavefront6targetE0EEEvT1_.has_indirect_call, 0
	.section	.AMDGPU.csdata,"",@progbits
; Kernel info:
; codeLenInByte = 0
; TotalNumSgprs: 0
; NumVgprs: 0
; ScratchSize: 0
; MemoryBound: 0
; FloatMode: 240
; IeeeMode: 1
; LDSByteSize: 0 bytes/workgroup (compile time only)
; SGPRBlocks: 0
; VGPRBlocks: 0
; NumSGPRsForWavesPerEU: 1
; NumVGPRsForWavesPerEU: 1
; NamedBarCnt: 0
; Occupancy: 16
; WaveLimiterHint : 0
; COMPUTE_PGM_RSRC2:SCRATCH_EN: 0
; COMPUTE_PGM_RSRC2:USER_SGPR: 2
; COMPUTE_PGM_RSRC2:TRAP_HANDLER: 0
; COMPUTE_PGM_RSRC2:TGID_X_EN: 1
; COMPUTE_PGM_RSRC2:TGID_Y_EN: 0
; COMPUTE_PGM_RSRC2:TGID_Z_EN: 0
; COMPUTE_PGM_RSRC2:TIDIG_COMP_CNT: 0
	.section	.text._ZN7rocprim17ROCPRIM_400000_NS6detail17trampoline_kernelINS0_14default_configENS1_27scan_by_key_config_selectorIixEEZZNS1_16scan_by_key_implILNS1_25lookback_scan_determinismE0ELb0ES3_N6thrust23THRUST_200600_302600_NS6detail15normal_iteratorINS9_10device_ptrIiEEEENSB_INSC_IxEEEESG_xNS9_4plusIvEENS9_8equal_toIvEExEE10hipError_tPvRmT2_T3_T4_T5_mT6_T7_P12ihipStream_tbENKUlT_T0_E_clISt17integral_constantIbLb1EES10_IbLb0EEEEDaSW_SX_EUlSW_E_NS1_11comp_targetILNS1_3genE8ELNS1_11target_archE1030ELNS1_3gpuE2ELNS1_3repE0EEENS1_30default_config_static_selectorELNS0_4arch9wavefront6targetE0EEEvT1_,"axG",@progbits,_ZN7rocprim17ROCPRIM_400000_NS6detail17trampoline_kernelINS0_14default_configENS1_27scan_by_key_config_selectorIixEEZZNS1_16scan_by_key_implILNS1_25lookback_scan_determinismE0ELb0ES3_N6thrust23THRUST_200600_302600_NS6detail15normal_iteratorINS9_10device_ptrIiEEEENSB_INSC_IxEEEESG_xNS9_4plusIvEENS9_8equal_toIvEExEE10hipError_tPvRmT2_T3_T4_T5_mT6_T7_P12ihipStream_tbENKUlT_T0_E_clISt17integral_constantIbLb1EES10_IbLb0EEEEDaSW_SX_EUlSW_E_NS1_11comp_targetILNS1_3genE8ELNS1_11target_archE1030ELNS1_3gpuE2ELNS1_3repE0EEENS1_30default_config_static_selectorELNS0_4arch9wavefront6targetE0EEEvT1_,comdat
	.protected	_ZN7rocprim17ROCPRIM_400000_NS6detail17trampoline_kernelINS0_14default_configENS1_27scan_by_key_config_selectorIixEEZZNS1_16scan_by_key_implILNS1_25lookback_scan_determinismE0ELb0ES3_N6thrust23THRUST_200600_302600_NS6detail15normal_iteratorINS9_10device_ptrIiEEEENSB_INSC_IxEEEESG_xNS9_4plusIvEENS9_8equal_toIvEExEE10hipError_tPvRmT2_T3_T4_T5_mT6_T7_P12ihipStream_tbENKUlT_T0_E_clISt17integral_constantIbLb1EES10_IbLb0EEEEDaSW_SX_EUlSW_E_NS1_11comp_targetILNS1_3genE8ELNS1_11target_archE1030ELNS1_3gpuE2ELNS1_3repE0EEENS1_30default_config_static_selectorELNS0_4arch9wavefront6targetE0EEEvT1_ ; -- Begin function _ZN7rocprim17ROCPRIM_400000_NS6detail17trampoline_kernelINS0_14default_configENS1_27scan_by_key_config_selectorIixEEZZNS1_16scan_by_key_implILNS1_25lookback_scan_determinismE0ELb0ES3_N6thrust23THRUST_200600_302600_NS6detail15normal_iteratorINS9_10device_ptrIiEEEENSB_INSC_IxEEEESG_xNS9_4plusIvEENS9_8equal_toIvEExEE10hipError_tPvRmT2_T3_T4_T5_mT6_T7_P12ihipStream_tbENKUlT_T0_E_clISt17integral_constantIbLb1EES10_IbLb0EEEEDaSW_SX_EUlSW_E_NS1_11comp_targetILNS1_3genE8ELNS1_11target_archE1030ELNS1_3gpuE2ELNS1_3repE0EEENS1_30default_config_static_selectorELNS0_4arch9wavefront6targetE0EEEvT1_
	.globl	_ZN7rocprim17ROCPRIM_400000_NS6detail17trampoline_kernelINS0_14default_configENS1_27scan_by_key_config_selectorIixEEZZNS1_16scan_by_key_implILNS1_25lookback_scan_determinismE0ELb0ES3_N6thrust23THRUST_200600_302600_NS6detail15normal_iteratorINS9_10device_ptrIiEEEENSB_INSC_IxEEEESG_xNS9_4plusIvEENS9_8equal_toIvEExEE10hipError_tPvRmT2_T3_T4_T5_mT6_T7_P12ihipStream_tbENKUlT_T0_E_clISt17integral_constantIbLb1EES10_IbLb0EEEEDaSW_SX_EUlSW_E_NS1_11comp_targetILNS1_3genE8ELNS1_11target_archE1030ELNS1_3gpuE2ELNS1_3repE0EEENS1_30default_config_static_selectorELNS0_4arch9wavefront6targetE0EEEvT1_
	.p2align	8
	.type	_ZN7rocprim17ROCPRIM_400000_NS6detail17trampoline_kernelINS0_14default_configENS1_27scan_by_key_config_selectorIixEEZZNS1_16scan_by_key_implILNS1_25lookback_scan_determinismE0ELb0ES3_N6thrust23THRUST_200600_302600_NS6detail15normal_iteratorINS9_10device_ptrIiEEEENSB_INSC_IxEEEESG_xNS9_4plusIvEENS9_8equal_toIvEExEE10hipError_tPvRmT2_T3_T4_T5_mT6_T7_P12ihipStream_tbENKUlT_T0_E_clISt17integral_constantIbLb1EES10_IbLb0EEEEDaSW_SX_EUlSW_E_NS1_11comp_targetILNS1_3genE8ELNS1_11target_archE1030ELNS1_3gpuE2ELNS1_3repE0EEENS1_30default_config_static_selectorELNS0_4arch9wavefront6targetE0EEEvT1_,@function
_ZN7rocprim17ROCPRIM_400000_NS6detail17trampoline_kernelINS0_14default_configENS1_27scan_by_key_config_selectorIixEEZZNS1_16scan_by_key_implILNS1_25lookback_scan_determinismE0ELb0ES3_N6thrust23THRUST_200600_302600_NS6detail15normal_iteratorINS9_10device_ptrIiEEEENSB_INSC_IxEEEESG_xNS9_4plusIvEENS9_8equal_toIvEExEE10hipError_tPvRmT2_T3_T4_T5_mT6_T7_P12ihipStream_tbENKUlT_T0_E_clISt17integral_constantIbLb1EES10_IbLb0EEEEDaSW_SX_EUlSW_E_NS1_11comp_targetILNS1_3genE8ELNS1_11target_archE1030ELNS1_3gpuE2ELNS1_3repE0EEENS1_30default_config_static_selectorELNS0_4arch9wavefront6targetE0EEEvT1_: ; @_ZN7rocprim17ROCPRIM_400000_NS6detail17trampoline_kernelINS0_14default_configENS1_27scan_by_key_config_selectorIixEEZZNS1_16scan_by_key_implILNS1_25lookback_scan_determinismE0ELb0ES3_N6thrust23THRUST_200600_302600_NS6detail15normal_iteratorINS9_10device_ptrIiEEEENSB_INSC_IxEEEESG_xNS9_4plusIvEENS9_8equal_toIvEExEE10hipError_tPvRmT2_T3_T4_T5_mT6_T7_P12ihipStream_tbENKUlT_T0_E_clISt17integral_constantIbLb1EES10_IbLb0EEEEDaSW_SX_EUlSW_E_NS1_11comp_targetILNS1_3genE8ELNS1_11target_archE1030ELNS1_3gpuE2ELNS1_3repE0EEENS1_30default_config_static_selectorELNS0_4arch9wavefront6targetE0EEEvT1_
; %bb.0:
	.section	.rodata,"a",@progbits
	.p2align	6, 0x0
	.amdhsa_kernel _ZN7rocprim17ROCPRIM_400000_NS6detail17trampoline_kernelINS0_14default_configENS1_27scan_by_key_config_selectorIixEEZZNS1_16scan_by_key_implILNS1_25lookback_scan_determinismE0ELb0ES3_N6thrust23THRUST_200600_302600_NS6detail15normal_iteratorINS9_10device_ptrIiEEEENSB_INSC_IxEEEESG_xNS9_4plusIvEENS9_8equal_toIvEExEE10hipError_tPvRmT2_T3_T4_T5_mT6_T7_P12ihipStream_tbENKUlT_T0_E_clISt17integral_constantIbLb1EES10_IbLb0EEEEDaSW_SX_EUlSW_E_NS1_11comp_targetILNS1_3genE8ELNS1_11target_archE1030ELNS1_3gpuE2ELNS1_3repE0EEENS1_30default_config_static_selectorELNS0_4arch9wavefront6targetE0EEEvT1_
		.amdhsa_group_segment_fixed_size 0
		.amdhsa_private_segment_fixed_size 0
		.amdhsa_kernarg_size 136
		.amdhsa_user_sgpr_count 2
		.amdhsa_user_sgpr_dispatch_ptr 0
		.amdhsa_user_sgpr_queue_ptr 0
		.amdhsa_user_sgpr_kernarg_segment_ptr 1
		.amdhsa_user_sgpr_dispatch_id 0
		.amdhsa_user_sgpr_kernarg_preload_length 0
		.amdhsa_user_sgpr_kernarg_preload_offset 0
		.amdhsa_user_sgpr_private_segment_size 0
		.amdhsa_wavefront_size32 1
		.amdhsa_uses_dynamic_stack 0
		.amdhsa_enable_private_segment 0
		.amdhsa_system_sgpr_workgroup_id_x 1
		.amdhsa_system_sgpr_workgroup_id_y 0
		.amdhsa_system_sgpr_workgroup_id_z 0
		.amdhsa_system_sgpr_workgroup_info 0
		.amdhsa_system_vgpr_workitem_id 0
		.amdhsa_next_free_vgpr 1
		.amdhsa_next_free_sgpr 1
		.amdhsa_named_barrier_count 0
		.amdhsa_reserve_vcc 0
		.amdhsa_float_round_mode_32 0
		.amdhsa_float_round_mode_16_64 0
		.amdhsa_float_denorm_mode_32 3
		.amdhsa_float_denorm_mode_16_64 3
		.amdhsa_fp16_overflow 0
		.amdhsa_memory_ordered 1
		.amdhsa_forward_progress 1
		.amdhsa_inst_pref_size 0
		.amdhsa_round_robin_scheduling 0
		.amdhsa_exception_fp_ieee_invalid_op 0
		.amdhsa_exception_fp_denorm_src 0
		.amdhsa_exception_fp_ieee_div_zero 0
		.amdhsa_exception_fp_ieee_overflow 0
		.amdhsa_exception_fp_ieee_underflow 0
		.amdhsa_exception_fp_ieee_inexact 0
		.amdhsa_exception_int_div_zero 0
	.end_amdhsa_kernel
	.section	.text._ZN7rocprim17ROCPRIM_400000_NS6detail17trampoline_kernelINS0_14default_configENS1_27scan_by_key_config_selectorIixEEZZNS1_16scan_by_key_implILNS1_25lookback_scan_determinismE0ELb0ES3_N6thrust23THRUST_200600_302600_NS6detail15normal_iteratorINS9_10device_ptrIiEEEENSB_INSC_IxEEEESG_xNS9_4plusIvEENS9_8equal_toIvEExEE10hipError_tPvRmT2_T3_T4_T5_mT6_T7_P12ihipStream_tbENKUlT_T0_E_clISt17integral_constantIbLb1EES10_IbLb0EEEEDaSW_SX_EUlSW_E_NS1_11comp_targetILNS1_3genE8ELNS1_11target_archE1030ELNS1_3gpuE2ELNS1_3repE0EEENS1_30default_config_static_selectorELNS0_4arch9wavefront6targetE0EEEvT1_,"axG",@progbits,_ZN7rocprim17ROCPRIM_400000_NS6detail17trampoline_kernelINS0_14default_configENS1_27scan_by_key_config_selectorIixEEZZNS1_16scan_by_key_implILNS1_25lookback_scan_determinismE0ELb0ES3_N6thrust23THRUST_200600_302600_NS6detail15normal_iteratorINS9_10device_ptrIiEEEENSB_INSC_IxEEEESG_xNS9_4plusIvEENS9_8equal_toIvEExEE10hipError_tPvRmT2_T3_T4_T5_mT6_T7_P12ihipStream_tbENKUlT_T0_E_clISt17integral_constantIbLb1EES10_IbLb0EEEEDaSW_SX_EUlSW_E_NS1_11comp_targetILNS1_3genE8ELNS1_11target_archE1030ELNS1_3gpuE2ELNS1_3repE0EEENS1_30default_config_static_selectorELNS0_4arch9wavefront6targetE0EEEvT1_,comdat
.Lfunc_end1339:
	.size	_ZN7rocprim17ROCPRIM_400000_NS6detail17trampoline_kernelINS0_14default_configENS1_27scan_by_key_config_selectorIixEEZZNS1_16scan_by_key_implILNS1_25lookback_scan_determinismE0ELb0ES3_N6thrust23THRUST_200600_302600_NS6detail15normal_iteratorINS9_10device_ptrIiEEEENSB_INSC_IxEEEESG_xNS9_4plusIvEENS9_8equal_toIvEExEE10hipError_tPvRmT2_T3_T4_T5_mT6_T7_P12ihipStream_tbENKUlT_T0_E_clISt17integral_constantIbLb1EES10_IbLb0EEEEDaSW_SX_EUlSW_E_NS1_11comp_targetILNS1_3genE8ELNS1_11target_archE1030ELNS1_3gpuE2ELNS1_3repE0EEENS1_30default_config_static_selectorELNS0_4arch9wavefront6targetE0EEEvT1_, .Lfunc_end1339-_ZN7rocprim17ROCPRIM_400000_NS6detail17trampoline_kernelINS0_14default_configENS1_27scan_by_key_config_selectorIixEEZZNS1_16scan_by_key_implILNS1_25lookback_scan_determinismE0ELb0ES3_N6thrust23THRUST_200600_302600_NS6detail15normal_iteratorINS9_10device_ptrIiEEEENSB_INSC_IxEEEESG_xNS9_4plusIvEENS9_8equal_toIvEExEE10hipError_tPvRmT2_T3_T4_T5_mT6_T7_P12ihipStream_tbENKUlT_T0_E_clISt17integral_constantIbLb1EES10_IbLb0EEEEDaSW_SX_EUlSW_E_NS1_11comp_targetILNS1_3genE8ELNS1_11target_archE1030ELNS1_3gpuE2ELNS1_3repE0EEENS1_30default_config_static_selectorELNS0_4arch9wavefront6targetE0EEEvT1_
                                        ; -- End function
	.set _ZN7rocprim17ROCPRIM_400000_NS6detail17trampoline_kernelINS0_14default_configENS1_27scan_by_key_config_selectorIixEEZZNS1_16scan_by_key_implILNS1_25lookback_scan_determinismE0ELb0ES3_N6thrust23THRUST_200600_302600_NS6detail15normal_iteratorINS9_10device_ptrIiEEEENSB_INSC_IxEEEESG_xNS9_4plusIvEENS9_8equal_toIvEExEE10hipError_tPvRmT2_T3_T4_T5_mT6_T7_P12ihipStream_tbENKUlT_T0_E_clISt17integral_constantIbLb1EES10_IbLb0EEEEDaSW_SX_EUlSW_E_NS1_11comp_targetILNS1_3genE8ELNS1_11target_archE1030ELNS1_3gpuE2ELNS1_3repE0EEENS1_30default_config_static_selectorELNS0_4arch9wavefront6targetE0EEEvT1_.num_vgpr, 0
	.set _ZN7rocprim17ROCPRIM_400000_NS6detail17trampoline_kernelINS0_14default_configENS1_27scan_by_key_config_selectorIixEEZZNS1_16scan_by_key_implILNS1_25lookback_scan_determinismE0ELb0ES3_N6thrust23THRUST_200600_302600_NS6detail15normal_iteratorINS9_10device_ptrIiEEEENSB_INSC_IxEEEESG_xNS9_4plusIvEENS9_8equal_toIvEExEE10hipError_tPvRmT2_T3_T4_T5_mT6_T7_P12ihipStream_tbENKUlT_T0_E_clISt17integral_constantIbLb1EES10_IbLb0EEEEDaSW_SX_EUlSW_E_NS1_11comp_targetILNS1_3genE8ELNS1_11target_archE1030ELNS1_3gpuE2ELNS1_3repE0EEENS1_30default_config_static_selectorELNS0_4arch9wavefront6targetE0EEEvT1_.num_agpr, 0
	.set _ZN7rocprim17ROCPRIM_400000_NS6detail17trampoline_kernelINS0_14default_configENS1_27scan_by_key_config_selectorIixEEZZNS1_16scan_by_key_implILNS1_25lookback_scan_determinismE0ELb0ES3_N6thrust23THRUST_200600_302600_NS6detail15normal_iteratorINS9_10device_ptrIiEEEENSB_INSC_IxEEEESG_xNS9_4plusIvEENS9_8equal_toIvEExEE10hipError_tPvRmT2_T3_T4_T5_mT6_T7_P12ihipStream_tbENKUlT_T0_E_clISt17integral_constantIbLb1EES10_IbLb0EEEEDaSW_SX_EUlSW_E_NS1_11comp_targetILNS1_3genE8ELNS1_11target_archE1030ELNS1_3gpuE2ELNS1_3repE0EEENS1_30default_config_static_selectorELNS0_4arch9wavefront6targetE0EEEvT1_.numbered_sgpr, 0
	.set _ZN7rocprim17ROCPRIM_400000_NS6detail17trampoline_kernelINS0_14default_configENS1_27scan_by_key_config_selectorIixEEZZNS1_16scan_by_key_implILNS1_25lookback_scan_determinismE0ELb0ES3_N6thrust23THRUST_200600_302600_NS6detail15normal_iteratorINS9_10device_ptrIiEEEENSB_INSC_IxEEEESG_xNS9_4plusIvEENS9_8equal_toIvEExEE10hipError_tPvRmT2_T3_T4_T5_mT6_T7_P12ihipStream_tbENKUlT_T0_E_clISt17integral_constantIbLb1EES10_IbLb0EEEEDaSW_SX_EUlSW_E_NS1_11comp_targetILNS1_3genE8ELNS1_11target_archE1030ELNS1_3gpuE2ELNS1_3repE0EEENS1_30default_config_static_selectorELNS0_4arch9wavefront6targetE0EEEvT1_.num_named_barrier, 0
	.set _ZN7rocprim17ROCPRIM_400000_NS6detail17trampoline_kernelINS0_14default_configENS1_27scan_by_key_config_selectorIixEEZZNS1_16scan_by_key_implILNS1_25lookback_scan_determinismE0ELb0ES3_N6thrust23THRUST_200600_302600_NS6detail15normal_iteratorINS9_10device_ptrIiEEEENSB_INSC_IxEEEESG_xNS9_4plusIvEENS9_8equal_toIvEExEE10hipError_tPvRmT2_T3_T4_T5_mT6_T7_P12ihipStream_tbENKUlT_T0_E_clISt17integral_constantIbLb1EES10_IbLb0EEEEDaSW_SX_EUlSW_E_NS1_11comp_targetILNS1_3genE8ELNS1_11target_archE1030ELNS1_3gpuE2ELNS1_3repE0EEENS1_30default_config_static_selectorELNS0_4arch9wavefront6targetE0EEEvT1_.private_seg_size, 0
	.set _ZN7rocprim17ROCPRIM_400000_NS6detail17trampoline_kernelINS0_14default_configENS1_27scan_by_key_config_selectorIixEEZZNS1_16scan_by_key_implILNS1_25lookback_scan_determinismE0ELb0ES3_N6thrust23THRUST_200600_302600_NS6detail15normal_iteratorINS9_10device_ptrIiEEEENSB_INSC_IxEEEESG_xNS9_4plusIvEENS9_8equal_toIvEExEE10hipError_tPvRmT2_T3_T4_T5_mT6_T7_P12ihipStream_tbENKUlT_T0_E_clISt17integral_constantIbLb1EES10_IbLb0EEEEDaSW_SX_EUlSW_E_NS1_11comp_targetILNS1_3genE8ELNS1_11target_archE1030ELNS1_3gpuE2ELNS1_3repE0EEENS1_30default_config_static_selectorELNS0_4arch9wavefront6targetE0EEEvT1_.uses_vcc, 0
	.set _ZN7rocprim17ROCPRIM_400000_NS6detail17trampoline_kernelINS0_14default_configENS1_27scan_by_key_config_selectorIixEEZZNS1_16scan_by_key_implILNS1_25lookback_scan_determinismE0ELb0ES3_N6thrust23THRUST_200600_302600_NS6detail15normal_iteratorINS9_10device_ptrIiEEEENSB_INSC_IxEEEESG_xNS9_4plusIvEENS9_8equal_toIvEExEE10hipError_tPvRmT2_T3_T4_T5_mT6_T7_P12ihipStream_tbENKUlT_T0_E_clISt17integral_constantIbLb1EES10_IbLb0EEEEDaSW_SX_EUlSW_E_NS1_11comp_targetILNS1_3genE8ELNS1_11target_archE1030ELNS1_3gpuE2ELNS1_3repE0EEENS1_30default_config_static_selectorELNS0_4arch9wavefront6targetE0EEEvT1_.uses_flat_scratch, 0
	.set _ZN7rocprim17ROCPRIM_400000_NS6detail17trampoline_kernelINS0_14default_configENS1_27scan_by_key_config_selectorIixEEZZNS1_16scan_by_key_implILNS1_25lookback_scan_determinismE0ELb0ES3_N6thrust23THRUST_200600_302600_NS6detail15normal_iteratorINS9_10device_ptrIiEEEENSB_INSC_IxEEEESG_xNS9_4plusIvEENS9_8equal_toIvEExEE10hipError_tPvRmT2_T3_T4_T5_mT6_T7_P12ihipStream_tbENKUlT_T0_E_clISt17integral_constantIbLb1EES10_IbLb0EEEEDaSW_SX_EUlSW_E_NS1_11comp_targetILNS1_3genE8ELNS1_11target_archE1030ELNS1_3gpuE2ELNS1_3repE0EEENS1_30default_config_static_selectorELNS0_4arch9wavefront6targetE0EEEvT1_.has_dyn_sized_stack, 0
	.set _ZN7rocprim17ROCPRIM_400000_NS6detail17trampoline_kernelINS0_14default_configENS1_27scan_by_key_config_selectorIixEEZZNS1_16scan_by_key_implILNS1_25lookback_scan_determinismE0ELb0ES3_N6thrust23THRUST_200600_302600_NS6detail15normal_iteratorINS9_10device_ptrIiEEEENSB_INSC_IxEEEESG_xNS9_4plusIvEENS9_8equal_toIvEExEE10hipError_tPvRmT2_T3_T4_T5_mT6_T7_P12ihipStream_tbENKUlT_T0_E_clISt17integral_constantIbLb1EES10_IbLb0EEEEDaSW_SX_EUlSW_E_NS1_11comp_targetILNS1_3genE8ELNS1_11target_archE1030ELNS1_3gpuE2ELNS1_3repE0EEENS1_30default_config_static_selectorELNS0_4arch9wavefront6targetE0EEEvT1_.has_recursion, 0
	.set _ZN7rocprim17ROCPRIM_400000_NS6detail17trampoline_kernelINS0_14default_configENS1_27scan_by_key_config_selectorIixEEZZNS1_16scan_by_key_implILNS1_25lookback_scan_determinismE0ELb0ES3_N6thrust23THRUST_200600_302600_NS6detail15normal_iteratorINS9_10device_ptrIiEEEENSB_INSC_IxEEEESG_xNS9_4plusIvEENS9_8equal_toIvEExEE10hipError_tPvRmT2_T3_T4_T5_mT6_T7_P12ihipStream_tbENKUlT_T0_E_clISt17integral_constantIbLb1EES10_IbLb0EEEEDaSW_SX_EUlSW_E_NS1_11comp_targetILNS1_3genE8ELNS1_11target_archE1030ELNS1_3gpuE2ELNS1_3repE0EEENS1_30default_config_static_selectorELNS0_4arch9wavefront6targetE0EEEvT1_.has_indirect_call, 0
	.section	.AMDGPU.csdata,"",@progbits
; Kernel info:
; codeLenInByte = 0
; TotalNumSgprs: 0
; NumVgprs: 0
; ScratchSize: 0
; MemoryBound: 0
; FloatMode: 240
; IeeeMode: 1
; LDSByteSize: 0 bytes/workgroup (compile time only)
; SGPRBlocks: 0
; VGPRBlocks: 0
; NumSGPRsForWavesPerEU: 1
; NumVGPRsForWavesPerEU: 1
; NamedBarCnt: 0
; Occupancy: 16
; WaveLimiterHint : 0
; COMPUTE_PGM_RSRC2:SCRATCH_EN: 0
; COMPUTE_PGM_RSRC2:USER_SGPR: 2
; COMPUTE_PGM_RSRC2:TRAP_HANDLER: 0
; COMPUTE_PGM_RSRC2:TGID_X_EN: 1
; COMPUTE_PGM_RSRC2:TGID_Y_EN: 0
; COMPUTE_PGM_RSRC2:TGID_Z_EN: 0
; COMPUTE_PGM_RSRC2:TIDIG_COMP_CNT: 0
	.section	.text._ZN7rocprim17ROCPRIM_400000_NS6detail30init_device_scan_by_key_kernelINS1_19lookback_scan_stateINS0_5tupleIJxbEEELb0ELb0EEEN6thrust23THRUST_200600_302600_NS6detail15normal_iteratorINS8_10device_ptrIiEEEEjNS1_16block_id_wrapperIjLb1EEEEEvT_jjPNSG_10value_typeET0_PNSt15iterator_traitsISJ_E10value_typeEmT1_T2_,"axG",@progbits,_ZN7rocprim17ROCPRIM_400000_NS6detail30init_device_scan_by_key_kernelINS1_19lookback_scan_stateINS0_5tupleIJxbEEELb0ELb0EEEN6thrust23THRUST_200600_302600_NS6detail15normal_iteratorINS8_10device_ptrIiEEEEjNS1_16block_id_wrapperIjLb1EEEEEvT_jjPNSG_10value_typeET0_PNSt15iterator_traitsISJ_E10value_typeEmT1_T2_,comdat
	.protected	_ZN7rocprim17ROCPRIM_400000_NS6detail30init_device_scan_by_key_kernelINS1_19lookback_scan_stateINS0_5tupleIJxbEEELb0ELb0EEEN6thrust23THRUST_200600_302600_NS6detail15normal_iteratorINS8_10device_ptrIiEEEEjNS1_16block_id_wrapperIjLb1EEEEEvT_jjPNSG_10value_typeET0_PNSt15iterator_traitsISJ_E10value_typeEmT1_T2_ ; -- Begin function _ZN7rocprim17ROCPRIM_400000_NS6detail30init_device_scan_by_key_kernelINS1_19lookback_scan_stateINS0_5tupleIJxbEEELb0ELb0EEEN6thrust23THRUST_200600_302600_NS6detail15normal_iteratorINS8_10device_ptrIiEEEEjNS1_16block_id_wrapperIjLb1EEEEEvT_jjPNSG_10value_typeET0_PNSt15iterator_traitsISJ_E10value_typeEmT1_T2_
	.globl	_ZN7rocprim17ROCPRIM_400000_NS6detail30init_device_scan_by_key_kernelINS1_19lookback_scan_stateINS0_5tupleIJxbEEELb0ELb0EEEN6thrust23THRUST_200600_302600_NS6detail15normal_iteratorINS8_10device_ptrIiEEEEjNS1_16block_id_wrapperIjLb1EEEEEvT_jjPNSG_10value_typeET0_PNSt15iterator_traitsISJ_E10value_typeEmT1_T2_
	.p2align	8
	.type	_ZN7rocprim17ROCPRIM_400000_NS6detail30init_device_scan_by_key_kernelINS1_19lookback_scan_stateINS0_5tupleIJxbEEELb0ELb0EEEN6thrust23THRUST_200600_302600_NS6detail15normal_iteratorINS8_10device_ptrIiEEEEjNS1_16block_id_wrapperIjLb1EEEEEvT_jjPNSG_10value_typeET0_PNSt15iterator_traitsISJ_E10value_typeEmT1_T2_,@function
_ZN7rocprim17ROCPRIM_400000_NS6detail30init_device_scan_by_key_kernelINS1_19lookback_scan_stateINS0_5tupleIJxbEEELb0ELb0EEEN6thrust23THRUST_200600_302600_NS6detail15normal_iteratorINS8_10device_ptrIiEEEEjNS1_16block_id_wrapperIjLb1EEEEEvT_jjPNSG_10value_typeET0_PNSt15iterator_traitsISJ_E10value_typeEmT1_T2_: ; @_ZN7rocprim17ROCPRIM_400000_NS6detail30init_device_scan_by_key_kernelINS1_19lookback_scan_stateINS0_5tupleIJxbEEELb0ELb0EEEN6thrust23THRUST_200600_302600_NS6detail15normal_iteratorINS8_10device_ptrIiEEEEjNS1_16block_id_wrapperIjLb1EEEEEvT_jjPNSG_10value_typeET0_PNSt15iterator_traitsISJ_E10value_typeEmT1_T2_
; %bb.0:
	s_clause 0x2
	s_load_b32 s2, s[0:1], 0x5c
	s_load_b32 s18, s[0:1], 0x50
	s_load_b256 s[4:11], s[0:1], 0x10
	s_bfe_u32 s3, ttmp6, 0x4000c
	s_and_b32 s12, ttmp6, 15
	s_add_co_i32 s3, s3, 1
	s_getreg_b32 s13, hwreg(HW_REG_IB_STS2, 6, 4)
	s_mul_i32 s3, ttmp9, s3
	s_delay_alu instid0(SALU_CYCLE_1)
	s_add_co_i32 s12, s12, s3
	s_wait_kmcnt 0x0
	s_and_b32 s19, s2, 0xffff
	s_cmp_eq_u32 s13, 0
	s_cselect_b32 s2, ttmp9, s12
	s_cmp_eq_u64 s[8:9], 0
	v_mad_u32 v0, s2, s19, v0
	s_cbranch_scc1 .LBB1340_7
; %bb.1:
	s_cmp_lt_u32 s7, s6
	s_mov_b32 s20, exec_lo
	s_cselect_b32 s2, s7, 0
	s_delay_alu instid0(VALU_DEP_1) | instid1(SALU_CYCLE_1)
	v_cmpx_eq_u32_e64 s2, v0
	s_cbranch_execz .LBB1340_6
; %bb.2:
	s_add_co_i32 s2, s7, 32
	s_load_b128 s[12:15], s[0:1], 0x0
	v_mov_b32_e32 v1, s2
	s_mov_b32 s3, 0
	global_load_u8 v1, v1, s[4:5] scope:SCOPE_DEV
	s_wait_loadcnt 0x0
	v_and_b32_e32 v2, 0xffff, v1
	v_readfirstlane_b32 s7, v1
	s_delay_alu instid0(VALU_DEP_2)
	v_cmp_ne_u32_e32 vcc_lo, 0, v2
	s_cbranch_vccnz .LBB1340_5
; %bb.3:
	v_mov_b32_e32 v1, 0
	s_add_nc_u64 s[16:17], s[4:5], s[2:3]
.LBB1340_4:                             ; =>This Inner Loop Header: Depth=1
	global_load_u8 v2, v1, s[16:17] scope:SCOPE_DEV
	s_wait_loadcnt 0x0
	v_and_b32_e32 v3, 0xffff, v2
	v_readfirstlane_b32 s7, v2
	s_delay_alu instid0(VALU_DEP_2)
	v_cmp_eq_u32_e32 vcc_lo, 0, v3
	s_cbranch_vccnz .LBB1340_4
.LBB1340_5:
	s_and_b32 s7, 0xffff, s7
	v_mov_b32_e32 v1, 0
	s_cmp_eq_u32 s7, 1
	global_wb scope:SCOPE_DEV
	s_wait_storecnt 0x0
	global_inv scope:SCOPE_DEV
	s_wait_kmcnt 0x0
	s_cselect_b32 s13, s13, s15
	s_cselect_b32 s12, s12, s14
	s_lshl_b64 s[2:3], s[2:3], 4
	s_delay_alu instid0(SALU_CYCLE_1)
	s_add_nc_u64 s[2:3], s[12:13], s[2:3]
	s_clause 0x1
	global_load_b64 v[2:3], v1, s[2:3]
	global_load_u8 v4, v1, s[2:3] offset:8
	s_wait_loadcnt 0x1
	global_store_b64 v1, v[2:3], s[8:9]
	s_wait_loadcnt 0x0
	global_store_b8 v1, v4, s[8:9] offset:8
.LBB1340_6:
	s_wait_xcnt 0x0
	s_or_b32 exec_lo, exec_lo, s20
.LBB1340_7:
	s_delay_alu instid0(SALU_CYCLE_1) | instskip(NEXT) | instid1(VALU_DEP_1)
	s_mov_b32 s2, exec_lo
	v_cmpx_eq_u32_e32 0, v0
	s_cbranch_execz .LBB1340_9
; %bb.8:
	s_load_b64 s[8:9], s[0:1], 0x48
	v_mov_b32_e32 v1, 0
	s_wait_kmcnt 0x0
	global_store_b32 v1, v1, s[8:9]
.LBB1340_9:
	s_wait_xcnt 0x0
	s_or_b32 exec_lo, exec_lo, s2
	s_delay_alu instid0(SALU_CYCLE_1)
	s_mov_b32 s2, exec_lo
	v_cmpx_gt_u32_e64 s6, v0
	s_cbranch_execz .LBB1340_11
; %bb.10:
	v_dual_mov_b32 v2, 0 :: v_dual_add_nc_u32 v1, 32, v0
	global_store_b8 v1, v2, s[4:5]
.LBB1340_11:
	s_wait_xcnt 0x0
	s_or_b32 exec_lo, exec_lo, s2
	v_mov_b32_e32 v1, 0
	s_mov_b32 s2, exec_lo
	v_cmpx_gt_u32_e32 32, v0
	s_cbranch_execz .LBB1340_13
; %bb.12:
	s_delay_alu instid0(VALU_DEP_2)
	v_add_nc_u64_e32 v[2:3], s[4:5], v[0:1]
	v_mov_b32_e32 v4, 0xff
	global_store_b8 v[2:3], v4, off
.LBB1340_13:
	s_wait_xcnt 0x0
	s_or_b32 exec_lo, exec_lo, s2
	s_load_b64 s[2:3], s[0:1], 0x38
	s_mov_b32 s4, exec_lo
	s_wait_kmcnt 0x0
	v_cmpx_gt_u64_e64 s[2:3], v[0:1]
	s_cbranch_execz .LBB1340_16
; %bb.14:
	s_clause 0x1
	s_load_b32 s4, s[0:1], 0x40
	s_load_b64 s[6:7], s[0:1], 0x30
	s_mov_b32 s5, 0
	s_wait_xcnt 0x0
	s_mul_i32 s0, s18, s19
	s_mov_b32 s9, s5
	s_mov_b32 s1, s5
	s_wait_kmcnt 0x0
	v_mul_u64_e32 v[2:3], s[4:5], v[0:1]
	s_add_co_i32 s8, s4, -1
	v_lshl_add_u64 v[4:5], v[0:1], 2, s[6:7]
	s_lshl_b64 s[8:9], s[8:9], 2
	s_delay_alu instid0(SALU_CYCLE_1) | instskip(SKIP_1) | instid1(SALU_CYCLE_1)
	s_add_nc_u64 s[8:9], s[10:11], s[8:9]
	s_mul_u64 s[10:11], s[4:5], s[0:1]
	s_lshl_b64 s[6:7], s[10:11], 2
	s_delay_alu instid0(VALU_DEP_2)
	v_lshl_add_u64 v[2:3], v[2:3], 2, s[8:9]
	s_lshl_b64 s[8:9], s[0:1], 2
.LBB1340_15:                            ; =>This Inner Loop Header: Depth=1
	global_load_b32 v6, v[2:3], off
	v_add_nc_u64_e32 v[0:1], s[0:1], v[0:1]
	s_wait_xcnt 0x0
	v_add_nc_u64_e32 v[2:3], s[6:7], v[2:3]
	s_delay_alu instid0(VALU_DEP_2)
	v_cmp_le_u64_e32 vcc_lo, s[2:3], v[0:1]
	s_or_b32 s5, vcc_lo, s5
	s_wait_loadcnt 0x0
	global_store_b32 v[4:5], v6, off
	s_wait_xcnt 0x0
	v_add_nc_u64_e32 v[4:5], s[8:9], v[4:5]
	s_and_not1_b32 exec_lo, exec_lo, s5
	s_cbranch_execnz .LBB1340_15
.LBB1340_16:
	s_endpgm
	.section	.rodata,"a",@progbits
	.p2align	6, 0x0
	.amdhsa_kernel _ZN7rocprim17ROCPRIM_400000_NS6detail30init_device_scan_by_key_kernelINS1_19lookback_scan_stateINS0_5tupleIJxbEEELb0ELb0EEEN6thrust23THRUST_200600_302600_NS6detail15normal_iteratorINS8_10device_ptrIiEEEEjNS1_16block_id_wrapperIjLb1EEEEEvT_jjPNSG_10value_typeET0_PNSt15iterator_traitsISJ_E10value_typeEmT1_T2_
		.amdhsa_group_segment_fixed_size 0
		.amdhsa_private_segment_fixed_size 0
		.amdhsa_kernarg_size 336
		.amdhsa_user_sgpr_count 2
		.amdhsa_user_sgpr_dispatch_ptr 0
		.amdhsa_user_sgpr_queue_ptr 0
		.amdhsa_user_sgpr_kernarg_segment_ptr 1
		.amdhsa_user_sgpr_dispatch_id 0
		.amdhsa_user_sgpr_kernarg_preload_length 0
		.amdhsa_user_sgpr_kernarg_preload_offset 0
		.amdhsa_user_sgpr_private_segment_size 0
		.amdhsa_wavefront_size32 1
		.amdhsa_uses_dynamic_stack 0
		.amdhsa_enable_private_segment 0
		.amdhsa_system_sgpr_workgroup_id_x 1
		.amdhsa_system_sgpr_workgroup_id_y 0
		.amdhsa_system_sgpr_workgroup_id_z 0
		.amdhsa_system_sgpr_workgroup_info 0
		.amdhsa_system_vgpr_workitem_id 0
		.amdhsa_next_free_vgpr 7
		.amdhsa_next_free_sgpr 21
		.amdhsa_named_barrier_count 0
		.amdhsa_reserve_vcc 1
		.amdhsa_float_round_mode_32 0
		.amdhsa_float_round_mode_16_64 0
		.amdhsa_float_denorm_mode_32 3
		.amdhsa_float_denorm_mode_16_64 3
		.amdhsa_fp16_overflow 0
		.amdhsa_memory_ordered 1
		.amdhsa_forward_progress 1
		.amdhsa_inst_pref_size 6
		.amdhsa_round_robin_scheduling 0
		.amdhsa_exception_fp_ieee_invalid_op 0
		.amdhsa_exception_fp_denorm_src 0
		.amdhsa_exception_fp_ieee_div_zero 0
		.amdhsa_exception_fp_ieee_overflow 0
		.amdhsa_exception_fp_ieee_underflow 0
		.amdhsa_exception_fp_ieee_inexact 0
		.amdhsa_exception_int_div_zero 0
	.end_amdhsa_kernel
	.section	.text._ZN7rocprim17ROCPRIM_400000_NS6detail30init_device_scan_by_key_kernelINS1_19lookback_scan_stateINS0_5tupleIJxbEEELb0ELb0EEEN6thrust23THRUST_200600_302600_NS6detail15normal_iteratorINS8_10device_ptrIiEEEEjNS1_16block_id_wrapperIjLb1EEEEEvT_jjPNSG_10value_typeET0_PNSt15iterator_traitsISJ_E10value_typeEmT1_T2_,"axG",@progbits,_ZN7rocprim17ROCPRIM_400000_NS6detail30init_device_scan_by_key_kernelINS1_19lookback_scan_stateINS0_5tupleIJxbEEELb0ELb0EEEN6thrust23THRUST_200600_302600_NS6detail15normal_iteratorINS8_10device_ptrIiEEEEjNS1_16block_id_wrapperIjLb1EEEEEvT_jjPNSG_10value_typeET0_PNSt15iterator_traitsISJ_E10value_typeEmT1_T2_,comdat
.Lfunc_end1340:
	.size	_ZN7rocprim17ROCPRIM_400000_NS6detail30init_device_scan_by_key_kernelINS1_19lookback_scan_stateINS0_5tupleIJxbEEELb0ELb0EEEN6thrust23THRUST_200600_302600_NS6detail15normal_iteratorINS8_10device_ptrIiEEEEjNS1_16block_id_wrapperIjLb1EEEEEvT_jjPNSG_10value_typeET0_PNSt15iterator_traitsISJ_E10value_typeEmT1_T2_, .Lfunc_end1340-_ZN7rocprim17ROCPRIM_400000_NS6detail30init_device_scan_by_key_kernelINS1_19lookback_scan_stateINS0_5tupleIJxbEEELb0ELb0EEEN6thrust23THRUST_200600_302600_NS6detail15normal_iteratorINS8_10device_ptrIiEEEEjNS1_16block_id_wrapperIjLb1EEEEEvT_jjPNSG_10value_typeET0_PNSt15iterator_traitsISJ_E10value_typeEmT1_T2_
                                        ; -- End function
	.set _ZN7rocprim17ROCPRIM_400000_NS6detail30init_device_scan_by_key_kernelINS1_19lookback_scan_stateINS0_5tupleIJxbEEELb0ELb0EEEN6thrust23THRUST_200600_302600_NS6detail15normal_iteratorINS8_10device_ptrIiEEEEjNS1_16block_id_wrapperIjLb1EEEEEvT_jjPNSG_10value_typeET0_PNSt15iterator_traitsISJ_E10value_typeEmT1_T2_.num_vgpr, 7
	.set _ZN7rocprim17ROCPRIM_400000_NS6detail30init_device_scan_by_key_kernelINS1_19lookback_scan_stateINS0_5tupleIJxbEEELb0ELb0EEEN6thrust23THRUST_200600_302600_NS6detail15normal_iteratorINS8_10device_ptrIiEEEEjNS1_16block_id_wrapperIjLb1EEEEEvT_jjPNSG_10value_typeET0_PNSt15iterator_traitsISJ_E10value_typeEmT1_T2_.num_agpr, 0
	.set _ZN7rocprim17ROCPRIM_400000_NS6detail30init_device_scan_by_key_kernelINS1_19lookback_scan_stateINS0_5tupleIJxbEEELb0ELb0EEEN6thrust23THRUST_200600_302600_NS6detail15normal_iteratorINS8_10device_ptrIiEEEEjNS1_16block_id_wrapperIjLb1EEEEEvT_jjPNSG_10value_typeET0_PNSt15iterator_traitsISJ_E10value_typeEmT1_T2_.numbered_sgpr, 21
	.set _ZN7rocprim17ROCPRIM_400000_NS6detail30init_device_scan_by_key_kernelINS1_19lookback_scan_stateINS0_5tupleIJxbEEELb0ELb0EEEN6thrust23THRUST_200600_302600_NS6detail15normal_iteratorINS8_10device_ptrIiEEEEjNS1_16block_id_wrapperIjLb1EEEEEvT_jjPNSG_10value_typeET0_PNSt15iterator_traitsISJ_E10value_typeEmT1_T2_.num_named_barrier, 0
	.set _ZN7rocprim17ROCPRIM_400000_NS6detail30init_device_scan_by_key_kernelINS1_19lookback_scan_stateINS0_5tupleIJxbEEELb0ELb0EEEN6thrust23THRUST_200600_302600_NS6detail15normal_iteratorINS8_10device_ptrIiEEEEjNS1_16block_id_wrapperIjLb1EEEEEvT_jjPNSG_10value_typeET0_PNSt15iterator_traitsISJ_E10value_typeEmT1_T2_.private_seg_size, 0
	.set _ZN7rocprim17ROCPRIM_400000_NS6detail30init_device_scan_by_key_kernelINS1_19lookback_scan_stateINS0_5tupleIJxbEEELb0ELb0EEEN6thrust23THRUST_200600_302600_NS6detail15normal_iteratorINS8_10device_ptrIiEEEEjNS1_16block_id_wrapperIjLb1EEEEEvT_jjPNSG_10value_typeET0_PNSt15iterator_traitsISJ_E10value_typeEmT1_T2_.uses_vcc, 1
	.set _ZN7rocprim17ROCPRIM_400000_NS6detail30init_device_scan_by_key_kernelINS1_19lookback_scan_stateINS0_5tupleIJxbEEELb0ELb0EEEN6thrust23THRUST_200600_302600_NS6detail15normal_iteratorINS8_10device_ptrIiEEEEjNS1_16block_id_wrapperIjLb1EEEEEvT_jjPNSG_10value_typeET0_PNSt15iterator_traitsISJ_E10value_typeEmT1_T2_.uses_flat_scratch, 0
	.set _ZN7rocprim17ROCPRIM_400000_NS6detail30init_device_scan_by_key_kernelINS1_19lookback_scan_stateINS0_5tupleIJxbEEELb0ELb0EEEN6thrust23THRUST_200600_302600_NS6detail15normal_iteratorINS8_10device_ptrIiEEEEjNS1_16block_id_wrapperIjLb1EEEEEvT_jjPNSG_10value_typeET0_PNSt15iterator_traitsISJ_E10value_typeEmT1_T2_.has_dyn_sized_stack, 0
	.set _ZN7rocprim17ROCPRIM_400000_NS6detail30init_device_scan_by_key_kernelINS1_19lookback_scan_stateINS0_5tupleIJxbEEELb0ELb0EEEN6thrust23THRUST_200600_302600_NS6detail15normal_iteratorINS8_10device_ptrIiEEEEjNS1_16block_id_wrapperIjLb1EEEEEvT_jjPNSG_10value_typeET0_PNSt15iterator_traitsISJ_E10value_typeEmT1_T2_.has_recursion, 0
	.set _ZN7rocprim17ROCPRIM_400000_NS6detail30init_device_scan_by_key_kernelINS1_19lookback_scan_stateINS0_5tupleIJxbEEELb0ELb0EEEN6thrust23THRUST_200600_302600_NS6detail15normal_iteratorINS8_10device_ptrIiEEEEjNS1_16block_id_wrapperIjLb1EEEEEvT_jjPNSG_10value_typeET0_PNSt15iterator_traitsISJ_E10value_typeEmT1_T2_.has_indirect_call, 0
	.section	.AMDGPU.csdata,"",@progbits
; Kernel info:
; codeLenInByte = 716
; TotalNumSgprs: 23
; NumVgprs: 7
; ScratchSize: 0
; MemoryBound: 0
; FloatMode: 240
; IeeeMode: 1
; LDSByteSize: 0 bytes/workgroup (compile time only)
; SGPRBlocks: 0
; VGPRBlocks: 0
; NumSGPRsForWavesPerEU: 23
; NumVGPRsForWavesPerEU: 7
; NamedBarCnt: 0
; Occupancy: 16
; WaveLimiterHint : 0
; COMPUTE_PGM_RSRC2:SCRATCH_EN: 0
; COMPUTE_PGM_RSRC2:USER_SGPR: 2
; COMPUTE_PGM_RSRC2:TRAP_HANDLER: 0
; COMPUTE_PGM_RSRC2:TGID_X_EN: 1
; COMPUTE_PGM_RSRC2:TGID_Y_EN: 0
; COMPUTE_PGM_RSRC2:TGID_Z_EN: 0
; COMPUTE_PGM_RSRC2:TIDIG_COMP_CNT: 0
	.section	.text._ZN7rocprim17ROCPRIM_400000_NS6detail17trampoline_kernelINS0_14default_configENS1_27scan_by_key_config_selectorIixEEZZNS1_16scan_by_key_implILNS1_25lookback_scan_determinismE0ELb0ES3_N6thrust23THRUST_200600_302600_NS6detail15normal_iteratorINS9_10device_ptrIiEEEENSB_INSC_IxEEEESG_xNS9_4plusIvEENS9_8equal_toIvEExEE10hipError_tPvRmT2_T3_T4_T5_mT6_T7_P12ihipStream_tbENKUlT_T0_E_clISt17integral_constantIbLb0EES10_IbLb1EEEEDaSW_SX_EUlSW_E_NS1_11comp_targetILNS1_3genE0ELNS1_11target_archE4294967295ELNS1_3gpuE0ELNS1_3repE0EEENS1_30default_config_static_selectorELNS0_4arch9wavefront6targetE0EEEvT1_,"axG",@progbits,_ZN7rocprim17ROCPRIM_400000_NS6detail17trampoline_kernelINS0_14default_configENS1_27scan_by_key_config_selectorIixEEZZNS1_16scan_by_key_implILNS1_25lookback_scan_determinismE0ELb0ES3_N6thrust23THRUST_200600_302600_NS6detail15normal_iteratorINS9_10device_ptrIiEEEENSB_INSC_IxEEEESG_xNS9_4plusIvEENS9_8equal_toIvEExEE10hipError_tPvRmT2_T3_T4_T5_mT6_T7_P12ihipStream_tbENKUlT_T0_E_clISt17integral_constantIbLb0EES10_IbLb1EEEEDaSW_SX_EUlSW_E_NS1_11comp_targetILNS1_3genE0ELNS1_11target_archE4294967295ELNS1_3gpuE0ELNS1_3repE0EEENS1_30default_config_static_selectorELNS0_4arch9wavefront6targetE0EEEvT1_,comdat
	.protected	_ZN7rocprim17ROCPRIM_400000_NS6detail17trampoline_kernelINS0_14default_configENS1_27scan_by_key_config_selectorIixEEZZNS1_16scan_by_key_implILNS1_25lookback_scan_determinismE0ELb0ES3_N6thrust23THRUST_200600_302600_NS6detail15normal_iteratorINS9_10device_ptrIiEEEENSB_INSC_IxEEEESG_xNS9_4plusIvEENS9_8equal_toIvEExEE10hipError_tPvRmT2_T3_T4_T5_mT6_T7_P12ihipStream_tbENKUlT_T0_E_clISt17integral_constantIbLb0EES10_IbLb1EEEEDaSW_SX_EUlSW_E_NS1_11comp_targetILNS1_3genE0ELNS1_11target_archE4294967295ELNS1_3gpuE0ELNS1_3repE0EEENS1_30default_config_static_selectorELNS0_4arch9wavefront6targetE0EEEvT1_ ; -- Begin function _ZN7rocprim17ROCPRIM_400000_NS6detail17trampoline_kernelINS0_14default_configENS1_27scan_by_key_config_selectorIixEEZZNS1_16scan_by_key_implILNS1_25lookback_scan_determinismE0ELb0ES3_N6thrust23THRUST_200600_302600_NS6detail15normal_iteratorINS9_10device_ptrIiEEEENSB_INSC_IxEEEESG_xNS9_4plusIvEENS9_8equal_toIvEExEE10hipError_tPvRmT2_T3_T4_T5_mT6_T7_P12ihipStream_tbENKUlT_T0_E_clISt17integral_constantIbLb0EES10_IbLb1EEEEDaSW_SX_EUlSW_E_NS1_11comp_targetILNS1_3genE0ELNS1_11target_archE4294967295ELNS1_3gpuE0ELNS1_3repE0EEENS1_30default_config_static_selectorELNS0_4arch9wavefront6targetE0EEEvT1_
	.globl	_ZN7rocprim17ROCPRIM_400000_NS6detail17trampoline_kernelINS0_14default_configENS1_27scan_by_key_config_selectorIixEEZZNS1_16scan_by_key_implILNS1_25lookback_scan_determinismE0ELb0ES3_N6thrust23THRUST_200600_302600_NS6detail15normal_iteratorINS9_10device_ptrIiEEEENSB_INSC_IxEEEESG_xNS9_4plusIvEENS9_8equal_toIvEExEE10hipError_tPvRmT2_T3_T4_T5_mT6_T7_P12ihipStream_tbENKUlT_T0_E_clISt17integral_constantIbLb0EES10_IbLb1EEEEDaSW_SX_EUlSW_E_NS1_11comp_targetILNS1_3genE0ELNS1_11target_archE4294967295ELNS1_3gpuE0ELNS1_3repE0EEENS1_30default_config_static_selectorELNS0_4arch9wavefront6targetE0EEEvT1_
	.p2align	8
	.type	_ZN7rocprim17ROCPRIM_400000_NS6detail17trampoline_kernelINS0_14default_configENS1_27scan_by_key_config_selectorIixEEZZNS1_16scan_by_key_implILNS1_25lookback_scan_determinismE0ELb0ES3_N6thrust23THRUST_200600_302600_NS6detail15normal_iteratorINS9_10device_ptrIiEEEENSB_INSC_IxEEEESG_xNS9_4plusIvEENS9_8equal_toIvEExEE10hipError_tPvRmT2_T3_T4_T5_mT6_T7_P12ihipStream_tbENKUlT_T0_E_clISt17integral_constantIbLb0EES10_IbLb1EEEEDaSW_SX_EUlSW_E_NS1_11comp_targetILNS1_3genE0ELNS1_11target_archE4294967295ELNS1_3gpuE0ELNS1_3repE0EEENS1_30default_config_static_selectorELNS0_4arch9wavefront6targetE0EEEvT1_,@function
_ZN7rocprim17ROCPRIM_400000_NS6detail17trampoline_kernelINS0_14default_configENS1_27scan_by_key_config_selectorIixEEZZNS1_16scan_by_key_implILNS1_25lookback_scan_determinismE0ELb0ES3_N6thrust23THRUST_200600_302600_NS6detail15normal_iteratorINS9_10device_ptrIiEEEENSB_INSC_IxEEEESG_xNS9_4plusIvEENS9_8equal_toIvEExEE10hipError_tPvRmT2_T3_T4_T5_mT6_T7_P12ihipStream_tbENKUlT_T0_E_clISt17integral_constantIbLb0EES10_IbLb1EEEEDaSW_SX_EUlSW_E_NS1_11comp_targetILNS1_3genE0ELNS1_11target_archE4294967295ELNS1_3gpuE0ELNS1_3repE0EEENS1_30default_config_static_selectorELNS0_4arch9wavefront6targetE0EEEvT1_: ; @_ZN7rocprim17ROCPRIM_400000_NS6detail17trampoline_kernelINS0_14default_configENS1_27scan_by_key_config_selectorIixEEZZNS1_16scan_by_key_implILNS1_25lookback_scan_determinismE0ELb0ES3_N6thrust23THRUST_200600_302600_NS6detail15normal_iteratorINS9_10device_ptrIiEEEENSB_INSC_IxEEEESG_xNS9_4plusIvEENS9_8equal_toIvEExEE10hipError_tPvRmT2_T3_T4_T5_mT6_T7_P12ihipStream_tbENKUlT_T0_E_clISt17integral_constantIbLb0EES10_IbLb1EEEEDaSW_SX_EUlSW_E_NS1_11comp_targetILNS1_3genE0ELNS1_11target_archE4294967295ELNS1_3gpuE0ELNS1_3repE0EEENS1_30default_config_static_selectorELNS0_4arch9wavefront6targetE0EEEvT1_
; %bb.0:
	s_clause 0x1
	s_load_b256 s[20:27], s[0:1], 0x30
	s_load_b64 s[34:35], s[0:1], 0x50
	v_cmp_ne_u32_e64 s3, 0, v0
	v_cmp_eq_u32_e64 s2, 0, v0
	s_and_saveexec_b32 s4, s2
	s_cbranch_execz .LBB1341_4
; %bb.1:
	s_mov_b32 s6, exec_lo
	s_mov_b32 s5, exec_lo
	v_mbcnt_lo_u32_b32 v1, s6, 0
                                        ; implicit-def: $vgpr2
	s_delay_alu instid0(VALU_DEP_1)
	v_cmpx_eq_u32_e32 0, v1
	s_cbranch_execz .LBB1341_3
; %bb.2:
	s_load_b64 s[8:9], s[0:1], 0x80
	s_bcnt1_i32_b32 s6, s6
	s_delay_alu instid0(SALU_CYCLE_1)
	v_dual_mov_b32 v2, 0 :: v_dual_mov_b32 v3, s6
	s_wait_xcnt 0x0
	s_wait_kmcnt 0x0
	global_atomic_add_u32 v2, v2, v3, s[8:9] th:TH_ATOMIC_RETURN scope:SCOPE_DEV
.LBB1341_3:
	s_wait_xcnt 0x0
	s_or_b32 exec_lo, exec_lo, s5
	s_wait_loadcnt 0x0
	v_readfirstlane_b32 s5, v2
	s_delay_alu instid0(VALU_DEP_1)
	v_dual_mov_b32 v2, 0 :: v_dual_add_nc_u32 v1, s5, v1
	ds_store_b32 v2, v1
.LBB1341_4:
	s_or_b32 exec_lo, exec_lo, s4
	v_mov_b32_e32 v1, 0
	s_clause 0x2
	s_load_b256 s[12:19], s[0:1], 0x0
	s_load_b32 s44, s[0:1], 0x58
	s_load_b256 s[36:43], s[0:1], 0x60
	s_wait_dscnt 0x0
	s_barrier_signal -1
	s_barrier_wait -1
	ds_load_b32 v2, v1
	s_mov_b32 s45, 0
	s_wait_dscnt 0x0
	s_mov_b32 s9, s45
	s_barrier_signal -1
	s_barrier_wait -1
	s_barrier_signal -1
	s_barrier_wait -1
	s_wait_kmcnt 0x0
	s_lshl_b64 s[28:29], s[14:15], 3
	s_mul_u64 s[6:7], s[34:35], s[44:45]
	s_add_nc_u64 s[4:5], s[16:17], s[28:29]
	s_lshl_b64 s[0:1], s[14:15], 2
	s_cmp_lg_u64 s[40:41], 0
	s_add_nc_u64 s[0:1], s[12:13], s[0:1]
	s_cselect_b32 s40, -1, 0
	v_readfirstlane_b32 s44, v2
	s_add_nc_u64 s[16:17], s[6:7], s[44:45]
	s_add_nc_u64 s[6:7], s[36:37], -1
	s_mul_i32 s8, s44, 0x500
	v_cmp_ge_u64_e64 s27, s[16:17], s[6:7]
	s_lshl_b64 s[10:11], s[8:9], 2
	s_lshl_b64 s[30:31], s[8:9], 3
	s_add_nc_u64 s[14:15], s[0:1], s[10:11]
	s_add_nc_u64 s[12:13], s[4:5], s[30:31]
	s_mul_i32 s33, s6, 0xfffffb00
	s_and_b32 vcc_lo, exec_lo, s27
	s_cbranch_vccz .LBB1341_28
; %bb.5:
	flat_load_b32 v1, v1, s[14:15]
	s_add_co_i32 s41, s33, s26
	s_delay_alu instid0(SALU_CYCLE_1)
	v_cmp_gt_u32_e64 s0, s41, v0
	s_wait_loadcnt_dscnt 0x0
	v_mov_b32_e32 v2, v1
	s_and_saveexec_b32 s1, s0
	s_cbranch_execz .LBB1341_7
; %bb.6:
	flat_load_b32 v2, v0, s[14:15] scale_offset
.LBB1341_7:
	s_wait_xcnt 0x0
	s_or_b32 exec_lo, exec_lo, s1
	v_or_b32_e32 v3, 0x80, v0
	s_delay_alu instid0(VALU_DEP_1)
	v_cmp_gt_u32_e64 s1, s41, v3
	v_mov_b32_e32 v3, v1
	s_and_saveexec_b32 s4, s1
	s_cbranch_execz .LBB1341_9
; %bb.8:
	flat_load_b32 v3, v0, s[14:15] offset:512 scale_offset
.LBB1341_9:
	s_wait_xcnt 0x0
	s_or_b32 exec_lo, exec_lo, s4
	v_or_b32_e32 v4, 0x100, v0
	s_delay_alu instid0(VALU_DEP_1)
	v_cmp_gt_u32_e64 s4, s41, v4
	v_mov_b32_e32 v4, v1
	s_and_saveexec_b32 s5, s4
	s_cbranch_execz .LBB1341_11
; %bb.10:
	flat_load_b32 v4, v0, s[14:15] offset:1024 scale_offset
.LBB1341_11:
	;; [unrolled: 11-line block ×8, first 2 shown]
	s_wait_xcnt 0x0
	s_or_b32 exec_lo, exec_lo, s11
	v_or_b32_e32 v11, 0x480, v0
	s_mov_b32 s36, exec_lo
	s_delay_alu instid0(VALU_DEP_1) | instskip(SKIP_2) | instid1(SALU_CYCLE_1)
	v_cmp_gt_u32_e64 s11, s41, v11
	v_cmpx_le_u32_e64 s41, v11
	s_xor_b32 s36, exec_lo, s36
	s_and_not1_saveexec_b32 s36, s36
	s_cbranch_execz .LBB1341_25
; %bb.24:
	flat_load_b32 v1, v0, s[14:15] offset:4608 scale_offset
.LBB1341_25:
	s_wait_xcnt 0x0
	s_or_b32 exec_lo, exec_lo, s36
	v_lshlrev_b32_e32 v11, 2, v0
	s_cmp_eq_u64 s[16:17], 0
	s_mov_b64 s[36:37], s[14:15]
	s_wait_loadcnt_dscnt 0x0
	ds_store_2addr_stride64_b32 v11, v2, v3 offset1:2
	ds_store_2addr_stride64_b32 v11, v4, v5 offset0:4 offset1:6
	ds_store_2addr_stride64_b32 v11, v6, v7 offset0:8 offset1:10
	;; [unrolled: 1-line block ×4, first 2 shown]
	v_mad_u32_u24 v1, v0, 36, v11
	s_wait_dscnt 0x0
	s_barrier_signal -1
	s_barrier_wait -1
	ds_load_2addr_b64 v[36:39], v1 offset1:1
	ds_load_2addr_b32 v[8:9], v1 offset0:1 offset1:2
	ds_load_2addr_b32 v[16:17], v1 offset0:3 offset1:4
	;; [unrolled: 1-line block ×3, first 2 shown]
	ds_load_b32 v48, v1 offset:36
	ds_load_2addr_b32 v[42:43], v1 offset0:5 offset1:6
	s_cbranch_scc1 .LBB1341_31
; %bb.26:
	s_and_not1_b32 vcc_lo, exec_lo, s40
	s_cbranch_vccnz .LBB1341_29
; %bb.27:
	s_lshl_b64 s[36:37], s[16:17], 2
	s_delay_alu instid0(SALU_CYCLE_1) | instskip(NEXT) | instid1(SALU_CYCLE_1)
	s_add_nc_u64 s[36:37], s[42:43], s[36:37]
	s_add_nc_u64 s[36:37], s[36:37], -4
	s_branch .LBB1341_30
.LBB1341_28:
                                        ; implicit-def: $sgpr6
                                        ; implicit-def: $vgpr51
                                        ; implicit-def: $vgpr46
                                        ; implicit-def: $vgpr49
                                        ; implicit-def: $vgpr50
                                        ; implicit-def: $vgpr16_vgpr17
                                        ; implicit-def: $vgpr26_vgpr27
                                        ; implicit-def: $vgpr30_vgpr31
                                        ; implicit-def: $vgpr34_vgpr35
                                        ; implicit-def: $vgpr4_vgpr5
                                        ; implicit-def: $vgpr58
                                        ; implicit-def: $vgpr59
                                        ; implicit-def: $vgpr63
                                        ; implicit-def: $vgpr54
                                        ; implicit-def: $vgpr55
                                        ; implicit-def: $vgpr47
                                        ; implicit-def: $vgpr56
                                        ; implicit-def: $vgpr57
                                        ; implicit-def: $vgpr53
                                        ; implicit-def: $vgpr22_vgpr23
                                        ; implicit-def: $vgpr44_vgpr45
                                        ; implicit-def: $vgpr18_vgpr19
                                        ; implicit-def: $vgpr20_vgpr21
                                        ; implicit-def: $vgpr10_vgpr11
                                        ; implicit-def: $vgpr12_vgpr13
                                        ; implicit-def: $vgpr6_vgpr7
                                        ; implicit-def: $vgpr1
	s_cbranch_execnz .LBB1341_63
	s_branch .LBB1341_80
.LBB1341_29:
	s_add_nc_u64 s[36:37], s[14:15], -4
	s_mov_b32 s45, -1
.LBB1341_30:
	s_delay_alu instid0(SALU_CYCLE_1)
	s_and_not1_b32 vcc_lo, exec_lo, s45
.LBB1341_31:
	v_mov_b32_e32 v2, 0
	v_mad_i32_i24 v1, 0xffffffdc, v0, v1
	flat_load_b32 v60, v2, s[36:37]
	s_wait_dscnt 0x2
	ds_store_b32 v1, v48 offset:5120
	s_wait_loadcnt_dscnt 0x0
	s_barrier_signal -1
	s_barrier_wait -1
	s_and_saveexec_b32 s36, s3
; %bb.32:
	ds_load_b32 v60, v1 offset:5116
; %bb.33:
	s_or_b32 exec_lo, exec_lo, s36
	s_wait_dscnt 0x0
	s_barrier_signal -1
	s_barrier_wait -1
                                        ; implicit-def: $vgpr2_vgpr3
	s_and_saveexec_b32 s36, s0
	s_cbranch_execnz .LBB1341_66
; %bb.34:
	s_or_b32 exec_lo, exec_lo, s36
                                        ; implicit-def: $vgpr4_vgpr5
	s_and_saveexec_b32 s0, s1
	s_cbranch_execnz .LBB1341_67
.LBB1341_35:
	s_or_b32 exec_lo, exec_lo, s0
                                        ; implicit-def: $vgpr6_vgpr7
	s_and_saveexec_b32 s0, s4
	s_cbranch_execnz .LBB1341_68
.LBB1341_36:
	s_or_b32 exec_lo, exec_lo, s0
                                        ; implicit-def: $vgpr10_vgpr11
	s_and_saveexec_b32 s0, s5
	s_cbranch_execnz .LBB1341_69
.LBB1341_37:
	s_or_b32 exec_lo, exec_lo, s0
                                        ; implicit-def: $vgpr12_vgpr13
	s_and_saveexec_b32 s0, s6
	s_cbranch_execnz .LBB1341_70
.LBB1341_38:
	s_or_b32 exec_lo, exec_lo, s0
                                        ; implicit-def: $vgpr14_vgpr15
	s_and_saveexec_b32 s0, s7
	s_cbranch_execnz .LBB1341_71
.LBB1341_39:
	s_or_b32 exec_lo, exec_lo, s0
                                        ; implicit-def: $vgpr18_vgpr19
	s_and_saveexec_b32 s0, s8
	s_cbranch_execnz .LBB1341_72
.LBB1341_40:
	s_or_b32 exec_lo, exec_lo, s0
                                        ; implicit-def: $vgpr20_vgpr21
	s_and_saveexec_b32 s0, s9
	s_cbranch_execnz .LBB1341_73
.LBB1341_41:
	s_or_b32 exec_lo, exec_lo, s0
                                        ; implicit-def: $vgpr22_vgpr23
	s_and_saveexec_b32 s0, s10
	s_cbranch_execnz .LBB1341_74
.LBB1341_42:
	s_or_b32 exec_lo, exec_lo, s0
                                        ; implicit-def: $vgpr24_vgpr25
	s_and_saveexec_b32 s0, s11
	s_cbranch_execz .LBB1341_44
.LBB1341_43:
	flat_load_b64 v[24:25], v0, s[12:13] offset:9216 scale_offset
.LBB1341_44:
	s_wait_xcnt 0x0
	s_or_b32 exec_lo, exec_lo, s0
	v_lshl_add_u32 v61, v0, 2, v1
	v_mul_u32_u24_e32 v52, 10, v0
	v_mov_b64_e32 v[26:27], 0
	v_mov_b64_e32 v[30:31], 0
	;; [unrolled: 1-line block ×3, first 2 shown]
	s_wait_loadcnt_dscnt 0x0
	ds_store_2addr_stride64_b64 v61, v[2:3], v[4:5] offset1:2
	ds_store_2addr_stride64_b64 v61, v[6:7], v[10:11] offset0:4 offset1:6
	ds_store_2addr_stride64_b64 v61, v[12:13], v[14:15] offset0:8 offset1:10
	;; [unrolled: 1-line block ×4, first 2 shown]
	v_mov_b64_e32 v[24:25], 0
	v_mov_b64_e32 v[34:35], 0
	;; [unrolled: 1-line block ×13, first 2 shown]
	v_cmp_gt_u32_e32 vcc_lo, s41, v52
	v_dual_mov_b32 v51, 0 :: v_dual_mov_b32 v46, 0
	v_dual_mov_b32 v49, 0 :: v_dual_mov_b32 v50, 0
	;; [unrolled: 1-line block ×7, first 2 shown]
	s_mov_b32 s5, 0
	s_mov_b32 s45, 0
	s_wait_dscnt 0x0
	s_barrier_signal -1
	s_barrier_wait -1
                                        ; implicit-def: $sgpr6
	s_and_saveexec_b32 s7, vcc_lo
	s_cbranch_execz .LBB1341_62
; %bb.45:
	v_mad_u32_u24 v1, 0x48, v0, v61
	v_dual_mov_b32 v51, 0 :: v_dual_bitop2_b32 v4, 1, v52 bitop3:0x54
	v_mov_b64_e32 v[26:27], 0
	v_mov_b64_e32 v[24:25], 0
	ds_load_b64 v[2:3], v1
	v_cmp_gt_u32_e64 s0, s41, v4
	v_mov_b64_e32 v[30:31], 0
	v_mov_b64_e32 v[28:29], 0
	;; [unrolled: 1-line block ×13, first 2 shown]
	v_dual_mov_b32 v46, 0 :: v_dual_mov_b32 v49, 0
	v_dual_mov_b32 v50, 0 :: v_dual_mov_b32 v59, 0
	;; [unrolled: 1-line block ×5, first 2 shown]
	s_mov_b32 s1, 0
	v_cmp_ne_u32_e32 vcc_lo, v60, v36
                                        ; implicit-def: $sgpr6
	s_and_saveexec_b32 s8, s0
	s_cbranch_execz .LBB1341_61
; %bb.46:
	v_mul_u32_u24_e32 v1, 0x48, v0
	v_cmp_ne_u32_e64 s0, v38, v16
	v_cmp_ne_u32_e64 s4, v37, v9
	v_mov_b64_e32 v[26:27], 0
	v_mov_b64_e32 v[24:25], 0
	v_dual_add_nc_u32 v16, v61, v1 :: v_dual_add_nc_u32 v5, 2, v52
	s_delay_alu instid0(VALU_DEP_4)
	v_cndmask_b32_e64 v4, 0, 1, s4
	v_cmp_ne_u32_e64 s4, v36, v8
	v_mov_b64_e32 v[30:31], 0
	ds_load_2addr_b64 v[6:9], v16 offset0:1 offset1:2
	v_mov_b64_e32 v[28:29], 0
	v_mov_b64_e32 v[34:35], 0
	;; [unrolled: 1-line block ×10, first 2 shown]
	v_cmp_ne_u32_e64 s1, v39, v17
	v_cndmask_b32_e64 v1, 0, 1, s4
	v_lshlrev_b16 v4, 8, v4
	v_cmp_gt_u32_e64 s4, s41, v5
	v_dual_mov_b32 v46, 0 :: v_dual_mov_b32 v49, 0
	v_dual_mov_b32 v50, 0 :: v_dual_mov_b32 v59, 0
	;; [unrolled: 1-line block ×5, first 2 shown]
	s_mov_b32 s10, 0
                                        ; implicit-def: $sgpr6
	s_and_saveexec_b32 s9, s4
	s_cbranch_execz .LBB1341_60
; %bb.47:
	v_cndmask_b32_e64 v5, 0, 1, s1
	v_cndmask_b32_e64 v10, 0, 1, s0
	v_and_b32_e32 v11, 0xffff, v4
	v_mov_b64_e32 v[26:27], 0
	v_mov_b64_e32 v[24:25], 0
	v_lshlrev_b16 v5, 8, v5
	v_mov_b32_e32 v50, 0
	v_mov_b64_e32 v[30:31], 0
	v_mov_b64_e32 v[28:29], 0
	;; [unrolled: 1-line block ×3, first 2 shown]
	v_or_b32_e32 v5, v10, v5
	v_mov_b64_e32 v[14:15], 0
	v_mov_b64_e32 v[22:23], 0
	v_mov_b64_e32 v[44:45], 0
	v_mov_b64_e32 v[18:19], 0
	v_dual_lshlrev_b32 v32, 16, v5 :: v_dual_mov_b32 v54, 0
	v_mov_b64_e32 v[20:21], 0
	v_dual_mov_b32 v49, 0 :: v_dual_add_nc_u32 v12, 3, v52
	s_delay_alu instid0(VALU_DEP_3) | instskip(SKIP_2) | instid1(VALU_DEP_3)
	v_dual_mov_b32 v55, 0 :: v_dual_bitop2_b32 v13, v11, v32 bitop3:0x54
	v_mov_b64_e32 v[10:11], 0
	v_dual_mov_b32 v59, 0 :: v_dual_mov_b32 v63, 0
	v_dual_mov_b32 v53, 0 :: v_dual_lshrrev_b32 v46, 8, v13
	s_mov_b32 s1, 0
	s_mov_b32 s10, exec_lo
                                        ; implicit-def: $sgpr6
	v_cmpx_gt_u32_e64 s41, v12
	s_cbranch_execz .LBB1341_59
; %bb.48:
	ds_load_2addr_b64 v[10:13], v16 offset0:3 offset1:4
	v_dual_add_nc_u32 v14, 4, v52 :: v_dual_mov_b32 v50, 0
	v_mov_b64_e32 v[26:27], 0
	v_mov_b64_e32 v[24:25], 0
	;; [unrolled: 1-line block ×3, first 2 shown]
	s_delay_alu instid0(VALU_DEP_4)
	v_cmp_gt_u32_e64 s0, s41, v14
	v_mov_b64_e32 v[28:29], 0
	v_mov_b64_e32 v[14:15], 0
	;; [unrolled: 1-line block ×6, first 2 shown]
	v_dual_mov_b32 v59, 0 :: v_dual_mov_b32 v63, 0
	v_dual_mov_b32 v54, 0 :: v_dual_mov_b32 v55, 0
                                        ; implicit-def: $sgpr6
	s_and_saveexec_b32 s11, s0
	s_cbranch_execz .LBB1341_58
; %bb.49:
	v_dual_mov_b32 v59, 0 :: v_dual_add_nc_u32 v14, 5, v52
	v_mov_b64_e32 v[26:27], 0
	v_mov_b64_e32 v[24:25], 0
	;; [unrolled: 1-line block ×3, first 2 shown]
	s_delay_alu instid0(VALU_DEP_4)
	v_cmp_gt_u32_e64 s0, s41, v14
	v_mov_b64_e32 v[14:15], 0
	v_mov_b64_e32 v[22:23], 0
	;; [unrolled: 1-line block ×4, first 2 shown]
	v_dual_mov_b32 v63, 0 :: v_dual_mov_b32 v54, 0
	v_mov_b32_e32 v55, 0
                                        ; implicit-def: $sgpr6
	s_and_saveexec_b32 s36, s0
	s_cbranch_execz .LBB1341_57
; %bb.50:
	ds_load_2addr_b64 v[18:21], v16 offset0:5 offset1:6
	v_cmp_ne_u32_e64 s0, v42, v43
	v_dual_add_nc_u32 v15, 6, v52 :: v_dual_mov_b32 v63, 0
	v_cmp_ne_u32_e64 s4, v17, v42
	v_mov_b64_e32 v[26:27], 0
	s_delay_alu instid0(VALU_DEP_4)
	v_cndmask_b32_e64 v14, 0, 1, s0
	v_mov_b64_e32 v[24:25], 0
	v_mov_b64_e32 v[22:23], 0
	v_cndmask_b32_e64 v29, 0, 1, s4
	v_cmp_gt_u32_e64 s4, s41, v15
	v_lshlrev_b16 v28, 8, v14
	v_mov_b64_e32 v[14:15], 0
	v_mov_b64_e32 v[44:45], 0
	v_cmp_ne_u32_e64 s0, v43, v40
	v_cmp_ne_u32_e64 s1, v40, v41
	v_dual_mov_b32 v54, 0 :: v_dual_mov_b32 v55, 0
                                        ; implicit-def: $sgpr6
	s_and_saveexec_b32 s37, s4
	s_cbranch_execz .LBB1341_56
; %bb.51:
	v_cndmask_b32_e64 v14, 0, 1, s1
	v_cndmask_b32_e64 v15, 0, 1, s0
	v_mov_b64_e32 v[22:23], 0
	s_mov_b32 s4, 0
	s_mov_b32 s1, exec_lo
	v_lshlrev_b16 v14, 8, v14
                                        ; implicit-def: $sgpr6
	v_dual_mov_b32 v54, 0 :: v_dual_add_nc_u32 v17, 7, v52
	s_delay_alu instid0(VALU_DEP_2) | instskip(SKIP_1) | instid1(VALU_DEP_2)
	v_dual_mov_b32 v55, 0 :: v_dual_bitop2_b32 v26, v15, v14 bitop3:0x54
	v_and_b32_e32 v14, 0xffff, v28
	v_lshlrev_b32_e32 v27, 16, v26
	s_delay_alu instid0(VALU_DEP_1) | instskip(SKIP_1) | instid1(VALU_DEP_2)
	v_or_b32_e32 v24, v14, v27
	v_mov_b64_e32 v[14:15], 0
	v_lshrrev_b32_e32 v63, 8, v24
	v_cmpx_gt_u32_e64 s41, v17
	s_cbranch_execz .LBB1341_55
; %bb.52:
	ds_load_2addr_b64 v[22:25], v16 offset0:7 offset1:8
	v_mov_b64_e32 v[14:15], 0
	v_dual_add_nc_u32 v17, 8, v52 :: v_dual_mov_b32 v55, 0
	s_mov_b32 s45, exec_lo
                                        ; implicit-def: $sgpr6
	s_delay_alu instid0(VALU_DEP_1)
	v_cmpx_gt_u32_e64 s41, v17
	s_xor_b32 s45, exec_lo, s45
	s_cbranch_execz .LBB1341_54
; %bb.53:
	ds_load_b64 v[16:17], v16 offset:72
	v_dual_add_nc_u32 v14, 9, v52 :: v_dual_lshrrev_b32 v55, 24, v27
	v_cmp_ne_u32_e64 s6, v41, v48
	s_delay_alu instid0(VALU_DEP_2)
	v_cmp_gt_u32_e64 s0, s41, v14
	s_wait_dscnt 0x1
	v_mov_b64_e32 v[14:15], v[24:25]
	s_and_b32 s4, s0, exec_lo
.LBB1341_54:
	s_or_b32 exec_lo, exec_lo, s45
	v_mov_b32_e32 v54, v26
	s_and_b32 s4, s4, exec_lo
.LBB1341_55:
	s_or_b32 exec_lo, exec_lo, s1
	s_wait_dscnt 0x0
	v_mov_b64_e32 v[26:27], v[22:23]
	v_mov_b64_e32 v[24:25], v[20:21]
	;; [unrolled: 1-line block ×3, first 2 shown]
	s_and_b32 s45, s4, exec_lo
.LBB1341_56:
	s_or_b32 exec_lo, exec_lo, s37
	s_wait_dscnt 0x0
	v_mov_b64_e32 v[30:31], v[18:19]
	v_or_b32_e32 v59, v29, v28
	s_and_b32 s1, s45, exec_lo
.LBB1341_57:
	s_or_b32 exec_lo, exec_lo, s36
	s_wait_dscnt 0x0
	v_mov_b64_e32 v[28:29], v[12:13]
	v_mov_b64_e32 v[20:21], v[12:13]
	v_lshrrev_b32_e32 v50, 24, v32
	s_and_b32 s1, s1, exec_lo
.LBB1341_58:
	s_or_b32 exec_lo, exec_lo, s11
	s_wait_dscnt 0x0
	v_mov_b64_e32 v[34:35], v[10:11]
	v_dual_mov_b32 v49, v5 :: v_dual_mov_b32 v53, v50
	s_and_b32 s1, s1, exec_lo
.LBB1341_59:
	s_or_b32 exec_lo, exec_lo, s10
	s_wait_dscnt 0x0
	v_mov_b64_e32 v[32:33], v[8:9]
	v_mov_b64_e32 v[12:13], v[8:9]
	v_dual_mov_b32 v56, v46 :: v_dual_mov_b32 v57, v49
	s_and_b32 s10, s1, exec_lo
.LBB1341_60:
	s_or_b32 exec_lo, exec_lo, s9
	v_or_b32_e32 v51, v1, v4
	s_wait_dscnt 0x0
	v_mov_b64_e32 v[4:5], v[6:7]
	s_and_b32 s1, s10, exec_lo
.LBB1341_61:
	s_or_b32 exec_lo, exec_lo, s8
	v_cndmask_b32_e64 v58, 0, 1, vcc_lo
	v_mov_b32_e32 v47, v51
	s_and_b32 s45, s1, exec_lo
	s_delay_alu instid0(VALU_DEP_2)
	v_mov_b32_e32 v1, v58
.LBB1341_62:
	s_or_b32 exec_lo, exec_lo, s7
	s_delay_alu instid0(SALU_CYCLE_1)
	s_and_b32 vcc_lo, exec_lo, s5
	s_cbranch_vccz .LBB1341_80
.LBB1341_63:
	flat_load_b32 v1, v0, s[14:15] scale_offset
	s_wait_dscnt 0x1
	s_clause 0x8
	flat_load_b32 v2, v0, s[14:15] offset:512 scale_offset
	flat_load_b32 v3, v0, s[14:15] offset:1024 scale_offset
	;; [unrolled: 1-line block ×9, first 2 shown]
	v_lshlrev_b32_e32 v11, 2, v0
	s_cmp_eq_u64 s[16:17], 0
	s_wait_loadcnt_dscnt 0x808
	ds_store_2addr_stride64_b32 v11, v1, v2 offset1:2
	s_wait_loadcnt_dscnt 0x607
	ds_store_2addr_stride64_b32 v11, v3, v4 offset0:4 offset1:6
	s_wait_loadcnt_dscnt 0x406
	ds_store_2addr_stride64_b32 v11, v5, v6 offset0:8 offset1:10
	;; [unrolled: 2-line block ×4, first 2 shown]
	v_mov_b32_e32 v1, 0
	v_mad_u32_u24 v15, v0, 36, v11
	s_wait_dscnt 0x0
	s_barrier_signal -1
	s_barrier_wait -1
	ds_load_2addr_b64 v[6:9], v15 offset1:1
	ds_load_2addr_b32 v[4:5], v15 offset0:1 offset1:2
	ds_load_2addr_b32 v[2:3], v15 offset0:3 offset1:4
	;; [unrolled: 1-line block ×3, first 2 shown]
	ds_load_b32 v14, v15 offset:36
	ds_load_2addr_b32 v[12:13], v15 offset0:5 offset1:6
	s_cbranch_scc1 .LBB1341_77
; %bb.64:
	s_and_not1_b32 vcc_lo, exec_lo, s40
	s_cbranch_vccnz .LBB1341_75
; %bb.65:
	s_lshl_b64 s[0:1], s[16:17], 2
	s_delay_alu instid0(SALU_CYCLE_1) | instskip(NEXT) | instid1(SALU_CYCLE_1)
	s_add_nc_u64 s[0:1], s[42:43], s[0:1]
	s_add_nc_u64 s[14:15], s[0:1], -4
	s_mov_b32 s0, 0
	s_branch .LBB1341_76
.LBB1341_66:
	flat_load_b64 v[2:3], v0, s[12:13] scale_offset
	s_wait_xcnt 0x0
	s_or_b32 exec_lo, exec_lo, s36
                                        ; implicit-def: $vgpr4_vgpr5
	s_and_saveexec_b32 s0, s1
	s_cbranch_execz .LBB1341_35
.LBB1341_67:
	flat_load_b64 v[4:5], v0, s[12:13] offset:1024 scale_offset
	s_wait_xcnt 0x0
	s_or_b32 exec_lo, exec_lo, s0
                                        ; implicit-def: $vgpr6_vgpr7
	s_and_saveexec_b32 s0, s4
	s_cbranch_execz .LBB1341_36
.LBB1341_68:
	flat_load_b64 v[6:7], v0, s[12:13] offset:2048 scale_offset
	s_wait_xcnt 0x0
	s_or_b32 exec_lo, exec_lo, s0
                                        ; implicit-def: $vgpr10_vgpr11
	s_and_saveexec_b32 s0, s5
	s_cbranch_execz .LBB1341_37
.LBB1341_69:
	flat_load_b64 v[10:11], v0, s[12:13] offset:3072 scale_offset
	s_wait_xcnt 0x0
	s_or_b32 exec_lo, exec_lo, s0
                                        ; implicit-def: $vgpr12_vgpr13
	s_and_saveexec_b32 s0, s6
	s_cbranch_execz .LBB1341_38
.LBB1341_70:
	flat_load_b64 v[12:13], v0, s[12:13] offset:4096 scale_offset
	s_wait_xcnt 0x0
	s_or_b32 exec_lo, exec_lo, s0
                                        ; implicit-def: $vgpr14_vgpr15
	s_and_saveexec_b32 s0, s7
	s_cbranch_execz .LBB1341_39
.LBB1341_71:
	flat_load_b64 v[14:15], v0, s[12:13] offset:5120 scale_offset
	s_wait_xcnt 0x0
	s_or_b32 exec_lo, exec_lo, s0
                                        ; implicit-def: $vgpr18_vgpr19
	s_and_saveexec_b32 s0, s8
	s_cbranch_execz .LBB1341_40
.LBB1341_72:
	flat_load_b64 v[18:19], v0, s[12:13] offset:6144 scale_offset
	s_wait_xcnt 0x0
	s_or_b32 exec_lo, exec_lo, s0
                                        ; implicit-def: $vgpr20_vgpr21
	s_and_saveexec_b32 s0, s9
	s_cbranch_execz .LBB1341_41
.LBB1341_73:
	flat_load_b64 v[20:21], v0, s[12:13] offset:7168 scale_offset
	s_wait_xcnt 0x0
	s_or_b32 exec_lo, exec_lo, s0
                                        ; implicit-def: $vgpr22_vgpr23
	s_and_saveexec_b32 s0, s10
	s_cbranch_execz .LBB1341_42
.LBB1341_74:
	flat_load_b64 v[22:23], v0, s[12:13] offset:8192 scale_offset
	s_wait_xcnt 0x0
	s_or_b32 exec_lo, exec_lo, s0
                                        ; implicit-def: $vgpr24_vgpr25
	s_and_saveexec_b32 s0, s11
	s_cbranch_execnz .LBB1341_43
	s_branch .LBB1341_44
.LBB1341_75:
	s_add_nc_u64 s[14:15], s[14:15], -4
	s_mov_b32 s0, -1
.LBB1341_76:
	s_delay_alu instid0(SALU_CYCLE_1)
	s_and_not1_b32 vcc_lo, exec_lo, s0
.LBB1341_77:
	flat_load_b32 v1, v1, s[14:15]
	v_mad_i32_i24 v15, 0xffffffdc, v0, v15
	s_wait_dscnt 0x2
	ds_store_b32 v15, v14 offset:5120
	s_wait_loadcnt_dscnt 0x0
	s_barrier_signal -1
	s_barrier_wait -1
	s_and_saveexec_b32 s0, s3
; %bb.78:
	ds_load_b32 v1, v15 offset:5116
; %bb.79:
	s_or_b32 exec_lo, exec_lo, s0
	s_wait_dscnt 0x0
	s_barrier_signal -1
	s_barrier_wait -1
	s_clause 0x9
	flat_load_b64 v[16:17], v0, s[12:13] scale_offset
	flat_load_b64 v[18:19], v0, s[12:13] offset:1024 scale_offset
	flat_load_b64 v[20:21], v0, s[12:13] offset:2048 scale_offset
	;; [unrolled: 1-line block ×9, first 2 shown]
	v_cmp_ne_u32_e32 vcc_lo, v12, v13
	v_cmp_ne_u32_e64 s6, v11, v14
	s_mov_b32 s45, -1
	v_cndmask_b32_e64 v14, 0, 1, vcc_lo
	v_cmp_ne_u32_e32 vcc_lo, v3, v12
	v_cndmask_b32_e64 v12, 0, 1, vcc_lo
	v_cmp_ne_u32_e32 vcc_lo, v10, v11
	;; [unrolled: 2-line block ×4, first 2 shown]
	v_lshl_add_u32 v7, v0, 2, v15
	s_wait_loadcnt_dscnt 0x808
	ds_store_2addr_stride64_b64 v7, v[16:17], v[18:19] offset1:2
	s_wait_loadcnt_dscnt 0x607
	ds_store_2addr_stride64_b64 v7, v[20:21], v[22:23] offset0:4 offset1:6
	s_wait_loadcnt_dscnt 0x406
	ds_store_2addr_stride64_b64 v7, v[24:25], v[26:27] offset0:8 offset1:10
	;; [unrolled: 2-line block ×4, first 2 shown]
	v_cndmask_b32_e64 v5, 0, 1, vcc_lo
	v_cmp_ne_u32_e32 vcc_lo, v6, v4
	s_wait_dscnt 0x0
	s_barrier_signal -1
	s_barrier_wait -1
	v_lshlrev_b16 v5, 8, v5
	v_cndmask_b32_e64 v4, 0, 1, vcc_lo
	v_cmp_ne_u32_e32 vcc_lo, v9, v3
	v_lshlrev_b16 v9, 8, v14
	v_cndmask_b32_e64 v3, 0, 1, vcc_lo
	v_cmp_ne_u32_e32 vcc_lo, v8, v2
	v_lshlrev_b16 v8, 8, v11
	v_mad_u32_u24 v11, 0x48, v0, v7
	ds_load_b128 v[28:31], v11 offset:32
	ds_load_b128 v[24:27], v11 offset:48
	v_cndmask_b32_e64 v2, 0, 1, vcc_lo
	v_lshlrev_b16 v3, 8, v3
	v_and_b32_e32 v7, 0xffff, v5
	v_cmp_ne_u32_e32 vcc_lo, v1, v6
	s_delay_alu instid0(VALU_DEP_3) | instskip(SKIP_3) | instid1(VALU_DEP_4)
	v_or_b32_e32 v49, v2, v3
	v_or_b32_e32 v54, v10, v8
	v_and_b32_e32 v8, 0xffff, v9
	v_cndmask_b32_e64 v58, 0, 1, vcc_lo
	v_lshlrev_b32_e32 v10, 16, v49
	s_delay_alu instid0(VALU_DEP_4)
	v_dual_lshlrev_b32 v13, 16, v54 :: v_dual_bitop2_b32 v51, v4, v5 bitop3:0x54
	ds_load_b128 v[2:5], v11
	ds_load_b128 v[32:35], v11 offset:16
	ds_load_b128 v[14:17], v11 offset:64
	v_dual_lshrrev_b32 v50, 24, v10 :: v_dual_bitop2_b32 v59, v12, v9 bitop3:0x54
	v_mov_b32_e32 v47, v51
	v_dual_mov_b32 v57, v49 :: v_dual_bitop2_b32 v1, v7, v10 bitop3:0x54
	v_dual_lshrrev_b32 v55, 24, v13 :: v_dual_bitop2_b32 v6, v8, v13 bitop3:0x54
	s_wait_dscnt 0x3
	v_mov_b64_e32 v[22:23], v[26:27]
	s_delay_alu instid0(VALU_DEP_3)
	v_lshrrev_b32_e32 v46, 8, v1
	v_mov_b64_e32 v[44:45], v[24:25]
	v_lshrrev_b32_e32 v63, 8, v6
	v_mov_b64_e32 v[18:19], v[30:31]
	v_mov_b64_e32 v[20:21], v[28:29]
	v_dual_mov_b32 v53, v50 :: v_dual_mov_b32 v56, v46
	v_mov_b32_e32 v1, v58
	s_wait_dscnt 0x2
	v_mov_b64_e32 v[6:7], v[4:5]
	s_wait_dscnt 0x1
	v_mov_b64_e32 v[10:11], v[34:35]
	v_mov_b64_e32 v[12:13], v[32:33]
.LBB1341_80:
	v_mov_b64_e32 v[8:9], 0
	v_mov_b32_e32 v48, 0
	s_and_saveexec_b32 s0, s45
	s_cbranch_execz .LBB1341_82
; %bb.81:
	v_mov_b64_e32 v[6:7], v[4:5]
	v_mov_b64_e32 v[12:13], v[32:33]
	v_mov_b64_e32 v[10:11], v[34:35]
	v_mov_b64_e32 v[20:21], v[28:29]
	v_mov_b64_e32 v[18:19], v[30:31]
	v_mov_b64_e32 v[44:45], v[24:25]
	v_mov_b64_e32 v[22:23], v[26:27]
	s_wait_dscnt 0x0
	v_mov_b64_e32 v[8:9], v[16:17]
	v_cndmask_b32_e64 v48, 0, 1, s6
	v_dual_mov_b32 v1, v58 :: v_dual_mov_b32 v47, v51
	v_dual_mov_b32 v56, v46 :: v_dual_mov_b32 v57, v49
	v_mov_b32_e32 v53, v50
.LBB1341_82:
	s_or_b32 exec_lo, exec_lo, s0
	v_and_b32_e32 v51, 1, v59
	v_and_b32_e32 v50, 1, v55
	;; [unrolled: 1-line block ×8, first 2 shown]
	v_bitop3_b16 v53, v53, 0xff, v57 bitop3:0xc8
	v_and_b32_e32 v55, 0xff, v55
	v_and_b32_e32 v56, 0xff, v54
	;; [unrolled: 1-line block ×4, first 2 shown]
	v_cmp_eq_u32_e64 s12, 1, v51
	v_bitop3_b16 v54, v54, 0xff, v63 bitop3:0xc8
	v_cmp_eq_u32_e64 s13, 1, v50
	v_cmp_eq_u16_e64 s0, 0, v48
	v_cmp_eq_u32_e64 s11, 1, v49
	v_mbcnt_lo_u32_b32 v46, -1, 0
	s_cmp_lg_u32 s44, 0
	s_wait_dscnt 0x0
	v_cmp_eq_u32_e32 vcc_lo, 1, v52
	s_barrier_signal -1
	s_barrier_wait -1
	s_cbranch_scc0 .LBB1341_138
; %bb.83:
	v_cmp_eq_u16_e64 s1, 0, v62
	v_cmp_eq_u16_e64 s4, 0, v61
	;; [unrolled: 1-line block ×5, first 2 shown]
	v_dual_cndmask_b32 v5, 0, v3, s1 :: v_dual_cndmask_b32 v4, 0, v2, s1
	v_cmp_eq_u16_e64 s8, 0, v57
	v_cmp_eq_u16_e64 s9, 0, v56
	;; [unrolled: 1-line block ×3, first 2 shown]
	v_bitop3_b16 v16, v47, 0xff, v1 bitop3:0xc8
	v_add_nc_u64_e32 v[4:5], v[4:5], v[6:7]
	v_cmp_ne_u16_e64 s15, 0, v54
	v_cmp_ne_u16_e64 s14, 0, v53
	s_delay_alu instid0(VALU_DEP_4) | instskip(SKIP_4) | instid1(SALU_CYCLE_1)
	v_cmp_ne_u16_e64 s16, 0, v16
	s_or_b32 s13, s15, s13
	v_dual_cndmask_b32 v5, 0, v5, s4 :: v_dual_cndmask_b32 v4, 0, v4, s4
	s_or_b32 s12, s14, s12
	s_or_b32 s11, s11, s13
	;; [unrolled: 1-line block ×3, first 2 shown]
	s_delay_alu instid0(VALU_DEP_1) | instskip(SKIP_1) | instid1(SALU_CYCLE_1)
	v_add_nc_u64_e32 v[4:5], v[4:5], v[12:13]
	s_or_b32 s12, s16, vcc_lo
	s_or_b32 s11, s11, s12
	s_mov_b32 s12, exec_lo
	s_delay_alu instid0(VALU_DEP_1) | instskip(NEXT) | instid1(VALU_DEP_1)
	v_dual_cndmask_b32 v5, 0, v5, s5 :: v_dual_cndmask_b32 v4, 0, v4, s5
	v_add_nc_u64_e32 v[4:5], v[4:5], v[10:11]
	s_delay_alu instid0(VALU_DEP_1) | instskip(NEXT) | instid1(VALU_DEP_1)
	v_dual_cndmask_b32 v5, 0, v5, s6 :: v_dual_cndmask_b32 v4, 0, v4, s6
	v_add_nc_u64_e32 v[4:5], v[4:5], v[20:21]
	;; [unrolled: 3-line block ×7, first 2 shown]
	v_cndmask_b32_e64 v4, 0, 1, s11
	v_and_b32_e32 v5, 15, v46
	s_delay_alu instid0(VALU_DEP_2) | instskip(NEXT) | instid1(VALU_DEP_4)
	v_mov_b32_dpp v24, v4 row_shr:1 row_mask:0xf bank_mask:0xf
	v_mov_b32_dpp v25, v16 row_shr:1 row_mask:0xf bank_mask:0xf
	;; [unrolled: 1-line block ×3, first 2 shown]
	s_delay_alu instid0(VALU_DEP_4)
	v_cmpx_ne_u32_e32 0, v5
; %bb.84:
	s_delay_alu instid0(VALU_DEP_2) | instskip(NEXT) | instid1(VALU_DEP_4)
	v_cndmask_b32_e64 v27, v26, 0, s11
	v_cndmask_b32_e64 v26, v25, 0, s11
	v_and_or_b32 v4, v24, 1, v4
	s_delay_alu instid0(VALU_DEP_2)
	v_add_nc_u64_e32 v[16:17], v[26:27], v[16:17]
; %bb.85:
	s_or_b32 exec_lo, exec_lo, s12
	s_delay_alu instid0(VALU_DEP_1) | instskip(NEXT) | instid1(VALU_DEP_2)
	v_mov_b32_dpp v25, v16 row_shr:2 row_mask:0xf bank_mask:0xf
	v_mov_b32_dpp v26, v17 row_shr:2 row_mask:0xf bank_mask:0xf
	v_mov_b32_dpp v24, v4 row_shr:2 row_mask:0xf bank_mask:0xf
	s_mov_b32 s11, exec_lo
	v_cmpx_lt_u32_e32 1, v5
; %bb.86:
	v_cmp_eq_u16_e32 vcc_lo, 0, v4
	s_delay_alu instid0(VALU_DEP_3) | instskip(SKIP_1) | instid1(VALU_DEP_1)
	v_bitop3_b32 v4, v24, 1, v4 bitop3:0xc8
	v_dual_cndmask_b32 v27, 0, v26 :: v_dual_cndmask_b32 v26, 0, v25
	v_add_nc_u64_e32 v[16:17], v[26:27], v[16:17]
; %bb.87:
	s_or_b32 exec_lo, exec_lo, s11
	s_delay_alu instid0(VALU_DEP_1) | instskip(NEXT) | instid1(VALU_DEP_2)
	v_mov_b32_dpp v25, v16 row_shr:4 row_mask:0xf bank_mask:0xf
	v_mov_b32_dpp v26, v17 row_shr:4 row_mask:0xf bank_mask:0xf
	v_mov_b32_dpp v24, v4 row_shr:4 row_mask:0xf bank_mask:0xf
	s_mov_b32 s11, exec_lo
	v_cmpx_lt_u32_e32 3, v5
; %bb.88:
	v_cmp_eq_u16_e32 vcc_lo, 0, v4
	s_delay_alu instid0(VALU_DEP_3) | instskip(SKIP_1) | instid1(VALU_DEP_1)
	v_bitop3_b32 v4, v24, 1, v4 bitop3:0xc8
	v_dual_cndmask_b32 v27, 0, v26 :: v_dual_cndmask_b32 v26, 0, v25
	;; [unrolled: 14-line block ×3, first 2 shown]
	v_add_nc_u64_e32 v[16:17], v[26:27], v[16:17]
; %bb.91:
	s_or_b32 exec_lo, exec_lo, s11
	ds_swizzle_b32 v5, v16 offset:swizzle(BROADCAST,32,15)
	ds_swizzle_b32 v25, v17 offset:swizzle(BROADCAST,32,15)
	ds_swizzle_b32 v26, v4 offset:swizzle(BROADCAST,32,15)
	v_and_b32_e32 v24, 16, v46
	s_delay_alu instid0(VALU_DEP_1)
	v_cmp_ne_u32_e32 vcc_lo, 0, v24
	v_mov_b32_e32 v24, v4
	s_and_saveexec_b32 s12, vcc_lo
	s_cbranch_execz .LBB1341_93
; %bb.92:
	v_cmp_eq_u16_e32 vcc_lo, 0, v4
	v_and_b32_e32 v4, 1, v4
	s_wait_dscnt 0x0
	v_dual_cndmask_b32 v24, 0, v5, vcc_lo :: v_dual_bitop2_b32 v26, 1, v26 bitop3:0x40
	v_cndmask_b32_e32 v25, 0, v25, vcc_lo
	s_delay_alu instid0(VALU_DEP_3) | instskip(NEXT) | instid1(VALU_DEP_3)
	v_cmp_eq_u32_e32 vcc_lo, 1, v4
	v_cmp_eq_u32_e64 s11, 1, v26
	s_delay_alu instid0(VALU_DEP_3) | instskip(SKIP_1) | instid1(SALU_CYCLE_1)
	v_add_nc_u64_e32 v[16:17], v[24:25], v[16:17]
	s_or_b32 s11, vcc_lo, s11
	v_cndmask_b32_e64 v4, 0, 1, s11
	v_cndmask_b32_e64 v24, 0, 1, s11
.LBB1341_93:
	s_or_b32 exec_lo, exec_lo, s12
	s_wait_dscnt 0x1
	v_dual_lshrrev_b32 v25, 5, v0 :: v_dual_bitop2_b32 v5, 31, v0 bitop3:0x54
	s_mov_b32 s11, exec_lo
	s_delay_alu instid0(VALU_DEP_1) | instskip(NEXT) | instid1(VALU_DEP_2)
	v_lshlrev_b32_e32 v25, 4, v25
	v_cmpx_eq_u32_e64 v0, v5
	s_cbranch_execz .LBB1341_95
; %bb.94:
	ds_store_b64 v25, v[16:17]
	ds_store_b8 v25, v4 offset:8
.LBB1341_95:
	s_or_b32 exec_lo, exec_lo, s11
	s_delay_alu instid0(SALU_CYCLE_1)
	s_mov_b32 s12, exec_lo
	s_wait_dscnt 0x0
	s_barrier_signal -1
	s_barrier_wait -1
	v_cmpx_gt_u32_e32 4, v0
	s_cbranch_execz .LBB1341_101
; %bb.96:
	v_dual_lshlrev_b32 v26, 4, v0 :: v_dual_bitop2_b32 v28, 3, v46 bitop3:0x40
	s_mov_b32 s11, exec_lo
	ds_load_b64 v[4:5], v26
	ds_load_b32 v27, v26 offset:8
	s_wait_dscnt 0x1
	v_mov_b32_dpp v32, v4 row_shr:1 row_mask:0xf bank_mask:0xf
	v_mov_b32_dpp v33, v5 row_shr:1 row_mask:0xf bank_mask:0xf
	s_wait_dscnt 0x0
	v_mov_b32_dpp v31, v27 row_shr:1 row_mask:0xf bank_mask:0xf
	v_dual_mov_b32 v30, v27 :: v_dual_mov_b32 v29, v27
	v_cmpx_ne_u32_e32 0, v28
	s_cbranch_execz .LBB1341_98
; %bb.97:
	v_and_b32_e32 v29, 0xff, v27
	v_or_b32_e32 v30, v31, v27
	s_delay_alu instid0(VALU_DEP_2) | instskip(SKIP_1) | instid1(VALU_DEP_3)
	v_cmp_eq_u16_e32 vcc_lo, 0, v29
	v_bitop3_b32 v29, v31, 1, v27 bitop3:0xc8
	v_dual_cndmask_b32 v33, 0, v33, vcc_lo :: v_dual_bitop2_b32 v30, 1, v30 bitop3:0x40
	v_cndmask_b32_e32 v32, 0, v32, vcc_lo
	s_delay_alu instid0(VALU_DEP_3) | instskip(NEXT) | instid1(VALU_DEP_2)
	v_and_or_b32 v27, 0xffffff00, v27, v29
	v_add_nc_u64_e32 v[4:5], v[32:33], v[4:5]
.LBB1341_98:
	s_or_b32 exec_lo, exec_lo, s11
	s_delay_alu instid0(VALU_DEP_1) | instskip(NEXT) | instid1(VALU_DEP_2)
	v_mov_b32_dpp v31, v4 row_shr:2 row_mask:0xf bank_mask:0xf
	v_mov_b32_dpp v32, v5 row_shr:2 row_mask:0xf bank_mask:0xf
	;; [unrolled: 1-line block ×3, first 2 shown]
	s_mov_b32 s13, exec_lo
	v_cmpx_lt_u32_e32 1, v28
	s_cbranch_execz .LBB1341_100
; %bb.99:
	v_and_b32_e32 v28, 0xff, v29
	v_and_b32_e32 v27, 1, v27
	s_delay_alu instid0(VALU_DEP_2) | instskip(SKIP_1) | instid1(VALU_DEP_3)
	v_cmp_eq_u16_e32 vcc_lo, 0, v28
	v_and_b32_e32 v30, 1, v29
	v_cmp_eq_u32_e64 s11, 1, v27
	v_dual_cndmask_b32 v29, 0, v32 :: v_dual_cndmask_b32 v28, 0, v31
	s_delay_alu instid0(VALU_DEP_3) | instskip(NEXT) | instid1(VALU_DEP_2)
	v_cmp_eq_u32_e32 vcc_lo, 1, v30
	v_add_nc_u64_e32 v[4:5], v[28:29], v[4:5]
	s_or_b32 s11, vcc_lo, s11
	s_delay_alu instid0(SALU_CYCLE_1)
	v_cndmask_b32_e64 v30, 0, 1, s11
.LBB1341_100:
	s_or_b32 exec_lo, exec_lo, s13
	ds_store_b64 v26, v[4:5]
	ds_store_b8 v26, v30 offset:8
.LBB1341_101:
	s_or_b32 exec_lo, exec_lo, s12
	v_mov_b64_e32 v[4:5], 0
	v_mov_b32_e32 v31, 0
	s_mov_b32 s12, exec_lo
	v_cmp_gt_u32_e32 vcc_lo, 32, v0
	s_wait_dscnt 0x0
	s_barrier_signal -1
	s_barrier_wait -1
	v_cmpx_lt_u32_e32 31, v0
	s_cbranch_execz .LBB1341_103
; %bb.102:
	v_dual_add_nc_u32 v4, -16, v25 :: v_dual_add_nc_u32 v25, -8, v25
	v_cmp_eq_u32_e64 s11, 0, v24
	ds_load_b64 v[4:5], v4
	ds_load_u8 v25, v25
	s_wait_dscnt 0x1
	v_dual_cndmask_b32 v27, 0, v5, s11 :: v_dual_cndmask_b32 v26, 0, v4, s11
	s_wait_dscnt 0x0
	v_or_b32_e32 v24, v25, v24
	v_and_b32_e32 v31, 1, v25
	s_delay_alu instid0(VALU_DEP_3) | instskip(NEXT) | instid1(VALU_DEP_3)
	v_add_nc_u64_e32 v[16:17], v[26:27], v[16:17]
	v_and_b32_e32 v24, 1, v24
.LBB1341_103:
	s_or_b32 exec_lo, exec_lo, s12
	v_sub_co_u32 v25, s11, v46, 1
	s_delay_alu instid0(VALU_DEP_1) | instskip(NEXT) | instid1(VALU_DEP_1)
	v_cmp_gt_i32_e64 s12, 0, v25
	v_cndmask_b32_e64 v25, v25, v46, s12
	s_delay_alu instid0(VALU_DEP_1)
	v_lshlrev_b32_e32 v25, 2, v25
	ds_bpermute_b32 v30, v25, v16
	ds_bpermute_b32 v32, v25, v17
	;; [unrolled: 1-line block ×3, first 2 shown]
	s_and_saveexec_b32 s14, vcc_lo
	s_cbranch_execz .LBB1341_175
; %bb.104:
	v_mov_b32_e32 v27, 0
	ds_load_b64 v[16:17], v27 offset:48
	ds_load_u8 v34, v27 offset:56
	s_and_saveexec_b32 s12, s11
	s_cbranch_execz .LBB1341_106
; %bb.105:
	s_add_co_i32 s16, s44, 32
	s_mov_b32 s17, 0
	v_dual_mov_b32 v24, 1 :: v_dual_mov_b32 v25, s16
	s_lshl_b64 s[36:37], s[16:17], 4
	s_delay_alu instid0(SALU_CYCLE_1)
	s_add_nc_u64 s[16:17], s[20:21], s[36:37]
	s_wait_dscnt 0x1
	global_store_b64 v27, v[16:17], s[16:17]
	s_wait_dscnt 0x0
	global_store_b8 v27, v34, s[16:17] offset:8
	global_wb scope:SCOPE_DEV
	s_wait_storecnt 0x0
	global_inv scope:SCOPE_DEV
	s_wait_xcnt 0x0
	global_store_b8 v25, v24, s[24:25] scope:SCOPE_DEV
.LBB1341_106:
	s_wait_xcnt 0x0
	s_or_b32 exec_lo, exec_lo, s12
	v_xad_u32 v24, v46, -1, s44
	s_mov_b32 s13, 0
	s_mov_b32 s12, exec_lo
	s_delay_alu instid0(VALU_DEP_1)
	v_add_nc_u32_e32 v26, 32, v24
	global_load_u8 v35, v26, s[24:25] scope:SCOPE_DEV
	s_wait_loadcnt 0x0
	v_cmpx_eq_u16_e32 0, v35
	s_cbranch_execz .LBB1341_110
; %bb.107:
	v_add_nc_u64_e32 v[28:29], s[24:25], v[26:27]
.LBB1341_108:                           ; =>This Inner Loop Header: Depth=1
	global_load_u8 v35, v[28:29], off scope:SCOPE_DEV
	s_wait_loadcnt 0x0
	v_cmp_ne_u16_e32 vcc_lo, 0, v35
	s_or_b32 s13, vcc_lo, s13
	s_wait_xcnt 0x0
	s_and_not1_b32 exec_lo, exec_lo, s13
	s_cbranch_execnz .LBB1341_108
; %bb.109:
	s_or_b32 exec_lo, exec_lo, s13
.LBB1341_110:
	s_delay_alu instid0(SALU_CYCLE_1)
	s_or_b32 exec_lo, exec_lo, s12
	v_dual_mov_b32 v25, s21 :: v_dual_mov_b32 v28, s20
	v_cmp_eq_u16_e32 vcc_lo, 1, v35
	global_wb scope:SCOPE_DEV
	s_wait_storecnt_dscnt 0x0
	global_inv scope:SCOPE_DEV
	v_lshlrev_b32_e64 v37, v46, -1
	s_mov_b32 s12, exec_lo
	v_cndmask_b32_e32 v29, s23, v25, vcc_lo
	v_cndmask_b32_e32 v28, s22, v28, vcc_lo
	v_cmp_ne_u32_e32 vcc_lo, 31, v46
	v_add_co_ci_u32_e64 v25, null, 0, v46, vcc_lo
	v_cmp_eq_u16_e32 vcc_lo, 2, v35
	s_delay_alu instid0(VALU_DEP_2)
	v_lshlrev_b32_e32 v36, 2, v25
	v_lshl_add_u64 v[26:27], v[26:27], 4, v[28:29]
	s_clause 0x1
	global_load_u8 v66, v[26:27], off offset:8
	global_load_b64 v[28:29], v[26:27], off
	v_and_or_b32 v25, vcc_lo, v37, 0x80000000
	s_delay_alu instid0(VALU_DEP_1)
	v_ctz_i32_b32_e32 v25, v25
	s_wait_loadcnt 0x1
	s_wait_xcnt 0x0
	v_and_b32_e32 v26, 1, v66
	s_wait_loadcnt 0x0
	ds_bpermute_b32 v38, v36, v28
	ds_bpermute_b32 v39, v36, v29
	;; [unrolled: 1-line block ×3, first 2 shown]
	v_cmpx_lt_u32_e64 v46, v25
	s_cbranch_execz .LBB1341_112
; %bb.111:
	v_and_b32_e32 v26, 0xff, v66
	s_wait_dscnt 0x0
	v_bitop3_b16 v66, v27, v66, 1 bitop3:0xec
	s_delay_alu instid0(VALU_DEP_2) | instskip(NEXT) | instid1(VALU_DEP_2)
	v_cmp_eq_u16_e32 vcc_lo, 0, v26
	v_and_b32_e32 v26, 0xff, v66
	v_dual_cndmask_b32 v39, 0, v39 :: v_dual_cndmask_b32 v38, 0, v38
	s_delay_alu instid0(VALU_DEP_1)
	v_add_nc_u64_e32 v[28:29], v[38:39], v[28:29]
.LBB1341_112:
	s_or_b32 exec_lo, exec_lo, s12
	v_cmp_gt_u32_e32 vcc_lo, 30, v46
	s_wait_dscnt 0x1
	v_add_nc_u32_e32 v39, 2, v46
	s_mov_b32 s13, exec_lo
	s_wait_dscnt 0x0
	v_cndmask_b32_e64 v27, 0, 2, vcc_lo
	s_delay_alu instid0(VALU_DEP_1)
	v_add_lshl_u32 v38, v27, v46, 2
	ds_bpermute_b32 v27, v38, v28
	ds_bpermute_b32 v40, v38, v29
	;; [unrolled: 1-line block ×3, first 2 shown]
	v_cmpx_le_u32_e64 v39, v25
	s_cbranch_execz .LBB1341_114
; %bb.113:
	v_and_b32_e32 v26, 0xff, v66
	s_delay_alu instid0(VALU_DEP_1) | instskip(SKIP_3) | instid1(VALU_DEP_2)
	v_cmp_eq_u16_e32 vcc_lo, 0, v26
	v_and_b32_e32 v42, 1, v66
	s_wait_dscnt 0x0
	v_dual_cndmask_b32 v41, 0, v40, vcc_lo :: v_dual_bitop2_b32 v26, 1, v41 bitop3:0x40
	v_cmp_eq_u32_e64 s12, 1, v42
	v_cndmask_b32_e32 v40, 0, v27, vcc_lo
	s_delay_alu instid0(VALU_DEP_3) | instskip(NEXT) | instid1(VALU_DEP_2)
	v_cmp_eq_u32_e32 vcc_lo, 1, v26
	v_add_nc_u64_e32 v[28:29], v[40:41], v[28:29]
	s_or_b32 s12, s12, vcc_lo
	s_delay_alu instid0(SALU_CYCLE_1)
	v_cndmask_b32_e64 v66, 0, 1, s12
	v_cndmask_b32_e64 v26, 0, 1, s12
.LBB1341_114:
	s_or_b32 exec_lo, exec_lo, s13
	v_cmp_gt_u32_e32 vcc_lo, 28, v46
	s_wait_dscnt 0x0
	v_add_nc_u32_e32 v41, 4, v46
	s_mov_b32 s15, exec_lo
	v_cndmask_b32_e64 v27, 0, 4, vcc_lo
	s_delay_alu instid0(VALU_DEP_1)
	v_add_lshl_u32 v40, v27, v46, 2
	ds_bpermute_b32 v27, v40, v28
	ds_bpermute_b32 v42, v40, v29
	;; [unrolled: 1-line block ×3, first 2 shown]
	v_cmpx_le_u32_e64 v41, v25
	s_cbranch_execz .LBB1341_116
; %bb.115:
	v_and_b32_e32 v26, 0xff, v66
	s_wait_dscnt 0x0
	v_and_b32_e32 v43, 1, v43
	s_delay_alu instid0(VALU_DEP_2) | instskip(SKIP_1) | instid1(VALU_DEP_3)
	v_cmp_eq_u16_e32 vcc_lo, 0, v26
	v_and_b32_e32 v63, 1, v66
	v_cmp_eq_u32_e64 s13, 1, v43
	v_dual_cndmask_b32 v43, 0, v42 :: v_dual_cndmask_b32 v42, 0, v27
	s_delay_alu instid0(VALU_DEP_3) | instskip(NEXT) | instid1(VALU_DEP_2)
	v_cmp_eq_u32_e64 s12, 1, v63
	v_add_nc_u64_e32 v[28:29], v[42:43], v[28:29]
	s_or_b32 s12, s12, s13
	s_delay_alu instid0(SALU_CYCLE_1)
	v_cndmask_b32_e64 v66, 0, 1, s12
	v_cndmask_b32_e64 v26, 0, 1, s12
.LBB1341_116:
	s_or_b32 exec_lo, exec_lo, s15
	v_cmp_gt_u32_e32 vcc_lo, 24, v46
	s_wait_dscnt 0x0
	v_add_nc_u32_e32 v43, 8, v46
	s_mov_b32 s13, exec_lo
	v_cndmask_b32_e64 v27, 0, 8, vcc_lo
	s_delay_alu instid0(VALU_DEP_1)
	v_add_lshl_u32 v42, v27, v46, 2
	ds_bpermute_b32 v27, v42, v28
	ds_bpermute_b32 v63, v42, v29
	;; [unrolled: 1-line block ×3, first 2 shown]
	v_cmpx_le_u32_e64 v43, v25
	s_cbranch_execz .LBB1341_118
; %bb.117:
	v_and_b32_e32 v26, 0xff, v66
	s_delay_alu instid0(VALU_DEP_1) | instskip(SKIP_4) | instid1(VALU_DEP_3)
	v_cmp_eq_u16_e32 vcc_lo, 0, v26
	v_and_b32_e32 v66, 1, v66
	s_wait_dscnt 0x0
	v_dual_cndmask_b32 v64, 0, v27, vcc_lo :: v_dual_bitop2_b32 v26, 1, v64 bitop3:0x40
	v_cndmask_b32_e32 v65, 0, v63, vcc_lo
	v_cmp_eq_u32_e64 s12, 1, v66
	s_delay_alu instid0(VALU_DEP_3) | instskip(NEXT) | instid1(VALU_DEP_3)
	v_cmp_eq_u32_e32 vcc_lo, 1, v26
	v_add_nc_u64_e32 v[28:29], v[64:65], v[28:29]
	s_or_b32 s12, s12, vcc_lo
	s_delay_alu instid0(SALU_CYCLE_1)
	v_cndmask_b32_e64 v66, 0, 1, s12
	v_cndmask_b32_e64 v26, 0, 1, s12
.LBB1341_118:
	s_or_b32 exec_lo, exec_lo, s13
	s_wait_dscnt 0x1
	v_lshl_or_b32 v63, v46, 2, 64
	v_add_nc_u32_e32 v65, 16, v46
	s_mov_b32 s13, exec_lo
	ds_bpermute_b32 v27, v63, v28
	s_wait_dscnt 0x1
	ds_bpermute_b32 v64, v63, v29
	ds_bpermute_b32 v26, v63, v26
	v_cmpx_le_u32_e64 v65, v25
	s_cbranch_execz .LBB1341_120
; %bb.119:
	v_and_b32_e32 v25, 0xff, v66
	s_delay_alu instid0(VALU_DEP_1) | instskip(SKIP_4) | instid1(VALU_DEP_3)
	v_cmp_eq_u16_e32 vcc_lo, 0, v25
	v_and_b32_e32 v25, 1, v66
	s_wait_dscnt 0x0
	v_dual_cndmask_b32 v66, 0, v27, vcc_lo :: v_dual_bitop2_b32 v26, 1, v26 bitop3:0x40
	v_cndmask_b32_e32 v67, 0, v64, vcc_lo
	v_cmp_eq_u32_e32 vcc_lo, 1, v25
	s_delay_alu instid0(VALU_DEP_3) | instskip(NEXT) | instid1(VALU_DEP_3)
	v_cmp_eq_u32_e64 s12, 1, v26
	v_add_nc_u64_e32 v[28:29], v[66:67], v[28:29]
	s_or_b32 s12, vcc_lo, s12
	s_delay_alu instid0(SALU_CYCLE_1)
	v_cndmask_b32_e64 v66, 0, 1, s12
.LBB1341_120:
	s_or_b32 exec_lo, exec_lo, s13
	v_mov_b32_e32 v25, 0
	s_branch .LBB1341_123
.LBB1341_121:                           ;   in Loop: Header=BB1341_123 Depth=1
	s_or_b32 exec_lo, exec_lo, s15
	v_and_b32_e32 v66, 0xff, v64
	v_subrev_nc_u32_e32 v24, 32, v24
	s_delay_alu instid0(VALU_DEP_2) | instskip(SKIP_2) | instid1(VALU_DEP_2)
	v_cmp_eq_u16_e32 vcc_lo, 0, v66
	v_dual_cndmask_b32 v29, 0, v29, vcc_lo :: v_dual_bitop2_b32 v66, 1, v64 bitop3:0x40
	v_cndmask_b32_e32 v28, 0, v28, vcc_lo
	v_cmp_eq_u32_e32 vcc_lo, 1, v66
	s_delay_alu instid0(VALU_DEP_2) | instskip(SKIP_1) | instid1(SALU_CYCLE_1)
	v_add_nc_u64_e32 v[28:29], v[28:29], v[26:27]
	s_or_b32 s12, vcc_lo, s13
	v_cndmask_b32_e64 v66, 0, 1, s12
	s_mov_b32 s12, 0
.LBB1341_122:                           ;   in Loop: Header=BB1341_123 Depth=1
	s_delay_alu instid0(SALU_CYCLE_1)
	s_and_b32 vcc_lo, exec_lo, s12
	s_cbranch_vccnz .LBB1341_171
.LBB1341_123:                           ; =>This Loop Header: Depth=1
                                        ;     Child Loop BB1341_126 Depth 2
	s_wait_dscnt 0x0
	v_and_b32_e32 v26, 0xff, v35
	v_mov_b32_e32 v64, v66
	s_mov_b32 s12, -1
                                        ; implicit-def: $vgpr66
                                        ; implicit-def: $vgpr35
	s_delay_alu instid0(VALU_DEP_2)
	v_cmp_ne_u16_e32 vcc_lo, 2, v26
	v_mov_b64_e32 v[26:27], v[28:29]
                                        ; implicit-def: $vgpr28_vgpr29
	s_cmp_lg_u32 vcc_lo, exec_lo
	s_cbranch_scc1 .LBB1341_122
; %bb.124:                              ;   in Loop: Header=BB1341_123 Depth=1
	global_load_u8 v35, v24, s[24:25] scope:SCOPE_DEV
	s_mov_b32 s12, exec_lo
	s_wait_loadcnt 0x0
	v_cmpx_eq_u16_e32 0, v35
	s_cbranch_execz .LBB1341_128
; %bb.125:                              ;   in Loop: Header=BB1341_123 Depth=1
	v_add_nc_u64_e32 v[28:29], s[24:25], v[24:25]
	s_mov_b32 s13, 0
.LBB1341_126:                           ;   Parent Loop BB1341_123 Depth=1
                                        ; =>  This Inner Loop Header: Depth=2
	global_load_u8 v35, v[28:29], off scope:SCOPE_DEV
	s_wait_loadcnt 0x0
	v_cmp_ne_u16_e32 vcc_lo, 0, v35
	s_or_b32 s13, vcc_lo, s13
	s_delay_alu instid0(SALU_CYCLE_1)
	s_and_not1_b32 exec_lo, exec_lo, s13
	s_cbranch_execnz .LBB1341_126
; %bb.127:                              ;   in Loop: Header=BB1341_123 Depth=1
	s_or_b32 exec_lo, exec_lo, s13
.LBB1341_128:                           ;   in Loop: Header=BB1341_123 Depth=1
	s_delay_alu instid0(SALU_CYCLE_1)
	s_or_b32 exec_lo, exec_lo, s12
	v_dual_mov_b32 v28, s21 :: v_dual_mov_b32 v66, s20
	v_cmp_eq_u16_e32 vcc_lo, 1, v35
	global_wb scope:SCOPE_DEV
	s_wait_storecnt 0x0
	global_inv scope:SCOPE_DEV
	s_mov_b32 s12, exec_lo
	v_cndmask_b32_e32 v29, s23, v28, vcc_lo
	v_cndmask_b32_e32 v28, s22, v66, vcc_lo
	v_cmp_eq_u16_e32 vcc_lo, 2, v35
	s_delay_alu instid0(VALU_DEP_2)
	v_lshl_add_u64 v[68:69], v[24:25], 4, v[28:29]
	v_and_or_b32 v66, vcc_lo, v37, 0x80000000
	s_clause 0x1
	global_load_u8 v67, v[68:69], off offset:8
	global_load_b64 v[28:29], v[68:69], off
	v_ctz_i32_b32_e32 v66, v66
	s_wait_loadcnt 0x1
	s_wait_xcnt 0x0
	v_and_b32_e32 v68, 1, v67
	s_wait_loadcnt 0x0
	ds_bpermute_b32 v70, v36, v28
	ds_bpermute_b32 v71, v36, v29
	;; [unrolled: 1-line block ×3, first 2 shown]
	v_cmpx_lt_u32_e64 v46, v66
	s_cbranch_execz .LBB1341_130
; %bb.129:                              ;   in Loop: Header=BB1341_123 Depth=1
	v_and_b32_e32 v68, 0xff, v67
	s_wait_dscnt 0x0
	v_bitop3_b16 v67, v69, v67, 1 bitop3:0xec
	s_delay_alu instid0(VALU_DEP_2) | instskip(NEXT) | instid1(VALU_DEP_2)
	v_cmp_eq_u16_e32 vcc_lo, 0, v68
	v_and_b32_e32 v68, 0xff, v67
	v_dual_cndmask_b32 v71, 0, v71 :: v_dual_cndmask_b32 v70, 0, v70
	s_delay_alu instid0(VALU_DEP_1)
	v_add_nc_u64_e32 v[28:29], v[70:71], v[28:29]
.LBB1341_130:                           ;   in Loop: Header=BB1341_123 Depth=1
	s_or_b32 exec_lo, exec_lo, s12
	s_wait_dscnt 0x0
	ds_bpermute_b32 v69, v38, v28
	ds_bpermute_b32 v70, v38, v29
	;; [unrolled: 1-line block ×3, first 2 shown]
	v_and_b32_e32 v72, 1, v67
	s_mov_b32 s12, exec_lo
	s_delay_alu instid0(VALU_DEP_1)
	v_cmp_eq_u32_e64 s13, 1, v72
	v_cmpx_le_u32_e64 v39, v66
	s_cbranch_execz .LBB1341_132
; %bb.131:                              ;   in Loop: Header=BB1341_123 Depth=1
	v_and_b32_e32 v67, 0xff, v67
	s_delay_alu instid0(VALU_DEP_1) | instskip(SKIP_3) | instid1(VALU_DEP_2)
	v_cmp_eq_u16_e32 vcc_lo, 0, v67
	s_wait_dscnt 0x0
	v_dual_cndmask_b32 v71, 0, v70, vcc_lo :: v_dual_bitop2_b32 v67, 1, v71 bitop3:0x40
	v_cndmask_b32_e32 v70, 0, v69, vcc_lo
	v_cmp_eq_u32_e32 vcc_lo, 1, v67
	s_delay_alu instid0(VALU_DEP_2)
	v_add_nc_u64_e32 v[28:29], v[70:71], v[28:29]
	s_or_b32 s15, s13, vcc_lo
	s_and_not1_b32 s13, s13, exec_lo
	v_cndmask_b32_e64 v67, 0, 1, s15
	v_cndmask_b32_e64 v68, 0, 1, s15
	s_and_b32 s15, s15, exec_lo
	s_delay_alu instid0(SALU_CYCLE_1)
	s_or_b32 s13, s13, s15
.LBB1341_132:                           ;   in Loop: Header=BB1341_123 Depth=1
	s_or_b32 exec_lo, exec_lo, s12
	s_wait_dscnt 0x2
	ds_bpermute_b32 v69, v40, v28
	s_wait_dscnt 0x2
	ds_bpermute_b32 v70, v40, v29
	;; [unrolled: 2-line block ×3, first 2 shown]
	s_mov_b32 s15, exec_lo
	v_cmpx_le_u32_e64 v41, v66
	s_cbranch_execz .LBB1341_134
; %bb.133:                              ;   in Loop: Header=BB1341_123 Depth=1
	v_and_b32_e32 v68, 0xff, v67
	s_and_not1_b32 s13, s13, exec_lo
	s_delay_alu instid0(VALU_DEP_1) | instskip(SKIP_3) | instid1(VALU_DEP_2)
	v_cmp_eq_u16_e32 vcc_lo, 0, v68
	v_and_b32_e32 v67, 1, v67
	s_wait_dscnt 0x0
	v_dual_cndmask_b32 v71, 0, v70, vcc_lo :: v_dual_bitop2_b32 v68, 1, v71 bitop3:0x40
	v_cmp_eq_u32_e64 s12, 1, v67
	v_cndmask_b32_e32 v70, 0, v69, vcc_lo
	s_delay_alu instid0(VALU_DEP_3) | instskip(NEXT) | instid1(VALU_DEP_2)
	v_cmp_eq_u32_e32 vcc_lo, 1, v68
	v_add_nc_u64_e32 v[28:29], v[70:71], v[28:29]
	s_or_b32 s12, s12, vcc_lo
	s_delay_alu instid0(SALU_CYCLE_1) | instskip(SKIP_2) | instid1(SALU_CYCLE_1)
	v_cndmask_b32_e64 v67, 0, 1, s12
	v_cndmask_b32_e64 v68, 0, 1, s12
	s_and_b32 s12, s12, exec_lo
	s_or_b32 s13, s13, s12
.LBB1341_134:                           ;   in Loop: Header=BB1341_123 Depth=1
	s_or_b32 exec_lo, exec_lo, s15
	s_wait_dscnt 0x2
	ds_bpermute_b32 v69, v42, v28
	s_wait_dscnt 0x2
	ds_bpermute_b32 v70, v42, v29
	s_wait_dscnt 0x2
	ds_bpermute_b32 v71, v42, v68
	s_mov_b32 s15, exec_lo
	v_cmpx_le_u32_e64 v43, v66
	s_cbranch_execz .LBB1341_136
; %bb.135:                              ;   in Loop: Header=BB1341_123 Depth=1
	v_and_b32_e32 v68, 0xff, v67
	s_and_not1_b32 s13, s13, exec_lo
	s_delay_alu instid0(VALU_DEP_1) | instskip(SKIP_3) | instid1(VALU_DEP_2)
	v_cmp_eq_u16_e32 vcc_lo, 0, v68
	v_and_b32_e32 v67, 1, v67
	s_wait_dscnt 0x0
	v_dual_cndmask_b32 v71, 0, v70, vcc_lo :: v_dual_bitop2_b32 v68, 1, v71 bitop3:0x40
	v_cmp_eq_u32_e64 s12, 1, v67
	v_cndmask_b32_e32 v70, 0, v69, vcc_lo
	s_delay_alu instid0(VALU_DEP_3) | instskip(NEXT) | instid1(VALU_DEP_2)
	v_cmp_eq_u32_e32 vcc_lo, 1, v68
	v_add_nc_u64_e32 v[28:29], v[70:71], v[28:29]
	s_or_b32 s12, s12, vcc_lo
	s_delay_alu instid0(SALU_CYCLE_1) | instskip(SKIP_2) | instid1(SALU_CYCLE_1)
	v_cndmask_b32_e64 v67, 0, 1, s12
	v_cndmask_b32_e64 v68, 0, 1, s12
	s_and_b32 s12, s12, exec_lo
	s_or_b32 s13, s13, s12
.LBB1341_136:                           ;   in Loop: Header=BB1341_123 Depth=1
	s_or_b32 exec_lo, exec_lo, s15
	s_wait_dscnt 0x2
	ds_bpermute_b32 v69, v63, v28
	s_wait_dscnt 0x2
	ds_bpermute_b32 v70, v63, v29
	ds_bpermute_b32 v68, v63, v68
	s_mov_b32 s15, exec_lo
	v_cmpx_le_u32_e64 v65, v66
	s_cbranch_execz .LBB1341_121
; %bb.137:                              ;   in Loop: Header=BB1341_123 Depth=1
	v_and_b32_e32 v66, 0xff, v67
	s_and_not1_b32 s13, s13, exec_lo
	s_delay_alu instid0(VALU_DEP_1)
	v_cmp_eq_u16_e32 vcc_lo, 0, v66
	s_wait_dscnt 0x3
	v_and_b32_e32 v71, 1, v67
	s_wait_dscnt 0x0
	v_dual_cndmask_b32 v66, 0, v69, vcc_lo :: v_dual_bitop2_b32 v68, 1, v68 bitop3:0x40
	v_cndmask_b32_e32 v67, 0, v70, vcc_lo
	s_delay_alu instid0(VALU_DEP_3) | instskip(NEXT) | instid1(VALU_DEP_3)
	v_cmp_eq_u32_e32 vcc_lo, 1, v71
	v_cmp_eq_u32_e64 s12, 1, v68
	s_delay_alu instid0(VALU_DEP_3) | instskip(SKIP_1) | instid1(SALU_CYCLE_1)
	v_add_nc_u64_e32 v[28:29], v[66:67], v[28:29]
	s_or_b32 s12, vcc_lo, s12
	s_and_b32 s12, s12, exec_lo
	s_delay_alu instid0(SALU_CYCLE_1)
	s_or_b32 s13, s13, s12
	s_branch .LBB1341_121
.LBB1341_138:
                                        ; implicit-def: $vgpr42_vgpr43
                                        ; implicit-def: $vgpr38_vgpr39
                                        ; implicit-def: $vgpr34_vgpr35
                                        ; implicit-def: $vgpr30_vgpr31
                                        ; implicit-def: $vgpr26_vgpr27
	s_cbranch_execnz .LBB1341_176
.LBB1341_139:
	s_add_nc_u64 s[0:1], s[18:19], s[28:29]
	s_and_b32 vcc_lo, exec_lo, s27
	s_add_nc_u64 s[0:1], s[0:1], s[30:31]
	s_cbranch_vccz .LBB1341_203
.LBB1341_140:
	v_mul_u32_u24_e32 v1, 10, v0
	s_add_co_i32 s33, s33, s26
	s_mov_b32 s2, exec_lo
	s_delay_alu instid0(VALU_DEP_1)
	v_cmpx_gt_u32_e64 s33, v1
	s_cbranch_execz .LBB1341_152
; %bb.141:
	v_or_b32_e32 v2, 1, v1
	s_mov_b32 s3, exec_lo
	s_delay_alu instid0(VALU_DEP_1)
	v_cmpx_gt_u32_e64 s33, v2
	s_cbranch_execz .LBB1341_151
; %bb.142:
	v_add_nc_u32_e32 v2, 2, v1
	s_mov_b32 s4, exec_lo
	s_delay_alu instid0(VALU_DEP_1)
	v_cmpx_gt_u32_e64 s33, v2
	s_cbranch_execz .LBB1341_150
; %bb.143:
	v_add_nc_u32_e32 v2, 3, v1
	;; [unrolled: 6-line block ×4, first 2 shown]
	s_mov_b32 s7, exec_lo
	s_delay_alu instid0(VALU_DEP_1)
	v_cmpx_gt_u32_e64 s33, v2
; %bb.146:
	v_add_nc_u32_e32 v2, 6, v1
	s_mov_b32 s8, exec_lo
	s_delay_alu instid0(VALU_DEP_1)
	v_cmpx_gt_u32_e64 s33, v2
	s_or_b32 exec_lo, exec_lo, s8
; %bb.147:
	s_delay_alu instid0(SALU_CYCLE_1)
	s_or_b32 exec_lo, exec_lo, s7
.LBB1341_148:
	s_delay_alu instid0(SALU_CYCLE_1)
	s_or_b32 exec_lo, exec_lo, s6
.LBB1341_149:
	s_delay_alu instid0(SALU_CYCLE_1)
	s_or_b32 exec_lo, exec_lo, s5
.LBB1341_150:
	s_delay_alu instid0(SALU_CYCLE_1)
	s_or_b32 exec_lo, exec_lo, s4
.LBB1341_151:
	s_delay_alu instid0(SALU_CYCLE_1)
	s_or_b32 exec_lo, exec_lo, s3
.LBB1341_152:
	s_delay_alu instid0(SALU_CYCLE_1)
	s_or_b32 exec_lo, exec_lo, s2
	v_dual_lshlrev_b32 v1, 3, v1 :: v_dual_mov_b32 v3, 0
	s_wait_storecnt 0x0
	s_wait_loadcnt_dscnt 0x0
	s_barrier_signal -1
	s_barrier_wait -1
	v_mad_i32_i24 v2, 0xffffffb8, v0, v1
	ds_store_b128 v1, v[24:27]
	ds_store_b128 v1, v[28:31] offset:16
	ds_store_b128 v1, v[32:35] offset:32
	;; [unrolled: 1-line block ×4, first 2 shown]
	s_wait_dscnt 0x0
	s_barrier_signal -1
	s_barrier_wait -1
	ds_load_2addr_stride64_b64 v[18:21], v2 offset0:2 offset1:4
	ds_load_2addr_stride64_b64 v[14:17], v2 offset0:6 offset1:8
	;; [unrolled: 1-line block ×4, first 2 shown]
	ds_load_b64 v[4:5], v2 offset:9216
	v_lshlrev_b32_e32 v2, 3, v0
	s_mov_b32 s2, exec_lo
	s_delay_alu instid0(VALU_DEP_1)
	v_add_nc_u64_e32 v[2:3], s[0:1], v[2:3]
	v_cmpx_gt_u32_e64 s33, v0
	s_cbranch_execz .LBB1341_154
; %bb.153:
	v_mul_i32_i24_e32 v22, 0xffffffb8, v0
	s_delay_alu instid0(VALU_DEP_1)
	v_add_nc_u32_e32 v1, v1, v22
	ds_load_b64 v[22:23], v1
	s_wait_dscnt 0x0
	flat_store_b64 v[2:3], v[22:23]
.LBB1341_154:
	s_wait_xcnt 0x0
	s_or_b32 exec_lo, exec_lo, s2
	v_or_b32_e32 v1, 0x80, v0
	s_mov_b32 s2, exec_lo
	s_delay_alu instid0(VALU_DEP_1)
	v_cmpx_gt_u32_e64 s33, v1
	s_cbranch_execz .LBB1341_156
; %bb.155:
	s_wait_dscnt 0x4
	flat_store_b64 v[2:3], v[18:19] offset:1024
.LBB1341_156:
	s_wait_xcnt 0x0
	s_or_b32 exec_lo, exec_lo, s2
	v_or_b32_e32 v1, 0x100, v0
	s_mov_b32 s2, exec_lo
	s_delay_alu instid0(VALU_DEP_1)
	v_cmpx_gt_u32_e64 s33, v1
	s_cbranch_execz .LBB1341_158
; %bb.157:
	s_wait_dscnt 0x4
	flat_store_b64 v[2:3], v[20:21] offset:2048
.LBB1341_158:
	;; [unrolled: 11-line block ×8, first 2 shown]
	s_wait_xcnt 0x0
	s_or_b32 exec_lo, exec_lo, s2
	v_or_b32_e32 v1, 0x480, v0
	s_delay_alu instid0(VALU_DEP_1)
	v_cmp_gt_u32_e64 s2, s33, v1
	s_branch .LBB1341_205
.LBB1341_171:
	s_and_saveexec_b32 s12, s11
	s_cbranch_execz .LBB1341_173
; %bb.172:
	v_and_b32_e32 v24, 0xff, v34
	s_add_co_i32 s16, s44, 32
	s_mov_b32 s17, 0
	v_mov_b32_e32 v29, s16
	v_bitop3_b16 v28, v34, 1, v64 bitop3:0xc8
	v_cmp_eq_u32_e32 vcc_lo, 0, v24
	s_lshl_b64 s[20:21], s[16:17], 4
	s_delay_alu instid0(SALU_CYCLE_1) | instskip(SKIP_1) | instid1(VALU_DEP_1)
	s_add_nc_u64 s[16:17], s[22:23], s[20:21]
	v_dual_cndmask_b32 v25, 0, v27 :: v_dual_cndmask_b32 v24, 0, v26
	v_add_nc_u64_e32 v[16:17], v[24:25], v[16:17]
	v_dual_mov_b32 v24, 0 :: v_dual_mov_b32 v25, 2
	s_clause 0x1
	global_store_b64 v24, v[16:17], s[16:17]
	global_store_b8 v24, v28, s[16:17] offset:8
	global_wb scope:SCOPE_DEV
	s_wait_storecnt_dscnt 0x0
	global_inv scope:SCOPE_DEV
	s_wait_xcnt 0x0
	global_store_b8 v29, v25, s[24:25] scope:SCOPE_DEV
.LBB1341_173:
	s_wait_xcnt 0x0
	s_or_b32 exec_lo, exec_lo, s12
	s_delay_alu instid0(SALU_CYCLE_1)
	s_and_b32 exec_lo, exec_lo, s2
	s_cbranch_execz .LBB1341_175
; %bb.174:
	v_mov_b32_e32 v16, 0
	ds_store_b64 v16, v[26:27] offset:48
	ds_store_b8 v16, v64 offset:56
.LBB1341_175:
	s_or_b32 exec_lo, exec_lo, s14
	s_wait_dscnt 0x0
	v_dual_cndmask_b32 v16, v33, v31, s11 :: v_dual_bitop2_b32 v17, 1, v1 bitop3:0x40
	s_wait_loadcnt 0x0
	s_wait_storecnt 0x0
	s_barrier_signal -1
	s_barrier_wait -1
	v_dual_mov_b32 v24, 0 :: v_dual_bitop2_b32 v16, 1, v16 bitop3:0x40
	v_cmp_eq_u32_e32 vcc_lo, 1, v17
	v_and_b32_e32 v25, 0xff, v1
	s_delay_alu instid0(VALU_DEP_3)
	v_cmp_eq_u32_e64 s12, 1, v16
	ds_load_b64 v[16:17], v24 offset:48
	v_dual_cndmask_b32 v5, v32, v5, s11 :: v_dual_cndmask_b32 v4, v30, v4, s11
	s_or_b32 s12, vcc_lo, s12
	v_cmp_eq_u16_e32 vcc_lo, 0, v25
	v_cndmask_b32_e64 v24, 0, 1, s12
	s_delay_alu instid0(VALU_DEP_3) | instskip(NEXT) | instid1(VALU_DEP_2)
	v_cndmask_b32_e32 v5, 0, v5, vcc_lo
	v_dual_cndmask_b32 v24, v24, v1, s2 :: v_dual_cndmask_b32 v4, 0, v4, vcc_lo
	s_delay_alu instid0(VALU_DEP_1) | instskip(NEXT) | instid1(VALU_DEP_2)
	v_and_b32_e32 v24, 0xff, v24
	v_cndmask_b32_e64 v4, v4, 0, s2
	s_delay_alu instid0(VALU_DEP_2) | instskip(SKIP_4) | instid1(VALU_DEP_2)
	v_cmp_eq_u16_e32 vcc_lo, 0, v24
	s_wait_dscnt 0x0
	v_cndmask_b32_e32 v16, 0, v16, vcc_lo
	v_cndmask_b32_e64 v5, v5, 0, s2
	v_cndmask_b32_e32 v17, 0, v17, vcc_lo
	v_add_nc_u64_e32 v[4:5], v[4:5], v[2:3]
	s_delay_alu instid0(VALU_DEP_1) | instskip(NEXT) | instid1(VALU_DEP_1)
	v_add_nc_u64_e32 v[24:25], v[4:5], v[16:17]
	v_dual_cndmask_b32 v5, 0, v25, s1 :: v_dual_cndmask_b32 v4, 0, v24, s1
	s_delay_alu instid0(VALU_DEP_1) | instskip(NEXT) | instid1(VALU_DEP_1)
	v_add_nc_u64_e32 v[26:27], v[4:5], v[6:7]
	v_dual_cndmask_b32 v5, 0, v27, s4 :: v_dual_cndmask_b32 v4, 0, v26, s4
	;; [unrolled: 3-line block ×9, first 2 shown]
	s_delay_alu instid0(VALU_DEP_1)
	v_add_nc_u64_e32 v[42:43], v[4:5], v[8:9]
	s_branch .LBB1341_139
.LBB1341_176:
	s_cmp_lg_u64 s[34:35], 0
	s_cselect_b32 s0, -1, 0
	s_cmp_lg_u64 s[38:39], 0
	s_cselect_b32 s1, -1, 0
	s_delay_alu instid0(SALU_CYCLE_1) | instskip(NEXT) | instid1(SALU_CYCLE_1)
	s_and_b32 s0, s0, s1
	s_and_b32 s1, s2, s0
	s_delay_alu instid0(SALU_CYCLE_1)
	s_and_saveexec_b32 s0, s1
	s_cbranch_execz .LBB1341_178
; %bb.177:
	v_mov_b32_e32 v16, 0
	s_clause 0x1
	global_load_b64 v[4:5], v16, s[38:39]
	global_load_u8 v17, v16, s[38:39] offset:8
	s_wait_xcnt 0x0
	v_and_b32_e32 v16, 0xff, v1
	s_delay_alu instid0(VALU_DEP_1) | instskip(SKIP_4) | instid1(VALU_DEP_2)
	v_cmp_eq_u16_e32 vcc_lo, 0, v16
	s_wait_loadcnt 0x1
	v_dual_cndmask_b32 v5, 0, v5 :: v_dual_cndmask_b32 v4, 0, v4
	s_wait_loadcnt 0x0
	v_bitop3_b16 v1, v1, 1, v17 bitop3:0xc8
	v_add_nc_u64_e32 v[2:3], v[4:5], v[2:3]
.LBB1341_178:
	s_or_b32 exec_lo, exec_lo, s0
	v_cmp_eq_u16_e32 vcc_lo, 0, v62
	v_cmp_eq_u16_e64 s0, 0, v61
	v_cmp_eq_u16_e64 s1, 0, v60
	v_cmp_eq_u16_e64 s4, 0, v58
	v_cmp_eq_u16_e64 s5, 0, v59
	v_dual_cndmask_b32 v5, 0, v3 :: v_dual_cndmask_b32 v4, 0, v2
	v_cmp_eq_u16_e64 s6, 0, v57
	v_cmp_eq_u16_e64 s7, 0, v56
	;; [unrolled: 1-line block ×3, first 2 shown]
	v_bitop3_b16 v16, v1, 0xff, v47 bitop3:0xc8
	v_add_nc_u64_e32 v[26:27], v[4:5], v[6:7]
	v_cmp_eq_u16_e64 s9, 0, v48
	v_cmp_ne_u16_e64 s11, 0, v53
	v_cmp_eq_u32_e64 s12, 1, v51
	v_cmp_ne_u16_e64 s13, 0, v54
	v_cmp_eq_u32_e64 s14, 1, v50
	v_cmp_eq_u32_e64 s15, 1, v49
	v_dual_cndmask_b32 v5, 0, v27, s0 :: v_dual_cndmask_b32 v4, 0, v26, s0
	v_cmp_eq_u32_e64 s10, 1, v52
	v_cmp_ne_u16_e64 s16, 0, v16
	s_or_b32 s11, s11, s12
	s_or_b32 s12, s13, s14
	v_add_nc_u64_e32 v[28:29], v[4:5], v[12:13]
	s_or_b32 s12, s15, s12
	s_or_b32 s10, s16, s10
	;; [unrolled: 1-line block ×3, first 2 shown]
	s_mov_b32 s12, exec_lo
	s_or_b32 s11, s11, s10
	s_delay_alu instid0(VALU_DEP_1) | instskip(SKIP_1) | instid1(VALU_DEP_2)
	v_dual_cndmask_b32 v5, 0, v29, s1 :: v_dual_cndmask_b32 v4, 0, v28, s1
	v_cndmask_b32_e64 v24, 0, 1, s11
	v_add_nc_u64_e32 v[30:31], v[4:5], v[10:11]
	s_delay_alu instid0(VALU_DEP_2) | instskip(NEXT) | instid1(VALU_DEP_2)
	v_mov_b32_dpp v47, v24 row_shr:1 row_mask:0xf bank_mask:0xf
	v_dual_cndmask_b32 v5, 0, v31, s4 :: v_dual_cndmask_b32 v4, 0, v30, s4
	s_delay_alu instid0(VALU_DEP_1) | instskip(NEXT) | instid1(VALU_DEP_1)
	v_add_nc_u64_e32 v[32:33], v[4:5], v[20:21]
	v_dual_cndmask_b32 v5, 0, v33, s5 :: v_dual_cndmask_b32 v4, 0, v32, s5
	s_delay_alu instid0(VALU_DEP_1) | instskip(NEXT) | instid1(VALU_DEP_1)
	v_add_nc_u64_e32 v[34:35], v[4:5], v[18:19]
	;; [unrolled: 3-line block ×6, first 2 shown]
	v_dual_mov_b32 v17, v43 :: v_dual_bitop2_b32 v25, 15, v46 bitop3:0x40
	s_delay_alu instid0(VALU_DEP_2)
	v_mov_b64_e32 v[4:5], v[42:43]
	v_mov_b32_dpp v48, v42 row_shr:1 row_mask:0xf bank_mask:0xf
	v_mov_b32_e32 v16, v42
	v_mov_b32_dpp v49, v43 row_shr:1 row_mask:0xf bank_mask:0xf
	v_cmpx_ne_u32_e32 0, v25
; %bb.179:
	s_delay_alu instid0(VALU_DEP_2) | instskip(SKIP_2) | instid1(VALU_DEP_2)
	v_cndmask_b32_e64 v5, v49, 0, s11
	v_cndmask_b32_e64 v4, v48, 0, s11
	v_and_or_b32 v24, v47, 1, v24
	v_add_nc_u64_e32 v[4:5], v[42:43], v[4:5]
	s_delay_alu instid0(VALU_DEP_1)
	v_dual_mov_b32 v17, v5 :: v_dual_mov_b32 v16, v4
; %bb.180:
	s_or_b32 exec_lo, exec_lo, s12
	s_delay_alu instid0(VALU_DEP_1) | instskip(NEXT) | instid1(VALU_DEP_2)
	v_mov_b32_dpp v48, v16 row_shr:2 row_mask:0xf bank_mask:0xf
	v_mov_b32_dpp v49, v17 row_shr:2 row_mask:0xf bank_mask:0xf
	;; [unrolled: 1-line block ×3, first 2 shown]
	s_mov_b32 s11, exec_lo
	v_cmpx_lt_u32_e32 1, v25
; %bb.181:
	v_cmp_eq_u16_e64 s10, 0, v24
	s_delay_alu instid0(VALU_DEP_3) | instskip(NEXT) | instid1(VALU_DEP_2)
	v_bitop3_b32 v24, v47, 1, v24 bitop3:0xc8
	v_dual_cndmask_b32 v17, 0, v49, s10 :: v_dual_cndmask_b32 v16, 0, v48, s10
	s_delay_alu instid0(VALU_DEP_1) | instskip(NEXT) | instid1(VALU_DEP_1)
	v_add_nc_u64_e32 v[16:17], v[16:17], v[4:5]
	v_mov_b64_e32 v[4:5], v[16:17]
; %bb.182:
	s_or_b32 exec_lo, exec_lo, s11
	v_mov_b32_dpp v48, v16 row_shr:4 row_mask:0xf bank_mask:0xf
	v_mov_b32_dpp v49, v17 row_shr:4 row_mask:0xf bank_mask:0xf
	;; [unrolled: 1-line block ×3, first 2 shown]
	s_mov_b32 s11, exec_lo
	v_cmpx_lt_u32_e32 3, v25
; %bb.183:
	v_cmp_eq_u16_e64 s10, 0, v24
	s_delay_alu instid0(VALU_DEP_3) | instskip(NEXT) | instid1(VALU_DEP_2)
	v_bitop3_b32 v24, v47, 1, v24 bitop3:0xc8
	v_dual_cndmask_b32 v17, 0, v49, s10 :: v_dual_cndmask_b32 v16, 0, v48, s10
	s_delay_alu instid0(VALU_DEP_1) | instskip(NEXT) | instid1(VALU_DEP_1)
	v_add_nc_u64_e32 v[16:17], v[16:17], v[4:5]
	v_mov_b64_e32 v[4:5], v[16:17]
; %bb.184:
	s_or_b32 exec_lo, exec_lo, s11
	v_mov_b32_dpp v48, v16 row_shr:8 row_mask:0xf bank_mask:0xf
	v_mov_b32_dpp v49, v17 row_shr:8 row_mask:0xf bank_mask:0xf
	;; [unrolled: 1-line block ×3, first 2 shown]
	s_mov_b32 s11, exec_lo
	v_cmpx_lt_u32_e32 7, v25
; %bb.185:
	v_cmp_eq_u16_e64 s10, 0, v24
	s_delay_alu instid0(VALU_DEP_3) | instskip(NEXT) | instid1(VALU_DEP_2)
	v_bitop3_b32 v24, v47, 1, v24 bitop3:0xc8
	v_dual_cndmask_b32 v17, 0, v49, s10 :: v_dual_cndmask_b32 v16, 0, v48, s10
	s_delay_alu instid0(VALU_DEP_1) | instskip(NEXT) | instid1(VALU_DEP_1)
	v_add_nc_u64_e32 v[4:5], v[16:17], v[4:5]
	v_dual_mov_b32 v17, v5 :: v_dual_mov_b32 v16, v4
; %bb.186:
	s_or_b32 exec_lo, exec_lo, s11
	ds_swizzle_b32 v16, v16 offset:swizzle(BROADCAST,32,15)
	ds_swizzle_b32 v17, v17 offset:swizzle(BROADCAST,32,15)
	;; [unrolled: 1-line block ×3, first 2 shown]
	v_and_b32_e32 v25, 16, v46
	s_delay_alu instid0(VALU_DEP_1)
	v_cmp_ne_u32_e64 s10, 0, v25
	v_mov_b32_e32 v25, v24
	s_and_saveexec_b32 s12, s10
	s_cbranch_execz .LBB1341_188
; %bb.187:
	v_cmp_eq_u16_e64 s10, 0, v24
	v_and_b32_e32 v24, 1, v24
	s_wait_dscnt 0x0
	s_delay_alu instid0(VALU_DEP_2) | instskip(SKIP_1) | instid1(VALU_DEP_3)
	v_dual_cndmask_b32 v16, 0, v16, s10 :: v_dual_bitop2_b32 v25, 1, v47 bitop3:0x40
	v_cndmask_b32_e64 v17, 0, v17, s10
	v_cmp_eq_u32_e64 s10, 1, v24
	s_delay_alu instid0(VALU_DEP_3) | instskip(NEXT) | instid1(VALU_DEP_3)
	v_cmp_eq_u32_e64 s11, 1, v25
	v_add_nc_u64_e32 v[4:5], v[16:17], v[4:5]
	s_or_b32 s10, s10, s11
	s_delay_alu instid0(SALU_CYCLE_1)
	v_cndmask_b32_e64 v24, 0, 1, s10
	v_cndmask_b32_e64 v25, 0, 1, s10
.LBB1341_188:
	s_or_b32 exec_lo, exec_lo, s12
	s_wait_dscnt 0x0
	v_dual_lshrrev_b32 v47, 5, v0 :: v_dual_bitop2_b32 v16, 31, v0 bitop3:0x54
	s_mov_b32 s11, exec_lo
	s_delay_alu instid0(VALU_DEP_1)
	v_cmpx_eq_u32_e64 v0, v16
	s_cbranch_execz .LBB1341_190
; %bb.189:
	s_delay_alu instid0(VALU_DEP_2)
	v_lshlrev_b32_e32 v16, 4, v47
	ds_store_b64 v16, v[4:5]
	ds_store_b8 v16, v24 offset:8
.LBB1341_190:
	s_or_b32 exec_lo, exec_lo, s11
	s_delay_alu instid0(SALU_CYCLE_1)
	s_mov_b32 s12, exec_lo
	s_wait_dscnt 0x0
	s_barrier_signal -1
	s_barrier_wait -1
	v_cmpx_gt_u32_e32 4, v0
	s_cbranch_execz .LBB1341_196
; %bb.191:
	v_dual_lshlrev_b32 v24, 4, v0 :: v_dual_bitop2_b32 v49, 3, v46 bitop3:0x40
	s_mov_b32 s11, exec_lo
	ds_load_b64 v[16:17], v24
	ds_load_b32 v48, v24 offset:8
	s_wait_dscnt 0x1
	v_mov_b32_dpp v53, v16 row_shr:1 row_mask:0xf bank_mask:0xf
	v_mov_b32_dpp v54, v17 row_shr:1 row_mask:0xf bank_mask:0xf
	s_wait_dscnt 0x0
	v_mov_b32_dpp v52, v48 row_shr:1 row_mask:0xf bank_mask:0xf
	v_dual_mov_b32 v51, v48 :: v_dual_mov_b32 v50, v48
	v_cmpx_ne_u32_e32 0, v49
	s_cbranch_execz .LBB1341_193
; %bb.192:
	v_and_b32_e32 v50, 0xff, v48
	v_or_b32_e32 v51, v52, v48
	s_delay_alu instid0(VALU_DEP_2) | instskip(SKIP_1) | instid1(VALU_DEP_2)
	v_cmp_eq_u16_e64 s10, 0, v50
	v_bitop3_b32 v50, v52, 1, v48 bitop3:0xc8
	v_dual_cndmask_b32 v55, 0, v54, s10 :: v_dual_bitop2_b32 v51, 1, v51 bitop3:0x40
	v_cndmask_b32_e64 v54, 0, v53, s10
	s_delay_alu instid0(VALU_DEP_3) | instskip(NEXT) | instid1(VALU_DEP_2)
	v_and_or_b32 v48, 0xffffff00, v48, v50
	v_add_nc_u64_e32 v[16:17], v[54:55], v[16:17]
.LBB1341_193:
	s_or_b32 exec_lo, exec_lo, s11
	s_delay_alu instid0(VALU_DEP_1) | instskip(NEXT) | instid1(VALU_DEP_2)
	v_mov_b32_dpp v52, v16 row_shr:2 row_mask:0xf bank_mask:0xf
	v_mov_b32_dpp v53, v17 row_shr:2 row_mask:0xf bank_mask:0xf
	v_mov_b32_dpp v48, v48 row_shr:2 row_mask:0xf bank_mask:0xf
	s_mov_b32 s13, exec_lo
	v_cmpx_lt_u32_e32 1, v49
	s_cbranch_execz .LBB1341_195
; %bb.194:
	v_and_b32_e32 v49, 0xff, v50
	v_and_b32_e32 v51, 1, v48
	s_delay_alu instid0(VALU_DEP_2) | instskip(SKIP_1) | instid1(VALU_DEP_3)
	v_cmp_eq_u16_e64 s10, 0, v49
	v_and_b32_e32 v50, 1, v50
	v_cmp_eq_u32_e64 s11, 1, v51
	s_delay_alu instid0(VALU_DEP_3) | instskip(NEXT) | instid1(VALU_DEP_3)
	v_dual_cndmask_b32 v49, 0, v53, s10 :: v_dual_cndmask_b32 v48, 0, v52, s10
	v_cmp_eq_u32_e64 s10, 1, v50
	s_delay_alu instid0(VALU_DEP_2) | instskip(SKIP_1) | instid1(SALU_CYCLE_1)
	v_add_nc_u64_e32 v[16:17], v[48:49], v[16:17]
	s_or_b32 s10, s10, s11
	v_cndmask_b32_e64 v51, 0, 1, s10
.LBB1341_195:
	s_or_b32 exec_lo, exec_lo, s13
	ds_store_b64 v24, v[16:17]
	ds_store_b8 v24, v51 offset:8
.LBB1341_196:
	s_or_b32 exec_lo, exec_lo, s12
	v_mov_b64_e32 v[16:17], 0
	s_mov_b32 s11, exec_lo
	s_wait_dscnt 0x0
	s_barrier_signal -1
	s_barrier_wait -1
	v_cmpx_lt_u32_e32 31, v0
	s_cbranch_execz .LBB1341_198
; %bb.197:
	v_lshl_add_u32 v16, v47, 4, -16
	v_cmp_eq_u32_e64 s10, 0, v25
	ds_load_b64 v[16:17], v16
	s_wait_dscnt 0x0
	v_dual_cndmask_b32 v25, 0, v17, s10 :: v_dual_cndmask_b32 v24, 0, v16, s10
	s_delay_alu instid0(VALU_DEP_1)
	v_add_nc_u64_e32 v[4:5], v[24:25], v[4:5]
.LBB1341_198:
	s_or_b32 exec_lo, exec_lo, s11
	v_add_nc_u32_e32 v24, -1, v46
	s_delay_alu instid0(VALU_DEP_1) | instskip(NEXT) | instid1(VALU_DEP_1)
	v_cmp_gt_i32_e64 s10, 0, v24
	v_cndmask_b32_e64 v24, v24, v46, s10
	s_delay_alu instid0(VALU_DEP_1)
	v_lshlrev_b32_e32 v24, 2, v24
	ds_bpermute_b32 v4, v24, v4
	ds_bpermute_b32 v5, v24, v5
	s_and_saveexec_b32 s10, s3
	s_cbranch_execz .LBB1341_200
; %bb.199:
	v_cmp_eq_u32_e64 s3, 0, v46
	v_and_b32_e32 v1, 0xff, v1
	;;#ASMSTART
	;;#ASMEND
	s_wait_dscnt 0x0
	s_delay_alu instid0(VALU_DEP_2) | instskip(NEXT) | instid1(VALU_DEP_2)
	v_dual_cndmask_b32 v4, v4, v16, s3 :: v_dual_cndmask_b32 v5, v5, v17, s3
	v_cmp_eq_u16_e64 s3, 0, v1
	s_delay_alu instid0(VALU_DEP_1) | instskip(NEXT) | instid1(VALU_DEP_1)
	v_dual_cndmask_b32 v5, 0, v5, s3 :: v_dual_cndmask_b32 v4, 0, v4, s3
	v_add_nc_u64_e32 v[2:3], v[4:5], v[2:3]
	s_delay_alu instid0(VALU_DEP_1) | instskip(NEXT) | instid1(VALU_DEP_1)
	v_dual_cndmask_b32 v5, 0, v3 :: v_dual_cndmask_b32 v4, 0, v2
	v_add_nc_u64_e32 v[26:27], v[4:5], v[6:7]
	s_delay_alu instid0(VALU_DEP_1) | instskip(NEXT) | instid1(VALU_DEP_1)
	v_dual_cndmask_b32 v5, 0, v27, s0 :: v_dual_cndmask_b32 v4, 0, v26, s0
	v_add_nc_u64_e32 v[28:29], v[4:5], v[12:13]
	s_delay_alu instid0(VALU_DEP_1) | instskip(NEXT) | instid1(VALU_DEP_1)
	v_dual_cndmask_b32 v5, 0, v29, s1 :: v_dual_cndmask_b32 v4, 0, v28, s1
	;; [unrolled: 3-line block ×8, first 2 shown]
	v_add_nc_u64_e32 v[42:43], v[4:5], v[8:9]
.LBB1341_200:
	s_or_b32 exec_lo, exec_lo, s10
	s_and_saveexec_b32 s0, s2
	s_cbranch_execz .LBB1341_202
; %bb.201:
	v_dual_mov_b32 v1, 0 :: v_dual_mov_b32 v7, 2
	s_wait_dscnt 0x0
	ds_load_b64 v[4:5], v1 offset:48
	ds_load_u8 v6, v1 offset:56
	s_wait_dscnt 0x1
	global_store_b64 v1, v[4:5], s[22:23] offset:512
	s_wait_dscnt 0x0
	global_store_b8 v1, v6, s[22:23] offset:520
	global_wb scope:SCOPE_DEV
	s_wait_storecnt 0x0
	global_inv scope:SCOPE_DEV
	s_wait_xcnt 0x0
	global_store_b8 v1, v7, s[24:25] offset:32 scope:SCOPE_DEV
.LBB1341_202:
	s_wait_xcnt 0x0
	s_or_b32 exec_lo, exec_lo, s0
	v_mov_b64_e32 v[24:25], v[2:3]
	s_add_nc_u64 s[0:1], s[18:19], s[28:29]
	s_and_b32 vcc_lo, exec_lo, s27
	s_add_nc_u64 s[0:1], s[0:1], s[30:31]
	s_cbranch_vccnz .LBB1341_140
.LBB1341_203:
	s_mov_b32 s2, 0
                                        ; implicit-def: $vgpr4_vgpr5
	s_cbranch_execz .LBB1341_205
; %bb.204:
	v_mul_u32_u24_e32 v1, 0x50, v0
	v_mul_i32_i24_e32 v2, 0xffffffb8, v0
	s_wait_storecnt 0x0
	s_wait_loadcnt_dscnt 0x0
	s_barrier_signal -1
	s_barrier_wait -1
	ds_store_b128 v1, v[24:27]
	ds_store_b128 v1, v[28:31] offset:16
	ds_store_b128 v1, v[32:35] offset:32
	;; [unrolled: 1-line block ×4, first 2 shown]
	v_mad_u32_u24 v1, 0x50, v0, v2
	s_wait_dscnt 0x0
	s_barrier_signal -1
	s_barrier_wait -1
	ds_load_2addr_stride64_b64 v[6:9], v1 offset1:2
	ds_load_2addr_stride64_b64 v[10:13], v1 offset0:4 offset1:6
	ds_load_2addr_stride64_b64 v[14:17], v1 offset0:8 offset1:10
	;; [unrolled: 1-line block ×4, first 2 shown]
	s_or_b32 s2, s2, exec_lo
	s_wait_dscnt 0x4
	s_clause 0x1
	flat_store_b64 v0, v[6:7], s[0:1] scale_offset
	flat_store_b64 v0, v[8:9], s[0:1] offset:1024 scale_offset
	s_wait_dscnt 0x5
	s_clause 0x1
	flat_store_b64 v0, v[10:11], s[0:1] offset:2048 scale_offset
	flat_store_b64 v0, v[12:13], s[0:1] offset:3072 scale_offset
	s_wait_dscnt 0x6
	s_clause 0x1
	flat_store_b64 v0, v[14:15], s[0:1] offset:4096 scale_offset
	;; [unrolled: 4-line block ×3, first 2 shown]
	flat_store_b64 v0, v[20:21], s[0:1] offset:7168 scale_offset
	s_wait_dscnt 0x8
	flat_store_b64 v0, v[2:3], s[0:1] offset:8192 scale_offset
.LBB1341_205:
	s_wait_xcnt 0x0
	s_delay_alu instid0(VALU_DEP_1)
	s_and_saveexec_b32 s3, s2
	s_cbranch_execnz .LBB1341_207
; %bb.206:
	s_sendmsg sendmsg(MSG_DEALLOC_VGPRS)
	s_endpgm
.LBB1341_207:
	s_wait_dscnt 0x0
	flat_store_b64 v0, v[4:5], s[0:1] offset:9216 scale_offset
	s_sendmsg sendmsg(MSG_DEALLOC_VGPRS)
	s_endpgm
	.section	.rodata,"a",@progbits
	.p2align	6, 0x0
	.amdhsa_kernel _ZN7rocprim17ROCPRIM_400000_NS6detail17trampoline_kernelINS0_14default_configENS1_27scan_by_key_config_selectorIixEEZZNS1_16scan_by_key_implILNS1_25lookback_scan_determinismE0ELb0ES3_N6thrust23THRUST_200600_302600_NS6detail15normal_iteratorINS9_10device_ptrIiEEEENSB_INSC_IxEEEESG_xNS9_4plusIvEENS9_8equal_toIvEExEE10hipError_tPvRmT2_T3_T4_T5_mT6_T7_P12ihipStream_tbENKUlT_T0_E_clISt17integral_constantIbLb0EES10_IbLb1EEEEDaSW_SX_EUlSW_E_NS1_11comp_targetILNS1_3genE0ELNS1_11target_archE4294967295ELNS1_3gpuE0ELNS1_3repE0EEENS1_30default_config_static_selectorELNS0_4arch9wavefront6targetE0EEEvT1_
		.amdhsa_group_segment_fixed_size 10240
		.amdhsa_private_segment_fixed_size 0
		.amdhsa_kernarg_size 136
		.amdhsa_user_sgpr_count 2
		.amdhsa_user_sgpr_dispatch_ptr 0
		.amdhsa_user_sgpr_queue_ptr 0
		.amdhsa_user_sgpr_kernarg_segment_ptr 1
		.amdhsa_user_sgpr_dispatch_id 0
		.amdhsa_user_sgpr_kernarg_preload_length 0
		.amdhsa_user_sgpr_kernarg_preload_offset 0
		.amdhsa_user_sgpr_private_segment_size 0
		.amdhsa_wavefront_size32 1
		.amdhsa_uses_dynamic_stack 0
		.amdhsa_enable_private_segment 0
		.amdhsa_system_sgpr_workgroup_id_x 1
		.amdhsa_system_sgpr_workgroup_id_y 0
		.amdhsa_system_sgpr_workgroup_id_z 0
		.amdhsa_system_sgpr_workgroup_info 0
		.amdhsa_system_vgpr_workitem_id 0
		.amdhsa_next_free_vgpr 73
		.amdhsa_next_free_sgpr 46
		.amdhsa_named_barrier_count 0
		.amdhsa_reserve_vcc 1
		.amdhsa_float_round_mode_32 0
		.amdhsa_float_round_mode_16_64 0
		.amdhsa_float_denorm_mode_32 3
		.amdhsa_float_denorm_mode_16_64 3
		.amdhsa_fp16_overflow 0
		.amdhsa_memory_ordered 1
		.amdhsa_forward_progress 1
		.amdhsa_inst_pref_size 88
		.amdhsa_round_robin_scheduling 0
		.amdhsa_exception_fp_ieee_invalid_op 0
		.amdhsa_exception_fp_denorm_src 0
		.amdhsa_exception_fp_ieee_div_zero 0
		.amdhsa_exception_fp_ieee_overflow 0
		.amdhsa_exception_fp_ieee_underflow 0
		.amdhsa_exception_fp_ieee_inexact 0
		.amdhsa_exception_int_div_zero 0
	.end_amdhsa_kernel
	.section	.text._ZN7rocprim17ROCPRIM_400000_NS6detail17trampoline_kernelINS0_14default_configENS1_27scan_by_key_config_selectorIixEEZZNS1_16scan_by_key_implILNS1_25lookback_scan_determinismE0ELb0ES3_N6thrust23THRUST_200600_302600_NS6detail15normal_iteratorINS9_10device_ptrIiEEEENSB_INSC_IxEEEESG_xNS9_4plusIvEENS9_8equal_toIvEExEE10hipError_tPvRmT2_T3_T4_T5_mT6_T7_P12ihipStream_tbENKUlT_T0_E_clISt17integral_constantIbLb0EES10_IbLb1EEEEDaSW_SX_EUlSW_E_NS1_11comp_targetILNS1_3genE0ELNS1_11target_archE4294967295ELNS1_3gpuE0ELNS1_3repE0EEENS1_30default_config_static_selectorELNS0_4arch9wavefront6targetE0EEEvT1_,"axG",@progbits,_ZN7rocprim17ROCPRIM_400000_NS6detail17trampoline_kernelINS0_14default_configENS1_27scan_by_key_config_selectorIixEEZZNS1_16scan_by_key_implILNS1_25lookback_scan_determinismE0ELb0ES3_N6thrust23THRUST_200600_302600_NS6detail15normal_iteratorINS9_10device_ptrIiEEEENSB_INSC_IxEEEESG_xNS9_4plusIvEENS9_8equal_toIvEExEE10hipError_tPvRmT2_T3_T4_T5_mT6_T7_P12ihipStream_tbENKUlT_T0_E_clISt17integral_constantIbLb0EES10_IbLb1EEEEDaSW_SX_EUlSW_E_NS1_11comp_targetILNS1_3genE0ELNS1_11target_archE4294967295ELNS1_3gpuE0ELNS1_3repE0EEENS1_30default_config_static_selectorELNS0_4arch9wavefront6targetE0EEEvT1_,comdat
.Lfunc_end1341:
	.size	_ZN7rocprim17ROCPRIM_400000_NS6detail17trampoline_kernelINS0_14default_configENS1_27scan_by_key_config_selectorIixEEZZNS1_16scan_by_key_implILNS1_25lookback_scan_determinismE0ELb0ES3_N6thrust23THRUST_200600_302600_NS6detail15normal_iteratorINS9_10device_ptrIiEEEENSB_INSC_IxEEEESG_xNS9_4plusIvEENS9_8equal_toIvEExEE10hipError_tPvRmT2_T3_T4_T5_mT6_T7_P12ihipStream_tbENKUlT_T0_E_clISt17integral_constantIbLb0EES10_IbLb1EEEEDaSW_SX_EUlSW_E_NS1_11comp_targetILNS1_3genE0ELNS1_11target_archE4294967295ELNS1_3gpuE0ELNS1_3repE0EEENS1_30default_config_static_selectorELNS0_4arch9wavefront6targetE0EEEvT1_, .Lfunc_end1341-_ZN7rocprim17ROCPRIM_400000_NS6detail17trampoline_kernelINS0_14default_configENS1_27scan_by_key_config_selectorIixEEZZNS1_16scan_by_key_implILNS1_25lookback_scan_determinismE0ELb0ES3_N6thrust23THRUST_200600_302600_NS6detail15normal_iteratorINS9_10device_ptrIiEEEENSB_INSC_IxEEEESG_xNS9_4plusIvEENS9_8equal_toIvEExEE10hipError_tPvRmT2_T3_T4_T5_mT6_T7_P12ihipStream_tbENKUlT_T0_E_clISt17integral_constantIbLb0EES10_IbLb1EEEEDaSW_SX_EUlSW_E_NS1_11comp_targetILNS1_3genE0ELNS1_11target_archE4294967295ELNS1_3gpuE0ELNS1_3repE0EEENS1_30default_config_static_selectorELNS0_4arch9wavefront6targetE0EEEvT1_
                                        ; -- End function
	.set _ZN7rocprim17ROCPRIM_400000_NS6detail17trampoline_kernelINS0_14default_configENS1_27scan_by_key_config_selectorIixEEZZNS1_16scan_by_key_implILNS1_25lookback_scan_determinismE0ELb0ES3_N6thrust23THRUST_200600_302600_NS6detail15normal_iteratorINS9_10device_ptrIiEEEENSB_INSC_IxEEEESG_xNS9_4plusIvEENS9_8equal_toIvEExEE10hipError_tPvRmT2_T3_T4_T5_mT6_T7_P12ihipStream_tbENKUlT_T0_E_clISt17integral_constantIbLb0EES10_IbLb1EEEEDaSW_SX_EUlSW_E_NS1_11comp_targetILNS1_3genE0ELNS1_11target_archE4294967295ELNS1_3gpuE0ELNS1_3repE0EEENS1_30default_config_static_selectorELNS0_4arch9wavefront6targetE0EEEvT1_.num_vgpr, 73
	.set _ZN7rocprim17ROCPRIM_400000_NS6detail17trampoline_kernelINS0_14default_configENS1_27scan_by_key_config_selectorIixEEZZNS1_16scan_by_key_implILNS1_25lookback_scan_determinismE0ELb0ES3_N6thrust23THRUST_200600_302600_NS6detail15normal_iteratorINS9_10device_ptrIiEEEENSB_INSC_IxEEEESG_xNS9_4plusIvEENS9_8equal_toIvEExEE10hipError_tPvRmT2_T3_T4_T5_mT6_T7_P12ihipStream_tbENKUlT_T0_E_clISt17integral_constantIbLb0EES10_IbLb1EEEEDaSW_SX_EUlSW_E_NS1_11comp_targetILNS1_3genE0ELNS1_11target_archE4294967295ELNS1_3gpuE0ELNS1_3repE0EEENS1_30default_config_static_selectorELNS0_4arch9wavefront6targetE0EEEvT1_.num_agpr, 0
	.set _ZN7rocprim17ROCPRIM_400000_NS6detail17trampoline_kernelINS0_14default_configENS1_27scan_by_key_config_selectorIixEEZZNS1_16scan_by_key_implILNS1_25lookback_scan_determinismE0ELb0ES3_N6thrust23THRUST_200600_302600_NS6detail15normal_iteratorINS9_10device_ptrIiEEEENSB_INSC_IxEEEESG_xNS9_4plusIvEENS9_8equal_toIvEExEE10hipError_tPvRmT2_T3_T4_T5_mT6_T7_P12ihipStream_tbENKUlT_T0_E_clISt17integral_constantIbLb0EES10_IbLb1EEEEDaSW_SX_EUlSW_E_NS1_11comp_targetILNS1_3genE0ELNS1_11target_archE4294967295ELNS1_3gpuE0ELNS1_3repE0EEENS1_30default_config_static_selectorELNS0_4arch9wavefront6targetE0EEEvT1_.numbered_sgpr, 46
	.set _ZN7rocprim17ROCPRIM_400000_NS6detail17trampoline_kernelINS0_14default_configENS1_27scan_by_key_config_selectorIixEEZZNS1_16scan_by_key_implILNS1_25lookback_scan_determinismE0ELb0ES3_N6thrust23THRUST_200600_302600_NS6detail15normal_iteratorINS9_10device_ptrIiEEEENSB_INSC_IxEEEESG_xNS9_4plusIvEENS9_8equal_toIvEExEE10hipError_tPvRmT2_T3_T4_T5_mT6_T7_P12ihipStream_tbENKUlT_T0_E_clISt17integral_constantIbLb0EES10_IbLb1EEEEDaSW_SX_EUlSW_E_NS1_11comp_targetILNS1_3genE0ELNS1_11target_archE4294967295ELNS1_3gpuE0ELNS1_3repE0EEENS1_30default_config_static_selectorELNS0_4arch9wavefront6targetE0EEEvT1_.num_named_barrier, 0
	.set _ZN7rocprim17ROCPRIM_400000_NS6detail17trampoline_kernelINS0_14default_configENS1_27scan_by_key_config_selectorIixEEZZNS1_16scan_by_key_implILNS1_25lookback_scan_determinismE0ELb0ES3_N6thrust23THRUST_200600_302600_NS6detail15normal_iteratorINS9_10device_ptrIiEEEENSB_INSC_IxEEEESG_xNS9_4plusIvEENS9_8equal_toIvEExEE10hipError_tPvRmT2_T3_T4_T5_mT6_T7_P12ihipStream_tbENKUlT_T0_E_clISt17integral_constantIbLb0EES10_IbLb1EEEEDaSW_SX_EUlSW_E_NS1_11comp_targetILNS1_3genE0ELNS1_11target_archE4294967295ELNS1_3gpuE0ELNS1_3repE0EEENS1_30default_config_static_selectorELNS0_4arch9wavefront6targetE0EEEvT1_.private_seg_size, 0
	.set _ZN7rocprim17ROCPRIM_400000_NS6detail17trampoline_kernelINS0_14default_configENS1_27scan_by_key_config_selectorIixEEZZNS1_16scan_by_key_implILNS1_25lookback_scan_determinismE0ELb0ES3_N6thrust23THRUST_200600_302600_NS6detail15normal_iteratorINS9_10device_ptrIiEEEENSB_INSC_IxEEEESG_xNS9_4plusIvEENS9_8equal_toIvEExEE10hipError_tPvRmT2_T3_T4_T5_mT6_T7_P12ihipStream_tbENKUlT_T0_E_clISt17integral_constantIbLb0EES10_IbLb1EEEEDaSW_SX_EUlSW_E_NS1_11comp_targetILNS1_3genE0ELNS1_11target_archE4294967295ELNS1_3gpuE0ELNS1_3repE0EEENS1_30default_config_static_selectorELNS0_4arch9wavefront6targetE0EEEvT1_.uses_vcc, 1
	.set _ZN7rocprim17ROCPRIM_400000_NS6detail17trampoline_kernelINS0_14default_configENS1_27scan_by_key_config_selectorIixEEZZNS1_16scan_by_key_implILNS1_25lookback_scan_determinismE0ELb0ES3_N6thrust23THRUST_200600_302600_NS6detail15normal_iteratorINS9_10device_ptrIiEEEENSB_INSC_IxEEEESG_xNS9_4plusIvEENS9_8equal_toIvEExEE10hipError_tPvRmT2_T3_T4_T5_mT6_T7_P12ihipStream_tbENKUlT_T0_E_clISt17integral_constantIbLb0EES10_IbLb1EEEEDaSW_SX_EUlSW_E_NS1_11comp_targetILNS1_3genE0ELNS1_11target_archE4294967295ELNS1_3gpuE0ELNS1_3repE0EEENS1_30default_config_static_selectorELNS0_4arch9wavefront6targetE0EEEvT1_.uses_flat_scratch, 1
	.set _ZN7rocprim17ROCPRIM_400000_NS6detail17trampoline_kernelINS0_14default_configENS1_27scan_by_key_config_selectorIixEEZZNS1_16scan_by_key_implILNS1_25lookback_scan_determinismE0ELb0ES3_N6thrust23THRUST_200600_302600_NS6detail15normal_iteratorINS9_10device_ptrIiEEEENSB_INSC_IxEEEESG_xNS9_4plusIvEENS9_8equal_toIvEExEE10hipError_tPvRmT2_T3_T4_T5_mT6_T7_P12ihipStream_tbENKUlT_T0_E_clISt17integral_constantIbLb0EES10_IbLb1EEEEDaSW_SX_EUlSW_E_NS1_11comp_targetILNS1_3genE0ELNS1_11target_archE4294967295ELNS1_3gpuE0ELNS1_3repE0EEENS1_30default_config_static_selectorELNS0_4arch9wavefront6targetE0EEEvT1_.has_dyn_sized_stack, 0
	.set _ZN7rocprim17ROCPRIM_400000_NS6detail17trampoline_kernelINS0_14default_configENS1_27scan_by_key_config_selectorIixEEZZNS1_16scan_by_key_implILNS1_25lookback_scan_determinismE0ELb0ES3_N6thrust23THRUST_200600_302600_NS6detail15normal_iteratorINS9_10device_ptrIiEEEENSB_INSC_IxEEEESG_xNS9_4plusIvEENS9_8equal_toIvEExEE10hipError_tPvRmT2_T3_T4_T5_mT6_T7_P12ihipStream_tbENKUlT_T0_E_clISt17integral_constantIbLb0EES10_IbLb1EEEEDaSW_SX_EUlSW_E_NS1_11comp_targetILNS1_3genE0ELNS1_11target_archE4294967295ELNS1_3gpuE0ELNS1_3repE0EEENS1_30default_config_static_selectorELNS0_4arch9wavefront6targetE0EEEvT1_.has_recursion, 0
	.set _ZN7rocprim17ROCPRIM_400000_NS6detail17trampoline_kernelINS0_14default_configENS1_27scan_by_key_config_selectorIixEEZZNS1_16scan_by_key_implILNS1_25lookback_scan_determinismE0ELb0ES3_N6thrust23THRUST_200600_302600_NS6detail15normal_iteratorINS9_10device_ptrIiEEEENSB_INSC_IxEEEESG_xNS9_4plusIvEENS9_8equal_toIvEExEE10hipError_tPvRmT2_T3_T4_T5_mT6_T7_P12ihipStream_tbENKUlT_T0_E_clISt17integral_constantIbLb0EES10_IbLb1EEEEDaSW_SX_EUlSW_E_NS1_11comp_targetILNS1_3genE0ELNS1_11target_archE4294967295ELNS1_3gpuE0ELNS1_3repE0EEENS1_30default_config_static_selectorELNS0_4arch9wavefront6targetE0EEEvT1_.has_indirect_call, 0
	.section	.AMDGPU.csdata,"",@progbits
; Kernel info:
; codeLenInByte = 11236
; TotalNumSgprs: 48
; NumVgprs: 73
; ScratchSize: 0
; MemoryBound: 0
; FloatMode: 240
; IeeeMode: 1
; LDSByteSize: 10240 bytes/workgroup (compile time only)
; SGPRBlocks: 0
; VGPRBlocks: 4
; NumSGPRsForWavesPerEU: 48
; NumVGPRsForWavesPerEU: 73
; NamedBarCnt: 0
; Occupancy: 12
; WaveLimiterHint : 1
; COMPUTE_PGM_RSRC2:SCRATCH_EN: 0
; COMPUTE_PGM_RSRC2:USER_SGPR: 2
; COMPUTE_PGM_RSRC2:TRAP_HANDLER: 0
; COMPUTE_PGM_RSRC2:TGID_X_EN: 1
; COMPUTE_PGM_RSRC2:TGID_Y_EN: 0
; COMPUTE_PGM_RSRC2:TGID_Z_EN: 0
; COMPUTE_PGM_RSRC2:TIDIG_COMP_CNT: 0
	.section	.text._ZN7rocprim17ROCPRIM_400000_NS6detail17trampoline_kernelINS0_14default_configENS1_27scan_by_key_config_selectorIixEEZZNS1_16scan_by_key_implILNS1_25lookback_scan_determinismE0ELb0ES3_N6thrust23THRUST_200600_302600_NS6detail15normal_iteratorINS9_10device_ptrIiEEEENSB_INSC_IxEEEESG_xNS9_4plusIvEENS9_8equal_toIvEExEE10hipError_tPvRmT2_T3_T4_T5_mT6_T7_P12ihipStream_tbENKUlT_T0_E_clISt17integral_constantIbLb0EES10_IbLb1EEEEDaSW_SX_EUlSW_E_NS1_11comp_targetILNS1_3genE10ELNS1_11target_archE1201ELNS1_3gpuE5ELNS1_3repE0EEENS1_30default_config_static_selectorELNS0_4arch9wavefront6targetE0EEEvT1_,"axG",@progbits,_ZN7rocprim17ROCPRIM_400000_NS6detail17trampoline_kernelINS0_14default_configENS1_27scan_by_key_config_selectorIixEEZZNS1_16scan_by_key_implILNS1_25lookback_scan_determinismE0ELb0ES3_N6thrust23THRUST_200600_302600_NS6detail15normal_iteratorINS9_10device_ptrIiEEEENSB_INSC_IxEEEESG_xNS9_4plusIvEENS9_8equal_toIvEExEE10hipError_tPvRmT2_T3_T4_T5_mT6_T7_P12ihipStream_tbENKUlT_T0_E_clISt17integral_constantIbLb0EES10_IbLb1EEEEDaSW_SX_EUlSW_E_NS1_11comp_targetILNS1_3genE10ELNS1_11target_archE1201ELNS1_3gpuE5ELNS1_3repE0EEENS1_30default_config_static_selectorELNS0_4arch9wavefront6targetE0EEEvT1_,comdat
	.protected	_ZN7rocprim17ROCPRIM_400000_NS6detail17trampoline_kernelINS0_14default_configENS1_27scan_by_key_config_selectorIixEEZZNS1_16scan_by_key_implILNS1_25lookback_scan_determinismE0ELb0ES3_N6thrust23THRUST_200600_302600_NS6detail15normal_iteratorINS9_10device_ptrIiEEEENSB_INSC_IxEEEESG_xNS9_4plusIvEENS9_8equal_toIvEExEE10hipError_tPvRmT2_T3_T4_T5_mT6_T7_P12ihipStream_tbENKUlT_T0_E_clISt17integral_constantIbLb0EES10_IbLb1EEEEDaSW_SX_EUlSW_E_NS1_11comp_targetILNS1_3genE10ELNS1_11target_archE1201ELNS1_3gpuE5ELNS1_3repE0EEENS1_30default_config_static_selectorELNS0_4arch9wavefront6targetE0EEEvT1_ ; -- Begin function _ZN7rocprim17ROCPRIM_400000_NS6detail17trampoline_kernelINS0_14default_configENS1_27scan_by_key_config_selectorIixEEZZNS1_16scan_by_key_implILNS1_25lookback_scan_determinismE0ELb0ES3_N6thrust23THRUST_200600_302600_NS6detail15normal_iteratorINS9_10device_ptrIiEEEENSB_INSC_IxEEEESG_xNS9_4plusIvEENS9_8equal_toIvEExEE10hipError_tPvRmT2_T3_T4_T5_mT6_T7_P12ihipStream_tbENKUlT_T0_E_clISt17integral_constantIbLb0EES10_IbLb1EEEEDaSW_SX_EUlSW_E_NS1_11comp_targetILNS1_3genE10ELNS1_11target_archE1201ELNS1_3gpuE5ELNS1_3repE0EEENS1_30default_config_static_selectorELNS0_4arch9wavefront6targetE0EEEvT1_
	.globl	_ZN7rocprim17ROCPRIM_400000_NS6detail17trampoline_kernelINS0_14default_configENS1_27scan_by_key_config_selectorIixEEZZNS1_16scan_by_key_implILNS1_25lookback_scan_determinismE0ELb0ES3_N6thrust23THRUST_200600_302600_NS6detail15normal_iteratorINS9_10device_ptrIiEEEENSB_INSC_IxEEEESG_xNS9_4plusIvEENS9_8equal_toIvEExEE10hipError_tPvRmT2_T3_T4_T5_mT6_T7_P12ihipStream_tbENKUlT_T0_E_clISt17integral_constantIbLb0EES10_IbLb1EEEEDaSW_SX_EUlSW_E_NS1_11comp_targetILNS1_3genE10ELNS1_11target_archE1201ELNS1_3gpuE5ELNS1_3repE0EEENS1_30default_config_static_selectorELNS0_4arch9wavefront6targetE0EEEvT1_
	.p2align	8
	.type	_ZN7rocprim17ROCPRIM_400000_NS6detail17trampoline_kernelINS0_14default_configENS1_27scan_by_key_config_selectorIixEEZZNS1_16scan_by_key_implILNS1_25lookback_scan_determinismE0ELb0ES3_N6thrust23THRUST_200600_302600_NS6detail15normal_iteratorINS9_10device_ptrIiEEEENSB_INSC_IxEEEESG_xNS9_4plusIvEENS9_8equal_toIvEExEE10hipError_tPvRmT2_T3_T4_T5_mT6_T7_P12ihipStream_tbENKUlT_T0_E_clISt17integral_constantIbLb0EES10_IbLb1EEEEDaSW_SX_EUlSW_E_NS1_11comp_targetILNS1_3genE10ELNS1_11target_archE1201ELNS1_3gpuE5ELNS1_3repE0EEENS1_30default_config_static_selectorELNS0_4arch9wavefront6targetE0EEEvT1_,@function
_ZN7rocprim17ROCPRIM_400000_NS6detail17trampoline_kernelINS0_14default_configENS1_27scan_by_key_config_selectorIixEEZZNS1_16scan_by_key_implILNS1_25lookback_scan_determinismE0ELb0ES3_N6thrust23THRUST_200600_302600_NS6detail15normal_iteratorINS9_10device_ptrIiEEEENSB_INSC_IxEEEESG_xNS9_4plusIvEENS9_8equal_toIvEExEE10hipError_tPvRmT2_T3_T4_T5_mT6_T7_P12ihipStream_tbENKUlT_T0_E_clISt17integral_constantIbLb0EES10_IbLb1EEEEDaSW_SX_EUlSW_E_NS1_11comp_targetILNS1_3genE10ELNS1_11target_archE1201ELNS1_3gpuE5ELNS1_3repE0EEENS1_30default_config_static_selectorELNS0_4arch9wavefront6targetE0EEEvT1_: ; @_ZN7rocprim17ROCPRIM_400000_NS6detail17trampoline_kernelINS0_14default_configENS1_27scan_by_key_config_selectorIixEEZZNS1_16scan_by_key_implILNS1_25lookback_scan_determinismE0ELb0ES3_N6thrust23THRUST_200600_302600_NS6detail15normal_iteratorINS9_10device_ptrIiEEEENSB_INSC_IxEEEESG_xNS9_4plusIvEENS9_8equal_toIvEExEE10hipError_tPvRmT2_T3_T4_T5_mT6_T7_P12ihipStream_tbENKUlT_T0_E_clISt17integral_constantIbLb0EES10_IbLb1EEEEDaSW_SX_EUlSW_E_NS1_11comp_targetILNS1_3genE10ELNS1_11target_archE1201ELNS1_3gpuE5ELNS1_3repE0EEENS1_30default_config_static_selectorELNS0_4arch9wavefront6targetE0EEEvT1_
; %bb.0:
	.section	.rodata,"a",@progbits
	.p2align	6, 0x0
	.amdhsa_kernel _ZN7rocprim17ROCPRIM_400000_NS6detail17trampoline_kernelINS0_14default_configENS1_27scan_by_key_config_selectorIixEEZZNS1_16scan_by_key_implILNS1_25lookback_scan_determinismE0ELb0ES3_N6thrust23THRUST_200600_302600_NS6detail15normal_iteratorINS9_10device_ptrIiEEEENSB_INSC_IxEEEESG_xNS9_4plusIvEENS9_8equal_toIvEExEE10hipError_tPvRmT2_T3_T4_T5_mT6_T7_P12ihipStream_tbENKUlT_T0_E_clISt17integral_constantIbLb0EES10_IbLb1EEEEDaSW_SX_EUlSW_E_NS1_11comp_targetILNS1_3genE10ELNS1_11target_archE1201ELNS1_3gpuE5ELNS1_3repE0EEENS1_30default_config_static_selectorELNS0_4arch9wavefront6targetE0EEEvT1_
		.amdhsa_group_segment_fixed_size 0
		.amdhsa_private_segment_fixed_size 0
		.amdhsa_kernarg_size 136
		.amdhsa_user_sgpr_count 2
		.amdhsa_user_sgpr_dispatch_ptr 0
		.amdhsa_user_sgpr_queue_ptr 0
		.amdhsa_user_sgpr_kernarg_segment_ptr 1
		.amdhsa_user_sgpr_dispatch_id 0
		.amdhsa_user_sgpr_kernarg_preload_length 0
		.amdhsa_user_sgpr_kernarg_preload_offset 0
		.amdhsa_user_sgpr_private_segment_size 0
		.amdhsa_wavefront_size32 1
		.amdhsa_uses_dynamic_stack 0
		.amdhsa_enable_private_segment 0
		.amdhsa_system_sgpr_workgroup_id_x 1
		.amdhsa_system_sgpr_workgroup_id_y 0
		.amdhsa_system_sgpr_workgroup_id_z 0
		.amdhsa_system_sgpr_workgroup_info 0
		.amdhsa_system_vgpr_workitem_id 0
		.amdhsa_next_free_vgpr 1
		.amdhsa_next_free_sgpr 1
		.amdhsa_named_barrier_count 0
		.amdhsa_reserve_vcc 0
		.amdhsa_float_round_mode_32 0
		.amdhsa_float_round_mode_16_64 0
		.amdhsa_float_denorm_mode_32 3
		.amdhsa_float_denorm_mode_16_64 3
		.amdhsa_fp16_overflow 0
		.amdhsa_memory_ordered 1
		.amdhsa_forward_progress 1
		.amdhsa_inst_pref_size 0
		.amdhsa_round_robin_scheduling 0
		.amdhsa_exception_fp_ieee_invalid_op 0
		.amdhsa_exception_fp_denorm_src 0
		.amdhsa_exception_fp_ieee_div_zero 0
		.amdhsa_exception_fp_ieee_overflow 0
		.amdhsa_exception_fp_ieee_underflow 0
		.amdhsa_exception_fp_ieee_inexact 0
		.amdhsa_exception_int_div_zero 0
	.end_amdhsa_kernel
	.section	.text._ZN7rocprim17ROCPRIM_400000_NS6detail17trampoline_kernelINS0_14default_configENS1_27scan_by_key_config_selectorIixEEZZNS1_16scan_by_key_implILNS1_25lookback_scan_determinismE0ELb0ES3_N6thrust23THRUST_200600_302600_NS6detail15normal_iteratorINS9_10device_ptrIiEEEENSB_INSC_IxEEEESG_xNS9_4plusIvEENS9_8equal_toIvEExEE10hipError_tPvRmT2_T3_T4_T5_mT6_T7_P12ihipStream_tbENKUlT_T0_E_clISt17integral_constantIbLb0EES10_IbLb1EEEEDaSW_SX_EUlSW_E_NS1_11comp_targetILNS1_3genE10ELNS1_11target_archE1201ELNS1_3gpuE5ELNS1_3repE0EEENS1_30default_config_static_selectorELNS0_4arch9wavefront6targetE0EEEvT1_,"axG",@progbits,_ZN7rocprim17ROCPRIM_400000_NS6detail17trampoline_kernelINS0_14default_configENS1_27scan_by_key_config_selectorIixEEZZNS1_16scan_by_key_implILNS1_25lookback_scan_determinismE0ELb0ES3_N6thrust23THRUST_200600_302600_NS6detail15normal_iteratorINS9_10device_ptrIiEEEENSB_INSC_IxEEEESG_xNS9_4plusIvEENS9_8equal_toIvEExEE10hipError_tPvRmT2_T3_T4_T5_mT6_T7_P12ihipStream_tbENKUlT_T0_E_clISt17integral_constantIbLb0EES10_IbLb1EEEEDaSW_SX_EUlSW_E_NS1_11comp_targetILNS1_3genE10ELNS1_11target_archE1201ELNS1_3gpuE5ELNS1_3repE0EEENS1_30default_config_static_selectorELNS0_4arch9wavefront6targetE0EEEvT1_,comdat
.Lfunc_end1342:
	.size	_ZN7rocprim17ROCPRIM_400000_NS6detail17trampoline_kernelINS0_14default_configENS1_27scan_by_key_config_selectorIixEEZZNS1_16scan_by_key_implILNS1_25lookback_scan_determinismE0ELb0ES3_N6thrust23THRUST_200600_302600_NS6detail15normal_iteratorINS9_10device_ptrIiEEEENSB_INSC_IxEEEESG_xNS9_4plusIvEENS9_8equal_toIvEExEE10hipError_tPvRmT2_T3_T4_T5_mT6_T7_P12ihipStream_tbENKUlT_T0_E_clISt17integral_constantIbLb0EES10_IbLb1EEEEDaSW_SX_EUlSW_E_NS1_11comp_targetILNS1_3genE10ELNS1_11target_archE1201ELNS1_3gpuE5ELNS1_3repE0EEENS1_30default_config_static_selectorELNS0_4arch9wavefront6targetE0EEEvT1_, .Lfunc_end1342-_ZN7rocprim17ROCPRIM_400000_NS6detail17trampoline_kernelINS0_14default_configENS1_27scan_by_key_config_selectorIixEEZZNS1_16scan_by_key_implILNS1_25lookback_scan_determinismE0ELb0ES3_N6thrust23THRUST_200600_302600_NS6detail15normal_iteratorINS9_10device_ptrIiEEEENSB_INSC_IxEEEESG_xNS9_4plusIvEENS9_8equal_toIvEExEE10hipError_tPvRmT2_T3_T4_T5_mT6_T7_P12ihipStream_tbENKUlT_T0_E_clISt17integral_constantIbLb0EES10_IbLb1EEEEDaSW_SX_EUlSW_E_NS1_11comp_targetILNS1_3genE10ELNS1_11target_archE1201ELNS1_3gpuE5ELNS1_3repE0EEENS1_30default_config_static_selectorELNS0_4arch9wavefront6targetE0EEEvT1_
                                        ; -- End function
	.set _ZN7rocprim17ROCPRIM_400000_NS6detail17trampoline_kernelINS0_14default_configENS1_27scan_by_key_config_selectorIixEEZZNS1_16scan_by_key_implILNS1_25lookback_scan_determinismE0ELb0ES3_N6thrust23THRUST_200600_302600_NS6detail15normal_iteratorINS9_10device_ptrIiEEEENSB_INSC_IxEEEESG_xNS9_4plusIvEENS9_8equal_toIvEExEE10hipError_tPvRmT2_T3_T4_T5_mT6_T7_P12ihipStream_tbENKUlT_T0_E_clISt17integral_constantIbLb0EES10_IbLb1EEEEDaSW_SX_EUlSW_E_NS1_11comp_targetILNS1_3genE10ELNS1_11target_archE1201ELNS1_3gpuE5ELNS1_3repE0EEENS1_30default_config_static_selectorELNS0_4arch9wavefront6targetE0EEEvT1_.num_vgpr, 0
	.set _ZN7rocprim17ROCPRIM_400000_NS6detail17trampoline_kernelINS0_14default_configENS1_27scan_by_key_config_selectorIixEEZZNS1_16scan_by_key_implILNS1_25lookback_scan_determinismE0ELb0ES3_N6thrust23THRUST_200600_302600_NS6detail15normal_iteratorINS9_10device_ptrIiEEEENSB_INSC_IxEEEESG_xNS9_4plusIvEENS9_8equal_toIvEExEE10hipError_tPvRmT2_T3_T4_T5_mT6_T7_P12ihipStream_tbENKUlT_T0_E_clISt17integral_constantIbLb0EES10_IbLb1EEEEDaSW_SX_EUlSW_E_NS1_11comp_targetILNS1_3genE10ELNS1_11target_archE1201ELNS1_3gpuE5ELNS1_3repE0EEENS1_30default_config_static_selectorELNS0_4arch9wavefront6targetE0EEEvT1_.num_agpr, 0
	.set _ZN7rocprim17ROCPRIM_400000_NS6detail17trampoline_kernelINS0_14default_configENS1_27scan_by_key_config_selectorIixEEZZNS1_16scan_by_key_implILNS1_25lookback_scan_determinismE0ELb0ES3_N6thrust23THRUST_200600_302600_NS6detail15normal_iteratorINS9_10device_ptrIiEEEENSB_INSC_IxEEEESG_xNS9_4plusIvEENS9_8equal_toIvEExEE10hipError_tPvRmT2_T3_T4_T5_mT6_T7_P12ihipStream_tbENKUlT_T0_E_clISt17integral_constantIbLb0EES10_IbLb1EEEEDaSW_SX_EUlSW_E_NS1_11comp_targetILNS1_3genE10ELNS1_11target_archE1201ELNS1_3gpuE5ELNS1_3repE0EEENS1_30default_config_static_selectorELNS0_4arch9wavefront6targetE0EEEvT1_.numbered_sgpr, 0
	.set _ZN7rocprim17ROCPRIM_400000_NS6detail17trampoline_kernelINS0_14default_configENS1_27scan_by_key_config_selectorIixEEZZNS1_16scan_by_key_implILNS1_25lookback_scan_determinismE0ELb0ES3_N6thrust23THRUST_200600_302600_NS6detail15normal_iteratorINS9_10device_ptrIiEEEENSB_INSC_IxEEEESG_xNS9_4plusIvEENS9_8equal_toIvEExEE10hipError_tPvRmT2_T3_T4_T5_mT6_T7_P12ihipStream_tbENKUlT_T0_E_clISt17integral_constantIbLb0EES10_IbLb1EEEEDaSW_SX_EUlSW_E_NS1_11comp_targetILNS1_3genE10ELNS1_11target_archE1201ELNS1_3gpuE5ELNS1_3repE0EEENS1_30default_config_static_selectorELNS0_4arch9wavefront6targetE0EEEvT1_.num_named_barrier, 0
	.set _ZN7rocprim17ROCPRIM_400000_NS6detail17trampoline_kernelINS0_14default_configENS1_27scan_by_key_config_selectorIixEEZZNS1_16scan_by_key_implILNS1_25lookback_scan_determinismE0ELb0ES3_N6thrust23THRUST_200600_302600_NS6detail15normal_iteratorINS9_10device_ptrIiEEEENSB_INSC_IxEEEESG_xNS9_4plusIvEENS9_8equal_toIvEExEE10hipError_tPvRmT2_T3_T4_T5_mT6_T7_P12ihipStream_tbENKUlT_T0_E_clISt17integral_constantIbLb0EES10_IbLb1EEEEDaSW_SX_EUlSW_E_NS1_11comp_targetILNS1_3genE10ELNS1_11target_archE1201ELNS1_3gpuE5ELNS1_3repE0EEENS1_30default_config_static_selectorELNS0_4arch9wavefront6targetE0EEEvT1_.private_seg_size, 0
	.set _ZN7rocprim17ROCPRIM_400000_NS6detail17trampoline_kernelINS0_14default_configENS1_27scan_by_key_config_selectorIixEEZZNS1_16scan_by_key_implILNS1_25lookback_scan_determinismE0ELb0ES3_N6thrust23THRUST_200600_302600_NS6detail15normal_iteratorINS9_10device_ptrIiEEEENSB_INSC_IxEEEESG_xNS9_4plusIvEENS9_8equal_toIvEExEE10hipError_tPvRmT2_T3_T4_T5_mT6_T7_P12ihipStream_tbENKUlT_T0_E_clISt17integral_constantIbLb0EES10_IbLb1EEEEDaSW_SX_EUlSW_E_NS1_11comp_targetILNS1_3genE10ELNS1_11target_archE1201ELNS1_3gpuE5ELNS1_3repE0EEENS1_30default_config_static_selectorELNS0_4arch9wavefront6targetE0EEEvT1_.uses_vcc, 0
	.set _ZN7rocprim17ROCPRIM_400000_NS6detail17trampoline_kernelINS0_14default_configENS1_27scan_by_key_config_selectorIixEEZZNS1_16scan_by_key_implILNS1_25lookback_scan_determinismE0ELb0ES3_N6thrust23THRUST_200600_302600_NS6detail15normal_iteratorINS9_10device_ptrIiEEEENSB_INSC_IxEEEESG_xNS9_4plusIvEENS9_8equal_toIvEExEE10hipError_tPvRmT2_T3_T4_T5_mT6_T7_P12ihipStream_tbENKUlT_T0_E_clISt17integral_constantIbLb0EES10_IbLb1EEEEDaSW_SX_EUlSW_E_NS1_11comp_targetILNS1_3genE10ELNS1_11target_archE1201ELNS1_3gpuE5ELNS1_3repE0EEENS1_30default_config_static_selectorELNS0_4arch9wavefront6targetE0EEEvT1_.uses_flat_scratch, 0
	.set _ZN7rocprim17ROCPRIM_400000_NS6detail17trampoline_kernelINS0_14default_configENS1_27scan_by_key_config_selectorIixEEZZNS1_16scan_by_key_implILNS1_25lookback_scan_determinismE0ELb0ES3_N6thrust23THRUST_200600_302600_NS6detail15normal_iteratorINS9_10device_ptrIiEEEENSB_INSC_IxEEEESG_xNS9_4plusIvEENS9_8equal_toIvEExEE10hipError_tPvRmT2_T3_T4_T5_mT6_T7_P12ihipStream_tbENKUlT_T0_E_clISt17integral_constantIbLb0EES10_IbLb1EEEEDaSW_SX_EUlSW_E_NS1_11comp_targetILNS1_3genE10ELNS1_11target_archE1201ELNS1_3gpuE5ELNS1_3repE0EEENS1_30default_config_static_selectorELNS0_4arch9wavefront6targetE0EEEvT1_.has_dyn_sized_stack, 0
	.set _ZN7rocprim17ROCPRIM_400000_NS6detail17trampoline_kernelINS0_14default_configENS1_27scan_by_key_config_selectorIixEEZZNS1_16scan_by_key_implILNS1_25lookback_scan_determinismE0ELb0ES3_N6thrust23THRUST_200600_302600_NS6detail15normal_iteratorINS9_10device_ptrIiEEEENSB_INSC_IxEEEESG_xNS9_4plusIvEENS9_8equal_toIvEExEE10hipError_tPvRmT2_T3_T4_T5_mT6_T7_P12ihipStream_tbENKUlT_T0_E_clISt17integral_constantIbLb0EES10_IbLb1EEEEDaSW_SX_EUlSW_E_NS1_11comp_targetILNS1_3genE10ELNS1_11target_archE1201ELNS1_3gpuE5ELNS1_3repE0EEENS1_30default_config_static_selectorELNS0_4arch9wavefront6targetE0EEEvT1_.has_recursion, 0
	.set _ZN7rocprim17ROCPRIM_400000_NS6detail17trampoline_kernelINS0_14default_configENS1_27scan_by_key_config_selectorIixEEZZNS1_16scan_by_key_implILNS1_25lookback_scan_determinismE0ELb0ES3_N6thrust23THRUST_200600_302600_NS6detail15normal_iteratorINS9_10device_ptrIiEEEENSB_INSC_IxEEEESG_xNS9_4plusIvEENS9_8equal_toIvEExEE10hipError_tPvRmT2_T3_T4_T5_mT6_T7_P12ihipStream_tbENKUlT_T0_E_clISt17integral_constantIbLb0EES10_IbLb1EEEEDaSW_SX_EUlSW_E_NS1_11comp_targetILNS1_3genE10ELNS1_11target_archE1201ELNS1_3gpuE5ELNS1_3repE0EEENS1_30default_config_static_selectorELNS0_4arch9wavefront6targetE0EEEvT1_.has_indirect_call, 0
	.section	.AMDGPU.csdata,"",@progbits
; Kernel info:
; codeLenInByte = 0
; TotalNumSgprs: 0
; NumVgprs: 0
; ScratchSize: 0
; MemoryBound: 0
; FloatMode: 240
; IeeeMode: 1
; LDSByteSize: 0 bytes/workgroup (compile time only)
; SGPRBlocks: 0
; VGPRBlocks: 0
; NumSGPRsForWavesPerEU: 1
; NumVGPRsForWavesPerEU: 1
; NamedBarCnt: 0
; Occupancy: 16
; WaveLimiterHint : 0
; COMPUTE_PGM_RSRC2:SCRATCH_EN: 0
; COMPUTE_PGM_RSRC2:USER_SGPR: 2
; COMPUTE_PGM_RSRC2:TRAP_HANDLER: 0
; COMPUTE_PGM_RSRC2:TGID_X_EN: 1
; COMPUTE_PGM_RSRC2:TGID_Y_EN: 0
; COMPUTE_PGM_RSRC2:TGID_Z_EN: 0
; COMPUTE_PGM_RSRC2:TIDIG_COMP_CNT: 0
	.section	.text._ZN7rocprim17ROCPRIM_400000_NS6detail17trampoline_kernelINS0_14default_configENS1_27scan_by_key_config_selectorIixEEZZNS1_16scan_by_key_implILNS1_25lookback_scan_determinismE0ELb0ES3_N6thrust23THRUST_200600_302600_NS6detail15normal_iteratorINS9_10device_ptrIiEEEENSB_INSC_IxEEEESG_xNS9_4plusIvEENS9_8equal_toIvEExEE10hipError_tPvRmT2_T3_T4_T5_mT6_T7_P12ihipStream_tbENKUlT_T0_E_clISt17integral_constantIbLb0EES10_IbLb1EEEEDaSW_SX_EUlSW_E_NS1_11comp_targetILNS1_3genE5ELNS1_11target_archE942ELNS1_3gpuE9ELNS1_3repE0EEENS1_30default_config_static_selectorELNS0_4arch9wavefront6targetE0EEEvT1_,"axG",@progbits,_ZN7rocprim17ROCPRIM_400000_NS6detail17trampoline_kernelINS0_14default_configENS1_27scan_by_key_config_selectorIixEEZZNS1_16scan_by_key_implILNS1_25lookback_scan_determinismE0ELb0ES3_N6thrust23THRUST_200600_302600_NS6detail15normal_iteratorINS9_10device_ptrIiEEEENSB_INSC_IxEEEESG_xNS9_4plusIvEENS9_8equal_toIvEExEE10hipError_tPvRmT2_T3_T4_T5_mT6_T7_P12ihipStream_tbENKUlT_T0_E_clISt17integral_constantIbLb0EES10_IbLb1EEEEDaSW_SX_EUlSW_E_NS1_11comp_targetILNS1_3genE5ELNS1_11target_archE942ELNS1_3gpuE9ELNS1_3repE0EEENS1_30default_config_static_selectorELNS0_4arch9wavefront6targetE0EEEvT1_,comdat
	.protected	_ZN7rocprim17ROCPRIM_400000_NS6detail17trampoline_kernelINS0_14default_configENS1_27scan_by_key_config_selectorIixEEZZNS1_16scan_by_key_implILNS1_25lookback_scan_determinismE0ELb0ES3_N6thrust23THRUST_200600_302600_NS6detail15normal_iteratorINS9_10device_ptrIiEEEENSB_INSC_IxEEEESG_xNS9_4plusIvEENS9_8equal_toIvEExEE10hipError_tPvRmT2_T3_T4_T5_mT6_T7_P12ihipStream_tbENKUlT_T0_E_clISt17integral_constantIbLb0EES10_IbLb1EEEEDaSW_SX_EUlSW_E_NS1_11comp_targetILNS1_3genE5ELNS1_11target_archE942ELNS1_3gpuE9ELNS1_3repE0EEENS1_30default_config_static_selectorELNS0_4arch9wavefront6targetE0EEEvT1_ ; -- Begin function _ZN7rocprim17ROCPRIM_400000_NS6detail17trampoline_kernelINS0_14default_configENS1_27scan_by_key_config_selectorIixEEZZNS1_16scan_by_key_implILNS1_25lookback_scan_determinismE0ELb0ES3_N6thrust23THRUST_200600_302600_NS6detail15normal_iteratorINS9_10device_ptrIiEEEENSB_INSC_IxEEEESG_xNS9_4plusIvEENS9_8equal_toIvEExEE10hipError_tPvRmT2_T3_T4_T5_mT6_T7_P12ihipStream_tbENKUlT_T0_E_clISt17integral_constantIbLb0EES10_IbLb1EEEEDaSW_SX_EUlSW_E_NS1_11comp_targetILNS1_3genE5ELNS1_11target_archE942ELNS1_3gpuE9ELNS1_3repE0EEENS1_30default_config_static_selectorELNS0_4arch9wavefront6targetE0EEEvT1_
	.globl	_ZN7rocprim17ROCPRIM_400000_NS6detail17trampoline_kernelINS0_14default_configENS1_27scan_by_key_config_selectorIixEEZZNS1_16scan_by_key_implILNS1_25lookback_scan_determinismE0ELb0ES3_N6thrust23THRUST_200600_302600_NS6detail15normal_iteratorINS9_10device_ptrIiEEEENSB_INSC_IxEEEESG_xNS9_4plusIvEENS9_8equal_toIvEExEE10hipError_tPvRmT2_T3_T4_T5_mT6_T7_P12ihipStream_tbENKUlT_T0_E_clISt17integral_constantIbLb0EES10_IbLb1EEEEDaSW_SX_EUlSW_E_NS1_11comp_targetILNS1_3genE5ELNS1_11target_archE942ELNS1_3gpuE9ELNS1_3repE0EEENS1_30default_config_static_selectorELNS0_4arch9wavefront6targetE0EEEvT1_
	.p2align	8
	.type	_ZN7rocprim17ROCPRIM_400000_NS6detail17trampoline_kernelINS0_14default_configENS1_27scan_by_key_config_selectorIixEEZZNS1_16scan_by_key_implILNS1_25lookback_scan_determinismE0ELb0ES3_N6thrust23THRUST_200600_302600_NS6detail15normal_iteratorINS9_10device_ptrIiEEEENSB_INSC_IxEEEESG_xNS9_4plusIvEENS9_8equal_toIvEExEE10hipError_tPvRmT2_T3_T4_T5_mT6_T7_P12ihipStream_tbENKUlT_T0_E_clISt17integral_constantIbLb0EES10_IbLb1EEEEDaSW_SX_EUlSW_E_NS1_11comp_targetILNS1_3genE5ELNS1_11target_archE942ELNS1_3gpuE9ELNS1_3repE0EEENS1_30default_config_static_selectorELNS0_4arch9wavefront6targetE0EEEvT1_,@function
_ZN7rocprim17ROCPRIM_400000_NS6detail17trampoline_kernelINS0_14default_configENS1_27scan_by_key_config_selectorIixEEZZNS1_16scan_by_key_implILNS1_25lookback_scan_determinismE0ELb0ES3_N6thrust23THRUST_200600_302600_NS6detail15normal_iteratorINS9_10device_ptrIiEEEENSB_INSC_IxEEEESG_xNS9_4plusIvEENS9_8equal_toIvEExEE10hipError_tPvRmT2_T3_T4_T5_mT6_T7_P12ihipStream_tbENKUlT_T0_E_clISt17integral_constantIbLb0EES10_IbLb1EEEEDaSW_SX_EUlSW_E_NS1_11comp_targetILNS1_3genE5ELNS1_11target_archE942ELNS1_3gpuE9ELNS1_3repE0EEENS1_30default_config_static_selectorELNS0_4arch9wavefront6targetE0EEEvT1_: ; @_ZN7rocprim17ROCPRIM_400000_NS6detail17trampoline_kernelINS0_14default_configENS1_27scan_by_key_config_selectorIixEEZZNS1_16scan_by_key_implILNS1_25lookback_scan_determinismE0ELb0ES3_N6thrust23THRUST_200600_302600_NS6detail15normal_iteratorINS9_10device_ptrIiEEEENSB_INSC_IxEEEESG_xNS9_4plusIvEENS9_8equal_toIvEExEE10hipError_tPvRmT2_T3_T4_T5_mT6_T7_P12ihipStream_tbENKUlT_T0_E_clISt17integral_constantIbLb0EES10_IbLb1EEEEDaSW_SX_EUlSW_E_NS1_11comp_targetILNS1_3genE5ELNS1_11target_archE942ELNS1_3gpuE9ELNS1_3repE0EEENS1_30default_config_static_selectorELNS0_4arch9wavefront6targetE0EEEvT1_
; %bb.0:
	.section	.rodata,"a",@progbits
	.p2align	6, 0x0
	.amdhsa_kernel _ZN7rocprim17ROCPRIM_400000_NS6detail17trampoline_kernelINS0_14default_configENS1_27scan_by_key_config_selectorIixEEZZNS1_16scan_by_key_implILNS1_25lookback_scan_determinismE0ELb0ES3_N6thrust23THRUST_200600_302600_NS6detail15normal_iteratorINS9_10device_ptrIiEEEENSB_INSC_IxEEEESG_xNS9_4plusIvEENS9_8equal_toIvEExEE10hipError_tPvRmT2_T3_T4_T5_mT6_T7_P12ihipStream_tbENKUlT_T0_E_clISt17integral_constantIbLb0EES10_IbLb1EEEEDaSW_SX_EUlSW_E_NS1_11comp_targetILNS1_3genE5ELNS1_11target_archE942ELNS1_3gpuE9ELNS1_3repE0EEENS1_30default_config_static_selectorELNS0_4arch9wavefront6targetE0EEEvT1_
		.amdhsa_group_segment_fixed_size 0
		.amdhsa_private_segment_fixed_size 0
		.amdhsa_kernarg_size 136
		.amdhsa_user_sgpr_count 2
		.amdhsa_user_sgpr_dispatch_ptr 0
		.amdhsa_user_sgpr_queue_ptr 0
		.amdhsa_user_sgpr_kernarg_segment_ptr 1
		.amdhsa_user_sgpr_dispatch_id 0
		.amdhsa_user_sgpr_kernarg_preload_length 0
		.amdhsa_user_sgpr_kernarg_preload_offset 0
		.amdhsa_user_sgpr_private_segment_size 0
		.amdhsa_wavefront_size32 1
		.amdhsa_uses_dynamic_stack 0
		.amdhsa_enable_private_segment 0
		.amdhsa_system_sgpr_workgroup_id_x 1
		.amdhsa_system_sgpr_workgroup_id_y 0
		.amdhsa_system_sgpr_workgroup_id_z 0
		.amdhsa_system_sgpr_workgroup_info 0
		.amdhsa_system_vgpr_workitem_id 0
		.amdhsa_next_free_vgpr 1
		.amdhsa_next_free_sgpr 1
		.amdhsa_named_barrier_count 0
		.amdhsa_reserve_vcc 0
		.amdhsa_float_round_mode_32 0
		.amdhsa_float_round_mode_16_64 0
		.amdhsa_float_denorm_mode_32 3
		.amdhsa_float_denorm_mode_16_64 3
		.amdhsa_fp16_overflow 0
		.amdhsa_memory_ordered 1
		.amdhsa_forward_progress 1
		.amdhsa_inst_pref_size 0
		.amdhsa_round_robin_scheduling 0
		.amdhsa_exception_fp_ieee_invalid_op 0
		.amdhsa_exception_fp_denorm_src 0
		.amdhsa_exception_fp_ieee_div_zero 0
		.amdhsa_exception_fp_ieee_overflow 0
		.amdhsa_exception_fp_ieee_underflow 0
		.amdhsa_exception_fp_ieee_inexact 0
		.amdhsa_exception_int_div_zero 0
	.end_amdhsa_kernel
	.section	.text._ZN7rocprim17ROCPRIM_400000_NS6detail17trampoline_kernelINS0_14default_configENS1_27scan_by_key_config_selectorIixEEZZNS1_16scan_by_key_implILNS1_25lookback_scan_determinismE0ELb0ES3_N6thrust23THRUST_200600_302600_NS6detail15normal_iteratorINS9_10device_ptrIiEEEENSB_INSC_IxEEEESG_xNS9_4plusIvEENS9_8equal_toIvEExEE10hipError_tPvRmT2_T3_T4_T5_mT6_T7_P12ihipStream_tbENKUlT_T0_E_clISt17integral_constantIbLb0EES10_IbLb1EEEEDaSW_SX_EUlSW_E_NS1_11comp_targetILNS1_3genE5ELNS1_11target_archE942ELNS1_3gpuE9ELNS1_3repE0EEENS1_30default_config_static_selectorELNS0_4arch9wavefront6targetE0EEEvT1_,"axG",@progbits,_ZN7rocprim17ROCPRIM_400000_NS6detail17trampoline_kernelINS0_14default_configENS1_27scan_by_key_config_selectorIixEEZZNS1_16scan_by_key_implILNS1_25lookback_scan_determinismE0ELb0ES3_N6thrust23THRUST_200600_302600_NS6detail15normal_iteratorINS9_10device_ptrIiEEEENSB_INSC_IxEEEESG_xNS9_4plusIvEENS9_8equal_toIvEExEE10hipError_tPvRmT2_T3_T4_T5_mT6_T7_P12ihipStream_tbENKUlT_T0_E_clISt17integral_constantIbLb0EES10_IbLb1EEEEDaSW_SX_EUlSW_E_NS1_11comp_targetILNS1_3genE5ELNS1_11target_archE942ELNS1_3gpuE9ELNS1_3repE0EEENS1_30default_config_static_selectorELNS0_4arch9wavefront6targetE0EEEvT1_,comdat
.Lfunc_end1343:
	.size	_ZN7rocprim17ROCPRIM_400000_NS6detail17trampoline_kernelINS0_14default_configENS1_27scan_by_key_config_selectorIixEEZZNS1_16scan_by_key_implILNS1_25lookback_scan_determinismE0ELb0ES3_N6thrust23THRUST_200600_302600_NS6detail15normal_iteratorINS9_10device_ptrIiEEEENSB_INSC_IxEEEESG_xNS9_4plusIvEENS9_8equal_toIvEExEE10hipError_tPvRmT2_T3_T4_T5_mT6_T7_P12ihipStream_tbENKUlT_T0_E_clISt17integral_constantIbLb0EES10_IbLb1EEEEDaSW_SX_EUlSW_E_NS1_11comp_targetILNS1_3genE5ELNS1_11target_archE942ELNS1_3gpuE9ELNS1_3repE0EEENS1_30default_config_static_selectorELNS0_4arch9wavefront6targetE0EEEvT1_, .Lfunc_end1343-_ZN7rocprim17ROCPRIM_400000_NS6detail17trampoline_kernelINS0_14default_configENS1_27scan_by_key_config_selectorIixEEZZNS1_16scan_by_key_implILNS1_25lookback_scan_determinismE0ELb0ES3_N6thrust23THRUST_200600_302600_NS6detail15normal_iteratorINS9_10device_ptrIiEEEENSB_INSC_IxEEEESG_xNS9_4plusIvEENS9_8equal_toIvEExEE10hipError_tPvRmT2_T3_T4_T5_mT6_T7_P12ihipStream_tbENKUlT_T0_E_clISt17integral_constantIbLb0EES10_IbLb1EEEEDaSW_SX_EUlSW_E_NS1_11comp_targetILNS1_3genE5ELNS1_11target_archE942ELNS1_3gpuE9ELNS1_3repE0EEENS1_30default_config_static_selectorELNS0_4arch9wavefront6targetE0EEEvT1_
                                        ; -- End function
	.set _ZN7rocprim17ROCPRIM_400000_NS6detail17trampoline_kernelINS0_14default_configENS1_27scan_by_key_config_selectorIixEEZZNS1_16scan_by_key_implILNS1_25lookback_scan_determinismE0ELb0ES3_N6thrust23THRUST_200600_302600_NS6detail15normal_iteratorINS9_10device_ptrIiEEEENSB_INSC_IxEEEESG_xNS9_4plusIvEENS9_8equal_toIvEExEE10hipError_tPvRmT2_T3_T4_T5_mT6_T7_P12ihipStream_tbENKUlT_T0_E_clISt17integral_constantIbLb0EES10_IbLb1EEEEDaSW_SX_EUlSW_E_NS1_11comp_targetILNS1_3genE5ELNS1_11target_archE942ELNS1_3gpuE9ELNS1_3repE0EEENS1_30default_config_static_selectorELNS0_4arch9wavefront6targetE0EEEvT1_.num_vgpr, 0
	.set _ZN7rocprim17ROCPRIM_400000_NS6detail17trampoline_kernelINS0_14default_configENS1_27scan_by_key_config_selectorIixEEZZNS1_16scan_by_key_implILNS1_25lookback_scan_determinismE0ELb0ES3_N6thrust23THRUST_200600_302600_NS6detail15normal_iteratorINS9_10device_ptrIiEEEENSB_INSC_IxEEEESG_xNS9_4plusIvEENS9_8equal_toIvEExEE10hipError_tPvRmT2_T3_T4_T5_mT6_T7_P12ihipStream_tbENKUlT_T0_E_clISt17integral_constantIbLb0EES10_IbLb1EEEEDaSW_SX_EUlSW_E_NS1_11comp_targetILNS1_3genE5ELNS1_11target_archE942ELNS1_3gpuE9ELNS1_3repE0EEENS1_30default_config_static_selectorELNS0_4arch9wavefront6targetE0EEEvT1_.num_agpr, 0
	.set _ZN7rocprim17ROCPRIM_400000_NS6detail17trampoline_kernelINS0_14default_configENS1_27scan_by_key_config_selectorIixEEZZNS1_16scan_by_key_implILNS1_25lookback_scan_determinismE0ELb0ES3_N6thrust23THRUST_200600_302600_NS6detail15normal_iteratorINS9_10device_ptrIiEEEENSB_INSC_IxEEEESG_xNS9_4plusIvEENS9_8equal_toIvEExEE10hipError_tPvRmT2_T3_T4_T5_mT6_T7_P12ihipStream_tbENKUlT_T0_E_clISt17integral_constantIbLb0EES10_IbLb1EEEEDaSW_SX_EUlSW_E_NS1_11comp_targetILNS1_3genE5ELNS1_11target_archE942ELNS1_3gpuE9ELNS1_3repE0EEENS1_30default_config_static_selectorELNS0_4arch9wavefront6targetE0EEEvT1_.numbered_sgpr, 0
	.set _ZN7rocprim17ROCPRIM_400000_NS6detail17trampoline_kernelINS0_14default_configENS1_27scan_by_key_config_selectorIixEEZZNS1_16scan_by_key_implILNS1_25lookback_scan_determinismE0ELb0ES3_N6thrust23THRUST_200600_302600_NS6detail15normal_iteratorINS9_10device_ptrIiEEEENSB_INSC_IxEEEESG_xNS9_4plusIvEENS9_8equal_toIvEExEE10hipError_tPvRmT2_T3_T4_T5_mT6_T7_P12ihipStream_tbENKUlT_T0_E_clISt17integral_constantIbLb0EES10_IbLb1EEEEDaSW_SX_EUlSW_E_NS1_11comp_targetILNS1_3genE5ELNS1_11target_archE942ELNS1_3gpuE9ELNS1_3repE0EEENS1_30default_config_static_selectorELNS0_4arch9wavefront6targetE0EEEvT1_.num_named_barrier, 0
	.set _ZN7rocprim17ROCPRIM_400000_NS6detail17trampoline_kernelINS0_14default_configENS1_27scan_by_key_config_selectorIixEEZZNS1_16scan_by_key_implILNS1_25lookback_scan_determinismE0ELb0ES3_N6thrust23THRUST_200600_302600_NS6detail15normal_iteratorINS9_10device_ptrIiEEEENSB_INSC_IxEEEESG_xNS9_4plusIvEENS9_8equal_toIvEExEE10hipError_tPvRmT2_T3_T4_T5_mT6_T7_P12ihipStream_tbENKUlT_T0_E_clISt17integral_constantIbLb0EES10_IbLb1EEEEDaSW_SX_EUlSW_E_NS1_11comp_targetILNS1_3genE5ELNS1_11target_archE942ELNS1_3gpuE9ELNS1_3repE0EEENS1_30default_config_static_selectorELNS0_4arch9wavefront6targetE0EEEvT1_.private_seg_size, 0
	.set _ZN7rocprim17ROCPRIM_400000_NS6detail17trampoline_kernelINS0_14default_configENS1_27scan_by_key_config_selectorIixEEZZNS1_16scan_by_key_implILNS1_25lookback_scan_determinismE0ELb0ES3_N6thrust23THRUST_200600_302600_NS6detail15normal_iteratorINS9_10device_ptrIiEEEENSB_INSC_IxEEEESG_xNS9_4plusIvEENS9_8equal_toIvEExEE10hipError_tPvRmT2_T3_T4_T5_mT6_T7_P12ihipStream_tbENKUlT_T0_E_clISt17integral_constantIbLb0EES10_IbLb1EEEEDaSW_SX_EUlSW_E_NS1_11comp_targetILNS1_3genE5ELNS1_11target_archE942ELNS1_3gpuE9ELNS1_3repE0EEENS1_30default_config_static_selectorELNS0_4arch9wavefront6targetE0EEEvT1_.uses_vcc, 0
	.set _ZN7rocprim17ROCPRIM_400000_NS6detail17trampoline_kernelINS0_14default_configENS1_27scan_by_key_config_selectorIixEEZZNS1_16scan_by_key_implILNS1_25lookback_scan_determinismE0ELb0ES3_N6thrust23THRUST_200600_302600_NS6detail15normal_iteratorINS9_10device_ptrIiEEEENSB_INSC_IxEEEESG_xNS9_4plusIvEENS9_8equal_toIvEExEE10hipError_tPvRmT2_T3_T4_T5_mT6_T7_P12ihipStream_tbENKUlT_T0_E_clISt17integral_constantIbLb0EES10_IbLb1EEEEDaSW_SX_EUlSW_E_NS1_11comp_targetILNS1_3genE5ELNS1_11target_archE942ELNS1_3gpuE9ELNS1_3repE0EEENS1_30default_config_static_selectorELNS0_4arch9wavefront6targetE0EEEvT1_.uses_flat_scratch, 0
	.set _ZN7rocprim17ROCPRIM_400000_NS6detail17trampoline_kernelINS0_14default_configENS1_27scan_by_key_config_selectorIixEEZZNS1_16scan_by_key_implILNS1_25lookback_scan_determinismE0ELb0ES3_N6thrust23THRUST_200600_302600_NS6detail15normal_iteratorINS9_10device_ptrIiEEEENSB_INSC_IxEEEESG_xNS9_4plusIvEENS9_8equal_toIvEExEE10hipError_tPvRmT2_T3_T4_T5_mT6_T7_P12ihipStream_tbENKUlT_T0_E_clISt17integral_constantIbLb0EES10_IbLb1EEEEDaSW_SX_EUlSW_E_NS1_11comp_targetILNS1_3genE5ELNS1_11target_archE942ELNS1_3gpuE9ELNS1_3repE0EEENS1_30default_config_static_selectorELNS0_4arch9wavefront6targetE0EEEvT1_.has_dyn_sized_stack, 0
	.set _ZN7rocprim17ROCPRIM_400000_NS6detail17trampoline_kernelINS0_14default_configENS1_27scan_by_key_config_selectorIixEEZZNS1_16scan_by_key_implILNS1_25lookback_scan_determinismE0ELb0ES3_N6thrust23THRUST_200600_302600_NS6detail15normal_iteratorINS9_10device_ptrIiEEEENSB_INSC_IxEEEESG_xNS9_4plusIvEENS9_8equal_toIvEExEE10hipError_tPvRmT2_T3_T4_T5_mT6_T7_P12ihipStream_tbENKUlT_T0_E_clISt17integral_constantIbLb0EES10_IbLb1EEEEDaSW_SX_EUlSW_E_NS1_11comp_targetILNS1_3genE5ELNS1_11target_archE942ELNS1_3gpuE9ELNS1_3repE0EEENS1_30default_config_static_selectorELNS0_4arch9wavefront6targetE0EEEvT1_.has_recursion, 0
	.set _ZN7rocprim17ROCPRIM_400000_NS6detail17trampoline_kernelINS0_14default_configENS1_27scan_by_key_config_selectorIixEEZZNS1_16scan_by_key_implILNS1_25lookback_scan_determinismE0ELb0ES3_N6thrust23THRUST_200600_302600_NS6detail15normal_iteratorINS9_10device_ptrIiEEEENSB_INSC_IxEEEESG_xNS9_4plusIvEENS9_8equal_toIvEExEE10hipError_tPvRmT2_T3_T4_T5_mT6_T7_P12ihipStream_tbENKUlT_T0_E_clISt17integral_constantIbLb0EES10_IbLb1EEEEDaSW_SX_EUlSW_E_NS1_11comp_targetILNS1_3genE5ELNS1_11target_archE942ELNS1_3gpuE9ELNS1_3repE0EEENS1_30default_config_static_selectorELNS0_4arch9wavefront6targetE0EEEvT1_.has_indirect_call, 0
	.section	.AMDGPU.csdata,"",@progbits
; Kernel info:
; codeLenInByte = 0
; TotalNumSgprs: 0
; NumVgprs: 0
; ScratchSize: 0
; MemoryBound: 0
; FloatMode: 240
; IeeeMode: 1
; LDSByteSize: 0 bytes/workgroup (compile time only)
; SGPRBlocks: 0
; VGPRBlocks: 0
; NumSGPRsForWavesPerEU: 1
; NumVGPRsForWavesPerEU: 1
; NamedBarCnt: 0
; Occupancy: 16
; WaveLimiterHint : 0
; COMPUTE_PGM_RSRC2:SCRATCH_EN: 0
; COMPUTE_PGM_RSRC2:USER_SGPR: 2
; COMPUTE_PGM_RSRC2:TRAP_HANDLER: 0
; COMPUTE_PGM_RSRC2:TGID_X_EN: 1
; COMPUTE_PGM_RSRC2:TGID_Y_EN: 0
; COMPUTE_PGM_RSRC2:TGID_Z_EN: 0
; COMPUTE_PGM_RSRC2:TIDIG_COMP_CNT: 0
	.section	.text._ZN7rocprim17ROCPRIM_400000_NS6detail17trampoline_kernelINS0_14default_configENS1_27scan_by_key_config_selectorIixEEZZNS1_16scan_by_key_implILNS1_25lookback_scan_determinismE0ELb0ES3_N6thrust23THRUST_200600_302600_NS6detail15normal_iteratorINS9_10device_ptrIiEEEENSB_INSC_IxEEEESG_xNS9_4plusIvEENS9_8equal_toIvEExEE10hipError_tPvRmT2_T3_T4_T5_mT6_T7_P12ihipStream_tbENKUlT_T0_E_clISt17integral_constantIbLb0EES10_IbLb1EEEEDaSW_SX_EUlSW_E_NS1_11comp_targetILNS1_3genE4ELNS1_11target_archE910ELNS1_3gpuE8ELNS1_3repE0EEENS1_30default_config_static_selectorELNS0_4arch9wavefront6targetE0EEEvT1_,"axG",@progbits,_ZN7rocprim17ROCPRIM_400000_NS6detail17trampoline_kernelINS0_14default_configENS1_27scan_by_key_config_selectorIixEEZZNS1_16scan_by_key_implILNS1_25lookback_scan_determinismE0ELb0ES3_N6thrust23THRUST_200600_302600_NS6detail15normal_iteratorINS9_10device_ptrIiEEEENSB_INSC_IxEEEESG_xNS9_4plusIvEENS9_8equal_toIvEExEE10hipError_tPvRmT2_T3_T4_T5_mT6_T7_P12ihipStream_tbENKUlT_T0_E_clISt17integral_constantIbLb0EES10_IbLb1EEEEDaSW_SX_EUlSW_E_NS1_11comp_targetILNS1_3genE4ELNS1_11target_archE910ELNS1_3gpuE8ELNS1_3repE0EEENS1_30default_config_static_selectorELNS0_4arch9wavefront6targetE0EEEvT1_,comdat
	.protected	_ZN7rocprim17ROCPRIM_400000_NS6detail17trampoline_kernelINS0_14default_configENS1_27scan_by_key_config_selectorIixEEZZNS1_16scan_by_key_implILNS1_25lookback_scan_determinismE0ELb0ES3_N6thrust23THRUST_200600_302600_NS6detail15normal_iteratorINS9_10device_ptrIiEEEENSB_INSC_IxEEEESG_xNS9_4plusIvEENS9_8equal_toIvEExEE10hipError_tPvRmT2_T3_T4_T5_mT6_T7_P12ihipStream_tbENKUlT_T0_E_clISt17integral_constantIbLb0EES10_IbLb1EEEEDaSW_SX_EUlSW_E_NS1_11comp_targetILNS1_3genE4ELNS1_11target_archE910ELNS1_3gpuE8ELNS1_3repE0EEENS1_30default_config_static_selectorELNS0_4arch9wavefront6targetE0EEEvT1_ ; -- Begin function _ZN7rocprim17ROCPRIM_400000_NS6detail17trampoline_kernelINS0_14default_configENS1_27scan_by_key_config_selectorIixEEZZNS1_16scan_by_key_implILNS1_25lookback_scan_determinismE0ELb0ES3_N6thrust23THRUST_200600_302600_NS6detail15normal_iteratorINS9_10device_ptrIiEEEENSB_INSC_IxEEEESG_xNS9_4plusIvEENS9_8equal_toIvEExEE10hipError_tPvRmT2_T3_T4_T5_mT6_T7_P12ihipStream_tbENKUlT_T0_E_clISt17integral_constantIbLb0EES10_IbLb1EEEEDaSW_SX_EUlSW_E_NS1_11comp_targetILNS1_3genE4ELNS1_11target_archE910ELNS1_3gpuE8ELNS1_3repE0EEENS1_30default_config_static_selectorELNS0_4arch9wavefront6targetE0EEEvT1_
	.globl	_ZN7rocprim17ROCPRIM_400000_NS6detail17trampoline_kernelINS0_14default_configENS1_27scan_by_key_config_selectorIixEEZZNS1_16scan_by_key_implILNS1_25lookback_scan_determinismE0ELb0ES3_N6thrust23THRUST_200600_302600_NS6detail15normal_iteratorINS9_10device_ptrIiEEEENSB_INSC_IxEEEESG_xNS9_4plusIvEENS9_8equal_toIvEExEE10hipError_tPvRmT2_T3_T4_T5_mT6_T7_P12ihipStream_tbENKUlT_T0_E_clISt17integral_constantIbLb0EES10_IbLb1EEEEDaSW_SX_EUlSW_E_NS1_11comp_targetILNS1_3genE4ELNS1_11target_archE910ELNS1_3gpuE8ELNS1_3repE0EEENS1_30default_config_static_selectorELNS0_4arch9wavefront6targetE0EEEvT1_
	.p2align	8
	.type	_ZN7rocprim17ROCPRIM_400000_NS6detail17trampoline_kernelINS0_14default_configENS1_27scan_by_key_config_selectorIixEEZZNS1_16scan_by_key_implILNS1_25lookback_scan_determinismE0ELb0ES3_N6thrust23THRUST_200600_302600_NS6detail15normal_iteratorINS9_10device_ptrIiEEEENSB_INSC_IxEEEESG_xNS9_4plusIvEENS9_8equal_toIvEExEE10hipError_tPvRmT2_T3_T4_T5_mT6_T7_P12ihipStream_tbENKUlT_T0_E_clISt17integral_constantIbLb0EES10_IbLb1EEEEDaSW_SX_EUlSW_E_NS1_11comp_targetILNS1_3genE4ELNS1_11target_archE910ELNS1_3gpuE8ELNS1_3repE0EEENS1_30default_config_static_selectorELNS0_4arch9wavefront6targetE0EEEvT1_,@function
_ZN7rocprim17ROCPRIM_400000_NS6detail17trampoline_kernelINS0_14default_configENS1_27scan_by_key_config_selectorIixEEZZNS1_16scan_by_key_implILNS1_25lookback_scan_determinismE0ELb0ES3_N6thrust23THRUST_200600_302600_NS6detail15normal_iteratorINS9_10device_ptrIiEEEENSB_INSC_IxEEEESG_xNS9_4plusIvEENS9_8equal_toIvEExEE10hipError_tPvRmT2_T3_T4_T5_mT6_T7_P12ihipStream_tbENKUlT_T0_E_clISt17integral_constantIbLb0EES10_IbLb1EEEEDaSW_SX_EUlSW_E_NS1_11comp_targetILNS1_3genE4ELNS1_11target_archE910ELNS1_3gpuE8ELNS1_3repE0EEENS1_30default_config_static_selectorELNS0_4arch9wavefront6targetE0EEEvT1_: ; @_ZN7rocprim17ROCPRIM_400000_NS6detail17trampoline_kernelINS0_14default_configENS1_27scan_by_key_config_selectorIixEEZZNS1_16scan_by_key_implILNS1_25lookback_scan_determinismE0ELb0ES3_N6thrust23THRUST_200600_302600_NS6detail15normal_iteratorINS9_10device_ptrIiEEEENSB_INSC_IxEEEESG_xNS9_4plusIvEENS9_8equal_toIvEExEE10hipError_tPvRmT2_T3_T4_T5_mT6_T7_P12ihipStream_tbENKUlT_T0_E_clISt17integral_constantIbLb0EES10_IbLb1EEEEDaSW_SX_EUlSW_E_NS1_11comp_targetILNS1_3genE4ELNS1_11target_archE910ELNS1_3gpuE8ELNS1_3repE0EEENS1_30default_config_static_selectorELNS0_4arch9wavefront6targetE0EEEvT1_
; %bb.0:
	.section	.rodata,"a",@progbits
	.p2align	6, 0x0
	.amdhsa_kernel _ZN7rocprim17ROCPRIM_400000_NS6detail17trampoline_kernelINS0_14default_configENS1_27scan_by_key_config_selectorIixEEZZNS1_16scan_by_key_implILNS1_25lookback_scan_determinismE0ELb0ES3_N6thrust23THRUST_200600_302600_NS6detail15normal_iteratorINS9_10device_ptrIiEEEENSB_INSC_IxEEEESG_xNS9_4plusIvEENS9_8equal_toIvEExEE10hipError_tPvRmT2_T3_T4_T5_mT6_T7_P12ihipStream_tbENKUlT_T0_E_clISt17integral_constantIbLb0EES10_IbLb1EEEEDaSW_SX_EUlSW_E_NS1_11comp_targetILNS1_3genE4ELNS1_11target_archE910ELNS1_3gpuE8ELNS1_3repE0EEENS1_30default_config_static_selectorELNS0_4arch9wavefront6targetE0EEEvT1_
		.amdhsa_group_segment_fixed_size 0
		.amdhsa_private_segment_fixed_size 0
		.amdhsa_kernarg_size 136
		.amdhsa_user_sgpr_count 2
		.amdhsa_user_sgpr_dispatch_ptr 0
		.amdhsa_user_sgpr_queue_ptr 0
		.amdhsa_user_sgpr_kernarg_segment_ptr 1
		.amdhsa_user_sgpr_dispatch_id 0
		.amdhsa_user_sgpr_kernarg_preload_length 0
		.amdhsa_user_sgpr_kernarg_preload_offset 0
		.amdhsa_user_sgpr_private_segment_size 0
		.amdhsa_wavefront_size32 1
		.amdhsa_uses_dynamic_stack 0
		.amdhsa_enable_private_segment 0
		.amdhsa_system_sgpr_workgroup_id_x 1
		.amdhsa_system_sgpr_workgroup_id_y 0
		.amdhsa_system_sgpr_workgroup_id_z 0
		.amdhsa_system_sgpr_workgroup_info 0
		.amdhsa_system_vgpr_workitem_id 0
		.amdhsa_next_free_vgpr 1
		.amdhsa_next_free_sgpr 1
		.amdhsa_named_barrier_count 0
		.amdhsa_reserve_vcc 0
		.amdhsa_float_round_mode_32 0
		.amdhsa_float_round_mode_16_64 0
		.amdhsa_float_denorm_mode_32 3
		.amdhsa_float_denorm_mode_16_64 3
		.amdhsa_fp16_overflow 0
		.amdhsa_memory_ordered 1
		.amdhsa_forward_progress 1
		.amdhsa_inst_pref_size 0
		.amdhsa_round_robin_scheduling 0
		.amdhsa_exception_fp_ieee_invalid_op 0
		.amdhsa_exception_fp_denorm_src 0
		.amdhsa_exception_fp_ieee_div_zero 0
		.amdhsa_exception_fp_ieee_overflow 0
		.amdhsa_exception_fp_ieee_underflow 0
		.amdhsa_exception_fp_ieee_inexact 0
		.amdhsa_exception_int_div_zero 0
	.end_amdhsa_kernel
	.section	.text._ZN7rocprim17ROCPRIM_400000_NS6detail17trampoline_kernelINS0_14default_configENS1_27scan_by_key_config_selectorIixEEZZNS1_16scan_by_key_implILNS1_25lookback_scan_determinismE0ELb0ES3_N6thrust23THRUST_200600_302600_NS6detail15normal_iteratorINS9_10device_ptrIiEEEENSB_INSC_IxEEEESG_xNS9_4plusIvEENS9_8equal_toIvEExEE10hipError_tPvRmT2_T3_T4_T5_mT6_T7_P12ihipStream_tbENKUlT_T0_E_clISt17integral_constantIbLb0EES10_IbLb1EEEEDaSW_SX_EUlSW_E_NS1_11comp_targetILNS1_3genE4ELNS1_11target_archE910ELNS1_3gpuE8ELNS1_3repE0EEENS1_30default_config_static_selectorELNS0_4arch9wavefront6targetE0EEEvT1_,"axG",@progbits,_ZN7rocprim17ROCPRIM_400000_NS6detail17trampoline_kernelINS0_14default_configENS1_27scan_by_key_config_selectorIixEEZZNS1_16scan_by_key_implILNS1_25lookback_scan_determinismE0ELb0ES3_N6thrust23THRUST_200600_302600_NS6detail15normal_iteratorINS9_10device_ptrIiEEEENSB_INSC_IxEEEESG_xNS9_4plusIvEENS9_8equal_toIvEExEE10hipError_tPvRmT2_T3_T4_T5_mT6_T7_P12ihipStream_tbENKUlT_T0_E_clISt17integral_constantIbLb0EES10_IbLb1EEEEDaSW_SX_EUlSW_E_NS1_11comp_targetILNS1_3genE4ELNS1_11target_archE910ELNS1_3gpuE8ELNS1_3repE0EEENS1_30default_config_static_selectorELNS0_4arch9wavefront6targetE0EEEvT1_,comdat
.Lfunc_end1344:
	.size	_ZN7rocprim17ROCPRIM_400000_NS6detail17trampoline_kernelINS0_14default_configENS1_27scan_by_key_config_selectorIixEEZZNS1_16scan_by_key_implILNS1_25lookback_scan_determinismE0ELb0ES3_N6thrust23THRUST_200600_302600_NS6detail15normal_iteratorINS9_10device_ptrIiEEEENSB_INSC_IxEEEESG_xNS9_4plusIvEENS9_8equal_toIvEExEE10hipError_tPvRmT2_T3_T4_T5_mT6_T7_P12ihipStream_tbENKUlT_T0_E_clISt17integral_constantIbLb0EES10_IbLb1EEEEDaSW_SX_EUlSW_E_NS1_11comp_targetILNS1_3genE4ELNS1_11target_archE910ELNS1_3gpuE8ELNS1_3repE0EEENS1_30default_config_static_selectorELNS0_4arch9wavefront6targetE0EEEvT1_, .Lfunc_end1344-_ZN7rocprim17ROCPRIM_400000_NS6detail17trampoline_kernelINS0_14default_configENS1_27scan_by_key_config_selectorIixEEZZNS1_16scan_by_key_implILNS1_25lookback_scan_determinismE0ELb0ES3_N6thrust23THRUST_200600_302600_NS6detail15normal_iteratorINS9_10device_ptrIiEEEENSB_INSC_IxEEEESG_xNS9_4plusIvEENS9_8equal_toIvEExEE10hipError_tPvRmT2_T3_T4_T5_mT6_T7_P12ihipStream_tbENKUlT_T0_E_clISt17integral_constantIbLb0EES10_IbLb1EEEEDaSW_SX_EUlSW_E_NS1_11comp_targetILNS1_3genE4ELNS1_11target_archE910ELNS1_3gpuE8ELNS1_3repE0EEENS1_30default_config_static_selectorELNS0_4arch9wavefront6targetE0EEEvT1_
                                        ; -- End function
	.set _ZN7rocprim17ROCPRIM_400000_NS6detail17trampoline_kernelINS0_14default_configENS1_27scan_by_key_config_selectorIixEEZZNS1_16scan_by_key_implILNS1_25lookback_scan_determinismE0ELb0ES3_N6thrust23THRUST_200600_302600_NS6detail15normal_iteratorINS9_10device_ptrIiEEEENSB_INSC_IxEEEESG_xNS9_4plusIvEENS9_8equal_toIvEExEE10hipError_tPvRmT2_T3_T4_T5_mT6_T7_P12ihipStream_tbENKUlT_T0_E_clISt17integral_constantIbLb0EES10_IbLb1EEEEDaSW_SX_EUlSW_E_NS1_11comp_targetILNS1_3genE4ELNS1_11target_archE910ELNS1_3gpuE8ELNS1_3repE0EEENS1_30default_config_static_selectorELNS0_4arch9wavefront6targetE0EEEvT1_.num_vgpr, 0
	.set _ZN7rocprim17ROCPRIM_400000_NS6detail17trampoline_kernelINS0_14default_configENS1_27scan_by_key_config_selectorIixEEZZNS1_16scan_by_key_implILNS1_25lookback_scan_determinismE0ELb0ES3_N6thrust23THRUST_200600_302600_NS6detail15normal_iteratorINS9_10device_ptrIiEEEENSB_INSC_IxEEEESG_xNS9_4plusIvEENS9_8equal_toIvEExEE10hipError_tPvRmT2_T3_T4_T5_mT6_T7_P12ihipStream_tbENKUlT_T0_E_clISt17integral_constantIbLb0EES10_IbLb1EEEEDaSW_SX_EUlSW_E_NS1_11comp_targetILNS1_3genE4ELNS1_11target_archE910ELNS1_3gpuE8ELNS1_3repE0EEENS1_30default_config_static_selectorELNS0_4arch9wavefront6targetE0EEEvT1_.num_agpr, 0
	.set _ZN7rocprim17ROCPRIM_400000_NS6detail17trampoline_kernelINS0_14default_configENS1_27scan_by_key_config_selectorIixEEZZNS1_16scan_by_key_implILNS1_25lookback_scan_determinismE0ELb0ES3_N6thrust23THRUST_200600_302600_NS6detail15normal_iteratorINS9_10device_ptrIiEEEENSB_INSC_IxEEEESG_xNS9_4plusIvEENS9_8equal_toIvEExEE10hipError_tPvRmT2_T3_T4_T5_mT6_T7_P12ihipStream_tbENKUlT_T0_E_clISt17integral_constantIbLb0EES10_IbLb1EEEEDaSW_SX_EUlSW_E_NS1_11comp_targetILNS1_3genE4ELNS1_11target_archE910ELNS1_3gpuE8ELNS1_3repE0EEENS1_30default_config_static_selectorELNS0_4arch9wavefront6targetE0EEEvT1_.numbered_sgpr, 0
	.set _ZN7rocprim17ROCPRIM_400000_NS6detail17trampoline_kernelINS0_14default_configENS1_27scan_by_key_config_selectorIixEEZZNS1_16scan_by_key_implILNS1_25lookback_scan_determinismE0ELb0ES3_N6thrust23THRUST_200600_302600_NS6detail15normal_iteratorINS9_10device_ptrIiEEEENSB_INSC_IxEEEESG_xNS9_4plusIvEENS9_8equal_toIvEExEE10hipError_tPvRmT2_T3_T4_T5_mT6_T7_P12ihipStream_tbENKUlT_T0_E_clISt17integral_constantIbLb0EES10_IbLb1EEEEDaSW_SX_EUlSW_E_NS1_11comp_targetILNS1_3genE4ELNS1_11target_archE910ELNS1_3gpuE8ELNS1_3repE0EEENS1_30default_config_static_selectorELNS0_4arch9wavefront6targetE0EEEvT1_.num_named_barrier, 0
	.set _ZN7rocprim17ROCPRIM_400000_NS6detail17trampoline_kernelINS0_14default_configENS1_27scan_by_key_config_selectorIixEEZZNS1_16scan_by_key_implILNS1_25lookback_scan_determinismE0ELb0ES3_N6thrust23THRUST_200600_302600_NS6detail15normal_iteratorINS9_10device_ptrIiEEEENSB_INSC_IxEEEESG_xNS9_4plusIvEENS9_8equal_toIvEExEE10hipError_tPvRmT2_T3_T4_T5_mT6_T7_P12ihipStream_tbENKUlT_T0_E_clISt17integral_constantIbLb0EES10_IbLb1EEEEDaSW_SX_EUlSW_E_NS1_11comp_targetILNS1_3genE4ELNS1_11target_archE910ELNS1_3gpuE8ELNS1_3repE0EEENS1_30default_config_static_selectorELNS0_4arch9wavefront6targetE0EEEvT1_.private_seg_size, 0
	.set _ZN7rocprim17ROCPRIM_400000_NS6detail17trampoline_kernelINS0_14default_configENS1_27scan_by_key_config_selectorIixEEZZNS1_16scan_by_key_implILNS1_25lookback_scan_determinismE0ELb0ES3_N6thrust23THRUST_200600_302600_NS6detail15normal_iteratorINS9_10device_ptrIiEEEENSB_INSC_IxEEEESG_xNS9_4plusIvEENS9_8equal_toIvEExEE10hipError_tPvRmT2_T3_T4_T5_mT6_T7_P12ihipStream_tbENKUlT_T0_E_clISt17integral_constantIbLb0EES10_IbLb1EEEEDaSW_SX_EUlSW_E_NS1_11comp_targetILNS1_3genE4ELNS1_11target_archE910ELNS1_3gpuE8ELNS1_3repE0EEENS1_30default_config_static_selectorELNS0_4arch9wavefront6targetE0EEEvT1_.uses_vcc, 0
	.set _ZN7rocprim17ROCPRIM_400000_NS6detail17trampoline_kernelINS0_14default_configENS1_27scan_by_key_config_selectorIixEEZZNS1_16scan_by_key_implILNS1_25lookback_scan_determinismE0ELb0ES3_N6thrust23THRUST_200600_302600_NS6detail15normal_iteratorINS9_10device_ptrIiEEEENSB_INSC_IxEEEESG_xNS9_4plusIvEENS9_8equal_toIvEExEE10hipError_tPvRmT2_T3_T4_T5_mT6_T7_P12ihipStream_tbENKUlT_T0_E_clISt17integral_constantIbLb0EES10_IbLb1EEEEDaSW_SX_EUlSW_E_NS1_11comp_targetILNS1_3genE4ELNS1_11target_archE910ELNS1_3gpuE8ELNS1_3repE0EEENS1_30default_config_static_selectorELNS0_4arch9wavefront6targetE0EEEvT1_.uses_flat_scratch, 0
	.set _ZN7rocprim17ROCPRIM_400000_NS6detail17trampoline_kernelINS0_14default_configENS1_27scan_by_key_config_selectorIixEEZZNS1_16scan_by_key_implILNS1_25lookback_scan_determinismE0ELb0ES3_N6thrust23THRUST_200600_302600_NS6detail15normal_iteratorINS9_10device_ptrIiEEEENSB_INSC_IxEEEESG_xNS9_4plusIvEENS9_8equal_toIvEExEE10hipError_tPvRmT2_T3_T4_T5_mT6_T7_P12ihipStream_tbENKUlT_T0_E_clISt17integral_constantIbLb0EES10_IbLb1EEEEDaSW_SX_EUlSW_E_NS1_11comp_targetILNS1_3genE4ELNS1_11target_archE910ELNS1_3gpuE8ELNS1_3repE0EEENS1_30default_config_static_selectorELNS0_4arch9wavefront6targetE0EEEvT1_.has_dyn_sized_stack, 0
	.set _ZN7rocprim17ROCPRIM_400000_NS6detail17trampoline_kernelINS0_14default_configENS1_27scan_by_key_config_selectorIixEEZZNS1_16scan_by_key_implILNS1_25lookback_scan_determinismE0ELb0ES3_N6thrust23THRUST_200600_302600_NS6detail15normal_iteratorINS9_10device_ptrIiEEEENSB_INSC_IxEEEESG_xNS9_4plusIvEENS9_8equal_toIvEExEE10hipError_tPvRmT2_T3_T4_T5_mT6_T7_P12ihipStream_tbENKUlT_T0_E_clISt17integral_constantIbLb0EES10_IbLb1EEEEDaSW_SX_EUlSW_E_NS1_11comp_targetILNS1_3genE4ELNS1_11target_archE910ELNS1_3gpuE8ELNS1_3repE0EEENS1_30default_config_static_selectorELNS0_4arch9wavefront6targetE0EEEvT1_.has_recursion, 0
	.set _ZN7rocprim17ROCPRIM_400000_NS6detail17trampoline_kernelINS0_14default_configENS1_27scan_by_key_config_selectorIixEEZZNS1_16scan_by_key_implILNS1_25lookback_scan_determinismE0ELb0ES3_N6thrust23THRUST_200600_302600_NS6detail15normal_iteratorINS9_10device_ptrIiEEEENSB_INSC_IxEEEESG_xNS9_4plusIvEENS9_8equal_toIvEExEE10hipError_tPvRmT2_T3_T4_T5_mT6_T7_P12ihipStream_tbENKUlT_T0_E_clISt17integral_constantIbLb0EES10_IbLb1EEEEDaSW_SX_EUlSW_E_NS1_11comp_targetILNS1_3genE4ELNS1_11target_archE910ELNS1_3gpuE8ELNS1_3repE0EEENS1_30default_config_static_selectorELNS0_4arch9wavefront6targetE0EEEvT1_.has_indirect_call, 0
	.section	.AMDGPU.csdata,"",@progbits
; Kernel info:
; codeLenInByte = 0
; TotalNumSgprs: 0
; NumVgprs: 0
; ScratchSize: 0
; MemoryBound: 0
; FloatMode: 240
; IeeeMode: 1
; LDSByteSize: 0 bytes/workgroup (compile time only)
; SGPRBlocks: 0
; VGPRBlocks: 0
; NumSGPRsForWavesPerEU: 1
; NumVGPRsForWavesPerEU: 1
; NamedBarCnt: 0
; Occupancy: 16
; WaveLimiterHint : 0
; COMPUTE_PGM_RSRC2:SCRATCH_EN: 0
; COMPUTE_PGM_RSRC2:USER_SGPR: 2
; COMPUTE_PGM_RSRC2:TRAP_HANDLER: 0
; COMPUTE_PGM_RSRC2:TGID_X_EN: 1
; COMPUTE_PGM_RSRC2:TGID_Y_EN: 0
; COMPUTE_PGM_RSRC2:TGID_Z_EN: 0
; COMPUTE_PGM_RSRC2:TIDIG_COMP_CNT: 0
	.section	.text._ZN7rocprim17ROCPRIM_400000_NS6detail17trampoline_kernelINS0_14default_configENS1_27scan_by_key_config_selectorIixEEZZNS1_16scan_by_key_implILNS1_25lookback_scan_determinismE0ELb0ES3_N6thrust23THRUST_200600_302600_NS6detail15normal_iteratorINS9_10device_ptrIiEEEENSB_INSC_IxEEEESG_xNS9_4plusIvEENS9_8equal_toIvEExEE10hipError_tPvRmT2_T3_T4_T5_mT6_T7_P12ihipStream_tbENKUlT_T0_E_clISt17integral_constantIbLb0EES10_IbLb1EEEEDaSW_SX_EUlSW_E_NS1_11comp_targetILNS1_3genE3ELNS1_11target_archE908ELNS1_3gpuE7ELNS1_3repE0EEENS1_30default_config_static_selectorELNS0_4arch9wavefront6targetE0EEEvT1_,"axG",@progbits,_ZN7rocprim17ROCPRIM_400000_NS6detail17trampoline_kernelINS0_14default_configENS1_27scan_by_key_config_selectorIixEEZZNS1_16scan_by_key_implILNS1_25lookback_scan_determinismE0ELb0ES3_N6thrust23THRUST_200600_302600_NS6detail15normal_iteratorINS9_10device_ptrIiEEEENSB_INSC_IxEEEESG_xNS9_4plusIvEENS9_8equal_toIvEExEE10hipError_tPvRmT2_T3_T4_T5_mT6_T7_P12ihipStream_tbENKUlT_T0_E_clISt17integral_constantIbLb0EES10_IbLb1EEEEDaSW_SX_EUlSW_E_NS1_11comp_targetILNS1_3genE3ELNS1_11target_archE908ELNS1_3gpuE7ELNS1_3repE0EEENS1_30default_config_static_selectorELNS0_4arch9wavefront6targetE0EEEvT1_,comdat
	.protected	_ZN7rocprim17ROCPRIM_400000_NS6detail17trampoline_kernelINS0_14default_configENS1_27scan_by_key_config_selectorIixEEZZNS1_16scan_by_key_implILNS1_25lookback_scan_determinismE0ELb0ES3_N6thrust23THRUST_200600_302600_NS6detail15normal_iteratorINS9_10device_ptrIiEEEENSB_INSC_IxEEEESG_xNS9_4plusIvEENS9_8equal_toIvEExEE10hipError_tPvRmT2_T3_T4_T5_mT6_T7_P12ihipStream_tbENKUlT_T0_E_clISt17integral_constantIbLb0EES10_IbLb1EEEEDaSW_SX_EUlSW_E_NS1_11comp_targetILNS1_3genE3ELNS1_11target_archE908ELNS1_3gpuE7ELNS1_3repE0EEENS1_30default_config_static_selectorELNS0_4arch9wavefront6targetE0EEEvT1_ ; -- Begin function _ZN7rocprim17ROCPRIM_400000_NS6detail17trampoline_kernelINS0_14default_configENS1_27scan_by_key_config_selectorIixEEZZNS1_16scan_by_key_implILNS1_25lookback_scan_determinismE0ELb0ES3_N6thrust23THRUST_200600_302600_NS6detail15normal_iteratorINS9_10device_ptrIiEEEENSB_INSC_IxEEEESG_xNS9_4plusIvEENS9_8equal_toIvEExEE10hipError_tPvRmT2_T3_T4_T5_mT6_T7_P12ihipStream_tbENKUlT_T0_E_clISt17integral_constantIbLb0EES10_IbLb1EEEEDaSW_SX_EUlSW_E_NS1_11comp_targetILNS1_3genE3ELNS1_11target_archE908ELNS1_3gpuE7ELNS1_3repE0EEENS1_30default_config_static_selectorELNS0_4arch9wavefront6targetE0EEEvT1_
	.globl	_ZN7rocprim17ROCPRIM_400000_NS6detail17trampoline_kernelINS0_14default_configENS1_27scan_by_key_config_selectorIixEEZZNS1_16scan_by_key_implILNS1_25lookback_scan_determinismE0ELb0ES3_N6thrust23THRUST_200600_302600_NS6detail15normal_iteratorINS9_10device_ptrIiEEEENSB_INSC_IxEEEESG_xNS9_4plusIvEENS9_8equal_toIvEExEE10hipError_tPvRmT2_T3_T4_T5_mT6_T7_P12ihipStream_tbENKUlT_T0_E_clISt17integral_constantIbLb0EES10_IbLb1EEEEDaSW_SX_EUlSW_E_NS1_11comp_targetILNS1_3genE3ELNS1_11target_archE908ELNS1_3gpuE7ELNS1_3repE0EEENS1_30default_config_static_selectorELNS0_4arch9wavefront6targetE0EEEvT1_
	.p2align	8
	.type	_ZN7rocprim17ROCPRIM_400000_NS6detail17trampoline_kernelINS0_14default_configENS1_27scan_by_key_config_selectorIixEEZZNS1_16scan_by_key_implILNS1_25lookback_scan_determinismE0ELb0ES3_N6thrust23THRUST_200600_302600_NS6detail15normal_iteratorINS9_10device_ptrIiEEEENSB_INSC_IxEEEESG_xNS9_4plusIvEENS9_8equal_toIvEExEE10hipError_tPvRmT2_T3_T4_T5_mT6_T7_P12ihipStream_tbENKUlT_T0_E_clISt17integral_constantIbLb0EES10_IbLb1EEEEDaSW_SX_EUlSW_E_NS1_11comp_targetILNS1_3genE3ELNS1_11target_archE908ELNS1_3gpuE7ELNS1_3repE0EEENS1_30default_config_static_selectorELNS0_4arch9wavefront6targetE0EEEvT1_,@function
_ZN7rocprim17ROCPRIM_400000_NS6detail17trampoline_kernelINS0_14default_configENS1_27scan_by_key_config_selectorIixEEZZNS1_16scan_by_key_implILNS1_25lookback_scan_determinismE0ELb0ES3_N6thrust23THRUST_200600_302600_NS6detail15normal_iteratorINS9_10device_ptrIiEEEENSB_INSC_IxEEEESG_xNS9_4plusIvEENS9_8equal_toIvEExEE10hipError_tPvRmT2_T3_T4_T5_mT6_T7_P12ihipStream_tbENKUlT_T0_E_clISt17integral_constantIbLb0EES10_IbLb1EEEEDaSW_SX_EUlSW_E_NS1_11comp_targetILNS1_3genE3ELNS1_11target_archE908ELNS1_3gpuE7ELNS1_3repE0EEENS1_30default_config_static_selectorELNS0_4arch9wavefront6targetE0EEEvT1_: ; @_ZN7rocprim17ROCPRIM_400000_NS6detail17trampoline_kernelINS0_14default_configENS1_27scan_by_key_config_selectorIixEEZZNS1_16scan_by_key_implILNS1_25lookback_scan_determinismE0ELb0ES3_N6thrust23THRUST_200600_302600_NS6detail15normal_iteratorINS9_10device_ptrIiEEEENSB_INSC_IxEEEESG_xNS9_4plusIvEENS9_8equal_toIvEExEE10hipError_tPvRmT2_T3_T4_T5_mT6_T7_P12ihipStream_tbENKUlT_T0_E_clISt17integral_constantIbLb0EES10_IbLb1EEEEDaSW_SX_EUlSW_E_NS1_11comp_targetILNS1_3genE3ELNS1_11target_archE908ELNS1_3gpuE7ELNS1_3repE0EEENS1_30default_config_static_selectorELNS0_4arch9wavefront6targetE0EEEvT1_
; %bb.0:
	.section	.rodata,"a",@progbits
	.p2align	6, 0x0
	.amdhsa_kernel _ZN7rocprim17ROCPRIM_400000_NS6detail17trampoline_kernelINS0_14default_configENS1_27scan_by_key_config_selectorIixEEZZNS1_16scan_by_key_implILNS1_25lookback_scan_determinismE0ELb0ES3_N6thrust23THRUST_200600_302600_NS6detail15normal_iteratorINS9_10device_ptrIiEEEENSB_INSC_IxEEEESG_xNS9_4plusIvEENS9_8equal_toIvEExEE10hipError_tPvRmT2_T3_T4_T5_mT6_T7_P12ihipStream_tbENKUlT_T0_E_clISt17integral_constantIbLb0EES10_IbLb1EEEEDaSW_SX_EUlSW_E_NS1_11comp_targetILNS1_3genE3ELNS1_11target_archE908ELNS1_3gpuE7ELNS1_3repE0EEENS1_30default_config_static_selectorELNS0_4arch9wavefront6targetE0EEEvT1_
		.amdhsa_group_segment_fixed_size 0
		.amdhsa_private_segment_fixed_size 0
		.amdhsa_kernarg_size 136
		.amdhsa_user_sgpr_count 2
		.amdhsa_user_sgpr_dispatch_ptr 0
		.amdhsa_user_sgpr_queue_ptr 0
		.amdhsa_user_sgpr_kernarg_segment_ptr 1
		.amdhsa_user_sgpr_dispatch_id 0
		.amdhsa_user_sgpr_kernarg_preload_length 0
		.amdhsa_user_sgpr_kernarg_preload_offset 0
		.amdhsa_user_sgpr_private_segment_size 0
		.amdhsa_wavefront_size32 1
		.amdhsa_uses_dynamic_stack 0
		.amdhsa_enable_private_segment 0
		.amdhsa_system_sgpr_workgroup_id_x 1
		.amdhsa_system_sgpr_workgroup_id_y 0
		.amdhsa_system_sgpr_workgroup_id_z 0
		.amdhsa_system_sgpr_workgroup_info 0
		.amdhsa_system_vgpr_workitem_id 0
		.amdhsa_next_free_vgpr 1
		.amdhsa_next_free_sgpr 1
		.amdhsa_named_barrier_count 0
		.amdhsa_reserve_vcc 0
		.amdhsa_float_round_mode_32 0
		.amdhsa_float_round_mode_16_64 0
		.amdhsa_float_denorm_mode_32 3
		.amdhsa_float_denorm_mode_16_64 3
		.amdhsa_fp16_overflow 0
		.amdhsa_memory_ordered 1
		.amdhsa_forward_progress 1
		.amdhsa_inst_pref_size 0
		.amdhsa_round_robin_scheduling 0
		.amdhsa_exception_fp_ieee_invalid_op 0
		.amdhsa_exception_fp_denorm_src 0
		.amdhsa_exception_fp_ieee_div_zero 0
		.amdhsa_exception_fp_ieee_overflow 0
		.amdhsa_exception_fp_ieee_underflow 0
		.amdhsa_exception_fp_ieee_inexact 0
		.amdhsa_exception_int_div_zero 0
	.end_amdhsa_kernel
	.section	.text._ZN7rocprim17ROCPRIM_400000_NS6detail17trampoline_kernelINS0_14default_configENS1_27scan_by_key_config_selectorIixEEZZNS1_16scan_by_key_implILNS1_25lookback_scan_determinismE0ELb0ES3_N6thrust23THRUST_200600_302600_NS6detail15normal_iteratorINS9_10device_ptrIiEEEENSB_INSC_IxEEEESG_xNS9_4plusIvEENS9_8equal_toIvEExEE10hipError_tPvRmT2_T3_T4_T5_mT6_T7_P12ihipStream_tbENKUlT_T0_E_clISt17integral_constantIbLb0EES10_IbLb1EEEEDaSW_SX_EUlSW_E_NS1_11comp_targetILNS1_3genE3ELNS1_11target_archE908ELNS1_3gpuE7ELNS1_3repE0EEENS1_30default_config_static_selectorELNS0_4arch9wavefront6targetE0EEEvT1_,"axG",@progbits,_ZN7rocprim17ROCPRIM_400000_NS6detail17trampoline_kernelINS0_14default_configENS1_27scan_by_key_config_selectorIixEEZZNS1_16scan_by_key_implILNS1_25lookback_scan_determinismE0ELb0ES3_N6thrust23THRUST_200600_302600_NS6detail15normal_iteratorINS9_10device_ptrIiEEEENSB_INSC_IxEEEESG_xNS9_4plusIvEENS9_8equal_toIvEExEE10hipError_tPvRmT2_T3_T4_T5_mT6_T7_P12ihipStream_tbENKUlT_T0_E_clISt17integral_constantIbLb0EES10_IbLb1EEEEDaSW_SX_EUlSW_E_NS1_11comp_targetILNS1_3genE3ELNS1_11target_archE908ELNS1_3gpuE7ELNS1_3repE0EEENS1_30default_config_static_selectorELNS0_4arch9wavefront6targetE0EEEvT1_,comdat
.Lfunc_end1345:
	.size	_ZN7rocprim17ROCPRIM_400000_NS6detail17trampoline_kernelINS0_14default_configENS1_27scan_by_key_config_selectorIixEEZZNS1_16scan_by_key_implILNS1_25lookback_scan_determinismE0ELb0ES3_N6thrust23THRUST_200600_302600_NS6detail15normal_iteratorINS9_10device_ptrIiEEEENSB_INSC_IxEEEESG_xNS9_4plusIvEENS9_8equal_toIvEExEE10hipError_tPvRmT2_T3_T4_T5_mT6_T7_P12ihipStream_tbENKUlT_T0_E_clISt17integral_constantIbLb0EES10_IbLb1EEEEDaSW_SX_EUlSW_E_NS1_11comp_targetILNS1_3genE3ELNS1_11target_archE908ELNS1_3gpuE7ELNS1_3repE0EEENS1_30default_config_static_selectorELNS0_4arch9wavefront6targetE0EEEvT1_, .Lfunc_end1345-_ZN7rocprim17ROCPRIM_400000_NS6detail17trampoline_kernelINS0_14default_configENS1_27scan_by_key_config_selectorIixEEZZNS1_16scan_by_key_implILNS1_25lookback_scan_determinismE0ELb0ES3_N6thrust23THRUST_200600_302600_NS6detail15normal_iteratorINS9_10device_ptrIiEEEENSB_INSC_IxEEEESG_xNS9_4plusIvEENS9_8equal_toIvEExEE10hipError_tPvRmT2_T3_T4_T5_mT6_T7_P12ihipStream_tbENKUlT_T0_E_clISt17integral_constantIbLb0EES10_IbLb1EEEEDaSW_SX_EUlSW_E_NS1_11comp_targetILNS1_3genE3ELNS1_11target_archE908ELNS1_3gpuE7ELNS1_3repE0EEENS1_30default_config_static_selectorELNS0_4arch9wavefront6targetE0EEEvT1_
                                        ; -- End function
	.set _ZN7rocprim17ROCPRIM_400000_NS6detail17trampoline_kernelINS0_14default_configENS1_27scan_by_key_config_selectorIixEEZZNS1_16scan_by_key_implILNS1_25lookback_scan_determinismE0ELb0ES3_N6thrust23THRUST_200600_302600_NS6detail15normal_iteratorINS9_10device_ptrIiEEEENSB_INSC_IxEEEESG_xNS9_4plusIvEENS9_8equal_toIvEExEE10hipError_tPvRmT2_T3_T4_T5_mT6_T7_P12ihipStream_tbENKUlT_T0_E_clISt17integral_constantIbLb0EES10_IbLb1EEEEDaSW_SX_EUlSW_E_NS1_11comp_targetILNS1_3genE3ELNS1_11target_archE908ELNS1_3gpuE7ELNS1_3repE0EEENS1_30default_config_static_selectorELNS0_4arch9wavefront6targetE0EEEvT1_.num_vgpr, 0
	.set _ZN7rocprim17ROCPRIM_400000_NS6detail17trampoline_kernelINS0_14default_configENS1_27scan_by_key_config_selectorIixEEZZNS1_16scan_by_key_implILNS1_25lookback_scan_determinismE0ELb0ES3_N6thrust23THRUST_200600_302600_NS6detail15normal_iteratorINS9_10device_ptrIiEEEENSB_INSC_IxEEEESG_xNS9_4plusIvEENS9_8equal_toIvEExEE10hipError_tPvRmT2_T3_T4_T5_mT6_T7_P12ihipStream_tbENKUlT_T0_E_clISt17integral_constantIbLb0EES10_IbLb1EEEEDaSW_SX_EUlSW_E_NS1_11comp_targetILNS1_3genE3ELNS1_11target_archE908ELNS1_3gpuE7ELNS1_3repE0EEENS1_30default_config_static_selectorELNS0_4arch9wavefront6targetE0EEEvT1_.num_agpr, 0
	.set _ZN7rocprim17ROCPRIM_400000_NS6detail17trampoline_kernelINS0_14default_configENS1_27scan_by_key_config_selectorIixEEZZNS1_16scan_by_key_implILNS1_25lookback_scan_determinismE0ELb0ES3_N6thrust23THRUST_200600_302600_NS6detail15normal_iteratorINS9_10device_ptrIiEEEENSB_INSC_IxEEEESG_xNS9_4plusIvEENS9_8equal_toIvEExEE10hipError_tPvRmT2_T3_T4_T5_mT6_T7_P12ihipStream_tbENKUlT_T0_E_clISt17integral_constantIbLb0EES10_IbLb1EEEEDaSW_SX_EUlSW_E_NS1_11comp_targetILNS1_3genE3ELNS1_11target_archE908ELNS1_3gpuE7ELNS1_3repE0EEENS1_30default_config_static_selectorELNS0_4arch9wavefront6targetE0EEEvT1_.numbered_sgpr, 0
	.set _ZN7rocprim17ROCPRIM_400000_NS6detail17trampoline_kernelINS0_14default_configENS1_27scan_by_key_config_selectorIixEEZZNS1_16scan_by_key_implILNS1_25lookback_scan_determinismE0ELb0ES3_N6thrust23THRUST_200600_302600_NS6detail15normal_iteratorINS9_10device_ptrIiEEEENSB_INSC_IxEEEESG_xNS9_4plusIvEENS9_8equal_toIvEExEE10hipError_tPvRmT2_T3_T4_T5_mT6_T7_P12ihipStream_tbENKUlT_T0_E_clISt17integral_constantIbLb0EES10_IbLb1EEEEDaSW_SX_EUlSW_E_NS1_11comp_targetILNS1_3genE3ELNS1_11target_archE908ELNS1_3gpuE7ELNS1_3repE0EEENS1_30default_config_static_selectorELNS0_4arch9wavefront6targetE0EEEvT1_.num_named_barrier, 0
	.set _ZN7rocprim17ROCPRIM_400000_NS6detail17trampoline_kernelINS0_14default_configENS1_27scan_by_key_config_selectorIixEEZZNS1_16scan_by_key_implILNS1_25lookback_scan_determinismE0ELb0ES3_N6thrust23THRUST_200600_302600_NS6detail15normal_iteratorINS9_10device_ptrIiEEEENSB_INSC_IxEEEESG_xNS9_4plusIvEENS9_8equal_toIvEExEE10hipError_tPvRmT2_T3_T4_T5_mT6_T7_P12ihipStream_tbENKUlT_T0_E_clISt17integral_constantIbLb0EES10_IbLb1EEEEDaSW_SX_EUlSW_E_NS1_11comp_targetILNS1_3genE3ELNS1_11target_archE908ELNS1_3gpuE7ELNS1_3repE0EEENS1_30default_config_static_selectorELNS0_4arch9wavefront6targetE0EEEvT1_.private_seg_size, 0
	.set _ZN7rocprim17ROCPRIM_400000_NS6detail17trampoline_kernelINS0_14default_configENS1_27scan_by_key_config_selectorIixEEZZNS1_16scan_by_key_implILNS1_25lookback_scan_determinismE0ELb0ES3_N6thrust23THRUST_200600_302600_NS6detail15normal_iteratorINS9_10device_ptrIiEEEENSB_INSC_IxEEEESG_xNS9_4plusIvEENS9_8equal_toIvEExEE10hipError_tPvRmT2_T3_T4_T5_mT6_T7_P12ihipStream_tbENKUlT_T0_E_clISt17integral_constantIbLb0EES10_IbLb1EEEEDaSW_SX_EUlSW_E_NS1_11comp_targetILNS1_3genE3ELNS1_11target_archE908ELNS1_3gpuE7ELNS1_3repE0EEENS1_30default_config_static_selectorELNS0_4arch9wavefront6targetE0EEEvT1_.uses_vcc, 0
	.set _ZN7rocprim17ROCPRIM_400000_NS6detail17trampoline_kernelINS0_14default_configENS1_27scan_by_key_config_selectorIixEEZZNS1_16scan_by_key_implILNS1_25lookback_scan_determinismE0ELb0ES3_N6thrust23THRUST_200600_302600_NS6detail15normal_iteratorINS9_10device_ptrIiEEEENSB_INSC_IxEEEESG_xNS9_4plusIvEENS9_8equal_toIvEExEE10hipError_tPvRmT2_T3_T4_T5_mT6_T7_P12ihipStream_tbENKUlT_T0_E_clISt17integral_constantIbLb0EES10_IbLb1EEEEDaSW_SX_EUlSW_E_NS1_11comp_targetILNS1_3genE3ELNS1_11target_archE908ELNS1_3gpuE7ELNS1_3repE0EEENS1_30default_config_static_selectorELNS0_4arch9wavefront6targetE0EEEvT1_.uses_flat_scratch, 0
	.set _ZN7rocprim17ROCPRIM_400000_NS6detail17trampoline_kernelINS0_14default_configENS1_27scan_by_key_config_selectorIixEEZZNS1_16scan_by_key_implILNS1_25lookback_scan_determinismE0ELb0ES3_N6thrust23THRUST_200600_302600_NS6detail15normal_iteratorINS9_10device_ptrIiEEEENSB_INSC_IxEEEESG_xNS9_4plusIvEENS9_8equal_toIvEExEE10hipError_tPvRmT2_T3_T4_T5_mT6_T7_P12ihipStream_tbENKUlT_T0_E_clISt17integral_constantIbLb0EES10_IbLb1EEEEDaSW_SX_EUlSW_E_NS1_11comp_targetILNS1_3genE3ELNS1_11target_archE908ELNS1_3gpuE7ELNS1_3repE0EEENS1_30default_config_static_selectorELNS0_4arch9wavefront6targetE0EEEvT1_.has_dyn_sized_stack, 0
	.set _ZN7rocprim17ROCPRIM_400000_NS6detail17trampoline_kernelINS0_14default_configENS1_27scan_by_key_config_selectorIixEEZZNS1_16scan_by_key_implILNS1_25lookback_scan_determinismE0ELb0ES3_N6thrust23THRUST_200600_302600_NS6detail15normal_iteratorINS9_10device_ptrIiEEEENSB_INSC_IxEEEESG_xNS9_4plusIvEENS9_8equal_toIvEExEE10hipError_tPvRmT2_T3_T4_T5_mT6_T7_P12ihipStream_tbENKUlT_T0_E_clISt17integral_constantIbLb0EES10_IbLb1EEEEDaSW_SX_EUlSW_E_NS1_11comp_targetILNS1_3genE3ELNS1_11target_archE908ELNS1_3gpuE7ELNS1_3repE0EEENS1_30default_config_static_selectorELNS0_4arch9wavefront6targetE0EEEvT1_.has_recursion, 0
	.set _ZN7rocprim17ROCPRIM_400000_NS6detail17trampoline_kernelINS0_14default_configENS1_27scan_by_key_config_selectorIixEEZZNS1_16scan_by_key_implILNS1_25lookback_scan_determinismE0ELb0ES3_N6thrust23THRUST_200600_302600_NS6detail15normal_iteratorINS9_10device_ptrIiEEEENSB_INSC_IxEEEESG_xNS9_4plusIvEENS9_8equal_toIvEExEE10hipError_tPvRmT2_T3_T4_T5_mT6_T7_P12ihipStream_tbENKUlT_T0_E_clISt17integral_constantIbLb0EES10_IbLb1EEEEDaSW_SX_EUlSW_E_NS1_11comp_targetILNS1_3genE3ELNS1_11target_archE908ELNS1_3gpuE7ELNS1_3repE0EEENS1_30default_config_static_selectorELNS0_4arch9wavefront6targetE0EEEvT1_.has_indirect_call, 0
	.section	.AMDGPU.csdata,"",@progbits
; Kernel info:
; codeLenInByte = 0
; TotalNumSgprs: 0
; NumVgprs: 0
; ScratchSize: 0
; MemoryBound: 0
; FloatMode: 240
; IeeeMode: 1
; LDSByteSize: 0 bytes/workgroup (compile time only)
; SGPRBlocks: 0
; VGPRBlocks: 0
; NumSGPRsForWavesPerEU: 1
; NumVGPRsForWavesPerEU: 1
; NamedBarCnt: 0
; Occupancy: 16
; WaveLimiterHint : 0
; COMPUTE_PGM_RSRC2:SCRATCH_EN: 0
; COMPUTE_PGM_RSRC2:USER_SGPR: 2
; COMPUTE_PGM_RSRC2:TRAP_HANDLER: 0
; COMPUTE_PGM_RSRC2:TGID_X_EN: 1
; COMPUTE_PGM_RSRC2:TGID_Y_EN: 0
; COMPUTE_PGM_RSRC2:TGID_Z_EN: 0
; COMPUTE_PGM_RSRC2:TIDIG_COMP_CNT: 0
	.section	.text._ZN7rocprim17ROCPRIM_400000_NS6detail17trampoline_kernelINS0_14default_configENS1_27scan_by_key_config_selectorIixEEZZNS1_16scan_by_key_implILNS1_25lookback_scan_determinismE0ELb0ES3_N6thrust23THRUST_200600_302600_NS6detail15normal_iteratorINS9_10device_ptrIiEEEENSB_INSC_IxEEEESG_xNS9_4plusIvEENS9_8equal_toIvEExEE10hipError_tPvRmT2_T3_T4_T5_mT6_T7_P12ihipStream_tbENKUlT_T0_E_clISt17integral_constantIbLb0EES10_IbLb1EEEEDaSW_SX_EUlSW_E_NS1_11comp_targetILNS1_3genE2ELNS1_11target_archE906ELNS1_3gpuE6ELNS1_3repE0EEENS1_30default_config_static_selectorELNS0_4arch9wavefront6targetE0EEEvT1_,"axG",@progbits,_ZN7rocprim17ROCPRIM_400000_NS6detail17trampoline_kernelINS0_14default_configENS1_27scan_by_key_config_selectorIixEEZZNS1_16scan_by_key_implILNS1_25lookback_scan_determinismE0ELb0ES3_N6thrust23THRUST_200600_302600_NS6detail15normal_iteratorINS9_10device_ptrIiEEEENSB_INSC_IxEEEESG_xNS9_4plusIvEENS9_8equal_toIvEExEE10hipError_tPvRmT2_T3_T4_T5_mT6_T7_P12ihipStream_tbENKUlT_T0_E_clISt17integral_constantIbLb0EES10_IbLb1EEEEDaSW_SX_EUlSW_E_NS1_11comp_targetILNS1_3genE2ELNS1_11target_archE906ELNS1_3gpuE6ELNS1_3repE0EEENS1_30default_config_static_selectorELNS0_4arch9wavefront6targetE0EEEvT1_,comdat
	.protected	_ZN7rocprim17ROCPRIM_400000_NS6detail17trampoline_kernelINS0_14default_configENS1_27scan_by_key_config_selectorIixEEZZNS1_16scan_by_key_implILNS1_25lookback_scan_determinismE0ELb0ES3_N6thrust23THRUST_200600_302600_NS6detail15normal_iteratorINS9_10device_ptrIiEEEENSB_INSC_IxEEEESG_xNS9_4plusIvEENS9_8equal_toIvEExEE10hipError_tPvRmT2_T3_T4_T5_mT6_T7_P12ihipStream_tbENKUlT_T0_E_clISt17integral_constantIbLb0EES10_IbLb1EEEEDaSW_SX_EUlSW_E_NS1_11comp_targetILNS1_3genE2ELNS1_11target_archE906ELNS1_3gpuE6ELNS1_3repE0EEENS1_30default_config_static_selectorELNS0_4arch9wavefront6targetE0EEEvT1_ ; -- Begin function _ZN7rocprim17ROCPRIM_400000_NS6detail17trampoline_kernelINS0_14default_configENS1_27scan_by_key_config_selectorIixEEZZNS1_16scan_by_key_implILNS1_25lookback_scan_determinismE0ELb0ES3_N6thrust23THRUST_200600_302600_NS6detail15normal_iteratorINS9_10device_ptrIiEEEENSB_INSC_IxEEEESG_xNS9_4plusIvEENS9_8equal_toIvEExEE10hipError_tPvRmT2_T3_T4_T5_mT6_T7_P12ihipStream_tbENKUlT_T0_E_clISt17integral_constantIbLb0EES10_IbLb1EEEEDaSW_SX_EUlSW_E_NS1_11comp_targetILNS1_3genE2ELNS1_11target_archE906ELNS1_3gpuE6ELNS1_3repE0EEENS1_30default_config_static_selectorELNS0_4arch9wavefront6targetE0EEEvT1_
	.globl	_ZN7rocprim17ROCPRIM_400000_NS6detail17trampoline_kernelINS0_14default_configENS1_27scan_by_key_config_selectorIixEEZZNS1_16scan_by_key_implILNS1_25lookback_scan_determinismE0ELb0ES3_N6thrust23THRUST_200600_302600_NS6detail15normal_iteratorINS9_10device_ptrIiEEEENSB_INSC_IxEEEESG_xNS9_4plusIvEENS9_8equal_toIvEExEE10hipError_tPvRmT2_T3_T4_T5_mT6_T7_P12ihipStream_tbENKUlT_T0_E_clISt17integral_constantIbLb0EES10_IbLb1EEEEDaSW_SX_EUlSW_E_NS1_11comp_targetILNS1_3genE2ELNS1_11target_archE906ELNS1_3gpuE6ELNS1_3repE0EEENS1_30default_config_static_selectorELNS0_4arch9wavefront6targetE0EEEvT1_
	.p2align	8
	.type	_ZN7rocprim17ROCPRIM_400000_NS6detail17trampoline_kernelINS0_14default_configENS1_27scan_by_key_config_selectorIixEEZZNS1_16scan_by_key_implILNS1_25lookback_scan_determinismE0ELb0ES3_N6thrust23THRUST_200600_302600_NS6detail15normal_iteratorINS9_10device_ptrIiEEEENSB_INSC_IxEEEESG_xNS9_4plusIvEENS9_8equal_toIvEExEE10hipError_tPvRmT2_T3_T4_T5_mT6_T7_P12ihipStream_tbENKUlT_T0_E_clISt17integral_constantIbLb0EES10_IbLb1EEEEDaSW_SX_EUlSW_E_NS1_11comp_targetILNS1_3genE2ELNS1_11target_archE906ELNS1_3gpuE6ELNS1_3repE0EEENS1_30default_config_static_selectorELNS0_4arch9wavefront6targetE0EEEvT1_,@function
_ZN7rocprim17ROCPRIM_400000_NS6detail17trampoline_kernelINS0_14default_configENS1_27scan_by_key_config_selectorIixEEZZNS1_16scan_by_key_implILNS1_25lookback_scan_determinismE0ELb0ES3_N6thrust23THRUST_200600_302600_NS6detail15normal_iteratorINS9_10device_ptrIiEEEENSB_INSC_IxEEEESG_xNS9_4plusIvEENS9_8equal_toIvEExEE10hipError_tPvRmT2_T3_T4_T5_mT6_T7_P12ihipStream_tbENKUlT_T0_E_clISt17integral_constantIbLb0EES10_IbLb1EEEEDaSW_SX_EUlSW_E_NS1_11comp_targetILNS1_3genE2ELNS1_11target_archE906ELNS1_3gpuE6ELNS1_3repE0EEENS1_30default_config_static_selectorELNS0_4arch9wavefront6targetE0EEEvT1_: ; @_ZN7rocprim17ROCPRIM_400000_NS6detail17trampoline_kernelINS0_14default_configENS1_27scan_by_key_config_selectorIixEEZZNS1_16scan_by_key_implILNS1_25lookback_scan_determinismE0ELb0ES3_N6thrust23THRUST_200600_302600_NS6detail15normal_iteratorINS9_10device_ptrIiEEEENSB_INSC_IxEEEESG_xNS9_4plusIvEENS9_8equal_toIvEExEE10hipError_tPvRmT2_T3_T4_T5_mT6_T7_P12ihipStream_tbENKUlT_T0_E_clISt17integral_constantIbLb0EES10_IbLb1EEEEDaSW_SX_EUlSW_E_NS1_11comp_targetILNS1_3genE2ELNS1_11target_archE906ELNS1_3gpuE6ELNS1_3repE0EEENS1_30default_config_static_selectorELNS0_4arch9wavefront6targetE0EEEvT1_
; %bb.0:
	.section	.rodata,"a",@progbits
	.p2align	6, 0x0
	.amdhsa_kernel _ZN7rocprim17ROCPRIM_400000_NS6detail17trampoline_kernelINS0_14default_configENS1_27scan_by_key_config_selectorIixEEZZNS1_16scan_by_key_implILNS1_25lookback_scan_determinismE0ELb0ES3_N6thrust23THRUST_200600_302600_NS6detail15normal_iteratorINS9_10device_ptrIiEEEENSB_INSC_IxEEEESG_xNS9_4plusIvEENS9_8equal_toIvEExEE10hipError_tPvRmT2_T3_T4_T5_mT6_T7_P12ihipStream_tbENKUlT_T0_E_clISt17integral_constantIbLb0EES10_IbLb1EEEEDaSW_SX_EUlSW_E_NS1_11comp_targetILNS1_3genE2ELNS1_11target_archE906ELNS1_3gpuE6ELNS1_3repE0EEENS1_30default_config_static_selectorELNS0_4arch9wavefront6targetE0EEEvT1_
		.amdhsa_group_segment_fixed_size 0
		.amdhsa_private_segment_fixed_size 0
		.amdhsa_kernarg_size 136
		.amdhsa_user_sgpr_count 2
		.amdhsa_user_sgpr_dispatch_ptr 0
		.amdhsa_user_sgpr_queue_ptr 0
		.amdhsa_user_sgpr_kernarg_segment_ptr 1
		.amdhsa_user_sgpr_dispatch_id 0
		.amdhsa_user_sgpr_kernarg_preload_length 0
		.amdhsa_user_sgpr_kernarg_preload_offset 0
		.amdhsa_user_sgpr_private_segment_size 0
		.amdhsa_wavefront_size32 1
		.amdhsa_uses_dynamic_stack 0
		.amdhsa_enable_private_segment 0
		.amdhsa_system_sgpr_workgroup_id_x 1
		.amdhsa_system_sgpr_workgroup_id_y 0
		.amdhsa_system_sgpr_workgroup_id_z 0
		.amdhsa_system_sgpr_workgroup_info 0
		.amdhsa_system_vgpr_workitem_id 0
		.amdhsa_next_free_vgpr 1
		.amdhsa_next_free_sgpr 1
		.amdhsa_named_barrier_count 0
		.amdhsa_reserve_vcc 0
		.amdhsa_float_round_mode_32 0
		.amdhsa_float_round_mode_16_64 0
		.amdhsa_float_denorm_mode_32 3
		.amdhsa_float_denorm_mode_16_64 3
		.amdhsa_fp16_overflow 0
		.amdhsa_memory_ordered 1
		.amdhsa_forward_progress 1
		.amdhsa_inst_pref_size 0
		.amdhsa_round_robin_scheduling 0
		.amdhsa_exception_fp_ieee_invalid_op 0
		.amdhsa_exception_fp_denorm_src 0
		.amdhsa_exception_fp_ieee_div_zero 0
		.amdhsa_exception_fp_ieee_overflow 0
		.amdhsa_exception_fp_ieee_underflow 0
		.amdhsa_exception_fp_ieee_inexact 0
		.amdhsa_exception_int_div_zero 0
	.end_amdhsa_kernel
	.section	.text._ZN7rocprim17ROCPRIM_400000_NS6detail17trampoline_kernelINS0_14default_configENS1_27scan_by_key_config_selectorIixEEZZNS1_16scan_by_key_implILNS1_25lookback_scan_determinismE0ELb0ES3_N6thrust23THRUST_200600_302600_NS6detail15normal_iteratorINS9_10device_ptrIiEEEENSB_INSC_IxEEEESG_xNS9_4plusIvEENS9_8equal_toIvEExEE10hipError_tPvRmT2_T3_T4_T5_mT6_T7_P12ihipStream_tbENKUlT_T0_E_clISt17integral_constantIbLb0EES10_IbLb1EEEEDaSW_SX_EUlSW_E_NS1_11comp_targetILNS1_3genE2ELNS1_11target_archE906ELNS1_3gpuE6ELNS1_3repE0EEENS1_30default_config_static_selectorELNS0_4arch9wavefront6targetE0EEEvT1_,"axG",@progbits,_ZN7rocprim17ROCPRIM_400000_NS6detail17trampoline_kernelINS0_14default_configENS1_27scan_by_key_config_selectorIixEEZZNS1_16scan_by_key_implILNS1_25lookback_scan_determinismE0ELb0ES3_N6thrust23THRUST_200600_302600_NS6detail15normal_iteratorINS9_10device_ptrIiEEEENSB_INSC_IxEEEESG_xNS9_4plusIvEENS9_8equal_toIvEExEE10hipError_tPvRmT2_T3_T4_T5_mT6_T7_P12ihipStream_tbENKUlT_T0_E_clISt17integral_constantIbLb0EES10_IbLb1EEEEDaSW_SX_EUlSW_E_NS1_11comp_targetILNS1_3genE2ELNS1_11target_archE906ELNS1_3gpuE6ELNS1_3repE0EEENS1_30default_config_static_selectorELNS0_4arch9wavefront6targetE0EEEvT1_,comdat
.Lfunc_end1346:
	.size	_ZN7rocprim17ROCPRIM_400000_NS6detail17trampoline_kernelINS0_14default_configENS1_27scan_by_key_config_selectorIixEEZZNS1_16scan_by_key_implILNS1_25lookback_scan_determinismE0ELb0ES3_N6thrust23THRUST_200600_302600_NS6detail15normal_iteratorINS9_10device_ptrIiEEEENSB_INSC_IxEEEESG_xNS9_4plusIvEENS9_8equal_toIvEExEE10hipError_tPvRmT2_T3_T4_T5_mT6_T7_P12ihipStream_tbENKUlT_T0_E_clISt17integral_constantIbLb0EES10_IbLb1EEEEDaSW_SX_EUlSW_E_NS1_11comp_targetILNS1_3genE2ELNS1_11target_archE906ELNS1_3gpuE6ELNS1_3repE0EEENS1_30default_config_static_selectorELNS0_4arch9wavefront6targetE0EEEvT1_, .Lfunc_end1346-_ZN7rocprim17ROCPRIM_400000_NS6detail17trampoline_kernelINS0_14default_configENS1_27scan_by_key_config_selectorIixEEZZNS1_16scan_by_key_implILNS1_25lookback_scan_determinismE0ELb0ES3_N6thrust23THRUST_200600_302600_NS6detail15normal_iteratorINS9_10device_ptrIiEEEENSB_INSC_IxEEEESG_xNS9_4plusIvEENS9_8equal_toIvEExEE10hipError_tPvRmT2_T3_T4_T5_mT6_T7_P12ihipStream_tbENKUlT_T0_E_clISt17integral_constantIbLb0EES10_IbLb1EEEEDaSW_SX_EUlSW_E_NS1_11comp_targetILNS1_3genE2ELNS1_11target_archE906ELNS1_3gpuE6ELNS1_3repE0EEENS1_30default_config_static_selectorELNS0_4arch9wavefront6targetE0EEEvT1_
                                        ; -- End function
	.set _ZN7rocprim17ROCPRIM_400000_NS6detail17trampoline_kernelINS0_14default_configENS1_27scan_by_key_config_selectorIixEEZZNS1_16scan_by_key_implILNS1_25lookback_scan_determinismE0ELb0ES3_N6thrust23THRUST_200600_302600_NS6detail15normal_iteratorINS9_10device_ptrIiEEEENSB_INSC_IxEEEESG_xNS9_4plusIvEENS9_8equal_toIvEExEE10hipError_tPvRmT2_T3_T4_T5_mT6_T7_P12ihipStream_tbENKUlT_T0_E_clISt17integral_constantIbLb0EES10_IbLb1EEEEDaSW_SX_EUlSW_E_NS1_11comp_targetILNS1_3genE2ELNS1_11target_archE906ELNS1_3gpuE6ELNS1_3repE0EEENS1_30default_config_static_selectorELNS0_4arch9wavefront6targetE0EEEvT1_.num_vgpr, 0
	.set _ZN7rocprim17ROCPRIM_400000_NS6detail17trampoline_kernelINS0_14default_configENS1_27scan_by_key_config_selectorIixEEZZNS1_16scan_by_key_implILNS1_25lookback_scan_determinismE0ELb0ES3_N6thrust23THRUST_200600_302600_NS6detail15normal_iteratorINS9_10device_ptrIiEEEENSB_INSC_IxEEEESG_xNS9_4plusIvEENS9_8equal_toIvEExEE10hipError_tPvRmT2_T3_T4_T5_mT6_T7_P12ihipStream_tbENKUlT_T0_E_clISt17integral_constantIbLb0EES10_IbLb1EEEEDaSW_SX_EUlSW_E_NS1_11comp_targetILNS1_3genE2ELNS1_11target_archE906ELNS1_3gpuE6ELNS1_3repE0EEENS1_30default_config_static_selectorELNS0_4arch9wavefront6targetE0EEEvT1_.num_agpr, 0
	.set _ZN7rocprim17ROCPRIM_400000_NS6detail17trampoline_kernelINS0_14default_configENS1_27scan_by_key_config_selectorIixEEZZNS1_16scan_by_key_implILNS1_25lookback_scan_determinismE0ELb0ES3_N6thrust23THRUST_200600_302600_NS6detail15normal_iteratorINS9_10device_ptrIiEEEENSB_INSC_IxEEEESG_xNS9_4plusIvEENS9_8equal_toIvEExEE10hipError_tPvRmT2_T3_T4_T5_mT6_T7_P12ihipStream_tbENKUlT_T0_E_clISt17integral_constantIbLb0EES10_IbLb1EEEEDaSW_SX_EUlSW_E_NS1_11comp_targetILNS1_3genE2ELNS1_11target_archE906ELNS1_3gpuE6ELNS1_3repE0EEENS1_30default_config_static_selectorELNS0_4arch9wavefront6targetE0EEEvT1_.numbered_sgpr, 0
	.set _ZN7rocprim17ROCPRIM_400000_NS6detail17trampoline_kernelINS0_14default_configENS1_27scan_by_key_config_selectorIixEEZZNS1_16scan_by_key_implILNS1_25lookback_scan_determinismE0ELb0ES3_N6thrust23THRUST_200600_302600_NS6detail15normal_iteratorINS9_10device_ptrIiEEEENSB_INSC_IxEEEESG_xNS9_4plusIvEENS9_8equal_toIvEExEE10hipError_tPvRmT2_T3_T4_T5_mT6_T7_P12ihipStream_tbENKUlT_T0_E_clISt17integral_constantIbLb0EES10_IbLb1EEEEDaSW_SX_EUlSW_E_NS1_11comp_targetILNS1_3genE2ELNS1_11target_archE906ELNS1_3gpuE6ELNS1_3repE0EEENS1_30default_config_static_selectorELNS0_4arch9wavefront6targetE0EEEvT1_.num_named_barrier, 0
	.set _ZN7rocprim17ROCPRIM_400000_NS6detail17trampoline_kernelINS0_14default_configENS1_27scan_by_key_config_selectorIixEEZZNS1_16scan_by_key_implILNS1_25lookback_scan_determinismE0ELb0ES3_N6thrust23THRUST_200600_302600_NS6detail15normal_iteratorINS9_10device_ptrIiEEEENSB_INSC_IxEEEESG_xNS9_4plusIvEENS9_8equal_toIvEExEE10hipError_tPvRmT2_T3_T4_T5_mT6_T7_P12ihipStream_tbENKUlT_T0_E_clISt17integral_constantIbLb0EES10_IbLb1EEEEDaSW_SX_EUlSW_E_NS1_11comp_targetILNS1_3genE2ELNS1_11target_archE906ELNS1_3gpuE6ELNS1_3repE0EEENS1_30default_config_static_selectorELNS0_4arch9wavefront6targetE0EEEvT1_.private_seg_size, 0
	.set _ZN7rocprim17ROCPRIM_400000_NS6detail17trampoline_kernelINS0_14default_configENS1_27scan_by_key_config_selectorIixEEZZNS1_16scan_by_key_implILNS1_25lookback_scan_determinismE0ELb0ES3_N6thrust23THRUST_200600_302600_NS6detail15normal_iteratorINS9_10device_ptrIiEEEENSB_INSC_IxEEEESG_xNS9_4plusIvEENS9_8equal_toIvEExEE10hipError_tPvRmT2_T3_T4_T5_mT6_T7_P12ihipStream_tbENKUlT_T0_E_clISt17integral_constantIbLb0EES10_IbLb1EEEEDaSW_SX_EUlSW_E_NS1_11comp_targetILNS1_3genE2ELNS1_11target_archE906ELNS1_3gpuE6ELNS1_3repE0EEENS1_30default_config_static_selectorELNS0_4arch9wavefront6targetE0EEEvT1_.uses_vcc, 0
	.set _ZN7rocprim17ROCPRIM_400000_NS6detail17trampoline_kernelINS0_14default_configENS1_27scan_by_key_config_selectorIixEEZZNS1_16scan_by_key_implILNS1_25lookback_scan_determinismE0ELb0ES3_N6thrust23THRUST_200600_302600_NS6detail15normal_iteratorINS9_10device_ptrIiEEEENSB_INSC_IxEEEESG_xNS9_4plusIvEENS9_8equal_toIvEExEE10hipError_tPvRmT2_T3_T4_T5_mT6_T7_P12ihipStream_tbENKUlT_T0_E_clISt17integral_constantIbLb0EES10_IbLb1EEEEDaSW_SX_EUlSW_E_NS1_11comp_targetILNS1_3genE2ELNS1_11target_archE906ELNS1_3gpuE6ELNS1_3repE0EEENS1_30default_config_static_selectorELNS0_4arch9wavefront6targetE0EEEvT1_.uses_flat_scratch, 0
	.set _ZN7rocprim17ROCPRIM_400000_NS6detail17trampoline_kernelINS0_14default_configENS1_27scan_by_key_config_selectorIixEEZZNS1_16scan_by_key_implILNS1_25lookback_scan_determinismE0ELb0ES3_N6thrust23THRUST_200600_302600_NS6detail15normal_iteratorINS9_10device_ptrIiEEEENSB_INSC_IxEEEESG_xNS9_4plusIvEENS9_8equal_toIvEExEE10hipError_tPvRmT2_T3_T4_T5_mT6_T7_P12ihipStream_tbENKUlT_T0_E_clISt17integral_constantIbLb0EES10_IbLb1EEEEDaSW_SX_EUlSW_E_NS1_11comp_targetILNS1_3genE2ELNS1_11target_archE906ELNS1_3gpuE6ELNS1_3repE0EEENS1_30default_config_static_selectorELNS0_4arch9wavefront6targetE0EEEvT1_.has_dyn_sized_stack, 0
	.set _ZN7rocprim17ROCPRIM_400000_NS6detail17trampoline_kernelINS0_14default_configENS1_27scan_by_key_config_selectorIixEEZZNS1_16scan_by_key_implILNS1_25lookback_scan_determinismE0ELb0ES3_N6thrust23THRUST_200600_302600_NS6detail15normal_iteratorINS9_10device_ptrIiEEEENSB_INSC_IxEEEESG_xNS9_4plusIvEENS9_8equal_toIvEExEE10hipError_tPvRmT2_T3_T4_T5_mT6_T7_P12ihipStream_tbENKUlT_T0_E_clISt17integral_constantIbLb0EES10_IbLb1EEEEDaSW_SX_EUlSW_E_NS1_11comp_targetILNS1_3genE2ELNS1_11target_archE906ELNS1_3gpuE6ELNS1_3repE0EEENS1_30default_config_static_selectorELNS0_4arch9wavefront6targetE0EEEvT1_.has_recursion, 0
	.set _ZN7rocprim17ROCPRIM_400000_NS6detail17trampoline_kernelINS0_14default_configENS1_27scan_by_key_config_selectorIixEEZZNS1_16scan_by_key_implILNS1_25lookback_scan_determinismE0ELb0ES3_N6thrust23THRUST_200600_302600_NS6detail15normal_iteratorINS9_10device_ptrIiEEEENSB_INSC_IxEEEESG_xNS9_4plusIvEENS9_8equal_toIvEExEE10hipError_tPvRmT2_T3_T4_T5_mT6_T7_P12ihipStream_tbENKUlT_T0_E_clISt17integral_constantIbLb0EES10_IbLb1EEEEDaSW_SX_EUlSW_E_NS1_11comp_targetILNS1_3genE2ELNS1_11target_archE906ELNS1_3gpuE6ELNS1_3repE0EEENS1_30default_config_static_selectorELNS0_4arch9wavefront6targetE0EEEvT1_.has_indirect_call, 0
	.section	.AMDGPU.csdata,"",@progbits
; Kernel info:
; codeLenInByte = 0
; TotalNumSgprs: 0
; NumVgprs: 0
; ScratchSize: 0
; MemoryBound: 0
; FloatMode: 240
; IeeeMode: 1
; LDSByteSize: 0 bytes/workgroup (compile time only)
; SGPRBlocks: 0
; VGPRBlocks: 0
; NumSGPRsForWavesPerEU: 1
; NumVGPRsForWavesPerEU: 1
; NamedBarCnt: 0
; Occupancy: 16
; WaveLimiterHint : 0
; COMPUTE_PGM_RSRC2:SCRATCH_EN: 0
; COMPUTE_PGM_RSRC2:USER_SGPR: 2
; COMPUTE_PGM_RSRC2:TRAP_HANDLER: 0
; COMPUTE_PGM_RSRC2:TGID_X_EN: 1
; COMPUTE_PGM_RSRC2:TGID_Y_EN: 0
; COMPUTE_PGM_RSRC2:TGID_Z_EN: 0
; COMPUTE_PGM_RSRC2:TIDIG_COMP_CNT: 0
	.section	.text._ZN7rocprim17ROCPRIM_400000_NS6detail17trampoline_kernelINS0_14default_configENS1_27scan_by_key_config_selectorIixEEZZNS1_16scan_by_key_implILNS1_25lookback_scan_determinismE0ELb0ES3_N6thrust23THRUST_200600_302600_NS6detail15normal_iteratorINS9_10device_ptrIiEEEENSB_INSC_IxEEEESG_xNS9_4plusIvEENS9_8equal_toIvEExEE10hipError_tPvRmT2_T3_T4_T5_mT6_T7_P12ihipStream_tbENKUlT_T0_E_clISt17integral_constantIbLb0EES10_IbLb1EEEEDaSW_SX_EUlSW_E_NS1_11comp_targetILNS1_3genE10ELNS1_11target_archE1200ELNS1_3gpuE4ELNS1_3repE0EEENS1_30default_config_static_selectorELNS0_4arch9wavefront6targetE0EEEvT1_,"axG",@progbits,_ZN7rocprim17ROCPRIM_400000_NS6detail17trampoline_kernelINS0_14default_configENS1_27scan_by_key_config_selectorIixEEZZNS1_16scan_by_key_implILNS1_25lookback_scan_determinismE0ELb0ES3_N6thrust23THRUST_200600_302600_NS6detail15normal_iteratorINS9_10device_ptrIiEEEENSB_INSC_IxEEEESG_xNS9_4plusIvEENS9_8equal_toIvEExEE10hipError_tPvRmT2_T3_T4_T5_mT6_T7_P12ihipStream_tbENKUlT_T0_E_clISt17integral_constantIbLb0EES10_IbLb1EEEEDaSW_SX_EUlSW_E_NS1_11comp_targetILNS1_3genE10ELNS1_11target_archE1200ELNS1_3gpuE4ELNS1_3repE0EEENS1_30default_config_static_selectorELNS0_4arch9wavefront6targetE0EEEvT1_,comdat
	.protected	_ZN7rocprim17ROCPRIM_400000_NS6detail17trampoline_kernelINS0_14default_configENS1_27scan_by_key_config_selectorIixEEZZNS1_16scan_by_key_implILNS1_25lookback_scan_determinismE0ELb0ES3_N6thrust23THRUST_200600_302600_NS6detail15normal_iteratorINS9_10device_ptrIiEEEENSB_INSC_IxEEEESG_xNS9_4plusIvEENS9_8equal_toIvEExEE10hipError_tPvRmT2_T3_T4_T5_mT6_T7_P12ihipStream_tbENKUlT_T0_E_clISt17integral_constantIbLb0EES10_IbLb1EEEEDaSW_SX_EUlSW_E_NS1_11comp_targetILNS1_3genE10ELNS1_11target_archE1200ELNS1_3gpuE4ELNS1_3repE0EEENS1_30default_config_static_selectorELNS0_4arch9wavefront6targetE0EEEvT1_ ; -- Begin function _ZN7rocprim17ROCPRIM_400000_NS6detail17trampoline_kernelINS0_14default_configENS1_27scan_by_key_config_selectorIixEEZZNS1_16scan_by_key_implILNS1_25lookback_scan_determinismE0ELb0ES3_N6thrust23THRUST_200600_302600_NS6detail15normal_iteratorINS9_10device_ptrIiEEEENSB_INSC_IxEEEESG_xNS9_4plusIvEENS9_8equal_toIvEExEE10hipError_tPvRmT2_T3_T4_T5_mT6_T7_P12ihipStream_tbENKUlT_T0_E_clISt17integral_constantIbLb0EES10_IbLb1EEEEDaSW_SX_EUlSW_E_NS1_11comp_targetILNS1_3genE10ELNS1_11target_archE1200ELNS1_3gpuE4ELNS1_3repE0EEENS1_30default_config_static_selectorELNS0_4arch9wavefront6targetE0EEEvT1_
	.globl	_ZN7rocprim17ROCPRIM_400000_NS6detail17trampoline_kernelINS0_14default_configENS1_27scan_by_key_config_selectorIixEEZZNS1_16scan_by_key_implILNS1_25lookback_scan_determinismE0ELb0ES3_N6thrust23THRUST_200600_302600_NS6detail15normal_iteratorINS9_10device_ptrIiEEEENSB_INSC_IxEEEESG_xNS9_4plusIvEENS9_8equal_toIvEExEE10hipError_tPvRmT2_T3_T4_T5_mT6_T7_P12ihipStream_tbENKUlT_T0_E_clISt17integral_constantIbLb0EES10_IbLb1EEEEDaSW_SX_EUlSW_E_NS1_11comp_targetILNS1_3genE10ELNS1_11target_archE1200ELNS1_3gpuE4ELNS1_3repE0EEENS1_30default_config_static_selectorELNS0_4arch9wavefront6targetE0EEEvT1_
	.p2align	8
	.type	_ZN7rocprim17ROCPRIM_400000_NS6detail17trampoline_kernelINS0_14default_configENS1_27scan_by_key_config_selectorIixEEZZNS1_16scan_by_key_implILNS1_25lookback_scan_determinismE0ELb0ES3_N6thrust23THRUST_200600_302600_NS6detail15normal_iteratorINS9_10device_ptrIiEEEENSB_INSC_IxEEEESG_xNS9_4plusIvEENS9_8equal_toIvEExEE10hipError_tPvRmT2_T3_T4_T5_mT6_T7_P12ihipStream_tbENKUlT_T0_E_clISt17integral_constantIbLb0EES10_IbLb1EEEEDaSW_SX_EUlSW_E_NS1_11comp_targetILNS1_3genE10ELNS1_11target_archE1200ELNS1_3gpuE4ELNS1_3repE0EEENS1_30default_config_static_selectorELNS0_4arch9wavefront6targetE0EEEvT1_,@function
_ZN7rocprim17ROCPRIM_400000_NS6detail17trampoline_kernelINS0_14default_configENS1_27scan_by_key_config_selectorIixEEZZNS1_16scan_by_key_implILNS1_25lookback_scan_determinismE0ELb0ES3_N6thrust23THRUST_200600_302600_NS6detail15normal_iteratorINS9_10device_ptrIiEEEENSB_INSC_IxEEEESG_xNS9_4plusIvEENS9_8equal_toIvEExEE10hipError_tPvRmT2_T3_T4_T5_mT6_T7_P12ihipStream_tbENKUlT_T0_E_clISt17integral_constantIbLb0EES10_IbLb1EEEEDaSW_SX_EUlSW_E_NS1_11comp_targetILNS1_3genE10ELNS1_11target_archE1200ELNS1_3gpuE4ELNS1_3repE0EEENS1_30default_config_static_selectorELNS0_4arch9wavefront6targetE0EEEvT1_: ; @_ZN7rocprim17ROCPRIM_400000_NS6detail17trampoline_kernelINS0_14default_configENS1_27scan_by_key_config_selectorIixEEZZNS1_16scan_by_key_implILNS1_25lookback_scan_determinismE0ELb0ES3_N6thrust23THRUST_200600_302600_NS6detail15normal_iteratorINS9_10device_ptrIiEEEENSB_INSC_IxEEEESG_xNS9_4plusIvEENS9_8equal_toIvEExEE10hipError_tPvRmT2_T3_T4_T5_mT6_T7_P12ihipStream_tbENKUlT_T0_E_clISt17integral_constantIbLb0EES10_IbLb1EEEEDaSW_SX_EUlSW_E_NS1_11comp_targetILNS1_3genE10ELNS1_11target_archE1200ELNS1_3gpuE4ELNS1_3repE0EEENS1_30default_config_static_selectorELNS0_4arch9wavefront6targetE0EEEvT1_
; %bb.0:
	.section	.rodata,"a",@progbits
	.p2align	6, 0x0
	.amdhsa_kernel _ZN7rocprim17ROCPRIM_400000_NS6detail17trampoline_kernelINS0_14default_configENS1_27scan_by_key_config_selectorIixEEZZNS1_16scan_by_key_implILNS1_25lookback_scan_determinismE0ELb0ES3_N6thrust23THRUST_200600_302600_NS6detail15normal_iteratorINS9_10device_ptrIiEEEENSB_INSC_IxEEEESG_xNS9_4plusIvEENS9_8equal_toIvEExEE10hipError_tPvRmT2_T3_T4_T5_mT6_T7_P12ihipStream_tbENKUlT_T0_E_clISt17integral_constantIbLb0EES10_IbLb1EEEEDaSW_SX_EUlSW_E_NS1_11comp_targetILNS1_3genE10ELNS1_11target_archE1200ELNS1_3gpuE4ELNS1_3repE0EEENS1_30default_config_static_selectorELNS0_4arch9wavefront6targetE0EEEvT1_
		.amdhsa_group_segment_fixed_size 0
		.amdhsa_private_segment_fixed_size 0
		.amdhsa_kernarg_size 136
		.amdhsa_user_sgpr_count 2
		.amdhsa_user_sgpr_dispatch_ptr 0
		.amdhsa_user_sgpr_queue_ptr 0
		.amdhsa_user_sgpr_kernarg_segment_ptr 1
		.amdhsa_user_sgpr_dispatch_id 0
		.amdhsa_user_sgpr_kernarg_preload_length 0
		.amdhsa_user_sgpr_kernarg_preload_offset 0
		.amdhsa_user_sgpr_private_segment_size 0
		.amdhsa_wavefront_size32 1
		.amdhsa_uses_dynamic_stack 0
		.amdhsa_enable_private_segment 0
		.amdhsa_system_sgpr_workgroup_id_x 1
		.amdhsa_system_sgpr_workgroup_id_y 0
		.amdhsa_system_sgpr_workgroup_id_z 0
		.amdhsa_system_sgpr_workgroup_info 0
		.amdhsa_system_vgpr_workitem_id 0
		.amdhsa_next_free_vgpr 1
		.amdhsa_next_free_sgpr 1
		.amdhsa_named_barrier_count 0
		.amdhsa_reserve_vcc 0
		.amdhsa_float_round_mode_32 0
		.amdhsa_float_round_mode_16_64 0
		.amdhsa_float_denorm_mode_32 3
		.amdhsa_float_denorm_mode_16_64 3
		.amdhsa_fp16_overflow 0
		.amdhsa_memory_ordered 1
		.amdhsa_forward_progress 1
		.amdhsa_inst_pref_size 0
		.amdhsa_round_robin_scheduling 0
		.amdhsa_exception_fp_ieee_invalid_op 0
		.amdhsa_exception_fp_denorm_src 0
		.amdhsa_exception_fp_ieee_div_zero 0
		.amdhsa_exception_fp_ieee_overflow 0
		.amdhsa_exception_fp_ieee_underflow 0
		.amdhsa_exception_fp_ieee_inexact 0
		.amdhsa_exception_int_div_zero 0
	.end_amdhsa_kernel
	.section	.text._ZN7rocprim17ROCPRIM_400000_NS6detail17trampoline_kernelINS0_14default_configENS1_27scan_by_key_config_selectorIixEEZZNS1_16scan_by_key_implILNS1_25lookback_scan_determinismE0ELb0ES3_N6thrust23THRUST_200600_302600_NS6detail15normal_iteratorINS9_10device_ptrIiEEEENSB_INSC_IxEEEESG_xNS9_4plusIvEENS9_8equal_toIvEExEE10hipError_tPvRmT2_T3_T4_T5_mT6_T7_P12ihipStream_tbENKUlT_T0_E_clISt17integral_constantIbLb0EES10_IbLb1EEEEDaSW_SX_EUlSW_E_NS1_11comp_targetILNS1_3genE10ELNS1_11target_archE1200ELNS1_3gpuE4ELNS1_3repE0EEENS1_30default_config_static_selectorELNS0_4arch9wavefront6targetE0EEEvT1_,"axG",@progbits,_ZN7rocprim17ROCPRIM_400000_NS6detail17trampoline_kernelINS0_14default_configENS1_27scan_by_key_config_selectorIixEEZZNS1_16scan_by_key_implILNS1_25lookback_scan_determinismE0ELb0ES3_N6thrust23THRUST_200600_302600_NS6detail15normal_iteratorINS9_10device_ptrIiEEEENSB_INSC_IxEEEESG_xNS9_4plusIvEENS9_8equal_toIvEExEE10hipError_tPvRmT2_T3_T4_T5_mT6_T7_P12ihipStream_tbENKUlT_T0_E_clISt17integral_constantIbLb0EES10_IbLb1EEEEDaSW_SX_EUlSW_E_NS1_11comp_targetILNS1_3genE10ELNS1_11target_archE1200ELNS1_3gpuE4ELNS1_3repE0EEENS1_30default_config_static_selectorELNS0_4arch9wavefront6targetE0EEEvT1_,comdat
.Lfunc_end1347:
	.size	_ZN7rocprim17ROCPRIM_400000_NS6detail17trampoline_kernelINS0_14default_configENS1_27scan_by_key_config_selectorIixEEZZNS1_16scan_by_key_implILNS1_25lookback_scan_determinismE0ELb0ES3_N6thrust23THRUST_200600_302600_NS6detail15normal_iteratorINS9_10device_ptrIiEEEENSB_INSC_IxEEEESG_xNS9_4plusIvEENS9_8equal_toIvEExEE10hipError_tPvRmT2_T3_T4_T5_mT6_T7_P12ihipStream_tbENKUlT_T0_E_clISt17integral_constantIbLb0EES10_IbLb1EEEEDaSW_SX_EUlSW_E_NS1_11comp_targetILNS1_3genE10ELNS1_11target_archE1200ELNS1_3gpuE4ELNS1_3repE0EEENS1_30default_config_static_selectorELNS0_4arch9wavefront6targetE0EEEvT1_, .Lfunc_end1347-_ZN7rocprim17ROCPRIM_400000_NS6detail17trampoline_kernelINS0_14default_configENS1_27scan_by_key_config_selectorIixEEZZNS1_16scan_by_key_implILNS1_25lookback_scan_determinismE0ELb0ES3_N6thrust23THRUST_200600_302600_NS6detail15normal_iteratorINS9_10device_ptrIiEEEENSB_INSC_IxEEEESG_xNS9_4plusIvEENS9_8equal_toIvEExEE10hipError_tPvRmT2_T3_T4_T5_mT6_T7_P12ihipStream_tbENKUlT_T0_E_clISt17integral_constantIbLb0EES10_IbLb1EEEEDaSW_SX_EUlSW_E_NS1_11comp_targetILNS1_3genE10ELNS1_11target_archE1200ELNS1_3gpuE4ELNS1_3repE0EEENS1_30default_config_static_selectorELNS0_4arch9wavefront6targetE0EEEvT1_
                                        ; -- End function
	.set _ZN7rocprim17ROCPRIM_400000_NS6detail17trampoline_kernelINS0_14default_configENS1_27scan_by_key_config_selectorIixEEZZNS1_16scan_by_key_implILNS1_25lookback_scan_determinismE0ELb0ES3_N6thrust23THRUST_200600_302600_NS6detail15normal_iteratorINS9_10device_ptrIiEEEENSB_INSC_IxEEEESG_xNS9_4plusIvEENS9_8equal_toIvEExEE10hipError_tPvRmT2_T3_T4_T5_mT6_T7_P12ihipStream_tbENKUlT_T0_E_clISt17integral_constantIbLb0EES10_IbLb1EEEEDaSW_SX_EUlSW_E_NS1_11comp_targetILNS1_3genE10ELNS1_11target_archE1200ELNS1_3gpuE4ELNS1_3repE0EEENS1_30default_config_static_selectorELNS0_4arch9wavefront6targetE0EEEvT1_.num_vgpr, 0
	.set _ZN7rocprim17ROCPRIM_400000_NS6detail17trampoline_kernelINS0_14default_configENS1_27scan_by_key_config_selectorIixEEZZNS1_16scan_by_key_implILNS1_25lookback_scan_determinismE0ELb0ES3_N6thrust23THRUST_200600_302600_NS6detail15normal_iteratorINS9_10device_ptrIiEEEENSB_INSC_IxEEEESG_xNS9_4plusIvEENS9_8equal_toIvEExEE10hipError_tPvRmT2_T3_T4_T5_mT6_T7_P12ihipStream_tbENKUlT_T0_E_clISt17integral_constantIbLb0EES10_IbLb1EEEEDaSW_SX_EUlSW_E_NS1_11comp_targetILNS1_3genE10ELNS1_11target_archE1200ELNS1_3gpuE4ELNS1_3repE0EEENS1_30default_config_static_selectorELNS0_4arch9wavefront6targetE0EEEvT1_.num_agpr, 0
	.set _ZN7rocprim17ROCPRIM_400000_NS6detail17trampoline_kernelINS0_14default_configENS1_27scan_by_key_config_selectorIixEEZZNS1_16scan_by_key_implILNS1_25lookback_scan_determinismE0ELb0ES3_N6thrust23THRUST_200600_302600_NS6detail15normal_iteratorINS9_10device_ptrIiEEEENSB_INSC_IxEEEESG_xNS9_4plusIvEENS9_8equal_toIvEExEE10hipError_tPvRmT2_T3_T4_T5_mT6_T7_P12ihipStream_tbENKUlT_T0_E_clISt17integral_constantIbLb0EES10_IbLb1EEEEDaSW_SX_EUlSW_E_NS1_11comp_targetILNS1_3genE10ELNS1_11target_archE1200ELNS1_3gpuE4ELNS1_3repE0EEENS1_30default_config_static_selectorELNS0_4arch9wavefront6targetE0EEEvT1_.numbered_sgpr, 0
	.set _ZN7rocprim17ROCPRIM_400000_NS6detail17trampoline_kernelINS0_14default_configENS1_27scan_by_key_config_selectorIixEEZZNS1_16scan_by_key_implILNS1_25lookback_scan_determinismE0ELb0ES3_N6thrust23THRUST_200600_302600_NS6detail15normal_iteratorINS9_10device_ptrIiEEEENSB_INSC_IxEEEESG_xNS9_4plusIvEENS9_8equal_toIvEExEE10hipError_tPvRmT2_T3_T4_T5_mT6_T7_P12ihipStream_tbENKUlT_T0_E_clISt17integral_constantIbLb0EES10_IbLb1EEEEDaSW_SX_EUlSW_E_NS1_11comp_targetILNS1_3genE10ELNS1_11target_archE1200ELNS1_3gpuE4ELNS1_3repE0EEENS1_30default_config_static_selectorELNS0_4arch9wavefront6targetE0EEEvT1_.num_named_barrier, 0
	.set _ZN7rocprim17ROCPRIM_400000_NS6detail17trampoline_kernelINS0_14default_configENS1_27scan_by_key_config_selectorIixEEZZNS1_16scan_by_key_implILNS1_25lookback_scan_determinismE0ELb0ES3_N6thrust23THRUST_200600_302600_NS6detail15normal_iteratorINS9_10device_ptrIiEEEENSB_INSC_IxEEEESG_xNS9_4plusIvEENS9_8equal_toIvEExEE10hipError_tPvRmT2_T3_T4_T5_mT6_T7_P12ihipStream_tbENKUlT_T0_E_clISt17integral_constantIbLb0EES10_IbLb1EEEEDaSW_SX_EUlSW_E_NS1_11comp_targetILNS1_3genE10ELNS1_11target_archE1200ELNS1_3gpuE4ELNS1_3repE0EEENS1_30default_config_static_selectorELNS0_4arch9wavefront6targetE0EEEvT1_.private_seg_size, 0
	.set _ZN7rocprim17ROCPRIM_400000_NS6detail17trampoline_kernelINS0_14default_configENS1_27scan_by_key_config_selectorIixEEZZNS1_16scan_by_key_implILNS1_25lookback_scan_determinismE0ELb0ES3_N6thrust23THRUST_200600_302600_NS6detail15normal_iteratorINS9_10device_ptrIiEEEENSB_INSC_IxEEEESG_xNS9_4plusIvEENS9_8equal_toIvEExEE10hipError_tPvRmT2_T3_T4_T5_mT6_T7_P12ihipStream_tbENKUlT_T0_E_clISt17integral_constantIbLb0EES10_IbLb1EEEEDaSW_SX_EUlSW_E_NS1_11comp_targetILNS1_3genE10ELNS1_11target_archE1200ELNS1_3gpuE4ELNS1_3repE0EEENS1_30default_config_static_selectorELNS0_4arch9wavefront6targetE0EEEvT1_.uses_vcc, 0
	.set _ZN7rocprim17ROCPRIM_400000_NS6detail17trampoline_kernelINS0_14default_configENS1_27scan_by_key_config_selectorIixEEZZNS1_16scan_by_key_implILNS1_25lookback_scan_determinismE0ELb0ES3_N6thrust23THRUST_200600_302600_NS6detail15normal_iteratorINS9_10device_ptrIiEEEENSB_INSC_IxEEEESG_xNS9_4plusIvEENS9_8equal_toIvEExEE10hipError_tPvRmT2_T3_T4_T5_mT6_T7_P12ihipStream_tbENKUlT_T0_E_clISt17integral_constantIbLb0EES10_IbLb1EEEEDaSW_SX_EUlSW_E_NS1_11comp_targetILNS1_3genE10ELNS1_11target_archE1200ELNS1_3gpuE4ELNS1_3repE0EEENS1_30default_config_static_selectorELNS0_4arch9wavefront6targetE0EEEvT1_.uses_flat_scratch, 0
	.set _ZN7rocprim17ROCPRIM_400000_NS6detail17trampoline_kernelINS0_14default_configENS1_27scan_by_key_config_selectorIixEEZZNS1_16scan_by_key_implILNS1_25lookback_scan_determinismE0ELb0ES3_N6thrust23THRUST_200600_302600_NS6detail15normal_iteratorINS9_10device_ptrIiEEEENSB_INSC_IxEEEESG_xNS9_4plusIvEENS9_8equal_toIvEExEE10hipError_tPvRmT2_T3_T4_T5_mT6_T7_P12ihipStream_tbENKUlT_T0_E_clISt17integral_constantIbLb0EES10_IbLb1EEEEDaSW_SX_EUlSW_E_NS1_11comp_targetILNS1_3genE10ELNS1_11target_archE1200ELNS1_3gpuE4ELNS1_3repE0EEENS1_30default_config_static_selectorELNS0_4arch9wavefront6targetE0EEEvT1_.has_dyn_sized_stack, 0
	.set _ZN7rocprim17ROCPRIM_400000_NS6detail17trampoline_kernelINS0_14default_configENS1_27scan_by_key_config_selectorIixEEZZNS1_16scan_by_key_implILNS1_25lookback_scan_determinismE0ELb0ES3_N6thrust23THRUST_200600_302600_NS6detail15normal_iteratorINS9_10device_ptrIiEEEENSB_INSC_IxEEEESG_xNS9_4plusIvEENS9_8equal_toIvEExEE10hipError_tPvRmT2_T3_T4_T5_mT6_T7_P12ihipStream_tbENKUlT_T0_E_clISt17integral_constantIbLb0EES10_IbLb1EEEEDaSW_SX_EUlSW_E_NS1_11comp_targetILNS1_3genE10ELNS1_11target_archE1200ELNS1_3gpuE4ELNS1_3repE0EEENS1_30default_config_static_selectorELNS0_4arch9wavefront6targetE0EEEvT1_.has_recursion, 0
	.set _ZN7rocprim17ROCPRIM_400000_NS6detail17trampoline_kernelINS0_14default_configENS1_27scan_by_key_config_selectorIixEEZZNS1_16scan_by_key_implILNS1_25lookback_scan_determinismE0ELb0ES3_N6thrust23THRUST_200600_302600_NS6detail15normal_iteratorINS9_10device_ptrIiEEEENSB_INSC_IxEEEESG_xNS9_4plusIvEENS9_8equal_toIvEExEE10hipError_tPvRmT2_T3_T4_T5_mT6_T7_P12ihipStream_tbENKUlT_T0_E_clISt17integral_constantIbLb0EES10_IbLb1EEEEDaSW_SX_EUlSW_E_NS1_11comp_targetILNS1_3genE10ELNS1_11target_archE1200ELNS1_3gpuE4ELNS1_3repE0EEENS1_30default_config_static_selectorELNS0_4arch9wavefront6targetE0EEEvT1_.has_indirect_call, 0
	.section	.AMDGPU.csdata,"",@progbits
; Kernel info:
; codeLenInByte = 0
; TotalNumSgprs: 0
; NumVgprs: 0
; ScratchSize: 0
; MemoryBound: 0
; FloatMode: 240
; IeeeMode: 1
; LDSByteSize: 0 bytes/workgroup (compile time only)
; SGPRBlocks: 0
; VGPRBlocks: 0
; NumSGPRsForWavesPerEU: 1
; NumVGPRsForWavesPerEU: 1
; NamedBarCnt: 0
; Occupancy: 16
; WaveLimiterHint : 0
; COMPUTE_PGM_RSRC2:SCRATCH_EN: 0
; COMPUTE_PGM_RSRC2:USER_SGPR: 2
; COMPUTE_PGM_RSRC2:TRAP_HANDLER: 0
; COMPUTE_PGM_RSRC2:TGID_X_EN: 1
; COMPUTE_PGM_RSRC2:TGID_Y_EN: 0
; COMPUTE_PGM_RSRC2:TGID_Z_EN: 0
; COMPUTE_PGM_RSRC2:TIDIG_COMP_CNT: 0
	.section	.text._ZN7rocprim17ROCPRIM_400000_NS6detail17trampoline_kernelINS0_14default_configENS1_27scan_by_key_config_selectorIixEEZZNS1_16scan_by_key_implILNS1_25lookback_scan_determinismE0ELb0ES3_N6thrust23THRUST_200600_302600_NS6detail15normal_iteratorINS9_10device_ptrIiEEEENSB_INSC_IxEEEESG_xNS9_4plusIvEENS9_8equal_toIvEExEE10hipError_tPvRmT2_T3_T4_T5_mT6_T7_P12ihipStream_tbENKUlT_T0_E_clISt17integral_constantIbLb0EES10_IbLb1EEEEDaSW_SX_EUlSW_E_NS1_11comp_targetILNS1_3genE9ELNS1_11target_archE1100ELNS1_3gpuE3ELNS1_3repE0EEENS1_30default_config_static_selectorELNS0_4arch9wavefront6targetE0EEEvT1_,"axG",@progbits,_ZN7rocprim17ROCPRIM_400000_NS6detail17trampoline_kernelINS0_14default_configENS1_27scan_by_key_config_selectorIixEEZZNS1_16scan_by_key_implILNS1_25lookback_scan_determinismE0ELb0ES3_N6thrust23THRUST_200600_302600_NS6detail15normal_iteratorINS9_10device_ptrIiEEEENSB_INSC_IxEEEESG_xNS9_4plusIvEENS9_8equal_toIvEExEE10hipError_tPvRmT2_T3_T4_T5_mT6_T7_P12ihipStream_tbENKUlT_T0_E_clISt17integral_constantIbLb0EES10_IbLb1EEEEDaSW_SX_EUlSW_E_NS1_11comp_targetILNS1_3genE9ELNS1_11target_archE1100ELNS1_3gpuE3ELNS1_3repE0EEENS1_30default_config_static_selectorELNS0_4arch9wavefront6targetE0EEEvT1_,comdat
	.protected	_ZN7rocprim17ROCPRIM_400000_NS6detail17trampoline_kernelINS0_14default_configENS1_27scan_by_key_config_selectorIixEEZZNS1_16scan_by_key_implILNS1_25lookback_scan_determinismE0ELb0ES3_N6thrust23THRUST_200600_302600_NS6detail15normal_iteratorINS9_10device_ptrIiEEEENSB_INSC_IxEEEESG_xNS9_4plusIvEENS9_8equal_toIvEExEE10hipError_tPvRmT2_T3_T4_T5_mT6_T7_P12ihipStream_tbENKUlT_T0_E_clISt17integral_constantIbLb0EES10_IbLb1EEEEDaSW_SX_EUlSW_E_NS1_11comp_targetILNS1_3genE9ELNS1_11target_archE1100ELNS1_3gpuE3ELNS1_3repE0EEENS1_30default_config_static_selectorELNS0_4arch9wavefront6targetE0EEEvT1_ ; -- Begin function _ZN7rocprim17ROCPRIM_400000_NS6detail17trampoline_kernelINS0_14default_configENS1_27scan_by_key_config_selectorIixEEZZNS1_16scan_by_key_implILNS1_25lookback_scan_determinismE0ELb0ES3_N6thrust23THRUST_200600_302600_NS6detail15normal_iteratorINS9_10device_ptrIiEEEENSB_INSC_IxEEEESG_xNS9_4plusIvEENS9_8equal_toIvEExEE10hipError_tPvRmT2_T3_T4_T5_mT6_T7_P12ihipStream_tbENKUlT_T0_E_clISt17integral_constantIbLb0EES10_IbLb1EEEEDaSW_SX_EUlSW_E_NS1_11comp_targetILNS1_3genE9ELNS1_11target_archE1100ELNS1_3gpuE3ELNS1_3repE0EEENS1_30default_config_static_selectorELNS0_4arch9wavefront6targetE0EEEvT1_
	.globl	_ZN7rocprim17ROCPRIM_400000_NS6detail17trampoline_kernelINS0_14default_configENS1_27scan_by_key_config_selectorIixEEZZNS1_16scan_by_key_implILNS1_25lookback_scan_determinismE0ELb0ES3_N6thrust23THRUST_200600_302600_NS6detail15normal_iteratorINS9_10device_ptrIiEEEENSB_INSC_IxEEEESG_xNS9_4plusIvEENS9_8equal_toIvEExEE10hipError_tPvRmT2_T3_T4_T5_mT6_T7_P12ihipStream_tbENKUlT_T0_E_clISt17integral_constantIbLb0EES10_IbLb1EEEEDaSW_SX_EUlSW_E_NS1_11comp_targetILNS1_3genE9ELNS1_11target_archE1100ELNS1_3gpuE3ELNS1_3repE0EEENS1_30default_config_static_selectorELNS0_4arch9wavefront6targetE0EEEvT1_
	.p2align	8
	.type	_ZN7rocprim17ROCPRIM_400000_NS6detail17trampoline_kernelINS0_14default_configENS1_27scan_by_key_config_selectorIixEEZZNS1_16scan_by_key_implILNS1_25lookback_scan_determinismE0ELb0ES3_N6thrust23THRUST_200600_302600_NS6detail15normal_iteratorINS9_10device_ptrIiEEEENSB_INSC_IxEEEESG_xNS9_4plusIvEENS9_8equal_toIvEExEE10hipError_tPvRmT2_T3_T4_T5_mT6_T7_P12ihipStream_tbENKUlT_T0_E_clISt17integral_constantIbLb0EES10_IbLb1EEEEDaSW_SX_EUlSW_E_NS1_11comp_targetILNS1_3genE9ELNS1_11target_archE1100ELNS1_3gpuE3ELNS1_3repE0EEENS1_30default_config_static_selectorELNS0_4arch9wavefront6targetE0EEEvT1_,@function
_ZN7rocprim17ROCPRIM_400000_NS6detail17trampoline_kernelINS0_14default_configENS1_27scan_by_key_config_selectorIixEEZZNS1_16scan_by_key_implILNS1_25lookback_scan_determinismE0ELb0ES3_N6thrust23THRUST_200600_302600_NS6detail15normal_iteratorINS9_10device_ptrIiEEEENSB_INSC_IxEEEESG_xNS9_4plusIvEENS9_8equal_toIvEExEE10hipError_tPvRmT2_T3_T4_T5_mT6_T7_P12ihipStream_tbENKUlT_T0_E_clISt17integral_constantIbLb0EES10_IbLb1EEEEDaSW_SX_EUlSW_E_NS1_11comp_targetILNS1_3genE9ELNS1_11target_archE1100ELNS1_3gpuE3ELNS1_3repE0EEENS1_30default_config_static_selectorELNS0_4arch9wavefront6targetE0EEEvT1_: ; @_ZN7rocprim17ROCPRIM_400000_NS6detail17trampoline_kernelINS0_14default_configENS1_27scan_by_key_config_selectorIixEEZZNS1_16scan_by_key_implILNS1_25lookback_scan_determinismE0ELb0ES3_N6thrust23THRUST_200600_302600_NS6detail15normal_iteratorINS9_10device_ptrIiEEEENSB_INSC_IxEEEESG_xNS9_4plusIvEENS9_8equal_toIvEExEE10hipError_tPvRmT2_T3_T4_T5_mT6_T7_P12ihipStream_tbENKUlT_T0_E_clISt17integral_constantIbLb0EES10_IbLb1EEEEDaSW_SX_EUlSW_E_NS1_11comp_targetILNS1_3genE9ELNS1_11target_archE1100ELNS1_3gpuE3ELNS1_3repE0EEENS1_30default_config_static_selectorELNS0_4arch9wavefront6targetE0EEEvT1_
; %bb.0:
	.section	.rodata,"a",@progbits
	.p2align	6, 0x0
	.amdhsa_kernel _ZN7rocprim17ROCPRIM_400000_NS6detail17trampoline_kernelINS0_14default_configENS1_27scan_by_key_config_selectorIixEEZZNS1_16scan_by_key_implILNS1_25lookback_scan_determinismE0ELb0ES3_N6thrust23THRUST_200600_302600_NS6detail15normal_iteratorINS9_10device_ptrIiEEEENSB_INSC_IxEEEESG_xNS9_4plusIvEENS9_8equal_toIvEExEE10hipError_tPvRmT2_T3_T4_T5_mT6_T7_P12ihipStream_tbENKUlT_T0_E_clISt17integral_constantIbLb0EES10_IbLb1EEEEDaSW_SX_EUlSW_E_NS1_11comp_targetILNS1_3genE9ELNS1_11target_archE1100ELNS1_3gpuE3ELNS1_3repE0EEENS1_30default_config_static_selectorELNS0_4arch9wavefront6targetE0EEEvT1_
		.amdhsa_group_segment_fixed_size 0
		.amdhsa_private_segment_fixed_size 0
		.amdhsa_kernarg_size 136
		.amdhsa_user_sgpr_count 2
		.amdhsa_user_sgpr_dispatch_ptr 0
		.amdhsa_user_sgpr_queue_ptr 0
		.amdhsa_user_sgpr_kernarg_segment_ptr 1
		.amdhsa_user_sgpr_dispatch_id 0
		.amdhsa_user_sgpr_kernarg_preload_length 0
		.amdhsa_user_sgpr_kernarg_preload_offset 0
		.amdhsa_user_sgpr_private_segment_size 0
		.amdhsa_wavefront_size32 1
		.amdhsa_uses_dynamic_stack 0
		.amdhsa_enable_private_segment 0
		.amdhsa_system_sgpr_workgroup_id_x 1
		.amdhsa_system_sgpr_workgroup_id_y 0
		.amdhsa_system_sgpr_workgroup_id_z 0
		.amdhsa_system_sgpr_workgroup_info 0
		.amdhsa_system_vgpr_workitem_id 0
		.amdhsa_next_free_vgpr 1
		.amdhsa_next_free_sgpr 1
		.amdhsa_named_barrier_count 0
		.amdhsa_reserve_vcc 0
		.amdhsa_float_round_mode_32 0
		.amdhsa_float_round_mode_16_64 0
		.amdhsa_float_denorm_mode_32 3
		.amdhsa_float_denorm_mode_16_64 3
		.amdhsa_fp16_overflow 0
		.amdhsa_memory_ordered 1
		.amdhsa_forward_progress 1
		.amdhsa_inst_pref_size 0
		.amdhsa_round_robin_scheduling 0
		.amdhsa_exception_fp_ieee_invalid_op 0
		.amdhsa_exception_fp_denorm_src 0
		.amdhsa_exception_fp_ieee_div_zero 0
		.amdhsa_exception_fp_ieee_overflow 0
		.amdhsa_exception_fp_ieee_underflow 0
		.amdhsa_exception_fp_ieee_inexact 0
		.amdhsa_exception_int_div_zero 0
	.end_amdhsa_kernel
	.section	.text._ZN7rocprim17ROCPRIM_400000_NS6detail17trampoline_kernelINS0_14default_configENS1_27scan_by_key_config_selectorIixEEZZNS1_16scan_by_key_implILNS1_25lookback_scan_determinismE0ELb0ES3_N6thrust23THRUST_200600_302600_NS6detail15normal_iteratorINS9_10device_ptrIiEEEENSB_INSC_IxEEEESG_xNS9_4plusIvEENS9_8equal_toIvEExEE10hipError_tPvRmT2_T3_T4_T5_mT6_T7_P12ihipStream_tbENKUlT_T0_E_clISt17integral_constantIbLb0EES10_IbLb1EEEEDaSW_SX_EUlSW_E_NS1_11comp_targetILNS1_3genE9ELNS1_11target_archE1100ELNS1_3gpuE3ELNS1_3repE0EEENS1_30default_config_static_selectorELNS0_4arch9wavefront6targetE0EEEvT1_,"axG",@progbits,_ZN7rocprim17ROCPRIM_400000_NS6detail17trampoline_kernelINS0_14default_configENS1_27scan_by_key_config_selectorIixEEZZNS1_16scan_by_key_implILNS1_25lookback_scan_determinismE0ELb0ES3_N6thrust23THRUST_200600_302600_NS6detail15normal_iteratorINS9_10device_ptrIiEEEENSB_INSC_IxEEEESG_xNS9_4plusIvEENS9_8equal_toIvEExEE10hipError_tPvRmT2_T3_T4_T5_mT6_T7_P12ihipStream_tbENKUlT_T0_E_clISt17integral_constantIbLb0EES10_IbLb1EEEEDaSW_SX_EUlSW_E_NS1_11comp_targetILNS1_3genE9ELNS1_11target_archE1100ELNS1_3gpuE3ELNS1_3repE0EEENS1_30default_config_static_selectorELNS0_4arch9wavefront6targetE0EEEvT1_,comdat
.Lfunc_end1348:
	.size	_ZN7rocprim17ROCPRIM_400000_NS6detail17trampoline_kernelINS0_14default_configENS1_27scan_by_key_config_selectorIixEEZZNS1_16scan_by_key_implILNS1_25lookback_scan_determinismE0ELb0ES3_N6thrust23THRUST_200600_302600_NS6detail15normal_iteratorINS9_10device_ptrIiEEEENSB_INSC_IxEEEESG_xNS9_4plusIvEENS9_8equal_toIvEExEE10hipError_tPvRmT2_T3_T4_T5_mT6_T7_P12ihipStream_tbENKUlT_T0_E_clISt17integral_constantIbLb0EES10_IbLb1EEEEDaSW_SX_EUlSW_E_NS1_11comp_targetILNS1_3genE9ELNS1_11target_archE1100ELNS1_3gpuE3ELNS1_3repE0EEENS1_30default_config_static_selectorELNS0_4arch9wavefront6targetE0EEEvT1_, .Lfunc_end1348-_ZN7rocprim17ROCPRIM_400000_NS6detail17trampoline_kernelINS0_14default_configENS1_27scan_by_key_config_selectorIixEEZZNS1_16scan_by_key_implILNS1_25lookback_scan_determinismE0ELb0ES3_N6thrust23THRUST_200600_302600_NS6detail15normal_iteratorINS9_10device_ptrIiEEEENSB_INSC_IxEEEESG_xNS9_4plusIvEENS9_8equal_toIvEExEE10hipError_tPvRmT2_T3_T4_T5_mT6_T7_P12ihipStream_tbENKUlT_T0_E_clISt17integral_constantIbLb0EES10_IbLb1EEEEDaSW_SX_EUlSW_E_NS1_11comp_targetILNS1_3genE9ELNS1_11target_archE1100ELNS1_3gpuE3ELNS1_3repE0EEENS1_30default_config_static_selectorELNS0_4arch9wavefront6targetE0EEEvT1_
                                        ; -- End function
	.set _ZN7rocprim17ROCPRIM_400000_NS6detail17trampoline_kernelINS0_14default_configENS1_27scan_by_key_config_selectorIixEEZZNS1_16scan_by_key_implILNS1_25lookback_scan_determinismE0ELb0ES3_N6thrust23THRUST_200600_302600_NS6detail15normal_iteratorINS9_10device_ptrIiEEEENSB_INSC_IxEEEESG_xNS9_4plusIvEENS9_8equal_toIvEExEE10hipError_tPvRmT2_T3_T4_T5_mT6_T7_P12ihipStream_tbENKUlT_T0_E_clISt17integral_constantIbLb0EES10_IbLb1EEEEDaSW_SX_EUlSW_E_NS1_11comp_targetILNS1_3genE9ELNS1_11target_archE1100ELNS1_3gpuE3ELNS1_3repE0EEENS1_30default_config_static_selectorELNS0_4arch9wavefront6targetE0EEEvT1_.num_vgpr, 0
	.set _ZN7rocprim17ROCPRIM_400000_NS6detail17trampoline_kernelINS0_14default_configENS1_27scan_by_key_config_selectorIixEEZZNS1_16scan_by_key_implILNS1_25lookback_scan_determinismE0ELb0ES3_N6thrust23THRUST_200600_302600_NS6detail15normal_iteratorINS9_10device_ptrIiEEEENSB_INSC_IxEEEESG_xNS9_4plusIvEENS9_8equal_toIvEExEE10hipError_tPvRmT2_T3_T4_T5_mT6_T7_P12ihipStream_tbENKUlT_T0_E_clISt17integral_constantIbLb0EES10_IbLb1EEEEDaSW_SX_EUlSW_E_NS1_11comp_targetILNS1_3genE9ELNS1_11target_archE1100ELNS1_3gpuE3ELNS1_3repE0EEENS1_30default_config_static_selectorELNS0_4arch9wavefront6targetE0EEEvT1_.num_agpr, 0
	.set _ZN7rocprim17ROCPRIM_400000_NS6detail17trampoline_kernelINS0_14default_configENS1_27scan_by_key_config_selectorIixEEZZNS1_16scan_by_key_implILNS1_25lookback_scan_determinismE0ELb0ES3_N6thrust23THRUST_200600_302600_NS6detail15normal_iteratorINS9_10device_ptrIiEEEENSB_INSC_IxEEEESG_xNS9_4plusIvEENS9_8equal_toIvEExEE10hipError_tPvRmT2_T3_T4_T5_mT6_T7_P12ihipStream_tbENKUlT_T0_E_clISt17integral_constantIbLb0EES10_IbLb1EEEEDaSW_SX_EUlSW_E_NS1_11comp_targetILNS1_3genE9ELNS1_11target_archE1100ELNS1_3gpuE3ELNS1_3repE0EEENS1_30default_config_static_selectorELNS0_4arch9wavefront6targetE0EEEvT1_.numbered_sgpr, 0
	.set _ZN7rocprim17ROCPRIM_400000_NS6detail17trampoline_kernelINS0_14default_configENS1_27scan_by_key_config_selectorIixEEZZNS1_16scan_by_key_implILNS1_25lookback_scan_determinismE0ELb0ES3_N6thrust23THRUST_200600_302600_NS6detail15normal_iteratorINS9_10device_ptrIiEEEENSB_INSC_IxEEEESG_xNS9_4plusIvEENS9_8equal_toIvEExEE10hipError_tPvRmT2_T3_T4_T5_mT6_T7_P12ihipStream_tbENKUlT_T0_E_clISt17integral_constantIbLb0EES10_IbLb1EEEEDaSW_SX_EUlSW_E_NS1_11comp_targetILNS1_3genE9ELNS1_11target_archE1100ELNS1_3gpuE3ELNS1_3repE0EEENS1_30default_config_static_selectorELNS0_4arch9wavefront6targetE0EEEvT1_.num_named_barrier, 0
	.set _ZN7rocprim17ROCPRIM_400000_NS6detail17trampoline_kernelINS0_14default_configENS1_27scan_by_key_config_selectorIixEEZZNS1_16scan_by_key_implILNS1_25lookback_scan_determinismE0ELb0ES3_N6thrust23THRUST_200600_302600_NS6detail15normal_iteratorINS9_10device_ptrIiEEEENSB_INSC_IxEEEESG_xNS9_4plusIvEENS9_8equal_toIvEExEE10hipError_tPvRmT2_T3_T4_T5_mT6_T7_P12ihipStream_tbENKUlT_T0_E_clISt17integral_constantIbLb0EES10_IbLb1EEEEDaSW_SX_EUlSW_E_NS1_11comp_targetILNS1_3genE9ELNS1_11target_archE1100ELNS1_3gpuE3ELNS1_3repE0EEENS1_30default_config_static_selectorELNS0_4arch9wavefront6targetE0EEEvT1_.private_seg_size, 0
	.set _ZN7rocprim17ROCPRIM_400000_NS6detail17trampoline_kernelINS0_14default_configENS1_27scan_by_key_config_selectorIixEEZZNS1_16scan_by_key_implILNS1_25lookback_scan_determinismE0ELb0ES3_N6thrust23THRUST_200600_302600_NS6detail15normal_iteratorINS9_10device_ptrIiEEEENSB_INSC_IxEEEESG_xNS9_4plusIvEENS9_8equal_toIvEExEE10hipError_tPvRmT2_T3_T4_T5_mT6_T7_P12ihipStream_tbENKUlT_T0_E_clISt17integral_constantIbLb0EES10_IbLb1EEEEDaSW_SX_EUlSW_E_NS1_11comp_targetILNS1_3genE9ELNS1_11target_archE1100ELNS1_3gpuE3ELNS1_3repE0EEENS1_30default_config_static_selectorELNS0_4arch9wavefront6targetE0EEEvT1_.uses_vcc, 0
	.set _ZN7rocprim17ROCPRIM_400000_NS6detail17trampoline_kernelINS0_14default_configENS1_27scan_by_key_config_selectorIixEEZZNS1_16scan_by_key_implILNS1_25lookback_scan_determinismE0ELb0ES3_N6thrust23THRUST_200600_302600_NS6detail15normal_iteratorINS9_10device_ptrIiEEEENSB_INSC_IxEEEESG_xNS9_4plusIvEENS9_8equal_toIvEExEE10hipError_tPvRmT2_T3_T4_T5_mT6_T7_P12ihipStream_tbENKUlT_T0_E_clISt17integral_constantIbLb0EES10_IbLb1EEEEDaSW_SX_EUlSW_E_NS1_11comp_targetILNS1_3genE9ELNS1_11target_archE1100ELNS1_3gpuE3ELNS1_3repE0EEENS1_30default_config_static_selectorELNS0_4arch9wavefront6targetE0EEEvT1_.uses_flat_scratch, 0
	.set _ZN7rocprim17ROCPRIM_400000_NS6detail17trampoline_kernelINS0_14default_configENS1_27scan_by_key_config_selectorIixEEZZNS1_16scan_by_key_implILNS1_25lookback_scan_determinismE0ELb0ES3_N6thrust23THRUST_200600_302600_NS6detail15normal_iteratorINS9_10device_ptrIiEEEENSB_INSC_IxEEEESG_xNS9_4plusIvEENS9_8equal_toIvEExEE10hipError_tPvRmT2_T3_T4_T5_mT6_T7_P12ihipStream_tbENKUlT_T0_E_clISt17integral_constantIbLb0EES10_IbLb1EEEEDaSW_SX_EUlSW_E_NS1_11comp_targetILNS1_3genE9ELNS1_11target_archE1100ELNS1_3gpuE3ELNS1_3repE0EEENS1_30default_config_static_selectorELNS0_4arch9wavefront6targetE0EEEvT1_.has_dyn_sized_stack, 0
	.set _ZN7rocprim17ROCPRIM_400000_NS6detail17trampoline_kernelINS0_14default_configENS1_27scan_by_key_config_selectorIixEEZZNS1_16scan_by_key_implILNS1_25lookback_scan_determinismE0ELb0ES3_N6thrust23THRUST_200600_302600_NS6detail15normal_iteratorINS9_10device_ptrIiEEEENSB_INSC_IxEEEESG_xNS9_4plusIvEENS9_8equal_toIvEExEE10hipError_tPvRmT2_T3_T4_T5_mT6_T7_P12ihipStream_tbENKUlT_T0_E_clISt17integral_constantIbLb0EES10_IbLb1EEEEDaSW_SX_EUlSW_E_NS1_11comp_targetILNS1_3genE9ELNS1_11target_archE1100ELNS1_3gpuE3ELNS1_3repE0EEENS1_30default_config_static_selectorELNS0_4arch9wavefront6targetE0EEEvT1_.has_recursion, 0
	.set _ZN7rocprim17ROCPRIM_400000_NS6detail17trampoline_kernelINS0_14default_configENS1_27scan_by_key_config_selectorIixEEZZNS1_16scan_by_key_implILNS1_25lookback_scan_determinismE0ELb0ES3_N6thrust23THRUST_200600_302600_NS6detail15normal_iteratorINS9_10device_ptrIiEEEENSB_INSC_IxEEEESG_xNS9_4plusIvEENS9_8equal_toIvEExEE10hipError_tPvRmT2_T3_T4_T5_mT6_T7_P12ihipStream_tbENKUlT_T0_E_clISt17integral_constantIbLb0EES10_IbLb1EEEEDaSW_SX_EUlSW_E_NS1_11comp_targetILNS1_3genE9ELNS1_11target_archE1100ELNS1_3gpuE3ELNS1_3repE0EEENS1_30default_config_static_selectorELNS0_4arch9wavefront6targetE0EEEvT1_.has_indirect_call, 0
	.section	.AMDGPU.csdata,"",@progbits
; Kernel info:
; codeLenInByte = 0
; TotalNumSgprs: 0
; NumVgprs: 0
; ScratchSize: 0
; MemoryBound: 0
; FloatMode: 240
; IeeeMode: 1
; LDSByteSize: 0 bytes/workgroup (compile time only)
; SGPRBlocks: 0
; VGPRBlocks: 0
; NumSGPRsForWavesPerEU: 1
; NumVGPRsForWavesPerEU: 1
; NamedBarCnt: 0
; Occupancy: 16
; WaveLimiterHint : 0
; COMPUTE_PGM_RSRC2:SCRATCH_EN: 0
; COMPUTE_PGM_RSRC2:USER_SGPR: 2
; COMPUTE_PGM_RSRC2:TRAP_HANDLER: 0
; COMPUTE_PGM_RSRC2:TGID_X_EN: 1
; COMPUTE_PGM_RSRC2:TGID_Y_EN: 0
; COMPUTE_PGM_RSRC2:TGID_Z_EN: 0
; COMPUTE_PGM_RSRC2:TIDIG_COMP_CNT: 0
	.section	.text._ZN7rocprim17ROCPRIM_400000_NS6detail17trampoline_kernelINS0_14default_configENS1_27scan_by_key_config_selectorIixEEZZNS1_16scan_by_key_implILNS1_25lookback_scan_determinismE0ELb0ES3_N6thrust23THRUST_200600_302600_NS6detail15normal_iteratorINS9_10device_ptrIiEEEENSB_INSC_IxEEEESG_xNS9_4plusIvEENS9_8equal_toIvEExEE10hipError_tPvRmT2_T3_T4_T5_mT6_T7_P12ihipStream_tbENKUlT_T0_E_clISt17integral_constantIbLb0EES10_IbLb1EEEEDaSW_SX_EUlSW_E_NS1_11comp_targetILNS1_3genE8ELNS1_11target_archE1030ELNS1_3gpuE2ELNS1_3repE0EEENS1_30default_config_static_selectorELNS0_4arch9wavefront6targetE0EEEvT1_,"axG",@progbits,_ZN7rocprim17ROCPRIM_400000_NS6detail17trampoline_kernelINS0_14default_configENS1_27scan_by_key_config_selectorIixEEZZNS1_16scan_by_key_implILNS1_25lookback_scan_determinismE0ELb0ES3_N6thrust23THRUST_200600_302600_NS6detail15normal_iteratorINS9_10device_ptrIiEEEENSB_INSC_IxEEEESG_xNS9_4plusIvEENS9_8equal_toIvEExEE10hipError_tPvRmT2_T3_T4_T5_mT6_T7_P12ihipStream_tbENKUlT_T0_E_clISt17integral_constantIbLb0EES10_IbLb1EEEEDaSW_SX_EUlSW_E_NS1_11comp_targetILNS1_3genE8ELNS1_11target_archE1030ELNS1_3gpuE2ELNS1_3repE0EEENS1_30default_config_static_selectorELNS0_4arch9wavefront6targetE0EEEvT1_,comdat
	.protected	_ZN7rocprim17ROCPRIM_400000_NS6detail17trampoline_kernelINS0_14default_configENS1_27scan_by_key_config_selectorIixEEZZNS1_16scan_by_key_implILNS1_25lookback_scan_determinismE0ELb0ES3_N6thrust23THRUST_200600_302600_NS6detail15normal_iteratorINS9_10device_ptrIiEEEENSB_INSC_IxEEEESG_xNS9_4plusIvEENS9_8equal_toIvEExEE10hipError_tPvRmT2_T3_T4_T5_mT6_T7_P12ihipStream_tbENKUlT_T0_E_clISt17integral_constantIbLb0EES10_IbLb1EEEEDaSW_SX_EUlSW_E_NS1_11comp_targetILNS1_3genE8ELNS1_11target_archE1030ELNS1_3gpuE2ELNS1_3repE0EEENS1_30default_config_static_selectorELNS0_4arch9wavefront6targetE0EEEvT1_ ; -- Begin function _ZN7rocprim17ROCPRIM_400000_NS6detail17trampoline_kernelINS0_14default_configENS1_27scan_by_key_config_selectorIixEEZZNS1_16scan_by_key_implILNS1_25lookback_scan_determinismE0ELb0ES3_N6thrust23THRUST_200600_302600_NS6detail15normal_iteratorINS9_10device_ptrIiEEEENSB_INSC_IxEEEESG_xNS9_4plusIvEENS9_8equal_toIvEExEE10hipError_tPvRmT2_T3_T4_T5_mT6_T7_P12ihipStream_tbENKUlT_T0_E_clISt17integral_constantIbLb0EES10_IbLb1EEEEDaSW_SX_EUlSW_E_NS1_11comp_targetILNS1_3genE8ELNS1_11target_archE1030ELNS1_3gpuE2ELNS1_3repE0EEENS1_30default_config_static_selectorELNS0_4arch9wavefront6targetE0EEEvT1_
	.globl	_ZN7rocprim17ROCPRIM_400000_NS6detail17trampoline_kernelINS0_14default_configENS1_27scan_by_key_config_selectorIixEEZZNS1_16scan_by_key_implILNS1_25lookback_scan_determinismE0ELb0ES3_N6thrust23THRUST_200600_302600_NS6detail15normal_iteratorINS9_10device_ptrIiEEEENSB_INSC_IxEEEESG_xNS9_4plusIvEENS9_8equal_toIvEExEE10hipError_tPvRmT2_T3_T4_T5_mT6_T7_P12ihipStream_tbENKUlT_T0_E_clISt17integral_constantIbLb0EES10_IbLb1EEEEDaSW_SX_EUlSW_E_NS1_11comp_targetILNS1_3genE8ELNS1_11target_archE1030ELNS1_3gpuE2ELNS1_3repE0EEENS1_30default_config_static_selectorELNS0_4arch9wavefront6targetE0EEEvT1_
	.p2align	8
	.type	_ZN7rocprim17ROCPRIM_400000_NS6detail17trampoline_kernelINS0_14default_configENS1_27scan_by_key_config_selectorIixEEZZNS1_16scan_by_key_implILNS1_25lookback_scan_determinismE0ELb0ES3_N6thrust23THRUST_200600_302600_NS6detail15normal_iteratorINS9_10device_ptrIiEEEENSB_INSC_IxEEEESG_xNS9_4plusIvEENS9_8equal_toIvEExEE10hipError_tPvRmT2_T3_T4_T5_mT6_T7_P12ihipStream_tbENKUlT_T0_E_clISt17integral_constantIbLb0EES10_IbLb1EEEEDaSW_SX_EUlSW_E_NS1_11comp_targetILNS1_3genE8ELNS1_11target_archE1030ELNS1_3gpuE2ELNS1_3repE0EEENS1_30default_config_static_selectorELNS0_4arch9wavefront6targetE0EEEvT1_,@function
_ZN7rocprim17ROCPRIM_400000_NS6detail17trampoline_kernelINS0_14default_configENS1_27scan_by_key_config_selectorIixEEZZNS1_16scan_by_key_implILNS1_25lookback_scan_determinismE0ELb0ES3_N6thrust23THRUST_200600_302600_NS6detail15normal_iteratorINS9_10device_ptrIiEEEENSB_INSC_IxEEEESG_xNS9_4plusIvEENS9_8equal_toIvEExEE10hipError_tPvRmT2_T3_T4_T5_mT6_T7_P12ihipStream_tbENKUlT_T0_E_clISt17integral_constantIbLb0EES10_IbLb1EEEEDaSW_SX_EUlSW_E_NS1_11comp_targetILNS1_3genE8ELNS1_11target_archE1030ELNS1_3gpuE2ELNS1_3repE0EEENS1_30default_config_static_selectorELNS0_4arch9wavefront6targetE0EEEvT1_: ; @_ZN7rocprim17ROCPRIM_400000_NS6detail17trampoline_kernelINS0_14default_configENS1_27scan_by_key_config_selectorIixEEZZNS1_16scan_by_key_implILNS1_25lookback_scan_determinismE0ELb0ES3_N6thrust23THRUST_200600_302600_NS6detail15normal_iteratorINS9_10device_ptrIiEEEENSB_INSC_IxEEEESG_xNS9_4plusIvEENS9_8equal_toIvEExEE10hipError_tPvRmT2_T3_T4_T5_mT6_T7_P12ihipStream_tbENKUlT_T0_E_clISt17integral_constantIbLb0EES10_IbLb1EEEEDaSW_SX_EUlSW_E_NS1_11comp_targetILNS1_3genE8ELNS1_11target_archE1030ELNS1_3gpuE2ELNS1_3repE0EEENS1_30default_config_static_selectorELNS0_4arch9wavefront6targetE0EEEvT1_
; %bb.0:
	.section	.rodata,"a",@progbits
	.p2align	6, 0x0
	.amdhsa_kernel _ZN7rocprim17ROCPRIM_400000_NS6detail17trampoline_kernelINS0_14default_configENS1_27scan_by_key_config_selectorIixEEZZNS1_16scan_by_key_implILNS1_25lookback_scan_determinismE0ELb0ES3_N6thrust23THRUST_200600_302600_NS6detail15normal_iteratorINS9_10device_ptrIiEEEENSB_INSC_IxEEEESG_xNS9_4plusIvEENS9_8equal_toIvEExEE10hipError_tPvRmT2_T3_T4_T5_mT6_T7_P12ihipStream_tbENKUlT_T0_E_clISt17integral_constantIbLb0EES10_IbLb1EEEEDaSW_SX_EUlSW_E_NS1_11comp_targetILNS1_3genE8ELNS1_11target_archE1030ELNS1_3gpuE2ELNS1_3repE0EEENS1_30default_config_static_selectorELNS0_4arch9wavefront6targetE0EEEvT1_
		.amdhsa_group_segment_fixed_size 0
		.amdhsa_private_segment_fixed_size 0
		.amdhsa_kernarg_size 136
		.amdhsa_user_sgpr_count 2
		.amdhsa_user_sgpr_dispatch_ptr 0
		.amdhsa_user_sgpr_queue_ptr 0
		.amdhsa_user_sgpr_kernarg_segment_ptr 1
		.amdhsa_user_sgpr_dispatch_id 0
		.amdhsa_user_sgpr_kernarg_preload_length 0
		.amdhsa_user_sgpr_kernarg_preload_offset 0
		.amdhsa_user_sgpr_private_segment_size 0
		.amdhsa_wavefront_size32 1
		.amdhsa_uses_dynamic_stack 0
		.amdhsa_enable_private_segment 0
		.amdhsa_system_sgpr_workgroup_id_x 1
		.amdhsa_system_sgpr_workgroup_id_y 0
		.amdhsa_system_sgpr_workgroup_id_z 0
		.amdhsa_system_sgpr_workgroup_info 0
		.amdhsa_system_vgpr_workitem_id 0
		.amdhsa_next_free_vgpr 1
		.amdhsa_next_free_sgpr 1
		.amdhsa_named_barrier_count 0
		.amdhsa_reserve_vcc 0
		.amdhsa_float_round_mode_32 0
		.amdhsa_float_round_mode_16_64 0
		.amdhsa_float_denorm_mode_32 3
		.amdhsa_float_denorm_mode_16_64 3
		.amdhsa_fp16_overflow 0
		.amdhsa_memory_ordered 1
		.amdhsa_forward_progress 1
		.amdhsa_inst_pref_size 0
		.amdhsa_round_robin_scheduling 0
		.amdhsa_exception_fp_ieee_invalid_op 0
		.amdhsa_exception_fp_denorm_src 0
		.amdhsa_exception_fp_ieee_div_zero 0
		.amdhsa_exception_fp_ieee_overflow 0
		.amdhsa_exception_fp_ieee_underflow 0
		.amdhsa_exception_fp_ieee_inexact 0
		.amdhsa_exception_int_div_zero 0
	.end_amdhsa_kernel
	.section	.text._ZN7rocprim17ROCPRIM_400000_NS6detail17trampoline_kernelINS0_14default_configENS1_27scan_by_key_config_selectorIixEEZZNS1_16scan_by_key_implILNS1_25lookback_scan_determinismE0ELb0ES3_N6thrust23THRUST_200600_302600_NS6detail15normal_iteratorINS9_10device_ptrIiEEEENSB_INSC_IxEEEESG_xNS9_4plusIvEENS9_8equal_toIvEExEE10hipError_tPvRmT2_T3_T4_T5_mT6_T7_P12ihipStream_tbENKUlT_T0_E_clISt17integral_constantIbLb0EES10_IbLb1EEEEDaSW_SX_EUlSW_E_NS1_11comp_targetILNS1_3genE8ELNS1_11target_archE1030ELNS1_3gpuE2ELNS1_3repE0EEENS1_30default_config_static_selectorELNS0_4arch9wavefront6targetE0EEEvT1_,"axG",@progbits,_ZN7rocprim17ROCPRIM_400000_NS6detail17trampoline_kernelINS0_14default_configENS1_27scan_by_key_config_selectorIixEEZZNS1_16scan_by_key_implILNS1_25lookback_scan_determinismE0ELb0ES3_N6thrust23THRUST_200600_302600_NS6detail15normal_iteratorINS9_10device_ptrIiEEEENSB_INSC_IxEEEESG_xNS9_4plusIvEENS9_8equal_toIvEExEE10hipError_tPvRmT2_T3_T4_T5_mT6_T7_P12ihipStream_tbENKUlT_T0_E_clISt17integral_constantIbLb0EES10_IbLb1EEEEDaSW_SX_EUlSW_E_NS1_11comp_targetILNS1_3genE8ELNS1_11target_archE1030ELNS1_3gpuE2ELNS1_3repE0EEENS1_30default_config_static_selectorELNS0_4arch9wavefront6targetE0EEEvT1_,comdat
.Lfunc_end1349:
	.size	_ZN7rocprim17ROCPRIM_400000_NS6detail17trampoline_kernelINS0_14default_configENS1_27scan_by_key_config_selectorIixEEZZNS1_16scan_by_key_implILNS1_25lookback_scan_determinismE0ELb0ES3_N6thrust23THRUST_200600_302600_NS6detail15normal_iteratorINS9_10device_ptrIiEEEENSB_INSC_IxEEEESG_xNS9_4plusIvEENS9_8equal_toIvEExEE10hipError_tPvRmT2_T3_T4_T5_mT6_T7_P12ihipStream_tbENKUlT_T0_E_clISt17integral_constantIbLb0EES10_IbLb1EEEEDaSW_SX_EUlSW_E_NS1_11comp_targetILNS1_3genE8ELNS1_11target_archE1030ELNS1_3gpuE2ELNS1_3repE0EEENS1_30default_config_static_selectorELNS0_4arch9wavefront6targetE0EEEvT1_, .Lfunc_end1349-_ZN7rocprim17ROCPRIM_400000_NS6detail17trampoline_kernelINS0_14default_configENS1_27scan_by_key_config_selectorIixEEZZNS1_16scan_by_key_implILNS1_25lookback_scan_determinismE0ELb0ES3_N6thrust23THRUST_200600_302600_NS6detail15normal_iteratorINS9_10device_ptrIiEEEENSB_INSC_IxEEEESG_xNS9_4plusIvEENS9_8equal_toIvEExEE10hipError_tPvRmT2_T3_T4_T5_mT6_T7_P12ihipStream_tbENKUlT_T0_E_clISt17integral_constantIbLb0EES10_IbLb1EEEEDaSW_SX_EUlSW_E_NS1_11comp_targetILNS1_3genE8ELNS1_11target_archE1030ELNS1_3gpuE2ELNS1_3repE0EEENS1_30default_config_static_selectorELNS0_4arch9wavefront6targetE0EEEvT1_
                                        ; -- End function
	.set _ZN7rocprim17ROCPRIM_400000_NS6detail17trampoline_kernelINS0_14default_configENS1_27scan_by_key_config_selectorIixEEZZNS1_16scan_by_key_implILNS1_25lookback_scan_determinismE0ELb0ES3_N6thrust23THRUST_200600_302600_NS6detail15normal_iteratorINS9_10device_ptrIiEEEENSB_INSC_IxEEEESG_xNS9_4plusIvEENS9_8equal_toIvEExEE10hipError_tPvRmT2_T3_T4_T5_mT6_T7_P12ihipStream_tbENKUlT_T0_E_clISt17integral_constantIbLb0EES10_IbLb1EEEEDaSW_SX_EUlSW_E_NS1_11comp_targetILNS1_3genE8ELNS1_11target_archE1030ELNS1_3gpuE2ELNS1_3repE0EEENS1_30default_config_static_selectorELNS0_4arch9wavefront6targetE0EEEvT1_.num_vgpr, 0
	.set _ZN7rocprim17ROCPRIM_400000_NS6detail17trampoline_kernelINS0_14default_configENS1_27scan_by_key_config_selectorIixEEZZNS1_16scan_by_key_implILNS1_25lookback_scan_determinismE0ELb0ES3_N6thrust23THRUST_200600_302600_NS6detail15normal_iteratorINS9_10device_ptrIiEEEENSB_INSC_IxEEEESG_xNS9_4plusIvEENS9_8equal_toIvEExEE10hipError_tPvRmT2_T3_T4_T5_mT6_T7_P12ihipStream_tbENKUlT_T0_E_clISt17integral_constantIbLb0EES10_IbLb1EEEEDaSW_SX_EUlSW_E_NS1_11comp_targetILNS1_3genE8ELNS1_11target_archE1030ELNS1_3gpuE2ELNS1_3repE0EEENS1_30default_config_static_selectorELNS0_4arch9wavefront6targetE0EEEvT1_.num_agpr, 0
	.set _ZN7rocprim17ROCPRIM_400000_NS6detail17trampoline_kernelINS0_14default_configENS1_27scan_by_key_config_selectorIixEEZZNS1_16scan_by_key_implILNS1_25lookback_scan_determinismE0ELb0ES3_N6thrust23THRUST_200600_302600_NS6detail15normal_iteratorINS9_10device_ptrIiEEEENSB_INSC_IxEEEESG_xNS9_4plusIvEENS9_8equal_toIvEExEE10hipError_tPvRmT2_T3_T4_T5_mT6_T7_P12ihipStream_tbENKUlT_T0_E_clISt17integral_constantIbLb0EES10_IbLb1EEEEDaSW_SX_EUlSW_E_NS1_11comp_targetILNS1_3genE8ELNS1_11target_archE1030ELNS1_3gpuE2ELNS1_3repE0EEENS1_30default_config_static_selectorELNS0_4arch9wavefront6targetE0EEEvT1_.numbered_sgpr, 0
	.set _ZN7rocprim17ROCPRIM_400000_NS6detail17trampoline_kernelINS0_14default_configENS1_27scan_by_key_config_selectorIixEEZZNS1_16scan_by_key_implILNS1_25lookback_scan_determinismE0ELb0ES3_N6thrust23THRUST_200600_302600_NS6detail15normal_iteratorINS9_10device_ptrIiEEEENSB_INSC_IxEEEESG_xNS9_4plusIvEENS9_8equal_toIvEExEE10hipError_tPvRmT2_T3_T4_T5_mT6_T7_P12ihipStream_tbENKUlT_T0_E_clISt17integral_constantIbLb0EES10_IbLb1EEEEDaSW_SX_EUlSW_E_NS1_11comp_targetILNS1_3genE8ELNS1_11target_archE1030ELNS1_3gpuE2ELNS1_3repE0EEENS1_30default_config_static_selectorELNS0_4arch9wavefront6targetE0EEEvT1_.num_named_barrier, 0
	.set _ZN7rocprim17ROCPRIM_400000_NS6detail17trampoline_kernelINS0_14default_configENS1_27scan_by_key_config_selectorIixEEZZNS1_16scan_by_key_implILNS1_25lookback_scan_determinismE0ELb0ES3_N6thrust23THRUST_200600_302600_NS6detail15normal_iteratorINS9_10device_ptrIiEEEENSB_INSC_IxEEEESG_xNS9_4plusIvEENS9_8equal_toIvEExEE10hipError_tPvRmT2_T3_T4_T5_mT6_T7_P12ihipStream_tbENKUlT_T0_E_clISt17integral_constantIbLb0EES10_IbLb1EEEEDaSW_SX_EUlSW_E_NS1_11comp_targetILNS1_3genE8ELNS1_11target_archE1030ELNS1_3gpuE2ELNS1_3repE0EEENS1_30default_config_static_selectorELNS0_4arch9wavefront6targetE0EEEvT1_.private_seg_size, 0
	.set _ZN7rocprim17ROCPRIM_400000_NS6detail17trampoline_kernelINS0_14default_configENS1_27scan_by_key_config_selectorIixEEZZNS1_16scan_by_key_implILNS1_25lookback_scan_determinismE0ELb0ES3_N6thrust23THRUST_200600_302600_NS6detail15normal_iteratorINS9_10device_ptrIiEEEENSB_INSC_IxEEEESG_xNS9_4plusIvEENS9_8equal_toIvEExEE10hipError_tPvRmT2_T3_T4_T5_mT6_T7_P12ihipStream_tbENKUlT_T0_E_clISt17integral_constantIbLb0EES10_IbLb1EEEEDaSW_SX_EUlSW_E_NS1_11comp_targetILNS1_3genE8ELNS1_11target_archE1030ELNS1_3gpuE2ELNS1_3repE0EEENS1_30default_config_static_selectorELNS0_4arch9wavefront6targetE0EEEvT1_.uses_vcc, 0
	.set _ZN7rocprim17ROCPRIM_400000_NS6detail17trampoline_kernelINS0_14default_configENS1_27scan_by_key_config_selectorIixEEZZNS1_16scan_by_key_implILNS1_25lookback_scan_determinismE0ELb0ES3_N6thrust23THRUST_200600_302600_NS6detail15normal_iteratorINS9_10device_ptrIiEEEENSB_INSC_IxEEEESG_xNS9_4plusIvEENS9_8equal_toIvEExEE10hipError_tPvRmT2_T3_T4_T5_mT6_T7_P12ihipStream_tbENKUlT_T0_E_clISt17integral_constantIbLb0EES10_IbLb1EEEEDaSW_SX_EUlSW_E_NS1_11comp_targetILNS1_3genE8ELNS1_11target_archE1030ELNS1_3gpuE2ELNS1_3repE0EEENS1_30default_config_static_selectorELNS0_4arch9wavefront6targetE0EEEvT1_.uses_flat_scratch, 0
	.set _ZN7rocprim17ROCPRIM_400000_NS6detail17trampoline_kernelINS0_14default_configENS1_27scan_by_key_config_selectorIixEEZZNS1_16scan_by_key_implILNS1_25lookback_scan_determinismE0ELb0ES3_N6thrust23THRUST_200600_302600_NS6detail15normal_iteratorINS9_10device_ptrIiEEEENSB_INSC_IxEEEESG_xNS9_4plusIvEENS9_8equal_toIvEExEE10hipError_tPvRmT2_T3_T4_T5_mT6_T7_P12ihipStream_tbENKUlT_T0_E_clISt17integral_constantIbLb0EES10_IbLb1EEEEDaSW_SX_EUlSW_E_NS1_11comp_targetILNS1_3genE8ELNS1_11target_archE1030ELNS1_3gpuE2ELNS1_3repE0EEENS1_30default_config_static_selectorELNS0_4arch9wavefront6targetE0EEEvT1_.has_dyn_sized_stack, 0
	.set _ZN7rocprim17ROCPRIM_400000_NS6detail17trampoline_kernelINS0_14default_configENS1_27scan_by_key_config_selectorIixEEZZNS1_16scan_by_key_implILNS1_25lookback_scan_determinismE0ELb0ES3_N6thrust23THRUST_200600_302600_NS6detail15normal_iteratorINS9_10device_ptrIiEEEENSB_INSC_IxEEEESG_xNS9_4plusIvEENS9_8equal_toIvEExEE10hipError_tPvRmT2_T3_T4_T5_mT6_T7_P12ihipStream_tbENKUlT_T0_E_clISt17integral_constantIbLb0EES10_IbLb1EEEEDaSW_SX_EUlSW_E_NS1_11comp_targetILNS1_3genE8ELNS1_11target_archE1030ELNS1_3gpuE2ELNS1_3repE0EEENS1_30default_config_static_selectorELNS0_4arch9wavefront6targetE0EEEvT1_.has_recursion, 0
	.set _ZN7rocprim17ROCPRIM_400000_NS6detail17trampoline_kernelINS0_14default_configENS1_27scan_by_key_config_selectorIixEEZZNS1_16scan_by_key_implILNS1_25lookback_scan_determinismE0ELb0ES3_N6thrust23THRUST_200600_302600_NS6detail15normal_iteratorINS9_10device_ptrIiEEEENSB_INSC_IxEEEESG_xNS9_4plusIvEENS9_8equal_toIvEExEE10hipError_tPvRmT2_T3_T4_T5_mT6_T7_P12ihipStream_tbENKUlT_T0_E_clISt17integral_constantIbLb0EES10_IbLb1EEEEDaSW_SX_EUlSW_E_NS1_11comp_targetILNS1_3genE8ELNS1_11target_archE1030ELNS1_3gpuE2ELNS1_3repE0EEENS1_30default_config_static_selectorELNS0_4arch9wavefront6targetE0EEEvT1_.has_indirect_call, 0
	.section	.AMDGPU.csdata,"",@progbits
; Kernel info:
; codeLenInByte = 0
; TotalNumSgprs: 0
; NumVgprs: 0
; ScratchSize: 0
; MemoryBound: 0
; FloatMode: 240
; IeeeMode: 1
; LDSByteSize: 0 bytes/workgroup (compile time only)
; SGPRBlocks: 0
; VGPRBlocks: 0
; NumSGPRsForWavesPerEU: 1
; NumVGPRsForWavesPerEU: 1
; NamedBarCnt: 0
; Occupancy: 16
; WaveLimiterHint : 0
; COMPUTE_PGM_RSRC2:SCRATCH_EN: 0
; COMPUTE_PGM_RSRC2:USER_SGPR: 2
; COMPUTE_PGM_RSRC2:TRAP_HANDLER: 0
; COMPUTE_PGM_RSRC2:TGID_X_EN: 1
; COMPUTE_PGM_RSRC2:TGID_Y_EN: 0
; COMPUTE_PGM_RSRC2:TGID_Z_EN: 0
; COMPUTE_PGM_RSRC2:TIDIG_COMP_CNT: 0
	.section	.text._ZN6thrust23THRUST_200600_302600_NS11hip_rocprim14__parallel_for6kernelILj256ENS1_11__transform17unary_transform_fINS0_7pointerIiNS1_3tagENS0_11use_defaultES8_EENS0_10device_ptrIsEENS4_14no_stencil_tagENS0_8identityIiEENS4_21always_true_predicateEEElLj1EEEvT0_T1_SI_,"axG",@progbits,_ZN6thrust23THRUST_200600_302600_NS11hip_rocprim14__parallel_for6kernelILj256ENS1_11__transform17unary_transform_fINS0_7pointerIiNS1_3tagENS0_11use_defaultES8_EENS0_10device_ptrIsEENS4_14no_stencil_tagENS0_8identityIiEENS4_21always_true_predicateEEElLj1EEEvT0_T1_SI_,comdat
	.protected	_ZN6thrust23THRUST_200600_302600_NS11hip_rocprim14__parallel_for6kernelILj256ENS1_11__transform17unary_transform_fINS0_7pointerIiNS1_3tagENS0_11use_defaultES8_EENS0_10device_ptrIsEENS4_14no_stencil_tagENS0_8identityIiEENS4_21always_true_predicateEEElLj1EEEvT0_T1_SI_ ; -- Begin function _ZN6thrust23THRUST_200600_302600_NS11hip_rocprim14__parallel_for6kernelILj256ENS1_11__transform17unary_transform_fINS0_7pointerIiNS1_3tagENS0_11use_defaultES8_EENS0_10device_ptrIsEENS4_14no_stencil_tagENS0_8identityIiEENS4_21always_true_predicateEEElLj1EEEvT0_T1_SI_
	.globl	_ZN6thrust23THRUST_200600_302600_NS11hip_rocprim14__parallel_for6kernelILj256ENS1_11__transform17unary_transform_fINS0_7pointerIiNS1_3tagENS0_11use_defaultES8_EENS0_10device_ptrIsEENS4_14no_stencil_tagENS0_8identityIiEENS4_21always_true_predicateEEElLj1EEEvT0_T1_SI_
	.p2align	8
	.type	_ZN6thrust23THRUST_200600_302600_NS11hip_rocprim14__parallel_for6kernelILj256ENS1_11__transform17unary_transform_fINS0_7pointerIiNS1_3tagENS0_11use_defaultES8_EENS0_10device_ptrIsEENS4_14no_stencil_tagENS0_8identityIiEENS4_21always_true_predicateEEElLj1EEEvT0_T1_SI_,@function
_ZN6thrust23THRUST_200600_302600_NS11hip_rocprim14__parallel_for6kernelILj256ENS1_11__transform17unary_transform_fINS0_7pointerIiNS1_3tagENS0_11use_defaultES8_EENS0_10device_ptrIsEENS4_14no_stencil_tagENS0_8identityIiEENS4_21always_true_predicateEEElLj1EEEvT0_T1_SI_: ; @_ZN6thrust23THRUST_200600_302600_NS11hip_rocprim14__parallel_for6kernelILj256ENS1_11__transform17unary_transform_fINS0_7pointerIiNS1_3tagENS0_11use_defaultES8_EENS0_10device_ptrIsEENS4_14no_stencil_tagENS0_8identityIiEENS4_21always_true_predicateEEElLj1EEEvT0_T1_SI_
; %bb.0:
	s_load_b128 s[4:7], s[0:1], 0x18
	s_bfe_u32 s2, ttmp6, 0x4000c
	s_and_b32 s3, ttmp6, 15
	s_add_co_i32 s2, s2, 1
	s_getreg_b32 s8, hwreg(HW_REG_IB_STS2, 6, 4)
	s_mul_i32 s2, ttmp9, s2
	s_delay_alu instid0(SALU_CYCLE_1)
	s_add_co_i32 s3, s3, s2
	s_cmp_eq_u32 s8, 0
	s_cselect_b32 s2, ttmp9, s3
	s_mov_b32 s3, 0
	s_lshl_b32 s2, s2, 8
	s_wait_kmcnt 0x0
	s_add_nc_u64 s[2:3], s[6:7], s[2:3]
	s_delay_alu instid0(SALU_CYCLE_1) | instskip(NEXT) | instid1(SALU_CYCLE_1)
	s_sub_nc_u64 s[4:5], s[4:5], s[2:3]
	v_min_i64 v[2:3], 0x100, s[4:5]
	s_load_b128 s[4:7], s[0:1], 0x0
	s_wait_xcnt 0x0
	s_mov_b32 s0, -1
	s_delay_alu instid0(VALU_DEP_1)
	v_cmp_eq_u32_e32 vcc_lo, 0x100, v2
	s_cbranch_vccz .LBB1350_3
; %bb.1:
	s_and_not1_b32 vcc_lo, exec_lo, s0
	s_cbranch_vccz .LBB1350_6
.LBB1350_2:
	s_endpgm
.LBB1350_3:
	s_mov_b32 s0, exec_lo
	v_cmpx_lt_u32_e64 v0, v2
	s_cbranch_execz .LBB1350_5
; %bb.4:
	v_mov_b32_e32 v1, 0
	s_delay_alu instid0(VALU_DEP_1) | instskip(SKIP_1) | instid1(VALU_DEP_1)
	v_add_nc_u64_e32 v[2:3], s[2:3], v[0:1]
	s_wait_kmcnt 0x0
	v_lshl_add_u64 v[4:5], v[2:3], 2, s[4:5]
	v_lshl_add_u64 v[2:3], v[2:3], 1, s[6:7]
	flat_load_b32 v1, v[4:5]
	s_wait_loadcnt_dscnt 0x0
	flat_store_b16 v[2:3], v1
.LBB1350_5:
	s_wait_xcnt 0x0
	s_or_b32 exec_lo, exec_lo, s0
	s_cbranch_execnz .LBB1350_2
.LBB1350_6:
	v_mov_b32_e32 v1, 0
	s_delay_alu instid0(VALU_DEP_1) | instskip(SKIP_1) | instid1(VALU_DEP_1)
	v_add_nc_u64_e32 v[0:1], s[2:3], v[0:1]
	s_wait_kmcnt 0x0
	v_lshl_add_u64 v[2:3], v[0:1], 2, s[4:5]
	v_lshl_add_u64 v[0:1], v[0:1], 1, s[6:7]
	flat_load_b32 v2, v[2:3]
	s_wait_loadcnt_dscnt 0x0
	flat_store_b16 v[0:1], v2
	s_endpgm
	.section	.rodata,"a",@progbits
	.p2align	6, 0x0
	.amdhsa_kernel _ZN6thrust23THRUST_200600_302600_NS11hip_rocprim14__parallel_for6kernelILj256ENS1_11__transform17unary_transform_fINS0_7pointerIiNS1_3tagENS0_11use_defaultES8_EENS0_10device_ptrIsEENS4_14no_stencil_tagENS0_8identityIiEENS4_21always_true_predicateEEElLj1EEEvT0_T1_SI_
		.amdhsa_group_segment_fixed_size 0
		.amdhsa_private_segment_fixed_size 0
		.amdhsa_kernarg_size 40
		.amdhsa_user_sgpr_count 2
		.amdhsa_user_sgpr_dispatch_ptr 0
		.amdhsa_user_sgpr_queue_ptr 0
		.amdhsa_user_sgpr_kernarg_segment_ptr 1
		.amdhsa_user_sgpr_dispatch_id 0
		.amdhsa_user_sgpr_kernarg_preload_length 0
		.amdhsa_user_sgpr_kernarg_preload_offset 0
		.amdhsa_user_sgpr_private_segment_size 0
		.amdhsa_wavefront_size32 1
		.amdhsa_uses_dynamic_stack 0
		.amdhsa_enable_private_segment 0
		.amdhsa_system_sgpr_workgroup_id_x 1
		.amdhsa_system_sgpr_workgroup_id_y 0
		.amdhsa_system_sgpr_workgroup_id_z 0
		.amdhsa_system_sgpr_workgroup_info 0
		.amdhsa_system_vgpr_workitem_id 0
		.amdhsa_next_free_vgpr 6
		.amdhsa_next_free_sgpr 9
		.amdhsa_named_barrier_count 0
		.amdhsa_reserve_vcc 1
		.amdhsa_float_round_mode_32 0
		.amdhsa_float_round_mode_16_64 0
		.amdhsa_float_denorm_mode_32 3
		.amdhsa_float_denorm_mode_16_64 3
		.amdhsa_fp16_overflow 0
		.amdhsa_memory_ordered 1
		.amdhsa_forward_progress 1
		.amdhsa_inst_pref_size 3
		.amdhsa_round_robin_scheduling 0
		.amdhsa_exception_fp_ieee_invalid_op 0
		.amdhsa_exception_fp_denorm_src 0
		.amdhsa_exception_fp_ieee_div_zero 0
		.amdhsa_exception_fp_ieee_overflow 0
		.amdhsa_exception_fp_ieee_underflow 0
		.amdhsa_exception_fp_ieee_inexact 0
		.amdhsa_exception_int_div_zero 0
	.end_amdhsa_kernel
	.section	.text._ZN6thrust23THRUST_200600_302600_NS11hip_rocprim14__parallel_for6kernelILj256ENS1_11__transform17unary_transform_fINS0_7pointerIiNS1_3tagENS0_11use_defaultES8_EENS0_10device_ptrIsEENS4_14no_stencil_tagENS0_8identityIiEENS4_21always_true_predicateEEElLj1EEEvT0_T1_SI_,"axG",@progbits,_ZN6thrust23THRUST_200600_302600_NS11hip_rocprim14__parallel_for6kernelILj256ENS1_11__transform17unary_transform_fINS0_7pointerIiNS1_3tagENS0_11use_defaultES8_EENS0_10device_ptrIsEENS4_14no_stencil_tagENS0_8identityIiEENS4_21always_true_predicateEEElLj1EEEvT0_T1_SI_,comdat
.Lfunc_end1350:
	.size	_ZN6thrust23THRUST_200600_302600_NS11hip_rocprim14__parallel_for6kernelILj256ENS1_11__transform17unary_transform_fINS0_7pointerIiNS1_3tagENS0_11use_defaultES8_EENS0_10device_ptrIsEENS4_14no_stencil_tagENS0_8identityIiEENS4_21always_true_predicateEEElLj1EEEvT0_T1_SI_, .Lfunc_end1350-_ZN6thrust23THRUST_200600_302600_NS11hip_rocprim14__parallel_for6kernelILj256ENS1_11__transform17unary_transform_fINS0_7pointerIiNS1_3tagENS0_11use_defaultES8_EENS0_10device_ptrIsEENS4_14no_stencil_tagENS0_8identityIiEENS4_21always_true_predicateEEElLj1EEEvT0_T1_SI_
                                        ; -- End function
	.set _ZN6thrust23THRUST_200600_302600_NS11hip_rocprim14__parallel_for6kernelILj256ENS1_11__transform17unary_transform_fINS0_7pointerIiNS1_3tagENS0_11use_defaultES8_EENS0_10device_ptrIsEENS4_14no_stencil_tagENS0_8identityIiEENS4_21always_true_predicateEEElLj1EEEvT0_T1_SI_.num_vgpr, 6
	.set _ZN6thrust23THRUST_200600_302600_NS11hip_rocprim14__parallel_for6kernelILj256ENS1_11__transform17unary_transform_fINS0_7pointerIiNS1_3tagENS0_11use_defaultES8_EENS0_10device_ptrIsEENS4_14no_stencil_tagENS0_8identityIiEENS4_21always_true_predicateEEElLj1EEEvT0_T1_SI_.num_agpr, 0
	.set _ZN6thrust23THRUST_200600_302600_NS11hip_rocprim14__parallel_for6kernelILj256ENS1_11__transform17unary_transform_fINS0_7pointerIiNS1_3tagENS0_11use_defaultES8_EENS0_10device_ptrIsEENS4_14no_stencil_tagENS0_8identityIiEENS4_21always_true_predicateEEElLj1EEEvT0_T1_SI_.numbered_sgpr, 9
	.set _ZN6thrust23THRUST_200600_302600_NS11hip_rocprim14__parallel_for6kernelILj256ENS1_11__transform17unary_transform_fINS0_7pointerIiNS1_3tagENS0_11use_defaultES8_EENS0_10device_ptrIsEENS4_14no_stencil_tagENS0_8identityIiEENS4_21always_true_predicateEEElLj1EEEvT0_T1_SI_.num_named_barrier, 0
	.set _ZN6thrust23THRUST_200600_302600_NS11hip_rocprim14__parallel_for6kernelILj256ENS1_11__transform17unary_transform_fINS0_7pointerIiNS1_3tagENS0_11use_defaultES8_EENS0_10device_ptrIsEENS4_14no_stencil_tagENS0_8identityIiEENS4_21always_true_predicateEEElLj1EEEvT0_T1_SI_.private_seg_size, 0
	.set _ZN6thrust23THRUST_200600_302600_NS11hip_rocprim14__parallel_for6kernelILj256ENS1_11__transform17unary_transform_fINS0_7pointerIiNS1_3tagENS0_11use_defaultES8_EENS0_10device_ptrIsEENS4_14no_stencil_tagENS0_8identityIiEENS4_21always_true_predicateEEElLj1EEEvT0_T1_SI_.uses_vcc, 1
	.set _ZN6thrust23THRUST_200600_302600_NS11hip_rocprim14__parallel_for6kernelILj256ENS1_11__transform17unary_transform_fINS0_7pointerIiNS1_3tagENS0_11use_defaultES8_EENS0_10device_ptrIsEENS4_14no_stencil_tagENS0_8identityIiEENS4_21always_true_predicateEEElLj1EEEvT0_T1_SI_.uses_flat_scratch, 0
	.set _ZN6thrust23THRUST_200600_302600_NS11hip_rocprim14__parallel_for6kernelILj256ENS1_11__transform17unary_transform_fINS0_7pointerIiNS1_3tagENS0_11use_defaultES8_EENS0_10device_ptrIsEENS4_14no_stencil_tagENS0_8identityIiEENS4_21always_true_predicateEEElLj1EEEvT0_T1_SI_.has_dyn_sized_stack, 0
	.set _ZN6thrust23THRUST_200600_302600_NS11hip_rocprim14__parallel_for6kernelILj256ENS1_11__transform17unary_transform_fINS0_7pointerIiNS1_3tagENS0_11use_defaultES8_EENS0_10device_ptrIsEENS4_14no_stencil_tagENS0_8identityIiEENS4_21always_true_predicateEEElLj1EEEvT0_T1_SI_.has_recursion, 0
	.set _ZN6thrust23THRUST_200600_302600_NS11hip_rocprim14__parallel_for6kernelILj256ENS1_11__transform17unary_transform_fINS0_7pointerIiNS1_3tagENS0_11use_defaultES8_EENS0_10device_ptrIsEENS4_14no_stencil_tagENS0_8identityIiEENS4_21always_true_predicateEEElLj1EEEvT0_T1_SI_.has_indirect_call, 0
	.section	.AMDGPU.csdata,"",@progbits
; Kernel info:
; codeLenInByte = 280
; TotalNumSgprs: 11
; NumVgprs: 6
; ScratchSize: 0
; MemoryBound: 0
; FloatMode: 240
; IeeeMode: 1
; LDSByteSize: 0 bytes/workgroup (compile time only)
; SGPRBlocks: 0
; VGPRBlocks: 0
; NumSGPRsForWavesPerEU: 11
; NumVGPRsForWavesPerEU: 6
; NamedBarCnt: 0
; Occupancy: 16
; WaveLimiterHint : 0
; COMPUTE_PGM_RSRC2:SCRATCH_EN: 0
; COMPUTE_PGM_RSRC2:USER_SGPR: 2
; COMPUTE_PGM_RSRC2:TRAP_HANDLER: 0
; COMPUTE_PGM_RSRC2:TGID_X_EN: 1
; COMPUTE_PGM_RSRC2:TGID_Y_EN: 0
; COMPUTE_PGM_RSRC2:TGID_Z_EN: 0
; COMPUTE_PGM_RSRC2:TIDIG_COMP_CNT: 0
	.section	.text._ZN7rocprim17ROCPRIM_400000_NS6detail30init_device_scan_by_key_kernelINS1_19lookback_scan_stateINS0_5tupleIJsbEEELb0ELb1EEEN6thrust23THRUST_200600_302600_NS6detail15normal_iteratorINS8_10device_ptrIiEEEEjNS1_16block_id_wrapperIjLb0EEEEEvT_jjPNSG_10value_typeET0_PNSt15iterator_traitsISJ_E10value_typeEmT1_T2_,"axG",@progbits,_ZN7rocprim17ROCPRIM_400000_NS6detail30init_device_scan_by_key_kernelINS1_19lookback_scan_stateINS0_5tupleIJsbEEELb0ELb1EEEN6thrust23THRUST_200600_302600_NS6detail15normal_iteratorINS8_10device_ptrIiEEEEjNS1_16block_id_wrapperIjLb0EEEEEvT_jjPNSG_10value_typeET0_PNSt15iterator_traitsISJ_E10value_typeEmT1_T2_,comdat
	.protected	_ZN7rocprim17ROCPRIM_400000_NS6detail30init_device_scan_by_key_kernelINS1_19lookback_scan_stateINS0_5tupleIJsbEEELb0ELb1EEEN6thrust23THRUST_200600_302600_NS6detail15normal_iteratorINS8_10device_ptrIiEEEEjNS1_16block_id_wrapperIjLb0EEEEEvT_jjPNSG_10value_typeET0_PNSt15iterator_traitsISJ_E10value_typeEmT1_T2_ ; -- Begin function _ZN7rocprim17ROCPRIM_400000_NS6detail30init_device_scan_by_key_kernelINS1_19lookback_scan_stateINS0_5tupleIJsbEEELb0ELb1EEEN6thrust23THRUST_200600_302600_NS6detail15normal_iteratorINS8_10device_ptrIiEEEEjNS1_16block_id_wrapperIjLb0EEEEEvT_jjPNSG_10value_typeET0_PNSt15iterator_traitsISJ_E10value_typeEmT1_T2_
	.globl	_ZN7rocprim17ROCPRIM_400000_NS6detail30init_device_scan_by_key_kernelINS1_19lookback_scan_stateINS0_5tupleIJsbEEELb0ELb1EEEN6thrust23THRUST_200600_302600_NS6detail15normal_iteratorINS8_10device_ptrIiEEEEjNS1_16block_id_wrapperIjLb0EEEEEvT_jjPNSG_10value_typeET0_PNSt15iterator_traitsISJ_E10value_typeEmT1_T2_
	.p2align	8
	.type	_ZN7rocprim17ROCPRIM_400000_NS6detail30init_device_scan_by_key_kernelINS1_19lookback_scan_stateINS0_5tupleIJsbEEELb0ELb1EEEN6thrust23THRUST_200600_302600_NS6detail15normal_iteratorINS8_10device_ptrIiEEEEjNS1_16block_id_wrapperIjLb0EEEEEvT_jjPNSG_10value_typeET0_PNSt15iterator_traitsISJ_E10value_typeEmT1_T2_,@function
_ZN7rocprim17ROCPRIM_400000_NS6detail30init_device_scan_by_key_kernelINS1_19lookback_scan_stateINS0_5tupleIJsbEEELb0ELb1EEEN6thrust23THRUST_200600_302600_NS6detail15normal_iteratorINS8_10device_ptrIiEEEEjNS1_16block_id_wrapperIjLb0EEEEEvT_jjPNSG_10value_typeET0_PNSt15iterator_traitsISJ_E10value_typeEmT1_T2_: ; @_ZN7rocprim17ROCPRIM_400000_NS6detail30init_device_scan_by_key_kernelINS1_19lookback_scan_stateINS0_5tupleIJsbEEELb0ELb1EEEN6thrust23THRUST_200600_302600_NS6detail15normal_iteratorINS8_10device_ptrIiEEEEjNS1_16block_id_wrapperIjLb0EEEEEvT_jjPNSG_10value_typeET0_PNSt15iterator_traitsISJ_E10value_typeEmT1_T2_
; %bb.0:
	s_clause 0x2
	s_load_b32 s2, s[0:1], 0x44
	s_load_b32 s12, s[0:1], 0x38
	s_load_b256 s[4:11], s[0:1], 0x0
	s_bfe_u32 s3, ttmp6, 0x4000c
	s_and_b32 s14, ttmp6, 15
	s_add_co_i32 s3, s3, 1
	s_getreg_b32 s15, hwreg(HW_REG_IB_STS2, 6, 4)
	s_mul_i32 s3, ttmp9, s3
	s_delay_alu instid0(SALU_CYCLE_1)
	s_add_co_i32 s14, s14, s3
	s_wait_kmcnt 0x0
	s_and_b32 s13, s2, 0xffff
	s_cmp_eq_u32 s15, 0
	s_cselect_b32 s2, ttmp9, s14
	s_cmp_eq_u64 s[8:9], 0
	v_mad_u32 v0, s2, s13, v0
	s_cbranch_scc1 .LBB1351_7
; %bb.1:
	s_cmp_lt_u32 s7, s6
	s_mov_b32 s14, exec_lo
	s_cselect_b32 s2, s7, 0
	s_delay_alu instid0(VALU_DEP_1) | instid1(SALU_CYCLE_1)
	v_cmpx_eq_u32_e64 s2, v0
	s_cbranch_execz .LBB1351_6
; %bb.2:
	s_add_co_i32 s2, s7, 32
	s_delay_alu instid0(SALU_CYCLE_1) | instskip(SKIP_3) | instid1(VALU_DEP_1)
	v_dual_mov_b32 v4, 0 :: v_dual_mov_b32 v1, s2
	global_load_b64 v[2:3], v1, s[4:5] scale_offset scope:SCOPE_DEV
	s_wait_loadcnt 0x0
	v_and_b32_e32 v5, 0xff, v3
	v_cmp_ne_u64_e32 vcc_lo, 0, v[4:5]
	s_cbranch_vccnz .LBB1351_5
; %bb.3:
	s_mov_b32 s3, 0
	s_delay_alu instid0(SALU_CYCLE_1) | instskip(NEXT) | instid1(SALU_CYCLE_1)
	s_lshl_b64 s[2:3], s[2:3], 3
	s_add_nc_u64 s[2:3], s[4:5], s[2:3]
.LBB1351_4:                             ; =>This Inner Loop Header: Depth=1
	global_load_b64 v[2:3], v4, s[2:3] scope:SCOPE_DEV
	s_wait_loadcnt 0x0
	v_and_b32_e32 v5, 0xff, v3
	s_delay_alu instid0(VALU_DEP_1)
	v_cmp_eq_u64_e32 vcc_lo, 0, v[4:5]
	s_cbranch_vccnz .LBB1351_4
.LBB1351_5:
	v_mov_b32_e32 v1, 0
	s_clause 0x1
	global_store_b16 v1, v2, s[8:9]
	global_store_d16_hi_b8 v1, v2, s[8:9] offset:2
.LBB1351_6:
	s_wait_xcnt 0x0
	s_or_b32 exec_lo, exec_lo, s14
.LBB1351_7:
	s_delay_alu instid0(SALU_CYCLE_1) | instskip(NEXT) | instid1(VALU_DEP_1)
	s_mov_b32 s2, exec_lo
	v_cmpx_gt_u32_e64 s6, v0
	s_cbranch_execz .LBB1351_9
; %bb.8:
	v_mov_b64_e32 v[2:3], 0
	v_add_nc_u32_e32 v1, 32, v0
	global_store_b64 v1, v[2:3], s[4:5] scale_offset
.LBB1351_9:
	s_wait_xcnt 0x0
	s_or_b32 exec_lo, exec_lo, s2
	v_mov_b32_e32 v1, 0
	s_mov_b32 s2, exec_lo
	v_cmpx_gt_u32_e32 32, v0
	s_cbranch_execz .LBB1351_11
; %bb.10:
	v_mov_b64_e32 v[2:3], 0xff00000000
	v_lshl_add_u64 v[4:5], v[0:1], 3, s[4:5]
	global_store_b64 v[4:5], v[2:3], off
.LBB1351_11:
	s_wait_xcnt 0x0
	s_or_b32 exec_lo, exec_lo, s2
	s_load_b64 s[2:3], s[0:1], 0x28
	s_mov_b32 s4, exec_lo
	s_wait_kmcnt 0x0
	v_cmpx_gt_u64_e64 s[2:3], v[0:1]
	s_cbranch_execz .LBB1351_14
; %bb.12:
	s_clause 0x1
	s_load_b32 s4, s[0:1], 0x30
	s_load_b64 s[6:7], s[0:1], 0x20
	s_mov_b32 s5, 0
	s_wait_xcnt 0x0
	s_mul_i32 s0, s12, s13
	s_mov_b32 s9, s5
	s_mov_b32 s1, s5
	s_wait_kmcnt 0x0
	v_mul_u64_e32 v[2:3], s[4:5], v[0:1]
	s_add_co_i32 s8, s4, -1
	v_lshl_add_u64 v[4:5], v[0:1], 2, s[6:7]
	s_lshl_b64 s[8:9], s[8:9], 2
	s_delay_alu instid0(SALU_CYCLE_1) | instskip(SKIP_1) | instid1(SALU_CYCLE_1)
	s_add_nc_u64 s[8:9], s[10:11], s[8:9]
	s_mul_u64 s[10:11], s[4:5], s[0:1]
	s_lshl_b64 s[6:7], s[10:11], 2
	s_delay_alu instid0(VALU_DEP_2)
	v_lshl_add_u64 v[2:3], v[2:3], 2, s[8:9]
	s_lshl_b64 s[8:9], s[0:1], 2
.LBB1351_13:                            ; =>This Inner Loop Header: Depth=1
	global_load_b32 v6, v[2:3], off
	v_add_nc_u64_e32 v[0:1], s[0:1], v[0:1]
	s_wait_xcnt 0x0
	v_add_nc_u64_e32 v[2:3], s[6:7], v[2:3]
	s_delay_alu instid0(VALU_DEP_2)
	v_cmp_le_u64_e32 vcc_lo, s[2:3], v[0:1]
	s_or_b32 s5, vcc_lo, s5
	s_wait_loadcnt 0x0
	global_store_b32 v[4:5], v6, off
	s_wait_xcnt 0x0
	v_add_nc_u64_e32 v[4:5], s[8:9], v[4:5]
	s_and_not1_b32 exec_lo, exec_lo, s5
	s_cbranch_execnz .LBB1351_13
.LBB1351_14:
	s_endpgm
	.section	.rodata,"a",@progbits
	.p2align	6, 0x0
	.amdhsa_kernel _ZN7rocprim17ROCPRIM_400000_NS6detail30init_device_scan_by_key_kernelINS1_19lookback_scan_stateINS0_5tupleIJsbEEELb0ELb1EEEN6thrust23THRUST_200600_302600_NS6detail15normal_iteratorINS8_10device_ptrIiEEEEjNS1_16block_id_wrapperIjLb0EEEEEvT_jjPNSG_10value_typeET0_PNSt15iterator_traitsISJ_E10value_typeEmT1_T2_
		.amdhsa_group_segment_fixed_size 0
		.amdhsa_private_segment_fixed_size 0
		.amdhsa_kernarg_size 312
		.amdhsa_user_sgpr_count 2
		.amdhsa_user_sgpr_dispatch_ptr 0
		.amdhsa_user_sgpr_queue_ptr 0
		.amdhsa_user_sgpr_kernarg_segment_ptr 1
		.amdhsa_user_sgpr_dispatch_id 0
		.amdhsa_user_sgpr_kernarg_preload_length 0
		.amdhsa_user_sgpr_kernarg_preload_offset 0
		.amdhsa_user_sgpr_private_segment_size 0
		.amdhsa_wavefront_size32 1
		.amdhsa_uses_dynamic_stack 0
		.amdhsa_enable_private_segment 0
		.amdhsa_system_sgpr_workgroup_id_x 1
		.amdhsa_system_sgpr_workgroup_id_y 0
		.amdhsa_system_sgpr_workgroup_id_z 0
		.amdhsa_system_sgpr_workgroup_info 0
		.amdhsa_system_vgpr_workitem_id 0
		.amdhsa_next_free_vgpr 7
		.amdhsa_next_free_sgpr 16
		.amdhsa_named_barrier_count 0
		.amdhsa_reserve_vcc 1
		.amdhsa_float_round_mode_32 0
		.amdhsa_float_round_mode_16_64 0
		.amdhsa_float_denorm_mode_32 3
		.amdhsa_float_denorm_mode_16_64 3
		.amdhsa_fp16_overflow 0
		.amdhsa_memory_ordered 1
		.amdhsa_forward_progress 1
		.amdhsa_inst_pref_size 5
		.amdhsa_round_robin_scheduling 0
		.amdhsa_exception_fp_ieee_invalid_op 0
		.amdhsa_exception_fp_denorm_src 0
		.amdhsa_exception_fp_ieee_div_zero 0
		.amdhsa_exception_fp_ieee_overflow 0
		.amdhsa_exception_fp_ieee_underflow 0
		.amdhsa_exception_fp_ieee_inexact 0
		.amdhsa_exception_int_div_zero 0
	.end_amdhsa_kernel
	.section	.text._ZN7rocprim17ROCPRIM_400000_NS6detail30init_device_scan_by_key_kernelINS1_19lookback_scan_stateINS0_5tupleIJsbEEELb0ELb1EEEN6thrust23THRUST_200600_302600_NS6detail15normal_iteratorINS8_10device_ptrIiEEEEjNS1_16block_id_wrapperIjLb0EEEEEvT_jjPNSG_10value_typeET0_PNSt15iterator_traitsISJ_E10value_typeEmT1_T2_,"axG",@progbits,_ZN7rocprim17ROCPRIM_400000_NS6detail30init_device_scan_by_key_kernelINS1_19lookback_scan_stateINS0_5tupleIJsbEEELb0ELb1EEEN6thrust23THRUST_200600_302600_NS6detail15normal_iteratorINS8_10device_ptrIiEEEEjNS1_16block_id_wrapperIjLb0EEEEEvT_jjPNSG_10value_typeET0_PNSt15iterator_traitsISJ_E10value_typeEmT1_T2_,comdat
.Lfunc_end1351:
	.size	_ZN7rocprim17ROCPRIM_400000_NS6detail30init_device_scan_by_key_kernelINS1_19lookback_scan_stateINS0_5tupleIJsbEEELb0ELb1EEEN6thrust23THRUST_200600_302600_NS6detail15normal_iteratorINS8_10device_ptrIiEEEEjNS1_16block_id_wrapperIjLb0EEEEEvT_jjPNSG_10value_typeET0_PNSt15iterator_traitsISJ_E10value_typeEmT1_T2_, .Lfunc_end1351-_ZN7rocprim17ROCPRIM_400000_NS6detail30init_device_scan_by_key_kernelINS1_19lookback_scan_stateINS0_5tupleIJsbEEELb0ELb1EEEN6thrust23THRUST_200600_302600_NS6detail15normal_iteratorINS8_10device_ptrIiEEEEjNS1_16block_id_wrapperIjLb0EEEEEvT_jjPNSG_10value_typeET0_PNSt15iterator_traitsISJ_E10value_typeEmT1_T2_
                                        ; -- End function
	.set _ZN7rocprim17ROCPRIM_400000_NS6detail30init_device_scan_by_key_kernelINS1_19lookback_scan_stateINS0_5tupleIJsbEEELb0ELb1EEEN6thrust23THRUST_200600_302600_NS6detail15normal_iteratorINS8_10device_ptrIiEEEEjNS1_16block_id_wrapperIjLb0EEEEEvT_jjPNSG_10value_typeET0_PNSt15iterator_traitsISJ_E10value_typeEmT1_T2_.num_vgpr, 7
	.set _ZN7rocprim17ROCPRIM_400000_NS6detail30init_device_scan_by_key_kernelINS1_19lookback_scan_stateINS0_5tupleIJsbEEELb0ELb1EEEN6thrust23THRUST_200600_302600_NS6detail15normal_iteratorINS8_10device_ptrIiEEEEjNS1_16block_id_wrapperIjLb0EEEEEvT_jjPNSG_10value_typeET0_PNSt15iterator_traitsISJ_E10value_typeEmT1_T2_.num_agpr, 0
	.set _ZN7rocprim17ROCPRIM_400000_NS6detail30init_device_scan_by_key_kernelINS1_19lookback_scan_stateINS0_5tupleIJsbEEELb0ELb1EEEN6thrust23THRUST_200600_302600_NS6detail15normal_iteratorINS8_10device_ptrIiEEEEjNS1_16block_id_wrapperIjLb0EEEEEvT_jjPNSG_10value_typeET0_PNSt15iterator_traitsISJ_E10value_typeEmT1_T2_.numbered_sgpr, 16
	.set _ZN7rocprim17ROCPRIM_400000_NS6detail30init_device_scan_by_key_kernelINS1_19lookback_scan_stateINS0_5tupleIJsbEEELb0ELb1EEEN6thrust23THRUST_200600_302600_NS6detail15normal_iteratorINS8_10device_ptrIiEEEEjNS1_16block_id_wrapperIjLb0EEEEEvT_jjPNSG_10value_typeET0_PNSt15iterator_traitsISJ_E10value_typeEmT1_T2_.num_named_barrier, 0
	.set _ZN7rocprim17ROCPRIM_400000_NS6detail30init_device_scan_by_key_kernelINS1_19lookback_scan_stateINS0_5tupleIJsbEEELb0ELb1EEEN6thrust23THRUST_200600_302600_NS6detail15normal_iteratorINS8_10device_ptrIiEEEEjNS1_16block_id_wrapperIjLb0EEEEEvT_jjPNSG_10value_typeET0_PNSt15iterator_traitsISJ_E10value_typeEmT1_T2_.private_seg_size, 0
	.set _ZN7rocprim17ROCPRIM_400000_NS6detail30init_device_scan_by_key_kernelINS1_19lookback_scan_stateINS0_5tupleIJsbEEELb0ELb1EEEN6thrust23THRUST_200600_302600_NS6detail15normal_iteratorINS8_10device_ptrIiEEEEjNS1_16block_id_wrapperIjLb0EEEEEvT_jjPNSG_10value_typeET0_PNSt15iterator_traitsISJ_E10value_typeEmT1_T2_.uses_vcc, 1
	.set _ZN7rocprim17ROCPRIM_400000_NS6detail30init_device_scan_by_key_kernelINS1_19lookback_scan_stateINS0_5tupleIJsbEEELb0ELb1EEEN6thrust23THRUST_200600_302600_NS6detail15normal_iteratorINS8_10device_ptrIiEEEEjNS1_16block_id_wrapperIjLb0EEEEEvT_jjPNSG_10value_typeET0_PNSt15iterator_traitsISJ_E10value_typeEmT1_T2_.uses_flat_scratch, 0
	.set _ZN7rocprim17ROCPRIM_400000_NS6detail30init_device_scan_by_key_kernelINS1_19lookback_scan_stateINS0_5tupleIJsbEEELb0ELb1EEEN6thrust23THRUST_200600_302600_NS6detail15normal_iteratorINS8_10device_ptrIiEEEEjNS1_16block_id_wrapperIjLb0EEEEEvT_jjPNSG_10value_typeET0_PNSt15iterator_traitsISJ_E10value_typeEmT1_T2_.has_dyn_sized_stack, 0
	.set _ZN7rocprim17ROCPRIM_400000_NS6detail30init_device_scan_by_key_kernelINS1_19lookback_scan_stateINS0_5tupleIJsbEEELb0ELb1EEEN6thrust23THRUST_200600_302600_NS6detail15normal_iteratorINS8_10device_ptrIiEEEEjNS1_16block_id_wrapperIjLb0EEEEEvT_jjPNSG_10value_typeET0_PNSt15iterator_traitsISJ_E10value_typeEmT1_T2_.has_recursion, 0
	.set _ZN7rocprim17ROCPRIM_400000_NS6detail30init_device_scan_by_key_kernelINS1_19lookback_scan_stateINS0_5tupleIJsbEEELb0ELb1EEEN6thrust23THRUST_200600_302600_NS6detail15normal_iteratorINS8_10device_ptrIiEEEEjNS1_16block_id_wrapperIjLb0EEEEEvT_jjPNSG_10value_typeET0_PNSt15iterator_traitsISJ_E10value_typeEmT1_T2_.has_indirect_call, 0
	.section	.AMDGPU.csdata,"",@progbits
; Kernel info:
; codeLenInByte = 564
; TotalNumSgprs: 18
; NumVgprs: 7
; ScratchSize: 0
; MemoryBound: 0
; FloatMode: 240
; IeeeMode: 1
; LDSByteSize: 0 bytes/workgroup (compile time only)
; SGPRBlocks: 0
; VGPRBlocks: 0
; NumSGPRsForWavesPerEU: 18
; NumVGPRsForWavesPerEU: 7
; NamedBarCnt: 0
; Occupancy: 16
; WaveLimiterHint : 0
; COMPUTE_PGM_RSRC2:SCRATCH_EN: 0
; COMPUTE_PGM_RSRC2:USER_SGPR: 2
; COMPUTE_PGM_RSRC2:TRAP_HANDLER: 0
; COMPUTE_PGM_RSRC2:TGID_X_EN: 1
; COMPUTE_PGM_RSRC2:TGID_Y_EN: 0
; COMPUTE_PGM_RSRC2:TGID_Z_EN: 0
; COMPUTE_PGM_RSRC2:TIDIG_COMP_CNT: 0
	.section	.text._ZN7rocprim17ROCPRIM_400000_NS6detail17trampoline_kernelINS0_14default_configENS1_27scan_by_key_config_selectorIisEEZZNS1_16scan_by_key_implILNS1_25lookback_scan_determinismE0ELb0ES3_N6thrust23THRUST_200600_302600_NS6detail15normal_iteratorINS9_10device_ptrIiEEEENSB_INSC_IsEEEESG_sNS9_4plusIvEENS9_8equal_toIvEEsEE10hipError_tPvRmT2_T3_T4_T5_mT6_T7_P12ihipStream_tbENKUlT_T0_E_clISt17integral_constantIbLb0EES11_EEDaSW_SX_EUlSW_E_NS1_11comp_targetILNS1_3genE0ELNS1_11target_archE4294967295ELNS1_3gpuE0ELNS1_3repE0EEENS1_30default_config_static_selectorELNS0_4arch9wavefront6targetE0EEEvT1_,"axG",@progbits,_ZN7rocprim17ROCPRIM_400000_NS6detail17trampoline_kernelINS0_14default_configENS1_27scan_by_key_config_selectorIisEEZZNS1_16scan_by_key_implILNS1_25lookback_scan_determinismE0ELb0ES3_N6thrust23THRUST_200600_302600_NS6detail15normal_iteratorINS9_10device_ptrIiEEEENSB_INSC_IsEEEESG_sNS9_4plusIvEENS9_8equal_toIvEEsEE10hipError_tPvRmT2_T3_T4_T5_mT6_T7_P12ihipStream_tbENKUlT_T0_E_clISt17integral_constantIbLb0EES11_EEDaSW_SX_EUlSW_E_NS1_11comp_targetILNS1_3genE0ELNS1_11target_archE4294967295ELNS1_3gpuE0ELNS1_3repE0EEENS1_30default_config_static_selectorELNS0_4arch9wavefront6targetE0EEEvT1_,comdat
	.protected	_ZN7rocprim17ROCPRIM_400000_NS6detail17trampoline_kernelINS0_14default_configENS1_27scan_by_key_config_selectorIisEEZZNS1_16scan_by_key_implILNS1_25lookback_scan_determinismE0ELb0ES3_N6thrust23THRUST_200600_302600_NS6detail15normal_iteratorINS9_10device_ptrIiEEEENSB_INSC_IsEEEESG_sNS9_4plusIvEENS9_8equal_toIvEEsEE10hipError_tPvRmT2_T3_T4_T5_mT6_T7_P12ihipStream_tbENKUlT_T0_E_clISt17integral_constantIbLb0EES11_EEDaSW_SX_EUlSW_E_NS1_11comp_targetILNS1_3genE0ELNS1_11target_archE4294967295ELNS1_3gpuE0ELNS1_3repE0EEENS1_30default_config_static_selectorELNS0_4arch9wavefront6targetE0EEEvT1_ ; -- Begin function _ZN7rocprim17ROCPRIM_400000_NS6detail17trampoline_kernelINS0_14default_configENS1_27scan_by_key_config_selectorIisEEZZNS1_16scan_by_key_implILNS1_25lookback_scan_determinismE0ELb0ES3_N6thrust23THRUST_200600_302600_NS6detail15normal_iteratorINS9_10device_ptrIiEEEENSB_INSC_IsEEEESG_sNS9_4plusIvEENS9_8equal_toIvEEsEE10hipError_tPvRmT2_T3_T4_T5_mT6_T7_P12ihipStream_tbENKUlT_T0_E_clISt17integral_constantIbLb0EES11_EEDaSW_SX_EUlSW_E_NS1_11comp_targetILNS1_3genE0ELNS1_11target_archE4294967295ELNS1_3gpuE0ELNS1_3repE0EEENS1_30default_config_static_selectorELNS0_4arch9wavefront6targetE0EEEvT1_
	.globl	_ZN7rocprim17ROCPRIM_400000_NS6detail17trampoline_kernelINS0_14default_configENS1_27scan_by_key_config_selectorIisEEZZNS1_16scan_by_key_implILNS1_25lookback_scan_determinismE0ELb0ES3_N6thrust23THRUST_200600_302600_NS6detail15normal_iteratorINS9_10device_ptrIiEEEENSB_INSC_IsEEEESG_sNS9_4plusIvEENS9_8equal_toIvEEsEE10hipError_tPvRmT2_T3_T4_T5_mT6_T7_P12ihipStream_tbENKUlT_T0_E_clISt17integral_constantIbLb0EES11_EEDaSW_SX_EUlSW_E_NS1_11comp_targetILNS1_3genE0ELNS1_11target_archE4294967295ELNS1_3gpuE0ELNS1_3repE0EEENS1_30default_config_static_selectorELNS0_4arch9wavefront6targetE0EEEvT1_
	.p2align	8
	.type	_ZN7rocprim17ROCPRIM_400000_NS6detail17trampoline_kernelINS0_14default_configENS1_27scan_by_key_config_selectorIisEEZZNS1_16scan_by_key_implILNS1_25lookback_scan_determinismE0ELb0ES3_N6thrust23THRUST_200600_302600_NS6detail15normal_iteratorINS9_10device_ptrIiEEEENSB_INSC_IsEEEESG_sNS9_4plusIvEENS9_8equal_toIvEEsEE10hipError_tPvRmT2_T3_T4_T5_mT6_T7_P12ihipStream_tbENKUlT_T0_E_clISt17integral_constantIbLb0EES11_EEDaSW_SX_EUlSW_E_NS1_11comp_targetILNS1_3genE0ELNS1_11target_archE4294967295ELNS1_3gpuE0ELNS1_3repE0EEENS1_30default_config_static_selectorELNS0_4arch9wavefront6targetE0EEEvT1_,@function
_ZN7rocprim17ROCPRIM_400000_NS6detail17trampoline_kernelINS0_14default_configENS1_27scan_by_key_config_selectorIisEEZZNS1_16scan_by_key_implILNS1_25lookback_scan_determinismE0ELb0ES3_N6thrust23THRUST_200600_302600_NS6detail15normal_iteratorINS9_10device_ptrIiEEEENSB_INSC_IsEEEESG_sNS9_4plusIvEENS9_8equal_toIvEEsEE10hipError_tPvRmT2_T3_T4_T5_mT6_T7_P12ihipStream_tbENKUlT_T0_E_clISt17integral_constantIbLb0EES11_EEDaSW_SX_EUlSW_E_NS1_11comp_targetILNS1_3genE0ELNS1_11target_archE4294967295ELNS1_3gpuE0ELNS1_3repE0EEENS1_30default_config_static_selectorELNS0_4arch9wavefront6targetE0EEEvT1_: ; @_ZN7rocprim17ROCPRIM_400000_NS6detail17trampoline_kernelINS0_14default_configENS1_27scan_by_key_config_selectorIisEEZZNS1_16scan_by_key_implILNS1_25lookback_scan_determinismE0ELb0ES3_N6thrust23THRUST_200600_302600_NS6detail15normal_iteratorINS9_10device_ptrIiEEEENSB_INSC_IsEEEESG_sNS9_4plusIvEENS9_8equal_toIvEEsEE10hipError_tPvRmT2_T3_T4_T5_mT6_T7_P12ihipStream_tbENKUlT_T0_E_clISt17integral_constantIbLb0EES11_EEDaSW_SX_EUlSW_E_NS1_11comp_targetILNS1_3genE0ELNS1_11target_archE4294967295ELNS1_3gpuE0ELNS1_3repE0EEENS1_30default_config_static_selectorELNS0_4arch9wavefront6targetE0EEEvT1_
; %bb.0:
	s_clause 0x3
	s_load_b256 s[12:19], s[0:1], 0x0
	s_load_b256 s[20:27], s[0:1], 0x48
	s_load_b96 s[36:38], s[0:1], 0x38
	s_load_b128 s[28:31], s[0:1], 0x28
	s_getreg_b32 s4, hwreg(HW_REG_IB_STS2, 6, 4)
	s_wait_xcnt 0x0
	s_mov_b32 s1, 0
	s_barrier_signal -1
	s_barrier_wait -1
	s_wait_kmcnt 0x0
	s_lshl_b64 s[2:3], s[14:15], 2
	s_lshl_b64 s[34:35], s[14:15], 1
	s_cmp_lg_u64 s[24:25], 0
	s_mov_b32 s0, s38
	s_cselect_b32 s33, -1, 0
	s_bfe_u32 s5, ttmp6, 0x4000c
	s_and_b32 s6, ttmp6, 15
	s_add_co_i32 s5, s5, 1
	s_mov_b32 s25, s1
	s_mul_i32 s5, ttmp9, s5
	s_add_nc_u64 s[2:3], s[12:13], s[2:3]
	s_add_co_i32 s6, s6, s5
	s_cmp_eq_u32 s4, 0
	s_mul_u64 s[4:5], s[36:37], s[0:1]
	s_cselect_b32 s24, ttmp9, s6
	s_add_nc_u64 s[6:7], s[16:17], s[34:35]
	s_add_nc_u64 s[38:39], s[4:5], s[24:25]
	s_add_nc_u64 s[4:5], s[20:21], -1
	s_mul_i32 s0, s24, 0xe00
	v_cmp_ge_u64_e64 s25, s[38:39], s[4:5]
	s_lshl_b64 s[8:9], s[0:1], 2
	s_lshl_b64 s[16:17], s[0:1], 1
	s_add_nc_u64 s[20:21], s[2:3], s[8:9]
	s_add_nc_u64 s[14:15], s[6:7], s[16:17]
	s_mul_i32 s31, s4, 0xfffff200
	s_and_b32 vcc_lo, exec_lo, s25
	s_cbranch_vccz .LBB1352_32
; %bb.1:
	v_mov_b32_e32 v1, 0
	s_add_co_i32 s42, s31, s30
	s_delay_alu instid0(SALU_CYCLE_1)
	v_cmp_gt_u32_e64 s0, s42, v0
	flat_load_b32 v1, v1, s[20:21]
	s_wait_loadcnt_dscnt 0x0
	v_mov_b32_e32 v2, v1
	s_and_saveexec_b32 s1, s0
	s_cbranch_execz .LBB1352_3
; %bb.2:
	flat_load_b32 v2, v0, s[20:21] scale_offset
.LBB1352_3:
	s_wait_xcnt 0x0
	s_or_b32 exec_lo, exec_lo, s1
	v_or_b32_e32 v3, 0x100, v0
	s_delay_alu instid0(VALU_DEP_1)
	v_cmp_gt_u32_e64 s1, s42, v3
	v_mov_b32_e32 v3, v1
	s_and_saveexec_b32 s2, s1
	s_cbranch_execz .LBB1352_5
; %bb.4:
	flat_load_b32 v3, v0, s[20:21] offset:1024 scale_offset
.LBB1352_5:
	s_wait_xcnt 0x0
	s_or_b32 exec_lo, exec_lo, s2
	v_or_b32_e32 v4, 0x200, v0
	s_delay_alu instid0(VALU_DEP_1)
	v_cmp_gt_u32_e64 s2, s42, v4
	v_mov_b32_e32 v4, v1
	s_and_saveexec_b32 s3, s2
	s_cbranch_execz .LBB1352_7
; %bb.6:
	flat_load_b32 v4, v0, s[20:21] offset:2048 scale_offset
.LBB1352_7:
	;; [unrolled: 11-line block ×12, first 2 shown]
	s_wait_xcnt 0x0
	s_or_b32 exec_lo, exec_lo, s13
	v_or_b32_e32 v15, 0xd00, v0
	s_mov_b32 s40, exec_lo
	s_delay_alu instid0(VALU_DEP_1) | instskip(SKIP_2) | instid1(SALU_CYCLE_1)
	v_cmp_gt_u32_e64 s13, s42, v15
	v_cmpx_le_u32_e64 s42, v15
	s_xor_b32 s40, exec_lo, s40
	s_and_not1_saveexec_b32 s40, s40
	s_cbranch_execz .LBB1352_29
; %bb.28:
	flat_load_b32 v1, v0, s[20:21] offset:13312 scale_offset
.LBB1352_29:
	s_wait_xcnt 0x0
	s_or_b32 exec_lo, exec_lo, s40
	v_lshlrev_b32_e32 v15, 2, v0
	s_cmp_eq_u64 s[38:39], 0
	s_mov_b64 s[40:41], s[20:21]
	s_wait_loadcnt_dscnt 0x0
	ds_store_2addr_stride64_b32 v15, v2, v3 offset1:4
	ds_store_2addr_stride64_b32 v15, v4, v5 offset0:8 offset1:12
	ds_store_2addr_stride64_b32 v15, v6, v7 offset0:16 offset1:20
	;; [unrolled: 1-line block ×6, first 2 shown]
	v_mad_u32_u24 v1, v0, 52, v15
	s_wait_dscnt 0x0
	s_barrier_signal -1
	s_barrier_wait -1
	ds_load_2addr_b64 v[22:25], v1 offset1:1
	ds_load_2addr_b64 v[18:21], v1 offset0:2 offset1:3
	ds_load_2addr_b64 v[14:17], v1 offset0:4 offset1:5
	ds_load_b64 v[30:31], v1 offset:48
	s_cbranch_scc1 .LBB1352_35
; %bb.30:
	s_and_not1_b32 vcc_lo, exec_lo, s33
	s_cbranch_vccnz .LBB1352_33
; %bb.31:
	s_lshl_b64 s[40:41], s[38:39], 2
	s_mov_b32 s43, 0
	s_add_nc_u64 s[40:41], s[26:27], s[40:41]
	s_delay_alu instid0(SALU_CYCLE_1)
	s_add_nc_u64 s[40:41], s[40:41], -4
	s_branch .LBB1352_34
.LBB1352_32:
                                        ; implicit-def: $sgpr3
                                        ; implicit-def: $vgpr2_vgpr3_vgpr4_vgpr5
                                        ; implicit-def: $vgpr6_vgpr7_vgpr8_vgpr9
                                        ; implicit-def: $vgpr33
                                        ; implicit-def: $vgpr27
                                        ; implicit-def: $vgpr10_vgpr11_vgpr12_vgpr13
                                        ; implicit-def: $vgpr1
	s_cbranch_execnz .LBB1352_79
	s_branch .LBB1352_100
.LBB1352_33:
	s_add_nc_u64 s[40:41], s[20:21], -4
	s_mov_b32 s43, -1
.LBB1352_34:
	s_delay_alu instid0(SALU_CYCLE_1)
	s_and_not1_b32 vcc_lo, exec_lo, s43
.LBB1352_35:
	v_mov_b32_e32 v2, 0
	v_mad_i32_i24 v1, 0xffffffcc, v0, v1
	flat_load_b32 v26, v2, s[40:41]
	s_wait_xcnt 0x0
	s_mov_b32 s40, exec_lo
	s_wait_dscnt 0x1
	ds_store_b32 v1, v31 offset:14336
	s_wait_loadcnt_dscnt 0x0
	s_barrier_signal -1
	s_barrier_wait -1
	v_cmpx_ne_u32_e32 0, v0
; %bb.36:
	ds_load_b32 v26, v1 offset:14332
; %bb.37:
	s_or_b32 exec_lo, exec_lo, s40
	s_wait_dscnt 0x0
	s_barrier_signal -1
	s_barrier_wait -1
                                        ; implicit-def: $vgpr3
	s_and_saveexec_b32 s40, s0
	s_cbranch_execnz .LBB1352_82
; %bb.38:
	s_or_b32 exec_lo, exec_lo, s40
                                        ; implicit-def: $vgpr4
	s_and_saveexec_b32 s0, s1
	s_cbranch_execnz .LBB1352_83
.LBB1352_39:
	s_or_b32 exec_lo, exec_lo, s0
                                        ; implicit-def: $vgpr5
	s_and_saveexec_b32 s0, s2
	s_cbranch_execnz .LBB1352_84
.LBB1352_40:
	s_or_b32 exec_lo, exec_lo, s0
                                        ; implicit-def: $vgpr6
	s_and_saveexec_b32 s0, s3
	s_cbranch_execnz .LBB1352_85
.LBB1352_41:
	s_or_b32 exec_lo, exec_lo, s0
                                        ; implicit-def: $vgpr7
	s_and_saveexec_b32 s0, s4
	s_cbranch_execnz .LBB1352_86
.LBB1352_42:
	s_or_b32 exec_lo, exec_lo, s0
                                        ; implicit-def: $vgpr8
	s_and_saveexec_b32 s0, s5
	s_cbranch_execnz .LBB1352_87
.LBB1352_43:
	s_or_b32 exec_lo, exec_lo, s0
                                        ; implicit-def: $vgpr9
	s_and_saveexec_b32 s0, s6
	s_cbranch_execnz .LBB1352_88
.LBB1352_44:
	s_or_b32 exec_lo, exec_lo, s0
                                        ; implicit-def: $vgpr10
	s_and_saveexec_b32 s0, s7
	s_cbranch_execnz .LBB1352_89
.LBB1352_45:
	s_or_b32 exec_lo, exec_lo, s0
                                        ; implicit-def: $vgpr11
	s_and_saveexec_b32 s0, s8
	s_cbranch_execnz .LBB1352_90
.LBB1352_46:
	s_or_b32 exec_lo, exec_lo, s0
                                        ; implicit-def: $vgpr12
	s_and_saveexec_b32 s0, s9
	s_cbranch_execnz .LBB1352_91
.LBB1352_47:
	s_or_b32 exec_lo, exec_lo, s0
                                        ; implicit-def: $vgpr13
	s_and_saveexec_b32 s0, s10
	s_cbranch_execnz .LBB1352_92
.LBB1352_48:
	s_or_b32 exec_lo, exec_lo, s0
                                        ; implicit-def: $vgpr27
	s_and_saveexec_b32 s0, s11
	s_cbranch_execnz .LBB1352_93
.LBB1352_49:
	s_or_b32 exec_lo, exec_lo, s0
                                        ; implicit-def: $vgpr29
	s_and_saveexec_b32 s0, s12
	s_cbranch_execnz .LBB1352_94
.LBB1352_50:
	s_or_b32 exec_lo, exec_lo, s0
                                        ; implicit-def: $vgpr32
	s_and_saveexec_b32 s0, s13
	s_cbranch_execz .LBB1352_52
.LBB1352_51:
	flat_load_u16 v32, v0, s[14:15] offset:6656 scale_offset
.LBB1352_52:
	s_wait_xcnt 0x0
	s_or_b32 exec_lo, exec_lo, s0
	v_lshlrev_b32_e32 v2, 1, v0
	v_mul_u32_u24_e32 v34, 14, v0
	s_mov_b32 s0, 0
	s_mov_b32 s1, 0
	s_mov_b32 s2, exec_lo
	v_dual_sub_nc_u32 v28, v1, v2 :: v_dual_mov_b32 v2, 0
                                        ; implicit-def: $sgpr3
                                        ; implicit-def: $vgpr33
	s_wait_loadcnt_dscnt 0x0
	ds_store_b16 v28, v3
	ds_store_b16 v28, v4 offset:512
	ds_store_b16 v28, v5 offset:1024
	;; [unrolled: 1-line block ×7, first 2 shown]
	v_dual_mov_b32 v3, v2 :: v_dual_mov_b32 v4, v2
	v_mov_b32_e32 v5, v2
	ds_store_b16 v28, v11 offset:4096
	ds_store_b16 v28, v12 offset:4608
	;; [unrolled: 1-line block ×6, first 2 shown]
	v_dual_mov_b32 v27, v2 :: v_dual_mov_b32 v1, v2
	s_wait_dscnt 0x0
	v_mov_b64_e32 v[8:9], v[4:5]
	v_mov_b64_e32 v[12:13], v[4:5]
	;; [unrolled: 1-line block ×4, first 2 shown]
	s_barrier_signal -1
	s_barrier_wait -1
	v_cmpx_gt_u32_e64 s42, v34
	s_cbranch_execz .LBB1352_78
; %bb.53:
	v_mad_u32_u24 v1, v0, 26, v28
	v_dual_mov_b32 v4, 0 :: v_dual_bitop2_b32 v6, 1, v34 bitop3:0x54
	v_cmp_eq_u32_e32 vcc_lo, v26, v22
	s_mov_b32 s4, 0
	ds_load_u16 v1, v1
	v_dual_mov_b32 v5, v4 :: v_dual_mov_b32 v2, v4
	v_mov_b32_e32 v3, v4
	v_cndmask_b32_e64 v32, 0x10000, 0, vcc_lo
	v_cmp_gt_u32_e32 vcc_lo, s42, v6
	s_delay_alu instid0(VALU_DEP_4)
	v_mov_b64_e32 v[8:9], v[4:5]
	v_mov_b64_e32 v[12:13], v[4:5]
	;; [unrolled: 1-line block ×4, first 2 shown]
                                        ; implicit-def: $sgpr3
                                        ; implicit-def: $vgpr33
	s_and_saveexec_b32 s1, vcc_lo
	s_cbranch_execz .LBB1352_77
; %bb.54:
	v_mul_u32_u24_e32 v2, 26, v0
	v_cmp_eq_u32_e32 vcc_lo, v22, v23
	v_dual_add_nc_u32 v10, 2, v34 :: v_dual_mov_b32 v6, v4
	v_dual_mov_b32 v7, v4 :: v_dual_mov_b32 v8, v4
	s_delay_alu instid0(VALU_DEP_4)
	v_add_nc_u32_e32 v35, v28, v2
	v_dual_mov_b32 v9, v4 :: v_dual_mov_b32 v3, v4
	v_cndmask_b32_e64 v2, 0x10000, 0, vcc_lo
	v_cmp_gt_u32_e32 vcc_lo, s42, v10
	ds_load_b128 v[26:29], v35 offset:2
	v_mov_b64_e32 v[12:13], v[8:9]
	v_mov_b64_e32 v[10:11], v[6:7]
	v_mov_b32_e32 v5, v4
	s_mov_b32 s5, 0
                                        ; implicit-def: $sgpr3
                                        ; implicit-def: $vgpr33
	s_wait_dscnt 0x0
	v_and_or_b32 v2, 0xffff, v26, v2
	s_and_saveexec_b32 s4, vcc_lo
	s_cbranch_execz .LBB1352_76
; %bb.55:
	v_dual_mov_b32 v6, 0 :: v_dual_lshrrev_b32 v3, 16, v26
	v_cmp_eq_u32_e32 vcc_lo, v23, v24
	v_add_nc_u32_e32 v10, 3, v34
	s_mov_b32 s6, 0
	s_delay_alu instid0(VALU_DEP_3) | instskip(SKIP_3) | instid1(VALU_DEP_4)
	v_dual_mov_b32 v8, v6 :: v_dual_mov_b32 v9, v6
	v_mov_b32_e32 v7, v6
	v_cndmask_b32_e64 v5, 0x10000, 0, vcc_lo
	v_cmp_gt_u32_e32 vcc_lo, s42, v10
                                        ; implicit-def: $sgpr3
                                        ; implicit-def: $vgpr33
	v_mov_b64_e32 v[12:13], v[8:9]
	s_delay_alu instid0(VALU_DEP_4) | instskip(NEXT) | instid1(VALU_DEP_4)
	v_mov_b64_e32 v[10:11], v[6:7]
	v_dual_mov_b32 v5, v4 :: v_dual_bitop2_b32 v3, v5, v3 bitop3:0x54
	s_and_saveexec_b32 s5, vcc_lo
	s_cbranch_execz .LBB1352_75
; %bb.56:
	v_cmp_eq_u32_e32 vcc_lo, v24, v25
	v_dual_mov_b32 v8, v6 :: v_dual_mov_b32 v9, v6
	v_dual_add_nc_u32 v5, 4, v34 :: v_dual_mov_b32 v7, v6
	v_cndmask_b32_e64 v4, 0x10000, 0, vcc_lo
	s_mov_b32 s7, 0
	s_delay_alu instid0(VALU_DEP_3) | instskip(NEXT) | instid1(VALU_DEP_3)
	v_mov_b64_e32 v[12:13], v[8:9]
	v_cmp_gt_u32_e32 vcc_lo, s42, v5
	v_mov_b64_e32 v[10:11], v[6:7]
	v_and_or_b32 v4, 0xffff, v27, v4
	v_mov_b32_e32 v5, s7
                                        ; implicit-def: $sgpr3
                                        ; implicit-def: $vgpr33
	s_and_saveexec_b32 s6, vcc_lo
	s_cbranch_execz .LBB1352_74
; %bb.57:
	v_dual_mov_b32 v8, 0 :: v_dual_lshrrev_b32 v5, 16, v27
	v_cmp_eq_u32_e32 vcc_lo, v25, v18
	v_add_nc_u32_e32 v11, 5, v34
	s_mov_b32 s8, 0
	s_delay_alu instid0(VALU_DEP_3) | instskip(SKIP_3) | instid1(VALU_DEP_3)
	v_dual_mov_b32 v7, v8 :: v_dual_mov_b32 v9, v8
	v_cndmask_b32_e64 v10, 0x10000, 0, vcc_lo
	v_mov_b32_e32 v6, v8
	v_cmp_gt_u32_e32 vcc_lo, s42, v11
                                        ; implicit-def: $sgpr3
                                        ; implicit-def: $vgpr33
	v_or_b32_e32 v5, v10, v5
	v_mov_b64_e32 v[12:13], v[8:9]
	s_delay_alu instid0(VALU_DEP_4)
	v_mov_b64_e32 v[10:11], v[6:7]
	s_and_saveexec_b32 s7, vcc_lo
	s_cbranch_execz .LBB1352_73
; %bb.58:
	v_cmp_eq_u32_e32 vcc_lo, v18, v19
	v_dual_add_nc_u32 v9, 6, v34 :: v_dual_mov_b32 v7, v8
	v_dual_mov_b32 v11, v8 :: v_dual_mov_b32 v12, v8
	v_cndmask_b32_e64 v6, 0x10000, 0, vcc_lo
	s_delay_alu instid0(VALU_DEP_3) | instskip(SKIP_2) | instid1(VALU_DEP_4)
	v_cmp_gt_u32_e32 vcc_lo, s42, v9
	v_dual_mov_b32 v9, v8 :: v_dual_mov_b32 v10, v8
	v_mov_b32_e32 v13, v8
	v_and_or_b32 v6, 0xffff, v28, v6
	s_mov_b32 s9, 0
                                        ; implicit-def: $sgpr3
                                        ; implicit-def: $vgpr33
	s_and_saveexec_b32 s8, vcc_lo
	s_cbranch_execz .LBB1352_72
; %bb.59:
	v_cmp_eq_u32_e32 vcc_lo, v19, v20
	v_dual_lshrrev_b32 v7, 16, v28 :: v_dual_add_nc_u32 v11, 7, v34
	s_mov_b32 s10, 0
                                        ; implicit-def: $sgpr3
                                        ; implicit-def: $vgpr33
	v_cndmask_b32_e64 v9, 0x10000, 0, vcc_lo
	v_mov_b32_e32 v10, 0
	s_delay_alu instid0(VALU_DEP_3) | instskip(NEXT) | instid1(VALU_DEP_3)
	v_cmp_gt_u32_e32 vcc_lo, s42, v11
	v_dual_mov_b32 v9, v8 :: v_dual_bitop2_b32 v7, v9, v7 bitop3:0x54
	s_delay_alu instid0(VALU_DEP_3)
	v_dual_mov_b32 v11, v10 :: v_dual_mov_b32 v12, v10
	v_mov_b32_e32 v13, v10
	s_and_saveexec_b32 s9, vcc_lo
	s_cbranch_execz .LBB1352_71
; %bb.60:
	v_cmp_eq_u32_e32 vcc_lo, v20, v21
	v_dual_add_nc_u32 v9, 8, v34 :: v_dual_mov_b32 v11, v10
	s_mov_b32 s11, 0
	v_mov_b32_e32 v13, v10
	v_cndmask_b32_e64 v8, 0x10000, 0, vcc_lo
	s_delay_alu instid0(VALU_DEP_3) | instskip(SKIP_1) | instid1(VALU_DEP_3)
	v_cmp_gt_u32_e32 vcc_lo, s42, v9
	v_dual_mov_b32 v9, s11 :: v_dual_mov_b32 v12, v10
                                        ; implicit-def: $sgpr3
                                        ; implicit-def: $vgpr33
	v_and_or_b32 v8, 0xffff, v29, v8
	s_and_saveexec_b32 s10, vcc_lo
	s_cbranch_execz .LBB1352_70
; %bb.61:
	v_cmp_eq_u32_e32 vcc_lo, v21, v14
	v_dual_lshrrev_b32 v9, 16, v29 :: v_dual_add_nc_u32 v11, 9, v34
	s_mov_b32 s12, 0
                                        ; implicit-def: $sgpr3
                                        ; implicit-def: $vgpr33
	v_cndmask_b32_e64 v10, 0x10000, 0, vcc_lo
	v_mov_b32_e32 v12, 0
	s_delay_alu instid0(VALU_DEP_3) | instskip(NEXT) | instid1(VALU_DEP_2)
	v_cmp_gt_u32_e32 vcc_lo, s42, v11
	v_dual_mov_b32 v10, v12 :: v_dual_bitop2_b32 v9, v10, v9 bitop3:0x54
	v_dual_mov_b32 v11, v12 :: v_dual_mov_b32 v13, v12
	s_and_saveexec_b32 s11, vcc_lo
	s_cbranch_execz .LBB1352_69
; %bb.62:
	ds_load_b64 v[18:19], v35 offset:18
	v_cmp_eq_u32_e32 vcc_lo, v14, v15
	v_dual_mov_b32 v11, v12 :: v_dual_add_nc_u32 v10, 10, v34
	s_mov_b32 s13, 0
                                        ; implicit-def: $sgpr3
                                        ; implicit-def: $vgpr33
	v_cndmask_b32_e64 v13, 0x10000, 0, vcc_lo
	s_delay_alu instid0(VALU_DEP_2) | instskip(SKIP_1) | instid1(VALU_DEP_2)
	v_cmp_gt_u32_e32 vcc_lo, s42, v10
	s_wait_dscnt 0x0
	v_and_or_b32 v10, 0xffff, v18, v13
	v_mov_b32_e32 v13, v12
	s_and_saveexec_b32 s12, vcc_lo
	s_cbranch_execz .LBB1352_68
; %bb.63:
	v_cmp_eq_u32_e32 vcc_lo, v15, v16
	v_lshrrev_b32_e32 v11, 16, v18
	s_mov_b32 s40, 0
	s_mov_b32 s13, exec_lo
                                        ; implicit-def: $sgpr3
                                        ; implicit-def: $vgpr33
	v_cndmask_b32_e64 v13, 0x10000, 0, vcc_lo
	s_delay_alu instid0(VALU_DEP_1) | instskip(SKIP_1) | instid1(VALU_DEP_2)
	v_dual_add_nc_u32 v14, 11, v34 :: v_dual_bitop2_b32 v11, v13, v11 bitop3:0x54
	v_mov_b32_e32 v13, v12
	v_cmpx_gt_u32_e64 s42, v14
	s_cbranch_execz .LBB1352_67
; %bb.64:
	v_cmp_eq_u32_e32 vcc_lo, v16, v17
	v_add_nc_u32_e32 v13, 12, v34
                                        ; implicit-def: $sgpr3
                                        ; implicit-def: $vgpr33
	v_cndmask_b32_e64 v12, 0x10000, 0, vcc_lo
	s_delay_alu instid0(VALU_DEP_2) | instskip(SKIP_1) | instid1(VALU_DEP_3)
	v_cmp_gt_u32_e32 vcc_lo, s42, v13
	v_mov_b32_e32 v13, s40
	v_and_or_b32 v12, 0xffff, v19, v12
	s_and_saveexec_b32 s41, vcc_lo
	s_delay_alu instid0(SALU_CYCLE_1)
	s_xor_b32 s41, exec_lo, s41
	s_cbranch_execz .LBB1352_66
; %bb.65:
	ds_load_u16 v33, v35 offset:26
	v_cmp_eq_u32_e32 vcc_lo, v17, v30
	v_dual_lshrrev_b32 v13, 16, v19 :: v_dual_add_nc_u32 v14, 13, v34
	v_cmp_ne_u32_e64 s3, v30, v31
	v_cndmask_b32_e64 v15, 0x10000, 0, vcc_lo
	s_delay_alu instid0(VALU_DEP_3) | instskip(NEXT) | instid1(VALU_DEP_2)
	v_cmp_gt_u32_e32 vcc_lo, s42, v14
	v_or_b32_e32 v13, v15, v13
	s_and_b32 s40, vcc_lo, exec_lo
.LBB1352_66:
	s_or_b32 exec_lo, exec_lo, s41
	s_delay_alu instid0(SALU_CYCLE_1)
	s_and_b32 s40, s40, exec_lo
.LBB1352_67:
	s_or_b32 exec_lo, exec_lo, s13
	s_delay_alu instid0(SALU_CYCLE_1)
	s_and_b32 s13, s40, exec_lo
.LBB1352_68:
	s_or_b32 exec_lo, exec_lo, s12
	s_delay_alu instid0(SALU_CYCLE_1)
	s_and_b32 s12, s13, exec_lo
.LBB1352_69:
	s_or_b32 exec_lo, exec_lo, s11
	s_delay_alu instid0(SALU_CYCLE_1)
	s_and_b32 s11, s12, exec_lo
.LBB1352_70:
	s_or_b32 exec_lo, exec_lo, s10
	s_delay_alu instid0(SALU_CYCLE_1)
	s_and_b32 s10, s11, exec_lo
.LBB1352_71:
	s_or_b32 exec_lo, exec_lo, s9
	s_delay_alu instid0(SALU_CYCLE_1)
	s_and_b32 s9, s10, exec_lo
.LBB1352_72:
	s_or_b32 exec_lo, exec_lo, s8
	s_delay_alu instid0(SALU_CYCLE_1)
	s_and_b32 s8, s9, exec_lo
.LBB1352_73:
	s_or_b32 exec_lo, exec_lo, s7
	s_delay_alu instid0(SALU_CYCLE_1)
	s_and_b32 s7, s8, exec_lo
.LBB1352_74:
	s_or_b32 exec_lo, exec_lo, s6
	s_delay_alu instid0(SALU_CYCLE_1)
	s_and_b32 s6, s7, exec_lo
.LBB1352_75:
	s_or_b32 exec_lo, exec_lo, s5
	s_delay_alu instid0(SALU_CYCLE_1)
	s_and_b32 s5, s6, exec_lo
.LBB1352_76:
	s_or_b32 exec_lo, exec_lo, s4
	s_delay_alu instid0(SALU_CYCLE_1)
	s_and_b32 s4, s5, exec_lo
.LBB1352_77:
	s_or_b32 exec_lo, exec_lo, s1
	s_wait_dscnt 0x0
	v_or_b32_e32 v27, v32, v1
	s_and_b32 s1, s4, exec_lo
	s_delay_alu instid0(VALU_DEP_1)
	v_mov_b32_e32 v1, v27
.LBB1352_78:
	s_or_b32 exec_lo, exec_lo, s2
	s_delay_alu instid0(SALU_CYCLE_1)
	s_and_b32 vcc_lo, exec_lo, s0
	s_cbranch_vccz .LBB1352_100
.LBB1352_79:
	s_clause 0xd
	flat_load_b32 v1, v0, s[20:21] scale_offset
	flat_load_b32 v2, v0, s[20:21] offset:1024 scale_offset
	flat_load_b32 v3, v0, s[20:21] offset:2048 scale_offset
	;; [unrolled: 1-line block ×13, first 2 shown]
	v_dual_lshlrev_b32 v15, 2, v0 :: v_dual_mov_b32 v19, 0
	s_cmp_eq_u64 s[38:39], 0
	s_wait_loadcnt_dscnt 0xc0c
	ds_store_2addr_stride64_b32 v15, v1, v2 offset1:4
	s_wait_loadcnt_dscnt 0xa0b
	ds_store_2addr_stride64_b32 v15, v3, v4 offset0:8 offset1:12
	s_wait_loadcnt_dscnt 0x80a
	ds_store_2addr_stride64_b32 v15, v5, v6 offset0:16 offset1:20
	s_wait_loadcnt_dscnt 0x609
	ds_store_2addr_stride64_b32 v15, v7, v8 offset0:24 offset1:28
	s_wait_loadcnt_dscnt 0x408
	ds_store_2addr_stride64_b32 v15, v9, v10 offset0:32 offset1:36
	s_wait_loadcnt_dscnt 0x207
	ds_store_2addr_stride64_b32 v15, v11, v12 offset0:40 offset1:44
	s_wait_loadcnt_dscnt 0x6
	ds_store_2addr_stride64_b32 v15, v13, v14 offset0:48 offset1:52
	v_mad_u32_u24 v18, v0, 52, v15
	s_wait_dscnt 0x0
	s_barrier_signal -1
	s_barrier_wait -1
	ds_load_2addr_b64 v[10:13], v18 offset1:1
	ds_load_2addr_b64 v[6:9], v18 offset0:2 offset1:3
	ds_load_2addr_b64 v[2:5], v18 offset0:4 offset1:5
	ds_load_2addr_b32 v[16:17], v18 offset0:9 offset1:10
	ds_load_2addr_b32 v[14:15], v18 offset0:11 offset1:12
	ds_load_b32 v1, v18 offset:52
	s_cbranch_scc1 .LBB1352_97
; %bb.80:
	s_and_not1_b32 vcc_lo, exec_lo, s33
	s_cbranch_vccnz .LBB1352_95
; %bb.81:
	s_lshl_b64 s[0:1], s[38:39], 2
	s_delay_alu instid0(SALU_CYCLE_1) | instskip(NEXT) | instid1(SALU_CYCLE_1)
	s_add_nc_u64 s[0:1], s[26:27], s[0:1]
	s_add_nc_u64 s[20:21], s[0:1], -4
	s_mov_b32 s0, 0
	s_branch .LBB1352_96
.LBB1352_82:
	flat_load_u16 v3, v0, s[14:15] scale_offset
	s_wait_xcnt 0x0
	s_or_b32 exec_lo, exec_lo, s40
                                        ; implicit-def: $vgpr4
	s_and_saveexec_b32 s0, s1
	s_cbranch_execz .LBB1352_39
.LBB1352_83:
	flat_load_u16 v4, v0, s[14:15] offset:512 scale_offset
	s_wait_xcnt 0x0
	s_or_b32 exec_lo, exec_lo, s0
                                        ; implicit-def: $vgpr5
	s_and_saveexec_b32 s0, s2
	s_cbranch_execz .LBB1352_40
.LBB1352_84:
	flat_load_u16 v5, v0, s[14:15] offset:1024 scale_offset
	s_wait_xcnt 0x0
	s_or_b32 exec_lo, exec_lo, s0
                                        ; implicit-def: $vgpr6
	s_and_saveexec_b32 s0, s3
	s_cbranch_execz .LBB1352_41
.LBB1352_85:
	flat_load_u16 v6, v0, s[14:15] offset:1536 scale_offset
	s_wait_xcnt 0x0
	s_or_b32 exec_lo, exec_lo, s0
                                        ; implicit-def: $vgpr7
	s_and_saveexec_b32 s0, s4
	s_cbranch_execz .LBB1352_42
.LBB1352_86:
	flat_load_u16 v7, v0, s[14:15] offset:2048 scale_offset
	s_wait_xcnt 0x0
	s_or_b32 exec_lo, exec_lo, s0
                                        ; implicit-def: $vgpr8
	s_and_saveexec_b32 s0, s5
	s_cbranch_execz .LBB1352_43
.LBB1352_87:
	flat_load_u16 v8, v0, s[14:15] offset:2560 scale_offset
	s_wait_xcnt 0x0
	s_or_b32 exec_lo, exec_lo, s0
                                        ; implicit-def: $vgpr9
	s_and_saveexec_b32 s0, s6
	s_cbranch_execz .LBB1352_44
.LBB1352_88:
	flat_load_u16 v9, v0, s[14:15] offset:3072 scale_offset
	s_wait_xcnt 0x0
	s_or_b32 exec_lo, exec_lo, s0
                                        ; implicit-def: $vgpr10
	s_and_saveexec_b32 s0, s7
	s_cbranch_execz .LBB1352_45
.LBB1352_89:
	flat_load_u16 v10, v0, s[14:15] offset:3584 scale_offset
	s_wait_xcnt 0x0
	s_or_b32 exec_lo, exec_lo, s0
                                        ; implicit-def: $vgpr11
	s_and_saveexec_b32 s0, s8
	s_cbranch_execz .LBB1352_46
.LBB1352_90:
	flat_load_u16 v11, v0, s[14:15] offset:4096 scale_offset
	s_wait_xcnt 0x0
	s_or_b32 exec_lo, exec_lo, s0
                                        ; implicit-def: $vgpr12
	s_and_saveexec_b32 s0, s9
	s_cbranch_execz .LBB1352_47
.LBB1352_91:
	flat_load_u16 v12, v0, s[14:15] offset:4608 scale_offset
	s_wait_xcnt 0x0
	s_or_b32 exec_lo, exec_lo, s0
                                        ; implicit-def: $vgpr13
	s_and_saveexec_b32 s0, s10
	s_cbranch_execz .LBB1352_48
.LBB1352_92:
	flat_load_u16 v13, v0, s[14:15] offset:5120 scale_offset
	s_wait_xcnt 0x0
	s_or_b32 exec_lo, exec_lo, s0
                                        ; implicit-def: $vgpr27
	s_and_saveexec_b32 s0, s11
	s_cbranch_execz .LBB1352_49
.LBB1352_93:
	flat_load_u16 v27, v0, s[14:15] offset:5632 scale_offset
	s_wait_xcnt 0x0
	s_or_b32 exec_lo, exec_lo, s0
                                        ; implicit-def: $vgpr29
	s_and_saveexec_b32 s0, s12
	s_cbranch_execz .LBB1352_50
.LBB1352_94:
	flat_load_u16 v29, v0, s[14:15] offset:6144 scale_offset
	s_wait_xcnt 0x0
	s_or_b32 exec_lo, exec_lo, s0
                                        ; implicit-def: $vgpr32
	s_and_saveexec_b32 s0, s13
	s_cbranch_execnz .LBB1352_51
	s_branch .LBB1352_52
.LBB1352_95:
	s_add_nc_u64 s[20:21], s[20:21], -4
	s_mov_b32 s0, -1
.LBB1352_96:
	s_delay_alu instid0(SALU_CYCLE_1)
	s_and_not1_b32 vcc_lo, exec_lo, s0
.LBB1352_97:
	flat_load_b32 v19, v19, s[20:21]
	v_mad_i32_i24 v18, 0xffffffcc, v0, v18
	s_mov_b32 s0, exec_lo
	s_wait_dscnt 0x1
	ds_store_b32 v18, v1 offset:14336
	s_wait_loadcnt_dscnt 0x0
	s_barrier_signal -1
	s_barrier_wait -1
	v_cmpx_ne_u32_e32 0, v0
; %bb.98:
	ds_load_b32 v19, v18 offset:14332
; %bb.99:
	s_or_b32 exec_lo, exec_lo, s0
	s_wait_dscnt 0x0
	s_barrier_signal -1
	s_barrier_wait -1
	s_clause 0xd
	flat_load_u16 v20, v0, s[14:15] scale_offset
	flat_load_u16 v21, v0, s[14:15] offset:512 scale_offset
	flat_load_u16 v22, v0, s[14:15] offset:1024 scale_offset
	;; [unrolled: 1-line block ×13, first 2 shown]
	v_cmp_eq_u32_e32 vcc_lo, v19, v10
	v_cmp_ne_u32_e64 s3, v15, v1
	v_lshlrev_b32_e32 v1, 1, v0
	s_mov_b32 s1, -1
	v_cndmask_b32_e64 v34, 0x10000, 0, vcc_lo
	v_cmp_ne_u32_e32 vcc_lo, v11, v12
	s_delay_alu instid0(VALU_DEP_3)
	v_sub_nc_u32_e32 v1, v18, v1
	s_wait_loadcnt_dscnt 0xd0d
	ds_store_b16 v1, v20
	s_wait_loadcnt_dscnt 0xc0d
	ds_store_b16 v1, v21 offset:512
	s_wait_loadcnt_dscnt 0xb0d
	ds_store_b16 v1, v22 offset:1024
	;; [unrolled: 2-line block ×13, first 2 shown]
	v_cndmask_b32_e64 v35, 0, 0x10000, vcc_lo
	v_cmp_ne_u32_e32 vcc_lo, v13, v6
	v_mad_u32_u24 v39, v0, 26, v1
	s_wait_dscnt 0x0
	s_barrier_signal -1
	s_barrier_wait -1
	v_cndmask_b32_e64 v36, 0, 0x10000, vcc_lo
	v_cmp_ne_u32_e32 vcc_lo, v10, v11
	v_cndmask_b32_e64 v37, 0, 0x10000, vcc_lo
	v_cmp_ne_u32_e32 vcc_lo, v12, v13
	ds_load_u16 v1, v39
	ds_load_b128 v[10:13], v39 offset:2
	ds_load_b64 v[18:19], v39 offset:18
	ds_load_u16 v33, v39 offset:26
	v_cndmask_b32_e64 v38, 0, 0x10000, vcc_lo
	v_cmp_ne_u32_e32 vcc_lo, v7, v8
	v_cndmask_b32_e64 v20, 0, 0x10000, vcc_lo
	v_cmp_ne_u32_e32 vcc_lo, v9, v2
	;; [unrolled: 2-line block ×3, first 2 shown]
	s_wait_dscnt 0x2
	v_dual_lshrrev_b32 v1, 16, v10 :: v_dual_bitop2_b32 v27, v34, v1 bitop3:0x54
	v_cndmask_b32_e64 v6, 0, 0x10000, vcc_lo
	v_cmp_ne_u32_e32 vcc_lo, v8, v9
	v_lshrrev_b32_e32 v9, 16, v11
	s_delay_alu instid0(VALU_DEP_3) | instskip(SKIP_2) | instid1(VALU_DEP_2)
	v_and_or_b32 v6, 0xffff, v12, v6
	v_cndmask_b32_e64 v7, 0, 0x10000, vcc_lo
	v_cmp_ne_u32_e32 vcc_lo, v3, v17
	v_and_or_b32 v8, 0xffff, v13, v7
	v_cndmask_b32_e64 v17, 0, 0x10000, vcc_lo
	v_cmp_ne_u32_e32 vcc_lo, v5, v15
	v_cndmask_b32_e64 v15, 0, 0x10000, vcc_lo
	v_cmp_ne_u32_e32 vcc_lo, v2, v16
	s_wait_dscnt 0x1
	v_lshrrev_b32_e32 v16, 16, v18
	v_and_or_b32 v2, 0xffff, v10, v37
	v_cndmask_b32_e64 v3, 0, 0x10000, vcc_lo
	v_cmp_ne_u32_e32 vcc_lo, v4, v14
	v_and_or_b32 v4, 0xffff, v11, v38
	v_dual_lshrrev_b32 v11, 16, v12 :: v_dual_lshrrev_b32 v14, 16, v13
	v_lshrrev_b32_e32 v13, 16, v19
	v_cndmask_b32_e64 v5, 0, 0x10000, vcc_lo
	v_and_or_b32 v10, 0xffff, v18, v3
	v_or_b32_e32 v3, v35, v1
	v_or_b32_e32 v7, v20, v11
	;; [unrolled: 1-line block ×3, first 2 shown]
	v_and_or_b32 v12, 0xffff, v19, v5
	v_or_b32_e32 v5, v36, v9
	v_dual_mov_b32 v1, v27 :: v_dual_bitop2_b32 v9, v21, v14 bitop3:0x54
	v_or_b32_e32 v13, v15, v13
.LBB1352_100:
	v_mov_b32_e32 v22, 0
	s_and_saveexec_b32 s0, s1
	s_cbranch_execz .LBB1352_102
; %bb.101:
	s_wait_dscnt 0x0
	v_and_b32_e32 v1, 0xffff, v33
	v_cndmask_b32_e64 v14, 0, 0x10000, s3
	s_delay_alu instid0(VALU_DEP_1)
	v_dual_mov_b32 v1, v27 :: v_dual_bitop2_b32 v22, v14, v1 bitop3:0x54
.LBB1352_102:
	s_or_b32 exec_lo, exec_lo, s0
	v_cmp_gt_u32_e64 s12, 0x10000, v2
	v_cmp_gt_u32_e64 s11, 0x10000, v3
	;; [unrolled: 1-line block ×13, first 2 shown]
	v_lshrrev_b32_e32 v28, 3, v0
	s_cmp_lg_u32 s24, 0
	s_wait_dscnt 0x0
	v_cmp_gt_u32_e32 vcc_lo, 32, v0
	s_barrier_signal -1
	s_barrier_wait -1
	s_cbranch_scc0 .LBB1352_152
; %bb.103:
	v_dual_cndmask_b32 v14, 0, v1, s12 :: v_dual_bitop2_b32 v17, 28, v28 bitop3:0x40
	v_or3_b32 v16, v12, v13, v11
	v_or_b32_e32 v15, v8, v9
	v_lshrrev_b32_e32 v23, 16, v1
	s_delay_alu instid0(VALU_DEP_4) | instskip(NEXT) | instid1(VALU_DEP_4)
	v_add_nc_u16 v14, v14, v2
	v_or3_b32 v16, v16, v10, v22
	s_delay_alu instid0(VALU_DEP_4) | instskip(NEXT) | instid1(VALU_DEP_3)
	v_or3_b32 v15, v15, v7, v6
	v_cndmask_b32_e64 v14, 0, v14, s11
	s_delay_alu instid0(VALU_DEP_2) | instskip(NEXT) | instid1(VALU_DEP_2)
	v_or3_b32 v15, v15, v5, v4
	v_add_nc_u16 v14, v14, v3
	s_delay_alu instid0(VALU_DEP_2) | instskip(NEXT) | instid1(VALU_DEP_2)
	v_or3_b32 v15, v15, v3, v2
	v_cndmask_b32_e64 v14, 0, v14, s10
	s_delay_alu instid0(VALU_DEP_2) | instskip(SKIP_1) | instid1(VALU_DEP_3)
	v_bitop3_b32 v15, v16, 0xff0000, v15 bitop3:0xc8
	v_lshl_add_u32 v16, v0, 2, v17
	v_add_nc_u16 v14, v14, v4
	s_delay_alu instid0(VALU_DEP_3) | instskip(NEXT) | instid1(VALU_DEP_1)
	v_cmp_eq_u32_e64 s13, 0, v15
	v_dual_cndmask_b32 v14, 0, v14, s9 :: v_dual_cndmask_b32 v25, 1, v23, s13
	s_delay_alu instid0(VALU_DEP_1) | instskip(NEXT) | instid1(VALU_DEP_1)
	v_add_nc_u16 v14, v14, v5
	v_cndmask_b32_e64 v14, 0, v14, s8
	s_delay_alu instid0(VALU_DEP_1) | instskip(NEXT) | instid1(VALU_DEP_1)
	v_add_nc_u16 v14, v14, v6
	v_cndmask_b32_e64 v14, 0, v14, s7
	;; [unrolled: 3-line block ×9, first 2 shown]
	s_delay_alu instid0(VALU_DEP_1)
	v_add_nc_u16 v24, v14, v22
	ds_store_b16 v16, v24
	ds_store_b8 v16, v25 offset:2
	s_wait_dscnt 0x0
	s_barrier_signal -1
	s_barrier_wait -1
	s_and_saveexec_b32 s14, vcc_lo
	s_cbranch_execz .LBB1352_115
; %bb.104:
	v_and_b32_e32 v14, 0xfc, v0
	v_lshlrev_b32_e32 v15, 5, v0
	s_mov_b32 s15, exec_lo
	s_delay_alu instid0(VALU_DEP_1)
	v_add_nc_u32_e32 v14, v14, v15
	ds_load_u8 v16, v14 offset:6
	ds_load_b32 v15, v14
	ds_load_u16 v17, v14 offset:4
	ds_load_u8 v18, v14 offset:10
	ds_load_u16 v19, v14 offset:8
	ds_load_u16 v20, v14 offset:12
	ds_load_u8 v21, v14 offset:14
	ds_load_u16 v26, v14 offset:16
	s_wait_dscnt 0x7
	v_cmp_eq_u16_e64 s13, 0, v16
	s_wait_dscnt 0x4
	s_delay_alu instid0(VALU_DEP_1) | instskip(SKIP_1) | instid1(VALU_DEP_2)
	v_dual_cndmask_b32 v27, 0, v15, s13 :: v_dual_bitop2_b32 v16, v18, v16 bitop3:0x54
	v_cmp_eq_u16_e64 s13, 0, v18
	v_add_nc_u16 v17, v27, v17
	ds_load_u8 v27, v14 offset:18
	v_cndmask_b32_e64 v17, 0, v17, s13
	s_wait_dscnt 0x2
	v_cmp_eq_u16_e64 s13, 0, v21
	s_delay_alu instid0(VALU_DEP_2) | instskip(SKIP_2) | instid1(VALU_DEP_1)
	v_add_nc_u16 v17, v17, v19
	ds_load_u8 v19, v14 offset:22
	v_cndmask_b32_e64 v17, 0, v17, s13
	v_add_nc_u16 v17, v17, v20
	ds_load_u16 v20, v14 offset:20
	ds_load_u16 v29, v14 offset:24
	ds_load_u8 v30, v14 offset:26
	ds_load_u16 v31, v14 offset:28
	ds_load_u8 v32, v14 offset:30
	s_wait_dscnt 0x6
	v_cmp_eq_u16_e64 s13, 0, v27
	v_bitop3_b16 v18, v16, v27, v21 bitop3:0xfe
	v_and_b32_e32 v16, 0x10000, v15
	s_delay_alu instid0(VALU_DEP_3)
	v_cndmask_b32_e64 v17, 0, v17, s13
	s_wait_dscnt 0x5
	v_cmp_eq_u16_e64 s13, 0, v19
	s_wait_dscnt 0x2
	v_bitop3_b16 v18, v18, v30, v19 bitop3:0xfe
	s_wait_dscnt 0x0
	v_and_b32_e32 v19, 1, v32
	v_add_nc_u16 v17, v17, v26
	s_delay_alu instid0(VALU_DEP_1) | instskip(SKIP_1) | instid1(VALU_DEP_2)
	v_cndmask_b32_e64 v17, 0, v17, s13
	v_cmp_eq_u16_e64 s13, 0, v30
	v_add_nc_u16 v17, v17, v20
	s_delay_alu instid0(VALU_DEP_1) | instskip(SKIP_1) | instid1(VALU_DEP_2)
	v_cndmask_b32_e64 v17, 0, v17, s13
	v_cmp_eq_u16_e64 s13, 0, v32
	;; [unrolled: 4-line block ×3, first 2 shown]
	v_add_nc_u16 v18, v17, v31
	s_delay_alu instid0(VALU_DEP_2) | instskip(SKIP_4) | instid1(VALU_DEP_4)
	v_cndmask_b32_e64 v20, 0x10000, v16, s13
	v_cmp_eq_u32_e64 s13, 1, v19
	v_and_b32_e32 v17, 0xff000000, v15
	v_mbcnt_lo_u32_b32 v19, -1, 0
	v_and_b32_e32 v21, 0xffff, v18
	v_cndmask_b32_e64 v20, v20, 0x10000, s13
	s_delay_alu instid0(VALU_DEP_1) | instskip(NEXT) | instid1(VALU_DEP_3)
	v_or_b32_e32 v26, v20, v17
	v_or3_b32 v27, v17, v21, v20
	s_delay_alu instid0(VALU_DEP_2) | instskip(NEXT) | instid1(VALU_DEP_2)
	v_dual_lshrrev_b32 v21, 16, v26 :: v_dual_bitop2_b32 v20, 15, v19 bitop3:0x40
	v_mov_b32_dpp v29, v27 row_shr:1 row_mask:0xf bank_mask:0xf
	s_delay_alu instid0(VALU_DEP_2)
	v_cmpx_ne_u32_e32 0, v20
	s_cbranch_execz .LBB1352_106
; %bb.105:
	s_delay_alu instid0(VALU_DEP_2) | instskip(SKIP_1) | instid1(VALU_DEP_2)
	v_dual_lshrrev_b32 v21, 16, v26 :: v_dual_lshrrev_b32 v27, 16, v29
	v_and_b32_e32 v26, 0x10000, v26
	v_and_b32_e32 v21, 0xff, v21
	s_delay_alu instid0(VALU_DEP_1) | instskip(NEXT) | instid1(VALU_DEP_1)
	v_cmp_eq_u16_e64 s13, 0, v21
	v_dual_cndmask_b32 v29, 0, v29, s13 :: v_dual_bitop2_b32 v27, 1, v27 bitop3:0x40
	s_delay_alu instid0(VALU_DEP_4) | instskip(NEXT) | instid1(VALU_DEP_2)
	v_cmp_ne_u32_e64 s13, 0, v26
	v_add_nc_u16 v18, v29, v18
	s_delay_alu instid0(VALU_DEP_2) | instskip(NEXT) | instid1(VALU_DEP_2)
	v_cndmask_b32_e64 v21, v27, 1, s13
	v_and_b32_e32 v27, 0xffff, v18
	s_delay_alu instid0(VALU_DEP_2) | instskip(NEXT) | instid1(VALU_DEP_1)
	v_lshlrev_b32_e32 v26, 16, v21
	v_or3_b32 v27, v26, v27, v17
.LBB1352_106:
	s_or_b32 exec_lo, exec_lo, s15
	s_delay_alu instid0(VALU_DEP_1)
	v_lshrrev_b32_e32 v26, 16, v27
	v_mov_b32_dpp v29, v27 row_shr:2 row_mask:0xf bank_mask:0xf
	s_mov_b32 s15, exec_lo
	v_cmpx_lt_u32_e32 1, v20
	s_cbranch_execz .LBB1352_108
; %bb.107:
	v_and_b32_e32 v26, 0xff, v26
	v_and_b32_e32 v27, 0x10000, v27
	s_delay_alu instid0(VALU_DEP_2) | instskip(NEXT) | instid1(VALU_DEP_1)
	v_cmp_eq_u16_e64 s13, 0, v26
	v_dual_lshrrev_b32 v21, 16, v29 :: v_dual_cndmask_b32 v26, 0, v29, s13
	s_delay_alu instid0(VALU_DEP_1) | instskip(NEXT) | instid1(VALU_DEP_4)
	v_and_b32_e32 v21, 1, v21
	v_cmp_ne_u32_e64 s13, 0, v27
	s_delay_alu instid0(VALU_DEP_3) | instskip(NEXT) | instid1(VALU_DEP_2)
	v_add_nc_u16 v18, v26, v18
	v_cndmask_b32_e64 v21, v21, 1, s13
	s_delay_alu instid0(VALU_DEP_2) | instskip(NEXT) | instid1(VALU_DEP_2)
	v_and_b32_e32 v27, 0xffff, v18
	v_lshlrev_b32_e32 v26, 16, v21
	s_delay_alu instid0(VALU_DEP_1)
	v_or3_b32 v27, v26, v27, v17
	v_mov_b32_e32 v26, v21
.LBB1352_108:
	s_or_b32 exec_lo, exec_lo, s15
	s_delay_alu instid0(VALU_DEP_2)
	v_mov_b32_dpp v29, v27 row_shr:4 row_mask:0xf bank_mask:0xf
	s_mov_b32 s15, exec_lo
	v_cmpx_lt_u32_e32 3, v20
	s_cbranch_execz .LBB1352_110
; %bb.109:
	v_and_b32_e32 v27, 0xff, v26
	v_dual_lshrrev_b32 v21, 16, v29 :: v_dual_bitop2_b32 v26, 1, v26 bitop3:0x40
	s_delay_alu instid0(VALU_DEP_2) | instskip(NEXT) | instid1(VALU_DEP_2)
	v_cmp_eq_u16_e64 s13, 0, v27
	v_and_b32_e32 v21, 1, v21
	s_delay_alu instid0(VALU_DEP_2) | instskip(NEXT) | instid1(VALU_DEP_4)
	v_cndmask_b32_e64 v27, 0, v29, s13
	v_cmp_eq_u32_e64 s13, 1, v26
	s_delay_alu instid0(VALU_DEP_2) | instskip(NEXT) | instid1(VALU_DEP_2)
	v_add_nc_u16 v18, v27, v18
	v_cndmask_b32_e64 v21, v21, 1, s13
	s_delay_alu instid0(VALU_DEP_2) | instskip(NEXT) | instid1(VALU_DEP_2)
	v_and_b32_e32 v27, 0xffff, v18
	v_lshlrev_b32_e32 v26, 16, v21
	s_delay_alu instid0(VALU_DEP_1)
	v_or3_b32 v27, v26, v27, v17
	v_mov_b32_e32 v26, v21
.LBB1352_110:
	s_or_b32 exec_lo, exec_lo, s15
	s_delay_alu instid0(VALU_DEP_2)
	v_mov_b32_dpp v29, v27 row_shr:8 row_mask:0xf bank_mask:0xf
	s_mov_b32 s15, exec_lo
	v_cmpx_lt_u32_e32 7, v20
	s_cbranch_execz .LBB1352_112
; %bb.111:
	v_and_b32_e32 v21, 0xff, v26
	v_dual_lshrrev_b32 v20, 16, v29 :: v_dual_bitop2_b32 v26, 1, v26 bitop3:0x40
	s_delay_alu instid0(VALU_DEP_2) | instskip(NEXT) | instid1(VALU_DEP_1)
	v_cmp_eq_u16_e64 s13, 0, v21
	v_dual_cndmask_b32 v27, 0, v29, s13 :: v_dual_bitop2_b32 v20, 1, v20 bitop3:0x40
	s_delay_alu instid0(VALU_DEP_3) | instskip(NEXT) | instid1(VALU_DEP_2)
	v_cmp_eq_u32_e64 s13, 1, v26
	v_add_nc_u16 v18, v27, v18
	s_delay_alu instid0(VALU_DEP_2) | instskip(NEXT) | instid1(VALU_DEP_2)
	v_cndmask_b32_e64 v21, v20, 1, s13
	v_and_b32_e32 v26, 0xffff, v18
	s_delay_alu instid0(VALU_DEP_2) | instskip(NEXT) | instid1(VALU_DEP_1)
	v_lshlrev_b32_e32 v20, 16, v21
	v_or3_b32 v27, v20, v26, v17
	v_mov_b32_e32 v26, v21
.LBB1352_112:
	s_or_b32 exec_lo, exec_lo, s15
	ds_swizzle_b32 v20, v27 offset:swizzle(BROADCAST,32,15)
	v_and_b32_e32 v27, 16, v19
	s_mov_b32 s15, exec_lo
	s_delay_alu instid0(VALU_DEP_1)
	v_cmpx_ne_u32_e32 0, v27
	s_cbranch_execz .LBB1352_114
; %bb.113:
	v_and_b32_e32 v21, 0xff, v26
	s_delay_alu instid0(VALU_DEP_1) | instskip(SKIP_2) | instid1(VALU_DEP_1)
	v_cmp_eq_u16_e64 s13, 0, v21
	s_wait_dscnt 0x0
	v_dual_lshrrev_b32 v27, 16, v20 :: v_dual_bitop2_b32 v21, 1, v26 bitop3:0x40
	v_dual_cndmask_b32 v20, 0, v20, s13 :: v_dual_bitop2_b32 v26, 1, v27 bitop3:0x40
	s_delay_alu instid0(VALU_DEP_2) | instskip(NEXT) | instid1(VALU_DEP_2)
	v_cmp_eq_u32_e64 s13, 1, v21
	v_add_nc_u16 v18, v20, v18
	s_delay_alu instid0(VALU_DEP_2)
	v_cndmask_b32_e64 v21, v26, 1, s13
.LBB1352_114:
	s_or_b32 exec_lo, exec_lo, s15
	s_wait_dscnt 0x0
	s_delay_alu instid0(VALU_DEP_1) | instskip(SKIP_2) | instid1(VALU_DEP_3)
	v_and_b32_e32 v20, 0xff, v21
	v_add_nc_u32_e32 v21, -1, v19
	v_and_b32_e32 v18, 0xffff, v18
	; wave barrier
	v_lshlrev_b32_e32 v20, 16, v20
	s_delay_alu instid0(VALU_DEP_3) | instskip(NEXT) | instid1(VALU_DEP_2)
	v_cmp_gt_i32_e64 s13, 0, v21
	v_or3_b32 v17, v20, v18, v17
	s_delay_alu instid0(VALU_DEP_2) | instskip(NEXT) | instid1(VALU_DEP_1)
	v_cndmask_b32_e64 v19, v21, v19, s13
	v_lshlrev_b32_e32 v18, 2, v19
	ds_bpermute_b32 v17, v18, v17
	v_and_b32_e32 v18, 0xff0000, v15
	s_delay_alu instid0(VALU_DEP_1) | instskip(SKIP_1) | instid1(VALU_DEP_1)
	v_cmp_eq_u32_e64 s13, 0, v18
	s_wait_dscnt 0x0
	v_dual_lshrrev_b32 v19, 16, v17 :: v_dual_cndmask_b32 v17, 0, v17, s13
	v_cmp_eq_u32_e64 s13, 0, v16
	s_delay_alu instid0(VALU_DEP_2) | instskip(NEXT) | instid1(VALU_DEP_3)
	v_add_nc_u16 v15, v17, v15
	v_and_b32_e32 v18, 1, v19
	s_delay_alu instid0(VALU_DEP_1) | instskip(SKIP_1) | instid1(VALU_DEP_1)
	v_cndmask_b32_e64 v16, 1, v18, s13
	v_cmp_eq_u32_e64 s13, 0, v0
	v_dual_cndmask_b32 v15, v15, v24, s13 :: v_dual_cndmask_b32 v16, v16, v25, s13
	ds_store_b16 v14, v15
	ds_store_b8 v14, v16 offset:2
	; wave barrier
	ds_load_u8 v17, v14 offset:6
	ds_load_u16 v18, v14 offset:4
	ds_load_u8 v19, v14 offset:10
	ds_load_u16 v20, v14 offset:8
	ds_load_u16 v21, v14 offset:12
	ds_load_u8 v26, v14 offset:14
	ds_load_u16 v27, v14 offset:16
	ds_load_u8 v29, v14 offset:18
	s_wait_dscnt 0x7
	v_cmp_eq_u16_e64 s13, 0, v17
	s_delay_alu instid0(VALU_DEP_1) | instskip(SKIP_2) | instid1(VALU_DEP_2)
	v_cndmask_b32_e64 v15, 0, v15, s13
	s_wait_dscnt 0x5
	v_cmp_eq_u16_e64 s13, 0, v19
	v_add_nc_u16 v15, v15, v18
	s_delay_alu instid0(VALU_DEP_1) | instskip(SKIP_2) | instid1(VALU_DEP_2)
	v_cndmask_b32_e64 v18, 0, v15, s13
	s_wait_dscnt 0x2
	v_cmp_eq_u16_e64 s13, 0, v26
	v_add_nc_u16 v18, v18, v20
	v_and_b32_e32 v17, 1, v17
	ds_load_u8 v20, v14 offset:22
	ds_load_u16 v31, v14 offset:20
	ds_load_u8 v32, v14 offset:26
	ds_load_u8 v33, v14 offset:30
	v_cndmask_b32_e64 v30, 0, v18, s13
	v_cmp_eq_u32_e64 s13, 1, v17
	v_and_b32_e32 v17, 1, v26
	s_delay_alu instid0(VALU_DEP_3) | instskip(NEXT) | instid1(VALU_DEP_3)
	v_add_nc_u16 v21, v30, v21
	v_cndmask_b32_e64 v16, v16, 1, s13
	s_wait_dscnt 0x4
	v_cmp_eq_u16_e64 s13, 0, v29
	v_and_b32_e32 v19, 1, v19
	ds_load_u16 v30, v14 offset:24
	ds_load_u16 v34, v14 offset:28
	v_cndmask_b32_e64 v26, 0, v21, s13
	v_cmp_eq_u32_e64 s13, 1, v19
	s_delay_alu instid0(VALU_DEP_2) | instskip(NEXT) | instid1(VALU_DEP_2)
	v_add_nc_u16 v26, v26, v27
	v_cndmask_b32_e64 v19, v16, 1, s13
	v_cmp_eq_u32_e64 s13, 1, v17
	v_and_b32_e32 v27, 1, v29
	s_wait_dscnt 0x2
	v_and_b32_e32 v35, 1, v33
	s_delay_alu instid0(VALU_DEP_3) | instskip(SKIP_1) | instid1(VALU_DEP_1)
	v_cndmask_b32_e64 v17, v19, 1, s13
	v_cmp_eq_u16_e64 s13, 0, v20
	v_dual_cndmask_b32 v29, 0, v26, s13 :: v_dual_bitop2_b32 v20, 1, v20 bitop3:0x40
	v_cmp_eq_u32_e64 s13, 1, v27
	s_delay_alu instid0(VALU_DEP_2) | instskip(NEXT) | instid1(VALU_DEP_2)
	v_add_nc_u16 v29, v29, v31
	v_cndmask_b32_e64 v27, v17, 1, s13
	s_delay_alu instid0(VALU_DEP_4)
	v_cmp_eq_u32_e64 s13, 1, v20
	v_and_b32_e32 v31, 1, v32
	ds_store_b16 v14, v15 offset:4
	ds_store_b8 v14, v16 offset:6
	ds_store_b16 v14, v18 offset:8
	ds_store_b8 v14, v19 offset:10
	;; [unrolled: 2-line block ×4, first 2 shown]
	v_cndmask_b32_e64 v20, v27, 1, s13
	v_cmp_eq_u16_e64 s13, 0, v32
	s_delay_alu instid0(VALU_DEP_1) | instskip(SKIP_2) | instid1(VALU_DEP_2)
	v_cndmask_b32_e64 v32, 0, v29, s13
	v_cmp_eq_u32_e64 s13, 1, v31
	s_wait_dscnt 0x9
	v_add_nc_u16 v30, v32, v30
	s_delay_alu instid0(VALU_DEP_2) | instskip(SKIP_1) | instid1(VALU_DEP_1)
	v_cndmask_b32_e64 v31, v20, 1, s13
	v_cmp_eq_u32_e64 s13, 1, v35
	v_cndmask_b32_e64 v32, v31, 1, s13
	v_cmp_eq_u16_e64 s13, 0, v33
	s_delay_alu instid0(VALU_DEP_1) | instskip(SKIP_1) | instid1(VALU_DEP_1)
	v_cndmask_b32_e64 v33, 0, v30, s13
	s_wait_dscnt 0x8
	v_add_nc_u16 v15, v33, v34
	ds_store_b16 v14, v29 offset:20
	ds_store_b8 v14, v20 offset:22
	ds_store_b16 v14, v30 offset:24
	ds_store_b8 v14, v31 offset:26
	;; [unrolled: 2-line block ×3, first 2 shown]
.LBB1352_115:
	s_or_b32 exec_lo, exec_lo, s14
	v_cmp_eq_u32_e64 s13, 0, v0
	s_mov_b32 s15, exec_lo
	s_wait_dscnt 0x0
	s_barrier_signal -1
	s_barrier_wait -1
	v_cmpx_ne_u32_e32 0, v0
	s_cbranch_execz .LBB1352_117
; %bb.116:
	v_add_nc_u32_e32 v14, -1, v0
	s_delay_alu instid0(VALU_DEP_1) | instskip(NEXT) | instid1(VALU_DEP_1)
	v_lshrrev_b32_e32 v15, 3, v14
	v_and_b32_e32 v15, 0x1ffffffc, v15
	s_delay_alu instid0(VALU_DEP_1)
	v_lshl_add_u32 v14, v14, 2, v15
	ds_load_u16 v24, v14
	ds_load_u8 v25, v14 offset:2
.LBB1352_117:
	s_or_b32 exec_lo, exec_lo, s15
	s_and_saveexec_b32 s15, vcc_lo
	s_cbranch_execz .LBB1352_157
; %bb.118:
	v_mov_b32_e32 v21, 0
	v_mbcnt_lo_u32_b32 v26, -1, 0
	ds_load_b32 v14, v21 offset:1048
	v_cmp_eq_u32_e64 s14, 0, v26
	s_and_saveexec_b32 s20, s14
	s_cbranch_execz .LBB1352_120
; %bb.119:
	s_add_co_i32 s21, s24, 32
	s_delay_alu instid0(SALU_CYCLE_1)
	v_dual_mov_b32 v15, 1 :: v_dual_mov_b32 v16, s21
	s_wait_dscnt 0x0
	global_store_b64 v16, v[14:15], s[28:29] scale_offset scope:SCOPE_DEV
.LBB1352_120:
	s_wait_xcnt 0x0
	s_or_b32 exec_lo, exec_lo, s20
	v_xad_u32 v16, v26, -1, s24
	s_mov_b32 s20, exec_lo
	s_delay_alu instid0(VALU_DEP_1) | instskip(SKIP_4) | instid1(VALU_DEP_1)
	v_add_nc_u32_e32 v20, 32, v16
	global_load_b64 v[18:19], v20, s[28:29] scale_offset scope:SCOPE_DEV
	s_wait_loadcnt 0x0
	v_and_b32_e32 v15, 0xff, v19
	s_wait_xcnt 0x0
	v_cmpx_eq_u16_e32 0, v15
	s_cbranch_execz .LBB1352_124
; %bb.121:
	v_lshl_add_u64 v[20:21], v[20:21], 3, s[28:29]
	s_mov_b32 s21, 0
.LBB1352_122:                           ; =>This Inner Loop Header: Depth=1
	global_load_b64 v[18:19], v[20:21], off scope:SCOPE_DEV
	s_wait_loadcnt 0x0
	v_and_b32_e32 v15, 0xff, v19
	s_delay_alu instid0(VALU_DEP_1)
	v_cmp_ne_u16_e32 vcc_lo, 0, v15
	s_or_b32 s21, vcc_lo, s21
	s_wait_xcnt 0x0
	s_and_not1_b32 exec_lo, exec_lo, s21
	s_cbranch_execnz .LBB1352_122
; %bb.123:
	s_or_b32 exec_lo, exec_lo, s21
.LBB1352_124:
	s_delay_alu instid0(SALU_CYCLE_1)
	s_or_b32 exec_lo, exec_lo, s20
	v_cmp_ne_u32_e32 vcc_lo, 31, v26
	v_and_b32_e32 v36, 0xffffff, v18
	v_and_b32_e32 v17, 0xff, v19
	v_lshlrev_b32_e64 v27, v26, -1
	v_bfe_u32 v21, v18, 16, 8
	v_add_co_ci_u32_e64 v15, null, 0, v26, vcc_lo
	s_delay_alu instid0(VALU_DEP_4) | instskip(SKIP_1) | instid1(VALU_DEP_2)
	v_cmp_eq_u16_e32 vcc_lo, 2, v17
	s_mov_b32 s20, exec_lo
	v_dual_lshrrev_b32 v20, 16, v18 :: v_dual_lshlrev_b32 v15, 2, v15
	v_and_or_b32 v17, vcc_lo, v27, 0x80000000
	ds_bpermute_b32 v29, v15, v36
	v_ctz_i32_b32_e32 v17, v17
	s_delay_alu instid0(VALU_DEP_1)
	v_cmpx_lt_u32_e64 v26, v17
	s_cbranch_execz .LBB1352_126
; %bb.125:
	v_and_b32_e32 v20, 0xff0000, v18
	s_delay_alu instid0(VALU_DEP_1) | instskip(SKIP_3) | instid1(VALU_DEP_1)
	v_and_b32_e32 v30, 0x10000, v20
	v_cmp_eq_u32_e32 vcc_lo, 0, v20
	s_wait_dscnt 0x0
	v_dual_lshrrev_b32 v21, 16, v29 :: v_dual_cndmask_b32 v29, 0, v29, vcc_lo
	v_and_b32_e32 v21, 1, v21
	v_cmp_ne_u32_e32 vcc_lo, 0, v30
	s_delay_alu instid0(VALU_DEP_3) | instskip(NEXT) | instid1(VALU_DEP_3)
	v_add_nc_u16 v18, v29, v18
	v_cndmask_b32_e64 v20, v21, 1, vcc_lo
	s_delay_alu instid0(VALU_DEP_2) | instskip(NEXT) | instid1(VALU_DEP_2)
	v_and_b32_e32 v29, 0xffff, v18
	v_lshlrev_b32_e32 v21, 16, v20
	s_delay_alu instid0(VALU_DEP_1)
	v_dual_mov_b32 v21, v20 :: v_dual_bitop2_b32 v36, v21, v29 bitop3:0x54
.LBB1352_126:
	s_or_b32 exec_lo, exec_lo, s20
	v_cmp_gt_u32_e32 vcc_lo, 30, v26
	v_add_nc_u32_e32 v30, 2, v26
	s_mov_b32 s20, exec_lo
	s_wait_dscnt 0x0
	v_cndmask_b32_e64 v29, 0, 2, vcc_lo
	s_delay_alu instid0(VALU_DEP_1)
	v_add_lshl_u32 v29, v29, v26, 2
	ds_bpermute_b32 v31, v29, v36
	v_cmpx_le_u32_e64 v30, v17
	s_cbranch_execz .LBB1352_128
; %bb.127:
	v_cmp_eq_u16_e32 vcc_lo, 0, v21
	s_wait_dscnt 0x0
	v_dual_lshrrev_b32 v20, 16, v31 :: v_dual_bitop2_b32 v21, 1, v21 bitop3:0x40
	s_delay_alu instid0(VALU_DEP_1) | instskip(NEXT) | instid1(VALU_DEP_2)
	v_dual_cndmask_b32 v31, 0, v31, vcc_lo :: v_dual_bitop2_b32 v20, 1, v20 bitop3:0x40
	v_cmp_eq_u32_e32 vcc_lo, 1, v21
	s_delay_alu instid0(VALU_DEP_2) | instskip(NEXT) | instid1(VALU_DEP_3)
	v_add_nc_u16 v18, v31, v18
	v_cndmask_b32_e64 v20, v20, 1, vcc_lo
	s_delay_alu instid0(VALU_DEP_2) | instskip(NEXT) | instid1(VALU_DEP_2)
	v_and_b32_e32 v21, 0xffff, v18
	v_lshlrev_b32_e32 v31, 16, v20
	s_delay_alu instid0(VALU_DEP_1)
	v_dual_mov_b32 v21, v20 :: v_dual_bitop2_b32 v36, v31, v21 bitop3:0x54
.LBB1352_128:
	s_or_b32 exec_lo, exec_lo, s20
	v_cmp_gt_u32_e32 vcc_lo, 28, v26
	v_add_nc_u32_e32 v32, 4, v26
	s_mov_b32 s20, exec_lo
	s_wait_dscnt 0x0
	v_cndmask_b32_e64 v31, 0, 4, vcc_lo
	s_delay_alu instid0(VALU_DEP_1)
	v_add_lshl_u32 v31, v31, v26, 2
	ds_bpermute_b32 v33, v31, v36
	v_cmpx_le_u32_e64 v32, v17
	s_cbranch_execz .LBB1352_130
; %bb.129:
	v_cmp_eq_u16_e32 vcc_lo, 0, v21
	s_wait_dscnt 0x0
	v_lshrrev_b32_e32 v20, 16, v33
	v_and_b32_e32 v21, 1, v21
	s_delay_alu instid0(VALU_DEP_2) | instskip(NEXT) | instid1(VALU_DEP_2)
	v_dual_cndmask_b32 v33, 0, v33, vcc_lo :: v_dual_bitop2_b32 v20, 1, v20 bitop3:0x40
	v_cmp_eq_u32_e32 vcc_lo, 1, v21
	s_delay_alu instid0(VALU_DEP_2) | instskip(NEXT) | instid1(VALU_DEP_3)
	v_add_nc_u16 v18, v33, v18
	v_cndmask_b32_e64 v20, v20, 1, vcc_lo
	s_delay_alu instid0(VALU_DEP_2) | instskip(NEXT) | instid1(VALU_DEP_2)
	v_and_b32_e32 v21, 0xffff, v18
	v_lshlrev_b32_e32 v33, 16, v20
	s_delay_alu instid0(VALU_DEP_1)
	v_dual_mov_b32 v21, v20 :: v_dual_bitop2_b32 v36, v33, v21 bitop3:0x54
.LBB1352_130:
	s_or_b32 exec_lo, exec_lo, s20
	v_cmp_gt_u32_e32 vcc_lo, 24, v26
	v_add_nc_u32_e32 v34, 8, v26
	s_mov_b32 s20, exec_lo
	s_wait_dscnt 0x0
	v_cndmask_b32_e64 v33, 0, 8, vcc_lo
	s_delay_alu instid0(VALU_DEP_1)
	v_add_lshl_u32 v33, v33, v26, 2
	ds_bpermute_b32 v35, v33, v36
	v_cmpx_le_u32_e64 v34, v17
	s_cbranch_execz .LBB1352_132
; %bb.131:
	v_cmp_eq_u16_e32 vcc_lo, 0, v21
	s_wait_dscnt 0x0
	v_dual_lshrrev_b32 v20, 16, v35 :: v_dual_bitop2_b32 v21, 1, v21 bitop3:0x40
	s_delay_alu instid0(VALU_DEP_1) | instskip(NEXT) | instid1(VALU_DEP_2)
	v_dual_cndmask_b32 v35, 0, v35, vcc_lo :: v_dual_bitop2_b32 v20, 1, v20 bitop3:0x40
	v_cmp_eq_u32_e32 vcc_lo, 1, v21
	s_delay_alu instid0(VALU_DEP_2) | instskip(NEXT) | instid1(VALU_DEP_3)
	v_add_nc_u16 v18, v35, v18
	v_cndmask_b32_e64 v20, v20, 1, vcc_lo
	s_delay_alu instid0(VALU_DEP_2) | instskip(NEXT) | instid1(VALU_DEP_2)
	v_and_b32_e32 v21, 0xffff, v18
	v_lshlrev_b32_e32 v35, 16, v20
	s_delay_alu instid0(VALU_DEP_1)
	v_dual_mov_b32 v21, v20 :: v_dual_bitop2_b32 v36, v35, v21 bitop3:0x54
.LBB1352_132:
	s_or_b32 exec_lo, exec_lo, s20
	s_wait_dscnt 0x0
	v_lshl_or_b32 v35, v26, 2, 64
	v_add_nc_u32_e32 v37, 16, v26
	s_mov_b32 s20, exec_lo
	ds_bpermute_b32 v36, v35, v36
	v_cmpx_le_u32_e64 v37, v17
	s_cbranch_execz .LBB1352_134
; %bb.133:
	v_cmp_eq_u16_e32 vcc_lo, 0, v21
	s_wait_dscnt 0x0
	v_dual_lshrrev_b32 v17, 16, v36 :: v_dual_bitop2_b32 v21, 1, v21 bitop3:0x40
	s_delay_alu instid0(VALU_DEP_1) | instskip(NEXT) | instid1(VALU_DEP_2)
	v_dual_cndmask_b32 v20, 0, v36, vcc_lo :: v_dual_bitop2_b32 v17, 1, v17 bitop3:0x40
	v_cmp_eq_u32_e32 vcc_lo, 1, v21
	s_delay_alu instid0(VALU_DEP_2) | instskip(NEXT) | instid1(VALU_DEP_3)
	v_add_nc_u16 v18, v20, v18
	v_cndmask_b32_e64 v20, v17, 1, vcc_lo
.LBB1352_134:
	s_or_b32 exec_lo, exec_lo, s20
	v_mov_b32_e32 v17, 0
	s_branch .LBB1352_137
.LBB1352_135:                           ;   in Loop: Header=BB1352_137 Depth=1
	s_or_b32 exec_lo, exec_lo, s20
	v_and_b32_e32 v20, 0xff, v36
	s_delay_alu instid0(VALU_DEP_2) | instskip(SKIP_2) | instid1(VALU_DEP_3)
	v_and_b32_e32 v21, 1, v21
	v_subrev_nc_u32_e32 v16, 32, v16
	s_mov_b32 s20, 0
	v_cmp_eq_u16_e32 vcc_lo, 0, v20
	v_dual_cndmask_b32 v18, 0, v18, vcc_lo :: v_dual_bitop2_b32 v20, 1, v36 bitop3:0x40
	s_delay_alu instid0(VALU_DEP_1) | instskip(NEXT) | instid1(VALU_DEP_2)
	v_cmp_eq_u32_e32 vcc_lo, 1, v20
	v_add_nc_u16 v18, v18, v38
	v_cndmask_b32_e64 v20, v21, 1, vcc_lo
.LBB1352_136:                           ;   in Loop: Header=BB1352_137 Depth=1
	s_and_b32 vcc_lo, exec_lo, s20
	s_cbranch_vccnz .LBB1352_153
.LBB1352_137:                           ; =>This Loop Header: Depth=1
                                        ;     Child Loop BB1352_140 Depth 2
	v_and_b32_e32 v19, 0xff, v19
	s_wait_dscnt 0x0
	v_dual_mov_b32 v36, v20 :: v_dual_mov_b32 v38, v18
	s_mov_b32 s20, -1
                                        ; implicit-def: $vgpr20
	s_delay_alu instid0(VALU_DEP_2)
	v_cmp_ne_u16_e32 vcc_lo, 2, v19
                                        ; implicit-def: $vgpr18
	s_cmp_lg_u32 vcc_lo, exec_lo
	s_cbranch_scc1 .LBB1352_136
; %bb.138:                              ;   in Loop: Header=BB1352_137 Depth=1
	global_load_b64 v[18:19], v16, s[28:29] scale_offset scope:SCOPE_DEV
	s_mov_b32 s20, exec_lo
	s_wait_loadcnt 0x0
	v_and_b32_e32 v20, 0xff, v19
	s_wait_xcnt 0x0
	s_delay_alu instid0(VALU_DEP_1)
	v_cmpx_eq_u16_e32 0, v20
	s_cbranch_execz .LBB1352_142
; %bb.139:                              ;   in Loop: Header=BB1352_137 Depth=1
	v_lshl_add_u64 v[20:21], v[16:17], 3, s[28:29]
	s_mov_b32 s21, 0
.LBB1352_140:                           ;   Parent Loop BB1352_137 Depth=1
                                        ; =>  This Inner Loop Header: Depth=2
	global_load_b64 v[18:19], v[20:21], off scope:SCOPE_DEV
	s_wait_loadcnt 0x0
	v_and_b32_e32 v39, 0xff, v19
	s_delay_alu instid0(VALU_DEP_1)
	v_cmp_ne_u16_e32 vcc_lo, 0, v39
	s_or_b32 s21, vcc_lo, s21
	s_wait_xcnt 0x0
	s_and_not1_b32 exec_lo, exec_lo, s21
	s_cbranch_execnz .LBB1352_140
; %bb.141:                              ;   in Loop: Header=BB1352_137 Depth=1
	s_or_b32 exec_lo, exec_lo, s21
.LBB1352_142:                           ;   in Loop: Header=BB1352_137 Depth=1
	s_delay_alu instid0(SALU_CYCLE_1)
	s_or_b32 exec_lo, exec_lo, s20
	v_and_b32_e32 v40, 0xffffff, v18
	v_and_b32_e32 v20, 0xff, v19
	v_lshrrev_b32_e32 v21, 16, v18
	v_bfe_u32 v39, v18, 16, 8
	s_mov_b32 s20, exec_lo
	ds_bpermute_b32 v41, v15, v40
	v_cmp_eq_u16_e32 vcc_lo, 2, v20
	v_and_or_b32 v20, vcc_lo, v27, 0x80000000
	s_delay_alu instid0(VALU_DEP_1) | instskip(NEXT) | instid1(VALU_DEP_1)
	v_ctz_i32_b32_e32 v20, v20
	v_cmpx_lt_u32_e64 v26, v20
	s_cbranch_execz .LBB1352_144
; %bb.143:                              ;   in Loop: Header=BB1352_137 Depth=1
	v_and_b32_e32 v21, 0xff0000, v18
	s_delay_alu instid0(VALU_DEP_1) | instskip(SKIP_3) | instid1(VALU_DEP_1)
	v_and_b32_e32 v40, 0x10000, v21
	v_cmp_eq_u32_e32 vcc_lo, 0, v21
	s_wait_dscnt 0x0
	v_dual_lshrrev_b32 v39, 16, v41 :: v_dual_cndmask_b32 v41, 0, v41, vcc_lo
	v_and_b32_e32 v39, 1, v39
	v_cmp_ne_u32_e32 vcc_lo, 0, v40
	s_delay_alu instid0(VALU_DEP_3) | instskip(NEXT) | instid1(VALU_DEP_3)
	v_add_nc_u16 v18, v41, v18
	v_cndmask_b32_e64 v21, v39, 1, vcc_lo
	s_delay_alu instid0(VALU_DEP_2) | instskip(NEXT) | instid1(VALU_DEP_2)
	v_and_b32_e32 v40, 0xffff, v18
	v_lshlrev_b32_e32 v39, 16, v21
	s_delay_alu instid0(VALU_DEP_1)
	v_dual_mov_b32 v39, v21 :: v_dual_bitop2_b32 v40, v39, v40 bitop3:0x54
.LBB1352_144:                           ;   in Loop: Header=BB1352_137 Depth=1
	s_or_b32 exec_lo, exec_lo, s20
	s_wait_dscnt 0x0
	ds_bpermute_b32 v41, v29, v40
	s_mov_b32 s20, exec_lo
	v_cmpx_le_u32_e64 v30, v20
	s_cbranch_execz .LBB1352_146
; %bb.145:                              ;   in Loop: Header=BB1352_137 Depth=1
	v_cmp_eq_u16_e32 vcc_lo, 0, v39
	s_wait_dscnt 0x0
	v_dual_lshrrev_b32 v21, 16, v41 :: v_dual_bitop2_b32 v39, 1, v39 bitop3:0x40
	v_cndmask_b32_e32 v40, 0, v41, vcc_lo
	s_delay_alu instid0(VALU_DEP_2) | instskip(NEXT) | instid1(VALU_DEP_3)
	v_and_b32_e32 v21, 1, v21
	v_cmp_eq_u32_e32 vcc_lo, 1, v39
	s_delay_alu instid0(VALU_DEP_3) | instskip(NEXT) | instid1(VALU_DEP_3)
	v_add_nc_u16 v18, v40, v18
	v_cndmask_b32_e64 v21, v21, 1, vcc_lo
	s_delay_alu instid0(VALU_DEP_2) | instskip(NEXT) | instid1(VALU_DEP_2)
	v_and_b32_e32 v39, 0xffff, v18
	v_lshlrev_b32_e32 v40, 16, v21
	s_delay_alu instid0(VALU_DEP_1)
	v_dual_mov_b32 v39, v21 :: v_dual_bitop2_b32 v40, v40, v39 bitop3:0x54
.LBB1352_146:                           ;   in Loop: Header=BB1352_137 Depth=1
	s_or_b32 exec_lo, exec_lo, s20
	s_wait_dscnt 0x0
	ds_bpermute_b32 v41, v31, v40
	s_mov_b32 s20, exec_lo
	v_cmpx_le_u32_e64 v32, v20
	s_cbranch_execz .LBB1352_148
; %bb.147:                              ;   in Loop: Header=BB1352_137 Depth=1
	v_cmp_eq_u16_e32 vcc_lo, 0, v39
	s_wait_dscnt 0x0
	v_dual_lshrrev_b32 v21, 16, v41 :: v_dual_bitop2_b32 v39, 1, v39 bitop3:0x40
	v_cndmask_b32_e32 v40, 0, v41, vcc_lo
	s_delay_alu instid0(VALU_DEP_2) | instskip(NEXT) | instid1(VALU_DEP_3)
	v_and_b32_e32 v21, 1, v21
	v_cmp_eq_u32_e32 vcc_lo, 1, v39
	s_delay_alu instid0(VALU_DEP_3) | instskip(NEXT) | instid1(VALU_DEP_3)
	v_add_nc_u16 v18, v40, v18
	v_cndmask_b32_e64 v21, v21, 1, vcc_lo
	s_delay_alu instid0(VALU_DEP_2) | instskip(NEXT) | instid1(VALU_DEP_2)
	v_and_b32_e32 v39, 0xffff, v18
	v_lshlrev_b32_e32 v40, 16, v21
	s_delay_alu instid0(VALU_DEP_1)
	v_dual_mov_b32 v39, v21 :: v_dual_bitop2_b32 v40, v40, v39 bitop3:0x54
.LBB1352_148:                           ;   in Loop: Header=BB1352_137 Depth=1
	s_or_b32 exec_lo, exec_lo, s20
	s_wait_dscnt 0x0
	ds_bpermute_b32 v41, v33, v40
	s_mov_b32 s20, exec_lo
	v_cmpx_le_u32_e64 v34, v20
	s_cbranch_execz .LBB1352_150
; %bb.149:                              ;   in Loop: Header=BB1352_137 Depth=1
	v_cmp_eq_u16_e32 vcc_lo, 0, v39
	s_wait_dscnt 0x0
	v_dual_lshrrev_b32 v21, 16, v41 :: v_dual_bitop2_b32 v39, 1, v39 bitop3:0x40
	v_cndmask_b32_e32 v40, 0, v41, vcc_lo
	s_delay_alu instid0(VALU_DEP_2) | instskip(NEXT) | instid1(VALU_DEP_3)
	v_and_b32_e32 v21, 1, v21
	v_cmp_eq_u32_e32 vcc_lo, 1, v39
	s_delay_alu instid0(VALU_DEP_3) | instskip(NEXT) | instid1(VALU_DEP_3)
	v_add_nc_u16 v18, v40, v18
	v_cndmask_b32_e64 v21, v21, 1, vcc_lo
	s_delay_alu instid0(VALU_DEP_2) | instskip(NEXT) | instid1(VALU_DEP_2)
	v_and_b32_e32 v39, 0xffff, v18
	v_lshlrev_b32_e32 v40, 16, v21
	s_delay_alu instid0(VALU_DEP_1)
	v_dual_mov_b32 v39, v21 :: v_dual_bitop2_b32 v40, v40, v39 bitop3:0x54
.LBB1352_150:                           ;   in Loop: Header=BB1352_137 Depth=1
	s_or_b32 exec_lo, exec_lo, s20
	ds_bpermute_b32 v40, v35, v40
	s_mov_b32 s20, exec_lo
	v_cmpx_le_u32_e64 v37, v20
	s_cbranch_execz .LBB1352_135
; %bb.151:                              ;   in Loop: Header=BB1352_137 Depth=1
	v_cmp_eq_u16_e32 vcc_lo, 0, v39
	s_wait_dscnt 0x0
	v_dual_lshrrev_b32 v39, 16, v40 :: v_dual_bitop2_b32 v21, 1, v39 bitop3:0x40
	v_cndmask_b32_e32 v20, 0, v40, vcc_lo
	s_delay_alu instid0(VALU_DEP_2) | instskip(NEXT) | instid1(VALU_DEP_2)
	v_cmp_eq_u32_e32 vcc_lo, 1, v21
	v_add_nc_u16 v18, v20, v18
	s_delay_alu instid0(VALU_DEP_4)
	v_cndmask_b32_e64 v21, v39, 1, vcc_lo
	s_branch .LBB1352_135
.LBB1352_152:
                                        ; implicit-def: $vgpr29
                                        ; implicit-def: $vgpr14
                                        ; implicit-def: $vgpr15
                                        ; implicit-def: $vgpr16
                                        ; implicit-def: $vgpr17
                                        ; implicit-def: $vgpr18
                                        ; implicit-def: $vgpr19
                                        ; implicit-def: $vgpr20
                                        ; implicit-def: $vgpr21
                                        ; implicit-def: $vgpr23
                                        ; implicit-def: $vgpr24
                                        ; implicit-def: $vgpr25
                                        ; implicit-def: $vgpr26
                                        ; implicit-def: $vgpr27
	s_cbranch_execnz .LBB1352_158
	s_branch .LBB1352_177
.LBB1352_153:
	s_and_saveexec_b32 s20, s14
	s_cbranch_execz .LBB1352_155
; %bb.154:
	v_and_b32_e32 v15, 0xff0000, v14
	v_and_b32_e32 v17, 0x10000, v14
	s_add_co_i32 s14, s24, 32
	s_delay_alu instid0(VALU_DEP_2) | instskip(SKIP_1) | instid1(VALU_DEP_1)
	v_cmp_eq_u32_e32 vcc_lo, 0, v15
	v_dual_cndmask_b32 v15, 0, v38, vcc_lo :: v_dual_bitop2_b32 v16, 1, v36 bitop3:0x40
	v_lshlrev_b32_e32 v16, 16, v16
	v_cmp_eq_u32_e32 vcc_lo, 0, v17
	s_delay_alu instid0(VALU_DEP_3) | instskip(NEXT) | instid1(VALU_DEP_3)
	v_add_nc_u16 v14, v15, v14
	v_dual_mov_b32 v15, 2 :: v_dual_cndmask_b32 v16, 0x10000, v16
	s_delay_alu instid0(VALU_DEP_2) | instskip(NEXT) | instid1(VALU_DEP_1)
	v_and_b32_e32 v14, 0xffff, v14
	v_dual_mov_b32 v16, s14 :: v_dual_bitop2_b32 v14, v16, v14 bitop3:0x54
	global_store_b64 v16, v[14:15], s[28:29] scale_offset scope:SCOPE_DEV
.LBB1352_155:
	s_wait_xcnt 0x0
	s_or_b32 exec_lo, exec_lo, s20
	s_delay_alu instid0(SALU_CYCLE_1)
	s_and_b32 exec_lo, exec_lo, s13
	s_cbranch_execz .LBB1352_157
; %bb.156:
	v_mov_b32_e32 v14, 0
	ds_store_b16 v14, v38
	ds_store_b8 v14, v36 offset:2
.LBB1352_157:
	s_or_b32 exec_lo, exec_lo, s15
	v_and_b32_e32 v15, 0x10000, v1
	s_wait_storecnt_dscnt 0x0
	s_barrier_signal -1
	s_barrier_wait -1
	s_delay_alu instid0(VALU_DEP_1)
	v_cmp_ne_u32_e32 vcc_lo, 0, v15
	v_cndmask_b32_e64 v15, v25, 1, vcc_lo
	v_cmp_gt_u32_e32 vcc_lo, 0x10000, v1
	v_dual_mov_b32 v14, 0 :: v_dual_cndmask_b32 v16, 0, v24, vcc_lo
	ds_load_b32 v14, v14
	v_cndmask_b32_e64 v15, v15, v23, s13
	v_cndmask_b32_e64 v16, v16, 0, s13
	s_delay_alu instid0(VALU_DEP_2) | instskip(NEXT) | instid1(VALU_DEP_2)
	v_and_b32_e32 v15, 0xff, v15
	v_add_nc_u16 v16, v16, v1
	s_delay_alu instid0(VALU_DEP_2) | instskip(SKIP_2) | instid1(VALU_DEP_1)
	v_cmp_eq_u16_e32 vcc_lo, 0, v15
	s_wait_dscnt 0x0
	v_cndmask_b32_e32 v14, 0, v14, vcc_lo
	v_add_nc_u16 v27, v16, v14
	s_delay_alu instid0(VALU_DEP_1) | instskip(SKIP_1) | instid1(VALU_DEP_2)
	v_cndmask_b32_e64 v14, 0, v27, s12
	v_and_b32_e32 v29, 0xffff, v27
	v_add_nc_u16 v14, v14, v2
	s_delay_alu instid0(VALU_DEP_1) | instskip(NEXT) | instid1(VALU_DEP_1)
	v_cndmask_b32_e64 v15, 0, v14, s11
	v_add_nc_u16 v15, v15, v3
	s_delay_alu instid0(VALU_DEP_1) | instskip(NEXT) | instid1(VALU_DEP_1)
	v_cndmask_b32_e64 v16, 0, v15, s10
	;; [unrolled: 3-line block ×12, first 2 shown]
	v_add_nc_u16 v27, v30, v22
	s_branch .LBB1352_177
.LBB1352_158:
	s_cmp_lg_u64 s[36:37], 0
	v_cmp_eq_u32_e32 vcc_lo, 0, v0
	s_cselect_b32 s1, -1, 0
	s_cmp_lg_u64 s[22:23], 0
	v_cmp_ne_u32_e64 s0, 0, v0
	s_cselect_b32 s2, -1, 0
	s_delay_alu instid0(SALU_CYCLE_1) | instskip(NEXT) | instid1(SALU_CYCLE_1)
	s_and_b32 s1, s1, s2
	s_and_b32 s1, vcc_lo, s1
	s_delay_alu instid0(SALU_CYCLE_1)
	s_and_saveexec_b32 s2, s1
	s_cbranch_execz .LBB1352_160
; %bb.159:
	v_mov_b32_e32 v14, 0
	v_cmp_gt_u32_e64 s1, 0x10000, v1
	s_clause 0x1
	global_load_u16 v15, v14, s[22:23]
	global_load_u8 v16, v14, s[22:23] offset:2
	s_wait_loadcnt 0x0
	v_dual_cndmask_b32 v14, 0, v15, s1 :: v_dual_bitop2_b32 v15, 1, v16 bitop3:0x40
	s_delay_alu instid0(VALU_DEP_1) | instskip(NEXT) | instid1(VALU_DEP_2)
	v_lshlrev_b32_e32 v15, 16, v15
	v_add_nc_u16 v14, v14, v1
	v_and_b32_e32 v1, 0x10000, v1
	s_delay_alu instid0(VALU_DEP_2) | instskip(NEXT) | instid1(VALU_DEP_2)
	v_and_b32_e32 v14, 0xffff, v14
	v_cmp_eq_u32_e64 s1, 0, v1
	s_delay_alu instid0(VALU_DEP_1) | instskip(NEXT) | instid1(VALU_DEP_1)
	v_cndmask_b32_e64 v1, 0x10000, v15, s1
	v_or_b32_e32 v1, v1, v14
.LBB1352_160:
	s_or_b32 exec_lo, exec_lo, s2
	v_cmp_gt_u32_e64 s1, 0x10000, v2
	v_cmp_gt_u32_e64 s3, 0x10000, v4
	;; [unrolled: 1-line block ×5, first 2 shown]
	v_cndmask_b32_e64 v14, 0, v1, s1
	v_cmp_gt_u32_e64 s7, 0x10000, v8
	v_cmp_gt_u32_e64 s6, 0x10000, v7
	;; [unrolled: 1-line block ×4, first 2 shown]
	v_add_nc_u16 v14, v14, v2
	v_cmp_gt_u32_e64 s11, 0x10000, v12
	v_cmp_gt_u32_e64 s10, 0x10000, v11
	v_or_b32_e32 v31, v10, v12
	v_cmp_gt_u32_e64 s13, 0x10000, v22
	v_dual_cndmask_b32 v15, 0, v14, s2 :: v_dual_bitop2_b32 v30, v11, v13 bitop3:0x54
	v_and_b32_e32 v28, 28, v28
	v_cmp_gt_u32_e64 s12, 0x10000, v13
	s_mov_b32 s15, exec_lo
	v_add_nc_u16 v15, v15, v3
	v_or3_b32 v30, v31, v30, v22
	v_lshrrev_b32_e32 v31, 16, v1
	v_or_b32_e32 v26, v9, v5
	v_lshl_add_u32 v28, v0, 2, v28
	v_dual_cndmask_b32 v16, 0, v15, s3 :: v_dual_bitop2_b32 v27, v8, v4 bitop3:0x54
	s_delay_alu instid0(VALU_DEP_3) | instskip(NEXT) | instid1(VALU_DEP_2)
	v_or3_b32 v33, v7, v3, v26
	v_add_nc_u16 v16, v16, v4
	s_delay_alu instid0(VALU_DEP_1) | instskip(NEXT) | instid1(VALU_DEP_1)
	v_cndmask_b32_e64 v17, 0, v16, s4
	v_add_nc_u16 v17, v17, v5
	s_delay_alu instid0(VALU_DEP_1) | instskip(NEXT) | instid1(VALU_DEP_1)
	v_cndmask_b32_e64 v18, 0, v17, s5
	;; [unrolled: 3-line block ×8, first 2 shown]
	v_add_nc_u16 v25, v25, v12
	s_delay_alu instid0(VALU_DEP_1) | instskip(NEXT) | instid1(VALU_DEP_1)
	v_dual_cndmask_b32 v32, 0, v25, s12 :: v_dual_bitop2_b32 v29, v6, v2 bitop3:0x54
	v_or3_b32 v27, v29, v27, v33
	s_delay_alu instid0(VALU_DEP_2) | instskip(NEXT) | instid1(VALU_DEP_2)
	v_add_nc_u16 v26, v32, v13
	v_bitop3_b32 v30, v30, 0xff0000, v27 bitop3:0xc8
	s_delay_alu instid0(VALU_DEP_2) | instskip(NEXT) | instid1(VALU_DEP_2)
	v_cndmask_b32_e64 v29, 0, v26, s13
	v_cmp_eq_u32_e64 s14, 0, v30
	s_delay_alu instid0(VALU_DEP_2) | instskip(NEXT) | instid1(VALU_DEP_2)
	v_add_nc_u16 v27, v29, v22
	v_cndmask_b32_e64 v29, 1, v31, s14
	ds_store_b16 v28, v27
	ds_store_b8 v28, v29 offset:2
	s_wait_dscnt 0x0
	s_barrier_signal -1
	s_barrier_wait -1
	v_cmpx_gt_u32_e32 32, v0
	s_cbranch_execz .LBB1352_172
; %bb.161:
	v_and_b32_e32 v28, 0xfc, v0
	v_lshlrev_b32_e32 v30, 5, v0
	s_mov_b32 s20, exec_lo
	s_delay_alu instid0(VALU_DEP_1)
	v_add_nc_u32_e32 v28, v28, v30
	ds_load_u8 v31, v28 offset:6
	ds_load_b32 v30, v28
	ds_load_u16 v32, v28 offset:4
	ds_load_u8 v33, v28 offset:10
	ds_load_u16 v34, v28 offset:8
	ds_load_u16 v35, v28 offset:12
	ds_load_u8 v36, v28 offset:14
	ds_load_u16 v37, v28 offset:16
	s_wait_dscnt 0x7
	v_cmp_eq_u16_e64 s14, 0, v31
	s_wait_dscnt 0x4
	s_delay_alu instid0(VALU_DEP_1) | instskip(SKIP_1) | instid1(VALU_DEP_2)
	v_dual_cndmask_b32 v38, 0, v30, s14 :: v_dual_bitop2_b32 v31, v33, v31 bitop3:0x54
	v_cmp_eq_u16_e64 s14, 0, v33
	v_add_nc_u16 v32, v38, v32
	ds_load_u8 v38, v28 offset:18
	v_cndmask_b32_e64 v32, 0, v32, s14
	s_wait_dscnt 0x2
	v_cmp_eq_u16_e64 s14, 0, v36
	s_delay_alu instid0(VALU_DEP_2) | instskip(SKIP_2) | instid1(VALU_DEP_1)
	v_add_nc_u16 v32, v32, v34
	ds_load_u8 v34, v28 offset:22
	v_cndmask_b32_e64 v32, 0, v32, s14
	v_add_nc_u16 v32, v32, v35
	s_wait_dscnt 0x1
	v_cmp_eq_u16_e64 s14, 0, v38
	ds_load_u16 v35, v28 offset:20
	ds_load_u16 v39, v28 offset:24
	ds_load_u8 v40, v28 offset:26
	ds_load_u16 v41, v28 offset:28
	ds_load_u8 v42, v28 offset:30
	v_bitop3_b16 v33, v31, v38, v36 bitop3:0xfe
	v_and_b32_e32 v31, 0x10000, v30
	v_cndmask_b32_e64 v32, 0, v32, s14
	s_delay_alu instid0(VALU_DEP_1) | instskip(SKIP_2) | instid1(VALU_DEP_1)
	v_add_nc_u16 v32, v32, v37
	s_wait_dscnt 0x5
	v_cmp_eq_u16_e64 s14, 0, v34
	v_cndmask_b32_e64 v32, 0, v32, s14
	s_wait_dscnt 0x2
	v_cmp_eq_u16_e64 s14, 0, v40
	v_bitop3_b16 v33, v33, v40, v34 bitop3:0xfe
	s_delay_alu instid0(VALU_DEP_3) | instskip(SKIP_1) | instid1(VALU_DEP_1)
	v_add_nc_u16 v32, v32, v35
	s_wait_dscnt 0x0
	v_dual_cndmask_b32 v32, 0, v32, s14 :: v_dual_bitop2_b32 v34, 1, v42 bitop3:0x40
	v_cmp_eq_u16_e64 s14, 0, v42
	s_delay_alu instid0(VALU_DEP_2) | instskip(NEXT) | instid1(VALU_DEP_1)
	v_add_nc_u16 v32, v32, v39
	v_cndmask_b32_e64 v32, 0, v32, s14
	v_cmp_eq_u16_e64 s14, 0, v33
	s_delay_alu instid0(VALU_DEP_2) | instskip(NEXT) | instid1(VALU_DEP_2)
	v_add_nc_u16 v33, v32, v41
	v_cndmask_b32_e64 v35, 0x10000, v31, s14
	v_cmp_eq_u32_e64 s14, 1, v34
	v_and_b32_e32 v32, 0xff000000, v30
	v_mbcnt_lo_u32_b32 v34, -1, 0
	v_and_b32_e32 v36, 0xffff, v33
	s_delay_alu instid0(VALU_DEP_4) | instskip(NEXT) | instid1(VALU_DEP_1)
	v_cndmask_b32_e64 v35, v35, 0x10000, s14
	v_or_b32_e32 v37, v35, v32
	s_delay_alu instid0(VALU_DEP_3) | instskip(NEXT) | instid1(VALU_DEP_2)
	v_or3_b32 v38, v32, v36, v35
	v_dual_lshrrev_b32 v36, 16, v37 :: v_dual_bitop2_b32 v35, 15, v34 bitop3:0x40
	s_delay_alu instid0(VALU_DEP_2) | instskip(NEXT) | instid1(VALU_DEP_2)
	v_mov_b32_dpp v39, v38 row_shr:1 row_mask:0xf bank_mask:0xf
	v_cmpx_ne_u32_e32 0, v35
	s_cbranch_execz .LBB1352_163
; %bb.162:
	s_delay_alu instid0(VALU_DEP_2) | instskip(SKIP_1) | instid1(VALU_DEP_2)
	v_dual_lshrrev_b32 v36, 16, v37 :: v_dual_lshrrev_b32 v38, 16, v39
	v_and_b32_e32 v37, 0x10000, v37
	v_and_b32_e32 v36, 0xff, v36
	s_delay_alu instid0(VALU_DEP_1) | instskip(NEXT) | instid1(VALU_DEP_1)
	v_cmp_eq_u16_e64 s14, 0, v36
	v_dual_cndmask_b32 v39, 0, v39, s14 :: v_dual_bitop2_b32 v38, 1, v38 bitop3:0x40
	s_delay_alu instid0(VALU_DEP_4) | instskip(NEXT) | instid1(VALU_DEP_2)
	v_cmp_ne_u32_e64 s14, 0, v37
	v_add_nc_u16 v33, v39, v33
	s_delay_alu instid0(VALU_DEP_2) | instskip(NEXT) | instid1(VALU_DEP_2)
	v_cndmask_b32_e64 v36, v38, 1, s14
	v_and_b32_e32 v38, 0xffff, v33
	s_delay_alu instid0(VALU_DEP_2) | instskip(NEXT) | instid1(VALU_DEP_1)
	v_lshlrev_b32_e32 v37, 16, v36
	v_or3_b32 v38, v37, v38, v32
.LBB1352_163:
	s_or_b32 exec_lo, exec_lo, s20
	s_delay_alu instid0(VALU_DEP_1)
	v_lshrrev_b32_e32 v37, 16, v38
	v_mov_b32_dpp v39, v38 row_shr:2 row_mask:0xf bank_mask:0xf
	s_mov_b32 s20, exec_lo
	v_cmpx_lt_u32_e32 1, v35
	s_cbranch_execz .LBB1352_165
; %bb.164:
	v_and_b32_e32 v37, 0xff, v37
	v_and_b32_e32 v38, 0x10000, v38
	s_delay_alu instid0(VALU_DEP_2) | instskip(NEXT) | instid1(VALU_DEP_1)
	v_cmp_eq_u16_e64 s14, 0, v37
	v_dual_lshrrev_b32 v36, 16, v39 :: v_dual_cndmask_b32 v37, 0, v39, s14
	s_delay_alu instid0(VALU_DEP_1) | instskip(NEXT) | instid1(VALU_DEP_4)
	v_and_b32_e32 v36, 1, v36
	v_cmp_ne_u32_e64 s14, 0, v38
	s_delay_alu instid0(VALU_DEP_3) | instskip(NEXT) | instid1(VALU_DEP_2)
	v_add_nc_u16 v33, v37, v33
	v_cndmask_b32_e64 v36, v36, 1, s14
	s_delay_alu instid0(VALU_DEP_2) | instskip(NEXT) | instid1(VALU_DEP_2)
	v_and_b32_e32 v38, 0xffff, v33
	v_lshlrev_b32_e32 v37, 16, v36
	s_delay_alu instid0(VALU_DEP_1)
	v_or3_b32 v38, v37, v38, v32
	v_mov_b32_e32 v37, v36
.LBB1352_165:
	s_or_b32 exec_lo, exec_lo, s20
	s_delay_alu instid0(VALU_DEP_2)
	v_mov_b32_dpp v39, v38 row_shr:4 row_mask:0xf bank_mask:0xf
	s_mov_b32 s20, exec_lo
	v_cmpx_lt_u32_e32 3, v35
	s_cbranch_execz .LBB1352_167
; %bb.166:
	v_and_b32_e32 v38, 0xff, v37
	v_dual_lshrrev_b32 v36, 16, v39 :: v_dual_bitop2_b32 v37, 1, v37 bitop3:0x40
	s_delay_alu instid0(VALU_DEP_2) | instskip(NEXT) | instid1(VALU_DEP_1)
	v_cmp_eq_u16_e64 s14, 0, v38
	v_dual_cndmask_b32 v38, 0, v39, s14 :: v_dual_bitop2_b32 v36, 1, v36 bitop3:0x40
	s_delay_alu instid0(VALU_DEP_3) | instskip(NEXT) | instid1(VALU_DEP_2)
	v_cmp_eq_u32_e64 s14, 1, v37
	v_add_nc_u16 v33, v38, v33
	s_delay_alu instid0(VALU_DEP_2) | instskip(NEXT) | instid1(VALU_DEP_2)
	v_cndmask_b32_e64 v36, v36, 1, s14
	v_and_b32_e32 v38, 0xffff, v33
	s_delay_alu instid0(VALU_DEP_2) | instskip(NEXT) | instid1(VALU_DEP_1)
	v_lshlrev_b32_e32 v37, 16, v36
	v_or3_b32 v38, v37, v38, v32
	v_mov_b32_e32 v37, v36
.LBB1352_167:
	s_or_b32 exec_lo, exec_lo, s20
	s_delay_alu instid0(VALU_DEP_2)
	v_mov_b32_dpp v39, v38 row_shr:8 row_mask:0xf bank_mask:0xf
	s_mov_b32 s20, exec_lo
	v_cmpx_lt_u32_e32 7, v35
	s_cbranch_execz .LBB1352_169
; %bb.168:
	v_and_b32_e32 v36, 0xff, v37
	v_dual_lshrrev_b32 v35, 16, v39 :: v_dual_bitop2_b32 v37, 1, v37 bitop3:0x40
	s_delay_alu instid0(VALU_DEP_2) | instskip(NEXT) | instid1(VALU_DEP_2)
	v_cmp_eq_u16_e64 s14, 0, v36
	v_and_b32_e32 v35, 1, v35
	s_delay_alu instid0(VALU_DEP_2) | instskip(NEXT) | instid1(VALU_DEP_4)
	v_cndmask_b32_e64 v38, 0, v39, s14
	v_cmp_eq_u32_e64 s14, 1, v37
	s_delay_alu instid0(VALU_DEP_1) | instskip(NEXT) | instid1(VALU_DEP_1)
	v_cndmask_b32_e64 v36, v35, 1, s14
	v_lshlrev_b32_e32 v35, 16, v36
	s_delay_alu instid0(VALU_DEP_4) | instskip(NEXT) | instid1(VALU_DEP_1)
	v_add_nc_u16 v33, v38, v33
	v_and_b32_e32 v37, 0xffff, v33
	s_delay_alu instid0(VALU_DEP_1)
	v_or3_b32 v38, v35, v37, v32
	v_mov_b32_e32 v37, v36
.LBB1352_169:
	s_or_b32 exec_lo, exec_lo, s20
	ds_swizzle_b32 v35, v38 offset:swizzle(BROADCAST,32,15)
	v_and_b32_e32 v38, 16, v34
	s_mov_b32 s20, exec_lo
	s_delay_alu instid0(VALU_DEP_1)
	v_cmpx_ne_u32_e32 0, v38
	s_cbranch_execz .LBB1352_171
; %bb.170:
	v_and_b32_e32 v36, 0xff, v37
	s_delay_alu instid0(VALU_DEP_1) | instskip(SKIP_2) | instid1(VALU_DEP_1)
	v_cmp_eq_u16_e64 s14, 0, v36
	s_wait_dscnt 0x0
	v_dual_lshrrev_b32 v38, 16, v35 :: v_dual_bitop2_b32 v36, 1, v37 bitop3:0x40
	v_dual_cndmask_b32 v35, 0, v35, s14 :: v_dual_bitop2_b32 v37, 1, v38 bitop3:0x40
	s_delay_alu instid0(VALU_DEP_2) | instskip(NEXT) | instid1(VALU_DEP_2)
	v_cmp_eq_u32_e64 s14, 1, v36
	v_add_nc_u16 v33, v35, v33
	s_delay_alu instid0(VALU_DEP_2)
	v_cndmask_b32_e64 v36, v37, 1, s14
.LBB1352_171:
	s_or_b32 exec_lo, exec_lo, s20
	s_wait_dscnt 0x0
	s_delay_alu instid0(VALU_DEP_1) | instskip(SKIP_2) | instid1(VALU_DEP_3)
	v_and_b32_e32 v35, 0xff, v36
	v_add_nc_u32_e32 v36, -1, v34
	v_and_b32_e32 v33, 0xffff, v33
	; wave barrier
	v_lshlrev_b32_e32 v35, 16, v35
	s_delay_alu instid0(VALU_DEP_3) | instskip(NEXT) | instid1(VALU_DEP_2)
	v_cmp_gt_i32_e64 s14, 0, v36
	v_or3_b32 v32, v35, v33, v32
	s_delay_alu instid0(VALU_DEP_2) | instskip(NEXT) | instid1(VALU_DEP_1)
	v_cndmask_b32_e64 v34, v36, v34, s14
	v_lshlrev_b32_e32 v33, 2, v34
	ds_bpermute_b32 v32, v33, v32
	v_and_b32_e32 v33, 0xff0000, v30
	s_delay_alu instid0(VALU_DEP_1) | instskip(SKIP_1) | instid1(VALU_DEP_1)
	v_cmp_eq_u32_e64 s14, 0, v33
	s_wait_dscnt 0x0
	v_dual_lshrrev_b32 v34, 16, v32 :: v_dual_cndmask_b32 v32, 0, v32, s14
	v_cmp_eq_u32_e64 s14, 0, v31
	s_delay_alu instid0(VALU_DEP_2) | instskip(NEXT) | instid1(VALU_DEP_1)
	v_add_nc_u16 v30, v32, v30
	v_dual_cndmask_b32 v30, v30, v27, vcc_lo :: v_dual_bitop2_b32 v33, 1, v34 bitop3:0x40
	s_delay_alu instid0(VALU_DEP_1) | instskip(NEXT) | instid1(VALU_DEP_1)
	v_cndmask_b32_e64 v31, 1, v33, s14
	v_cndmask_b32_e32 v29, v31, v29, vcc_lo
	ds_store_b16 v28, v30
	ds_store_b8 v28, v29 offset:2
	; wave barrier
	ds_load_u8 v31, v28 offset:6
	ds_load_u16 v32, v28 offset:4
	ds_load_u8 v33, v28 offset:10
	ds_load_u16 v34, v28 offset:8
	ds_load_u16 v35, v28 offset:12
	ds_load_u8 v36, v28 offset:14
	ds_load_u16 v37, v28 offset:16
	ds_load_u8 v38, v28 offset:18
	s_wait_dscnt 0x7
	v_cmp_eq_u16_e64 s14, 0, v31
	s_delay_alu instid0(VALU_DEP_1) | instskip(SKIP_2) | instid1(VALU_DEP_2)
	v_cndmask_b32_e64 v30, 0, v30, s14
	s_wait_dscnt 0x5
	v_cmp_eq_u16_e64 s14, 0, v33
	v_add_nc_u16 v30, v30, v32
	s_delay_alu instid0(VALU_DEP_1) | instskip(SKIP_2) | instid1(VALU_DEP_2)
	v_cndmask_b32_e64 v32, 0, v30, s14
	s_wait_dscnt 0x2
	v_cmp_eq_u16_e64 s14, 0, v36
	v_add_nc_u16 v32, v32, v34
	v_and_b32_e32 v31, 1, v31
	ds_load_u8 v34, v28 offset:22
	ds_load_u16 v40, v28 offset:20
	ds_load_u8 v41, v28 offset:26
	ds_load_u8 v42, v28 offset:30
	v_cndmask_b32_e64 v39, 0, v32, s14
	v_cmp_eq_u32_e64 s14, 1, v31
	v_and_b32_e32 v31, 1, v36
	s_delay_alu instid0(VALU_DEP_3) | instskip(NEXT) | instid1(VALU_DEP_3)
	v_add_nc_u16 v35, v39, v35
	v_cndmask_b32_e64 v29, v29, 1, s14
	s_wait_dscnt 0x4
	v_cmp_eq_u16_e64 s14, 0, v38
	v_and_b32_e32 v33, 1, v33
	ds_load_u16 v39, v28 offset:24
	ds_load_u16 v43, v28 offset:28
	v_cndmask_b32_e64 v36, 0, v35, s14
	v_cmp_eq_u32_e64 s14, 1, v33
	s_delay_alu instid0(VALU_DEP_2) | instskip(NEXT) | instid1(VALU_DEP_2)
	v_add_nc_u16 v36, v36, v37
	v_cndmask_b32_e64 v33, v29, 1, s14
	v_cmp_eq_u32_e64 s14, 1, v31
	v_and_b32_e32 v37, 1, v38
	s_wait_dscnt 0x2
	v_and_b32_e32 v44, 1, v42
	s_delay_alu instid0(VALU_DEP_3) | instskip(SKIP_1) | instid1(VALU_DEP_1)
	v_cndmask_b32_e64 v31, v33, 1, s14
	v_cmp_eq_u16_e64 s14, 0, v34
	v_dual_cndmask_b32 v38, 0, v36, s14 :: v_dual_bitop2_b32 v34, 1, v34 bitop3:0x40
	v_cmp_eq_u32_e64 s14, 1, v37
	s_delay_alu instid0(VALU_DEP_2) | instskip(NEXT) | instid1(VALU_DEP_2)
	v_add_nc_u16 v38, v38, v40
	v_cndmask_b32_e64 v37, v31, 1, s14
	s_delay_alu instid0(VALU_DEP_4)
	v_cmp_eq_u32_e64 s14, 1, v34
	v_and_b32_e32 v40, 1, v41
	ds_store_b16 v28, v30 offset:4
	ds_store_b8 v28, v29 offset:6
	ds_store_b16 v28, v32 offset:8
	ds_store_b8 v28, v33 offset:10
	;; [unrolled: 2-line block ×4, first 2 shown]
	v_cndmask_b32_e64 v34, v37, 1, s14
	v_cmp_eq_u16_e64 s14, 0, v41
	s_delay_alu instid0(VALU_DEP_1) | instskip(SKIP_2) | instid1(VALU_DEP_2)
	v_cndmask_b32_e64 v41, 0, v38, s14
	v_cmp_eq_u32_e64 s14, 1, v40
	s_wait_dscnt 0x9
	v_add_nc_u16 v39, v41, v39
	s_delay_alu instid0(VALU_DEP_2) | instskip(SKIP_1) | instid1(VALU_DEP_1)
	v_cndmask_b32_e64 v40, v34, 1, s14
	v_cmp_eq_u32_e64 s14, 1, v44
	v_cndmask_b32_e64 v41, v40, 1, s14
	v_cmp_eq_u16_e64 s14, 0, v42
	s_delay_alu instid0(VALU_DEP_1) | instskip(SKIP_1) | instid1(VALU_DEP_1)
	v_cndmask_b32_e64 v42, 0, v39, s14
	s_wait_dscnt 0x8
	v_add_nc_u16 v29, v42, v43
	ds_store_b16 v28, v38 offset:20
	ds_store_b8 v28, v34 offset:22
	ds_store_b16 v28, v39 offset:24
	ds_store_b8 v28, v40 offset:26
	;; [unrolled: 2-line block ×3, first 2 shown]
.LBB1352_172:
	s_or_b32 exec_lo, exec_lo, s15
	s_wait_dscnt 0x0
	s_barrier_signal -1
	s_barrier_wait -1
	s_and_saveexec_b32 s14, s0
	s_cbranch_execz .LBB1352_174
; %bb.173:
	v_add_nc_u32_e32 v14, -1, v0
	v_cmp_gt_u32_e64 s0, 0x10000, v1
	s_delay_alu instid0(VALU_DEP_2) | instskip(NEXT) | instid1(VALU_DEP_1)
	v_lshrrev_b32_e32 v15, 3, v14
	v_and_b32_e32 v15, 0x1ffffffc, v15
	s_delay_alu instid0(VALU_DEP_1) | instskip(SKIP_4) | instid1(VALU_DEP_1)
	v_lshl_add_u32 v14, v14, 2, v15
	ds_load_u16 v14, v14
	;;#ASMSTART
	;;#ASMEND
	s_wait_dscnt 0x0
	v_cndmask_b32_e64 v14, 0, v14, s0
	v_add_nc_u32_e32 v1, v14, v1
	s_delay_alu instid0(VALU_DEP_1) | instskip(NEXT) | instid1(VALU_DEP_1)
	v_cndmask_b32_e64 v14, 0, v1, s1
	v_add_nc_u16 v14, v14, v2
	s_delay_alu instid0(VALU_DEP_1) | instskip(NEXT) | instid1(VALU_DEP_1)
	v_cndmask_b32_e64 v2, 0, v14, s2
	v_add_nc_u16 v15, v2, v3
	;; [unrolled: 3-line block ×13, first 2 shown]
.LBB1352_174:
	s_or_b32 exec_lo, exec_lo, s14
	s_and_saveexec_b32 s0, vcc_lo
	s_cbranch_execz .LBB1352_176
; %bb.175:
	v_mov_b32_e32 v4, 0
	ds_load_u8 v2, v4 offset:1050
	ds_load_u16 v3, v4 offset:1048
	s_wait_dscnt 0x1
	v_lshlrev_b32_e32 v2, 16, v2
	s_wait_dscnt 0x0
	v_and_b32_e32 v3, 0xffff, v3
	s_delay_alu instid0(VALU_DEP_1)
	v_dual_mov_b32 v3, 2 :: v_dual_bitop2_b32 v2, v2, v3 bitop3:0x54
	global_store_b64 v4, v[2:3], s[28:29] offset:256 scope:SCOPE_DEV
.LBB1352_176:
	s_wait_xcnt 0x0
	s_or_b32 exec_lo, exec_lo, s0
	v_mov_b32_e32 v29, v1
.LBB1352_177:
	v_mov_b32_e32 v1, 0
	s_add_nc_u64 s[0:1], s[18:19], s[34:35]
	s_and_b32 vcc_lo, exec_lo, s25
	s_add_nc_u64 s[0:1], s[0:1], s[16:17]
	s_cbranch_vccz .LBB1352_233
; %bb.178:
	v_mul_u32_u24_e32 v2, 14, v0
	v_dual_mov_b32 v3, 0 :: v_dual_mov_b32 v4, 0
	v_dual_mov_b32 v5, 0 :: v_dual_mov_b32 v6, 0
	;; [unrolled: 1-line block ×3, first 2 shown]
	s_add_co_i32 s31, s31, s30
	s_mov_b32 s2, exec_lo
	v_cmpx_gt_u32_e64 s31, v2
	s_cbranch_execz .LBB1352_206
; %bb.179:
	v_dual_mov_b32 v3, 0 :: v_dual_bitop2_b32 v6, 1, v2 bitop3:0x54
	v_and_b32_e32 v1, 0xffff, v29
	v_dual_mov_b32 v4, 0 :: v_dual_mov_b32 v5, 0
	s_delay_alu instid0(VALU_DEP_3)
	v_cmp_gt_u32_e32 vcc_lo, s31, v6
	v_dual_mov_b32 v6, 0 :: v_dual_mov_b32 v7, 0
	v_mov_b32_e32 v8, 0
	s_and_saveexec_b32 s3, vcc_lo
	s_cbranch_execz .LBB1352_205
; %bb.180:
	v_perm_b32 v1, v14, v1, 0x5040100
	v_dual_mov_b32 v8, 0 :: v_dual_mov_b32 v7, 0
	v_dual_mov_b32 v6, 0 :: v_dual_add_nc_u32 v9, 2, v2
	v_dual_mov_b32 v5, 0 :: v_dual_mov_b32 v4, 0
	v_mov_b32_e32 v3, 0
	s_mov_b32 s4, exec_lo
	s_delay_alu instid0(VALU_DEP_3)
	v_cmpx_gt_u32_e64 s31, v9
	s_cbranch_execz .LBB1352_204
; %bb.181:
	v_bfi_b32 v3, 0xffff, v15, 0
	v_dual_mov_b32 v8, 0 :: v_dual_add_nc_u32 v9, 3, v2
	v_dual_mov_b32 v7, 0 :: v_dual_mov_b32 v6, 0
	v_dual_mov_b32 v5, 0 :: v_dual_mov_b32 v4, 0
	s_mov_b32 s5, exec_lo
	s_delay_alu instid0(VALU_DEP_3)
	v_cmpx_gt_u32_e64 s31, v9
	s_cbranch_execz .LBB1352_203
; %bb.182:
	v_perm_b32 v3, v16, v3, 0x5040100
	v_dual_mov_b32 v8, 0 :: v_dual_add_nc_u32 v9, 4, v2
	v_dual_mov_b32 v7, 0 :: v_dual_mov_b32 v6, 0
	v_dual_mov_b32 v5, 0 :: v_dual_mov_b32 v4, 0
	s_mov_b32 s6, exec_lo
	s_delay_alu instid0(VALU_DEP_3)
	v_cmpx_gt_u32_e64 s31, v9
	s_cbranch_execz .LBB1352_202
; %bb.183:
	v_bfi_b32 v4, 0xffff, v17, 0
	v_dual_mov_b32 v8, 0 :: v_dual_add_nc_u32 v9, 5, v2
	v_dual_mov_b32 v7, 0 :: v_dual_mov_b32 v6, 0
	v_mov_b32_e32 v5, 0
	s_mov_b32 s7, exec_lo
	s_delay_alu instid0(VALU_DEP_3)
	v_cmpx_gt_u32_e64 s31, v9
	s_cbranch_execz .LBB1352_201
; %bb.184:
	v_perm_b32 v4, v18, v4, 0x5040100
	v_dual_mov_b32 v8, 0 :: v_dual_add_nc_u32 v9, 6, v2
	v_dual_mov_b32 v7, 0 :: v_dual_mov_b32 v6, 0
	v_mov_b32_e32 v5, 0
	s_mov_b32 s8, exec_lo
	s_delay_alu instid0(VALU_DEP_3)
	v_cmpx_gt_u32_e64 s31, v9
	s_cbranch_execz .LBB1352_200
; %bb.185:
	v_dual_mov_b32 v8, 0 :: v_dual_add_nc_u32 v9, 7, v2
	v_bfi_b32 v5, 0xffff, v19, 0
	v_dual_mov_b32 v7, 0 :: v_dual_mov_b32 v6, 0
	s_mov_b32 s9, exec_lo
	s_delay_alu instid0(VALU_DEP_3)
	v_cmpx_gt_u32_e64 s31, v9
	s_cbranch_execz .LBB1352_199
; %bb.186:
	v_dual_mov_b32 v8, 0 :: v_dual_add_nc_u32 v9, 8, v2
	v_perm_b32 v5, v20, v5, 0x5040100
	v_dual_mov_b32 v7, 0 :: v_dual_mov_b32 v6, 0
	s_mov_b32 s10, exec_lo
	s_delay_alu instid0(VALU_DEP_3)
	v_cmpx_gt_u32_e64 s31, v9
	s_cbranch_execz .LBB1352_198
; %bb.187:
	v_dual_mov_b32 v8, 0 :: v_dual_add_nc_u32 v9, 9, v2
	v_bfi_b32 v6, 0xffff, v21, 0
	v_mov_b32_e32 v7, 0
	s_mov_b32 s11, exec_lo
	s_delay_alu instid0(VALU_DEP_3)
	v_cmpx_gt_u32_e64 s31, v9
	s_cbranch_execz .LBB1352_197
; %bb.188:
	v_dual_mov_b32 v8, 0 :: v_dual_add_nc_u32 v9, 10, v2
	v_perm_b32 v6, v23, v6, 0x5040100
	v_mov_b32_e32 v7, 0
	s_mov_b32 s12, exec_lo
	s_delay_alu instid0(VALU_DEP_3)
	v_cmpx_gt_u32_e64 s31, v9
	s_cbranch_execz .LBB1352_196
; %bb.189:
	v_dual_mov_b32 v8, 0 :: v_dual_add_nc_u32 v9, 11, v2
	v_bfi_b32 v7, 0xffff, v24, 0
	s_mov_b32 s13, exec_lo
	s_delay_alu instid0(VALU_DEP_2)
	v_cmpx_gt_u32_e64 s31, v9
	s_cbranch_execz .LBB1352_195
; %bb.190:
	v_dual_mov_b32 v8, 0 :: v_dual_add_nc_u32 v9, 12, v2
	v_perm_b32 v7, v25, v7, 0x5040100
	s_mov_b32 s14, exec_lo
	s_delay_alu instid0(VALU_DEP_2)
	v_cmpx_gt_u32_e64 s31, v9
	s_cbranch_execz .LBB1352_194
; %bb.191:
	v_add_nc_u32_e32 v9, 13, v2
	v_bfi_b32 v8, 0xffff, v26, 0
	s_mov_b32 s15, exec_lo
	s_delay_alu instid0(VALU_DEP_2)
	v_cmpx_gt_u32_e64 s31, v9
; %bb.192:
	s_delay_alu instid0(VALU_DEP_2)
	v_perm_b32 v8, v27, v8, 0x5040100
; %bb.193:
	s_or_b32 exec_lo, exec_lo, s15
.LBB1352_194:
	s_delay_alu instid0(SALU_CYCLE_1)
	s_or_b32 exec_lo, exec_lo, s14
.LBB1352_195:
	s_delay_alu instid0(SALU_CYCLE_1)
	s_or_b32 exec_lo, exec_lo, s13
.LBB1352_196:
	s_delay_alu instid0(SALU_CYCLE_1)
	s_or_b32 exec_lo, exec_lo, s12
.LBB1352_197:
	s_delay_alu instid0(SALU_CYCLE_1)
	s_or_b32 exec_lo, exec_lo, s11
.LBB1352_198:
	s_delay_alu instid0(SALU_CYCLE_1)
	s_or_b32 exec_lo, exec_lo, s10
.LBB1352_199:
	s_delay_alu instid0(SALU_CYCLE_1)
	s_or_b32 exec_lo, exec_lo, s9
.LBB1352_200:
	s_delay_alu instid0(SALU_CYCLE_1)
	s_or_b32 exec_lo, exec_lo, s8
.LBB1352_201:
	s_delay_alu instid0(SALU_CYCLE_1)
	s_or_b32 exec_lo, exec_lo, s7
.LBB1352_202:
	s_delay_alu instid0(SALU_CYCLE_1)
	s_or_b32 exec_lo, exec_lo, s6
.LBB1352_203:
	s_delay_alu instid0(SALU_CYCLE_1)
	s_or_b32 exec_lo, exec_lo, s5
.LBB1352_204:
	s_delay_alu instid0(SALU_CYCLE_1)
	s_or_b32 exec_lo, exec_lo, s4
.LBB1352_205:
	s_delay_alu instid0(SALU_CYCLE_1)
	s_or_b32 exec_lo, exec_lo, s3
.LBB1352_206:
	s_delay_alu instid0(SALU_CYCLE_1)
	s_or_b32 exec_lo, exec_lo, s2
	v_lshlrev_b32_e32 v28, 1, v2
	s_wait_storecnt 0x0
	s_barrier_signal -1
	s_barrier_wait -1
	ds_store_2addr_b32 v28, v1, v3 offset1:1
	ds_store_2addr_b32 v28, v4, v5 offset0:2 offset1:3
	ds_store_2addr_b32 v28, v6, v7 offset0:4 offset1:5
	ds_store_b32 v28, v8 offset:24
	v_mov_b32_e32 v3, 0
	v_mad_i32_i24 v1, 0xffffffe6, v0, v28
	s_wait_dscnt 0x0
	s_barrier_signal -1
	s_barrier_wait -1
	ds_load_u16 v30, v1 offset:512
	ds_load_u16 v22, v1 offset:1024
	;; [unrolled: 1-line block ×13, first 2 shown]
	v_lshlrev_b32_e32 v2, 1, v0
	s_mov_b32 s2, exec_lo
	s_delay_alu instid0(VALU_DEP_1)
	v_add_nc_u64_e32 v[2:3], s[0:1], v[2:3]
	v_cmpx_gt_u32_e64 s31, v0
	s_cbranch_execz .LBB1352_208
; %bb.207:
	v_mul_i32_i24_e32 v31, 0xffffffe6, v0
	s_delay_alu instid0(VALU_DEP_1)
	v_add_nc_u32_e32 v28, v28, v31
	ds_load_u16 v28, v28
	s_wait_dscnt 0x0
	flat_store_b16 v[2:3], v28
.LBB1352_208:
	s_wait_xcnt 0x0
	s_or_b32 exec_lo, exec_lo, s2
	v_or_b32_e32 v28, 0x100, v0
	s_mov_b32 s2, exec_lo
	s_delay_alu instid0(VALU_DEP_1)
	v_cmpx_gt_u32_e64 s31, v28
	s_cbranch_execz .LBB1352_210
; %bb.209:
	s_wait_dscnt 0xc
	flat_store_b16 v[2:3], v30 offset:512
.LBB1352_210:
	s_wait_xcnt 0x0
	s_or_b32 exec_lo, exec_lo, s2
	v_or_b32_e32 v28, 0x200, v0
	s_mov_b32 s2, exec_lo
	s_delay_alu instid0(VALU_DEP_1)
	v_cmpx_gt_u32_e64 s31, v28
	s_cbranch_execz .LBB1352_212
; %bb.211:
	s_wait_dscnt 0xb
	flat_store_b16 v[2:3], v22 offset:1024
.LBB1352_212:
	s_wait_xcnt 0x0
	s_or_b32 exec_lo, exec_lo, s2
	s_wait_dscnt 0xb
	v_or_b32_e32 v22, 0x300, v0
	s_mov_b32 s2, exec_lo
	s_delay_alu instid0(VALU_DEP_1)
	v_cmpx_gt_u32_e64 s31, v22
	s_cbranch_execz .LBB1352_214
; %bb.213:
	s_wait_dscnt 0xa
	flat_store_b16 v[2:3], v13 offset:1536
.LBB1352_214:
	s_wait_xcnt 0x0
	s_or_b32 exec_lo, exec_lo, s2
	s_wait_dscnt 0xa
	;; [unrolled: 12-line block ×10, first 2 shown]
	v_or_b32_e32 v5, 0xc00, v0
	s_mov_b32 s2, exec_lo
	s_delay_alu instid0(VALU_DEP_1)
	v_cmpx_gt_u32_e64 s31, v5
	s_cbranch_execz .LBB1352_232
; %bb.231:
	s_wait_dscnt 0x1
	flat_store_b16 v[2:3], v4 offset:6144
.LBB1352_232:
	s_wait_xcnt 0x0
	s_or_b32 exec_lo, exec_lo, s2
	v_or_b32_e32 v2, 0xd00, v0
	s_delay_alu instid0(VALU_DEP_1)
	v_cmp_gt_u32_e64 s2, s31, v2
	s_branch .LBB1352_235
.LBB1352_233:
	s_mov_b32 s2, 0
                                        ; implicit-def: $vgpr1
	s_cbranch_execz .LBB1352_235
; %bb.234:
	s_wait_dscnt 0x0
	v_mul_u32_u24_e32 v1, 28, v0
	v_perm_b32 v2, v16, v15, 0x5040100
	v_perm_b32 v3, v14, v29, 0x5040100
	v_mul_i32_i24_e32 v9, 0xffffffe6, v0
	v_perm_b32 v4, v20, v19, 0x5040100
	v_perm_b32 v5, v18, v17, 0x5040100
	;; [unrolled: 1-line block ×5, first 2 shown]
	s_wait_storecnt 0x0
	s_barrier_signal -1
	s_barrier_wait -1
	ds_store_2addr_b32 v1, v3, v2 offset1:1
	ds_store_2addr_b32 v1, v5, v4 offset0:2 offset1:3
	ds_store_2addr_b32 v1, v7, v6 offset0:4 offset1:5
	ds_store_b32 v1, v8 offset:24
	v_mad_u32_u24 v1, v0, 28, v9
	s_wait_dscnt 0x0
	s_barrier_signal -1
	s_barrier_wait -1
	ds_load_u16 v2, v1
	ds_load_u16 v3, v1 offset:512
	ds_load_u16 v4, v1 offset:1024
	;; [unrolled: 1-line block ×13, first 2 shown]
	s_or_b32 s2, s2, exec_lo
	s_wait_dscnt 0xd
	flat_store_b16 v0, v2, s[0:1] scale_offset
	s_wait_dscnt 0xd
	flat_store_b16 v0, v3, s[0:1] offset:512 scale_offset
	s_wait_dscnt 0xd
	flat_store_b16 v0, v4, s[0:1] offset:1024 scale_offset
	;; [unrolled: 2-line block ×12, first 2 shown]
.LBB1352_235:
	s_wait_xcnt 0x0
	s_delay_alu instid0(VALU_DEP_1)
	s_and_saveexec_b32 s3, s2
	s_cbranch_execnz .LBB1352_237
; %bb.236:
	s_endpgm
.LBB1352_237:
	s_wait_dscnt 0x0
	flat_store_b16 v0, v1, s[0:1] offset:6656 scale_offset
	s_endpgm
	.section	.rodata,"a",@progbits
	.p2align	6, 0x0
	.amdhsa_kernel _ZN7rocprim17ROCPRIM_400000_NS6detail17trampoline_kernelINS0_14default_configENS1_27scan_by_key_config_selectorIisEEZZNS1_16scan_by_key_implILNS1_25lookback_scan_determinismE0ELb0ES3_N6thrust23THRUST_200600_302600_NS6detail15normal_iteratorINS9_10device_ptrIiEEEENSB_INSC_IsEEEESG_sNS9_4plusIvEENS9_8equal_toIvEEsEE10hipError_tPvRmT2_T3_T4_T5_mT6_T7_P12ihipStream_tbENKUlT_T0_E_clISt17integral_constantIbLb0EES11_EEDaSW_SX_EUlSW_E_NS1_11comp_targetILNS1_3genE0ELNS1_11target_archE4294967295ELNS1_3gpuE0ELNS1_3repE0EEENS1_30default_config_static_selectorELNS0_4arch9wavefront6targetE0EEEvT1_
		.amdhsa_group_segment_fixed_size 16384
		.amdhsa_private_segment_fixed_size 0
		.amdhsa_kernarg_size 112
		.amdhsa_user_sgpr_count 2
		.amdhsa_user_sgpr_dispatch_ptr 0
		.amdhsa_user_sgpr_queue_ptr 0
		.amdhsa_user_sgpr_kernarg_segment_ptr 1
		.amdhsa_user_sgpr_dispatch_id 0
		.amdhsa_user_sgpr_kernarg_preload_length 0
		.amdhsa_user_sgpr_kernarg_preload_offset 0
		.amdhsa_user_sgpr_private_segment_size 0
		.amdhsa_wavefront_size32 1
		.amdhsa_uses_dynamic_stack 0
		.amdhsa_enable_private_segment 0
		.amdhsa_system_sgpr_workgroup_id_x 1
		.amdhsa_system_sgpr_workgroup_id_y 0
		.amdhsa_system_sgpr_workgroup_id_z 0
		.amdhsa_system_sgpr_workgroup_info 0
		.amdhsa_system_vgpr_workitem_id 0
		.amdhsa_next_free_vgpr 45
		.amdhsa_next_free_sgpr 44
		.amdhsa_named_barrier_count 0
		.amdhsa_reserve_vcc 1
		.amdhsa_float_round_mode_32 0
		.amdhsa_float_round_mode_16_64 0
		.amdhsa_float_denorm_mode_32 3
		.amdhsa_float_denorm_mode_16_64 3
		.amdhsa_fp16_overflow 0
		.amdhsa_memory_ordered 1
		.amdhsa_forward_progress 1
		.amdhsa_inst_pref_size 117
		.amdhsa_round_robin_scheduling 0
		.amdhsa_exception_fp_ieee_invalid_op 0
		.amdhsa_exception_fp_denorm_src 0
		.amdhsa_exception_fp_ieee_div_zero 0
		.amdhsa_exception_fp_ieee_overflow 0
		.amdhsa_exception_fp_ieee_underflow 0
		.amdhsa_exception_fp_ieee_inexact 0
		.amdhsa_exception_int_div_zero 0
	.end_amdhsa_kernel
	.section	.text._ZN7rocprim17ROCPRIM_400000_NS6detail17trampoline_kernelINS0_14default_configENS1_27scan_by_key_config_selectorIisEEZZNS1_16scan_by_key_implILNS1_25lookback_scan_determinismE0ELb0ES3_N6thrust23THRUST_200600_302600_NS6detail15normal_iteratorINS9_10device_ptrIiEEEENSB_INSC_IsEEEESG_sNS9_4plusIvEENS9_8equal_toIvEEsEE10hipError_tPvRmT2_T3_T4_T5_mT6_T7_P12ihipStream_tbENKUlT_T0_E_clISt17integral_constantIbLb0EES11_EEDaSW_SX_EUlSW_E_NS1_11comp_targetILNS1_3genE0ELNS1_11target_archE4294967295ELNS1_3gpuE0ELNS1_3repE0EEENS1_30default_config_static_selectorELNS0_4arch9wavefront6targetE0EEEvT1_,"axG",@progbits,_ZN7rocprim17ROCPRIM_400000_NS6detail17trampoline_kernelINS0_14default_configENS1_27scan_by_key_config_selectorIisEEZZNS1_16scan_by_key_implILNS1_25lookback_scan_determinismE0ELb0ES3_N6thrust23THRUST_200600_302600_NS6detail15normal_iteratorINS9_10device_ptrIiEEEENSB_INSC_IsEEEESG_sNS9_4plusIvEENS9_8equal_toIvEEsEE10hipError_tPvRmT2_T3_T4_T5_mT6_T7_P12ihipStream_tbENKUlT_T0_E_clISt17integral_constantIbLb0EES11_EEDaSW_SX_EUlSW_E_NS1_11comp_targetILNS1_3genE0ELNS1_11target_archE4294967295ELNS1_3gpuE0ELNS1_3repE0EEENS1_30default_config_static_selectorELNS0_4arch9wavefront6targetE0EEEvT1_,comdat
.Lfunc_end1352:
	.size	_ZN7rocprim17ROCPRIM_400000_NS6detail17trampoline_kernelINS0_14default_configENS1_27scan_by_key_config_selectorIisEEZZNS1_16scan_by_key_implILNS1_25lookback_scan_determinismE0ELb0ES3_N6thrust23THRUST_200600_302600_NS6detail15normal_iteratorINS9_10device_ptrIiEEEENSB_INSC_IsEEEESG_sNS9_4plusIvEENS9_8equal_toIvEEsEE10hipError_tPvRmT2_T3_T4_T5_mT6_T7_P12ihipStream_tbENKUlT_T0_E_clISt17integral_constantIbLb0EES11_EEDaSW_SX_EUlSW_E_NS1_11comp_targetILNS1_3genE0ELNS1_11target_archE4294967295ELNS1_3gpuE0ELNS1_3repE0EEENS1_30default_config_static_selectorELNS0_4arch9wavefront6targetE0EEEvT1_, .Lfunc_end1352-_ZN7rocprim17ROCPRIM_400000_NS6detail17trampoline_kernelINS0_14default_configENS1_27scan_by_key_config_selectorIisEEZZNS1_16scan_by_key_implILNS1_25lookback_scan_determinismE0ELb0ES3_N6thrust23THRUST_200600_302600_NS6detail15normal_iteratorINS9_10device_ptrIiEEEENSB_INSC_IsEEEESG_sNS9_4plusIvEENS9_8equal_toIvEEsEE10hipError_tPvRmT2_T3_T4_T5_mT6_T7_P12ihipStream_tbENKUlT_T0_E_clISt17integral_constantIbLb0EES11_EEDaSW_SX_EUlSW_E_NS1_11comp_targetILNS1_3genE0ELNS1_11target_archE4294967295ELNS1_3gpuE0ELNS1_3repE0EEENS1_30default_config_static_selectorELNS0_4arch9wavefront6targetE0EEEvT1_
                                        ; -- End function
	.set _ZN7rocprim17ROCPRIM_400000_NS6detail17trampoline_kernelINS0_14default_configENS1_27scan_by_key_config_selectorIisEEZZNS1_16scan_by_key_implILNS1_25lookback_scan_determinismE0ELb0ES3_N6thrust23THRUST_200600_302600_NS6detail15normal_iteratorINS9_10device_ptrIiEEEENSB_INSC_IsEEEESG_sNS9_4plusIvEENS9_8equal_toIvEEsEE10hipError_tPvRmT2_T3_T4_T5_mT6_T7_P12ihipStream_tbENKUlT_T0_E_clISt17integral_constantIbLb0EES11_EEDaSW_SX_EUlSW_E_NS1_11comp_targetILNS1_3genE0ELNS1_11target_archE4294967295ELNS1_3gpuE0ELNS1_3repE0EEENS1_30default_config_static_selectorELNS0_4arch9wavefront6targetE0EEEvT1_.num_vgpr, 45
	.set _ZN7rocprim17ROCPRIM_400000_NS6detail17trampoline_kernelINS0_14default_configENS1_27scan_by_key_config_selectorIisEEZZNS1_16scan_by_key_implILNS1_25lookback_scan_determinismE0ELb0ES3_N6thrust23THRUST_200600_302600_NS6detail15normal_iteratorINS9_10device_ptrIiEEEENSB_INSC_IsEEEESG_sNS9_4plusIvEENS9_8equal_toIvEEsEE10hipError_tPvRmT2_T3_T4_T5_mT6_T7_P12ihipStream_tbENKUlT_T0_E_clISt17integral_constantIbLb0EES11_EEDaSW_SX_EUlSW_E_NS1_11comp_targetILNS1_3genE0ELNS1_11target_archE4294967295ELNS1_3gpuE0ELNS1_3repE0EEENS1_30default_config_static_selectorELNS0_4arch9wavefront6targetE0EEEvT1_.num_agpr, 0
	.set _ZN7rocprim17ROCPRIM_400000_NS6detail17trampoline_kernelINS0_14default_configENS1_27scan_by_key_config_selectorIisEEZZNS1_16scan_by_key_implILNS1_25lookback_scan_determinismE0ELb0ES3_N6thrust23THRUST_200600_302600_NS6detail15normal_iteratorINS9_10device_ptrIiEEEENSB_INSC_IsEEEESG_sNS9_4plusIvEENS9_8equal_toIvEEsEE10hipError_tPvRmT2_T3_T4_T5_mT6_T7_P12ihipStream_tbENKUlT_T0_E_clISt17integral_constantIbLb0EES11_EEDaSW_SX_EUlSW_E_NS1_11comp_targetILNS1_3genE0ELNS1_11target_archE4294967295ELNS1_3gpuE0ELNS1_3repE0EEENS1_30default_config_static_selectorELNS0_4arch9wavefront6targetE0EEEvT1_.numbered_sgpr, 44
	.set _ZN7rocprim17ROCPRIM_400000_NS6detail17trampoline_kernelINS0_14default_configENS1_27scan_by_key_config_selectorIisEEZZNS1_16scan_by_key_implILNS1_25lookback_scan_determinismE0ELb0ES3_N6thrust23THRUST_200600_302600_NS6detail15normal_iteratorINS9_10device_ptrIiEEEENSB_INSC_IsEEEESG_sNS9_4plusIvEENS9_8equal_toIvEEsEE10hipError_tPvRmT2_T3_T4_T5_mT6_T7_P12ihipStream_tbENKUlT_T0_E_clISt17integral_constantIbLb0EES11_EEDaSW_SX_EUlSW_E_NS1_11comp_targetILNS1_3genE0ELNS1_11target_archE4294967295ELNS1_3gpuE0ELNS1_3repE0EEENS1_30default_config_static_selectorELNS0_4arch9wavefront6targetE0EEEvT1_.num_named_barrier, 0
	.set _ZN7rocprim17ROCPRIM_400000_NS6detail17trampoline_kernelINS0_14default_configENS1_27scan_by_key_config_selectorIisEEZZNS1_16scan_by_key_implILNS1_25lookback_scan_determinismE0ELb0ES3_N6thrust23THRUST_200600_302600_NS6detail15normal_iteratorINS9_10device_ptrIiEEEENSB_INSC_IsEEEESG_sNS9_4plusIvEENS9_8equal_toIvEEsEE10hipError_tPvRmT2_T3_T4_T5_mT6_T7_P12ihipStream_tbENKUlT_T0_E_clISt17integral_constantIbLb0EES11_EEDaSW_SX_EUlSW_E_NS1_11comp_targetILNS1_3genE0ELNS1_11target_archE4294967295ELNS1_3gpuE0ELNS1_3repE0EEENS1_30default_config_static_selectorELNS0_4arch9wavefront6targetE0EEEvT1_.private_seg_size, 0
	.set _ZN7rocprim17ROCPRIM_400000_NS6detail17trampoline_kernelINS0_14default_configENS1_27scan_by_key_config_selectorIisEEZZNS1_16scan_by_key_implILNS1_25lookback_scan_determinismE0ELb0ES3_N6thrust23THRUST_200600_302600_NS6detail15normal_iteratorINS9_10device_ptrIiEEEENSB_INSC_IsEEEESG_sNS9_4plusIvEENS9_8equal_toIvEEsEE10hipError_tPvRmT2_T3_T4_T5_mT6_T7_P12ihipStream_tbENKUlT_T0_E_clISt17integral_constantIbLb0EES11_EEDaSW_SX_EUlSW_E_NS1_11comp_targetILNS1_3genE0ELNS1_11target_archE4294967295ELNS1_3gpuE0ELNS1_3repE0EEENS1_30default_config_static_selectorELNS0_4arch9wavefront6targetE0EEEvT1_.uses_vcc, 1
	.set _ZN7rocprim17ROCPRIM_400000_NS6detail17trampoline_kernelINS0_14default_configENS1_27scan_by_key_config_selectorIisEEZZNS1_16scan_by_key_implILNS1_25lookback_scan_determinismE0ELb0ES3_N6thrust23THRUST_200600_302600_NS6detail15normal_iteratorINS9_10device_ptrIiEEEENSB_INSC_IsEEEESG_sNS9_4plusIvEENS9_8equal_toIvEEsEE10hipError_tPvRmT2_T3_T4_T5_mT6_T7_P12ihipStream_tbENKUlT_T0_E_clISt17integral_constantIbLb0EES11_EEDaSW_SX_EUlSW_E_NS1_11comp_targetILNS1_3genE0ELNS1_11target_archE4294967295ELNS1_3gpuE0ELNS1_3repE0EEENS1_30default_config_static_selectorELNS0_4arch9wavefront6targetE0EEEvT1_.uses_flat_scratch, 1
	.set _ZN7rocprim17ROCPRIM_400000_NS6detail17trampoline_kernelINS0_14default_configENS1_27scan_by_key_config_selectorIisEEZZNS1_16scan_by_key_implILNS1_25lookback_scan_determinismE0ELb0ES3_N6thrust23THRUST_200600_302600_NS6detail15normal_iteratorINS9_10device_ptrIiEEEENSB_INSC_IsEEEESG_sNS9_4plusIvEENS9_8equal_toIvEEsEE10hipError_tPvRmT2_T3_T4_T5_mT6_T7_P12ihipStream_tbENKUlT_T0_E_clISt17integral_constantIbLb0EES11_EEDaSW_SX_EUlSW_E_NS1_11comp_targetILNS1_3genE0ELNS1_11target_archE4294967295ELNS1_3gpuE0ELNS1_3repE0EEENS1_30default_config_static_selectorELNS0_4arch9wavefront6targetE0EEEvT1_.has_dyn_sized_stack, 0
	.set _ZN7rocprim17ROCPRIM_400000_NS6detail17trampoline_kernelINS0_14default_configENS1_27scan_by_key_config_selectorIisEEZZNS1_16scan_by_key_implILNS1_25lookback_scan_determinismE0ELb0ES3_N6thrust23THRUST_200600_302600_NS6detail15normal_iteratorINS9_10device_ptrIiEEEENSB_INSC_IsEEEESG_sNS9_4plusIvEENS9_8equal_toIvEEsEE10hipError_tPvRmT2_T3_T4_T5_mT6_T7_P12ihipStream_tbENKUlT_T0_E_clISt17integral_constantIbLb0EES11_EEDaSW_SX_EUlSW_E_NS1_11comp_targetILNS1_3genE0ELNS1_11target_archE4294967295ELNS1_3gpuE0ELNS1_3repE0EEENS1_30default_config_static_selectorELNS0_4arch9wavefront6targetE0EEEvT1_.has_recursion, 0
	.set _ZN7rocprim17ROCPRIM_400000_NS6detail17trampoline_kernelINS0_14default_configENS1_27scan_by_key_config_selectorIisEEZZNS1_16scan_by_key_implILNS1_25lookback_scan_determinismE0ELb0ES3_N6thrust23THRUST_200600_302600_NS6detail15normal_iteratorINS9_10device_ptrIiEEEENSB_INSC_IsEEEESG_sNS9_4plusIvEENS9_8equal_toIvEEsEE10hipError_tPvRmT2_T3_T4_T5_mT6_T7_P12ihipStream_tbENKUlT_T0_E_clISt17integral_constantIbLb0EES11_EEDaSW_SX_EUlSW_E_NS1_11comp_targetILNS1_3genE0ELNS1_11target_archE4294967295ELNS1_3gpuE0ELNS1_3repE0EEENS1_30default_config_static_selectorELNS0_4arch9wavefront6targetE0EEEvT1_.has_indirect_call, 0
	.section	.AMDGPU.csdata,"",@progbits
; Kernel info:
; codeLenInByte = 14860
; TotalNumSgprs: 46
; NumVgprs: 45
; ScratchSize: 0
; MemoryBound: 0
; FloatMode: 240
; IeeeMode: 1
; LDSByteSize: 16384 bytes/workgroup (compile time only)
; SGPRBlocks: 0
; VGPRBlocks: 2
; NumSGPRsForWavesPerEU: 46
; NumVGPRsForWavesPerEU: 45
; NamedBarCnt: 0
; Occupancy: 16
; WaveLimiterHint : 1
; COMPUTE_PGM_RSRC2:SCRATCH_EN: 0
; COMPUTE_PGM_RSRC2:USER_SGPR: 2
; COMPUTE_PGM_RSRC2:TRAP_HANDLER: 0
; COMPUTE_PGM_RSRC2:TGID_X_EN: 1
; COMPUTE_PGM_RSRC2:TGID_Y_EN: 0
; COMPUTE_PGM_RSRC2:TGID_Z_EN: 0
; COMPUTE_PGM_RSRC2:TIDIG_COMP_CNT: 0
	.section	.text._ZN7rocprim17ROCPRIM_400000_NS6detail17trampoline_kernelINS0_14default_configENS1_27scan_by_key_config_selectorIisEEZZNS1_16scan_by_key_implILNS1_25lookback_scan_determinismE0ELb0ES3_N6thrust23THRUST_200600_302600_NS6detail15normal_iteratorINS9_10device_ptrIiEEEENSB_INSC_IsEEEESG_sNS9_4plusIvEENS9_8equal_toIvEEsEE10hipError_tPvRmT2_T3_T4_T5_mT6_T7_P12ihipStream_tbENKUlT_T0_E_clISt17integral_constantIbLb0EES11_EEDaSW_SX_EUlSW_E_NS1_11comp_targetILNS1_3genE10ELNS1_11target_archE1201ELNS1_3gpuE5ELNS1_3repE0EEENS1_30default_config_static_selectorELNS0_4arch9wavefront6targetE0EEEvT1_,"axG",@progbits,_ZN7rocprim17ROCPRIM_400000_NS6detail17trampoline_kernelINS0_14default_configENS1_27scan_by_key_config_selectorIisEEZZNS1_16scan_by_key_implILNS1_25lookback_scan_determinismE0ELb0ES3_N6thrust23THRUST_200600_302600_NS6detail15normal_iteratorINS9_10device_ptrIiEEEENSB_INSC_IsEEEESG_sNS9_4plusIvEENS9_8equal_toIvEEsEE10hipError_tPvRmT2_T3_T4_T5_mT6_T7_P12ihipStream_tbENKUlT_T0_E_clISt17integral_constantIbLb0EES11_EEDaSW_SX_EUlSW_E_NS1_11comp_targetILNS1_3genE10ELNS1_11target_archE1201ELNS1_3gpuE5ELNS1_3repE0EEENS1_30default_config_static_selectorELNS0_4arch9wavefront6targetE0EEEvT1_,comdat
	.protected	_ZN7rocprim17ROCPRIM_400000_NS6detail17trampoline_kernelINS0_14default_configENS1_27scan_by_key_config_selectorIisEEZZNS1_16scan_by_key_implILNS1_25lookback_scan_determinismE0ELb0ES3_N6thrust23THRUST_200600_302600_NS6detail15normal_iteratorINS9_10device_ptrIiEEEENSB_INSC_IsEEEESG_sNS9_4plusIvEENS9_8equal_toIvEEsEE10hipError_tPvRmT2_T3_T4_T5_mT6_T7_P12ihipStream_tbENKUlT_T0_E_clISt17integral_constantIbLb0EES11_EEDaSW_SX_EUlSW_E_NS1_11comp_targetILNS1_3genE10ELNS1_11target_archE1201ELNS1_3gpuE5ELNS1_3repE0EEENS1_30default_config_static_selectorELNS0_4arch9wavefront6targetE0EEEvT1_ ; -- Begin function _ZN7rocprim17ROCPRIM_400000_NS6detail17trampoline_kernelINS0_14default_configENS1_27scan_by_key_config_selectorIisEEZZNS1_16scan_by_key_implILNS1_25lookback_scan_determinismE0ELb0ES3_N6thrust23THRUST_200600_302600_NS6detail15normal_iteratorINS9_10device_ptrIiEEEENSB_INSC_IsEEEESG_sNS9_4plusIvEENS9_8equal_toIvEEsEE10hipError_tPvRmT2_T3_T4_T5_mT6_T7_P12ihipStream_tbENKUlT_T0_E_clISt17integral_constantIbLb0EES11_EEDaSW_SX_EUlSW_E_NS1_11comp_targetILNS1_3genE10ELNS1_11target_archE1201ELNS1_3gpuE5ELNS1_3repE0EEENS1_30default_config_static_selectorELNS0_4arch9wavefront6targetE0EEEvT1_
	.globl	_ZN7rocprim17ROCPRIM_400000_NS6detail17trampoline_kernelINS0_14default_configENS1_27scan_by_key_config_selectorIisEEZZNS1_16scan_by_key_implILNS1_25lookback_scan_determinismE0ELb0ES3_N6thrust23THRUST_200600_302600_NS6detail15normal_iteratorINS9_10device_ptrIiEEEENSB_INSC_IsEEEESG_sNS9_4plusIvEENS9_8equal_toIvEEsEE10hipError_tPvRmT2_T3_T4_T5_mT6_T7_P12ihipStream_tbENKUlT_T0_E_clISt17integral_constantIbLb0EES11_EEDaSW_SX_EUlSW_E_NS1_11comp_targetILNS1_3genE10ELNS1_11target_archE1201ELNS1_3gpuE5ELNS1_3repE0EEENS1_30default_config_static_selectorELNS0_4arch9wavefront6targetE0EEEvT1_
	.p2align	8
	.type	_ZN7rocprim17ROCPRIM_400000_NS6detail17trampoline_kernelINS0_14default_configENS1_27scan_by_key_config_selectorIisEEZZNS1_16scan_by_key_implILNS1_25lookback_scan_determinismE0ELb0ES3_N6thrust23THRUST_200600_302600_NS6detail15normal_iteratorINS9_10device_ptrIiEEEENSB_INSC_IsEEEESG_sNS9_4plusIvEENS9_8equal_toIvEEsEE10hipError_tPvRmT2_T3_T4_T5_mT6_T7_P12ihipStream_tbENKUlT_T0_E_clISt17integral_constantIbLb0EES11_EEDaSW_SX_EUlSW_E_NS1_11comp_targetILNS1_3genE10ELNS1_11target_archE1201ELNS1_3gpuE5ELNS1_3repE0EEENS1_30default_config_static_selectorELNS0_4arch9wavefront6targetE0EEEvT1_,@function
_ZN7rocprim17ROCPRIM_400000_NS6detail17trampoline_kernelINS0_14default_configENS1_27scan_by_key_config_selectorIisEEZZNS1_16scan_by_key_implILNS1_25lookback_scan_determinismE0ELb0ES3_N6thrust23THRUST_200600_302600_NS6detail15normal_iteratorINS9_10device_ptrIiEEEENSB_INSC_IsEEEESG_sNS9_4plusIvEENS9_8equal_toIvEEsEE10hipError_tPvRmT2_T3_T4_T5_mT6_T7_P12ihipStream_tbENKUlT_T0_E_clISt17integral_constantIbLb0EES11_EEDaSW_SX_EUlSW_E_NS1_11comp_targetILNS1_3genE10ELNS1_11target_archE1201ELNS1_3gpuE5ELNS1_3repE0EEENS1_30default_config_static_selectorELNS0_4arch9wavefront6targetE0EEEvT1_: ; @_ZN7rocprim17ROCPRIM_400000_NS6detail17trampoline_kernelINS0_14default_configENS1_27scan_by_key_config_selectorIisEEZZNS1_16scan_by_key_implILNS1_25lookback_scan_determinismE0ELb0ES3_N6thrust23THRUST_200600_302600_NS6detail15normal_iteratorINS9_10device_ptrIiEEEENSB_INSC_IsEEEESG_sNS9_4plusIvEENS9_8equal_toIvEEsEE10hipError_tPvRmT2_T3_T4_T5_mT6_T7_P12ihipStream_tbENKUlT_T0_E_clISt17integral_constantIbLb0EES11_EEDaSW_SX_EUlSW_E_NS1_11comp_targetILNS1_3genE10ELNS1_11target_archE1201ELNS1_3gpuE5ELNS1_3repE0EEENS1_30default_config_static_selectorELNS0_4arch9wavefront6targetE0EEEvT1_
; %bb.0:
	.section	.rodata,"a",@progbits
	.p2align	6, 0x0
	.amdhsa_kernel _ZN7rocprim17ROCPRIM_400000_NS6detail17trampoline_kernelINS0_14default_configENS1_27scan_by_key_config_selectorIisEEZZNS1_16scan_by_key_implILNS1_25lookback_scan_determinismE0ELb0ES3_N6thrust23THRUST_200600_302600_NS6detail15normal_iteratorINS9_10device_ptrIiEEEENSB_INSC_IsEEEESG_sNS9_4plusIvEENS9_8equal_toIvEEsEE10hipError_tPvRmT2_T3_T4_T5_mT6_T7_P12ihipStream_tbENKUlT_T0_E_clISt17integral_constantIbLb0EES11_EEDaSW_SX_EUlSW_E_NS1_11comp_targetILNS1_3genE10ELNS1_11target_archE1201ELNS1_3gpuE5ELNS1_3repE0EEENS1_30default_config_static_selectorELNS0_4arch9wavefront6targetE0EEEvT1_
		.amdhsa_group_segment_fixed_size 0
		.amdhsa_private_segment_fixed_size 0
		.amdhsa_kernarg_size 112
		.amdhsa_user_sgpr_count 2
		.amdhsa_user_sgpr_dispatch_ptr 0
		.amdhsa_user_sgpr_queue_ptr 0
		.amdhsa_user_sgpr_kernarg_segment_ptr 1
		.amdhsa_user_sgpr_dispatch_id 0
		.amdhsa_user_sgpr_kernarg_preload_length 0
		.amdhsa_user_sgpr_kernarg_preload_offset 0
		.amdhsa_user_sgpr_private_segment_size 0
		.amdhsa_wavefront_size32 1
		.amdhsa_uses_dynamic_stack 0
		.amdhsa_enable_private_segment 0
		.amdhsa_system_sgpr_workgroup_id_x 1
		.amdhsa_system_sgpr_workgroup_id_y 0
		.amdhsa_system_sgpr_workgroup_id_z 0
		.amdhsa_system_sgpr_workgroup_info 0
		.amdhsa_system_vgpr_workitem_id 0
		.amdhsa_next_free_vgpr 1
		.amdhsa_next_free_sgpr 1
		.amdhsa_named_barrier_count 0
		.amdhsa_reserve_vcc 0
		.amdhsa_float_round_mode_32 0
		.amdhsa_float_round_mode_16_64 0
		.amdhsa_float_denorm_mode_32 3
		.amdhsa_float_denorm_mode_16_64 3
		.amdhsa_fp16_overflow 0
		.amdhsa_memory_ordered 1
		.amdhsa_forward_progress 1
		.amdhsa_inst_pref_size 0
		.amdhsa_round_robin_scheduling 0
		.amdhsa_exception_fp_ieee_invalid_op 0
		.amdhsa_exception_fp_denorm_src 0
		.amdhsa_exception_fp_ieee_div_zero 0
		.amdhsa_exception_fp_ieee_overflow 0
		.amdhsa_exception_fp_ieee_underflow 0
		.amdhsa_exception_fp_ieee_inexact 0
		.amdhsa_exception_int_div_zero 0
	.end_amdhsa_kernel
	.section	.text._ZN7rocprim17ROCPRIM_400000_NS6detail17trampoline_kernelINS0_14default_configENS1_27scan_by_key_config_selectorIisEEZZNS1_16scan_by_key_implILNS1_25lookback_scan_determinismE0ELb0ES3_N6thrust23THRUST_200600_302600_NS6detail15normal_iteratorINS9_10device_ptrIiEEEENSB_INSC_IsEEEESG_sNS9_4plusIvEENS9_8equal_toIvEEsEE10hipError_tPvRmT2_T3_T4_T5_mT6_T7_P12ihipStream_tbENKUlT_T0_E_clISt17integral_constantIbLb0EES11_EEDaSW_SX_EUlSW_E_NS1_11comp_targetILNS1_3genE10ELNS1_11target_archE1201ELNS1_3gpuE5ELNS1_3repE0EEENS1_30default_config_static_selectorELNS0_4arch9wavefront6targetE0EEEvT1_,"axG",@progbits,_ZN7rocprim17ROCPRIM_400000_NS6detail17trampoline_kernelINS0_14default_configENS1_27scan_by_key_config_selectorIisEEZZNS1_16scan_by_key_implILNS1_25lookback_scan_determinismE0ELb0ES3_N6thrust23THRUST_200600_302600_NS6detail15normal_iteratorINS9_10device_ptrIiEEEENSB_INSC_IsEEEESG_sNS9_4plusIvEENS9_8equal_toIvEEsEE10hipError_tPvRmT2_T3_T4_T5_mT6_T7_P12ihipStream_tbENKUlT_T0_E_clISt17integral_constantIbLb0EES11_EEDaSW_SX_EUlSW_E_NS1_11comp_targetILNS1_3genE10ELNS1_11target_archE1201ELNS1_3gpuE5ELNS1_3repE0EEENS1_30default_config_static_selectorELNS0_4arch9wavefront6targetE0EEEvT1_,comdat
.Lfunc_end1353:
	.size	_ZN7rocprim17ROCPRIM_400000_NS6detail17trampoline_kernelINS0_14default_configENS1_27scan_by_key_config_selectorIisEEZZNS1_16scan_by_key_implILNS1_25lookback_scan_determinismE0ELb0ES3_N6thrust23THRUST_200600_302600_NS6detail15normal_iteratorINS9_10device_ptrIiEEEENSB_INSC_IsEEEESG_sNS9_4plusIvEENS9_8equal_toIvEEsEE10hipError_tPvRmT2_T3_T4_T5_mT6_T7_P12ihipStream_tbENKUlT_T0_E_clISt17integral_constantIbLb0EES11_EEDaSW_SX_EUlSW_E_NS1_11comp_targetILNS1_3genE10ELNS1_11target_archE1201ELNS1_3gpuE5ELNS1_3repE0EEENS1_30default_config_static_selectorELNS0_4arch9wavefront6targetE0EEEvT1_, .Lfunc_end1353-_ZN7rocprim17ROCPRIM_400000_NS6detail17trampoline_kernelINS0_14default_configENS1_27scan_by_key_config_selectorIisEEZZNS1_16scan_by_key_implILNS1_25lookback_scan_determinismE0ELb0ES3_N6thrust23THRUST_200600_302600_NS6detail15normal_iteratorINS9_10device_ptrIiEEEENSB_INSC_IsEEEESG_sNS9_4plusIvEENS9_8equal_toIvEEsEE10hipError_tPvRmT2_T3_T4_T5_mT6_T7_P12ihipStream_tbENKUlT_T0_E_clISt17integral_constantIbLb0EES11_EEDaSW_SX_EUlSW_E_NS1_11comp_targetILNS1_3genE10ELNS1_11target_archE1201ELNS1_3gpuE5ELNS1_3repE0EEENS1_30default_config_static_selectorELNS0_4arch9wavefront6targetE0EEEvT1_
                                        ; -- End function
	.set _ZN7rocprim17ROCPRIM_400000_NS6detail17trampoline_kernelINS0_14default_configENS1_27scan_by_key_config_selectorIisEEZZNS1_16scan_by_key_implILNS1_25lookback_scan_determinismE0ELb0ES3_N6thrust23THRUST_200600_302600_NS6detail15normal_iteratorINS9_10device_ptrIiEEEENSB_INSC_IsEEEESG_sNS9_4plusIvEENS9_8equal_toIvEEsEE10hipError_tPvRmT2_T3_T4_T5_mT6_T7_P12ihipStream_tbENKUlT_T0_E_clISt17integral_constantIbLb0EES11_EEDaSW_SX_EUlSW_E_NS1_11comp_targetILNS1_3genE10ELNS1_11target_archE1201ELNS1_3gpuE5ELNS1_3repE0EEENS1_30default_config_static_selectorELNS0_4arch9wavefront6targetE0EEEvT1_.num_vgpr, 0
	.set _ZN7rocprim17ROCPRIM_400000_NS6detail17trampoline_kernelINS0_14default_configENS1_27scan_by_key_config_selectorIisEEZZNS1_16scan_by_key_implILNS1_25lookback_scan_determinismE0ELb0ES3_N6thrust23THRUST_200600_302600_NS6detail15normal_iteratorINS9_10device_ptrIiEEEENSB_INSC_IsEEEESG_sNS9_4plusIvEENS9_8equal_toIvEEsEE10hipError_tPvRmT2_T3_T4_T5_mT6_T7_P12ihipStream_tbENKUlT_T0_E_clISt17integral_constantIbLb0EES11_EEDaSW_SX_EUlSW_E_NS1_11comp_targetILNS1_3genE10ELNS1_11target_archE1201ELNS1_3gpuE5ELNS1_3repE0EEENS1_30default_config_static_selectorELNS0_4arch9wavefront6targetE0EEEvT1_.num_agpr, 0
	.set _ZN7rocprim17ROCPRIM_400000_NS6detail17trampoline_kernelINS0_14default_configENS1_27scan_by_key_config_selectorIisEEZZNS1_16scan_by_key_implILNS1_25lookback_scan_determinismE0ELb0ES3_N6thrust23THRUST_200600_302600_NS6detail15normal_iteratorINS9_10device_ptrIiEEEENSB_INSC_IsEEEESG_sNS9_4plusIvEENS9_8equal_toIvEEsEE10hipError_tPvRmT2_T3_T4_T5_mT6_T7_P12ihipStream_tbENKUlT_T0_E_clISt17integral_constantIbLb0EES11_EEDaSW_SX_EUlSW_E_NS1_11comp_targetILNS1_3genE10ELNS1_11target_archE1201ELNS1_3gpuE5ELNS1_3repE0EEENS1_30default_config_static_selectorELNS0_4arch9wavefront6targetE0EEEvT1_.numbered_sgpr, 0
	.set _ZN7rocprim17ROCPRIM_400000_NS6detail17trampoline_kernelINS0_14default_configENS1_27scan_by_key_config_selectorIisEEZZNS1_16scan_by_key_implILNS1_25lookback_scan_determinismE0ELb0ES3_N6thrust23THRUST_200600_302600_NS6detail15normal_iteratorINS9_10device_ptrIiEEEENSB_INSC_IsEEEESG_sNS9_4plusIvEENS9_8equal_toIvEEsEE10hipError_tPvRmT2_T3_T4_T5_mT6_T7_P12ihipStream_tbENKUlT_T0_E_clISt17integral_constantIbLb0EES11_EEDaSW_SX_EUlSW_E_NS1_11comp_targetILNS1_3genE10ELNS1_11target_archE1201ELNS1_3gpuE5ELNS1_3repE0EEENS1_30default_config_static_selectorELNS0_4arch9wavefront6targetE0EEEvT1_.num_named_barrier, 0
	.set _ZN7rocprim17ROCPRIM_400000_NS6detail17trampoline_kernelINS0_14default_configENS1_27scan_by_key_config_selectorIisEEZZNS1_16scan_by_key_implILNS1_25lookback_scan_determinismE0ELb0ES3_N6thrust23THRUST_200600_302600_NS6detail15normal_iteratorINS9_10device_ptrIiEEEENSB_INSC_IsEEEESG_sNS9_4plusIvEENS9_8equal_toIvEEsEE10hipError_tPvRmT2_T3_T4_T5_mT6_T7_P12ihipStream_tbENKUlT_T0_E_clISt17integral_constantIbLb0EES11_EEDaSW_SX_EUlSW_E_NS1_11comp_targetILNS1_3genE10ELNS1_11target_archE1201ELNS1_3gpuE5ELNS1_3repE0EEENS1_30default_config_static_selectorELNS0_4arch9wavefront6targetE0EEEvT1_.private_seg_size, 0
	.set _ZN7rocprim17ROCPRIM_400000_NS6detail17trampoline_kernelINS0_14default_configENS1_27scan_by_key_config_selectorIisEEZZNS1_16scan_by_key_implILNS1_25lookback_scan_determinismE0ELb0ES3_N6thrust23THRUST_200600_302600_NS6detail15normal_iteratorINS9_10device_ptrIiEEEENSB_INSC_IsEEEESG_sNS9_4plusIvEENS9_8equal_toIvEEsEE10hipError_tPvRmT2_T3_T4_T5_mT6_T7_P12ihipStream_tbENKUlT_T0_E_clISt17integral_constantIbLb0EES11_EEDaSW_SX_EUlSW_E_NS1_11comp_targetILNS1_3genE10ELNS1_11target_archE1201ELNS1_3gpuE5ELNS1_3repE0EEENS1_30default_config_static_selectorELNS0_4arch9wavefront6targetE0EEEvT1_.uses_vcc, 0
	.set _ZN7rocprim17ROCPRIM_400000_NS6detail17trampoline_kernelINS0_14default_configENS1_27scan_by_key_config_selectorIisEEZZNS1_16scan_by_key_implILNS1_25lookback_scan_determinismE0ELb0ES3_N6thrust23THRUST_200600_302600_NS6detail15normal_iteratorINS9_10device_ptrIiEEEENSB_INSC_IsEEEESG_sNS9_4plusIvEENS9_8equal_toIvEEsEE10hipError_tPvRmT2_T3_T4_T5_mT6_T7_P12ihipStream_tbENKUlT_T0_E_clISt17integral_constantIbLb0EES11_EEDaSW_SX_EUlSW_E_NS1_11comp_targetILNS1_3genE10ELNS1_11target_archE1201ELNS1_3gpuE5ELNS1_3repE0EEENS1_30default_config_static_selectorELNS0_4arch9wavefront6targetE0EEEvT1_.uses_flat_scratch, 0
	.set _ZN7rocprim17ROCPRIM_400000_NS6detail17trampoline_kernelINS0_14default_configENS1_27scan_by_key_config_selectorIisEEZZNS1_16scan_by_key_implILNS1_25lookback_scan_determinismE0ELb0ES3_N6thrust23THRUST_200600_302600_NS6detail15normal_iteratorINS9_10device_ptrIiEEEENSB_INSC_IsEEEESG_sNS9_4plusIvEENS9_8equal_toIvEEsEE10hipError_tPvRmT2_T3_T4_T5_mT6_T7_P12ihipStream_tbENKUlT_T0_E_clISt17integral_constantIbLb0EES11_EEDaSW_SX_EUlSW_E_NS1_11comp_targetILNS1_3genE10ELNS1_11target_archE1201ELNS1_3gpuE5ELNS1_3repE0EEENS1_30default_config_static_selectorELNS0_4arch9wavefront6targetE0EEEvT1_.has_dyn_sized_stack, 0
	.set _ZN7rocprim17ROCPRIM_400000_NS6detail17trampoline_kernelINS0_14default_configENS1_27scan_by_key_config_selectorIisEEZZNS1_16scan_by_key_implILNS1_25lookback_scan_determinismE0ELb0ES3_N6thrust23THRUST_200600_302600_NS6detail15normal_iteratorINS9_10device_ptrIiEEEENSB_INSC_IsEEEESG_sNS9_4plusIvEENS9_8equal_toIvEEsEE10hipError_tPvRmT2_T3_T4_T5_mT6_T7_P12ihipStream_tbENKUlT_T0_E_clISt17integral_constantIbLb0EES11_EEDaSW_SX_EUlSW_E_NS1_11comp_targetILNS1_3genE10ELNS1_11target_archE1201ELNS1_3gpuE5ELNS1_3repE0EEENS1_30default_config_static_selectorELNS0_4arch9wavefront6targetE0EEEvT1_.has_recursion, 0
	.set _ZN7rocprim17ROCPRIM_400000_NS6detail17trampoline_kernelINS0_14default_configENS1_27scan_by_key_config_selectorIisEEZZNS1_16scan_by_key_implILNS1_25lookback_scan_determinismE0ELb0ES3_N6thrust23THRUST_200600_302600_NS6detail15normal_iteratorINS9_10device_ptrIiEEEENSB_INSC_IsEEEESG_sNS9_4plusIvEENS9_8equal_toIvEEsEE10hipError_tPvRmT2_T3_T4_T5_mT6_T7_P12ihipStream_tbENKUlT_T0_E_clISt17integral_constantIbLb0EES11_EEDaSW_SX_EUlSW_E_NS1_11comp_targetILNS1_3genE10ELNS1_11target_archE1201ELNS1_3gpuE5ELNS1_3repE0EEENS1_30default_config_static_selectorELNS0_4arch9wavefront6targetE0EEEvT1_.has_indirect_call, 0
	.section	.AMDGPU.csdata,"",@progbits
; Kernel info:
; codeLenInByte = 0
; TotalNumSgprs: 0
; NumVgprs: 0
; ScratchSize: 0
; MemoryBound: 0
; FloatMode: 240
; IeeeMode: 1
; LDSByteSize: 0 bytes/workgroup (compile time only)
; SGPRBlocks: 0
; VGPRBlocks: 0
; NumSGPRsForWavesPerEU: 1
; NumVGPRsForWavesPerEU: 1
; NamedBarCnt: 0
; Occupancy: 16
; WaveLimiterHint : 0
; COMPUTE_PGM_RSRC2:SCRATCH_EN: 0
; COMPUTE_PGM_RSRC2:USER_SGPR: 2
; COMPUTE_PGM_RSRC2:TRAP_HANDLER: 0
; COMPUTE_PGM_RSRC2:TGID_X_EN: 1
; COMPUTE_PGM_RSRC2:TGID_Y_EN: 0
; COMPUTE_PGM_RSRC2:TGID_Z_EN: 0
; COMPUTE_PGM_RSRC2:TIDIG_COMP_CNT: 0
	.section	.text._ZN7rocprim17ROCPRIM_400000_NS6detail17trampoline_kernelINS0_14default_configENS1_27scan_by_key_config_selectorIisEEZZNS1_16scan_by_key_implILNS1_25lookback_scan_determinismE0ELb0ES3_N6thrust23THRUST_200600_302600_NS6detail15normal_iteratorINS9_10device_ptrIiEEEENSB_INSC_IsEEEESG_sNS9_4plusIvEENS9_8equal_toIvEEsEE10hipError_tPvRmT2_T3_T4_T5_mT6_T7_P12ihipStream_tbENKUlT_T0_E_clISt17integral_constantIbLb0EES11_EEDaSW_SX_EUlSW_E_NS1_11comp_targetILNS1_3genE5ELNS1_11target_archE942ELNS1_3gpuE9ELNS1_3repE0EEENS1_30default_config_static_selectorELNS0_4arch9wavefront6targetE0EEEvT1_,"axG",@progbits,_ZN7rocprim17ROCPRIM_400000_NS6detail17trampoline_kernelINS0_14default_configENS1_27scan_by_key_config_selectorIisEEZZNS1_16scan_by_key_implILNS1_25lookback_scan_determinismE0ELb0ES3_N6thrust23THRUST_200600_302600_NS6detail15normal_iteratorINS9_10device_ptrIiEEEENSB_INSC_IsEEEESG_sNS9_4plusIvEENS9_8equal_toIvEEsEE10hipError_tPvRmT2_T3_T4_T5_mT6_T7_P12ihipStream_tbENKUlT_T0_E_clISt17integral_constantIbLb0EES11_EEDaSW_SX_EUlSW_E_NS1_11comp_targetILNS1_3genE5ELNS1_11target_archE942ELNS1_3gpuE9ELNS1_3repE0EEENS1_30default_config_static_selectorELNS0_4arch9wavefront6targetE0EEEvT1_,comdat
	.protected	_ZN7rocprim17ROCPRIM_400000_NS6detail17trampoline_kernelINS0_14default_configENS1_27scan_by_key_config_selectorIisEEZZNS1_16scan_by_key_implILNS1_25lookback_scan_determinismE0ELb0ES3_N6thrust23THRUST_200600_302600_NS6detail15normal_iteratorINS9_10device_ptrIiEEEENSB_INSC_IsEEEESG_sNS9_4plusIvEENS9_8equal_toIvEEsEE10hipError_tPvRmT2_T3_T4_T5_mT6_T7_P12ihipStream_tbENKUlT_T0_E_clISt17integral_constantIbLb0EES11_EEDaSW_SX_EUlSW_E_NS1_11comp_targetILNS1_3genE5ELNS1_11target_archE942ELNS1_3gpuE9ELNS1_3repE0EEENS1_30default_config_static_selectorELNS0_4arch9wavefront6targetE0EEEvT1_ ; -- Begin function _ZN7rocprim17ROCPRIM_400000_NS6detail17trampoline_kernelINS0_14default_configENS1_27scan_by_key_config_selectorIisEEZZNS1_16scan_by_key_implILNS1_25lookback_scan_determinismE0ELb0ES3_N6thrust23THRUST_200600_302600_NS6detail15normal_iteratorINS9_10device_ptrIiEEEENSB_INSC_IsEEEESG_sNS9_4plusIvEENS9_8equal_toIvEEsEE10hipError_tPvRmT2_T3_T4_T5_mT6_T7_P12ihipStream_tbENKUlT_T0_E_clISt17integral_constantIbLb0EES11_EEDaSW_SX_EUlSW_E_NS1_11comp_targetILNS1_3genE5ELNS1_11target_archE942ELNS1_3gpuE9ELNS1_3repE0EEENS1_30default_config_static_selectorELNS0_4arch9wavefront6targetE0EEEvT1_
	.globl	_ZN7rocprim17ROCPRIM_400000_NS6detail17trampoline_kernelINS0_14default_configENS1_27scan_by_key_config_selectorIisEEZZNS1_16scan_by_key_implILNS1_25lookback_scan_determinismE0ELb0ES3_N6thrust23THRUST_200600_302600_NS6detail15normal_iteratorINS9_10device_ptrIiEEEENSB_INSC_IsEEEESG_sNS9_4plusIvEENS9_8equal_toIvEEsEE10hipError_tPvRmT2_T3_T4_T5_mT6_T7_P12ihipStream_tbENKUlT_T0_E_clISt17integral_constantIbLb0EES11_EEDaSW_SX_EUlSW_E_NS1_11comp_targetILNS1_3genE5ELNS1_11target_archE942ELNS1_3gpuE9ELNS1_3repE0EEENS1_30default_config_static_selectorELNS0_4arch9wavefront6targetE0EEEvT1_
	.p2align	8
	.type	_ZN7rocprim17ROCPRIM_400000_NS6detail17trampoline_kernelINS0_14default_configENS1_27scan_by_key_config_selectorIisEEZZNS1_16scan_by_key_implILNS1_25lookback_scan_determinismE0ELb0ES3_N6thrust23THRUST_200600_302600_NS6detail15normal_iteratorINS9_10device_ptrIiEEEENSB_INSC_IsEEEESG_sNS9_4plusIvEENS9_8equal_toIvEEsEE10hipError_tPvRmT2_T3_T4_T5_mT6_T7_P12ihipStream_tbENKUlT_T0_E_clISt17integral_constantIbLb0EES11_EEDaSW_SX_EUlSW_E_NS1_11comp_targetILNS1_3genE5ELNS1_11target_archE942ELNS1_3gpuE9ELNS1_3repE0EEENS1_30default_config_static_selectorELNS0_4arch9wavefront6targetE0EEEvT1_,@function
_ZN7rocprim17ROCPRIM_400000_NS6detail17trampoline_kernelINS0_14default_configENS1_27scan_by_key_config_selectorIisEEZZNS1_16scan_by_key_implILNS1_25lookback_scan_determinismE0ELb0ES3_N6thrust23THRUST_200600_302600_NS6detail15normal_iteratorINS9_10device_ptrIiEEEENSB_INSC_IsEEEESG_sNS9_4plusIvEENS9_8equal_toIvEEsEE10hipError_tPvRmT2_T3_T4_T5_mT6_T7_P12ihipStream_tbENKUlT_T0_E_clISt17integral_constantIbLb0EES11_EEDaSW_SX_EUlSW_E_NS1_11comp_targetILNS1_3genE5ELNS1_11target_archE942ELNS1_3gpuE9ELNS1_3repE0EEENS1_30default_config_static_selectorELNS0_4arch9wavefront6targetE0EEEvT1_: ; @_ZN7rocprim17ROCPRIM_400000_NS6detail17trampoline_kernelINS0_14default_configENS1_27scan_by_key_config_selectorIisEEZZNS1_16scan_by_key_implILNS1_25lookback_scan_determinismE0ELb0ES3_N6thrust23THRUST_200600_302600_NS6detail15normal_iteratorINS9_10device_ptrIiEEEENSB_INSC_IsEEEESG_sNS9_4plusIvEENS9_8equal_toIvEEsEE10hipError_tPvRmT2_T3_T4_T5_mT6_T7_P12ihipStream_tbENKUlT_T0_E_clISt17integral_constantIbLb0EES11_EEDaSW_SX_EUlSW_E_NS1_11comp_targetILNS1_3genE5ELNS1_11target_archE942ELNS1_3gpuE9ELNS1_3repE0EEENS1_30default_config_static_selectorELNS0_4arch9wavefront6targetE0EEEvT1_
; %bb.0:
	.section	.rodata,"a",@progbits
	.p2align	6, 0x0
	.amdhsa_kernel _ZN7rocprim17ROCPRIM_400000_NS6detail17trampoline_kernelINS0_14default_configENS1_27scan_by_key_config_selectorIisEEZZNS1_16scan_by_key_implILNS1_25lookback_scan_determinismE0ELb0ES3_N6thrust23THRUST_200600_302600_NS6detail15normal_iteratorINS9_10device_ptrIiEEEENSB_INSC_IsEEEESG_sNS9_4plusIvEENS9_8equal_toIvEEsEE10hipError_tPvRmT2_T3_T4_T5_mT6_T7_P12ihipStream_tbENKUlT_T0_E_clISt17integral_constantIbLb0EES11_EEDaSW_SX_EUlSW_E_NS1_11comp_targetILNS1_3genE5ELNS1_11target_archE942ELNS1_3gpuE9ELNS1_3repE0EEENS1_30default_config_static_selectorELNS0_4arch9wavefront6targetE0EEEvT1_
		.amdhsa_group_segment_fixed_size 0
		.amdhsa_private_segment_fixed_size 0
		.amdhsa_kernarg_size 112
		.amdhsa_user_sgpr_count 2
		.amdhsa_user_sgpr_dispatch_ptr 0
		.amdhsa_user_sgpr_queue_ptr 0
		.amdhsa_user_sgpr_kernarg_segment_ptr 1
		.amdhsa_user_sgpr_dispatch_id 0
		.amdhsa_user_sgpr_kernarg_preload_length 0
		.amdhsa_user_sgpr_kernarg_preload_offset 0
		.amdhsa_user_sgpr_private_segment_size 0
		.amdhsa_wavefront_size32 1
		.amdhsa_uses_dynamic_stack 0
		.amdhsa_enable_private_segment 0
		.amdhsa_system_sgpr_workgroup_id_x 1
		.amdhsa_system_sgpr_workgroup_id_y 0
		.amdhsa_system_sgpr_workgroup_id_z 0
		.amdhsa_system_sgpr_workgroup_info 0
		.amdhsa_system_vgpr_workitem_id 0
		.amdhsa_next_free_vgpr 1
		.amdhsa_next_free_sgpr 1
		.amdhsa_named_barrier_count 0
		.amdhsa_reserve_vcc 0
		.amdhsa_float_round_mode_32 0
		.amdhsa_float_round_mode_16_64 0
		.amdhsa_float_denorm_mode_32 3
		.amdhsa_float_denorm_mode_16_64 3
		.amdhsa_fp16_overflow 0
		.amdhsa_memory_ordered 1
		.amdhsa_forward_progress 1
		.amdhsa_inst_pref_size 0
		.amdhsa_round_robin_scheduling 0
		.amdhsa_exception_fp_ieee_invalid_op 0
		.amdhsa_exception_fp_denorm_src 0
		.amdhsa_exception_fp_ieee_div_zero 0
		.amdhsa_exception_fp_ieee_overflow 0
		.amdhsa_exception_fp_ieee_underflow 0
		.amdhsa_exception_fp_ieee_inexact 0
		.amdhsa_exception_int_div_zero 0
	.end_amdhsa_kernel
	.section	.text._ZN7rocprim17ROCPRIM_400000_NS6detail17trampoline_kernelINS0_14default_configENS1_27scan_by_key_config_selectorIisEEZZNS1_16scan_by_key_implILNS1_25lookback_scan_determinismE0ELb0ES3_N6thrust23THRUST_200600_302600_NS6detail15normal_iteratorINS9_10device_ptrIiEEEENSB_INSC_IsEEEESG_sNS9_4plusIvEENS9_8equal_toIvEEsEE10hipError_tPvRmT2_T3_T4_T5_mT6_T7_P12ihipStream_tbENKUlT_T0_E_clISt17integral_constantIbLb0EES11_EEDaSW_SX_EUlSW_E_NS1_11comp_targetILNS1_3genE5ELNS1_11target_archE942ELNS1_3gpuE9ELNS1_3repE0EEENS1_30default_config_static_selectorELNS0_4arch9wavefront6targetE0EEEvT1_,"axG",@progbits,_ZN7rocprim17ROCPRIM_400000_NS6detail17trampoline_kernelINS0_14default_configENS1_27scan_by_key_config_selectorIisEEZZNS1_16scan_by_key_implILNS1_25lookback_scan_determinismE0ELb0ES3_N6thrust23THRUST_200600_302600_NS6detail15normal_iteratorINS9_10device_ptrIiEEEENSB_INSC_IsEEEESG_sNS9_4plusIvEENS9_8equal_toIvEEsEE10hipError_tPvRmT2_T3_T4_T5_mT6_T7_P12ihipStream_tbENKUlT_T0_E_clISt17integral_constantIbLb0EES11_EEDaSW_SX_EUlSW_E_NS1_11comp_targetILNS1_3genE5ELNS1_11target_archE942ELNS1_3gpuE9ELNS1_3repE0EEENS1_30default_config_static_selectorELNS0_4arch9wavefront6targetE0EEEvT1_,comdat
.Lfunc_end1354:
	.size	_ZN7rocprim17ROCPRIM_400000_NS6detail17trampoline_kernelINS0_14default_configENS1_27scan_by_key_config_selectorIisEEZZNS1_16scan_by_key_implILNS1_25lookback_scan_determinismE0ELb0ES3_N6thrust23THRUST_200600_302600_NS6detail15normal_iteratorINS9_10device_ptrIiEEEENSB_INSC_IsEEEESG_sNS9_4plusIvEENS9_8equal_toIvEEsEE10hipError_tPvRmT2_T3_T4_T5_mT6_T7_P12ihipStream_tbENKUlT_T0_E_clISt17integral_constantIbLb0EES11_EEDaSW_SX_EUlSW_E_NS1_11comp_targetILNS1_3genE5ELNS1_11target_archE942ELNS1_3gpuE9ELNS1_3repE0EEENS1_30default_config_static_selectorELNS0_4arch9wavefront6targetE0EEEvT1_, .Lfunc_end1354-_ZN7rocprim17ROCPRIM_400000_NS6detail17trampoline_kernelINS0_14default_configENS1_27scan_by_key_config_selectorIisEEZZNS1_16scan_by_key_implILNS1_25lookback_scan_determinismE0ELb0ES3_N6thrust23THRUST_200600_302600_NS6detail15normal_iteratorINS9_10device_ptrIiEEEENSB_INSC_IsEEEESG_sNS9_4plusIvEENS9_8equal_toIvEEsEE10hipError_tPvRmT2_T3_T4_T5_mT6_T7_P12ihipStream_tbENKUlT_T0_E_clISt17integral_constantIbLb0EES11_EEDaSW_SX_EUlSW_E_NS1_11comp_targetILNS1_3genE5ELNS1_11target_archE942ELNS1_3gpuE9ELNS1_3repE0EEENS1_30default_config_static_selectorELNS0_4arch9wavefront6targetE0EEEvT1_
                                        ; -- End function
	.set _ZN7rocprim17ROCPRIM_400000_NS6detail17trampoline_kernelINS0_14default_configENS1_27scan_by_key_config_selectorIisEEZZNS1_16scan_by_key_implILNS1_25lookback_scan_determinismE0ELb0ES3_N6thrust23THRUST_200600_302600_NS6detail15normal_iteratorINS9_10device_ptrIiEEEENSB_INSC_IsEEEESG_sNS9_4plusIvEENS9_8equal_toIvEEsEE10hipError_tPvRmT2_T3_T4_T5_mT6_T7_P12ihipStream_tbENKUlT_T0_E_clISt17integral_constantIbLb0EES11_EEDaSW_SX_EUlSW_E_NS1_11comp_targetILNS1_3genE5ELNS1_11target_archE942ELNS1_3gpuE9ELNS1_3repE0EEENS1_30default_config_static_selectorELNS0_4arch9wavefront6targetE0EEEvT1_.num_vgpr, 0
	.set _ZN7rocprim17ROCPRIM_400000_NS6detail17trampoline_kernelINS0_14default_configENS1_27scan_by_key_config_selectorIisEEZZNS1_16scan_by_key_implILNS1_25lookback_scan_determinismE0ELb0ES3_N6thrust23THRUST_200600_302600_NS6detail15normal_iteratorINS9_10device_ptrIiEEEENSB_INSC_IsEEEESG_sNS9_4plusIvEENS9_8equal_toIvEEsEE10hipError_tPvRmT2_T3_T4_T5_mT6_T7_P12ihipStream_tbENKUlT_T0_E_clISt17integral_constantIbLb0EES11_EEDaSW_SX_EUlSW_E_NS1_11comp_targetILNS1_3genE5ELNS1_11target_archE942ELNS1_3gpuE9ELNS1_3repE0EEENS1_30default_config_static_selectorELNS0_4arch9wavefront6targetE0EEEvT1_.num_agpr, 0
	.set _ZN7rocprim17ROCPRIM_400000_NS6detail17trampoline_kernelINS0_14default_configENS1_27scan_by_key_config_selectorIisEEZZNS1_16scan_by_key_implILNS1_25lookback_scan_determinismE0ELb0ES3_N6thrust23THRUST_200600_302600_NS6detail15normal_iteratorINS9_10device_ptrIiEEEENSB_INSC_IsEEEESG_sNS9_4plusIvEENS9_8equal_toIvEEsEE10hipError_tPvRmT2_T3_T4_T5_mT6_T7_P12ihipStream_tbENKUlT_T0_E_clISt17integral_constantIbLb0EES11_EEDaSW_SX_EUlSW_E_NS1_11comp_targetILNS1_3genE5ELNS1_11target_archE942ELNS1_3gpuE9ELNS1_3repE0EEENS1_30default_config_static_selectorELNS0_4arch9wavefront6targetE0EEEvT1_.numbered_sgpr, 0
	.set _ZN7rocprim17ROCPRIM_400000_NS6detail17trampoline_kernelINS0_14default_configENS1_27scan_by_key_config_selectorIisEEZZNS1_16scan_by_key_implILNS1_25lookback_scan_determinismE0ELb0ES3_N6thrust23THRUST_200600_302600_NS6detail15normal_iteratorINS9_10device_ptrIiEEEENSB_INSC_IsEEEESG_sNS9_4plusIvEENS9_8equal_toIvEEsEE10hipError_tPvRmT2_T3_T4_T5_mT6_T7_P12ihipStream_tbENKUlT_T0_E_clISt17integral_constantIbLb0EES11_EEDaSW_SX_EUlSW_E_NS1_11comp_targetILNS1_3genE5ELNS1_11target_archE942ELNS1_3gpuE9ELNS1_3repE0EEENS1_30default_config_static_selectorELNS0_4arch9wavefront6targetE0EEEvT1_.num_named_barrier, 0
	.set _ZN7rocprim17ROCPRIM_400000_NS6detail17trampoline_kernelINS0_14default_configENS1_27scan_by_key_config_selectorIisEEZZNS1_16scan_by_key_implILNS1_25lookback_scan_determinismE0ELb0ES3_N6thrust23THRUST_200600_302600_NS6detail15normal_iteratorINS9_10device_ptrIiEEEENSB_INSC_IsEEEESG_sNS9_4plusIvEENS9_8equal_toIvEEsEE10hipError_tPvRmT2_T3_T4_T5_mT6_T7_P12ihipStream_tbENKUlT_T0_E_clISt17integral_constantIbLb0EES11_EEDaSW_SX_EUlSW_E_NS1_11comp_targetILNS1_3genE5ELNS1_11target_archE942ELNS1_3gpuE9ELNS1_3repE0EEENS1_30default_config_static_selectorELNS0_4arch9wavefront6targetE0EEEvT1_.private_seg_size, 0
	.set _ZN7rocprim17ROCPRIM_400000_NS6detail17trampoline_kernelINS0_14default_configENS1_27scan_by_key_config_selectorIisEEZZNS1_16scan_by_key_implILNS1_25lookback_scan_determinismE0ELb0ES3_N6thrust23THRUST_200600_302600_NS6detail15normal_iteratorINS9_10device_ptrIiEEEENSB_INSC_IsEEEESG_sNS9_4plusIvEENS9_8equal_toIvEEsEE10hipError_tPvRmT2_T3_T4_T5_mT6_T7_P12ihipStream_tbENKUlT_T0_E_clISt17integral_constantIbLb0EES11_EEDaSW_SX_EUlSW_E_NS1_11comp_targetILNS1_3genE5ELNS1_11target_archE942ELNS1_3gpuE9ELNS1_3repE0EEENS1_30default_config_static_selectorELNS0_4arch9wavefront6targetE0EEEvT1_.uses_vcc, 0
	.set _ZN7rocprim17ROCPRIM_400000_NS6detail17trampoline_kernelINS0_14default_configENS1_27scan_by_key_config_selectorIisEEZZNS1_16scan_by_key_implILNS1_25lookback_scan_determinismE0ELb0ES3_N6thrust23THRUST_200600_302600_NS6detail15normal_iteratorINS9_10device_ptrIiEEEENSB_INSC_IsEEEESG_sNS9_4plusIvEENS9_8equal_toIvEEsEE10hipError_tPvRmT2_T3_T4_T5_mT6_T7_P12ihipStream_tbENKUlT_T0_E_clISt17integral_constantIbLb0EES11_EEDaSW_SX_EUlSW_E_NS1_11comp_targetILNS1_3genE5ELNS1_11target_archE942ELNS1_3gpuE9ELNS1_3repE0EEENS1_30default_config_static_selectorELNS0_4arch9wavefront6targetE0EEEvT1_.uses_flat_scratch, 0
	.set _ZN7rocprim17ROCPRIM_400000_NS6detail17trampoline_kernelINS0_14default_configENS1_27scan_by_key_config_selectorIisEEZZNS1_16scan_by_key_implILNS1_25lookback_scan_determinismE0ELb0ES3_N6thrust23THRUST_200600_302600_NS6detail15normal_iteratorINS9_10device_ptrIiEEEENSB_INSC_IsEEEESG_sNS9_4plusIvEENS9_8equal_toIvEEsEE10hipError_tPvRmT2_T3_T4_T5_mT6_T7_P12ihipStream_tbENKUlT_T0_E_clISt17integral_constantIbLb0EES11_EEDaSW_SX_EUlSW_E_NS1_11comp_targetILNS1_3genE5ELNS1_11target_archE942ELNS1_3gpuE9ELNS1_3repE0EEENS1_30default_config_static_selectorELNS0_4arch9wavefront6targetE0EEEvT1_.has_dyn_sized_stack, 0
	.set _ZN7rocprim17ROCPRIM_400000_NS6detail17trampoline_kernelINS0_14default_configENS1_27scan_by_key_config_selectorIisEEZZNS1_16scan_by_key_implILNS1_25lookback_scan_determinismE0ELb0ES3_N6thrust23THRUST_200600_302600_NS6detail15normal_iteratorINS9_10device_ptrIiEEEENSB_INSC_IsEEEESG_sNS9_4plusIvEENS9_8equal_toIvEEsEE10hipError_tPvRmT2_T3_T4_T5_mT6_T7_P12ihipStream_tbENKUlT_T0_E_clISt17integral_constantIbLb0EES11_EEDaSW_SX_EUlSW_E_NS1_11comp_targetILNS1_3genE5ELNS1_11target_archE942ELNS1_3gpuE9ELNS1_3repE0EEENS1_30default_config_static_selectorELNS0_4arch9wavefront6targetE0EEEvT1_.has_recursion, 0
	.set _ZN7rocprim17ROCPRIM_400000_NS6detail17trampoline_kernelINS0_14default_configENS1_27scan_by_key_config_selectorIisEEZZNS1_16scan_by_key_implILNS1_25lookback_scan_determinismE0ELb0ES3_N6thrust23THRUST_200600_302600_NS6detail15normal_iteratorINS9_10device_ptrIiEEEENSB_INSC_IsEEEESG_sNS9_4plusIvEENS9_8equal_toIvEEsEE10hipError_tPvRmT2_T3_T4_T5_mT6_T7_P12ihipStream_tbENKUlT_T0_E_clISt17integral_constantIbLb0EES11_EEDaSW_SX_EUlSW_E_NS1_11comp_targetILNS1_3genE5ELNS1_11target_archE942ELNS1_3gpuE9ELNS1_3repE0EEENS1_30default_config_static_selectorELNS0_4arch9wavefront6targetE0EEEvT1_.has_indirect_call, 0
	.section	.AMDGPU.csdata,"",@progbits
; Kernel info:
; codeLenInByte = 0
; TotalNumSgprs: 0
; NumVgprs: 0
; ScratchSize: 0
; MemoryBound: 0
; FloatMode: 240
; IeeeMode: 1
; LDSByteSize: 0 bytes/workgroup (compile time only)
; SGPRBlocks: 0
; VGPRBlocks: 0
; NumSGPRsForWavesPerEU: 1
; NumVGPRsForWavesPerEU: 1
; NamedBarCnt: 0
; Occupancy: 16
; WaveLimiterHint : 0
; COMPUTE_PGM_RSRC2:SCRATCH_EN: 0
; COMPUTE_PGM_RSRC2:USER_SGPR: 2
; COMPUTE_PGM_RSRC2:TRAP_HANDLER: 0
; COMPUTE_PGM_RSRC2:TGID_X_EN: 1
; COMPUTE_PGM_RSRC2:TGID_Y_EN: 0
; COMPUTE_PGM_RSRC2:TGID_Z_EN: 0
; COMPUTE_PGM_RSRC2:TIDIG_COMP_CNT: 0
	.section	.text._ZN7rocprim17ROCPRIM_400000_NS6detail17trampoline_kernelINS0_14default_configENS1_27scan_by_key_config_selectorIisEEZZNS1_16scan_by_key_implILNS1_25lookback_scan_determinismE0ELb0ES3_N6thrust23THRUST_200600_302600_NS6detail15normal_iteratorINS9_10device_ptrIiEEEENSB_INSC_IsEEEESG_sNS9_4plusIvEENS9_8equal_toIvEEsEE10hipError_tPvRmT2_T3_T4_T5_mT6_T7_P12ihipStream_tbENKUlT_T0_E_clISt17integral_constantIbLb0EES11_EEDaSW_SX_EUlSW_E_NS1_11comp_targetILNS1_3genE4ELNS1_11target_archE910ELNS1_3gpuE8ELNS1_3repE0EEENS1_30default_config_static_selectorELNS0_4arch9wavefront6targetE0EEEvT1_,"axG",@progbits,_ZN7rocprim17ROCPRIM_400000_NS6detail17trampoline_kernelINS0_14default_configENS1_27scan_by_key_config_selectorIisEEZZNS1_16scan_by_key_implILNS1_25lookback_scan_determinismE0ELb0ES3_N6thrust23THRUST_200600_302600_NS6detail15normal_iteratorINS9_10device_ptrIiEEEENSB_INSC_IsEEEESG_sNS9_4plusIvEENS9_8equal_toIvEEsEE10hipError_tPvRmT2_T3_T4_T5_mT6_T7_P12ihipStream_tbENKUlT_T0_E_clISt17integral_constantIbLb0EES11_EEDaSW_SX_EUlSW_E_NS1_11comp_targetILNS1_3genE4ELNS1_11target_archE910ELNS1_3gpuE8ELNS1_3repE0EEENS1_30default_config_static_selectorELNS0_4arch9wavefront6targetE0EEEvT1_,comdat
	.protected	_ZN7rocprim17ROCPRIM_400000_NS6detail17trampoline_kernelINS0_14default_configENS1_27scan_by_key_config_selectorIisEEZZNS1_16scan_by_key_implILNS1_25lookback_scan_determinismE0ELb0ES3_N6thrust23THRUST_200600_302600_NS6detail15normal_iteratorINS9_10device_ptrIiEEEENSB_INSC_IsEEEESG_sNS9_4plusIvEENS9_8equal_toIvEEsEE10hipError_tPvRmT2_T3_T4_T5_mT6_T7_P12ihipStream_tbENKUlT_T0_E_clISt17integral_constantIbLb0EES11_EEDaSW_SX_EUlSW_E_NS1_11comp_targetILNS1_3genE4ELNS1_11target_archE910ELNS1_3gpuE8ELNS1_3repE0EEENS1_30default_config_static_selectorELNS0_4arch9wavefront6targetE0EEEvT1_ ; -- Begin function _ZN7rocprim17ROCPRIM_400000_NS6detail17trampoline_kernelINS0_14default_configENS1_27scan_by_key_config_selectorIisEEZZNS1_16scan_by_key_implILNS1_25lookback_scan_determinismE0ELb0ES3_N6thrust23THRUST_200600_302600_NS6detail15normal_iteratorINS9_10device_ptrIiEEEENSB_INSC_IsEEEESG_sNS9_4plusIvEENS9_8equal_toIvEEsEE10hipError_tPvRmT2_T3_T4_T5_mT6_T7_P12ihipStream_tbENKUlT_T0_E_clISt17integral_constantIbLb0EES11_EEDaSW_SX_EUlSW_E_NS1_11comp_targetILNS1_3genE4ELNS1_11target_archE910ELNS1_3gpuE8ELNS1_3repE0EEENS1_30default_config_static_selectorELNS0_4arch9wavefront6targetE0EEEvT1_
	.globl	_ZN7rocprim17ROCPRIM_400000_NS6detail17trampoline_kernelINS0_14default_configENS1_27scan_by_key_config_selectorIisEEZZNS1_16scan_by_key_implILNS1_25lookback_scan_determinismE0ELb0ES3_N6thrust23THRUST_200600_302600_NS6detail15normal_iteratorINS9_10device_ptrIiEEEENSB_INSC_IsEEEESG_sNS9_4plusIvEENS9_8equal_toIvEEsEE10hipError_tPvRmT2_T3_T4_T5_mT6_T7_P12ihipStream_tbENKUlT_T0_E_clISt17integral_constantIbLb0EES11_EEDaSW_SX_EUlSW_E_NS1_11comp_targetILNS1_3genE4ELNS1_11target_archE910ELNS1_3gpuE8ELNS1_3repE0EEENS1_30default_config_static_selectorELNS0_4arch9wavefront6targetE0EEEvT1_
	.p2align	8
	.type	_ZN7rocprim17ROCPRIM_400000_NS6detail17trampoline_kernelINS0_14default_configENS1_27scan_by_key_config_selectorIisEEZZNS1_16scan_by_key_implILNS1_25lookback_scan_determinismE0ELb0ES3_N6thrust23THRUST_200600_302600_NS6detail15normal_iteratorINS9_10device_ptrIiEEEENSB_INSC_IsEEEESG_sNS9_4plusIvEENS9_8equal_toIvEEsEE10hipError_tPvRmT2_T3_T4_T5_mT6_T7_P12ihipStream_tbENKUlT_T0_E_clISt17integral_constantIbLb0EES11_EEDaSW_SX_EUlSW_E_NS1_11comp_targetILNS1_3genE4ELNS1_11target_archE910ELNS1_3gpuE8ELNS1_3repE0EEENS1_30default_config_static_selectorELNS0_4arch9wavefront6targetE0EEEvT1_,@function
_ZN7rocprim17ROCPRIM_400000_NS6detail17trampoline_kernelINS0_14default_configENS1_27scan_by_key_config_selectorIisEEZZNS1_16scan_by_key_implILNS1_25lookback_scan_determinismE0ELb0ES3_N6thrust23THRUST_200600_302600_NS6detail15normal_iteratorINS9_10device_ptrIiEEEENSB_INSC_IsEEEESG_sNS9_4plusIvEENS9_8equal_toIvEEsEE10hipError_tPvRmT2_T3_T4_T5_mT6_T7_P12ihipStream_tbENKUlT_T0_E_clISt17integral_constantIbLb0EES11_EEDaSW_SX_EUlSW_E_NS1_11comp_targetILNS1_3genE4ELNS1_11target_archE910ELNS1_3gpuE8ELNS1_3repE0EEENS1_30default_config_static_selectorELNS0_4arch9wavefront6targetE0EEEvT1_: ; @_ZN7rocprim17ROCPRIM_400000_NS6detail17trampoline_kernelINS0_14default_configENS1_27scan_by_key_config_selectorIisEEZZNS1_16scan_by_key_implILNS1_25lookback_scan_determinismE0ELb0ES3_N6thrust23THRUST_200600_302600_NS6detail15normal_iteratorINS9_10device_ptrIiEEEENSB_INSC_IsEEEESG_sNS9_4plusIvEENS9_8equal_toIvEEsEE10hipError_tPvRmT2_T3_T4_T5_mT6_T7_P12ihipStream_tbENKUlT_T0_E_clISt17integral_constantIbLb0EES11_EEDaSW_SX_EUlSW_E_NS1_11comp_targetILNS1_3genE4ELNS1_11target_archE910ELNS1_3gpuE8ELNS1_3repE0EEENS1_30default_config_static_selectorELNS0_4arch9wavefront6targetE0EEEvT1_
; %bb.0:
	.section	.rodata,"a",@progbits
	.p2align	6, 0x0
	.amdhsa_kernel _ZN7rocprim17ROCPRIM_400000_NS6detail17trampoline_kernelINS0_14default_configENS1_27scan_by_key_config_selectorIisEEZZNS1_16scan_by_key_implILNS1_25lookback_scan_determinismE0ELb0ES3_N6thrust23THRUST_200600_302600_NS6detail15normal_iteratorINS9_10device_ptrIiEEEENSB_INSC_IsEEEESG_sNS9_4plusIvEENS9_8equal_toIvEEsEE10hipError_tPvRmT2_T3_T4_T5_mT6_T7_P12ihipStream_tbENKUlT_T0_E_clISt17integral_constantIbLb0EES11_EEDaSW_SX_EUlSW_E_NS1_11comp_targetILNS1_3genE4ELNS1_11target_archE910ELNS1_3gpuE8ELNS1_3repE0EEENS1_30default_config_static_selectorELNS0_4arch9wavefront6targetE0EEEvT1_
		.amdhsa_group_segment_fixed_size 0
		.amdhsa_private_segment_fixed_size 0
		.amdhsa_kernarg_size 112
		.amdhsa_user_sgpr_count 2
		.amdhsa_user_sgpr_dispatch_ptr 0
		.amdhsa_user_sgpr_queue_ptr 0
		.amdhsa_user_sgpr_kernarg_segment_ptr 1
		.amdhsa_user_sgpr_dispatch_id 0
		.amdhsa_user_sgpr_kernarg_preload_length 0
		.amdhsa_user_sgpr_kernarg_preload_offset 0
		.amdhsa_user_sgpr_private_segment_size 0
		.amdhsa_wavefront_size32 1
		.amdhsa_uses_dynamic_stack 0
		.amdhsa_enable_private_segment 0
		.amdhsa_system_sgpr_workgroup_id_x 1
		.amdhsa_system_sgpr_workgroup_id_y 0
		.amdhsa_system_sgpr_workgroup_id_z 0
		.amdhsa_system_sgpr_workgroup_info 0
		.amdhsa_system_vgpr_workitem_id 0
		.amdhsa_next_free_vgpr 1
		.amdhsa_next_free_sgpr 1
		.amdhsa_named_barrier_count 0
		.amdhsa_reserve_vcc 0
		.amdhsa_float_round_mode_32 0
		.amdhsa_float_round_mode_16_64 0
		.amdhsa_float_denorm_mode_32 3
		.amdhsa_float_denorm_mode_16_64 3
		.amdhsa_fp16_overflow 0
		.amdhsa_memory_ordered 1
		.amdhsa_forward_progress 1
		.amdhsa_inst_pref_size 0
		.amdhsa_round_robin_scheduling 0
		.amdhsa_exception_fp_ieee_invalid_op 0
		.amdhsa_exception_fp_denorm_src 0
		.amdhsa_exception_fp_ieee_div_zero 0
		.amdhsa_exception_fp_ieee_overflow 0
		.amdhsa_exception_fp_ieee_underflow 0
		.amdhsa_exception_fp_ieee_inexact 0
		.amdhsa_exception_int_div_zero 0
	.end_amdhsa_kernel
	.section	.text._ZN7rocprim17ROCPRIM_400000_NS6detail17trampoline_kernelINS0_14default_configENS1_27scan_by_key_config_selectorIisEEZZNS1_16scan_by_key_implILNS1_25lookback_scan_determinismE0ELb0ES3_N6thrust23THRUST_200600_302600_NS6detail15normal_iteratorINS9_10device_ptrIiEEEENSB_INSC_IsEEEESG_sNS9_4plusIvEENS9_8equal_toIvEEsEE10hipError_tPvRmT2_T3_T4_T5_mT6_T7_P12ihipStream_tbENKUlT_T0_E_clISt17integral_constantIbLb0EES11_EEDaSW_SX_EUlSW_E_NS1_11comp_targetILNS1_3genE4ELNS1_11target_archE910ELNS1_3gpuE8ELNS1_3repE0EEENS1_30default_config_static_selectorELNS0_4arch9wavefront6targetE0EEEvT1_,"axG",@progbits,_ZN7rocprim17ROCPRIM_400000_NS6detail17trampoline_kernelINS0_14default_configENS1_27scan_by_key_config_selectorIisEEZZNS1_16scan_by_key_implILNS1_25lookback_scan_determinismE0ELb0ES3_N6thrust23THRUST_200600_302600_NS6detail15normal_iteratorINS9_10device_ptrIiEEEENSB_INSC_IsEEEESG_sNS9_4plusIvEENS9_8equal_toIvEEsEE10hipError_tPvRmT2_T3_T4_T5_mT6_T7_P12ihipStream_tbENKUlT_T0_E_clISt17integral_constantIbLb0EES11_EEDaSW_SX_EUlSW_E_NS1_11comp_targetILNS1_3genE4ELNS1_11target_archE910ELNS1_3gpuE8ELNS1_3repE0EEENS1_30default_config_static_selectorELNS0_4arch9wavefront6targetE0EEEvT1_,comdat
.Lfunc_end1355:
	.size	_ZN7rocprim17ROCPRIM_400000_NS6detail17trampoline_kernelINS0_14default_configENS1_27scan_by_key_config_selectorIisEEZZNS1_16scan_by_key_implILNS1_25lookback_scan_determinismE0ELb0ES3_N6thrust23THRUST_200600_302600_NS6detail15normal_iteratorINS9_10device_ptrIiEEEENSB_INSC_IsEEEESG_sNS9_4plusIvEENS9_8equal_toIvEEsEE10hipError_tPvRmT2_T3_T4_T5_mT6_T7_P12ihipStream_tbENKUlT_T0_E_clISt17integral_constantIbLb0EES11_EEDaSW_SX_EUlSW_E_NS1_11comp_targetILNS1_3genE4ELNS1_11target_archE910ELNS1_3gpuE8ELNS1_3repE0EEENS1_30default_config_static_selectorELNS0_4arch9wavefront6targetE0EEEvT1_, .Lfunc_end1355-_ZN7rocprim17ROCPRIM_400000_NS6detail17trampoline_kernelINS0_14default_configENS1_27scan_by_key_config_selectorIisEEZZNS1_16scan_by_key_implILNS1_25lookback_scan_determinismE0ELb0ES3_N6thrust23THRUST_200600_302600_NS6detail15normal_iteratorINS9_10device_ptrIiEEEENSB_INSC_IsEEEESG_sNS9_4plusIvEENS9_8equal_toIvEEsEE10hipError_tPvRmT2_T3_T4_T5_mT6_T7_P12ihipStream_tbENKUlT_T0_E_clISt17integral_constantIbLb0EES11_EEDaSW_SX_EUlSW_E_NS1_11comp_targetILNS1_3genE4ELNS1_11target_archE910ELNS1_3gpuE8ELNS1_3repE0EEENS1_30default_config_static_selectorELNS0_4arch9wavefront6targetE0EEEvT1_
                                        ; -- End function
	.set _ZN7rocprim17ROCPRIM_400000_NS6detail17trampoline_kernelINS0_14default_configENS1_27scan_by_key_config_selectorIisEEZZNS1_16scan_by_key_implILNS1_25lookback_scan_determinismE0ELb0ES3_N6thrust23THRUST_200600_302600_NS6detail15normal_iteratorINS9_10device_ptrIiEEEENSB_INSC_IsEEEESG_sNS9_4plusIvEENS9_8equal_toIvEEsEE10hipError_tPvRmT2_T3_T4_T5_mT6_T7_P12ihipStream_tbENKUlT_T0_E_clISt17integral_constantIbLb0EES11_EEDaSW_SX_EUlSW_E_NS1_11comp_targetILNS1_3genE4ELNS1_11target_archE910ELNS1_3gpuE8ELNS1_3repE0EEENS1_30default_config_static_selectorELNS0_4arch9wavefront6targetE0EEEvT1_.num_vgpr, 0
	.set _ZN7rocprim17ROCPRIM_400000_NS6detail17trampoline_kernelINS0_14default_configENS1_27scan_by_key_config_selectorIisEEZZNS1_16scan_by_key_implILNS1_25lookback_scan_determinismE0ELb0ES3_N6thrust23THRUST_200600_302600_NS6detail15normal_iteratorINS9_10device_ptrIiEEEENSB_INSC_IsEEEESG_sNS9_4plusIvEENS9_8equal_toIvEEsEE10hipError_tPvRmT2_T3_T4_T5_mT6_T7_P12ihipStream_tbENKUlT_T0_E_clISt17integral_constantIbLb0EES11_EEDaSW_SX_EUlSW_E_NS1_11comp_targetILNS1_3genE4ELNS1_11target_archE910ELNS1_3gpuE8ELNS1_3repE0EEENS1_30default_config_static_selectorELNS0_4arch9wavefront6targetE0EEEvT1_.num_agpr, 0
	.set _ZN7rocprim17ROCPRIM_400000_NS6detail17trampoline_kernelINS0_14default_configENS1_27scan_by_key_config_selectorIisEEZZNS1_16scan_by_key_implILNS1_25lookback_scan_determinismE0ELb0ES3_N6thrust23THRUST_200600_302600_NS6detail15normal_iteratorINS9_10device_ptrIiEEEENSB_INSC_IsEEEESG_sNS9_4plusIvEENS9_8equal_toIvEEsEE10hipError_tPvRmT2_T3_T4_T5_mT6_T7_P12ihipStream_tbENKUlT_T0_E_clISt17integral_constantIbLb0EES11_EEDaSW_SX_EUlSW_E_NS1_11comp_targetILNS1_3genE4ELNS1_11target_archE910ELNS1_3gpuE8ELNS1_3repE0EEENS1_30default_config_static_selectorELNS0_4arch9wavefront6targetE0EEEvT1_.numbered_sgpr, 0
	.set _ZN7rocprim17ROCPRIM_400000_NS6detail17trampoline_kernelINS0_14default_configENS1_27scan_by_key_config_selectorIisEEZZNS1_16scan_by_key_implILNS1_25lookback_scan_determinismE0ELb0ES3_N6thrust23THRUST_200600_302600_NS6detail15normal_iteratorINS9_10device_ptrIiEEEENSB_INSC_IsEEEESG_sNS9_4plusIvEENS9_8equal_toIvEEsEE10hipError_tPvRmT2_T3_T4_T5_mT6_T7_P12ihipStream_tbENKUlT_T0_E_clISt17integral_constantIbLb0EES11_EEDaSW_SX_EUlSW_E_NS1_11comp_targetILNS1_3genE4ELNS1_11target_archE910ELNS1_3gpuE8ELNS1_3repE0EEENS1_30default_config_static_selectorELNS0_4arch9wavefront6targetE0EEEvT1_.num_named_barrier, 0
	.set _ZN7rocprim17ROCPRIM_400000_NS6detail17trampoline_kernelINS0_14default_configENS1_27scan_by_key_config_selectorIisEEZZNS1_16scan_by_key_implILNS1_25lookback_scan_determinismE0ELb0ES3_N6thrust23THRUST_200600_302600_NS6detail15normal_iteratorINS9_10device_ptrIiEEEENSB_INSC_IsEEEESG_sNS9_4plusIvEENS9_8equal_toIvEEsEE10hipError_tPvRmT2_T3_T4_T5_mT6_T7_P12ihipStream_tbENKUlT_T0_E_clISt17integral_constantIbLb0EES11_EEDaSW_SX_EUlSW_E_NS1_11comp_targetILNS1_3genE4ELNS1_11target_archE910ELNS1_3gpuE8ELNS1_3repE0EEENS1_30default_config_static_selectorELNS0_4arch9wavefront6targetE0EEEvT1_.private_seg_size, 0
	.set _ZN7rocprim17ROCPRIM_400000_NS6detail17trampoline_kernelINS0_14default_configENS1_27scan_by_key_config_selectorIisEEZZNS1_16scan_by_key_implILNS1_25lookback_scan_determinismE0ELb0ES3_N6thrust23THRUST_200600_302600_NS6detail15normal_iteratorINS9_10device_ptrIiEEEENSB_INSC_IsEEEESG_sNS9_4plusIvEENS9_8equal_toIvEEsEE10hipError_tPvRmT2_T3_T4_T5_mT6_T7_P12ihipStream_tbENKUlT_T0_E_clISt17integral_constantIbLb0EES11_EEDaSW_SX_EUlSW_E_NS1_11comp_targetILNS1_3genE4ELNS1_11target_archE910ELNS1_3gpuE8ELNS1_3repE0EEENS1_30default_config_static_selectorELNS0_4arch9wavefront6targetE0EEEvT1_.uses_vcc, 0
	.set _ZN7rocprim17ROCPRIM_400000_NS6detail17trampoline_kernelINS0_14default_configENS1_27scan_by_key_config_selectorIisEEZZNS1_16scan_by_key_implILNS1_25lookback_scan_determinismE0ELb0ES3_N6thrust23THRUST_200600_302600_NS6detail15normal_iteratorINS9_10device_ptrIiEEEENSB_INSC_IsEEEESG_sNS9_4plusIvEENS9_8equal_toIvEEsEE10hipError_tPvRmT2_T3_T4_T5_mT6_T7_P12ihipStream_tbENKUlT_T0_E_clISt17integral_constantIbLb0EES11_EEDaSW_SX_EUlSW_E_NS1_11comp_targetILNS1_3genE4ELNS1_11target_archE910ELNS1_3gpuE8ELNS1_3repE0EEENS1_30default_config_static_selectorELNS0_4arch9wavefront6targetE0EEEvT1_.uses_flat_scratch, 0
	.set _ZN7rocprim17ROCPRIM_400000_NS6detail17trampoline_kernelINS0_14default_configENS1_27scan_by_key_config_selectorIisEEZZNS1_16scan_by_key_implILNS1_25lookback_scan_determinismE0ELb0ES3_N6thrust23THRUST_200600_302600_NS6detail15normal_iteratorINS9_10device_ptrIiEEEENSB_INSC_IsEEEESG_sNS9_4plusIvEENS9_8equal_toIvEEsEE10hipError_tPvRmT2_T3_T4_T5_mT6_T7_P12ihipStream_tbENKUlT_T0_E_clISt17integral_constantIbLb0EES11_EEDaSW_SX_EUlSW_E_NS1_11comp_targetILNS1_3genE4ELNS1_11target_archE910ELNS1_3gpuE8ELNS1_3repE0EEENS1_30default_config_static_selectorELNS0_4arch9wavefront6targetE0EEEvT1_.has_dyn_sized_stack, 0
	.set _ZN7rocprim17ROCPRIM_400000_NS6detail17trampoline_kernelINS0_14default_configENS1_27scan_by_key_config_selectorIisEEZZNS1_16scan_by_key_implILNS1_25lookback_scan_determinismE0ELb0ES3_N6thrust23THRUST_200600_302600_NS6detail15normal_iteratorINS9_10device_ptrIiEEEENSB_INSC_IsEEEESG_sNS9_4plusIvEENS9_8equal_toIvEEsEE10hipError_tPvRmT2_T3_T4_T5_mT6_T7_P12ihipStream_tbENKUlT_T0_E_clISt17integral_constantIbLb0EES11_EEDaSW_SX_EUlSW_E_NS1_11comp_targetILNS1_3genE4ELNS1_11target_archE910ELNS1_3gpuE8ELNS1_3repE0EEENS1_30default_config_static_selectorELNS0_4arch9wavefront6targetE0EEEvT1_.has_recursion, 0
	.set _ZN7rocprim17ROCPRIM_400000_NS6detail17trampoline_kernelINS0_14default_configENS1_27scan_by_key_config_selectorIisEEZZNS1_16scan_by_key_implILNS1_25lookback_scan_determinismE0ELb0ES3_N6thrust23THRUST_200600_302600_NS6detail15normal_iteratorINS9_10device_ptrIiEEEENSB_INSC_IsEEEESG_sNS9_4plusIvEENS9_8equal_toIvEEsEE10hipError_tPvRmT2_T3_T4_T5_mT6_T7_P12ihipStream_tbENKUlT_T0_E_clISt17integral_constantIbLb0EES11_EEDaSW_SX_EUlSW_E_NS1_11comp_targetILNS1_3genE4ELNS1_11target_archE910ELNS1_3gpuE8ELNS1_3repE0EEENS1_30default_config_static_selectorELNS0_4arch9wavefront6targetE0EEEvT1_.has_indirect_call, 0
	.section	.AMDGPU.csdata,"",@progbits
; Kernel info:
; codeLenInByte = 0
; TotalNumSgprs: 0
; NumVgprs: 0
; ScratchSize: 0
; MemoryBound: 0
; FloatMode: 240
; IeeeMode: 1
; LDSByteSize: 0 bytes/workgroup (compile time only)
; SGPRBlocks: 0
; VGPRBlocks: 0
; NumSGPRsForWavesPerEU: 1
; NumVGPRsForWavesPerEU: 1
; NamedBarCnt: 0
; Occupancy: 16
; WaveLimiterHint : 0
; COMPUTE_PGM_RSRC2:SCRATCH_EN: 0
; COMPUTE_PGM_RSRC2:USER_SGPR: 2
; COMPUTE_PGM_RSRC2:TRAP_HANDLER: 0
; COMPUTE_PGM_RSRC2:TGID_X_EN: 1
; COMPUTE_PGM_RSRC2:TGID_Y_EN: 0
; COMPUTE_PGM_RSRC2:TGID_Z_EN: 0
; COMPUTE_PGM_RSRC2:TIDIG_COMP_CNT: 0
	.section	.text._ZN7rocprim17ROCPRIM_400000_NS6detail17trampoline_kernelINS0_14default_configENS1_27scan_by_key_config_selectorIisEEZZNS1_16scan_by_key_implILNS1_25lookback_scan_determinismE0ELb0ES3_N6thrust23THRUST_200600_302600_NS6detail15normal_iteratorINS9_10device_ptrIiEEEENSB_INSC_IsEEEESG_sNS9_4plusIvEENS9_8equal_toIvEEsEE10hipError_tPvRmT2_T3_T4_T5_mT6_T7_P12ihipStream_tbENKUlT_T0_E_clISt17integral_constantIbLb0EES11_EEDaSW_SX_EUlSW_E_NS1_11comp_targetILNS1_3genE3ELNS1_11target_archE908ELNS1_3gpuE7ELNS1_3repE0EEENS1_30default_config_static_selectorELNS0_4arch9wavefront6targetE0EEEvT1_,"axG",@progbits,_ZN7rocprim17ROCPRIM_400000_NS6detail17trampoline_kernelINS0_14default_configENS1_27scan_by_key_config_selectorIisEEZZNS1_16scan_by_key_implILNS1_25lookback_scan_determinismE0ELb0ES3_N6thrust23THRUST_200600_302600_NS6detail15normal_iteratorINS9_10device_ptrIiEEEENSB_INSC_IsEEEESG_sNS9_4plusIvEENS9_8equal_toIvEEsEE10hipError_tPvRmT2_T3_T4_T5_mT6_T7_P12ihipStream_tbENKUlT_T0_E_clISt17integral_constantIbLb0EES11_EEDaSW_SX_EUlSW_E_NS1_11comp_targetILNS1_3genE3ELNS1_11target_archE908ELNS1_3gpuE7ELNS1_3repE0EEENS1_30default_config_static_selectorELNS0_4arch9wavefront6targetE0EEEvT1_,comdat
	.protected	_ZN7rocprim17ROCPRIM_400000_NS6detail17trampoline_kernelINS0_14default_configENS1_27scan_by_key_config_selectorIisEEZZNS1_16scan_by_key_implILNS1_25lookback_scan_determinismE0ELb0ES3_N6thrust23THRUST_200600_302600_NS6detail15normal_iteratorINS9_10device_ptrIiEEEENSB_INSC_IsEEEESG_sNS9_4plusIvEENS9_8equal_toIvEEsEE10hipError_tPvRmT2_T3_T4_T5_mT6_T7_P12ihipStream_tbENKUlT_T0_E_clISt17integral_constantIbLb0EES11_EEDaSW_SX_EUlSW_E_NS1_11comp_targetILNS1_3genE3ELNS1_11target_archE908ELNS1_3gpuE7ELNS1_3repE0EEENS1_30default_config_static_selectorELNS0_4arch9wavefront6targetE0EEEvT1_ ; -- Begin function _ZN7rocprim17ROCPRIM_400000_NS6detail17trampoline_kernelINS0_14default_configENS1_27scan_by_key_config_selectorIisEEZZNS1_16scan_by_key_implILNS1_25lookback_scan_determinismE0ELb0ES3_N6thrust23THRUST_200600_302600_NS6detail15normal_iteratorINS9_10device_ptrIiEEEENSB_INSC_IsEEEESG_sNS9_4plusIvEENS9_8equal_toIvEEsEE10hipError_tPvRmT2_T3_T4_T5_mT6_T7_P12ihipStream_tbENKUlT_T0_E_clISt17integral_constantIbLb0EES11_EEDaSW_SX_EUlSW_E_NS1_11comp_targetILNS1_3genE3ELNS1_11target_archE908ELNS1_3gpuE7ELNS1_3repE0EEENS1_30default_config_static_selectorELNS0_4arch9wavefront6targetE0EEEvT1_
	.globl	_ZN7rocprim17ROCPRIM_400000_NS6detail17trampoline_kernelINS0_14default_configENS1_27scan_by_key_config_selectorIisEEZZNS1_16scan_by_key_implILNS1_25lookback_scan_determinismE0ELb0ES3_N6thrust23THRUST_200600_302600_NS6detail15normal_iteratorINS9_10device_ptrIiEEEENSB_INSC_IsEEEESG_sNS9_4plusIvEENS9_8equal_toIvEEsEE10hipError_tPvRmT2_T3_T4_T5_mT6_T7_P12ihipStream_tbENKUlT_T0_E_clISt17integral_constantIbLb0EES11_EEDaSW_SX_EUlSW_E_NS1_11comp_targetILNS1_3genE3ELNS1_11target_archE908ELNS1_3gpuE7ELNS1_3repE0EEENS1_30default_config_static_selectorELNS0_4arch9wavefront6targetE0EEEvT1_
	.p2align	8
	.type	_ZN7rocprim17ROCPRIM_400000_NS6detail17trampoline_kernelINS0_14default_configENS1_27scan_by_key_config_selectorIisEEZZNS1_16scan_by_key_implILNS1_25lookback_scan_determinismE0ELb0ES3_N6thrust23THRUST_200600_302600_NS6detail15normal_iteratorINS9_10device_ptrIiEEEENSB_INSC_IsEEEESG_sNS9_4plusIvEENS9_8equal_toIvEEsEE10hipError_tPvRmT2_T3_T4_T5_mT6_T7_P12ihipStream_tbENKUlT_T0_E_clISt17integral_constantIbLb0EES11_EEDaSW_SX_EUlSW_E_NS1_11comp_targetILNS1_3genE3ELNS1_11target_archE908ELNS1_3gpuE7ELNS1_3repE0EEENS1_30default_config_static_selectorELNS0_4arch9wavefront6targetE0EEEvT1_,@function
_ZN7rocprim17ROCPRIM_400000_NS6detail17trampoline_kernelINS0_14default_configENS1_27scan_by_key_config_selectorIisEEZZNS1_16scan_by_key_implILNS1_25lookback_scan_determinismE0ELb0ES3_N6thrust23THRUST_200600_302600_NS6detail15normal_iteratorINS9_10device_ptrIiEEEENSB_INSC_IsEEEESG_sNS9_4plusIvEENS9_8equal_toIvEEsEE10hipError_tPvRmT2_T3_T4_T5_mT6_T7_P12ihipStream_tbENKUlT_T0_E_clISt17integral_constantIbLb0EES11_EEDaSW_SX_EUlSW_E_NS1_11comp_targetILNS1_3genE3ELNS1_11target_archE908ELNS1_3gpuE7ELNS1_3repE0EEENS1_30default_config_static_selectorELNS0_4arch9wavefront6targetE0EEEvT1_: ; @_ZN7rocprim17ROCPRIM_400000_NS6detail17trampoline_kernelINS0_14default_configENS1_27scan_by_key_config_selectorIisEEZZNS1_16scan_by_key_implILNS1_25lookback_scan_determinismE0ELb0ES3_N6thrust23THRUST_200600_302600_NS6detail15normal_iteratorINS9_10device_ptrIiEEEENSB_INSC_IsEEEESG_sNS9_4plusIvEENS9_8equal_toIvEEsEE10hipError_tPvRmT2_T3_T4_T5_mT6_T7_P12ihipStream_tbENKUlT_T0_E_clISt17integral_constantIbLb0EES11_EEDaSW_SX_EUlSW_E_NS1_11comp_targetILNS1_3genE3ELNS1_11target_archE908ELNS1_3gpuE7ELNS1_3repE0EEENS1_30default_config_static_selectorELNS0_4arch9wavefront6targetE0EEEvT1_
; %bb.0:
	.section	.rodata,"a",@progbits
	.p2align	6, 0x0
	.amdhsa_kernel _ZN7rocprim17ROCPRIM_400000_NS6detail17trampoline_kernelINS0_14default_configENS1_27scan_by_key_config_selectorIisEEZZNS1_16scan_by_key_implILNS1_25lookback_scan_determinismE0ELb0ES3_N6thrust23THRUST_200600_302600_NS6detail15normal_iteratorINS9_10device_ptrIiEEEENSB_INSC_IsEEEESG_sNS9_4plusIvEENS9_8equal_toIvEEsEE10hipError_tPvRmT2_T3_T4_T5_mT6_T7_P12ihipStream_tbENKUlT_T0_E_clISt17integral_constantIbLb0EES11_EEDaSW_SX_EUlSW_E_NS1_11comp_targetILNS1_3genE3ELNS1_11target_archE908ELNS1_3gpuE7ELNS1_3repE0EEENS1_30default_config_static_selectorELNS0_4arch9wavefront6targetE0EEEvT1_
		.amdhsa_group_segment_fixed_size 0
		.amdhsa_private_segment_fixed_size 0
		.amdhsa_kernarg_size 112
		.amdhsa_user_sgpr_count 2
		.amdhsa_user_sgpr_dispatch_ptr 0
		.amdhsa_user_sgpr_queue_ptr 0
		.amdhsa_user_sgpr_kernarg_segment_ptr 1
		.amdhsa_user_sgpr_dispatch_id 0
		.amdhsa_user_sgpr_kernarg_preload_length 0
		.amdhsa_user_sgpr_kernarg_preload_offset 0
		.amdhsa_user_sgpr_private_segment_size 0
		.amdhsa_wavefront_size32 1
		.amdhsa_uses_dynamic_stack 0
		.amdhsa_enable_private_segment 0
		.amdhsa_system_sgpr_workgroup_id_x 1
		.amdhsa_system_sgpr_workgroup_id_y 0
		.amdhsa_system_sgpr_workgroup_id_z 0
		.amdhsa_system_sgpr_workgroup_info 0
		.amdhsa_system_vgpr_workitem_id 0
		.amdhsa_next_free_vgpr 1
		.amdhsa_next_free_sgpr 1
		.amdhsa_named_barrier_count 0
		.amdhsa_reserve_vcc 0
		.amdhsa_float_round_mode_32 0
		.amdhsa_float_round_mode_16_64 0
		.amdhsa_float_denorm_mode_32 3
		.amdhsa_float_denorm_mode_16_64 3
		.amdhsa_fp16_overflow 0
		.amdhsa_memory_ordered 1
		.amdhsa_forward_progress 1
		.amdhsa_inst_pref_size 0
		.amdhsa_round_robin_scheduling 0
		.amdhsa_exception_fp_ieee_invalid_op 0
		.amdhsa_exception_fp_denorm_src 0
		.amdhsa_exception_fp_ieee_div_zero 0
		.amdhsa_exception_fp_ieee_overflow 0
		.amdhsa_exception_fp_ieee_underflow 0
		.amdhsa_exception_fp_ieee_inexact 0
		.amdhsa_exception_int_div_zero 0
	.end_amdhsa_kernel
	.section	.text._ZN7rocprim17ROCPRIM_400000_NS6detail17trampoline_kernelINS0_14default_configENS1_27scan_by_key_config_selectorIisEEZZNS1_16scan_by_key_implILNS1_25lookback_scan_determinismE0ELb0ES3_N6thrust23THRUST_200600_302600_NS6detail15normal_iteratorINS9_10device_ptrIiEEEENSB_INSC_IsEEEESG_sNS9_4plusIvEENS9_8equal_toIvEEsEE10hipError_tPvRmT2_T3_T4_T5_mT6_T7_P12ihipStream_tbENKUlT_T0_E_clISt17integral_constantIbLb0EES11_EEDaSW_SX_EUlSW_E_NS1_11comp_targetILNS1_3genE3ELNS1_11target_archE908ELNS1_3gpuE7ELNS1_3repE0EEENS1_30default_config_static_selectorELNS0_4arch9wavefront6targetE0EEEvT1_,"axG",@progbits,_ZN7rocprim17ROCPRIM_400000_NS6detail17trampoline_kernelINS0_14default_configENS1_27scan_by_key_config_selectorIisEEZZNS1_16scan_by_key_implILNS1_25lookback_scan_determinismE0ELb0ES3_N6thrust23THRUST_200600_302600_NS6detail15normal_iteratorINS9_10device_ptrIiEEEENSB_INSC_IsEEEESG_sNS9_4plusIvEENS9_8equal_toIvEEsEE10hipError_tPvRmT2_T3_T4_T5_mT6_T7_P12ihipStream_tbENKUlT_T0_E_clISt17integral_constantIbLb0EES11_EEDaSW_SX_EUlSW_E_NS1_11comp_targetILNS1_3genE3ELNS1_11target_archE908ELNS1_3gpuE7ELNS1_3repE0EEENS1_30default_config_static_selectorELNS0_4arch9wavefront6targetE0EEEvT1_,comdat
.Lfunc_end1356:
	.size	_ZN7rocprim17ROCPRIM_400000_NS6detail17trampoline_kernelINS0_14default_configENS1_27scan_by_key_config_selectorIisEEZZNS1_16scan_by_key_implILNS1_25lookback_scan_determinismE0ELb0ES3_N6thrust23THRUST_200600_302600_NS6detail15normal_iteratorINS9_10device_ptrIiEEEENSB_INSC_IsEEEESG_sNS9_4plusIvEENS9_8equal_toIvEEsEE10hipError_tPvRmT2_T3_T4_T5_mT6_T7_P12ihipStream_tbENKUlT_T0_E_clISt17integral_constantIbLb0EES11_EEDaSW_SX_EUlSW_E_NS1_11comp_targetILNS1_3genE3ELNS1_11target_archE908ELNS1_3gpuE7ELNS1_3repE0EEENS1_30default_config_static_selectorELNS0_4arch9wavefront6targetE0EEEvT1_, .Lfunc_end1356-_ZN7rocprim17ROCPRIM_400000_NS6detail17trampoline_kernelINS0_14default_configENS1_27scan_by_key_config_selectorIisEEZZNS1_16scan_by_key_implILNS1_25lookback_scan_determinismE0ELb0ES3_N6thrust23THRUST_200600_302600_NS6detail15normal_iteratorINS9_10device_ptrIiEEEENSB_INSC_IsEEEESG_sNS9_4plusIvEENS9_8equal_toIvEEsEE10hipError_tPvRmT2_T3_T4_T5_mT6_T7_P12ihipStream_tbENKUlT_T0_E_clISt17integral_constantIbLb0EES11_EEDaSW_SX_EUlSW_E_NS1_11comp_targetILNS1_3genE3ELNS1_11target_archE908ELNS1_3gpuE7ELNS1_3repE0EEENS1_30default_config_static_selectorELNS0_4arch9wavefront6targetE0EEEvT1_
                                        ; -- End function
	.set _ZN7rocprim17ROCPRIM_400000_NS6detail17trampoline_kernelINS0_14default_configENS1_27scan_by_key_config_selectorIisEEZZNS1_16scan_by_key_implILNS1_25lookback_scan_determinismE0ELb0ES3_N6thrust23THRUST_200600_302600_NS6detail15normal_iteratorINS9_10device_ptrIiEEEENSB_INSC_IsEEEESG_sNS9_4plusIvEENS9_8equal_toIvEEsEE10hipError_tPvRmT2_T3_T4_T5_mT6_T7_P12ihipStream_tbENKUlT_T0_E_clISt17integral_constantIbLb0EES11_EEDaSW_SX_EUlSW_E_NS1_11comp_targetILNS1_3genE3ELNS1_11target_archE908ELNS1_3gpuE7ELNS1_3repE0EEENS1_30default_config_static_selectorELNS0_4arch9wavefront6targetE0EEEvT1_.num_vgpr, 0
	.set _ZN7rocprim17ROCPRIM_400000_NS6detail17trampoline_kernelINS0_14default_configENS1_27scan_by_key_config_selectorIisEEZZNS1_16scan_by_key_implILNS1_25lookback_scan_determinismE0ELb0ES3_N6thrust23THRUST_200600_302600_NS6detail15normal_iteratorINS9_10device_ptrIiEEEENSB_INSC_IsEEEESG_sNS9_4plusIvEENS9_8equal_toIvEEsEE10hipError_tPvRmT2_T3_T4_T5_mT6_T7_P12ihipStream_tbENKUlT_T0_E_clISt17integral_constantIbLb0EES11_EEDaSW_SX_EUlSW_E_NS1_11comp_targetILNS1_3genE3ELNS1_11target_archE908ELNS1_3gpuE7ELNS1_3repE0EEENS1_30default_config_static_selectorELNS0_4arch9wavefront6targetE0EEEvT1_.num_agpr, 0
	.set _ZN7rocprim17ROCPRIM_400000_NS6detail17trampoline_kernelINS0_14default_configENS1_27scan_by_key_config_selectorIisEEZZNS1_16scan_by_key_implILNS1_25lookback_scan_determinismE0ELb0ES3_N6thrust23THRUST_200600_302600_NS6detail15normal_iteratorINS9_10device_ptrIiEEEENSB_INSC_IsEEEESG_sNS9_4plusIvEENS9_8equal_toIvEEsEE10hipError_tPvRmT2_T3_T4_T5_mT6_T7_P12ihipStream_tbENKUlT_T0_E_clISt17integral_constantIbLb0EES11_EEDaSW_SX_EUlSW_E_NS1_11comp_targetILNS1_3genE3ELNS1_11target_archE908ELNS1_3gpuE7ELNS1_3repE0EEENS1_30default_config_static_selectorELNS0_4arch9wavefront6targetE0EEEvT1_.numbered_sgpr, 0
	.set _ZN7rocprim17ROCPRIM_400000_NS6detail17trampoline_kernelINS0_14default_configENS1_27scan_by_key_config_selectorIisEEZZNS1_16scan_by_key_implILNS1_25lookback_scan_determinismE0ELb0ES3_N6thrust23THRUST_200600_302600_NS6detail15normal_iteratorINS9_10device_ptrIiEEEENSB_INSC_IsEEEESG_sNS9_4plusIvEENS9_8equal_toIvEEsEE10hipError_tPvRmT2_T3_T4_T5_mT6_T7_P12ihipStream_tbENKUlT_T0_E_clISt17integral_constantIbLb0EES11_EEDaSW_SX_EUlSW_E_NS1_11comp_targetILNS1_3genE3ELNS1_11target_archE908ELNS1_3gpuE7ELNS1_3repE0EEENS1_30default_config_static_selectorELNS0_4arch9wavefront6targetE0EEEvT1_.num_named_barrier, 0
	.set _ZN7rocprim17ROCPRIM_400000_NS6detail17trampoline_kernelINS0_14default_configENS1_27scan_by_key_config_selectorIisEEZZNS1_16scan_by_key_implILNS1_25lookback_scan_determinismE0ELb0ES3_N6thrust23THRUST_200600_302600_NS6detail15normal_iteratorINS9_10device_ptrIiEEEENSB_INSC_IsEEEESG_sNS9_4plusIvEENS9_8equal_toIvEEsEE10hipError_tPvRmT2_T3_T4_T5_mT6_T7_P12ihipStream_tbENKUlT_T0_E_clISt17integral_constantIbLb0EES11_EEDaSW_SX_EUlSW_E_NS1_11comp_targetILNS1_3genE3ELNS1_11target_archE908ELNS1_3gpuE7ELNS1_3repE0EEENS1_30default_config_static_selectorELNS0_4arch9wavefront6targetE0EEEvT1_.private_seg_size, 0
	.set _ZN7rocprim17ROCPRIM_400000_NS6detail17trampoline_kernelINS0_14default_configENS1_27scan_by_key_config_selectorIisEEZZNS1_16scan_by_key_implILNS1_25lookback_scan_determinismE0ELb0ES3_N6thrust23THRUST_200600_302600_NS6detail15normal_iteratorINS9_10device_ptrIiEEEENSB_INSC_IsEEEESG_sNS9_4plusIvEENS9_8equal_toIvEEsEE10hipError_tPvRmT2_T3_T4_T5_mT6_T7_P12ihipStream_tbENKUlT_T0_E_clISt17integral_constantIbLb0EES11_EEDaSW_SX_EUlSW_E_NS1_11comp_targetILNS1_3genE3ELNS1_11target_archE908ELNS1_3gpuE7ELNS1_3repE0EEENS1_30default_config_static_selectorELNS0_4arch9wavefront6targetE0EEEvT1_.uses_vcc, 0
	.set _ZN7rocprim17ROCPRIM_400000_NS6detail17trampoline_kernelINS0_14default_configENS1_27scan_by_key_config_selectorIisEEZZNS1_16scan_by_key_implILNS1_25lookback_scan_determinismE0ELb0ES3_N6thrust23THRUST_200600_302600_NS6detail15normal_iteratorINS9_10device_ptrIiEEEENSB_INSC_IsEEEESG_sNS9_4plusIvEENS9_8equal_toIvEEsEE10hipError_tPvRmT2_T3_T4_T5_mT6_T7_P12ihipStream_tbENKUlT_T0_E_clISt17integral_constantIbLb0EES11_EEDaSW_SX_EUlSW_E_NS1_11comp_targetILNS1_3genE3ELNS1_11target_archE908ELNS1_3gpuE7ELNS1_3repE0EEENS1_30default_config_static_selectorELNS0_4arch9wavefront6targetE0EEEvT1_.uses_flat_scratch, 0
	.set _ZN7rocprim17ROCPRIM_400000_NS6detail17trampoline_kernelINS0_14default_configENS1_27scan_by_key_config_selectorIisEEZZNS1_16scan_by_key_implILNS1_25lookback_scan_determinismE0ELb0ES3_N6thrust23THRUST_200600_302600_NS6detail15normal_iteratorINS9_10device_ptrIiEEEENSB_INSC_IsEEEESG_sNS9_4plusIvEENS9_8equal_toIvEEsEE10hipError_tPvRmT2_T3_T4_T5_mT6_T7_P12ihipStream_tbENKUlT_T0_E_clISt17integral_constantIbLb0EES11_EEDaSW_SX_EUlSW_E_NS1_11comp_targetILNS1_3genE3ELNS1_11target_archE908ELNS1_3gpuE7ELNS1_3repE0EEENS1_30default_config_static_selectorELNS0_4arch9wavefront6targetE0EEEvT1_.has_dyn_sized_stack, 0
	.set _ZN7rocprim17ROCPRIM_400000_NS6detail17trampoline_kernelINS0_14default_configENS1_27scan_by_key_config_selectorIisEEZZNS1_16scan_by_key_implILNS1_25lookback_scan_determinismE0ELb0ES3_N6thrust23THRUST_200600_302600_NS6detail15normal_iteratorINS9_10device_ptrIiEEEENSB_INSC_IsEEEESG_sNS9_4plusIvEENS9_8equal_toIvEEsEE10hipError_tPvRmT2_T3_T4_T5_mT6_T7_P12ihipStream_tbENKUlT_T0_E_clISt17integral_constantIbLb0EES11_EEDaSW_SX_EUlSW_E_NS1_11comp_targetILNS1_3genE3ELNS1_11target_archE908ELNS1_3gpuE7ELNS1_3repE0EEENS1_30default_config_static_selectorELNS0_4arch9wavefront6targetE0EEEvT1_.has_recursion, 0
	.set _ZN7rocprim17ROCPRIM_400000_NS6detail17trampoline_kernelINS0_14default_configENS1_27scan_by_key_config_selectorIisEEZZNS1_16scan_by_key_implILNS1_25lookback_scan_determinismE0ELb0ES3_N6thrust23THRUST_200600_302600_NS6detail15normal_iteratorINS9_10device_ptrIiEEEENSB_INSC_IsEEEESG_sNS9_4plusIvEENS9_8equal_toIvEEsEE10hipError_tPvRmT2_T3_T4_T5_mT6_T7_P12ihipStream_tbENKUlT_T0_E_clISt17integral_constantIbLb0EES11_EEDaSW_SX_EUlSW_E_NS1_11comp_targetILNS1_3genE3ELNS1_11target_archE908ELNS1_3gpuE7ELNS1_3repE0EEENS1_30default_config_static_selectorELNS0_4arch9wavefront6targetE0EEEvT1_.has_indirect_call, 0
	.section	.AMDGPU.csdata,"",@progbits
; Kernel info:
; codeLenInByte = 0
; TotalNumSgprs: 0
; NumVgprs: 0
; ScratchSize: 0
; MemoryBound: 0
; FloatMode: 240
; IeeeMode: 1
; LDSByteSize: 0 bytes/workgroup (compile time only)
; SGPRBlocks: 0
; VGPRBlocks: 0
; NumSGPRsForWavesPerEU: 1
; NumVGPRsForWavesPerEU: 1
; NamedBarCnt: 0
; Occupancy: 16
; WaveLimiterHint : 0
; COMPUTE_PGM_RSRC2:SCRATCH_EN: 0
; COMPUTE_PGM_RSRC2:USER_SGPR: 2
; COMPUTE_PGM_RSRC2:TRAP_HANDLER: 0
; COMPUTE_PGM_RSRC2:TGID_X_EN: 1
; COMPUTE_PGM_RSRC2:TGID_Y_EN: 0
; COMPUTE_PGM_RSRC2:TGID_Z_EN: 0
; COMPUTE_PGM_RSRC2:TIDIG_COMP_CNT: 0
	.section	.text._ZN7rocprim17ROCPRIM_400000_NS6detail17trampoline_kernelINS0_14default_configENS1_27scan_by_key_config_selectorIisEEZZNS1_16scan_by_key_implILNS1_25lookback_scan_determinismE0ELb0ES3_N6thrust23THRUST_200600_302600_NS6detail15normal_iteratorINS9_10device_ptrIiEEEENSB_INSC_IsEEEESG_sNS9_4plusIvEENS9_8equal_toIvEEsEE10hipError_tPvRmT2_T3_T4_T5_mT6_T7_P12ihipStream_tbENKUlT_T0_E_clISt17integral_constantIbLb0EES11_EEDaSW_SX_EUlSW_E_NS1_11comp_targetILNS1_3genE2ELNS1_11target_archE906ELNS1_3gpuE6ELNS1_3repE0EEENS1_30default_config_static_selectorELNS0_4arch9wavefront6targetE0EEEvT1_,"axG",@progbits,_ZN7rocprim17ROCPRIM_400000_NS6detail17trampoline_kernelINS0_14default_configENS1_27scan_by_key_config_selectorIisEEZZNS1_16scan_by_key_implILNS1_25lookback_scan_determinismE0ELb0ES3_N6thrust23THRUST_200600_302600_NS6detail15normal_iteratorINS9_10device_ptrIiEEEENSB_INSC_IsEEEESG_sNS9_4plusIvEENS9_8equal_toIvEEsEE10hipError_tPvRmT2_T3_T4_T5_mT6_T7_P12ihipStream_tbENKUlT_T0_E_clISt17integral_constantIbLb0EES11_EEDaSW_SX_EUlSW_E_NS1_11comp_targetILNS1_3genE2ELNS1_11target_archE906ELNS1_3gpuE6ELNS1_3repE0EEENS1_30default_config_static_selectorELNS0_4arch9wavefront6targetE0EEEvT1_,comdat
	.protected	_ZN7rocprim17ROCPRIM_400000_NS6detail17trampoline_kernelINS0_14default_configENS1_27scan_by_key_config_selectorIisEEZZNS1_16scan_by_key_implILNS1_25lookback_scan_determinismE0ELb0ES3_N6thrust23THRUST_200600_302600_NS6detail15normal_iteratorINS9_10device_ptrIiEEEENSB_INSC_IsEEEESG_sNS9_4plusIvEENS9_8equal_toIvEEsEE10hipError_tPvRmT2_T3_T4_T5_mT6_T7_P12ihipStream_tbENKUlT_T0_E_clISt17integral_constantIbLb0EES11_EEDaSW_SX_EUlSW_E_NS1_11comp_targetILNS1_3genE2ELNS1_11target_archE906ELNS1_3gpuE6ELNS1_3repE0EEENS1_30default_config_static_selectorELNS0_4arch9wavefront6targetE0EEEvT1_ ; -- Begin function _ZN7rocprim17ROCPRIM_400000_NS6detail17trampoline_kernelINS0_14default_configENS1_27scan_by_key_config_selectorIisEEZZNS1_16scan_by_key_implILNS1_25lookback_scan_determinismE0ELb0ES3_N6thrust23THRUST_200600_302600_NS6detail15normal_iteratorINS9_10device_ptrIiEEEENSB_INSC_IsEEEESG_sNS9_4plusIvEENS9_8equal_toIvEEsEE10hipError_tPvRmT2_T3_T4_T5_mT6_T7_P12ihipStream_tbENKUlT_T0_E_clISt17integral_constantIbLb0EES11_EEDaSW_SX_EUlSW_E_NS1_11comp_targetILNS1_3genE2ELNS1_11target_archE906ELNS1_3gpuE6ELNS1_3repE0EEENS1_30default_config_static_selectorELNS0_4arch9wavefront6targetE0EEEvT1_
	.globl	_ZN7rocprim17ROCPRIM_400000_NS6detail17trampoline_kernelINS0_14default_configENS1_27scan_by_key_config_selectorIisEEZZNS1_16scan_by_key_implILNS1_25lookback_scan_determinismE0ELb0ES3_N6thrust23THRUST_200600_302600_NS6detail15normal_iteratorINS9_10device_ptrIiEEEENSB_INSC_IsEEEESG_sNS9_4plusIvEENS9_8equal_toIvEEsEE10hipError_tPvRmT2_T3_T4_T5_mT6_T7_P12ihipStream_tbENKUlT_T0_E_clISt17integral_constantIbLb0EES11_EEDaSW_SX_EUlSW_E_NS1_11comp_targetILNS1_3genE2ELNS1_11target_archE906ELNS1_3gpuE6ELNS1_3repE0EEENS1_30default_config_static_selectorELNS0_4arch9wavefront6targetE0EEEvT1_
	.p2align	8
	.type	_ZN7rocprim17ROCPRIM_400000_NS6detail17trampoline_kernelINS0_14default_configENS1_27scan_by_key_config_selectorIisEEZZNS1_16scan_by_key_implILNS1_25lookback_scan_determinismE0ELb0ES3_N6thrust23THRUST_200600_302600_NS6detail15normal_iteratorINS9_10device_ptrIiEEEENSB_INSC_IsEEEESG_sNS9_4plusIvEENS9_8equal_toIvEEsEE10hipError_tPvRmT2_T3_T4_T5_mT6_T7_P12ihipStream_tbENKUlT_T0_E_clISt17integral_constantIbLb0EES11_EEDaSW_SX_EUlSW_E_NS1_11comp_targetILNS1_3genE2ELNS1_11target_archE906ELNS1_3gpuE6ELNS1_3repE0EEENS1_30default_config_static_selectorELNS0_4arch9wavefront6targetE0EEEvT1_,@function
_ZN7rocprim17ROCPRIM_400000_NS6detail17trampoline_kernelINS0_14default_configENS1_27scan_by_key_config_selectorIisEEZZNS1_16scan_by_key_implILNS1_25lookback_scan_determinismE0ELb0ES3_N6thrust23THRUST_200600_302600_NS6detail15normal_iteratorINS9_10device_ptrIiEEEENSB_INSC_IsEEEESG_sNS9_4plusIvEENS9_8equal_toIvEEsEE10hipError_tPvRmT2_T3_T4_T5_mT6_T7_P12ihipStream_tbENKUlT_T0_E_clISt17integral_constantIbLb0EES11_EEDaSW_SX_EUlSW_E_NS1_11comp_targetILNS1_3genE2ELNS1_11target_archE906ELNS1_3gpuE6ELNS1_3repE0EEENS1_30default_config_static_selectorELNS0_4arch9wavefront6targetE0EEEvT1_: ; @_ZN7rocprim17ROCPRIM_400000_NS6detail17trampoline_kernelINS0_14default_configENS1_27scan_by_key_config_selectorIisEEZZNS1_16scan_by_key_implILNS1_25lookback_scan_determinismE0ELb0ES3_N6thrust23THRUST_200600_302600_NS6detail15normal_iteratorINS9_10device_ptrIiEEEENSB_INSC_IsEEEESG_sNS9_4plusIvEENS9_8equal_toIvEEsEE10hipError_tPvRmT2_T3_T4_T5_mT6_T7_P12ihipStream_tbENKUlT_T0_E_clISt17integral_constantIbLb0EES11_EEDaSW_SX_EUlSW_E_NS1_11comp_targetILNS1_3genE2ELNS1_11target_archE906ELNS1_3gpuE6ELNS1_3repE0EEENS1_30default_config_static_selectorELNS0_4arch9wavefront6targetE0EEEvT1_
; %bb.0:
	.section	.rodata,"a",@progbits
	.p2align	6, 0x0
	.amdhsa_kernel _ZN7rocprim17ROCPRIM_400000_NS6detail17trampoline_kernelINS0_14default_configENS1_27scan_by_key_config_selectorIisEEZZNS1_16scan_by_key_implILNS1_25lookback_scan_determinismE0ELb0ES3_N6thrust23THRUST_200600_302600_NS6detail15normal_iteratorINS9_10device_ptrIiEEEENSB_INSC_IsEEEESG_sNS9_4plusIvEENS9_8equal_toIvEEsEE10hipError_tPvRmT2_T3_T4_T5_mT6_T7_P12ihipStream_tbENKUlT_T0_E_clISt17integral_constantIbLb0EES11_EEDaSW_SX_EUlSW_E_NS1_11comp_targetILNS1_3genE2ELNS1_11target_archE906ELNS1_3gpuE6ELNS1_3repE0EEENS1_30default_config_static_selectorELNS0_4arch9wavefront6targetE0EEEvT1_
		.amdhsa_group_segment_fixed_size 0
		.amdhsa_private_segment_fixed_size 0
		.amdhsa_kernarg_size 112
		.amdhsa_user_sgpr_count 2
		.amdhsa_user_sgpr_dispatch_ptr 0
		.amdhsa_user_sgpr_queue_ptr 0
		.amdhsa_user_sgpr_kernarg_segment_ptr 1
		.amdhsa_user_sgpr_dispatch_id 0
		.amdhsa_user_sgpr_kernarg_preload_length 0
		.amdhsa_user_sgpr_kernarg_preload_offset 0
		.amdhsa_user_sgpr_private_segment_size 0
		.amdhsa_wavefront_size32 1
		.amdhsa_uses_dynamic_stack 0
		.amdhsa_enable_private_segment 0
		.amdhsa_system_sgpr_workgroup_id_x 1
		.amdhsa_system_sgpr_workgroup_id_y 0
		.amdhsa_system_sgpr_workgroup_id_z 0
		.amdhsa_system_sgpr_workgroup_info 0
		.amdhsa_system_vgpr_workitem_id 0
		.amdhsa_next_free_vgpr 1
		.amdhsa_next_free_sgpr 1
		.amdhsa_named_barrier_count 0
		.amdhsa_reserve_vcc 0
		.amdhsa_float_round_mode_32 0
		.amdhsa_float_round_mode_16_64 0
		.amdhsa_float_denorm_mode_32 3
		.amdhsa_float_denorm_mode_16_64 3
		.amdhsa_fp16_overflow 0
		.amdhsa_memory_ordered 1
		.amdhsa_forward_progress 1
		.amdhsa_inst_pref_size 0
		.amdhsa_round_robin_scheduling 0
		.amdhsa_exception_fp_ieee_invalid_op 0
		.amdhsa_exception_fp_denorm_src 0
		.amdhsa_exception_fp_ieee_div_zero 0
		.amdhsa_exception_fp_ieee_overflow 0
		.amdhsa_exception_fp_ieee_underflow 0
		.amdhsa_exception_fp_ieee_inexact 0
		.amdhsa_exception_int_div_zero 0
	.end_amdhsa_kernel
	.section	.text._ZN7rocprim17ROCPRIM_400000_NS6detail17trampoline_kernelINS0_14default_configENS1_27scan_by_key_config_selectorIisEEZZNS1_16scan_by_key_implILNS1_25lookback_scan_determinismE0ELb0ES3_N6thrust23THRUST_200600_302600_NS6detail15normal_iteratorINS9_10device_ptrIiEEEENSB_INSC_IsEEEESG_sNS9_4plusIvEENS9_8equal_toIvEEsEE10hipError_tPvRmT2_T3_T4_T5_mT6_T7_P12ihipStream_tbENKUlT_T0_E_clISt17integral_constantIbLb0EES11_EEDaSW_SX_EUlSW_E_NS1_11comp_targetILNS1_3genE2ELNS1_11target_archE906ELNS1_3gpuE6ELNS1_3repE0EEENS1_30default_config_static_selectorELNS0_4arch9wavefront6targetE0EEEvT1_,"axG",@progbits,_ZN7rocprim17ROCPRIM_400000_NS6detail17trampoline_kernelINS0_14default_configENS1_27scan_by_key_config_selectorIisEEZZNS1_16scan_by_key_implILNS1_25lookback_scan_determinismE0ELb0ES3_N6thrust23THRUST_200600_302600_NS6detail15normal_iteratorINS9_10device_ptrIiEEEENSB_INSC_IsEEEESG_sNS9_4plusIvEENS9_8equal_toIvEEsEE10hipError_tPvRmT2_T3_T4_T5_mT6_T7_P12ihipStream_tbENKUlT_T0_E_clISt17integral_constantIbLb0EES11_EEDaSW_SX_EUlSW_E_NS1_11comp_targetILNS1_3genE2ELNS1_11target_archE906ELNS1_3gpuE6ELNS1_3repE0EEENS1_30default_config_static_selectorELNS0_4arch9wavefront6targetE0EEEvT1_,comdat
.Lfunc_end1357:
	.size	_ZN7rocprim17ROCPRIM_400000_NS6detail17trampoline_kernelINS0_14default_configENS1_27scan_by_key_config_selectorIisEEZZNS1_16scan_by_key_implILNS1_25lookback_scan_determinismE0ELb0ES3_N6thrust23THRUST_200600_302600_NS6detail15normal_iteratorINS9_10device_ptrIiEEEENSB_INSC_IsEEEESG_sNS9_4plusIvEENS9_8equal_toIvEEsEE10hipError_tPvRmT2_T3_T4_T5_mT6_T7_P12ihipStream_tbENKUlT_T0_E_clISt17integral_constantIbLb0EES11_EEDaSW_SX_EUlSW_E_NS1_11comp_targetILNS1_3genE2ELNS1_11target_archE906ELNS1_3gpuE6ELNS1_3repE0EEENS1_30default_config_static_selectorELNS0_4arch9wavefront6targetE0EEEvT1_, .Lfunc_end1357-_ZN7rocprim17ROCPRIM_400000_NS6detail17trampoline_kernelINS0_14default_configENS1_27scan_by_key_config_selectorIisEEZZNS1_16scan_by_key_implILNS1_25lookback_scan_determinismE0ELb0ES3_N6thrust23THRUST_200600_302600_NS6detail15normal_iteratorINS9_10device_ptrIiEEEENSB_INSC_IsEEEESG_sNS9_4plusIvEENS9_8equal_toIvEEsEE10hipError_tPvRmT2_T3_T4_T5_mT6_T7_P12ihipStream_tbENKUlT_T0_E_clISt17integral_constantIbLb0EES11_EEDaSW_SX_EUlSW_E_NS1_11comp_targetILNS1_3genE2ELNS1_11target_archE906ELNS1_3gpuE6ELNS1_3repE0EEENS1_30default_config_static_selectorELNS0_4arch9wavefront6targetE0EEEvT1_
                                        ; -- End function
	.set _ZN7rocprim17ROCPRIM_400000_NS6detail17trampoline_kernelINS0_14default_configENS1_27scan_by_key_config_selectorIisEEZZNS1_16scan_by_key_implILNS1_25lookback_scan_determinismE0ELb0ES3_N6thrust23THRUST_200600_302600_NS6detail15normal_iteratorINS9_10device_ptrIiEEEENSB_INSC_IsEEEESG_sNS9_4plusIvEENS9_8equal_toIvEEsEE10hipError_tPvRmT2_T3_T4_T5_mT6_T7_P12ihipStream_tbENKUlT_T0_E_clISt17integral_constantIbLb0EES11_EEDaSW_SX_EUlSW_E_NS1_11comp_targetILNS1_3genE2ELNS1_11target_archE906ELNS1_3gpuE6ELNS1_3repE0EEENS1_30default_config_static_selectorELNS0_4arch9wavefront6targetE0EEEvT1_.num_vgpr, 0
	.set _ZN7rocprim17ROCPRIM_400000_NS6detail17trampoline_kernelINS0_14default_configENS1_27scan_by_key_config_selectorIisEEZZNS1_16scan_by_key_implILNS1_25lookback_scan_determinismE0ELb0ES3_N6thrust23THRUST_200600_302600_NS6detail15normal_iteratorINS9_10device_ptrIiEEEENSB_INSC_IsEEEESG_sNS9_4plusIvEENS9_8equal_toIvEEsEE10hipError_tPvRmT2_T3_T4_T5_mT6_T7_P12ihipStream_tbENKUlT_T0_E_clISt17integral_constantIbLb0EES11_EEDaSW_SX_EUlSW_E_NS1_11comp_targetILNS1_3genE2ELNS1_11target_archE906ELNS1_3gpuE6ELNS1_3repE0EEENS1_30default_config_static_selectorELNS0_4arch9wavefront6targetE0EEEvT1_.num_agpr, 0
	.set _ZN7rocprim17ROCPRIM_400000_NS6detail17trampoline_kernelINS0_14default_configENS1_27scan_by_key_config_selectorIisEEZZNS1_16scan_by_key_implILNS1_25lookback_scan_determinismE0ELb0ES3_N6thrust23THRUST_200600_302600_NS6detail15normal_iteratorINS9_10device_ptrIiEEEENSB_INSC_IsEEEESG_sNS9_4plusIvEENS9_8equal_toIvEEsEE10hipError_tPvRmT2_T3_T4_T5_mT6_T7_P12ihipStream_tbENKUlT_T0_E_clISt17integral_constantIbLb0EES11_EEDaSW_SX_EUlSW_E_NS1_11comp_targetILNS1_3genE2ELNS1_11target_archE906ELNS1_3gpuE6ELNS1_3repE0EEENS1_30default_config_static_selectorELNS0_4arch9wavefront6targetE0EEEvT1_.numbered_sgpr, 0
	.set _ZN7rocprim17ROCPRIM_400000_NS6detail17trampoline_kernelINS0_14default_configENS1_27scan_by_key_config_selectorIisEEZZNS1_16scan_by_key_implILNS1_25lookback_scan_determinismE0ELb0ES3_N6thrust23THRUST_200600_302600_NS6detail15normal_iteratorINS9_10device_ptrIiEEEENSB_INSC_IsEEEESG_sNS9_4plusIvEENS9_8equal_toIvEEsEE10hipError_tPvRmT2_T3_T4_T5_mT6_T7_P12ihipStream_tbENKUlT_T0_E_clISt17integral_constantIbLb0EES11_EEDaSW_SX_EUlSW_E_NS1_11comp_targetILNS1_3genE2ELNS1_11target_archE906ELNS1_3gpuE6ELNS1_3repE0EEENS1_30default_config_static_selectorELNS0_4arch9wavefront6targetE0EEEvT1_.num_named_barrier, 0
	.set _ZN7rocprim17ROCPRIM_400000_NS6detail17trampoline_kernelINS0_14default_configENS1_27scan_by_key_config_selectorIisEEZZNS1_16scan_by_key_implILNS1_25lookback_scan_determinismE0ELb0ES3_N6thrust23THRUST_200600_302600_NS6detail15normal_iteratorINS9_10device_ptrIiEEEENSB_INSC_IsEEEESG_sNS9_4plusIvEENS9_8equal_toIvEEsEE10hipError_tPvRmT2_T3_T4_T5_mT6_T7_P12ihipStream_tbENKUlT_T0_E_clISt17integral_constantIbLb0EES11_EEDaSW_SX_EUlSW_E_NS1_11comp_targetILNS1_3genE2ELNS1_11target_archE906ELNS1_3gpuE6ELNS1_3repE0EEENS1_30default_config_static_selectorELNS0_4arch9wavefront6targetE0EEEvT1_.private_seg_size, 0
	.set _ZN7rocprim17ROCPRIM_400000_NS6detail17trampoline_kernelINS0_14default_configENS1_27scan_by_key_config_selectorIisEEZZNS1_16scan_by_key_implILNS1_25lookback_scan_determinismE0ELb0ES3_N6thrust23THRUST_200600_302600_NS6detail15normal_iteratorINS9_10device_ptrIiEEEENSB_INSC_IsEEEESG_sNS9_4plusIvEENS9_8equal_toIvEEsEE10hipError_tPvRmT2_T3_T4_T5_mT6_T7_P12ihipStream_tbENKUlT_T0_E_clISt17integral_constantIbLb0EES11_EEDaSW_SX_EUlSW_E_NS1_11comp_targetILNS1_3genE2ELNS1_11target_archE906ELNS1_3gpuE6ELNS1_3repE0EEENS1_30default_config_static_selectorELNS0_4arch9wavefront6targetE0EEEvT1_.uses_vcc, 0
	.set _ZN7rocprim17ROCPRIM_400000_NS6detail17trampoline_kernelINS0_14default_configENS1_27scan_by_key_config_selectorIisEEZZNS1_16scan_by_key_implILNS1_25lookback_scan_determinismE0ELb0ES3_N6thrust23THRUST_200600_302600_NS6detail15normal_iteratorINS9_10device_ptrIiEEEENSB_INSC_IsEEEESG_sNS9_4plusIvEENS9_8equal_toIvEEsEE10hipError_tPvRmT2_T3_T4_T5_mT6_T7_P12ihipStream_tbENKUlT_T0_E_clISt17integral_constantIbLb0EES11_EEDaSW_SX_EUlSW_E_NS1_11comp_targetILNS1_3genE2ELNS1_11target_archE906ELNS1_3gpuE6ELNS1_3repE0EEENS1_30default_config_static_selectorELNS0_4arch9wavefront6targetE0EEEvT1_.uses_flat_scratch, 0
	.set _ZN7rocprim17ROCPRIM_400000_NS6detail17trampoline_kernelINS0_14default_configENS1_27scan_by_key_config_selectorIisEEZZNS1_16scan_by_key_implILNS1_25lookback_scan_determinismE0ELb0ES3_N6thrust23THRUST_200600_302600_NS6detail15normal_iteratorINS9_10device_ptrIiEEEENSB_INSC_IsEEEESG_sNS9_4plusIvEENS9_8equal_toIvEEsEE10hipError_tPvRmT2_T3_T4_T5_mT6_T7_P12ihipStream_tbENKUlT_T0_E_clISt17integral_constantIbLb0EES11_EEDaSW_SX_EUlSW_E_NS1_11comp_targetILNS1_3genE2ELNS1_11target_archE906ELNS1_3gpuE6ELNS1_3repE0EEENS1_30default_config_static_selectorELNS0_4arch9wavefront6targetE0EEEvT1_.has_dyn_sized_stack, 0
	.set _ZN7rocprim17ROCPRIM_400000_NS6detail17trampoline_kernelINS0_14default_configENS1_27scan_by_key_config_selectorIisEEZZNS1_16scan_by_key_implILNS1_25lookback_scan_determinismE0ELb0ES3_N6thrust23THRUST_200600_302600_NS6detail15normal_iteratorINS9_10device_ptrIiEEEENSB_INSC_IsEEEESG_sNS9_4plusIvEENS9_8equal_toIvEEsEE10hipError_tPvRmT2_T3_T4_T5_mT6_T7_P12ihipStream_tbENKUlT_T0_E_clISt17integral_constantIbLb0EES11_EEDaSW_SX_EUlSW_E_NS1_11comp_targetILNS1_3genE2ELNS1_11target_archE906ELNS1_3gpuE6ELNS1_3repE0EEENS1_30default_config_static_selectorELNS0_4arch9wavefront6targetE0EEEvT1_.has_recursion, 0
	.set _ZN7rocprim17ROCPRIM_400000_NS6detail17trampoline_kernelINS0_14default_configENS1_27scan_by_key_config_selectorIisEEZZNS1_16scan_by_key_implILNS1_25lookback_scan_determinismE0ELb0ES3_N6thrust23THRUST_200600_302600_NS6detail15normal_iteratorINS9_10device_ptrIiEEEENSB_INSC_IsEEEESG_sNS9_4plusIvEENS9_8equal_toIvEEsEE10hipError_tPvRmT2_T3_T4_T5_mT6_T7_P12ihipStream_tbENKUlT_T0_E_clISt17integral_constantIbLb0EES11_EEDaSW_SX_EUlSW_E_NS1_11comp_targetILNS1_3genE2ELNS1_11target_archE906ELNS1_3gpuE6ELNS1_3repE0EEENS1_30default_config_static_selectorELNS0_4arch9wavefront6targetE0EEEvT1_.has_indirect_call, 0
	.section	.AMDGPU.csdata,"",@progbits
; Kernel info:
; codeLenInByte = 0
; TotalNumSgprs: 0
; NumVgprs: 0
; ScratchSize: 0
; MemoryBound: 0
; FloatMode: 240
; IeeeMode: 1
; LDSByteSize: 0 bytes/workgroup (compile time only)
; SGPRBlocks: 0
; VGPRBlocks: 0
; NumSGPRsForWavesPerEU: 1
; NumVGPRsForWavesPerEU: 1
; NamedBarCnt: 0
; Occupancy: 16
; WaveLimiterHint : 0
; COMPUTE_PGM_RSRC2:SCRATCH_EN: 0
; COMPUTE_PGM_RSRC2:USER_SGPR: 2
; COMPUTE_PGM_RSRC2:TRAP_HANDLER: 0
; COMPUTE_PGM_RSRC2:TGID_X_EN: 1
; COMPUTE_PGM_RSRC2:TGID_Y_EN: 0
; COMPUTE_PGM_RSRC2:TGID_Z_EN: 0
; COMPUTE_PGM_RSRC2:TIDIG_COMP_CNT: 0
	.section	.text._ZN7rocprim17ROCPRIM_400000_NS6detail17trampoline_kernelINS0_14default_configENS1_27scan_by_key_config_selectorIisEEZZNS1_16scan_by_key_implILNS1_25lookback_scan_determinismE0ELb0ES3_N6thrust23THRUST_200600_302600_NS6detail15normal_iteratorINS9_10device_ptrIiEEEENSB_INSC_IsEEEESG_sNS9_4plusIvEENS9_8equal_toIvEEsEE10hipError_tPvRmT2_T3_T4_T5_mT6_T7_P12ihipStream_tbENKUlT_T0_E_clISt17integral_constantIbLb0EES11_EEDaSW_SX_EUlSW_E_NS1_11comp_targetILNS1_3genE10ELNS1_11target_archE1200ELNS1_3gpuE4ELNS1_3repE0EEENS1_30default_config_static_selectorELNS0_4arch9wavefront6targetE0EEEvT1_,"axG",@progbits,_ZN7rocprim17ROCPRIM_400000_NS6detail17trampoline_kernelINS0_14default_configENS1_27scan_by_key_config_selectorIisEEZZNS1_16scan_by_key_implILNS1_25lookback_scan_determinismE0ELb0ES3_N6thrust23THRUST_200600_302600_NS6detail15normal_iteratorINS9_10device_ptrIiEEEENSB_INSC_IsEEEESG_sNS9_4plusIvEENS9_8equal_toIvEEsEE10hipError_tPvRmT2_T3_T4_T5_mT6_T7_P12ihipStream_tbENKUlT_T0_E_clISt17integral_constantIbLb0EES11_EEDaSW_SX_EUlSW_E_NS1_11comp_targetILNS1_3genE10ELNS1_11target_archE1200ELNS1_3gpuE4ELNS1_3repE0EEENS1_30default_config_static_selectorELNS0_4arch9wavefront6targetE0EEEvT1_,comdat
	.protected	_ZN7rocprim17ROCPRIM_400000_NS6detail17trampoline_kernelINS0_14default_configENS1_27scan_by_key_config_selectorIisEEZZNS1_16scan_by_key_implILNS1_25lookback_scan_determinismE0ELb0ES3_N6thrust23THRUST_200600_302600_NS6detail15normal_iteratorINS9_10device_ptrIiEEEENSB_INSC_IsEEEESG_sNS9_4plusIvEENS9_8equal_toIvEEsEE10hipError_tPvRmT2_T3_T4_T5_mT6_T7_P12ihipStream_tbENKUlT_T0_E_clISt17integral_constantIbLb0EES11_EEDaSW_SX_EUlSW_E_NS1_11comp_targetILNS1_3genE10ELNS1_11target_archE1200ELNS1_3gpuE4ELNS1_3repE0EEENS1_30default_config_static_selectorELNS0_4arch9wavefront6targetE0EEEvT1_ ; -- Begin function _ZN7rocprim17ROCPRIM_400000_NS6detail17trampoline_kernelINS0_14default_configENS1_27scan_by_key_config_selectorIisEEZZNS1_16scan_by_key_implILNS1_25lookback_scan_determinismE0ELb0ES3_N6thrust23THRUST_200600_302600_NS6detail15normal_iteratorINS9_10device_ptrIiEEEENSB_INSC_IsEEEESG_sNS9_4plusIvEENS9_8equal_toIvEEsEE10hipError_tPvRmT2_T3_T4_T5_mT6_T7_P12ihipStream_tbENKUlT_T0_E_clISt17integral_constantIbLb0EES11_EEDaSW_SX_EUlSW_E_NS1_11comp_targetILNS1_3genE10ELNS1_11target_archE1200ELNS1_3gpuE4ELNS1_3repE0EEENS1_30default_config_static_selectorELNS0_4arch9wavefront6targetE0EEEvT1_
	.globl	_ZN7rocprim17ROCPRIM_400000_NS6detail17trampoline_kernelINS0_14default_configENS1_27scan_by_key_config_selectorIisEEZZNS1_16scan_by_key_implILNS1_25lookback_scan_determinismE0ELb0ES3_N6thrust23THRUST_200600_302600_NS6detail15normal_iteratorINS9_10device_ptrIiEEEENSB_INSC_IsEEEESG_sNS9_4plusIvEENS9_8equal_toIvEEsEE10hipError_tPvRmT2_T3_T4_T5_mT6_T7_P12ihipStream_tbENKUlT_T0_E_clISt17integral_constantIbLb0EES11_EEDaSW_SX_EUlSW_E_NS1_11comp_targetILNS1_3genE10ELNS1_11target_archE1200ELNS1_3gpuE4ELNS1_3repE0EEENS1_30default_config_static_selectorELNS0_4arch9wavefront6targetE0EEEvT1_
	.p2align	8
	.type	_ZN7rocprim17ROCPRIM_400000_NS6detail17trampoline_kernelINS0_14default_configENS1_27scan_by_key_config_selectorIisEEZZNS1_16scan_by_key_implILNS1_25lookback_scan_determinismE0ELb0ES3_N6thrust23THRUST_200600_302600_NS6detail15normal_iteratorINS9_10device_ptrIiEEEENSB_INSC_IsEEEESG_sNS9_4plusIvEENS9_8equal_toIvEEsEE10hipError_tPvRmT2_T3_T4_T5_mT6_T7_P12ihipStream_tbENKUlT_T0_E_clISt17integral_constantIbLb0EES11_EEDaSW_SX_EUlSW_E_NS1_11comp_targetILNS1_3genE10ELNS1_11target_archE1200ELNS1_3gpuE4ELNS1_3repE0EEENS1_30default_config_static_selectorELNS0_4arch9wavefront6targetE0EEEvT1_,@function
_ZN7rocprim17ROCPRIM_400000_NS6detail17trampoline_kernelINS0_14default_configENS1_27scan_by_key_config_selectorIisEEZZNS1_16scan_by_key_implILNS1_25lookback_scan_determinismE0ELb0ES3_N6thrust23THRUST_200600_302600_NS6detail15normal_iteratorINS9_10device_ptrIiEEEENSB_INSC_IsEEEESG_sNS9_4plusIvEENS9_8equal_toIvEEsEE10hipError_tPvRmT2_T3_T4_T5_mT6_T7_P12ihipStream_tbENKUlT_T0_E_clISt17integral_constantIbLb0EES11_EEDaSW_SX_EUlSW_E_NS1_11comp_targetILNS1_3genE10ELNS1_11target_archE1200ELNS1_3gpuE4ELNS1_3repE0EEENS1_30default_config_static_selectorELNS0_4arch9wavefront6targetE0EEEvT1_: ; @_ZN7rocprim17ROCPRIM_400000_NS6detail17trampoline_kernelINS0_14default_configENS1_27scan_by_key_config_selectorIisEEZZNS1_16scan_by_key_implILNS1_25lookback_scan_determinismE0ELb0ES3_N6thrust23THRUST_200600_302600_NS6detail15normal_iteratorINS9_10device_ptrIiEEEENSB_INSC_IsEEEESG_sNS9_4plusIvEENS9_8equal_toIvEEsEE10hipError_tPvRmT2_T3_T4_T5_mT6_T7_P12ihipStream_tbENKUlT_T0_E_clISt17integral_constantIbLb0EES11_EEDaSW_SX_EUlSW_E_NS1_11comp_targetILNS1_3genE10ELNS1_11target_archE1200ELNS1_3gpuE4ELNS1_3repE0EEENS1_30default_config_static_selectorELNS0_4arch9wavefront6targetE0EEEvT1_
; %bb.0:
	.section	.rodata,"a",@progbits
	.p2align	6, 0x0
	.amdhsa_kernel _ZN7rocprim17ROCPRIM_400000_NS6detail17trampoline_kernelINS0_14default_configENS1_27scan_by_key_config_selectorIisEEZZNS1_16scan_by_key_implILNS1_25lookback_scan_determinismE0ELb0ES3_N6thrust23THRUST_200600_302600_NS6detail15normal_iteratorINS9_10device_ptrIiEEEENSB_INSC_IsEEEESG_sNS9_4plusIvEENS9_8equal_toIvEEsEE10hipError_tPvRmT2_T3_T4_T5_mT6_T7_P12ihipStream_tbENKUlT_T0_E_clISt17integral_constantIbLb0EES11_EEDaSW_SX_EUlSW_E_NS1_11comp_targetILNS1_3genE10ELNS1_11target_archE1200ELNS1_3gpuE4ELNS1_3repE0EEENS1_30default_config_static_selectorELNS0_4arch9wavefront6targetE0EEEvT1_
		.amdhsa_group_segment_fixed_size 0
		.amdhsa_private_segment_fixed_size 0
		.amdhsa_kernarg_size 112
		.amdhsa_user_sgpr_count 2
		.amdhsa_user_sgpr_dispatch_ptr 0
		.amdhsa_user_sgpr_queue_ptr 0
		.amdhsa_user_sgpr_kernarg_segment_ptr 1
		.amdhsa_user_sgpr_dispatch_id 0
		.amdhsa_user_sgpr_kernarg_preload_length 0
		.amdhsa_user_sgpr_kernarg_preload_offset 0
		.amdhsa_user_sgpr_private_segment_size 0
		.amdhsa_wavefront_size32 1
		.amdhsa_uses_dynamic_stack 0
		.amdhsa_enable_private_segment 0
		.amdhsa_system_sgpr_workgroup_id_x 1
		.amdhsa_system_sgpr_workgroup_id_y 0
		.amdhsa_system_sgpr_workgroup_id_z 0
		.amdhsa_system_sgpr_workgroup_info 0
		.amdhsa_system_vgpr_workitem_id 0
		.amdhsa_next_free_vgpr 1
		.amdhsa_next_free_sgpr 1
		.amdhsa_named_barrier_count 0
		.amdhsa_reserve_vcc 0
		.amdhsa_float_round_mode_32 0
		.amdhsa_float_round_mode_16_64 0
		.amdhsa_float_denorm_mode_32 3
		.amdhsa_float_denorm_mode_16_64 3
		.amdhsa_fp16_overflow 0
		.amdhsa_memory_ordered 1
		.amdhsa_forward_progress 1
		.amdhsa_inst_pref_size 0
		.amdhsa_round_robin_scheduling 0
		.amdhsa_exception_fp_ieee_invalid_op 0
		.amdhsa_exception_fp_denorm_src 0
		.amdhsa_exception_fp_ieee_div_zero 0
		.amdhsa_exception_fp_ieee_overflow 0
		.amdhsa_exception_fp_ieee_underflow 0
		.amdhsa_exception_fp_ieee_inexact 0
		.amdhsa_exception_int_div_zero 0
	.end_amdhsa_kernel
	.section	.text._ZN7rocprim17ROCPRIM_400000_NS6detail17trampoline_kernelINS0_14default_configENS1_27scan_by_key_config_selectorIisEEZZNS1_16scan_by_key_implILNS1_25lookback_scan_determinismE0ELb0ES3_N6thrust23THRUST_200600_302600_NS6detail15normal_iteratorINS9_10device_ptrIiEEEENSB_INSC_IsEEEESG_sNS9_4plusIvEENS9_8equal_toIvEEsEE10hipError_tPvRmT2_T3_T4_T5_mT6_T7_P12ihipStream_tbENKUlT_T0_E_clISt17integral_constantIbLb0EES11_EEDaSW_SX_EUlSW_E_NS1_11comp_targetILNS1_3genE10ELNS1_11target_archE1200ELNS1_3gpuE4ELNS1_3repE0EEENS1_30default_config_static_selectorELNS0_4arch9wavefront6targetE0EEEvT1_,"axG",@progbits,_ZN7rocprim17ROCPRIM_400000_NS6detail17trampoline_kernelINS0_14default_configENS1_27scan_by_key_config_selectorIisEEZZNS1_16scan_by_key_implILNS1_25lookback_scan_determinismE0ELb0ES3_N6thrust23THRUST_200600_302600_NS6detail15normal_iteratorINS9_10device_ptrIiEEEENSB_INSC_IsEEEESG_sNS9_4plusIvEENS9_8equal_toIvEEsEE10hipError_tPvRmT2_T3_T4_T5_mT6_T7_P12ihipStream_tbENKUlT_T0_E_clISt17integral_constantIbLb0EES11_EEDaSW_SX_EUlSW_E_NS1_11comp_targetILNS1_3genE10ELNS1_11target_archE1200ELNS1_3gpuE4ELNS1_3repE0EEENS1_30default_config_static_selectorELNS0_4arch9wavefront6targetE0EEEvT1_,comdat
.Lfunc_end1358:
	.size	_ZN7rocprim17ROCPRIM_400000_NS6detail17trampoline_kernelINS0_14default_configENS1_27scan_by_key_config_selectorIisEEZZNS1_16scan_by_key_implILNS1_25lookback_scan_determinismE0ELb0ES3_N6thrust23THRUST_200600_302600_NS6detail15normal_iteratorINS9_10device_ptrIiEEEENSB_INSC_IsEEEESG_sNS9_4plusIvEENS9_8equal_toIvEEsEE10hipError_tPvRmT2_T3_T4_T5_mT6_T7_P12ihipStream_tbENKUlT_T0_E_clISt17integral_constantIbLb0EES11_EEDaSW_SX_EUlSW_E_NS1_11comp_targetILNS1_3genE10ELNS1_11target_archE1200ELNS1_3gpuE4ELNS1_3repE0EEENS1_30default_config_static_selectorELNS0_4arch9wavefront6targetE0EEEvT1_, .Lfunc_end1358-_ZN7rocprim17ROCPRIM_400000_NS6detail17trampoline_kernelINS0_14default_configENS1_27scan_by_key_config_selectorIisEEZZNS1_16scan_by_key_implILNS1_25lookback_scan_determinismE0ELb0ES3_N6thrust23THRUST_200600_302600_NS6detail15normal_iteratorINS9_10device_ptrIiEEEENSB_INSC_IsEEEESG_sNS9_4plusIvEENS9_8equal_toIvEEsEE10hipError_tPvRmT2_T3_T4_T5_mT6_T7_P12ihipStream_tbENKUlT_T0_E_clISt17integral_constantIbLb0EES11_EEDaSW_SX_EUlSW_E_NS1_11comp_targetILNS1_3genE10ELNS1_11target_archE1200ELNS1_3gpuE4ELNS1_3repE0EEENS1_30default_config_static_selectorELNS0_4arch9wavefront6targetE0EEEvT1_
                                        ; -- End function
	.set _ZN7rocprim17ROCPRIM_400000_NS6detail17trampoline_kernelINS0_14default_configENS1_27scan_by_key_config_selectorIisEEZZNS1_16scan_by_key_implILNS1_25lookback_scan_determinismE0ELb0ES3_N6thrust23THRUST_200600_302600_NS6detail15normal_iteratorINS9_10device_ptrIiEEEENSB_INSC_IsEEEESG_sNS9_4plusIvEENS9_8equal_toIvEEsEE10hipError_tPvRmT2_T3_T4_T5_mT6_T7_P12ihipStream_tbENKUlT_T0_E_clISt17integral_constantIbLb0EES11_EEDaSW_SX_EUlSW_E_NS1_11comp_targetILNS1_3genE10ELNS1_11target_archE1200ELNS1_3gpuE4ELNS1_3repE0EEENS1_30default_config_static_selectorELNS0_4arch9wavefront6targetE0EEEvT1_.num_vgpr, 0
	.set _ZN7rocprim17ROCPRIM_400000_NS6detail17trampoline_kernelINS0_14default_configENS1_27scan_by_key_config_selectorIisEEZZNS1_16scan_by_key_implILNS1_25lookback_scan_determinismE0ELb0ES3_N6thrust23THRUST_200600_302600_NS6detail15normal_iteratorINS9_10device_ptrIiEEEENSB_INSC_IsEEEESG_sNS9_4plusIvEENS9_8equal_toIvEEsEE10hipError_tPvRmT2_T3_T4_T5_mT6_T7_P12ihipStream_tbENKUlT_T0_E_clISt17integral_constantIbLb0EES11_EEDaSW_SX_EUlSW_E_NS1_11comp_targetILNS1_3genE10ELNS1_11target_archE1200ELNS1_3gpuE4ELNS1_3repE0EEENS1_30default_config_static_selectorELNS0_4arch9wavefront6targetE0EEEvT1_.num_agpr, 0
	.set _ZN7rocprim17ROCPRIM_400000_NS6detail17trampoline_kernelINS0_14default_configENS1_27scan_by_key_config_selectorIisEEZZNS1_16scan_by_key_implILNS1_25lookback_scan_determinismE0ELb0ES3_N6thrust23THRUST_200600_302600_NS6detail15normal_iteratorINS9_10device_ptrIiEEEENSB_INSC_IsEEEESG_sNS9_4plusIvEENS9_8equal_toIvEEsEE10hipError_tPvRmT2_T3_T4_T5_mT6_T7_P12ihipStream_tbENKUlT_T0_E_clISt17integral_constantIbLb0EES11_EEDaSW_SX_EUlSW_E_NS1_11comp_targetILNS1_3genE10ELNS1_11target_archE1200ELNS1_3gpuE4ELNS1_3repE0EEENS1_30default_config_static_selectorELNS0_4arch9wavefront6targetE0EEEvT1_.numbered_sgpr, 0
	.set _ZN7rocprim17ROCPRIM_400000_NS6detail17trampoline_kernelINS0_14default_configENS1_27scan_by_key_config_selectorIisEEZZNS1_16scan_by_key_implILNS1_25lookback_scan_determinismE0ELb0ES3_N6thrust23THRUST_200600_302600_NS6detail15normal_iteratorINS9_10device_ptrIiEEEENSB_INSC_IsEEEESG_sNS9_4plusIvEENS9_8equal_toIvEEsEE10hipError_tPvRmT2_T3_T4_T5_mT6_T7_P12ihipStream_tbENKUlT_T0_E_clISt17integral_constantIbLb0EES11_EEDaSW_SX_EUlSW_E_NS1_11comp_targetILNS1_3genE10ELNS1_11target_archE1200ELNS1_3gpuE4ELNS1_3repE0EEENS1_30default_config_static_selectorELNS0_4arch9wavefront6targetE0EEEvT1_.num_named_barrier, 0
	.set _ZN7rocprim17ROCPRIM_400000_NS6detail17trampoline_kernelINS0_14default_configENS1_27scan_by_key_config_selectorIisEEZZNS1_16scan_by_key_implILNS1_25lookback_scan_determinismE0ELb0ES3_N6thrust23THRUST_200600_302600_NS6detail15normal_iteratorINS9_10device_ptrIiEEEENSB_INSC_IsEEEESG_sNS9_4plusIvEENS9_8equal_toIvEEsEE10hipError_tPvRmT2_T3_T4_T5_mT6_T7_P12ihipStream_tbENKUlT_T0_E_clISt17integral_constantIbLb0EES11_EEDaSW_SX_EUlSW_E_NS1_11comp_targetILNS1_3genE10ELNS1_11target_archE1200ELNS1_3gpuE4ELNS1_3repE0EEENS1_30default_config_static_selectorELNS0_4arch9wavefront6targetE0EEEvT1_.private_seg_size, 0
	.set _ZN7rocprim17ROCPRIM_400000_NS6detail17trampoline_kernelINS0_14default_configENS1_27scan_by_key_config_selectorIisEEZZNS1_16scan_by_key_implILNS1_25lookback_scan_determinismE0ELb0ES3_N6thrust23THRUST_200600_302600_NS6detail15normal_iteratorINS9_10device_ptrIiEEEENSB_INSC_IsEEEESG_sNS9_4plusIvEENS9_8equal_toIvEEsEE10hipError_tPvRmT2_T3_T4_T5_mT6_T7_P12ihipStream_tbENKUlT_T0_E_clISt17integral_constantIbLb0EES11_EEDaSW_SX_EUlSW_E_NS1_11comp_targetILNS1_3genE10ELNS1_11target_archE1200ELNS1_3gpuE4ELNS1_3repE0EEENS1_30default_config_static_selectorELNS0_4arch9wavefront6targetE0EEEvT1_.uses_vcc, 0
	.set _ZN7rocprim17ROCPRIM_400000_NS6detail17trampoline_kernelINS0_14default_configENS1_27scan_by_key_config_selectorIisEEZZNS1_16scan_by_key_implILNS1_25lookback_scan_determinismE0ELb0ES3_N6thrust23THRUST_200600_302600_NS6detail15normal_iteratorINS9_10device_ptrIiEEEENSB_INSC_IsEEEESG_sNS9_4plusIvEENS9_8equal_toIvEEsEE10hipError_tPvRmT2_T3_T4_T5_mT6_T7_P12ihipStream_tbENKUlT_T0_E_clISt17integral_constantIbLb0EES11_EEDaSW_SX_EUlSW_E_NS1_11comp_targetILNS1_3genE10ELNS1_11target_archE1200ELNS1_3gpuE4ELNS1_3repE0EEENS1_30default_config_static_selectorELNS0_4arch9wavefront6targetE0EEEvT1_.uses_flat_scratch, 0
	.set _ZN7rocprim17ROCPRIM_400000_NS6detail17trampoline_kernelINS0_14default_configENS1_27scan_by_key_config_selectorIisEEZZNS1_16scan_by_key_implILNS1_25lookback_scan_determinismE0ELb0ES3_N6thrust23THRUST_200600_302600_NS6detail15normal_iteratorINS9_10device_ptrIiEEEENSB_INSC_IsEEEESG_sNS9_4plusIvEENS9_8equal_toIvEEsEE10hipError_tPvRmT2_T3_T4_T5_mT6_T7_P12ihipStream_tbENKUlT_T0_E_clISt17integral_constantIbLb0EES11_EEDaSW_SX_EUlSW_E_NS1_11comp_targetILNS1_3genE10ELNS1_11target_archE1200ELNS1_3gpuE4ELNS1_3repE0EEENS1_30default_config_static_selectorELNS0_4arch9wavefront6targetE0EEEvT1_.has_dyn_sized_stack, 0
	.set _ZN7rocprim17ROCPRIM_400000_NS6detail17trampoline_kernelINS0_14default_configENS1_27scan_by_key_config_selectorIisEEZZNS1_16scan_by_key_implILNS1_25lookback_scan_determinismE0ELb0ES3_N6thrust23THRUST_200600_302600_NS6detail15normal_iteratorINS9_10device_ptrIiEEEENSB_INSC_IsEEEESG_sNS9_4plusIvEENS9_8equal_toIvEEsEE10hipError_tPvRmT2_T3_T4_T5_mT6_T7_P12ihipStream_tbENKUlT_T0_E_clISt17integral_constantIbLb0EES11_EEDaSW_SX_EUlSW_E_NS1_11comp_targetILNS1_3genE10ELNS1_11target_archE1200ELNS1_3gpuE4ELNS1_3repE0EEENS1_30default_config_static_selectorELNS0_4arch9wavefront6targetE0EEEvT1_.has_recursion, 0
	.set _ZN7rocprim17ROCPRIM_400000_NS6detail17trampoline_kernelINS0_14default_configENS1_27scan_by_key_config_selectorIisEEZZNS1_16scan_by_key_implILNS1_25lookback_scan_determinismE0ELb0ES3_N6thrust23THRUST_200600_302600_NS6detail15normal_iteratorINS9_10device_ptrIiEEEENSB_INSC_IsEEEESG_sNS9_4plusIvEENS9_8equal_toIvEEsEE10hipError_tPvRmT2_T3_T4_T5_mT6_T7_P12ihipStream_tbENKUlT_T0_E_clISt17integral_constantIbLb0EES11_EEDaSW_SX_EUlSW_E_NS1_11comp_targetILNS1_3genE10ELNS1_11target_archE1200ELNS1_3gpuE4ELNS1_3repE0EEENS1_30default_config_static_selectorELNS0_4arch9wavefront6targetE0EEEvT1_.has_indirect_call, 0
	.section	.AMDGPU.csdata,"",@progbits
; Kernel info:
; codeLenInByte = 0
; TotalNumSgprs: 0
; NumVgprs: 0
; ScratchSize: 0
; MemoryBound: 0
; FloatMode: 240
; IeeeMode: 1
; LDSByteSize: 0 bytes/workgroup (compile time only)
; SGPRBlocks: 0
; VGPRBlocks: 0
; NumSGPRsForWavesPerEU: 1
; NumVGPRsForWavesPerEU: 1
; NamedBarCnt: 0
; Occupancy: 16
; WaveLimiterHint : 0
; COMPUTE_PGM_RSRC2:SCRATCH_EN: 0
; COMPUTE_PGM_RSRC2:USER_SGPR: 2
; COMPUTE_PGM_RSRC2:TRAP_HANDLER: 0
; COMPUTE_PGM_RSRC2:TGID_X_EN: 1
; COMPUTE_PGM_RSRC2:TGID_Y_EN: 0
; COMPUTE_PGM_RSRC2:TGID_Z_EN: 0
; COMPUTE_PGM_RSRC2:TIDIG_COMP_CNT: 0
	.section	.text._ZN7rocprim17ROCPRIM_400000_NS6detail17trampoline_kernelINS0_14default_configENS1_27scan_by_key_config_selectorIisEEZZNS1_16scan_by_key_implILNS1_25lookback_scan_determinismE0ELb0ES3_N6thrust23THRUST_200600_302600_NS6detail15normal_iteratorINS9_10device_ptrIiEEEENSB_INSC_IsEEEESG_sNS9_4plusIvEENS9_8equal_toIvEEsEE10hipError_tPvRmT2_T3_T4_T5_mT6_T7_P12ihipStream_tbENKUlT_T0_E_clISt17integral_constantIbLb0EES11_EEDaSW_SX_EUlSW_E_NS1_11comp_targetILNS1_3genE9ELNS1_11target_archE1100ELNS1_3gpuE3ELNS1_3repE0EEENS1_30default_config_static_selectorELNS0_4arch9wavefront6targetE0EEEvT1_,"axG",@progbits,_ZN7rocprim17ROCPRIM_400000_NS6detail17trampoline_kernelINS0_14default_configENS1_27scan_by_key_config_selectorIisEEZZNS1_16scan_by_key_implILNS1_25lookback_scan_determinismE0ELb0ES3_N6thrust23THRUST_200600_302600_NS6detail15normal_iteratorINS9_10device_ptrIiEEEENSB_INSC_IsEEEESG_sNS9_4plusIvEENS9_8equal_toIvEEsEE10hipError_tPvRmT2_T3_T4_T5_mT6_T7_P12ihipStream_tbENKUlT_T0_E_clISt17integral_constantIbLb0EES11_EEDaSW_SX_EUlSW_E_NS1_11comp_targetILNS1_3genE9ELNS1_11target_archE1100ELNS1_3gpuE3ELNS1_3repE0EEENS1_30default_config_static_selectorELNS0_4arch9wavefront6targetE0EEEvT1_,comdat
	.protected	_ZN7rocprim17ROCPRIM_400000_NS6detail17trampoline_kernelINS0_14default_configENS1_27scan_by_key_config_selectorIisEEZZNS1_16scan_by_key_implILNS1_25lookback_scan_determinismE0ELb0ES3_N6thrust23THRUST_200600_302600_NS6detail15normal_iteratorINS9_10device_ptrIiEEEENSB_INSC_IsEEEESG_sNS9_4plusIvEENS9_8equal_toIvEEsEE10hipError_tPvRmT2_T3_T4_T5_mT6_T7_P12ihipStream_tbENKUlT_T0_E_clISt17integral_constantIbLb0EES11_EEDaSW_SX_EUlSW_E_NS1_11comp_targetILNS1_3genE9ELNS1_11target_archE1100ELNS1_3gpuE3ELNS1_3repE0EEENS1_30default_config_static_selectorELNS0_4arch9wavefront6targetE0EEEvT1_ ; -- Begin function _ZN7rocprim17ROCPRIM_400000_NS6detail17trampoline_kernelINS0_14default_configENS1_27scan_by_key_config_selectorIisEEZZNS1_16scan_by_key_implILNS1_25lookback_scan_determinismE0ELb0ES3_N6thrust23THRUST_200600_302600_NS6detail15normal_iteratorINS9_10device_ptrIiEEEENSB_INSC_IsEEEESG_sNS9_4plusIvEENS9_8equal_toIvEEsEE10hipError_tPvRmT2_T3_T4_T5_mT6_T7_P12ihipStream_tbENKUlT_T0_E_clISt17integral_constantIbLb0EES11_EEDaSW_SX_EUlSW_E_NS1_11comp_targetILNS1_3genE9ELNS1_11target_archE1100ELNS1_3gpuE3ELNS1_3repE0EEENS1_30default_config_static_selectorELNS0_4arch9wavefront6targetE0EEEvT1_
	.globl	_ZN7rocprim17ROCPRIM_400000_NS6detail17trampoline_kernelINS0_14default_configENS1_27scan_by_key_config_selectorIisEEZZNS1_16scan_by_key_implILNS1_25lookback_scan_determinismE0ELb0ES3_N6thrust23THRUST_200600_302600_NS6detail15normal_iteratorINS9_10device_ptrIiEEEENSB_INSC_IsEEEESG_sNS9_4plusIvEENS9_8equal_toIvEEsEE10hipError_tPvRmT2_T3_T4_T5_mT6_T7_P12ihipStream_tbENKUlT_T0_E_clISt17integral_constantIbLb0EES11_EEDaSW_SX_EUlSW_E_NS1_11comp_targetILNS1_3genE9ELNS1_11target_archE1100ELNS1_3gpuE3ELNS1_3repE0EEENS1_30default_config_static_selectorELNS0_4arch9wavefront6targetE0EEEvT1_
	.p2align	8
	.type	_ZN7rocprim17ROCPRIM_400000_NS6detail17trampoline_kernelINS0_14default_configENS1_27scan_by_key_config_selectorIisEEZZNS1_16scan_by_key_implILNS1_25lookback_scan_determinismE0ELb0ES3_N6thrust23THRUST_200600_302600_NS6detail15normal_iteratorINS9_10device_ptrIiEEEENSB_INSC_IsEEEESG_sNS9_4plusIvEENS9_8equal_toIvEEsEE10hipError_tPvRmT2_T3_T4_T5_mT6_T7_P12ihipStream_tbENKUlT_T0_E_clISt17integral_constantIbLb0EES11_EEDaSW_SX_EUlSW_E_NS1_11comp_targetILNS1_3genE9ELNS1_11target_archE1100ELNS1_3gpuE3ELNS1_3repE0EEENS1_30default_config_static_selectorELNS0_4arch9wavefront6targetE0EEEvT1_,@function
_ZN7rocprim17ROCPRIM_400000_NS6detail17trampoline_kernelINS0_14default_configENS1_27scan_by_key_config_selectorIisEEZZNS1_16scan_by_key_implILNS1_25lookback_scan_determinismE0ELb0ES3_N6thrust23THRUST_200600_302600_NS6detail15normal_iteratorINS9_10device_ptrIiEEEENSB_INSC_IsEEEESG_sNS9_4plusIvEENS9_8equal_toIvEEsEE10hipError_tPvRmT2_T3_T4_T5_mT6_T7_P12ihipStream_tbENKUlT_T0_E_clISt17integral_constantIbLb0EES11_EEDaSW_SX_EUlSW_E_NS1_11comp_targetILNS1_3genE9ELNS1_11target_archE1100ELNS1_3gpuE3ELNS1_3repE0EEENS1_30default_config_static_selectorELNS0_4arch9wavefront6targetE0EEEvT1_: ; @_ZN7rocprim17ROCPRIM_400000_NS6detail17trampoline_kernelINS0_14default_configENS1_27scan_by_key_config_selectorIisEEZZNS1_16scan_by_key_implILNS1_25lookback_scan_determinismE0ELb0ES3_N6thrust23THRUST_200600_302600_NS6detail15normal_iteratorINS9_10device_ptrIiEEEENSB_INSC_IsEEEESG_sNS9_4plusIvEENS9_8equal_toIvEEsEE10hipError_tPvRmT2_T3_T4_T5_mT6_T7_P12ihipStream_tbENKUlT_T0_E_clISt17integral_constantIbLb0EES11_EEDaSW_SX_EUlSW_E_NS1_11comp_targetILNS1_3genE9ELNS1_11target_archE1100ELNS1_3gpuE3ELNS1_3repE0EEENS1_30default_config_static_selectorELNS0_4arch9wavefront6targetE0EEEvT1_
; %bb.0:
	.section	.rodata,"a",@progbits
	.p2align	6, 0x0
	.amdhsa_kernel _ZN7rocprim17ROCPRIM_400000_NS6detail17trampoline_kernelINS0_14default_configENS1_27scan_by_key_config_selectorIisEEZZNS1_16scan_by_key_implILNS1_25lookback_scan_determinismE0ELb0ES3_N6thrust23THRUST_200600_302600_NS6detail15normal_iteratorINS9_10device_ptrIiEEEENSB_INSC_IsEEEESG_sNS9_4plusIvEENS9_8equal_toIvEEsEE10hipError_tPvRmT2_T3_T4_T5_mT6_T7_P12ihipStream_tbENKUlT_T0_E_clISt17integral_constantIbLb0EES11_EEDaSW_SX_EUlSW_E_NS1_11comp_targetILNS1_3genE9ELNS1_11target_archE1100ELNS1_3gpuE3ELNS1_3repE0EEENS1_30default_config_static_selectorELNS0_4arch9wavefront6targetE0EEEvT1_
		.amdhsa_group_segment_fixed_size 0
		.amdhsa_private_segment_fixed_size 0
		.amdhsa_kernarg_size 112
		.amdhsa_user_sgpr_count 2
		.amdhsa_user_sgpr_dispatch_ptr 0
		.amdhsa_user_sgpr_queue_ptr 0
		.amdhsa_user_sgpr_kernarg_segment_ptr 1
		.amdhsa_user_sgpr_dispatch_id 0
		.amdhsa_user_sgpr_kernarg_preload_length 0
		.amdhsa_user_sgpr_kernarg_preload_offset 0
		.amdhsa_user_sgpr_private_segment_size 0
		.amdhsa_wavefront_size32 1
		.amdhsa_uses_dynamic_stack 0
		.amdhsa_enable_private_segment 0
		.amdhsa_system_sgpr_workgroup_id_x 1
		.amdhsa_system_sgpr_workgroup_id_y 0
		.amdhsa_system_sgpr_workgroup_id_z 0
		.amdhsa_system_sgpr_workgroup_info 0
		.amdhsa_system_vgpr_workitem_id 0
		.amdhsa_next_free_vgpr 1
		.amdhsa_next_free_sgpr 1
		.amdhsa_named_barrier_count 0
		.amdhsa_reserve_vcc 0
		.amdhsa_float_round_mode_32 0
		.amdhsa_float_round_mode_16_64 0
		.amdhsa_float_denorm_mode_32 3
		.amdhsa_float_denorm_mode_16_64 3
		.amdhsa_fp16_overflow 0
		.amdhsa_memory_ordered 1
		.amdhsa_forward_progress 1
		.amdhsa_inst_pref_size 0
		.amdhsa_round_robin_scheduling 0
		.amdhsa_exception_fp_ieee_invalid_op 0
		.amdhsa_exception_fp_denorm_src 0
		.amdhsa_exception_fp_ieee_div_zero 0
		.amdhsa_exception_fp_ieee_overflow 0
		.amdhsa_exception_fp_ieee_underflow 0
		.amdhsa_exception_fp_ieee_inexact 0
		.amdhsa_exception_int_div_zero 0
	.end_amdhsa_kernel
	.section	.text._ZN7rocprim17ROCPRIM_400000_NS6detail17trampoline_kernelINS0_14default_configENS1_27scan_by_key_config_selectorIisEEZZNS1_16scan_by_key_implILNS1_25lookback_scan_determinismE0ELb0ES3_N6thrust23THRUST_200600_302600_NS6detail15normal_iteratorINS9_10device_ptrIiEEEENSB_INSC_IsEEEESG_sNS9_4plusIvEENS9_8equal_toIvEEsEE10hipError_tPvRmT2_T3_T4_T5_mT6_T7_P12ihipStream_tbENKUlT_T0_E_clISt17integral_constantIbLb0EES11_EEDaSW_SX_EUlSW_E_NS1_11comp_targetILNS1_3genE9ELNS1_11target_archE1100ELNS1_3gpuE3ELNS1_3repE0EEENS1_30default_config_static_selectorELNS0_4arch9wavefront6targetE0EEEvT1_,"axG",@progbits,_ZN7rocprim17ROCPRIM_400000_NS6detail17trampoline_kernelINS0_14default_configENS1_27scan_by_key_config_selectorIisEEZZNS1_16scan_by_key_implILNS1_25lookback_scan_determinismE0ELb0ES3_N6thrust23THRUST_200600_302600_NS6detail15normal_iteratorINS9_10device_ptrIiEEEENSB_INSC_IsEEEESG_sNS9_4plusIvEENS9_8equal_toIvEEsEE10hipError_tPvRmT2_T3_T4_T5_mT6_T7_P12ihipStream_tbENKUlT_T0_E_clISt17integral_constantIbLb0EES11_EEDaSW_SX_EUlSW_E_NS1_11comp_targetILNS1_3genE9ELNS1_11target_archE1100ELNS1_3gpuE3ELNS1_3repE0EEENS1_30default_config_static_selectorELNS0_4arch9wavefront6targetE0EEEvT1_,comdat
.Lfunc_end1359:
	.size	_ZN7rocprim17ROCPRIM_400000_NS6detail17trampoline_kernelINS0_14default_configENS1_27scan_by_key_config_selectorIisEEZZNS1_16scan_by_key_implILNS1_25lookback_scan_determinismE0ELb0ES3_N6thrust23THRUST_200600_302600_NS6detail15normal_iteratorINS9_10device_ptrIiEEEENSB_INSC_IsEEEESG_sNS9_4plusIvEENS9_8equal_toIvEEsEE10hipError_tPvRmT2_T3_T4_T5_mT6_T7_P12ihipStream_tbENKUlT_T0_E_clISt17integral_constantIbLb0EES11_EEDaSW_SX_EUlSW_E_NS1_11comp_targetILNS1_3genE9ELNS1_11target_archE1100ELNS1_3gpuE3ELNS1_3repE0EEENS1_30default_config_static_selectorELNS0_4arch9wavefront6targetE0EEEvT1_, .Lfunc_end1359-_ZN7rocprim17ROCPRIM_400000_NS6detail17trampoline_kernelINS0_14default_configENS1_27scan_by_key_config_selectorIisEEZZNS1_16scan_by_key_implILNS1_25lookback_scan_determinismE0ELb0ES3_N6thrust23THRUST_200600_302600_NS6detail15normal_iteratorINS9_10device_ptrIiEEEENSB_INSC_IsEEEESG_sNS9_4plusIvEENS9_8equal_toIvEEsEE10hipError_tPvRmT2_T3_T4_T5_mT6_T7_P12ihipStream_tbENKUlT_T0_E_clISt17integral_constantIbLb0EES11_EEDaSW_SX_EUlSW_E_NS1_11comp_targetILNS1_3genE9ELNS1_11target_archE1100ELNS1_3gpuE3ELNS1_3repE0EEENS1_30default_config_static_selectorELNS0_4arch9wavefront6targetE0EEEvT1_
                                        ; -- End function
	.set _ZN7rocprim17ROCPRIM_400000_NS6detail17trampoline_kernelINS0_14default_configENS1_27scan_by_key_config_selectorIisEEZZNS1_16scan_by_key_implILNS1_25lookback_scan_determinismE0ELb0ES3_N6thrust23THRUST_200600_302600_NS6detail15normal_iteratorINS9_10device_ptrIiEEEENSB_INSC_IsEEEESG_sNS9_4plusIvEENS9_8equal_toIvEEsEE10hipError_tPvRmT2_T3_T4_T5_mT6_T7_P12ihipStream_tbENKUlT_T0_E_clISt17integral_constantIbLb0EES11_EEDaSW_SX_EUlSW_E_NS1_11comp_targetILNS1_3genE9ELNS1_11target_archE1100ELNS1_3gpuE3ELNS1_3repE0EEENS1_30default_config_static_selectorELNS0_4arch9wavefront6targetE0EEEvT1_.num_vgpr, 0
	.set _ZN7rocprim17ROCPRIM_400000_NS6detail17trampoline_kernelINS0_14default_configENS1_27scan_by_key_config_selectorIisEEZZNS1_16scan_by_key_implILNS1_25lookback_scan_determinismE0ELb0ES3_N6thrust23THRUST_200600_302600_NS6detail15normal_iteratorINS9_10device_ptrIiEEEENSB_INSC_IsEEEESG_sNS9_4plusIvEENS9_8equal_toIvEEsEE10hipError_tPvRmT2_T3_T4_T5_mT6_T7_P12ihipStream_tbENKUlT_T0_E_clISt17integral_constantIbLb0EES11_EEDaSW_SX_EUlSW_E_NS1_11comp_targetILNS1_3genE9ELNS1_11target_archE1100ELNS1_3gpuE3ELNS1_3repE0EEENS1_30default_config_static_selectorELNS0_4arch9wavefront6targetE0EEEvT1_.num_agpr, 0
	.set _ZN7rocprim17ROCPRIM_400000_NS6detail17trampoline_kernelINS0_14default_configENS1_27scan_by_key_config_selectorIisEEZZNS1_16scan_by_key_implILNS1_25lookback_scan_determinismE0ELb0ES3_N6thrust23THRUST_200600_302600_NS6detail15normal_iteratorINS9_10device_ptrIiEEEENSB_INSC_IsEEEESG_sNS9_4plusIvEENS9_8equal_toIvEEsEE10hipError_tPvRmT2_T3_T4_T5_mT6_T7_P12ihipStream_tbENKUlT_T0_E_clISt17integral_constantIbLb0EES11_EEDaSW_SX_EUlSW_E_NS1_11comp_targetILNS1_3genE9ELNS1_11target_archE1100ELNS1_3gpuE3ELNS1_3repE0EEENS1_30default_config_static_selectorELNS0_4arch9wavefront6targetE0EEEvT1_.numbered_sgpr, 0
	.set _ZN7rocprim17ROCPRIM_400000_NS6detail17trampoline_kernelINS0_14default_configENS1_27scan_by_key_config_selectorIisEEZZNS1_16scan_by_key_implILNS1_25lookback_scan_determinismE0ELb0ES3_N6thrust23THRUST_200600_302600_NS6detail15normal_iteratorINS9_10device_ptrIiEEEENSB_INSC_IsEEEESG_sNS9_4plusIvEENS9_8equal_toIvEEsEE10hipError_tPvRmT2_T3_T4_T5_mT6_T7_P12ihipStream_tbENKUlT_T0_E_clISt17integral_constantIbLb0EES11_EEDaSW_SX_EUlSW_E_NS1_11comp_targetILNS1_3genE9ELNS1_11target_archE1100ELNS1_3gpuE3ELNS1_3repE0EEENS1_30default_config_static_selectorELNS0_4arch9wavefront6targetE0EEEvT1_.num_named_barrier, 0
	.set _ZN7rocprim17ROCPRIM_400000_NS6detail17trampoline_kernelINS0_14default_configENS1_27scan_by_key_config_selectorIisEEZZNS1_16scan_by_key_implILNS1_25lookback_scan_determinismE0ELb0ES3_N6thrust23THRUST_200600_302600_NS6detail15normal_iteratorINS9_10device_ptrIiEEEENSB_INSC_IsEEEESG_sNS9_4plusIvEENS9_8equal_toIvEEsEE10hipError_tPvRmT2_T3_T4_T5_mT6_T7_P12ihipStream_tbENKUlT_T0_E_clISt17integral_constantIbLb0EES11_EEDaSW_SX_EUlSW_E_NS1_11comp_targetILNS1_3genE9ELNS1_11target_archE1100ELNS1_3gpuE3ELNS1_3repE0EEENS1_30default_config_static_selectorELNS0_4arch9wavefront6targetE0EEEvT1_.private_seg_size, 0
	.set _ZN7rocprim17ROCPRIM_400000_NS6detail17trampoline_kernelINS0_14default_configENS1_27scan_by_key_config_selectorIisEEZZNS1_16scan_by_key_implILNS1_25lookback_scan_determinismE0ELb0ES3_N6thrust23THRUST_200600_302600_NS6detail15normal_iteratorINS9_10device_ptrIiEEEENSB_INSC_IsEEEESG_sNS9_4plusIvEENS9_8equal_toIvEEsEE10hipError_tPvRmT2_T3_T4_T5_mT6_T7_P12ihipStream_tbENKUlT_T0_E_clISt17integral_constantIbLb0EES11_EEDaSW_SX_EUlSW_E_NS1_11comp_targetILNS1_3genE9ELNS1_11target_archE1100ELNS1_3gpuE3ELNS1_3repE0EEENS1_30default_config_static_selectorELNS0_4arch9wavefront6targetE0EEEvT1_.uses_vcc, 0
	.set _ZN7rocprim17ROCPRIM_400000_NS6detail17trampoline_kernelINS0_14default_configENS1_27scan_by_key_config_selectorIisEEZZNS1_16scan_by_key_implILNS1_25lookback_scan_determinismE0ELb0ES3_N6thrust23THRUST_200600_302600_NS6detail15normal_iteratorINS9_10device_ptrIiEEEENSB_INSC_IsEEEESG_sNS9_4plusIvEENS9_8equal_toIvEEsEE10hipError_tPvRmT2_T3_T4_T5_mT6_T7_P12ihipStream_tbENKUlT_T0_E_clISt17integral_constantIbLb0EES11_EEDaSW_SX_EUlSW_E_NS1_11comp_targetILNS1_3genE9ELNS1_11target_archE1100ELNS1_3gpuE3ELNS1_3repE0EEENS1_30default_config_static_selectorELNS0_4arch9wavefront6targetE0EEEvT1_.uses_flat_scratch, 0
	.set _ZN7rocprim17ROCPRIM_400000_NS6detail17trampoline_kernelINS0_14default_configENS1_27scan_by_key_config_selectorIisEEZZNS1_16scan_by_key_implILNS1_25lookback_scan_determinismE0ELb0ES3_N6thrust23THRUST_200600_302600_NS6detail15normal_iteratorINS9_10device_ptrIiEEEENSB_INSC_IsEEEESG_sNS9_4plusIvEENS9_8equal_toIvEEsEE10hipError_tPvRmT2_T3_T4_T5_mT6_T7_P12ihipStream_tbENKUlT_T0_E_clISt17integral_constantIbLb0EES11_EEDaSW_SX_EUlSW_E_NS1_11comp_targetILNS1_3genE9ELNS1_11target_archE1100ELNS1_3gpuE3ELNS1_3repE0EEENS1_30default_config_static_selectorELNS0_4arch9wavefront6targetE0EEEvT1_.has_dyn_sized_stack, 0
	.set _ZN7rocprim17ROCPRIM_400000_NS6detail17trampoline_kernelINS0_14default_configENS1_27scan_by_key_config_selectorIisEEZZNS1_16scan_by_key_implILNS1_25lookback_scan_determinismE0ELb0ES3_N6thrust23THRUST_200600_302600_NS6detail15normal_iteratorINS9_10device_ptrIiEEEENSB_INSC_IsEEEESG_sNS9_4plusIvEENS9_8equal_toIvEEsEE10hipError_tPvRmT2_T3_T4_T5_mT6_T7_P12ihipStream_tbENKUlT_T0_E_clISt17integral_constantIbLb0EES11_EEDaSW_SX_EUlSW_E_NS1_11comp_targetILNS1_3genE9ELNS1_11target_archE1100ELNS1_3gpuE3ELNS1_3repE0EEENS1_30default_config_static_selectorELNS0_4arch9wavefront6targetE0EEEvT1_.has_recursion, 0
	.set _ZN7rocprim17ROCPRIM_400000_NS6detail17trampoline_kernelINS0_14default_configENS1_27scan_by_key_config_selectorIisEEZZNS1_16scan_by_key_implILNS1_25lookback_scan_determinismE0ELb0ES3_N6thrust23THRUST_200600_302600_NS6detail15normal_iteratorINS9_10device_ptrIiEEEENSB_INSC_IsEEEESG_sNS9_4plusIvEENS9_8equal_toIvEEsEE10hipError_tPvRmT2_T3_T4_T5_mT6_T7_P12ihipStream_tbENKUlT_T0_E_clISt17integral_constantIbLb0EES11_EEDaSW_SX_EUlSW_E_NS1_11comp_targetILNS1_3genE9ELNS1_11target_archE1100ELNS1_3gpuE3ELNS1_3repE0EEENS1_30default_config_static_selectorELNS0_4arch9wavefront6targetE0EEEvT1_.has_indirect_call, 0
	.section	.AMDGPU.csdata,"",@progbits
; Kernel info:
; codeLenInByte = 0
; TotalNumSgprs: 0
; NumVgprs: 0
; ScratchSize: 0
; MemoryBound: 0
; FloatMode: 240
; IeeeMode: 1
; LDSByteSize: 0 bytes/workgroup (compile time only)
; SGPRBlocks: 0
; VGPRBlocks: 0
; NumSGPRsForWavesPerEU: 1
; NumVGPRsForWavesPerEU: 1
; NamedBarCnt: 0
; Occupancy: 16
; WaveLimiterHint : 0
; COMPUTE_PGM_RSRC2:SCRATCH_EN: 0
; COMPUTE_PGM_RSRC2:USER_SGPR: 2
; COMPUTE_PGM_RSRC2:TRAP_HANDLER: 0
; COMPUTE_PGM_RSRC2:TGID_X_EN: 1
; COMPUTE_PGM_RSRC2:TGID_Y_EN: 0
; COMPUTE_PGM_RSRC2:TGID_Z_EN: 0
; COMPUTE_PGM_RSRC2:TIDIG_COMP_CNT: 0
	.section	.text._ZN7rocprim17ROCPRIM_400000_NS6detail17trampoline_kernelINS0_14default_configENS1_27scan_by_key_config_selectorIisEEZZNS1_16scan_by_key_implILNS1_25lookback_scan_determinismE0ELb0ES3_N6thrust23THRUST_200600_302600_NS6detail15normal_iteratorINS9_10device_ptrIiEEEENSB_INSC_IsEEEESG_sNS9_4plusIvEENS9_8equal_toIvEEsEE10hipError_tPvRmT2_T3_T4_T5_mT6_T7_P12ihipStream_tbENKUlT_T0_E_clISt17integral_constantIbLb0EES11_EEDaSW_SX_EUlSW_E_NS1_11comp_targetILNS1_3genE8ELNS1_11target_archE1030ELNS1_3gpuE2ELNS1_3repE0EEENS1_30default_config_static_selectorELNS0_4arch9wavefront6targetE0EEEvT1_,"axG",@progbits,_ZN7rocprim17ROCPRIM_400000_NS6detail17trampoline_kernelINS0_14default_configENS1_27scan_by_key_config_selectorIisEEZZNS1_16scan_by_key_implILNS1_25lookback_scan_determinismE0ELb0ES3_N6thrust23THRUST_200600_302600_NS6detail15normal_iteratorINS9_10device_ptrIiEEEENSB_INSC_IsEEEESG_sNS9_4plusIvEENS9_8equal_toIvEEsEE10hipError_tPvRmT2_T3_T4_T5_mT6_T7_P12ihipStream_tbENKUlT_T0_E_clISt17integral_constantIbLb0EES11_EEDaSW_SX_EUlSW_E_NS1_11comp_targetILNS1_3genE8ELNS1_11target_archE1030ELNS1_3gpuE2ELNS1_3repE0EEENS1_30default_config_static_selectorELNS0_4arch9wavefront6targetE0EEEvT1_,comdat
	.protected	_ZN7rocprim17ROCPRIM_400000_NS6detail17trampoline_kernelINS0_14default_configENS1_27scan_by_key_config_selectorIisEEZZNS1_16scan_by_key_implILNS1_25lookback_scan_determinismE0ELb0ES3_N6thrust23THRUST_200600_302600_NS6detail15normal_iteratorINS9_10device_ptrIiEEEENSB_INSC_IsEEEESG_sNS9_4plusIvEENS9_8equal_toIvEEsEE10hipError_tPvRmT2_T3_T4_T5_mT6_T7_P12ihipStream_tbENKUlT_T0_E_clISt17integral_constantIbLb0EES11_EEDaSW_SX_EUlSW_E_NS1_11comp_targetILNS1_3genE8ELNS1_11target_archE1030ELNS1_3gpuE2ELNS1_3repE0EEENS1_30default_config_static_selectorELNS0_4arch9wavefront6targetE0EEEvT1_ ; -- Begin function _ZN7rocprim17ROCPRIM_400000_NS6detail17trampoline_kernelINS0_14default_configENS1_27scan_by_key_config_selectorIisEEZZNS1_16scan_by_key_implILNS1_25lookback_scan_determinismE0ELb0ES3_N6thrust23THRUST_200600_302600_NS6detail15normal_iteratorINS9_10device_ptrIiEEEENSB_INSC_IsEEEESG_sNS9_4plusIvEENS9_8equal_toIvEEsEE10hipError_tPvRmT2_T3_T4_T5_mT6_T7_P12ihipStream_tbENKUlT_T0_E_clISt17integral_constantIbLb0EES11_EEDaSW_SX_EUlSW_E_NS1_11comp_targetILNS1_3genE8ELNS1_11target_archE1030ELNS1_3gpuE2ELNS1_3repE0EEENS1_30default_config_static_selectorELNS0_4arch9wavefront6targetE0EEEvT1_
	.globl	_ZN7rocprim17ROCPRIM_400000_NS6detail17trampoline_kernelINS0_14default_configENS1_27scan_by_key_config_selectorIisEEZZNS1_16scan_by_key_implILNS1_25lookback_scan_determinismE0ELb0ES3_N6thrust23THRUST_200600_302600_NS6detail15normal_iteratorINS9_10device_ptrIiEEEENSB_INSC_IsEEEESG_sNS9_4plusIvEENS9_8equal_toIvEEsEE10hipError_tPvRmT2_T3_T4_T5_mT6_T7_P12ihipStream_tbENKUlT_T0_E_clISt17integral_constantIbLb0EES11_EEDaSW_SX_EUlSW_E_NS1_11comp_targetILNS1_3genE8ELNS1_11target_archE1030ELNS1_3gpuE2ELNS1_3repE0EEENS1_30default_config_static_selectorELNS0_4arch9wavefront6targetE0EEEvT1_
	.p2align	8
	.type	_ZN7rocprim17ROCPRIM_400000_NS6detail17trampoline_kernelINS0_14default_configENS1_27scan_by_key_config_selectorIisEEZZNS1_16scan_by_key_implILNS1_25lookback_scan_determinismE0ELb0ES3_N6thrust23THRUST_200600_302600_NS6detail15normal_iteratorINS9_10device_ptrIiEEEENSB_INSC_IsEEEESG_sNS9_4plusIvEENS9_8equal_toIvEEsEE10hipError_tPvRmT2_T3_T4_T5_mT6_T7_P12ihipStream_tbENKUlT_T0_E_clISt17integral_constantIbLb0EES11_EEDaSW_SX_EUlSW_E_NS1_11comp_targetILNS1_3genE8ELNS1_11target_archE1030ELNS1_3gpuE2ELNS1_3repE0EEENS1_30default_config_static_selectorELNS0_4arch9wavefront6targetE0EEEvT1_,@function
_ZN7rocprim17ROCPRIM_400000_NS6detail17trampoline_kernelINS0_14default_configENS1_27scan_by_key_config_selectorIisEEZZNS1_16scan_by_key_implILNS1_25lookback_scan_determinismE0ELb0ES3_N6thrust23THRUST_200600_302600_NS6detail15normal_iteratorINS9_10device_ptrIiEEEENSB_INSC_IsEEEESG_sNS9_4plusIvEENS9_8equal_toIvEEsEE10hipError_tPvRmT2_T3_T4_T5_mT6_T7_P12ihipStream_tbENKUlT_T0_E_clISt17integral_constantIbLb0EES11_EEDaSW_SX_EUlSW_E_NS1_11comp_targetILNS1_3genE8ELNS1_11target_archE1030ELNS1_3gpuE2ELNS1_3repE0EEENS1_30default_config_static_selectorELNS0_4arch9wavefront6targetE0EEEvT1_: ; @_ZN7rocprim17ROCPRIM_400000_NS6detail17trampoline_kernelINS0_14default_configENS1_27scan_by_key_config_selectorIisEEZZNS1_16scan_by_key_implILNS1_25lookback_scan_determinismE0ELb0ES3_N6thrust23THRUST_200600_302600_NS6detail15normal_iteratorINS9_10device_ptrIiEEEENSB_INSC_IsEEEESG_sNS9_4plusIvEENS9_8equal_toIvEEsEE10hipError_tPvRmT2_T3_T4_T5_mT6_T7_P12ihipStream_tbENKUlT_T0_E_clISt17integral_constantIbLb0EES11_EEDaSW_SX_EUlSW_E_NS1_11comp_targetILNS1_3genE8ELNS1_11target_archE1030ELNS1_3gpuE2ELNS1_3repE0EEENS1_30default_config_static_selectorELNS0_4arch9wavefront6targetE0EEEvT1_
; %bb.0:
	.section	.rodata,"a",@progbits
	.p2align	6, 0x0
	.amdhsa_kernel _ZN7rocprim17ROCPRIM_400000_NS6detail17trampoline_kernelINS0_14default_configENS1_27scan_by_key_config_selectorIisEEZZNS1_16scan_by_key_implILNS1_25lookback_scan_determinismE0ELb0ES3_N6thrust23THRUST_200600_302600_NS6detail15normal_iteratorINS9_10device_ptrIiEEEENSB_INSC_IsEEEESG_sNS9_4plusIvEENS9_8equal_toIvEEsEE10hipError_tPvRmT2_T3_T4_T5_mT6_T7_P12ihipStream_tbENKUlT_T0_E_clISt17integral_constantIbLb0EES11_EEDaSW_SX_EUlSW_E_NS1_11comp_targetILNS1_3genE8ELNS1_11target_archE1030ELNS1_3gpuE2ELNS1_3repE0EEENS1_30default_config_static_selectorELNS0_4arch9wavefront6targetE0EEEvT1_
		.amdhsa_group_segment_fixed_size 0
		.amdhsa_private_segment_fixed_size 0
		.amdhsa_kernarg_size 112
		.amdhsa_user_sgpr_count 2
		.amdhsa_user_sgpr_dispatch_ptr 0
		.amdhsa_user_sgpr_queue_ptr 0
		.amdhsa_user_sgpr_kernarg_segment_ptr 1
		.amdhsa_user_sgpr_dispatch_id 0
		.amdhsa_user_sgpr_kernarg_preload_length 0
		.amdhsa_user_sgpr_kernarg_preload_offset 0
		.amdhsa_user_sgpr_private_segment_size 0
		.amdhsa_wavefront_size32 1
		.amdhsa_uses_dynamic_stack 0
		.amdhsa_enable_private_segment 0
		.amdhsa_system_sgpr_workgroup_id_x 1
		.amdhsa_system_sgpr_workgroup_id_y 0
		.amdhsa_system_sgpr_workgroup_id_z 0
		.amdhsa_system_sgpr_workgroup_info 0
		.amdhsa_system_vgpr_workitem_id 0
		.amdhsa_next_free_vgpr 1
		.amdhsa_next_free_sgpr 1
		.amdhsa_named_barrier_count 0
		.amdhsa_reserve_vcc 0
		.amdhsa_float_round_mode_32 0
		.amdhsa_float_round_mode_16_64 0
		.amdhsa_float_denorm_mode_32 3
		.amdhsa_float_denorm_mode_16_64 3
		.amdhsa_fp16_overflow 0
		.amdhsa_memory_ordered 1
		.amdhsa_forward_progress 1
		.amdhsa_inst_pref_size 0
		.amdhsa_round_robin_scheduling 0
		.amdhsa_exception_fp_ieee_invalid_op 0
		.amdhsa_exception_fp_denorm_src 0
		.amdhsa_exception_fp_ieee_div_zero 0
		.amdhsa_exception_fp_ieee_overflow 0
		.amdhsa_exception_fp_ieee_underflow 0
		.amdhsa_exception_fp_ieee_inexact 0
		.amdhsa_exception_int_div_zero 0
	.end_amdhsa_kernel
	.section	.text._ZN7rocprim17ROCPRIM_400000_NS6detail17trampoline_kernelINS0_14default_configENS1_27scan_by_key_config_selectorIisEEZZNS1_16scan_by_key_implILNS1_25lookback_scan_determinismE0ELb0ES3_N6thrust23THRUST_200600_302600_NS6detail15normal_iteratorINS9_10device_ptrIiEEEENSB_INSC_IsEEEESG_sNS9_4plusIvEENS9_8equal_toIvEEsEE10hipError_tPvRmT2_T3_T4_T5_mT6_T7_P12ihipStream_tbENKUlT_T0_E_clISt17integral_constantIbLb0EES11_EEDaSW_SX_EUlSW_E_NS1_11comp_targetILNS1_3genE8ELNS1_11target_archE1030ELNS1_3gpuE2ELNS1_3repE0EEENS1_30default_config_static_selectorELNS0_4arch9wavefront6targetE0EEEvT1_,"axG",@progbits,_ZN7rocprim17ROCPRIM_400000_NS6detail17trampoline_kernelINS0_14default_configENS1_27scan_by_key_config_selectorIisEEZZNS1_16scan_by_key_implILNS1_25lookback_scan_determinismE0ELb0ES3_N6thrust23THRUST_200600_302600_NS6detail15normal_iteratorINS9_10device_ptrIiEEEENSB_INSC_IsEEEESG_sNS9_4plusIvEENS9_8equal_toIvEEsEE10hipError_tPvRmT2_T3_T4_T5_mT6_T7_P12ihipStream_tbENKUlT_T0_E_clISt17integral_constantIbLb0EES11_EEDaSW_SX_EUlSW_E_NS1_11comp_targetILNS1_3genE8ELNS1_11target_archE1030ELNS1_3gpuE2ELNS1_3repE0EEENS1_30default_config_static_selectorELNS0_4arch9wavefront6targetE0EEEvT1_,comdat
.Lfunc_end1360:
	.size	_ZN7rocprim17ROCPRIM_400000_NS6detail17trampoline_kernelINS0_14default_configENS1_27scan_by_key_config_selectorIisEEZZNS1_16scan_by_key_implILNS1_25lookback_scan_determinismE0ELb0ES3_N6thrust23THRUST_200600_302600_NS6detail15normal_iteratorINS9_10device_ptrIiEEEENSB_INSC_IsEEEESG_sNS9_4plusIvEENS9_8equal_toIvEEsEE10hipError_tPvRmT2_T3_T4_T5_mT6_T7_P12ihipStream_tbENKUlT_T0_E_clISt17integral_constantIbLb0EES11_EEDaSW_SX_EUlSW_E_NS1_11comp_targetILNS1_3genE8ELNS1_11target_archE1030ELNS1_3gpuE2ELNS1_3repE0EEENS1_30default_config_static_selectorELNS0_4arch9wavefront6targetE0EEEvT1_, .Lfunc_end1360-_ZN7rocprim17ROCPRIM_400000_NS6detail17trampoline_kernelINS0_14default_configENS1_27scan_by_key_config_selectorIisEEZZNS1_16scan_by_key_implILNS1_25lookback_scan_determinismE0ELb0ES3_N6thrust23THRUST_200600_302600_NS6detail15normal_iteratorINS9_10device_ptrIiEEEENSB_INSC_IsEEEESG_sNS9_4plusIvEENS9_8equal_toIvEEsEE10hipError_tPvRmT2_T3_T4_T5_mT6_T7_P12ihipStream_tbENKUlT_T0_E_clISt17integral_constantIbLb0EES11_EEDaSW_SX_EUlSW_E_NS1_11comp_targetILNS1_3genE8ELNS1_11target_archE1030ELNS1_3gpuE2ELNS1_3repE0EEENS1_30default_config_static_selectorELNS0_4arch9wavefront6targetE0EEEvT1_
                                        ; -- End function
	.set _ZN7rocprim17ROCPRIM_400000_NS6detail17trampoline_kernelINS0_14default_configENS1_27scan_by_key_config_selectorIisEEZZNS1_16scan_by_key_implILNS1_25lookback_scan_determinismE0ELb0ES3_N6thrust23THRUST_200600_302600_NS6detail15normal_iteratorINS9_10device_ptrIiEEEENSB_INSC_IsEEEESG_sNS9_4plusIvEENS9_8equal_toIvEEsEE10hipError_tPvRmT2_T3_T4_T5_mT6_T7_P12ihipStream_tbENKUlT_T0_E_clISt17integral_constantIbLb0EES11_EEDaSW_SX_EUlSW_E_NS1_11comp_targetILNS1_3genE8ELNS1_11target_archE1030ELNS1_3gpuE2ELNS1_3repE0EEENS1_30default_config_static_selectorELNS0_4arch9wavefront6targetE0EEEvT1_.num_vgpr, 0
	.set _ZN7rocprim17ROCPRIM_400000_NS6detail17trampoline_kernelINS0_14default_configENS1_27scan_by_key_config_selectorIisEEZZNS1_16scan_by_key_implILNS1_25lookback_scan_determinismE0ELb0ES3_N6thrust23THRUST_200600_302600_NS6detail15normal_iteratorINS9_10device_ptrIiEEEENSB_INSC_IsEEEESG_sNS9_4plusIvEENS9_8equal_toIvEEsEE10hipError_tPvRmT2_T3_T4_T5_mT6_T7_P12ihipStream_tbENKUlT_T0_E_clISt17integral_constantIbLb0EES11_EEDaSW_SX_EUlSW_E_NS1_11comp_targetILNS1_3genE8ELNS1_11target_archE1030ELNS1_3gpuE2ELNS1_3repE0EEENS1_30default_config_static_selectorELNS0_4arch9wavefront6targetE0EEEvT1_.num_agpr, 0
	.set _ZN7rocprim17ROCPRIM_400000_NS6detail17trampoline_kernelINS0_14default_configENS1_27scan_by_key_config_selectorIisEEZZNS1_16scan_by_key_implILNS1_25lookback_scan_determinismE0ELb0ES3_N6thrust23THRUST_200600_302600_NS6detail15normal_iteratorINS9_10device_ptrIiEEEENSB_INSC_IsEEEESG_sNS9_4plusIvEENS9_8equal_toIvEEsEE10hipError_tPvRmT2_T3_T4_T5_mT6_T7_P12ihipStream_tbENKUlT_T0_E_clISt17integral_constantIbLb0EES11_EEDaSW_SX_EUlSW_E_NS1_11comp_targetILNS1_3genE8ELNS1_11target_archE1030ELNS1_3gpuE2ELNS1_3repE0EEENS1_30default_config_static_selectorELNS0_4arch9wavefront6targetE0EEEvT1_.numbered_sgpr, 0
	.set _ZN7rocprim17ROCPRIM_400000_NS6detail17trampoline_kernelINS0_14default_configENS1_27scan_by_key_config_selectorIisEEZZNS1_16scan_by_key_implILNS1_25lookback_scan_determinismE0ELb0ES3_N6thrust23THRUST_200600_302600_NS6detail15normal_iteratorINS9_10device_ptrIiEEEENSB_INSC_IsEEEESG_sNS9_4plusIvEENS9_8equal_toIvEEsEE10hipError_tPvRmT2_T3_T4_T5_mT6_T7_P12ihipStream_tbENKUlT_T0_E_clISt17integral_constantIbLb0EES11_EEDaSW_SX_EUlSW_E_NS1_11comp_targetILNS1_3genE8ELNS1_11target_archE1030ELNS1_3gpuE2ELNS1_3repE0EEENS1_30default_config_static_selectorELNS0_4arch9wavefront6targetE0EEEvT1_.num_named_barrier, 0
	.set _ZN7rocprim17ROCPRIM_400000_NS6detail17trampoline_kernelINS0_14default_configENS1_27scan_by_key_config_selectorIisEEZZNS1_16scan_by_key_implILNS1_25lookback_scan_determinismE0ELb0ES3_N6thrust23THRUST_200600_302600_NS6detail15normal_iteratorINS9_10device_ptrIiEEEENSB_INSC_IsEEEESG_sNS9_4plusIvEENS9_8equal_toIvEEsEE10hipError_tPvRmT2_T3_T4_T5_mT6_T7_P12ihipStream_tbENKUlT_T0_E_clISt17integral_constantIbLb0EES11_EEDaSW_SX_EUlSW_E_NS1_11comp_targetILNS1_3genE8ELNS1_11target_archE1030ELNS1_3gpuE2ELNS1_3repE0EEENS1_30default_config_static_selectorELNS0_4arch9wavefront6targetE0EEEvT1_.private_seg_size, 0
	.set _ZN7rocprim17ROCPRIM_400000_NS6detail17trampoline_kernelINS0_14default_configENS1_27scan_by_key_config_selectorIisEEZZNS1_16scan_by_key_implILNS1_25lookback_scan_determinismE0ELb0ES3_N6thrust23THRUST_200600_302600_NS6detail15normal_iteratorINS9_10device_ptrIiEEEENSB_INSC_IsEEEESG_sNS9_4plusIvEENS9_8equal_toIvEEsEE10hipError_tPvRmT2_T3_T4_T5_mT6_T7_P12ihipStream_tbENKUlT_T0_E_clISt17integral_constantIbLb0EES11_EEDaSW_SX_EUlSW_E_NS1_11comp_targetILNS1_3genE8ELNS1_11target_archE1030ELNS1_3gpuE2ELNS1_3repE0EEENS1_30default_config_static_selectorELNS0_4arch9wavefront6targetE0EEEvT1_.uses_vcc, 0
	.set _ZN7rocprim17ROCPRIM_400000_NS6detail17trampoline_kernelINS0_14default_configENS1_27scan_by_key_config_selectorIisEEZZNS1_16scan_by_key_implILNS1_25lookback_scan_determinismE0ELb0ES3_N6thrust23THRUST_200600_302600_NS6detail15normal_iteratorINS9_10device_ptrIiEEEENSB_INSC_IsEEEESG_sNS9_4plusIvEENS9_8equal_toIvEEsEE10hipError_tPvRmT2_T3_T4_T5_mT6_T7_P12ihipStream_tbENKUlT_T0_E_clISt17integral_constantIbLb0EES11_EEDaSW_SX_EUlSW_E_NS1_11comp_targetILNS1_3genE8ELNS1_11target_archE1030ELNS1_3gpuE2ELNS1_3repE0EEENS1_30default_config_static_selectorELNS0_4arch9wavefront6targetE0EEEvT1_.uses_flat_scratch, 0
	.set _ZN7rocprim17ROCPRIM_400000_NS6detail17trampoline_kernelINS0_14default_configENS1_27scan_by_key_config_selectorIisEEZZNS1_16scan_by_key_implILNS1_25lookback_scan_determinismE0ELb0ES3_N6thrust23THRUST_200600_302600_NS6detail15normal_iteratorINS9_10device_ptrIiEEEENSB_INSC_IsEEEESG_sNS9_4plusIvEENS9_8equal_toIvEEsEE10hipError_tPvRmT2_T3_T4_T5_mT6_T7_P12ihipStream_tbENKUlT_T0_E_clISt17integral_constantIbLb0EES11_EEDaSW_SX_EUlSW_E_NS1_11comp_targetILNS1_3genE8ELNS1_11target_archE1030ELNS1_3gpuE2ELNS1_3repE0EEENS1_30default_config_static_selectorELNS0_4arch9wavefront6targetE0EEEvT1_.has_dyn_sized_stack, 0
	.set _ZN7rocprim17ROCPRIM_400000_NS6detail17trampoline_kernelINS0_14default_configENS1_27scan_by_key_config_selectorIisEEZZNS1_16scan_by_key_implILNS1_25lookback_scan_determinismE0ELb0ES3_N6thrust23THRUST_200600_302600_NS6detail15normal_iteratorINS9_10device_ptrIiEEEENSB_INSC_IsEEEESG_sNS9_4plusIvEENS9_8equal_toIvEEsEE10hipError_tPvRmT2_T3_T4_T5_mT6_T7_P12ihipStream_tbENKUlT_T0_E_clISt17integral_constantIbLb0EES11_EEDaSW_SX_EUlSW_E_NS1_11comp_targetILNS1_3genE8ELNS1_11target_archE1030ELNS1_3gpuE2ELNS1_3repE0EEENS1_30default_config_static_selectorELNS0_4arch9wavefront6targetE0EEEvT1_.has_recursion, 0
	.set _ZN7rocprim17ROCPRIM_400000_NS6detail17trampoline_kernelINS0_14default_configENS1_27scan_by_key_config_selectorIisEEZZNS1_16scan_by_key_implILNS1_25lookback_scan_determinismE0ELb0ES3_N6thrust23THRUST_200600_302600_NS6detail15normal_iteratorINS9_10device_ptrIiEEEENSB_INSC_IsEEEESG_sNS9_4plusIvEENS9_8equal_toIvEEsEE10hipError_tPvRmT2_T3_T4_T5_mT6_T7_P12ihipStream_tbENKUlT_T0_E_clISt17integral_constantIbLb0EES11_EEDaSW_SX_EUlSW_E_NS1_11comp_targetILNS1_3genE8ELNS1_11target_archE1030ELNS1_3gpuE2ELNS1_3repE0EEENS1_30default_config_static_selectorELNS0_4arch9wavefront6targetE0EEEvT1_.has_indirect_call, 0
	.section	.AMDGPU.csdata,"",@progbits
; Kernel info:
; codeLenInByte = 0
; TotalNumSgprs: 0
; NumVgprs: 0
; ScratchSize: 0
; MemoryBound: 0
; FloatMode: 240
; IeeeMode: 1
; LDSByteSize: 0 bytes/workgroup (compile time only)
; SGPRBlocks: 0
; VGPRBlocks: 0
; NumSGPRsForWavesPerEU: 1
; NumVGPRsForWavesPerEU: 1
; NamedBarCnt: 0
; Occupancy: 16
; WaveLimiterHint : 0
; COMPUTE_PGM_RSRC2:SCRATCH_EN: 0
; COMPUTE_PGM_RSRC2:USER_SGPR: 2
; COMPUTE_PGM_RSRC2:TRAP_HANDLER: 0
; COMPUTE_PGM_RSRC2:TGID_X_EN: 1
; COMPUTE_PGM_RSRC2:TGID_Y_EN: 0
; COMPUTE_PGM_RSRC2:TGID_Z_EN: 0
; COMPUTE_PGM_RSRC2:TIDIG_COMP_CNT: 0
	.section	.text._ZN7rocprim17ROCPRIM_400000_NS6detail30init_device_scan_by_key_kernelINS1_19lookback_scan_stateINS0_5tupleIJsbEEELb1ELb1EEEN6thrust23THRUST_200600_302600_NS6detail15normal_iteratorINS8_10device_ptrIiEEEEjNS1_16block_id_wrapperIjLb1EEEEEvT_jjPNSG_10value_typeET0_PNSt15iterator_traitsISJ_E10value_typeEmT1_T2_,"axG",@progbits,_ZN7rocprim17ROCPRIM_400000_NS6detail30init_device_scan_by_key_kernelINS1_19lookback_scan_stateINS0_5tupleIJsbEEELb1ELb1EEEN6thrust23THRUST_200600_302600_NS6detail15normal_iteratorINS8_10device_ptrIiEEEEjNS1_16block_id_wrapperIjLb1EEEEEvT_jjPNSG_10value_typeET0_PNSt15iterator_traitsISJ_E10value_typeEmT1_T2_,comdat
	.protected	_ZN7rocprim17ROCPRIM_400000_NS6detail30init_device_scan_by_key_kernelINS1_19lookback_scan_stateINS0_5tupleIJsbEEELb1ELb1EEEN6thrust23THRUST_200600_302600_NS6detail15normal_iteratorINS8_10device_ptrIiEEEEjNS1_16block_id_wrapperIjLb1EEEEEvT_jjPNSG_10value_typeET0_PNSt15iterator_traitsISJ_E10value_typeEmT1_T2_ ; -- Begin function _ZN7rocprim17ROCPRIM_400000_NS6detail30init_device_scan_by_key_kernelINS1_19lookback_scan_stateINS0_5tupleIJsbEEELb1ELb1EEEN6thrust23THRUST_200600_302600_NS6detail15normal_iteratorINS8_10device_ptrIiEEEEjNS1_16block_id_wrapperIjLb1EEEEEvT_jjPNSG_10value_typeET0_PNSt15iterator_traitsISJ_E10value_typeEmT1_T2_
	.globl	_ZN7rocprim17ROCPRIM_400000_NS6detail30init_device_scan_by_key_kernelINS1_19lookback_scan_stateINS0_5tupleIJsbEEELb1ELb1EEEN6thrust23THRUST_200600_302600_NS6detail15normal_iteratorINS8_10device_ptrIiEEEEjNS1_16block_id_wrapperIjLb1EEEEEvT_jjPNSG_10value_typeET0_PNSt15iterator_traitsISJ_E10value_typeEmT1_T2_
	.p2align	8
	.type	_ZN7rocprim17ROCPRIM_400000_NS6detail30init_device_scan_by_key_kernelINS1_19lookback_scan_stateINS0_5tupleIJsbEEELb1ELb1EEEN6thrust23THRUST_200600_302600_NS6detail15normal_iteratorINS8_10device_ptrIiEEEEjNS1_16block_id_wrapperIjLb1EEEEEvT_jjPNSG_10value_typeET0_PNSt15iterator_traitsISJ_E10value_typeEmT1_T2_,@function
_ZN7rocprim17ROCPRIM_400000_NS6detail30init_device_scan_by_key_kernelINS1_19lookback_scan_stateINS0_5tupleIJsbEEELb1ELb1EEEN6thrust23THRUST_200600_302600_NS6detail15normal_iteratorINS8_10device_ptrIiEEEEjNS1_16block_id_wrapperIjLb1EEEEEvT_jjPNSG_10value_typeET0_PNSt15iterator_traitsISJ_E10value_typeEmT1_T2_: ; @_ZN7rocprim17ROCPRIM_400000_NS6detail30init_device_scan_by_key_kernelINS1_19lookback_scan_stateINS0_5tupleIJsbEEELb1ELb1EEEN6thrust23THRUST_200600_302600_NS6detail15normal_iteratorINS8_10device_ptrIiEEEEjNS1_16block_id_wrapperIjLb1EEEEEvT_jjPNSG_10value_typeET0_PNSt15iterator_traitsISJ_E10value_typeEmT1_T2_
; %bb.0:
	s_clause 0x2
	s_load_b32 s2, s[0:1], 0x4c
	s_load_b32 s12, s[0:1], 0x40
	s_load_b256 s[4:11], s[0:1], 0x0
	s_bfe_u32 s3, ttmp6, 0x4000c
	s_and_b32 s14, ttmp6, 15
	s_add_co_i32 s3, s3, 1
	s_getreg_b32 s15, hwreg(HW_REG_IB_STS2, 6, 4)
	s_mul_i32 s3, ttmp9, s3
	s_delay_alu instid0(SALU_CYCLE_1)
	s_add_co_i32 s14, s14, s3
	s_wait_kmcnt 0x0
	s_and_b32 s13, s2, 0xffff
	s_cmp_eq_u32 s15, 0
	s_cselect_b32 s2, ttmp9, s14
	s_cmp_eq_u64 s[8:9], 0
	v_mad_u32 v0, s2, s13, v0
	s_cbranch_scc1 .LBB1361_9
; %bb.1:
	s_cmp_lt_u32 s7, s6
	s_mov_b32 s14, exec_lo
	s_cselect_b32 s2, s7, 0
	s_delay_alu instid0(VALU_DEP_1) | instid1(SALU_CYCLE_1)
	v_cmpx_eq_u32_e64 s2, v0
	s_cbranch_execz .LBB1361_8
; %bb.2:
	s_add_co_i32 s2, s7, 32
	s_delay_alu instid0(SALU_CYCLE_1) | instskip(SKIP_3) | instid1(VALU_DEP_1)
	v_dual_mov_b32 v2, 0 :: v_dual_mov_b32 v1, s2
	global_load_b64 v[4:5], v1, s[4:5] scale_offset scope:SCOPE_DEV
	s_wait_loadcnt 0x0
	v_and_b32_e32 v3, 0xff, v5
	v_cmp_ne_u64_e32 vcc_lo, 0, v[2:3]
	s_cbranch_vccnz .LBB1361_7
; %bb.3:
	s_mov_b32 s3, 0
	s_mov_b32 s7, 1
	s_lshl_b64 s[2:3], s[2:3], 3
	s_delay_alu instid0(SALU_CYCLE_1)
	s_add_nc_u64 s[2:3], s[4:5], s[2:3]
.LBB1361_4:                             ; =>This Loop Header: Depth=1
                                        ;     Child Loop BB1361_5 Depth 2
	s_mov_b32 s15, s7
.LBB1361_5:                             ;   Parent Loop BB1361_4 Depth=1
                                        ; =>  This Inner Loop Header: Depth=2
	s_delay_alu instid0(SALU_CYCLE_1)
	s_add_co_i32 s15, s15, -1
	s_sleep 1
	s_cmp_eq_u32 s15, 0
	s_cbranch_scc0 .LBB1361_5
; %bb.6:                                ;   in Loop: Header=BB1361_4 Depth=1
	global_load_b64 v[4:5], v2, s[2:3] scope:SCOPE_DEV
	s_cmp_lt_u32 s7, 32
	s_cselect_b32 s15, -1, 0
	s_delay_alu instid0(SALU_CYCLE_1) | instskip(SKIP_3) | instid1(VALU_DEP_1)
	s_cmp_lg_u32 s15, 0
	s_add_co_ci_u32 s7, s7, 0
	s_wait_loadcnt 0x0
	v_and_b32_e32 v3, 0xff, v5
	v_cmp_ne_u64_e32 vcc_lo, 0, v[2:3]
	s_cbranch_vccz .LBB1361_4
.LBB1361_7:
	v_mov_b32_e32 v1, 0
	s_clause 0x1
	global_store_b16 v1, v4, s[8:9]
	global_store_d16_hi_b8 v1, v4, s[8:9] offset:2
.LBB1361_8:
	s_wait_xcnt 0x0
	s_or_b32 exec_lo, exec_lo, s14
.LBB1361_9:
	s_delay_alu instid0(SALU_CYCLE_1) | instskip(NEXT) | instid1(VALU_DEP_1)
	s_mov_b32 s2, exec_lo
	v_cmpx_eq_u32_e32 0, v0
	s_cbranch_execz .LBB1361_11
; %bb.10:
	s_load_b64 s[8:9], s[0:1], 0x38
	v_mov_b32_e32 v1, 0
	s_wait_kmcnt 0x0
	global_store_b32 v1, v1, s[8:9]
.LBB1361_11:
	s_wait_xcnt 0x0
	s_or_b32 exec_lo, exec_lo, s2
	s_delay_alu instid0(SALU_CYCLE_1)
	s_mov_b32 s2, exec_lo
	v_cmpx_gt_u32_e64 s6, v0
	s_cbranch_execz .LBB1361_13
; %bb.12:
	v_mov_b64_e32 v[2:3], 0
	v_add_nc_u32_e32 v1, 32, v0
	global_store_b64 v1, v[2:3], s[4:5] scale_offset
.LBB1361_13:
	s_wait_xcnt 0x0
	s_or_b32 exec_lo, exec_lo, s2
	v_mov_b32_e32 v1, 0
	s_mov_b32 s2, exec_lo
	v_cmpx_gt_u32_e32 32, v0
	s_cbranch_execz .LBB1361_15
; %bb.14:
	v_mov_b64_e32 v[2:3], 0xff00000000
	v_lshl_add_u64 v[4:5], v[0:1], 3, s[4:5]
	global_store_b64 v[4:5], v[2:3], off
.LBB1361_15:
	s_wait_xcnt 0x0
	s_or_b32 exec_lo, exec_lo, s2
	s_load_b64 s[2:3], s[0:1], 0x28
	s_mov_b32 s4, exec_lo
	s_wait_kmcnt 0x0
	v_cmpx_gt_u64_e64 s[2:3], v[0:1]
	s_cbranch_execz .LBB1361_18
; %bb.16:
	s_clause 0x1
	s_load_b32 s4, s[0:1], 0x30
	s_load_b64 s[6:7], s[0:1], 0x20
	s_mov_b32 s5, 0
	s_wait_xcnt 0x0
	s_mul_i32 s0, s12, s13
	s_mov_b32 s9, s5
	s_mov_b32 s1, s5
	s_wait_kmcnt 0x0
	v_mul_u64_e32 v[2:3], s[4:5], v[0:1]
	s_add_co_i32 s8, s4, -1
	v_lshl_add_u64 v[4:5], v[0:1], 2, s[6:7]
	s_lshl_b64 s[8:9], s[8:9], 2
	s_delay_alu instid0(SALU_CYCLE_1) | instskip(SKIP_1) | instid1(SALU_CYCLE_1)
	s_add_nc_u64 s[8:9], s[10:11], s[8:9]
	s_mul_u64 s[10:11], s[4:5], s[0:1]
	s_lshl_b64 s[6:7], s[10:11], 2
	s_delay_alu instid0(VALU_DEP_2)
	v_lshl_add_u64 v[2:3], v[2:3], 2, s[8:9]
	s_lshl_b64 s[8:9], s[0:1], 2
.LBB1361_17:                            ; =>This Inner Loop Header: Depth=1
	global_load_b32 v6, v[2:3], off
	v_add_nc_u64_e32 v[0:1], s[0:1], v[0:1]
	s_wait_xcnt 0x0
	v_add_nc_u64_e32 v[2:3], s[6:7], v[2:3]
	s_delay_alu instid0(VALU_DEP_2)
	v_cmp_le_u64_e32 vcc_lo, s[2:3], v[0:1]
	s_or_b32 s5, vcc_lo, s5
	s_wait_loadcnt 0x0
	global_store_b32 v[4:5], v6, off
	s_wait_xcnt 0x0
	v_add_nc_u64_e32 v[4:5], s[8:9], v[4:5]
	s_and_not1_b32 exec_lo, exec_lo, s5
	s_cbranch_execnz .LBB1361_17
.LBB1361_18:
	s_endpgm
	.section	.rodata,"a",@progbits
	.p2align	6, 0x0
	.amdhsa_kernel _ZN7rocprim17ROCPRIM_400000_NS6detail30init_device_scan_by_key_kernelINS1_19lookback_scan_stateINS0_5tupleIJsbEEELb1ELb1EEEN6thrust23THRUST_200600_302600_NS6detail15normal_iteratorINS8_10device_ptrIiEEEEjNS1_16block_id_wrapperIjLb1EEEEEvT_jjPNSG_10value_typeET0_PNSt15iterator_traitsISJ_E10value_typeEmT1_T2_
		.amdhsa_group_segment_fixed_size 0
		.amdhsa_private_segment_fixed_size 0
		.amdhsa_kernarg_size 320
		.amdhsa_user_sgpr_count 2
		.amdhsa_user_sgpr_dispatch_ptr 0
		.amdhsa_user_sgpr_queue_ptr 0
		.amdhsa_user_sgpr_kernarg_segment_ptr 1
		.amdhsa_user_sgpr_dispatch_id 0
		.amdhsa_user_sgpr_kernarg_preload_length 0
		.amdhsa_user_sgpr_kernarg_preload_offset 0
		.amdhsa_user_sgpr_private_segment_size 0
		.amdhsa_wavefront_size32 1
		.amdhsa_uses_dynamic_stack 0
		.amdhsa_enable_private_segment 0
		.amdhsa_system_sgpr_workgroup_id_x 1
		.amdhsa_system_sgpr_workgroup_id_y 0
		.amdhsa_system_sgpr_workgroup_id_z 0
		.amdhsa_system_sgpr_workgroup_info 0
		.amdhsa_system_vgpr_workitem_id 0
		.amdhsa_next_free_vgpr 7
		.amdhsa_next_free_sgpr 16
		.amdhsa_named_barrier_count 0
		.amdhsa_reserve_vcc 1
		.amdhsa_float_round_mode_32 0
		.amdhsa_float_round_mode_16_64 0
		.amdhsa_float_denorm_mode_32 3
		.amdhsa_float_denorm_mode_16_64 3
		.amdhsa_fp16_overflow 0
		.amdhsa_memory_ordered 1
		.amdhsa_forward_progress 1
		.amdhsa_inst_pref_size 6
		.amdhsa_round_robin_scheduling 0
		.amdhsa_exception_fp_ieee_invalid_op 0
		.amdhsa_exception_fp_denorm_src 0
		.amdhsa_exception_fp_ieee_div_zero 0
		.amdhsa_exception_fp_ieee_overflow 0
		.amdhsa_exception_fp_ieee_underflow 0
		.amdhsa_exception_fp_ieee_inexact 0
		.amdhsa_exception_int_div_zero 0
	.end_amdhsa_kernel
	.section	.text._ZN7rocprim17ROCPRIM_400000_NS6detail30init_device_scan_by_key_kernelINS1_19lookback_scan_stateINS0_5tupleIJsbEEELb1ELb1EEEN6thrust23THRUST_200600_302600_NS6detail15normal_iteratorINS8_10device_ptrIiEEEEjNS1_16block_id_wrapperIjLb1EEEEEvT_jjPNSG_10value_typeET0_PNSt15iterator_traitsISJ_E10value_typeEmT1_T2_,"axG",@progbits,_ZN7rocprim17ROCPRIM_400000_NS6detail30init_device_scan_by_key_kernelINS1_19lookback_scan_stateINS0_5tupleIJsbEEELb1ELb1EEEN6thrust23THRUST_200600_302600_NS6detail15normal_iteratorINS8_10device_ptrIiEEEEjNS1_16block_id_wrapperIjLb1EEEEEvT_jjPNSG_10value_typeET0_PNSt15iterator_traitsISJ_E10value_typeEmT1_T2_,comdat
.Lfunc_end1361:
	.size	_ZN7rocprim17ROCPRIM_400000_NS6detail30init_device_scan_by_key_kernelINS1_19lookback_scan_stateINS0_5tupleIJsbEEELb1ELb1EEEN6thrust23THRUST_200600_302600_NS6detail15normal_iteratorINS8_10device_ptrIiEEEEjNS1_16block_id_wrapperIjLb1EEEEEvT_jjPNSG_10value_typeET0_PNSt15iterator_traitsISJ_E10value_typeEmT1_T2_, .Lfunc_end1361-_ZN7rocprim17ROCPRIM_400000_NS6detail30init_device_scan_by_key_kernelINS1_19lookback_scan_stateINS0_5tupleIJsbEEELb1ELb1EEEN6thrust23THRUST_200600_302600_NS6detail15normal_iteratorINS8_10device_ptrIiEEEEjNS1_16block_id_wrapperIjLb1EEEEEvT_jjPNSG_10value_typeET0_PNSt15iterator_traitsISJ_E10value_typeEmT1_T2_
                                        ; -- End function
	.set _ZN7rocprim17ROCPRIM_400000_NS6detail30init_device_scan_by_key_kernelINS1_19lookback_scan_stateINS0_5tupleIJsbEEELb1ELb1EEEN6thrust23THRUST_200600_302600_NS6detail15normal_iteratorINS8_10device_ptrIiEEEEjNS1_16block_id_wrapperIjLb1EEEEEvT_jjPNSG_10value_typeET0_PNSt15iterator_traitsISJ_E10value_typeEmT1_T2_.num_vgpr, 7
	.set _ZN7rocprim17ROCPRIM_400000_NS6detail30init_device_scan_by_key_kernelINS1_19lookback_scan_stateINS0_5tupleIJsbEEELb1ELb1EEEN6thrust23THRUST_200600_302600_NS6detail15normal_iteratorINS8_10device_ptrIiEEEEjNS1_16block_id_wrapperIjLb1EEEEEvT_jjPNSG_10value_typeET0_PNSt15iterator_traitsISJ_E10value_typeEmT1_T2_.num_agpr, 0
	.set _ZN7rocprim17ROCPRIM_400000_NS6detail30init_device_scan_by_key_kernelINS1_19lookback_scan_stateINS0_5tupleIJsbEEELb1ELb1EEEN6thrust23THRUST_200600_302600_NS6detail15normal_iteratorINS8_10device_ptrIiEEEEjNS1_16block_id_wrapperIjLb1EEEEEvT_jjPNSG_10value_typeET0_PNSt15iterator_traitsISJ_E10value_typeEmT1_T2_.numbered_sgpr, 16
	.set _ZN7rocprim17ROCPRIM_400000_NS6detail30init_device_scan_by_key_kernelINS1_19lookback_scan_stateINS0_5tupleIJsbEEELb1ELb1EEEN6thrust23THRUST_200600_302600_NS6detail15normal_iteratorINS8_10device_ptrIiEEEEjNS1_16block_id_wrapperIjLb1EEEEEvT_jjPNSG_10value_typeET0_PNSt15iterator_traitsISJ_E10value_typeEmT1_T2_.num_named_barrier, 0
	.set _ZN7rocprim17ROCPRIM_400000_NS6detail30init_device_scan_by_key_kernelINS1_19lookback_scan_stateINS0_5tupleIJsbEEELb1ELb1EEEN6thrust23THRUST_200600_302600_NS6detail15normal_iteratorINS8_10device_ptrIiEEEEjNS1_16block_id_wrapperIjLb1EEEEEvT_jjPNSG_10value_typeET0_PNSt15iterator_traitsISJ_E10value_typeEmT1_T2_.private_seg_size, 0
	.set _ZN7rocprim17ROCPRIM_400000_NS6detail30init_device_scan_by_key_kernelINS1_19lookback_scan_stateINS0_5tupleIJsbEEELb1ELb1EEEN6thrust23THRUST_200600_302600_NS6detail15normal_iteratorINS8_10device_ptrIiEEEEjNS1_16block_id_wrapperIjLb1EEEEEvT_jjPNSG_10value_typeET0_PNSt15iterator_traitsISJ_E10value_typeEmT1_T2_.uses_vcc, 1
	.set _ZN7rocprim17ROCPRIM_400000_NS6detail30init_device_scan_by_key_kernelINS1_19lookback_scan_stateINS0_5tupleIJsbEEELb1ELb1EEEN6thrust23THRUST_200600_302600_NS6detail15normal_iteratorINS8_10device_ptrIiEEEEjNS1_16block_id_wrapperIjLb1EEEEEvT_jjPNSG_10value_typeET0_PNSt15iterator_traitsISJ_E10value_typeEmT1_T2_.uses_flat_scratch, 0
	.set _ZN7rocprim17ROCPRIM_400000_NS6detail30init_device_scan_by_key_kernelINS1_19lookback_scan_stateINS0_5tupleIJsbEEELb1ELb1EEEN6thrust23THRUST_200600_302600_NS6detail15normal_iteratorINS8_10device_ptrIiEEEEjNS1_16block_id_wrapperIjLb1EEEEEvT_jjPNSG_10value_typeET0_PNSt15iterator_traitsISJ_E10value_typeEmT1_T2_.has_dyn_sized_stack, 0
	.set _ZN7rocprim17ROCPRIM_400000_NS6detail30init_device_scan_by_key_kernelINS1_19lookback_scan_stateINS0_5tupleIJsbEEELb1ELb1EEEN6thrust23THRUST_200600_302600_NS6detail15normal_iteratorINS8_10device_ptrIiEEEEjNS1_16block_id_wrapperIjLb1EEEEEvT_jjPNSG_10value_typeET0_PNSt15iterator_traitsISJ_E10value_typeEmT1_T2_.has_recursion, 0
	.set _ZN7rocprim17ROCPRIM_400000_NS6detail30init_device_scan_by_key_kernelINS1_19lookback_scan_stateINS0_5tupleIJsbEEELb1ELb1EEEN6thrust23THRUST_200600_302600_NS6detail15normal_iteratorINS8_10device_ptrIiEEEEjNS1_16block_id_wrapperIjLb1EEEEEvT_jjPNSG_10value_typeET0_PNSt15iterator_traitsISJ_E10value_typeEmT1_T2_.has_indirect_call, 0
	.section	.AMDGPU.csdata,"",@progbits
; Kernel info:
; codeLenInByte = 660
; TotalNumSgprs: 18
; NumVgprs: 7
; ScratchSize: 0
; MemoryBound: 0
; FloatMode: 240
; IeeeMode: 1
; LDSByteSize: 0 bytes/workgroup (compile time only)
; SGPRBlocks: 0
; VGPRBlocks: 0
; NumSGPRsForWavesPerEU: 18
; NumVGPRsForWavesPerEU: 7
; NamedBarCnt: 0
; Occupancy: 16
; WaveLimiterHint : 0
; COMPUTE_PGM_RSRC2:SCRATCH_EN: 0
; COMPUTE_PGM_RSRC2:USER_SGPR: 2
; COMPUTE_PGM_RSRC2:TRAP_HANDLER: 0
; COMPUTE_PGM_RSRC2:TGID_X_EN: 1
; COMPUTE_PGM_RSRC2:TGID_Y_EN: 0
; COMPUTE_PGM_RSRC2:TGID_Z_EN: 0
; COMPUTE_PGM_RSRC2:TIDIG_COMP_CNT: 0
	.section	.text._ZN7rocprim17ROCPRIM_400000_NS6detail17trampoline_kernelINS0_14default_configENS1_27scan_by_key_config_selectorIisEEZZNS1_16scan_by_key_implILNS1_25lookback_scan_determinismE0ELb0ES3_N6thrust23THRUST_200600_302600_NS6detail15normal_iteratorINS9_10device_ptrIiEEEENSB_INSC_IsEEEESG_sNS9_4plusIvEENS9_8equal_toIvEEsEE10hipError_tPvRmT2_T3_T4_T5_mT6_T7_P12ihipStream_tbENKUlT_T0_E_clISt17integral_constantIbLb1EES11_EEDaSW_SX_EUlSW_E_NS1_11comp_targetILNS1_3genE0ELNS1_11target_archE4294967295ELNS1_3gpuE0ELNS1_3repE0EEENS1_30default_config_static_selectorELNS0_4arch9wavefront6targetE0EEEvT1_,"axG",@progbits,_ZN7rocprim17ROCPRIM_400000_NS6detail17trampoline_kernelINS0_14default_configENS1_27scan_by_key_config_selectorIisEEZZNS1_16scan_by_key_implILNS1_25lookback_scan_determinismE0ELb0ES3_N6thrust23THRUST_200600_302600_NS6detail15normal_iteratorINS9_10device_ptrIiEEEENSB_INSC_IsEEEESG_sNS9_4plusIvEENS9_8equal_toIvEEsEE10hipError_tPvRmT2_T3_T4_T5_mT6_T7_P12ihipStream_tbENKUlT_T0_E_clISt17integral_constantIbLb1EES11_EEDaSW_SX_EUlSW_E_NS1_11comp_targetILNS1_3genE0ELNS1_11target_archE4294967295ELNS1_3gpuE0ELNS1_3repE0EEENS1_30default_config_static_selectorELNS0_4arch9wavefront6targetE0EEEvT1_,comdat
	.protected	_ZN7rocprim17ROCPRIM_400000_NS6detail17trampoline_kernelINS0_14default_configENS1_27scan_by_key_config_selectorIisEEZZNS1_16scan_by_key_implILNS1_25lookback_scan_determinismE0ELb0ES3_N6thrust23THRUST_200600_302600_NS6detail15normal_iteratorINS9_10device_ptrIiEEEENSB_INSC_IsEEEESG_sNS9_4plusIvEENS9_8equal_toIvEEsEE10hipError_tPvRmT2_T3_T4_T5_mT6_T7_P12ihipStream_tbENKUlT_T0_E_clISt17integral_constantIbLb1EES11_EEDaSW_SX_EUlSW_E_NS1_11comp_targetILNS1_3genE0ELNS1_11target_archE4294967295ELNS1_3gpuE0ELNS1_3repE0EEENS1_30default_config_static_selectorELNS0_4arch9wavefront6targetE0EEEvT1_ ; -- Begin function _ZN7rocprim17ROCPRIM_400000_NS6detail17trampoline_kernelINS0_14default_configENS1_27scan_by_key_config_selectorIisEEZZNS1_16scan_by_key_implILNS1_25lookback_scan_determinismE0ELb0ES3_N6thrust23THRUST_200600_302600_NS6detail15normal_iteratorINS9_10device_ptrIiEEEENSB_INSC_IsEEEESG_sNS9_4plusIvEENS9_8equal_toIvEEsEE10hipError_tPvRmT2_T3_T4_T5_mT6_T7_P12ihipStream_tbENKUlT_T0_E_clISt17integral_constantIbLb1EES11_EEDaSW_SX_EUlSW_E_NS1_11comp_targetILNS1_3genE0ELNS1_11target_archE4294967295ELNS1_3gpuE0ELNS1_3repE0EEENS1_30default_config_static_selectorELNS0_4arch9wavefront6targetE0EEEvT1_
	.globl	_ZN7rocprim17ROCPRIM_400000_NS6detail17trampoline_kernelINS0_14default_configENS1_27scan_by_key_config_selectorIisEEZZNS1_16scan_by_key_implILNS1_25lookback_scan_determinismE0ELb0ES3_N6thrust23THRUST_200600_302600_NS6detail15normal_iteratorINS9_10device_ptrIiEEEENSB_INSC_IsEEEESG_sNS9_4plusIvEENS9_8equal_toIvEEsEE10hipError_tPvRmT2_T3_T4_T5_mT6_T7_P12ihipStream_tbENKUlT_T0_E_clISt17integral_constantIbLb1EES11_EEDaSW_SX_EUlSW_E_NS1_11comp_targetILNS1_3genE0ELNS1_11target_archE4294967295ELNS1_3gpuE0ELNS1_3repE0EEENS1_30default_config_static_selectorELNS0_4arch9wavefront6targetE0EEEvT1_
	.p2align	8
	.type	_ZN7rocprim17ROCPRIM_400000_NS6detail17trampoline_kernelINS0_14default_configENS1_27scan_by_key_config_selectorIisEEZZNS1_16scan_by_key_implILNS1_25lookback_scan_determinismE0ELb0ES3_N6thrust23THRUST_200600_302600_NS6detail15normal_iteratorINS9_10device_ptrIiEEEENSB_INSC_IsEEEESG_sNS9_4plusIvEENS9_8equal_toIvEEsEE10hipError_tPvRmT2_T3_T4_T5_mT6_T7_P12ihipStream_tbENKUlT_T0_E_clISt17integral_constantIbLb1EES11_EEDaSW_SX_EUlSW_E_NS1_11comp_targetILNS1_3genE0ELNS1_11target_archE4294967295ELNS1_3gpuE0ELNS1_3repE0EEENS1_30default_config_static_selectorELNS0_4arch9wavefront6targetE0EEEvT1_,@function
_ZN7rocprim17ROCPRIM_400000_NS6detail17trampoline_kernelINS0_14default_configENS1_27scan_by_key_config_selectorIisEEZZNS1_16scan_by_key_implILNS1_25lookback_scan_determinismE0ELb0ES3_N6thrust23THRUST_200600_302600_NS6detail15normal_iteratorINS9_10device_ptrIiEEEENSB_INSC_IsEEEESG_sNS9_4plusIvEENS9_8equal_toIvEEsEE10hipError_tPvRmT2_T3_T4_T5_mT6_T7_P12ihipStream_tbENKUlT_T0_E_clISt17integral_constantIbLb1EES11_EEDaSW_SX_EUlSW_E_NS1_11comp_targetILNS1_3genE0ELNS1_11target_archE4294967295ELNS1_3gpuE0ELNS1_3repE0EEENS1_30default_config_static_selectorELNS0_4arch9wavefront6targetE0EEEvT1_: ; @_ZN7rocprim17ROCPRIM_400000_NS6detail17trampoline_kernelINS0_14default_configENS1_27scan_by_key_config_selectorIisEEZZNS1_16scan_by_key_implILNS1_25lookback_scan_determinismE0ELb0ES3_N6thrust23THRUST_200600_302600_NS6detail15normal_iteratorINS9_10device_ptrIiEEEENSB_INSC_IsEEEESG_sNS9_4plusIvEENS9_8equal_toIvEEsEE10hipError_tPvRmT2_T3_T4_T5_mT6_T7_P12ihipStream_tbENKUlT_T0_E_clISt17integral_constantIbLb1EES11_EEDaSW_SX_EUlSW_E_NS1_11comp_targetILNS1_3genE0ELNS1_11target_archE4294967295ELNS1_3gpuE0ELNS1_3repE0EEENS1_30default_config_static_selectorELNS0_4arch9wavefront6targetE0EEEvT1_
; %bb.0:
	s_endpgm
	.section	.rodata,"a",@progbits
	.p2align	6, 0x0
	.amdhsa_kernel _ZN7rocprim17ROCPRIM_400000_NS6detail17trampoline_kernelINS0_14default_configENS1_27scan_by_key_config_selectorIisEEZZNS1_16scan_by_key_implILNS1_25lookback_scan_determinismE0ELb0ES3_N6thrust23THRUST_200600_302600_NS6detail15normal_iteratorINS9_10device_ptrIiEEEENSB_INSC_IsEEEESG_sNS9_4plusIvEENS9_8equal_toIvEEsEE10hipError_tPvRmT2_T3_T4_T5_mT6_T7_P12ihipStream_tbENKUlT_T0_E_clISt17integral_constantIbLb1EES11_EEDaSW_SX_EUlSW_E_NS1_11comp_targetILNS1_3genE0ELNS1_11target_archE4294967295ELNS1_3gpuE0ELNS1_3repE0EEENS1_30default_config_static_selectorELNS0_4arch9wavefront6targetE0EEEvT1_
		.amdhsa_group_segment_fixed_size 0
		.amdhsa_private_segment_fixed_size 0
		.amdhsa_kernarg_size 112
		.amdhsa_user_sgpr_count 2
		.amdhsa_user_sgpr_dispatch_ptr 0
		.amdhsa_user_sgpr_queue_ptr 0
		.amdhsa_user_sgpr_kernarg_segment_ptr 1
		.amdhsa_user_sgpr_dispatch_id 0
		.amdhsa_user_sgpr_kernarg_preload_length 0
		.amdhsa_user_sgpr_kernarg_preload_offset 0
		.amdhsa_user_sgpr_private_segment_size 0
		.amdhsa_wavefront_size32 1
		.amdhsa_uses_dynamic_stack 0
		.amdhsa_enable_private_segment 0
		.amdhsa_system_sgpr_workgroup_id_x 1
		.amdhsa_system_sgpr_workgroup_id_y 0
		.amdhsa_system_sgpr_workgroup_id_z 0
		.amdhsa_system_sgpr_workgroup_info 0
		.amdhsa_system_vgpr_workitem_id 0
		.amdhsa_next_free_vgpr 1
		.amdhsa_next_free_sgpr 1
		.amdhsa_named_barrier_count 0
		.amdhsa_reserve_vcc 0
		.amdhsa_float_round_mode_32 0
		.amdhsa_float_round_mode_16_64 0
		.amdhsa_float_denorm_mode_32 3
		.amdhsa_float_denorm_mode_16_64 3
		.amdhsa_fp16_overflow 0
		.amdhsa_memory_ordered 1
		.amdhsa_forward_progress 1
		.amdhsa_inst_pref_size 1
		.amdhsa_round_robin_scheduling 0
		.amdhsa_exception_fp_ieee_invalid_op 0
		.amdhsa_exception_fp_denorm_src 0
		.amdhsa_exception_fp_ieee_div_zero 0
		.amdhsa_exception_fp_ieee_overflow 0
		.amdhsa_exception_fp_ieee_underflow 0
		.amdhsa_exception_fp_ieee_inexact 0
		.amdhsa_exception_int_div_zero 0
	.end_amdhsa_kernel
	.section	.text._ZN7rocprim17ROCPRIM_400000_NS6detail17trampoline_kernelINS0_14default_configENS1_27scan_by_key_config_selectorIisEEZZNS1_16scan_by_key_implILNS1_25lookback_scan_determinismE0ELb0ES3_N6thrust23THRUST_200600_302600_NS6detail15normal_iteratorINS9_10device_ptrIiEEEENSB_INSC_IsEEEESG_sNS9_4plusIvEENS9_8equal_toIvEEsEE10hipError_tPvRmT2_T3_T4_T5_mT6_T7_P12ihipStream_tbENKUlT_T0_E_clISt17integral_constantIbLb1EES11_EEDaSW_SX_EUlSW_E_NS1_11comp_targetILNS1_3genE0ELNS1_11target_archE4294967295ELNS1_3gpuE0ELNS1_3repE0EEENS1_30default_config_static_selectorELNS0_4arch9wavefront6targetE0EEEvT1_,"axG",@progbits,_ZN7rocprim17ROCPRIM_400000_NS6detail17trampoline_kernelINS0_14default_configENS1_27scan_by_key_config_selectorIisEEZZNS1_16scan_by_key_implILNS1_25lookback_scan_determinismE0ELb0ES3_N6thrust23THRUST_200600_302600_NS6detail15normal_iteratorINS9_10device_ptrIiEEEENSB_INSC_IsEEEESG_sNS9_4plusIvEENS9_8equal_toIvEEsEE10hipError_tPvRmT2_T3_T4_T5_mT6_T7_P12ihipStream_tbENKUlT_T0_E_clISt17integral_constantIbLb1EES11_EEDaSW_SX_EUlSW_E_NS1_11comp_targetILNS1_3genE0ELNS1_11target_archE4294967295ELNS1_3gpuE0ELNS1_3repE0EEENS1_30default_config_static_selectorELNS0_4arch9wavefront6targetE0EEEvT1_,comdat
.Lfunc_end1362:
	.size	_ZN7rocprim17ROCPRIM_400000_NS6detail17trampoline_kernelINS0_14default_configENS1_27scan_by_key_config_selectorIisEEZZNS1_16scan_by_key_implILNS1_25lookback_scan_determinismE0ELb0ES3_N6thrust23THRUST_200600_302600_NS6detail15normal_iteratorINS9_10device_ptrIiEEEENSB_INSC_IsEEEESG_sNS9_4plusIvEENS9_8equal_toIvEEsEE10hipError_tPvRmT2_T3_T4_T5_mT6_T7_P12ihipStream_tbENKUlT_T0_E_clISt17integral_constantIbLb1EES11_EEDaSW_SX_EUlSW_E_NS1_11comp_targetILNS1_3genE0ELNS1_11target_archE4294967295ELNS1_3gpuE0ELNS1_3repE0EEENS1_30default_config_static_selectorELNS0_4arch9wavefront6targetE0EEEvT1_, .Lfunc_end1362-_ZN7rocprim17ROCPRIM_400000_NS6detail17trampoline_kernelINS0_14default_configENS1_27scan_by_key_config_selectorIisEEZZNS1_16scan_by_key_implILNS1_25lookback_scan_determinismE0ELb0ES3_N6thrust23THRUST_200600_302600_NS6detail15normal_iteratorINS9_10device_ptrIiEEEENSB_INSC_IsEEEESG_sNS9_4plusIvEENS9_8equal_toIvEEsEE10hipError_tPvRmT2_T3_T4_T5_mT6_T7_P12ihipStream_tbENKUlT_T0_E_clISt17integral_constantIbLb1EES11_EEDaSW_SX_EUlSW_E_NS1_11comp_targetILNS1_3genE0ELNS1_11target_archE4294967295ELNS1_3gpuE0ELNS1_3repE0EEENS1_30default_config_static_selectorELNS0_4arch9wavefront6targetE0EEEvT1_
                                        ; -- End function
	.set _ZN7rocprim17ROCPRIM_400000_NS6detail17trampoline_kernelINS0_14default_configENS1_27scan_by_key_config_selectorIisEEZZNS1_16scan_by_key_implILNS1_25lookback_scan_determinismE0ELb0ES3_N6thrust23THRUST_200600_302600_NS6detail15normal_iteratorINS9_10device_ptrIiEEEENSB_INSC_IsEEEESG_sNS9_4plusIvEENS9_8equal_toIvEEsEE10hipError_tPvRmT2_T3_T4_T5_mT6_T7_P12ihipStream_tbENKUlT_T0_E_clISt17integral_constantIbLb1EES11_EEDaSW_SX_EUlSW_E_NS1_11comp_targetILNS1_3genE0ELNS1_11target_archE4294967295ELNS1_3gpuE0ELNS1_3repE0EEENS1_30default_config_static_selectorELNS0_4arch9wavefront6targetE0EEEvT1_.num_vgpr, 0
	.set _ZN7rocprim17ROCPRIM_400000_NS6detail17trampoline_kernelINS0_14default_configENS1_27scan_by_key_config_selectorIisEEZZNS1_16scan_by_key_implILNS1_25lookback_scan_determinismE0ELb0ES3_N6thrust23THRUST_200600_302600_NS6detail15normal_iteratorINS9_10device_ptrIiEEEENSB_INSC_IsEEEESG_sNS9_4plusIvEENS9_8equal_toIvEEsEE10hipError_tPvRmT2_T3_T4_T5_mT6_T7_P12ihipStream_tbENKUlT_T0_E_clISt17integral_constantIbLb1EES11_EEDaSW_SX_EUlSW_E_NS1_11comp_targetILNS1_3genE0ELNS1_11target_archE4294967295ELNS1_3gpuE0ELNS1_3repE0EEENS1_30default_config_static_selectorELNS0_4arch9wavefront6targetE0EEEvT1_.num_agpr, 0
	.set _ZN7rocprim17ROCPRIM_400000_NS6detail17trampoline_kernelINS0_14default_configENS1_27scan_by_key_config_selectorIisEEZZNS1_16scan_by_key_implILNS1_25lookback_scan_determinismE0ELb0ES3_N6thrust23THRUST_200600_302600_NS6detail15normal_iteratorINS9_10device_ptrIiEEEENSB_INSC_IsEEEESG_sNS9_4plusIvEENS9_8equal_toIvEEsEE10hipError_tPvRmT2_T3_T4_T5_mT6_T7_P12ihipStream_tbENKUlT_T0_E_clISt17integral_constantIbLb1EES11_EEDaSW_SX_EUlSW_E_NS1_11comp_targetILNS1_3genE0ELNS1_11target_archE4294967295ELNS1_3gpuE0ELNS1_3repE0EEENS1_30default_config_static_selectorELNS0_4arch9wavefront6targetE0EEEvT1_.numbered_sgpr, 0
	.set _ZN7rocprim17ROCPRIM_400000_NS6detail17trampoline_kernelINS0_14default_configENS1_27scan_by_key_config_selectorIisEEZZNS1_16scan_by_key_implILNS1_25lookback_scan_determinismE0ELb0ES3_N6thrust23THRUST_200600_302600_NS6detail15normal_iteratorINS9_10device_ptrIiEEEENSB_INSC_IsEEEESG_sNS9_4plusIvEENS9_8equal_toIvEEsEE10hipError_tPvRmT2_T3_T4_T5_mT6_T7_P12ihipStream_tbENKUlT_T0_E_clISt17integral_constantIbLb1EES11_EEDaSW_SX_EUlSW_E_NS1_11comp_targetILNS1_3genE0ELNS1_11target_archE4294967295ELNS1_3gpuE0ELNS1_3repE0EEENS1_30default_config_static_selectorELNS0_4arch9wavefront6targetE0EEEvT1_.num_named_barrier, 0
	.set _ZN7rocprim17ROCPRIM_400000_NS6detail17trampoline_kernelINS0_14default_configENS1_27scan_by_key_config_selectorIisEEZZNS1_16scan_by_key_implILNS1_25lookback_scan_determinismE0ELb0ES3_N6thrust23THRUST_200600_302600_NS6detail15normal_iteratorINS9_10device_ptrIiEEEENSB_INSC_IsEEEESG_sNS9_4plusIvEENS9_8equal_toIvEEsEE10hipError_tPvRmT2_T3_T4_T5_mT6_T7_P12ihipStream_tbENKUlT_T0_E_clISt17integral_constantIbLb1EES11_EEDaSW_SX_EUlSW_E_NS1_11comp_targetILNS1_3genE0ELNS1_11target_archE4294967295ELNS1_3gpuE0ELNS1_3repE0EEENS1_30default_config_static_selectorELNS0_4arch9wavefront6targetE0EEEvT1_.private_seg_size, 0
	.set _ZN7rocprim17ROCPRIM_400000_NS6detail17trampoline_kernelINS0_14default_configENS1_27scan_by_key_config_selectorIisEEZZNS1_16scan_by_key_implILNS1_25lookback_scan_determinismE0ELb0ES3_N6thrust23THRUST_200600_302600_NS6detail15normal_iteratorINS9_10device_ptrIiEEEENSB_INSC_IsEEEESG_sNS9_4plusIvEENS9_8equal_toIvEEsEE10hipError_tPvRmT2_T3_T4_T5_mT6_T7_P12ihipStream_tbENKUlT_T0_E_clISt17integral_constantIbLb1EES11_EEDaSW_SX_EUlSW_E_NS1_11comp_targetILNS1_3genE0ELNS1_11target_archE4294967295ELNS1_3gpuE0ELNS1_3repE0EEENS1_30default_config_static_selectorELNS0_4arch9wavefront6targetE0EEEvT1_.uses_vcc, 0
	.set _ZN7rocprim17ROCPRIM_400000_NS6detail17trampoline_kernelINS0_14default_configENS1_27scan_by_key_config_selectorIisEEZZNS1_16scan_by_key_implILNS1_25lookback_scan_determinismE0ELb0ES3_N6thrust23THRUST_200600_302600_NS6detail15normal_iteratorINS9_10device_ptrIiEEEENSB_INSC_IsEEEESG_sNS9_4plusIvEENS9_8equal_toIvEEsEE10hipError_tPvRmT2_T3_T4_T5_mT6_T7_P12ihipStream_tbENKUlT_T0_E_clISt17integral_constantIbLb1EES11_EEDaSW_SX_EUlSW_E_NS1_11comp_targetILNS1_3genE0ELNS1_11target_archE4294967295ELNS1_3gpuE0ELNS1_3repE0EEENS1_30default_config_static_selectorELNS0_4arch9wavefront6targetE0EEEvT1_.uses_flat_scratch, 0
	.set _ZN7rocprim17ROCPRIM_400000_NS6detail17trampoline_kernelINS0_14default_configENS1_27scan_by_key_config_selectorIisEEZZNS1_16scan_by_key_implILNS1_25lookback_scan_determinismE0ELb0ES3_N6thrust23THRUST_200600_302600_NS6detail15normal_iteratorINS9_10device_ptrIiEEEENSB_INSC_IsEEEESG_sNS9_4plusIvEENS9_8equal_toIvEEsEE10hipError_tPvRmT2_T3_T4_T5_mT6_T7_P12ihipStream_tbENKUlT_T0_E_clISt17integral_constantIbLb1EES11_EEDaSW_SX_EUlSW_E_NS1_11comp_targetILNS1_3genE0ELNS1_11target_archE4294967295ELNS1_3gpuE0ELNS1_3repE0EEENS1_30default_config_static_selectorELNS0_4arch9wavefront6targetE0EEEvT1_.has_dyn_sized_stack, 0
	.set _ZN7rocprim17ROCPRIM_400000_NS6detail17trampoline_kernelINS0_14default_configENS1_27scan_by_key_config_selectorIisEEZZNS1_16scan_by_key_implILNS1_25lookback_scan_determinismE0ELb0ES3_N6thrust23THRUST_200600_302600_NS6detail15normal_iteratorINS9_10device_ptrIiEEEENSB_INSC_IsEEEESG_sNS9_4plusIvEENS9_8equal_toIvEEsEE10hipError_tPvRmT2_T3_T4_T5_mT6_T7_P12ihipStream_tbENKUlT_T0_E_clISt17integral_constantIbLb1EES11_EEDaSW_SX_EUlSW_E_NS1_11comp_targetILNS1_3genE0ELNS1_11target_archE4294967295ELNS1_3gpuE0ELNS1_3repE0EEENS1_30default_config_static_selectorELNS0_4arch9wavefront6targetE0EEEvT1_.has_recursion, 0
	.set _ZN7rocprim17ROCPRIM_400000_NS6detail17trampoline_kernelINS0_14default_configENS1_27scan_by_key_config_selectorIisEEZZNS1_16scan_by_key_implILNS1_25lookback_scan_determinismE0ELb0ES3_N6thrust23THRUST_200600_302600_NS6detail15normal_iteratorINS9_10device_ptrIiEEEENSB_INSC_IsEEEESG_sNS9_4plusIvEENS9_8equal_toIvEEsEE10hipError_tPvRmT2_T3_T4_T5_mT6_T7_P12ihipStream_tbENKUlT_T0_E_clISt17integral_constantIbLb1EES11_EEDaSW_SX_EUlSW_E_NS1_11comp_targetILNS1_3genE0ELNS1_11target_archE4294967295ELNS1_3gpuE0ELNS1_3repE0EEENS1_30default_config_static_selectorELNS0_4arch9wavefront6targetE0EEEvT1_.has_indirect_call, 0
	.section	.AMDGPU.csdata,"",@progbits
; Kernel info:
; codeLenInByte = 4
; TotalNumSgprs: 0
; NumVgprs: 0
; ScratchSize: 0
; MemoryBound: 0
; FloatMode: 240
; IeeeMode: 1
; LDSByteSize: 0 bytes/workgroup (compile time only)
; SGPRBlocks: 0
; VGPRBlocks: 0
; NumSGPRsForWavesPerEU: 1
; NumVGPRsForWavesPerEU: 1
; NamedBarCnt: 0
; Occupancy: 16
; WaveLimiterHint : 0
; COMPUTE_PGM_RSRC2:SCRATCH_EN: 0
; COMPUTE_PGM_RSRC2:USER_SGPR: 2
; COMPUTE_PGM_RSRC2:TRAP_HANDLER: 0
; COMPUTE_PGM_RSRC2:TGID_X_EN: 1
; COMPUTE_PGM_RSRC2:TGID_Y_EN: 0
; COMPUTE_PGM_RSRC2:TGID_Z_EN: 0
; COMPUTE_PGM_RSRC2:TIDIG_COMP_CNT: 0
	.section	.text._ZN7rocprim17ROCPRIM_400000_NS6detail17trampoline_kernelINS0_14default_configENS1_27scan_by_key_config_selectorIisEEZZNS1_16scan_by_key_implILNS1_25lookback_scan_determinismE0ELb0ES3_N6thrust23THRUST_200600_302600_NS6detail15normal_iteratorINS9_10device_ptrIiEEEENSB_INSC_IsEEEESG_sNS9_4plusIvEENS9_8equal_toIvEEsEE10hipError_tPvRmT2_T3_T4_T5_mT6_T7_P12ihipStream_tbENKUlT_T0_E_clISt17integral_constantIbLb1EES11_EEDaSW_SX_EUlSW_E_NS1_11comp_targetILNS1_3genE10ELNS1_11target_archE1201ELNS1_3gpuE5ELNS1_3repE0EEENS1_30default_config_static_selectorELNS0_4arch9wavefront6targetE0EEEvT1_,"axG",@progbits,_ZN7rocprim17ROCPRIM_400000_NS6detail17trampoline_kernelINS0_14default_configENS1_27scan_by_key_config_selectorIisEEZZNS1_16scan_by_key_implILNS1_25lookback_scan_determinismE0ELb0ES3_N6thrust23THRUST_200600_302600_NS6detail15normal_iteratorINS9_10device_ptrIiEEEENSB_INSC_IsEEEESG_sNS9_4plusIvEENS9_8equal_toIvEEsEE10hipError_tPvRmT2_T3_T4_T5_mT6_T7_P12ihipStream_tbENKUlT_T0_E_clISt17integral_constantIbLb1EES11_EEDaSW_SX_EUlSW_E_NS1_11comp_targetILNS1_3genE10ELNS1_11target_archE1201ELNS1_3gpuE5ELNS1_3repE0EEENS1_30default_config_static_selectorELNS0_4arch9wavefront6targetE0EEEvT1_,comdat
	.protected	_ZN7rocprim17ROCPRIM_400000_NS6detail17trampoline_kernelINS0_14default_configENS1_27scan_by_key_config_selectorIisEEZZNS1_16scan_by_key_implILNS1_25lookback_scan_determinismE0ELb0ES3_N6thrust23THRUST_200600_302600_NS6detail15normal_iteratorINS9_10device_ptrIiEEEENSB_INSC_IsEEEESG_sNS9_4plusIvEENS9_8equal_toIvEEsEE10hipError_tPvRmT2_T3_T4_T5_mT6_T7_P12ihipStream_tbENKUlT_T0_E_clISt17integral_constantIbLb1EES11_EEDaSW_SX_EUlSW_E_NS1_11comp_targetILNS1_3genE10ELNS1_11target_archE1201ELNS1_3gpuE5ELNS1_3repE0EEENS1_30default_config_static_selectorELNS0_4arch9wavefront6targetE0EEEvT1_ ; -- Begin function _ZN7rocprim17ROCPRIM_400000_NS6detail17trampoline_kernelINS0_14default_configENS1_27scan_by_key_config_selectorIisEEZZNS1_16scan_by_key_implILNS1_25lookback_scan_determinismE0ELb0ES3_N6thrust23THRUST_200600_302600_NS6detail15normal_iteratorINS9_10device_ptrIiEEEENSB_INSC_IsEEEESG_sNS9_4plusIvEENS9_8equal_toIvEEsEE10hipError_tPvRmT2_T3_T4_T5_mT6_T7_P12ihipStream_tbENKUlT_T0_E_clISt17integral_constantIbLb1EES11_EEDaSW_SX_EUlSW_E_NS1_11comp_targetILNS1_3genE10ELNS1_11target_archE1201ELNS1_3gpuE5ELNS1_3repE0EEENS1_30default_config_static_selectorELNS0_4arch9wavefront6targetE0EEEvT1_
	.globl	_ZN7rocprim17ROCPRIM_400000_NS6detail17trampoline_kernelINS0_14default_configENS1_27scan_by_key_config_selectorIisEEZZNS1_16scan_by_key_implILNS1_25lookback_scan_determinismE0ELb0ES3_N6thrust23THRUST_200600_302600_NS6detail15normal_iteratorINS9_10device_ptrIiEEEENSB_INSC_IsEEEESG_sNS9_4plusIvEENS9_8equal_toIvEEsEE10hipError_tPvRmT2_T3_T4_T5_mT6_T7_P12ihipStream_tbENKUlT_T0_E_clISt17integral_constantIbLb1EES11_EEDaSW_SX_EUlSW_E_NS1_11comp_targetILNS1_3genE10ELNS1_11target_archE1201ELNS1_3gpuE5ELNS1_3repE0EEENS1_30default_config_static_selectorELNS0_4arch9wavefront6targetE0EEEvT1_
	.p2align	8
	.type	_ZN7rocprim17ROCPRIM_400000_NS6detail17trampoline_kernelINS0_14default_configENS1_27scan_by_key_config_selectorIisEEZZNS1_16scan_by_key_implILNS1_25lookback_scan_determinismE0ELb0ES3_N6thrust23THRUST_200600_302600_NS6detail15normal_iteratorINS9_10device_ptrIiEEEENSB_INSC_IsEEEESG_sNS9_4plusIvEENS9_8equal_toIvEEsEE10hipError_tPvRmT2_T3_T4_T5_mT6_T7_P12ihipStream_tbENKUlT_T0_E_clISt17integral_constantIbLb1EES11_EEDaSW_SX_EUlSW_E_NS1_11comp_targetILNS1_3genE10ELNS1_11target_archE1201ELNS1_3gpuE5ELNS1_3repE0EEENS1_30default_config_static_selectorELNS0_4arch9wavefront6targetE0EEEvT1_,@function
_ZN7rocprim17ROCPRIM_400000_NS6detail17trampoline_kernelINS0_14default_configENS1_27scan_by_key_config_selectorIisEEZZNS1_16scan_by_key_implILNS1_25lookback_scan_determinismE0ELb0ES3_N6thrust23THRUST_200600_302600_NS6detail15normal_iteratorINS9_10device_ptrIiEEEENSB_INSC_IsEEEESG_sNS9_4plusIvEENS9_8equal_toIvEEsEE10hipError_tPvRmT2_T3_T4_T5_mT6_T7_P12ihipStream_tbENKUlT_T0_E_clISt17integral_constantIbLb1EES11_EEDaSW_SX_EUlSW_E_NS1_11comp_targetILNS1_3genE10ELNS1_11target_archE1201ELNS1_3gpuE5ELNS1_3repE0EEENS1_30default_config_static_selectorELNS0_4arch9wavefront6targetE0EEEvT1_: ; @_ZN7rocprim17ROCPRIM_400000_NS6detail17trampoline_kernelINS0_14default_configENS1_27scan_by_key_config_selectorIisEEZZNS1_16scan_by_key_implILNS1_25lookback_scan_determinismE0ELb0ES3_N6thrust23THRUST_200600_302600_NS6detail15normal_iteratorINS9_10device_ptrIiEEEENSB_INSC_IsEEEESG_sNS9_4plusIvEENS9_8equal_toIvEEsEE10hipError_tPvRmT2_T3_T4_T5_mT6_T7_P12ihipStream_tbENKUlT_T0_E_clISt17integral_constantIbLb1EES11_EEDaSW_SX_EUlSW_E_NS1_11comp_targetILNS1_3genE10ELNS1_11target_archE1201ELNS1_3gpuE5ELNS1_3repE0EEENS1_30default_config_static_selectorELNS0_4arch9wavefront6targetE0EEEvT1_
; %bb.0:
	.section	.rodata,"a",@progbits
	.p2align	6, 0x0
	.amdhsa_kernel _ZN7rocprim17ROCPRIM_400000_NS6detail17trampoline_kernelINS0_14default_configENS1_27scan_by_key_config_selectorIisEEZZNS1_16scan_by_key_implILNS1_25lookback_scan_determinismE0ELb0ES3_N6thrust23THRUST_200600_302600_NS6detail15normal_iteratorINS9_10device_ptrIiEEEENSB_INSC_IsEEEESG_sNS9_4plusIvEENS9_8equal_toIvEEsEE10hipError_tPvRmT2_T3_T4_T5_mT6_T7_P12ihipStream_tbENKUlT_T0_E_clISt17integral_constantIbLb1EES11_EEDaSW_SX_EUlSW_E_NS1_11comp_targetILNS1_3genE10ELNS1_11target_archE1201ELNS1_3gpuE5ELNS1_3repE0EEENS1_30default_config_static_selectorELNS0_4arch9wavefront6targetE0EEEvT1_
		.amdhsa_group_segment_fixed_size 0
		.amdhsa_private_segment_fixed_size 0
		.amdhsa_kernarg_size 112
		.amdhsa_user_sgpr_count 2
		.amdhsa_user_sgpr_dispatch_ptr 0
		.amdhsa_user_sgpr_queue_ptr 0
		.amdhsa_user_sgpr_kernarg_segment_ptr 1
		.amdhsa_user_sgpr_dispatch_id 0
		.amdhsa_user_sgpr_kernarg_preload_length 0
		.amdhsa_user_sgpr_kernarg_preload_offset 0
		.amdhsa_user_sgpr_private_segment_size 0
		.amdhsa_wavefront_size32 1
		.amdhsa_uses_dynamic_stack 0
		.amdhsa_enable_private_segment 0
		.amdhsa_system_sgpr_workgroup_id_x 1
		.amdhsa_system_sgpr_workgroup_id_y 0
		.amdhsa_system_sgpr_workgroup_id_z 0
		.amdhsa_system_sgpr_workgroup_info 0
		.amdhsa_system_vgpr_workitem_id 0
		.amdhsa_next_free_vgpr 1
		.amdhsa_next_free_sgpr 1
		.amdhsa_named_barrier_count 0
		.amdhsa_reserve_vcc 0
		.amdhsa_float_round_mode_32 0
		.amdhsa_float_round_mode_16_64 0
		.amdhsa_float_denorm_mode_32 3
		.amdhsa_float_denorm_mode_16_64 3
		.amdhsa_fp16_overflow 0
		.amdhsa_memory_ordered 1
		.amdhsa_forward_progress 1
		.amdhsa_inst_pref_size 0
		.amdhsa_round_robin_scheduling 0
		.amdhsa_exception_fp_ieee_invalid_op 0
		.amdhsa_exception_fp_denorm_src 0
		.amdhsa_exception_fp_ieee_div_zero 0
		.amdhsa_exception_fp_ieee_overflow 0
		.amdhsa_exception_fp_ieee_underflow 0
		.amdhsa_exception_fp_ieee_inexact 0
		.amdhsa_exception_int_div_zero 0
	.end_amdhsa_kernel
	.section	.text._ZN7rocprim17ROCPRIM_400000_NS6detail17trampoline_kernelINS0_14default_configENS1_27scan_by_key_config_selectorIisEEZZNS1_16scan_by_key_implILNS1_25lookback_scan_determinismE0ELb0ES3_N6thrust23THRUST_200600_302600_NS6detail15normal_iteratorINS9_10device_ptrIiEEEENSB_INSC_IsEEEESG_sNS9_4plusIvEENS9_8equal_toIvEEsEE10hipError_tPvRmT2_T3_T4_T5_mT6_T7_P12ihipStream_tbENKUlT_T0_E_clISt17integral_constantIbLb1EES11_EEDaSW_SX_EUlSW_E_NS1_11comp_targetILNS1_3genE10ELNS1_11target_archE1201ELNS1_3gpuE5ELNS1_3repE0EEENS1_30default_config_static_selectorELNS0_4arch9wavefront6targetE0EEEvT1_,"axG",@progbits,_ZN7rocprim17ROCPRIM_400000_NS6detail17trampoline_kernelINS0_14default_configENS1_27scan_by_key_config_selectorIisEEZZNS1_16scan_by_key_implILNS1_25lookback_scan_determinismE0ELb0ES3_N6thrust23THRUST_200600_302600_NS6detail15normal_iteratorINS9_10device_ptrIiEEEENSB_INSC_IsEEEESG_sNS9_4plusIvEENS9_8equal_toIvEEsEE10hipError_tPvRmT2_T3_T4_T5_mT6_T7_P12ihipStream_tbENKUlT_T0_E_clISt17integral_constantIbLb1EES11_EEDaSW_SX_EUlSW_E_NS1_11comp_targetILNS1_3genE10ELNS1_11target_archE1201ELNS1_3gpuE5ELNS1_3repE0EEENS1_30default_config_static_selectorELNS0_4arch9wavefront6targetE0EEEvT1_,comdat
.Lfunc_end1363:
	.size	_ZN7rocprim17ROCPRIM_400000_NS6detail17trampoline_kernelINS0_14default_configENS1_27scan_by_key_config_selectorIisEEZZNS1_16scan_by_key_implILNS1_25lookback_scan_determinismE0ELb0ES3_N6thrust23THRUST_200600_302600_NS6detail15normal_iteratorINS9_10device_ptrIiEEEENSB_INSC_IsEEEESG_sNS9_4plusIvEENS9_8equal_toIvEEsEE10hipError_tPvRmT2_T3_T4_T5_mT6_T7_P12ihipStream_tbENKUlT_T0_E_clISt17integral_constantIbLb1EES11_EEDaSW_SX_EUlSW_E_NS1_11comp_targetILNS1_3genE10ELNS1_11target_archE1201ELNS1_3gpuE5ELNS1_3repE0EEENS1_30default_config_static_selectorELNS0_4arch9wavefront6targetE0EEEvT1_, .Lfunc_end1363-_ZN7rocprim17ROCPRIM_400000_NS6detail17trampoline_kernelINS0_14default_configENS1_27scan_by_key_config_selectorIisEEZZNS1_16scan_by_key_implILNS1_25lookback_scan_determinismE0ELb0ES3_N6thrust23THRUST_200600_302600_NS6detail15normal_iteratorINS9_10device_ptrIiEEEENSB_INSC_IsEEEESG_sNS9_4plusIvEENS9_8equal_toIvEEsEE10hipError_tPvRmT2_T3_T4_T5_mT6_T7_P12ihipStream_tbENKUlT_T0_E_clISt17integral_constantIbLb1EES11_EEDaSW_SX_EUlSW_E_NS1_11comp_targetILNS1_3genE10ELNS1_11target_archE1201ELNS1_3gpuE5ELNS1_3repE0EEENS1_30default_config_static_selectorELNS0_4arch9wavefront6targetE0EEEvT1_
                                        ; -- End function
	.set _ZN7rocprim17ROCPRIM_400000_NS6detail17trampoline_kernelINS0_14default_configENS1_27scan_by_key_config_selectorIisEEZZNS1_16scan_by_key_implILNS1_25lookback_scan_determinismE0ELb0ES3_N6thrust23THRUST_200600_302600_NS6detail15normal_iteratorINS9_10device_ptrIiEEEENSB_INSC_IsEEEESG_sNS9_4plusIvEENS9_8equal_toIvEEsEE10hipError_tPvRmT2_T3_T4_T5_mT6_T7_P12ihipStream_tbENKUlT_T0_E_clISt17integral_constantIbLb1EES11_EEDaSW_SX_EUlSW_E_NS1_11comp_targetILNS1_3genE10ELNS1_11target_archE1201ELNS1_3gpuE5ELNS1_3repE0EEENS1_30default_config_static_selectorELNS0_4arch9wavefront6targetE0EEEvT1_.num_vgpr, 0
	.set _ZN7rocprim17ROCPRIM_400000_NS6detail17trampoline_kernelINS0_14default_configENS1_27scan_by_key_config_selectorIisEEZZNS1_16scan_by_key_implILNS1_25lookback_scan_determinismE0ELb0ES3_N6thrust23THRUST_200600_302600_NS6detail15normal_iteratorINS9_10device_ptrIiEEEENSB_INSC_IsEEEESG_sNS9_4plusIvEENS9_8equal_toIvEEsEE10hipError_tPvRmT2_T3_T4_T5_mT6_T7_P12ihipStream_tbENKUlT_T0_E_clISt17integral_constantIbLb1EES11_EEDaSW_SX_EUlSW_E_NS1_11comp_targetILNS1_3genE10ELNS1_11target_archE1201ELNS1_3gpuE5ELNS1_3repE0EEENS1_30default_config_static_selectorELNS0_4arch9wavefront6targetE0EEEvT1_.num_agpr, 0
	.set _ZN7rocprim17ROCPRIM_400000_NS6detail17trampoline_kernelINS0_14default_configENS1_27scan_by_key_config_selectorIisEEZZNS1_16scan_by_key_implILNS1_25lookback_scan_determinismE0ELb0ES3_N6thrust23THRUST_200600_302600_NS6detail15normal_iteratorINS9_10device_ptrIiEEEENSB_INSC_IsEEEESG_sNS9_4plusIvEENS9_8equal_toIvEEsEE10hipError_tPvRmT2_T3_T4_T5_mT6_T7_P12ihipStream_tbENKUlT_T0_E_clISt17integral_constantIbLb1EES11_EEDaSW_SX_EUlSW_E_NS1_11comp_targetILNS1_3genE10ELNS1_11target_archE1201ELNS1_3gpuE5ELNS1_3repE0EEENS1_30default_config_static_selectorELNS0_4arch9wavefront6targetE0EEEvT1_.numbered_sgpr, 0
	.set _ZN7rocprim17ROCPRIM_400000_NS6detail17trampoline_kernelINS0_14default_configENS1_27scan_by_key_config_selectorIisEEZZNS1_16scan_by_key_implILNS1_25lookback_scan_determinismE0ELb0ES3_N6thrust23THRUST_200600_302600_NS6detail15normal_iteratorINS9_10device_ptrIiEEEENSB_INSC_IsEEEESG_sNS9_4plusIvEENS9_8equal_toIvEEsEE10hipError_tPvRmT2_T3_T4_T5_mT6_T7_P12ihipStream_tbENKUlT_T0_E_clISt17integral_constantIbLb1EES11_EEDaSW_SX_EUlSW_E_NS1_11comp_targetILNS1_3genE10ELNS1_11target_archE1201ELNS1_3gpuE5ELNS1_3repE0EEENS1_30default_config_static_selectorELNS0_4arch9wavefront6targetE0EEEvT1_.num_named_barrier, 0
	.set _ZN7rocprim17ROCPRIM_400000_NS6detail17trampoline_kernelINS0_14default_configENS1_27scan_by_key_config_selectorIisEEZZNS1_16scan_by_key_implILNS1_25lookback_scan_determinismE0ELb0ES3_N6thrust23THRUST_200600_302600_NS6detail15normal_iteratorINS9_10device_ptrIiEEEENSB_INSC_IsEEEESG_sNS9_4plusIvEENS9_8equal_toIvEEsEE10hipError_tPvRmT2_T3_T4_T5_mT6_T7_P12ihipStream_tbENKUlT_T0_E_clISt17integral_constantIbLb1EES11_EEDaSW_SX_EUlSW_E_NS1_11comp_targetILNS1_3genE10ELNS1_11target_archE1201ELNS1_3gpuE5ELNS1_3repE0EEENS1_30default_config_static_selectorELNS0_4arch9wavefront6targetE0EEEvT1_.private_seg_size, 0
	.set _ZN7rocprim17ROCPRIM_400000_NS6detail17trampoline_kernelINS0_14default_configENS1_27scan_by_key_config_selectorIisEEZZNS1_16scan_by_key_implILNS1_25lookback_scan_determinismE0ELb0ES3_N6thrust23THRUST_200600_302600_NS6detail15normal_iteratorINS9_10device_ptrIiEEEENSB_INSC_IsEEEESG_sNS9_4plusIvEENS9_8equal_toIvEEsEE10hipError_tPvRmT2_T3_T4_T5_mT6_T7_P12ihipStream_tbENKUlT_T0_E_clISt17integral_constantIbLb1EES11_EEDaSW_SX_EUlSW_E_NS1_11comp_targetILNS1_3genE10ELNS1_11target_archE1201ELNS1_3gpuE5ELNS1_3repE0EEENS1_30default_config_static_selectorELNS0_4arch9wavefront6targetE0EEEvT1_.uses_vcc, 0
	.set _ZN7rocprim17ROCPRIM_400000_NS6detail17trampoline_kernelINS0_14default_configENS1_27scan_by_key_config_selectorIisEEZZNS1_16scan_by_key_implILNS1_25lookback_scan_determinismE0ELb0ES3_N6thrust23THRUST_200600_302600_NS6detail15normal_iteratorINS9_10device_ptrIiEEEENSB_INSC_IsEEEESG_sNS9_4plusIvEENS9_8equal_toIvEEsEE10hipError_tPvRmT2_T3_T4_T5_mT6_T7_P12ihipStream_tbENKUlT_T0_E_clISt17integral_constantIbLb1EES11_EEDaSW_SX_EUlSW_E_NS1_11comp_targetILNS1_3genE10ELNS1_11target_archE1201ELNS1_3gpuE5ELNS1_3repE0EEENS1_30default_config_static_selectorELNS0_4arch9wavefront6targetE0EEEvT1_.uses_flat_scratch, 0
	.set _ZN7rocprim17ROCPRIM_400000_NS6detail17trampoline_kernelINS0_14default_configENS1_27scan_by_key_config_selectorIisEEZZNS1_16scan_by_key_implILNS1_25lookback_scan_determinismE0ELb0ES3_N6thrust23THRUST_200600_302600_NS6detail15normal_iteratorINS9_10device_ptrIiEEEENSB_INSC_IsEEEESG_sNS9_4plusIvEENS9_8equal_toIvEEsEE10hipError_tPvRmT2_T3_T4_T5_mT6_T7_P12ihipStream_tbENKUlT_T0_E_clISt17integral_constantIbLb1EES11_EEDaSW_SX_EUlSW_E_NS1_11comp_targetILNS1_3genE10ELNS1_11target_archE1201ELNS1_3gpuE5ELNS1_3repE0EEENS1_30default_config_static_selectorELNS0_4arch9wavefront6targetE0EEEvT1_.has_dyn_sized_stack, 0
	.set _ZN7rocprim17ROCPRIM_400000_NS6detail17trampoline_kernelINS0_14default_configENS1_27scan_by_key_config_selectorIisEEZZNS1_16scan_by_key_implILNS1_25lookback_scan_determinismE0ELb0ES3_N6thrust23THRUST_200600_302600_NS6detail15normal_iteratorINS9_10device_ptrIiEEEENSB_INSC_IsEEEESG_sNS9_4plusIvEENS9_8equal_toIvEEsEE10hipError_tPvRmT2_T3_T4_T5_mT6_T7_P12ihipStream_tbENKUlT_T0_E_clISt17integral_constantIbLb1EES11_EEDaSW_SX_EUlSW_E_NS1_11comp_targetILNS1_3genE10ELNS1_11target_archE1201ELNS1_3gpuE5ELNS1_3repE0EEENS1_30default_config_static_selectorELNS0_4arch9wavefront6targetE0EEEvT1_.has_recursion, 0
	.set _ZN7rocprim17ROCPRIM_400000_NS6detail17trampoline_kernelINS0_14default_configENS1_27scan_by_key_config_selectorIisEEZZNS1_16scan_by_key_implILNS1_25lookback_scan_determinismE0ELb0ES3_N6thrust23THRUST_200600_302600_NS6detail15normal_iteratorINS9_10device_ptrIiEEEENSB_INSC_IsEEEESG_sNS9_4plusIvEENS9_8equal_toIvEEsEE10hipError_tPvRmT2_T3_T4_T5_mT6_T7_P12ihipStream_tbENKUlT_T0_E_clISt17integral_constantIbLb1EES11_EEDaSW_SX_EUlSW_E_NS1_11comp_targetILNS1_3genE10ELNS1_11target_archE1201ELNS1_3gpuE5ELNS1_3repE0EEENS1_30default_config_static_selectorELNS0_4arch9wavefront6targetE0EEEvT1_.has_indirect_call, 0
	.section	.AMDGPU.csdata,"",@progbits
; Kernel info:
; codeLenInByte = 0
; TotalNumSgprs: 0
; NumVgprs: 0
; ScratchSize: 0
; MemoryBound: 0
; FloatMode: 240
; IeeeMode: 1
; LDSByteSize: 0 bytes/workgroup (compile time only)
; SGPRBlocks: 0
; VGPRBlocks: 0
; NumSGPRsForWavesPerEU: 1
; NumVGPRsForWavesPerEU: 1
; NamedBarCnt: 0
; Occupancy: 16
; WaveLimiterHint : 0
; COMPUTE_PGM_RSRC2:SCRATCH_EN: 0
; COMPUTE_PGM_RSRC2:USER_SGPR: 2
; COMPUTE_PGM_RSRC2:TRAP_HANDLER: 0
; COMPUTE_PGM_RSRC2:TGID_X_EN: 1
; COMPUTE_PGM_RSRC2:TGID_Y_EN: 0
; COMPUTE_PGM_RSRC2:TGID_Z_EN: 0
; COMPUTE_PGM_RSRC2:TIDIG_COMP_CNT: 0
	.section	.text._ZN7rocprim17ROCPRIM_400000_NS6detail17trampoline_kernelINS0_14default_configENS1_27scan_by_key_config_selectorIisEEZZNS1_16scan_by_key_implILNS1_25lookback_scan_determinismE0ELb0ES3_N6thrust23THRUST_200600_302600_NS6detail15normal_iteratorINS9_10device_ptrIiEEEENSB_INSC_IsEEEESG_sNS9_4plusIvEENS9_8equal_toIvEEsEE10hipError_tPvRmT2_T3_T4_T5_mT6_T7_P12ihipStream_tbENKUlT_T0_E_clISt17integral_constantIbLb1EES11_EEDaSW_SX_EUlSW_E_NS1_11comp_targetILNS1_3genE5ELNS1_11target_archE942ELNS1_3gpuE9ELNS1_3repE0EEENS1_30default_config_static_selectorELNS0_4arch9wavefront6targetE0EEEvT1_,"axG",@progbits,_ZN7rocprim17ROCPRIM_400000_NS6detail17trampoline_kernelINS0_14default_configENS1_27scan_by_key_config_selectorIisEEZZNS1_16scan_by_key_implILNS1_25lookback_scan_determinismE0ELb0ES3_N6thrust23THRUST_200600_302600_NS6detail15normal_iteratorINS9_10device_ptrIiEEEENSB_INSC_IsEEEESG_sNS9_4plusIvEENS9_8equal_toIvEEsEE10hipError_tPvRmT2_T3_T4_T5_mT6_T7_P12ihipStream_tbENKUlT_T0_E_clISt17integral_constantIbLb1EES11_EEDaSW_SX_EUlSW_E_NS1_11comp_targetILNS1_3genE5ELNS1_11target_archE942ELNS1_3gpuE9ELNS1_3repE0EEENS1_30default_config_static_selectorELNS0_4arch9wavefront6targetE0EEEvT1_,comdat
	.protected	_ZN7rocprim17ROCPRIM_400000_NS6detail17trampoline_kernelINS0_14default_configENS1_27scan_by_key_config_selectorIisEEZZNS1_16scan_by_key_implILNS1_25lookback_scan_determinismE0ELb0ES3_N6thrust23THRUST_200600_302600_NS6detail15normal_iteratorINS9_10device_ptrIiEEEENSB_INSC_IsEEEESG_sNS9_4plusIvEENS9_8equal_toIvEEsEE10hipError_tPvRmT2_T3_T4_T5_mT6_T7_P12ihipStream_tbENKUlT_T0_E_clISt17integral_constantIbLb1EES11_EEDaSW_SX_EUlSW_E_NS1_11comp_targetILNS1_3genE5ELNS1_11target_archE942ELNS1_3gpuE9ELNS1_3repE0EEENS1_30default_config_static_selectorELNS0_4arch9wavefront6targetE0EEEvT1_ ; -- Begin function _ZN7rocprim17ROCPRIM_400000_NS6detail17trampoline_kernelINS0_14default_configENS1_27scan_by_key_config_selectorIisEEZZNS1_16scan_by_key_implILNS1_25lookback_scan_determinismE0ELb0ES3_N6thrust23THRUST_200600_302600_NS6detail15normal_iteratorINS9_10device_ptrIiEEEENSB_INSC_IsEEEESG_sNS9_4plusIvEENS9_8equal_toIvEEsEE10hipError_tPvRmT2_T3_T4_T5_mT6_T7_P12ihipStream_tbENKUlT_T0_E_clISt17integral_constantIbLb1EES11_EEDaSW_SX_EUlSW_E_NS1_11comp_targetILNS1_3genE5ELNS1_11target_archE942ELNS1_3gpuE9ELNS1_3repE0EEENS1_30default_config_static_selectorELNS0_4arch9wavefront6targetE0EEEvT1_
	.globl	_ZN7rocprim17ROCPRIM_400000_NS6detail17trampoline_kernelINS0_14default_configENS1_27scan_by_key_config_selectorIisEEZZNS1_16scan_by_key_implILNS1_25lookback_scan_determinismE0ELb0ES3_N6thrust23THRUST_200600_302600_NS6detail15normal_iteratorINS9_10device_ptrIiEEEENSB_INSC_IsEEEESG_sNS9_4plusIvEENS9_8equal_toIvEEsEE10hipError_tPvRmT2_T3_T4_T5_mT6_T7_P12ihipStream_tbENKUlT_T0_E_clISt17integral_constantIbLb1EES11_EEDaSW_SX_EUlSW_E_NS1_11comp_targetILNS1_3genE5ELNS1_11target_archE942ELNS1_3gpuE9ELNS1_3repE0EEENS1_30default_config_static_selectorELNS0_4arch9wavefront6targetE0EEEvT1_
	.p2align	8
	.type	_ZN7rocprim17ROCPRIM_400000_NS6detail17trampoline_kernelINS0_14default_configENS1_27scan_by_key_config_selectorIisEEZZNS1_16scan_by_key_implILNS1_25lookback_scan_determinismE0ELb0ES3_N6thrust23THRUST_200600_302600_NS6detail15normal_iteratorINS9_10device_ptrIiEEEENSB_INSC_IsEEEESG_sNS9_4plusIvEENS9_8equal_toIvEEsEE10hipError_tPvRmT2_T3_T4_T5_mT6_T7_P12ihipStream_tbENKUlT_T0_E_clISt17integral_constantIbLb1EES11_EEDaSW_SX_EUlSW_E_NS1_11comp_targetILNS1_3genE5ELNS1_11target_archE942ELNS1_3gpuE9ELNS1_3repE0EEENS1_30default_config_static_selectorELNS0_4arch9wavefront6targetE0EEEvT1_,@function
_ZN7rocprim17ROCPRIM_400000_NS6detail17trampoline_kernelINS0_14default_configENS1_27scan_by_key_config_selectorIisEEZZNS1_16scan_by_key_implILNS1_25lookback_scan_determinismE0ELb0ES3_N6thrust23THRUST_200600_302600_NS6detail15normal_iteratorINS9_10device_ptrIiEEEENSB_INSC_IsEEEESG_sNS9_4plusIvEENS9_8equal_toIvEEsEE10hipError_tPvRmT2_T3_T4_T5_mT6_T7_P12ihipStream_tbENKUlT_T0_E_clISt17integral_constantIbLb1EES11_EEDaSW_SX_EUlSW_E_NS1_11comp_targetILNS1_3genE5ELNS1_11target_archE942ELNS1_3gpuE9ELNS1_3repE0EEENS1_30default_config_static_selectorELNS0_4arch9wavefront6targetE0EEEvT1_: ; @_ZN7rocprim17ROCPRIM_400000_NS6detail17trampoline_kernelINS0_14default_configENS1_27scan_by_key_config_selectorIisEEZZNS1_16scan_by_key_implILNS1_25lookback_scan_determinismE0ELb0ES3_N6thrust23THRUST_200600_302600_NS6detail15normal_iteratorINS9_10device_ptrIiEEEENSB_INSC_IsEEEESG_sNS9_4plusIvEENS9_8equal_toIvEEsEE10hipError_tPvRmT2_T3_T4_T5_mT6_T7_P12ihipStream_tbENKUlT_T0_E_clISt17integral_constantIbLb1EES11_EEDaSW_SX_EUlSW_E_NS1_11comp_targetILNS1_3genE5ELNS1_11target_archE942ELNS1_3gpuE9ELNS1_3repE0EEENS1_30default_config_static_selectorELNS0_4arch9wavefront6targetE0EEEvT1_
; %bb.0:
	.section	.rodata,"a",@progbits
	.p2align	6, 0x0
	.amdhsa_kernel _ZN7rocprim17ROCPRIM_400000_NS6detail17trampoline_kernelINS0_14default_configENS1_27scan_by_key_config_selectorIisEEZZNS1_16scan_by_key_implILNS1_25lookback_scan_determinismE0ELb0ES3_N6thrust23THRUST_200600_302600_NS6detail15normal_iteratorINS9_10device_ptrIiEEEENSB_INSC_IsEEEESG_sNS9_4plusIvEENS9_8equal_toIvEEsEE10hipError_tPvRmT2_T3_T4_T5_mT6_T7_P12ihipStream_tbENKUlT_T0_E_clISt17integral_constantIbLb1EES11_EEDaSW_SX_EUlSW_E_NS1_11comp_targetILNS1_3genE5ELNS1_11target_archE942ELNS1_3gpuE9ELNS1_3repE0EEENS1_30default_config_static_selectorELNS0_4arch9wavefront6targetE0EEEvT1_
		.amdhsa_group_segment_fixed_size 0
		.amdhsa_private_segment_fixed_size 0
		.amdhsa_kernarg_size 112
		.amdhsa_user_sgpr_count 2
		.amdhsa_user_sgpr_dispatch_ptr 0
		.amdhsa_user_sgpr_queue_ptr 0
		.amdhsa_user_sgpr_kernarg_segment_ptr 1
		.amdhsa_user_sgpr_dispatch_id 0
		.amdhsa_user_sgpr_kernarg_preload_length 0
		.amdhsa_user_sgpr_kernarg_preload_offset 0
		.amdhsa_user_sgpr_private_segment_size 0
		.amdhsa_wavefront_size32 1
		.amdhsa_uses_dynamic_stack 0
		.amdhsa_enable_private_segment 0
		.amdhsa_system_sgpr_workgroup_id_x 1
		.amdhsa_system_sgpr_workgroup_id_y 0
		.amdhsa_system_sgpr_workgroup_id_z 0
		.amdhsa_system_sgpr_workgroup_info 0
		.amdhsa_system_vgpr_workitem_id 0
		.amdhsa_next_free_vgpr 1
		.amdhsa_next_free_sgpr 1
		.amdhsa_named_barrier_count 0
		.amdhsa_reserve_vcc 0
		.amdhsa_float_round_mode_32 0
		.amdhsa_float_round_mode_16_64 0
		.amdhsa_float_denorm_mode_32 3
		.amdhsa_float_denorm_mode_16_64 3
		.amdhsa_fp16_overflow 0
		.amdhsa_memory_ordered 1
		.amdhsa_forward_progress 1
		.amdhsa_inst_pref_size 0
		.amdhsa_round_robin_scheduling 0
		.amdhsa_exception_fp_ieee_invalid_op 0
		.amdhsa_exception_fp_denorm_src 0
		.amdhsa_exception_fp_ieee_div_zero 0
		.amdhsa_exception_fp_ieee_overflow 0
		.amdhsa_exception_fp_ieee_underflow 0
		.amdhsa_exception_fp_ieee_inexact 0
		.amdhsa_exception_int_div_zero 0
	.end_amdhsa_kernel
	.section	.text._ZN7rocprim17ROCPRIM_400000_NS6detail17trampoline_kernelINS0_14default_configENS1_27scan_by_key_config_selectorIisEEZZNS1_16scan_by_key_implILNS1_25lookback_scan_determinismE0ELb0ES3_N6thrust23THRUST_200600_302600_NS6detail15normal_iteratorINS9_10device_ptrIiEEEENSB_INSC_IsEEEESG_sNS9_4plusIvEENS9_8equal_toIvEEsEE10hipError_tPvRmT2_T3_T4_T5_mT6_T7_P12ihipStream_tbENKUlT_T0_E_clISt17integral_constantIbLb1EES11_EEDaSW_SX_EUlSW_E_NS1_11comp_targetILNS1_3genE5ELNS1_11target_archE942ELNS1_3gpuE9ELNS1_3repE0EEENS1_30default_config_static_selectorELNS0_4arch9wavefront6targetE0EEEvT1_,"axG",@progbits,_ZN7rocprim17ROCPRIM_400000_NS6detail17trampoline_kernelINS0_14default_configENS1_27scan_by_key_config_selectorIisEEZZNS1_16scan_by_key_implILNS1_25lookback_scan_determinismE0ELb0ES3_N6thrust23THRUST_200600_302600_NS6detail15normal_iteratorINS9_10device_ptrIiEEEENSB_INSC_IsEEEESG_sNS9_4plusIvEENS9_8equal_toIvEEsEE10hipError_tPvRmT2_T3_T4_T5_mT6_T7_P12ihipStream_tbENKUlT_T0_E_clISt17integral_constantIbLb1EES11_EEDaSW_SX_EUlSW_E_NS1_11comp_targetILNS1_3genE5ELNS1_11target_archE942ELNS1_3gpuE9ELNS1_3repE0EEENS1_30default_config_static_selectorELNS0_4arch9wavefront6targetE0EEEvT1_,comdat
.Lfunc_end1364:
	.size	_ZN7rocprim17ROCPRIM_400000_NS6detail17trampoline_kernelINS0_14default_configENS1_27scan_by_key_config_selectorIisEEZZNS1_16scan_by_key_implILNS1_25lookback_scan_determinismE0ELb0ES3_N6thrust23THRUST_200600_302600_NS6detail15normal_iteratorINS9_10device_ptrIiEEEENSB_INSC_IsEEEESG_sNS9_4plusIvEENS9_8equal_toIvEEsEE10hipError_tPvRmT2_T3_T4_T5_mT6_T7_P12ihipStream_tbENKUlT_T0_E_clISt17integral_constantIbLb1EES11_EEDaSW_SX_EUlSW_E_NS1_11comp_targetILNS1_3genE5ELNS1_11target_archE942ELNS1_3gpuE9ELNS1_3repE0EEENS1_30default_config_static_selectorELNS0_4arch9wavefront6targetE0EEEvT1_, .Lfunc_end1364-_ZN7rocprim17ROCPRIM_400000_NS6detail17trampoline_kernelINS0_14default_configENS1_27scan_by_key_config_selectorIisEEZZNS1_16scan_by_key_implILNS1_25lookback_scan_determinismE0ELb0ES3_N6thrust23THRUST_200600_302600_NS6detail15normal_iteratorINS9_10device_ptrIiEEEENSB_INSC_IsEEEESG_sNS9_4plusIvEENS9_8equal_toIvEEsEE10hipError_tPvRmT2_T3_T4_T5_mT6_T7_P12ihipStream_tbENKUlT_T0_E_clISt17integral_constantIbLb1EES11_EEDaSW_SX_EUlSW_E_NS1_11comp_targetILNS1_3genE5ELNS1_11target_archE942ELNS1_3gpuE9ELNS1_3repE0EEENS1_30default_config_static_selectorELNS0_4arch9wavefront6targetE0EEEvT1_
                                        ; -- End function
	.set _ZN7rocprim17ROCPRIM_400000_NS6detail17trampoline_kernelINS0_14default_configENS1_27scan_by_key_config_selectorIisEEZZNS1_16scan_by_key_implILNS1_25lookback_scan_determinismE0ELb0ES3_N6thrust23THRUST_200600_302600_NS6detail15normal_iteratorINS9_10device_ptrIiEEEENSB_INSC_IsEEEESG_sNS9_4plusIvEENS9_8equal_toIvEEsEE10hipError_tPvRmT2_T3_T4_T5_mT6_T7_P12ihipStream_tbENKUlT_T0_E_clISt17integral_constantIbLb1EES11_EEDaSW_SX_EUlSW_E_NS1_11comp_targetILNS1_3genE5ELNS1_11target_archE942ELNS1_3gpuE9ELNS1_3repE0EEENS1_30default_config_static_selectorELNS0_4arch9wavefront6targetE0EEEvT1_.num_vgpr, 0
	.set _ZN7rocprim17ROCPRIM_400000_NS6detail17trampoline_kernelINS0_14default_configENS1_27scan_by_key_config_selectorIisEEZZNS1_16scan_by_key_implILNS1_25lookback_scan_determinismE0ELb0ES3_N6thrust23THRUST_200600_302600_NS6detail15normal_iteratorINS9_10device_ptrIiEEEENSB_INSC_IsEEEESG_sNS9_4plusIvEENS9_8equal_toIvEEsEE10hipError_tPvRmT2_T3_T4_T5_mT6_T7_P12ihipStream_tbENKUlT_T0_E_clISt17integral_constantIbLb1EES11_EEDaSW_SX_EUlSW_E_NS1_11comp_targetILNS1_3genE5ELNS1_11target_archE942ELNS1_3gpuE9ELNS1_3repE0EEENS1_30default_config_static_selectorELNS0_4arch9wavefront6targetE0EEEvT1_.num_agpr, 0
	.set _ZN7rocprim17ROCPRIM_400000_NS6detail17trampoline_kernelINS0_14default_configENS1_27scan_by_key_config_selectorIisEEZZNS1_16scan_by_key_implILNS1_25lookback_scan_determinismE0ELb0ES3_N6thrust23THRUST_200600_302600_NS6detail15normal_iteratorINS9_10device_ptrIiEEEENSB_INSC_IsEEEESG_sNS9_4plusIvEENS9_8equal_toIvEEsEE10hipError_tPvRmT2_T3_T4_T5_mT6_T7_P12ihipStream_tbENKUlT_T0_E_clISt17integral_constantIbLb1EES11_EEDaSW_SX_EUlSW_E_NS1_11comp_targetILNS1_3genE5ELNS1_11target_archE942ELNS1_3gpuE9ELNS1_3repE0EEENS1_30default_config_static_selectorELNS0_4arch9wavefront6targetE0EEEvT1_.numbered_sgpr, 0
	.set _ZN7rocprim17ROCPRIM_400000_NS6detail17trampoline_kernelINS0_14default_configENS1_27scan_by_key_config_selectorIisEEZZNS1_16scan_by_key_implILNS1_25lookback_scan_determinismE0ELb0ES3_N6thrust23THRUST_200600_302600_NS6detail15normal_iteratorINS9_10device_ptrIiEEEENSB_INSC_IsEEEESG_sNS9_4plusIvEENS9_8equal_toIvEEsEE10hipError_tPvRmT2_T3_T4_T5_mT6_T7_P12ihipStream_tbENKUlT_T0_E_clISt17integral_constantIbLb1EES11_EEDaSW_SX_EUlSW_E_NS1_11comp_targetILNS1_3genE5ELNS1_11target_archE942ELNS1_3gpuE9ELNS1_3repE0EEENS1_30default_config_static_selectorELNS0_4arch9wavefront6targetE0EEEvT1_.num_named_barrier, 0
	.set _ZN7rocprim17ROCPRIM_400000_NS6detail17trampoline_kernelINS0_14default_configENS1_27scan_by_key_config_selectorIisEEZZNS1_16scan_by_key_implILNS1_25lookback_scan_determinismE0ELb0ES3_N6thrust23THRUST_200600_302600_NS6detail15normal_iteratorINS9_10device_ptrIiEEEENSB_INSC_IsEEEESG_sNS9_4plusIvEENS9_8equal_toIvEEsEE10hipError_tPvRmT2_T3_T4_T5_mT6_T7_P12ihipStream_tbENKUlT_T0_E_clISt17integral_constantIbLb1EES11_EEDaSW_SX_EUlSW_E_NS1_11comp_targetILNS1_3genE5ELNS1_11target_archE942ELNS1_3gpuE9ELNS1_3repE0EEENS1_30default_config_static_selectorELNS0_4arch9wavefront6targetE0EEEvT1_.private_seg_size, 0
	.set _ZN7rocprim17ROCPRIM_400000_NS6detail17trampoline_kernelINS0_14default_configENS1_27scan_by_key_config_selectorIisEEZZNS1_16scan_by_key_implILNS1_25lookback_scan_determinismE0ELb0ES3_N6thrust23THRUST_200600_302600_NS6detail15normal_iteratorINS9_10device_ptrIiEEEENSB_INSC_IsEEEESG_sNS9_4plusIvEENS9_8equal_toIvEEsEE10hipError_tPvRmT2_T3_T4_T5_mT6_T7_P12ihipStream_tbENKUlT_T0_E_clISt17integral_constantIbLb1EES11_EEDaSW_SX_EUlSW_E_NS1_11comp_targetILNS1_3genE5ELNS1_11target_archE942ELNS1_3gpuE9ELNS1_3repE0EEENS1_30default_config_static_selectorELNS0_4arch9wavefront6targetE0EEEvT1_.uses_vcc, 0
	.set _ZN7rocprim17ROCPRIM_400000_NS6detail17trampoline_kernelINS0_14default_configENS1_27scan_by_key_config_selectorIisEEZZNS1_16scan_by_key_implILNS1_25lookback_scan_determinismE0ELb0ES3_N6thrust23THRUST_200600_302600_NS6detail15normal_iteratorINS9_10device_ptrIiEEEENSB_INSC_IsEEEESG_sNS9_4plusIvEENS9_8equal_toIvEEsEE10hipError_tPvRmT2_T3_T4_T5_mT6_T7_P12ihipStream_tbENKUlT_T0_E_clISt17integral_constantIbLb1EES11_EEDaSW_SX_EUlSW_E_NS1_11comp_targetILNS1_3genE5ELNS1_11target_archE942ELNS1_3gpuE9ELNS1_3repE0EEENS1_30default_config_static_selectorELNS0_4arch9wavefront6targetE0EEEvT1_.uses_flat_scratch, 0
	.set _ZN7rocprim17ROCPRIM_400000_NS6detail17trampoline_kernelINS0_14default_configENS1_27scan_by_key_config_selectorIisEEZZNS1_16scan_by_key_implILNS1_25lookback_scan_determinismE0ELb0ES3_N6thrust23THRUST_200600_302600_NS6detail15normal_iteratorINS9_10device_ptrIiEEEENSB_INSC_IsEEEESG_sNS9_4plusIvEENS9_8equal_toIvEEsEE10hipError_tPvRmT2_T3_T4_T5_mT6_T7_P12ihipStream_tbENKUlT_T0_E_clISt17integral_constantIbLb1EES11_EEDaSW_SX_EUlSW_E_NS1_11comp_targetILNS1_3genE5ELNS1_11target_archE942ELNS1_3gpuE9ELNS1_3repE0EEENS1_30default_config_static_selectorELNS0_4arch9wavefront6targetE0EEEvT1_.has_dyn_sized_stack, 0
	.set _ZN7rocprim17ROCPRIM_400000_NS6detail17trampoline_kernelINS0_14default_configENS1_27scan_by_key_config_selectorIisEEZZNS1_16scan_by_key_implILNS1_25lookback_scan_determinismE0ELb0ES3_N6thrust23THRUST_200600_302600_NS6detail15normal_iteratorINS9_10device_ptrIiEEEENSB_INSC_IsEEEESG_sNS9_4plusIvEENS9_8equal_toIvEEsEE10hipError_tPvRmT2_T3_T4_T5_mT6_T7_P12ihipStream_tbENKUlT_T0_E_clISt17integral_constantIbLb1EES11_EEDaSW_SX_EUlSW_E_NS1_11comp_targetILNS1_3genE5ELNS1_11target_archE942ELNS1_3gpuE9ELNS1_3repE0EEENS1_30default_config_static_selectorELNS0_4arch9wavefront6targetE0EEEvT1_.has_recursion, 0
	.set _ZN7rocprim17ROCPRIM_400000_NS6detail17trampoline_kernelINS0_14default_configENS1_27scan_by_key_config_selectorIisEEZZNS1_16scan_by_key_implILNS1_25lookback_scan_determinismE0ELb0ES3_N6thrust23THRUST_200600_302600_NS6detail15normal_iteratorINS9_10device_ptrIiEEEENSB_INSC_IsEEEESG_sNS9_4plusIvEENS9_8equal_toIvEEsEE10hipError_tPvRmT2_T3_T4_T5_mT6_T7_P12ihipStream_tbENKUlT_T0_E_clISt17integral_constantIbLb1EES11_EEDaSW_SX_EUlSW_E_NS1_11comp_targetILNS1_3genE5ELNS1_11target_archE942ELNS1_3gpuE9ELNS1_3repE0EEENS1_30default_config_static_selectorELNS0_4arch9wavefront6targetE0EEEvT1_.has_indirect_call, 0
	.section	.AMDGPU.csdata,"",@progbits
; Kernel info:
; codeLenInByte = 0
; TotalNumSgprs: 0
; NumVgprs: 0
; ScratchSize: 0
; MemoryBound: 0
; FloatMode: 240
; IeeeMode: 1
; LDSByteSize: 0 bytes/workgroup (compile time only)
; SGPRBlocks: 0
; VGPRBlocks: 0
; NumSGPRsForWavesPerEU: 1
; NumVGPRsForWavesPerEU: 1
; NamedBarCnt: 0
; Occupancy: 16
; WaveLimiterHint : 0
; COMPUTE_PGM_RSRC2:SCRATCH_EN: 0
; COMPUTE_PGM_RSRC2:USER_SGPR: 2
; COMPUTE_PGM_RSRC2:TRAP_HANDLER: 0
; COMPUTE_PGM_RSRC2:TGID_X_EN: 1
; COMPUTE_PGM_RSRC2:TGID_Y_EN: 0
; COMPUTE_PGM_RSRC2:TGID_Z_EN: 0
; COMPUTE_PGM_RSRC2:TIDIG_COMP_CNT: 0
	.section	.text._ZN7rocprim17ROCPRIM_400000_NS6detail17trampoline_kernelINS0_14default_configENS1_27scan_by_key_config_selectorIisEEZZNS1_16scan_by_key_implILNS1_25lookback_scan_determinismE0ELb0ES3_N6thrust23THRUST_200600_302600_NS6detail15normal_iteratorINS9_10device_ptrIiEEEENSB_INSC_IsEEEESG_sNS9_4plusIvEENS9_8equal_toIvEEsEE10hipError_tPvRmT2_T3_T4_T5_mT6_T7_P12ihipStream_tbENKUlT_T0_E_clISt17integral_constantIbLb1EES11_EEDaSW_SX_EUlSW_E_NS1_11comp_targetILNS1_3genE4ELNS1_11target_archE910ELNS1_3gpuE8ELNS1_3repE0EEENS1_30default_config_static_selectorELNS0_4arch9wavefront6targetE0EEEvT1_,"axG",@progbits,_ZN7rocprim17ROCPRIM_400000_NS6detail17trampoline_kernelINS0_14default_configENS1_27scan_by_key_config_selectorIisEEZZNS1_16scan_by_key_implILNS1_25lookback_scan_determinismE0ELb0ES3_N6thrust23THRUST_200600_302600_NS6detail15normal_iteratorINS9_10device_ptrIiEEEENSB_INSC_IsEEEESG_sNS9_4plusIvEENS9_8equal_toIvEEsEE10hipError_tPvRmT2_T3_T4_T5_mT6_T7_P12ihipStream_tbENKUlT_T0_E_clISt17integral_constantIbLb1EES11_EEDaSW_SX_EUlSW_E_NS1_11comp_targetILNS1_3genE4ELNS1_11target_archE910ELNS1_3gpuE8ELNS1_3repE0EEENS1_30default_config_static_selectorELNS0_4arch9wavefront6targetE0EEEvT1_,comdat
	.protected	_ZN7rocprim17ROCPRIM_400000_NS6detail17trampoline_kernelINS0_14default_configENS1_27scan_by_key_config_selectorIisEEZZNS1_16scan_by_key_implILNS1_25lookback_scan_determinismE0ELb0ES3_N6thrust23THRUST_200600_302600_NS6detail15normal_iteratorINS9_10device_ptrIiEEEENSB_INSC_IsEEEESG_sNS9_4plusIvEENS9_8equal_toIvEEsEE10hipError_tPvRmT2_T3_T4_T5_mT6_T7_P12ihipStream_tbENKUlT_T0_E_clISt17integral_constantIbLb1EES11_EEDaSW_SX_EUlSW_E_NS1_11comp_targetILNS1_3genE4ELNS1_11target_archE910ELNS1_3gpuE8ELNS1_3repE0EEENS1_30default_config_static_selectorELNS0_4arch9wavefront6targetE0EEEvT1_ ; -- Begin function _ZN7rocprim17ROCPRIM_400000_NS6detail17trampoline_kernelINS0_14default_configENS1_27scan_by_key_config_selectorIisEEZZNS1_16scan_by_key_implILNS1_25lookback_scan_determinismE0ELb0ES3_N6thrust23THRUST_200600_302600_NS6detail15normal_iteratorINS9_10device_ptrIiEEEENSB_INSC_IsEEEESG_sNS9_4plusIvEENS9_8equal_toIvEEsEE10hipError_tPvRmT2_T3_T4_T5_mT6_T7_P12ihipStream_tbENKUlT_T0_E_clISt17integral_constantIbLb1EES11_EEDaSW_SX_EUlSW_E_NS1_11comp_targetILNS1_3genE4ELNS1_11target_archE910ELNS1_3gpuE8ELNS1_3repE0EEENS1_30default_config_static_selectorELNS0_4arch9wavefront6targetE0EEEvT1_
	.globl	_ZN7rocprim17ROCPRIM_400000_NS6detail17trampoline_kernelINS0_14default_configENS1_27scan_by_key_config_selectorIisEEZZNS1_16scan_by_key_implILNS1_25lookback_scan_determinismE0ELb0ES3_N6thrust23THRUST_200600_302600_NS6detail15normal_iteratorINS9_10device_ptrIiEEEENSB_INSC_IsEEEESG_sNS9_4plusIvEENS9_8equal_toIvEEsEE10hipError_tPvRmT2_T3_T4_T5_mT6_T7_P12ihipStream_tbENKUlT_T0_E_clISt17integral_constantIbLb1EES11_EEDaSW_SX_EUlSW_E_NS1_11comp_targetILNS1_3genE4ELNS1_11target_archE910ELNS1_3gpuE8ELNS1_3repE0EEENS1_30default_config_static_selectorELNS0_4arch9wavefront6targetE0EEEvT1_
	.p2align	8
	.type	_ZN7rocprim17ROCPRIM_400000_NS6detail17trampoline_kernelINS0_14default_configENS1_27scan_by_key_config_selectorIisEEZZNS1_16scan_by_key_implILNS1_25lookback_scan_determinismE0ELb0ES3_N6thrust23THRUST_200600_302600_NS6detail15normal_iteratorINS9_10device_ptrIiEEEENSB_INSC_IsEEEESG_sNS9_4plusIvEENS9_8equal_toIvEEsEE10hipError_tPvRmT2_T3_T4_T5_mT6_T7_P12ihipStream_tbENKUlT_T0_E_clISt17integral_constantIbLb1EES11_EEDaSW_SX_EUlSW_E_NS1_11comp_targetILNS1_3genE4ELNS1_11target_archE910ELNS1_3gpuE8ELNS1_3repE0EEENS1_30default_config_static_selectorELNS0_4arch9wavefront6targetE0EEEvT1_,@function
_ZN7rocprim17ROCPRIM_400000_NS6detail17trampoline_kernelINS0_14default_configENS1_27scan_by_key_config_selectorIisEEZZNS1_16scan_by_key_implILNS1_25lookback_scan_determinismE0ELb0ES3_N6thrust23THRUST_200600_302600_NS6detail15normal_iteratorINS9_10device_ptrIiEEEENSB_INSC_IsEEEESG_sNS9_4plusIvEENS9_8equal_toIvEEsEE10hipError_tPvRmT2_T3_T4_T5_mT6_T7_P12ihipStream_tbENKUlT_T0_E_clISt17integral_constantIbLb1EES11_EEDaSW_SX_EUlSW_E_NS1_11comp_targetILNS1_3genE4ELNS1_11target_archE910ELNS1_3gpuE8ELNS1_3repE0EEENS1_30default_config_static_selectorELNS0_4arch9wavefront6targetE0EEEvT1_: ; @_ZN7rocprim17ROCPRIM_400000_NS6detail17trampoline_kernelINS0_14default_configENS1_27scan_by_key_config_selectorIisEEZZNS1_16scan_by_key_implILNS1_25lookback_scan_determinismE0ELb0ES3_N6thrust23THRUST_200600_302600_NS6detail15normal_iteratorINS9_10device_ptrIiEEEENSB_INSC_IsEEEESG_sNS9_4plusIvEENS9_8equal_toIvEEsEE10hipError_tPvRmT2_T3_T4_T5_mT6_T7_P12ihipStream_tbENKUlT_T0_E_clISt17integral_constantIbLb1EES11_EEDaSW_SX_EUlSW_E_NS1_11comp_targetILNS1_3genE4ELNS1_11target_archE910ELNS1_3gpuE8ELNS1_3repE0EEENS1_30default_config_static_selectorELNS0_4arch9wavefront6targetE0EEEvT1_
; %bb.0:
	.section	.rodata,"a",@progbits
	.p2align	6, 0x0
	.amdhsa_kernel _ZN7rocprim17ROCPRIM_400000_NS6detail17trampoline_kernelINS0_14default_configENS1_27scan_by_key_config_selectorIisEEZZNS1_16scan_by_key_implILNS1_25lookback_scan_determinismE0ELb0ES3_N6thrust23THRUST_200600_302600_NS6detail15normal_iteratorINS9_10device_ptrIiEEEENSB_INSC_IsEEEESG_sNS9_4plusIvEENS9_8equal_toIvEEsEE10hipError_tPvRmT2_T3_T4_T5_mT6_T7_P12ihipStream_tbENKUlT_T0_E_clISt17integral_constantIbLb1EES11_EEDaSW_SX_EUlSW_E_NS1_11comp_targetILNS1_3genE4ELNS1_11target_archE910ELNS1_3gpuE8ELNS1_3repE0EEENS1_30default_config_static_selectorELNS0_4arch9wavefront6targetE0EEEvT1_
		.amdhsa_group_segment_fixed_size 0
		.amdhsa_private_segment_fixed_size 0
		.amdhsa_kernarg_size 112
		.amdhsa_user_sgpr_count 2
		.amdhsa_user_sgpr_dispatch_ptr 0
		.amdhsa_user_sgpr_queue_ptr 0
		.amdhsa_user_sgpr_kernarg_segment_ptr 1
		.amdhsa_user_sgpr_dispatch_id 0
		.amdhsa_user_sgpr_kernarg_preload_length 0
		.amdhsa_user_sgpr_kernarg_preload_offset 0
		.amdhsa_user_sgpr_private_segment_size 0
		.amdhsa_wavefront_size32 1
		.amdhsa_uses_dynamic_stack 0
		.amdhsa_enable_private_segment 0
		.amdhsa_system_sgpr_workgroup_id_x 1
		.amdhsa_system_sgpr_workgroup_id_y 0
		.amdhsa_system_sgpr_workgroup_id_z 0
		.amdhsa_system_sgpr_workgroup_info 0
		.amdhsa_system_vgpr_workitem_id 0
		.amdhsa_next_free_vgpr 1
		.amdhsa_next_free_sgpr 1
		.amdhsa_named_barrier_count 0
		.amdhsa_reserve_vcc 0
		.amdhsa_float_round_mode_32 0
		.amdhsa_float_round_mode_16_64 0
		.amdhsa_float_denorm_mode_32 3
		.amdhsa_float_denorm_mode_16_64 3
		.amdhsa_fp16_overflow 0
		.amdhsa_memory_ordered 1
		.amdhsa_forward_progress 1
		.amdhsa_inst_pref_size 0
		.amdhsa_round_robin_scheduling 0
		.amdhsa_exception_fp_ieee_invalid_op 0
		.amdhsa_exception_fp_denorm_src 0
		.amdhsa_exception_fp_ieee_div_zero 0
		.amdhsa_exception_fp_ieee_overflow 0
		.amdhsa_exception_fp_ieee_underflow 0
		.amdhsa_exception_fp_ieee_inexact 0
		.amdhsa_exception_int_div_zero 0
	.end_amdhsa_kernel
	.section	.text._ZN7rocprim17ROCPRIM_400000_NS6detail17trampoline_kernelINS0_14default_configENS1_27scan_by_key_config_selectorIisEEZZNS1_16scan_by_key_implILNS1_25lookback_scan_determinismE0ELb0ES3_N6thrust23THRUST_200600_302600_NS6detail15normal_iteratorINS9_10device_ptrIiEEEENSB_INSC_IsEEEESG_sNS9_4plusIvEENS9_8equal_toIvEEsEE10hipError_tPvRmT2_T3_T4_T5_mT6_T7_P12ihipStream_tbENKUlT_T0_E_clISt17integral_constantIbLb1EES11_EEDaSW_SX_EUlSW_E_NS1_11comp_targetILNS1_3genE4ELNS1_11target_archE910ELNS1_3gpuE8ELNS1_3repE0EEENS1_30default_config_static_selectorELNS0_4arch9wavefront6targetE0EEEvT1_,"axG",@progbits,_ZN7rocprim17ROCPRIM_400000_NS6detail17trampoline_kernelINS0_14default_configENS1_27scan_by_key_config_selectorIisEEZZNS1_16scan_by_key_implILNS1_25lookback_scan_determinismE0ELb0ES3_N6thrust23THRUST_200600_302600_NS6detail15normal_iteratorINS9_10device_ptrIiEEEENSB_INSC_IsEEEESG_sNS9_4plusIvEENS9_8equal_toIvEEsEE10hipError_tPvRmT2_T3_T4_T5_mT6_T7_P12ihipStream_tbENKUlT_T0_E_clISt17integral_constantIbLb1EES11_EEDaSW_SX_EUlSW_E_NS1_11comp_targetILNS1_3genE4ELNS1_11target_archE910ELNS1_3gpuE8ELNS1_3repE0EEENS1_30default_config_static_selectorELNS0_4arch9wavefront6targetE0EEEvT1_,comdat
.Lfunc_end1365:
	.size	_ZN7rocprim17ROCPRIM_400000_NS6detail17trampoline_kernelINS0_14default_configENS1_27scan_by_key_config_selectorIisEEZZNS1_16scan_by_key_implILNS1_25lookback_scan_determinismE0ELb0ES3_N6thrust23THRUST_200600_302600_NS6detail15normal_iteratorINS9_10device_ptrIiEEEENSB_INSC_IsEEEESG_sNS9_4plusIvEENS9_8equal_toIvEEsEE10hipError_tPvRmT2_T3_T4_T5_mT6_T7_P12ihipStream_tbENKUlT_T0_E_clISt17integral_constantIbLb1EES11_EEDaSW_SX_EUlSW_E_NS1_11comp_targetILNS1_3genE4ELNS1_11target_archE910ELNS1_3gpuE8ELNS1_3repE0EEENS1_30default_config_static_selectorELNS0_4arch9wavefront6targetE0EEEvT1_, .Lfunc_end1365-_ZN7rocprim17ROCPRIM_400000_NS6detail17trampoline_kernelINS0_14default_configENS1_27scan_by_key_config_selectorIisEEZZNS1_16scan_by_key_implILNS1_25lookback_scan_determinismE0ELb0ES3_N6thrust23THRUST_200600_302600_NS6detail15normal_iteratorINS9_10device_ptrIiEEEENSB_INSC_IsEEEESG_sNS9_4plusIvEENS9_8equal_toIvEEsEE10hipError_tPvRmT2_T3_T4_T5_mT6_T7_P12ihipStream_tbENKUlT_T0_E_clISt17integral_constantIbLb1EES11_EEDaSW_SX_EUlSW_E_NS1_11comp_targetILNS1_3genE4ELNS1_11target_archE910ELNS1_3gpuE8ELNS1_3repE0EEENS1_30default_config_static_selectorELNS0_4arch9wavefront6targetE0EEEvT1_
                                        ; -- End function
	.set _ZN7rocprim17ROCPRIM_400000_NS6detail17trampoline_kernelINS0_14default_configENS1_27scan_by_key_config_selectorIisEEZZNS1_16scan_by_key_implILNS1_25lookback_scan_determinismE0ELb0ES3_N6thrust23THRUST_200600_302600_NS6detail15normal_iteratorINS9_10device_ptrIiEEEENSB_INSC_IsEEEESG_sNS9_4plusIvEENS9_8equal_toIvEEsEE10hipError_tPvRmT2_T3_T4_T5_mT6_T7_P12ihipStream_tbENKUlT_T0_E_clISt17integral_constantIbLb1EES11_EEDaSW_SX_EUlSW_E_NS1_11comp_targetILNS1_3genE4ELNS1_11target_archE910ELNS1_3gpuE8ELNS1_3repE0EEENS1_30default_config_static_selectorELNS0_4arch9wavefront6targetE0EEEvT1_.num_vgpr, 0
	.set _ZN7rocprim17ROCPRIM_400000_NS6detail17trampoline_kernelINS0_14default_configENS1_27scan_by_key_config_selectorIisEEZZNS1_16scan_by_key_implILNS1_25lookback_scan_determinismE0ELb0ES3_N6thrust23THRUST_200600_302600_NS6detail15normal_iteratorINS9_10device_ptrIiEEEENSB_INSC_IsEEEESG_sNS9_4plusIvEENS9_8equal_toIvEEsEE10hipError_tPvRmT2_T3_T4_T5_mT6_T7_P12ihipStream_tbENKUlT_T0_E_clISt17integral_constantIbLb1EES11_EEDaSW_SX_EUlSW_E_NS1_11comp_targetILNS1_3genE4ELNS1_11target_archE910ELNS1_3gpuE8ELNS1_3repE0EEENS1_30default_config_static_selectorELNS0_4arch9wavefront6targetE0EEEvT1_.num_agpr, 0
	.set _ZN7rocprim17ROCPRIM_400000_NS6detail17trampoline_kernelINS0_14default_configENS1_27scan_by_key_config_selectorIisEEZZNS1_16scan_by_key_implILNS1_25lookback_scan_determinismE0ELb0ES3_N6thrust23THRUST_200600_302600_NS6detail15normal_iteratorINS9_10device_ptrIiEEEENSB_INSC_IsEEEESG_sNS9_4plusIvEENS9_8equal_toIvEEsEE10hipError_tPvRmT2_T3_T4_T5_mT6_T7_P12ihipStream_tbENKUlT_T0_E_clISt17integral_constantIbLb1EES11_EEDaSW_SX_EUlSW_E_NS1_11comp_targetILNS1_3genE4ELNS1_11target_archE910ELNS1_3gpuE8ELNS1_3repE0EEENS1_30default_config_static_selectorELNS0_4arch9wavefront6targetE0EEEvT1_.numbered_sgpr, 0
	.set _ZN7rocprim17ROCPRIM_400000_NS6detail17trampoline_kernelINS0_14default_configENS1_27scan_by_key_config_selectorIisEEZZNS1_16scan_by_key_implILNS1_25lookback_scan_determinismE0ELb0ES3_N6thrust23THRUST_200600_302600_NS6detail15normal_iteratorINS9_10device_ptrIiEEEENSB_INSC_IsEEEESG_sNS9_4plusIvEENS9_8equal_toIvEEsEE10hipError_tPvRmT2_T3_T4_T5_mT6_T7_P12ihipStream_tbENKUlT_T0_E_clISt17integral_constantIbLb1EES11_EEDaSW_SX_EUlSW_E_NS1_11comp_targetILNS1_3genE4ELNS1_11target_archE910ELNS1_3gpuE8ELNS1_3repE0EEENS1_30default_config_static_selectorELNS0_4arch9wavefront6targetE0EEEvT1_.num_named_barrier, 0
	.set _ZN7rocprim17ROCPRIM_400000_NS6detail17trampoline_kernelINS0_14default_configENS1_27scan_by_key_config_selectorIisEEZZNS1_16scan_by_key_implILNS1_25lookback_scan_determinismE0ELb0ES3_N6thrust23THRUST_200600_302600_NS6detail15normal_iteratorINS9_10device_ptrIiEEEENSB_INSC_IsEEEESG_sNS9_4plusIvEENS9_8equal_toIvEEsEE10hipError_tPvRmT2_T3_T4_T5_mT6_T7_P12ihipStream_tbENKUlT_T0_E_clISt17integral_constantIbLb1EES11_EEDaSW_SX_EUlSW_E_NS1_11comp_targetILNS1_3genE4ELNS1_11target_archE910ELNS1_3gpuE8ELNS1_3repE0EEENS1_30default_config_static_selectorELNS0_4arch9wavefront6targetE0EEEvT1_.private_seg_size, 0
	.set _ZN7rocprim17ROCPRIM_400000_NS6detail17trampoline_kernelINS0_14default_configENS1_27scan_by_key_config_selectorIisEEZZNS1_16scan_by_key_implILNS1_25lookback_scan_determinismE0ELb0ES3_N6thrust23THRUST_200600_302600_NS6detail15normal_iteratorINS9_10device_ptrIiEEEENSB_INSC_IsEEEESG_sNS9_4plusIvEENS9_8equal_toIvEEsEE10hipError_tPvRmT2_T3_T4_T5_mT6_T7_P12ihipStream_tbENKUlT_T0_E_clISt17integral_constantIbLb1EES11_EEDaSW_SX_EUlSW_E_NS1_11comp_targetILNS1_3genE4ELNS1_11target_archE910ELNS1_3gpuE8ELNS1_3repE0EEENS1_30default_config_static_selectorELNS0_4arch9wavefront6targetE0EEEvT1_.uses_vcc, 0
	.set _ZN7rocprim17ROCPRIM_400000_NS6detail17trampoline_kernelINS0_14default_configENS1_27scan_by_key_config_selectorIisEEZZNS1_16scan_by_key_implILNS1_25lookback_scan_determinismE0ELb0ES3_N6thrust23THRUST_200600_302600_NS6detail15normal_iteratorINS9_10device_ptrIiEEEENSB_INSC_IsEEEESG_sNS9_4plusIvEENS9_8equal_toIvEEsEE10hipError_tPvRmT2_T3_T4_T5_mT6_T7_P12ihipStream_tbENKUlT_T0_E_clISt17integral_constantIbLb1EES11_EEDaSW_SX_EUlSW_E_NS1_11comp_targetILNS1_3genE4ELNS1_11target_archE910ELNS1_3gpuE8ELNS1_3repE0EEENS1_30default_config_static_selectorELNS0_4arch9wavefront6targetE0EEEvT1_.uses_flat_scratch, 0
	.set _ZN7rocprim17ROCPRIM_400000_NS6detail17trampoline_kernelINS0_14default_configENS1_27scan_by_key_config_selectorIisEEZZNS1_16scan_by_key_implILNS1_25lookback_scan_determinismE0ELb0ES3_N6thrust23THRUST_200600_302600_NS6detail15normal_iteratorINS9_10device_ptrIiEEEENSB_INSC_IsEEEESG_sNS9_4plusIvEENS9_8equal_toIvEEsEE10hipError_tPvRmT2_T3_T4_T5_mT6_T7_P12ihipStream_tbENKUlT_T0_E_clISt17integral_constantIbLb1EES11_EEDaSW_SX_EUlSW_E_NS1_11comp_targetILNS1_3genE4ELNS1_11target_archE910ELNS1_3gpuE8ELNS1_3repE0EEENS1_30default_config_static_selectorELNS0_4arch9wavefront6targetE0EEEvT1_.has_dyn_sized_stack, 0
	.set _ZN7rocprim17ROCPRIM_400000_NS6detail17trampoline_kernelINS0_14default_configENS1_27scan_by_key_config_selectorIisEEZZNS1_16scan_by_key_implILNS1_25lookback_scan_determinismE0ELb0ES3_N6thrust23THRUST_200600_302600_NS6detail15normal_iteratorINS9_10device_ptrIiEEEENSB_INSC_IsEEEESG_sNS9_4plusIvEENS9_8equal_toIvEEsEE10hipError_tPvRmT2_T3_T4_T5_mT6_T7_P12ihipStream_tbENKUlT_T0_E_clISt17integral_constantIbLb1EES11_EEDaSW_SX_EUlSW_E_NS1_11comp_targetILNS1_3genE4ELNS1_11target_archE910ELNS1_3gpuE8ELNS1_3repE0EEENS1_30default_config_static_selectorELNS0_4arch9wavefront6targetE0EEEvT1_.has_recursion, 0
	.set _ZN7rocprim17ROCPRIM_400000_NS6detail17trampoline_kernelINS0_14default_configENS1_27scan_by_key_config_selectorIisEEZZNS1_16scan_by_key_implILNS1_25lookback_scan_determinismE0ELb0ES3_N6thrust23THRUST_200600_302600_NS6detail15normal_iteratorINS9_10device_ptrIiEEEENSB_INSC_IsEEEESG_sNS9_4plusIvEENS9_8equal_toIvEEsEE10hipError_tPvRmT2_T3_T4_T5_mT6_T7_P12ihipStream_tbENKUlT_T0_E_clISt17integral_constantIbLb1EES11_EEDaSW_SX_EUlSW_E_NS1_11comp_targetILNS1_3genE4ELNS1_11target_archE910ELNS1_3gpuE8ELNS1_3repE0EEENS1_30default_config_static_selectorELNS0_4arch9wavefront6targetE0EEEvT1_.has_indirect_call, 0
	.section	.AMDGPU.csdata,"",@progbits
; Kernel info:
; codeLenInByte = 0
; TotalNumSgprs: 0
; NumVgprs: 0
; ScratchSize: 0
; MemoryBound: 0
; FloatMode: 240
; IeeeMode: 1
; LDSByteSize: 0 bytes/workgroup (compile time only)
; SGPRBlocks: 0
; VGPRBlocks: 0
; NumSGPRsForWavesPerEU: 1
; NumVGPRsForWavesPerEU: 1
; NamedBarCnt: 0
; Occupancy: 16
; WaveLimiterHint : 0
; COMPUTE_PGM_RSRC2:SCRATCH_EN: 0
; COMPUTE_PGM_RSRC2:USER_SGPR: 2
; COMPUTE_PGM_RSRC2:TRAP_HANDLER: 0
; COMPUTE_PGM_RSRC2:TGID_X_EN: 1
; COMPUTE_PGM_RSRC2:TGID_Y_EN: 0
; COMPUTE_PGM_RSRC2:TGID_Z_EN: 0
; COMPUTE_PGM_RSRC2:TIDIG_COMP_CNT: 0
	.section	.text._ZN7rocprim17ROCPRIM_400000_NS6detail17trampoline_kernelINS0_14default_configENS1_27scan_by_key_config_selectorIisEEZZNS1_16scan_by_key_implILNS1_25lookback_scan_determinismE0ELb0ES3_N6thrust23THRUST_200600_302600_NS6detail15normal_iteratorINS9_10device_ptrIiEEEENSB_INSC_IsEEEESG_sNS9_4plusIvEENS9_8equal_toIvEEsEE10hipError_tPvRmT2_T3_T4_T5_mT6_T7_P12ihipStream_tbENKUlT_T0_E_clISt17integral_constantIbLb1EES11_EEDaSW_SX_EUlSW_E_NS1_11comp_targetILNS1_3genE3ELNS1_11target_archE908ELNS1_3gpuE7ELNS1_3repE0EEENS1_30default_config_static_selectorELNS0_4arch9wavefront6targetE0EEEvT1_,"axG",@progbits,_ZN7rocprim17ROCPRIM_400000_NS6detail17trampoline_kernelINS0_14default_configENS1_27scan_by_key_config_selectorIisEEZZNS1_16scan_by_key_implILNS1_25lookback_scan_determinismE0ELb0ES3_N6thrust23THRUST_200600_302600_NS6detail15normal_iteratorINS9_10device_ptrIiEEEENSB_INSC_IsEEEESG_sNS9_4plusIvEENS9_8equal_toIvEEsEE10hipError_tPvRmT2_T3_T4_T5_mT6_T7_P12ihipStream_tbENKUlT_T0_E_clISt17integral_constantIbLb1EES11_EEDaSW_SX_EUlSW_E_NS1_11comp_targetILNS1_3genE3ELNS1_11target_archE908ELNS1_3gpuE7ELNS1_3repE0EEENS1_30default_config_static_selectorELNS0_4arch9wavefront6targetE0EEEvT1_,comdat
	.protected	_ZN7rocprim17ROCPRIM_400000_NS6detail17trampoline_kernelINS0_14default_configENS1_27scan_by_key_config_selectorIisEEZZNS1_16scan_by_key_implILNS1_25lookback_scan_determinismE0ELb0ES3_N6thrust23THRUST_200600_302600_NS6detail15normal_iteratorINS9_10device_ptrIiEEEENSB_INSC_IsEEEESG_sNS9_4plusIvEENS9_8equal_toIvEEsEE10hipError_tPvRmT2_T3_T4_T5_mT6_T7_P12ihipStream_tbENKUlT_T0_E_clISt17integral_constantIbLb1EES11_EEDaSW_SX_EUlSW_E_NS1_11comp_targetILNS1_3genE3ELNS1_11target_archE908ELNS1_3gpuE7ELNS1_3repE0EEENS1_30default_config_static_selectorELNS0_4arch9wavefront6targetE0EEEvT1_ ; -- Begin function _ZN7rocprim17ROCPRIM_400000_NS6detail17trampoline_kernelINS0_14default_configENS1_27scan_by_key_config_selectorIisEEZZNS1_16scan_by_key_implILNS1_25lookback_scan_determinismE0ELb0ES3_N6thrust23THRUST_200600_302600_NS6detail15normal_iteratorINS9_10device_ptrIiEEEENSB_INSC_IsEEEESG_sNS9_4plusIvEENS9_8equal_toIvEEsEE10hipError_tPvRmT2_T3_T4_T5_mT6_T7_P12ihipStream_tbENKUlT_T0_E_clISt17integral_constantIbLb1EES11_EEDaSW_SX_EUlSW_E_NS1_11comp_targetILNS1_3genE3ELNS1_11target_archE908ELNS1_3gpuE7ELNS1_3repE0EEENS1_30default_config_static_selectorELNS0_4arch9wavefront6targetE0EEEvT1_
	.globl	_ZN7rocprim17ROCPRIM_400000_NS6detail17trampoline_kernelINS0_14default_configENS1_27scan_by_key_config_selectorIisEEZZNS1_16scan_by_key_implILNS1_25lookback_scan_determinismE0ELb0ES3_N6thrust23THRUST_200600_302600_NS6detail15normal_iteratorINS9_10device_ptrIiEEEENSB_INSC_IsEEEESG_sNS9_4plusIvEENS9_8equal_toIvEEsEE10hipError_tPvRmT2_T3_T4_T5_mT6_T7_P12ihipStream_tbENKUlT_T0_E_clISt17integral_constantIbLb1EES11_EEDaSW_SX_EUlSW_E_NS1_11comp_targetILNS1_3genE3ELNS1_11target_archE908ELNS1_3gpuE7ELNS1_3repE0EEENS1_30default_config_static_selectorELNS0_4arch9wavefront6targetE0EEEvT1_
	.p2align	8
	.type	_ZN7rocprim17ROCPRIM_400000_NS6detail17trampoline_kernelINS0_14default_configENS1_27scan_by_key_config_selectorIisEEZZNS1_16scan_by_key_implILNS1_25lookback_scan_determinismE0ELb0ES3_N6thrust23THRUST_200600_302600_NS6detail15normal_iteratorINS9_10device_ptrIiEEEENSB_INSC_IsEEEESG_sNS9_4plusIvEENS9_8equal_toIvEEsEE10hipError_tPvRmT2_T3_T4_T5_mT6_T7_P12ihipStream_tbENKUlT_T0_E_clISt17integral_constantIbLb1EES11_EEDaSW_SX_EUlSW_E_NS1_11comp_targetILNS1_3genE3ELNS1_11target_archE908ELNS1_3gpuE7ELNS1_3repE0EEENS1_30default_config_static_selectorELNS0_4arch9wavefront6targetE0EEEvT1_,@function
_ZN7rocprim17ROCPRIM_400000_NS6detail17trampoline_kernelINS0_14default_configENS1_27scan_by_key_config_selectorIisEEZZNS1_16scan_by_key_implILNS1_25lookback_scan_determinismE0ELb0ES3_N6thrust23THRUST_200600_302600_NS6detail15normal_iteratorINS9_10device_ptrIiEEEENSB_INSC_IsEEEESG_sNS9_4plusIvEENS9_8equal_toIvEEsEE10hipError_tPvRmT2_T3_T4_T5_mT6_T7_P12ihipStream_tbENKUlT_T0_E_clISt17integral_constantIbLb1EES11_EEDaSW_SX_EUlSW_E_NS1_11comp_targetILNS1_3genE3ELNS1_11target_archE908ELNS1_3gpuE7ELNS1_3repE0EEENS1_30default_config_static_selectorELNS0_4arch9wavefront6targetE0EEEvT1_: ; @_ZN7rocprim17ROCPRIM_400000_NS6detail17trampoline_kernelINS0_14default_configENS1_27scan_by_key_config_selectorIisEEZZNS1_16scan_by_key_implILNS1_25lookback_scan_determinismE0ELb0ES3_N6thrust23THRUST_200600_302600_NS6detail15normal_iteratorINS9_10device_ptrIiEEEENSB_INSC_IsEEEESG_sNS9_4plusIvEENS9_8equal_toIvEEsEE10hipError_tPvRmT2_T3_T4_T5_mT6_T7_P12ihipStream_tbENKUlT_T0_E_clISt17integral_constantIbLb1EES11_EEDaSW_SX_EUlSW_E_NS1_11comp_targetILNS1_3genE3ELNS1_11target_archE908ELNS1_3gpuE7ELNS1_3repE0EEENS1_30default_config_static_selectorELNS0_4arch9wavefront6targetE0EEEvT1_
; %bb.0:
	.section	.rodata,"a",@progbits
	.p2align	6, 0x0
	.amdhsa_kernel _ZN7rocprim17ROCPRIM_400000_NS6detail17trampoline_kernelINS0_14default_configENS1_27scan_by_key_config_selectorIisEEZZNS1_16scan_by_key_implILNS1_25lookback_scan_determinismE0ELb0ES3_N6thrust23THRUST_200600_302600_NS6detail15normal_iteratorINS9_10device_ptrIiEEEENSB_INSC_IsEEEESG_sNS9_4plusIvEENS9_8equal_toIvEEsEE10hipError_tPvRmT2_T3_T4_T5_mT6_T7_P12ihipStream_tbENKUlT_T0_E_clISt17integral_constantIbLb1EES11_EEDaSW_SX_EUlSW_E_NS1_11comp_targetILNS1_3genE3ELNS1_11target_archE908ELNS1_3gpuE7ELNS1_3repE0EEENS1_30default_config_static_selectorELNS0_4arch9wavefront6targetE0EEEvT1_
		.amdhsa_group_segment_fixed_size 0
		.amdhsa_private_segment_fixed_size 0
		.amdhsa_kernarg_size 112
		.amdhsa_user_sgpr_count 2
		.amdhsa_user_sgpr_dispatch_ptr 0
		.amdhsa_user_sgpr_queue_ptr 0
		.amdhsa_user_sgpr_kernarg_segment_ptr 1
		.amdhsa_user_sgpr_dispatch_id 0
		.amdhsa_user_sgpr_kernarg_preload_length 0
		.amdhsa_user_sgpr_kernarg_preload_offset 0
		.amdhsa_user_sgpr_private_segment_size 0
		.amdhsa_wavefront_size32 1
		.amdhsa_uses_dynamic_stack 0
		.amdhsa_enable_private_segment 0
		.amdhsa_system_sgpr_workgroup_id_x 1
		.amdhsa_system_sgpr_workgroup_id_y 0
		.amdhsa_system_sgpr_workgroup_id_z 0
		.amdhsa_system_sgpr_workgroup_info 0
		.amdhsa_system_vgpr_workitem_id 0
		.amdhsa_next_free_vgpr 1
		.amdhsa_next_free_sgpr 1
		.amdhsa_named_barrier_count 0
		.amdhsa_reserve_vcc 0
		.amdhsa_float_round_mode_32 0
		.amdhsa_float_round_mode_16_64 0
		.amdhsa_float_denorm_mode_32 3
		.amdhsa_float_denorm_mode_16_64 3
		.amdhsa_fp16_overflow 0
		.amdhsa_memory_ordered 1
		.amdhsa_forward_progress 1
		.amdhsa_inst_pref_size 0
		.amdhsa_round_robin_scheduling 0
		.amdhsa_exception_fp_ieee_invalid_op 0
		.amdhsa_exception_fp_denorm_src 0
		.amdhsa_exception_fp_ieee_div_zero 0
		.amdhsa_exception_fp_ieee_overflow 0
		.amdhsa_exception_fp_ieee_underflow 0
		.amdhsa_exception_fp_ieee_inexact 0
		.amdhsa_exception_int_div_zero 0
	.end_amdhsa_kernel
	.section	.text._ZN7rocprim17ROCPRIM_400000_NS6detail17trampoline_kernelINS0_14default_configENS1_27scan_by_key_config_selectorIisEEZZNS1_16scan_by_key_implILNS1_25lookback_scan_determinismE0ELb0ES3_N6thrust23THRUST_200600_302600_NS6detail15normal_iteratorINS9_10device_ptrIiEEEENSB_INSC_IsEEEESG_sNS9_4plusIvEENS9_8equal_toIvEEsEE10hipError_tPvRmT2_T3_T4_T5_mT6_T7_P12ihipStream_tbENKUlT_T0_E_clISt17integral_constantIbLb1EES11_EEDaSW_SX_EUlSW_E_NS1_11comp_targetILNS1_3genE3ELNS1_11target_archE908ELNS1_3gpuE7ELNS1_3repE0EEENS1_30default_config_static_selectorELNS0_4arch9wavefront6targetE0EEEvT1_,"axG",@progbits,_ZN7rocprim17ROCPRIM_400000_NS6detail17trampoline_kernelINS0_14default_configENS1_27scan_by_key_config_selectorIisEEZZNS1_16scan_by_key_implILNS1_25lookback_scan_determinismE0ELb0ES3_N6thrust23THRUST_200600_302600_NS6detail15normal_iteratorINS9_10device_ptrIiEEEENSB_INSC_IsEEEESG_sNS9_4plusIvEENS9_8equal_toIvEEsEE10hipError_tPvRmT2_T3_T4_T5_mT6_T7_P12ihipStream_tbENKUlT_T0_E_clISt17integral_constantIbLb1EES11_EEDaSW_SX_EUlSW_E_NS1_11comp_targetILNS1_3genE3ELNS1_11target_archE908ELNS1_3gpuE7ELNS1_3repE0EEENS1_30default_config_static_selectorELNS0_4arch9wavefront6targetE0EEEvT1_,comdat
.Lfunc_end1366:
	.size	_ZN7rocprim17ROCPRIM_400000_NS6detail17trampoline_kernelINS0_14default_configENS1_27scan_by_key_config_selectorIisEEZZNS1_16scan_by_key_implILNS1_25lookback_scan_determinismE0ELb0ES3_N6thrust23THRUST_200600_302600_NS6detail15normal_iteratorINS9_10device_ptrIiEEEENSB_INSC_IsEEEESG_sNS9_4plusIvEENS9_8equal_toIvEEsEE10hipError_tPvRmT2_T3_T4_T5_mT6_T7_P12ihipStream_tbENKUlT_T0_E_clISt17integral_constantIbLb1EES11_EEDaSW_SX_EUlSW_E_NS1_11comp_targetILNS1_3genE3ELNS1_11target_archE908ELNS1_3gpuE7ELNS1_3repE0EEENS1_30default_config_static_selectorELNS0_4arch9wavefront6targetE0EEEvT1_, .Lfunc_end1366-_ZN7rocprim17ROCPRIM_400000_NS6detail17trampoline_kernelINS0_14default_configENS1_27scan_by_key_config_selectorIisEEZZNS1_16scan_by_key_implILNS1_25lookback_scan_determinismE0ELb0ES3_N6thrust23THRUST_200600_302600_NS6detail15normal_iteratorINS9_10device_ptrIiEEEENSB_INSC_IsEEEESG_sNS9_4plusIvEENS9_8equal_toIvEEsEE10hipError_tPvRmT2_T3_T4_T5_mT6_T7_P12ihipStream_tbENKUlT_T0_E_clISt17integral_constantIbLb1EES11_EEDaSW_SX_EUlSW_E_NS1_11comp_targetILNS1_3genE3ELNS1_11target_archE908ELNS1_3gpuE7ELNS1_3repE0EEENS1_30default_config_static_selectorELNS0_4arch9wavefront6targetE0EEEvT1_
                                        ; -- End function
	.set _ZN7rocprim17ROCPRIM_400000_NS6detail17trampoline_kernelINS0_14default_configENS1_27scan_by_key_config_selectorIisEEZZNS1_16scan_by_key_implILNS1_25lookback_scan_determinismE0ELb0ES3_N6thrust23THRUST_200600_302600_NS6detail15normal_iteratorINS9_10device_ptrIiEEEENSB_INSC_IsEEEESG_sNS9_4plusIvEENS9_8equal_toIvEEsEE10hipError_tPvRmT2_T3_T4_T5_mT6_T7_P12ihipStream_tbENKUlT_T0_E_clISt17integral_constantIbLb1EES11_EEDaSW_SX_EUlSW_E_NS1_11comp_targetILNS1_3genE3ELNS1_11target_archE908ELNS1_3gpuE7ELNS1_3repE0EEENS1_30default_config_static_selectorELNS0_4arch9wavefront6targetE0EEEvT1_.num_vgpr, 0
	.set _ZN7rocprim17ROCPRIM_400000_NS6detail17trampoline_kernelINS0_14default_configENS1_27scan_by_key_config_selectorIisEEZZNS1_16scan_by_key_implILNS1_25lookback_scan_determinismE0ELb0ES3_N6thrust23THRUST_200600_302600_NS6detail15normal_iteratorINS9_10device_ptrIiEEEENSB_INSC_IsEEEESG_sNS9_4plusIvEENS9_8equal_toIvEEsEE10hipError_tPvRmT2_T3_T4_T5_mT6_T7_P12ihipStream_tbENKUlT_T0_E_clISt17integral_constantIbLb1EES11_EEDaSW_SX_EUlSW_E_NS1_11comp_targetILNS1_3genE3ELNS1_11target_archE908ELNS1_3gpuE7ELNS1_3repE0EEENS1_30default_config_static_selectorELNS0_4arch9wavefront6targetE0EEEvT1_.num_agpr, 0
	.set _ZN7rocprim17ROCPRIM_400000_NS6detail17trampoline_kernelINS0_14default_configENS1_27scan_by_key_config_selectorIisEEZZNS1_16scan_by_key_implILNS1_25lookback_scan_determinismE0ELb0ES3_N6thrust23THRUST_200600_302600_NS6detail15normal_iteratorINS9_10device_ptrIiEEEENSB_INSC_IsEEEESG_sNS9_4plusIvEENS9_8equal_toIvEEsEE10hipError_tPvRmT2_T3_T4_T5_mT6_T7_P12ihipStream_tbENKUlT_T0_E_clISt17integral_constantIbLb1EES11_EEDaSW_SX_EUlSW_E_NS1_11comp_targetILNS1_3genE3ELNS1_11target_archE908ELNS1_3gpuE7ELNS1_3repE0EEENS1_30default_config_static_selectorELNS0_4arch9wavefront6targetE0EEEvT1_.numbered_sgpr, 0
	.set _ZN7rocprim17ROCPRIM_400000_NS6detail17trampoline_kernelINS0_14default_configENS1_27scan_by_key_config_selectorIisEEZZNS1_16scan_by_key_implILNS1_25lookback_scan_determinismE0ELb0ES3_N6thrust23THRUST_200600_302600_NS6detail15normal_iteratorINS9_10device_ptrIiEEEENSB_INSC_IsEEEESG_sNS9_4plusIvEENS9_8equal_toIvEEsEE10hipError_tPvRmT2_T3_T4_T5_mT6_T7_P12ihipStream_tbENKUlT_T0_E_clISt17integral_constantIbLb1EES11_EEDaSW_SX_EUlSW_E_NS1_11comp_targetILNS1_3genE3ELNS1_11target_archE908ELNS1_3gpuE7ELNS1_3repE0EEENS1_30default_config_static_selectorELNS0_4arch9wavefront6targetE0EEEvT1_.num_named_barrier, 0
	.set _ZN7rocprim17ROCPRIM_400000_NS6detail17trampoline_kernelINS0_14default_configENS1_27scan_by_key_config_selectorIisEEZZNS1_16scan_by_key_implILNS1_25lookback_scan_determinismE0ELb0ES3_N6thrust23THRUST_200600_302600_NS6detail15normal_iteratorINS9_10device_ptrIiEEEENSB_INSC_IsEEEESG_sNS9_4plusIvEENS9_8equal_toIvEEsEE10hipError_tPvRmT2_T3_T4_T5_mT6_T7_P12ihipStream_tbENKUlT_T0_E_clISt17integral_constantIbLb1EES11_EEDaSW_SX_EUlSW_E_NS1_11comp_targetILNS1_3genE3ELNS1_11target_archE908ELNS1_3gpuE7ELNS1_3repE0EEENS1_30default_config_static_selectorELNS0_4arch9wavefront6targetE0EEEvT1_.private_seg_size, 0
	.set _ZN7rocprim17ROCPRIM_400000_NS6detail17trampoline_kernelINS0_14default_configENS1_27scan_by_key_config_selectorIisEEZZNS1_16scan_by_key_implILNS1_25lookback_scan_determinismE0ELb0ES3_N6thrust23THRUST_200600_302600_NS6detail15normal_iteratorINS9_10device_ptrIiEEEENSB_INSC_IsEEEESG_sNS9_4plusIvEENS9_8equal_toIvEEsEE10hipError_tPvRmT2_T3_T4_T5_mT6_T7_P12ihipStream_tbENKUlT_T0_E_clISt17integral_constantIbLb1EES11_EEDaSW_SX_EUlSW_E_NS1_11comp_targetILNS1_3genE3ELNS1_11target_archE908ELNS1_3gpuE7ELNS1_3repE0EEENS1_30default_config_static_selectorELNS0_4arch9wavefront6targetE0EEEvT1_.uses_vcc, 0
	.set _ZN7rocprim17ROCPRIM_400000_NS6detail17trampoline_kernelINS0_14default_configENS1_27scan_by_key_config_selectorIisEEZZNS1_16scan_by_key_implILNS1_25lookback_scan_determinismE0ELb0ES3_N6thrust23THRUST_200600_302600_NS6detail15normal_iteratorINS9_10device_ptrIiEEEENSB_INSC_IsEEEESG_sNS9_4plusIvEENS9_8equal_toIvEEsEE10hipError_tPvRmT2_T3_T4_T5_mT6_T7_P12ihipStream_tbENKUlT_T0_E_clISt17integral_constantIbLb1EES11_EEDaSW_SX_EUlSW_E_NS1_11comp_targetILNS1_3genE3ELNS1_11target_archE908ELNS1_3gpuE7ELNS1_3repE0EEENS1_30default_config_static_selectorELNS0_4arch9wavefront6targetE0EEEvT1_.uses_flat_scratch, 0
	.set _ZN7rocprim17ROCPRIM_400000_NS6detail17trampoline_kernelINS0_14default_configENS1_27scan_by_key_config_selectorIisEEZZNS1_16scan_by_key_implILNS1_25lookback_scan_determinismE0ELb0ES3_N6thrust23THRUST_200600_302600_NS6detail15normal_iteratorINS9_10device_ptrIiEEEENSB_INSC_IsEEEESG_sNS9_4plusIvEENS9_8equal_toIvEEsEE10hipError_tPvRmT2_T3_T4_T5_mT6_T7_P12ihipStream_tbENKUlT_T0_E_clISt17integral_constantIbLb1EES11_EEDaSW_SX_EUlSW_E_NS1_11comp_targetILNS1_3genE3ELNS1_11target_archE908ELNS1_3gpuE7ELNS1_3repE0EEENS1_30default_config_static_selectorELNS0_4arch9wavefront6targetE0EEEvT1_.has_dyn_sized_stack, 0
	.set _ZN7rocprim17ROCPRIM_400000_NS6detail17trampoline_kernelINS0_14default_configENS1_27scan_by_key_config_selectorIisEEZZNS1_16scan_by_key_implILNS1_25lookback_scan_determinismE0ELb0ES3_N6thrust23THRUST_200600_302600_NS6detail15normal_iteratorINS9_10device_ptrIiEEEENSB_INSC_IsEEEESG_sNS9_4plusIvEENS9_8equal_toIvEEsEE10hipError_tPvRmT2_T3_T4_T5_mT6_T7_P12ihipStream_tbENKUlT_T0_E_clISt17integral_constantIbLb1EES11_EEDaSW_SX_EUlSW_E_NS1_11comp_targetILNS1_3genE3ELNS1_11target_archE908ELNS1_3gpuE7ELNS1_3repE0EEENS1_30default_config_static_selectorELNS0_4arch9wavefront6targetE0EEEvT1_.has_recursion, 0
	.set _ZN7rocprim17ROCPRIM_400000_NS6detail17trampoline_kernelINS0_14default_configENS1_27scan_by_key_config_selectorIisEEZZNS1_16scan_by_key_implILNS1_25lookback_scan_determinismE0ELb0ES3_N6thrust23THRUST_200600_302600_NS6detail15normal_iteratorINS9_10device_ptrIiEEEENSB_INSC_IsEEEESG_sNS9_4plusIvEENS9_8equal_toIvEEsEE10hipError_tPvRmT2_T3_T4_T5_mT6_T7_P12ihipStream_tbENKUlT_T0_E_clISt17integral_constantIbLb1EES11_EEDaSW_SX_EUlSW_E_NS1_11comp_targetILNS1_3genE3ELNS1_11target_archE908ELNS1_3gpuE7ELNS1_3repE0EEENS1_30default_config_static_selectorELNS0_4arch9wavefront6targetE0EEEvT1_.has_indirect_call, 0
	.section	.AMDGPU.csdata,"",@progbits
; Kernel info:
; codeLenInByte = 0
; TotalNumSgprs: 0
; NumVgprs: 0
; ScratchSize: 0
; MemoryBound: 0
; FloatMode: 240
; IeeeMode: 1
; LDSByteSize: 0 bytes/workgroup (compile time only)
; SGPRBlocks: 0
; VGPRBlocks: 0
; NumSGPRsForWavesPerEU: 1
; NumVGPRsForWavesPerEU: 1
; NamedBarCnt: 0
; Occupancy: 16
; WaveLimiterHint : 0
; COMPUTE_PGM_RSRC2:SCRATCH_EN: 0
; COMPUTE_PGM_RSRC2:USER_SGPR: 2
; COMPUTE_PGM_RSRC2:TRAP_HANDLER: 0
; COMPUTE_PGM_RSRC2:TGID_X_EN: 1
; COMPUTE_PGM_RSRC2:TGID_Y_EN: 0
; COMPUTE_PGM_RSRC2:TGID_Z_EN: 0
; COMPUTE_PGM_RSRC2:TIDIG_COMP_CNT: 0
	.section	.text._ZN7rocprim17ROCPRIM_400000_NS6detail17trampoline_kernelINS0_14default_configENS1_27scan_by_key_config_selectorIisEEZZNS1_16scan_by_key_implILNS1_25lookback_scan_determinismE0ELb0ES3_N6thrust23THRUST_200600_302600_NS6detail15normal_iteratorINS9_10device_ptrIiEEEENSB_INSC_IsEEEESG_sNS9_4plusIvEENS9_8equal_toIvEEsEE10hipError_tPvRmT2_T3_T4_T5_mT6_T7_P12ihipStream_tbENKUlT_T0_E_clISt17integral_constantIbLb1EES11_EEDaSW_SX_EUlSW_E_NS1_11comp_targetILNS1_3genE2ELNS1_11target_archE906ELNS1_3gpuE6ELNS1_3repE0EEENS1_30default_config_static_selectorELNS0_4arch9wavefront6targetE0EEEvT1_,"axG",@progbits,_ZN7rocprim17ROCPRIM_400000_NS6detail17trampoline_kernelINS0_14default_configENS1_27scan_by_key_config_selectorIisEEZZNS1_16scan_by_key_implILNS1_25lookback_scan_determinismE0ELb0ES3_N6thrust23THRUST_200600_302600_NS6detail15normal_iteratorINS9_10device_ptrIiEEEENSB_INSC_IsEEEESG_sNS9_4plusIvEENS9_8equal_toIvEEsEE10hipError_tPvRmT2_T3_T4_T5_mT6_T7_P12ihipStream_tbENKUlT_T0_E_clISt17integral_constantIbLb1EES11_EEDaSW_SX_EUlSW_E_NS1_11comp_targetILNS1_3genE2ELNS1_11target_archE906ELNS1_3gpuE6ELNS1_3repE0EEENS1_30default_config_static_selectorELNS0_4arch9wavefront6targetE0EEEvT1_,comdat
	.protected	_ZN7rocprim17ROCPRIM_400000_NS6detail17trampoline_kernelINS0_14default_configENS1_27scan_by_key_config_selectorIisEEZZNS1_16scan_by_key_implILNS1_25lookback_scan_determinismE0ELb0ES3_N6thrust23THRUST_200600_302600_NS6detail15normal_iteratorINS9_10device_ptrIiEEEENSB_INSC_IsEEEESG_sNS9_4plusIvEENS9_8equal_toIvEEsEE10hipError_tPvRmT2_T3_T4_T5_mT6_T7_P12ihipStream_tbENKUlT_T0_E_clISt17integral_constantIbLb1EES11_EEDaSW_SX_EUlSW_E_NS1_11comp_targetILNS1_3genE2ELNS1_11target_archE906ELNS1_3gpuE6ELNS1_3repE0EEENS1_30default_config_static_selectorELNS0_4arch9wavefront6targetE0EEEvT1_ ; -- Begin function _ZN7rocprim17ROCPRIM_400000_NS6detail17trampoline_kernelINS0_14default_configENS1_27scan_by_key_config_selectorIisEEZZNS1_16scan_by_key_implILNS1_25lookback_scan_determinismE0ELb0ES3_N6thrust23THRUST_200600_302600_NS6detail15normal_iteratorINS9_10device_ptrIiEEEENSB_INSC_IsEEEESG_sNS9_4plusIvEENS9_8equal_toIvEEsEE10hipError_tPvRmT2_T3_T4_T5_mT6_T7_P12ihipStream_tbENKUlT_T0_E_clISt17integral_constantIbLb1EES11_EEDaSW_SX_EUlSW_E_NS1_11comp_targetILNS1_3genE2ELNS1_11target_archE906ELNS1_3gpuE6ELNS1_3repE0EEENS1_30default_config_static_selectorELNS0_4arch9wavefront6targetE0EEEvT1_
	.globl	_ZN7rocprim17ROCPRIM_400000_NS6detail17trampoline_kernelINS0_14default_configENS1_27scan_by_key_config_selectorIisEEZZNS1_16scan_by_key_implILNS1_25lookback_scan_determinismE0ELb0ES3_N6thrust23THRUST_200600_302600_NS6detail15normal_iteratorINS9_10device_ptrIiEEEENSB_INSC_IsEEEESG_sNS9_4plusIvEENS9_8equal_toIvEEsEE10hipError_tPvRmT2_T3_T4_T5_mT6_T7_P12ihipStream_tbENKUlT_T0_E_clISt17integral_constantIbLb1EES11_EEDaSW_SX_EUlSW_E_NS1_11comp_targetILNS1_3genE2ELNS1_11target_archE906ELNS1_3gpuE6ELNS1_3repE0EEENS1_30default_config_static_selectorELNS0_4arch9wavefront6targetE0EEEvT1_
	.p2align	8
	.type	_ZN7rocprim17ROCPRIM_400000_NS6detail17trampoline_kernelINS0_14default_configENS1_27scan_by_key_config_selectorIisEEZZNS1_16scan_by_key_implILNS1_25lookback_scan_determinismE0ELb0ES3_N6thrust23THRUST_200600_302600_NS6detail15normal_iteratorINS9_10device_ptrIiEEEENSB_INSC_IsEEEESG_sNS9_4plusIvEENS9_8equal_toIvEEsEE10hipError_tPvRmT2_T3_T4_T5_mT6_T7_P12ihipStream_tbENKUlT_T0_E_clISt17integral_constantIbLb1EES11_EEDaSW_SX_EUlSW_E_NS1_11comp_targetILNS1_3genE2ELNS1_11target_archE906ELNS1_3gpuE6ELNS1_3repE0EEENS1_30default_config_static_selectorELNS0_4arch9wavefront6targetE0EEEvT1_,@function
_ZN7rocprim17ROCPRIM_400000_NS6detail17trampoline_kernelINS0_14default_configENS1_27scan_by_key_config_selectorIisEEZZNS1_16scan_by_key_implILNS1_25lookback_scan_determinismE0ELb0ES3_N6thrust23THRUST_200600_302600_NS6detail15normal_iteratorINS9_10device_ptrIiEEEENSB_INSC_IsEEEESG_sNS9_4plusIvEENS9_8equal_toIvEEsEE10hipError_tPvRmT2_T3_T4_T5_mT6_T7_P12ihipStream_tbENKUlT_T0_E_clISt17integral_constantIbLb1EES11_EEDaSW_SX_EUlSW_E_NS1_11comp_targetILNS1_3genE2ELNS1_11target_archE906ELNS1_3gpuE6ELNS1_3repE0EEENS1_30default_config_static_selectorELNS0_4arch9wavefront6targetE0EEEvT1_: ; @_ZN7rocprim17ROCPRIM_400000_NS6detail17trampoline_kernelINS0_14default_configENS1_27scan_by_key_config_selectorIisEEZZNS1_16scan_by_key_implILNS1_25lookback_scan_determinismE0ELb0ES3_N6thrust23THRUST_200600_302600_NS6detail15normal_iteratorINS9_10device_ptrIiEEEENSB_INSC_IsEEEESG_sNS9_4plusIvEENS9_8equal_toIvEEsEE10hipError_tPvRmT2_T3_T4_T5_mT6_T7_P12ihipStream_tbENKUlT_T0_E_clISt17integral_constantIbLb1EES11_EEDaSW_SX_EUlSW_E_NS1_11comp_targetILNS1_3genE2ELNS1_11target_archE906ELNS1_3gpuE6ELNS1_3repE0EEENS1_30default_config_static_selectorELNS0_4arch9wavefront6targetE0EEEvT1_
; %bb.0:
	.section	.rodata,"a",@progbits
	.p2align	6, 0x0
	.amdhsa_kernel _ZN7rocprim17ROCPRIM_400000_NS6detail17trampoline_kernelINS0_14default_configENS1_27scan_by_key_config_selectorIisEEZZNS1_16scan_by_key_implILNS1_25lookback_scan_determinismE0ELb0ES3_N6thrust23THRUST_200600_302600_NS6detail15normal_iteratorINS9_10device_ptrIiEEEENSB_INSC_IsEEEESG_sNS9_4plusIvEENS9_8equal_toIvEEsEE10hipError_tPvRmT2_T3_T4_T5_mT6_T7_P12ihipStream_tbENKUlT_T0_E_clISt17integral_constantIbLb1EES11_EEDaSW_SX_EUlSW_E_NS1_11comp_targetILNS1_3genE2ELNS1_11target_archE906ELNS1_3gpuE6ELNS1_3repE0EEENS1_30default_config_static_selectorELNS0_4arch9wavefront6targetE0EEEvT1_
		.amdhsa_group_segment_fixed_size 0
		.amdhsa_private_segment_fixed_size 0
		.amdhsa_kernarg_size 112
		.amdhsa_user_sgpr_count 2
		.amdhsa_user_sgpr_dispatch_ptr 0
		.amdhsa_user_sgpr_queue_ptr 0
		.amdhsa_user_sgpr_kernarg_segment_ptr 1
		.amdhsa_user_sgpr_dispatch_id 0
		.amdhsa_user_sgpr_kernarg_preload_length 0
		.amdhsa_user_sgpr_kernarg_preload_offset 0
		.amdhsa_user_sgpr_private_segment_size 0
		.amdhsa_wavefront_size32 1
		.amdhsa_uses_dynamic_stack 0
		.amdhsa_enable_private_segment 0
		.amdhsa_system_sgpr_workgroup_id_x 1
		.amdhsa_system_sgpr_workgroup_id_y 0
		.amdhsa_system_sgpr_workgroup_id_z 0
		.amdhsa_system_sgpr_workgroup_info 0
		.amdhsa_system_vgpr_workitem_id 0
		.amdhsa_next_free_vgpr 1
		.amdhsa_next_free_sgpr 1
		.amdhsa_named_barrier_count 0
		.amdhsa_reserve_vcc 0
		.amdhsa_float_round_mode_32 0
		.amdhsa_float_round_mode_16_64 0
		.amdhsa_float_denorm_mode_32 3
		.amdhsa_float_denorm_mode_16_64 3
		.amdhsa_fp16_overflow 0
		.amdhsa_memory_ordered 1
		.amdhsa_forward_progress 1
		.amdhsa_inst_pref_size 0
		.amdhsa_round_robin_scheduling 0
		.amdhsa_exception_fp_ieee_invalid_op 0
		.amdhsa_exception_fp_denorm_src 0
		.amdhsa_exception_fp_ieee_div_zero 0
		.amdhsa_exception_fp_ieee_overflow 0
		.amdhsa_exception_fp_ieee_underflow 0
		.amdhsa_exception_fp_ieee_inexact 0
		.amdhsa_exception_int_div_zero 0
	.end_amdhsa_kernel
	.section	.text._ZN7rocprim17ROCPRIM_400000_NS6detail17trampoline_kernelINS0_14default_configENS1_27scan_by_key_config_selectorIisEEZZNS1_16scan_by_key_implILNS1_25lookback_scan_determinismE0ELb0ES3_N6thrust23THRUST_200600_302600_NS6detail15normal_iteratorINS9_10device_ptrIiEEEENSB_INSC_IsEEEESG_sNS9_4plusIvEENS9_8equal_toIvEEsEE10hipError_tPvRmT2_T3_T4_T5_mT6_T7_P12ihipStream_tbENKUlT_T0_E_clISt17integral_constantIbLb1EES11_EEDaSW_SX_EUlSW_E_NS1_11comp_targetILNS1_3genE2ELNS1_11target_archE906ELNS1_3gpuE6ELNS1_3repE0EEENS1_30default_config_static_selectorELNS0_4arch9wavefront6targetE0EEEvT1_,"axG",@progbits,_ZN7rocprim17ROCPRIM_400000_NS6detail17trampoline_kernelINS0_14default_configENS1_27scan_by_key_config_selectorIisEEZZNS1_16scan_by_key_implILNS1_25lookback_scan_determinismE0ELb0ES3_N6thrust23THRUST_200600_302600_NS6detail15normal_iteratorINS9_10device_ptrIiEEEENSB_INSC_IsEEEESG_sNS9_4plusIvEENS9_8equal_toIvEEsEE10hipError_tPvRmT2_T3_T4_T5_mT6_T7_P12ihipStream_tbENKUlT_T0_E_clISt17integral_constantIbLb1EES11_EEDaSW_SX_EUlSW_E_NS1_11comp_targetILNS1_3genE2ELNS1_11target_archE906ELNS1_3gpuE6ELNS1_3repE0EEENS1_30default_config_static_selectorELNS0_4arch9wavefront6targetE0EEEvT1_,comdat
.Lfunc_end1367:
	.size	_ZN7rocprim17ROCPRIM_400000_NS6detail17trampoline_kernelINS0_14default_configENS1_27scan_by_key_config_selectorIisEEZZNS1_16scan_by_key_implILNS1_25lookback_scan_determinismE0ELb0ES3_N6thrust23THRUST_200600_302600_NS6detail15normal_iteratorINS9_10device_ptrIiEEEENSB_INSC_IsEEEESG_sNS9_4plusIvEENS9_8equal_toIvEEsEE10hipError_tPvRmT2_T3_T4_T5_mT6_T7_P12ihipStream_tbENKUlT_T0_E_clISt17integral_constantIbLb1EES11_EEDaSW_SX_EUlSW_E_NS1_11comp_targetILNS1_3genE2ELNS1_11target_archE906ELNS1_3gpuE6ELNS1_3repE0EEENS1_30default_config_static_selectorELNS0_4arch9wavefront6targetE0EEEvT1_, .Lfunc_end1367-_ZN7rocprim17ROCPRIM_400000_NS6detail17trampoline_kernelINS0_14default_configENS1_27scan_by_key_config_selectorIisEEZZNS1_16scan_by_key_implILNS1_25lookback_scan_determinismE0ELb0ES3_N6thrust23THRUST_200600_302600_NS6detail15normal_iteratorINS9_10device_ptrIiEEEENSB_INSC_IsEEEESG_sNS9_4plusIvEENS9_8equal_toIvEEsEE10hipError_tPvRmT2_T3_T4_T5_mT6_T7_P12ihipStream_tbENKUlT_T0_E_clISt17integral_constantIbLb1EES11_EEDaSW_SX_EUlSW_E_NS1_11comp_targetILNS1_3genE2ELNS1_11target_archE906ELNS1_3gpuE6ELNS1_3repE0EEENS1_30default_config_static_selectorELNS0_4arch9wavefront6targetE0EEEvT1_
                                        ; -- End function
	.set _ZN7rocprim17ROCPRIM_400000_NS6detail17trampoline_kernelINS0_14default_configENS1_27scan_by_key_config_selectorIisEEZZNS1_16scan_by_key_implILNS1_25lookback_scan_determinismE0ELb0ES3_N6thrust23THRUST_200600_302600_NS6detail15normal_iteratorINS9_10device_ptrIiEEEENSB_INSC_IsEEEESG_sNS9_4plusIvEENS9_8equal_toIvEEsEE10hipError_tPvRmT2_T3_T4_T5_mT6_T7_P12ihipStream_tbENKUlT_T0_E_clISt17integral_constantIbLb1EES11_EEDaSW_SX_EUlSW_E_NS1_11comp_targetILNS1_3genE2ELNS1_11target_archE906ELNS1_3gpuE6ELNS1_3repE0EEENS1_30default_config_static_selectorELNS0_4arch9wavefront6targetE0EEEvT1_.num_vgpr, 0
	.set _ZN7rocprim17ROCPRIM_400000_NS6detail17trampoline_kernelINS0_14default_configENS1_27scan_by_key_config_selectorIisEEZZNS1_16scan_by_key_implILNS1_25lookback_scan_determinismE0ELb0ES3_N6thrust23THRUST_200600_302600_NS6detail15normal_iteratorINS9_10device_ptrIiEEEENSB_INSC_IsEEEESG_sNS9_4plusIvEENS9_8equal_toIvEEsEE10hipError_tPvRmT2_T3_T4_T5_mT6_T7_P12ihipStream_tbENKUlT_T0_E_clISt17integral_constantIbLb1EES11_EEDaSW_SX_EUlSW_E_NS1_11comp_targetILNS1_3genE2ELNS1_11target_archE906ELNS1_3gpuE6ELNS1_3repE0EEENS1_30default_config_static_selectorELNS0_4arch9wavefront6targetE0EEEvT1_.num_agpr, 0
	.set _ZN7rocprim17ROCPRIM_400000_NS6detail17trampoline_kernelINS0_14default_configENS1_27scan_by_key_config_selectorIisEEZZNS1_16scan_by_key_implILNS1_25lookback_scan_determinismE0ELb0ES3_N6thrust23THRUST_200600_302600_NS6detail15normal_iteratorINS9_10device_ptrIiEEEENSB_INSC_IsEEEESG_sNS9_4plusIvEENS9_8equal_toIvEEsEE10hipError_tPvRmT2_T3_T4_T5_mT6_T7_P12ihipStream_tbENKUlT_T0_E_clISt17integral_constantIbLb1EES11_EEDaSW_SX_EUlSW_E_NS1_11comp_targetILNS1_3genE2ELNS1_11target_archE906ELNS1_3gpuE6ELNS1_3repE0EEENS1_30default_config_static_selectorELNS0_4arch9wavefront6targetE0EEEvT1_.numbered_sgpr, 0
	.set _ZN7rocprim17ROCPRIM_400000_NS6detail17trampoline_kernelINS0_14default_configENS1_27scan_by_key_config_selectorIisEEZZNS1_16scan_by_key_implILNS1_25lookback_scan_determinismE0ELb0ES3_N6thrust23THRUST_200600_302600_NS6detail15normal_iteratorINS9_10device_ptrIiEEEENSB_INSC_IsEEEESG_sNS9_4plusIvEENS9_8equal_toIvEEsEE10hipError_tPvRmT2_T3_T4_T5_mT6_T7_P12ihipStream_tbENKUlT_T0_E_clISt17integral_constantIbLb1EES11_EEDaSW_SX_EUlSW_E_NS1_11comp_targetILNS1_3genE2ELNS1_11target_archE906ELNS1_3gpuE6ELNS1_3repE0EEENS1_30default_config_static_selectorELNS0_4arch9wavefront6targetE0EEEvT1_.num_named_barrier, 0
	.set _ZN7rocprim17ROCPRIM_400000_NS6detail17trampoline_kernelINS0_14default_configENS1_27scan_by_key_config_selectorIisEEZZNS1_16scan_by_key_implILNS1_25lookback_scan_determinismE0ELb0ES3_N6thrust23THRUST_200600_302600_NS6detail15normal_iteratorINS9_10device_ptrIiEEEENSB_INSC_IsEEEESG_sNS9_4plusIvEENS9_8equal_toIvEEsEE10hipError_tPvRmT2_T3_T4_T5_mT6_T7_P12ihipStream_tbENKUlT_T0_E_clISt17integral_constantIbLb1EES11_EEDaSW_SX_EUlSW_E_NS1_11comp_targetILNS1_3genE2ELNS1_11target_archE906ELNS1_3gpuE6ELNS1_3repE0EEENS1_30default_config_static_selectorELNS0_4arch9wavefront6targetE0EEEvT1_.private_seg_size, 0
	.set _ZN7rocprim17ROCPRIM_400000_NS6detail17trampoline_kernelINS0_14default_configENS1_27scan_by_key_config_selectorIisEEZZNS1_16scan_by_key_implILNS1_25lookback_scan_determinismE0ELb0ES3_N6thrust23THRUST_200600_302600_NS6detail15normal_iteratorINS9_10device_ptrIiEEEENSB_INSC_IsEEEESG_sNS9_4plusIvEENS9_8equal_toIvEEsEE10hipError_tPvRmT2_T3_T4_T5_mT6_T7_P12ihipStream_tbENKUlT_T0_E_clISt17integral_constantIbLb1EES11_EEDaSW_SX_EUlSW_E_NS1_11comp_targetILNS1_3genE2ELNS1_11target_archE906ELNS1_3gpuE6ELNS1_3repE0EEENS1_30default_config_static_selectorELNS0_4arch9wavefront6targetE0EEEvT1_.uses_vcc, 0
	.set _ZN7rocprim17ROCPRIM_400000_NS6detail17trampoline_kernelINS0_14default_configENS1_27scan_by_key_config_selectorIisEEZZNS1_16scan_by_key_implILNS1_25lookback_scan_determinismE0ELb0ES3_N6thrust23THRUST_200600_302600_NS6detail15normal_iteratorINS9_10device_ptrIiEEEENSB_INSC_IsEEEESG_sNS9_4plusIvEENS9_8equal_toIvEEsEE10hipError_tPvRmT2_T3_T4_T5_mT6_T7_P12ihipStream_tbENKUlT_T0_E_clISt17integral_constantIbLb1EES11_EEDaSW_SX_EUlSW_E_NS1_11comp_targetILNS1_3genE2ELNS1_11target_archE906ELNS1_3gpuE6ELNS1_3repE0EEENS1_30default_config_static_selectorELNS0_4arch9wavefront6targetE0EEEvT1_.uses_flat_scratch, 0
	.set _ZN7rocprim17ROCPRIM_400000_NS6detail17trampoline_kernelINS0_14default_configENS1_27scan_by_key_config_selectorIisEEZZNS1_16scan_by_key_implILNS1_25lookback_scan_determinismE0ELb0ES3_N6thrust23THRUST_200600_302600_NS6detail15normal_iteratorINS9_10device_ptrIiEEEENSB_INSC_IsEEEESG_sNS9_4plusIvEENS9_8equal_toIvEEsEE10hipError_tPvRmT2_T3_T4_T5_mT6_T7_P12ihipStream_tbENKUlT_T0_E_clISt17integral_constantIbLb1EES11_EEDaSW_SX_EUlSW_E_NS1_11comp_targetILNS1_3genE2ELNS1_11target_archE906ELNS1_3gpuE6ELNS1_3repE0EEENS1_30default_config_static_selectorELNS0_4arch9wavefront6targetE0EEEvT1_.has_dyn_sized_stack, 0
	.set _ZN7rocprim17ROCPRIM_400000_NS6detail17trampoline_kernelINS0_14default_configENS1_27scan_by_key_config_selectorIisEEZZNS1_16scan_by_key_implILNS1_25lookback_scan_determinismE0ELb0ES3_N6thrust23THRUST_200600_302600_NS6detail15normal_iteratorINS9_10device_ptrIiEEEENSB_INSC_IsEEEESG_sNS9_4plusIvEENS9_8equal_toIvEEsEE10hipError_tPvRmT2_T3_T4_T5_mT6_T7_P12ihipStream_tbENKUlT_T0_E_clISt17integral_constantIbLb1EES11_EEDaSW_SX_EUlSW_E_NS1_11comp_targetILNS1_3genE2ELNS1_11target_archE906ELNS1_3gpuE6ELNS1_3repE0EEENS1_30default_config_static_selectorELNS0_4arch9wavefront6targetE0EEEvT1_.has_recursion, 0
	.set _ZN7rocprim17ROCPRIM_400000_NS6detail17trampoline_kernelINS0_14default_configENS1_27scan_by_key_config_selectorIisEEZZNS1_16scan_by_key_implILNS1_25lookback_scan_determinismE0ELb0ES3_N6thrust23THRUST_200600_302600_NS6detail15normal_iteratorINS9_10device_ptrIiEEEENSB_INSC_IsEEEESG_sNS9_4plusIvEENS9_8equal_toIvEEsEE10hipError_tPvRmT2_T3_T4_T5_mT6_T7_P12ihipStream_tbENKUlT_T0_E_clISt17integral_constantIbLb1EES11_EEDaSW_SX_EUlSW_E_NS1_11comp_targetILNS1_3genE2ELNS1_11target_archE906ELNS1_3gpuE6ELNS1_3repE0EEENS1_30default_config_static_selectorELNS0_4arch9wavefront6targetE0EEEvT1_.has_indirect_call, 0
	.section	.AMDGPU.csdata,"",@progbits
; Kernel info:
; codeLenInByte = 0
; TotalNumSgprs: 0
; NumVgprs: 0
; ScratchSize: 0
; MemoryBound: 0
; FloatMode: 240
; IeeeMode: 1
; LDSByteSize: 0 bytes/workgroup (compile time only)
; SGPRBlocks: 0
; VGPRBlocks: 0
; NumSGPRsForWavesPerEU: 1
; NumVGPRsForWavesPerEU: 1
; NamedBarCnt: 0
; Occupancy: 16
; WaveLimiterHint : 0
; COMPUTE_PGM_RSRC2:SCRATCH_EN: 0
; COMPUTE_PGM_RSRC2:USER_SGPR: 2
; COMPUTE_PGM_RSRC2:TRAP_HANDLER: 0
; COMPUTE_PGM_RSRC2:TGID_X_EN: 1
; COMPUTE_PGM_RSRC2:TGID_Y_EN: 0
; COMPUTE_PGM_RSRC2:TGID_Z_EN: 0
; COMPUTE_PGM_RSRC2:TIDIG_COMP_CNT: 0
	.section	.text._ZN7rocprim17ROCPRIM_400000_NS6detail17trampoline_kernelINS0_14default_configENS1_27scan_by_key_config_selectorIisEEZZNS1_16scan_by_key_implILNS1_25lookback_scan_determinismE0ELb0ES3_N6thrust23THRUST_200600_302600_NS6detail15normal_iteratorINS9_10device_ptrIiEEEENSB_INSC_IsEEEESG_sNS9_4plusIvEENS9_8equal_toIvEEsEE10hipError_tPvRmT2_T3_T4_T5_mT6_T7_P12ihipStream_tbENKUlT_T0_E_clISt17integral_constantIbLb1EES11_EEDaSW_SX_EUlSW_E_NS1_11comp_targetILNS1_3genE10ELNS1_11target_archE1200ELNS1_3gpuE4ELNS1_3repE0EEENS1_30default_config_static_selectorELNS0_4arch9wavefront6targetE0EEEvT1_,"axG",@progbits,_ZN7rocprim17ROCPRIM_400000_NS6detail17trampoline_kernelINS0_14default_configENS1_27scan_by_key_config_selectorIisEEZZNS1_16scan_by_key_implILNS1_25lookback_scan_determinismE0ELb0ES3_N6thrust23THRUST_200600_302600_NS6detail15normal_iteratorINS9_10device_ptrIiEEEENSB_INSC_IsEEEESG_sNS9_4plusIvEENS9_8equal_toIvEEsEE10hipError_tPvRmT2_T3_T4_T5_mT6_T7_P12ihipStream_tbENKUlT_T0_E_clISt17integral_constantIbLb1EES11_EEDaSW_SX_EUlSW_E_NS1_11comp_targetILNS1_3genE10ELNS1_11target_archE1200ELNS1_3gpuE4ELNS1_3repE0EEENS1_30default_config_static_selectorELNS0_4arch9wavefront6targetE0EEEvT1_,comdat
	.protected	_ZN7rocprim17ROCPRIM_400000_NS6detail17trampoline_kernelINS0_14default_configENS1_27scan_by_key_config_selectorIisEEZZNS1_16scan_by_key_implILNS1_25lookback_scan_determinismE0ELb0ES3_N6thrust23THRUST_200600_302600_NS6detail15normal_iteratorINS9_10device_ptrIiEEEENSB_INSC_IsEEEESG_sNS9_4plusIvEENS9_8equal_toIvEEsEE10hipError_tPvRmT2_T3_T4_T5_mT6_T7_P12ihipStream_tbENKUlT_T0_E_clISt17integral_constantIbLb1EES11_EEDaSW_SX_EUlSW_E_NS1_11comp_targetILNS1_3genE10ELNS1_11target_archE1200ELNS1_3gpuE4ELNS1_3repE0EEENS1_30default_config_static_selectorELNS0_4arch9wavefront6targetE0EEEvT1_ ; -- Begin function _ZN7rocprim17ROCPRIM_400000_NS6detail17trampoline_kernelINS0_14default_configENS1_27scan_by_key_config_selectorIisEEZZNS1_16scan_by_key_implILNS1_25lookback_scan_determinismE0ELb0ES3_N6thrust23THRUST_200600_302600_NS6detail15normal_iteratorINS9_10device_ptrIiEEEENSB_INSC_IsEEEESG_sNS9_4plusIvEENS9_8equal_toIvEEsEE10hipError_tPvRmT2_T3_T4_T5_mT6_T7_P12ihipStream_tbENKUlT_T0_E_clISt17integral_constantIbLb1EES11_EEDaSW_SX_EUlSW_E_NS1_11comp_targetILNS1_3genE10ELNS1_11target_archE1200ELNS1_3gpuE4ELNS1_3repE0EEENS1_30default_config_static_selectorELNS0_4arch9wavefront6targetE0EEEvT1_
	.globl	_ZN7rocprim17ROCPRIM_400000_NS6detail17trampoline_kernelINS0_14default_configENS1_27scan_by_key_config_selectorIisEEZZNS1_16scan_by_key_implILNS1_25lookback_scan_determinismE0ELb0ES3_N6thrust23THRUST_200600_302600_NS6detail15normal_iteratorINS9_10device_ptrIiEEEENSB_INSC_IsEEEESG_sNS9_4plusIvEENS9_8equal_toIvEEsEE10hipError_tPvRmT2_T3_T4_T5_mT6_T7_P12ihipStream_tbENKUlT_T0_E_clISt17integral_constantIbLb1EES11_EEDaSW_SX_EUlSW_E_NS1_11comp_targetILNS1_3genE10ELNS1_11target_archE1200ELNS1_3gpuE4ELNS1_3repE0EEENS1_30default_config_static_selectorELNS0_4arch9wavefront6targetE0EEEvT1_
	.p2align	8
	.type	_ZN7rocprim17ROCPRIM_400000_NS6detail17trampoline_kernelINS0_14default_configENS1_27scan_by_key_config_selectorIisEEZZNS1_16scan_by_key_implILNS1_25lookback_scan_determinismE0ELb0ES3_N6thrust23THRUST_200600_302600_NS6detail15normal_iteratorINS9_10device_ptrIiEEEENSB_INSC_IsEEEESG_sNS9_4plusIvEENS9_8equal_toIvEEsEE10hipError_tPvRmT2_T3_T4_T5_mT6_T7_P12ihipStream_tbENKUlT_T0_E_clISt17integral_constantIbLb1EES11_EEDaSW_SX_EUlSW_E_NS1_11comp_targetILNS1_3genE10ELNS1_11target_archE1200ELNS1_3gpuE4ELNS1_3repE0EEENS1_30default_config_static_selectorELNS0_4arch9wavefront6targetE0EEEvT1_,@function
_ZN7rocprim17ROCPRIM_400000_NS6detail17trampoline_kernelINS0_14default_configENS1_27scan_by_key_config_selectorIisEEZZNS1_16scan_by_key_implILNS1_25lookback_scan_determinismE0ELb0ES3_N6thrust23THRUST_200600_302600_NS6detail15normal_iteratorINS9_10device_ptrIiEEEENSB_INSC_IsEEEESG_sNS9_4plusIvEENS9_8equal_toIvEEsEE10hipError_tPvRmT2_T3_T4_T5_mT6_T7_P12ihipStream_tbENKUlT_T0_E_clISt17integral_constantIbLb1EES11_EEDaSW_SX_EUlSW_E_NS1_11comp_targetILNS1_3genE10ELNS1_11target_archE1200ELNS1_3gpuE4ELNS1_3repE0EEENS1_30default_config_static_selectorELNS0_4arch9wavefront6targetE0EEEvT1_: ; @_ZN7rocprim17ROCPRIM_400000_NS6detail17trampoline_kernelINS0_14default_configENS1_27scan_by_key_config_selectorIisEEZZNS1_16scan_by_key_implILNS1_25lookback_scan_determinismE0ELb0ES3_N6thrust23THRUST_200600_302600_NS6detail15normal_iteratorINS9_10device_ptrIiEEEENSB_INSC_IsEEEESG_sNS9_4plusIvEENS9_8equal_toIvEEsEE10hipError_tPvRmT2_T3_T4_T5_mT6_T7_P12ihipStream_tbENKUlT_T0_E_clISt17integral_constantIbLb1EES11_EEDaSW_SX_EUlSW_E_NS1_11comp_targetILNS1_3genE10ELNS1_11target_archE1200ELNS1_3gpuE4ELNS1_3repE0EEENS1_30default_config_static_selectorELNS0_4arch9wavefront6targetE0EEEvT1_
; %bb.0:
	.section	.rodata,"a",@progbits
	.p2align	6, 0x0
	.amdhsa_kernel _ZN7rocprim17ROCPRIM_400000_NS6detail17trampoline_kernelINS0_14default_configENS1_27scan_by_key_config_selectorIisEEZZNS1_16scan_by_key_implILNS1_25lookback_scan_determinismE0ELb0ES3_N6thrust23THRUST_200600_302600_NS6detail15normal_iteratorINS9_10device_ptrIiEEEENSB_INSC_IsEEEESG_sNS9_4plusIvEENS9_8equal_toIvEEsEE10hipError_tPvRmT2_T3_T4_T5_mT6_T7_P12ihipStream_tbENKUlT_T0_E_clISt17integral_constantIbLb1EES11_EEDaSW_SX_EUlSW_E_NS1_11comp_targetILNS1_3genE10ELNS1_11target_archE1200ELNS1_3gpuE4ELNS1_3repE0EEENS1_30default_config_static_selectorELNS0_4arch9wavefront6targetE0EEEvT1_
		.amdhsa_group_segment_fixed_size 0
		.amdhsa_private_segment_fixed_size 0
		.amdhsa_kernarg_size 112
		.amdhsa_user_sgpr_count 2
		.amdhsa_user_sgpr_dispatch_ptr 0
		.amdhsa_user_sgpr_queue_ptr 0
		.amdhsa_user_sgpr_kernarg_segment_ptr 1
		.amdhsa_user_sgpr_dispatch_id 0
		.amdhsa_user_sgpr_kernarg_preload_length 0
		.amdhsa_user_sgpr_kernarg_preload_offset 0
		.amdhsa_user_sgpr_private_segment_size 0
		.amdhsa_wavefront_size32 1
		.amdhsa_uses_dynamic_stack 0
		.amdhsa_enable_private_segment 0
		.amdhsa_system_sgpr_workgroup_id_x 1
		.amdhsa_system_sgpr_workgroup_id_y 0
		.amdhsa_system_sgpr_workgroup_id_z 0
		.amdhsa_system_sgpr_workgroup_info 0
		.amdhsa_system_vgpr_workitem_id 0
		.amdhsa_next_free_vgpr 1
		.amdhsa_next_free_sgpr 1
		.amdhsa_named_barrier_count 0
		.amdhsa_reserve_vcc 0
		.amdhsa_float_round_mode_32 0
		.amdhsa_float_round_mode_16_64 0
		.amdhsa_float_denorm_mode_32 3
		.amdhsa_float_denorm_mode_16_64 3
		.amdhsa_fp16_overflow 0
		.amdhsa_memory_ordered 1
		.amdhsa_forward_progress 1
		.amdhsa_inst_pref_size 0
		.amdhsa_round_robin_scheduling 0
		.amdhsa_exception_fp_ieee_invalid_op 0
		.amdhsa_exception_fp_denorm_src 0
		.amdhsa_exception_fp_ieee_div_zero 0
		.amdhsa_exception_fp_ieee_overflow 0
		.amdhsa_exception_fp_ieee_underflow 0
		.amdhsa_exception_fp_ieee_inexact 0
		.amdhsa_exception_int_div_zero 0
	.end_amdhsa_kernel
	.section	.text._ZN7rocprim17ROCPRIM_400000_NS6detail17trampoline_kernelINS0_14default_configENS1_27scan_by_key_config_selectorIisEEZZNS1_16scan_by_key_implILNS1_25lookback_scan_determinismE0ELb0ES3_N6thrust23THRUST_200600_302600_NS6detail15normal_iteratorINS9_10device_ptrIiEEEENSB_INSC_IsEEEESG_sNS9_4plusIvEENS9_8equal_toIvEEsEE10hipError_tPvRmT2_T3_T4_T5_mT6_T7_P12ihipStream_tbENKUlT_T0_E_clISt17integral_constantIbLb1EES11_EEDaSW_SX_EUlSW_E_NS1_11comp_targetILNS1_3genE10ELNS1_11target_archE1200ELNS1_3gpuE4ELNS1_3repE0EEENS1_30default_config_static_selectorELNS0_4arch9wavefront6targetE0EEEvT1_,"axG",@progbits,_ZN7rocprim17ROCPRIM_400000_NS6detail17trampoline_kernelINS0_14default_configENS1_27scan_by_key_config_selectorIisEEZZNS1_16scan_by_key_implILNS1_25lookback_scan_determinismE0ELb0ES3_N6thrust23THRUST_200600_302600_NS6detail15normal_iteratorINS9_10device_ptrIiEEEENSB_INSC_IsEEEESG_sNS9_4plusIvEENS9_8equal_toIvEEsEE10hipError_tPvRmT2_T3_T4_T5_mT6_T7_P12ihipStream_tbENKUlT_T0_E_clISt17integral_constantIbLb1EES11_EEDaSW_SX_EUlSW_E_NS1_11comp_targetILNS1_3genE10ELNS1_11target_archE1200ELNS1_3gpuE4ELNS1_3repE0EEENS1_30default_config_static_selectorELNS0_4arch9wavefront6targetE0EEEvT1_,comdat
.Lfunc_end1368:
	.size	_ZN7rocprim17ROCPRIM_400000_NS6detail17trampoline_kernelINS0_14default_configENS1_27scan_by_key_config_selectorIisEEZZNS1_16scan_by_key_implILNS1_25lookback_scan_determinismE0ELb0ES3_N6thrust23THRUST_200600_302600_NS6detail15normal_iteratorINS9_10device_ptrIiEEEENSB_INSC_IsEEEESG_sNS9_4plusIvEENS9_8equal_toIvEEsEE10hipError_tPvRmT2_T3_T4_T5_mT6_T7_P12ihipStream_tbENKUlT_T0_E_clISt17integral_constantIbLb1EES11_EEDaSW_SX_EUlSW_E_NS1_11comp_targetILNS1_3genE10ELNS1_11target_archE1200ELNS1_3gpuE4ELNS1_3repE0EEENS1_30default_config_static_selectorELNS0_4arch9wavefront6targetE0EEEvT1_, .Lfunc_end1368-_ZN7rocprim17ROCPRIM_400000_NS6detail17trampoline_kernelINS0_14default_configENS1_27scan_by_key_config_selectorIisEEZZNS1_16scan_by_key_implILNS1_25lookback_scan_determinismE0ELb0ES3_N6thrust23THRUST_200600_302600_NS6detail15normal_iteratorINS9_10device_ptrIiEEEENSB_INSC_IsEEEESG_sNS9_4plusIvEENS9_8equal_toIvEEsEE10hipError_tPvRmT2_T3_T4_T5_mT6_T7_P12ihipStream_tbENKUlT_T0_E_clISt17integral_constantIbLb1EES11_EEDaSW_SX_EUlSW_E_NS1_11comp_targetILNS1_3genE10ELNS1_11target_archE1200ELNS1_3gpuE4ELNS1_3repE0EEENS1_30default_config_static_selectorELNS0_4arch9wavefront6targetE0EEEvT1_
                                        ; -- End function
	.set _ZN7rocprim17ROCPRIM_400000_NS6detail17trampoline_kernelINS0_14default_configENS1_27scan_by_key_config_selectorIisEEZZNS1_16scan_by_key_implILNS1_25lookback_scan_determinismE0ELb0ES3_N6thrust23THRUST_200600_302600_NS6detail15normal_iteratorINS9_10device_ptrIiEEEENSB_INSC_IsEEEESG_sNS9_4plusIvEENS9_8equal_toIvEEsEE10hipError_tPvRmT2_T3_T4_T5_mT6_T7_P12ihipStream_tbENKUlT_T0_E_clISt17integral_constantIbLb1EES11_EEDaSW_SX_EUlSW_E_NS1_11comp_targetILNS1_3genE10ELNS1_11target_archE1200ELNS1_3gpuE4ELNS1_3repE0EEENS1_30default_config_static_selectorELNS0_4arch9wavefront6targetE0EEEvT1_.num_vgpr, 0
	.set _ZN7rocprim17ROCPRIM_400000_NS6detail17trampoline_kernelINS0_14default_configENS1_27scan_by_key_config_selectorIisEEZZNS1_16scan_by_key_implILNS1_25lookback_scan_determinismE0ELb0ES3_N6thrust23THRUST_200600_302600_NS6detail15normal_iteratorINS9_10device_ptrIiEEEENSB_INSC_IsEEEESG_sNS9_4plusIvEENS9_8equal_toIvEEsEE10hipError_tPvRmT2_T3_T4_T5_mT6_T7_P12ihipStream_tbENKUlT_T0_E_clISt17integral_constantIbLb1EES11_EEDaSW_SX_EUlSW_E_NS1_11comp_targetILNS1_3genE10ELNS1_11target_archE1200ELNS1_3gpuE4ELNS1_3repE0EEENS1_30default_config_static_selectorELNS0_4arch9wavefront6targetE0EEEvT1_.num_agpr, 0
	.set _ZN7rocprim17ROCPRIM_400000_NS6detail17trampoline_kernelINS0_14default_configENS1_27scan_by_key_config_selectorIisEEZZNS1_16scan_by_key_implILNS1_25lookback_scan_determinismE0ELb0ES3_N6thrust23THRUST_200600_302600_NS6detail15normal_iteratorINS9_10device_ptrIiEEEENSB_INSC_IsEEEESG_sNS9_4plusIvEENS9_8equal_toIvEEsEE10hipError_tPvRmT2_T3_T4_T5_mT6_T7_P12ihipStream_tbENKUlT_T0_E_clISt17integral_constantIbLb1EES11_EEDaSW_SX_EUlSW_E_NS1_11comp_targetILNS1_3genE10ELNS1_11target_archE1200ELNS1_3gpuE4ELNS1_3repE0EEENS1_30default_config_static_selectorELNS0_4arch9wavefront6targetE0EEEvT1_.numbered_sgpr, 0
	.set _ZN7rocprim17ROCPRIM_400000_NS6detail17trampoline_kernelINS0_14default_configENS1_27scan_by_key_config_selectorIisEEZZNS1_16scan_by_key_implILNS1_25lookback_scan_determinismE0ELb0ES3_N6thrust23THRUST_200600_302600_NS6detail15normal_iteratorINS9_10device_ptrIiEEEENSB_INSC_IsEEEESG_sNS9_4plusIvEENS9_8equal_toIvEEsEE10hipError_tPvRmT2_T3_T4_T5_mT6_T7_P12ihipStream_tbENKUlT_T0_E_clISt17integral_constantIbLb1EES11_EEDaSW_SX_EUlSW_E_NS1_11comp_targetILNS1_3genE10ELNS1_11target_archE1200ELNS1_3gpuE4ELNS1_3repE0EEENS1_30default_config_static_selectorELNS0_4arch9wavefront6targetE0EEEvT1_.num_named_barrier, 0
	.set _ZN7rocprim17ROCPRIM_400000_NS6detail17trampoline_kernelINS0_14default_configENS1_27scan_by_key_config_selectorIisEEZZNS1_16scan_by_key_implILNS1_25lookback_scan_determinismE0ELb0ES3_N6thrust23THRUST_200600_302600_NS6detail15normal_iteratorINS9_10device_ptrIiEEEENSB_INSC_IsEEEESG_sNS9_4plusIvEENS9_8equal_toIvEEsEE10hipError_tPvRmT2_T3_T4_T5_mT6_T7_P12ihipStream_tbENKUlT_T0_E_clISt17integral_constantIbLb1EES11_EEDaSW_SX_EUlSW_E_NS1_11comp_targetILNS1_3genE10ELNS1_11target_archE1200ELNS1_3gpuE4ELNS1_3repE0EEENS1_30default_config_static_selectorELNS0_4arch9wavefront6targetE0EEEvT1_.private_seg_size, 0
	.set _ZN7rocprim17ROCPRIM_400000_NS6detail17trampoline_kernelINS0_14default_configENS1_27scan_by_key_config_selectorIisEEZZNS1_16scan_by_key_implILNS1_25lookback_scan_determinismE0ELb0ES3_N6thrust23THRUST_200600_302600_NS6detail15normal_iteratorINS9_10device_ptrIiEEEENSB_INSC_IsEEEESG_sNS9_4plusIvEENS9_8equal_toIvEEsEE10hipError_tPvRmT2_T3_T4_T5_mT6_T7_P12ihipStream_tbENKUlT_T0_E_clISt17integral_constantIbLb1EES11_EEDaSW_SX_EUlSW_E_NS1_11comp_targetILNS1_3genE10ELNS1_11target_archE1200ELNS1_3gpuE4ELNS1_3repE0EEENS1_30default_config_static_selectorELNS0_4arch9wavefront6targetE0EEEvT1_.uses_vcc, 0
	.set _ZN7rocprim17ROCPRIM_400000_NS6detail17trampoline_kernelINS0_14default_configENS1_27scan_by_key_config_selectorIisEEZZNS1_16scan_by_key_implILNS1_25lookback_scan_determinismE0ELb0ES3_N6thrust23THRUST_200600_302600_NS6detail15normal_iteratorINS9_10device_ptrIiEEEENSB_INSC_IsEEEESG_sNS9_4plusIvEENS9_8equal_toIvEEsEE10hipError_tPvRmT2_T3_T4_T5_mT6_T7_P12ihipStream_tbENKUlT_T0_E_clISt17integral_constantIbLb1EES11_EEDaSW_SX_EUlSW_E_NS1_11comp_targetILNS1_3genE10ELNS1_11target_archE1200ELNS1_3gpuE4ELNS1_3repE0EEENS1_30default_config_static_selectorELNS0_4arch9wavefront6targetE0EEEvT1_.uses_flat_scratch, 0
	.set _ZN7rocprim17ROCPRIM_400000_NS6detail17trampoline_kernelINS0_14default_configENS1_27scan_by_key_config_selectorIisEEZZNS1_16scan_by_key_implILNS1_25lookback_scan_determinismE0ELb0ES3_N6thrust23THRUST_200600_302600_NS6detail15normal_iteratorINS9_10device_ptrIiEEEENSB_INSC_IsEEEESG_sNS9_4plusIvEENS9_8equal_toIvEEsEE10hipError_tPvRmT2_T3_T4_T5_mT6_T7_P12ihipStream_tbENKUlT_T0_E_clISt17integral_constantIbLb1EES11_EEDaSW_SX_EUlSW_E_NS1_11comp_targetILNS1_3genE10ELNS1_11target_archE1200ELNS1_3gpuE4ELNS1_3repE0EEENS1_30default_config_static_selectorELNS0_4arch9wavefront6targetE0EEEvT1_.has_dyn_sized_stack, 0
	.set _ZN7rocprim17ROCPRIM_400000_NS6detail17trampoline_kernelINS0_14default_configENS1_27scan_by_key_config_selectorIisEEZZNS1_16scan_by_key_implILNS1_25lookback_scan_determinismE0ELb0ES3_N6thrust23THRUST_200600_302600_NS6detail15normal_iteratorINS9_10device_ptrIiEEEENSB_INSC_IsEEEESG_sNS9_4plusIvEENS9_8equal_toIvEEsEE10hipError_tPvRmT2_T3_T4_T5_mT6_T7_P12ihipStream_tbENKUlT_T0_E_clISt17integral_constantIbLb1EES11_EEDaSW_SX_EUlSW_E_NS1_11comp_targetILNS1_3genE10ELNS1_11target_archE1200ELNS1_3gpuE4ELNS1_3repE0EEENS1_30default_config_static_selectorELNS0_4arch9wavefront6targetE0EEEvT1_.has_recursion, 0
	.set _ZN7rocprim17ROCPRIM_400000_NS6detail17trampoline_kernelINS0_14default_configENS1_27scan_by_key_config_selectorIisEEZZNS1_16scan_by_key_implILNS1_25lookback_scan_determinismE0ELb0ES3_N6thrust23THRUST_200600_302600_NS6detail15normal_iteratorINS9_10device_ptrIiEEEENSB_INSC_IsEEEESG_sNS9_4plusIvEENS9_8equal_toIvEEsEE10hipError_tPvRmT2_T3_T4_T5_mT6_T7_P12ihipStream_tbENKUlT_T0_E_clISt17integral_constantIbLb1EES11_EEDaSW_SX_EUlSW_E_NS1_11comp_targetILNS1_3genE10ELNS1_11target_archE1200ELNS1_3gpuE4ELNS1_3repE0EEENS1_30default_config_static_selectorELNS0_4arch9wavefront6targetE0EEEvT1_.has_indirect_call, 0
	.section	.AMDGPU.csdata,"",@progbits
; Kernel info:
; codeLenInByte = 0
; TotalNumSgprs: 0
; NumVgprs: 0
; ScratchSize: 0
; MemoryBound: 0
; FloatMode: 240
; IeeeMode: 1
; LDSByteSize: 0 bytes/workgroup (compile time only)
; SGPRBlocks: 0
; VGPRBlocks: 0
; NumSGPRsForWavesPerEU: 1
; NumVGPRsForWavesPerEU: 1
; NamedBarCnt: 0
; Occupancy: 16
; WaveLimiterHint : 0
; COMPUTE_PGM_RSRC2:SCRATCH_EN: 0
; COMPUTE_PGM_RSRC2:USER_SGPR: 2
; COMPUTE_PGM_RSRC2:TRAP_HANDLER: 0
; COMPUTE_PGM_RSRC2:TGID_X_EN: 1
; COMPUTE_PGM_RSRC2:TGID_Y_EN: 0
; COMPUTE_PGM_RSRC2:TGID_Z_EN: 0
; COMPUTE_PGM_RSRC2:TIDIG_COMP_CNT: 0
	.section	.text._ZN7rocprim17ROCPRIM_400000_NS6detail17trampoline_kernelINS0_14default_configENS1_27scan_by_key_config_selectorIisEEZZNS1_16scan_by_key_implILNS1_25lookback_scan_determinismE0ELb0ES3_N6thrust23THRUST_200600_302600_NS6detail15normal_iteratorINS9_10device_ptrIiEEEENSB_INSC_IsEEEESG_sNS9_4plusIvEENS9_8equal_toIvEEsEE10hipError_tPvRmT2_T3_T4_T5_mT6_T7_P12ihipStream_tbENKUlT_T0_E_clISt17integral_constantIbLb1EES11_EEDaSW_SX_EUlSW_E_NS1_11comp_targetILNS1_3genE9ELNS1_11target_archE1100ELNS1_3gpuE3ELNS1_3repE0EEENS1_30default_config_static_selectorELNS0_4arch9wavefront6targetE0EEEvT1_,"axG",@progbits,_ZN7rocprim17ROCPRIM_400000_NS6detail17trampoline_kernelINS0_14default_configENS1_27scan_by_key_config_selectorIisEEZZNS1_16scan_by_key_implILNS1_25lookback_scan_determinismE0ELb0ES3_N6thrust23THRUST_200600_302600_NS6detail15normal_iteratorINS9_10device_ptrIiEEEENSB_INSC_IsEEEESG_sNS9_4plusIvEENS9_8equal_toIvEEsEE10hipError_tPvRmT2_T3_T4_T5_mT6_T7_P12ihipStream_tbENKUlT_T0_E_clISt17integral_constantIbLb1EES11_EEDaSW_SX_EUlSW_E_NS1_11comp_targetILNS1_3genE9ELNS1_11target_archE1100ELNS1_3gpuE3ELNS1_3repE0EEENS1_30default_config_static_selectorELNS0_4arch9wavefront6targetE0EEEvT1_,comdat
	.protected	_ZN7rocprim17ROCPRIM_400000_NS6detail17trampoline_kernelINS0_14default_configENS1_27scan_by_key_config_selectorIisEEZZNS1_16scan_by_key_implILNS1_25lookback_scan_determinismE0ELb0ES3_N6thrust23THRUST_200600_302600_NS6detail15normal_iteratorINS9_10device_ptrIiEEEENSB_INSC_IsEEEESG_sNS9_4plusIvEENS9_8equal_toIvEEsEE10hipError_tPvRmT2_T3_T4_T5_mT6_T7_P12ihipStream_tbENKUlT_T0_E_clISt17integral_constantIbLb1EES11_EEDaSW_SX_EUlSW_E_NS1_11comp_targetILNS1_3genE9ELNS1_11target_archE1100ELNS1_3gpuE3ELNS1_3repE0EEENS1_30default_config_static_selectorELNS0_4arch9wavefront6targetE0EEEvT1_ ; -- Begin function _ZN7rocprim17ROCPRIM_400000_NS6detail17trampoline_kernelINS0_14default_configENS1_27scan_by_key_config_selectorIisEEZZNS1_16scan_by_key_implILNS1_25lookback_scan_determinismE0ELb0ES3_N6thrust23THRUST_200600_302600_NS6detail15normal_iteratorINS9_10device_ptrIiEEEENSB_INSC_IsEEEESG_sNS9_4plusIvEENS9_8equal_toIvEEsEE10hipError_tPvRmT2_T3_T4_T5_mT6_T7_P12ihipStream_tbENKUlT_T0_E_clISt17integral_constantIbLb1EES11_EEDaSW_SX_EUlSW_E_NS1_11comp_targetILNS1_3genE9ELNS1_11target_archE1100ELNS1_3gpuE3ELNS1_3repE0EEENS1_30default_config_static_selectorELNS0_4arch9wavefront6targetE0EEEvT1_
	.globl	_ZN7rocprim17ROCPRIM_400000_NS6detail17trampoline_kernelINS0_14default_configENS1_27scan_by_key_config_selectorIisEEZZNS1_16scan_by_key_implILNS1_25lookback_scan_determinismE0ELb0ES3_N6thrust23THRUST_200600_302600_NS6detail15normal_iteratorINS9_10device_ptrIiEEEENSB_INSC_IsEEEESG_sNS9_4plusIvEENS9_8equal_toIvEEsEE10hipError_tPvRmT2_T3_T4_T5_mT6_T7_P12ihipStream_tbENKUlT_T0_E_clISt17integral_constantIbLb1EES11_EEDaSW_SX_EUlSW_E_NS1_11comp_targetILNS1_3genE9ELNS1_11target_archE1100ELNS1_3gpuE3ELNS1_3repE0EEENS1_30default_config_static_selectorELNS0_4arch9wavefront6targetE0EEEvT1_
	.p2align	8
	.type	_ZN7rocprim17ROCPRIM_400000_NS6detail17trampoline_kernelINS0_14default_configENS1_27scan_by_key_config_selectorIisEEZZNS1_16scan_by_key_implILNS1_25lookback_scan_determinismE0ELb0ES3_N6thrust23THRUST_200600_302600_NS6detail15normal_iteratorINS9_10device_ptrIiEEEENSB_INSC_IsEEEESG_sNS9_4plusIvEENS9_8equal_toIvEEsEE10hipError_tPvRmT2_T3_T4_T5_mT6_T7_P12ihipStream_tbENKUlT_T0_E_clISt17integral_constantIbLb1EES11_EEDaSW_SX_EUlSW_E_NS1_11comp_targetILNS1_3genE9ELNS1_11target_archE1100ELNS1_3gpuE3ELNS1_3repE0EEENS1_30default_config_static_selectorELNS0_4arch9wavefront6targetE0EEEvT1_,@function
_ZN7rocprim17ROCPRIM_400000_NS6detail17trampoline_kernelINS0_14default_configENS1_27scan_by_key_config_selectorIisEEZZNS1_16scan_by_key_implILNS1_25lookback_scan_determinismE0ELb0ES3_N6thrust23THRUST_200600_302600_NS6detail15normal_iteratorINS9_10device_ptrIiEEEENSB_INSC_IsEEEESG_sNS9_4plusIvEENS9_8equal_toIvEEsEE10hipError_tPvRmT2_T3_T4_T5_mT6_T7_P12ihipStream_tbENKUlT_T0_E_clISt17integral_constantIbLb1EES11_EEDaSW_SX_EUlSW_E_NS1_11comp_targetILNS1_3genE9ELNS1_11target_archE1100ELNS1_3gpuE3ELNS1_3repE0EEENS1_30default_config_static_selectorELNS0_4arch9wavefront6targetE0EEEvT1_: ; @_ZN7rocprim17ROCPRIM_400000_NS6detail17trampoline_kernelINS0_14default_configENS1_27scan_by_key_config_selectorIisEEZZNS1_16scan_by_key_implILNS1_25lookback_scan_determinismE0ELb0ES3_N6thrust23THRUST_200600_302600_NS6detail15normal_iteratorINS9_10device_ptrIiEEEENSB_INSC_IsEEEESG_sNS9_4plusIvEENS9_8equal_toIvEEsEE10hipError_tPvRmT2_T3_T4_T5_mT6_T7_P12ihipStream_tbENKUlT_T0_E_clISt17integral_constantIbLb1EES11_EEDaSW_SX_EUlSW_E_NS1_11comp_targetILNS1_3genE9ELNS1_11target_archE1100ELNS1_3gpuE3ELNS1_3repE0EEENS1_30default_config_static_selectorELNS0_4arch9wavefront6targetE0EEEvT1_
; %bb.0:
	.section	.rodata,"a",@progbits
	.p2align	6, 0x0
	.amdhsa_kernel _ZN7rocprim17ROCPRIM_400000_NS6detail17trampoline_kernelINS0_14default_configENS1_27scan_by_key_config_selectorIisEEZZNS1_16scan_by_key_implILNS1_25lookback_scan_determinismE0ELb0ES3_N6thrust23THRUST_200600_302600_NS6detail15normal_iteratorINS9_10device_ptrIiEEEENSB_INSC_IsEEEESG_sNS9_4plusIvEENS9_8equal_toIvEEsEE10hipError_tPvRmT2_T3_T4_T5_mT6_T7_P12ihipStream_tbENKUlT_T0_E_clISt17integral_constantIbLb1EES11_EEDaSW_SX_EUlSW_E_NS1_11comp_targetILNS1_3genE9ELNS1_11target_archE1100ELNS1_3gpuE3ELNS1_3repE0EEENS1_30default_config_static_selectorELNS0_4arch9wavefront6targetE0EEEvT1_
		.amdhsa_group_segment_fixed_size 0
		.amdhsa_private_segment_fixed_size 0
		.amdhsa_kernarg_size 112
		.amdhsa_user_sgpr_count 2
		.amdhsa_user_sgpr_dispatch_ptr 0
		.amdhsa_user_sgpr_queue_ptr 0
		.amdhsa_user_sgpr_kernarg_segment_ptr 1
		.amdhsa_user_sgpr_dispatch_id 0
		.amdhsa_user_sgpr_kernarg_preload_length 0
		.amdhsa_user_sgpr_kernarg_preload_offset 0
		.amdhsa_user_sgpr_private_segment_size 0
		.amdhsa_wavefront_size32 1
		.amdhsa_uses_dynamic_stack 0
		.amdhsa_enable_private_segment 0
		.amdhsa_system_sgpr_workgroup_id_x 1
		.amdhsa_system_sgpr_workgroup_id_y 0
		.amdhsa_system_sgpr_workgroup_id_z 0
		.amdhsa_system_sgpr_workgroup_info 0
		.amdhsa_system_vgpr_workitem_id 0
		.amdhsa_next_free_vgpr 1
		.amdhsa_next_free_sgpr 1
		.amdhsa_named_barrier_count 0
		.amdhsa_reserve_vcc 0
		.amdhsa_float_round_mode_32 0
		.amdhsa_float_round_mode_16_64 0
		.amdhsa_float_denorm_mode_32 3
		.amdhsa_float_denorm_mode_16_64 3
		.amdhsa_fp16_overflow 0
		.amdhsa_memory_ordered 1
		.amdhsa_forward_progress 1
		.amdhsa_inst_pref_size 0
		.amdhsa_round_robin_scheduling 0
		.amdhsa_exception_fp_ieee_invalid_op 0
		.amdhsa_exception_fp_denorm_src 0
		.amdhsa_exception_fp_ieee_div_zero 0
		.amdhsa_exception_fp_ieee_overflow 0
		.amdhsa_exception_fp_ieee_underflow 0
		.amdhsa_exception_fp_ieee_inexact 0
		.amdhsa_exception_int_div_zero 0
	.end_amdhsa_kernel
	.section	.text._ZN7rocprim17ROCPRIM_400000_NS6detail17trampoline_kernelINS0_14default_configENS1_27scan_by_key_config_selectorIisEEZZNS1_16scan_by_key_implILNS1_25lookback_scan_determinismE0ELb0ES3_N6thrust23THRUST_200600_302600_NS6detail15normal_iteratorINS9_10device_ptrIiEEEENSB_INSC_IsEEEESG_sNS9_4plusIvEENS9_8equal_toIvEEsEE10hipError_tPvRmT2_T3_T4_T5_mT6_T7_P12ihipStream_tbENKUlT_T0_E_clISt17integral_constantIbLb1EES11_EEDaSW_SX_EUlSW_E_NS1_11comp_targetILNS1_3genE9ELNS1_11target_archE1100ELNS1_3gpuE3ELNS1_3repE0EEENS1_30default_config_static_selectorELNS0_4arch9wavefront6targetE0EEEvT1_,"axG",@progbits,_ZN7rocprim17ROCPRIM_400000_NS6detail17trampoline_kernelINS0_14default_configENS1_27scan_by_key_config_selectorIisEEZZNS1_16scan_by_key_implILNS1_25lookback_scan_determinismE0ELb0ES3_N6thrust23THRUST_200600_302600_NS6detail15normal_iteratorINS9_10device_ptrIiEEEENSB_INSC_IsEEEESG_sNS9_4plusIvEENS9_8equal_toIvEEsEE10hipError_tPvRmT2_T3_T4_T5_mT6_T7_P12ihipStream_tbENKUlT_T0_E_clISt17integral_constantIbLb1EES11_EEDaSW_SX_EUlSW_E_NS1_11comp_targetILNS1_3genE9ELNS1_11target_archE1100ELNS1_3gpuE3ELNS1_3repE0EEENS1_30default_config_static_selectorELNS0_4arch9wavefront6targetE0EEEvT1_,comdat
.Lfunc_end1369:
	.size	_ZN7rocprim17ROCPRIM_400000_NS6detail17trampoline_kernelINS0_14default_configENS1_27scan_by_key_config_selectorIisEEZZNS1_16scan_by_key_implILNS1_25lookback_scan_determinismE0ELb0ES3_N6thrust23THRUST_200600_302600_NS6detail15normal_iteratorINS9_10device_ptrIiEEEENSB_INSC_IsEEEESG_sNS9_4plusIvEENS9_8equal_toIvEEsEE10hipError_tPvRmT2_T3_T4_T5_mT6_T7_P12ihipStream_tbENKUlT_T0_E_clISt17integral_constantIbLb1EES11_EEDaSW_SX_EUlSW_E_NS1_11comp_targetILNS1_3genE9ELNS1_11target_archE1100ELNS1_3gpuE3ELNS1_3repE0EEENS1_30default_config_static_selectorELNS0_4arch9wavefront6targetE0EEEvT1_, .Lfunc_end1369-_ZN7rocprim17ROCPRIM_400000_NS6detail17trampoline_kernelINS0_14default_configENS1_27scan_by_key_config_selectorIisEEZZNS1_16scan_by_key_implILNS1_25lookback_scan_determinismE0ELb0ES3_N6thrust23THRUST_200600_302600_NS6detail15normal_iteratorINS9_10device_ptrIiEEEENSB_INSC_IsEEEESG_sNS9_4plusIvEENS9_8equal_toIvEEsEE10hipError_tPvRmT2_T3_T4_T5_mT6_T7_P12ihipStream_tbENKUlT_T0_E_clISt17integral_constantIbLb1EES11_EEDaSW_SX_EUlSW_E_NS1_11comp_targetILNS1_3genE9ELNS1_11target_archE1100ELNS1_3gpuE3ELNS1_3repE0EEENS1_30default_config_static_selectorELNS0_4arch9wavefront6targetE0EEEvT1_
                                        ; -- End function
	.set _ZN7rocprim17ROCPRIM_400000_NS6detail17trampoline_kernelINS0_14default_configENS1_27scan_by_key_config_selectorIisEEZZNS1_16scan_by_key_implILNS1_25lookback_scan_determinismE0ELb0ES3_N6thrust23THRUST_200600_302600_NS6detail15normal_iteratorINS9_10device_ptrIiEEEENSB_INSC_IsEEEESG_sNS9_4plusIvEENS9_8equal_toIvEEsEE10hipError_tPvRmT2_T3_T4_T5_mT6_T7_P12ihipStream_tbENKUlT_T0_E_clISt17integral_constantIbLb1EES11_EEDaSW_SX_EUlSW_E_NS1_11comp_targetILNS1_3genE9ELNS1_11target_archE1100ELNS1_3gpuE3ELNS1_3repE0EEENS1_30default_config_static_selectorELNS0_4arch9wavefront6targetE0EEEvT1_.num_vgpr, 0
	.set _ZN7rocprim17ROCPRIM_400000_NS6detail17trampoline_kernelINS0_14default_configENS1_27scan_by_key_config_selectorIisEEZZNS1_16scan_by_key_implILNS1_25lookback_scan_determinismE0ELb0ES3_N6thrust23THRUST_200600_302600_NS6detail15normal_iteratorINS9_10device_ptrIiEEEENSB_INSC_IsEEEESG_sNS9_4plusIvEENS9_8equal_toIvEEsEE10hipError_tPvRmT2_T3_T4_T5_mT6_T7_P12ihipStream_tbENKUlT_T0_E_clISt17integral_constantIbLb1EES11_EEDaSW_SX_EUlSW_E_NS1_11comp_targetILNS1_3genE9ELNS1_11target_archE1100ELNS1_3gpuE3ELNS1_3repE0EEENS1_30default_config_static_selectorELNS0_4arch9wavefront6targetE0EEEvT1_.num_agpr, 0
	.set _ZN7rocprim17ROCPRIM_400000_NS6detail17trampoline_kernelINS0_14default_configENS1_27scan_by_key_config_selectorIisEEZZNS1_16scan_by_key_implILNS1_25lookback_scan_determinismE0ELb0ES3_N6thrust23THRUST_200600_302600_NS6detail15normal_iteratorINS9_10device_ptrIiEEEENSB_INSC_IsEEEESG_sNS9_4plusIvEENS9_8equal_toIvEEsEE10hipError_tPvRmT2_T3_T4_T5_mT6_T7_P12ihipStream_tbENKUlT_T0_E_clISt17integral_constantIbLb1EES11_EEDaSW_SX_EUlSW_E_NS1_11comp_targetILNS1_3genE9ELNS1_11target_archE1100ELNS1_3gpuE3ELNS1_3repE0EEENS1_30default_config_static_selectorELNS0_4arch9wavefront6targetE0EEEvT1_.numbered_sgpr, 0
	.set _ZN7rocprim17ROCPRIM_400000_NS6detail17trampoline_kernelINS0_14default_configENS1_27scan_by_key_config_selectorIisEEZZNS1_16scan_by_key_implILNS1_25lookback_scan_determinismE0ELb0ES3_N6thrust23THRUST_200600_302600_NS6detail15normal_iteratorINS9_10device_ptrIiEEEENSB_INSC_IsEEEESG_sNS9_4plusIvEENS9_8equal_toIvEEsEE10hipError_tPvRmT2_T3_T4_T5_mT6_T7_P12ihipStream_tbENKUlT_T0_E_clISt17integral_constantIbLb1EES11_EEDaSW_SX_EUlSW_E_NS1_11comp_targetILNS1_3genE9ELNS1_11target_archE1100ELNS1_3gpuE3ELNS1_3repE0EEENS1_30default_config_static_selectorELNS0_4arch9wavefront6targetE0EEEvT1_.num_named_barrier, 0
	.set _ZN7rocprim17ROCPRIM_400000_NS6detail17trampoline_kernelINS0_14default_configENS1_27scan_by_key_config_selectorIisEEZZNS1_16scan_by_key_implILNS1_25lookback_scan_determinismE0ELb0ES3_N6thrust23THRUST_200600_302600_NS6detail15normal_iteratorINS9_10device_ptrIiEEEENSB_INSC_IsEEEESG_sNS9_4plusIvEENS9_8equal_toIvEEsEE10hipError_tPvRmT2_T3_T4_T5_mT6_T7_P12ihipStream_tbENKUlT_T0_E_clISt17integral_constantIbLb1EES11_EEDaSW_SX_EUlSW_E_NS1_11comp_targetILNS1_3genE9ELNS1_11target_archE1100ELNS1_3gpuE3ELNS1_3repE0EEENS1_30default_config_static_selectorELNS0_4arch9wavefront6targetE0EEEvT1_.private_seg_size, 0
	.set _ZN7rocprim17ROCPRIM_400000_NS6detail17trampoline_kernelINS0_14default_configENS1_27scan_by_key_config_selectorIisEEZZNS1_16scan_by_key_implILNS1_25lookback_scan_determinismE0ELb0ES3_N6thrust23THRUST_200600_302600_NS6detail15normal_iteratorINS9_10device_ptrIiEEEENSB_INSC_IsEEEESG_sNS9_4plusIvEENS9_8equal_toIvEEsEE10hipError_tPvRmT2_T3_T4_T5_mT6_T7_P12ihipStream_tbENKUlT_T0_E_clISt17integral_constantIbLb1EES11_EEDaSW_SX_EUlSW_E_NS1_11comp_targetILNS1_3genE9ELNS1_11target_archE1100ELNS1_3gpuE3ELNS1_3repE0EEENS1_30default_config_static_selectorELNS0_4arch9wavefront6targetE0EEEvT1_.uses_vcc, 0
	.set _ZN7rocprim17ROCPRIM_400000_NS6detail17trampoline_kernelINS0_14default_configENS1_27scan_by_key_config_selectorIisEEZZNS1_16scan_by_key_implILNS1_25lookback_scan_determinismE0ELb0ES3_N6thrust23THRUST_200600_302600_NS6detail15normal_iteratorINS9_10device_ptrIiEEEENSB_INSC_IsEEEESG_sNS9_4plusIvEENS9_8equal_toIvEEsEE10hipError_tPvRmT2_T3_T4_T5_mT6_T7_P12ihipStream_tbENKUlT_T0_E_clISt17integral_constantIbLb1EES11_EEDaSW_SX_EUlSW_E_NS1_11comp_targetILNS1_3genE9ELNS1_11target_archE1100ELNS1_3gpuE3ELNS1_3repE0EEENS1_30default_config_static_selectorELNS0_4arch9wavefront6targetE0EEEvT1_.uses_flat_scratch, 0
	.set _ZN7rocprim17ROCPRIM_400000_NS6detail17trampoline_kernelINS0_14default_configENS1_27scan_by_key_config_selectorIisEEZZNS1_16scan_by_key_implILNS1_25lookback_scan_determinismE0ELb0ES3_N6thrust23THRUST_200600_302600_NS6detail15normal_iteratorINS9_10device_ptrIiEEEENSB_INSC_IsEEEESG_sNS9_4plusIvEENS9_8equal_toIvEEsEE10hipError_tPvRmT2_T3_T4_T5_mT6_T7_P12ihipStream_tbENKUlT_T0_E_clISt17integral_constantIbLb1EES11_EEDaSW_SX_EUlSW_E_NS1_11comp_targetILNS1_3genE9ELNS1_11target_archE1100ELNS1_3gpuE3ELNS1_3repE0EEENS1_30default_config_static_selectorELNS0_4arch9wavefront6targetE0EEEvT1_.has_dyn_sized_stack, 0
	.set _ZN7rocprim17ROCPRIM_400000_NS6detail17trampoline_kernelINS0_14default_configENS1_27scan_by_key_config_selectorIisEEZZNS1_16scan_by_key_implILNS1_25lookback_scan_determinismE0ELb0ES3_N6thrust23THRUST_200600_302600_NS6detail15normal_iteratorINS9_10device_ptrIiEEEENSB_INSC_IsEEEESG_sNS9_4plusIvEENS9_8equal_toIvEEsEE10hipError_tPvRmT2_T3_T4_T5_mT6_T7_P12ihipStream_tbENKUlT_T0_E_clISt17integral_constantIbLb1EES11_EEDaSW_SX_EUlSW_E_NS1_11comp_targetILNS1_3genE9ELNS1_11target_archE1100ELNS1_3gpuE3ELNS1_3repE0EEENS1_30default_config_static_selectorELNS0_4arch9wavefront6targetE0EEEvT1_.has_recursion, 0
	.set _ZN7rocprim17ROCPRIM_400000_NS6detail17trampoline_kernelINS0_14default_configENS1_27scan_by_key_config_selectorIisEEZZNS1_16scan_by_key_implILNS1_25lookback_scan_determinismE0ELb0ES3_N6thrust23THRUST_200600_302600_NS6detail15normal_iteratorINS9_10device_ptrIiEEEENSB_INSC_IsEEEESG_sNS9_4plusIvEENS9_8equal_toIvEEsEE10hipError_tPvRmT2_T3_T4_T5_mT6_T7_P12ihipStream_tbENKUlT_T0_E_clISt17integral_constantIbLb1EES11_EEDaSW_SX_EUlSW_E_NS1_11comp_targetILNS1_3genE9ELNS1_11target_archE1100ELNS1_3gpuE3ELNS1_3repE0EEENS1_30default_config_static_selectorELNS0_4arch9wavefront6targetE0EEEvT1_.has_indirect_call, 0
	.section	.AMDGPU.csdata,"",@progbits
; Kernel info:
; codeLenInByte = 0
; TotalNumSgprs: 0
; NumVgprs: 0
; ScratchSize: 0
; MemoryBound: 0
; FloatMode: 240
; IeeeMode: 1
; LDSByteSize: 0 bytes/workgroup (compile time only)
; SGPRBlocks: 0
; VGPRBlocks: 0
; NumSGPRsForWavesPerEU: 1
; NumVGPRsForWavesPerEU: 1
; NamedBarCnt: 0
; Occupancy: 16
; WaveLimiterHint : 0
; COMPUTE_PGM_RSRC2:SCRATCH_EN: 0
; COMPUTE_PGM_RSRC2:USER_SGPR: 2
; COMPUTE_PGM_RSRC2:TRAP_HANDLER: 0
; COMPUTE_PGM_RSRC2:TGID_X_EN: 1
; COMPUTE_PGM_RSRC2:TGID_Y_EN: 0
; COMPUTE_PGM_RSRC2:TGID_Z_EN: 0
; COMPUTE_PGM_RSRC2:TIDIG_COMP_CNT: 0
	.section	.text._ZN7rocprim17ROCPRIM_400000_NS6detail17trampoline_kernelINS0_14default_configENS1_27scan_by_key_config_selectorIisEEZZNS1_16scan_by_key_implILNS1_25lookback_scan_determinismE0ELb0ES3_N6thrust23THRUST_200600_302600_NS6detail15normal_iteratorINS9_10device_ptrIiEEEENSB_INSC_IsEEEESG_sNS9_4plusIvEENS9_8equal_toIvEEsEE10hipError_tPvRmT2_T3_T4_T5_mT6_T7_P12ihipStream_tbENKUlT_T0_E_clISt17integral_constantIbLb1EES11_EEDaSW_SX_EUlSW_E_NS1_11comp_targetILNS1_3genE8ELNS1_11target_archE1030ELNS1_3gpuE2ELNS1_3repE0EEENS1_30default_config_static_selectorELNS0_4arch9wavefront6targetE0EEEvT1_,"axG",@progbits,_ZN7rocprim17ROCPRIM_400000_NS6detail17trampoline_kernelINS0_14default_configENS1_27scan_by_key_config_selectorIisEEZZNS1_16scan_by_key_implILNS1_25lookback_scan_determinismE0ELb0ES3_N6thrust23THRUST_200600_302600_NS6detail15normal_iteratorINS9_10device_ptrIiEEEENSB_INSC_IsEEEESG_sNS9_4plusIvEENS9_8equal_toIvEEsEE10hipError_tPvRmT2_T3_T4_T5_mT6_T7_P12ihipStream_tbENKUlT_T0_E_clISt17integral_constantIbLb1EES11_EEDaSW_SX_EUlSW_E_NS1_11comp_targetILNS1_3genE8ELNS1_11target_archE1030ELNS1_3gpuE2ELNS1_3repE0EEENS1_30default_config_static_selectorELNS0_4arch9wavefront6targetE0EEEvT1_,comdat
	.protected	_ZN7rocprim17ROCPRIM_400000_NS6detail17trampoline_kernelINS0_14default_configENS1_27scan_by_key_config_selectorIisEEZZNS1_16scan_by_key_implILNS1_25lookback_scan_determinismE0ELb0ES3_N6thrust23THRUST_200600_302600_NS6detail15normal_iteratorINS9_10device_ptrIiEEEENSB_INSC_IsEEEESG_sNS9_4plusIvEENS9_8equal_toIvEEsEE10hipError_tPvRmT2_T3_T4_T5_mT6_T7_P12ihipStream_tbENKUlT_T0_E_clISt17integral_constantIbLb1EES11_EEDaSW_SX_EUlSW_E_NS1_11comp_targetILNS1_3genE8ELNS1_11target_archE1030ELNS1_3gpuE2ELNS1_3repE0EEENS1_30default_config_static_selectorELNS0_4arch9wavefront6targetE0EEEvT1_ ; -- Begin function _ZN7rocprim17ROCPRIM_400000_NS6detail17trampoline_kernelINS0_14default_configENS1_27scan_by_key_config_selectorIisEEZZNS1_16scan_by_key_implILNS1_25lookback_scan_determinismE0ELb0ES3_N6thrust23THRUST_200600_302600_NS6detail15normal_iteratorINS9_10device_ptrIiEEEENSB_INSC_IsEEEESG_sNS9_4plusIvEENS9_8equal_toIvEEsEE10hipError_tPvRmT2_T3_T4_T5_mT6_T7_P12ihipStream_tbENKUlT_T0_E_clISt17integral_constantIbLb1EES11_EEDaSW_SX_EUlSW_E_NS1_11comp_targetILNS1_3genE8ELNS1_11target_archE1030ELNS1_3gpuE2ELNS1_3repE0EEENS1_30default_config_static_selectorELNS0_4arch9wavefront6targetE0EEEvT1_
	.globl	_ZN7rocprim17ROCPRIM_400000_NS6detail17trampoline_kernelINS0_14default_configENS1_27scan_by_key_config_selectorIisEEZZNS1_16scan_by_key_implILNS1_25lookback_scan_determinismE0ELb0ES3_N6thrust23THRUST_200600_302600_NS6detail15normal_iteratorINS9_10device_ptrIiEEEENSB_INSC_IsEEEESG_sNS9_4plusIvEENS9_8equal_toIvEEsEE10hipError_tPvRmT2_T3_T4_T5_mT6_T7_P12ihipStream_tbENKUlT_T0_E_clISt17integral_constantIbLb1EES11_EEDaSW_SX_EUlSW_E_NS1_11comp_targetILNS1_3genE8ELNS1_11target_archE1030ELNS1_3gpuE2ELNS1_3repE0EEENS1_30default_config_static_selectorELNS0_4arch9wavefront6targetE0EEEvT1_
	.p2align	8
	.type	_ZN7rocprim17ROCPRIM_400000_NS6detail17trampoline_kernelINS0_14default_configENS1_27scan_by_key_config_selectorIisEEZZNS1_16scan_by_key_implILNS1_25lookback_scan_determinismE0ELb0ES3_N6thrust23THRUST_200600_302600_NS6detail15normal_iteratorINS9_10device_ptrIiEEEENSB_INSC_IsEEEESG_sNS9_4plusIvEENS9_8equal_toIvEEsEE10hipError_tPvRmT2_T3_T4_T5_mT6_T7_P12ihipStream_tbENKUlT_T0_E_clISt17integral_constantIbLb1EES11_EEDaSW_SX_EUlSW_E_NS1_11comp_targetILNS1_3genE8ELNS1_11target_archE1030ELNS1_3gpuE2ELNS1_3repE0EEENS1_30default_config_static_selectorELNS0_4arch9wavefront6targetE0EEEvT1_,@function
_ZN7rocprim17ROCPRIM_400000_NS6detail17trampoline_kernelINS0_14default_configENS1_27scan_by_key_config_selectorIisEEZZNS1_16scan_by_key_implILNS1_25lookback_scan_determinismE0ELb0ES3_N6thrust23THRUST_200600_302600_NS6detail15normal_iteratorINS9_10device_ptrIiEEEENSB_INSC_IsEEEESG_sNS9_4plusIvEENS9_8equal_toIvEEsEE10hipError_tPvRmT2_T3_T4_T5_mT6_T7_P12ihipStream_tbENKUlT_T0_E_clISt17integral_constantIbLb1EES11_EEDaSW_SX_EUlSW_E_NS1_11comp_targetILNS1_3genE8ELNS1_11target_archE1030ELNS1_3gpuE2ELNS1_3repE0EEENS1_30default_config_static_selectorELNS0_4arch9wavefront6targetE0EEEvT1_: ; @_ZN7rocprim17ROCPRIM_400000_NS6detail17trampoline_kernelINS0_14default_configENS1_27scan_by_key_config_selectorIisEEZZNS1_16scan_by_key_implILNS1_25lookback_scan_determinismE0ELb0ES3_N6thrust23THRUST_200600_302600_NS6detail15normal_iteratorINS9_10device_ptrIiEEEENSB_INSC_IsEEEESG_sNS9_4plusIvEENS9_8equal_toIvEEsEE10hipError_tPvRmT2_T3_T4_T5_mT6_T7_P12ihipStream_tbENKUlT_T0_E_clISt17integral_constantIbLb1EES11_EEDaSW_SX_EUlSW_E_NS1_11comp_targetILNS1_3genE8ELNS1_11target_archE1030ELNS1_3gpuE2ELNS1_3repE0EEENS1_30default_config_static_selectorELNS0_4arch9wavefront6targetE0EEEvT1_
; %bb.0:
	.section	.rodata,"a",@progbits
	.p2align	6, 0x0
	.amdhsa_kernel _ZN7rocprim17ROCPRIM_400000_NS6detail17trampoline_kernelINS0_14default_configENS1_27scan_by_key_config_selectorIisEEZZNS1_16scan_by_key_implILNS1_25lookback_scan_determinismE0ELb0ES3_N6thrust23THRUST_200600_302600_NS6detail15normal_iteratorINS9_10device_ptrIiEEEENSB_INSC_IsEEEESG_sNS9_4plusIvEENS9_8equal_toIvEEsEE10hipError_tPvRmT2_T3_T4_T5_mT6_T7_P12ihipStream_tbENKUlT_T0_E_clISt17integral_constantIbLb1EES11_EEDaSW_SX_EUlSW_E_NS1_11comp_targetILNS1_3genE8ELNS1_11target_archE1030ELNS1_3gpuE2ELNS1_3repE0EEENS1_30default_config_static_selectorELNS0_4arch9wavefront6targetE0EEEvT1_
		.amdhsa_group_segment_fixed_size 0
		.amdhsa_private_segment_fixed_size 0
		.amdhsa_kernarg_size 112
		.amdhsa_user_sgpr_count 2
		.amdhsa_user_sgpr_dispatch_ptr 0
		.amdhsa_user_sgpr_queue_ptr 0
		.amdhsa_user_sgpr_kernarg_segment_ptr 1
		.amdhsa_user_sgpr_dispatch_id 0
		.amdhsa_user_sgpr_kernarg_preload_length 0
		.amdhsa_user_sgpr_kernarg_preload_offset 0
		.amdhsa_user_sgpr_private_segment_size 0
		.amdhsa_wavefront_size32 1
		.amdhsa_uses_dynamic_stack 0
		.amdhsa_enable_private_segment 0
		.amdhsa_system_sgpr_workgroup_id_x 1
		.amdhsa_system_sgpr_workgroup_id_y 0
		.amdhsa_system_sgpr_workgroup_id_z 0
		.amdhsa_system_sgpr_workgroup_info 0
		.amdhsa_system_vgpr_workitem_id 0
		.amdhsa_next_free_vgpr 1
		.amdhsa_next_free_sgpr 1
		.amdhsa_named_barrier_count 0
		.amdhsa_reserve_vcc 0
		.amdhsa_float_round_mode_32 0
		.amdhsa_float_round_mode_16_64 0
		.amdhsa_float_denorm_mode_32 3
		.amdhsa_float_denorm_mode_16_64 3
		.amdhsa_fp16_overflow 0
		.amdhsa_memory_ordered 1
		.amdhsa_forward_progress 1
		.amdhsa_inst_pref_size 0
		.amdhsa_round_robin_scheduling 0
		.amdhsa_exception_fp_ieee_invalid_op 0
		.amdhsa_exception_fp_denorm_src 0
		.amdhsa_exception_fp_ieee_div_zero 0
		.amdhsa_exception_fp_ieee_overflow 0
		.amdhsa_exception_fp_ieee_underflow 0
		.amdhsa_exception_fp_ieee_inexact 0
		.amdhsa_exception_int_div_zero 0
	.end_amdhsa_kernel
	.section	.text._ZN7rocprim17ROCPRIM_400000_NS6detail17trampoline_kernelINS0_14default_configENS1_27scan_by_key_config_selectorIisEEZZNS1_16scan_by_key_implILNS1_25lookback_scan_determinismE0ELb0ES3_N6thrust23THRUST_200600_302600_NS6detail15normal_iteratorINS9_10device_ptrIiEEEENSB_INSC_IsEEEESG_sNS9_4plusIvEENS9_8equal_toIvEEsEE10hipError_tPvRmT2_T3_T4_T5_mT6_T7_P12ihipStream_tbENKUlT_T0_E_clISt17integral_constantIbLb1EES11_EEDaSW_SX_EUlSW_E_NS1_11comp_targetILNS1_3genE8ELNS1_11target_archE1030ELNS1_3gpuE2ELNS1_3repE0EEENS1_30default_config_static_selectorELNS0_4arch9wavefront6targetE0EEEvT1_,"axG",@progbits,_ZN7rocprim17ROCPRIM_400000_NS6detail17trampoline_kernelINS0_14default_configENS1_27scan_by_key_config_selectorIisEEZZNS1_16scan_by_key_implILNS1_25lookback_scan_determinismE0ELb0ES3_N6thrust23THRUST_200600_302600_NS6detail15normal_iteratorINS9_10device_ptrIiEEEENSB_INSC_IsEEEESG_sNS9_4plusIvEENS9_8equal_toIvEEsEE10hipError_tPvRmT2_T3_T4_T5_mT6_T7_P12ihipStream_tbENKUlT_T0_E_clISt17integral_constantIbLb1EES11_EEDaSW_SX_EUlSW_E_NS1_11comp_targetILNS1_3genE8ELNS1_11target_archE1030ELNS1_3gpuE2ELNS1_3repE0EEENS1_30default_config_static_selectorELNS0_4arch9wavefront6targetE0EEEvT1_,comdat
.Lfunc_end1370:
	.size	_ZN7rocprim17ROCPRIM_400000_NS6detail17trampoline_kernelINS0_14default_configENS1_27scan_by_key_config_selectorIisEEZZNS1_16scan_by_key_implILNS1_25lookback_scan_determinismE0ELb0ES3_N6thrust23THRUST_200600_302600_NS6detail15normal_iteratorINS9_10device_ptrIiEEEENSB_INSC_IsEEEESG_sNS9_4plusIvEENS9_8equal_toIvEEsEE10hipError_tPvRmT2_T3_T4_T5_mT6_T7_P12ihipStream_tbENKUlT_T0_E_clISt17integral_constantIbLb1EES11_EEDaSW_SX_EUlSW_E_NS1_11comp_targetILNS1_3genE8ELNS1_11target_archE1030ELNS1_3gpuE2ELNS1_3repE0EEENS1_30default_config_static_selectorELNS0_4arch9wavefront6targetE0EEEvT1_, .Lfunc_end1370-_ZN7rocprim17ROCPRIM_400000_NS6detail17trampoline_kernelINS0_14default_configENS1_27scan_by_key_config_selectorIisEEZZNS1_16scan_by_key_implILNS1_25lookback_scan_determinismE0ELb0ES3_N6thrust23THRUST_200600_302600_NS6detail15normal_iteratorINS9_10device_ptrIiEEEENSB_INSC_IsEEEESG_sNS9_4plusIvEENS9_8equal_toIvEEsEE10hipError_tPvRmT2_T3_T4_T5_mT6_T7_P12ihipStream_tbENKUlT_T0_E_clISt17integral_constantIbLb1EES11_EEDaSW_SX_EUlSW_E_NS1_11comp_targetILNS1_3genE8ELNS1_11target_archE1030ELNS1_3gpuE2ELNS1_3repE0EEENS1_30default_config_static_selectorELNS0_4arch9wavefront6targetE0EEEvT1_
                                        ; -- End function
	.set _ZN7rocprim17ROCPRIM_400000_NS6detail17trampoline_kernelINS0_14default_configENS1_27scan_by_key_config_selectorIisEEZZNS1_16scan_by_key_implILNS1_25lookback_scan_determinismE0ELb0ES3_N6thrust23THRUST_200600_302600_NS6detail15normal_iteratorINS9_10device_ptrIiEEEENSB_INSC_IsEEEESG_sNS9_4plusIvEENS9_8equal_toIvEEsEE10hipError_tPvRmT2_T3_T4_T5_mT6_T7_P12ihipStream_tbENKUlT_T0_E_clISt17integral_constantIbLb1EES11_EEDaSW_SX_EUlSW_E_NS1_11comp_targetILNS1_3genE8ELNS1_11target_archE1030ELNS1_3gpuE2ELNS1_3repE0EEENS1_30default_config_static_selectorELNS0_4arch9wavefront6targetE0EEEvT1_.num_vgpr, 0
	.set _ZN7rocprim17ROCPRIM_400000_NS6detail17trampoline_kernelINS0_14default_configENS1_27scan_by_key_config_selectorIisEEZZNS1_16scan_by_key_implILNS1_25lookback_scan_determinismE0ELb0ES3_N6thrust23THRUST_200600_302600_NS6detail15normal_iteratorINS9_10device_ptrIiEEEENSB_INSC_IsEEEESG_sNS9_4plusIvEENS9_8equal_toIvEEsEE10hipError_tPvRmT2_T3_T4_T5_mT6_T7_P12ihipStream_tbENKUlT_T0_E_clISt17integral_constantIbLb1EES11_EEDaSW_SX_EUlSW_E_NS1_11comp_targetILNS1_3genE8ELNS1_11target_archE1030ELNS1_3gpuE2ELNS1_3repE0EEENS1_30default_config_static_selectorELNS0_4arch9wavefront6targetE0EEEvT1_.num_agpr, 0
	.set _ZN7rocprim17ROCPRIM_400000_NS6detail17trampoline_kernelINS0_14default_configENS1_27scan_by_key_config_selectorIisEEZZNS1_16scan_by_key_implILNS1_25lookback_scan_determinismE0ELb0ES3_N6thrust23THRUST_200600_302600_NS6detail15normal_iteratorINS9_10device_ptrIiEEEENSB_INSC_IsEEEESG_sNS9_4plusIvEENS9_8equal_toIvEEsEE10hipError_tPvRmT2_T3_T4_T5_mT6_T7_P12ihipStream_tbENKUlT_T0_E_clISt17integral_constantIbLb1EES11_EEDaSW_SX_EUlSW_E_NS1_11comp_targetILNS1_3genE8ELNS1_11target_archE1030ELNS1_3gpuE2ELNS1_3repE0EEENS1_30default_config_static_selectorELNS0_4arch9wavefront6targetE0EEEvT1_.numbered_sgpr, 0
	.set _ZN7rocprim17ROCPRIM_400000_NS6detail17trampoline_kernelINS0_14default_configENS1_27scan_by_key_config_selectorIisEEZZNS1_16scan_by_key_implILNS1_25lookback_scan_determinismE0ELb0ES3_N6thrust23THRUST_200600_302600_NS6detail15normal_iteratorINS9_10device_ptrIiEEEENSB_INSC_IsEEEESG_sNS9_4plusIvEENS9_8equal_toIvEEsEE10hipError_tPvRmT2_T3_T4_T5_mT6_T7_P12ihipStream_tbENKUlT_T0_E_clISt17integral_constantIbLb1EES11_EEDaSW_SX_EUlSW_E_NS1_11comp_targetILNS1_3genE8ELNS1_11target_archE1030ELNS1_3gpuE2ELNS1_3repE0EEENS1_30default_config_static_selectorELNS0_4arch9wavefront6targetE0EEEvT1_.num_named_barrier, 0
	.set _ZN7rocprim17ROCPRIM_400000_NS6detail17trampoline_kernelINS0_14default_configENS1_27scan_by_key_config_selectorIisEEZZNS1_16scan_by_key_implILNS1_25lookback_scan_determinismE0ELb0ES3_N6thrust23THRUST_200600_302600_NS6detail15normal_iteratorINS9_10device_ptrIiEEEENSB_INSC_IsEEEESG_sNS9_4plusIvEENS9_8equal_toIvEEsEE10hipError_tPvRmT2_T3_T4_T5_mT6_T7_P12ihipStream_tbENKUlT_T0_E_clISt17integral_constantIbLb1EES11_EEDaSW_SX_EUlSW_E_NS1_11comp_targetILNS1_3genE8ELNS1_11target_archE1030ELNS1_3gpuE2ELNS1_3repE0EEENS1_30default_config_static_selectorELNS0_4arch9wavefront6targetE0EEEvT1_.private_seg_size, 0
	.set _ZN7rocprim17ROCPRIM_400000_NS6detail17trampoline_kernelINS0_14default_configENS1_27scan_by_key_config_selectorIisEEZZNS1_16scan_by_key_implILNS1_25lookback_scan_determinismE0ELb0ES3_N6thrust23THRUST_200600_302600_NS6detail15normal_iteratorINS9_10device_ptrIiEEEENSB_INSC_IsEEEESG_sNS9_4plusIvEENS9_8equal_toIvEEsEE10hipError_tPvRmT2_T3_T4_T5_mT6_T7_P12ihipStream_tbENKUlT_T0_E_clISt17integral_constantIbLb1EES11_EEDaSW_SX_EUlSW_E_NS1_11comp_targetILNS1_3genE8ELNS1_11target_archE1030ELNS1_3gpuE2ELNS1_3repE0EEENS1_30default_config_static_selectorELNS0_4arch9wavefront6targetE0EEEvT1_.uses_vcc, 0
	.set _ZN7rocprim17ROCPRIM_400000_NS6detail17trampoline_kernelINS0_14default_configENS1_27scan_by_key_config_selectorIisEEZZNS1_16scan_by_key_implILNS1_25lookback_scan_determinismE0ELb0ES3_N6thrust23THRUST_200600_302600_NS6detail15normal_iteratorINS9_10device_ptrIiEEEENSB_INSC_IsEEEESG_sNS9_4plusIvEENS9_8equal_toIvEEsEE10hipError_tPvRmT2_T3_T4_T5_mT6_T7_P12ihipStream_tbENKUlT_T0_E_clISt17integral_constantIbLb1EES11_EEDaSW_SX_EUlSW_E_NS1_11comp_targetILNS1_3genE8ELNS1_11target_archE1030ELNS1_3gpuE2ELNS1_3repE0EEENS1_30default_config_static_selectorELNS0_4arch9wavefront6targetE0EEEvT1_.uses_flat_scratch, 0
	.set _ZN7rocprim17ROCPRIM_400000_NS6detail17trampoline_kernelINS0_14default_configENS1_27scan_by_key_config_selectorIisEEZZNS1_16scan_by_key_implILNS1_25lookback_scan_determinismE0ELb0ES3_N6thrust23THRUST_200600_302600_NS6detail15normal_iteratorINS9_10device_ptrIiEEEENSB_INSC_IsEEEESG_sNS9_4plusIvEENS9_8equal_toIvEEsEE10hipError_tPvRmT2_T3_T4_T5_mT6_T7_P12ihipStream_tbENKUlT_T0_E_clISt17integral_constantIbLb1EES11_EEDaSW_SX_EUlSW_E_NS1_11comp_targetILNS1_3genE8ELNS1_11target_archE1030ELNS1_3gpuE2ELNS1_3repE0EEENS1_30default_config_static_selectorELNS0_4arch9wavefront6targetE0EEEvT1_.has_dyn_sized_stack, 0
	.set _ZN7rocprim17ROCPRIM_400000_NS6detail17trampoline_kernelINS0_14default_configENS1_27scan_by_key_config_selectorIisEEZZNS1_16scan_by_key_implILNS1_25lookback_scan_determinismE0ELb0ES3_N6thrust23THRUST_200600_302600_NS6detail15normal_iteratorINS9_10device_ptrIiEEEENSB_INSC_IsEEEESG_sNS9_4plusIvEENS9_8equal_toIvEEsEE10hipError_tPvRmT2_T3_T4_T5_mT6_T7_P12ihipStream_tbENKUlT_T0_E_clISt17integral_constantIbLb1EES11_EEDaSW_SX_EUlSW_E_NS1_11comp_targetILNS1_3genE8ELNS1_11target_archE1030ELNS1_3gpuE2ELNS1_3repE0EEENS1_30default_config_static_selectorELNS0_4arch9wavefront6targetE0EEEvT1_.has_recursion, 0
	.set _ZN7rocprim17ROCPRIM_400000_NS6detail17trampoline_kernelINS0_14default_configENS1_27scan_by_key_config_selectorIisEEZZNS1_16scan_by_key_implILNS1_25lookback_scan_determinismE0ELb0ES3_N6thrust23THRUST_200600_302600_NS6detail15normal_iteratorINS9_10device_ptrIiEEEENSB_INSC_IsEEEESG_sNS9_4plusIvEENS9_8equal_toIvEEsEE10hipError_tPvRmT2_T3_T4_T5_mT6_T7_P12ihipStream_tbENKUlT_T0_E_clISt17integral_constantIbLb1EES11_EEDaSW_SX_EUlSW_E_NS1_11comp_targetILNS1_3genE8ELNS1_11target_archE1030ELNS1_3gpuE2ELNS1_3repE0EEENS1_30default_config_static_selectorELNS0_4arch9wavefront6targetE0EEEvT1_.has_indirect_call, 0
	.section	.AMDGPU.csdata,"",@progbits
; Kernel info:
; codeLenInByte = 0
; TotalNumSgprs: 0
; NumVgprs: 0
; ScratchSize: 0
; MemoryBound: 0
; FloatMode: 240
; IeeeMode: 1
; LDSByteSize: 0 bytes/workgroup (compile time only)
; SGPRBlocks: 0
; VGPRBlocks: 0
; NumSGPRsForWavesPerEU: 1
; NumVGPRsForWavesPerEU: 1
; NamedBarCnt: 0
; Occupancy: 16
; WaveLimiterHint : 0
; COMPUTE_PGM_RSRC2:SCRATCH_EN: 0
; COMPUTE_PGM_RSRC2:USER_SGPR: 2
; COMPUTE_PGM_RSRC2:TRAP_HANDLER: 0
; COMPUTE_PGM_RSRC2:TGID_X_EN: 1
; COMPUTE_PGM_RSRC2:TGID_Y_EN: 0
; COMPUTE_PGM_RSRC2:TGID_Z_EN: 0
; COMPUTE_PGM_RSRC2:TIDIG_COMP_CNT: 0
	.section	.text._ZN7rocprim17ROCPRIM_400000_NS6detail30init_device_scan_by_key_kernelINS1_19lookback_scan_stateINS0_5tupleIJsbEEELb1ELb1EEEN6thrust23THRUST_200600_302600_NS6detail15normal_iteratorINS8_10device_ptrIiEEEEjNS1_16block_id_wrapperIjLb0EEEEEvT_jjPNSG_10value_typeET0_PNSt15iterator_traitsISJ_E10value_typeEmT1_T2_,"axG",@progbits,_ZN7rocprim17ROCPRIM_400000_NS6detail30init_device_scan_by_key_kernelINS1_19lookback_scan_stateINS0_5tupleIJsbEEELb1ELb1EEEN6thrust23THRUST_200600_302600_NS6detail15normal_iteratorINS8_10device_ptrIiEEEEjNS1_16block_id_wrapperIjLb0EEEEEvT_jjPNSG_10value_typeET0_PNSt15iterator_traitsISJ_E10value_typeEmT1_T2_,comdat
	.protected	_ZN7rocprim17ROCPRIM_400000_NS6detail30init_device_scan_by_key_kernelINS1_19lookback_scan_stateINS0_5tupleIJsbEEELb1ELb1EEEN6thrust23THRUST_200600_302600_NS6detail15normal_iteratorINS8_10device_ptrIiEEEEjNS1_16block_id_wrapperIjLb0EEEEEvT_jjPNSG_10value_typeET0_PNSt15iterator_traitsISJ_E10value_typeEmT1_T2_ ; -- Begin function _ZN7rocprim17ROCPRIM_400000_NS6detail30init_device_scan_by_key_kernelINS1_19lookback_scan_stateINS0_5tupleIJsbEEELb1ELb1EEEN6thrust23THRUST_200600_302600_NS6detail15normal_iteratorINS8_10device_ptrIiEEEEjNS1_16block_id_wrapperIjLb0EEEEEvT_jjPNSG_10value_typeET0_PNSt15iterator_traitsISJ_E10value_typeEmT1_T2_
	.globl	_ZN7rocprim17ROCPRIM_400000_NS6detail30init_device_scan_by_key_kernelINS1_19lookback_scan_stateINS0_5tupleIJsbEEELb1ELb1EEEN6thrust23THRUST_200600_302600_NS6detail15normal_iteratorINS8_10device_ptrIiEEEEjNS1_16block_id_wrapperIjLb0EEEEEvT_jjPNSG_10value_typeET0_PNSt15iterator_traitsISJ_E10value_typeEmT1_T2_
	.p2align	8
	.type	_ZN7rocprim17ROCPRIM_400000_NS6detail30init_device_scan_by_key_kernelINS1_19lookback_scan_stateINS0_5tupleIJsbEEELb1ELb1EEEN6thrust23THRUST_200600_302600_NS6detail15normal_iteratorINS8_10device_ptrIiEEEEjNS1_16block_id_wrapperIjLb0EEEEEvT_jjPNSG_10value_typeET0_PNSt15iterator_traitsISJ_E10value_typeEmT1_T2_,@function
_ZN7rocprim17ROCPRIM_400000_NS6detail30init_device_scan_by_key_kernelINS1_19lookback_scan_stateINS0_5tupleIJsbEEELb1ELb1EEEN6thrust23THRUST_200600_302600_NS6detail15normal_iteratorINS8_10device_ptrIiEEEEjNS1_16block_id_wrapperIjLb0EEEEEvT_jjPNSG_10value_typeET0_PNSt15iterator_traitsISJ_E10value_typeEmT1_T2_: ; @_ZN7rocprim17ROCPRIM_400000_NS6detail30init_device_scan_by_key_kernelINS1_19lookback_scan_stateINS0_5tupleIJsbEEELb1ELb1EEEN6thrust23THRUST_200600_302600_NS6detail15normal_iteratorINS8_10device_ptrIiEEEEjNS1_16block_id_wrapperIjLb0EEEEEvT_jjPNSG_10value_typeET0_PNSt15iterator_traitsISJ_E10value_typeEmT1_T2_
; %bb.0:
	s_clause 0x2
	s_load_b32 s2, s[0:1], 0x44
	s_load_b32 s12, s[0:1], 0x38
	s_load_b256 s[4:11], s[0:1], 0x0
	s_bfe_u32 s3, ttmp6, 0x4000c
	s_and_b32 s14, ttmp6, 15
	s_add_co_i32 s3, s3, 1
	s_getreg_b32 s15, hwreg(HW_REG_IB_STS2, 6, 4)
	s_mul_i32 s3, ttmp9, s3
	s_delay_alu instid0(SALU_CYCLE_1)
	s_add_co_i32 s14, s14, s3
	s_wait_kmcnt 0x0
	s_and_b32 s13, s2, 0xffff
	s_cmp_eq_u32 s15, 0
	s_cselect_b32 s2, ttmp9, s14
	s_cmp_eq_u64 s[8:9], 0
	v_mad_u32 v0, s2, s13, v0
	s_cbranch_scc1 .LBB1371_9
; %bb.1:
	s_cmp_lt_u32 s7, s6
	s_mov_b32 s14, exec_lo
	s_cselect_b32 s2, s7, 0
	s_delay_alu instid0(VALU_DEP_1) | instid1(SALU_CYCLE_1)
	v_cmpx_eq_u32_e64 s2, v0
	s_cbranch_execz .LBB1371_8
; %bb.2:
	s_add_co_i32 s2, s7, 32
	s_delay_alu instid0(SALU_CYCLE_1) | instskip(SKIP_3) | instid1(VALU_DEP_1)
	v_dual_mov_b32 v2, 0 :: v_dual_mov_b32 v1, s2
	global_load_b64 v[4:5], v1, s[4:5] scale_offset scope:SCOPE_DEV
	s_wait_loadcnt 0x0
	v_and_b32_e32 v3, 0xff, v5
	v_cmp_ne_u64_e32 vcc_lo, 0, v[2:3]
	s_cbranch_vccnz .LBB1371_7
; %bb.3:
	s_mov_b32 s3, 0
	s_mov_b32 s7, 1
	s_lshl_b64 s[2:3], s[2:3], 3
	s_delay_alu instid0(SALU_CYCLE_1)
	s_add_nc_u64 s[2:3], s[4:5], s[2:3]
.LBB1371_4:                             ; =>This Loop Header: Depth=1
                                        ;     Child Loop BB1371_5 Depth 2
	s_mov_b32 s15, s7
.LBB1371_5:                             ;   Parent Loop BB1371_4 Depth=1
                                        ; =>  This Inner Loop Header: Depth=2
	s_delay_alu instid0(SALU_CYCLE_1)
	s_add_co_i32 s15, s15, -1
	s_sleep 1
	s_cmp_eq_u32 s15, 0
	s_cbranch_scc0 .LBB1371_5
; %bb.6:                                ;   in Loop: Header=BB1371_4 Depth=1
	global_load_b64 v[4:5], v2, s[2:3] scope:SCOPE_DEV
	s_cmp_lt_u32 s7, 32
	s_cselect_b32 s15, -1, 0
	s_delay_alu instid0(SALU_CYCLE_1) | instskip(SKIP_3) | instid1(VALU_DEP_1)
	s_cmp_lg_u32 s15, 0
	s_add_co_ci_u32 s7, s7, 0
	s_wait_loadcnt 0x0
	v_and_b32_e32 v3, 0xff, v5
	v_cmp_ne_u64_e32 vcc_lo, 0, v[2:3]
	s_cbranch_vccz .LBB1371_4
.LBB1371_7:
	v_mov_b32_e32 v1, 0
	s_clause 0x1
	global_store_b16 v1, v4, s[8:9]
	global_store_d16_hi_b8 v1, v4, s[8:9] offset:2
.LBB1371_8:
	s_wait_xcnt 0x0
	s_or_b32 exec_lo, exec_lo, s14
.LBB1371_9:
	s_delay_alu instid0(SALU_CYCLE_1) | instskip(NEXT) | instid1(VALU_DEP_1)
	s_mov_b32 s2, exec_lo
	v_cmpx_gt_u32_e64 s6, v0
	s_cbranch_execz .LBB1371_11
; %bb.10:
	v_mov_b64_e32 v[2:3], 0
	v_add_nc_u32_e32 v1, 32, v0
	global_store_b64 v1, v[2:3], s[4:5] scale_offset
.LBB1371_11:
	s_wait_xcnt 0x0
	s_or_b32 exec_lo, exec_lo, s2
	v_mov_b32_e32 v1, 0
	s_mov_b32 s2, exec_lo
	v_cmpx_gt_u32_e32 32, v0
	s_cbranch_execz .LBB1371_13
; %bb.12:
	v_mov_b64_e32 v[2:3], 0xff00000000
	v_lshl_add_u64 v[4:5], v[0:1], 3, s[4:5]
	global_store_b64 v[4:5], v[2:3], off
.LBB1371_13:
	s_wait_xcnt 0x0
	s_or_b32 exec_lo, exec_lo, s2
	s_load_b64 s[2:3], s[0:1], 0x28
	s_mov_b32 s4, exec_lo
	s_wait_kmcnt 0x0
	v_cmpx_gt_u64_e64 s[2:3], v[0:1]
	s_cbranch_execz .LBB1371_16
; %bb.14:
	s_clause 0x1
	s_load_b32 s4, s[0:1], 0x30
	s_load_b64 s[6:7], s[0:1], 0x20
	s_mov_b32 s5, 0
	s_wait_xcnt 0x0
	s_mul_i32 s0, s12, s13
	s_mov_b32 s9, s5
	s_mov_b32 s1, s5
	s_wait_kmcnt 0x0
	v_mul_u64_e32 v[2:3], s[4:5], v[0:1]
	s_add_co_i32 s8, s4, -1
	v_lshl_add_u64 v[4:5], v[0:1], 2, s[6:7]
	s_lshl_b64 s[8:9], s[8:9], 2
	s_delay_alu instid0(SALU_CYCLE_1) | instskip(SKIP_1) | instid1(SALU_CYCLE_1)
	s_add_nc_u64 s[8:9], s[10:11], s[8:9]
	s_mul_u64 s[10:11], s[4:5], s[0:1]
	s_lshl_b64 s[6:7], s[10:11], 2
	s_delay_alu instid0(VALU_DEP_2)
	v_lshl_add_u64 v[2:3], v[2:3], 2, s[8:9]
	s_lshl_b64 s[8:9], s[0:1], 2
.LBB1371_15:                            ; =>This Inner Loop Header: Depth=1
	global_load_b32 v6, v[2:3], off
	v_add_nc_u64_e32 v[0:1], s[0:1], v[0:1]
	s_wait_xcnt 0x0
	v_add_nc_u64_e32 v[2:3], s[6:7], v[2:3]
	s_delay_alu instid0(VALU_DEP_2)
	v_cmp_le_u64_e32 vcc_lo, s[2:3], v[0:1]
	s_or_b32 s5, vcc_lo, s5
	s_wait_loadcnt 0x0
	global_store_b32 v[4:5], v6, off
	s_wait_xcnt 0x0
	v_add_nc_u64_e32 v[4:5], s[8:9], v[4:5]
	s_and_not1_b32 exec_lo, exec_lo, s5
	s_cbranch_execnz .LBB1371_15
.LBB1371_16:
	s_endpgm
	.section	.rodata,"a",@progbits
	.p2align	6, 0x0
	.amdhsa_kernel _ZN7rocprim17ROCPRIM_400000_NS6detail30init_device_scan_by_key_kernelINS1_19lookback_scan_stateINS0_5tupleIJsbEEELb1ELb1EEEN6thrust23THRUST_200600_302600_NS6detail15normal_iteratorINS8_10device_ptrIiEEEEjNS1_16block_id_wrapperIjLb0EEEEEvT_jjPNSG_10value_typeET0_PNSt15iterator_traitsISJ_E10value_typeEmT1_T2_
		.amdhsa_group_segment_fixed_size 0
		.amdhsa_private_segment_fixed_size 0
		.amdhsa_kernarg_size 312
		.amdhsa_user_sgpr_count 2
		.amdhsa_user_sgpr_dispatch_ptr 0
		.amdhsa_user_sgpr_queue_ptr 0
		.amdhsa_user_sgpr_kernarg_segment_ptr 1
		.amdhsa_user_sgpr_dispatch_id 0
		.amdhsa_user_sgpr_kernarg_preload_length 0
		.amdhsa_user_sgpr_kernarg_preload_offset 0
		.amdhsa_user_sgpr_private_segment_size 0
		.amdhsa_wavefront_size32 1
		.amdhsa_uses_dynamic_stack 0
		.amdhsa_enable_private_segment 0
		.amdhsa_system_sgpr_workgroup_id_x 1
		.amdhsa_system_sgpr_workgroup_id_y 0
		.amdhsa_system_sgpr_workgroup_id_z 0
		.amdhsa_system_sgpr_workgroup_info 0
		.amdhsa_system_vgpr_workitem_id 0
		.amdhsa_next_free_vgpr 7
		.amdhsa_next_free_sgpr 16
		.amdhsa_named_barrier_count 0
		.amdhsa_reserve_vcc 1
		.amdhsa_float_round_mode_32 0
		.amdhsa_float_round_mode_16_64 0
		.amdhsa_float_denorm_mode_32 3
		.amdhsa_float_denorm_mode_16_64 3
		.amdhsa_fp16_overflow 0
		.amdhsa_memory_ordered 1
		.amdhsa_forward_progress 1
		.amdhsa_inst_pref_size 5
		.amdhsa_round_robin_scheduling 0
		.amdhsa_exception_fp_ieee_invalid_op 0
		.amdhsa_exception_fp_denorm_src 0
		.amdhsa_exception_fp_ieee_div_zero 0
		.amdhsa_exception_fp_ieee_overflow 0
		.amdhsa_exception_fp_ieee_underflow 0
		.amdhsa_exception_fp_ieee_inexact 0
		.amdhsa_exception_int_div_zero 0
	.end_amdhsa_kernel
	.section	.text._ZN7rocprim17ROCPRIM_400000_NS6detail30init_device_scan_by_key_kernelINS1_19lookback_scan_stateINS0_5tupleIJsbEEELb1ELb1EEEN6thrust23THRUST_200600_302600_NS6detail15normal_iteratorINS8_10device_ptrIiEEEEjNS1_16block_id_wrapperIjLb0EEEEEvT_jjPNSG_10value_typeET0_PNSt15iterator_traitsISJ_E10value_typeEmT1_T2_,"axG",@progbits,_ZN7rocprim17ROCPRIM_400000_NS6detail30init_device_scan_by_key_kernelINS1_19lookback_scan_stateINS0_5tupleIJsbEEELb1ELb1EEEN6thrust23THRUST_200600_302600_NS6detail15normal_iteratorINS8_10device_ptrIiEEEEjNS1_16block_id_wrapperIjLb0EEEEEvT_jjPNSG_10value_typeET0_PNSt15iterator_traitsISJ_E10value_typeEmT1_T2_,comdat
.Lfunc_end1371:
	.size	_ZN7rocprim17ROCPRIM_400000_NS6detail30init_device_scan_by_key_kernelINS1_19lookback_scan_stateINS0_5tupleIJsbEEELb1ELb1EEEN6thrust23THRUST_200600_302600_NS6detail15normal_iteratorINS8_10device_ptrIiEEEEjNS1_16block_id_wrapperIjLb0EEEEEvT_jjPNSG_10value_typeET0_PNSt15iterator_traitsISJ_E10value_typeEmT1_T2_, .Lfunc_end1371-_ZN7rocprim17ROCPRIM_400000_NS6detail30init_device_scan_by_key_kernelINS1_19lookback_scan_stateINS0_5tupleIJsbEEELb1ELb1EEEN6thrust23THRUST_200600_302600_NS6detail15normal_iteratorINS8_10device_ptrIiEEEEjNS1_16block_id_wrapperIjLb0EEEEEvT_jjPNSG_10value_typeET0_PNSt15iterator_traitsISJ_E10value_typeEmT1_T2_
                                        ; -- End function
	.set _ZN7rocprim17ROCPRIM_400000_NS6detail30init_device_scan_by_key_kernelINS1_19lookback_scan_stateINS0_5tupleIJsbEEELb1ELb1EEEN6thrust23THRUST_200600_302600_NS6detail15normal_iteratorINS8_10device_ptrIiEEEEjNS1_16block_id_wrapperIjLb0EEEEEvT_jjPNSG_10value_typeET0_PNSt15iterator_traitsISJ_E10value_typeEmT1_T2_.num_vgpr, 7
	.set _ZN7rocprim17ROCPRIM_400000_NS6detail30init_device_scan_by_key_kernelINS1_19lookback_scan_stateINS0_5tupleIJsbEEELb1ELb1EEEN6thrust23THRUST_200600_302600_NS6detail15normal_iteratorINS8_10device_ptrIiEEEEjNS1_16block_id_wrapperIjLb0EEEEEvT_jjPNSG_10value_typeET0_PNSt15iterator_traitsISJ_E10value_typeEmT1_T2_.num_agpr, 0
	.set _ZN7rocprim17ROCPRIM_400000_NS6detail30init_device_scan_by_key_kernelINS1_19lookback_scan_stateINS0_5tupleIJsbEEELb1ELb1EEEN6thrust23THRUST_200600_302600_NS6detail15normal_iteratorINS8_10device_ptrIiEEEEjNS1_16block_id_wrapperIjLb0EEEEEvT_jjPNSG_10value_typeET0_PNSt15iterator_traitsISJ_E10value_typeEmT1_T2_.numbered_sgpr, 16
	.set _ZN7rocprim17ROCPRIM_400000_NS6detail30init_device_scan_by_key_kernelINS1_19lookback_scan_stateINS0_5tupleIJsbEEELb1ELb1EEEN6thrust23THRUST_200600_302600_NS6detail15normal_iteratorINS8_10device_ptrIiEEEEjNS1_16block_id_wrapperIjLb0EEEEEvT_jjPNSG_10value_typeET0_PNSt15iterator_traitsISJ_E10value_typeEmT1_T2_.num_named_barrier, 0
	.set _ZN7rocprim17ROCPRIM_400000_NS6detail30init_device_scan_by_key_kernelINS1_19lookback_scan_stateINS0_5tupleIJsbEEELb1ELb1EEEN6thrust23THRUST_200600_302600_NS6detail15normal_iteratorINS8_10device_ptrIiEEEEjNS1_16block_id_wrapperIjLb0EEEEEvT_jjPNSG_10value_typeET0_PNSt15iterator_traitsISJ_E10value_typeEmT1_T2_.private_seg_size, 0
	.set _ZN7rocprim17ROCPRIM_400000_NS6detail30init_device_scan_by_key_kernelINS1_19lookback_scan_stateINS0_5tupleIJsbEEELb1ELb1EEEN6thrust23THRUST_200600_302600_NS6detail15normal_iteratorINS8_10device_ptrIiEEEEjNS1_16block_id_wrapperIjLb0EEEEEvT_jjPNSG_10value_typeET0_PNSt15iterator_traitsISJ_E10value_typeEmT1_T2_.uses_vcc, 1
	.set _ZN7rocprim17ROCPRIM_400000_NS6detail30init_device_scan_by_key_kernelINS1_19lookback_scan_stateINS0_5tupleIJsbEEELb1ELb1EEEN6thrust23THRUST_200600_302600_NS6detail15normal_iteratorINS8_10device_ptrIiEEEEjNS1_16block_id_wrapperIjLb0EEEEEvT_jjPNSG_10value_typeET0_PNSt15iterator_traitsISJ_E10value_typeEmT1_T2_.uses_flat_scratch, 0
	.set _ZN7rocprim17ROCPRIM_400000_NS6detail30init_device_scan_by_key_kernelINS1_19lookback_scan_stateINS0_5tupleIJsbEEELb1ELb1EEEN6thrust23THRUST_200600_302600_NS6detail15normal_iteratorINS8_10device_ptrIiEEEEjNS1_16block_id_wrapperIjLb0EEEEEvT_jjPNSG_10value_typeET0_PNSt15iterator_traitsISJ_E10value_typeEmT1_T2_.has_dyn_sized_stack, 0
	.set _ZN7rocprim17ROCPRIM_400000_NS6detail30init_device_scan_by_key_kernelINS1_19lookback_scan_stateINS0_5tupleIJsbEEELb1ELb1EEEN6thrust23THRUST_200600_302600_NS6detail15normal_iteratorINS8_10device_ptrIiEEEEjNS1_16block_id_wrapperIjLb0EEEEEvT_jjPNSG_10value_typeET0_PNSt15iterator_traitsISJ_E10value_typeEmT1_T2_.has_recursion, 0
	.set _ZN7rocprim17ROCPRIM_400000_NS6detail30init_device_scan_by_key_kernelINS1_19lookback_scan_stateINS0_5tupleIJsbEEELb1ELb1EEEN6thrust23THRUST_200600_302600_NS6detail15normal_iteratorINS8_10device_ptrIiEEEEjNS1_16block_id_wrapperIjLb0EEEEEvT_jjPNSG_10value_typeET0_PNSt15iterator_traitsISJ_E10value_typeEmT1_T2_.has_indirect_call, 0
	.section	.AMDGPU.csdata,"",@progbits
; Kernel info:
; codeLenInByte = 608
; TotalNumSgprs: 18
; NumVgprs: 7
; ScratchSize: 0
; MemoryBound: 0
; FloatMode: 240
; IeeeMode: 1
; LDSByteSize: 0 bytes/workgroup (compile time only)
; SGPRBlocks: 0
; VGPRBlocks: 0
; NumSGPRsForWavesPerEU: 18
; NumVGPRsForWavesPerEU: 7
; NamedBarCnt: 0
; Occupancy: 16
; WaveLimiterHint : 0
; COMPUTE_PGM_RSRC2:SCRATCH_EN: 0
; COMPUTE_PGM_RSRC2:USER_SGPR: 2
; COMPUTE_PGM_RSRC2:TRAP_HANDLER: 0
; COMPUTE_PGM_RSRC2:TGID_X_EN: 1
; COMPUTE_PGM_RSRC2:TGID_Y_EN: 0
; COMPUTE_PGM_RSRC2:TGID_Z_EN: 0
; COMPUTE_PGM_RSRC2:TIDIG_COMP_CNT: 0
	.section	.text._ZN7rocprim17ROCPRIM_400000_NS6detail17trampoline_kernelINS0_14default_configENS1_27scan_by_key_config_selectorIisEEZZNS1_16scan_by_key_implILNS1_25lookback_scan_determinismE0ELb0ES3_N6thrust23THRUST_200600_302600_NS6detail15normal_iteratorINS9_10device_ptrIiEEEENSB_INSC_IsEEEESG_sNS9_4plusIvEENS9_8equal_toIvEEsEE10hipError_tPvRmT2_T3_T4_T5_mT6_T7_P12ihipStream_tbENKUlT_T0_E_clISt17integral_constantIbLb1EES10_IbLb0EEEEDaSW_SX_EUlSW_E_NS1_11comp_targetILNS1_3genE0ELNS1_11target_archE4294967295ELNS1_3gpuE0ELNS1_3repE0EEENS1_30default_config_static_selectorELNS0_4arch9wavefront6targetE0EEEvT1_,"axG",@progbits,_ZN7rocprim17ROCPRIM_400000_NS6detail17trampoline_kernelINS0_14default_configENS1_27scan_by_key_config_selectorIisEEZZNS1_16scan_by_key_implILNS1_25lookback_scan_determinismE0ELb0ES3_N6thrust23THRUST_200600_302600_NS6detail15normal_iteratorINS9_10device_ptrIiEEEENSB_INSC_IsEEEESG_sNS9_4plusIvEENS9_8equal_toIvEEsEE10hipError_tPvRmT2_T3_T4_T5_mT6_T7_P12ihipStream_tbENKUlT_T0_E_clISt17integral_constantIbLb1EES10_IbLb0EEEEDaSW_SX_EUlSW_E_NS1_11comp_targetILNS1_3genE0ELNS1_11target_archE4294967295ELNS1_3gpuE0ELNS1_3repE0EEENS1_30default_config_static_selectorELNS0_4arch9wavefront6targetE0EEEvT1_,comdat
	.protected	_ZN7rocprim17ROCPRIM_400000_NS6detail17trampoline_kernelINS0_14default_configENS1_27scan_by_key_config_selectorIisEEZZNS1_16scan_by_key_implILNS1_25lookback_scan_determinismE0ELb0ES3_N6thrust23THRUST_200600_302600_NS6detail15normal_iteratorINS9_10device_ptrIiEEEENSB_INSC_IsEEEESG_sNS9_4plusIvEENS9_8equal_toIvEEsEE10hipError_tPvRmT2_T3_T4_T5_mT6_T7_P12ihipStream_tbENKUlT_T0_E_clISt17integral_constantIbLb1EES10_IbLb0EEEEDaSW_SX_EUlSW_E_NS1_11comp_targetILNS1_3genE0ELNS1_11target_archE4294967295ELNS1_3gpuE0ELNS1_3repE0EEENS1_30default_config_static_selectorELNS0_4arch9wavefront6targetE0EEEvT1_ ; -- Begin function _ZN7rocprim17ROCPRIM_400000_NS6detail17trampoline_kernelINS0_14default_configENS1_27scan_by_key_config_selectorIisEEZZNS1_16scan_by_key_implILNS1_25lookback_scan_determinismE0ELb0ES3_N6thrust23THRUST_200600_302600_NS6detail15normal_iteratorINS9_10device_ptrIiEEEENSB_INSC_IsEEEESG_sNS9_4plusIvEENS9_8equal_toIvEEsEE10hipError_tPvRmT2_T3_T4_T5_mT6_T7_P12ihipStream_tbENKUlT_T0_E_clISt17integral_constantIbLb1EES10_IbLb0EEEEDaSW_SX_EUlSW_E_NS1_11comp_targetILNS1_3genE0ELNS1_11target_archE4294967295ELNS1_3gpuE0ELNS1_3repE0EEENS1_30default_config_static_selectorELNS0_4arch9wavefront6targetE0EEEvT1_
	.globl	_ZN7rocprim17ROCPRIM_400000_NS6detail17trampoline_kernelINS0_14default_configENS1_27scan_by_key_config_selectorIisEEZZNS1_16scan_by_key_implILNS1_25lookback_scan_determinismE0ELb0ES3_N6thrust23THRUST_200600_302600_NS6detail15normal_iteratorINS9_10device_ptrIiEEEENSB_INSC_IsEEEESG_sNS9_4plusIvEENS9_8equal_toIvEEsEE10hipError_tPvRmT2_T3_T4_T5_mT6_T7_P12ihipStream_tbENKUlT_T0_E_clISt17integral_constantIbLb1EES10_IbLb0EEEEDaSW_SX_EUlSW_E_NS1_11comp_targetILNS1_3genE0ELNS1_11target_archE4294967295ELNS1_3gpuE0ELNS1_3repE0EEENS1_30default_config_static_selectorELNS0_4arch9wavefront6targetE0EEEvT1_
	.p2align	8
	.type	_ZN7rocprim17ROCPRIM_400000_NS6detail17trampoline_kernelINS0_14default_configENS1_27scan_by_key_config_selectorIisEEZZNS1_16scan_by_key_implILNS1_25lookback_scan_determinismE0ELb0ES3_N6thrust23THRUST_200600_302600_NS6detail15normal_iteratorINS9_10device_ptrIiEEEENSB_INSC_IsEEEESG_sNS9_4plusIvEENS9_8equal_toIvEEsEE10hipError_tPvRmT2_T3_T4_T5_mT6_T7_P12ihipStream_tbENKUlT_T0_E_clISt17integral_constantIbLb1EES10_IbLb0EEEEDaSW_SX_EUlSW_E_NS1_11comp_targetILNS1_3genE0ELNS1_11target_archE4294967295ELNS1_3gpuE0ELNS1_3repE0EEENS1_30default_config_static_selectorELNS0_4arch9wavefront6targetE0EEEvT1_,@function
_ZN7rocprim17ROCPRIM_400000_NS6detail17trampoline_kernelINS0_14default_configENS1_27scan_by_key_config_selectorIisEEZZNS1_16scan_by_key_implILNS1_25lookback_scan_determinismE0ELb0ES3_N6thrust23THRUST_200600_302600_NS6detail15normal_iteratorINS9_10device_ptrIiEEEENSB_INSC_IsEEEESG_sNS9_4plusIvEENS9_8equal_toIvEEsEE10hipError_tPvRmT2_T3_T4_T5_mT6_T7_P12ihipStream_tbENKUlT_T0_E_clISt17integral_constantIbLb1EES10_IbLb0EEEEDaSW_SX_EUlSW_E_NS1_11comp_targetILNS1_3genE0ELNS1_11target_archE4294967295ELNS1_3gpuE0ELNS1_3repE0EEENS1_30default_config_static_selectorELNS0_4arch9wavefront6targetE0EEEvT1_: ; @_ZN7rocprim17ROCPRIM_400000_NS6detail17trampoline_kernelINS0_14default_configENS1_27scan_by_key_config_selectorIisEEZZNS1_16scan_by_key_implILNS1_25lookback_scan_determinismE0ELb0ES3_N6thrust23THRUST_200600_302600_NS6detail15normal_iteratorINS9_10device_ptrIiEEEENSB_INSC_IsEEEESG_sNS9_4plusIvEENS9_8equal_toIvEEsEE10hipError_tPvRmT2_T3_T4_T5_mT6_T7_P12ihipStream_tbENKUlT_T0_E_clISt17integral_constantIbLb1EES10_IbLb0EEEEDaSW_SX_EUlSW_E_NS1_11comp_targetILNS1_3genE0ELNS1_11target_archE4294967295ELNS1_3gpuE0ELNS1_3repE0EEENS1_30default_config_static_selectorELNS0_4arch9wavefront6targetE0EEEvT1_
; %bb.0:
	s_endpgm
	.section	.rodata,"a",@progbits
	.p2align	6, 0x0
	.amdhsa_kernel _ZN7rocprim17ROCPRIM_400000_NS6detail17trampoline_kernelINS0_14default_configENS1_27scan_by_key_config_selectorIisEEZZNS1_16scan_by_key_implILNS1_25lookback_scan_determinismE0ELb0ES3_N6thrust23THRUST_200600_302600_NS6detail15normal_iteratorINS9_10device_ptrIiEEEENSB_INSC_IsEEEESG_sNS9_4plusIvEENS9_8equal_toIvEEsEE10hipError_tPvRmT2_T3_T4_T5_mT6_T7_P12ihipStream_tbENKUlT_T0_E_clISt17integral_constantIbLb1EES10_IbLb0EEEEDaSW_SX_EUlSW_E_NS1_11comp_targetILNS1_3genE0ELNS1_11target_archE4294967295ELNS1_3gpuE0ELNS1_3repE0EEENS1_30default_config_static_selectorELNS0_4arch9wavefront6targetE0EEEvT1_
		.amdhsa_group_segment_fixed_size 0
		.amdhsa_private_segment_fixed_size 0
		.amdhsa_kernarg_size 112
		.amdhsa_user_sgpr_count 2
		.amdhsa_user_sgpr_dispatch_ptr 0
		.amdhsa_user_sgpr_queue_ptr 0
		.amdhsa_user_sgpr_kernarg_segment_ptr 1
		.amdhsa_user_sgpr_dispatch_id 0
		.amdhsa_user_sgpr_kernarg_preload_length 0
		.amdhsa_user_sgpr_kernarg_preload_offset 0
		.amdhsa_user_sgpr_private_segment_size 0
		.amdhsa_wavefront_size32 1
		.amdhsa_uses_dynamic_stack 0
		.amdhsa_enable_private_segment 0
		.amdhsa_system_sgpr_workgroup_id_x 1
		.amdhsa_system_sgpr_workgroup_id_y 0
		.amdhsa_system_sgpr_workgroup_id_z 0
		.amdhsa_system_sgpr_workgroup_info 0
		.amdhsa_system_vgpr_workitem_id 0
		.amdhsa_next_free_vgpr 1
		.amdhsa_next_free_sgpr 1
		.amdhsa_named_barrier_count 0
		.amdhsa_reserve_vcc 0
		.amdhsa_float_round_mode_32 0
		.amdhsa_float_round_mode_16_64 0
		.amdhsa_float_denorm_mode_32 3
		.amdhsa_float_denorm_mode_16_64 3
		.amdhsa_fp16_overflow 0
		.amdhsa_memory_ordered 1
		.amdhsa_forward_progress 1
		.amdhsa_inst_pref_size 1
		.amdhsa_round_robin_scheduling 0
		.amdhsa_exception_fp_ieee_invalid_op 0
		.amdhsa_exception_fp_denorm_src 0
		.amdhsa_exception_fp_ieee_div_zero 0
		.amdhsa_exception_fp_ieee_overflow 0
		.amdhsa_exception_fp_ieee_underflow 0
		.amdhsa_exception_fp_ieee_inexact 0
		.amdhsa_exception_int_div_zero 0
	.end_amdhsa_kernel
	.section	.text._ZN7rocprim17ROCPRIM_400000_NS6detail17trampoline_kernelINS0_14default_configENS1_27scan_by_key_config_selectorIisEEZZNS1_16scan_by_key_implILNS1_25lookback_scan_determinismE0ELb0ES3_N6thrust23THRUST_200600_302600_NS6detail15normal_iteratorINS9_10device_ptrIiEEEENSB_INSC_IsEEEESG_sNS9_4plusIvEENS9_8equal_toIvEEsEE10hipError_tPvRmT2_T3_T4_T5_mT6_T7_P12ihipStream_tbENKUlT_T0_E_clISt17integral_constantIbLb1EES10_IbLb0EEEEDaSW_SX_EUlSW_E_NS1_11comp_targetILNS1_3genE0ELNS1_11target_archE4294967295ELNS1_3gpuE0ELNS1_3repE0EEENS1_30default_config_static_selectorELNS0_4arch9wavefront6targetE0EEEvT1_,"axG",@progbits,_ZN7rocprim17ROCPRIM_400000_NS6detail17trampoline_kernelINS0_14default_configENS1_27scan_by_key_config_selectorIisEEZZNS1_16scan_by_key_implILNS1_25lookback_scan_determinismE0ELb0ES3_N6thrust23THRUST_200600_302600_NS6detail15normal_iteratorINS9_10device_ptrIiEEEENSB_INSC_IsEEEESG_sNS9_4plusIvEENS9_8equal_toIvEEsEE10hipError_tPvRmT2_T3_T4_T5_mT6_T7_P12ihipStream_tbENKUlT_T0_E_clISt17integral_constantIbLb1EES10_IbLb0EEEEDaSW_SX_EUlSW_E_NS1_11comp_targetILNS1_3genE0ELNS1_11target_archE4294967295ELNS1_3gpuE0ELNS1_3repE0EEENS1_30default_config_static_selectorELNS0_4arch9wavefront6targetE0EEEvT1_,comdat
.Lfunc_end1372:
	.size	_ZN7rocprim17ROCPRIM_400000_NS6detail17trampoline_kernelINS0_14default_configENS1_27scan_by_key_config_selectorIisEEZZNS1_16scan_by_key_implILNS1_25lookback_scan_determinismE0ELb0ES3_N6thrust23THRUST_200600_302600_NS6detail15normal_iteratorINS9_10device_ptrIiEEEENSB_INSC_IsEEEESG_sNS9_4plusIvEENS9_8equal_toIvEEsEE10hipError_tPvRmT2_T3_T4_T5_mT6_T7_P12ihipStream_tbENKUlT_T0_E_clISt17integral_constantIbLb1EES10_IbLb0EEEEDaSW_SX_EUlSW_E_NS1_11comp_targetILNS1_3genE0ELNS1_11target_archE4294967295ELNS1_3gpuE0ELNS1_3repE0EEENS1_30default_config_static_selectorELNS0_4arch9wavefront6targetE0EEEvT1_, .Lfunc_end1372-_ZN7rocprim17ROCPRIM_400000_NS6detail17trampoline_kernelINS0_14default_configENS1_27scan_by_key_config_selectorIisEEZZNS1_16scan_by_key_implILNS1_25lookback_scan_determinismE0ELb0ES3_N6thrust23THRUST_200600_302600_NS6detail15normal_iteratorINS9_10device_ptrIiEEEENSB_INSC_IsEEEESG_sNS9_4plusIvEENS9_8equal_toIvEEsEE10hipError_tPvRmT2_T3_T4_T5_mT6_T7_P12ihipStream_tbENKUlT_T0_E_clISt17integral_constantIbLb1EES10_IbLb0EEEEDaSW_SX_EUlSW_E_NS1_11comp_targetILNS1_3genE0ELNS1_11target_archE4294967295ELNS1_3gpuE0ELNS1_3repE0EEENS1_30default_config_static_selectorELNS0_4arch9wavefront6targetE0EEEvT1_
                                        ; -- End function
	.set _ZN7rocprim17ROCPRIM_400000_NS6detail17trampoline_kernelINS0_14default_configENS1_27scan_by_key_config_selectorIisEEZZNS1_16scan_by_key_implILNS1_25lookback_scan_determinismE0ELb0ES3_N6thrust23THRUST_200600_302600_NS6detail15normal_iteratorINS9_10device_ptrIiEEEENSB_INSC_IsEEEESG_sNS9_4plusIvEENS9_8equal_toIvEEsEE10hipError_tPvRmT2_T3_T4_T5_mT6_T7_P12ihipStream_tbENKUlT_T0_E_clISt17integral_constantIbLb1EES10_IbLb0EEEEDaSW_SX_EUlSW_E_NS1_11comp_targetILNS1_3genE0ELNS1_11target_archE4294967295ELNS1_3gpuE0ELNS1_3repE0EEENS1_30default_config_static_selectorELNS0_4arch9wavefront6targetE0EEEvT1_.num_vgpr, 0
	.set _ZN7rocprim17ROCPRIM_400000_NS6detail17trampoline_kernelINS0_14default_configENS1_27scan_by_key_config_selectorIisEEZZNS1_16scan_by_key_implILNS1_25lookback_scan_determinismE0ELb0ES3_N6thrust23THRUST_200600_302600_NS6detail15normal_iteratorINS9_10device_ptrIiEEEENSB_INSC_IsEEEESG_sNS9_4plusIvEENS9_8equal_toIvEEsEE10hipError_tPvRmT2_T3_T4_T5_mT6_T7_P12ihipStream_tbENKUlT_T0_E_clISt17integral_constantIbLb1EES10_IbLb0EEEEDaSW_SX_EUlSW_E_NS1_11comp_targetILNS1_3genE0ELNS1_11target_archE4294967295ELNS1_3gpuE0ELNS1_3repE0EEENS1_30default_config_static_selectorELNS0_4arch9wavefront6targetE0EEEvT1_.num_agpr, 0
	.set _ZN7rocprim17ROCPRIM_400000_NS6detail17trampoline_kernelINS0_14default_configENS1_27scan_by_key_config_selectorIisEEZZNS1_16scan_by_key_implILNS1_25lookback_scan_determinismE0ELb0ES3_N6thrust23THRUST_200600_302600_NS6detail15normal_iteratorINS9_10device_ptrIiEEEENSB_INSC_IsEEEESG_sNS9_4plusIvEENS9_8equal_toIvEEsEE10hipError_tPvRmT2_T3_T4_T5_mT6_T7_P12ihipStream_tbENKUlT_T0_E_clISt17integral_constantIbLb1EES10_IbLb0EEEEDaSW_SX_EUlSW_E_NS1_11comp_targetILNS1_3genE0ELNS1_11target_archE4294967295ELNS1_3gpuE0ELNS1_3repE0EEENS1_30default_config_static_selectorELNS0_4arch9wavefront6targetE0EEEvT1_.numbered_sgpr, 0
	.set _ZN7rocprim17ROCPRIM_400000_NS6detail17trampoline_kernelINS0_14default_configENS1_27scan_by_key_config_selectorIisEEZZNS1_16scan_by_key_implILNS1_25lookback_scan_determinismE0ELb0ES3_N6thrust23THRUST_200600_302600_NS6detail15normal_iteratorINS9_10device_ptrIiEEEENSB_INSC_IsEEEESG_sNS9_4plusIvEENS9_8equal_toIvEEsEE10hipError_tPvRmT2_T3_T4_T5_mT6_T7_P12ihipStream_tbENKUlT_T0_E_clISt17integral_constantIbLb1EES10_IbLb0EEEEDaSW_SX_EUlSW_E_NS1_11comp_targetILNS1_3genE0ELNS1_11target_archE4294967295ELNS1_3gpuE0ELNS1_3repE0EEENS1_30default_config_static_selectorELNS0_4arch9wavefront6targetE0EEEvT1_.num_named_barrier, 0
	.set _ZN7rocprim17ROCPRIM_400000_NS6detail17trampoline_kernelINS0_14default_configENS1_27scan_by_key_config_selectorIisEEZZNS1_16scan_by_key_implILNS1_25lookback_scan_determinismE0ELb0ES3_N6thrust23THRUST_200600_302600_NS6detail15normal_iteratorINS9_10device_ptrIiEEEENSB_INSC_IsEEEESG_sNS9_4plusIvEENS9_8equal_toIvEEsEE10hipError_tPvRmT2_T3_T4_T5_mT6_T7_P12ihipStream_tbENKUlT_T0_E_clISt17integral_constantIbLb1EES10_IbLb0EEEEDaSW_SX_EUlSW_E_NS1_11comp_targetILNS1_3genE0ELNS1_11target_archE4294967295ELNS1_3gpuE0ELNS1_3repE0EEENS1_30default_config_static_selectorELNS0_4arch9wavefront6targetE0EEEvT1_.private_seg_size, 0
	.set _ZN7rocprim17ROCPRIM_400000_NS6detail17trampoline_kernelINS0_14default_configENS1_27scan_by_key_config_selectorIisEEZZNS1_16scan_by_key_implILNS1_25lookback_scan_determinismE0ELb0ES3_N6thrust23THRUST_200600_302600_NS6detail15normal_iteratorINS9_10device_ptrIiEEEENSB_INSC_IsEEEESG_sNS9_4plusIvEENS9_8equal_toIvEEsEE10hipError_tPvRmT2_T3_T4_T5_mT6_T7_P12ihipStream_tbENKUlT_T0_E_clISt17integral_constantIbLb1EES10_IbLb0EEEEDaSW_SX_EUlSW_E_NS1_11comp_targetILNS1_3genE0ELNS1_11target_archE4294967295ELNS1_3gpuE0ELNS1_3repE0EEENS1_30default_config_static_selectorELNS0_4arch9wavefront6targetE0EEEvT1_.uses_vcc, 0
	.set _ZN7rocprim17ROCPRIM_400000_NS6detail17trampoline_kernelINS0_14default_configENS1_27scan_by_key_config_selectorIisEEZZNS1_16scan_by_key_implILNS1_25lookback_scan_determinismE0ELb0ES3_N6thrust23THRUST_200600_302600_NS6detail15normal_iteratorINS9_10device_ptrIiEEEENSB_INSC_IsEEEESG_sNS9_4plusIvEENS9_8equal_toIvEEsEE10hipError_tPvRmT2_T3_T4_T5_mT6_T7_P12ihipStream_tbENKUlT_T0_E_clISt17integral_constantIbLb1EES10_IbLb0EEEEDaSW_SX_EUlSW_E_NS1_11comp_targetILNS1_3genE0ELNS1_11target_archE4294967295ELNS1_3gpuE0ELNS1_3repE0EEENS1_30default_config_static_selectorELNS0_4arch9wavefront6targetE0EEEvT1_.uses_flat_scratch, 0
	.set _ZN7rocprim17ROCPRIM_400000_NS6detail17trampoline_kernelINS0_14default_configENS1_27scan_by_key_config_selectorIisEEZZNS1_16scan_by_key_implILNS1_25lookback_scan_determinismE0ELb0ES3_N6thrust23THRUST_200600_302600_NS6detail15normal_iteratorINS9_10device_ptrIiEEEENSB_INSC_IsEEEESG_sNS9_4plusIvEENS9_8equal_toIvEEsEE10hipError_tPvRmT2_T3_T4_T5_mT6_T7_P12ihipStream_tbENKUlT_T0_E_clISt17integral_constantIbLb1EES10_IbLb0EEEEDaSW_SX_EUlSW_E_NS1_11comp_targetILNS1_3genE0ELNS1_11target_archE4294967295ELNS1_3gpuE0ELNS1_3repE0EEENS1_30default_config_static_selectorELNS0_4arch9wavefront6targetE0EEEvT1_.has_dyn_sized_stack, 0
	.set _ZN7rocprim17ROCPRIM_400000_NS6detail17trampoline_kernelINS0_14default_configENS1_27scan_by_key_config_selectorIisEEZZNS1_16scan_by_key_implILNS1_25lookback_scan_determinismE0ELb0ES3_N6thrust23THRUST_200600_302600_NS6detail15normal_iteratorINS9_10device_ptrIiEEEENSB_INSC_IsEEEESG_sNS9_4plusIvEENS9_8equal_toIvEEsEE10hipError_tPvRmT2_T3_T4_T5_mT6_T7_P12ihipStream_tbENKUlT_T0_E_clISt17integral_constantIbLb1EES10_IbLb0EEEEDaSW_SX_EUlSW_E_NS1_11comp_targetILNS1_3genE0ELNS1_11target_archE4294967295ELNS1_3gpuE0ELNS1_3repE0EEENS1_30default_config_static_selectorELNS0_4arch9wavefront6targetE0EEEvT1_.has_recursion, 0
	.set _ZN7rocprim17ROCPRIM_400000_NS6detail17trampoline_kernelINS0_14default_configENS1_27scan_by_key_config_selectorIisEEZZNS1_16scan_by_key_implILNS1_25lookback_scan_determinismE0ELb0ES3_N6thrust23THRUST_200600_302600_NS6detail15normal_iteratorINS9_10device_ptrIiEEEENSB_INSC_IsEEEESG_sNS9_4plusIvEENS9_8equal_toIvEEsEE10hipError_tPvRmT2_T3_T4_T5_mT6_T7_P12ihipStream_tbENKUlT_T0_E_clISt17integral_constantIbLb1EES10_IbLb0EEEEDaSW_SX_EUlSW_E_NS1_11comp_targetILNS1_3genE0ELNS1_11target_archE4294967295ELNS1_3gpuE0ELNS1_3repE0EEENS1_30default_config_static_selectorELNS0_4arch9wavefront6targetE0EEEvT1_.has_indirect_call, 0
	.section	.AMDGPU.csdata,"",@progbits
; Kernel info:
; codeLenInByte = 4
; TotalNumSgprs: 0
; NumVgprs: 0
; ScratchSize: 0
; MemoryBound: 0
; FloatMode: 240
; IeeeMode: 1
; LDSByteSize: 0 bytes/workgroup (compile time only)
; SGPRBlocks: 0
; VGPRBlocks: 0
; NumSGPRsForWavesPerEU: 1
; NumVGPRsForWavesPerEU: 1
; NamedBarCnt: 0
; Occupancy: 16
; WaveLimiterHint : 0
; COMPUTE_PGM_RSRC2:SCRATCH_EN: 0
; COMPUTE_PGM_RSRC2:USER_SGPR: 2
; COMPUTE_PGM_RSRC2:TRAP_HANDLER: 0
; COMPUTE_PGM_RSRC2:TGID_X_EN: 1
; COMPUTE_PGM_RSRC2:TGID_Y_EN: 0
; COMPUTE_PGM_RSRC2:TGID_Z_EN: 0
; COMPUTE_PGM_RSRC2:TIDIG_COMP_CNT: 0
	.section	.text._ZN7rocprim17ROCPRIM_400000_NS6detail17trampoline_kernelINS0_14default_configENS1_27scan_by_key_config_selectorIisEEZZNS1_16scan_by_key_implILNS1_25lookback_scan_determinismE0ELb0ES3_N6thrust23THRUST_200600_302600_NS6detail15normal_iteratorINS9_10device_ptrIiEEEENSB_INSC_IsEEEESG_sNS9_4plusIvEENS9_8equal_toIvEEsEE10hipError_tPvRmT2_T3_T4_T5_mT6_T7_P12ihipStream_tbENKUlT_T0_E_clISt17integral_constantIbLb1EES10_IbLb0EEEEDaSW_SX_EUlSW_E_NS1_11comp_targetILNS1_3genE10ELNS1_11target_archE1201ELNS1_3gpuE5ELNS1_3repE0EEENS1_30default_config_static_selectorELNS0_4arch9wavefront6targetE0EEEvT1_,"axG",@progbits,_ZN7rocprim17ROCPRIM_400000_NS6detail17trampoline_kernelINS0_14default_configENS1_27scan_by_key_config_selectorIisEEZZNS1_16scan_by_key_implILNS1_25lookback_scan_determinismE0ELb0ES3_N6thrust23THRUST_200600_302600_NS6detail15normal_iteratorINS9_10device_ptrIiEEEENSB_INSC_IsEEEESG_sNS9_4plusIvEENS9_8equal_toIvEEsEE10hipError_tPvRmT2_T3_T4_T5_mT6_T7_P12ihipStream_tbENKUlT_T0_E_clISt17integral_constantIbLb1EES10_IbLb0EEEEDaSW_SX_EUlSW_E_NS1_11comp_targetILNS1_3genE10ELNS1_11target_archE1201ELNS1_3gpuE5ELNS1_3repE0EEENS1_30default_config_static_selectorELNS0_4arch9wavefront6targetE0EEEvT1_,comdat
	.protected	_ZN7rocprim17ROCPRIM_400000_NS6detail17trampoline_kernelINS0_14default_configENS1_27scan_by_key_config_selectorIisEEZZNS1_16scan_by_key_implILNS1_25lookback_scan_determinismE0ELb0ES3_N6thrust23THRUST_200600_302600_NS6detail15normal_iteratorINS9_10device_ptrIiEEEENSB_INSC_IsEEEESG_sNS9_4plusIvEENS9_8equal_toIvEEsEE10hipError_tPvRmT2_T3_T4_T5_mT6_T7_P12ihipStream_tbENKUlT_T0_E_clISt17integral_constantIbLb1EES10_IbLb0EEEEDaSW_SX_EUlSW_E_NS1_11comp_targetILNS1_3genE10ELNS1_11target_archE1201ELNS1_3gpuE5ELNS1_3repE0EEENS1_30default_config_static_selectorELNS0_4arch9wavefront6targetE0EEEvT1_ ; -- Begin function _ZN7rocprim17ROCPRIM_400000_NS6detail17trampoline_kernelINS0_14default_configENS1_27scan_by_key_config_selectorIisEEZZNS1_16scan_by_key_implILNS1_25lookback_scan_determinismE0ELb0ES3_N6thrust23THRUST_200600_302600_NS6detail15normal_iteratorINS9_10device_ptrIiEEEENSB_INSC_IsEEEESG_sNS9_4plusIvEENS9_8equal_toIvEEsEE10hipError_tPvRmT2_T3_T4_T5_mT6_T7_P12ihipStream_tbENKUlT_T0_E_clISt17integral_constantIbLb1EES10_IbLb0EEEEDaSW_SX_EUlSW_E_NS1_11comp_targetILNS1_3genE10ELNS1_11target_archE1201ELNS1_3gpuE5ELNS1_3repE0EEENS1_30default_config_static_selectorELNS0_4arch9wavefront6targetE0EEEvT1_
	.globl	_ZN7rocprim17ROCPRIM_400000_NS6detail17trampoline_kernelINS0_14default_configENS1_27scan_by_key_config_selectorIisEEZZNS1_16scan_by_key_implILNS1_25lookback_scan_determinismE0ELb0ES3_N6thrust23THRUST_200600_302600_NS6detail15normal_iteratorINS9_10device_ptrIiEEEENSB_INSC_IsEEEESG_sNS9_4plusIvEENS9_8equal_toIvEEsEE10hipError_tPvRmT2_T3_T4_T5_mT6_T7_P12ihipStream_tbENKUlT_T0_E_clISt17integral_constantIbLb1EES10_IbLb0EEEEDaSW_SX_EUlSW_E_NS1_11comp_targetILNS1_3genE10ELNS1_11target_archE1201ELNS1_3gpuE5ELNS1_3repE0EEENS1_30default_config_static_selectorELNS0_4arch9wavefront6targetE0EEEvT1_
	.p2align	8
	.type	_ZN7rocprim17ROCPRIM_400000_NS6detail17trampoline_kernelINS0_14default_configENS1_27scan_by_key_config_selectorIisEEZZNS1_16scan_by_key_implILNS1_25lookback_scan_determinismE0ELb0ES3_N6thrust23THRUST_200600_302600_NS6detail15normal_iteratorINS9_10device_ptrIiEEEENSB_INSC_IsEEEESG_sNS9_4plusIvEENS9_8equal_toIvEEsEE10hipError_tPvRmT2_T3_T4_T5_mT6_T7_P12ihipStream_tbENKUlT_T0_E_clISt17integral_constantIbLb1EES10_IbLb0EEEEDaSW_SX_EUlSW_E_NS1_11comp_targetILNS1_3genE10ELNS1_11target_archE1201ELNS1_3gpuE5ELNS1_3repE0EEENS1_30default_config_static_selectorELNS0_4arch9wavefront6targetE0EEEvT1_,@function
_ZN7rocprim17ROCPRIM_400000_NS6detail17trampoline_kernelINS0_14default_configENS1_27scan_by_key_config_selectorIisEEZZNS1_16scan_by_key_implILNS1_25lookback_scan_determinismE0ELb0ES3_N6thrust23THRUST_200600_302600_NS6detail15normal_iteratorINS9_10device_ptrIiEEEENSB_INSC_IsEEEESG_sNS9_4plusIvEENS9_8equal_toIvEEsEE10hipError_tPvRmT2_T3_T4_T5_mT6_T7_P12ihipStream_tbENKUlT_T0_E_clISt17integral_constantIbLb1EES10_IbLb0EEEEDaSW_SX_EUlSW_E_NS1_11comp_targetILNS1_3genE10ELNS1_11target_archE1201ELNS1_3gpuE5ELNS1_3repE0EEENS1_30default_config_static_selectorELNS0_4arch9wavefront6targetE0EEEvT1_: ; @_ZN7rocprim17ROCPRIM_400000_NS6detail17trampoline_kernelINS0_14default_configENS1_27scan_by_key_config_selectorIisEEZZNS1_16scan_by_key_implILNS1_25lookback_scan_determinismE0ELb0ES3_N6thrust23THRUST_200600_302600_NS6detail15normal_iteratorINS9_10device_ptrIiEEEENSB_INSC_IsEEEESG_sNS9_4plusIvEENS9_8equal_toIvEEsEE10hipError_tPvRmT2_T3_T4_T5_mT6_T7_P12ihipStream_tbENKUlT_T0_E_clISt17integral_constantIbLb1EES10_IbLb0EEEEDaSW_SX_EUlSW_E_NS1_11comp_targetILNS1_3genE10ELNS1_11target_archE1201ELNS1_3gpuE5ELNS1_3repE0EEENS1_30default_config_static_selectorELNS0_4arch9wavefront6targetE0EEEvT1_
; %bb.0:
	.section	.rodata,"a",@progbits
	.p2align	6, 0x0
	.amdhsa_kernel _ZN7rocprim17ROCPRIM_400000_NS6detail17trampoline_kernelINS0_14default_configENS1_27scan_by_key_config_selectorIisEEZZNS1_16scan_by_key_implILNS1_25lookback_scan_determinismE0ELb0ES3_N6thrust23THRUST_200600_302600_NS6detail15normal_iteratorINS9_10device_ptrIiEEEENSB_INSC_IsEEEESG_sNS9_4plusIvEENS9_8equal_toIvEEsEE10hipError_tPvRmT2_T3_T4_T5_mT6_T7_P12ihipStream_tbENKUlT_T0_E_clISt17integral_constantIbLb1EES10_IbLb0EEEEDaSW_SX_EUlSW_E_NS1_11comp_targetILNS1_3genE10ELNS1_11target_archE1201ELNS1_3gpuE5ELNS1_3repE0EEENS1_30default_config_static_selectorELNS0_4arch9wavefront6targetE0EEEvT1_
		.amdhsa_group_segment_fixed_size 0
		.amdhsa_private_segment_fixed_size 0
		.amdhsa_kernarg_size 112
		.amdhsa_user_sgpr_count 2
		.amdhsa_user_sgpr_dispatch_ptr 0
		.amdhsa_user_sgpr_queue_ptr 0
		.amdhsa_user_sgpr_kernarg_segment_ptr 1
		.amdhsa_user_sgpr_dispatch_id 0
		.amdhsa_user_sgpr_kernarg_preload_length 0
		.amdhsa_user_sgpr_kernarg_preload_offset 0
		.amdhsa_user_sgpr_private_segment_size 0
		.amdhsa_wavefront_size32 1
		.amdhsa_uses_dynamic_stack 0
		.amdhsa_enable_private_segment 0
		.amdhsa_system_sgpr_workgroup_id_x 1
		.amdhsa_system_sgpr_workgroup_id_y 0
		.amdhsa_system_sgpr_workgroup_id_z 0
		.amdhsa_system_sgpr_workgroup_info 0
		.amdhsa_system_vgpr_workitem_id 0
		.amdhsa_next_free_vgpr 1
		.amdhsa_next_free_sgpr 1
		.amdhsa_named_barrier_count 0
		.amdhsa_reserve_vcc 0
		.amdhsa_float_round_mode_32 0
		.amdhsa_float_round_mode_16_64 0
		.amdhsa_float_denorm_mode_32 3
		.amdhsa_float_denorm_mode_16_64 3
		.amdhsa_fp16_overflow 0
		.amdhsa_memory_ordered 1
		.amdhsa_forward_progress 1
		.amdhsa_inst_pref_size 0
		.amdhsa_round_robin_scheduling 0
		.amdhsa_exception_fp_ieee_invalid_op 0
		.amdhsa_exception_fp_denorm_src 0
		.amdhsa_exception_fp_ieee_div_zero 0
		.amdhsa_exception_fp_ieee_overflow 0
		.amdhsa_exception_fp_ieee_underflow 0
		.amdhsa_exception_fp_ieee_inexact 0
		.amdhsa_exception_int_div_zero 0
	.end_amdhsa_kernel
	.section	.text._ZN7rocprim17ROCPRIM_400000_NS6detail17trampoline_kernelINS0_14default_configENS1_27scan_by_key_config_selectorIisEEZZNS1_16scan_by_key_implILNS1_25lookback_scan_determinismE0ELb0ES3_N6thrust23THRUST_200600_302600_NS6detail15normal_iteratorINS9_10device_ptrIiEEEENSB_INSC_IsEEEESG_sNS9_4plusIvEENS9_8equal_toIvEEsEE10hipError_tPvRmT2_T3_T4_T5_mT6_T7_P12ihipStream_tbENKUlT_T0_E_clISt17integral_constantIbLb1EES10_IbLb0EEEEDaSW_SX_EUlSW_E_NS1_11comp_targetILNS1_3genE10ELNS1_11target_archE1201ELNS1_3gpuE5ELNS1_3repE0EEENS1_30default_config_static_selectorELNS0_4arch9wavefront6targetE0EEEvT1_,"axG",@progbits,_ZN7rocprim17ROCPRIM_400000_NS6detail17trampoline_kernelINS0_14default_configENS1_27scan_by_key_config_selectorIisEEZZNS1_16scan_by_key_implILNS1_25lookback_scan_determinismE0ELb0ES3_N6thrust23THRUST_200600_302600_NS6detail15normal_iteratorINS9_10device_ptrIiEEEENSB_INSC_IsEEEESG_sNS9_4plusIvEENS9_8equal_toIvEEsEE10hipError_tPvRmT2_T3_T4_T5_mT6_T7_P12ihipStream_tbENKUlT_T0_E_clISt17integral_constantIbLb1EES10_IbLb0EEEEDaSW_SX_EUlSW_E_NS1_11comp_targetILNS1_3genE10ELNS1_11target_archE1201ELNS1_3gpuE5ELNS1_3repE0EEENS1_30default_config_static_selectorELNS0_4arch9wavefront6targetE0EEEvT1_,comdat
.Lfunc_end1373:
	.size	_ZN7rocprim17ROCPRIM_400000_NS6detail17trampoline_kernelINS0_14default_configENS1_27scan_by_key_config_selectorIisEEZZNS1_16scan_by_key_implILNS1_25lookback_scan_determinismE0ELb0ES3_N6thrust23THRUST_200600_302600_NS6detail15normal_iteratorINS9_10device_ptrIiEEEENSB_INSC_IsEEEESG_sNS9_4plusIvEENS9_8equal_toIvEEsEE10hipError_tPvRmT2_T3_T4_T5_mT6_T7_P12ihipStream_tbENKUlT_T0_E_clISt17integral_constantIbLb1EES10_IbLb0EEEEDaSW_SX_EUlSW_E_NS1_11comp_targetILNS1_3genE10ELNS1_11target_archE1201ELNS1_3gpuE5ELNS1_3repE0EEENS1_30default_config_static_selectorELNS0_4arch9wavefront6targetE0EEEvT1_, .Lfunc_end1373-_ZN7rocprim17ROCPRIM_400000_NS6detail17trampoline_kernelINS0_14default_configENS1_27scan_by_key_config_selectorIisEEZZNS1_16scan_by_key_implILNS1_25lookback_scan_determinismE0ELb0ES3_N6thrust23THRUST_200600_302600_NS6detail15normal_iteratorINS9_10device_ptrIiEEEENSB_INSC_IsEEEESG_sNS9_4plusIvEENS9_8equal_toIvEEsEE10hipError_tPvRmT2_T3_T4_T5_mT6_T7_P12ihipStream_tbENKUlT_T0_E_clISt17integral_constantIbLb1EES10_IbLb0EEEEDaSW_SX_EUlSW_E_NS1_11comp_targetILNS1_3genE10ELNS1_11target_archE1201ELNS1_3gpuE5ELNS1_3repE0EEENS1_30default_config_static_selectorELNS0_4arch9wavefront6targetE0EEEvT1_
                                        ; -- End function
	.set _ZN7rocprim17ROCPRIM_400000_NS6detail17trampoline_kernelINS0_14default_configENS1_27scan_by_key_config_selectorIisEEZZNS1_16scan_by_key_implILNS1_25lookback_scan_determinismE0ELb0ES3_N6thrust23THRUST_200600_302600_NS6detail15normal_iteratorINS9_10device_ptrIiEEEENSB_INSC_IsEEEESG_sNS9_4plusIvEENS9_8equal_toIvEEsEE10hipError_tPvRmT2_T3_T4_T5_mT6_T7_P12ihipStream_tbENKUlT_T0_E_clISt17integral_constantIbLb1EES10_IbLb0EEEEDaSW_SX_EUlSW_E_NS1_11comp_targetILNS1_3genE10ELNS1_11target_archE1201ELNS1_3gpuE5ELNS1_3repE0EEENS1_30default_config_static_selectorELNS0_4arch9wavefront6targetE0EEEvT1_.num_vgpr, 0
	.set _ZN7rocprim17ROCPRIM_400000_NS6detail17trampoline_kernelINS0_14default_configENS1_27scan_by_key_config_selectorIisEEZZNS1_16scan_by_key_implILNS1_25lookback_scan_determinismE0ELb0ES3_N6thrust23THRUST_200600_302600_NS6detail15normal_iteratorINS9_10device_ptrIiEEEENSB_INSC_IsEEEESG_sNS9_4plusIvEENS9_8equal_toIvEEsEE10hipError_tPvRmT2_T3_T4_T5_mT6_T7_P12ihipStream_tbENKUlT_T0_E_clISt17integral_constantIbLb1EES10_IbLb0EEEEDaSW_SX_EUlSW_E_NS1_11comp_targetILNS1_3genE10ELNS1_11target_archE1201ELNS1_3gpuE5ELNS1_3repE0EEENS1_30default_config_static_selectorELNS0_4arch9wavefront6targetE0EEEvT1_.num_agpr, 0
	.set _ZN7rocprim17ROCPRIM_400000_NS6detail17trampoline_kernelINS0_14default_configENS1_27scan_by_key_config_selectorIisEEZZNS1_16scan_by_key_implILNS1_25lookback_scan_determinismE0ELb0ES3_N6thrust23THRUST_200600_302600_NS6detail15normal_iteratorINS9_10device_ptrIiEEEENSB_INSC_IsEEEESG_sNS9_4plusIvEENS9_8equal_toIvEEsEE10hipError_tPvRmT2_T3_T4_T5_mT6_T7_P12ihipStream_tbENKUlT_T0_E_clISt17integral_constantIbLb1EES10_IbLb0EEEEDaSW_SX_EUlSW_E_NS1_11comp_targetILNS1_3genE10ELNS1_11target_archE1201ELNS1_3gpuE5ELNS1_3repE0EEENS1_30default_config_static_selectorELNS0_4arch9wavefront6targetE0EEEvT1_.numbered_sgpr, 0
	.set _ZN7rocprim17ROCPRIM_400000_NS6detail17trampoline_kernelINS0_14default_configENS1_27scan_by_key_config_selectorIisEEZZNS1_16scan_by_key_implILNS1_25lookback_scan_determinismE0ELb0ES3_N6thrust23THRUST_200600_302600_NS6detail15normal_iteratorINS9_10device_ptrIiEEEENSB_INSC_IsEEEESG_sNS9_4plusIvEENS9_8equal_toIvEEsEE10hipError_tPvRmT2_T3_T4_T5_mT6_T7_P12ihipStream_tbENKUlT_T0_E_clISt17integral_constantIbLb1EES10_IbLb0EEEEDaSW_SX_EUlSW_E_NS1_11comp_targetILNS1_3genE10ELNS1_11target_archE1201ELNS1_3gpuE5ELNS1_3repE0EEENS1_30default_config_static_selectorELNS0_4arch9wavefront6targetE0EEEvT1_.num_named_barrier, 0
	.set _ZN7rocprim17ROCPRIM_400000_NS6detail17trampoline_kernelINS0_14default_configENS1_27scan_by_key_config_selectorIisEEZZNS1_16scan_by_key_implILNS1_25lookback_scan_determinismE0ELb0ES3_N6thrust23THRUST_200600_302600_NS6detail15normal_iteratorINS9_10device_ptrIiEEEENSB_INSC_IsEEEESG_sNS9_4plusIvEENS9_8equal_toIvEEsEE10hipError_tPvRmT2_T3_T4_T5_mT6_T7_P12ihipStream_tbENKUlT_T0_E_clISt17integral_constantIbLb1EES10_IbLb0EEEEDaSW_SX_EUlSW_E_NS1_11comp_targetILNS1_3genE10ELNS1_11target_archE1201ELNS1_3gpuE5ELNS1_3repE0EEENS1_30default_config_static_selectorELNS0_4arch9wavefront6targetE0EEEvT1_.private_seg_size, 0
	.set _ZN7rocprim17ROCPRIM_400000_NS6detail17trampoline_kernelINS0_14default_configENS1_27scan_by_key_config_selectorIisEEZZNS1_16scan_by_key_implILNS1_25lookback_scan_determinismE0ELb0ES3_N6thrust23THRUST_200600_302600_NS6detail15normal_iteratorINS9_10device_ptrIiEEEENSB_INSC_IsEEEESG_sNS9_4plusIvEENS9_8equal_toIvEEsEE10hipError_tPvRmT2_T3_T4_T5_mT6_T7_P12ihipStream_tbENKUlT_T0_E_clISt17integral_constantIbLb1EES10_IbLb0EEEEDaSW_SX_EUlSW_E_NS1_11comp_targetILNS1_3genE10ELNS1_11target_archE1201ELNS1_3gpuE5ELNS1_3repE0EEENS1_30default_config_static_selectorELNS0_4arch9wavefront6targetE0EEEvT1_.uses_vcc, 0
	.set _ZN7rocprim17ROCPRIM_400000_NS6detail17trampoline_kernelINS0_14default_configENS1_27scan_by_key_config_selectorIisEEZZNS1_16scan_by_key_implILNS1_25lookback_scan_determinismE0ELb0ES3_N6thrust23THRUST_200600_302600_NS6detail15normal_iteratorINS9_10device_ptrIiEEEENSB_INSC_IsEEEESG_sNS9_4plusIvEENS9_8equal_toIvEEsEE10hipError_tPvRmT2_T3_T4_T5_mT6_T7_P12ihipStream_tbENKUlT_T0_E_clISt17integral_constantIbLb1EES10_IbLb0EEEEDaSW_SX_EUlSW_E_NS1_11comp_targetILNS1_3genE10ELNS1_11target_archE1201ELNS1_3gpuE5ELNS1_3repE0EEENS1_30default_config_static_selectorELNS0_4arch9wavefront6targetE0EEEvT1_.uses_flat_scratch, 0
	.set _ZN7rocprim17ROCPRIM_400000_NS6detail17trampoline_kernelINS0_14default_configENS1_27scan_by_key_config_selectorIisEEZZNS1_16scan_by_key_implILNS1_25lookback_scan_determinismE0ELb0ES3_N6thrust23THRUST_200600_302600_NS6detail15normal_iteratorINS9_10device_ptrIiEEEENSB_INSC_IsEEEESG_sNS9_4plusIvEENS9_8equal_toIvEEsEE10hipError_tPvRmT2_T3_T4_T5_mT6_T7_P12ihipStream_tbENKUlT_T0_E_clISt17integral_constantIbLb1EES10_IbLb0EEEEDaSW_SX_EUlSW_E_NS1_11comp_targetILNS1_3genE10ELNS1_11target_archE1201ELNS1_3gpuE5ELNS1_3repE0EEENS1_30default_config_static_selectorELNS0_4arch9wavefront6targetE0EEEvT1_.has_dyn_sized_stack, 0
	.set _ZN7rocprim17ROCPRIM_400000_NS6detail17trampoline_kernelINS0_14default_configENS1_27scan_by_key_config_selectorIisEEZZNS1_16scan_by_key_implILNS1_25lookback_scan_determinismE0ELb0ES3_N6thrust23THRUST_200600_302600_NS6detail15normal_iteratorINS9_10device_ptrIiEEEENSB_INSC_IsEEEESG_sNS9_4plusIvEENS9_8equal_toIvEEsEE10hipError_tPvRmT2_T3_T4_T5_mT6_T7_P12ihipStream_tbENKUlT_T0_E_clISt17integral_constantIbLb1EES10_IbLb0EEEEDaSW_SX_EUlSW_E_NS1_11comp_targetILNS1_3genE10ELNS1_11target_archE1201ELNS1_3gpuE5ELNS1_3repE0EEENS1_30default_config_static_selectorELNS0_4arch9wavefront6targetE0EEEvT1_.has_recursion, 0
	.set _ZN7rocprim17ROCPRIM_400000_NS6detail17trampoline_kernelINS0_14default_configENS1_27scan_by_key_config_selectorIisEEZZNS1_16scan_by_key_implILNS1_25lookback_scan_determinismE0ELb0ES3_N6thrust23THRUST_200600_302600_NS6detail15normal_iteratorINS9_10device_ptrIiEEEENSB_INSC_IsEEEESG_sNS9_4plusIvEENS9_8equal_toIvEEsEE10hipError_tPvRmT2_T3_T4_T5_mT6_T7_P12ihipStream_tbENKUlT_T0_E_clISt17integral_constantIbLb1EES10_IbLb0EEEEDaSW_SX_EUlSW_E_NS1_11comp_targetILNS1_3genE10ELNS1_11target_archE1201ELNS1_3gpuE5ELNS1_3repE0EEENS1_30default_config_static_selectorELNS0_4arch9wavefront6targetE0EEEvT1_.has_indirect_call, 0
	.section	.AMDGPU.csdata,"",@progbits
; Kernel info:
; codeLenInByte = 0
; TotalNumSgprs: 0
; NumVgprs: 0
; ScratchSize: 0
; MemoryBound: 0
; FloatMode: 240
; IeeeMode: 1
; LDSByteSize: 0 bytes/workgroup (compile time only)
; SGPRBlocks: 0
; VGPRBlocks: 0
; NumSGPRsForWavesPerEU: 1
; NumVGPRsForWavesPerEU: 1
; NamedBarCnt: 0
; Occupancy: 16
; WaveLimiterHint : 0
; COMPUTE_PGM_RSRC2:SCRATCH_EN: 0
; COMPUTE_PGM_RSRC2:USER_SGPR: 2
; COMPUTE_PGM_RSRC2:TRAP_HANDLER: 0
; COMPUTE_PGM_RSRC2:TGID_X_EN: 1
; COMPUTE_PGM_RSRC2:TGID_Y_EN: 0
; COMPUTE_PGM_RSRC2:TGID_Z_EN: 0
; COMPUTE_PGM_RSRC2:TIDIG_COMP_CNT: 0
	.section	.text._ZN7rocprim17ROCPRIM_400000_NS6detail17trampoline_kernelINS0_14default_configENS1_27scan_by_key_config_selectorIisEEZZNS1_16scan_by_key_implILNS1_25lookback_scan_determinismE0ELb0ES3_N6thrust23THRUST_200600_302600_NS6detail15normal_iteratorINS9_10device_ptrIiEEEENSB_INSC_IsEEEESG_sNS9_4plusIvEENS9_8equal_toIvEEsEE10hipError_tPvRmT2_T3_T4_T5_mT6_T7_P12ihipStream_tbENKUlT_T0_E_clISt17integral_constantIbLb1EES10_IbLb0EEEEDaSW_SX_EUlSW_E_NS1_11comp_targetILNS1_3genE5ELNS1_11target_archE942ELNS1_3gpuE9ELNS1_3repE0EEENS1_30default_config_static_selectorELNS0_4arch9wavefront6targetE0EEEvT1_,"axG",@progbits,_ZN7rocprim17ROCPRIM_400000_NS6detail17trampoline_kernelINS0_14default_configENS1_27scan_by_key_config_selectorIisEEZZNS1_16scan_by_key_implILNS1_25lookback_scan_determinismE0ELb0ES3_N6thrust23THRUST_200600_302600_NS6detail15normal_iteratorINS9_10device_ptrIiEEEENSB_INSC_IsEEEESG_sNS9_4plusIvEENS9_8equal_toIvEEsEE10hipError_tPvRmT2_T3_T4_T5_mT6_T7_P12ihipStream_tbENKUlT_T0_E_clISt17integral_constantIbLb1EES10_IbLb0EEEEDaSW_SX_EUlSW_E_NS1_11comp_targetILNS1_3genE5ELNS1_11target_archE942ELNS1_3gpuE9ELNS1_3repE0EEENS1_30default_config_static_selectorELNS0_4arch9wavefront6targetE0EEEvT1_,comdat
	.protected	_ZN7rocprim17ROCPRIM_400000_NS6detail17trampoline_kernelINS0_14default_configENS1_27scan_by_key_config_selectorIisEEZZNS1_16scan_by_key_implILNS1_25lookback_scan_determinismE0ELb0ES3_N6thrust23THRUST_200600_302600_NS6detail15normal_iteratorINS9_10device_ptrIiEEEENSB_INSC_IsEEEESG_sNS9_4plusIvEENS9_8equal_toIvEEsEE10hipError_tPvRmT2_T3_T4_T5_mT6_T7_P12ihipStream_tbENKUlT_T0_E_clISt17integral_constantIbLb1EES10_IbLb0EEEEDaSW_SX_EUlSW_E_NS1_11comp_targetILNS1_3genE5ELNS1_11target_archE942ELNS1_3gpuE9ELNS1_3repE0EEENS1_30default_config_static_selectorELNS0_4arch9wavefront6targetE0EEEvT1_ ; -- Begin function _ZN7rocprim17ROCPRIM_400000_NS6detail17trampoline_kernelINS0_14default_configENS1_27scan_by_key_config_selectorIisEEZZNS1_16scan_by_key_implILNS1_25lookback_scan_determinismE0ELb0ES3_N6thrust23THRUST_200600_302600_NS6detail15normal_iteratorINS9_10device_ptrIiEEEENSB_INSC_IsEEEESG_sNS9_4plusIvEENS9_8equal_toIvEEsEE10hipError_tPvRmT2_T3_T4_T5_mT6_T7_P12ihipStream_tbENKUlT_T0_E_clISt17integral_constantIbLb1EES10_IbLb0EEEEDaSW_SX_EUlSW_E_NS1_11comp_targetILNS1_3genE5ELNS1_11target_archE942ELNS1_3gpuE9ELNS1_3repE0EEENS1_30default_config_static_selectorELNS0_4arch9wavefront6targetE0EEEvT1_
	.globl	_ZN7rocprim17ROCPRIM_400000_NS6detail17trampoline_kernelINS0_14default_configENS1_27scan_by_key_config_selectorIisEEZZNS1_16scan_by_key_implILNS1_25lookback_scan_determinismE0ELb0ES3_N6thrust23THRUST_200600_302600_NS6detail15normal_iteratorINS9_10device_ptrIiEEEENSB_INSC_IsEEEESG_sNS9_4plusIvEENS9_8equal_toIvEEsEE10hipError_tPvRmT2_T3_T4_T5_mT6_T7_P12ihipStream_tbENKUlT_T0_E_clISt17integral_constantIbLb1EES10_IbLb0EEEEDaSW_SX_EUlSW_E_NS1_11comp_targetILNS1_3genE5ELNS1_11target_archE942ELNS1_3gpuE9ELNS1_3repE0EEENS1_30default_config_static_selectorELNS0_4arch9wavefront6targetE0EEEvT1_
	.p2align	8
	.type	_ZN7rocprim17ROCPRIM_400000_NS6detail17trampoline_kernelINS0_14default_configENS1_27scan_by_key_config_selectorIisEEZZNS1_16scan_by_key_implILNS1_25lookback_scan_determinismE0ELb0ES3_N6thrust23THRUST_200600_302600_NS6detail15normal_iteratorINS9_10device_ptrIiEEEENSB_INSC_IsEEEESG_sNS9_4plusIvEENS9_8equal_toIvEEsEE10hipError_tPvRmT2_T3_T4_T5_mT6_T7_P12ihipStream_tbENKUlT_T0_E_clISt17integral_constantIbLb1EES10_IbLb0EEEEDaSW_SX_EUlSW_E_NS1_11comp_targetILNS1_3genE5ELNS1_11target_archE942ELNS1_3gpuE9ELNS1_3repE0EEENS1_30default_config_static_selectorELNS0_4arch9wavefront6targetE0EEEvT1_,@function
_ZN7rocprim17ROCPRIM_400000_NS6detail17trampoline_kernelINS0_14default_configENS1_27scan_by_key_config_selectorIisEEZZNS1_16scan_by_key_implILNS1_25lookback_scan_determinismE0ELb0ES3_N6thrust23THRUST_200600_302600_NS6detail15normal_iteratorINS9_10device_ptrIiEEEENSB_INSC_IsEEEESG_sNS9_4plusIvEENS9_8equal_toIvEEsEE10hipError_tPvRmT2_T3_T4_T5_mT6_T7_P12ihipStream_tbENKUlT_T0_E_clISt17integral_constantIbLb1EES10_IbLb0EEEEDaSW_SX_EUlSW_E_NS1_11comp_targetILNS1_3genE5ELNS1_11target_archE942ELNS1_3gpuE9ELNS1_3repE0EEENS1_30default_config_static_selectorELNS0_4arch9wavefront6targetE0EEEvT1_: ; @_ZN7rocprim17ROCPRIM_400000_NS6detail17trampoline_kernelINS0_14default_configENS1_27scan_by_key_config_selectorIisEEZZNS1_16scan_by_key_implILNS1_25lookback_scan_determinismE0ELb0ES3_N6thrust23THRUST_200600_302600_NS6detail15normal_iteratorINS9_10device_ptrIiEEEENSB_INSC_IsEEEESG_sNS9_4plusIvEENS9_8equal_toIvEEsEE10hipError_tPvRmT2_T3_T4_T5_mT6_T7_P12ihipStream_tbENKUlT_T0_E_clISt17integral_constantIbLb1EES10_IbLb0EEEEDaSW_SX_EUlSW_E_NS1_11comp_targetILNS1_3genE5ELNS1_11target_archE942ELNS1_3gpuE9ELNS1_3repE0EEENS1_30default_config_static_selectorELNS0_4arch9wavefront6targetE0EEEvT1_
; %bb.0:
	.section	.rodata,"a",@progbits
	.p2align	6, 0x0
	.amdhsa_kernel _ZN7rocprim17ROCPRIM_400000_NS6detail17trampoline_kernelINS0_14default_configENS1_27scan_by_key_config_selectorIisEEZZNS1_16scan_by_key_implILNS1_25lookback_scan_determinismE0ELb0ES3_N6thrust23THRUST_200600_302600_NS6detail15normal_iteratorINS9_10device_ptrIiEEEENSB_INSC_IsEEEESG_sNS9_4plusIvEENS9_8equal_toIvEEsEE10hipError_tPvRmT2_T3_T4_T5_mT6_T7_P12ihipStream_tbENKUlT_T0_E_clISt17integral_constantIbLb1EES10_IbLb0EEEEDaSW_SX_EUlSW_E_NS1_11comp_targetILNS1_3genE5ELNS1_11target_archE942ELNS1_3gpuE9ELNS1_3repE0EEENS1_30default_config_static_selectorELNS0_4arch9wavefront6targetE0EEEvT1_
		.amdhsa_group_segment_fixed_size 0
		.amdhsa_private_segment_fixed_size 0
		.amdhsa_kernarg_size 112
		.amdhsa_user_sgpr_count 2
		.amdhsa_user_sgpr_dispatch_ptr 0
		.amdhsa_user_sgpr_queue_ptr 0
		.amdhsa_user_sgpr_kernarg_segment_ptr 1
		.amdhsa_user_sgpr_dispatch_id 0
		.amdhsa_user_sgpr_kernarg_preload_length 0
		.amdhsa_user_sgpr_kernarg_preload_offset 0
		.amdhsa_user_sgpr_private_segment_size 0
		.amdhsa_wavefront_size32 1
		.amdhsa_uses_dynamic_stack 0
		.amdhsa_enable_private_segment 0
		.amdhsa_system_sgpr_workgroup_id_x 1
		.amdhsa_system_sgpr_workgroup_id_y 0
		.amdhsa_system_sgpr_workgroup_id_z 0
		.amdhsa_system_sgpr_workgroup_info 0
		.amdhsa_system_vgpr_workitem_id 0
		.amdhsa_next_free_vgpr 1
		.amdhsa_next_free_sgpr 1
		.amdhsa_named_barrier_count 0
		.amdhsa_reserve_vcc 0
		.amdhsa_float_round_mode_32 0
		.amdhsa_float_round_mode_16_64 0
		.amdhsa_float_denorm_mode_32 3
		.amdhsa_float_denorm_mode_16_64 3
		.amdhsa_fp16_overflow 0
		.amdhsa_memory_ordered 1
		.amdhsa_forward_progress 1
		.amdhsa_inst_pref_size 0
		.amdhsa_round_robin_scheduling 0
		.amdhsa_exception_fp_ieee_invalid_op 0
		.amdhsa_exception_fp_denorm_src 0
		.amdhsa_exception_fp_ieee_div_zero 0
		.amdhsa_exception_fp_ieee_overflow 0
		.amdhsa_exception_fp_ieee_underflow 0
		.amdhsa_exception_fp_ieee_inexact 0
		.amdhsa_exception_int_div_zero 0
	.end_amdhsa_kernel
	.section	.text._ZN7rocprim17ROCPRIM_400000_NS6detail17trampoline_kernelINS0_14default_configENS1_27scan_by_key_config_selectorIisEEZZNS1_16scan_by_key_implILNS1_25lookback_scan_determinismE0ELb0ES3_N6thrust23THRUST_200600_302600_NS6detail15normal_iteratorINS9_10device_ptrIiEEEENSB_INSC_IsEEEESG_sNS9_4plusIvEENS9_8equal_toIvEEsEE10hipError_tPvRmT2_T3_T4_T5_mT6_T7_P12ihipStream_tbENKUlT_T0_E_clISt17integral_constantIbLb1EES10_IbLb0EEEEDaSW_SX_EUlSW_E_NS1_11comp_targetILNS1_3genE5ELNS1_11target_archE942ELNS1_3gpuE9ELNS1_3repE0EEENS1_30default_config_static_selectorELNS0_4arch9wavefront6targetE0EEEvT1_,"axG",@progbits,_ZN7rocprim17ROCPRIM_400000_NS6detail17trampoline_kernelINS0_14default_configENS1_27scan_by_key_config_selectorIisEEZZNS1_16scan_by_key_implILNS1_25lookback_scan_determinismE0ELb0ES3_N6thrust23THRUST_200600_302600_NS6detail15normal_iteratorINS9_10device_ptrIiEEEENSB_INSC_IsEEEESG_sNS9_4plusIvEENS9_8equal_toIvEEsEE10hipError_tPvRmT2_T3_T4_T5_mT6_T7_P12ihipStream_tbENKUlT_T0_E_clISt17integral_constantIbLb1EES10_IbLb0EEEEDaSW_SX_EUlSW_E_NS1_11comp_targetILNS1_3genE5ELNS1_11target_archE942ELNS1_3gpuE9ELNS1_3repE0EEENS1_30default_config_static_selectorELNS0_4arch9wavefront6targetE0EEEvT1_,comdat
.Lfunc_end1374:
	.size	_ZN7rocprim17ROCPRIM_400000_NS6detail17trampoline_kernelINS0_14default_configENS1_27scan_by_key_config_selectorIisEEZZNS1_16scan_by_key_implILNS1_25lookback_scan_determinismE0ELb0ES3_N6thrust23THRUST_200600_302600_NS6detail15normal_iteratorINS9_10device_ptrIiEEEENSB_INSC_IsEEEESG_sNS9_4plusIvEENS9_8equal_toIvEEsEE10hipError_tPvRmT2_T3_T4_T5_mT6_T7_P12ihipStream_tbENKUlT_T0_E_clISt17integral_constantIbLb1EES10_IbLb0EEEEDaSW_SX_EUlSW_E_NS1_11comp_targetILNS1_3genE5ELNS1_11target_archE942ELNS1_3gpuE9ELNS1_3repE0EEENS1_30default_config_static_selectorELNS0_4arch9wavefront6targetE0EEEvT1_, .Lfunc_end1374-_ZN7rocprim17ROCPRIM_400000_NS6detail17trampoline_kernelINS0_14default_configENS1_27scan_by_key_config_selectorIisEEZZNS1_16scan_by_key_implILNS1_25lookback_scan_determinismE0ELb0ES3_N6thrust23THRUST_200600_302600_NS6detail15normal_iteratorINS9_10device_ptrIiEEEENSB_INSC_IsEEEESG_sNS9_4plusIvEENS9_8equal_toIvEEsEE10hipError_tPvRmT2_T3_T4_T5_mT6_T7_P12ihipStream_tbENKUlT_T0_E_clISt17integral_constantIbLb1EES10_IbLb0EEEEDaSW_SX_EUlSW_E_NS1_11comp_targetILNS1_3genE5ELNS1_11target_archE942ELNS1_3gpuE9ELNS1_3repE0EEENS1_30default_config_static_selectorELNS0_4arch9wavefront6targetE0EEEvT1_
                                        ; -- End function
	.set _ZN7rocprim17ROCPRIM_400000_NS6detail17trampoline_kernelINS0_14default_configENS1_27scan_by_key_config_selectorIisEEZZNS1_16scan_by_key_implILNS1_25lookback_scan_determinismE0ELb0ES3_N6thrust23THRUST_200600_302600_NS6detail15normal_iteratorINS9_10device_ptrIiEEEENSB_INSC_IsEEEESG_sNS9_4plusIvEENS9_8equal_toIvEEsEE10hipError_tPvRmT2_T3_T4_T5_mT6_T7_P12ihipStream_tbENKUlT_T0_E_clISt17integral_constantIbLb1EES10_IbLb0EEEEDaSW_SX_EUlSW_E_NS1_11comp_targetILNS1_3genE5ELNS1_11target_archE942ELNS1_3gpuE9ELNS1_3repE0EEENS1_30default_config_static_selectorELNS0_4arch9wavefront6targetE0EEEvT1_.num_vgpr, 0
	.set _ZN7rocprim17ROCPRIM_400000_NS6detail17trampoline_kernelINS0_14default_configENS1_27scan_by_key_config_selectorIisEEZZNS1_16scan_by_key_implILNS1_25lookback_scan_determinismE0ELb0ES3_N6thrust23THRUST_200600_302600_NS6detail15normal_iteratorINS9_10device_ptrIiEEEENSB_INSC_IsEEEESG_sNS9_4plusIvEENS9_8equal_toIvEEsEE10hipError_tPvRmT2_T3_T4_T5_mT6_T7_P12ihipStream_tbENKUlT_T0_E_clISt17integral_constantIbLb1EES10_IbLb0EEEEDaSW_SX_EUlSW_E_NS1_11comp_targetILNS1_3genE5ELNS1_11target_archE942ELNS1_3gpuE9ELNS1_3repE0EEENS1_30default_config_static_selectorELNS0_4arch9wavefront6targetE0EEEvT1_.num_agpr, 0
	.set _ZN7rocprim17ROCPRIM_400000_NS6detail17trampoline_kernelINS0_14default_configENS1_27scan_by_key_config_selectorIisEEZZNS1_16scan_by_key_implILNS1_25lookback_scan_determinismE0ELb0ES3_N6thrust23THRUST_200600_302600_NS6detail15normal_iteratorINS9_10device_ptrIiEEEENSB_INSC_IsEEEESG_sNS9_4plusIvEENS9_8equal_toIvEEsEE10hipError_tPvRmT2_T3_T4_T5_mT6_T7_P12ihipStream_tbENKUlT_T0_E_clISt17integral_constantIbLb1EES10_IbLb0EEEEDaSW_SX_EUlSW_E_NS1_11comp_targetILNS1_3genE5ELNS1_11target_archE942ELNS1_3gpuE9ELNS1_3repE0EEENS1_30default_config_static_selectorELNS0_4arch9wavefront6targetE0EEEvT1_.numbered_sgpr, 0
	.set _ZN7rocprim17ROCPRIM_400000_NS6detail17trampoline_kernelINS0_14default_configENS1_27scan_by_key_config_selectorIisEEZZNS1_16scan_by_key_implILNS1_25lookback_scan_determinismE0ELb0ES3_N6thrust23THRUST_200600_302600_NS6detail15normal_iteratorINS9_10device_ptrIiEEEENSB_INSC_IsEEEESG_sNS9_4plusIvEENS9_8equal_toIvEEsEE10hipError_tPvRmT2_T3_T4_T5_mT6_T7_P12ihipStream_tbENKUlT_T0_E_clISt17integral_constantIbLb1EES10_IbLb0EEEEDaSW_SX_EUlSW_E_NS1_11comp_targetILNS1_3genE5ELNS1_11target_archE942ELNS1_3gpuE9ELNS1_3repE0EEENS1_30default_config_static_selectorELNS0_4arch9wavefront6targetE0EEEvT1_.num_named_barrier, 0
	.set _ZN7rocprim17ROCPRIM_400000_NS6detail17trampoline_kernelINS0_14default_configENS1_27scan_by_key_config_selectorIisEEZZNS1_16scan_by_key_implILNS1_25lookback_scan_determinismE0ELb0ES3_N6thrust23THRUST_200600_302600_NS6detail15normal_iteratorINS9_10device_ptrIiEEEENSB_INSC_IsEEEESG_sNS9_4plusIvEENS9_8equal_toIvEEsEE10hipError_tPvRmT2_T3_T4_T5_mT6_T7_P12ihipStream_tbENKUlT_T0_E_clISt17integral_constantIbLb1EES10_IbLb0EEEEDaSW_SX_EUlSW_E_NS1_11comp_targetILNS1_3genE5ELNS1_11target_archE942ELNS1_3gpuE9ELNS1_3repE0EEENS1_30default_config_static_selectorELNS0_4arch9wavefront6targetE0EEEvT1_.private_seg_size, 0
	.set _ZN7rocprim17ROCPRIM_400000_NS6detail17trampoline_kernelINS0_14default_configENS1_27scan_by_key_config_selectorIisEEZZNS1_16scan_by_key_implILNS1_25lookback_scan_determinismE0ELb0ES3_N6thrust23THRUST_200600_302600_NS6detail15normal_iteratorINS9_10device_ptrIiEEEENSB_INSC_IsEEEESG_sNS9_4plusIvEENS9_8equal_toIvEEsEE10hipError_tPvRmT2_T3_T4_T5_mT6_T7_P12ihipStream_tbENKUlT_T0_E_clISt17integral_constantIbLb1EES10_IbLb0EEEEDaSW_SX_EUlSW_E_NS1_11comp_targetILNS1_3genE5ELNS1_11target_archE942ELNS1_3gpuE9ELNS1_3repE0EEENS1_30default_config_static_selectorELNS0_4arch9wavefront6targetE0EEEvT1_.uses_vcc, 0
	.set _ZN7rocprim17ROCPRIM_400000_NS6detail17trampoline_kernelINS0_14default_configENS1_27scan_by_key_config_selectorIisEEZZNS1_16scan_by_key_implILNS1_25lookback_scan_determinismE0ELb0ES3_N6thrust23THRUST_200600_302600_NS6detail15normal_iteratorINS9_10device_ptrIiEEEENSB_INSC_IsEEEESG_sNS9_4plusIvEENS9_8equal_toIvEEsEE10hipError_tPvRmT2_T3_T4_T5_mT6_T7_P12ihipStream_tbENKUlT_T0_E_clISt17integral_constantIbLb1EES10_IbLb0EEEEDaSW_SX_EUlSW_E_NS1_11comp_targetILNS1_3genE5ELNS1_11target_archE942ELNS1_3gpuE9ELNS1_3repE0EEENS1_30default_config_static_selectorELNS0_4arch9wavefront6targetE0EEEvT1_.uses_flat_scratch, 0
	.set _ZN7rocprim17ROCPRIM_400000_NS6detail17trampoline_kernelINS0_14default_configENS1_27scan_by_key_config_selectorIisEEZZNS1_16scan_by_key_implILNS1_25lookback_scan_determinismE0ELb0ES3_N6thrust23THRUST_200600_302600_NS6detail15normal_iteratorINS9_10device_ptrIiEEEENSB_INSC_IsEEEESG_sNS9_4plusIvEENS9_8equal_toIvEEsEE10hipError_tPvRmT2_T3_T4_T5_mT6_T7_P12ihipStream_tbENKUlT_T0_E_clISt17integral_constantIbLb1EES10_IbLb0EEEEDaSW_SX_EUlSW_E_NS1_11comp_targetILNS1_3genE5ELNS1_11target_archE942ELNS1_3gpuE9ELNS1_3repE0EEENS1_30default_config_static_selectorELNS0_4arch9wavefront6targetE0EEEvT1_.has_dyn_sized_stack, 0
	.set _ZN7rocprim17ROCPRIM_400000_NS6detail17trampoline_kernelINS0_14default_configENS1_27scan_by_key_config_selectorIisEEZZNS1_16scan_by_key_implILNS1_25lookback_scan_determinismE0ELb0ES3_N6thrust23THRUST_200600_302600_NS6detail15normal_iteratorINS9_10device_ptrIiEEEENSB_INSC_IsEEEESG_sNS9_4plusIvEENS9_8equal_toIvEEsEE10hipError_tPvRmT2_T3_T4_T5_mT6_T7_P12ihipStream_tbENKUlT_T0_E_clISt17integral_constantIbLb1EES10_IbLb0EEEEDaSW_SX_EUlSW_E_NS1_11comp_targetILNS1_3genE5ELNS1_11target_archE942ELNS1_3gpuE9ELNS1_3repE0EEENS1_30default_config_static_selectorELNS0_4arch9wavefront6targetE0EEEvT1_.has_recursion, 0
	.set _ZN7rocprim17ROCPRIM_400000_NS6detail17trampoline_kernelINS0_14default_configENS1_27scan_by_key_config_selectorIisEEZZNS1_16scan_by_key_implILNS1_25lookback_scan_determinismE0ELb0ES3_N6thrust23THRUST_200600_302600_NS6detail15normal_iteratorINS9_10device_ptrIiEEEENSB_INSC_IsEEEESG_sNS9_4plusIvEENS9_8equal_toIvEEsEE10hipError_tPvRmT2_T3_T4_T5_mT6_T7_P12ihipStream_tbENKUlT_T0_E_clISt17integral_constantIbLb1EES10_IbLb0EEEEDaSW_SX_EUlSW_E_NS1_11comp_targetILNS1_3genE5ELNS1_11target_archE942ELNS1_3gpuE9ELNS1_3repE0EEENS1_30default_config_static_selectorELNS0_4arch9wavefront6targetE0EEEvT1_.has_indirect_call, 0
	.section	.AMDGPU.csdata,"",@progbits
; Kernel info:
; codeLenInByte = 0
; TotalNumSgprs: 0
; NumVgprs: 0
; ScratchSize: 0
; MemoryBound: 0
; FloatMode: 240
; IeeeMode: 1
; LDSByteSize: 0 bytes/workgroup (compile time only)
; SGPRBlocks: 0
; VGPRBlocks: 0
; NumSGPRsForWavesPerEU: 1
; NumVGPRsForWavesPerEU: 1
; NamedBarCnt: 0
; Occupancy: 16
; WaveLimiterHint : 0
; COMPUTE_PGM_RSRC2:SCRATCH_EN: 0
; COMPUTE_PGM_RSRC2:USER_SGPR: 2
; COMPUTE_PGM_RSRC2:TRAP_HANDLER: 0
; COMPUTE_PGM_RSRC2:TGID_X_EN: 1
; COMPUTE_PGM_RSRC2:TGID_Y_EN: 0
; COMPUTE_PGM_RSRC2:TGID_Z_EN: 0
; COMPUTE_PGM_RSRC2:TIDIG_COMP_CNT: 0
	.section	.text._ZN7rocprim17ROCPRIM_400000_NS6detail17trampoline_kernelINS0_14default_configENS1_27scan_by_key_config_selectorIisEEZZNS1_16scan_by_key_implILNS1_25lookback_scan_determinismE0ELb0ES3_N6thrust23THRUST_200600_302600_NS6detail15normal_iteratorINS9_10device_ptrIiEEEENSB_INSC_IsEEEESG_sNS9_4plusIvEENS9_8equal_toIvEEsEE10hipError_tPvRmT2_T3_T4_T5_mT6_T7_P12ihipStream_tbENKUlT_T0_E_clISt17integral_constantIbLb1EES10_IbLb0EEEEDaSW_SX_EUlSW_E_NS1_11comp_targetILNS1_3genE4ELNS1_11target_archE910ELNS1_3gpuE8ELNS1_3repE0EEENS1_30default_config_static_selectorELNS0_4arch9wavefront6targetE0EEEvT1_,"axG",@progbits,_ZN7rocprim17ROCPRIM_400000_NS6detail17trampoline_kernelINS0_14default_configENS1_27scan_by_key_config_selectorIisEEZZNS1_16scan_by_key_implILNS1_25lookback_scan_determinismE0ELb0ES3_N6thrust23THRUST_200600_302600_NS6detail15normal_iteratorINS9_10device_ptrIiEEEENSB_INSC_IsEEEESG_sNS9_4plusIvEENS9_8equal_toIvEEsEE10hipError_tPvRmT2_T3_T4_T5_mT6_T7_P12ihipStream_tbENKUlT_T0_E_clISt17integral_constantIbLb1EES10_IbLb0EEEEDaSW_SX_EUlSW_E_NS1_11comp_targetILNS1_3genE4ELNS1_11target_archE910ELNS1_3gpuE8ELNS1_3repE0EEENS1_30default_config_static_selectorELNS0_4arch9wavefront6targetE0EEEvT1_,comdat
	.protected	_ZN7rocprim17ROCPRIM_400000_NS6detail17trampoline_kernelINS0_14default_configENS1_27scan_by_key_config_selectorIisEEZZNS1_16scan_by_key_implILNS1_25lookback_scan_determinismE0ELb0ES3_N6thrust23THRUST_200600_302600_NS6detail15normal_iteratorINS9_10device_ptrIiEEEENSB_INSC_IsEEEESG_sNS9_4plusIvEENS9_8equal_toIvEEsEE10hipError_tPvRmT2_T3_T4_T5_mT6_T7_P12ihipStream_tbENKUlT_T0_E_clISt17integral_constantIbLb1EES10_IbLb0EEEEDaSW_SX_EUlSW_E_NS1_11comp_targetILNS1_3genE4ELNS1_11target_archE910ELNS1_3gpuE8ELNS1_3repE0EEENS1_30default_config_static_selectorELNS0_4arch9wavefront6targetE0EEEvT1_ ; -- Begin function _ZN7rocprim17ROCPRIM_400000_NS6detail17trampoline_kernelINS0_14default_configENS1_27scan_by_key_config_selectorIisEEZZNS1_16scan_by_key_implILNS1_25lookback_scan_determinismE0ELb0ES3_N6thrust23THRUST_200600_302600_NS6detail15normal_iteratorINS9_10device_ptrIiEEEENSB_INSC_IsEEEESG_sNS9_4plusIvEENS9_8equal_toIvEEsEE10hipError_tPvRmT2_T3_T4_T5_mT6_T7_P12ihipStream_tbENKUlT_T0_E_clISt17integral_constantIbLb1EES10_IbLb0EEEEDaSW_SX_EUlSW_E_NS1_11comp_targetILNS1_3genE4ELNS1_11target_archE910ELNS1_3gpuE8ELNS1_3repE0EEENS1_30default_config_static_selectorELNS0_4arch9wavefront6targetE0EEEvT1_
	.globl	_ZN7rocprim17ROCPRIM_400000_NS6detail17trampoline_kernelINS0_14default_configENS1_27scan_by_key_config_selectorIisEEZZNS1_16scan_by_key_implILNS1_25lookback_scan_determinismE0ELb0ES3_N6thrust23THRUST_200600_302600_NS6detail15normal_iteratorINS9_10device_ptrIiEEEENSB_INSC_IsEEEESG_sNS9_4plusIvEENS9_8equal_toIvEEsEE10hipError_tPvRmT2_T3_T4_T5_mT6_T7_P12ihipStream_tbENKUlT_T0_E_clISt17integral_constantIbLb1EES10_IbLb0EEEEDaSW_SX_EUlSW_E_NS1_11comp_targetILNS1_3genE4ELNS1_11target_archE910ELNS1_3gpuE8ELNS1_3repE0EEENS1_30default_config_static_selectorELNS0_4arch9wavefront6targetE0EEEvT1_
	.p2align	8
	.type	_ZN7rocprim17ROCPRIM_400000_NS6detail17trampoline_kernelINS0_14default_configENS1_27scan_by_key_config_selectorIisEEZZNS1_16scan_by_key_implILNS1_25lookback_scan_determinismE0ELb0ES3_N6thrust23THRUST_200600_302600_NS6detail15normal_iteratorINS9_10device_ptrIiEEEENSB_INSC_IsEEEESG_sNS9_4plusIvEENS9_8equal_toIvEEsEE10hipError_tPvRmT2_T3_T4_T5_mT6_T7_P12ihipStream_tbENKUlT_T0_E_clISt17integral_constantIbLb1EES10_IbLb0EEEEDaSW_SX_EUlSW_E_NS1_11comp_targetILNS1_3genE4ELNS1_11target_archE910ELNS1_3gpuE8ELNS1_3repE0EEENS1_30default_config_static_selectorELNS0_4arch9wavefront6targetE0EEEvT1_,@function
_ZN7rocprim17ROCPRIM_400000_NS6detail17trampoline_kernelINS0_14default_configENS1_27scan_by_key_config_selectorIisEEZZNS1_16scan_by_key_implILNS1_25lookback_scan_determinismE0ELb0ES3_N6thrust23THRUST_200600_302600_NS6detail15normal_iteratorINS9_10device_ptrIiEEEENSB_INSC_IsEEEESG_sNS9_4plusIvEENS9_8equal_toIvEEsEE10hipError_tPvRmT2_T3_T4_T5_mT6_T7_P12ihipStream_tbENKUlT_T0_E_clISt17integral_constantIbLb1EES10_IbLb0EEEEDaSW_SX_EUlSW_E_NS1_11comp_targetILNS1_3genE4ELNS1_11target_archE910ELNS1_3gpuE8ELNS1_3repE0EEENS1_30default_config_static_selectorELNS0_4arch9wavefront6targetE0EEEvT1_: ; @_ZN7rocprim17ROCPRIM_400000_NS6detail17trampoline_kernelINS0_14default_configENS1_27scan_by_key_config_selectorIisEEZZNS1_16scan_by_key_implILNS1_25lookback_scan_determinismE0ELb0ES3_N6thrust23THRUST_200600_302600_NS6detail15normal_iteratorINS9_10device_ptrIiEEEENSB_INSC_IsEEEESG_sNS9_4plusIvEENS9_8equal_toIvEEsEE10hipError_tPvRmT2_T3_T4_T5_mT6_T7_P12ihipStream_tbENKUlT_T0_E_clISt17integral_constantIbLb1EES10_IbLb0EEEEDaSW_SX_EUlSW_E_NS1_11comp_targetILNS1_3genE4ELNS1_11target_archE910ELNS1_3gpuE8ELNS1_3repE0EEENS1_30default_config_static_selectorELNS0_4arch9wavefront6targetE0EEEvT1_
; %bb.0:
	.section	.rodata,"a",@progbits
	.p2align	6, 0x0
	.amdhsa_kernel _ZN7rocprim17ROCPRIM_400000_NS6detail17trampoline_kernelINS0_14default_configENS1_27scan_by_key_config_selectorIisEEZZNS1_16scan_by_key_implILNS1_25lookback_scan_determinismE0ELb0ES3_N6thrust23THRUST_200600_302600_NS6detail15normal_iteratorINS9_10device_ptrIiEEEENSB_INSC_IsEEEESG_sNS9_4plusIvEENS9_8equal_toIvEEsEE10hipError_tPvRmT2_T3_T4_T5_mT6_T7_P12ihipStream_tbENKUlT_T0_E_clISt17integral_constantIbLb1EES10_IbLb0EEEEDaSW_SX_EUlSW_E_NS1_11comp_targetILNS1_3genE4ELNS1_11target_archE910ELNS1_3gpuE8ELNS1_3repE0EEENS1_30default_config_static_selectorELNS0_4arch9wavefront6targetE0EEEvT1_
		.amdhsa_group_segment_fixed_size 0
		.amdhsa_private_segment_fixed_size 0
		.amdhsa_kernarg_size 112
		.amdhsa_user_sgpr_count 2
		.amdhsa_user_sgpr_dispatch_ptr 0
		.amdhsa_user_sgpr_queue_ptr 0
		.amdhsa_user_sgpr_kernarg_segment_ptr 1
		.amdhsa_user_sgpr_dispatch_id 0
		.amdhsa_user_sgpr_kernarg_preload_length 0
		.amdhsa_user_sgpr_kernarg_preload_offset 0
		.amdhsa_user_sgpr_private_segment_size 0
		.amdhsa_wavefront_size32 1
		.amdhsa_uses_dynamic_stack 0
		.amdhsa_enable_private_segment 0
		.amdhsa_system_sgpr_workgroup_id_x 1
		.amdhsa_system_sgpr_workgroup_id_y 0
		.amdhsa_system_sgpr_workgroup_id_z 0
		.amdhsa_system_sgpr_workgroup_info 0
		.amdhsa_system_vgpr_workitem_id 0
		.amdhsa_next_free_vgpr 1
		.amdhsa_next_free_sgpr 1
		.amdhsa_named_barrier_count 0
		.amdhsa_reserve_vcc 0
		.amdhsa_float_round_mode_32 0
		.amdhsa_float_round_mode_16_64 0
		.amdhsa_float_denorm_mode_32 3
		.amdhsa_float_denorm_mode_16_64 3
		.amdhsa_fp16_overflow 0
		.amdhsa_memory_ordered 1
		.amdhsa_forward_progress 1
		.amdhsa_inst_pref_size 0
		.amdhsa_round_robin_scheduling 0
		.amdhsa_exception_fp_ieee_invalid_op 0
		.amdhsa_exception_fp_denorm_src 0
		.amdhsa_exception_fp_ieee_div_zero 0
		.amdhsa_exception_fp_ieee_overflow 0
		.amdhsa_exception_fp_ieee_underflow 0
		.amdhsa_exception_fp_ieee_inexact 0
		.amdhsa_exception_int_div_zero 0
	.end_amdhsa_kernel
	.section	.text._ZN7rocprim17ROCPRIM_400000_NS6detail17trampoline_kernelINS0_14default_configENS1_27scan_by_key_config_selectorIisEEZZNS1_16scan_by_key_implILNS1_25lookback_scan_determinismE0ELb0ES3_N6thrust23THRUST_200600_302600_NS6detail15normal_iteratorINS9_10device_ptrIiEEEENSB_INSC_IsEEEESG_sNS9_4plusIvEENS9_8equal_toIvEEsEE10hipError_tPvRmT2_T3_T4_T5_mT6_T7_P12ihipStream_tbENKUlT_T0_E_clISt17integral_constantIbLb1EES10_IbLb0EEEEDaSW_SX_EUlSW_E_NS1_11comp_targetILNS1_3genE4ELNS1_11target_archE910ELNS1_3gpuE8ELNS1_3repE0EEENS1_30default_config_static_selectorELNS0_4arch9wavefront6targetE0EEEvT1_,"axG",@progbits,_ZN7rocprim17ROCPRIM_400000_NS6detail17trampoline_kernelINS0_14default_configENS1_27scan_by_key_config_selectorIisEEZZNS1_16scan_by_key_implILNS1_25lookback_scan_determinismE0ELb0ES3_N6thrust23THRUST_200600_302600_NS6detail15normal_iteratorINS9_10device_ptrIiEEEENSB_INSC_IsEEEESG_sNS9_4plusIvEENS9_8equal_toIvEEsEE10hipError_tPvRmT2_T3_T4_T5_mT6_T7_P12ihipStream_tbENKUlT_T0_E_clISt17integral_constantIbLb1EES10_IbLb0EEEEDaSW_SX_EUlSW_E_NS1_11comp_targetILNS1_3genE4ELNS1_11target_archE910ELNS1_3gpuE8ELNS1_3repE0EEENS1_30default_config_static_selectorELNS0_4arch9wavefront6targetE0EEEvT1_,comdat
.Lfunc_end1375:
	.size	_ZN7rocprim17ROCPRIM_400000_NS6detail17trampoline_kernelINS0_14default_configENS1_27scan_by_key_config_selectorIisEEZZNS1_16scan_by_key_implILNS1_25lookback_scan_determinismE0ELb0ES3_N6thrust23THRUST_200600_302600_NS6detail15normal_iteratorINS9_10device_ptrIiEEEENSB_INSC_IsEEEESG_sNS9_4plusIvEENS9_8equal_toIvEEsEE10hipError_tPvRmT2_T3_T4_T5_mT6_T7_P12ihipStream_tbENKUlT_T0_E_clISt17integral_constantIbLb1EES10_IbLb0EEEEDaSW_SX_EUlSW_E_NS1_11comp_targetILNS1_3genE4ELNS1_11target_archE910ELNS1_3gpuE8ELNS1_3repE0EEENS1_30default_config_static_selectorELNS0_4arch9wavefront6targetE0EEEvT1_, .Lfunc_end1375-_ZN7rocprim17ROCPRIM_400000_NS6detail17trampoline_kernelINS0_14default_configENS1_27scan_by_key_config_selectorIisEEZZNS1_16scan_by_key_implILNS1_25lookback_scan_determinismE0ELb0ES3_N6thrust23THRUST_200600_302600_NS6detail15normal_iteratorINS9_10device_ptrIiEEEENSB_INSC_IsEEEESG_sNS9_4plusIvEENS9_8equal_toIvEEsEE10hipError_tPvRmT2_T3_T4_T5_mT6_T7_P12ihipStream_tbENKUlT_T0_E_clISt17integral_constantIbLb1EES10_IbLb0EEEEDaSW_SX_EUlSW_E_NS1_11comp_targetILNS1_3genE4ELNS1_11target_archE910ELNS1_3gpuE8ELNS1_3repE0EEENS1_30default_config_static_selectorELNS0_4arch9wavefront6targetE0EEEvT1_
                                        ; -- End function
	.set _ZN7rocprim17ROCPRIM_400000_NS6detail17trampoline_kernelINS0_14default_configENS1_27scan_by_key_config_selectorIisEEZZNS1_16scan_by_key_implILNS1_25lookback_scan_determinismE0ELb0ES3_N6thrust23THRUST_200600_302600_NS6detail15normal_iteratorINS9_10device_ptrIiEEEENSB_INSC_IsEEEESG_sNS9_4plusIvEENS9_8equal_toIvEEsEE10hipError_tPvRmT2_T3_T4_T5_mT6_T7_P12ihipStream_tbENKUlT_T0_E_clISt17integral_constantIbLb1EES10_IbLb0EEEEDaSW_SX_EUlSW_E_NS1_11comp_targetILNS1_3genE4ELNS1_11target_archE910ELNS1_3gpuE8ELNS1_3repE0EEENS1_30default_config_static_selectorELNS0_4arch9wavefront6targetE0EEEvT1_.num_vgpr, 0
	.set _ZN7rocprim17ROCPRIM_400000_NS6detail17trampoline_kernelINS0_14default_configENS1_27scan_by_key_config_selectorIisEEZZNS1_16scan_by_key_implILNS1_25lookback_scan_determinismE0ELb0ES3_N6thrust23THRUST_200600_302600_NS6detail15normal_iteratorINS9_10device_ptrIiEEEENSB_INSC_IsEEEESG_sNS9_4plusIvEENS9_8equal_toIvEEsEE10hipError_tPvRmT2_T3_T4_T5_mT6_T7_P12ihipStream_tbENKUlT_T0_E_clISt17integral_constantIbLb1EES10_IbLb0EEEEDaSW_SX_EUlSW_E_NS1_11comp_targetILNS1_3genE4ELNS1_11target_archE910ELNS1_3gpuE8ELNS1_3repE0EEENS1_30default_config_static_selectorELNS0_4arch9wavefront6targetE0EEEvT1_.num_agpr, 0
	.set _ZN7rocprim17ROCPRIM_400000_NS6detail17trampoline_kernelINS0_14default_configENS1_27scan_by_key_config_selectorIisEEZZNS1_16scan_by_key_implILNS1_25lookback_scan_determinismE0ELb0ES3_N6thrust23THRUST_200600_302600_NS6detail15normal_iteratorINS9_10device_ptrIiEEEENSB_INSC_IsEEEESG_sNS9_4plusIvEENS9_8equal_toIvEEsEE10hipError_tPvRmT2_T3_T4_T5_mT6_T7_P12ihipStream_tbENKUlT_T0_E_clISt17integral_constantIbLb1EES10_IbLb0EEEEDaSW_SX_EUlSW_E_NS1_11comp_targetILNS1_3genE4ELNS1_11target_archE910ELNS1_3gpuE8ELNS1_3repE0EEENS1_30default_config_static_selectorELNS0_4arch9wavefront6targetE0EEEvT1_.numbered_sgpr, 0
	.set _ZN7rocprim17ROCPRIM_400000_NS6detail17trampoline_kernelINS0_14default_configENS1_27scan_by_key_config_selectorIisEEZZNS1_16scan_by_key_implILNS1_25lookback_scan_determinismE0ELb0ES3_N6thrust23THRUST_200600_302600_NS6detail15normal_iteratorINS9_10device_ptrIiEEEENSB_INSC_IsEEEESG_sNS9_4plusIvEENS9_8equal_toIvEEsEE10hipError_tPvRmT2_T3_T4_T5_mT6_T7_P12ihipStream_tbENKUlT_T0_E_clISt17integral_constantIbLb1EES10_IbLb0EEEEDaSW_SX_EUlSW_E_NS1_11comp_targetILNS1_3genE4ELNS1_11target_archE910ELNS1_3gpuE8ELNS1_3repE0EEENS1_30default_config_static_selectorELNS0_4arch9wavefront6targetE0EEEvT1_.num_named_barrier, 0
	.set _ZN7rocprim17ROCPRIM_400000_NS6detail17trampoline_kernelINS0_14default_configENS1_27scan_by_key_config_selectorIisEEZZNS1_16scan_by_key_implILNS1_25lookback_scan_determinismE0ELb0ES3_N6thrust23THRUST_200600_302600_NS6detail15normal_iteratorINS9_10device_ptrIiEEEENSB_INSC_IsEEEESG_sNS9_4plusIvEENS9_8equal_toIvEEsEE10hipError_tPvRmT2_T3_T4_T5_mT6_T7_P12ihipStream_tbENKUlT_T0_E_clISt17integral_constantIbLb1EES10_IbLb0EEEEDaSW_SX_EUlSW_E_NS1_11comp_targetILNS1_3genE4ELNS1_11target_archE910ELNS1_3gpuE8ELNS1_3repE0EEENS1_30default_config_static_selectorELNS0_4arch9wavefront6targetE0EEEvT1_.private_seg_size, 0
	.set _ZN7rocprim17ROCPRIM_400000_NS6detail17trampoline_kernelINS0_14default_configENS1_27scan_by_key_config_selectorIisEEZZNS1_16scan_by_key_implILNS1_25lookback_scan_determinismE0ELb0ES3_N6thrust23THRUST_200600_302600_NS6detail15normal_iteratorINS9_10device_ptrIiEEEENSB_INSC_IsEEEESG_sNS9_4plusIvEENS9_8equal_toIvEEsEE10hipError_tPvRmT2_T3_T4_T5_mT6_T7_P12ihipStream_tbENKUlT_T0_E_clISt17integral_constantIbLb1EES10_IbLb0EEEEDaSW_SX_EUlSW_E_NS1_11comp_targetILNS1_3genE4ELNS1_11target_archE910ELNS1_3gpuE8ELNS1_3repE0EEENS1_30default_config_static_selectorELNS0_4arch9wavefront6targetE0EEEvT1_.uses_vcc, 0
	.set _ZN7rocprim17ROCPRIM_400000_NS6detail17trampoline_kernelINS0_14default_configENS1_27scan_by_key_config_selectorIisEEZZNS1_16scan_by_key_implILNS1_25lookback_scan_determinismE0ELb0ES3_N6thrust23THRUST_200600_302600_NS6detail15normal_iteratorINS9_10device_ptrIiEEEENSB_INSC_IsEEEESG_sNS9_4plusIvEENS9_8equal_toIvEEsEE10hipError_tPvRmT2_T3_T4_T5_mT6_T7_P12ihipStream_tbENKUlT_T0_E_clISt17integral_constantIbLb1EES10_IbLb0EEEEDaSW_SX_EUlSW_E_NS1_11comp_targetILNS1_3genE4ELNS1_11target_archE910ELNS1_3gpuE8ELNS1_3repE0EEENS1_30default_config_static_selectorELNS0_4arch9wavefront6targetE0EEEvT1_.uses_flat_scratch, 0
	.set _ZN7rocprim17ROCPRIM_400000_NS6detail17trampoline_kernelINS0_14default_configENS1_27scan_by_key_config_selectorIisEEZZNS1_16scan_by_key_implILNS1_25lookback_scan_determinismE0ELb0ES3_N6thrust23THRUST_200600_302600_NS6detail15normal_iteratorINS9_10device_ptrIiEEEENSB_INSC_IsEEEESG_sNS9_4plusIvEENS9_8equal_toIvEEsEE10hipError_tPvRmT2_T3_T4_T5_mT6_T7_P12ihipStream_tbENKUlT_T0_E_clISt17integral_constantIbLb1EES10_IbLb0EEEEDaSW_SX_EUlSW_E_NS1_11comp_targetILNS1_3genE4ELNS1_11target_archE910ELNS1_3gpuE8ELNS1_3repE0EEENS1_30default_config_static_selectorELNS0_4arch9wavefront6targetE0EEEvT1_.has_dyn_sized_stack, 0
	.set _ZN7rocprim17ROCPRIM_400000_NS6detail17trampoline_kernelINS0_14default_configENS1_27scan_by_key_config_selectorIisEEZZNS1_16scan_by_key_implILNS1_25lookback_scan_determinismE0ELb0ES3_N6thrust23THRUST_200600_302600_NS6detail15normal_iteratorINS9_10device_ptrIiEEEENSB_INSC_IsEEEESG_sNS9_4plusIvEENS9_8equal_toIvEEsEE10hipError_tPvRmT2_T3_T4_T5_mT6_T7_P12ihipStream_tbENKUlT_T0_E_clISt17integral_constantIbLb1EES10_IbLb0EEEEDaSW_SX_EUlSW_E_NS1_11comp_targetILNS1_3genE4ELNS1_11target_archE910ELNS1_3gpuE8ELNS1_3repE0EEENS1_30default_config_static_selectorELNS0_4arch9wavefront6targetE0EEEvT1_.has_recursion, 0
	.set _ZN7rocprim17ROCPRIM_400000_NS6detail17trampoline_kernelINS0_14default_configENS1_27scan_by_key_config_selectorIisEEZZNS1_16scan_by_key_implILNS1_25lookback_scan_determinismE0ELb0ES3_N6thrust23THRUST_200600_302600_NS6detail15normal_iteratorINS9_10device_ptrIiEEEENSB_INSC_IsEEEESG_sNS9_4plusIvEENS9_8equal_toIvEEsEE10hipError_tPvRmT2_T3_T4_T5_mT6_T7_P12ihipStream_tbENKUlT_T0_E_clISt17integral_constantIbLb1EES10_IbLb0EEEEDaSW_SX_EUlSW_E_NS1_11comp_targetILNS1_3genE4ELNS1_11target_archE910ELNS1_3gpuE8ELNS1_3repE0EEENS1_30default_config_static_selectorELNS0_4arch9wavefront6targetE0EEEvT1_.has_indirect_call, 0
	.section	.AMDGPU.csdata,"",@progbits
; Kernel info:
; codeLenInByte = 0
; TotalNumSgprs: 0
; NumVgprs: 0
; ScratchSize: 0
; MemoryBound: 0
; FloatMode: 240
; IeeeMode: 1
; LDSByteSize: 0 bytes/workgroup (compile time only)
; SGPRBlocks: 0
; VGPRBlocks: 0
; NumSGPRsForWavesPerEU: 1
; NumVGPRsForWavesPerEU: 1
; NamedBarCnt: 0
; Occupancy: 16
; WaveLimiterHint : 0
; COMPUTE_PGM_RSRC2:SCRATCH_EN: 0
; COMPUTE_PGM_RSRC2:USER_SGPR: 2
; COMPUTE_PGM_RSRC2:TRAP_HANDLER: 0
; COMPUTE_PGM_RSRC2:TGID_X_EN: 1
; COMPUTE_PGM_RSRC2:TGID_Y_EN: 0
; COMPUTE_PGM_RSRC2:TGID_Z_EN: 0
; COMPUTE_PGM_RSRC2:TIDIG_COMP_CNT: 0
	.section	.text._ZN7rocprim17ROCPRIM_400000_NS6detail17trampoline_kernelINS0_14default_configENS1_27scan_by_key_config_selectorIisEEZZNS1_16scan_by_key_implILNS1_25lookback_scan_determinismE0ELb0ES3_N6thrust23THRUST_200600_302600_NS6detail15normal_iteratorINS9_10device_ptrIiEEEENSB_INSC_IsEEEESG_sNS9_4plusIvEENS9_8equal_toIvEEsEE10hipError_tPvRmT2_T3_T4_T5_mT6_T7_P12ihipStream_tbENKUlT_T0_E_clISt17integral_constantIbLb1EES10_IbLb0EEEEDaSW_SX_EUlSW_E_NS1_11comp_targetILNS1_3genE3ELNS1_11target_archE908ELNS1_3gpuE7ELNS1_3repE0EEENS1_30default_config_static_selectorELNS0_4arch9wavefront6targetE0EEEvT1_,"axG",@progbits,_ZN7rocprim17ROCPRIM_400000_NS6detail17trampoline_kernelINS0_14default_configENS1_27scan_by_key_config_selectorIisEEZZNS1_16scan_by_key_implILNS1_25lookback_scan_determinismE0ELb0ES3_N6thrust23THRUST_200600_302600_NS6detail15normal_iteratorINS9_10device_ptrIiEEEENSB_INSC_IsEEEESG_sNS9_4plusIvEENS9_8equal_toIvEEsEE10hipError_tPvRmT2_T3_T4_T5_mT6_T7_P12ihipStream_tbENKUlT_T0_E_clISt17integral_constantIbLb1EES10_IbLb0EEEEDaSW_SX_EUlSW_E_NS1_11comp_targetILNS1_3genE3ELNS1_11target_archE908ELNS1_3gpuE7ELNS1_3repE0EEENS1_30default_config_static_selectorELNS0_4arch9wavefront6targetE0EEEvT1_,comdat
	.protected	_ZN7rocprim17ROCPRIM_400000_NS6detail17trampoline_kernelINS0_14default_configENS1_27scan_by_key_config_selectorIisEEZZNS1_16scan_by_key_implILNS1_25lookback_scan_determinismE0ELb0ES3_N6thrust23THRUST_200600_302600_NS6detail15normal_iteratorINS9_10device_ptrIiEEEENSB_INSC_IsEEEESG_sNS9_4plusIvEENS9_8equal_toIvEEsEE10hipError_tPvRmT2_T3_T4_T5_mT6_T7_P12ihipStream_tbENKUlT_T0_E_clISt17integral_constantIbLb1EES10_IbLb0EEEEDaSW_SX_EUlSW_E_NS1_11comp_targetILNS1_3genE3ELNS1_11target_archE908ELNS1_3gpuE7ELNS1_3repE0EEENS1_30default_config_static_selectorELNS0_4arch9wavefront6targetE0EEEvT1_ ; -- Begin function _ZN7rocprim17ROCPRIM_400000_NS6detail17trampoline_kernelINS0_14default_configENS1_27scan_by_key_config_selectorIisEEZZNS1_16scan_by_key_implILNS1_25lookback_scan_determinismE0ELb0ES3_N6thrust23THRUST_200600_302600_NS6detail15normal_iteratorINS9_10device_ptrIiEEEENSB_INSC_IsEEEESG_sNS9_4plusIvEENS9_8equal_toIvEEsEE10hipError_tPvRmT2_T3_T4_T5_mT6_T7_P12ihipStream_tbENKUlT_T0_E_clISt17integral_constantIbLb1EES10_IbLb0EEEEDaSW_SX_EUlSW_E_NS1_11comp_targetILNS1_3genE3ELNS1_11target_archE908ELNS1_3gpuE7ELNS1_3repE0EEENS1_30default_config_static_selectorELNS0_4arch9wavefront6targetE0EEEvT1_
	.globl	_ZN7rocprim17ROCPRIM_400000_NS6detail17trampoline_kernelINS0_14default_configENS1_27scan_by_key_config_selectorIisEEZZNS1_16scan_by_key_implILNS1_25lookback_scan_determinismE0ELb0ES3_N6thrust23THRUST_200600_302600_NS6detail15normal_iteratorINS9_10device_ptrIiEEEENSB_INSC_IsEEEESG_sNS9_4plusIvEENS9_8equal_toIvEEsEE10hipError_tPvRmT2_T3_T4_T5_mT6_T7_P12ihipStream_tbENKUlT_T0_E_clISt17integral_constantIbLb1EES10_IbLb0EEEEDaSW_SX_EUlSW_E_NS1_11comp_targetILNS1_3genE3ELNS1_11target_archE908ELNS1_3gpuE7ELNS1_3repE0EEENS1_30default_config_static_selectorELNS0_4arch9wavefront6targetE0EEEvT1_
	.p2align	8
	.type	_ZN7rocprim17ROCPRIM_400000_NS6detail17trampoline_kernelINS0_14default_configENS1_27scan_by_key_config_selectorIisEEZZNS1_16scan_by_key_implILNS1_25lookback_scan_determinismE0ELb0ES3_N6thrust23THRUST_200600_302600_NS6detail15normal_iteratorINS9_10device_ptrIiEEEENSB_INSC_IsEEEESG_sNS9_4plusIvEENS9_8equal_toIvEEsEE10hipError_tPvRmT2_T3_T4_T5_mT6_T7_P12ihipStream_tbENKUlT_T0_E_clISt17integral_constantIbLb1EES10_IbLb0EEEEDaSW_SX_EUlSW_E_NS1_11comp_targetILNS1_3genE3ELNS1_11target_archE908ELNS1_3gpuE7ELNS1_3repE0EEENS1_30default_config_static_selectorELNS0_4arch9wavefront6targetE0EEEvT1_,@function
_ZN7rocprim17ROCPRIM_400000_NS6detail17trampoline_kernelINS0_14default_configENS1_27scan_by_key_config_selectorIisEEZZNS1_16scan_by_key_implILNS1_25lookback_scan_determinismE0ELb0ES3_N6thrust23THRUST_200600_302600_NS6detail15normal_iteratorINS9_10device_ptrIiEEEENSB_INSC_IsEEEESG_sNS9_4plusIvEENS9_8equal_toIvEEsEE10hipError_tPvRmT2_T3_T4_T5_mT6_T7_P12ihipStream_tbENKUlT_T0_E_clISt17integral_constantIbLb1EES10_IbLb0EEEEDaSW_SX_EUlSW_E_NS1_11comp_targetILNS1_3genE3ELNS1_11target_archE908ELNS1_3gpuE7ELNS1_3repE0EEENS1_30default_config_static_selectorELNS0_4arch9wavefront6targetE0EEEvT1_: ; @_ZN7rocprim17ROCPRIM_400000_NS6detail17trampoline_kernelINS0_14default_configENS1_27scan_by_key_config_selectorIisEEZZNS1_16scan_by_key_implILNS1_25lookback_scan_determinismE0ELb0ES3_N6thrust23THRUST_200600_302600_NS6detail15normal_iteratorINS9_10device_ptrIiEEEENSB_INSC_IsEEEESG_sNS9_4plusIvEENS9_8equal_toIvEEsEE10hipError_tPvRmT2_T3_T4_T5_mT6_T7_P12ihipStream_tbENKUlT_T0_E_clISt17integral_constantIbLb1EES10_IbLb0EEEEDaSW_SX_EUlSW_E_NS1_11comp_targetILNS1_3genE3ELNS1_11target_archE908ELNS1_3gpuE7ELNS1_3repE0EEENS1_30default_config_static_selectorELNS0_4arch9wavefront6targetE0EEEvT1_
; %bb.0:
	.section	.rodata,"a",@progbits
	.p2align	6, 0x0
	.amdhsa_kernel _ZN7rocprim17ROCPRIM_400000_NS6detail17trampoline_kernelINS0_14default_configENS1_27scan_by_key_config_selectorIisEEZZNS1_16scan_by_key_implILNS1_25lookback_scan_determinismE0ELb0ES3_N6thrust23THRUST_200600_302600_NS6detail15normal_iteratorINS9_10device_ptrIiEEEENSB_INSC_IsEEEESG_sNS9_4plusIvEENS9_8equal_toIvEEsEE10hipError_tPvRmT2_T3_T4_T5_mT6_T7_P12ihipStream_tbENKUlT_T0_E_clISt17integral_constantIbLb1EES10_IbLb0EEEEDaSW_SX_EUlSW_E_NS1_11comp_targetILNS1_3genE3ELNS1_11target_archE908ELNS1_3gpuE7ELNS1_3repE0EEENS1_30default_config_static_selectorELNS0_4arch9wavefront6targetE0EEEvT1_
		.amdhsa_group_segment_fixed_size 0
		.amdhsa_private_segment_fixed_size 0
		.amdhsa_kernarg_size 112
		.amdhsa_user_sgpr_count 2
		.amdhsa_user_sgpr_dispatch_ptr 0
		.amdhsa_user_sgpr_queue_ptr 0
		.amdhsa_user_sgpr_kernarg_segment_ptr 1
		.amdhsa_user_sgpr_dispatch_id 0
		.amdhsa_user_sgpr_kernarg_preload_length 0
		.amdhsa_user_sgpr_kernarg_preload_offset 0
		.amdhsa_user_sgpr_private_segment_size 0
		.amdhsa_wavefront_size32 1
		.amdhsa_uses_dynamic_stack 0
		.amdhsa_enable_private_segment 0
		.amdhsa_system_sgpr_workgroup_id_x 1
		.amdhsa_system_sgpr_workgroup_id_y 0
		.amdhsa_system_sgpr_workgroup_id_z 0
		.amdhsa_system_sgpr_workgroup_info 0
		.amdhsa_system_vgpr_workitem_id 0
		.amdhsa_next_free_vgpr 1
		.amdhsa_next_free_sgpr 1
		.amdhsa_named_barrier_count 0
		.amdhsa_reserve_vcc 0
		.amdhsa_float_round_mode_32 0
		.amdhsa_float_round_mode_16_64 0
		.amdhsa_float_denorm_mode_32 3
		.amdhsa_float_denorm_mode_16_64 3
		.amdhsa_fp16_overflow 0
		.amdhsa_memory_ordered 1
		.amdhsa_forward_progress 1
		.amdhsa_inst_pref_size 0
		.amdhsa_round_robin_scheduling 0
		.amdhsa_exception_fp_ieee_invalid_op 0
		.amdhsa_exception_fp_denorm_src 0
		.amdhsa_exception_fp_ieee_div_zero 0
		.amdhsa_exception_fp_ieee_overflow 0
		.amdhsa_exception_fp_ieee_underflow 0
		.amdhsa_exception_fp_ieee_inexact 0
		.amdhsa_exception_int_div_zero 0
	.end_amdhsa_kernel
	.section	.text._ZN7rocprim17ROCPRIM_400000_NS6detail17trampoline_kernelINS0_14default_configENS1_27scan_by_key_config_selectorIisEEZZNS1_16scan_by_key_implILNS1_25lookback_scan_determinismE0ELb0ES3_N6thrust23THRUST_200600_302600_NS6detail15normal_iteratorINS9_10device_ptrIiEEEENSB_INSC_IsEEEESG_sNS9_4plusIvEENS9_8equal_toIvEEsEE10hipError_tPvRmT2_T3_T4_T5_mT6_T7_P12ihipStream_tbENKUlT_T0_E_clISt17integral_constantIbLb1EES10_IbLb0EEEEDaSW_SX_EUlSW_E_NS1_11comp_targetILNS1_3genE3ELNS1_11target_archE908ELNS1_3gpuE7ELNS1_3repE0EEENS1_30default_config_static_selectorELNS0_4arch9wavefront6targetE0EEEvT1_,"axG",@progbits,_ZN7rocprim17ROCPRIM_400000_NS6detail17trampoline_kernelINS0_14default_configENS1_27scan_by_key_config_selectorIisEEZZNS1_16scan_by_key_implILNS1_25lookback_scan_determinismE0ELb0ES3_N6thrust23THRUST_200600_302600_NS6detail15normal_iteratorINS9_10device_ptrIiEEEENSB_INSC_IsEEEESG_sNS9_4plusIvEENS9_8equal_toIvEEsEE10hipError_tPvRmT2_T3_T4_T5_mT6_T7_P12ihipStream_tbENKUlT_T0_E_clISt17integral_constantIbLb1EES10_IbLb0EEEEDaSW_SX_EUlSW_E_NS1_11comp_targetILNS1_3genE3ELNS1_11target_archE908ELNS1_3gpuE7ELNS1_3repE0EEENS1_30default_config_static_selectorELNS0_4arch9wavefront6targetE0EEEvT1_,comdat
.Lfunc_end1376:
	.size	_ZN7rocprim17ROCPRIM_400000_NS6detail17trampoline_kernelINS0_14default_configENS1_27scan_by_key_config_selectorIisEEZZNS1_16scan_by_key_implILNS1_25lookback_scan_determinismE0ELb0ES3_N6thrust23THRUST_200600_302600_NS6detail15normal_iteratorINS9_10device_ptrIiEEEENSB_INSC_IsEEEESG_sNS9_4plusIvEENS9_8equal_toIvEEsEE10hipError_tPvRmT2_T3_T4_T5_mT6_T7_P12ihipStream_tbENKUlT_T0_E_clISt17integral_constantIbLb1EES10_IbLb0EEEEDaSW_SX_EUlSW_E_NS1_11comp_targetILNS1_3genE3ELNS1_11target_archE908ELNS1_3gpuE7ELNS1_3repE0EEENS1_30default_config_static_selectorELNS0_4arch9wavefront6targetE0EEEvT1_, .Lfunc_end1376-_ZN7rocprim17ROCPRIM_400000_NS6detail17trampoline_kernelINS0_14default_configENS1_27scan_by_key_config_selectorIisEEZZNS1_16scan_by_key_implILNS1_25lookback_scan_determinismE0ELb0ES3_N6thrust23THRUST_200600_302600_NS6detail15normal_iteratorINS9_10device_ptrIiEEEENSB_INSC_IsEEEESG_sNS9_4plusIvEENS9_8equal_toIvEEsEE10hipError_tPvRmT2_T3_T4_T5_mT6_T7_P12ihipStream_tbENKUlT_T0_E_clISt17integral_constantIbLb1EES10_IbLb0EEEEDaSW_SX_EUlSW_E_NS1_11comp_targetILNS1_3genE3ELNS1_11target_archE908ELNS1_3gpuE7ELNS1_3repE0EEENS1_30default_config_static_selectorELNS0_4arch9wavefront6targetE0EEEvT1_
                                        ; -- End function
	.set _ZN7rocprim17ROCPRIM_400000_NS6detail17trampoline_kernelINS0_14default_configENS1_27scan_by_key_config_selectorIisEEZZNS1_16scan_by_key_implILNS1_25lookback_scan_determinismE0ELb0ES3_N6thrust23THRUST_200600_302600_NS6detail15normal_iteratorINS9_10device_ptrIiEEEENSB_INSC_IsEEEESG_sNS9_4plusIvEENS9_8equal_toIvEEsEE10hipError_tPvRmT2_T3_T4_T5_mT6_T7_P12ihipStream_tbENKUlT_T0_E_clISt17integral_constantIbLb1EES10_IbLb0EEEEDaSW_SX_EUlSW_E_NS1_11comp_targetILNS1_3genE3ELNS1_11target_archE908ELNS1_3gpuE7ELNS1_3repE0EEENS1_30default_config_static_selectorELNS0_4arch9wavefront6targetE0EEEvT1_.num_vgpr, 0
	.set _ZN7rocprim17ROCPRIM_400000_NS6detail17trampoline_kernelINS0_14default_configENS1_27scan_by_key_config_selectorIisEEZZNS1_16scan_by_key_implILNS1_25lookback_scan_determinismE0ELb0ES3_N6thrust23THRUST_200600_302600_NS6detail15normal_iteratorINS9_10device_ptrIiEEEENSB_INSC_IsEEEESG_sNS9_4plusIvEENS9_8equal_toIvEEsEE10hipError_tPvRmT2_T3_T4_T5_mT6_T7_P12ihipStream_tbENKUlT_T0_E_clISt17integral_constantIbLb1EES10_IbLb0EEEEDaSW_SX_EUlSW_E_NS1_11comp_targetILNS1_3genE3ELNS1_11target_archE908ELNS1_3gpuE7ELNS1_3repE0EEENS1_30default_config_static_selectorELNS0_4arch9wavefront6targetE0EEEvT1_.num_agpr, 0
	.set _ZN7rocprim17ROCPRIM_400000_NS6detail17trampoline_kernelINS0_14default_configENS1_27scan_by_key_config_selectorIisEEZZNS1_16scan_by_key_implILNS1_25lookback_scan_determinismE0ELb0ES3_N6thrust23THRUST_200600_302600_NS6detail15normal_iteratorINS9_10device_ptrIiEEEENSB_INSC_IsEEEESG_sNS9_4plusIvEENS9_8equal_toIvEEsEE10hipError_tPvRmT2_T3_T4_T5_mT6_T7_P12ihipStream_tbENKUlT_T0_E_clISt17integral_constantIbLb1EES10_IbLb0EEEEDaSW_SX_EUlSW_E_NS1_11comp_targetILNS1_3genE3ELNS1_11target_archE908ELNS1_3gpuE7ELNS1_3repE0EEENS1_30default_config_static_selectorELNS0_4arch9wavefront6targetE0EEEvT1_.numbered_sgpr, 0
	.set _ZN7rocprim17ROCPRIM_400000_NS6detail17trampoline_kernelINS0_14default_configENS1_27scan_by_key_config_selectorIisEEZZNS1_16scan_by_key_implILNS1_25lookback_scan_determinismE0ELb0ES3_N6thrust23THRUST_200600_302600_NS6detail15normal_iteratorINS9_10device_ptrIiEEEENSB_INSC_IsEEEESG_sNS9_4plusIvEENS9_8equal_toIvEEsEE10hipError_tPvRmT2_T3_T4_T5_mT6_T7_P12ihipStream_tbENKUlT_T0_E_clISt17integral_constantIbLb1EES10_IbLb0EEEEDaSW_SX_EUlSW_E_NS1_11comp_targetILNS1_3genE3ELNS1_11target_archE908ELNS1_3gpuE7ELNS1_3repE0EEENS1_30default_config_static_selectorELNS0_4arch9wavefront6targetE0EEEvT1_.num_named_barrier, 0
	.set _ZN7rocprim17ROCPRIM_400000_NS6detail17trampoline_kernelINS0_14default_configENS1_27scan_by_key_config_selectorIisEEZZNS1_16scan_by_key_implILNS1_25lookback_scan_determinismE0ELb0ES3_N6thrust23THRUST_200600_302600_NS6detail15normal_iteratorINS9_10device_ptrIiEEEENSB_INSC_IsEEEESG_sNS9_4plusIvEENS9_8equal_toIvEEsEE10hipError_tPvRmT2_T3_T4_T5_mT6_T7_P12ihipStream_tbENKUlT_T0_E_clISt17integral_constantIbLb1EES10_IbLb0EEEEDaSW_SX_EUlSW_E_NS1_11comp_targetILNS1_3genE3ELNS1_11target_archE908ELNS1_3gpuE7ELNS1_3repE0EEENS1_30default_config_static_selectorELNS0_4arch9wavefront6targetE0EEEvT1_.private_seg_size, 0
	.set _ZN7rocprim17ROCPRIM_400000_NS6detail17trampoline_kernelINS0_14default_configENS1_27scan_by_key_config_selectorIisEEZZNS1_16scan_by_key_implILNS1_25lookback_scan_determinismE0ELb0ES3_N6thrust23THRUST_200600_302600_NS6detail15normal_iteratorINS9_10device_ptrIiEEEENSB_INSC_IsEEEESG_sNS9_4plusIvEENS9_8equal_toIvEEsEE10hipError_tPvRmT2_T3_T4_T5_mT6_T7_P12ihipStream_tbENKUlT_T0_E_clISt17integral_constantIbLb1EES10_IbLb0EEEEDaSW_SX_EUlSW_E_NS1_11comp_targetILNS1_3genE3ELNS1_11target_archE908ELNS1_3gpuE7ELNS1_3repE0EEENS1_30default_config_static_selectorELNS0_4arch9wavefront6targetE0EEEvT1_.uses_vcc, 0
	.set _ZN7rocprim17ROCPRIM_400000_NS6detail17trampoline_kernelINS0_14default_configENS1_27scan_by_key_config_selectorIisEEZZNS1_16scan_by_key_implILNS1_25lookback_scan_determinismE0ELb0ES3_N6thrust23THRUST_200600_302600_NS6detail15normal_iteratorINS9_10device_ptrIiEEEENSB_INSC_IsEEEESG_sNS9_4plusIvEENS9_8equal_toIvEEsEE10hipError_tPvRmT2_T3_T4_T5_mT6_T7_P12ihipStream_tbENKUlT_T0_E_clISt17integral_constantIbLb1EES10_IbLb0EEEEDaSW_SX_EUlSW_E_NS1_11comp_targetILNS1_3genE3ELNS1_11target_archE908ELNS1_3gpuE7ELNS1_3repE0EEENS1_30default_config_static_selectorELNS0_4arch9wavefront6targetE0EEEvT1_.uses_flat_scratch, 0
	.set _ZN7rocprim17ROCPRIM_400000_NS6detail17trampoline_kernelINS0_14default_configENS1_27scan_by_key_config_selectorIisEEZZNS1_16scan_by_key_implILNS1_25lookback_scan_determinismE0ELb0ES3_N6thrust23THRUST_200600_302600_NS6detail15normal_iteratorINS9_10device_ptrIiEEEENSB_INSC_IsEEEESG_sNS9_4plusIvEENS9_8equal_toIvEEsEE10hipError_tPvRmT2_T3_T4_T5_mT6_T7_P12ihipStream_tbENKUlT_T0_E_clISt17integral_constantIbLb1EES10_IbLb0EEEEDaSW_SX_EUlSW_E_NS1_11comp_targetILNS1_3genE3ELNS1_11target_archE908ELNS1_3gpuE7ELNS1_3repE0EEENS1_30default_config_static_selectorELNS0_4arch9wavefront6targetE0EEEvT1_.has_dyn_sized_stack, 0
	.set _ZN7rocprim17ROCPRIM_400000_NS6detail17trampoline_kernelINS0_14default_configENS1_27scan_by_key_config_selectorIisEEZZNS1_16scan_by_key_implILNS1_25lookback_scan_determinismE0ELb0ES3_N6thrust23THRUST_200600_302600_NS6detail15normal_iteratorINS9_10device_ptrIiEEEENSB_INSC_IsEEEESG_sNS9_4plusIvEENS9_8equal_toIvEEsEE10hipError_tPvRmT2_T3_T4_T5_mT6_T7_P12ihipStream_tbENKUlT_T0_E_clISt17integral_constantIbLb1EES10_IbLb0EEEEDaSW_SX_EUlSW_E_NS1_11comp_targetILNS1_3genE3ELNS1_11target_archE908ELNS1_3gpuE7ELNS1_3repE0EEENS1_30default_config_static_selectorELNS0_4arch9wavefront6targetE0EEEvT1_.has_recursion, 0
	.set _ZN7rocprim17ROCPRIM_400000_NS6detail17trampoline_kernelINS0_14default_configENS1_27scan_by_key_config_selectorIisEEZZNS1_16scan_by_key_implILNS1_25lookback_scan_determinismE0ELb0ES3_N6thrust23THRUST_200600_302600_NS6detail15normal_iteratorINS9_10device_ptrIiEEEENSB_INSC_IsEEEESG_sNS9_4plusIvEENS9_8equal_toIvEEsEE10hipError_tPvRmT2_T3_T4_T5_mT6_T7_P12ihipStream_tbENKUlT_T0_E_clISt17integral_constantIbLb1EES10_IbLb0EEEEDaSW_SX_EUlSW_E_NS1_11comp_targetILNS1_3genE3ELNS1_11target_archE908ELNS1_3gpuE7ELNS1_3repE0EEENS1_30default_config_static_selectorELNS0_4arch9wavefront6targetE0EEEvT1_.has_indirect_call, 0
	.section	.AMDGPU.csdata,"",@progbits
; Kernel info:
; codeLenInByte = 0
; TotalNumSgprs: 0
; NumVgprs: 0
; ScratchSize: 0
; MemoryBound: 0
; FloatMode: 240
; IeeeMode: 1
; LDSByteSize: 0 bytes/workgroup (compile time only)
; SGPRBlocks: 0
; VGPRBlocks: 0
; NumSGPRsForWavesPerEU: 1
; NumVGPRsForWavesPerEU: 1
; NamedBarCnt: 0
; Occupancy: 16
; WaveLimiterHint : 0
; COMPUTE_PGM_RSRC2:SCRATCH_EN: 0
; COMPUTE_PGM_RSRC2:USER_SGPR: 2
; COMPUTE_PGM_RSRC2:TRAP_HANDLER: 0
; COMPUTE_PGM_RSRC2:TGID_X_EN: 1
; COMPUTE_PGM_RSRC2:TGID_Y_EN: 0
; COMPUTE_PGM_RSRC2:TGID_Z_EN: 0
; COMPUTE_PGM_RSRC2:TIDIG_COMP_CNT: 0
	.section	.text._ZN7rocprim17ROCPRIM_400000_NS6detail17trampoline_kernelINS0_14default_configENS1_27scan_by_key_config_selectorIisEEZZNS1_16scan_by_key_implILNS1_25lookback_scan_determinismE0ELb0ES3_N6thrust23THRUST_200600_302600_NS6detail15normal_iteratorINS9_10device_ptrIiEEEENSB_INSC_IsEEEESG_sNS9_4plusIvEENS9_8equal_toIvEEsEE10hipError_tPvRmT2_T3_T4_T5_mT6_T7_P12ihipStream_tbENKUlT_T0_E_clISt17integral_constantIbLb1EES10_IbLb0EEEEDaSW_SX_EUlSW_E_NS1_11comp_targetILNS1_3genE2ELNS1_11target_archE906ELNS1_3gpuE6ELNS1_3repE0EEENS1_30default_config_static_selectorELNS0_4arch9wavefront6targetE0EEEvT1_,"axG",@progbits,_ZN7rocprim17ROCPRIM_400000_NS6detail17trampoline_kernelINS0_14default_configENS1_27scan_by_key_config_selectorIisEEZZNS1_16scan_by_key_implILNS1_25lookback_scan_determinismE0ELb0ES3_N6thrust23THRUST_200600_302600_NS6detail15normal_iteratorINS9_10device_ptrIiEEEENSB_INSC_IsEEEESG_sNS9_4plusIvEENS9_8equal_toIvEEsEE10hipError_tPvRmT2_T3_T4_T5_mT6_T7_P12ihipStream_tbENKUlT_T0_E_clISt17integral_constantIbLb1EES10_IbLb0EEEEDaSW_SX_EUlSW_E_NS1_11comp_targetILNS1_3genE2ELNS1_11target_archE906ELNS1_3gpuE6ELNS1_3repE0EEENS1_30default_config_static_selectorELNS0_4arch9wavefront6targetE0EEEvT1_,comdat
	.protected	_ZN7rocprim17ROCPRIM_400000_NS6detail17trampoline_kernelINS0_14default_configENS1_27scan_by_key_config_selectorIisEEZZNS1_16scan_by_key_implILNS1_25lookback_scan_determinismE0ELb0ES3_N6thrust23THRUST_200600_302600_NS6detail15normal_iteratorINS9_10device_ptrIiEEEENSB_INSC_IsEEEESG_sNS9_4plusIvEENS9_8equal_toIvEEsEE10hipError_tPvRmT2_T3_T4_T5_mT6_T7_P12ihipStream_tbENKUlT_T0_E_clISt17integral_constantIbLb1EES10_IbLb0EEEEDaSW_SX_EUlSW_E_NS1_11comp_targetILNS1_3genE2ELNS1_11target_archE906ELNS1_3gpuE6ELNS1_3repE0EEENS1_30default_config_static_selectorELNS0_4arch9wavefront6targetE0EEEvT1_ ; -- Begin function _ZN7rocprim17ROCPRIM_400000_NS6detail17trampoline_kernelINS0_14default_configENS1_27scan_by_key_config_selectorIisEEZZNS1_16scan_by_key_implILNS1_25lookback_scan_determinismE0ELb0ES3_N6thrust23THRUST_200600_302600_NS6detail15normal_iteratorINS9_10device_ptrIiEEEENSB_INSC_IsEEEESG_sNS9_4plusIvEENS9_8equal_toIvEEsEE10hipError_tPvRmT2_T3_T4_T5_mT6_T7_P12ihipStream_tbENKUlT_T0_E_clISt17integral_constantIbLb1EES10_IbLb0EEEEDaSW_SX_EUlSW_E_NS1_11comp_targetILNS1_3genE2ELNS1_11target_archE906ELNS1_3gpuE6ELNS1_3repE0EEENS1_30default_config_static_selectorELNS0_4arch9wavefront6targetE0EEEvT1_
	.globl	_ZN7rocprim17ROCPRIM_400000_NS6detail17trampoline_kernelINS0_14default_configENS1_27scan_by_key_config_selectorIisEEZZNS1_16scan_by_key_implILNS1_25lookback_scan_determinismE0ELb0ES3_N6thrust23THRUST_200600_302600_NS6detail15normal_iteratorINS9_10device_ptrIiEEEENSB_INSC_IsEEEESG_sNS9_4plusIvEENS9_8equal_toIvEEsEE10hipError_tPvRmT2_T3_T4_T5_mT6_T7_P12ihipStream_tbENKUlT_T0_E_clISt17integral_constantIbLb1EES10_IbLb0EEEEDaSW_SX_EUlSW_E_NS1_11comp_targetILNS1_3genE2ELNS1_11target_archE906ELNS1_3gpuE6ELNS1_3repE0EEENS1_30default_config_static_selectorELNS0_4arch9wavefront6targetE0EEEvT1_
	.p2align	8
	.type	_ZN7rocprim17ROCPRIM_400000_NS6detail17trampoline_kernelINS0_14default_configENS1_27scan_by_key_config_selectorIisEEZZNS1_16scan_by_key_implILNS1_25lookback_scan_determinismE0ELb0ES3_N6thrust23THRUST_200600_302600_NS6detail15normal_iteratorINS9_10device_ptrIiEEEENSB_INSC_IsEEEESG_sNS9_4plusIvEENS9_8equal_toIvEEsEE10hipError_tPvRmT2_T3_T4_T5_mT6_T7_P12ihipStream_tbENKUlT_T0_E_clISt17integral_constantIbLb1EES10_IbLb0EEEEDaSW_SX_EUlSW_E_NS1_11comp_targetILNS1_3genE2ELNS1_11target_archE906ELNS1_3gpuE6ELNS1_3repE0EEENS1_30default_config_static_selectorELNS0_4arch9wavefront6targetE0EEEvT1_,@function
_ZN7rocprim17ROCPRIM_400000_NS6detail17trampoline_kernelINS0_14default_configENS1_27scan_by_key_config_selectorIisEEZZNS1_16scan_by_key_implILNS1_25lookback_scan_determinismE0ELb0ES3_N6thrust23THRUST_200600_302600_NS6detail15normal_iteratorINS9_10device_ptrIiEEEENSB_INSC_IsEEEESG_sNS9_4plusIvEENS9_8equal_toIvEEsEE10hipError_tPvRmT2_T3_T4_T5_mT6_T7_P12ihipStream_tbENKUlT_T0_E_clISt17integral_constantIbLb1EES10_IbLb0EEEEDaSW_SX_EUlSW_E_NS1_11comp_targetILNS1_3genE2ELNS1_11target_archE906ELNS1_3gpuE6ELNS1_3repE0EEENS1_30default_config_static_selectorELNS0_4arch9wavefront6targetE0EEEvT1_: ; @_ZN7rocprim17ROCPRIM_400000_NS6detail17trampoline_kernelINS0_14default_configENS1_27scan_by_key_config_selectorIisEEZZNS1_16scan_by_key_implILNS1_25lookback_scan_determinismE0ELb0ES3_N6thrust23THRUST_200600_302600_NS6detail15normal_iteratorINS9_10device_ptrIiEEEENSB_INSC_IsEEEESG_sNS9_4plusIvEENS9_8equal_toIvEEsEE10hipError_tPvRmT2_T3_T4_T5_mT6_T7_P12ihipStream_tbENKUlT_T0_E_clISt17integral_constantIbLb1EES10_IbLb0EEEEDaSW_SX_EUlSW_E_NS1_11comp_targetILNS1_3genE2ELNS1_11target_archE906ELNS1_3gpuE6ELNS1_3repE0EEENS1_30default_config_static_selectorELNS0_4arch9wavefront6targetE0EEEvT1_
; %bb.0:
	.section	.rodata,"a",@progbits
	.p2align	6, 0x0
	.amdhsa_kernel _ZN7rocprim17ROCPRIM_400000_NS6detail17trampoline_kernelINS0_14default_configENS1_27scan_by_key_config_selectorIisEEZZNS1_16scan_by_key_implILNS1_25lookback_scan_determinismE0ELb0ES3_N6thrust23THRUST_200600_302600_NS6detail15normal_iteratorINS9_10device_ptrIiEEEENSB_INSC_IsEEEESG_sNS9_4plusIvEENS9_8equal_toIvEEsEE10hipError_tPvRmT2_T3_T4_T5_mT6_T7_P12ihipStream_tbENKUlT_T0_E_clISt17integral_constantIbLb1EES10_IbLb0EEEEDaSW_SX_EUlSW_E_NS1_11comp_targetILNS1_3genE2ELNS1_11target_archE906ELNS1_3gpuE6ELNS1_3repE0EEENS1_30default_config_static_selectorELNS0_4arch9wavefront6targetE0EEEvT1_
		.amdhsa_group_segment_fixed_size 0
		.amdhsa_private_segment_fixed_size 0
		.amdhsa_kernarg_size 112
		.amdhsa_user_sgpr_count 2
		.amdhsa_user_sgpr_dispatch_ptr 0
		.amdhsa_user_sgpr_queue_ptr 0
		.amdhsa_user_sgpr_kernarg_segment_ptr 1
		.amdhsa_user_sgpr_dispatch_id 0
		.amdhsa_user_sgpr_kernarg_preload_length 0
		.amdhsa_user_sgpr_kernarg_preload_offset 0
		.amdhsa_user_sgpr_private_segment_size 0
		.amdhsa_wavefront_size32 1
		.amdhsa_uses_dynamic_stack 0
		.amdhsa_enable_private_segment 0
		.amdhsa_system_sgpr_workgroup_id_x 1
		.amdhsa_system_sgpr_workgroup_id_y 0
		.amdhsa_system_sgpr_workgroup_id_z 0
		.amdhsa_system_sgpr_workgroup_info 0
		.amdhsa_system_vgpr_workitem_id 0
		.amdhsa_next_free_vgpr 1
		.amdhsa_next_free_sgpr 1
		.amdhsa_named_barrier_count 0
		.amdhsa_reserve_vcc 0
		.amdhsa_float_round_mode_32 0
		.amdhsa_float_round_mode_16_64 0
		.amdhsa_float_denorm_mode_32 3
		.amdhsa_float_denorm_mode_16_64 3
		.amdhsa_fp16_overflow 0
		.amdhsa_memory_ordered 1
		.amdhsa_forward_progress 1
		.amdhsa_inst_pref_size 0
		.amdhsa_round_robin_scheduling 0
		.amdhsa_exception_fp_ieee_invalid_op 0
		.amdhsa_exception_fp_denorm_src 0
		.amdhsa_exception_fp_ieee_div_zero 0
		.amdhsa_exception_fp_ieee_overflow 0
		.amdhsa_exception_fp_ieee_underflow 0
		.amdhsa_exception_fp_ieee_inexact 0
		.amdhsa_exception_int_div_zero 0
	.end_amdhsa_kernel
	.section	.text._ZN7rocprim17ROCPRIM_400000_NS6detail17trampoline_kernelINS0_14default_configENS1_27scan_by_key_config_selectorIisEEZZNS1_16scan_by_key_implILNS1_25lookback_scan_determinismE0ELb0ES3_N6thrust23THRUST_200600_302600_NS6detail15normal_iteratorINS9_10device_ptrIiEEEENSB_INSC_IsEEEESG_sNS9_4plusIvEENS9_8equal_toIvEEsEE10hipError_tPvRmT2_T3_T4_T5_mT6_T7_P12ihipStream_tbENKUlT_T0_E_clISt17integral_constantIbLb1EES10_IbLb0EEEEDaSW_SX_EUlSW_E_NS1_11comp_targetILNS1_3genE2ELNS1_11target_archE906ELNS1_3gpuE6ELNS1_3repE0EEENS1_30default_config_static_selectorELNS0_4arch9wavefront6targetE0EEEvT1_,"axG",@progbits,_ZN7rocprim17ROCPRIM_400000_NS6detail17trampoline_kernelINS0_14default_configENS1_27scan_by_key_config_selectorIisEEZZNS1_16scan_by_key_implILNS1_25lookback_scan_determinismE0ELb0ES3_N6thrust23THRUST_200600_302600_NS6detail15normal_iteratorINS9_10device_ptrIiEEEENSB_INSC_IsEEEESG_sNS9_4plusIvEENS9_8equal_toIvEEsEE10hipError_tPvRmT2_T3_T4_T5_mT6_T7_P12ihipStream_tbENKUlT_T0_E_clISt17integral_constantIbLb1EES10_IbLb0EEEEDaSW_SX_EUlSW_E_NS1_11comp_targetILNS1_3genE2ELNS1_11target_archE906ELNS1_3gpuE6ELNS1_3repE0EEENS1_30default_config_static_selectorELNS0_4arch9wavefront6targetE0EEEvT1_,comdat
.Lfunc_end1377:
	.size	_ZN7rocprim17ROCPRIM_400000_NS6detail17trampoline_kernelINS0_14default_configENS1_27scan_by_key_config_selectorIisEEZZNS1_16scan_by_key_implILNS1_25lookback_scan_determinismE0ELb0ES3_N6thrust23THRUST_200600_302600_NS6detail15normal_iteratorINS9_10device_ptrIiEEEENSB_INSC_IsEEEESG_sNS9_4plusIvEENS9_8equal_toIvEEsEE10hipError_tPvRmT2_T3_T4_T5_mT6_T7_P12ihipStream_tbENKUlT_T0_E_clISt17integral_constantIbLb1EES10_IbLb0EEEEDaSW_SX_EUlSW_E_NS1_11comp_targetILNS1_3genE2ELNS1_11target_archE906ELNS1_3gpuE6ELNS1_3repE0EEENS1_30default_config_static_selectorELNS0_4arch9wavefront6targetE0EEEvT1_, .Lfunc_end1377-_ZN7rocprim17ROCPRIM_400000_NS6detail17trampoline_kernelINS0_14default_configENS1_27scan_by_key_config_selectorIisEEZZNS1_16scan_by_key_implILNS1_25lookback_scan_determinismE0ELb0ES3_N6thrust23THRUST_200600_302600_NS6detail15normal_iteratorINS9_10device_ptrIiEEEENSB_INSC_IsEEEESG_sNS9_4plusIvEENS9_8equal_toIvEEsEE10hipError_tPvRmT2_T3_T4_T5_mT6_T7_P12ihipStream_tbENKUlT_T0_E_clISt17integral_constantIbLb1EES10_IbLb0EEEEDaSW_SX_EUlSW_E_NS1_11comp_targetILNS1_3genE2ELNS1_11target_archE906ELNS1_3gpuE6ELNS1_3repE0EEENS1_30default_config_static_selectorELNS0_4arch9wavefront6targetE0EEEvT1_
                                        ; -- End function
	.set _ZN7rocprim17ROCPRIM_400000_NS6detail17trampoline_kernelINS0_14default_configENS1_27scan_by_key_config_selectorIisEEZZNS1_16scan_by_key_implILNS1_25lookback_scan_determinismE0ELb0ES3_N6thrust23THRUST_200600_302600_NS6detail15normal_iteratorINS9_10device_ptrIiEEEENSB_INSC_IsEEEESG_sNS9_4plusIvEENS9_8equal_toIvEEsEE10hipError_tPvRmT2_T3_T4_T5_mT6_T7_P12ihipStream_tbENKUlT_T0_E_clISt17integral_constantIbLb1EES10_IbLb0EEEEDaSW_SX_EUlSW_E_NS1_11comp_targetILNS1_3genE2ELNS1_11target_archE906ELNS1_3gpuE6ELNS1_3repE0EEENS1_30default_config_static_selectorELNS0_4arch9wavefront6targetE0EEEvT1_.num_vgpr, 0
	.set _ZN7rocprim17ROCPRIM_400000_NS6detail17trampoline_kernelINS0_14default_configENS1_27scan_by_key_config_selectorIisEEZZNS1_16scan_by_key_implILNS1_25lookback_scan_determinismE0ELb0ES3_N6thrust23THRUST_200600_302600_NS6detail15normal_iteratorINS9_10device_ptrIiEEEENSB_INSC_IsEEEESG_sNS9_4plusIvEENS9_8equal_toIvEEsEE10hipError_tPvRmT2_T3_T4_T5_mT6_T7_P12ihipStream_tbENKUlT_T0_E_clISt17integral_constantIbLb1EES10_IbLb0EEEEDaSW_SX_EUlSW_E_NS1_11comp_targetILNS1_3genE2ELNS1_11target_archE906ELNS1_3gpuE6ELNS1_3repE0EEENS1_30default_config_static_selectorELNS0_4arch9wavefront6targetE0EEEvT1_.num_agpr, 0
	.set _ZN7rocprim17ROCPRIM_400000_NS6detail17trampoline_kernelINS0_14default_configENS1_27scan_by_key_config_selectorIisEEZZNS1_16scan_by_key_implILNS1_25lookback_scan_determinismE0ELb0ES3_N6thrust23THRUST_200600_302600_NS6detail15normal_iteratorINS9_10device_ptrIiEEEENSB_INSC_IsEEEESG_sNS9_4plusIvEENS9_8equal_toIvEEsEE10hipError_tPvRmT2_T3_T4_T5_mT6_T7_P12ihipStream_tbENKUlT_T0_E_clISt17integral_constantIbLb1EES10_IbLb0EEEEDaSW_SX_EUlSW_E_NS1_11comp_targetILNS1_3genE2ELNS1_11target_archE906ELNS1_3gpuE6ELNS1_3repE0EEENS1_30default_config_static_selectorELNS0_4arch9wavefront6targetE0EEEvT1_.numbered_sgpr, 0
	.set _ZN7rocprim17ROCPRIM_400000_NS6detail17trampoline_kernelINS0_14default_configENS1_27scan_by_key_config_selectorIisEEZZNS1_16scan_by_key_implILNS1_25lookback_scan_determinismE0ELb0ES3_N6thrust23THRUST_200600_302600_NS6detail15normal_iteratorINS9_10device_ptrIiEEEENSB_INSC_IsEEEESG_sNS9_4plusIvEENS9_8equal_toIvEEsEE10hipError_tPvRmT2_T3_T4_T5_mT6_T7_P12ihipStream_tbENKUlT_T0_E_clISt17integral_constantIbLb1EES10_IbLb0EEEEDaSW_SX_EUlSW_E_NS1_11comp_targetILNS1_3genE2ELNS1_11target_archE906ELNS1_3gpuE6ELNS1_3repE0EEENS1_30default_config_static_selectorELNS0_4arch9wavefront6targetE0EEEvT1_.num_named_barrier, 0
	.set _ZN7rocprim17ROCPRIM_400000_NS6detail17trampoline_kernelINS0_14default_configENS1_27scan_by_key_config_selectorIisEEZZNS1_16scan_by_key_implILNS1_25lookback_scan_determinismE0ELb0ES3_N6thrust23THRUST_200600_302600_NS6detail15normal_iteratorINS9_10device_ptrIiEEEENSB_INSC_IsEEEESG_sNS9_4plusIvEENS9_8equal_toIvEEsEE10hipError_tPvRmT2_T3_T4_T5_mT6_T7_P12ihipStream_tbENKUlT_T0_E_clISt17integral_constantIbLb1EES10_IbLb0EEEEDaSW_SX_EUlSW_E_NS1_11comp_targetILNS1_3genE2ELNS1_11target_archE906ELNS1_3gpuE6ELNS1_3repE0EEENS1_30default_config_static_selectorELNS0_4arch9wavefront6targetE0EEEvT1_.private_seg_size, 0
	.set _ZN7rocprim17ROCPRIM_400000_NS6detail17trampoline_kernelINS0_14default_configENS1_27scan_by_key_config_selectorIisEEZZNS1_16scan_by_key_implILNS1_25lookback_scan_determinismE0ELb0ES3_N6thrust23THRUST_200600_302600_NS6detail15normal_iteratorINS9_10device_ptrIiEEEENSB_INSC_IsEEEESG_sNS9_4plusIvEENS9_8equal_toIvEEsEE10hipError_tPvRmT2_T3_T4_T5_mT6_T7_P12ihipStream_tbENKUlT_T0_E_clISt17integral_constantIbLb1EES10_IbLb0EEEEDaSW_SX_EUlSW_E_NS1_11comp_targetILNS1_3genE2ELNS1_11target_archE906ELNS1_3gpuE6ELNS1_3repE0EEENS1_30default_config_static_selectorELNS0_4arch9wavefront6targetE0EEEvT1_.uses_vcc, 0
	.set _ZN7rocprim17ROCPRIM_400000_NS6detail17trampoline_kernelINS0_14default_configENS1_27scan_by_key_config_selectorIisEEZZNS1_16scan_by_key_implILNS1_25lookback_scan_determinismE0ELb0ES3_N6thrust23THRUST_200600_302600_NS6detail15normal_iteratorINS9_10device_ptrIiEEEENSB_INSC_IsEEEESG_sNS9_4plusIvEENS9_8equal_toIvEEsEE10hipError_tPvRmT2_T3_T4_T5_mT6_T7_P12ihipStream_tbENKUlT_T0_E_clISt17integral_constantIbLb1EES10_IbLb0EEEEDaSW_SX_EUlSW_E_NS1_11comp_targetILNS1_3genE2ELNS1_11target_archE906ELNS1_3gpuE6ELNS1_3repE0EEENS1_30default_config_static_selectorELNS0_4arch9wavefront6targetE0EEEvT1_.uses_flat_scratch, 0
	.set _ZN7rocprim17ROCPRIM_400000_NS6detail17trampoline_kernelINS0_14default_configENS1_27scan_by_key_config_selectorIisEEZZNS1_16scan_by_key_implILNS1_25lookback_scan_determinismE0ELb0ES3_N6thrust23THRUST_200600_302600_NS6detail15normal_iteratorINS9_10device_ptrIiEEEENSB_INSC_IsEEEESG_sNS9_4plusIvEENS9_8equal_toIvEEsEE10hipError_tPvRmT2_T3_T4_T5_mT6_T7_P12ihipStream_tbENKUlT_T0_E_clISt17integral_constantIbLb1EES10_IbLb0EEEEDaSW_SX_EUlSW_E_NS1_11comp_targetILNS1_3genE2ELNS1_11target_archE906ELNS1_3gpuE6ELNS1_3repE0EEENS1_30default_config_static_selectorELNS0_4arch9wavefront6targetE0EEEvT1_.has_dyn_sized_stack, 0
	.set _ZN7rocprim17ROCPRIM_400000_NS6detail17trampoline_kernelINS0_14default_configENS1_27scan_by_key_config_selectorIisEEZZNS1_16scan_by_key_implILNS1_25lookback_scan_determinismE0ELb0ES3_N6thrust23THRUST_200600_302600_NS6detail15normal_iteratorINS9_10device_ptrIiEEEENSB_INSC_IsEEEESG_sNS9_4plusIvEENS9_8equal_toIvEEsEE10hipError_tPvRmT2_T3_T4_T5_mT6_T7_P12ihipStream_tbENKUlT_T0_E_clISt17integral_constantIbLb1EES10_IbLb0EEEEDaSW_SX_EUlSW_E_NS1_11comp_targetILNS1_3genE2ELNS1_11target_archE906ELNS1_3gpuE6ELNS1_3repE0EEENS1_30default_config_static_selectorELNS0_4arch9wavefront6targetE0EEEvT1_.has_recursion, 0
	.set _ZN7rocprim17ROCPRIM_400000_NS6detail17trampoline_kernelINS0_14default_configENS1_27scan_by_key_config_selectorIisEEZZNS1_16scan_by_key_implILNS1_25lookback_scan_determinismE0ELb0ES3_N6thrust23THRUST_200600_302600_NS6detail15normal_iteratorINS9_10device_ptrIiEEEENSB_INSC_IsEEEESG_sNS9_4plusIvEENS9_8equal_toIvEEsEE10hipError_tPvRmT2_T3_T4_T5_mT6_T7_P12ihipStream_tbENKUlT_T0_E_clISt17integral_constantIbLb1EES10_IbLb0EEEEDaSW_SX_EUlSW_E_NS1_11comp_targetILNS1_3genE2ELNS1_11target_archE906ELNS1_3gpuE6ELNS1_3repE0EEENS1_30default_config_static_selectorELNS0_4arch9wavefront6targetE0EEEvT1_.has_indirect_call, 0
	.section	.AMDGPU.csdata,"",@progbits
; Kernel info:
; codeLenInByte = 0
; TotalNumSgprs: 0
; NumVgprs: 0
; ScratchSize: 0
; MemoryBound: 0
; FloatMode: 240
; IeeeMode: 1
; LDSByteSize: 0 bytes/workgroup (compile time only)
; SGPRBlocks: 0
; VGPRBlocks: 0
; NumSGPRsForWavesPerEU: 1
; NumVGPRsForWavesPerEU: 1
; NamedBarCnt: 0
; Occupancy: 16
; WaveLimiterHint : 0
; COMPUTE_PGM_RSRC2:SCRATCH_EN: 0
; COMPUTE_PGM_RSRC2:USER_SGPR: 2
; COMPUTE_PGM_RSRC2:TRAP_HANDLER: 0
; COMPUTE_PGM_RSRC2:TGID_X_EN: 1
; COMPUTE_PGM_RSRC2:TGID_Y_EN: 0
; COMPUTE_PGM_RSRC2:TGID_Z_EN: 0
; COMPUTE_PGM_RSRC2:TIDIG_COMP_CNT: 0
	.section	.text._ZN7rocprim17ROCPRIM_400000_NS6detail17trampoline_kernelINS0_14default_configENS1_27scan_by_key_config_selectorIisEEZZNS1_16scan_by_key_implILNS1_25lookback_scan_determinismE0ELb0ES3_N6thrust23THRUST_200600_302600_NS6detail15normal_iteratorINS9_10device_ptrIiEEEENSB_INSC_IsEEEESG_sNS9_4plusIvEENS9_8equal_toIvEEsEE10hipError_tPvRmT2_T3_T4_T5_mT6_T7_P12ihipStream_tbENKUlT_T0_E_clISt17integral_constantIbLb1EES10_IbLb0EEEEDaSW_SX_EUlSW_E_NS1_11comp_targetILNS1_3genE10ELNS1_11target_archE1200ELNS1_3gpuE4ELNS1_3repE0EEENS1_30default_config_static_selectorELNS0_4arch9wavefront6targetE0EEEvT1_,"axG",@progbits,_ZN7rocprim17ROCPRIM_400000_NS6detail17trampoline_kernelINS0_14default_configENS1_27scan_by_key_config_selectorIisEEZZNS1_16scan_by_key_implILNS1_25lookback_scan_determinismE0ELb0ES3_N6thrust23THRUST_200600_302600_NS6detail15normal_iteratorINS9_10device_ptrIiEEEENSB_INSC_IsEEEESG_sNS9_4plusIvEENS9_8equal_toIvEEsEE10hipError_tPvRmT2_T3_T4_T5_mT6_T7_P12ihipStream_tbENKUlT_T0_E_clISt17integral_constantIbLb1EES10_IbLb0EEEEDaSW_SX_EUlSW_E_NS1_11comp_targetILNS1_3genE10ELNS1_11target_archE1200ELNS1_3gpuE4ELNS1_3repE0EEENS1_30default_config_static_selectorELNS0_4arch9wavefront6targetE0EEEvT1_,comdat
	.protected	_ZN7rocprim17ROCPRIM_400000_NS6detail17trampoline_kernelINS0_14default_configENS1_27scan_by_key_config_selectorIisEEZZNS1_16scan_by_key_implILNS1_25lookback_scan_determinismE0ELb0ES3_N6thrust23THRUST_200600_302600_NS6detail15normal_iteratorINS9_10device_ptrIiEEEENSB_INSC_IsEEEESG_sNS9_4plusIvEENS9_8equal_toIvEEsEE10hipError_tPvRmT2_T3_T4_T5_mT6_T7_P12ihipStream_tbENKUlT_T0_E_clISt17integral_constantIbLb1EES10_IbLb0EEEEDaSW_SX_EUlSW_E_NS1_11comp_targetILNS1_3genE10ELNS1_11target_archE1200ELNS1_3gpuE4ELNS1_3repE0EEENS1_30default_config_static_selectorELNS0_4arch9wavefront6targetE0EEEvT1_ ; -- Begin function _ZN7rocprim17ROCPRIM_400000_NS6detail17trampoline_kernelINS0_14default_configENS1_27scan_by_key_config_selectorIisEEZZNS1_16scan_by_key_implILNS1_25lookback_scan_determinismE0ELb0ES3_N6thrust23THRUST_200600_302600_NS6detail15normal_iteratorINS9_10device_ptrIiEEEENSB_INSC_IsEEEESG_sNS9_4plusIvEENS9_8equal_toIvEEsEE10hipError_tPvRmT2_T3_T4_T5_mT6_T7_P12ihipStream_tbENKUlT_T0_E_clISt17integral_constantIbLb1EES10_IbLb0EEEEDaSW_SX_EUlSW_E_NS1_11comp_targetILNS1_3genE10ELNS1_11target_archE1200ELNS1_3gpuE4ELNS1_3repE0EEENS1_30default_config_static_selectorELNS0_4arch9wavefront6targetE0EEEvT1_
	.globl	_ZN7rocprim17ROCPRIM_400000_NS6detail17trampoline_kernelINS0_14default_configENS1_27scan_by_key_config_selectorIisEEZZNS1_16scan_by_key_implILNS1_25lookback_scan_determinismE0ELb0ES3_N6thrust23THRUST_200600_302600_NS6detail15normal_iteratorINS9_10device_ptrIiEEEENSB_INSC_IsEEEESG_sNS9_4plusIvEENS9_8equal_toIvEEsEE10hipError_tPvRmT2_T3_T4_T5_mT6_T7_P12ihipStream_tbENKUlT_T0_E_clISt17integral_constantIbLb1EES10_IbLb0EEEEDaSW_SX_EUlSW_E_NS1_11comp_targetILNS1_3genE10ELNS1_11target_archE1200ELNS1_3gpuE4ELNS1_3repE0EEENS1_30default_config_static_selectorELNS0_4arch9wavefront6targetE0EEEvT1_
	.p2align	8
	.type	_ZN7rocprim17ROCPRIM_400000_NS6detail17trampoline_kernelINS0_14default_configENS1_27scan_by_key_config_selectorIisEEZZNS1_16scan_by_key_implILNS1_25lookback_scan_determinismE0ELb0ES3_N6thrust23THRUST_200600_302600_NS6detail15normal_iteratorINS9_10device_ptrIiEEEENSB_INSC_IsEEEESG_sNS9_4plusIvEENS9_8equal_toIvEEsEE10hipError_tPvRmT2_T3_T4_T5_mT6_T7_P12ihipStream_tbENKUlT_T0_E_clISt17integral_constantIbLb1EES10_IbLb0EEEEDaSW_SX_EUlSW_E_NS1_11comp_targetILNS1_3genE10ELNS1_11target_archE1200ELNS1_3gpuE4ELNS1_3repE0EEENS1_30default_config_static_selectorELNS0_4arch9wavefront6targetE0EEEvT1_,@function
_ZN7rocprim17ROCPRIM_400000_NS6detail17trampoline_kernelINS0_14default_configENS1_27scan_by_key_config_selectorIisEEZZNS1_16scan_by_key_implILNS1_25lookback_scan_determinismE0ELb0ES3_N6thrust23THRUST_200600_302600_NS6detail15normal_iteratorINS9_10device_ptrIiEEEENSB_INSC_IsEEEESG_sNS9_4plusIvEENS9_8equal_toIvEEsEE10hipError_tPvRmT2_T3_T4_T5_mT6_T7_P12ihipStream_tbENKUlT_T0_E_clISt17integral_constantIbLb1EES10_IbLb0EEEEDaSW_SX_EUlSW_E_NS1_11comp_targetILNS1_3genE10ELNS1_11target_archE1200ELNS1_3gpuE4ELNS1_3repE0EEENS1_30default_config_static_selectorELNS0_4arch9wavefront6targetE0EEEvT1_: ; @_ZN7rocprim17ROCPRIM_400000_NS6detail17trampoline_kernelINS0_14default_configENS1_27scan_by_key_config_selectorIisEEZZNS1_16scan_by_key_implILNS1_25lookback_scan_determinismE0ELb0ES3_N6thrust23THRUST_200600_302600_NS6detail15normal_iteratorINS9_10device_ptrIiEEEENSB_INSC_IsEEEESG_sNS9_4plusIvEENS9_8equal_toIvEEsEE10hipError_tPvRmT2_T3_T4_T5_mT6_T7_P12ihipStream_tbENKUlT_T0_E_clISt17integral_constantIbLb1EES10_IbLb0EEEEDaSW_SX_EUlSW_E_NS1_11comp_targetILNS1_3genE10ELNS1_11target_archE1200ELNS1_3gpuE4ELNS1_3repE0EEENS1_30default_config_static_selectorELNS0_4arch9wavefront6targetE0EEEvT1_
; %bb.0:
	.section	.rodata,"a",@progbits
	.p2align	6, 0x0
	.amdhsa_kernel _ZN7rocprim17ROCPRIM_400000_NS6detail17trampoline_kernelINS0_14default_configENS1_27scan_by_key_config_selectorIisEEZZNS1_16scan_by_key_implILNS1_25lookback_scan_determinismE0ELb0ES3_N6thrust23THRUST_200600_302600_NS6detail15normal_iteratorINS9_10device_ptrIiEEEENSB_INSC_IsEEEESG_sNS9_4plusIvEENS9_8equal_toIvEEsEE10hipError_tPvRmT2_T3_T4_T5_mT6_T7_P12ihipStream_tbENKUlT_T0_E_clISt17integral_constantIbLb1EES10_IbLb0EEEEDaSW_SX_EUlSW_E_NS1_11comp_targetILNS1_3genE10ELNS1_11target_archE1200ELNS1_3gpuE4ELNS1_3repE0EEENS1_30default_config_static_selectorELNS0_4arch9wavefront6targetE0EEEvT1_
		.amdhsa_group_segment_fixed_size 0
		.amdhsa_private_segment_fixed_size 0
		.amdhsa_kernarg_size 112
		.amdhsa_user_sgpr_count 2
		.amdhsa_user_sgpr_dispatch_ptr 0
		.amdhsa_user_sgpr_queue_ptr 0
		.amdhsa_user_sgpr_kernarg_segment_ptr 1
		.amdhsa_user_sgpr_dispatch_id 0
		.amdhsa_user_sgpr_kernarg_preload_length 0
		.amdhsa_user_sgpr_kernarg_preload_offset 0
		.amdhsa_user_sgpr_private_segment_size 0
		.amdhsa_wavefront_size32 1
		.amdhsa_uses_dynamic_stack 0
		.amdhsa_enable_private_segment 0
		.amdhsa_system_sgpr_workgroup_id_x 1
		.amdhsa_system_sgpr_workgroup_id_y 0
		.amdhsa_system_sgpr_workgroup_id_z 0
		.amdhsa_system_sgpr_workgroup_info 0
		.amdhsa_system_vgpr_workitem_id 0
		.amdhsa_next_free_vgpr 1
		.amdhsa_next_free_sgpr 1
		.amdhsa_named_barrier_count 0
		.amdhsa_reserve_vcc 0
		.amdhsa_float_round_mode_32 0
		.amdhsa_float_round_mode_16_64 0
		.amdhsa_float_denorm_mode_32 3
		.amdhsa_float_denorm_mode_16_64 3
		.amdhsa_fp16_overflow 0
		.amdhsa_memory_ordered 1
		.amdhsa_forward_progress 1
		.amdhsa_inst_pref_size 0
		.amdhsa_round_robin_scheduling 0
		.amdhsa_exception_fp_ieee_invalid_op 0
		.amdhsa_exception_fp_denorm_src 0
		.amdhsa_exception_fp_ieee_div_zero 0
		.amdhsa_exception_fp_ieee_overflow 0
		.amdhsa_exception_fp_ieee_underflow 0
		.amdhsa_exception_fp_ieee_inexact 0
		.amdhsa_exception_int_div_zero 0
	.end_amdhsa_kernel
	.section	.text._ZN7rocprim17ROCPRIM_400000_NS6detail17trampoline_kernelINS0_14default_configENS1_27scan_by_key_config_selectorIisEEZZNS1_16scan_by_key_implILNS1_25lookback_scan_determinismE0ELb0ES3_N6thrust23THRUST_200600_302600_NS6detail15normal_iteratorINS9_10device_ptrIiEEEENSB_INSC_IsEEEESG_sNS9_4plusIvEENS9_8equal_toIvEEsEE10hipError_tPvRmT2_T3_T4_T5_mT6_T7_P12ihipStream_tbENKUlT_T0_E_clISt17integral_constantIbLb1EES10_IbLb0EEEEDaSW_SX_EUlSW_E_NS1_11comp_targetILNS1_3genE10ELNS1_11target_archE1200ELNS1_3gpuE4ELNS1_3repE0EEENS1_30default_config_static_selectorELNS0_4arch9wavefront6targetE0EEEvT1_,"axG",@progbits,_ZN7rocprim17ROCPRIM_400000_NS6detail17trampoline_kernelINS0_14default_configENS1_27scan_by_key_config_selectorIisEEZZNS1_16scan_by_key_implILNS1_25lookback_scan_determinismE0ELb0ES3_N6thrust23THRUST_200600_302600_NS6detail15normal_iteratorINS9_10device_ptrIiEEEENSB_INSC_IsEEEESG_sNS9_4plusIvEENS9_8equal_toIvEEsEE10hipError_tPvRmT2_T3_T4_T5_mT6_T7_P12ihipStream_tbENKUlT_T0_E_clISt17integral_constantIbLb1EES10_IbLb0EEEEDaSW_SX_EUlSW_E_NS1_11comp_targetILNS1_3genE10ELNS1_11target_archE1200ELNS1_3gpuE4ELNS1_3repE0EEENS1_30default_config_static_selectorELNS0_4arch9wavefront6targetE0EEEvT1_,comdat
.Lfunc_end1378:
	.size	_ZN7rocprim17ROCPRIM_400000_NS6detail17trampoline_kernelINS0_14default_configENS1_27scan_by_key_config_selectorIisEEZZNS1_16scan_by_key_implILNS1_25lookback_scan_determinismE0ELb0ES3_N6thrust23THRUST_200600_302600_NS6detail15normal_iteratorINS9_10device_ptrIiEEEENSB_INSC_IsEEEESG_sNS9_4plusIvEENS9_8equal_toIvEEsEE10hipError_tPvRmT2_T3_T4_T5_mT6_T7_P12ihipStream_tbENKUlT_T0_E_clISt17integral_constantIbLb1EES10_IbLb0EEEEDaSW_SX_EUlSW_E_NS1_11comp_targetILNS1_3genE10ELNS1_11target_archE1200ELNS1_3gpuE4ELNS1_3repE0EEENS1_30default_config_static_selectorELNS0_4arch9wavefront6targetE0EEEvT1_, .Lfunc_end1378-_ZN7rocprim17ROCPRIM_400000_NS6detail17trampoline_kernelINS0_14default_configENS1_27scan_by_key_config_selectorIisEEZZNS1_16scan_by_key_implILNS1_25lookback_scan_determinismE0ELb0ES3_N6thrust23THRUST_200600_302600_NS6detail15normal_iteratorINS9_10device_ptrIiEEEENSB_INSC_IsEEEESG_sNS9_4plusIvEENS9_8equal_toIvEEsEE10hipError_tPvRmT2_T3_T4_T5_mT6_T7_P12ihipStream_tbENKUlT_T0_E_clISt17integral_constantIbLb1EES10_IbLb0EEEEDaSW_SX_EUlSW_E_NS1_11comp_targetILNS1_3genE10ELNS1_11target_archE1200ELNS1_3gpuE4ELNS1_3repE0EEENS1_30default_config_static_selectorELNS0_4arch9wavefront6targetE0EEEvT1_
                                        ; -- End function
	.set _ZN7rocprim17ROCPRIM_400000_NS6detail17trampoline_kernelINS0_14default_configENS1_27scan_by_key_config_selectorIisEEZZNS1_16scan_by_key_implILNS1_25lookback_scan_determinismE0ELb0ES3_N6thrust23THRUST_200600_302600_NS6detail15normal_iteratorINS9_10device_ptrIiEEEENSB_INSC_IsEEEESG_sNS9_4plusIvEENS9_8equal_toIvEEsEE10hipError_tPvRmT2_T3_T4_T5_mT6_T7_P12ihipStream_tbENKUlT_T0_E_clISt17integral_constantIbLb1EES10_IbLb0EEEEDaSW_SX_EUlSW_E_NS1_11comp_targetILNS1_3genE10ELNS1_11target_archE1200ELNS1_3gpuE4ELNS1_3repE0EEENS1_30default_config_static_selectorELNS0_4arch9wavefront6targetE0EEEvT1_.num_vgpr, 0
	.set _ZN7rocprim17ROCPRIM_400000_NS6detail17trampoline_kernelINS0_14default_configENS1_27scan_by_key_config_selectorIisEEZZNS1_16scan_by_key_implILNS1_25lookback_scan_determinismE0ELb0ES3_N6thrust23THRUST_200600_302600_NS6detail15normal_iteratorINS9_10device_ptrIiEEEENSB_INSC_IsEEEESG_sNS9_4plusIvEENS9_8equal_toIvEEsEE10hipError_tPvRmT2_T3_T4_T5_mT6_T7_P12ihipStream_tbENKUlT_T0_E_clISt17integral_constantIbLb1EES10_IbLb0EEEEDaSW_SX_EUlSW_E_NS1_11comp_targetILNS1_3genE10ELNS1_11target_archE1200ELNS1_3gpuE4ELNS1_3repE0EEENS1_30default_config_static_selectorELNS0_4arch9wavefront6targetE0EEEvT1_.num_agpr, 0
	.set _ZN7rocprim17ROCPRIM_400000_NS6detail17trampoline_kernelINS0_14default_configENS1_27scan_by_key_config_selectorIisEEZZNS1_16scan_by_key_implILNS1_25lookback_scan_determinismE0ELb0ES3_N6thrust23THRUST_200600_302600_NS6detail15normal_iteratorINS9_10device_ptrIiEEEENSB_INSC_IsEEEESG_sNS9_4plusIvEENS9_8equal_toIvEEsEE10hipError_tPvRmT2_T3_T4_T5_mT6_T7_P12ihipStream_tbENKUlT_T0_E_clISt17integral_constantIbLb1EES10_IbLb0EEEEDaSW_SX_EUlSW_E_NS1_11comp_targetILNS1_3genE10ELNS1_11target_archE1200ELNS1_3gpuE4ELNS1_3repE0EEENS1_30default_config_static_selectorELNS0_4arch9wavefront6targetE0EEEvT1_.numbered_sgpr, 0
	.set _ZN7rocprim17ROCPRIM_400000_NS6detail17trampoline_kernelINS0_14default_configENS1_27scan_by_key_config_selectorIisEEZZNS1_16scan_by_key_implILNS1_25lookback_scan_determinismE0ELb0ES3_N6thrust23THRUST_200600_302600_NS6detail15normal_iteratorINS9_10device_ptrIiEEEENSB_INSC_IsEEEESG_sNS9_4plusIvEENS9_8equal_toIvEEsEE10hipError_tPvRmT2_T3_T4_T5_mT6_T7_P12ihipStream_tbENKUlT_T0_E_clISt17integral_constantIbLb1EES10_IbLb0EEEEDaSW_SX_EUlSW_E_NS1_11comp_targetILNS1_3genE10ELNS1_11target_archE1200ELNS1_3gpuE4ELNS1_3repE0EEENS1_30default_config_static_selectorELNS0_4arch9wavefront6targetE0EEEvT1_.num_named_barrier, 0
	.set _ZN7rocprim17ROCPRIM_400000_NS6detail17trampoline_kernelINS0_14default_configENS1_27scan_by_key_config_selectorIisEEZZNS1_16scan_by_key_implILNS1_25lookback_scan_determinismE0ELb0ES3_N6thrust23THRUST_200600_302600_NS6detail15normal_iteratorINS9_10device_ptrIiEEEENSB_INSC_IsEEEESG_sNS9_4plusIvEENS9_8equal_toIvEEsEE10hipError_tPvRmT2_T3_T4_T5_mT6_T7_P12ihipStream_tbENKUlT_T0_E_clISt17integral_constantIbLb1EES10_IbLb0EEEEDaSW_SX_EUlSW_E_NS1_11comp_targetILNS1_3genE10ELNS1_11target_archE1200ELNS1_3gpuE4ELNS1_3repE0EEENS1_30default_config_static_selectorELNS0_4arch9wavefront6targetE0EEEvT1_.private_seg_size, 0
	.set _ZN7rocprim17ROCPRIM_400000_NS6detail17trampoline_kernelINS0_14default_configENS1_27scan_by_key_config_selectorIisEEZZNS1_16scan_by_key_implILNS1_25lookback_scan_determinismE0ELb0ES3_N6thrust23THRUST_200600_302600_NS6detail15normal_iteratorINS9_10device_ptrIiEEEENSB_INSC_IsEEEESG_sNS9_4plusIvEENS9_8equal_toIvEEsEE10hipError_tPvRmT2_T3_T4_T5_mT6_T7_P12ihipStream_tbENKUlT_T0_E_clISt17integral_constantIbLb1EES10_IbLb0EEEEDaSW_SX_EUlSW_E_NS1_11comp_targetILNS1_3genE10ELNS1_11target_archE1200ELNS1_3gpuE4ELNS1_3repE0EEENS1_30default_config_static_selectorELNS0_4arch9wavefront6targetE0EEEvT1_.uses_vcc, 0
	.set _ZN7rocprim17ROCPRIM_400000_NS6detail17trampoline_kernelINS0_14default_configENS1_27scan_by_key_config_selectorIisEEZZNS1_16scan_by_key_implILNS1_25lookback_scan_determinismE0ELb0ES3_N6thrust23THRUST_200600_302600_NS6detail15normal_iteratorINS9_10device_ptrIiEEEENSB_INSC_IsEEEESG_sNS9_4plusIvEENS9_8equal_toIvEEsEE10hipError_tPvRmT2_T3_T4_T5_mT6_T7_P12ihipStream_tbENKUlT_T0_E_clISt17integral_constantIbLb1EES10_IbLb0EEEEDaSW_SX_EUlSW_E_NS1_11comp_targetILNS1_3genE10ELNS1_11target_archE1200ELNS1_3gpuE4ELNS1_3repE0EEENS1_30default_config_static_selectorELNS0_4arch9wavefront6targetE0EEEvT1_.uses_flat_scratch, 0
	.set _ZN7rocprim17ROCPRIM_400000_NS6detail17trampoline_kernelINS0_14default_configENS1_27scan_by_key_config_selectorIisEEZZNS1_16scan_by_key_implILNS1_25lookback_scan_determinismE0ELb0ES3_N6thrust23THRUST_200600_302600_NS6detail15normal_iteratorINS9_10device_ptrIiEEEENSB_INSC_IsEEEESG_sNS9_4plusIvEENS9_8equal_toIvEEsEE10hipError_tPvRmT2_T3_T4_T5_mT6_T7_P12ihipStream_tbENKUlT_T0_E_clISt17integral_constantIbLb1EES10_IbLb0EEEEDaSW_SX_EUlSW_E_NS1_11comp_targetILNS1_3genE10ELNS1_11target_archE1200ELNS1_3gpuE4ELNS1_3repE0EEENS1_30default_config_static_selectorELNS0_4arch9wavefront6targetE0EEEvT1_.has_dyn_sized_stack, 0
	.set _ZN7rocprim17ROCPRIM_400000_NS6detail17trampoline_kernelINS0_14default_configENS1_27scan_by_key_config_selectorIisEEZZNS1_16scan_by_key_implILNS1_25lookback_scan_determinismE0ELb0ES3_N6thrust23THRUST_200600_302600_NS6detail15normal_iteratorINS9_10device_ptrIiEEEENSB_INSC_IsEEEESG_sNS9_4plusIvEENS9_8equal_toIvEEsEE10hipError_tPvRmT2_T3_T4_T5_mT6_T7_P12ihipStream_tbENKUlT_T0_E_clISt17integral_constantIbLb1EES10_IbLb0EEEEDaSW_SX_EUlSW_E_NS1_11comp_targetILNS1_3genE10ELNS1_11target_archE1200ELNS1_3gpuE4ELNS1_3repE0EEENS1_30default_config_static_selectorELNS0_4arch9wavefront6targetE0EEEvT1_.has_recursion, 0
	.set _ZN7rocprim17ROCPRIM_400000_NS6detail17trampoline_kernelINS0_14default_configENS1_27scan_by_key_config_selectorIisEEZZNS1_16scan_by_key_implILNS1_25lookback_scan_determinismE0ELb0ES3_N6thrust23THRUST_200600_302600_NS6detail15normal_iteratorINS9_10device_ptrIiEEEENSB_INSC_IsEEEESG_sNS9_4plusIvEENS9_8equal_toIvEEsEE10hipError_tPvRmT2_T3_T4_T5_mT6_T7_P12ihipStream_tbENKUlT_T0_E_clISt17integral_constantIbLb1EES10_IbLb0EEEEDaSW_SX_EUlSW_E_NS1_11comp_targetILNS1_3genE10ELNS1_11target_archE1200ELNS1_3gpuE4ELNS1_3repE0EEENS1_30default_config_static_selectorELNS0_4arch9wavefront6targetE0EEEvT1_.has_indirect_call, 0
	.section	.AMDGPU.csdata,"",@progbits
; Kernel info:
; codeLenInByte = 0
; TotalNumSgprs: 0
; NumVgprs: 0
; ScratchSize: 0
; MemoryBound: 0
; FloatMode: 240
; IeeeMode: 1
; LDSByteSize: 0 bytes/workgroup (compile time only)
; SGPRBlocks: 0
; VGPRBlocks: 0
; NumSGPRsForWavesPerEU: 1
; NumVGPRsForWavesPerEU: 1
; NamedBarCnt: 0
; Occupancy: 16
; WaveLimiterHint : 0
; COMPUTE_PGM_RSRC2:SCRATCH_EN: 0
; COMPUTE_PGM_RSRC2:USER_SGPR: 2
; COMPUTE_PGM_RSRC2:TRAP_HANDLER: 0
; COMPUTE_PGM_RSRC2:TGID_X_EN: 1
; COMPUTE_PGM_RSRC2:TGID_Y_EN: 0
; COMPUTE_PGM_RSRC2:TGID_Z_EN: 0
; COMPUTE_PGM_RSRC2:TIDIG_COMP_CNT: 0
	.section	.text._ZN7rocprim17ROCPRIM_400000_NS6detail17trampoline_kernelINS0_14default_configENS1_27scan_by_key_config_selectorIisEEZZNS1_16scan_by_key_implILNS1_25lookback_scan_determinismE0ELb0ES3_N6thrust23THRUST_200600_302600_NS6detail15normal_iteratorINS9_10device_ptrIiEEEENSB_INSC_IsEEEESG_sNS9_4plusIvEENS9_8equal_toIvEEsEE10hipError_tPvRmT2_T3_T4_T5_mT6_T7_P12ihipStream_tbENKUlT_T0_E_clISt17integral_constantIbLb1EES10_IbLb0EEEEDaSW_SX_EUlSW_E_NS1_11comp_targetILNS1_3genE9ELNS1_11target_archE1100ELNS1_3gpuE3ELNS1_3repE0EEENS1_30default_config_static_selectorELNS0_4arch9wavefront6targetE0EEEvT1_,"axG",@progbits,_ZN7rocprim17ROCPRIM_400000_NS6detail17trampoline_kernelINS0_14default_configENS1_27scan_by_key_config_selectorIisEEZZNS1_16scan_by_key_implILNS1_25lookback_scan_determinismE0ELb0ES3_N6thrust23THRUST_200600_302600_NS6detail15normal_iteratorINS9_10device_ptrIiEEEENSB_INSC_IsEEEESG_sNS9_4plusIvEENS9_8equal_toIvEEsEE10hipError_tPvRmT2_T3_T4_T5_mT6_T7_P12ihipStream_tbENKUlT_T0_E_clISt17integral_constantIbLb1EES10_IbLb0EEEEDaSW_SX_EUlSW_E_NS1_11comp_targetILNS1_3genE9ELNS1_11target_archE1100ELNS1_3gpuE3ELNS1_3repE0EEENS1_30default_config_static_selectorELNS0_4arch9wavefront6targetE0EEEvT1_,comdat
	.protected	_ZN7rocprim17ROCPRIM_400000_NS6detail17trampoline_kernelINS0_14default_configENS1_27scan_by_key_config_selectorIisEEZZNS1_16scan_by_key_implILNS1_25lookback_scan_determinismE0ELb0ES3_N6thrust23THRUST_200600_302600_NS6detail15normal_iteratorINS9_10device_ptrIiEEEENSB_INSC_IsEEEESG_sNS9_4plusIvEENS9_8equal_toIvEEsEE10hipError_tPvRmT2_T3_T4_T5_mT6_T7_P12ihipStream_tbENKUlT_T0_E_clISt17integral_constantIbLb1EES10_IbLb0EEEEDaSW_SX_EUlSW_E_NS1_11comp_targetILNS1_3genE9ELNS1_11target_archE1100ELNS1_3gpuE3ELNS1_3repE0EEENS1_30default_config_static_selectorELNS0_4arch9wavefront6targetE0EEEvT1_ ; -- Begin function _ZN7rocprim17ROCPRIM_400000_NS6detail17trampoline_kernelINS0_14default_configENS1_27scan_by_key_config_selectorIisEEZZNS1_16scan_by_key_implILNS1_25lookback_scan_determinismE0ELb0ES3_N6thrust23THRUST_200600_302600_NS6detail15normal_iteratorINS9_10device_ptrIiEEEENSB_INSC_IsEEEESG_sNS9_4plusIvEENS9_8equal_toIvEEsEE10hipError_tPvRmT2_T3_T4_T5_mT6_T7_P12ihipStream_tbENKUlT_T0_E_clISt17integral_constantIbLb1EES10_IbLb0EEEEDaSW_SX_EUlSW_E_NS1_11comp_targetILNS1_3genE9ELNS1_11target_archE1100ELNS1_3gpuE3ELNS1_3repE0EEENS1_30default_config_static_selectorELNS0_4arch9wavefront6targetE0EEEvT1_
	.globl	_ZN7rocprim17ROCPRIM_400000_NS6detail17trampoline_kernelINS0_14default_configENS1_27scan_by_key_config_selectorIisEEZZNS1_16scan_by_key_implILNS1_25lookback_scan_determinismE0ELb0ES3_N6thrust23THRUST_200600_302600_NS6detail15normal_iteratorINS9_10device_ptrIiEEEENSB_INSC_IsEEEESG_sNS9_4plusIvEENS9_8equal_toIvEEsEE10hipError_tPvRmT2_T3_T4_T5_mT6_T7_P12ihipStream_tbENKUlT_T0_E_clISt17integral_constantIbLb1EES10_IbLb0EEEEDaSW_SX_EUlSW_E_NS1_11comp_targetILNS1_3genE9ELNS1_11target_archE1100ELNS1_3gpuE3ELNS1_3repE0EEENS1_30default_config_static_selectorELNS0_4arch9wavefront6targetE0EEEvT1_
	.p2align	8
	.type	_ZN7rocprim17ROCPRIM_400000_NS6detail17trampoline_kernelINS0_14default_configENS1_27scan_by_key_config_selectorIisEEZZNS1_16scan_by_key_implILNS1_25lookback_scan_determinismE0ELb0ES3_N6thrust23THRUST_200600_302600_NS6detail15normal_iteratorINS9_10device_ptrIiEEEENSB_INSC_IsEEEESG_sNS9_4plusIvEENS9_8equal_toIvEEsEE10hipError_tPvRmT2_T3_T4_T5_mT6_T7_P12ihipStream_tbENKUlT_T0_E_clISt17integral_constantIbLb1EES10_IbLb0EEEEDaSW_SX_EUlSW_E_NS1_11comp_targetILNS1_3genE9ELNS1_11target_archE1100ELNS1_3gpuE3ELNS1_3repE0EEENS1_30default_config_static_selectorELNS0_4arch9wavefront6targetE0EEEvT1_,@function
_ZN7rocprim17ROCPRIM_400000_NS6detail17trampoline_kernelINS0_14default_configENS1_27scan_by_key_config_selectorIisEEZZNS1_16scan_by_key_implILNS1_25lookback_scan_determinismE0ELb0ES3_N6thrust23THRUST_200600_302600_NS6detail15normal_iteratorINS9_10device_ptrIiEEEENSB_INSC_IsEEEESG_sNS9_4plusIvEENS9_8equal_toIvEEsEE10hipError_tPvRmT2_T3_T4_T5_mT6_T7_P12ihipStream_tbENKUlT_T0_E_clISt17integral_constantIbLb1EES10_IbLb0EEEEDaSW_SX_EUlSW_E_NS1_11comp_targetILNS1_3genE9ELNS1_11target_archE1100ELNS1_3gpuE3ELNS1_3repE0EEENS1_30default_config_static_selectorELNS0_4arch9wavefront6targetE0EEEvT1_: ; @_ZN7rocprim17ROCPRIM_400000_NS6detail17trampoline_kernelINS0_14default_configENS1_27scan_by_key_config_selectorIisEEZZNS1_16scan_by_key_implILNS1_25lookback_scan_determinismE0ELb0ES3_N6thrust23THRUST_200600_302600_NS6detail15normal_iteratorINS9_10device_ptrIiEEEENSB_INSC_IsEEEESG_sNS9_4plusIvEENS9_8equal_toIvEEsEE10hipError_tPvRmT2_T3_T4_T5_mT6_T7_P12ihipStream_tbENKUlT_T0_E_clISt17integral_constantIbLb1EES10_IbLb0EEEEDaSW_SX_EUlSW_E_NS1_11comp_targetILNS1_3genE9ELNS1_11target_archE1100ELNS1_3gpuE3ELNS1_3repE0EEENS1_30default_config_static_selectorELNS0_4arch9wavefront6targetE0EEEvT1_
; %bb.0:
	.section	.rodata,"a",@progbits
	.p2align	6, 0x0
	.amdhsa_kernel _ZN7rocprim17ROCPRIM_400000_NS6detail17trampoline_kernelINS0_14default_configENS1_27scan_by_key_config_selectorIisEEZZNS1_16scan_by_key_implILNS1_25lookback_scan_determinismE0ELb0ES3_N6thrust23THRUST_200600_302600_NS6detail15normal_iteratorINS9_10device_ptrIiEEEENSB_INSC_IsEEEESG_sNS9_4plusIvEENS9_8equal_toIvEEsEE10hipError_tPvRmT2_T3_T4_T5_mT6_T7_P12ihipStream_tbENKUlT_T0_E_clISt17integral_constantIbLb1EES10_IbLb0EEEEDaSW_SX_EUlSW_E_NS1_11comp_targetILNS1_3genE9ELNS1_11target_archE1100ELNS1_3gpuE3ELNS1_3repE0EEENS1_30default_config_static_selectorELNS0_4arch9wavefront6targetE0EEEvT1_
		.amdhsa_group_segment_fixed_size 0
		.amdhsa_private_segment_fixed_size 0
		.amdhsa_kernarg_size 112
		.amdhsa_user_sgpr_count 2
		.amdhsa_user_sgpr_dispatch_ptr 0
		.amdhsa_user_sgpr_queue_ptr 0
		.amdhsa_user_sgpr_kernarg_segment_ptr 1
		.amdhsa_user_sgpr_dispatch_id 0
		.amdhsa_user_sgpr_kernarg_preload_length 0
		.amdhsa_user_sgpr_kernarg_preload_offset 0
		.amdhsa_user_sgpr_private_segment_size 0
		.amdhsa_wavefront_size32 1
		.amdhsa_uses_dynamic_stack 0
		.amdhsa_enable_private_segment 0
		.amdhsa_system_sgpr_workgroup_id_x 1
		.amdhsa_system_sgpr_workgroup_id_y 0
		.amdhsa_system_sgpr_workgroup_id_z 0
		.amdhsa_system_sgpr_workgroup_info 0
		.amdhsa_system_vgpr_workitem_id 0
		.amdhsa_next_free_vgpr 1
		.amdhsa_next_free_sgpr 1
		.amdhsa_named_barrier_count 0
		.amdhsa_reserve_vcc 0
		.amdhsa_float_round_mode_32 0
		.amdhsa_float_round_mode_16_64 0
		.amdhsa_float_denorm_mode_32 3
		.amdhsa_float_denorm_mode_16_64 3
		.amdhsa_fp16_overflow 0
		.amdhsa_memory_ordered 1
		.amdhsa_forward_progress 1
		.amdhsa_inst_pref_size 0
		.amdhsa_round_robin_scheduling 0
		.amdhsa_exception_fp_ieee_invalid_op 0
		.amdhsa_exception_fp_denorm_src 0
		.amdhsa_exception_fp_ieee_div_zero 0
		.amdhsa_exception_fp_ieee_overflow 0
		.amdhsa_exception_fp_ieee_underflow 0
		.amdhsa_exception_fp_ieee_inexact 0
		.amdhsa_exception_int_div_zero 0
	.end_amdhsa_kernel
	.section	.text._ZN7rocprim17ROCPRIM_400000_NS6detail17trampoline_kernelINS0_14default_configENS1_27scan_by_key_config_selectorIisEEZZNS1_16scan_by_key_implILNS1_25lookback_scan_determinismE0ELb0ES3_N6thrust23THRUST_200600_302600_NS6detail15normal_iteratorINS9_10device_ptrIiEEEENSB_INSC_IsEEEESG_sNS9_4plusIvEENS9_8equal_toIvEEsEE10hipError_tPvRmT2_T3_T4_T5_mT6_T7_P12ihipStream_tbENKUlT_T0_E_clISt17integral_constantIbLb1EES10_IbLb0EEEEDaSW_SX_EUlSW_E_NS1_11comp_targetILNS1_3genE9ELNS1_11target_archE1100ELNS1_3gpuE3ELNS1_3repE0EEENS1_30default_config_static_selectorELNS0_4arch9wavefront6targetE0EEEvT1_,"axG",@progbits,_ZN7rocprim17ROCPRIM_400000_NS6detail17trampoline_kernelINS0_14default_configENS1_27scan_by_key_config_selectorIisEEZZNS1_16scan_by_key_implILNS1_25lookback_scan_determinismE0ELb0ES3_N6thrust23THRUST_200600_302600_NS6detail15normal_iteratorINS9_10device_ptrIiEEEENSB_INSC_IsEEEESG_sNS9_4plusIvEENS9_8equal_toIvEEsEE10hipError_tPvRmT2_T3_T4_T5_mT6_T7_P12ihipStream_tbENKUlT_T0_E_clISt17integral_constantIbLb1EES10_IbLb0EEEEDaSW_SX_EUlSW_E_NS1_11comp_targetILNS1_3genE9ELNS1_11target_archE1100ELNS1_3gpuE3ELNS1_3repE0EEENS1_30default_config_static_selectorELNS0_4arch9wavefront6targetE0EEEvT1_,comdat
.Lfunc_end1379:
	.size	_ZN7rocprim17ROCPRIM_400000_NS6detail17trampoline_kernelINS0_14default_configENS1_27scan_by_key_config_selectorIisEEZZNS1_16scan_by_key_implILNS1_25lookback_scan_determinismE0ELb0ES3_N6thrust23THRUST_200600_302600_NS6detail15normal_iteratorINS9_10device_ptrIiEEEENSB_INSC_IsEEEESG_sNS9_4plusIvEENS9_8equal_toIvEEsEE10hipError_tPvRmT2_T3_T4_T5_mT6_T7_P12ihipStream_tbENKUlT_T0_E_clISt17integral_constantIbLb1EES10_IbLb0EEEEDaSW_SX_EUlSW_E_NS1_11comp_targetILNS1_3genE9ELNS1_11target_archE1100ELNS1_3gpuE3ELNS1_3repE0EEENS1_30default_config_static_selectorELNS0_4arch9wavefront6targetE0EEEvT1_, .Lfunc_end1379-_ZN7rocprim17ROCPRIM_400000_NS6detail17trampoline_kernelINS0_14default_configENS1_27scan_by_key_config_selectorIisEEZZNS1_16scan_by_key_implILNS1_25lookback_scan_determinismE0ELb0ES3_N6thrust23THRUST_200600_302600_NS6detail15normal_iteratorINS9_10device_ptrIiEEEENSB_INSC_IsEEEESG_sNS9_4plusIvEENS9_8equal_toIvEEsEE10hipError_tPvRmT2_T3_T4_T5_mT6_T7_P12ihipStream_tbENKUlT_T0_E_clISt17integral_constantIbLb1EES10_IbLb0EEEEDaSW_SX_EUlSW_E_NS1_11comp_targetILNS1_3genE9ELNS1_11target_archE1100ELNS1_3gpuE3ELNS1_3repE0EEENS1_30default_config_static_selectorELNS0_4arch9wavefront6targetE0EEEvT1_
                                        ; -- End function
	.set _ZN7rocprim17ROCPRIM_400000_NS6detail17trampoline_kernelINS0_14default_configENS1_27scan_by_key_config_selectorIisEEZZNS1_16scan_by_key_implILNS1_25lookback_scan_determinismE0ELb0ES3_N6thrust23THRUST_200600_302600_NS6detail15normal_iteratorINS9_10device_ptrIiEEEENSB_INSC_IsEEEESG_sNS9_4plusIvEENS9_8equal_toIvEEsEE10hipError_tPvRmT2_T3_T4_T5_mT6_T7_P12ihipStream_tbENKUlT_T0_E_clISt17integral_constantIbLb1EES10_IbLb0EEEEDaSW_SX_EUlSW_E_NS1_11comp_targetILNS1_3genE9ELNS1_11target_archE1100ELNS1_3gpuE3ELNS1_3repE0EEENS1_30default_config_static_selectorELNS0_4arch9wavefront6targetE0EEEvT1_.num_vgpr, 0
	.set _ZN7rocprim17ROCPRIM_400000_NS6detail17trampoline_kernelINS0_14default_configENS1_27scan_by_key_config_selectorIisEEZZNS1_16scan_by_key_implILNS1_25lookback_scan_determinismE0ELb0ES3_N6thrust23THRUST_200600_302600_NS6detail15normal_iteratorINS9_10device_ptrIiEEEENSB_INSC_IsEEEESG_sNS9_4plusIvEENS9_8equal_toIvEEsEE10hipError_tPvRmT2_T3_T4_T5_mT6_T7_P12ihipStream_tbENKUlT_T0_E_clISt17integral_constantIbLb1EES10_IbLb0EEEEDaSW_SX_EUlSW_E_NS1_11comp_targetILNS1_3genE9ELNS1_11target_archE1100ELNS1_3gpuE3ELNS1_3repE0EEENS1_30default_config_static_selectorELNS0_4arch9wavefront6targetE0EEEvT1_.num_agpr, 0
	.set _ZN7rocprim17ROCPRIM_400000_NS6detail17trampoline_kernelINS0_14default_configENS1_27scan_by_key_config_selectorIisEEZZNS1_16scan_by_key_implILNS1_25lookback_scan_determinismE0ELb0ES3_N6thrust23THRUST_200600_302600_NS6detail15normal_iteratorINS9_10device_ptrIiEEEENSB_INSC_IsEEEESG_sNS9_4plusIvEENS9_8equal_toIvEEsEE10hipError_tPvRmT2_T3_T4_T5_mT6_T7_P12ihipStream_tbENKUlT_T0_E_clISt17integral_constantIbLb1EES10_IbLb0EEEEDaSW_SX_EUlSW_E_NS1_11comp_targetILNS1_3genE9ELNS1_11target_archE1100ELNS1_3gpuE3ELNS1_3repE0EEENS1_30default_config_static_selectorELNS0_4arch9wavefront6targetE0EEEvT1_.numbered_sgpr, 0
	.set _ZN7rocprim17ROCPRIM_400000_NS6detail17trampoline_kernelINS0_14default_configENS1_27scan_by_key_config_selectorIisEEZZNS1_16scan_by_key_implILNS1_25lookback_scan_determinismE0ELb0ES3_N6thrust23THRUST_200600_302600_NS6detail15normal_iteratorINS9_10device_ptrIiEEEENSB_INSC_IsEEEESG_sNS9_4plusIvEENS9_8equal_toIvEEsEE10hipError_tPvRmT2_T3_T4_T5_mT6_T7_P12ihipStream_tbENKUlT_T0_E_clISt17integral_constantIbLb1EES10_IbLb0EEEEDaSW_SX_EUlSW_E_NS1_11comp_targetILNS1_3genE9ELNS1_11target_archE1100ELNS1_3gpuE3ELNS1_3repE0EEENS1_30default_config_static_selectorELNS0_4arch9wavefront6targetE0EEEvT1_.num_named_barrier, 0
	.set _ZN7rocprim17ROCPRIM_400000_NS6detail17trampoline_kernelINS0_14default_configENS1_27scan_by_key_config_selectorIisEEZZNS1_16scan_by_key_implILNS1_25lookback_scan_determinismE0ELb0ES3_N6thrust23THRUST_200600_302600_NS6detail15normal_iteratorINS9_10device_ptrIiEEEENSB_INSC_IsEEEESG_sNS9_4plusIvEENS9_8equal_toIvEEsEE10hipError_tPvRmT2_T3_T4_T5_mT6_T7_P12ihipStream_tbENKUlT_T0_E_clISt17integral_constantIbLb1EES10_IbLb0EEEEDaSW_SX_EUlSW_E_NS1_11comp_targetILNS1_3genE9ELNS1_11target_archE1100ELNS1_3gpuE3ELNS1_3repE0EEENS1_30default_config_static_selectorELNS0_4arch9wavefront6targetE0EEEvT1_.private_seg_size, 0
	.set _ZN7rocprim17ROCPRIM_400000_NS6detail17trampoline_kernelINS0_14default_configENS1_27scan_by_key_config_selectorIisEEZZNS1_16scan_by_key_implILNS1_25lookback_scan_determinismE0ELb0ES3_N6thrust23THRUST_200600_302600_NS6detail15normal_iteratorINS9_10device_ptrIiEEEENSB_INSC_IsEEEESG_sNS9_4plusIvEENS9_8equal_toIvEEsEE10hipError_tPvRmT2_T3_T4_T5_mT6_T7_P12ihipStream_tbENKUlT_T0_E_clISt17integral_constantIbLb1EES10_IbLb0EEEEDaSW_SX_EUlSW_E_NS1_11comp_targetILNS1_3genE9ELNS1_11target_archE1100ELNS1_3gpuE3ELNS1_3repE0EEENS1_30default_config_static_selectorELNS0_4arch9wavefront6targetE0EEEvT1_.uses_vcc, 0
	.set _ZN7rocprim17ROCPRIM_400000_NS6detail17trampoline_kernelINS0_14default_configENS1_27scan_by_key_config_selectorIisEEZZNS1_16scan_by_key_implILNS1_25lookback_scan_determinismE0ELb0ES3_N6thrust23THRUST_200600_302600_NS6detail15normal_iteratorINS9_10device_ptrIiEEEENSB_INSC_IsEEEESG_sNS9_4plusIvEENS9_8equal_toIvEEsEE10hipError_tPvRmT2_T3_T4_T5_mT6_T7_P12ihipStream_tbENKUlT_T0_E_clISt17integral_constantIbLb1EES10_IbLb0EEEEDaSW_SX_EUlSW_E_NS1_11comp_targetILNS1_3genE9ELNS1_11target_archE1100ELNS1_3gpuE3ELNS1_3repE0EEENS1_30default_config_static_selectorELNS0_4arch9wavefront6targetE0EEEvT1_.uses_flat_scratch, 0
	.set _ZN7rocprim17ROCPRIM_400000_NS6detail17trampoline_kernelINS0_14default_configENS1_27scan_by_key_config_selectorIisEEZZNS1_16scan_by_key_implILNS1_25lookback_scan_determinismE0ELb0ES3_N6thrust23THRUST_200600_302600_NS6detail15normal_iteratorINS9_10device_ptrIiEEEENSB_INSC_IsEEEESG_sNS9_4plusIvEENS9_8equal_toIvEEsEE10hipError_tPvRmT2_T3_T4_T5_mT6_T7_P12ihipStream_tbENKUlT_T0_E_clISt17integral_constantIbLb1EES10_IbLb0EEEEDaSW_SX_EUlSW_E_NS1_11comp_targetILNS1_3genE9ELNS1_11target_archE1100ELNS1_3gpuE3ELNS1_3repE0EEENS1_30default_config_static_selectorELNS0_4arch9wavefront6targetE0EEEvT1_.has_dyn_sized_stack, 0
	.set _ZN7rocprim17ROCPRIM_400000_NS6detail17trampoline_kernelINS0_14default_configENS1_27scan_by_key_config_selectorIisEEZZNS1_16scan_by_key_implILNS1_25lookback_scan_determinismE0ELb0ES3_N6thrust23THRUST_200600_302600_NS6detail15normal_iteratorINS9_10device_ptrIiEEEENSB_INSC_IsEEEESG_sNS9_4plusIvEENS9_8equal_toIvEEsEE10hipError_tPvRmT2_T3_T4_T5_mT6_T7_P12ihipStream_tbENKUlT_T0_E_clISt17integral_constantIbLb1EES10_IbLb0EEEEDaSW_SX_EUlSW_E_NS1_11comp_targetILNS1_3genE9ELNS1_11target_archE1100ELNS1_3gpuE3ELNS1_3repE0EEENS1_30default_config_static_selectorELNS0_4arch9wavefront6targetE0EEEvT1_.has_recursion, 0
	.set _ZN7rocprim17ROCPRIM_400000_NS6detail17trampoline_kernelINS0_14default_configENS1_27scan_by_key_config_selectorIisEEZZNS1_16scan_by_key_implILNS1_25lookback_scan_determinismE0ELb0ES3_N6thrust23THRUST_200600_302600_NS6detail15normal_iteratorINS9_10device_ptrIiEEEENSB_INSC_IsEEEESG_sNS9_4plusIvEENS9_8equal_toIvEEsEE10hipError_tPvRmT2_T3_T4_T5_mT6_T7_P12ihipStream_tbENKUlT_T0_E_clISt17integral_constantIbLb1EES10_IbLb0EEEEDaSW_SX_EUlSW_E_NS1_11comp_targetILNS1_3genE9ELNS1_11target_archE1100ELNS1_3gpuE3ELNS1_3repE0EEENS1_30default_config_static_selectorELNS0_4arch9wavefront6targetE0EEEvT1_.has_indirect_call, 0
	.section	.AMDGPU.csdata,"",@progbits
; Kernel info:
; codeLenInByte = 0
; TotalNumSgprs: 0
; NumVgprs: 0
; ScratchSize: 0
; MemoryBound: 0
; FloatMode: 240
; IeeeMode: 1
; LDSByteSize: 0 bytes/workgroup (compile time only)
; SGPRBlocks: 0
; VGPRBlocks: 0
; NumSGPRsForWavesPerEU: 1
; NumVGPRsForWavesPerEU: 1
; NamedBarCnt: 0
; Occupancy: 16
; WaveLimiterHint : 0
; COMPUTE_PGM_RSRC2:SCRATCH_EN: 0
; COMPUTE_PGM_RSRC2:USER_SGPR: 2
; COMPUTE_PGM_RSRC2:TRAP_HANDLER: 0
; COMPUTE_PGM_RSRC2:TGID_X_EN: 1
; COMPUTE_PGM_RSRC2:TGID_Y_EN: 0
; COMPUTE_PGM_RSRC2:TGID_Z_EN: 0
; COMPUTE_PGM_RSRC2:TIDIG_COMP_CNT: 0
	.section	.text._ZN7rocprim17ROCPRIM_400000_NS6detail17trampoline_kernelINS0_14default_configENS1_27scan_by_key_config_selectorIisEEZZNS1_16scan_by_key_implILNS1_25lookback_scan_determinismE0ELb0ES3_N6thrust23THRUST_200600_302600_NS6detail15normal_iteratorINS9_10device_ptrIiEEEENSB_INSC_IsEEEESG_sNS9_4plusIvEENS9_8equal_toIvEEsEE10hipError_tPvRmT2_T3_T4_T5_mT6_T7_P12ihipStream_tbENKUlT_T0_E_clISt17integral_constantIbLb1EES10_IbLb0EEEEDaSW_SX_EUlSW_E_NS1_11comp_targetILNS1_3genE8ELNS1_11target_archE1030ELNS1_3gpuE2ELNS1_3repE0EEENS1_30default_config_static_selectorELNS0_4arch9wavefront6targetE0EEEvT1_,"axG",@progbits,_ZN7rocprim17ROCPRIM_400000_NS6detail17trampoline_kernelINS0_14default_configENS1_27scan_by_key_config_selectorIisEEZZNS1_16scan_by_key_implILNS1_25lookback_scan_determinismE0ELb0ES3_N6thrust23THRUST_200600_302600_NS6detail15normal_iteratorINS9_10device_ptrIiEEEENSB_INSC_IsEEEESG_sNS9_4plusIvEENS9_8equal_toIvEEsEE10hipError_tPvRmT2_T3_T4_T5_mT6_T7_P12ihipStream_tbENKUlT_T0_E_clISt17integral_constantIbLb1EES10_IbLb0EEEEDaSW_SX_EUlSW_E_NS1_11comp_targetILNS1_3genE8ELNS1_11target_archE1030ELNS1_3gpuE2ELNS1_3repE0EEENS1_30default_config_static_selectorELNS0_4arch9wavefront6targetE0EEEvT1_,comdat
	.protected	_ZN7rocprim17ROCPRIM_400000_NS6detail17trampoline_kernelINS0_14default_configENS1_27scan_by_key_config_selectorIisEEZZNS1_16scan_by_key_implILNS1_25lookback_scan_determinismE0ELb0ES3_N6thrust23THRUST_200600_302600_NS6detail15normal_iteratorINS9_10device_ptrIiEEEENSB_INSC_IsEEEESG_sNS9_4plusIvEENS9_8equal_toIvEEsEE10hipError_tPvRmT2_T3_T4_T5_mT6_T7_P12ihipStream_tbENKUlT_T0_E_clISt17integral_constantIbLb1EES10_IbLb0EEEEDaSW_SX_EUlSW_E_NS1_11comp_targetILNS1_3genE8ELNS1_11target_archE1030ELNS1_3gpuE2ELNS1_3repE0EEENS1_30default_config_static_selectorELNS0_4arch9wavefront6targetE0EEEvT1_ ; -- Begin function _ZN7rocprim17ROCPRIM_400000_NS6detail17trampoline_kernelINS0_14default_configENS1_27scan_by_key_config_selectorIisEEZZNS1_16scan_by_key_implILNS1_25lookback_scan_determinismE0ELb0ES3_N6thrust23THRUST_200600_302600_NS6detail15normal_iteratorINS9_10device_ptrIiEEEENSB_INSC_IsEEEESG_sNS9_4plusIvEENS9_8equal_toIvEEsEE10hipError_tPvRmT2_T3_T4_T5_mT6_T7_P12ihipStream_tbENKUlT_T0_E_clISt17integral_constantIbLb1EES10_IbLb0EEEEDaSW_SX_EUlSW_E_NS1_11comp_targetILNS1_3genE8ELNS1_11target_archE1030ELNS1_3gpuE2ELNS1_3repE0EEENS1_30default_config_static_selectorELNS0_4arch9wavefront6targetE0EEEvT1_
	.globl	_ZN7rocprim17ROCPRIM_400000_NS6detail17trampoline_kernelINS0_14default_configENS1_27scan_by_key_config_selectorIisEEZZNS1_16scan_by_key_implILNS1_25lookback_scan_determinismE0ELb0ES3_N6thrust23THRUST_200600_302600_NS6detail15normal_iteratorINS9_10device_ptrIiEEEENSB_INSC_IsEEEESG_sNS9_4plusIvEENS9_8equal_toIvEEsEE10hipError_tPvRmT2_T3_T4_T5_mT6_T7_P12ihipStream_tbENKUlT_T0_E_clISt17integral_constantIbLb1EES10_IbLb0EEEEDaSW_SX_EUlSW_E_NS1_11comp_targetILNS1_3genE8ELNS1_11target_archE1030ELNS1_3gpuE2ELNS1_3repE0EEENS1_30default_config_static_selectorELNS0_4arch9wavefront6targetE0EEEvT1_
	.p2align	8
	.type	_ZN7rocprim17ROCPRIM_400000_NS6detail17trampoline_kernelINS0_14default_configENS1_27scan_by_key_config_selectorIisEEZZNS1_16scan_by_key_implILNS1_25lookback_scan_determinismE0ELb0ES3_N6thrust23THRUST_200600_302600_NS6detail15normal_iteratorINS9_10device_ptrIiEEEENSB_INSC_IsEEEESG_sNS9_4plusIvEENS9_8equal_toIvEEsEE10hipError_tPvRmT2_T3_T4_T5_mT6_T7_P12ihipStream_tbENKUlT_T0_E_clISt17integral_constantIbLb1EES10_IbLb0EEEEDaSW_SX_EUlSW_E_NS1_11comp_targetILNS1_3genE8ELNS1_11target_archE1030ELNS1_3gpuE2ELNS1_3repE0EEENS1_30default_config_static_selectorELNS0_4arch9wavefront6targetE0EEEvT1_,@function
_ZN7rocprim17ROCPRIM_400000_NS6detail17trampoline_kernelINS0_14default_configENS1_27scan_by_key_config_selectorIisEEZZNS1_16scan_by_key_implILNS1_25lookback_scan_determinismE0ELb0ES3_N6thrust23THRUST_200600_302600_NS6detail15normal_iteratorINS9_10device_ptrIiEEEENSB_INSC_IsEEEESG_sNS9_4plusIvEENS9_8equal_toIvEEsEE10hipError_tPvRmT2_T3_T4_T5_mT6_T7_P12ihipStream_tbENKUlT_T0_E_clISt17integral_constantIbLb1EES10_IbLb0EEEEDaSW_SX_EUlSW_E_NS1_11comp_targetILNS1_3genE8ELNS1_11target_archE1030ELNS1_3gpuE2ELNS1_3repE0EEENS1_30default_config_static_selectorELNS0_4arch9wavefront6targetE0EEEvT1_: ; @_ZN7rocprim17ROCPRIM_400000_NS6detail17trampoline_kernelINS0_14default_configENS1_27scan_by_key_config_selectorIisEEZZNS1_16scan_by_key_implILNS1_25lookback_scan_determinismE0ELb0ES3_N6thrust23THRUST_200600_302600_NS6detail15normal_iteratorINS9_10device_ptrIiEEEENSB_INSC_IsEEEESG_sNS9_4plusIvEENS9_8equal_toIvEEsEE10hipError_tPvRmT2_T3_T4_T5_mT6_T7_P12ihipStream_tbENKUlT_T0_E_clISt17integral_constantIbLb1EES10_IbLb0EEEEDaSW_SX_EUlSW_E_NS1_11comp_targetILNS1_3genE8ELNS1_11target_archE1030ELNS1_3gpuE2ELNS1_3repE0EEENS1_30default_config_static_selectorELNS0_4arch9wavefront6targetE0EEEvT1_
; %bb.0:
	.section	.rodata,"a",@progbits
	.p2align	6, 0x0
	.amdhsa_kernel _ZN7rocprim17ROCPRIM_400000_NS6detail17trampoline_kernelINS0_14default_configENS1_27scan_by_key_config_selectorIisEEZZNS1_16scan_by_key_implILNS1_25lookback_scan_determinismE0ELb0ES3_N6thrust23THRUST_200600_302600_NS6detail15normal_iteratorINS9_10device_ptrIiEEEENSB_INSC_IsEEEESG_sNS9_4plusIvEENS9_8equal_toIvEEsEE10hipError_tPvRmT2_T3_T4_T5_mT6_T7_P12ihipStream_tbENKUlT_T0_E_clISt17integral_constantIbLb1EES10_IbLb0EEEEDaSW_SX_EUlSW_E_NS1_11comp_targetILNS1_3genE8ELNS1_11target_archE1030ELNS1_3gpuE2ELNS1_3repE0EEENS1_30default_config_static_selectorELNS0_4arch9wavefront6targetE0EEEvT1_
		.amdhsa_group_segment_fixed_size 0
		.amdhsa_private_segment_fixed_size 0
		.amdhsa_kernarg_size 112
		.amdhsa_user_sgpr_count 2
		.amdhsa_user_sgpr_dispatch_ptr 0
		.amdhsa_user_sgpr_queue_ptr 0
		.amdhsa_user_sgpr_kernarg_segment_ptr 1
		.amdhsa_user_sgpr_dispatch_id 0
		.amdhsa_user_sgpr_kernarg_preload_length 0
		.amdhsa_user_sgpr_kernarg_preload_offset 0
		.amdhsa_user_sgpr_private_segment_size 0
		.amdhsa_wavefront_size32 1
		.amdhsa_uses_dynamic_stack 0
		.amdhsa_enable_private_segment 0
		.amdhsa_system_sgpr_workgroup_id_x 1
		.amdhsa_system_sgpr_workgroup_id_y 0
		.amdhsa_system_sgpr_workgroup_id_z 0
		.amdhsa_system_sgpr_workgroup_info 0
		.amdhsa_system_vgpr_workitem_id 0
		.amdhsa_next_free_vgpr 1
		.amdhsa_next_free_sgpr 1
		.amdhsa_named_barrier_count 0
		.amdhsa_reserve_vcc 0
		.amdhsa_float_round_mode_32 0
		.amdhsa_float_round_mode_16_64 0
		.amdhsa_float_denorm_mode_32 3
		.amdhsa_float_denorm_mode_16_64 3
		.amdhsa_fp16_overflow 0
		.amdhsa_memory_ordered 1
		.amdhsa_forward_progress 1
		.amdhsa_inst_pref_size 0
		.amdhsa_round_robin_scheduling 0
		.amdhsa_exception_fp_ieee_invalid_op 0
		.amdhsa_exception_fp_denorm_src 0
		.amdhsa_exception_fp_ieee_div_zero 0
		.amdhsa_exception_fp_ieee_overflow 0
		.amdhsa_exception_fp_ieee_underflow 0
		.amdhsa_exception_fp_ieee_inexact 0
		.amdhsa_exception_int_div_zero 0
	.end_amdhsa_kernel
	.section	.text._ZN7rocprim17ROCPRIM_400000_NS6detail17trampoline_kernelINS0_14default_configENS1_27scan_by_key_config_selectorIisEEZZNS1_16scan_by_key_implILNS1_25lookback_scan_determinismE0ELb0ES3_N6thrust23THRUST_200600_302600_NS6detail15normal_iteratorINS9_10device_ptrIiEEEENSB_INSC_IsEEEESG_sNS9_4plusIvEENS9_8equal_toIvEEsEE10hipError_tPvRmT2_T3_T4_T5_mT6_T7_P12ihipStream_tbENKUlT_T0_E_clISt17integral_constantIbLb1EES10_IbLb0EEEEDaSW_SX_EUlSW_E_NS1_11comp_targetILNS1_3genE8ELNS1_11target_archE1030ELNS1_3gpuE2ELNS1_3repE0EEENS1_30default_config_static_selectorELNS0_4arch9wavefront6targetE0EEEvT1_,"axG",@progbits,_ZN7rocprim17ROCPRIM_400000_NS6detail17trampoline_kernelINS0_14default_configENS1_27scan_by_key_config_selectorIisEEZZNS1_16scan_by_key_implILNS1_25lookback_scan_determinismE0ELb0ES3_N6thrust23THRUST_200600_302600_NS6detail15normal_iteratorINS9_10device_ptrIiEEEENSB_INSC_IsEEEESG_sNS9_4plusIvEENS9_8equal_toIvEEsEE10hipError_tPvRmT2_T3_T4_T5_mT6_T7_P12ihipStream_tbENKUlT_T0_E_clISt17integral_constantIbLb1EES10_IbLb0EEEEDaSW_SX_EUlSW_E_NS1_11comp_targetILNS1_3genE8ELNS1_11target_archE1030ELNS1_3gpuE2ELNS1_3repE0EEENS1_30default_config_static_selectorELNS0_4arch9wavefront6targetE0EEEvT1_,comdat
.Lfunc_end1380:
	.size	_ZN7rocprim17ROCPRIM_400000_NS6detail17trampoline_kernelINS0_14default_configENS1_27scan_by_key_config_selectorIisEEZZNS1_16scan_by_key_implILNS1_25lookback_scan_determinismE0ELb0ES3_N6thrust23THRUST_200600_302600_NS6detail15normal_iteratorINS9_10device_ptrIiEEEENSB_INSC_IsEEEESG_sNS9_4plusIvEENS9_8equal_toIvEEsEE10hipError_tPvRmT2_T3_T4_T5_mT6_T7_P12ihipStream_tbENKUlT_T0_E_clISt17integral_constantIbLb1EES10_IbLb0EEEEDaSW_SX_EUlSW_E_NS1_11comp_targetILNS1_3genE8ELNS1_11target_archE1030ELNS1_3gpuE2ELNS1_3repE0EEENS1_30default_config_static_selectorELNS0_4arch9wavefront6targetE0EEEvT1_, .Lfunc_end1380-_ZN7rocprim17ROCPRIM_400000_NS6detail17trampoline_kernelINS0_14default_configENS1_27scan_by_key_config_selectorIisEEZZNS1_16scan_by_key_implILNS1_25lookback_scan_determinismE0ELb0ES3_N6thrust23THRUST_200600_302600_NS6detail15normal_iteratorINS9_10device_ptrIiEEEENSB_INSC_IsEEEESG_sNS9_4plusIvEENS9_8equal_toIvEEsEE10hipError_tPvRmT2_T3_T4_T5_mT6_T7_P12ihipStream_tbENKUlT_T0_E_clISt17integral_constantIbLb1EES10_IbLb0EEEEDaSW_SX_EUlSW_E_NS1_11comp_targetILNS1_3genE8ELNS1_11target_archE1030ELNS1_3gpuE2ELNS1_3repE0EEENS1_30default_config_static_selectorELNS0_4arch9wavefront6targetE0EEEvT1_
                                        ; -- End function
	.set _ZN7rocprim17ROCPRIM_400000_NS6detail17trampoline_kernelINS0_14default_configENS1_27scan_by_key_config_selectorIisEEZZNS1_16scan_by_key_implILNS1_25lookback_scan_determinismE0ELb0ES3_N6thrust23THRUST_200600_302600_NS6detail15normal_iteratorINS9_10device_ptrIiEEEENSB_INSC_IsEEEESG_sNS9_4plusIvEENS9_8equal_toIvEEsEE10hipError_tPvRmT2_T3_T4_T5_mT6_T7_P12ihipStream_tbENKUlT_T0_E_clISt17integral_constantIbLb1EES10_IbLb0EEEEDaSW_SX_EUlSW_E_NS1_11comp_targetILNS1_3genE8ELNS1_11target_archE1030ELNS1_3gpuE2ELNS1_3repE0EEENS1_30default_config_static_selectorELNS0_4arch9wavefront6targetE0EEEvT1_.num_vgpr, 0
	.set _ZN7rocprim17ROCPRIM_400000_NS6detail17trampoline_kernelINS0_14default_configENS1_27scan_by_key_config_selectorIisEEZZNS1_16scan_by_key_implILNS1_25lookback_scan_determinismE0ELb0ES3_N6thrust23THRUST_200600_302600_NS6detail15normal_iteratorINS9_10device_ptrIiEEEENSB_INSC_IsEEEESG_sNS9_4plusIvEENS9_8equal_toIvEEsEE10hipError_tPvRmT2_T3_T4_T5_mT6_T7_P12ihipStream_tbENKUlT_T0_E_clISt17integral_constantIbLb1EES10_IbLb0EEEEDaSW_SX_EUlSW_E_NS1_11comp_targetILNS1_3genE8ELNS1_11target_archE1030ELNS1_3gpuE2ELNS1_3repE0EEENS1_30default_config_static_selectorELNS0_4arch9wavefront6targetE0EEEvT1_.num_agpr, 0
	.set _ZN7rocprim17ROCPRIM_400000_NS6detail17trampoline_kernelINS0_14default_configENS1_27scan_by_key_config_selectorIisEEZZNS1_16scan_by_key_implILNS1_25lookback_scan_determinismE0ELb0ES3_N6thrust23THRUST_200600_302600_NS6detail15normal_iteratorINS9_10device_ptrIiEEEENSB_INSC_IsEEEESG_sNS9_4plusIvEENS9_8equal_toIvEEsEE10hipError_tPvRmT2_T3_T4_T5_mT6_T7_P12ihipStream_tbENKUlT_T0_E_clISt17integral_constantIbLb1EES10_IbLb0EEEEDaSW_SX_EUlSW_E_NS1_11comp_targetILNS1_3genE8ELNS1_11target_archE1030ELNS1_3gpuE2ELNS1_3repE0EEENS1_30default_config_static_selectorELNS0_4arch9wavefront6targetE0EEEvT1_.numbered_sgpr, 0
	.set _ZN7rocprim17ROCPRIM_400000_NS6detail17trampoline_kernelINS0_14default_configENS1_27scan_by_key_config_selectorIisEEZZNS1_16scan_by_key_implILNS1_25lookback_scan_determinismE0ELb0ES3_N6thrust23THRUST_200600_302600_NS6detail15normal_iteratorINS9_10device_ptrIiEEEENSB_INSC_IsEEEESG_sNS9_4plusIvEENS9_8equal_toIvEEsEE10hipError_tPvRmT2_T3_T4_T5_mT6_T7_P12ihipStream_tbENKUlT_T0_E_clISt17integral_constantIbLb1EES10_IbLb0EEEEDaSW_SX_EUlSW_E_NS1_11comp_targetILNS1_3genE8ELNS1_11target_archE1030ELNS1_3gpuE2ELNS1_3repE0EEENS1_30default_config_static_selectorELNS0_4arch9wavefront6targetE0EEEvT1_.num_named_barrier, 0
	.set _ZN7rocprim17ROCPRIM_400000_NS6detail17trampoline_kernelINS0_14default_configENS1_27scan_by_key_config_selectorIisEEZZNS1_16scan_by_key_implILNS1_25lookback_scan_determinismE0ELb0ES3_N6thrust23THRUST_200600_302600_NS6detail15normal_iteratorINS9_10device_ptrIiEEEENSB_INSC_IsEEEESG_sNS9_4plusIvEENS9_8equal_toIvEEsEE10hipError_tPvRmT2_T3_T4_T5_mT6_T7_P12ihipStream_tbENKUlT_T0_E_clISt17integral_constantIbLb1EES10_IbLb0EEEEDaSW_SX_EUlSW_E_NS1_11comp_targetILNS1_3genE8ELNS1_11target_archE1030ELNS1_3gpuE2ELNS1_3repE0EEENS1_30default_config_static_selectorELNS0_4arch9wavefront6targetE0EEEvT1_.private_seg_size, 0
	.set _ZN7rocprim17ROCPRIM_400000_NS6detail17trampoline_kernelINS0_14default_configENS1_27scan_by_key_config_selectorIisEEZZNS1_16scan_by_key_implILNS1_25lookback_scan_determinismE0ELb0ES3_N6thrust23THRUST_200600_302600_NS6detail15normal_iteratorINS9_10device_ptrIiEEEENSB_INSC_IsEEEESG_sNS9_4plusIvEENS9_8equal_toIvEEsEE10hipError_tPvRmT2_T3_T4_T5_mT6_T7_P12ihipStream_tbENKUlT_T0_E_clISt17integral_constantIbLb1EES10_IbLb0EEEEDaSW_SX_EUlSW_E_NS1_11comp_targetILNS1_3genE8ELNS1_11target_archE1030ELNS1_3gpuE2ELNS1_3repE0EEENS1_30default_config_static_selectorELNS0_4arch9wavefront6targetE0EEEvT1_.uses_vcc, 0
	.set _ZN7rocprim17ROCPRIM_400000_NS6detail17trampoline_kernelINS0_14default_configENS1_27scan_by_key_config_selectorIisEEZZNS1_16scan_by_key_implILNS1_25lookback_scan_determinismE0ELb0ES3_N6thrust23THRUST_200600_302600_NS6detail15normal_iteratorINS9_10device_ptrIiEEEENSB_INSC_IsEEEESG_sNS9_4plusIvEENS9_8equal_toIvEEsEE10hipError_tPvRmT2_T3_T4_T5_mT6_T7_P12ihipStream_tbENKUlT_T0_E_clISt17integral_constantIbLb1EES10_IbLb0EEEEDaSW_SX_EUlSW_E_NS1_11comp_targetILNS1_3genE8ELNS1_11target_archE1030ELNS1_3gpuE2ELNS1_3repE0EEENS1_30default_config_static_selectorELNS0_4arch9wavefront6targetE0EEEvT1_.uses_flat_scratch, 0
	.set _ZN7rocprim17ROCPRIM_400000_NS6detail17trampoline_kernelINS0_14default_configENS1_27scan_by_key_config_selectorIisEEZZNS1_16scan_by_key_implILNS1_25lookback_scan_determinismE0ELb0ES3_N6thrust23THRUST_200600_302600_NS6detail15normal_iteratorINS9_10device_ptrIiEEEENSB_INSC_IsEEEESG_sNS9_4plusIvEENS9_8equal_toIvEEsEE10hipError_tPvRmT2_T3_T4_T5_mT6_T7_P12ihipStream_tbENKUlT_T0_E_clISt17integral_constantIbLb1EES10_IbLb0EEEEDaSW_SX_EUlSW_E_NS1_11comp_targetILNS1_3genE8ELNS1_11target_archE1030ELNS1_3gpuE2ELNS1_3repE0EEENS1_30default_config_static_selectorELNS0_4arch9wavefront6targetE0EEEvT1_.has_dyn_sized_stack, 0
	.set _ZN7rocprim17ROCPRIM_400000_NS6detail17trampoline_kernelINS0_14default_configENS1_27scan_by_key_config_selectorIisEEZZNS1_16scan_by_key_implILNS1_25lookback_scan_determinismE0ELb0ES3_N6thrust23THRUST_200600_302600_NS6detail15normal_iteratorINS9_10device_ptrIiEEEENSB_INSC_IsEEEESG_sNS9_4plusIvEENS9_8equal_toIvEEsEE10hipError_tPvRmT2_T3_T4_T5_mT6_T7_P12ihipStream_tbENKUlT_T0_E_clISt17integral_constantIbLb1EES10_IbLb0EEEEDaSW_SX_EUlSW_E_NS1_11comp_targetILNS1_3genE8ELNS1_11target_archE1030ELNS1_3gpuE2ELNS1_3repE0EEENS1_30default_config_static_selectorELNS0_4arch9wavefront6targetE0EEEvT1_.has_recursion, 0
	.set _ZN7rocprim17ROCPRIM_400000_NS6detail17trampoline_kernelINS0_14default_configENS1_27scan_by_key_config_selectorIisEEZZNS1_16scan_by_key_implILNS1_25lookback_scan_determinismE0ELb0ES3_N6thrust23THRUST_200600_302600_NS6detail15normal_iteratorINS9_10device_ptrIiEEEENSB_INSC_IsEEEESG_sNS9_4plusIvEENS9_8equal_toIvEEsEE10hipError_tPvRmT2_T3_T4_T5_mT6_T7_P12ihipStream_tbENKUlT_T0_E_clISt17integral_constantIbLb1EES10_IbLb0EEEEDaSW_SX_EUlSW_E_NS1_11comp_targetILNS1_3genE8ELNS1_11target_archE1030ELNS1_3gpuE2ELNS1_3repE0EEENS1_30default_config_static_selectorELNS0_4arch9wavefront6targetE0EEEvT1_.has_indirect_call, 0
	.section	.AMDGPU.csdata,"",@progbits
; Kernel info:
; codeLenInByte = 0
; TotalNumSgprs: 0
; NumVgprs: 0
; ScratchSize: 0
; MemoryBound: 0
; FloatMode: 240
; IeeeMode: 1
; LDSByteSize: 0 bytes/workgroup (compile time only)
; SGPRBlocks: 0
; VGPRBlocks: 0
; NumSGPRsForWavesPerEU: 1
; NumVGPRsForWavesPerEU: 1
; NamedBarCnt: 0
; Occupancy: 16
; WaveLimiterHint : 0
; COMPUTE_PGM_RSRC2:SCRATCH_EN: 0
; COMPUTE_PGM_RSRC2:USER_SGPR: 2
; COMPUTE_PGM_RSRC2:TRAP_HANDLER: 0
; COMPUTE_PGM_RSRC2:TGID_X_EN: 1
; COMPUTE_PGM_RSRC2:TGID_Y_EN: 0
; COMPUTE_PGM_RSRC2:TGID_Z_EN: 0
; COMPUTE_PGM_RSRC2:TIDIG_COMP_CNT: 0
	.section	.text._ZN7rocprim17ROCPRIM_400000_NS6detail30init_device_scan_by_key_kernelINS1_19lookback_scan_stateINS0_5tupleIJsbEEELb0ELb1EEEN6thrust23THRUST_200600_302600_NS6detail15normal_iteratorINS8_10device_ptrIiEEEEjNS1_16block_id_wrapperIjLb1EEEEEvT_jjPNSG_10value_typeET0_PNSt15iterator_traitsISJ_E10value_typeEmT1_T2_,"axG",@progbits,_ZN7rocprim17ROCPRIM_400000_NS6detail30init_device_scan_by_key_kernelINS1_19lookback_scan_stateINS0_5tupleIJsbEEELb0ELb1EEEN6thrust23THRUST_200600_302600_NS6detail15normal_iteratorINS8_10device_ptrIiEEEEjNS1_16block_id_wrapperIjLb1EEEEEvT_jjPNSG_10value_typeET0_PNSt15iterator_traitsISJ_E10value_typeEmT1_T2_,comdat
	.protected	_ZN7rocprim17ROCPRIM_400000_NS6detail30init_device_scan_by_key_kernelINS1_19lookback_scan_stateINS0_5tupleIJsbEEELb0ELb1EEEN6thrust23THRUST_200600_302600_NS6detail15normal_iteratorINS8_10device_ptrIiEEEEjNS1_16block_id_wrapperIjLb1EEEEEvT_jjPNSG_10value_typeET0_PNSt15iterator_traitsISJ_E10value_typeEmT1_T2_ ; -- Begin function _ZN7rocprim17ROCPRIM_400000_NS6detail30init_device_scan_by_key_kernelINS1_19lookback_scan_stateINS0_5tupleIJsbEEELb0ELb1EEEN6thrust23THRUST_200600_302600_NS6detail15normal_iteratorINS8_10device_ptrIiEEEEjNS1_16block_id_wrapperIjLb1EEEEEvT_jjPNSG_10value_typeET0_PNSt15iterator_traitsISJ_E10value_typeEmT1_T2_
	.globl	_ZN7rocprim17ROCPRIM_400000_NS6detail30init_device_scan_by_key_kernelINS1_19lookback_scan_stateINS0_5tupleIJsbEEELb0ELb1EEEN6thrust23THRUST_200600_302600_NS6detail15normal_iteratorINS8_10device_ptrIiEEEEjNS1_16block_id_wrapperIjLb1EEEEEvT_jjPNSG_10value_typeET0_PNSt15iterator_traitsISJ_E10value_typeEmT1_T2_
	.p2align	8
	.type	_ZN7rocprim17ROCPRIM_400000_NS6detail30init_device_scan_by_key_kernelINS1_19lookback_scan_stateINS0_5tupleIJsbEEELb0ELb1EEEN6thrust23THRUST_200600_302600_NS6detail15normal_iteratorINS8_10device_ptrIiEEEEjNS1_16block_id_wrapperIjLb1EEEEEvT_jjPNSG_10value_typeET0_PNSt15iterator_traitsISJ_E10value_typeEmT1_T2_,@function
_ZN7rocprim17ROCPRIM_400000_NS6detail30init_device_scan_by_key_kernelINS1_19lookback_scan_stateINS0_5tupleIJsbEEELb0ELb1EEEN6thrust23THRUST_200600_302600_NS6detail15normal_iteratorINS8_10device_ptrIiEEEEjNS1_16block_id_wrapperIjLb1EEEEEvT_jjPNSG_10value_typeET0_PNSt15iterator_traitsISJ_E10value_typeEmT1_T2_: ; @_ZN7rocprim17ROCPRIM_400000_NS6detail30init_device_scan_by_key_kernelINS1_19lookback_scan_stateINS0_5tupleIJsbEEELb0ELb1EEEN6thrust23THRUST_200600_302600_NS6detail15normal_iteratorINS8_10device_ptrIiEEEEjNS1_16block_id_wrapperIjLb1EEEEEvT_jjPNSG_10value_typeET0_PNSt15iterator_traitsISJ_E10value_typeEmT1_T2_
; %bb.0:
	s_clause 0x2
	s_load_b32 s2, s[0:1], 0x4c
	s_load_b32 s12, s[0:1], 0x40
	s_load_b256 s[4:11], s[0:1], 0x0
	s_bfe_u32 s3, ttmp6, 0x4000c
	s_and_b32 s14, ttmp6, 15
	s_add_co_i32 s3, s3, 1
	s_getreg_b32 s15, hwreg(HW_REG_IB_STS2, 6, 4)
	s_mul_i32 s3, ttmp9, s3
	s_delay_alu instid0(SALU_CYCLE_1)
	s_add_co_i32 s14, s14, s3
	s_wait_kmcnt 0x0
	s_and_b32 s13, s2, 0xffff
	s_cmp_eq_u32 s15, 0
	s_cselect_b32 s2, ttmp9, s14
	s_cmp_eq_u64 s[8:9], 0
	v_mad_u32 v0, s2, s13, v0
	s_cbranch_scc1 .LBB1381_7
; %bb.1:
	s_cmp_lt_u32 s7, s6
	s_mov_b32 s14, exec_lo
	s_cselect_b32 s2, s7, 0
	s_delay_alu instid0(VALU_DEP_1) | instid1(SALU_CYCLE_1)
	v_cmpx_eq_u32_e64 s2, v0
	s_cbranch_execz .LBB1381_6
; %bb.2:
	s_add_co_i32 s2, s7, 32
	s_delay_alu instid0(SALU_CYCLE_1) | instskip(SKIP_3) | instid1(VALU_DEP_1)
	v_dual_mov_b32 v4, 0 :: v_dual_mov_b32 v1, s2
	global_load_b64 v[2:3], v1, s[4:5] scale_offset scope:SCOPE_DEV
	s_wait_loadcnt 0x0
	v_and_b32_e32 v5, 0xff, v3
	v_cmp_ne_u64_e32 vcc_lo, 0, v[4:5]
	s_cbranch_vccnz .LBB1381_5
; %bb.3:
	s_mov_b32 s3, 0
	s_delay_alu instid0(SALU_CYCLE_1) | instskip(NEXT) | instid1(SALU_CYCLE_1)
	s_lshl_b64 s[2:3], s[2:3], 3
	s_add_nc_u64 s[2:3], s[4:5], s[2:3]
.LBB1381_4:                             ; =>This Inner Loop Header: Depth=1
	global_load_b64 v[2:3], v4, s[2:3] scope:SCOPE_DEV
	s_wait_loadcnt 0x0
	v_and_b32_e32 v5, 0xff, v3
	s_delay_alu instid0(VALU_DEP_1)
	v_cmp_eq_u64_e32 vcc_lo, 0, v[4:5]
	s_cbranch_vccnz .LBB1381_4
.LBB1381_5:
	v_mov_b32_e32 v1, 0
	s_clause 0x1
	global_store_b16 v1, v2, s[8:9]
	global_store_d16_hi_b8 v1, v2, s[8:9] offset:2
.LBB1381_6:
	s_wait_xcnt 0x0
	s_or_b32 exec_lo, exec_lo, s14
.LBB1381_7:
	s_delay_alu instid0(SALU_CYCLE_1) | instskip(NEXT) | instid1(VALU_DEP_1)
	s_mov_b32 s2, exec_lo
	v_cmpx_eq_u32_e32 0, v0
	s_cbranch_execz .LBB1381_9
; %bb.8:
	s_load_b64 s[8:9], s[0:1], 0x38
	v_mov_b32_e32 v1, 0
	s_wait_kmcnt 0x0
	global_store_b32 v1, v1, s[8:9]
.LBB1381_9:
	s_wait_xcnt 0x0
	s_or_b32 exec_lo, exec_lo, s2
	s_delay_alu instid0(SALU_CYCLE_1)
	s_mov_b32 s2, exec_lo
	v_cmpx_gt_u32_e64 s6, v0
	s_cbranch_execz .LBB1381_11
; %bb.10:
	v_mov_b64_e32 v[2:3], 0
	v_add_nc_u32_e32 v1, 32, v0
	global_store_b64 v1, v[2:3], s[4:5] scale_offset
.LBB1381_11:
	s_wait_xcnt 0x0
	s_or_b32 exec_lo, exec_lo, s2
	v_mov_b32_e32 v1, 0
	s_mov_b32 s2, exec_lo
	v_cmpx_gt_u32_e32 32, v0
	s_cbranch_execz .LBB1381_13
; %bb.12:
	v_mov_b64_e32 v[2:3], 0xff00000000
	v_lshl_add_u64 v[4:5], v[0:1], 3, s[4:5]
	global_store_b64 v[4:5], v[2:3], off
.LBB1381_13:
	s_wait_xcnt 0x0
	s_or_b32 exec_lo, exec_lo, s2
	s_load_b64 s[2:3], s[0:1], 0x28
	s_mov_b32 s4, exec_lo
	s_wait_kmcnt 0x0
	v_cmpx_gt_u64_e64 s[2:3], v[0:1]
	s_cbranch_execz .LBB1381_16
; %bb.14:
	s_clause 0x1
	s_load_b32 s4, s[0:1], 0x30
	s_load_b64 s[6:7], s[0:1], 0x20
	s_mov_b32 s5, 0
	s_wait_xcnt 0x0
	s_mul_i32 s0, s12, s13
	s_mov_b32 s9, s5
	s_mov_b32 s1, s5
	s_wait_kmcnt 0x0
	v_mul_u64_e32 v[2:3], s[4:5], v[0:1]
	s_add_co_i32 s8, s4, -1
	v_lshl_add_u64 v[4:5], v[0:1], 2, s[6:7]
	s_lshl_b64 s[8:9], s[8:9], 2
	s_delay_alu instid0(SALU_CYCLE_1) | instskip(SKIP_1) | instid1(SALU_CYCLE_1)
	s_add_nc_u64 s[8:9], s[10:11], s[8:9]
	s_mul_u64 s[10:11], s[4:5], s[0:1]
	s_lshl_b64 s[6:7], s[10:11], 2
	s_delay_alu instid0(VALU_DEP_2)
	v_lshl_add_u64 v[2:3], v[2:3], 2, s[8:9]
	s_lshl_b64 s[8:9], s[0:1], 2
.LBB1381_15:                            ; =>This Inner Loop Header: Depth=1
	global_load_b32 v6, v[2:3], off
	v_add_nc_u64_e32 v[0:1], s[0:1], v[0:1]
	s_wait_xcnt 0x0
	v_add_nc_u64_e32 v[2:3], s[6:7], v[2:3]
	s_delay_alu instid0(VALU_DEP_2)
	v_cmp_le_u64_e32 vcc_lo, s[2:3], v[0:1]
	s_or_b32 s5, vcc_lo, s5
	s_wait_loadcnt 0x0
	global_store_b32 v[4:5], v6, off
	s_wait_xcnt 0x0
	v_add_nc_u64_e32 v[4:5], s[8:9], v[4:5]
	s_and_not1_b32 exec_lo, exec_lo, s5
	s_cbranch_execnz .LBB1381_15
.LBB1381_16:
	s_endpgm
	.section	.rodata,"a",@progbits
	.p2align	6, 0x0
	.amdhsa_kernel _ZN7rocprim17ROCPRIM_400000_NS6detail30init_device_scan_by_key_kernelINS1_19lookback_scan_stateINS0_5tupleIJsbEEELb0ELb1EEEN6thrust23THRUST_200600_302600_NS6detail15normal_iteratorINS8_10device_ptrIiEEEEjNS1_16block_id_wrapperIjLb1EEEEEvT_jjPNSG_10value_typeET0_PNSt15iterator_traitsISJ_E10value_typeEmT1_T2_
		.amdhsa_group_segment_fixed_size 0
		.amdhsa_private_segment_fixed_size 0
		.amdhsa_kernarg_size 320
		.amdhsa_user_sgpr_count 2
		.amdhsa_user_sgpr_dispatch_ptr 0
		.amdhsa_user_sgpr_queue_ptr 0
		.amdhsa_user_sgpr_kernarg_segment_ptr 1
		.amdhsa_user_sgpr_dispatch_id 0
		.amdhsa_user_sgpr_kernarg_preload_length 0
		.amdhsa_user_sgpr_kernarg_preload_offset 0
		.amdhsa_user_sgpr_private_segment_size 0
		.amdhsa_wavefront_size32 1
		.amdhsa_uses_dynamic_stack 0
		.amdhsa_enable_private_segment 0
		.amdhsa_system_sgpr_workgroup_id_x 1
		.amdhsa_system_sgpr_workgroup_id_y 0
		.amdhsa_system_sgpr_workgroup_id_z 0
		.amdhsa_system_sgpr_workgroup_info 0
		.amdhsa_system_vgpr_workitem_id 0
		.amdhsa_next_free_vgpr 7
		.amdhsa_next_free_sgpr 16
		.amdhsa_named_barrier_count 0
		.amdhsa_reserve_vcc 1
		.amdhsa_float_round_mode_32 0
		.amdhsa_float_round_mode_16_64 0
		.amdhsa_float_denorm_mode_32 3
		.amdhsa_float_denorm_mode_16_64 3
		.amdhsa_fp16_overflow 0
		.amdhsa_memory_ordered 1
		.amdhsa_forward_progress 1
		.amdhsa_inst_pref_size 5
		.amdhsa_round_robin_scheduling 0
		.amdhsa_exception_fp_ieee_invalid_op 0
		.amdhsa_exception_fp_denorm_src 0
		.amdhsa_exception_fp_ieee_div_zero 0
		.amdhsa_exception_fp_ieee_overflow 0
		.amdhsa_exception_fp_ieee_underflow 0
		.amdhsa_exception_fp_ieee_inexact 0
		.amdhsa_exception_int_div_zero 0
	.end_amdhsa_kernel
	.section	.text._ZN7rocprim17ROCPRIM_400000_NS6detail30init_device_scan_by_key_kernelINS1_19lookback_scan_stateINS0_5tupleIJsbEEELb0ELb1EEEN6thrust23THRUST_200600_302600_NS6detail15normal_iteratorINS8_10device_ptrIiEEEEjNS1_16block_id_wrapperIjLb1EEEEEvT_jjPNSG_10value_typeET0_PNSt15iterator_traitsISJ_E10value_typeEmT1_T2_,"axG",@progbits,_ZN7rocprim17ROCPRIM_400000_NS6detail30init_device_scan_by_key_kernelINS1_19lookback_scan_stateINS0_5tupleIJsbEEELb0ELb1EEEN6thrust23THRUST_200600_302600_NS6detail15normal_iteratorINS8_10device_ptrIiEEEEjNS1_16block_id_wrapperIjLb1EEEEEvT_jjPNSG_10value_typeET0_PNSt15iterator_traitsISJ_E10value_typeEmT1_T2_,comdat
.Lfunc_end1381:
	.size	_ZN7rocprim17ROCPRIM_400000_NS6detail30init_device_scan_by_key_kernelINS1_19lookback_scan_stateINS0_5tupleIJsbEEELb0ELb1EEEN6thrust23THRUST_200600_302600_NS6detail15normal_iteratorINS8_10device_ptrIiEEEEjNS1_16block_id_wrapperIjLb1EEEEEvT_jjPNSG_10value_typeET0_PNSt15iterator_traitsISJ_E10value_typeEmT1_T2_, .Lfunc_end1381-_ZN7rocprim17ROCPRIM_400000_NS6detail30init_device_scan_by_key_kernelINS1_19lookback_scan_stateINS0_5tupleIJsbEEELb0ELb1EEEN6thrust23THRUST_200600_302600_NS6detail15normal_iteratorINS8_10device_ptrIiEEEEjNS1_16block_id_wrapperIjLb1EEEEEvT_jjPNSG_10value_typeET0_PNSt15iterator_traitsISJ_E10value_typeEmT1_T2_
                                        ; -- End function
	.set _ZN7rocprim17ROCPRIM_400000_NS6detail30init_device_scan_by_key_kernelINS1_19lookback_scan_stateINS0_5tupleIJsbEEELb0ELb1EEEN6thrust23THRUST_200600_302600_NS6detail15normal_iteratorINS8_10device_ptrIiEEEEjNS1_16block_id_wrapperIjLb1EEEEEvT_jjPNSG_10value_typeET0_PNSt15iterator_traitsISJ_E10value_typeEmT1_T2_.num_vgpr, 7
	.set _ZN7rocprim17ROCPRIM_400000_NS6detail30init_device_scan_by_key_kernelINS1_19lookback_scan_stateINS0_5tupleIJsbEEELb0ELb1EEEN6thrust23THRUST_200600_302600_NS6detail15normal_iteratorINS8_10device_ptrIiEEEEjNS1_16block_id_wrapperIjLb1EEEEEvT_jjPNSG_10value_typeET0_PNSt15iterator_traitsISJ_E10value_typeEmT1_T2_.num_agpr, 0
	.set _ZN7rocprim17ROCPRIM_400000_NS6detail30init_device_scan_by_key_kernelINS1_19lookback_scan_stateINS0_5tupleIJsbEEELb0ELb1EEEN6thrust23THRUST_200600_302600_NS6detail15normal_iteratorINS8_10device_ptrIiEEEEjNS1_16block_id_wrapperIjLb1EEEEEvT_jjPNSG_10value_typeET0_PNSt15iterator_traitsISJ_E10value_typeEmT1_T2_.numbered_sgpr, 16
	.set _ZN7rocprim17ROCPRIM_400000_NS6detail30init_device_scan_by_key_kernelINS1_19lookback_scan_stateINS0_5tupleIJsbEEELb0ELb1EEEN6thrust23THRUST_200600_302600_NS6detail15normal_iteratorINS8_10device_ptrIiEEEEjNS1_16block_id_wrapperIjLb1EEEEEvT_jjPNSG_10value_typeET0_PNSt15iterator_traitsISJ_E10value_typeEmT1_T2_.num_named_barrier, 0
	.set _ZN7rocprim17ROCPRIM_400000_NS6detail30init_device_scan_by_key_kernelINS1_19lookback_scan_stateINS0_5tupleIJsbEEELb0ELb1EEEN6thrust23THRUST_200600_302600_NS6detail15normal_iteratorINS8_10device_ptrIiEEEEjNS1_16block_id_wrapperIjLb1EEEEEvT_jjPNSG_10value_typeET0_PNSt15iterator_traitsISJ_E10value_typeEmT1_T2_.private_seg_size, 0
	.set _ZN7rocprim17ROCPRIM_400000_NS6detail30init_device_scan_by_key_kernelINS1_19lookback_scan_stateINS0_5tupleIJsbEEELb0ELb1EEEN6thrust23THRUST_200600_302600_NS6detail15normal_iteratorINS8_10device_ptrIiEEEEjNS1_16block_id_wrapperIjLb1EEEEEvT_jjPNSG_10value_typeET0_PNSt15iterator_traitsISJ_E10value_typeEmT1_T2_.uses_vcc, 1
	.set _ZN7rocprim17ROCPRIM_400000_NS6detail30init_device_scan_by_key_kernelINS1_19lookback_scan_stateINS0_5tupleIJsbEEELb0ELb1EEEN6thrust23THRUST_200600_302600_NS6detail15normal_iteratorINS8_10device_ptrIiEEEEjNS1_16block_id_wrapperIjLb1EEEEEvT_jjPNSG_10value_typeET0_PNSt15iterator_traitsISJ_E10value_typeEmT1_T2_.uses_flat_scratch, 0
	.set _ZN7rocprim17ROCPRIM_400000_NS6detail30init_device_scan_by_key_kernelINS1_19lookback_scan_stateINS0_5tupleIJsbEEELb0ELb1EEEN6thrust23THRUST_200600_302600_NS6detail15normal_iteratorINS8_10device_ptrIiEEEEjNS1_16block_id_wrapperIjLb1EEEEEvT_jjPNSG_10value_typeET0_PNSt15iterator_traitsISJ_E10value_typeEmT1_T2_.has_dyn_sized_stack, 0
	.set _ZN7rocprim17ROCPRIM_400000_NS6detail30init_device_scan_by_key_kernelINS1_19lookback_scan_stateINS0_5tupleIJsbEEELb0ELb1EEEN6thrust23THRUST_200600_302600_NS6detail15normal_iteratorINS8_10device_ptrIiEEEEjNS1_16block_id_wrapperIjLb1EEEEEvT_jjPNSG_10value_typeET0_PNSt15iterator_traitsISJ_E10value_typeEmT1_T2_.has_recursion, 0
	.set _ZN7rocprim17ROCPRIM_400000_NS6detail30init_device_scan_by_key_kernelINS1_19lookback_scan_stateINS0_5tupleIJsbEEELb0ELb1EEEN6thrust23THRUST_200600_302600_NS6detail15normal_iteratorINS8_10device_ptrIiEEEEjNS1_16block_id_wrapperIjLb1EEEEEvT_jjPNSG_10value_typeET0_PNSt15iterator_traitsISJ_E10value_typeEmT1_T2_.has_indirect_call, 0
	.section	.AMDGPU.csdata,"",@progbits
; Kernel info:
; codeLenInByte = 616
; TotalNumSgprs: 18
; NumVgprs: 7
; ScratchSize: 0
; MemoryBound: 0
; FloatMode: 240
; IeeeMode: 1
; LDSByteSize: 0 bytes/workgroup (compile time only)
; SGPRBlocks: 0
; VGPRBlocks: 0
; NumSGPRsForWavesPerEU: 18
; NumVGPRsForWavesPerEU: 7
; NamedBarCnt: 0
; Occupancy: 16
; WaveLimiterHint : 0
; COMPUTE_PGM_RSRC2:SCRATCH_EN: 0
; COMPUTE_PGM_RSRC2:USER_SGPR: 2
; COMPUTE_PGM_RSRC2:TRAP_HANDLER: 0
; COMPUTE_PGM_RSRC2:TGID_X_EN: 1
; COMPUTE_PGM_RSRC2:TGID_Y_EN: 0
; COMPUTE_PGM_RSRC2:TGID_Z_EN: 0
; COMPUTE_PGM_RSRC2:TIDIG_COMP_CNT: 0
	.section	.text._ZN7rocprim17ROCPRIM_400000_NS6detail17trampoline_kernelINS0_14default_configENS1_27scan_by_key_config_selectorIisEEZZNS1_16scan_by_key_implILNS1_25lookback_scan_determinismE0ELb0ES3_N6thrust23THRUST_200600_302600_NS6detail15normal_iteratorINS9_10device_ptrIiEEEENSB_INSC_IsEEEESG_sNS9_4plusIvEENS9_8equal_toIvEEsEE10hipError_tPvRmT2_T3_T4_T5_mT6_T7_P12ihipStream_tbENKUlT_T0_E_clISt17integral_constantIbLb0EES10_IbLb1EEEEDaSW_SX_EUlSW_E_NS1_11comp_targetILNS1_3genE0ELNS1_11target_archE4294967295ELNS1_3gpuE0ELNS1_3repE0EEENS1_30default_config_static_selectorELNS0_4arch9wavefront6targetE0EEEvT1_,"axG",@progbits,_ZN7rocprim17ROCPRIM_400000_NS6detail17trampoline_kernelINS0_14default_configENS1_27scan_by_key_config_selectorIisEEZZNS1_16scan_by_key_implILNS1_25lookback_scan_determinismE0ELb0ES3_N6thrust23THRUST_200600_302600_NS6detail15normal_iteratorINS9_10device_ptrIiEEEENSB_INSC_IsEEEESG_sNS9_4plusIvEENS9_8equal_toIvEEsEE10hipError_tPvRmT2_T3_T4_T5_mT6_T7_P12ihipStream_tbENKUlT_T0_E_clISt17integral_constantIbLb0EES10_IbLb1EEEEDaSW_SX_EUlSW_E_NS1_11comp_targetILNS1_3genE0ELNS1_11target_archE4294967295ELNS1_3gpuE0ELNS1_3repE0EEENS1_30default_config_static_selectorELNS0_4arch9wavefront6targetE0EEEvT1_,comdat
	.protected	_ZN7rocprim17ROCPRIM_400000_NS6detail17trampoline_kernelINS0_14default_configENS1_27scan_by_key_config_selectorIisEEZZNS1_16scan_by_key_implILNS1_25lookback_scan_determinismE0ELb0ES3_N6thrust23THRUST_200600_302600_NS6detail15normal_iteratorINS9_10device_ptrIiEEEENSB_INSC_IsEEEESG_sNS9_4plusIvEENS9_8equal_toIvEEsEE10hipError_tPvRmT2_T3_T4_T5_mT6_T7_P12ihipStream_tbENKUlT_T0_E_clISt17integral_constantIbLb0EES10_IbLb1EEEEDaSW_SX_EUlSW_E_NS1_11comp_targetILNS1_3genE0ELNS1_11target_archE4294967295ELNS1_3gpuE0ELNS1_3repE0EEENS1_30default_config_static_selectorELNS0_4arch9wavefront6targetE0EEEvT1_ ; -- Begin function _ZN7rocprim17ROCPRIM_400000_NS6detail17trampoline_kernelINS0_14default_configENS1_27scan_by_key_config_selectorIisEEZZNS1_16scan_by_key_implILNS1_25lookback_scan_determinismE0ELb0ES3_N6thrust23THRUST_200600_302600_NS6detail15normal_iteratorINS9_10device_ptrIiEEEENSB_INSC_IsEEEESG_sNS9_4plusIvEENS9_8equal_toIvEEsEE10hipError_tPvRmT2_T3_T4_T5_mT6_T7_P12ihipStream_tbENKUlT_T0_E_clISt17integral_constantIbLb0EES10_IbLb1EEEEDaSW_SX_EUlSW_E_NS1_11comp_targetILNS1_3genE0ELNS1_11target_archE4294967295ELNS1_3gpuE0ELNS1_3repE0EEENS1_30default_config_static_selectorELNS0_4arch9wavefront6targetE0EEEvT1_
	.globl	_ZN7rocprim17ROCPRIM_400000_NS6detail17trampoline_kernelINS0_14default_configENS1_27scan_by_key_config_selectorIisEEZZNS1_16scan_by_key_implILNS1_25lookback_scan_determinismE0ELb0ES3_N6thrust23THRUST_200600_302600_NS6detail15normal_iteratorINS9_10device_ptrIiEEEENSB_INSC_IsEEEESG_sNS9_4plusIvEENS9_8equal_toIvEEsEE10hipError_tPvRmT2_T3_T4_T5_mT6_T7_P12ihipStream_tbENKUlT_T0_E_clISt17integral_constantIbLb0EES10_IbLb1EEEEDaSW_SX_EUlSW_E_NS1_11comp_targetILNS1_3genE0ELNS1_11target_archE4294967295ELNS1_3gpuE0ELNS1_3repE0EEENS1_30default_config_static_selectorELNS0_4arch9wavefront6targetE0EEEvT1_
	.p2align	8
	.type	_ZN7rocprim17ROCPRIM_400000_NS6detail17trampoline_kernelINS0_14default_configENS1_27scan_by_key_config_selectorIisEEZZNS1_16scan_by_key_implILNS1_25lookback_scan_determinismE0ELb0ES3_N6thrust23THRUST_200600_302600_NS6detail15normal_iteratorINS9_10device_ptrIiEEEENSB_INSC_IsEEEESG_sNS9_4plusIvEENS9_8equal_toIvEEsEE10hipError_tPvRmT2_T3_T4_T5_mT6_T7_P12ihipStream_tbENKUlT_T0_E_clISt17integral_constantIbLb0EES10_IbLb1EEEEDaSW_SX_EUlSW_E_NS1_11comp_targetILNS1_3genE0ELNS1_11target_archE4294967295ELNS1_3gpuE0ELNS1_3repE0EEENS1_30default_config_static_selectorELNS0_4arch9wavefront6targetE0EEEvT1_,@function
_ZN7rocprim17ROCPRIM_400000_NS6detail17trampoline_kernelINS0_14default_configENS1_27scan_by_key_config_selectorIisEEZZNS1_16scan_by_key_implILNS1_25lookback_scan_determinismE0ELb0ES3_N6thrust23THRUST_200600_302600_NS6detail15normal_iteratorINS9_10device_ptrIiEEEENSB_INSC_IsEEEESG_sNS9_4plusIvEENS9_8equal_toIvEEsEE10hipError_tPvRmT2_T3_T4_T5_mT6_T7_P12ihipStream_tbENKUlT_T0_E_clISt17integral_constantIbLb0EES10_IbLb1EEEEDaSW_SX_EUlSW_E_NS1_11comp_targetILNS1_3genE0ELNS1_11target_archE4294967295ELNS1_3gpuE0ELNS1_3repE0EEENS1_30default_config_static_selectorELNS0_4arch9wavefront6targetE0EEEvT1_: ; @_ZN7rocprim17ROCPRIM_400000_NS6detail17trampoline_kernelINS0_14default_configENS1_27scan_by_key_config_selectorIisEEZZNS1_16scan_by_key_implILNS1_25lookback_scan_determinismE0ELb0ES3_N6thrust23THRUST_200600_302600_NS6detail15normal_iteratorINS9_10device_ptrIiEEEENSB_INSC_IsEEEESG_sNS9_4plusIvEENS9_8equal_toIvEEsEE10hipError_tPvRmT2_T3_T4_T5_mT6_T7_P12ihipStream_tbENKUlT_T0_E_clISt17integral_constantIbLb0EES10_IbLb1EEEEDaSW_SX_EUlSW_E_NS1_11comp_targetILNS1_3genE0ELNS1_11target_archE4294967295ELNS1_3gpuE0ELNS1_3repE0EEENS1_30default_config_static_selectorELNS0_4arch9wavefront6targetE0EEEvT1_
; %bb.0:
	s_clause 0x1
	s_load_b128 s[28:31], s[0:1], 0x28
	s_load_b64 s[36:37], s[0:1], 0x38
	v_cmp_ne_u32_e64 s3, 0, v0
	v_cmp_eq_u32_e64 s2, 0, v0
	s_and_saveexec_b32 s4, s2
	s_cbranch_execz .LBB1382_4
; %bb.1:
	s_mov_b32 s6, exec_lo
	s_mov_b32 s5, exec_lo
	v_mbcnt_lo_u32_b32 v1, s6, 0
                                        ; implicit-def: $vgpr2
	s_delay_alu instid0(VALU_DEP_1)
	v_cmpx_eq_u32_e32 0, v1
	s_cbranch_execz .LBB1382_3
; %bb.2:
	s_load_b64 s[8:9], s[0:1], 0x68
	s_bcnt1_i32_b32 s6, s6
	s_delay_alu instid0(SALU_CYCLE_1)
	v_dual_mov_b32 v2, 0 :: v_dual_mov_b32 v3, s6
	s_wait_xcnt 0x0
	s_wait_kmcnt 0x0
	global_atomic_add_u32 v2, v2, v3, s[8:9] th:TH_ATOMIC_RETURN scope:SCOPE_DEV
.LBB1382_3:
	s_wait_xcnt 0x0
	s_or_b32 exec_lo, exec_lo, s5
	s_wait_loadcnt 0x0
	v_readfirstlane_b32 s5, v2
	s_delay_alu instid0(VALU_DEP_1)
	v_dual_mov_b32 v2, 0 :: v_dual_add_nc_u32 v1, s5, v1
	ds_store_b32 v2, v1
.LBB1382_4:
	s_or_b32 exec_lo, exec_lo, s4
	v_mov_b32_e32 v2, 0
	s_clause 0x2
	s_load_b256 s[12:19], s[0:1], 0x0
	s_load_b32 s4, s[0:1], 0x40
	s_load_b256 s[20:27], s[0:1], 0x48
	s_wait_dscnt 0x0
	s_barrier_signal -1
	s_barrier_wait -1
	ds_load_b32 v1, v2
	s_mov_b32 s5, 0
	s_wait_dscnt 0x0
	s_mov_b32 s11, s5
	s_barrier_signal -1
	s_barrier_wait -1
	s_barrier_signal -1
	s_barrier_wait -1
	s_wait_kmcnt 0x0
	s_lshl_b64 s[0:1], s[14:15], 2
	s_mul_u64 s[8:9], s[36:37], s[4:5]
	s_lshl_b64 s[34:35], s[14:15], 1
	s_cmp_lg_u64 s[24:25], 0
	s_add_nc_u64 s[0:1], s[12:13], s[0:1]
	s_add_nc_u64 s[6:7], s[16:17], s[34:35]
	s_cselect_b32 s42, -1, 0
	v_readfirstlane_b32 s4, v1
	s_add_nc_u64 s[38:39], s[8:9], s[4:5]
	s_add_nc_u64 s[8:9], s[20:21], -1
	s_mul_i32 s10, s4, 0xe00
	v_cmp_ge_u64_e64 s31, s[38:39], s[8:9]
	s_lshl_b64 s[12:13], s[10:11], 2
	s_lshl_b64 s[16:17], s[10:11], 1
	s_add_nc_u64 s[24:25], s[0:1], s[12:13]
	s_add_nc_u64 s[20:21], s[6:7], s[16:17]
	s_mul_i32 s33, s8, 0xfffff200
	s_and_b32 vcc_lo, exec_lo, s31
	s_cbranch_vccz .LBB1382_36
; %bb.5:
	flat_load_b32 v2, v2, s[24:25]
	s_add_co_i32 s43, s33, s30
	s_delay_alu instid0(SALU_CYCLE_1)
	v_cmp_gt_u32_e64 s0, s43, v0
	s_wait_loadcnt_dscnt 0x0
	v_mov_b32_e32 v3, v2
	s_and_saveexec_b32 s1, s0
	s_cbranch_execz .LBB1382_7
; %bb.6:
	flat_load_b32 v3, v0, s[24:25] scale_offset
.LBB1382_7:
	s_wait_xcnt 0x0
	s_or_b32 exec_lo, exec_lo, s1
	v_or_b32_e32 v4, 0x100, v0
	s_delay_alu instid0(VALU_DEP_1)
	v_cmp_gt_u32_e64 s1, s43, v4
	v_mov_b32_e32 v4, v2
	s_and_saveexec_b32 s4, s1
	s_cbranch_execz .LBB1382_9
; %bb.8:
	flat_load_b32 v4, v0, s[24:25] offset:1024 scale_offset
.LBB1382_9:
	s_wait_xcnt 0x0
	s_or_b32 exec_lo, exec_lo, s4
	v_or_b32_e32 v5, 0x200, v0
	s_delay_alu instid0(VALU_DEP_1)
	v_cmp_gt_u32_e64 s4, s43, v5
	v_mov_b32_e32 v5, v2
	s_and_saveexec_b32 s5, s4
	s_cbranch_execz .LBB1382_11
; %bb.10:
	flat_load_b32 v5, v0, s[24:25] offset:2048 scale_offset
.LBB1382_11:
	;; [unrolled: 11-line block ×12, first 2 shown]
	s_wait_xcnt 0x0
	s_or_b32 exec_lo, exec_lo, s15
	v_or_b32_e32 v16, 0xd00, v0
	s_mov_b32 s40, exec_lo
	s_delay_alu instid0(VALU_DEP_1) | instskip(SKIP_2) | instid1(SALU_CYCLE_1)
	v_cmp_gt_u32_e64 s15, s43, v16
	v_cmpx_le_u32_e64 s43, v16
	s_xor_b32 s40, exec_lo, s40
	s_and_not1_saveexec_b32 s40, s40
	s_cbranch_execz .LBB1382_33
; %bb.32:
	flat_load_b32 v2, v0, s[24:25] offset:13312 scale_offset
.LBB1382_33:
	s_wait_xcnt 0x0
	s_or_b32 exec_lo, exec_lo, s40
	v_lshlrev_b32_e32 v16, 2, v0
	s_cmp_eq_u64 s[38:39], 0
	s_mov_b64 s[40:41], s[24:25]
	s_wait_loadcnt_dscnt 0x0
	ds_store_2addr_stride64_b32 v16, v3, v4 offset1:4
	ds_store_2addr_stride64_b32 v16, v5, v6 offset0:8 offset1:12
	ds_store_2addr_stride64_b32 v16, v7, v8 offset0:16 offset1:20
	;; [unrolled: 1-line block ×6, first 2 shown]
	v_mad_u32_u24 v2, v0, 52, v16
	s_wait_dscnt 0x0
	s_barrier_signal -1
	s_barrier_wait -1
	ds_load_2addr_b64 v[22:25], v2 offset1:1
	ds_load_2addr_b64 v[18:21], v2 offset0:2 offset1:3
	ds_load_2addr_b64 v[14:17], v2 offset0:4 offset1:5
	ds_load_b64 v[30:31], v2 offset:48
	s_cbranch_scc1 .LBB1382_39
; %bb.34:
	s_and_not1_b32 vcc_lo, exec_lo, s42
	s_cbranch_vccnz .LBB1382_37
; %bb.35:
	s_lshl_b64 s[40:41], s[38:39], 2
	s_mov_b32 s44, 0
	s_add_nc_u64 s[40:41], s[26:27], s[40:41]
	s_delay_alu instid0(SALU_CYCLE_1)
	s_add_nc_u64 s[40:41], s[40:41], -4
	s_branch .LBB1382_38
.LBB1382_36:
                                        ; implicit-def: $sgpr6
                                        ; implicit-def: $vgpr2_vgpr3_vgpr4_vgpr5
                                        ; implicit-def: $vgpr6_vgpr7_vgpr8_vgpr9
                                        ; implicit-def: $vgpr34
                                        ; implicit-def: $vgpr28
                                        ; implicit-def: $vgpr10_vgpr11_vgpr12_vgpr13
                                        ; implicit-def: $vgpr26
	s_cbranch_execnz .LBB1382_83
	s_branch .LBB1382_104
.LBB1382_37:
	s_add_nc_u64 s[40:41], s[24:25], -4
	s_mov_b32 s44, -1
.LBB1382_38:
	s_delay_alu instid0(SALU_CYCLE_1)
	s_and_not1_b32 vcc_lo, exec_lo, s44
.LBB1382_39:
	v_mov_b32_e32 v3, 0
	v_mad_i32_i24 v2, 0xffffffcc, v0, v2
	flat_load_b32 v27, v3, s[40:41]
	s_wait_dscnt 0x1
	ds_store_b32 v2, v31 offset:14336
	s_wait_loadcnt_dscnt 0x0
	s_barrier_signal -1
	s_barrier_wait -1
	s_and_saveexec_b32 s40, s3
; %bb.40:
	ds_load_b32 v27, v2 offset:14332
; %bb.41:
	s_or_b32 exec_lo, exec_lo, s40
	s_wait_dscnt 0x0
	s_barrier_signal -1
	s_barrier_wait -1
                                        ; implicit-def: $vgpr3
	s_and_saveexec_b32 s40, s0
	s_cbranch_execnz .LBB1382_86
; %bb.42:
	s_or_b32 exec_lo, exec_lo, s40
                                        ; implicit-def: $vgpr4
	s_and_saveexec_b32 s0, s1
	s_cbranch_execnz .LBB1382_87
.LBB1382_43:
	s_or_b32 exec_lo, exec_lo, s0
                                        ; implicit-def: $vgpr5
	s_and_saveexec_b32 s0, s4
	s_cbranch_execnz .LBB1382_88
.LBB1382_44:
	s_or_b32 exec_lo, exec_lo, s0
                                        ; implicit-def: $vgpr6
	s_and_saveexec_b32 s0, s5
	s_cbranch_execnz .LBB1382_89
.LBB1382_45:
	s_or_b32 exec_lo, exec_lo, s0
                                        ; implicit-def: $vgpr7
	s_and_saveexec_b32 s0, s6
	s_cbranch_execnz .LBB1382_90
.LBB1382_46:
	s_or_b32 exec_lo, exec_lo, s0
                                        ; implicit-def: $vgpr8
	s_and_saveexec_b32 s0, s7
	s_cbranch_execnz .LBB1382_91
.LBB1382_47:
	s_or_b32 exec_lo, exec_lo, s0
                                        ; implicit-def: $vgpr9
	s_and_saveexec_b32 s0, s8
	s_cbranch_execnz .LBB1382_92
.LBB1382_48:
	s_or_b32 exec_lo, exec_lo, s0
                                        ; implicit-def: $vgpr10
	s_and_saveexec_b32 s0, s9
	s_cbranch_execnz .LBB1382_93
.LBB1382_49:
	s_or_b32 exec_lo, exec_lo, s0
                                        ; implicit-def: $vgpr11
	s_and_saveexec_b32 s0, s10
	s_cbranch_execnz .LBB1382_94
.LBB1382_50:
	s_or_b32 exec_lo, exec_lo, s0
                                        ; implicit-def: $vgpr12
	s_and_saveexec_b32 s0, s11
	s_cbranch_execnz .LBB1382_95
.LBB1382_51:
	s_or_b32 exec_lo, exec_lo, s0
                                        ; implicit-def: $vgpr13
	s_and_saveexec_b32 s0, s12
	s_cbranch_execnz .LBB1382_96
.LBB1382_52:
	s_or_b32 exec_lo, exec_lo, s0
                                        ; implicit-def: $vgpr26
	s_and_saveexec_b32 s0, s13
	s_cbranch_execnz .LBB1382_97
.LBB1382_53:
	s_or_b32 exec_lo, exec_lo, s0
                                        ; implicit-def: $vgpr28
	s_and_saveexec_b32 s0, s14
	s_cbranch_execnz .LBB1382_98
.LBB1382_54:
	s_or_b32 exec_lo, exec_lo, s0
                                        ; implicit-def: $vgpr32
	s_and_saveexec_b32 s0, s15
	s_cbranch_execz .LBB1382_56
.LBB1382_55:
	flat_load_u16 v32, v0, s[20:21] offset:6656 scale_offset
.LBB1382_56:
	s_wait_xcnt 0x0
	s_or_b32 exec_lo, exec_lo, s0
	v_lshlrev_b32_e32 v29, 1, v0
	v_mul_u32_u24_e32 v35, 14, v0
	s_mov_b32 s0, 0
	s_mov_b32 s5, 0
	s_mov_b32 s1, exec_lo
	v_dual_mov_b32 v2, 0 :: v_dual_sub_nc_u32 v29, v2, v29
                                        ; implicit-def: $sgpr6
                                        ; implicit-def: $vgpr34
	s_wait_loadcnt_dscnt 0x0
	ds_store_b16 v29, v3
	ds_store_b16 v29, v4 offset:512
	ds_store_b16 v29, v5 offset:1024
	;; [unrolled: 1-line block ×7, first 2 shown]
	v_dual_mov_b32 v4, v2 :: v_dual_mov_b32 v5, v2
	v_mov_b32_e32 v3, v2
	ds_store_b16 v29, v11 offset:4096
	ds_store_b16 v29, v12 offset:4608
	;; [unrolled: 1-line block ×6, first 2 shown]
	v_dual_mov_b32 v28, v2 :: v_dual_mov_b32 v26, v2
	v_mov_b64_e32 v[8:9], v[4:5]
	v_mov_b64_e32 v[12:13], v[4:5]
	;; [unrolled: 1-line block ×4, first 2 shown]
	s_wait_dscnt 0x0
	s_barrier_signal -1
	s_barrier_wait -1
	v_cmpx_gt_u32_e64 s43, v35
	s_cbranch_execz .LBB1382_82
; %bb.57:
	v_mad_u32_u24 v2, v0, 26, v29
	v_dual_mov_b32 v4, 0 :: v_dual_bitop2_b32 v6, 1, v35 bitop3:0x54
	v_cmp_eq_u32_e32 vcc_lo, v27, v22
                                        ; implicit-def: $sgpr6
                                        ; implicit-def: $vgpr34
	ds_load_u16 v32, v2
	v_dual_mov_b32 v5, v4 :: v_dual_mov_b32 v2, v4
	v_mov_b32_e32 v3, v4
	v_cndmask_b32_e64 v33, 0x10000, 0, vcc_lo
	v_cmp_gt_u32_e32 vcc_lo, s43, v6
	s_delay_alu instid0(VALU_DEP_4)
	v_mov_b64_e32 v[8:9], v[4:5]
	v_mov_b64_e32 v[12:13], v[4:5]
	;; [unrolled: 1-line block ×4, first 2 shown]
	s_and_saveexec_b32 s4, vcc_lo
	s_cbranch_execz .LBB1382_81
; %bb.58:
	v_mul_u32_u24_e32 v2, 26, v0
	v_cmp_eq_u32_e32 vcc_lo, v22, v23
	v_dual_mov_b32 v8, v4 :: v_dual_mov_b32 v9, v4
	v_dual_mov_b32 v6, v4 :: v_dual_mov_b32 v7, v4
	s_delay_alu instid0(VALU_DEP_4)
	v_dual_add_nc_u32 v36, v29, v2 :: v_dual_add_nc_u32 v10, 2, v35
	v_cndmask_b32_e64 v2, 0x10000, 0, vcc_lo
	v_dual_mov_b32 v3, v4 :: v_dual_mov_b32 v5, v4
	ds_load_b128 v[26:29], v36 offset:2
	v_cmp_gt_u32_e32 vcc_lo, s43, v10
	v_mov_b64_e32 v[12:13], v[8:9]
	v_mov_b64_e32 v[10:11], v[6:7]
	s_mov_b32 s7, 0
                                        ; implicit-def: $sgpr6
                                        ; implicit-def: $vgpr34
	s_wait_dscnt 0x0
	v_and_or_b32 v2, 0xffff, v26, v2
	s_and_saveexec_b32 s5, vcc_lo
	s_cbranch_execz .LBB1382_80
; %bb.59:
	v_dual_mov_b32 v6, 0 :: v_dual_lshrrev_b32 v3, 16, v26
	v_cmp_eq_u32_e32 vcc_lo, v23, v24
	v_add_nc_u32_e32 v10, 3, v35
	s_mov_b32 s8, 0
	s_delay_alu instid0(VALU_DEP_3) | instskip(SKIP_3) | instid1(VALU_DEP_4)
	v_dual_mov_b32 v8, v6 :: v_dual_mov_b32 v9, v6
	v_mov_b32_e32 v7, v6
	v_cndmask_b32_e64 v5, 0x10000, 0, vcc_lo
	v_cmp_gt_u32_e32 vcc_lo, s43, v10
                                        ; implicit-def: $sgpr6
                                        ; implicit-def: $vgpr34
	v_mov_b64_e32 v[12:13], v[8:9]
	s_delay_alu instid0(VALU_DEP_4) | instskip(NEXT) | instid1(VALU_DEP_4)
	v_mov_b64_e32 v[10:11], v[6:7]
	v_dual_mov_b32 v5, v4 :: v_dual_bitop2_b32 v3, v5, v3 bitop3:0x54
	s_and_saveexec_b32 s7, vcc_lo
	s_cbranch_execz .LBB1382_79
; %bb.60:
	v_cmp_eq_u32_e32 vcc_lo, v24, v25
	v_dual_mov_b32 v8, v6 :: v_dual_mov_b32 v9, v6
	v_dual_add_nc_u32 v5, 4, v35 :: v_dual_mov_b32 v7, v6
	v_cndmask_b32_e64 v4, 0x10000, 0, vcc_lo
	s_mov_b32 s9, 0
	s_delay_alu instid0(VALU_DEP_3) | instskip(NEXT) | instid1(VALU_DEP_3)
	v_mov_b64_e32 v[12:13], v[8:9]
	v_cmp_gt_u32_e32 vcc_lo, s43, v5
	v_mov_b64_e32 v[10:11], v[6:7]
	v_and_or_b32 v4, 0xffff, v27, v4
	v_mov_b32_e32 v5, s9
                                        ; implicit-def: $sgpr6
                                        ; implicit-def: $vgpr34
	s_and_saveexec_b32 s8, vcc_lo
	s_cbranch_execz .LBB1382_78
; %bb.61:
	v_dual_mov_b32 v8, 0 :: v_dual_lshrrev_b32 v5, 16, v27
	v_cmp_eq_u32_e32 vcc_lo, v25, v18
	v_add_nc_u32_e32 v11, 5, v35
	s_mov_b32 s10, 0
	s_delay_alu instid0(VALU_DEP_3) | instskip(SKIP_3) | instid1(VALU_DEP_3)
	v_dual_mov_b32 v7, v8 :: v_dual_mov_b32 v9, v8
	v_cndmask_b32_e64 v10, 0x10000, 0, vcc_lo
	v_mov_b32_e32 v6, v8
	v_cmp_gt_u32_e32 vcc_lo, s43, v11
                                        ; implicit-def: $sgpr6
                                        ; implicit-def: $vgpr34
	v_or_b32_e32 v5, v10, v5
	v_mov_b64_e32 v[12:13], v[8:9]
	s_delay_alu instid0(VALU_DEP_4)
	v_mov_b64_e32 v[10:11], v[6:7]
	s_and_saveexec_b32 s9, vcc_lo
	s_cbranch_execz .LBB1382_77
; %bb.62:
	v_cmp_eq_u32_e32 vcc_lo, v18, v19
	v_dual_add_nc_u32 v9, 6, v35 :: v_dual_mov_b32 v7, v8
	v_dual_mov_b32 v11, v8 :: v_dual_mov_b32 v12, v8
	v_cndmask_b32_e64 v6, 0x10000, 0, vcc_lo
	s_delay_alu instid0(VALU_DEP_3) | instskip(SKIP_2) | instid1(VALU_DEP_4)
	v_cmp_gt_u32_e32 vcc_lo, s43, v9
	v_dual_mov_b32 v9, v8 :: v_dual_mov_b32 v10, v8
	v_mov_b32_e32 v13, v8
	v_and_or_b32 v6, 0xffff, v28, v6
	s_mov_b32 s11, 0
                                        ; implicit-def: $sgpr6
                                        ; implicit-def: $vgpr34
	s_and_saveexec_b32 s10, vcc_lo
	s_cbranch_execz .LBB1382_76
; %bb.63:
	v_cmp_eq_u32_e32 vcc_lo, v19, v20
	v_dual_lshrrev_b32 v7, 16, v28 :: v_dual_add_nc_u32 v11, 7, v35
	s_mov_b32 s12, 0
                                        ; implicit-def: $sgpr6
                                        ; implicit-def: $vgpr34
	v_cndmask_b32_e64 v9, 0x10000, 0, vcc_lo
	v_mov_b32_e32 v10, 0
	s_delay_alu instid0(VALU_DEP_3) | instskip(NEXT) | instid1(VALU_DEP_3)
	v_cmp_gt_u32_e32 vcc_lo, s43, v11
	v_dual_mov_b32 v9, v8 :: v_dual_bitop2_b32 v7, v9, v7 bitop3:0x54
	s_delay_alu instid0(VALU_DEP_3)
	v_dual_mov_b32 v11, v10 :: v_dual_mov_b32 v12, v10
	v_mov_b32_e32 v13, v10
	s_and_saveexec_b32 s11, vcc_lo
	s_cbranch_execz .LBB1382_75
; %bb.64:
	v_cmp_eq_u32_e32 vcc_lo, v20, v21
	v_dual_add_nc_u32 v9, 8, v35 :: v_dual_mov_b32 v11, v10
	s_mov_b32 s13, 0
	v_mov_b32_e32 v13, v10
	v_cndmask_b32_e64 v8, 0x10000, 0, vcc_lo
	s_delay_alu instid0(VALU_DEP_3) | instskip(SKIP_1) | instid1(VALU_DEP_3)
	v_cmp_gt_u32_e32 vcc_lo, s43, v9
	v_dual_mov_b32 v9, s13 :: v_dual_mov_b32 v12, v10
                                        ; implicit-def: $sgpr6
                                        ; implicit-def: $vgpr34
	v_and_or_b32 v8, 0xffff, v29, v8
	s_and_saveexec_b32 s12, vcc_lo
	s_cbranch_execz .LBB1382_74
; %bb.65:
	v_cmp_eq_u32_e32 vcc_lo, v21, v14
	v_dual_lshrrev_b32 v9, 16, v29 :: v_dual_add_nc_u32 v11, 9, v35
	s_mov_b32 s14, 0
                                        ; implicit-def: $sgpr6
                                        ; implicit-def: $vgpr34
	v_cndmask_b32_e64 v10, 0x10000, 0, vcc_lo
	v_mov_b32_e32 v12, 0
	s_delay_alu instid0(VALU_DEP_3) | instskip(NEXT) | instid1(VALU_DEP_2)
	v_cmp_gt_u32_e32 vcc_lo, s43, v11
	v_dual_mov_b32 v10, v12 :: v_dual_bitop2_b32 v9, v10, v9 bitop3:0x54
	v_dual_mov_b32 v11, v12 :: v_dual_mov_b32 v13, v12
	s_and_saveexec_b32 s13, vcc_lo
	s_cbranch_execz .LBB1382_73
; %bb.66:
	ds_load_b64 v[18:19], v36 offset:18
	v_cmp_eq_u32_e32 vcc_lo, v14, v15
	v_dual_mov_b32 v11, v12 :: v_dual_add_nc_u32 v10, 10, v35
	s_mov_b32 s15, 0
                                        ; implicit-def: $sgpr6
                                        ; implicit-def: $vgpr34
	v_cndmask_b32_e64 v13, 0x10000, 0, vcc_lo
	s_delay_alu instid0(VALU_DEP_2) | instskip(SKIP_1) | instid1(VALU_DEP_2)
	v_cmp_gt_u32_e32 vcc_lo, s43, v10
	s_wait_dscnt 0x0
	v_and_or_b32 v10, 0xffff, v18, v13
	v_mov_b32_e32 v13, v12
	s_and_saveexec_b32 s14, vcc_lo
	s_cbranch_execz .LBB1382_72
; %bb.67:
	v_cmp_eq_u32_e32 vcc_lo, v15, v16
	v_dual_lshrrev_b32 v11, 16, v18 :: v_dual_add_nc_u32 v14, 11, v35
	s_mov_b32 s40, 0
	s_mov_b32 s15, exec_lo
	v_cndmask_b32_e64 v13, 0x10000, 0, vcc_lo
                                        ; implicit-def: $sgpr6
                                        ; implicit-def: $vgpr34
	s_delay_alu instid0(VALU_DEP_1)
	v_dual_mov_b32 v13, v12 :: v_dual_bitop2_b32 v11, v13, v11 bitop3:0x54
	v_cmpx_gt_u32_e64 s43, v14
	s_cbranch_execz .LBB1382_71
; %bb.68:
	v_cmp_eq_u32_e32 vcc_lo, v16, v17
	v_add_nc_u32_e32 v13, 12, v35
                                        ; implicit-def: $sgpr6
                                        ; implicit-def: $vgpr34
	v_cndmask_b32_e64 v12, 0x10000, 0, vcc_lo
	s_delay_alu instid0(VALU_DEP_2) | instskip(SKIP_1) | instid1(VALU_DEP_3)
	v_cmp_gt_u32_e32 vcc_lo, s43, v13
	v_mov_b32_e32 v13, s40
	v_and_or_b32 v12, 0xffff, v19, v12
	s_and_saveexec_b32 s41, vcc_lo
	s_delay_alu instid0(SALU_CYCLE_1)
	s_xor_b32 s41, exec_lo, s41
	s_cbranch_execz .LBB1382_70
; %bb.69:
	ds_load_u16 v34, v36 offset:26
	v_cmp_eq_u32_e32 vcc_lo, v17, v30
	v_lshrrev_b32_e32 v13, 16, v19
	v_cmp_ne_u32_e64 s6, v30, v31
	v_cndmask_b32_e64 v15, 0x10000, 0, vcc_lo
	s_delay_alu instid0(VALU_DEP_1) | instskip(NEXT) | instid1(VALU_DEP_1)
	v_dual_add_nc_u32 v14, 13, v35 :: v_dual_bitop2_b32 v13, v15, v13 bitop3:0x54
	v_cmp_gt_u32_e32 vcc_lo, s43, v14
	s_and_b32 s40, vcc_lo, exec_lo
.LBB1382_70:
	s_or_b32 exec_lo, exec_lo, s41
	s_delay_alu instid0(SALU_CYCLE_1)
	s_and_b32 s40, s40, exec_lo
.LBB1382_71:
	s_or_b32 exec_lo, exec_lo, s15
	s_delay_alu instid0(SALU_CYCLE_1)
	s_and_b32 s15, s40, exec_lo
.LBB1382_72:
	s_or_b32 exec_lo, exec_lo, s14
	s_delay_alu instid0(SALU_CYCLE_1)
	s_and_b32 s14, s15, exec_lo
.LBB1382_73:
	s_or_b32 exec_lo, exec_lo, s13
	s_delay_alu instid0(SALU_CYCLE_1)
	s_and_b32 s13, s14, exec_lo
.LBB1382_74:
	s_or_b32 exec_lo, exec_lo, s12
	s_delay_alu instid0(SALU_CYCLE_1)
	s_and_b32 s12, s13, exec_lo
.LBB1382_75:
	s_or_b32 exec_lo, exec_lo, s11
	s_delay_alu instid0(SALU_CYCLE_1)
	s_and_b32 s11, s12, exec_lo
.LBB1382_76:
	s_or_b32 exec_lo, exec_lo, s10
	s_delay_alu instid0(SALU_CYCLE_1)
	s_and_b32 s10, s11, exec_lo
.LBB1382_77:
	s_or_b32 exec_lo, exec_lo, s9
	s_delay_alu instid0(SALU_CYCLE_1)
	s_and_b32 s9, s10, exec_lo
.LBB1382_78:
	s_or_b32 exec_lo, exec_lo, s8
	s_delay_alu instid0(SALU_CYCLE_1)
	s_and_b32 s8, s9, exec_lo
.LBB1382_79:
	s_or_b32 exec_lo, exec_lo, s7
	s_delay_alu instid0(SALU_CYCLE_1)
	s_and_b32 s7, s8, exec_lo
.LBB1382_80:
	s_or_b32 exec_lo, exec_lo, s5
	s_delay_alu instid0(SALU_CYCLE_1)
	s_and_b32 s5, s7, exec_lo
.LBB1382_81:
	s_or_b32 exec_lo, exec_lo, s4
	s_wait_dscnt 0x0
	v_or_b32_e32 v28, v33, v32
	s_and_b32 s5, s5, exec_lo
	s_delay_alu instid0(VALU_DEP_1)
	v_mov_b32_e32 v26, v28
.LBB1382_82:
	s_or_b32 exec_lo, exec_lo, s1
	s_delay_alu instid0(SALU_CYCLE_1)
	s_and_b32 vcc_lo, exec_lo, s0
	s_cbranch_vccz .LBB1382_104
.LBB1382_83:
	s_clause 0xd
	flat_load_b32 v2, v0, s[24:25] scale_offset
	flat_load_b32 v3, v0, s[24:25] offset:1024 scale_offset
	flat_load_b32 v4, v0, s[24:25] offset:2048 scale_offset
	;; [unrolled: 1-line block ×13, first 2 shown]
	v_dual_lshlrev_b32 v16, 2, v0 :: v_dual_mov_b32 v20, 0
	s_cmp_eq_u64 s[38:39], 0
	s_wait_loadcnt_dscnt 0xc0c
	ds_store_2addr_stride64_b32 v16, v2, v3 offset1:4
	s_wait_loadcnt_dscnt 0xa0b
	ds_store_2addr_stride64_b32 v16, v4, v5 offset0:8 offset1:12
	s_wait_loadcnt_dscnt 0x80a
	ds_store_2addr_stride64_b32 v16, v6, v7 offset0:16 offset1:20
	;; [unrolled: 2-line block ×6, first 2 shown]
	v_mad_u32_u24 v19, v0, 52, v16
	s_wait_dscnt 0x0
	s_barrier_signal -1
	s_barrier_wait -1
	ds_load_2addr_b64 v[10:13], v19 offset1:1
	ds_load_2addr_b64 v[6:9], v19 offset0:2 offset1:3
	ds_load_2addr_b64 v[2:5], v19 offset0:4 offset1:5
	ds_load_2addr_b32 v[16:17], v19 offset0:9 offset1:10
	ds_load_2addr_b32 v[14:15], v19 offset0:11 offset1:12
	ds_load_b32 v18, v19 offset:52
	s_cbranch_scc1 .LBB1382_101
; %bb.84:
	s_and_not1_b32 vcc_lo, exec_lo, s42
	s_cbranch_vccnz .LBB1382_99
; %bb.85:
	s_lshl_b64 s[0:1], s[38:39], 2
	s_delay_alu instid0(SALU_CYCLE_1) | instskip(NEXT) | instid1(SALU_CYCLE_1)
	s_add_nc_u64 s[0:1], s[26:27], s[0:1]
	s_add_nc_u64 s[24:25], s[0:1], -4
	s_mov_b32 s0, 0
	s_branch .LBB1382_100
.LBB1382_86:
	flat_load_u16 v3, v0, s[20:21] scale_offset
	s_wait_xcnt 0x0
	s_or_b32 exec_lo, exec_lo, s40
                                        ; implicit-def: $vgpr4
	s_and_saveexec_b32 s0, s1
	s_cbranch_execz .LBB1382_43
.LBB1382_87:
	flat_load_u16 v4, v0, s[20:21] offset:512 scale_offset
	s_wait_xcnt 0x0
	s_or_b32 exec_lo, exec_lo, s0
                                        ; implicit-def: $vgpr5
	s_and_saveexec_b32 s0, s4
	s_cbranch_execz .LBB1382_44
.LBB1382_88:
	flat_load_u16 v5, v0, s[20:21] offset:1024 scale_offset
	s_wait_xcnt 0x0
	s_or_b32 exec_lo, exec_lo, s0
                                        ; implicit-def: $vgpr6
	s_and_saveexec_b32 s0, s5
	s_cbranch_execz .LBB1382_45
.LBB1382_89:
	flat_load_u16 v6, v0, s[20:21] offset:1536 scale_offset
	s_wait_xcnt 0x0
	s_or_b32 exec_lo, exec_lo, s0
                                        ; implicit-def: $vgpr7
	s_and_saveexec_b32 s0, s6
	s_cbranch_execz .LBB1382_46
.LBB1382_90:
	flat_load_u16 v7, v0, s[20:21] offset:2048 scale_offset
	s_wait_xcnt 0x0
	s_or_b32 exec_lo, exec_lo, s0
                                        ; implicit-def: $vgpr8
	s_and_saveexec_b32 s0, s7
	s_cbranch_execz .LBB1382_47
.LBB1382_91:
	flat_load_u16 v8, v0, s[20:21] offset:2560 scale_offset
	s_wait_xcnt 0x0
	s_or_b32 exec_lo, exec_lo, s0
                                        ; implicit-def: $vgpr9
	s_and_saveexec_b32 s0, s8
	s_cbranch_execz .LBB1382_48
.LBB1382_92:
	flat_load_u16 v9, v0, s[20:21] offset:3072 scale_offset
	s_wait_xcnt 0x0
	s_or_b32 exec_lo, exec_lo, s0
                                        ; implicit-def: $vgpr10
	s_and_saveexec_b32 s0, s9
	s_cbranch_execz .LBB1382_49
.LBB1382_93:
	flat_load_u16 v10, v0, s[20:21] offset:3584 scale_offset
	s_wait_xcnt 0x0
	s_or_b32 exec_lo, exec_lo, s0
                                        ; implicit-def: $vgpr11
	s_and_saveexec_b32 s0, s10
	s_cbranch_execz .LBB1382_50
.LBB1382_94:
	flat_load_u16 v11, v0, s[20:21] offset:4096 scale_offset
	s_wait_xcnt 0x0
	s_or_b32 exec_lo, exec_lo, s0
                                        ; implicit-def: $vgpr12
	s_and_saveexec_b32 s0, s11
	s_cbranch_execz .LBB1382_51
.LBB1382_95:
	flat_load_u16 v12, v0, s[20:21] offset:4608 scale_offset
	s_wait_xcnt 0x0
	s_or_b32 exec_lo, exec_lo, s0
                                        ; implicit-def: $vgpr13
	s_and_saveexec_b32 s0, s12
	s_cbranch_execz .LBB1382_52
.LBB1382_96:
	flat_load_u16 v13, v0, s[20:21] offset:5120 scale_offset
	s_wait_xcnt 0x0
	s_or_b32 exec_lo, exec_lo, s0
                                        ; implicit-def: $vgpr26
	s_and_saveexec_b32 s0, s13
	s_cbranch_execz .LBB1382_53
.LBB1382_97:
	flat_load_u16 v26, v0, s[20:21] offset:5632 scale_offset
	s_wait_xcnt 0x0
	s_or_b32 exec_lo, exec_lo, s0
                                        ; implicit-def: $vgpr28
	s_and_saveexec_b32 s0, s14
	s_cbranch_execz .LBB1382_54
.LBB1382_98:
	flat_load_u16 v28, v0, s[20:21] offset:6144 scale_offset
	s_wait_xcnt 0x0
	s_or_b32 exec_lo, exec_lo, s0
                                        ; implicit-def: $vgpr32
	s_and_saveexec_b32 s0, s15
	s_cbranch_execnz .LBB1382_55
	s_branch .LBB1382_56
.LBB1382_99:
	s_add_nc_u64 s[24:25], s[24:25], -4
	s_mov_b32 s0, -1
.LBB1382_100:
	s_delay_alu instid0(SALU_CYCLE_1)
	s_and_not1_b32 vcc_lo, exec_lo, s0
.LBB1382_101:
	flat_load_b32 v20, v20, s[24:25]
	v_mad_i32_i24 v19, 0xffffffcc, v0, v19
	s_wait_dscnt 0x1
	ds_store_b32 v19, v18 offset:14336
	s_wait_loadcnt_dscnt 0x0
	s_barrier_signal -1
	s_barrier_wait -1
	s_and_saveexec_b32 s0, s3
; %bb.102:
	ds_load_b32 v20, v19 offset:14332
; %bb.103:
	s_or_b32 exec_lo, exec_lo, s0
	s_wait_dscnt 0x0
	s_barrier_signal -1
	s_barrier_wait -1
	s_clause 0xd
	flat_load_u16 v21, v0, s[20:21] scale_offset
	flat_load_u16 v22, v0, s[20:21] offset:512 scale_offset
	flat_load_u16 v23, v0, s[20:21] offset:1024 scale_offset
	;; [unrolled: 1-line block ×13, first 2 shown]
	v_cmp_eq_u32_e32 vcc_lo, v20, v10
	v_cmp_ne_u32_e64 s6, v15, v18
	s_mov_b32 s5, -1
	v_cndmask_b32_e64 v20, 0x10000, 0, vcc_lo
	v_cmp_ne_u32_e32 vcc_lo, v11, v12
	v_lshlrev_b32_e32 v18, 1, v0
	v_cndmask_b32_e64 v35, 0, 0x10000, vcc_lo
	v_cmp_ne_u32_e32 vcc_lo, v13, v6
	s_delay_alu instid0(VALU_DEP_3)
	v_sub_nc_u32_e32 v18, v19, v18
	s_wait_loadcnt_dscnt 0xd0d
	ds_store_b16 v18, v21
	s_wait_loadcnt_dscnt 0xc0d
	ds_store_b16 v18, v22 offset:512
	s_wait_loadcnt_dscnt 0xb0d
	ds_store_b16 v18, v23 offset:1024
	;; [unrolled: 2-line block ×13, first 2 shown]
	v_cndmask_b32_e64 v36, 0, 0x10000, vcc_lo
	v_cmp_ne_u32_e32 vcc_lo, v10, v11
	v_mad_u32_u24 v39, v0, 26, v18
	s_wait_dscnt 0x0
	s_barrier_signal -1
	s_barrier_wait -1
	v_cndmask_b32_e64 v37, 0, 0x10000, vcc_lo
	v_cmp_ne_u32_e32 vcc_lo, v12, v13
	ds_load_u16 v21, v39
	ds_load_b128 v[10:13], v39 offset:2
	ds_load_b64 v[18:19], v39 offset:18
	ds_load_u16 v34, v39 offset:26
	v_cndmask_b32_e64 v38, 0, 0x10000, vcc_lo
	v_cmp_ne_u32_e32 vcc_lo, v7, v8
	v_cndmask_b32_e64 v22, 0, 0x10000, vcc_lo
	v_cmp_ne_u32_e32 vcc_lo, v9, v2
	;; [unrolled: 2-line block ×3, first 2 shown]
	s_wait_dscnt 0x3
	v_or_b32_e32 v28, v20, v21
	v_cndmask_b32_e64 v6, 0, 0x10000, vcc_lo
	v_cmp_ne_u32_e32 vcc_lo, v8, v9
	s_wait_dscnt 0x2
	v_lshrrev_b32_e32 v9, 16, v10
	s_wait_dscnt 0x1
	v_dual_lshrrev_b32 v20, 16, v18 :: v_dual_mov_b32 v26, v28
	v_and_or_b32 v6, 0xffff, v12, v6
	v_cndmask_b32_e64 v7, 0, 0x10000, vcc_lo
	v_cmp_ne_u32_e32 vcc_lo, v3, v17
	s_delay_alu instid0(VALU_DEP_2)
	v_and_or_b32 v8, 0xffff, v13, v7
	v_cndmask_b32_e64 v17, 0, 0x10000, vcc_lo
	v_cmp_ne_u32_e32 vcc_lo, v5, v15
	v_cndmask_b32_e64 v15, 0, 0x10000, vcc_lo
	v_cmp_ne_u32_e32 vcc_lo, v2, v16
	v_lshrrev_b32_e32 v16, 16, v13
	v_and_or_b32 v2, 0xffff, v10, v37
	v_cndmask_b32_e64 v3, 0, 0x10000, vcc_lo
	v_cmp_ne_u32_e32 vcc_lo, v4, v14
	v_lshrrev_b32_e32 v14, 16, v11
	v_and_or_b32 v4, 0xffff, v11, v38
	v_dual_lshrrev_b32 v11, 16, v12 :: v_dual_lshrrev_b32 v13, 16, v19
	v_cndmask_b32_e64 v5, 0, 0x10000, vcc_lo
	v_and_or_b32 v10, 0xffff, v18, v3
	v_or_b32_e32 v3, v35, v9
	v_or_b32_e32 v9, v23, v16
	;; [unrolled: 1-line block ×3, first 2 shown]
	v_and_or_b32 v12, 0xffff, v19, v5
	v_or_b32_e32 v5, v36, v14
	v_or_b32_e32 v13, v15, v13
	;; [unrolled: 1-line block ×3, first 2 shown]
.LBB1382_104:
	v_mov_b32_e32 v22, 0
	s_and_saveexec_b32 s0, s5
	s_cbranch_execz .LBB1382_106
; %bb.105:
	s_wait_dscnt 0x0
	v_and_b32_e32 v14, 0xffff, v34
	v_cndmask_b32_e64 v15, 0, 0x10000, s6
	s_delay_alu instid0(VALU_DEP_1)
	v_dual_mov_b32 v26, v28 :: v_dual_bitop2_b32 v22, v15, v14 bitop3:0x54
.LBB1382_106:
	s_or_b32 exec_lo, exec_lo, s0
	v_cmp_ne_u32_e32 vcc_lo, 0, v1
	v_cmp_gt_u32_e64 s14, 0x10000, v2
	v_cmp_gt_u32_e64 s13, 0x10000, v3
	;; [unrolled: 1-line block ×13, first 2 shown]
	v_lshrrev_b32_e32 v28, 3, v0
	v_cmp_gt_u32_e64 s15, 32, v0
	s_wait_dscnt 0x0
	s_barrier_signal -1
	s_barrier_wait -1
	s_cbranch_vccz .LBB1382_156
; %bb.107:
	v_dual_cndmask_b32 v14, 0, v26, s14 :: v_dual_bitop2_b32 v15, v8, v9 bitop3:0x54
	v_or3_b32 v16, v12, v13, v11
	v_dual_lshrrev_b32 v23, 16, v26 :: v_dual_bitop2_b32 v17, 28, v28 bitop3:0x40
	s_delay_alu instid0(VALU_DEP_3) | instskip(NEXT) | instid1(VALU_DEP_4)
	v_add_nc_u16 v14, v14, v2
	v_or3_b32 v15, v15, v7, v6
	s_delay_alu instid0(VALU_DEP_4) | instskip(NEXT) | instid1(VALU_DEP_3)
	v_or3_b32 v16, v16, v10, v22
	v_cndmask_b32_e64 v14, 0, v14, s13
	s_delay_alu instid0(VALU_DEP_3) | instskip(NEXT) | instid1(VALU_DEP_2)
	v_or3_b32 v15, v15, v5, v4
	v_add_nc_u16 v14, v14, v3
	s_delay_alu instid0(VALU_DEP_2) | instskip(NEXT) | instid1(VALU_DEP_1)
	v_or3_b32 v15, v15, v3, v2
	v_bitop3_b32 v15, v16, 0xff0000, v15 bitop3:0xc8
	v_lshl_add_u32 v16, v0, 2, v17
	s_delay_alu instid0(VALU_DEP_2) | instskip(SKIP_1) | instid1(VALU_DEP_1)
	v_cmp_eq_u32_e32 vcc_lo, 0, v15
	v_dual_cndmask_b32 v14, 0, v14, s12 :: v_dual_cndmask_b32 v25, 1, v23, vcc_lo
	v_add_nc_u16 v14, v14, v4
	s_delay_alu instid0(VALU_DEP_1) | instskip(NEXT) | instid1(VALU_DEP_1)
	v_cndmask_b32_e64 v14, 0, v14, s11
	v_add_nc_u16 v14, v14, v5
	s_delay_alu instid0(VALU_DEP_1) | instskip(NEXT) | instid1(VALU_DEP_1)
	v_cndmask_b32_e64 v14, 0, v14, s10
	v_add_nc_u16 v14, v14, v6
	s_delay_alu instid0(VALU_DEP_1) | instskip(NEXT) | instid1(VALU_DEP_1)
	v_cndmask_b32_e64 v14, 0, v14, s9
	v_add_nc_u16 v14, v14, v7
	s_delay_alu instid0(VALU_DEP_1) | instskip(NEXT) | instid1(VALU_DEP_1)
	v_cndmask_b32_e64 v14, 0, v14, s8
	v_add_nc_u16 v14, v14, v8
	s_delay_alu instid0(VALU_DEP_1) | instskip(NEXT) | instid1(VALU_DEP_1)
	v_cndmask_b32_e64 v14, 0, v14, s7
	v_add_nc_u16 v14, v14, v9
	s_delay_alu instid0(VALU_DEP_1) | instskip(NEXT) | instid1(VALU_DEP_1)
	v_cndmask_b32_e64 v14, 0, v14, s6
	v_add_nc_u16 v14, v14, v10
	s_delay_alu instid0(VALU_DEP_1) | instskip(NEXT) | instid1(VALU_DEP_1)
	v_cndmask_b32_e64 v14, 0, v14, s5
	v_add_nc_u16 v14, v14, v11
	s_delay_alu instid0(VALU_DEP_1) | instskip(NEXT) | instid1(VALU_DEP_1)
	v_cndmask_b32_e64 v14, 0, v14, s4
	v_add_nc_u16 v14, v14, v12
	s_delay_alu instid0(VALU_DEP_1) | instskip(NEXT) | instid1(VALU_DEP_1)
	v_cndmask_b32_e64 v14, 0, v14, s1
	v_add_nc_u16 v14, v14, v13
	s_delay_alu instid0(VALU_DEP_1) | instskip(NEXT) | instid1(VALU_DEP_1)
	v_cndmask_b32_e64 v14, 0, v14, s0
	v_add_nc_u16 v24, v14, v22
	ds_store_b16 v16, v24
	ds_store_b8 v16, v25 offset:2
	s_wait_dscnt 0x0
	s_barrier_signal -1
	s_barrier_wait -1
	s_and_saveexec_b32 s20, s15
	s_cbranch_execz .LBB1382_119
; %bb.108:
	v_and_b32_e32 v14, 0xfc, v0
	v_lshlrev_b32_e32 v15, 5, v0
	s_mov_b32 s21, exec_lo
	s_delay_alu instid0(VALU_DEP_1)
	v_add_nc_u32_e32 v14, v14, v15
	ds_load_u8 v16, v14 offset:6
	ds_load_b32 v15, v14
	ds_load_u16 v17, v14 offset:4
	ds_load_u8 v18, v14 offset:10
	ds_load_u16 v19, v14 offset:8
	ds_load_u16 v20, v14 offset:12
	ds_load_u8 v21, v14 offset:14
	ds_load_u16 v27, v14 offset:16
	s_wait_dscnt 0x7
	v_cmp_eq_u16_e32 vcc_lo, 0, v16
	s_wait_dscnt 0x4
	v_dual_cndmask_b32 v29, 0, v15, vcc_lo :: v_dual_bitop2_b32 v16, v18, v16 bitop3:0x54
	v_cmp_eq_u16_e32 vcc_lo, 0, v18
	s_delay_alu instid0(VALU_DEP_2) | instskip(SKIP_4) | instid1(VALU_DEP_2)
	v_add_nc_u16 v17, v29, v17
	ds_load_u8 v29, v14 offset:18
	v_cndmask_b32_e32 v17, 0, v17, vcc_lo
	s_wait_dscnt 0x2
	v_cmp_eq_u16_e32 vcc_lo, 0, v21
	v_add_nc_u16 v17, v17, v19
	ds_load_u8 v19, v14 offset:22
	v_cndmask_b32_e32 v17, 0, v17, vcc_lo
	s_delay_alu instid0(VALU_DEP_1)
	v_add_nc_u16 v17, v17, v20
	s_wait_dscnt 0x1
	v_cmp_eq_u16_e32 vcc_lo, 0, v29
	ds_load_u16 v20, v14 offset:20
	ds_load_u16 v30, v14 offset:24
	ds_load_u8 v31, v14 offset:26
	ds_load_u16 v32, v14 offset:28
	ds_load_u8 v33, v14 offset:30
	v_bitop3_b16 v18, v16, v29, v21 bitop3:0xfe
	v_and_b32_e32 v16, 0x10000, v15
	v_cndmask_b32_e32 v17, 0, v17, vcc_lo
	s_delay_alu instid0(VALU_DEP_1) | instskip(SKIP_2) | instid1(VALU_DEP_2)
	v_add_nc_u16 v17, v17, v27
	s_wait_dscnt 0x5
	v_cmp_eq_u16_e32 vcc_lo, 0, v19
	v_cndmask_b32_e32 v17, 0, v17, vcc_lo
	s_wait_dscnt 0x2
	v_cmp_eq_u16_e32 vcc_lo, 0, v31
	v_bitop3_b16 v18, v18, v31, v19 bitop3:0xfe
	s_delay_alu instid0(VALU_DEP_3) | instskip(SKIP_2) | instid1(VALU_DEP_2)
	v_add_nc_u16 v17, v17, v20
	s_wait_dscnt 0x0
	v_and_b32_e32 v19, 1, v33
	v_cndmask_b32_e32 v17, 0, v17, vcc_lo
	v_cmp_eq_u16_e32 vcc_lo, 0, v33
	s_delay_alu instid0(VALU_DEP_2) | instskip(NEXT) | instid1(VALU_DEP_1)
	v_add_nc_u16 v17, v17, v30
	v_cndmask_b32_e32 v17, 0, v17, vcc_lo
	v_cmp_eq_u16_e32 vcc_lo, 0, v18
	s_delay_alu instid0(VALU_DEP_2)
	v_add_nc_u16 v18, v17, v32
	v_cndmask_b32_e32 v20, 0x10000, v16, vcc_lo
	v_cmp_eq_u32_e32 vcc_lo, 1, v19
	v_and_b32_e32 v17, 0xff000000, v15
	v_mbcnt_lo_u32_b32 v19, -1, 0
	v_and_b32_e32 v21, 0xffff, v18
	v_cndmask_b32_e64 v20, v20, 0x10000, vcc_lo
	s_delay_alu instid0(VALU_DEP_1) | instskip(NEXT) | instid1(VALU_DEP_3)
	v_or_b32_e32 v27, v20, v17
	v_or3_b32 v29, v17, v21, v20
	v_and_b32_e32 v20, 15, v19
	s_delay_alu instid0(VALU_DEP_3) | instskip(NEXT) | instid1(VALU_DEP_3)
	v_lshrrev_b32_e32 v21, 16, v27
	v_mov_b32_dpp v30, v29 row_shr:1 row_mask:0xf bank_mask:0xf
	s_delay_alu instid0(VALU_DEP_3)
	v_cmpx_ne_u32_e32 0, v20
	s_cbranch_execz .LBB1382_110
; %bb.109:
	s_delay_alu instid0(VALU_DEP_2) | instskip(SKIP_1) | instid1(VALU_DEP_2)
	v_dual_lshrrev_b32 v21, 16, v27 :: v_dual_lshrrev_b32 v29, 16, v30
	v_and_b32_e32 v27, 0x10000, v27
	v_and_b32_e32 v21, 0xff, v21
	s_delay_alu instid0(VALU_DEP_1) | instskip(NEXT) | instid1(VALU_DEP_4)
	v_cmp_eq_u16_e32 vcc_lo, 0, v21
	v_dual_cndmask_b32 v30, 0, v30, vcc_lo :: v_dual_bitop2_b32 v29, 1, v29 bitop3:0x40
	s_delay_alu instid0(VALU_DEP_4) | instskip(NEXT) | instid1(VALU_DEP_2)
	v_cmp_ne_u32_e32 vcc_lo, 0, v27
	v_add_nc_u16 v18, v30, v18
	s_delay_alu instid0(VALU_DEP_3) | instskip(NEXT) | instid1(VALU_DEP_2)
	v_cndmask_b32_e64 v21, v29, 1, vcc_lo
	v_and_b32_e32 v29, 0xffff, v18
	s_delay_alu instid0(VALU_DEP_2) | instskip(NEXT) | instid1(VALU_DEP_1)
	v_lshlrev_b32_e32 v27, 16, v21
	v_or3_b32 v29, v27, v29, v17
.LBB1382_110:
	s_or_b32 exec_lo, exec_lo, s21
	s_delay_alu instid0(VALU_DEP_1)
	v_lshrrev_b32_e32 v27, 16, v29
	v_mov_b32_dpp v30, v29 row_shr:2 row_mask:0xf bank_mask:0xf
	s_mov_b32 s21, exec_lo
	v_cmpx_lt_u32_e32 1, v20
	s_cbranch_execz .LBB1382_112
; %bb.111:
	v_and_b32_e32 v27, 0xff, v27
	v_and_b32_e32 v29, 0x10000, v29
	s_delay_alu instid0(VALU_DEP_2) | instskip(SKIP_1) | instid1(VALU_DEP_1)
	v_cmp_eq_u16_e32 vcc_lo, 0, v27
	v_dual_lshrrev_b32 v21, 16, v30 :: v_dual_cndmask_b32 v27, 0, v30, vcc_lo
	v_and_b32_e32 v21, 1, v21
	s_delay_alu instid0(VALU_DEP_4) | instskip(NEXT) | instid1(VALU_DEP_3)
	v_cmp_ne_u32_e32 vcc_lo, 0, v29
	v_add_nc_u16 v18, v27, v18
	s_delay_alu instid0(VALU_DEP_3) | instskip(NEXT) | instid1(VALU_DEP_2)
	v_cndmask_b32_e64 v21, v21, 1, vcc_lo
	v_and_b32_e32 v29, 0xffff, v18
	s_delay_alu instid0(VALU_DEP_2) | instskip(NEXT) | instid1(VALU_DEP_1)
	v_lshlrev_b32_e32 v27, 16, v21
	v_or3_b32 v29, v27, v29, v17
	v_mov_b32_e32 v27, v21
.LBB1382_112:
	s_or_b32 exec_lo, exec_lo, s21
	s_delay_alu instid0(VALU_DEP_2)
	v_mov_b32_dpp v30, v29 row_shr:4 row_mask:0xf bank_mask:0xf
	s_mov_b32 s21, exec_lo
	v_cmpx_lt_u32_e32 3, v20
	s_cbranch_execz .LBB1382_114
; %bb.113:
	v_and_b32_e32 v29, 0xff, v27
	v_dual_lshrrev_b32 v21, 16, v30 :: v_dual_bitop2_b32 v27, 1, v27 bitop3:0x40
	s_delay_alu instid0(VALU_DEP_2) | instskip(NEXT) | instid1(VALU_DEP_2)
	v_cmp_eq_u16_e32 vcc_lo, 0, v29
	v_dual_cndmask_b32 v29, 0, v30, vcc_lo :: v_dual_bitop2_b32 v21, 1, v21 bitop3:0x40
	s_delay_alu instid0(VALU_DEP_3) | instskip(NEXT) | instid1(VALU_DEP_2)
	v_cmp_eq_u32_e32 vcc_lo, 1, v27
	v_add_nc_u16 v18, v29, v18
	s_delay_alu instid0(VALU_DEP_3) | instskip(NEXT) | instid1(VALU_DEP_2)
	v_cndmask_b32_e64 v21, v21, 1, vcc_lo
	v_and_b32_e32 v29, 0xffff, v18
	s_delay_alu instid0(VALU_DEP_2) | instskip(NEXT) | instid1(VALU_DEP_1)
	v_lshlrev_b32_e32 v27, 16, v21
	v_or3_b32 v29, v27, v29, v17
	v_mov_b32_e32 v27, v21
.LBB1382_114:
	s_or_b32 exec_lo, exec_lo, s21
	s_delay_alu instid0(VALU_DEP_2)
	v_mov_b32_dpp v30, v29 row_shr:8 row_mask:0xf bank_mask:0xf
	s_mov_b32 s21, exec_lo
	v_cmpx_lt_u32_e32 7, v20
	s_cbranch_execz .LBB1382_116
; %bb.115:
	v_and_b32_e32 v21, 0xff, v27
	v_dual_lshrrev_b32 v20, 16, v30 :: v_dual_bitop2_b32 v27, 1, v27 bitop3:0x40
	s_delay_alu instid0(VALU_DEP_2) | instskip(NEXT) | instid1(VALU_DEP_2)
	v_cmp_eq_u16_e32 vcc_lo, 0, v21
	v_dual_cndmask_b32 v29, 0, v30, vcc_lo :: v_dual_bitop2_b32 v20, 1, v20 bitop3:0x40
	s_delay_alu instid0(VALU_DEP_3) | instskip(NEXT) | instid1(VALU_DEP_2)
	v_cmp_eq_u32_e32 vcc_lo, 1, v27
	v_add_nc_u16 v18, v29, v18
	s_delay_alu instid0(VALU_DEP_3) | instskip(NEXT) | instid1(VALU_DEP_2)
	v_cndmask_b32_e64 v21, v20, 1, vcc_lo
	v_and_b32_e32 v27, 0xffff, v18
	s_delay_alu instid0(VALU_DEP_2) | instskip(NEXT) | instid1(VALU_DEP_1)
	v_lshlrev_b32_e32 v20, 16, v21
	v_or3_b32 v29, v20, v27, v17
	v_mov_b32_e32 v27, v21
.LBB1382_116:
	s_or_b32 exec_lo, exec_lo, s21
	ds_swizzle_b32 v20, v29 offset:swizzle(BROADCAST,32,15)
	v_and_b32_e32 v29, 16, v19
	s_mov_b32 s21, exec_lo
	s_delay_alu instid0(VALU_DEP_1)
	v_cmpx_ne_u32_e32 0, v29
	s_cbranch_execz .LBB1382_118
; %bb.117:
	v_and_b32_e32 v21, 0xff, v27
	s_delay_alu instid0(VALU_DEP_1) | instskip(SKIP_2) | instid1(VALU_DEP_1)
	v_cmp_eq_u16_e32 vcc_lo, 0, v21
	s_wait_dscnt 0x0
	v_dual_lshrrev_b32 v29, 16, v20 :: v_dual_bitop2_b32 v21, 1, v27 bitop3:0x40
	v_dual_cndmask_b32 v20, 0, v20, vcc_lo :: v_dual_bitop2_b32 v27, 1, v29 bitop3:0x40
	s_delay_alu instid0(VALU_DEP_2) | instskip(NEXT) | instid1(VALU_DEP_2)
	v_cmp_eq_u32_e32 vcc_lo, 1, v21
	v_add_nc_u16 v18, v20, v18
	s_delay_alu instid0(VALU_DEP_3)
	v_cndmask_b32_e64 v21, v27, 1, vcc_lo
.LBB1382_118:
	s_or_b32 exec_lo, exec_lo, s21
	s_wait_dscnt 0x0
	s_delay_alu instid0(VALU_DEP_1) | instskip(SKIP_2) | instid1(VALU_DEP_3)
	v_and_b32_e32 v20, 0xff, v21
	v_add_nc_u32_e32 v21, -1, v19
	v_and_b32_e32 v18, 0xffff, v18
	; wave barrier
	v_lshlrev_b32_e32 v20, 16, v20
	s_delay_alu instid0(VALU_DEP_3) | instskip(NEXT) | instid1(VALU_DEP_2)
	v_cmp_gt_i32_e32 vcc_lo, 0, v21
	v_or3_b32 v17, v20, v18, v17
	v_cndmask_b32_e32 v19, v21, v19, vcc_lo
	s_delay_alu instid0(VALU_DEP_1) | instskip(SKIP_2) | instid1(VALU_DEP_1)
	v_lshlrev_b32_e32 v18, 2, v19
	ds_bpermute_b32 v17, v18, v17
	v_and_b32_e32 v18, 0xff0000, v15
	v_cmp_eq_u32_e32 vcc_lo, 0, v18
	s_wait_dscnt 0x0
	v_dual_lshrrev_b32 v19, 16, v17 :: v_dual_cndmask_b32 v17, 0, v17, vcc_lo
	v_cmp_eq_u32_e32 vcc_lo, 0, v16
	s_delay_alu instid0(VALU_DEP_2) | instskip(NEXT) | instid1(VALU_DEP_1)
	v_add_nc_u16 v15, v17, v15
	v_dual_cndmask_b32 v15, v15, v24, s2 :: v_dual_bitop2_b32 v18, 1, v19 bitop3:0x40
	s_delay_alu instid0(VALU_DEP_1) | instskip(NEXT) | instid1(VALU_DEP_1)
	v_cndmask_b32_e32 v16, 1, v18, vcc_lo
	v_cndmask_b32_e64 v16, v16, v25, s2
	ds_store_b16 v14, v15
	ds_store_b8 v14, v16 offset:2
	; wave barrier
	ds_load_u8 v17, v14 offset:6
	ds_load_u16 v18, v14 offset:4
	ds_load_u8 v19, v14 offset:10
	ds_load_u16 v20, v14 offset:8
	ds_load_u16 v21, v14 offset:12
	ds_load_u8 v27, v14 offset:14
	ds_load_u16 v29, v14 offset:16
	ds_load_u8 v30, v14 offset:18
	s_wait_dscnt 0x7
	v_cmp_eq_u16_e32 vcc_lo, 0, v17
	v_cndmask_b32_e32 v15, 0, v15, vcc_lo
	s_wait_dscnt 0x5
	v_cmp_eq_u16_e32 vcc_lo, 0, v19
	s_delay_alu instid0(VALU_DEP_2) | instskip(NEXT) | instid1(VALU_DEP_1)
	v_add_nc_u16 v15, v15, v18
	v_cndmask_b32_e32 v18, 0, v15, vcc_lo
	s_wait_dscnt 0x2
	v_cmp_eq_u16_e32 vcc_lo, 0, v27
	s_delay_alu instid0(VALU_DEP_2)
	v_add_nc_u16 v18, v18, v20
	v_and_b32_e32 v17, 1, v17
	ds_load_u8 v20, v14 offset:22
	ds_load_u16 v32, v14 offset:20
	ds_load_u8 v33, v14 offset:26
	ds_load_u8 v34, v14 offset:30
	v_cndmask_b32_e32 v31, 0, v18, vcc_lo
	v_cmp_eq_u32_e32 vcc_lo, 1, v17
	v_and_b32_e32 v17, 1, v27
	s_delay_alu instid0(VALU_DEP_3)
	v_add_nc_u16 v21, v31, v21
	v_cndmask_b32_e64 v16, v16, 1, vcc_lo
	s_wait_dscnt 0x4
	v_cmp_eq_u16_e32 vcc_lo, 0, v30
	v_and_b32_e32 v19, 1, v19
	ds_load_u16 v31, v14 offset:24
	ds_load_u16 v35, v14 offset:28
	v_cndmask_b32_e32 v27, 0, v21, vcc_lo
	v_cmp_eq_u32_e32 vcc_lo, 1, v19
	s_delay_alu instid0(VALU_DEP_2)
	v_add_nc_u16 v27, v27, v29
	v_cndmask_b32_e64 v19, v16, 1, vcc_lo
	v_cmp_eq_u32_e32 vcc_lo, 1, v17
	v_and_b32_e32 v29, 1, v30
	s_wait_dscnt 0x2
	v_and_b32_e32 v36, 1, v34
	v_cndmask_b32_e64 v17, v19, 1, vcc_lo
	v_cmp_eq_u16_e32 vcc_lo, 0, v20
	v_dual_cndmask_b32 v30, 0, v27, vcc_lo :: v_dual_bitop2_b32 v20, 1, v20 bitop3:0x40
	v_cmp_eq_u32_e32 vcc_lo, 1, v29
	s_delay_alu instid0(VALU_DEP_2) | instskip(SKIP_1) | instid1(VALU_DEP_4)
	v_add_nc_u16 v30, v30, v32
	v_cndmask_b32_e64 v29, v17, 1, vcc_lo
	v_cmp_eq_u32_e32 vcc_lo, 1, v20
	v_and_b32_e32 v32, 1, v33
	ds_store_b16 v14, v15 offset:4
	ds_store_b8 v14, v16 offset:6
	ds_store_b16 v14, v18 offset:8
	ds_store_b8 v14, v19 offset:10
	;; [unrolled: 2-line block ×4, first 2 shown]
	v_cndmask_b32_e64 v20, v29, 1, vcc_lo
	v_cmp_eq_u16_e32 vcc_lo, 0, v33
	v_cndmask_b32_e32 v33, 0, v30, vcc_lo
	v_cmp_eq_u32_e32 vcc_lo, 1, v32
	s_wait_dscnt 0x9
	s_delay_alu instid0(VALU_DEP_2) | instskip(SKIP_2) | instid1(VALU_DEP_2)
	v_add_nc_u16 v31, v33, v31
	v_cndmask_b32_e64 v32, v20, 1, vcc_lo
	v_cmp_eq_u32_e32 vcc_lo, 1, v36
	v_cndmask_b32_e64 v33, v32, 1, vcc_lo
	v_cmp_eq_u16_e32 vcc_lo, 0, v34
	v_cndmask_b32_e32 v34, 0, v31, vcc_lo
	s_wait_dscnt 0x8
	s_delay_alu instid0(VALU_DEP_1)
	v_add_nc_u16 v15, v34, v35
	ds_store_b16 v14, v30 offset:20
	ds_store_b8 v14, v20 offset:22
	ds_store_b16 v14, v31 offset:24
	ds_store_b8 v14, v32 offset:26
	;; [unrolled: 2-line block ×3, first 2 shown]
.LBB1382_119:
	s_or_b32 exec_lo, exec_lo, s20
	s_wait_dscnt 0x0
	s_barrier_signal -1
	s_barrier_wait -1
	s_and_saveexec_b32 s20, s3
	s_cbranch_execz .LBB1382_121
; %bb.120:
	v_add_nc_u32_e32 v14, -1, v0
	s_delay_alu instid0(VALU_DEP_1) | instskip(NEXT) | instid1(VALU_DEP_1)
	v_lshrrev_b32_e32 v15, 3, v14
	v_and_b32_e32 v15, 0x1ffffffc, v15
	s_delay_alu instid0(VALU_DEP_1)
	v_lshl_add_u32 v14, v14, 2, v15
	ds_load_u16 v24, v14
	ds_load_u8 v25, v14 offset:2
.LBB1382_121:
	s_or_b32 exec_lo, exec_lo, s20
	s_and_saveexec_b32 s20, s15
	s_cbranch_execz .LBB1382_161
; %bb.122:
	v_dual_mov_b32 v21, 0 :: v_dual_add_nc_u32 v27, 32, v1
	v_mbcnt_lo_u32_b32 v29, -1, 0
	ds_load_b32 v14, v21 offset:1048
	v_cmp_eq_u32_e64 s15, 0, v29
	s_and_saveexec_b32 s21, s15
	s_cbranch_execz .LBB1382_124
; %bb.123:
	v_mov_b32_e32 v15, 1
	s_wait_dscnt 0x0
	global_store_b64 v27, v[14:15], s[28:29] scale_offset scope:SCOPE_DEV
.LBB1382_124:
	s_wait_xcnt 0x0
	s_or_b32 exec_lo, exec_lo, s21
	v_xad_u32 v16, v29, -1, v1
	s_mov_b32 s21, exec_lo
	s_delay_alu instid0(VALU_DEP_1) | instskip(SKIP_4) | instid1(VALU_DEP_1)
	v_add_nc_u32_e32 v20, 32, v16
	global_load_b64 v[18:19], v20, s[28:29] scale_offset scope:SCOPE_DEV
	s_wait_loadcnt 0x0
	v_and_b32_e32 v1, 0xff, v19
	s_wait_xcnt 0x0
	v_cmpx_eq_u16_e32 0, v1
	s_cbranch_execz .LBB1382_128
; %bb.125:
	v_lshl_add_u64 v[20:21], v[20:21], 3, s[28:29]
	s_mov_b32 s24, 0
.LBB1382_126:                           ; =>This Inner Loop Header: Depth=1
	global_load_b64 v[18:19], v[20:21], off scope:SCOPE_DEV
	s_wait_loadcnt 0x0
	v_and_b32_e32 v1, 0xff, v19
	s_delay_alu instid0(VALU_DEP_1)
	v_cmp_ne_u16_e32 vcc_lo, 0, v1
	s_or_b32 s24, vcc_lo, s24
	s_wait_xcnt 0x0
	s_and_not1_b32 exec_lo, exec_lo, s24
	s_cbranch_execnz .LBB1382_126
; %bb.127:
	s_or_b32 exec_lo, exec_lo, s24
.LBB1382_128:
	s_delay_alu instid0(SALU_CYCLE_1)
	s_or_b32 exec_lo, exec_lo, s21
	v_cmp_ne_u32_e32 vcc_lo, 31, v29
	v_and_b32_e32 v37, 0xffffff, v18
	v_and_b32_e32 v15, 0xff, v19
	v_bfe_u32 v21, v18, 16, 8
	s_mov_b32 s21, exec_lo
	v_add_co_ci_u32_e64 v1, null, 0, v29, vcc_lo
	s_delay_alu instid0(VALU_DEP_3) | instskip(SKIP_1) | instid1(VALU_DEP_3)
	v_cmp_eq_u16_e32 vcc_lo, 2, v15
	v_lshlrev_b32_e64 v15, v29, -1
	v_dual_lshrrev_b32 v20, 16, v18 :: v_dual_lshlrev_b32 v1, 2, v1
	s_delay_alu instid0(VALU_DEP_2) | instskip(SKIP_2) | instid1(VALU_DEP_1)
	v_and_or_b32 v17, vcc_lo, v15, 0x80000000
	ds_bpermute_b32 v30, v1, v37
	v_ctz_i32_b32_e32 v17, v17
	v_cmpx_lt_u32_e64 v29, v17
	s_cbranch_execz .LBB1382_130
; %bb.129:
	v_and_b32_e32 v20, 0xff0000, v18
	s_delay_alu instid0(VALU_DEP_1) | instskip(SKIP_3) | instid1(VALU_DEP_1)
	v_and_b32_e32 v31, 0x10000, v20
	v_cmp_eq_u32_e32 vcc_lo, 0, v20
	s_wait_dscnt 0x0
	v_dual_cndmask_b32 v30, 0, v30 :: v_dual_lshrrev_b32 v21, 16, v30
	v_and_b32_e32 v21, 1, v21
	v_cmp_ne_u32_e32 vcc_lo, 0, v31
	s_delay_alu instid0(VALU_DEP_3) | instskip(NEXT) | instid1(VALU_DEP_3)
	v_add_nc_u16 v18, v30, v18
	v_cndmask_b32_e64 v20, v21, 1, vcc_lo
	s_delay_alu instid0(VALU_DEP_2) | instskip(NEXT) | instid1(VALU_DEP_2)
	v_and_b32_e32 v30, 0xffff, v18
	v_lshlrev_b32_e32 v21, 16, v20
	s_delay_alu instid0(VALU_DEP_1)
	v_dual_mov_b32 v21, v20 :: v_dual_bitop2_b32 v37, v21, v30 bitop3:0x54
.LBB1382_130:
	s_or_b32 exec_lo, exec_lo, s21
	v_cmp_gt_u32_e32 vcc_lo, 30, v29
	v_add_nc_u32_e32 v31, 2, v29
	s_mov_b32 s21, exec_lo
	s_wait_dscnt 0x0
	v_cndmask_b32_e64 v30, 0, 2, vcc_lo
	s_delay_alu instid0(VALU_DEP_1)
	v_add_lshl_u32 v30, v30, v29, 2
	ds_bpermute_b32 v32, v30, v37
	v_cmpx_le_u32_e64 v31, v17
	s_cbranch_execz .LBB1382_132
; %bb.131:
	v_cmp_eq_u16_e32 vcc_lo, 0, v21
	s_wait_dscnt 0x0
	v_dual_lshrrev_b32 v20, 16, v32 :: v_dual_bitop2_b32 v21, 1, v21 bitop3:0x40
	v_cndmask_b32_e32 v32, 0, v32, vcc_lo
	s_delay_alu instid0(VALU_DEP_2) | instskip(NEXT) | instid1(VALU_DEP_3)
	v_and_b32_e32 v20, 1, v20
	v_cmp_eq_u32_e32 vcc_lo, 1, v21
	s_delay_alu instid0(VALU_DEP_3) | instskip(NEXT) | instid1(VALU_DEP_3)
	v_add_nc_u16 v18, v32, v18
	v_cndmask_b32_e64 v20, v20, 1, vcc_lo
	s_delay_alu instid0(VALU_DEP_2) | instskip(NEXT) | instid1(VALU_DEP_2)
	v_and_b32_e32 v21, 0xffff, v18
	v_lshlrev_b32_e32 v32, 16, v20
	s_delay_alu instid0(VALU_DEP_1)
	v_or_b32_e32 v37, v32, v21
	v_mov_b32_e32 v21, v20
.LBB1382_132:
	s_or_b32 exec_lo, exec_lo, s21
	v_cmp_gt_u32_e32 vcc_lo, 28, v29
	v_add_nc_u32_e32 v33, 4, v29
	s_mov_b32 s21, exec_lo
	s_wait_dscnt 0x0
	v_cndmask_b32_e64 v32, 0, 4, vcc_lo
	s_delay_alu instid0(VALU_DEP_1)
	v_add_lshl_u32 v32, v32, v29, 2
	ds_bpermute_b32 v34, v32, v37
	v_cmpx_le_u32_e64 v33, v17
	s_cbranch_execz .LBB1382_134
; %bb.133:
	v_cmp_eq_u16_e32 vcc_lo, 0, v21
	s_wait_dscnt 0x0
	v_dual_lshrrev_b32 v20, 16, v34 :: v_dual_bitop2_b32 v21, 1, v21 bitop3:0x40
	s_delay_alu instid0(VALU_DEP_1) | instskip(NEXT) | instid1(VALU_DEP_2)
	v_dual_cndmask_b32 v34, 0, v34, vcc_lo :: v_dual_bitop2_b32 v20, 1, v20 bitop3:0x40
	v_cmp_eq_u32_e32 vcc_lo, 1, v21
	s_delay_alu instid0(VALU_DEP_2) | instskip(NEXT) | instid1(VALU_DEP_3)
	v_add_nc_u16 v18, v34, v18
	v_cndmask_b32_e64 v20, v20, 1, vcc_lo
	s_delay_alu instid0(VALU_DEP_2) | instskip(NEXT) | instid1(VALU_DEP_2)
	v_and_b32_e32 v21, 0xffff, v18
	v_lshlrev_b32_e32 v34, 16, v20
	s_delay_alu instid0(VALU_DEP_1)
	v_dual_mov_b32 v21, v20 :: v_dual_bitop2_b32 v37, v34, v21 bitop3:0x54
.LBB1382_134:
	s_or_b32 exec_lo, exec_lo, s21
	v_cmp_gt_u32_e32 vcc_lo, 24, v29
	v_add_nc_u32_e32 v35, 8, v29
	s_mov_b32 s21, exec_lo
	s_wait_dscnt 0x0
	v_cndmask_b32_e64 v34, 0, 8, vcc_lo
	s_delay_alu instid0(VALU_DEP_1)
	v_add_lshl_u32 v34, v34, v29, 2
	ds_bpermute_b32 v36, v34, v37
	v_cmpx_le_u32_e64 v35, v17
	s_cbranch_execz .LBB1382_136
; %bb.135:
	v_cmp_eq_u16_e32 vcc_lo, 0, v21
	s_wait_dscnt 0x0
	v_dual_lshrrev_b32 v20, 16, v36 :: v_dual_bitop2_b32 v21, 1, v21 bitop3:0x40
	v_cndmask_b32_e32 v36, 0, v36, vcc_lo
	s_delay_alu instid0(VALU_DEP_2) | instskip(NEXT) | instid1(VALU_DEP_3)
	v_and_b32_e32 v20, 1, v20
	v_cmp_eq_u32_e32 vcc_lo, 1, v21
	s_delay_alu instid0(VALU_DEP_3) | instskip(NEXT) | instid1(VALU_DEP_3)
	v_add_nc_u16 v18, v36, v18
	v_cndmask_b32_e64 v20, v20, 1, vcc_lo
	s_delay_alu instid0(VALU_DEP_2) | instskip(NEXT) | instid1(VALU_DEP_2)
	v_and_b32_e32 v21, 0xffff, v18
	v_lshlrev_b32_e32 v36, 16, v20
	s_delay_alu instid0(VALU_DEP_1)
	v_or_b32_e32 v37, v36, v21
	v_mov_b32_e32 v21, v20
.LBB1382_136:
	s_or_b32 exec_lo, exec_lo, s21
	s_wait_dscnt 0x0
	v_lshl_or_b32 v36, v29, 2, 64
	s_mov_b32 s21, exec_lo
	ds_bpermute_b32 v38, v36, v37
	v_add_nc_u32_e32 v37, 16, v29
	s_delay_alu instid0(VALU_DEP_1)
	v_cmpx_le_u32_e64 v37, v17
	s_cbranch_execz .LBB1382_138
; %bb.137:
	v_cmp_eq_u16_e32 vcc_lo, 0, v21
	s_wait_dscnt 0x0
	v_dual_lshrrev_b32 v17, 16, v38 :: v_dual_bitop2_b32 v21, 1, v21 bitop3:0x40
	s_delay_alu instid0(VALU_DEP_1) | instskip(NEXT) | instid1(VALU_DEP_2)
	v_dual_cndmask_b32 v20, 0, v38, vcc_lo :: v_dual_bitop2_b32 v17, 1, v17 bitop3:0x40
	v_cmp_eq_u32_e32 vcc_lo, 1, v21
	s_delay_alu instid0(VALU_DEP_2) | instskip(NEXT) | instid1(VALU_DEP_3)
	v_add_nc_u16 v18, v20, v18
	v_cndmask_b32_e64 v20, v17, 1, vcc_lo
.LBB1382_138:
	s_or_b32 exec_lo, exec_lo, s21
	v_mov_b32_e32 v17, 0
	s_branch .LBB1382_141
.LBB1382_139:                           ;   in Loop: Header=BB1382_141 Depth=1
	s_or_b32 exec_lo, exec_lo, s21
	v_and_b32_e32 v20, 0xff, v38
	v_subrev_nc_u32_e32 v16, 32, v16
	s_mov_b32 s21, 0
	v_and_b32_e32 v21, 1, v21
	s_delay_alu instid0(VALU_DEP_3) | instskip(SKIP_2) | instid1(VALU_DEP_2)
	v_cmp_eq_u16_e32 vcc_lo, 0, v20
	v_and_b32_e32 v20, 1, v38
	v_cndmask_b32_e32 v18, 0, v18, vcc_lo
	v_cmp_eq_u32_e32 vcc_lo, 1, v20
	s_delay_alu instid0(VALU_DEP_2)
	v_add_nc_u16 v18, v18, v39
	v_cndmask_b32_e64 v20, v21, 1, vcc_lo
.LBB1382_140:                           ;   in Loop: Header=BB1382_141 Depth=1
	s_and_b32 vcc_lo, exec_lo, s21
	s_cbranch_vccnz .LBB1382_157
.LBB1382_141:                           ; =>This Loop Header: Depth=1
                                        ;     Child Loop BB1382_144 Depth 2
	v_and_b32_e32 v19, 0xff, v19
	s_wait_dscnt 0x0
	v_dual_mov_b32 v38, v20 :: v_dual_mov_b32 v39, v18
	s_mov_b32 s21, -1
                                        ; implicit-def: $vgpr20
	s_delay_alu instid0(VALU_DEP_2)
	v_cmp_ne_u16_e32 vcc_lo, 2, v19
                                        ; implicit-def: $vgpr18
	s_cmp_lg_u32 vcc_lo, exec_lo
	s_cbranch_scc1 .LBB1382_140
; %bb.142:                              ;   in Loop: Header=BB1382_141 Depth=1
	global_load_b64 v[18:19], v16, s[28:29] scale_offset scope:SCOPE_DEV
	s_mov_b32 s21, exec_lo
	s_wait_loadcnt 0x0
	v_and_b32_e32 v20, 0xff, v19
	s_wait_xcnt 0x0
	s_delay_alu instid0(VALU_DEP_1)
	v_cmpx_eq_u16_e32 0, v20
	s_cbranch_execz .LBB1382_146
; %bb.143:                              ;   in Loop: Header=BB1382_141 Depth=1
	v_lshl_add_u64 v[20:21], v[16:17], 3, s[28:29]
	s_mov_b32 s24, 0
.LBB1382_144:                           ;   Parent Loop BB1382_141 Depth=1
                                        ; =>  This Inner Loop Header: Depth=2
	global_load_b64 v[18:19], v[20:21], off scope:SCOPE_DEV
	s_wait_loadcnt 0x0
	v_and_b32_e32 v40, 0xff, v19
	s_delay_alu instid0(VALU_DEP_1)
	v_cmp_ne_u16_e32 vcc_lo, 0, v40
	s_or_b32 s24, vcc_lo, s24
	s_wait_xcnt 0x0
	s_and_not1_b32 exec_lo, exec_lo, s24
	s_cbranch_execnz .LBB1382_144
; %bb.145:                              ;   in Loop: Header=BB1382_141 Depth=1
	s_or_b32 exec_lo, exec_lo, s24
.LBB1382_146:                           ;   in Loop: Header=BB1382_141 Depth=1
	s_delay_alu instid0(SALU_CYCLE_1)
	s_or_b32 exec_lo, exec_lo, s21
	v_and_b32_e32 v41, 0xffffff, v18
	v_and_b32_e32 v20, 0xff, v19
	v_lshrrev_b32_e32 v21, 16, v18
	v_bfe_u32 v40, v18, 16, 8
	s_mov_b32 s21, exec_lo
	ds_bpermute_b32 v42, v1, v41
	v_cmp_eq_u16_e32 vcc_lo, 2, v20
	v_and_or_b32 v20, vcc_lo, v15, 0x80000000
	s_delay_alu instid0(VALU_DEP_1) | instskip(NEXT) | instid1(VALU_DEP_1)
	v_ctz_i32_b32_e32 v20, v20
	v_cmpx_lt_u32_e64 v29, v20
	s_cbranch_execz .LBB1382_148
; %bb.147:                              ;   in Loop: Header=BB1382_141 Depth=1
	v_and_b32_e32 v21, 0xff0000, v18
	s_delay_alu instid0(VALU_DEP_1) | instskip(SKIP_3) | instid1(VALU_DEP_1)
	v_and_b32_e32 v41, 0x10000, v21
	v_cmp_eq_u32_e32 vcc_lo, 0, v21
	s_wait_dscnt 0x0
	v_dual_lshrrev_b32 v40, 16, v42 :: v_dual_cndmask_b32 v42, 0, v42, vcc_lo
	v_and_b32_e32 v40, 1, v40
	v_cmp_ne_u32_e32 vcc_lo, 0, v41
	s_delay_alu instid0(VALU_DEP_3) | instskip(NEXT) | instid1(VALU_DEP_3)
	v_add_nc_u16 v18, v42, v18
	v_cndmask_b32_e64 v21, v40, 1, vcc_lo
	s_delay_alu instid0(VALU_DEP_2) | instskip(NEXT) | instid1(VALU_DEP_2)
	v_and_b32_e32 v41, 0xffff, v18
	v_lshlrev_b32_e32 v40, 16, v21
	s_delay_alu instid0(VALU_DEP_1)
	v_dual_mov_b32 v40, v21 :: v_dual_bitop2_b32 v41, v40, v41 bitop3:0x54
.LBB1382_148:                           ;   in Loop: Header=BB1382_141 Depth=1
	s_or_b32 exec_lo, exec_lo, s21
	s_wait_dscnt 0x0
	ds_bpermute_b32 v42, v30, v41
	s_mov_b32 s21, exec_lo
	v_cmpx_le_u32_e64 v31, v20
	s_cbranch_execz .LBB1382_150
; %bb.149:                              ;   in Loop: Header=BB1382_141 Depth=1
	v_cmp_eq_u16_e32 vcc_lo, 0, v40
	s_wait_dscnt 0x0
	v_dual_lshrrev_b32 v21, 16, v42 :: v_dual_bitop2_b32 v40, 1, v40 bitop3:0x40
	s_delay_alu instid0(VALU_DEP_1) | instskip(NEXT) | instid1(VALU_DEP_2)
	v_dual_cndmask_b32 v41, 0, v42, vcc_lo :: v_dual_bitop2_b32 v21, 1, v21 bitop3:0x40
	v_cmp_eq_u32_e32 vcc_lo, 1, v40
	s_delay_alu instid0(VALU_DEP_2) | instskip(NEXT) | instid1(VALU_DEP_3)
	v_add_nc_u16 v18, v41, v18
	v_cndmask_b32_e64 v21, v21, 1, vcc_lo
	s_delay_alu instid0(VALU_DEP_2) | instskip(NEXT) | instid1(VALU_DEP_2)
	v_and_b32_e32 v40, 0xffff, v18
	v_lshlrev_b32_e32 v41, 16, v21
	s_delay_alu instid0(VALU_DEP_1)
	v_or_b32_e32 v41, v41, v40
	v_mov_b32_e32 v40, v21
.LBB1382_150:                           ;   in Loop: Header=BB1382_141 Depth=1
	s_or_b32 exec_lo, exec_lo, s21
	s_wait_dscnt 0x0
	ds_bpermute_b32 v42, v32, v41
	s_mov_b32 s21, exec_lo
	v_cmpx_le_u32_e64 v33, v20
	s_cbranch_execz .LBB1382_152
; %bb.151:                              ;   in Loop: Header=BB1382_141 Depth=1
	v_cmp_eq_u16_e32 vcc_lo, 0, v40
	s_wait_dscnt 0x0
	v_dual_lshrrev_b32 v21, 16, v42 :: v_dual_bitop2_b32 v40, 1, v40 bitop3:0x40
	s_delay_alu instid0(VALU_DEP_1) | instskip(NEXT) | instid1(VALU_DEP_2)
	v_dual_cndmask_b32 v41, 0, v42, vcc_lo :: v_dual_bitop2_b32 v21, 1, v21 bitop3:0x40
	v_cmp_eq_u32_e32 vcc_lo, 1, v40
	s_delay_alu instid0(VALU_DEP_2) | instskip(NEXT) | instid1(VALU_DEP_3)
	v_add_nc_u16 v18, v41, v18
	v_cndmask_b32_e64 v21, v21, 1, vcc_lo
	s_delay_alu instid0(VALU_DEP_2) | instskip(NEXT) | instid1(VALU_DEP_2)
	v_and_b32_e32 v40, 0xffff, v18
	v_lshlrev_b32_e32 v41, 16, v21
	s_delay_alu instid0(VALU_DEP_1)
	v_or_b32_e32 v41, v41, v40
	v_mov_b32_e32 v40, v21
.LBB1382_152:                           ;   in Loop: Header=BB1382_141 Depth=1
	;; [unrolled: 23-line block ×3, first 2 shown]
	s_or_b32 exec_lo, exec_lo, s21
	ds_bpermute_b32 v41, v36, v41
	s_mov_b32 s21, exec_lo
	v_cmpx_le_u32_e64 v37, v20
	s_cbranch_execz .LBB1382_139
; %bb.155:                              ;   in Loop: Header=BB1382_141 Depth=1
	v_cmp_eq_u16_e32 vcc_lo, 0, v40
	s_wait_dscnt 0x0
	v_dual_lshrrev_b32 v40, 16, v41 :: v_dual_bitop2_b32 v21, 1, v40 bitop3:0x40
	v_cndmask_b32_e32 v20, 0, v41, vcc_lo
	s_delay_alu instid0(VALU_DEP_2) | instskip(NEXT) | instid1(VALU_DEP_2)
	v_cmp_eq_u32_e32 vcc_lo, 1, v21
	v_add_nc_u16 v18, v20, v18
	s_delay_alu instid0(VALU_DEP_4)
	v_cndmask_b32_e64 v21, v40, 1, vcc_lo
	s_branch .LBB1382_139
.LBB1382_156:
                                        ; implicit-def: $vgpr29
                                        ; implicit-def: $vgpr1
                                        ; implicit-def: $vgpr14
                                        ; implicit-def: $vgpr15
                                        ; implicit-def: $vgpr16
                                        ; implicit-def: $vgpr17
                                        ; implicit-def: $vgpr18
                                        ; implicit-def: $vgpr19
                                        ; implicit-def: $vgpr20
                                        ; implicit-def: $vgpr21
                                        ; implicit-def: $vgpr23
                                        ; implicit-def: $vgpr24
                                        ; implicit-def: $vgpr25
                                        ; implicit-def: $vgpr27
	s_cbranch_execnz .LBB1382_162
	s_branch .LBB1382_181
.LBB1382_157:
	s_and_saveexec_b32 s21, s15
	s_cbranch_execz .LBB1382_159
; %bb.158:
	v_and_b32_e32 v1, 0xff0000, v14
	v_and_b32_e32 v16, 0x10000, v14
	s_delay_alu instid0(VALU_DEP_2) | instskip(SKIP_1) | instid1(VALU_DEP_3)
	v_cmp_eq_u32_e32 vcc_lo, 0, v1
	v_dual_cndmask_b32 v1, 0, v39, vcc_lo :: v_dual_bitop2_b32 v15, 1, v38 bitop3:0x40
	v_cmp_eq_u32_e32 vcc_lo, 0, v16
	s_delay_alu instid0(VALU_DEP_2) | instskip(NEXT) | instid1(VALU_DEP_1)
	v_add_nc_u16 v1, v1, v14
	v_and_b32_e32 v1, 0xffff, v1
	s_delay_alu instid0(VALU_DEP_4) | instskip(NEXT) | instid1(VALU_DEP_1)
	v_lshlrev_b32_e32 v15, 16, v15
	v_dual_cndmask_b32 v14, 0x10000, v15 :: v_dual_mov_b32 v15, 2
	s_delay_alu instid0(VALU_DEP_1)
	v_or_b32_e32 v14, v14, v1
	global_store_b64 v27, v[14:15], s[28:29] scale_offset scope:SCOPE_DEV
.LBB1382_159:
	s_wait_xcnt 0x0
	s_or_b32 exec_lo, exec_lo, s21
	s_delay_alu instid0(SALU_CYCLE_1)
	s_and_b32 exec_lo, exec_lo, s2
	s_cbranch_execz .LBB1382_161
; %bb.160:
	v_mov_b32_e32 v1, 0
	ds_store_b16 v1, v39
	ds_store_b8 v1, v38 offset:2
.LBB1382_161:
	s_or_b32 exec_lo, exec_lo, s20
	v_and_b32_e32 v14, 0x10000, v26
	s_wait_storecnt_dscnt 0x0
	s_barrier_signal -1
	s_barrier_wait -1
	s_delay_alu instid0(VALU_DEP_1)
	v_cmp_ne_u32_e32 vcc_lo, 0, v14
	v_cndmask_b32_e64 v14, v25, 1, vcc_lo
	v_cmp_gt_u32_e32 vcc_lo, 0x10000, v26
	v_dual_mov_b32 v1, 0 :: v_dual_cndmask_b32 v15, 0, v24, vcc_lo
	ds_load_b32 v1, v1
	v_cndmask_b32_e64 v14, v14, v23, s2
	v_cndmask_b32_e64 v15, v15, 0, s2
	s_delay_alu instid0(VALU_DEP_2) | instskip(NEXT) | instid1(VALU_DEP_2)
	v_and_b32_e32 v14, 0xff, v14
	v_add_nc_u16 v15, v15, v26
	s_delay_alu instid0(VALU_DEP_2) | instskip(SKIP_2) | instid1(VALU_DEP_1)
	v_cmp_eq_u16_e32 vcc_lo, 0, v14
	s_wait_dscnt 0x0
	v_cndmask_b32_e32 v1, 0, v1, vcc_lo
	v_add_nc_u16 v27, v15, v1
	s_delay_alu instid0(VALU_DEP_1) | instskip(SKIP_1) | instid1(VALU_DEP_2)
	v_cndmask_b32_e64 v1, 0, v27, s14
	v_and_b32_e32 v29, 0xffff, v27
	v_add_nc_u16 v1, v1, v2
	s_delay_alu instid0(VALU_DEP_1) | instskip(NEXT) | instid1(VALU_DEP_1)
	v_cndmask_b32_e64 v14, 0, v1, s13
	v_add_nc_u16 v14, v14, v3
	s_delay_alu instid0(VALU_DEP_1) | instskip(NEXT) | instid1(VALU_DEP_1)
	v_cndmask_b32_e64 v15, 0, v14, s12
	;; [unrolled: 3-line block ×12, first 2 shown]
	v_add_nc_u16 v27, v30, v22
	s_branch .LBB1382_181
.LBB1382_162:
	s_cmp_lg_u64 s[36:37], 0
	s_cselect_b32 s0, -1, 0
	s_cmp_lg_u64 s[22:23], 0
	s_cselect_b32 s1, -1, 0
	s_delay_alu instid0(SALU_CYCLE_1) | instskip(NEXT) | instid1(SALU_CYCLE_1)
	s_and_b32 s0, s0, s1
	s_and_b32 s1, s2, s0
	s_delay_alu instid0(SALU_CYCLE_1)
	s_and_saveexec_b32 s0, s1
	s_cbranch_execz .LBB1382_164
; %bb.163:
	v_mov_b32_e32 v1, 0
	v_cmp_gt_u32_e32 vcc_lo, 0x10000, v26
	s_clause 0x1
	global_load_u16 v14, v1, s[22:23]
	global_load_u8 v15, v1, s[22:23] offset:2
	s_wait_loadcnt 0x0
	v_dual_cndmask_b32 v1, 0, v14, vcc_lo :: v_dual_bitop2_b32 v14, 1, v15 bitop3:0x40
	v_and_b32_e32 v15, 0x10000, v26
	s_delay_alu instid0(VALU_DEP_2) | instskip(NEXT) | instid1(VALU_DEP_3)
	v_lshlrev_b32_e32 v14, 16, v14
	v_add_nc_u16 v1, v1, v26
	s_delay_alu instid0(VALU_DEP_3) | instskip(NEXT) | instid1(VALU_DEP_2)
	v_cmp_eq_u32_e32 vcc_lo, 0, v15
	v_and_b32_e32 v1, 0xffff, v1
	s_delay_alu instid0(VALU_DEP_4) | instskip(NEXT) | instid1(VALU_DEP_1)
	v_cndmask_b32_e32 v14, 0x10000, v14, vcc_lo
	v_or_b32_e32 v26, v14, v1
.LBB1382_164:
	s_or_b32 exec_lo, exec_lo, s0
	v_cmp_gt_u32_e32 vcc_lo, 0x10000, v2
	v_cmp_gt_u32_e64 s4, 0x10000, v5
	v_cmp_gt_u32_e64 s0, 0x10000, v3
	;; [unrolled: 1-line block ×4, first 2 shown]
	v_cndmask_b32_e32 v1, 0, v26, vcc_lo
	v_cmp_gt_u32_e64 s6, 0x10000, v7
	v_cmp_gt_u32_e64 s7, 0x10000, v8
	;; [unrolled: 1-line block ×4, first 2 shown]
	v_add_nc_u16 v1, v1, v2
	v_cmp_gt_u32_e64 s10, 0x10000, v11
	v_cmp_gt_u32_e64 s11, 0x10000, v12
	v_or_b32_e32 v25, v9, v5
	v_or_b32_e32 v30, v11, v13
	v_cndmask_b32_e64 v14, 0, v1, s0
	v_cmp_gt_u32_e64 s13, 0x10000, v22
	v_or_b32_e32 v31, v10, v12
	v_cmp_gt_u32_e64 s12, 0x10000, v13
	v_and_b32_e32 v28, 28, v28
	v_add_nc_u16 v14, v14, v3
	s_mov_b32 s15, exec_lo
	v_or3_b32 v30, v31, v30, v22
	v_lshrrev_b32_e32 v31, 16, v26
	v_or3_b32 v33, v7, v3, v25
	v_cndmask_b32_e64 v15, 0, v14, s1
	v_lshl_add_u32 v28, v0, 2, v28
	v_or_b32_e32 v27, v8, v4
	s_delay_alu instid0(VALU_DEP_3) | instskip(NEXT) | instid1(VALU_DEP_1)
	v_add_nc_u16 v15, v15, v4
	v_cndmask_b32_e64 v16, 0, v15, s4
	s_delay_alu instid0(VALU_DEP_1) | instskip(NEXT) | instid1(VALU_DEP_1)
	v_add_nc_u16 v16, v16, v5
	v_cndmask_b32_e64 v17, 0, v16, s5
	s_delay_alu instid0(VALU_DEP_1) | instskip(NEXT) | instid1(VALU_DEP_1)
	;; [unrolled: 3-line block ×8, first 2 shown]
	v_add_nc_u16 v24, v24, v12
	v_dual_cndmask_b32 v32, 0, v24, s12 :: v_dual_bitop2_b32 v29, v6, v2 bitop3:0x54
	s_delay_alu instid0(VALU_DEP_1) | instskip(NEXT) | instid1(VALU_DEP_2)
	v_or3_b32 v27, v29, v27, v33
	v_add_nc_u16 v25, v32, v13
	s_delay_alu instid0(VALU_DEP_2) | instskip(NEXT) | instid1(VALU_DEP_2)
	v_bitop3_b32 v30, v30, 0xff0000, v27 bitop3:0xc8
	v_cndmask_b32_e64 v29, 0, v25, s13
	s_delay_alu instid0(VALU_DEP_2) | instskip(NEXT) | instid1(VALU_DEP_2)
	v_cmp_eq_u32_e64 s14, 0, v30
	v_add_nc_u16 v27, v29, v22
	s_delay_alu instid0(VALU_DEP_2)
	v_cndmask_b32_e64 v29, 1, v31, s14
	ds_store_b16 v28, v27
	ds_store_b8 v28, v29 offset:2
	s_wait_dscnt 0x0
	s_barrier_signal -1
	s_barrier_wait -1
	v_cmpx_gt_u32_e32 32, v0
	s_cbranch_execz .LBB1382_176
; %bb.165:
	v_and_b32_e32 v28, 0xfc, v0
	v_lshlrev_b32_e32 v30, 5, v0
	s_mov_b32 s20, exec_lo
	s_delay_alu instid0(VALU_DEP_1)
	v_add_nc_u32_e32 v28, v28, v30
	ds_load_u8 v31, v28 offset:6
	ds_load_b32 v30, v28
	ds_load_u16 v32, v28 offset:4
	ds_load_u8 v33, v28 offset:10
	ds_load_u16 v34, v28 offset:8
	ds_load_u16 v35, v28 offset:12
	ds_load_u8 v36, v28 offset:14
	ds_load_u16 v37, v28 offset:16
	s_wait_dscnt 0x7
	v_cmp_eq_u16_e64 s14, 0, v31
	s_wait_dscnt 0x4
	s_delay_alu instid0(VALU_DEP_1) | instskip(SKIP_1) | instid1(VALU_DEP_2)
	v_dual_cndmask_b32 v38, 0, v30, s14 :: v_dual_bitop2_b32 v31, v33, v31 bitop3:0x54
	v_cmp_eq_u16_e64 s14, 0, v33
	v_add_nc_u16 v32, v38, v32
	ds_load_u8 v38, v28 offset:18
	v_cndmask_b32_e64 v32, 0, v32, s14
	s_wait_dscnt 0x2
	v_cmp_eq_u16_e64 s14, 0, v36
	s_delay_alu instid0(VALU_DEP_2) | instskip(SKIP_2) | instid1(VALU_DEP_1)
	v_add_nc_u16 v32, v32, v34
	ds_load_u8 v34, v28 offset:22
	v_cndmask_b32_e64 v32, 0, v32, s14
	v_add_nc_u16 v32, v32, v35
	s_wait_dscnt 0x1
	v_cmp_eq_u16_e64 s14, 0, v38
	ds_load_u16 v35, v28 offset:20
	ds_load_u16 v39, v28 offset:24
	ds_load_u8 v40, v28 offset:26
	ds_load_u16 v41, v28 offset:28
	ds_load_u8 v42, v28 offset:30
	v_bitop3_b16 v33, v31, v38, v36 bitop3:0xfe
	v_and_b32_e32 v31, 0x10000, v30
	v_cndmask_b32_e64 v32, 0, v32, s14
	s_delay_alu instid0(VALU_DEP_1) | instskip(SKIP_2) | instid1(VALU_DEP_1)
	v_add_nc_u16 v32, v32, v37
	s_wait_dscnt 0x5
	v_cmp_eq_u16_e64 s14, 0, v34
	v_cndmask_b32_e64 v32, 0, v32, s14
	s_wait_dscnt 0x2
	v_cmp_eq_u16_e64 s14, 0, v40
	v_bitop3_b16 v33, v33, v40, v34 bitop3:0xfe
	s_delay_alu instid0(VALU_DEP_3) | instskip(SKIP_1) | instid1(VALU_DEP_1)
	v_add_nc_u16 v32, v32, v35
	s_wait_dscnt 0x0
	v_dual_cndmask_b32 v32, 0, v32, s14 :: v_dual_bitop2_b32 v34, 1, v42 bitop3:0x40
	v_cmp_eq_u16_e64 s14, 0, v42
	s_delay_alu instid0(VALU_DEP_2) | instskip(NEXT) | instid1(VALU_DEP_1)
	v_add_nc_u16 v32, v32, v39
	v_cndmask_b32_e64 v32, 0, v32, s14
	v_cmp_eq_u16_e64 s14, 0, v33
	s_delay_alu instid0(VALU_DEP_2) | instskip(NEXT) | instid1(VALU_DEP_2)
	v_add_nc_u16 v33, v32, v41
	v_cndmask_b32_e64 v35, 0x10000, v31, s14
	v_cmp_eq_u32_e64 s14, 1, v34
	v_and_b32_e32 v32, 0xff000000, v30
	v_mbcnt_lo_u32_b32 v34, -1, 0
	v_and_b32_e32 v36, 0xffff, v33
	s_delay_alu instid0(VALU_DEP_4) | instskip(NEXT) | instid1(VALU_DEP_1)
	v_cndmask_b32_e64 v35, v35, 0x10000, s14
	v_or_b32_e32 v37, v35, v32
	s_delay_alu instid0(VALU_DEP_3) | instskip(NEXT) | instid1(VALU_DEP_2)
	v_or3_b32 v38, v32, v36, v35
	v_dual_lshrrev_b32 v36, 16, v37 :: v_dual_bitop2_b32 v35, 15, v34 bitop3:0x40
	s_delay_alu instid0(VALU_DEP_2) | instskip(NEXT) | instid1(VALU_DEP_2)
	v_mov_b32_dpp v39, v38 row_shr:1 row_mask:0xf bank_mask:0xf
	v_cmpx_ne_u32_e32 0, v35
	s_cbranch_execz .LBB1382_167
; %bb.166:
	s_delay_alu instid0(VALU_DEP_2) | instskip(SKIP_1) | instid1(VALU_DEP_2)
	v_dual_lshrrev_b32 v36, 16, v37 :: v_dual_lshrrev_b32 v38, 16, v39
	v_and_b32_e32 v37, 0x10000, v37
	v_and_b32_e32 v36, 0xff, v36
	s_delay_alu instid0(VALU_DEP_1) | instskip(NEXT) | instid1(VALU_DEP_1)
	v_cmp_eq_u16_e64 s14, 0, v36
	v_dual_cndmask_b32 v39, 0, v39, s14 :: v_dual_bitop2_b32 v38, 1, v38 bitop3:0x40
	s_delay_alu instid0(VALU_DEP_4) | instskip(NEXT) | instid1(VALU_DEP_2)
	v_cmp_ne_u32_e64 s14, 0, v37
	v_add_nc_u16 v33, v39, v33
	s_delay_alu instid0(VALU_DEP_2) | instskip(NEXT) | instid1(VALU_DEP_2)
	v_cndmask_b32_e64 v36, v38, 1, s14
	v_and_b32_e32 v38, 0xffff, v33
	s_delay_alu instid0(VALU_DEP_2) | instskip(NEXT) | instid1(VALU_DEP_1)
	v_lshlrev_b32_e32 v37, 16, v36
	v_or3_b32 v38, v37, v38, v32
.LBB1382_167:
	s_or_b32 exec_lo, exec_lo, s20
	s_delay_alu instid0(VALU_DEP_1)
	v_lshrrev_b32_e32 v37, 16, v38
	v_mov_b32_dpp v39, v38 row_shr:2 row_mask:0xf bank_mask:0xf
	s_mov_b32 s20, exec_lo
	v_cmpx_lt_u32_e32 1, v35
	s_cbranch_execz .LBB1382_169
; %bb.168:
	v_and_b32_e32 v37, 0xff, v37
	v_and_b32_e32 v38, 0x10000, v38
	s_delay_alu instid0(VALU_DEP_2) | instskip(NEXT) | instid1(VALU_DEP_1)
	v_cmp_eq_u16_e64 s14, 0, v37
	v_dual_lshrrev_b32 v36, 16, v39 :: v_dual_cndmask_b32 v37, 0, v39, s14
	s_delay_alu instid0(VALU_DEP_1) | instskip(NEXT) | instid1(VALU_DEP_4)
	v_and_b32_e32 v36, 1, v36
	v_cmp_ne_u32_e64 s14, 0, v38
	s_delay_alu instid0(VALU_DEP_3) | instskip(NEXT) | instid1(VALU_DEP_2)
	v_add_nc_u16 v33, v37, v33
	v_cndmask_b32_e64 v36, v36, 1, s14
	s_delay_alu instid0(VALU_DEP_2) | instskip(NEXT) | instid1(VALU_DEP_2)
	v_and_b32_e32 v38, 0xffff, v33
	v_lshlrev_b32_e32 v37, 16, v36
	s_delay_alu instid0(VALU_DEP_1)
	v_or3_b32 v38, v37, v38, v32
	v_mov_b32_e32 v37, v36
.LBB1382_169:
	s_or_b32 exec_lo, exec_lo, s20
	s_delay_alu instid0(VALU_DEP_2)
	v_mov_b32_dpp v39, v38 row_shr:4 row_mask:0xf bank_mask:0xf
	s_mov_b32 s20, exec_lo
	v_cmpx_lt_u32_e32 3, v35
	s_cbranch_execz .LBB1382_171
; %bb.170:
	v_and_b32_e32 v38, 0xff, v37
	v_dual_lshrrev_b32 v36, 16, v39 :: v_dual_bitop2_b32 v37, 1, v37 bitop3:0x40
	s_delay_alu instid0(VALU_DEP_2) | instskip(NEXT) | instid1(VALU_DEP_1)
	v_cmp_eq_u16_e64 s14, 0, v38
	v_dual_cndmask_b32 v38, 0, v39, s14 :: v_dual_bitop2_b32 v36, 1, v36 bitop3:0x40
	s_delay_alu instid0(VALU_DEP_3) | instskip(NEXT) | instid1(VALU_DEP_2)
	v_cmp_eq_u32_e64 s14, 1, v37
	v_add_nc_u16 v33, v38, v33
	s_delay_alu instid0(VALU_DEP_2) | instskip(NEXT) | instid1(VALU_DEP_2)
	v_cndmask_b32_e64 v36, v36, 1, s14
	v_and_b32_e32 v38, 0xffff, v33
	s_delay_alu instid0(VALU_DEP_2) | instskip(NEXT) | instid1(VALU_DEP_1)
	v_lshlrev_b32_e32 v37, 16, v36
	v_or3_b32 v38, v37, v38, v32
	v_mov_b32_e32 v37, v36
.LBB1382_171:
	s_or_b32 exec_lo, exec_lo, s20
	s_delay_alu instid0(VALU_DEP_2)
	v_mov_b32_dpp v39, v38 row_shr:8 row_mask:0xf bank_mask:0xf
	s_mov_b32 s20, exec_lo
	v_cmpx_lt_u32_e32 7, v35
	s_cbranch_execz .LBB1382_173
; %bb.172:
	v_and_b32_e32 v36, 0xff, v37
	v_dual_lshrrev_b32 v35, 16, v39 :: v_dual_bitop2_b32 v37, 1, v37 bitop3:0x40
	s_delay_alu instid0(VALU_DEP_2) | instskip(NEXT) | instid1(VALU_DEP_2)
	v_cmp_eq_u16_e64 s14, 0, v36
	v_and_b32_e32 v35, 1, v35
	s_delay_alu instid0(VALU_DEP_2) | instskip(NEXT) | instid1(VALU_DEP_4)
	v_cndmask_b32_e64 v38, 0, v39, s14
	v_cmp_eq_u32_e64 s14, 1, v37
	s_delay_alu instid0(VALU_DEP_1) | instskip(NEXT) | instid1(VALU_DEP_1)
	v_cndmask_b32_e64 v36, v35, 1, s14
	v_lshlrev_b32_e32 v35, 16, v36
	s_delay_alu instid0(VALU_DEP_4) | instskip(NEXT) | instid1(VALU_DEP_1)
	v_add_nc_u16 v33, v38, v33
	v_and_b32_e32 v37, 0xffff, v33
	s_delay_alu instid0(VALU_DEP_1)
	v_or3_b32 v38, v35, v37, v32
	v_mov_b32_e32 v37, v36
.LBB1382_173:
	s_or_b32 exec_lo, exec_lo, s20
	ds_swizzle_b32 v35, v38 offset:swizzle(BROADCAST,32,15)
	v_and_b32_e32 v38, 16, v34
	s_mov_b32 s20, exec_lo
	s_delay_alu instid0(VALU_DEP_1)
	v_cmpx_ne_u32_e32 0, v38
	s_cbranch_execz .LBB1382_175
; %bb.174:
	v_and_b32_e32 v36, 0xff, v37
	s_delay_alu instid0(VALU_DEP_1) | instskip(SKIP_2) | instid1(VALU_DEP_1)
	v_cmp_eq_u16_e64 s14, 0, v36
	s_wait_dscnt 0x0
	v_dual_lshrrev_b32 v38, 16, v35 :: v_dual_bitop2_b32 v36, 1, v37 bitop3:0x40
	v_dual_cndmask_b32 v35, 0, v35, s14 :: v_dual_bitop2_b32 v37, 1, v38 bitop3:0x40
	s_delay_alu instid0(VALU_DEP_2) | instskip(NEXT) | instid1(VALU_DEP_2)
	v_cmp_eq_u32_e64 s14, 1, v36
	v_add_nc_u16 v33, v35, v33
	s_delay_alu instid0(VALU_DEP_2)
	v_cndmask_b32_e64 v36, v37, 1, s14
.LBB1382_175:
	s_or_b32 exec_lo, exec_lo, s20
	s_wait_dscnt 0x0
	s_delay_alu instid0(VALU_DEP_1) | instskip(SKIP_2) | instid1(VALU_DEP_3)
	v_and_b32_e32 v35, 0xff, v36
	v_add_nc_u32_e32 v36, -1, v34
	v_and_b32_e32 v33, 0xffff, v33
	; wave barrier
	v_lshlrev_b32_e32 v35, 16, v35
	s_delay_alu instid0(VALU_DEP_3) | instskip(NEXT) | instid1(VALU_DEP_2)
	v_cmp_gt_i32_e64 s14, 0, v36
	v_or3_b32 v32, v35, v33, v32
	s_delay_alu instid0(VALU_DEP_2) | instskip(NEXT) | instid1(VALU_DEP_1)
	v_cndmask_b32_e64 v34, v36, v34, s14
	v_lshlrev_b32_e32 v33, 2, v34
	ds_bpermute_b32 v32, v33, v32
	v_and_b32_e32 v33, 0xff0000, v30
	s_delay_alu instid0(VALU_DEP_1) | instskip(SKIP_1) | instid1(VALU_DEP_1)
	v_cmp_eq_u32_e64 s14, 0, v33
	s_wait_dscnt 0x0
	v_dual_lshrrev_b32 v34, 16, v32 :: v_dual_cndmask_b32 v32, 0, v32, s14
	v_cmp_eq_u32_e64 s14, 0, v31
	s_delay_alu instid0(VALU_DEP_2) | instskip(NEXT) | instid1(VALU_DEP_1)
	v_add_nc_u16 v30, v32, v30
	v_dual_cndmask_b32 v30, v30, v27, s2 :: v_dual_bitop2_b32 v33, 1, v34 bitop3:0x40
	s_delay_alu instid0(VALU_DEP_1) | instskip(NEXT) | instid1(VALU_DEP_1)
	v_cndmask_b32_e64 v31, 1, v33, s14
	v_cndmask_b32_e64 v29, v31, v29, s2
	ds_store_b16 v28, v30
	ds_store_b8 v28, v29 offset:2
	; wave barrier
	ds_load_u8 v31, v28 offset:6
	ds_load_u16 v32, v28 offset:4
	ds_load_u8 v33, v28 offset:10
	ds_load_u16 v34, v28 offset:8
	ds_load_u16 v35, v28 offset:12
	ds_load_u8 v36, v28 offset:14
	ds_load_u16 v37, v28 offset:16
	ds_load_u8 v38, v28 offset:18
	s_wait_dscnt 0x7
	v_cmp_eq_u16_e64 s14, 0, v31
	s_delay_alu instid0(VALU_DEP_1) | instskip(SKIP_2) | instid1(VALU_DEP_2)
	v_cndmask_b32_e64 v30, 0, v30, s14
	s_wait_dscnt 0x5
	v_cmp_eq_u16_e64 s14, 0, v33
	v_add_nc_u16 v30, v30, v32
	s_delay_alu instid0(VALU_DEP_1) | instskip(SKIP_2) | instid1(VALU_DEP_2)
	v_cndmask_b32_e64 v32, 0, v30, s14
	s_wait_dscnt 0x2
	v_cmp_eq_u16_e64 s14, 0, v36
	v_add_nc_u16 v32, v32, v34
	v_and_b32_e32 v31, 1, v31
	ds_load_u8 v34, v28 offset:22
	ds_load_u16 v40, v28 offset:20
	ds_load_u8 v41, v28 offset:26
	ds_load_u8 v42, v28 offset:30
	v_cndmask_b32_e64 v39, 0, v32, s14
	v_cmp_eq_u32_e64 s14, 1, v31
	v_and_b32_e32 v31, 1, v36
	s_delay_alu instid0(VALU_DEP_3) | instskip(NEXT) | instid1(VALU_DEP_3)
	v_add_nc_u16 v35, v39, v35
	v_cndmask_b32_e64 v29, v29, 1, s14
	s_wait_dscnt 0x4
	v_cmp_eq_u16_e64 s14, 0, v38
	v_and_b32_e32 v33, 1, v33
	ds_load_u16 v39, v28 offset:24
	ds_load_u16 v43, v28 offset:28
	v_cndmask_b32_e64 v36, 0, v35, s14
	v_cmp_eq_u32_e64 s14, 1, v33
	s_delay_alu instid0(VALU_DEP_2) | instskip(NEXT) | instid1(VALU_DEP_2)
	v_add_nc_u16 v36, v36, v37
	v_cndmask_b32_e64 v33, v29, 1, s14
	v_cmp_eq_u32_e64 s14, 1, v31
	v_and_b32_e32 v37, 1, v38
	s_wait_dscnt 0x2
	v_and_b32_e32 v44, 1, v42
	s_delay_alu instid0(VALU_DEP_3) | instskip(SKIP_1) | instid1(VALU_DEP_1)
	v_cndmask_b32_e64 v31, v33, 1, s14
	v_cmp_eq_u16_e64 s14, 0, v34
	v_dual_cndmask_b32 v38, 0, v36, s14 :: v_dual_bitop2_b32 v34, 1, v34 bitop3:0x40
	v_cmp_eq_u32_e64 s14, 1, v37
	s_delay_alu instid0(VALU_DEP_2) | instskip(NEXT) | instid1(VALU_DEP_2)
	v_add_nc_u16 v38, v38, v40
	v_cndmask_b32_e64 v37, v31, 1, s14
	s_delay_alu instid0(VALU_DEP_4)
	v_cmp_eq_u32_e64 s14, 1, v34
	v_and_b32_e32 v40, 1, v41
	ds_store_b16 v28, v30 offset:4
	ds_store_b8 v28, v29 offset:6
	ds_store_b16 v28, v32 offset:8
	ds_store_b8 v28, v33 offset:10
	;; [unrolled: 2-line block ×4, first 2 shown]
	v_cndmask_b32_e64 v34, v37, 1, s14
	v_cmp_eq_u16_e64 s14, 0, v41
	s_delay_alu instid0(VALU_DEP_1) | instskip(SKIP_2) | instid1(VALU_DEP_2)
	v_cndmask_b32_e64 v41, 0, v38, s14
	v_cmp_eq_u32_e64 s14, 1, v40
	s_wait_dscnt 0x9
	v_add_nc_u16 v39, v41, v39
	s_delay_alu instid0(VALU_DEP_2) | instskip(SKIP_1) | instid1(VALU_DEP_1)
	v_cndmask_b32_e64 v40, v34, 1, s14
	v_cmp_eq_u32_e64 s14, 1, v44
	v_cndmask_b32_e64 v41, v40, 1, s14
	v_cmp_eq_u16_e64 s14, 0, v42
	s_delay_alu instid0(VALU_DEP_1) | instskip(SKIP_1) | instid1(VALU_DEP_1)
	v_cndmask_b32_e64 v42, 0, v39, s14
	s_wait_dscnt 0x8
	v_add_nc_u16 v29, v42, v43
	ds_store_b16 v28, v38 offset:20
	ds_store_b8 v28, v34 offset:22
	ds_store_b16 v28, v39 offset:24
	ds_store_b8 v28, v40 offset:26
	;; [unrolled: 2-line block ×3, first 2 shown]
.LBB1382_176:
	s_or_b32 exec_lo, exec_lo, s15
	s_wait_dscnt 0x0
	s_barrier_signal -1
	s_barrier_wait -1
	s_and_saveexec_b32 s14, s3
	s_cbranch_execz .LBB1382_178
; %bb.177:
	v_add_nc_u32_e32 v1, -1, v0
	v_cmp_gt_u32_e64 s3, 0x10000, v26
	s_delay_alu instid0(VALU_DEP_2) | instskip(NEXT) | instid1(VALU_DEP_1)
	v_lshrrev_b32_e32 v14, 3, v1
	v_and_b32_e32 v14, 0x1ffffffc, v14
	s_delay_alu instid0(VALU_DEP_1) | instskip(SKIP_4) | instid1(VALU_DEP_1)
	v_lshl_add_u32 v1, v1, 2, v14
	ds_load_u16 v1, v1
	;;#ASMSTART
	;;#ASMEND
	s_wait_dscnt 0x0
	v_cndmask_b32_e64 v1, 0, v1, s3
	v_add_nc_u32_e32 v26, v1, v26
	s_delay_alu instid0(VALU_DEP_1) | instskip(NEXT) | instid1(VALU_DEP_1)
	v_cndmask_b32_e32 v1, 0, v26, vcc_lo
	v_add_nc_u16 v1, v1, v2
	s_delay_alu instid0(VALU_DEP_1) | instskip(NEXT) | instid1(VALU_DEP_1)
	v_cndmask_b32_e64 v2, 0, v1, s0
	v_add_nc_u16 v14, v2, v3
	s_delay_alu instid0(VALU_DEP_1) | instskip(NEXT) | instid1(VALU_DEP_1)
	v_cndmask_b32_e64 v2, 0, v14, s1
	;; [unrolled: 3-line block ×12, first 2 shown]
	v_add_nc_u16 v27, v2, v22
.LBB1382_178:
	s_or_b32 exec_lo, exec_lo, s14
	s_and_saveexec_b32 s0, s2
	s_cbranch_execz .LBB1382_180
; %bb.179:
	v_mov_b32_e32 v4, 0
	ds_load_u8 v2, v4 offset:1050
	ds_load_u16 v3, v4 offset:1048
	s_wait_dscnt 0x1
	v_lshlrev_b32_e32 v2, 16, v2
	s_wait_dscnt 0x0
	v_and_b32_e32 v3, 0xffff, v3
	s_delay_alu instid0(VALU_DEP_1)
	v_dual_mov_b32 v3, 2 :: v_dual_bitop2_b32 v2, v2, v3 bitop3:0x54
	global_store_b64 v4, v[2:3], s[28:29] offset:256 scope:SCOPE_DEV
.LBB1382_180:
	s_wait_xcnt 0x0
	s_or_b32 exec_lo, exec_lo, s0
	v_mov_b32_e32 v29, v26
.LBB1382_181:
	v_mov_b32_e32 v2, 0
	s_add_nc_u64 s[0:1], s[18:19], s[34:35]
	s_and_b32 vcc_lo, exec_lo, s31
	s_add_nc_u64 s[0:1], s[0:1], s[16:17]
	s_cbranch_vccz .LBB1382_237
; %bb.182:
	v_mul_u32_u24_e32 v3, 14, v0
	v_dual_mov_b32 v4, 0 :: v_dual_mov_b32 v5, 0
	v_dual_mov_b32 v6, 0 :: v_dual_mov_b32 v7, 0
	;; [unrolled: 1-line block ×3, first 2 shown]
	s_add_co_i32 s33, s33, s30
	s_mov_b32 s2, exec_lo
	v_cmpx_gt_u32_e64 s33, v3
	s_cbranch_execz .LBB1382_210
; %bb.183:
	v_dual_mov_b32 v4, 0 :: v_dual_bitop2_b32 v7, 1, v3 bitop3:0x54
	v_and_b32_e32 v2, 0xffff, v29
	v_dual_mov_b32 v5, 0 :: v_dual_mov_b32 v6, 0
	s_delay_alu instid0(VALU_DEP_3)
	v_cmp_gt_u32_e32 vcc_lo, s33, v7
	v_dual_mov_b32 v7, 0 :: v_dual_mov_b32 v8, 0
	v_mov_b32_e32 v9, 0
	s_and_saveexec_b32 s3, vcc_lo
	s_cbranch_execz .LBB1382_209
; %bb.184:
	v_perm_b32 v2, v1, v2, 0x5040100
	v_dual_mov_b32 v9, 0 :: v_dual_mov_b32 v8, 0
	v_dual_mov_b32 v7, 0 :: v_dual_add_nc_u32 v10, 2, v3
	v_dual_mov_b32 v6, 0 :: v_dual_mov_b32 v5, 0
	v_mov_b32_e32 v4, 0
	s_mov_b32 s4, exec_lo
	s_delay_alu instid0(VALU_DEP_3)
	v_cmpx_gt_u32_e64 s33, v10
	s_cbranch_execz .LBB1382_208
; %bb.185:
	v_bfi_b32 v4, 0xffff, v14, 0
	v_dual_mov_b32 v9, 0 :: v_dual_add_nc_u32 v10, 3, v3
	v_dual_mov_b32 v8, 0 :: v_dual_mov_b32 v7, 0
	v_dual_mov_b32 v6, 0 :: v_dual_mov_b32 v5, 0
	s_mov_b32 s5, exec_lo
	s_delay_alu instid0(VALU_DEP_3)
	v_cmpx_gt_u32_e64 s33, v10
	s_cbranch_execz .LBB1382_207
; %bb.186:
	v_perm_b32 v4, v15, v4, 0x5040100
	v_dual_mov_b32 v9, 0 :: v_dual_add_nc_u32 v10, 4, v3
	v_dual_mov_b32 v8, 0 :: v_dual_mov_b32 v7, 0
	v_dual_mov_b32 v6, 0 :: v_dual_mov_b32 v5, 0
	s_mov_b32 s6, exec_lo
	s_delay_alu instid0(VALU_DEP_3)
	v_cmpx_gt_u32_e64 s33, v10
	s_cbranch_execz .LBB1382_206
; %bb.187:
	v_bfi_b32 v5, 0xffff, v16, 0
	v_dual_mov_b32 v9, 0 :: v_dual_add_nc_u32 v10, 5, v3
	v_dual_mov_b32 v8, 0 :: v_dual_mov_b32 v7, 0
	v_mov_b32_e32 v6, 0
	s_mov_b32 s7, exec_lo
	s_delay_alu instid0(VALU_DEP_3)
	v_cmpx_gt_u32_e64 s33, v10
	s_cbranch_execz .LBB1382_205
; %bb.188:
	v_perm_b32 v5, v17, v5, 0x5040100
	v_dual_mov_b32 v9, 0 :: v_dual_add_nc_u32 v10, 6, v3
	v_dual_mov_b32 v8, 0 :: v_dual_mov_b32 v7, 0
	v_mov_b32_e32 v6, 0
	s_mov_b32 s8, exec_lo
	s_delay_alu instid0(VALU_DEP_3)
	v_cmpx_gt_u32_e64 s33, v10
	s_cbranch_execz .LBB1382_204
; %bb.189:
	v_dual_mov_b32 v9, 0 :: v_dual_add_nc_u32 v10, 7, v3
	v_bfi_b32 v6, 0xffff, v18, 0
	v_dual_mov_b32 v8, 0 :: v_dual_mov_b32 v7, 0
	s_mov_b32 s9, exec_lo
	s_delay_alu instid0(VALU_DEP_3)
	v_cmpx_gt_u32_e64 s33, v10
	s_cbranch_execz .LBB1382_203
; %bb.190:
	v_dual_mov_b32 v9, 0 :: v_dual_add_nc_u32 v10, 8, v3
	v_perm_b32 v6, v19, v6, 0x5040100
	v_dual_mov_b32 v8, 0 :: v_dual_mov_b32 v7, 0
	s_mov_b32 s10, exec_lo
	s_delay_alu instid0(VALU_DEP_3)
	v_cmpx_gt_u32_e64 s33, v10
	s_cbranch_execz .LBB1382_202
; %bb.191:
	v_dual_mov_b32 v9, 0 :: v_dual_add_nc_u32 v10, 9, v3
	v_bfi_b32 v7, 0xffff, v20, 0
	v_mov_b32_e32 v8, 0
	s_mov_b32 s11, exec_lo
	s_delay_alu instid0(VALU_DEP_3)
	v_cmpx_gt_u32_e64 s33, v10
	s_cbranch_execz .LBB1382_201
; %bb.192:
	v_dual_mov_b32 v9, 0 :: v_dual_add_nc_u32 v10, 10, v3
	v_perm_b32 v7, v21, v7, 0x5040100
	v_mov_b32_e32 v8, 0
	s_mov_b32 s12, exec_lo
	s_delay_alu instid0(VALU_DEP_3)
	v_cmpx_gt_u32_e64 s33, v10
	s_cbranch_execz .LBB1382_200
; %bb.193:
	v_dual_mov_b32 v9, 0 :: v_dual_add_nc_u32 v10, 11, v3
	v_bfi_b32 v8, 0xffff, v23, 0
	s_mov_b32 s13, exec_lo
	s_delay_alu instid0(VALU_DEP_2)
	v_cmpx_gt_u32_e64 s33, v10
	s_cbranch_execz .LBB1382_199
; %bb.194:
	v_dual_mov_b32 v9, 0 :: v_dual_add_nc_u32 v10, 12, v3
	v_perm_b32 v8, v24, v8, 0x5040100
	s_mov_b32 s14, exec_lo
	s_delay_alu instid0(VALU_DEP_2)
	v_cmpx_gt_u32_e64 s33, v10
	s_cbranch_execz .LBB1382_198
; %bb.195:
	v_add_nc_u32_e32 v10, 13, v3
	v_bfi_b32 v9, 0xffff, v25, 0
	s_mov_b32 s15, exec_lo
	s_delay_alu instid0(VALU_DEP_2)
	v_cmpx_gt_u32_e64 s33, v10
; %bb.196:
	s_delay_alu instid0(VALU_DEP_2)
	v_perm_b32 v9, v27, v9, 0x5040100
; %bb.197:
	s_or_b32 exec_lo, exec_lo, s15
.LBB1382_198:
	s_delay_alu instid0(SALU_CYCLE_1)
	s_or_b32 exec_lo, exec_lo, s14
.LBB1382_199:
	s_delay_alu instid0(SALU_CYCLE_1)
	s_or_b32 exec_lo, exec_lo, s13
.LBB1382_200:
	s_delay_alu instid0(SALU_CYCLE_1)
	s_or_b32 exec_lo, exec_lo, s12
.LBB1382_201:
	s_delay_alu instid0(SALU_CYCLE_1)
	s_or_b32 exec_lo, exec_lo, s11
.LBB1382_202:
	s_delay_alu instid0(SALU_CYCLE_1)
	s_or_b32 exec_lo, exec_lo, s10
.LBB1382_203:
	s_delay_alu instid0(SALU_CYCLE_1)
	s_or_b32 exec_lo, exec_lo, s9
.LBB1382_204:
	s_delay_alu instid0(SALU_CYCLE_1)
	s_or_b32 exec_lo, exec_lo, s8
.LBB1382_205:
	s_delay_alu instid0(SALU_CYCLE_1)
	s_or_b32 exec_lo, exec_lo, s7
.LBB1382_206:
	s_delay_alu instid0(SALU_CYCLE_1)
	s_or_b32 exec_lo, exec_lo, s6
.LBB1382_207:
	s_delay_alu instid0(SALU_CYCLE_1)
	s_or_b32 exec_lo, exec_lo, s5
.LBB1382_208:
	s_delay_alu instid0(SALU_CYCLE_1)
	s_or_b32 exec_lo, exec_lo, s4
.LBB1382_209:
	s_delay_alu instid0(SALU_CYCLE_1)
	s_or_b32 exec_lo, exec_lo, s3
.LBB1382_210:
	s_delay_alu instid0(SALU_CYCLE_1)
	s_or_b32 exec_lo, exec_lo, s2
	v_dual_mov_b32 v3, 0 :: v_dual_lshlrev_b32 v28, 1, v3
	s_wait_storecnt 0x0
	s_barrier_signal -1
	s_barrier_wait -1
	ds_store_2addr_b32 v28, v2, v4 offset1:1
	ds_store_2addr_b32 v28, v5, v6 offset0:2 offset1:3
	ds_store_2addr_b32 v28, v7, v8 offset0:4 offset1:5
	ds_store_b32 v28, v9 offset:24
	v_mad_i32_i24 v2, 0xffffffe6, v0, v28
	s_wait_dscnt 0x0
	s_barrier_signal -1
	s_barrier_wait -1
	ds_load_u16 v30, v2 offset:512
	ds_load_u16 v26, v2 offset:1024
	;; [unrolled: 1-line block ×13, first 2 shown]
	v_lshlrev_b32_e32 v2, 1, v0
	s_mov_b32 s2, exec_lo
	s_delay_alu instid0(VALU_DEP_1)
	v_add_nc_u64_e32 v[2:3], s[0:1], v[2:3]
	v_cmpx_gt_u32_e64 s33, v0
	s_cbranch_execz .LBB1382_212
; %bb.211:
	v_mul_i32_i24_e32 v31, 0xffffffe6, v0
	s_delay_alu instid0(VALU_DEP_1)
	v_add_nc_u32_e32 v28, v28, v31
	ds_load_u16 v28, v28
	s_wait_dscnt 0x0
	flat_store_b16 v[2:3], v28
.LBB1382_212:
	s_wait_xcnt 0x0
	s_or_b32 exec_lo, exec_lo, s2
	v_or_b32_e32 v28, 0x100, v0
	s_mov_b32 s2, exec_lo
	s_delay_alu instid0(VALU_DEP_1)
	v_cmpx_gt_u32_e64 s33, v28
	s_cbranch_execz .LBB1382_214
; %bb.213:
	s_wait_dscnt 0xc
	flat_store_b16 v[2:3], v30 offset:512
.LBB1382_214:
	s_wait_xcnt 0x0
	s_or_b32 exec_lo, exec_lo, s2
	v_or_b32_e32 v28, 0x200, v0
	s_mov_b32 s2, exec_lo
	s_delay_alu instid0(VALU_DEP_1)
	v_cmpx_gt_u32_e64 s33, v28
	s_cbranch_execz .LBB1382_216
; %bb.215:
	s_wait_dscnt 0xb
	flat_store_b16 v[2:3], v26 offset:1024
.LBB1382_216:
	s_wait_xcnt 0x0
	s_or_b32 exec_lo, exec_lo, s2
	s_wait_dscnt 0xb
	v_or_b32_e32 v26, 0x300, v0
	s_mov_b32 s2, exec_lo
	s_delay_alu instid0(VALU_DEP_1)
	v_cmpx_gt_u32_e64 s33, v26
	s_cbranch_execz .LBB1382_218
; %bb.217:
	s_wait_dscnt 0xa
	flat_store_b16 v[2:3], v22 offset:1536
.LBB1382_218:
	s_wait_xcnt 0x0
	s_or_b32 exec_lo, exec_lo, s2
	s_wait_dscnt 0xa
	;; [unrolled: 12-line block ×10, first 2 shown]
	v_or_b32_e32 v6, 0xc00, v0
	s_mov_b32 s2, exec_lo
	s_delay_alu instid0(VALU_DEP_1)
	v_cmpx_gt_u32_e64 s33, v6
	s_cbranch_execz .LBB1382_236
; %bb.235:
	s_wait_dscnt 0x1
	flat_store_b16 v[2:3], v5 offset:6144
.LBB1382_236:
	s_wait_xcnt 0x0
	s_or_b32 exec_lo, exec_lo, s2
	v_or_b32_e32 v2, 0xd00, v0
	s_delay_alu instid0(VALU_DEP_1)
	v_cmp_gt_u32_e64 s2, s33, v2
	s_branch .LBB1382_239
.LBB1382_237:
	s_mov_b32 s2, 0
                                        ; implicit-def: $vgpr4
	s_cbranch_execz .LBB1382_239
; %bb.238:
	v_mul_u32_u24_e32 v2, 28, v0
	v_perm_b32 v3, v15, v14, 0x5040100
	v_perm_b32 v1, v1, v29, 0x5040100
	v_mul_i32_i24_e32 v9, 0xffffffe6, v0
	s_wait_dscnt 0x0
	v_perm_b32 v4, v19, v18, 0x5040100
	v_perm_b32 v5, v17, v16, 0x5040100
	;; [unrolled: 1-line block ×5, first 2 shown]
	s_wait_storecnt 0x0
	s_barrier_signal -1
	s_barrier_wait -1
	ds_store_2addr_b32 v2, v1, v3 offset1:1
	ds_store_2addr_b32 v2, v5, v4 offset0:2 offset1:3
	ds_store_2addr_b32 v2, v7, v6 offset0:4 offset1:5
	ds_store_b32 v2, v8 offset:24
	v_mad_u32_u24 v1, v0, 28, v9
	s_wait_dscnt 0x0
	s_barrier_signal -1
	s_barrier_wait -1
	ds_load_u16 v2, v1
	ds_load_u16 v3, v1 offset:512
	ds_load_u16 v5, v1 offset:1024
	;; [unrolled: 1-line block ×13, first 2 shown]
	s_or_b32 s2, s2, exec_lo
	s_wait_dscnt 0xd
	flat_store_b16 v0, v2, s[0:1] scale_offset
	s_wait_dscnt 0xd
	flat_store_b16 v0, v3, s[0:1] offset:512 scale_offset
	s_wait_dscnt 0xd
	flat_store_b16 v0, v5, s[0:1] offset:1024 scale_offset
	;; [unrolled: 2-line block ×12, first 2 shown]
.LBB1382_239:
	s_wait_xcnt 0x0
	s_delay_alu instid0(VALU_DEP_1)
	s_and_saveexec_b32 s3, s2
	s_cbranch_execnz .LBB1382_241
; %bb.240:
	s_endpgm
.LBB1382_241:
	s_wait_dscnt 0x0
	flat_store_b16 v0, v4, s[0:1] offset:6656 scale_offset
	s_endpgm
	.section	.rodata,"a",@progbits
	.p2align	6, 0x0
	.amdhsa_kernel _ZN7rocprim17ROCPRIM_400000_NS6detail17trampoline_kernelINS0_14default_configENS1_27scan_by_key_config_selectorIisEEZZNS1_16scan_by_key_implILNS1_25lookback_scan_determinismE0ELb0ES3_N6thrust23THRUST_200600_302600_NS6detail15normal_iteratorINS9_10device_ptrIiEEEENSB_INSC_IsEEEESG_sNS9_4plusIvEENS9_8equal_toIvEEsEE10hipError_tPvRmT2_T3_T4_T5_mT6_T7_P12ihipStream_tbENKUlT_T0_E_clISt17integral_constantIbLb0EES10_IbLb1EEEEDaSW_SX_EUlSW_E_NS1_11comp_targetILNS1_3genE0ELNS1_11target_archE4294967295ELNS1_3gpuE0ELNS1_3repE0EEENS1_30default_config_static_selectorELNS0_4arch9wavefront6targetE0EEEvT1_
		.amdhsa_group_segment_fixed_size 16384
		.amdhsa_private_segment_fixed_size 0
		.amdhsa_kernarg_size 112
		.amdhsa_user_sgpr_count 2
		.amdhsa_user_sgpr_dispatch_ptr 0
		.amdhsa_user_sgpr_queue_ptr 0
		.amdhsa_user_sgpr_kernarg_segment_ptr 1
		.amdhsa_user_sgpr_dispatch_id 0
		.amdhsa_user_sgpr_kernarg_preload_length 0
		.amdhsa_user_sgpr_kernarg_preload_offset 0
		.amdhsa_user_sgpr_private_segment_size 0
		.amdhsa_wavefront_size32 1
		.amdhsa_uses_dynamic_stack 0
		.amdhsa_enable_private_segment 0
		.amdhsa_system_sgpr_workgroup_id_x 1
		.amdhsa_system_sgpr_workgroup_id_y 0
		.amdhsa_system_sgpr_workgroup_id_z 0
		.amdhsa_system_sgpr_workgroup_info 0
		.amdhsa_system_vgpr_workitem_id 0
		.amdhsa_next_free_vgpr 45
		.amdhsa_next_free_sgpr 45
		.amdhsa_named_barrier_count 0
		.amdhsa_reserve_vcc 1
		.amdhsa_float_round_mode_32 0
		.amdhsa_float_round_mode_16_64 0
		.amdhsa_float_denorm_mode_32 3
		.amdhsa_float_denorm_mode_16_64 3
		.amdhsa_fp16_overflow 0
		.amdhsa_memory_ordered 1
		.amdhsa_forward_progress 1
		.amdhsa_inst_pref_size 115
		.amdhsa_round_robin_scheduling 0
		.amdhsa_exception_fp_ieee_invalid_op 0
		.amdhsa_exception_fp_denorm_src 0
		.amdhsa_exception_fp_ieee_div_zero 0
		.amdhsa_exception_fp_ieee_overflow 0
		.amdhsa_exception_fp_ieee_underflow 0
		.amdhsa_exception_fp_ieee_inexact 0
		.amdhsa_exception_int_div_zero 0
	.end_amdhsa_kernel
	.section	.text._ZN7rocprim17ROCPRIM_400000_NS6detail17trampoline_kernelINS0_14default_configENS1_27scan_by_key_config_selectorIisEEZZNS1_16scan_by_key_implILNS1_25lookback_scan_determinismE0ELb0ES3_N6thrust23THRUST_200600_302600_NS6detail15normal_iteratorINS9_10device_ptrIiEEEENSB_INSC_IsEEEESG_sNS9_4plusIvEENS9_8equal_toIvEEsEE10hipError_tPvRmT2_T3_T4_T5_mT6_T7_P12ihipStream_tbENKUlT_T0_E_clISt17integral_constantIbLb0EES10_IbLb1EEEEDaSW_SX_EUlSW_E_NS1_11comp_targetILNS1_3genE0ELNS1_11target_archE4294967295ELNS1_3gpuE0ELNS1_3repE0EEENS1_30default_config_static_selectorELNS0_4arch9wavefront6targetE0EEEvT1_,"axG",@progbits,_ZN7rocprim17ROCPRIM_400000_NS6detail17trampoline_kernelINS0_14default_configENS1_27scan_by_key_config_selectorIisEEZZNS1_16scan_by_key_implILNS1_25lookback_scan_determinismE0ELb0ES3_N6thrust23THRUST_200600_302600_NS6detail15normal_iteratorINS9_10device_ptrIiEEEENSB_INSC_IsEEEESG_sNS9_4plusIvEENS9_8equal_toIvEEsEE10hipError_tPvRmT2_T3_T4_T5_mT6_T7_P12ihipStream_tbENKUlT_T0_E_clISt17integral_constantIbLb0EES10_IbLb1EEEEDaSW_SX_EUlSW_E_NS1_11comp_targetILNS1_3genE0ELNS1_11target_archE4294967295ELNS1_3gpuE0ELNS1_3repE0EEENS1_30default_config_static_selectorELNS0_4arch9wavefront6targetE0EEEvT1_,comdat
.Lfunc_end1382:
	.size	_ZN7rocprim17ROCPRIM_400000_NS6detail17trampoline_kernelINS0_14default_configENS1_27scan_by_key_config_selectorIisEEZZNS1_16scan_by_key_implILNS1_25lookback_scan_determinismE0ELb0ES3_N6thrust23THRUST_200600_302600_NS6detail15normal_iteratorINS9_10device_ptrIiEEEENSB_INSC_IsEEEESG_sNS9_4plusIvEENS9_8equal_toIvEEsEE10hipError_tPvRmT2_T3_T4_T5_mT6_T7_P12ihipStream_tbENKUlT_T0_E_clISt17integral_constantIbLb0EES10_IbLb1EEEEDaSW_SX_EUlSW_E_NS1_11comp_targetILNS1_3genE0ELNS1_11target_archE4294967295ELNS1_3gpuE0ELNS1_3repE0EEENS1_30default_config_static_selectorELNS0_4arch9wavefront6targetE0EEEvT1_, .Lfunc_end1382-_ZN7rocprim17ROCPRIM_400000_NS6detail17trampoline_kernelINS0_14default_configENS1_27scan_by_key_config_selectorIisEEZZNS1_16scan_by_key_implILNS1_25lookback_scan_determinismE0ELb0ES3_N6thrust23THRUST_200600_302600_NS6detail15normal_iteratorINS9_10device_ptrIiEEEENSB_INSC_IsEEEESG_sNS9_4plusIvEENS9_8equal_toIvEEsEE10hipError_tPvRmT2_T3_T4_T5_mT6_T7_P12ihipStream_tbENKUlT_T0_E_clISt17integral_constantIbLb0EES10_IbLb1EEEEDaSW_SX_EUlSW_E_NS1_11comp_targetILNS1_3genE0ELNS1_11target_archE4294967295ELNS1_3gpuE0ELNS1_3repE0EEENS1_30default_config_static_selectorELNS0_4arch9wavefront6targetE0EEEvT1_
                                        ; -- End function
	.set _ZN7rocprim17ROCPRIM_400000_NS6detail17trampoline_kernelINS0_14default_configENS1_27scan_by_key_config_selectorIisEEZZNS1_16scan_by_key_implILNS1_25lookback_scan_determinismE0ELb0ES3_N6thrust23THRUST_200600_302600_NS6detail15normal_iteratorINS9_10device_ptrIiEEEENSB_INSC_IsEEEESG_sNS9_4plusIvEENS9_8equal_toIvEEsEE10hipError_tPvRmT2_T3_T4_T5_mT6_T7_P12ihipStream_tbENKUlT_T0_E_clISt17integral_constantIbLb0EES10_IbLb1EEEEDaSW_SX_EUlSW_E_NS1_11comp_targetILNS1_3genE0ELNS1_11target_archE4294967295ELNS1_3gpuE0ELNS1_3repE0EEENS1_30default_config_static_selectorELNS0_4arch9wavefront6targetE0EEEvT1_.num_vgpr, 45
	.set _ZN7rocprim17ROCPRIM_400000_NS6detail17trampoline_kernelINS0_14default_configENS1_27scan_by_key_config_selectorIisEEZZNS1_16scan_by_key_implILNS1_25lookback_scan_determinismE0ELb0ES3_N6thrust23THRUST_200600_302600_NS6detail15normal_iteratorINS9_10device_ptrIiEEEENSB_INSC_IsEEEESG_sNS9_4plusIvEENS9_8equal_toIvEEsEE10hipError_tPvRmT2_T3_T4_T5_mT6_T7_P12ihipStream_tbENKUlT_T0_E_clISt17integral_constantIbLb0EES10_IbLb1EEEEDaSW_SX_EUlSW_E_NS1_11comp_targetILNS1_3genE0ELNS1_11target_archE4294967295ELNS1_3gpuE0ELNS1_3repE0EEENS1_30default_config_static_selectorELNS0_4arch9wavefront6targetE0EEEvT1_.num_agpr, 0
	.set _ZN7rocprim17ROCPRIM_400000_NS6detail17trampoline_kernelINS0_14default_configENS1_27scan_by_key_config_selectorIisEEZZNS1_16scan_by_key_implILNS1_25lookback_scan_determinismE0ELb0ES3_N6thrust23THRUST_200600_302600_NS6detail15normal_iteratorINS9_10device_ptrIiEEEENSB_INSC_IsEEEESG_sNS9_4plusIvEENS9_8equal_toIvEEsEE10hipError_tPvRmT2_T3_T4_T5_mT6_T7_P12ihipStream_tbENKUlT_T0_E_clISt17integral_constantIbLb0EES10_IbLb1EEEEDaSW_SX_EUlSW_E_NS1_11comp_targetILNS1_3genE0ELNS1_11target_archE4294967295ELNS1_3gpuE0ELNS1_3repE0EEENS1_30default_config_static_selectorELNS0_4arch9wavefront6targetE0EEEvT1_.numbered_sgpr, 45
	.set _ZN7rocprim17ROCPRIM_400000_NS6detail17trampoline_kernelINS0_14default_configENS1_27scan_by_key_config_selectorIisEEZZNS1_16scan_by_key_implILNS1_25lookback_scan_determinismE0ELb0ES3_N6thrust23THRUST_200600_302600_NS6detail15normal_iteratorINS9_10device_ptrIiEEEENSB_INSC_IsEEEESG_sNS9_4plusIvEENS9_8equal_toIvEEsEE10hipError_tPvRmT2_T3_T4_T5_mT6_T7_P12ihipStream_tbENKUlT_T0_E_clISt17integral_constantIbLb0EES10_IbLb1EEEEDaSW_SX_EUlSW_E_NS1_11comp_targetILNS1_3genE0ELNS1_11target_archE4294967295ELNS1_3gpuE0ELNS1_3repE0EEENS1_30default_config_static_selectorELNS0_4arch9wavefront6targetE0EEEvT1_.num_named_barrier, 0
	.set _ZN7rocprim17ROCPRIM_400000_NS6detail17trampoline_kernelINS0_14default_configENS1_27scan_by_key_config_selectorIisEEZZNS1_16scan_by_key_implILNS1_25lookback_scan_determinismE0ELb0ES3_N6thrust23THRUST_200600_302600_NS6detail15normal_iteratorINS9_10device_ptrIiEEEENSB_INSC_IsEEEESG_sNS9_4plusIvEENS9_8equal_toIvEEsEE10hipError_tPvRmT2_T3_T4_T5_mT6_T7_P12ihipStream_tbENKUlT_T0_E_clISt17integral_constantIbLb0EES10_IbLb1EEEEDaSW_SX_EUlSW_E_NS1_11comp_targetILNS1_3genE0ELNS1_11target_archE4294967295ELNS1_3gpuE0ELNS1_3repE0EEENS1_30default_config_static_selectorELNS0_4arch9wavefront6targetE0EEEvT1_.private_seg_size, 0
	.set _ZN7rocprim17ROCPRIM_400000_NS6detail17trampoline_kernelINS0_14default_configENS1_27scan_by_key_config_selectorIisEEZZNS1_16scan_by_key_implILNS1_25lookback_scan_determinismE0ELb0ES3_N6thrust23THRUST_200600_302600_NS6detail15normal_iteratorINS9_10device_ptrIiEEEENSB_INSC_IsEEEESG_sNS9_4plusIvEENS9_8equal_toIvEEsEE10hipError_tPvRmT2_T3_T4_T5_mT6_T7_P12ihipStream_tbENKUlT_T0_E_clISt17integral_constantIbLb0EES10_IbLb1EEEEDaSW_SX_EUlSW_E_NS1_11comp_targetILNS1_3genE0ELNS1_11target_archE4294967295ELNS1_3gpuE0ELNS1_3repE0EEENS1_30default_config_static_selectorELNS0_4arch9wavefront6targetE0EEEvT1_.uses_vcc, 1
	.set _ZN7rocprim17ROCPRIM_400000_NS6detail17trampoline_kernelINS0_14default_configENS1_27scan_by_key_config_selectorIisEEZZNS1_16scan_by_key_implILNS1_25lookback_scan_determinismE0ELb0ES3_N6thrust23THRUST_200600_302600_NS6detail15normal_iteratorINS9_10device_ptrIiEEEENSB_INSC_IsEEEESG_sNS9_4plusIvEENS9_8equal_toIvEEsEE10hipError_tPvRmT2_T3_T4_T5_mT6_T7_P12ihipStream_tbENKUlT_T0_E_clISt17integral_constantIbLb0EES10_IbLb1EEEEDaSW_SX_EUlSW_E_NS1_11comp_targetILNS1_3genE0ELNS1_11target_archE4294967295ELNS1_3gpuE0ELNS1_3repE0EEENS1_30default_config_static_selectorELNS0_4arch9wavefront6targetE0EEEvT1_.uses_flat_scratch, 1
	.set _ZN7rocprim17ROCPRIM_400000_NS6detail17trampoline_kernelINS0_14default_configENS1_27scan_by_key_config_selectorIisEEZZNS1_16scan_by_key_implILNS1_25lookback_scan_determinismE0ELb0ES3_N6thrust23THRUST_200600_302600_NS6detail15normal_iteratorINS9_10device_ptrIiEEEENSB_INSC_IsEEEESG_sNS9_4plusIvEENS9_8equal_toIvEEsEE10hipError_tPvRmT2_T3_T4_T5_mT6_T7_P12ihipStream_tbENKUlT_T0_E_clISt17integral_constantIbLb0EES10_IbLb1EEEEDaSW_SX_EUlSW_E_NS1_11comp_targetILNS1_3genE0ELNS1_11target_archE4294967295ELNS1_3gpuE0ELNS1_3repE0EEENS1_30default_config_static_selectorELNS0_4arch9wavefront6targetE0EEEvT1_.has_dyn_sized_stack, 0
	.set _ZN7rocprim17ROCPRIM_400000_NS6detail17trampoline_kernelINS0_14default_configENS1_27scan_by_key_config_selectorIisEEZZNS1_16scan_by_key_implILNS1_25lookback_scan_determinismE0ELb0ES3_N6thrust23THRUST_200600_302600_NS6detail15normal_iteratorINS9_10device_ptrIiEEEENSB_INSC_IsEEEESG_sNS9_4plusIvEENS9_8equal_toIvEEsEE10hipError_tPvRmT2_T3_T4_T5_mT6_T7_P12ihipStream_tbENKUlT_T0_E_clISt17integral_constantIbLb0EES10_IbLb1EEEEDaSW_SX_EUlSW_E_NS1_11comp_targetILNS1_3genE0ELNS1_11target_archE4294967295ELNS1_3gpuE0ELNS1_3repE0EEENS1_30default_config_static_selectorELNS0_4arch9wavefront6targetE0EEEvT1_.has_recursion, 0
	.set _ZN7rocprim17ROCPRIM_400000_NS6detail17trampoline_kernelINS0_14default_configENS1_27scan_by_key_config_selectorIisEEZZNS1_16scan_by_key_implILNS1_25lookback_scan_determinismE0ELb0ES3_N6thrust23THRUST_200600_302600_NS6detail15normal_iteratorINS9_10device_ptrIiEEEENSB_INSC_IsEEEESG_sNS9_4plusIvEENS9_8equal_toIvEEsEE10hipError_tPvRmT2_T3_T4_T5_mT6_T7_P12ihipStream_tbENKUlT_T0_E_clISt17integral_constantIbLb0EES10_IbLb1EEEEDaSW_SX_EUlSW_E_NS1_11comp_targetILNS1_3genE0ELNS1_11target_archE4294967295ELNS1_3gpuE0ELNS1_3repE0EEENS1_30default_config_static_selectorELNS0_4arch9wavefront6targetE0EEEvT1_.has_indirect_call, 0
	.section	.AMDGPU.csdata,"",@progbits
; Kernel info:
; codeLenInByte = 14668
; TotalNumSgprs: 47
; NumVgprs: 45
; ScratchSize: 0
; MemoryBound: 0
; FloatMode: 240
; IeeeMode: 1
; LDSByteSize: 16384 bytes/workgroup (compile time only)
; SGPRBlocks: 0
; VGPRBlocks: 2
; NumSGPRsForWavesPerEU: 47
; NumVGPRsForWavesPerEU: 45
; NamedBarCnt: 0
; Occupancy: 16
; WaveLimiterHint : 1
; COMPUTE_PGM_RSRC2:SCRATCH_EN: 0
; COMPUTE_PGM_RSRC2:USER_SGPR: 2
; COMPUTE_PGM_RSRC2:TRAP_HANDLER: 0
; COMPUTE_PGM_RSRC2:TGID_X_EN: 1
; COMPUTE_PGM_RSRC2:TGID_Y_EN: 0
; COMPUTE_PGM_RSRC2:TGID_Z_EN: 0
; COMPUTE_PGM_RSRC2:TIDIG_COMP_CNT: 0
	.section	.text._ZN7rocprim17ROCPRIM_400000_NS6detail17trampoline_kernelINS0_14default_configENS1_27scan_by_key_config_selectorIisEEZZNS1_16scan_by_key_implILNS1_25lookback_scan_determinismE0ELb0ES3_N6thrust23THRUST_200600_302600_NS6detail15normal_iteratorINS9_10device_ptrIiEEEENSB_INSC_IsEEEESG_sNS9_4plusIvEENS9_8equal_toIvEEsEE10hipError_tPvRmT2_T3_T4_T5_mT6_T7_P12ihipStream_tbENKUlT_T0_E_clISt17integral_constantIbLb0EES10_IbLb1EEEEDaSW_SX_EUlSW_E_NS1_11comp_targetILNS1_3genE10ELNS1_11target_archE1201ELNS1_3gpuE5ELNS1_3repE0EEENS1_30default_config_static_selectorELNS0_4arch9wavefront6targetE0EEEvT1_,"axG",@progbits,_ZN7rocprim17ROCPRIM_400000_NS6detail17trampoline_kernelINS0_14default_configENS1_27scan_by_key_config_selectorIisEEZZNS1_16scan_by_key_implILNS1_25lookback_scan_determinismE0ELb0ES3_N6thrust23THRUST_200600_302600_NS6detail15normal_iteratorINS9_10device_ptrIiEEEENSB_INSC_IsEEEESG_sNS9_4plusIvEENS9_8equal_toIvEEsEE10hipError_tPvRmT2_T3_T4_T5_mT6_T7_P12ihipStream_tbENKUlT_T0_E_clISt17integral_constantIbLb0EES10_IbLb1EEEEDaSW_SX_EUlSW_E_NS1_11comp_targetILNS1_3genE10ELNS1_11target_archE1201ELNS1_3gpuE5ELNS1_3repE0EEENS1_30default_config_static_selectorELNS0_4arch9wavefront6targetE0EEEvT1_,comdat
	.protected	_ZN7rocprim17ROCPRIM_400000_NS6detail17trampoline_kernelINS0_14default_configENS1_27scan_by_key_config_selectorIisEEZZNS1_16scan_by_key_implILNS1_25lookback_scan_determinismE0ELb0ES3_N6thrust23THRUST_200600_302600_NS6detail15normal_iteratorINS9_10device_ptrIiEEEENSB_INSC_IsEEEESG_sNS9_4plusIvEENS9_8equal_toIvEEsEE10hipError_tPvRmT2_T3_T4_T5_mT6_T7_P12ihipStream_tbENKUlT_T0_E_clISt17integral_constantIbLb0EES10_IbLb1EEEEDaSW_SX_EUlSW_E_NS1_11comp_targetILNS1_3genE10ELNS1_11target_archE1201ELNS1_3gpuE5ELNS1_3repE0EEENS1_30default_config_static_selectorELNS0_4arch9wavefront6targetE0EEEvT1_ ; -- Begin function _ZN7rocprim17ROCPRIM_400000_NS6detail17trampoline_kernelINS0_14default_configENS1_27scan_by_key_config_selectorIisEEZZNS1_16scan_by_key_implILNS1_25lookback_scan_determinismE0ELb0ES3_N6thrust23THRUST_200600_302600_NS6detail15normal_iteratorINS9_10device_ptrIiEEEENSB_INSC_IsEEEESG_sNS9_4plusIvEENS9_8equal_toIvEEsEE10hipError_tPvRmT2_T3_T4_T5_mT6_T7_P12ihipStream_tbENKUlT_T0_E_clISt17integral_constantIbLb0EES10_IbLb1EEEEDaSW_SX_EUlSW_E_NS1_11comp_targetILNS1_3genE10ELNS1_11target_archE1201ELNS1_3gpuE5ELNS1_3repE0EEENS1_30default_config_static_selectorELNS0_4arch9wavefront6targetE0EEEvT1_
	.globl	_ZN7rocprim17ROCPRIM_400000_NS6detail17trampoline_kernelINS0_14default_configENS1_27scan_by_key_config_selectorIisEEZZNS1_16scan_by_key_implILNS1_25lookback_scan_determinismE0ELb0ES3_N6thrust23THRUST_200600_302600_NS6detail15normal_iteratorINS9_10device_ptrIiEEEENSB_INSC_IsEEEESG_sNS9_4plusIvEENS9_8equal_toIvEEsEE10hipError_tPvRmT2_T3_T4_T5_mT6_T7_P12ihipStream_tbENKUlT_T0_E_clISt17integral_constantIbLb0EES10_IbLb1EEEEDaSW_SX_EUlSW_E_NS1_11comp_targetILNS1_3genE10ELNS1_11target_archE1201ELNS1_3gpuE5ELNS1_3repE0EEENS1_30default_config_static_selectorELNS0_4arch9wavefront6targetE0EEEvT1_
	.p2align	8
	.type	_ZN7rocprim17ROCPRIM_400000_NS6detail17trampoline_kernelINS0_14default_configENS1_27scan_by_key_config_selectorIisEEZZNS1_16scan_by_key_implILNS1_25lookback_scan_determinismE0ELb0ES3_N6thrust23THRUST_200600_302600_NS6detail15normal_iteratorINS9_10device_ptrIiEEEENSB_INSC_IsEEEESG_sNS9_4plusIvEENS9_8equal_toIvEEsEE10hipError_tPvRmT2_T3_T4_T5_mT6_T7_P12ihipStream_tbENKUlT_T0_E_clISt17integral_constantIbLb0EES10_IbLb1EEEEDaSW_SX_EUlSW_E_NS1_11comp_targetILNS1_3genE10ELNS1_11target_archE1201ELNS1_3gpuE5ELNS1_3repE0EEENS1_30default_config_static_selectorELNS0_4arch9wavefront6targetE0EEEvT1_,@function
_ZN7rocprim17ROCPRIM_400000_NS6detail17trampoline_kernelINS0_14default_configENS1_27scan_by_key_config_selectorIisEEZZNS1_16scan_by_key_implILNS1_25lookback_scan_determinismE0ELb0ES3_N6thrust23THRUST_200600_302600_NS6detail15normal_iteratorINS9_10device_ptrIiEEEENSB_INSC_IsEEEESG_sNS9_4plusIvEENS9_8equal_toIvEEsEE10hipError_tPvRmT2_T3_T4_T5_mT6_T7_P12ihipStream_tbENKUlT_T0_E_clISt17integral_constantIbLb0EES10_IbLb1EEEEDaSW_SX_EUlSW_E_NS1_11comp_targetILNS1_3genE10ELNS1_11target_archE1201ELNS1_3gpuE5ELNS1_3repE0EEENS1_30default_config_static_selectorELNS0_4arch9wavefront6targetE0EEEvT1_: ; @_ZN7rocprim17ROCPRIM_400000_NS6detail17trampoline_kernelINS0_14default_configENS1_27scan_by_key_config_selectorIisEEZZNS1_16scan_by_key_implILNS1_25lookback_scan_determinismE0ELb0ES3_N6thrust23THRUST_200600_302600_NS6detail15normal_iteratorINS9_10device_ptrIiEEEENSB_INSC_IsEEEESG_sNS9_4plusIvEENS9_8equal_toIvEEsEE10hipError_tPvRmT2_T3_T4_T5_mT6_T7_P12ihipStream_tbENKUlT_T0_E_clISt17integral_constantIbLb0EES10_IbLb1EEEEDaSW_SX_EUlSW_E_NS1_11comp_targetILNS1_3genE10ELNS1_11target_archE1201ELNS1_3gpuE5ELNS1_3repE0EEENS1_30default_config_static_selectorELNS0_4arch9wavefront6targetE0EEEvT1_
; %bb.0:
	.section	.rodata,"a",@progbits
	.p2align	6, 0x0
	.amdhsa_kernel _ZN7rocprim17ROCPRIM_400000_NS6detail17trampoline_kernelINS0_14default_configENS1_27scan_by_key_config_selectorIisEEZZNS1_16scan_by_key_implILNS1_25lookback_scan_determinismE0ELb0ES3_N6thrust23THRUST_200600_302600_NS6detail15normal_iteratorINS9_10device_ptrIiEEEENSB_INSC_IsEEEESG_sNS9_4plusIvEENS9_8equal_toIvEEsEE10hipError_tPvRmT2_T3_T4_T5_mT6_T7_P12ihipStream_tbENKUlT_T0_E_clISt17integral_constantIbLb0EES10_IbLb1EEEEDaSW_SX_EUlSW_E_NS1_11comp_targetILNS1_3genE10ELNS1_11target_archE1201ELNS1_3gpuE5ELNS1_3repE0EEENS1_30default_config_static_selectorELNS0_4arch9wavefront6targetE0EEEvT1_
		.amdhsa_group_segment_fixed_size 0
		.amdhsa_private_segment_fixed_size 0
		.amdhsa_kernarg_size 112
		.amdhsa_user_sgpr_count 2
		.amdhsa_user_sgpr_dispatch_ptr 0
		.amdhsa_user_sgpr_queue_ptr 0
		.amdhsa_user_sgpr_kernarg_segment_ptr 1
		.amdhsa_user_sgpr_dispatch_id 0
		.amdhsa_user_sgpr_kernarg_preload_length 0
		.amdhsa_user_sgpr_kernarg_preload_offset 0
		.amdhsa_user_sgpr_private_segment_size 0
		.amdhsa_wavefront_size32 1
		.amdhsa_uses_dynamic_stack 0
		.amdhsa_enable_private_segment 0
		.amdhsa_system_sgpr_workgroup_id_x 1
		.amdhsa_system_sgpr_workgroup_id_y 0
		.amdhsa_system_sgpr_workgroup_id_z 0
		.amdhsa_system_sgpr_workgroup_info 0
		.amdhsa_system_vgpr_workitem_id 0
		.amdhsa_next_free_vgpr 1
		.amdhsa_next_free_sgpr 1
		.amdhsa_named_barrier_count 0
		.amdhsa_reserve_vcc 0
		.amdhsa_float_round_mode_32 0
		.amdhsa_float_round_mode_16_64 0
		.amdhsa_float_denorm_mode_32 3
		.amdhsa_float_denorm_mode_16_64 3
		.amdhsa_fp16_overflow 0
		.amdhsa_memory_ordered 1
		.amdhsa_forward_progress 1
		.amdhsa_inst_pref_size 0
		.amdhsa_round_robin_scheduling 0
		.amdhsa_exception_fp_ieee_invalid_op 0
		.amdhsa_exception_fp_denorm_src 0
		.amdhsa_exception_fp_ieee_div_zero 0
		.amdhsa_exception_fp_ieee_overflow 0
		.amdhsa_exception_fp_ieee_underflow 0
		.amdhsa_exception_fp_ieee_inexact 0
		.amdhsa_exception_int_div_zero 0
	.end_amdhsa_kernel
	.section	.text._ZN7rocprim17ROCPRIM_400000_NS6detail17trampoline_kernelINS0_14default_configENS1_27scan_by_key_config_selectorIisEEZZNS1_16scan_by_key_implILNS1_25lookback_scan_determinismE0ELb0ES3_N6thrust23THRUST_200600_302600_NS6detail15normal_iteratorINS9_10device_ptrIiEEEENSB_INSC_IsEEEESG_sNS9_4plusIvEENS9_8equal_toIvEEsEE10hipError_tPvRmT2_T3_T4_T5_mT6_T7_P12ihipStream_tbENKUlT_T0_E_clISt17integral_constantIbLb0EES10_IbLb1EEEEDaSW_SX_EUlSW_E_NS1_11comp_targetILNS1_3genE10ELNS1_11target_archE1201ELNS1_3gpuE5ELNS1_3repE0EEENS1_30default_config_static_selectorELNS0_4arch9wavefront6targetE0EEEvT1_,"axG",@progbits,_ZN7rocprim17ROCPRIM_400000_NS6detail17trampoline_kernelINS0_14default_configENS1_27scan_by_key_config_selectorIisEEZZNS1_16scan_by_key_implILNS1_25lookback_scan_determinismE0ELb0ES3_N6thrust23THRUST_200600_302600_NS6detail15normal_iteratorINS9_10device_ptrIiEEEENSB_INSC_IsEEEESG_sNS9_4plusIvEENS9_8equal_toIvEEsEE10hipError_tPvRmT2_T3_T4_T5_mT6_T7_P12ihipStream_tbENKUlT_T0_E_clISt17integral_constantIbLb0EES10_IbLb1EEEEDaSW_SX_EUlSW_E_NS1_11comp_targetILNS1_3genE10ELNS1_11target_archE1201ELNS1_3gpuE5ELNS1_3repE0EEENS1_30default_config_static_selectorELNS0_4arch9wavefront6targetE0EEEvT1_,comdat
.Lfunc_end1383:
	.size	_ZN7rocprim17ROCPRIM_400000_NS6detail17trampoline_kernelINS0_14default_configENS1_27scan_by_key_config_selectorIisEEZZNS1_16scan_by_key_implILNS1_25lookback_scan_determinismE0ELb0ES3_N6thrust23THRUST_200600_302600_NS6detail15normal_iteratorINS9_10device_ptrIiEEEENSB_INSC_IsEEEESG_sNS9_4plusIvEENS9_8equal_toIvEEsEE10hipError_tPvRmT2_T3_T4_T5_mT6_T7_P12ihipStream_tbENKUlT_T0_E_clISt17integral_constantIbLb0EES10_IbLb1EEEEDaSW_SX_EUlSW_E_NS1_11comp_targetILNS1_3genE10ELNS1_11target_archE1201ELNS1_3gpuE5ELNS1_3repE0EEENS1_30default_config_static_selectorELNS0_4arch9wavefront6targetE0EEEvT1_, .Lfunc_end1383-_ZN7rocprim17ROCPRIM_400000_NS6detail17trampoline_kernelINS0_14default_configENS1_27scan_by_key_config_selectorIisEEZZNS1_16scan_by_key_implILNS1_25lookback_scan_determinismE0ELb0ES3_N6thrust23THRUST_200600_302600_NS6detail15normal_iteratorINS9_10device_ptrIiEEEENSB_INSC_IsEEEESG_sNS9_4plusIvEENS9_8equal_toIvEEsEE10hipError_tPvRmT2_T3_T4_T5_mT6_T7_P12ihipStream_tbENKUlT_T0_E_clISt17integral_constantIbLb0EES10_IbLb1EEEEDaSW_SX_EUlSW_E_NS1_11comp_targetILNS1_3genE10ELNS1_11target_archE1201ELNS1_3gpuE5ELNS1_3repE0EEENS1_30default_config_static_selectorELNS0_4arch9wavefront6targetE0EEEvT1_
                                        ; -- End function
	.set _ZN7rocprim17ROCPRIM_400000_NS6detail17trampoline_kernelINS0_14default_configENS1_27scan_by_key_config_selectorIisEEZZNS1_16scan_by_key_implILNS1_25lookback_scan_determinismE0ELb0ES3_N6thrust23THRUST_200600_302600_NS6detail15normal_iteratorINS9_10device_ptrIiEEEENSB_INSC_IsEEEESG_sNS9_4plusIvEENS9_8equal_toIvEEsEE10hipError_tPvRmT2_T3_T4_T5_mT6_T7_P12ihipStream_tbENKUlT_T0_E_clISt17integral_constantIbLb0EES10_IbLb1EEEEDaSW_SX_EUlSW_E_NS1_11comp_targetILNS1_3genE10ELNS1_11target_archE1201ELNS1_3gpuE5ELNS1_3repE0EEENS1_30default_config_static_selectorELNS0_4arch9wavefront6targetE0EEEvT1_.num_vgpr, 0
	.set _ZN7rocprim17ROCPRIM_400000_NS6detail17trampoline_kernelINS0_14default_configENS1_27scan_by_key_config_selectorIisEEZZNS1_16scan_by_key_implILNS1_25lookback_scan_determinismE0ELb0ES3_N6thrust23THRUST_200600_302600_NS6detail15normal_iteratorINS9_10device_ptrIiEEEENSB_INSC_IsEEEESG_sNS9_4plusIvEENS9_8equal_toIvEEsEE10hipError_tPvRmT2_T3_T4_T5_mT6_T7_P12ihipStream_tbENKUlT_T0_E_clISt17integral_constantIbLb0EES10_IbLb1EEEEDaSW_SX_EUlSW_E_NS1_11comp_targetILNS1_3genE10ELNS1_11target_archE1201ELNS1_3gpuE5ELNS1_3repE0EEENS1_30default_config_static_selectorELNS0_4arch9wavefront6targetE0EEEvT1_.num_agpr, 0
	.set _ZN7rocprim17ROCPRIM_400000_NS6detail17trampoline_kernelINS0_14default_configENS1_27scan_by_key_config_selectorIisEEZZNS1_16scan_by_key_implILNS1_25lookback_scan_determinismE0ELb0ES3_N6thrust23THRUST_200600_302600_NS6detail15normal_iteratorINS9_10device_ptrIiEEEENSB_INSC_IsEEEESG_sNS9_4plusIvEENS9_8equal_toIvEEsEE10hipError_tPvRmT2_T3_T4_T5_mT6_T7_P12ihipStream_tbENKUlT_T0_E_clISt17integral_constantIbLb0EES10_IbLb1EEEEDaSW_SX_EUlSW_E_NS1_11comp_targetILNS1_3genE10ELNS1_11target_archE1201ELNS1_3gpuE5ELNS1_3repE0EEENS1_30default_config_static_selectorELNS0_4arch9wavefront6targetE0EEEvT1_.numbered_sgpr, 0
	.set _ZN7rocprim17ROCPRIM_400000_NS6detail17trampoline_kernelINS0_14default_configENS1_27scan_by_key_config_selectorIisEEZZNS1_16scan_by_key_implILNS1_25lookback_scan_determinismE0ELb0ES3_N6thrust23THRUST_200600_302600_NS6detail15normal_iteratorINS9_10device_ptrIiEEEENSB_INSC_IsEEEESG_sNS9_4plusIvEENS9_8equal_toIvEEsEE10hipError_tPvRmT2_T3_T4_T5_mT6_T7_P12ihipStream_tbENKUlT_T0_E_clISt17integral_constantIbLb0EES10_IbLb1EEEEDaSW_SX_EUlSW_E_NS1_11comp_targetILNS1_3genE10ELNS1_11target_archE1201ELNS1_3gpuE5ELNS1_3repE0EEENS1_30default_config_static_selectorELNS0_4arch9wavefront6targetE0EEEvT1_.num_named_barrier, 0
	.set _ZN7rocprim17ROCPRIM_400000_NS6detail17trampoline_kernelINS0_14default_configENS1_27scan_by_key_config_selectorIisEEZZNS1_16scan_by_key_implILNS1_25lookback_scan_determinismE0ELb0ES3_N6thrust23THRUST_200600_302600_NS6detail15normal_iteratorINS9_10device_ptrIiEEEENSB_INSC_IsEEEESG_sNS9_4plusIvEENS9_8equal_toIvEEsEE10hipError_tPvRmT2_T3_T4_T5_mT6_T7_P12ihipStream_tbENKUlT_T0_E_clISt17integral_constantIbLb0EES10_IbLb1EEEEDaSW_SX_EUlSW_E_NS1_11comp_targetILNS1_3genE10ELNS1_11target_archE1201ELNS1_3gpuE5ELNS1_3repE0EEENS1_30default_config_static_selectorELNS0_4arch9wavefront6targetE0EEEvT1_.private_seg_size, 0
	.set _ZN7rocprim17ROCPRIM_400000_NS6detail17trampoline_kernelINS0_14default_configENS1_27scan_by_key_config_selectorIisEEZZNS1_16scan_by_key_implILNS1_25lookback_scan_determinismE0ELb0ES3_N6thrust23THRUST_200600_302600_NS6detail15normal_iteratorINS9_10device_ptrIiEEEENSB_INSC_IsEEEESG_sNS9_4plusIvEENS9_8equal_toIvEEsEE10hipError_tPvRmT2_T3_T4_T5_mT6_T7_P12ihipStream_tbENKUlT_T0_E_clISt17integral_constantIbLb0EES10_IbLb1EEEEDaSW_SX_EUlSW_E_NS1_11comp_targetILNS1_3genE10ELNS1_11target_archE1201ELNS1_3gpuE5ELNS1_3repE0EEENS1_30default_config_static_selectorELNS0_4arch9wavefront6targetE0EEEvT1_.uses_vcc, 0
	.set _ZN7rocprim17ROCPRIM_400000_NS6detail17trampoline_kernelINS0_14default_configENS1_27scan_by_key_config_selectorIisEEZZNS1_16scan_by_key_implILNS1_25lookback_scan_determinismE0ELb0ES3_N6thrust23THRUST_200600_302600_NS6detail15normal_iteratorINS9_10device_ptrIiEEEENSB_INSC_IsEEEESG_sNS9_4plusIvEENS9_8equal_toIvEEsEE10hipError_tPvRmT2_T3_T4_T5_mT6_T7_P12ihipStream_tbENKUlT_T0_E_clISt17integral_constantIbLb0EES10_IbLb1EEEEDaSW_SX_EUlSW_E_NS1_11comp_targetILNS1_3genE10ELNS1_11target_archE1201ELNS1_3gpuE5ELNS1_3repE0EEENS1_30default_config_static_selectorELNS0_4arch9wavefront6targetE0EEEvT1_.uses_flat_scratch, 0
	.set _ZN7rocprim17ROCPRIM_400000_NS6detail17trampoline_kernelINS0_14default_configENS1_27scan_by_key_config_selectorIisEEZZNS1_16scan_by_key_implILNS1_25lookback_scan_determinismE0ELb0ES3_N6thrust23THRUST_200600_302600_NS6detail15normal_iteratorINS9_10device_ptrIiEEEENSB_INSC_IsEEEESG_sNS9_4plusIvEENS9_8equal_toIvEEsEE10hipError_tPvRmT2_T3_T4_T5_mT6_T7_P12ihipStream_tbENKUlT_T0_E_clISt17integral_constantIbLb0EES10_IbLb1EEEEDaSW_SX_EUlSW_E_NS1_11comp_targetILNS1_3genE10ELNS1_11target_archE1201ELNS1_3gpuE5ELNS1_3repE0EEENS1_30default_config_static_selectorELNS0_4arch9wavefront6targetE0EEEvT1_.has_dyn_sized_stack, 0
	.set _ZN7rocprim17ROCPRIM_400000_NS6detail17trampoline_kernelINS0_14default_configENS1_27scan_by_key_config_selectorIisEEZZNS1_16scan_by_key_implILNS1_25lookback_scan_determinismE0ELb0ES3_N6thrust23THRUST_200600_302600_NS6detail15normal_iteratorINS9_10device_ptrIiEEEENSB_INSC_IsEEEESG_sNS9_4plusIvEENS9_8equal_toIvEEsEE10hipError_tPvRmT2_T3_T4_T5_mT6_T7_P12ihipStream_tbENKUlT_T0_E_clISt17integral_constantIbLb0EES10_IbLb1EEEEDaSW_SX_EUlSW_E_NS1_11comp_targetILNS1_3genE10ELNS1_11target_archE1201ELNS1_3gpuE5ELNS1_3repE0EEENS1_30default_config_static_selectorELNS0_4arch9wavefront6targetE0EEEvT1_.has_recursion, 0
	.set _ZN7rocprim17ROCPRIM_400000_NS6detail17trampoline_kernelINS0_14default_configENS1_27scan_by_key_config_selectorIisEEZZNS1_16scan_by_key_implILNS1_25lookback_scan_determinismE0ELb0ES3_N6thrust23THRUST_200600_302600_NS6detail15normal_iteratorINS9_10device_ptrIiEEEENSB_INSC_IsEEEESG_sNS9_4plusIvEENS9_8equal_toIvEEsEE10hipError_tPvRmT2_T3_T4_T5_mT6_T7_P12ihipStream_tbENKUlT_T0_E_clISt17integral_constantIbLb0EES10_IbLb1EEEEDaSW_SX_EUlSW_E_NS1_11comp_targetILNS1_3genE10ELNS1_11target_archE1201ELNS1_3gpuE5ELNS1_3repE0EEENS1_30default_config_static_selectorELNS0_4arch9wavefront6targetE0EEEvT1_.has_indirect_call, 0
	.section	.AMDGPU.csdata,"",@progbits
; Kernel info:
; codeLenInByte = 0
; TotalNumSgprs: 0
; NumVgprs: 0
; ScratchSize: 0
; MemoryBound: 0
; FloatMode: 240
; IeeeMode: 1
; LDSByteSize: 0 bytes/workgroup (compile time only)
; SGPRBlocks: 0
; VGPRBlocks: 0
; NumSGPRsForWavesPerEU: 1
; NumVGPRsForWavesPerEU: 1
; NamedBarCnt: 0
; Occupancy: 16
; WaveLimiterHint : 0
; COMPUTE_PGM_RSRC2:SCRATCH_EN: 0
; COMPUTE_PGM_RSRC2:USER_SGPR: 2
; COMPUTE_PGM_RSRC2:TRAP_HANDLER: 0
; COMPUTE_PGM_RSRC2:TGID_X_EN: 1
; COMPUTE_PGM_RSRC2:TGID_Y_EN: 0
; COMPUTE_PGM_RSRC2:TGID_Z_EN: 0
; COMPUTE_PGM_RSRC2:TIDIG_COMP_CNT: 0
	.section	.text._ZN7rocprim17ROCPRIM_400000_NS6detail17trampoline_kernelINS0_14default_configENS1_27scan_by_key_config_selectorIisEEZZNS1_16scan_by_key_implILNS1_25lookback_scan_determinismE0ELb0ES3_N6thrust23THRUST_200600_302600_NS6detail15normal_iteratorINS9_10device_ptrIiEEEENSB_INSC_IsEEEESG_sNS9_4plusIvEENS9_8equal_toIvEEsEE10hipError_tPvRmT2_T3_T4_T5_mT6_T7_P12ihipStream_tbENKUlT_T0_E_clISt17integral_constantIbLb0EES10_IbLb1EEEEDaSW_SX_EUlSW_E_NS1_11comp_targetILNS1_3genE5ELNS1_11target_archE942ELNS1_3gpuE9ELNS1_3repE0EEENS1_30default_config_static_selectorELNS0_4arch9wavefront6targetE0EEEvT1_,"axG",@progbits,_ZN7rocprim17ROCPRIM_400000_NS6detail17trampoline_kernelINS0_14default_configENS1_27scan_by_key_config_selectorIisEEZZNS1_16scan_by_key_implILNS1_25lookback_scan_determinismE0ELb0ES3_N6thrust23THRUST_200600_302600_NS6detail15normal_iteratorINS9_10device_ptrIiEEEENSB_INSC_IsEEEESG_sNS9_4plusIvEENS9_8equal_toIvEEsEE10hipError_tPvRmT2_T3_T4_T5_mT6_T7_P12ihipStream_tbENKUlT_T0_E_clISt17integral_constantIbLb0EES10_IbLb1EEEEDaSW_SX_EUlSW_E_NS1_11comp_targetILNS1_3genE5ELNS1_11target_archE942ELNS1_3gpuE9ELNS1_3repE0EEENS1_30default_config_static_selectorELNS0_4arch9wavefront6targetE0EEEvT1_,comdat
	.protected	_ZN7rocprim17ROCPRIM_400000_NS6detail17trampoline_kernelINS0_14default_configENS1_27scan_by_key_config_selectorIisEEZZNS1_16scan_by_key_implILNS1_25lookback_scan_determinismE0ELb0ES3_N6thrust23THRUST_200600_302600_NS6detail15normal_iteratorINS9_10device_ptrIiEEEENSB_INSC_IsEEEESG_sNS9_4plusIvEENS9_8equal_toIvEEsEE10hipError_tPvRmT2_T3_T4_T5_mT6_T7_P12ihipStream_tbENKUlT_T0_E_clISt17integral_constantIbLb0EES10_IbLb1EEEEDaSW_SX_EUlSW_E_NS1_11comp_targetILNS1_3genE5ELNS1_11target_archE942ELNS1_3gpuE9ELNS1_3repE0EEENS1_30default_config_static_selectorELNS0_4arch9wavefront6targetE0EEEvT1_ ; -- Begin function _ZN7rocprim17ROCPRIM_400000_NS6detail17trampoline_kernelINS0_14default_configENS1_27scan_by_key_config_selectorIisEEZZNS1_16scan_by_key_implILNS1_25lookback_scan_determinismE0ELb0ES3_N6thrust23THRUST_200600_302600_NS6detail15normal_iteratorINS9_10device_ptrIiEEEENSB_INSC_IsEEEESG_sNS9_4plusIvEENS9_8equal_toIvEEsEE10hipError_tPvRmT2_T3_T4_T5_mT6_T7_P12ihipStream_tbENKUlT_T0_E_clISt17integral_constantIbLb0EES10_IbLb1EEEEDaSW_SX_EUlSW_E_NS1_11comp_targetILNS1_3genE5ELNS1_11target_archE942ELNS1_3gpuE9ELNS1_3repE0EEENS1_30default_config_static_selectorELNS0_4arch9wavefront6targetE0EEEvT1_
	.globl	_ZN7rocprim17ROCPRIM_400000_NS6detail17trampoline_kernelINS0_14default_configENS1_27scan_by_key_config_selectorIisEEZZNS1_16scan_by_key_implILNS1_25lookback_scan_determinismE0ELb0ES3_N6thrust23THRUST_200600_302600_NS6detail15normal_iteratorINS9_10device_ptrIiEEEENSB_INSC_IsEEEESG_sNS9_4plusIvEENS9_8equal_toIvEEsEE10hipError_tPvRmT2_T3_T4_T5_mT6_T7_P12ihipStream_tbENKUlT_T0_E_clISt17integral_constantIbLb0EES10_IbLb1EEEEDaSW_SX_EUlSW_E_NS1_11comp_targetILNS1_3genE5ELNS1_11target_archE942ELNS1_3gpuE9ELNS1_3repE0EEENS1_30default_config_static_selectorELNS0_4arch9wavefront6targetE0EEEvT1_
	.p2align	8
	.type	_ZN7rocprim17ROCPRIM_400000_NS6detail17trampoline_kernelINS0_14default_configENS1_27scan_by_key_config_selectorIisEEZZNS1_16scan_by_key_implILNS1_25lookback_scan_determinismE0ELb0ES3_N6thrust23THRUST_200600_302600_NS6detail15normal_iteratorINS9_10device_ptrIiEEEENSB_INSC_IsEEEESG_sNS9_4plusIvEENS9_8equal_toIvEEsEE10hipError_tPvRmT2_T3_T4_T5_mT6_T7_P12ihipStream_tbENKUlT_T0_E_clISt17integral_constantIbLb0EES10_IbLb1EEEEDaSW_SX_EUlSW_E_NS1_11comp_targetILNS1_3genE5ELNS1_11target_archE942ELNS1_3gpuE9ELNS1_3repE0EEENS1_30default_config_static_selectorELNS0_4arch9wavefront6targetE0EEEvT1_,@function
_ZN7rocprim17ROCPRIM_400000_NS6detail17trampoline_kernelINS0_14default_configENS1_27scan_by_key_config_selectorIisEEZZNS1_16scan_by_key_implILNS1_25lookback_scan_determinismE0ELb0ES3_N6thrust23THRUST_200600_302600_NS6detail15normal_iteratorINS9_10device_ptrIiEEEENSB_INSC_IsEEEESG_sNS9_4plusIvEENS9_8equal_toIvEEsEE10hipError_tPvRmT2_T3_T4_T5_mT6_T7_P12ihipStream_tbENKUlT_T0_E_clISt17integral_constantIbLb0EES10_IbLb1EEEEDaSW_SX_EUlSW_E_NS1_11comp_targetILNS1_3genE5ELNS1_11target_archE942ELNS1_3gpuE9ELNS1_3repE0EEENS1_30default_config_static_selectorELNS0_4arch9wavefront6targetE0EEEvT1_: ; @_ZN7rocprim17ROCPRIM_400000_NS6detail17trampoline_kernelINS0_14default_configENS1_27scan_by_key_config_selectorIisEEZZNS1_16scan_by_key_implILNS1_25lookback_scan_determinismE0ELb0ES3_N6thrust23THRUST_200600_302600_NS6detail15normal_iteratorINS9_10device_ptrIiEEEENSB_INSC_IsEEEESG_sNS9_4plusIvEENS9_8equal_toIvEEsEE10hipError_tPvRmT2_T3_T4_T5_mT6_T7_P12ihipStream_tbENKUlT_T0_E_clISt17integral_constantIbLb0EES10_IbLb1EEEEDaSW_SX_EUlSW_E_NS1_11comp_targetILNS1_3genE5ELNS1_11target_archE942ELNS1_3gpuE9ELNS1_3repE0EEENS1_30default_config_static_selectorELNS0_4arch9wavefront6targetE0EEEvT1_
; %bb.0:
	.section	.rodata,"a",@progbits
	.p2align	6, 0x0
	.amdhsa_kernel _ZN7rocprim17ROCPRIM_400000_NS6detail17trampoline_kernelINS0_14default_configENS1_27scan_by_key_config_selectorIisEEZZNS1_16scan_by_key_implILNS1_25lookback_scan_determinismE0ELb0ES3_N6thrust23THRUST_200600_302600_NS6detail15normal_iteratorINS9_10device_ptrIiEEEENSB_INSC_IsEEEESG_sNS9_4plusIvEENS9_8equal_toIvEEsEE10hipError_tPvRmT2_T3_T4_T5_mT6_T7_P12ihipStream_tbENKUlT_T0_E_clISt17integral_constantIbLb0EES10_IbLb1EEEEDaSW_SX_EUlSW_E_NS1_11comp_targetILNS1_3genE5ELNS1_11target_archE942ELNS1_3gpuE9ELNS1_3repE0EEENS1_30default_config_static_selectorELNS0_4arch9wavefront6targetE0EEEvT1_
		.amdhsa_group_segment_fixed_size 0
		.amdhsa_private_segment_fixed_size 0
		.amdhsa_kernarg_size 112
		.amdhsa_user_sgpr_count 2
		.amdhsa_user_sgpr_dispatch_ptr 0
		.amdhsa_user_sgpr_queue_ptr 0
		.amdhsa_user_sgpr_kernarg_segment_ptr 1
		.amdhsa_user_sgpr_dispatch_id 0
		.amdhsa_user_sgpr_kernarg_preload_length 0
		.amdhsa_user_sgpr_kernarg_preload_offset 0
		.amdhsa_user_sgpr_private_segment_size 0
		.amdhsa_wavefront_size32 1
		.amdhsa_uses_dynamic_stack 0
		.amdhsa_enable_private_segment 0
		.amdhsa_system_sgpr_workgroup_id_x 1
		.amdhsa_system_sgpr_workgroup_id_y 0
		.amdhsa_system_sgpr_workgroup_id_z 0
		.amdhsa_system_sgpr_workgroup_info 0
		.amdhsa_system_vgpr_workitem_id 0
		.amdhsa_next_free_vgpr 1
		.amdhsa_next_free_sgpr 1
		.amdhsa_named_barrier_count 0
		.amdhsa_reserve_vcc 0
		.amdhsa_float_round_mode_32 0
		.amdhsa_float_round_mode_16_64 0
		.amdhsa_float_denorm_mode_32 3
		.amdhsa_float_denorm_mode_16_64 3
		.amdhsa_fp16_overflow 0
		.amdhsa_memory_ordered 1
		.amdhsa_forward_progress 1
		.amdhsa_inst_pref_size 0
		.amdhsa_round_robin_scheduling 0
		.amdhsa_exception_fp_ieee_invalid_op 0
		.amdhsa_exception_fp_denorm_src 0
		.amdhsa_exception_fp_ieee_div_zero 0
		.amdhsa_exception_fp_ieee_overflow 0
		.amdhsa_exception_fp_ieee_underflow 0
		.amdhsa_exception_fp_ieee_inexact 0
		.amdhsa_exception_int_div_zero 0
	.end_amdhsa_kernel
	.section	.text._ZN7rocprim17ROCPRIM_400000_NS6detail17trampoline_kernelINS0_14default_configENS1_27scan_by_key_config_selectorIisEEZZNS1_16scan_by_key_implILNS1_25lookback_scan_determinismE0ELb0ES3_N6thrust23THRUST_200600_302600_NS6detail15normal_iteratorINS9_10device_ptrIiEEEENSB_INSC_IsEEEESG_sNS9_4plusIvEENS9_8equal_toIvEEsEE10hipError_tPvRmT2_T3_T4_T5_mT6_T7_P12ihipStream_tbENKUlT_T0_E_clISt17integral_constantIbLb0EES10_IbLb1EEEEDaSW_SX_EUlSW_E_NS1_11comp_targetILNS1_3genE5ELNS1_11target_archE942ELNS1_3gpuE9ELNS1_3repE0EEENS1_30default_config_static_selectorELNS0_4arch9wavefront6targetE0EEEvT1_,"axG",@progbits,_ZN7rocprim17ROCPRIM_400000_NS6detail17trampoline_kernelINS0_14default_configENS1_27scan_by_key_config_selectorIisEEZZNS1_16scan_by_key_implILNS1_25lookback_scan_determinismE0ELb0ES3_N6thrust23THRUST_200600_302600_NS6detail15normal_iteratorINS9_10device_ptrIiEEEENSB_INSC_IsEEEESG_sNS9_4plusIvEENS9_8equal_toIvEEsEE10hipError_tPvRmT2_T3_T4_T5_mT6_T7_P12ihipStream_tbENKUlT_T0_E_clISt17integral_constantIbLb0EES10_IbLb1EEEEDaSW_SX_EUlSW_E_NS1_11comp_targetILNS1_3genE5ELNS1_11target_archE942ELNS1_3gpuE9ELNS1_3repE0EEENS1_30default_config_static_selectorELNS0_4arch9wavefront6targetE0EEEvT1_,comdat
.Lfunc_end1384:
	.size	_ZN7rocprim17ROCPRIM_400000_NS6detail17trampoline_kernelINS0_14default_configENS1_27scan_by_key_config_selectorIisEEZZNS1_16scan_by_key_implILNS1_25lookback_scan_determinismE0ELb0ES3_N6thrust23THRUST_200600_302600_NS6detail15normal_iteratorINS9_10device_ptrIiEEEENSB_INSC_IsEEEESG_sNS9_4plusIvEENS9_8equal_toIvEEsEE10hipError_tPvRmT2_T3_T4_T5_mT6_T7_P12ihipStream_tbENKUlT_T0_E_clISt17integral_constantIbLb0EES10_IbLb1EEEEDaSW_SX_EUlSW_E_NS1_11comp_targetILNS1_3genE5ELNS1_11target_archE942ELNS1_3gpuE9ELNS1_3repE0EEENS1_30default_config_static_selectorELNS0_4arch9wavefront6targetE0EEEvT1_, .Lfunc_end1384-_ZN7rocprim17ROCPRIM_400000_NS6detail17trampoline_kernelINS0_14default_configENS1_27scan_by_key_config_selectorIisEEZZNS1_16scan_by_key_implILNS1_25lookback_scan_determinismE0ELb0ES3_N6thrust23THRUST_200600_302600_NS6detail15normal_iteratorINS9_10device_ptrIiEEEENSB_INSC_IsEEEESG_sNS9_4plusIvEENS9_8equal_toIvEEsEE10hipError_tPvRmT2_T3_T4_T5_mT6_T7_P12ihipStream_tbENKUlT_T0_E_clISt17integral_constantIbLb0EES10_IbLb1EEEEDaSW_SX_EUlSW_E_NS1_11comp_targetILNS1_3genE5ELNS1_11target_archE942ELNS1_3gpuE9ELNS1_3repE0EEENS1_30default_config_static_selectorELNS0_4arch9wavefront6targetE0EEEvT1_
                                        ; -- End function
	.set _ZN7rocprim17ROCPRIM_400000_NS6detail17trampoline_kernelINS0_14default_configENS1_27scan_by_key_config_selectorIisEEZZNS1_16scan_by_key_implILNS1_25lookback_scan_determinismE0ELb0ES3_N6thrust23THRUST_200600_302600_NS6detail15normal_iteratorINS9_10device_ptrIiEEEENSB_INSC_IsEEEESG_sNS9_4plusIvEENS9_8equal_toIvEEsEE10hipError_tPvRmT2_T3_T4_T5_mT6_T7_P12ihipStream_tbENKUlT_T0_E_clISt17integral_constantIbLb0EES10_IbLb1EEEEDaSW_SX_EUlSW_E_NS1_11comp_targetILNS1_3genE5ELNS1_11target_archE942ELNS1_3gpuE9ELNS1_3repE0EEENS1_30default_config_static_selectorELNS0_4arch9wavefront6targetE0EEEvT1_.num_vgpr, 0
	.set _ZN7rocprim17ROCPRIM_400000_NS6detail17trampoline_kernelINS0_14default_configENS1_27scan_by_key_config_selectorIisEEZZNS1_16scan_by_key_implILNS1_25lookback_scan_determinismE0ELb0ES3_N6thrust23THRUST_200600_302600_NS6detail15normal_iteratorINS9_10device_ptrIiEEEENSB_INSC_IsEEEESG_sNS9_4plusIvEENS9_8equal_toIvEEsEE10hipError_tPvRmT2_T3_T4_T5_mT6_T7_P12ihipStream_tbENKUlT_T0_E_clISt17integral_constantIbLb0EES10_IbLb1EEEEDaSW_SX_EUlSW_E_NS1_11comp_targetILNS1_3genE5ELNS1_11target_archE942ELNS1_3gpuE9ELNS1_3repE0EEENS1_30default_config_static_selectorELNS0_4arch9wavefront6targetE0EEEvT1_.num_agpr, 0
	.set _ZN7rocprim17ROCPRIM_400000_NS6detail17trampoline_kernelINS0_14default_configENS1_27scan_by_key_config_selectorIisEEZZNS1_16scan_by_key_implILNS1_25lookback_scan_determinismE0ELb0ES3_N6thrust23THRUST_200600_302600_NS6detail15normal_iteratorINS9_10device_ptrIiEEEENSB_INSC_IsEEEESG_sNS9_4plusIvEENS9_8equal_toIvEEsEE10hipError_tPvRmT2_T3_T4_T5_mT6_T7_P12ihipStream_tbENKUlT_T0_E_clISt17integral_constantIbLb0EES10_IbLb1EEEEDaSW_SX_EUlSW_E_NS1_11comp_targetILNS1_3genE5ELNS1_11target_archE942ELNS1_3gpuE9ELNS1_3repE0EEENS1_30default_config_static_selectorELNS0_4arch9wavefront6targetE0EEEvT1_.numbered_sgpr, 0
	.set _ZN7rocprim17ROCPRIM_400000_NS6detail17trampoline_kernelINS0_14default_configENS1_27scan_by_key_config_selectorIisEEZZNS1_16scan_by_key_implILNS1_25lookback_scan_determinismE0ELb0ES3_N6thrust23THRUST_200600_302600_NS6detail15normal_iteratorINS9_10device_ptrIiEEEENSB_INSC_IsEEEESG_sNS9_4plusIvEENS9_8equal_toIvEEsEE10hipError_tPvRmT2_T3_T4_T5_mT6_T7_P12ihipStream_tbENKUlT_T0_E_clISt17integral_constantIbLb0EES10_IbLb1EEEEDaSW_SX_EUlSW_E_NS1_11comp_targetILNS1_3genE5ELNS1_11target_archE942ELNS1_3gpuE9ELNS1_3repE0EEENS1_30default_config_static_selectorELNS0_4arch9wavefront6targetE0EEEvT1_.num_named_barrier, 0
	.set _ZN7rocprim17ROCPRIM_400000_NS6detail17trampoline_kernelINS0_14default_configENS1_27scan_by_key_config_selectorIisEEZZNS1_16scan_by_key_implILNS1_25lookback_scan_determinismE0ELb0ES3_N6thrust23THRUST_200600_302600_NS6detail15normal_iteratorINS9_10device_ptrIiEEEENSB_INSC_IsEEEESG_sNS9_4plusIvEENS9_8equal_toIvEEsEE10hipError_tPvRmT2_T3_T4_T5_mT6_T7_P12ihipStream_tbENKUlT_T0_E_clISt17integral_constantIbLb0EES10_IbLb1EEEEDaSW_SX_EUlSW_E_NS1_11comp_targetILNS1_3genE5ELNS1_11target_archE942ELNS1_3gpuE9ELNS1_3repE0EEENS1_30default_config_static_selectorELNS0_4arch9wavefront6targetE0EEEvT1_.private_seg_size, 0
	.set _ZN7rocprim17ROCPRIM_400000_NS6detail17trampoline_kernelINS0_14default_configENS1_27scan_by_key_config_selectorIisEEZZNS1_16scan_by_key_implILNS1_25lookback_scan_determinismE0ELb0ES3_N6thrust23THRUST_200600_302600_NS6detail15normal_iteratorINS9_10device_ptrIiEEEENSB_INSC_IsEEEESG_sNS9_4plusIvEENS9_8equal_toIvEEsEE10hipError_tPvRmT2_T3_T4_T5_mT6_T7_P12ihipStream_tbENKUlT_T0_E_clISt17integral_constantIbLb0EES10_IbLb1EEEEDaSW_SX_EUlSW_E_NS1_11comp_targetILNS1_3genE5ELNS1_11target_archE942ELNS1_3gpuE9ELNS1_3repE0EEENS1_30default_config_static_selectorELNS0_4arch9wavefront6targetE0EEEvT1_.uses_vcc, 0
	.set _ZN7rocprim17ROCPRIM_400000_NS6detail17trampoline_kernelINS0_14default_configENS1_27scan_by_key_config_selectorIisEEZZNS1_16scan_by_key_implILNS1_25lookback_scan_determinismE0ELb0ES3_N6thrust23THRUST_200600_302600_NS6detail15normal_iteratorINS9_10device_ptrIiEEEENSB_INSC_IsEEEESG_sNS9_4plusIvEENS9_8equal_toIvEEsEE10hipError_tPvRmT2_T3_T4_T5_mT6_T7_P12ihipStream_tbENKUlT_T0_E_clISt17integral_constantIbLb0EES10_IbLb1EEEEDaSW_SX_EUlSW_E_NS1_11comp_targetILNS1_3genE5ELNS1_11target_archE942ELNS1_3gpuE9ELNS1_3repE0EEENS1_30default_config_static_selectorELNS0_4arch9wavefront6targetE0EEEvT1_.uses_flat_scratch, 0
	.set _ZN7rocprim17ROCPRIM_400000_NS6detail17trampoline_kernelINS0_14default_configENS1_27scan_by_key_config_selectorIisEEZZNS1_16scan_by_key_implILNS1_25lookback_scan_determinismE0ELb0ES3_N6thrust23THRUST_200600_302600_NS6detail15normal_iteratorINS9_10device_ptrIiEEEENSB_INSC_IsEEEESG_sNS9_4plusIvEENS9_8equal_toIvEEsEE10hipError_tPvRmT2_T3_T4_T5_mT6_T7_P12ihipStream_tbENKUlT_T0_E_clISt17integral_constantIbLb0EES10_IbLb1EEEEDaSW_SX_EUlSW_E_NS1_11comp_targetILNS1_3genE5ELNS1_11target_archE942ELNS1_3gpuE9ELNS1_3repE0EEENS1_30default_config_static_selectorELNS0_4arch9wavefront6targetE0EEEvT1_.has_dyn_sized_stack, 0
	.set _ZN7rocprim17ROCPRIM_400000_NS6detail17trampoline_kernelINS0_14default_configENS1_27scan_by_key_config_selectorIisEEZZNS1_16scan_by_key_implILNS1_25lookback_scan_determinismE0ELb0ES3_N6thrust23THRUST_200600_302600_NS6detail15normal_iteratorINS9_10device_ptrIiEEEENSB_INSC_IsEEEESG_sNS9_4plusIvEENS9_8equal_toIvEEsEE10hipError_tPvRmT2_T3_T4_T5_mT6_T7_P12ihipStream_tbENKUlT_T0_E_clISt17integral_constantIbLb0EES10_IbLb1EEEEDaSW_SX_EUlSW_E_NS1_11comp_targetILNS1_3genE5ELNS1_11target_archE942ELNS1_3gpuE9ELNS1_3repE0EEENS1_30default_config_static_selectorELNS0_4arch9wavefront6targetE0EEEvT1_.has_recursion, 0
	.set _ZN7rocprim17ROCPRIM_400000_NS6detail17trampoline_kernelINS0_14default_configENS1_27scan_by_key_config_selectorIisEEZZNS1_16scan_by_key_implILNS1_25lookback_scan_determinismE0ELb0ES3_N6thrust23THRUST_200600_302600_NS6detail15normal_iteratorINS9_10device_ptrIiEEEENSB_INSC_IsEEEESG_sNS9_4plusIvEENS9_8equal_toIvEEsEE10hipError_tPvRmT2_T3_T4_T5_mT6_T7_P12ihipStream_tbENKUlT_T0_E_clISt17integral_constantIbLb0EES10_IbLb1EEEEDaSW_SX_EUlSW_E_NS1_11comp_targetILNS1_3genE5ELNS1_11target_archE942ELNS1_3gpuE9ELNS1_3repE0EEENS1_30default_config_static_selectorELNS0_4arch9wavefront6targetE0EEEvT1_.has_indirect_call, 0
	.section	.AMDGPU.csdata,"",@progbits
; Kernel info:
; codeLenInByte = 0
; TotalNumSgprs: 0
; NumVgprs: 0
; ScratchSize: 0
; MemoryBound: 0
; FloatMode: 240
; IeeeMode: 1
; LDSByteSize: 0 bytes/workgroup (compile time only)
; SGPRBlocks: 0
; VGPRBlocks: 0
; NumSGPRsForWavesPerEU: 1
; NumVGPRsForWavesPerEU: 1
; NamedBarCnt: 0
; Occupancy: 16
; WaveLimiterHint : 0
; COMPUTE_PGM_RSRC2:SCRATCH_EN: 0
; COMPUTE_PGM_RSRC2:USER_SGPR: 2
; COMPUTE_PGM_RSRC2:TRAP_HANDLER: 0
; COMPUTE_PGM_RSRC2:TGID_X_EN: 1
; COMPUTE_PGM_RSRC2:TGID_Y_EN: 0
; COMPUTE_PGM_RSRC2:TGID_Z_EN: 0
; COMPUTE_PGM_RSRC2:TIDIG_COMP_CNT: 0
	.section	.text._ZN7rocprim17ROCPRIM_400000_NS6detail17trampoline_kernelINS0_14default_configENS1_27scan_by_key_config_selectorIisEEZZNS1_16scan_by_key_implILNS1_25lookback_scan_determinismE0ELb0ES3_N6thrust23THRUST_200600_302600_NS6detail15normal_iteratorINS9_10device_ptrIiEEEENSB_INSC_IsEEEESG_sNS9_4plusIvEENS9_8equal_toIvEEsEE10hipError_tPvRmT2_T3_T4_T5_mT6_T7_P12ihipStream_tbENKUlT_T0_E_clISt17integral_constantIbLb0EES10_IbLb1EEEEDaSW_SX_EUlSW_E_NS1_11comp_targetILNS1_3genE4ELNS1_11target_archE910ELNS1_3gpuE8ELNS1_3repE0EEENS1_30default_config_static_selectorELNS0_4arch9wavefront6targetE0EEEvT1_,"axG",@progbits,_ZN7rocprim17ROCPRIM_400000_NS6detail17trampoline_kernelINS0_14default_configENS1_27scan_by_key_config_selectorIisEEZZNS1_16scan_by_key_implILNS1_25lookback_scan_determinismE0ELb0ES3_N6thrust23THRUST_200600_302600_NS6detail15normal_iteratorINS9_10device_ptrIiEEEENSB_INSC_IsEEEESG_sNS9_4plusIvEENS9_8equal_toIvEEsEE10hipError_tPvRmT2_T3_T4_T5_mT6_T7_P12ihipStream_tbENKUlT_T0_E_clISt17integral_constantIbLb0EES10_IbLb1EEEEDaSW_SX_EUlSW_E_NS1_11comp_targetILNS1_3genE4ELNS1_11target_archE910ELNS1_3gpuE8ELNS1_3repE0EEENS1_30default_config_static_selectorELNS0_4arch9wavefront6targetE0EEEvT1_,comdat
	.protected	_ZN7rocprim17ROCPRIM_400000_NS6detail17trampoline_kernelINS0_14default_configENS1_27scan_by_key_config_selectorIisEEZZNS1_16scan_by_key_implILNS1_25lookback_scan_determinismE0ELb0ES3_N6thrust23THRUST_200600_302600_NS6detail15normal_iteratorINS9_10device_ptrIiEEEENSB_INSC_IsEEEESG_sNS9_4plusIvEENS9_8equal_toIvEEsEE10hipError_tPvRmT2_T3_T4_T5_mT6_T7_P12ihipStream_tbENKUlT_T0_E_clISt17integral_constantIbLb0EES10_IbLb1EEEEDaSW_SX_EUlSW_E_NS1_11comp_targetILNS1_3genE4ELNS1_11target_archE910ELNS1_3gpuE8ELNS1_3repE0EEENS1_30default_config_static_selectorELNS0_4arch9wavefront6targetE0EEEvT1_ ; -- Begin function _ZN7rocprim17ROCPRIM_400000_NS6detail17trampoline_kernelINS0_14default_configENS1_27scan_by_key_config_selectorIisEEZZNS1_16scan_by_key_implILNS1_25lookback_scan_determinismE0ELb0ES3_N6thrust23THRUST_200600_302600_NS6detail15normal_iteratorINS9_10device_ptrIiEEEENSB_INSC_IsEEEESG_sNS9_4plusIvEENS9_8equal_toIvEEsEE10hipError_tPvRmT2_T3_T4_T5_mT6_T7_P12ihipStream_tbENKUlT_T0_E_clISt17integral_constantIbLb0EES10_IbLb1EEEEDaSW_SX_EUlSW_E_NS1_11comp_targetILNS1_3genE4ELNS1_11target_archE910ELNS1_3gpuE8ELNS1_3repE0EEENS1_30default_config_static_selectorELNS0_4arch9wavefront6targetE0EEEvT1_
	.globl	_ZN7rocprim17ROCPRIM_400000_NS6detail17trampoline_kernelINS0_14default_configENS1_27scan_by_key_config_selectorIisEEZZNS1_16scan_by_key_implILNS1_25lookback_scan_determinismE0ELb0ES3_N6thrust23THRUST_200600_302600_NS6detail15normal_iteratorINS9_10device_ptrIiEEEENSB_INSC_IsEEEESG_sNS9_4plusIvEENS9_8equal_toIvEEsEE10hipError_tPvRmT2_T3_T4_T5_mT6_T7_P12ihipStream_tbENKUlT_T0_E_clISt17integral_constantIbLb0EES10_IbLb1EEEEDaSW_SX_EUlSW_E_NS1_11comp_targetILNS1_3genE4ELNS1_11target_archE910ELNS1_3gpuE8ELNS1_3repE0EEENS1_30default_config_static_selectorELNS0_4arch9wavefront6targetE0EEEvT1_
	.p2align	8
	.type	_ZN7rocprim17ROCPRIM_400000_NS6detail17trampoline_kernelINS0_14default_configENS1_27scan_by_key_config_selectorIisEEZZNS1_16scan_by_key_implILNS1_25lookback_scan_determinismE0ELb0ES3_N6thrust23THRUST_200600_302600_NS6detail15normal_iteratorINS9_10device_ptrIiEEEENSB_INSC_IsEEEESG_sNS9_4plusIvEENS9_8equal_toIvEEsEE10hipError_tPvRmT2_T3_T4_T5_mT6_T7_P12ihipStream_tbENKUlT_T0_E_clISt17integral_constantIbLb0EES10_IbLb1EEEEDaSW_SX_EUlSW_E_NS1_11comp_targetILNS1_3genE4ELNS1_11target_archE910ELNS1_3gpuE8ELNS1_3repE0EEENS1_30default_config_static_selectorELNS0_4arch9wavefront6targetE0EEEvT1_,@function
_ZN7rocprim17ROCPRIM_400000_NS6detail17trampoline_kernelINS0_14default_configENS1_27scan_by_key_config_selectorIisEEZZNS1_16scan_by_key_implILNS1_25lookback_scan_determinismE0ELb0ES3_N6thrust23THRUST_200600_302600_NS6detail15normal_iteratorINS9_10device_ptrIiEEEENSB_INSC_IsEEEESG_sNS9_4plusIvEENS9_8equal_toIvEEsEE10hipError_tPvRmT2_T3_T4_T5_mT6_T7_P12ihipStream_tbENKUlT_T0_E_clISt17integral_constantIbLb0EES10_IbLb1EEEEDaSW_SX_EUlSW_E_NS1_11comp_targetILNS1_3genE4ELNS1_11target_archE910ELNS1_3gpuE8ELNS1_3repE0EEENS1_30default_config_static_selectorELNS0_4arch9wavefront6targetE0EEEvT1_: ; @_ZN7rocprim17ROCPRIM_400000_NS6detail17trampoline_kernelINS0_14default_configENS1_27scan_by_key_config_selectorIisEEZZNS1_16scan_by_key_implILNS1_25lookback_scan_determinismE0ELb0ES3_N6thrust23THRUST_200600_302600_NS6detail15normal_iteratorINS9_10device_ptrIiEEEENSB_INSC_IsEEEESG_sNS9_4plusIvEENS9_8equal_toIvEEsEE10hipError_tPvRmT2_T3_T4_T5_mT6_T7_P12ihipStream_tbENKUlT_T0_E_clISt17integral_constantIbLb0EES10_IbLb1EEEEDaSW_SX_EUlSW_E_NS1_11comp_targetILNS1_3genE4ELNS1_11target_archE910ELNS1_3gpuE8ELNS1_3repE0EEENS1_30default_config_static_selectorELNS0_4arch9wavefront6targetE0EEEvT1_
; %bb.0:
	.section	.rodata,"a",@progbits
	.p2align	6, 0x0
	.amdhsa_kernel _ZN7rocprim17ROCPRIM_400000_NS6detail17trampoline_kernelINS0_14default_configENS1_27scan_by_key_config_selectorIisEEZZNS1_16scan_by_key_implILNS1_25lookback_scan_determinismE0ELb0ES3_N6thrust23THRUST_200600_302600_NS6detail15normal_iteratorINS9_10device_ptrIiEEEENSB_INSC_IsEEEESG_sNS9_4plusIvEENS9_8equal_toIvEEsEE10hipError_tPvRmT2_T3_T4_T5_mT6_T7_P12ihipStream_tbENKUlT_T0_E_clISt17integral_constantIbLb0EES10_IbLb1EEEEDaSW_SX_EUlSW_E_NS1_11comp_targetILNS1_3genE4ELNS1_11target_archE910ELNS1_3gpuE8ELNS1_3repE0EEENS1_30default_config_static_selectorELNS0_4arch9wavefront6targetE0EEEvT1_
		.amdhsa_group_segment_fixed_size 0
		.amdhsa_private_segment_fixed_size 0
		.amdhsa_kernarg_size 112
		.amdhsa_user_sgpr_count 2
		.amdhsa_user_sgpr_dispatch_ptr 0
		.amdhsa_user_sgpr_queue_ptr 0
		.amdhsa_user_sgpr_kernarg_segment_ptr 1
		.amdhsa_user_sgpr_dispatch_id 0
		.amdhsa_user_sgpr_kernarg_preload_length 0
		.amdhsa_user_sgpr_kernarg_preload_offset 0
		.amdhsa_user_sgpr_private_segment_size 0
		.amdhsa_wavefront_size32 1
		.amdhsa_uses_dynamic_stack 0
		.amdhsa_enable_private_segment 0
		.amdhsa_system_sgpr_workgroup_id_x 1
		.amdhsa_system_sgpr_workgroup_id_y 0
		.amdhsa_system_sgpr_workgroup_id_z 0
		.amdhsa_system_sgpr_workgroup_info 0
		.amdhsa_system_vgpr_workitem_id 0
		.amdhsa_next_free_vgpr 1
		.amdhsa_next_free_sgpr 1
		.amdhsa_named_barrier_count 0
		.amdhsa_reserve_vcc 0
		.amdhsa_float_round_mode_32 0
		.amdhsa_float_round_mode_16_64 0
		.amdhsa_float_denorm_mode_32 3
		.amdhsa_float_denorm_mode_16_64 3
		.amdhsa_fp16_overflow 0
		.amdhsa_memory_ordered 1
		.amdhsa_forward_progress 1
		.amdhsa_inst_pref_size 0
		.amdhsa_round_robin_scheduling 0
		.amdhsa_exception_fp_ieee_invalid_op 0
		.amdhsa_exception_fp_denorm_src 0
		.amdhsa_exception_fp_ieee_div_zero 0
		.amdhsa_exception_fp_ieee_overflow 0
		.amdhsa_exception_fp_ieee_underflow 0
		.amdhsa_exception_fp_ieee_inexact 0
		.amdhsa_exception_int_div_zero 0
	.end_amdhsa_kernel
	.section	.text._ZN7rocprim17ROCPRIM_400000_NS6detail17trampoline_kernelINS0_14default_configENS1_27scan_by_key_config_selectorIisEEZZNS1_16scan_by_key_implILNS1_25lookback_scan_determinismE0ELb0ES3_N6thrust23THRUST_200600_302600_NS6detail15normal_iteratorINS9_10device_ptrIiEEEENSB_INSC_IsEEEESG_sNS9_4plusIvEENS9_8equal_toIvEEsEE10hipError_tPvRmT2_T3_T4_T5_mT6_T7_P12ihipStream_tbENKUlT_T0_E_clISt17integral_constantIbLb0EES10_IbLb1EEEEDaSW_SX_EUlSW_E_NS1_11comp_targetILNS1_3genE4ELNS1_11target_archE910ELNS1_3gpuE8ELNS1_3repE0EEENS1_30default_config_static_selectorELNS0_4arch9wavefront6targetE0EEEvT1_,"axG",@progbits,_ZN7rocprim17ROCPRIM_400000_NS6detail17trampoline_kernelINS0_14default_configENS1_27scan_by_key_config_selectorIisEEZZNS1_16scan_by_key_implILNS1_25lookback_scan_determinismE0ELb0ES3_N6thrust23THRUST_200600_302600_NS6detail15normal_iteratorINS9_10device_ptrIiEEEENSB_INSC_IsEEEESG_sNS9_4plusIvEENS9_8equal_toIvEEsEE10hipError_tPvRmT2_T3_T4_T5_mT6_T7_P12ihipStream_tbENKUlT_T0_E_clISt17integral_constantIbLb0EES10_IbLb1EEEEDaSW_SX_EUlSW_E_NS1_11comp_targetILNS1_3genE4ELNS1_11target_archE910ELNS1_3gpuE8ELNS1_3repE0EEENS1_30default_config_static_selectorELNS0_4arch9wavefront6targetE0EEEvT1_,comdat
.Lfunc_end1385:
	.size	_ZN7rocprim17ROCPRIM_400000_NS6detail17trampoline_kernelINS0_14default_configENS1_27scan_by_key_config_selectorIisEEZZNS1_16scan_by_key_implILNS1_25lookback_scan_determinismE0ELb0ES3_N6thrust23THRUST_200600_302600_NS6detail15normal_iteratorINS9_10device_ptrIiEEEENSB_INSC_IsEEEESG_sNS9_4plusIvEENS9_8equal_toIvEEsEE10hipError_tPvRmT2_T3_T4_T5_mT6_T7_P12ihipStream_tbENKUlT_T0_E_clISt17integral_constantIbLb0EES10_IbLb1EEEEDaSW_SX_EUlSW_E_NS1_11comp_targetILNS1_3genE4ELNS1_11target_archE910ELNS1_3gpuE8ELNS1_3repE0EEENS1_30default_config_static_selectorELNS0_4arch9wavefront6targetE0EEEvT1_, .Lfunc_end1385-_ZN7rocprim17ROCPRIM_400000_NS6detail17trampoline_kernelINS0_14default_configENS1_27scan_by_key_config_selectorIisEEZZNS1_16scan_by_key_implILNS1_25lookback_scan_determinismE0ELb0ES3_N6thrust23THRUST_200600_302600_NS6detail15normal_iteratorINS9_10device_ptrIiEEEENSB_INSC_IsEEEESG_sNS9_4plusIvEENS9_8equal_toIvEEsEE10hipError_tPvRmT2_T3_T4_T5_mT6_T7_P12ihipStream_tbENKUlT_T0_E_clISt17integral_constantIbLb0EES10_IbLb1EEEEDaSW_SX_EUlSW_E_NS1_11comp_targetILNS1_3genE4ELNS1_11target_archE910ELNS1_3gpuE8ELNS1_3repE0EEENS1_30default_config_static_selectorELNS0_4arch9wavefront6targetE0EEEvT1_
                                        ; -- End function
	.set _ZN7rocprim17ROCPRIM_400000_NS6detail17trampoline_kernelINS0_14default_configENS1_27scan_by_key_config_selectorIisEEZZNS1_16scan_by_key_implILNS1_25lookback_scan_determinismE0ELb0ES3_N6thrust23THRUST_200600_302600_NS6detail15normal_iteratorINS9_10device_ptrIiEEEENSB_INSC_IsEEEESG_sNS9_4plusIvEENS9_8equal_toIvEEsEE10hipError_tPvRmT2_T3_T4_T5_mT6_T7_P12ihipStream_tbENKUlT_T0_E_clISt17integral_constantIbLb0EES10_IbLb1EEEEDaSW_SX_EUlSW_E_NS1_11comp_targetILNS1_3genE4ELNS1_11target_archE910ELNS1_3gpuE8ELNS1_3repE0EEENS1_30default_config_static_selectorELNS0_4arch9wavefront6targetE0EEEvT1_.num_vgpr, 0
	.set _ZN7rocprim17ROCPRIM_400000_NS6detail17trampoline_kernelINS0_14default_configENS1_27scan_by_key_config_selectorIisEEZZNS1_16scan_by_key_implILNS1_25lookback_scan_determinismE0ELb0ES3_N6thrust23THRUST_200600_302600_NS6detail15normal_iteratorINS9_10device_ptrIiEEEENSB_INSC_IsEEEESG_sNS9_4plusIvEENS9_8equal_toIvEEsEE10hipError_tPvRmT2_T3_T4_T5_mT6_T7_P12ihipStream_tbENKUlT_T0_E_clISt17integral_constantIbLb0EES10_IbLb1EEEEDaSW_SX_EUlSW_E_NS1_11comp_targetILNS1_3genE4ELNS1_11target_archE910ELNS1_3gpuE8ELNS1_3repE0EEENS1_30default_config_static_selectorELNS0_4arch9wavefront6targetE0EEEvT1_.num_agpr, 0
	.set _ZN7rocprim17ROCPRIM_400000_NS6detail17trampoline_kernelINS0_14default_configENS1_27scan_by_key_config_selectorIisEEZZNS1_16scan_by_key_implILNS1_25lookback_scan_determinismE0ELb0ES3_N6thrust23THRUST_200600_302600_NS6detail15normal_iteratorINS9_10device_ptrIiEEEENSB_INSC_IsEEEESG_sNS9_4plusIvEENS9_8equal_toIvEEsEE10hipError_tPvRmT2_T3_T4_T5_mT6_T7_P12ihipStream_tbENKUlT_T0_E_clISt17integral_constantIbLb0EES10_IbLb1EEEEDaSW_SX_EUlSW_E_NS1_11comp_targetILNS1_3genE4ELNS1_11target_archE910ELNS1_3gpuE8ELNS1_3repE0EEENS1_30default_config_static_selectorELNS0_4arch9wavefront6targetE0EEEvT1_.numbered_sgpr, 0
	.set _ZN7rocprim17ROCPRIM_400000_NS6detail17trampoline_kernelINS0_14default_configENS1_27scan_by_key_config_selectorIisEEZZNS1_16scan_by_key_implILNS1_25lookback_scan_determinismE0ELb0ES3_N6thrust23THRUST_200600_302600_NS6detail15normal_iteratorINS9_10device_ptrIiEEEENSB_INSC_IsEEEESG_sNS9_4plusIvEENS9_8equal_toIvEEsEE10hipError_tPvRmT2_T3_T4_T5_mT6_T7_P12ihipStream_tbENKUlT_T0_E_clISt17integral_constantIbLb0EES10_IbLb1EEEEDaSW_SX_EUlSW_E_NS1_11comp_targetILNS1_3genE4ELNS1_11target_archE910ELNS1_3gpuE8ELNS1_3repE0EEENS1_30default_config_static_selectorELNS0_4arch9wavefront6targetE0EEEvT1_.num_named_barrier, 0
	.set _ZN7rocprim17ROCPRIM_400000_NS6detail17trampoline_kernelINS0_14default_configENS1_27scan_by_key_config_selectorIisEEZZNS1_16scan_by_key_implILNS1_25lookback_scan_determinismE0ELb0ES3_N6thrust23THRUST_200600_302600_NS6detail15normal_iteratorINS9_10device_ptrIiEEEENSB_INSC_IsEEEESG_sNS9_4plusIvEENS9_8equal_toIvEEsEE10hipError_tPvRmT2_T3_T4_T5_mT6_T7_P12ihipStream_tbENKUlT_T0_E_clISt17integral_constantIbLb0EES10_IbLb1EEEEDaSW_SX_EUlSW_E_NS1_11comp_targetILNS1_3genE4ELNS1_11target_archE910ELNS1_3gpuE8ELNS1_3repE0EEENS1_30default_config_static_selectorELNS0_4arch9wavefront6targetE0EEEvT1_.private_seg_size, 0
	.set _ZN7rocprim17ROCPRIM_400000_NS6detail17trampoline_kernelINS0_14default_configENS1_27scan_by_key_config_selectorIisEEZZNS1_16scan_by_key_implILNS1_25lookback_scan_determinismE0ELb0ES3_N6thrust23THRUST_200600_302600_NS6detail15normal_iteratorINS9_10device_ptrIiEEEENSB_INSC_IsEEEESG_sNS9_4plusIvEENS9_8equal_toIvEEsEE10hipError_tPvRmT2_T3_T4_T5_mT6_T7_P12ihipStream_tbENKUlT_T0_E_clISt17integral_constantIbLb0EES10_IbLb1EEEEDaSW_SX_EUlSW_E_NS1_11comp_targetILNS1_3genE4ELNS1_11target_archE910ELNS1_3gpuE8ELNS1_3repE0EEENS1_30default_config_static_selectorELNS0_4arch9wavefront6targetE0EEEvT1_.uses_vcc, 0
	.set _ZN7rocprim17ROCPRIM_400000_NS6detail17trampoline_kernelINS0_14default_configENS1_27scan_by_key_config_selectorIisEEZZNS1_16scan_by_key_implILNS1_25lookback_scan_determinismE0ELb0ES3_N6thrust23THRUST_200600_302600_NS6detail15normal_iteratorINS9_10device_ptrIiEEEENSB_INSC_IsEEEESG_sNS9_4plusIvEENS9_8equal_toIvEEsEE10hipError_tPvRmT2_T3_T4_T5_mT6_T7_P12ihipStream_tbENKUlT_T0_E_clISt17integral_constantIbLb0EES10_IbLb1EEEEDaSW_SX_EUlSW_E_NS1_11comp_targetILNS1_3genE4ELNS1_11target_archE910ELNS1_3gpuE8ELNS1_3repE0EEENS1_30default_config_static_selectorELNS0_4arch9wavefront6targetE0EEEvT1_.uses_flat_scratch, 0
	.set _ZN7rocprim17ROCPRIM_400000_NS6detail17trampoline_kernelINS0_14default_configENS1_27scan_by_key_config_selectorIisEEZZNS1_16scan_by_key_implILNS1_25lookback_scan_determinismE0ELb0ES3_N6thrust23THRUST_200600_302600_NS6detail15normal_iteratorINS9_10device_ptrIiEEEENSB_INSC_IsEEEESG_sNS9_4plusIvEENS9_8equal_toIvEEsEE10hipError_tPvRmT2_T3_T4_T5_mT6_T7_P12ihipStream_tbENKUlT_T0_E_clISt17integral_constantIbLb0EES10_IbLb1EEEEDaSW_SX_EUlSW_E_NS1_11comp_targetILNS1_3genE4ELNS1_11target_archE910ELNS1_3gpuE8ELNS1_3repE0EEENS1_30default_config_static_selectorELNS0_4arch9wavefront6targetE0EEEvT1_.has_dyn_sized_stack, 0
	.set _ZN7rocprim17ROCPRIM_400000_NS6detail17trampoline_kernelINS0_14default_configENS1_27scan_by_key_config_selectorIisEEZZNS1_16scan_by_key_implILNS1_25lookback_scan_determinismE0ELb0ES3_N6thrust23THRUST_200600_302600_NS6detail15normal_iteratorINS9_10device_ptrIiEEEENSB_INSC_IsEEEESG_sNS9_4plusIvEENS9_8equal_toIvEEsEE10hipError_tPvRmT2_T3_T4_T5_mT6_T7_P12ihipStream_tbENKUlT_T0_E_clISt17integral_constantIbLb0EES10_IbLb1EEEEDaSW_SX_EUlSW_E_NS1_11comp_targetILNS1_3genE4ELNS1_11target_archE910ELNS1_3gpuE8ELNS1_3repE0EEENS1_30default_config_static_selectorELNS0_4arch9wavefront6targetE0EEEvT1_.has_recursion, 0
	.set _ZN7rocprim17ROCPRIM_400000_NS6detail17trampoline_kernelINS0_14default_configENS1_27scan_by_key_config_selectorIisEEZZNS1_16scan_by_key_implILNS1_25lookback_scan_determinismE0ELb0ES3_N6thrust23THRUST_200600_302600_NS6detail15normal_iteratorINS9_10device_ptrIiEEEENSB_INSC_IsEEEESG_sNS9_4plusIvEENS9_8equal_toIvEEsEE10hipError_tPvRmT2_T3_T4_T5_mT6_T7_P12ihipStream_tbENKUlT_T0_E_clISt17integral_constantIbLb0EES10_IbLb1EEEEDaSW_SX_EUlSW_E_NS1_11comp_targetILNS1_3genE4ELNS1_11target_archE910ELNS1_3gpuE8ELNS1_3repE0EEENS1_30default_config_static_selectorELNS0_4arch9wavefront6targetE0EEEvT1_.has_indirect_call, 0
	.section	.AMDGPU.csdata,"",@progbits
; Kernel info:
; codeLenInByte = 0
; TotalNumSgprs: 0
; NumVgprs: 0
; ScratchSize: 0
; MemoryBound: 0
; FloatMode: 240
; IeeeMode: 1
; LDSByteSize: 0 bytes/workgroup (compile time only)
; SGPRBlocks: 0
; VGPRBlocks: 0
; NumSGPRsForWavesPerEU: 1
; NumVGPRsForWavesPerEU: 1
; NamedBarCnt: 0
; Occupancy: 16
; WaveLimiterHint : 0
; COMPUTE_PGM_RSRC2:SCRATCH_EN: 0
; COMPUTE_PGM_RSRC2:USER_SGPR: 2
; COMPUTE_PGM_RSRC2:TRAP_HANDLER: 0
; COMPUTE_PGM_RSRC2:TGID_X_EN: 1
; COMPUTE_PGM_RSRC2:TGID_Y_EN: 0
; COMPUTE_PGM_RSRC2:TGID_Z_EN: 0
; COMPUTE_PGM_RSRC2:TIDIG_COMP_CNT: 0
	.section	.text._ZN7rocprim17ROCPRIM_400000_NS6detail17trampoline_kernelINS0_14default_configENS1_27scan_by_key_config_selectorIisEEZZNS1_16scan_by_key_implILNS1_25lookback_scan_determinismE0ELb0ES3_N6thrust23THRUST_200600_302600_NS6detail15normal_iteratorINS9_10device_ptrIiEEEENSB_INSC_IsEEEESG_sNS9_4plusIvEENS9_8equal_toIvEEsEE10hipError_tPvRmT2_T3_T4_T5_mT6_T7_P12ihipStream_tbENKUlT_T0_E_clISt17integral_constantIbLb0EES10_IbLb1EEEEDaSW_SX_EUlSW_E_NS1_11comp_targetILNS1_3genE3ELNS1_11target_archE908ELNS1_3gpuE7ELNS1_3repE0EEENS1_30default_config_static_selectorELNS0_4arch9wavefront6targetE0EEEvT1_,"axG",@progbits,_ZN7rocprim17ROCPRIM_400000_NS6detail17trampoline_kernelINS0_14default_configENS1_27scan_by_key_config_selectorIisEEZZNS1_16scan_by_key_implILNS1_25lookback_scan_determinismE0ELb0ES3_N6thrust23THRUST_200600_302600_NS6detail15normal_iteratorINS9_10device_ptrIiEEEENSB_INSC_IsEEEESG_sNS9_4plusIvEENS9_8equal_toIvEEsEE10hipError_tPvRmT2_T3_T4_T5_mT6_T7_P12ihipStream_tbENKUlT_T0_E_clISt17integral_constantIbLb0EES10_IbLb1EEEEDaSW_SX_EUlSW_E_NS1_11comp_targetILNS1_3genE3ELNS1_11target_archE908ELNS1_3gpuE7ELNS1_3repE0EEENS1_30default_config_static_selectorELNS0_4arch9wavefront6targetE0EEEvT1_,comdat
	.protected	_ZN7rocprim17ROCPRIM_400000_NS6detail17trampoline_kernelINS0_14default_configENS1_27scan_by_key_config_selectorIisEEZZNS1_16scan_by_key_implILNS1_25lookback_scan_determinismE0ELb0ES3_N6thrust23THRUST_200600_302600_NS6detail15normal_iteratorINS9_10device_ptrIiEEEENSB_INSC_IsEEEESG_sNS9_4plusIvEENS9_8equal_toIvEEsEE10hipError_tPvRmT2_T3_T4_T5_mT6_T7_P12ihipStream_tbENKUlT_T0_E_clISt17integral_constantIbLb0EES10_IbLb1EEEEDaSW_SX_EUlSW_E_NS1_11comp_targetILNS1_3genE3ELNS1_11target_archE908ELNS1_3gpuE7ELNS1_3repE0EEENS1_30default_config_static_selectorELNS0_4arch9wavefront6targetE0EEEvT1_ ; -- Begin function _ZN7rocprim17ROCPRIM_400000_NS6detail17trampoline_kernelINS0_14default_configENS1_27scan_by_key_config_selectorIisEEZZNS1_16scan_by_key_implILNS1_25lookback_scan_determinismE0ELb0ES3_N6thrust23THRUST_200600_302600_NS6detail15normal_iteratorINS9_10device_ptrIiEEEENSB_INSC_IsEEEESG_sNS9_4plusIvEENS9_8equal_toIvEEsEE10hipError_tPvRmT2_T3_T4_T5_mT6_T7_P12ihipStream_tbENKUlT_T0_E_clISt17integral_constantIbLb0EES10_IbLb1EEEEDaSW_SX_EUlSW_E_NS1_11comp_targetILNS1_3genE3ELNS1_11target_archE908ELNS1_3gpuE7ELNS1_3repE0EEENS1_30default_config_static_selectorELNS0_4arch9wavefront6targetE0EEEvT1_
	.globl	_ZN7rocprim17ROCPRIM_400000_NS6detail17trampoline_kernelINS0_14default_configENS1_27scan_by_key_config_selectorIisEEZZNS1_16scan_by_key_implILNS1_25lookback_scan_determinismE0ELb0ES3_N6thrust23THRUST_200600_302600_NS6detail15normal_iteratorINS9_10device_ptrIiEEEENSB_INSC_IsEEEESG_sNS9_4plusIvEENS9_8equal_toIvEEsEE10hipError_tPvRmT2_T3_T4_T5_mT6_T7_P12ihipStream_tbENKUlT_T0_E_clISt17integral_constantIbLb0EES10_IbLb1EEEEDaSW_SX_EUlSW_E_NS1_11comp_targetILNS1_3genE3ELNS1_11target_archE908ELNS1_3gpuE7ELNS1_3repE0EEENS1_30default_config_static_selectorELNS0_4arch9wavefront6targetE0EEEvT1_
	.p2align	8
	.type	_ZN7rocprim17ROCPRIM_400000_NS6detail17trampoline_kernelINS0_14default_configENS1_27scan_by_key_config_selectorIisEEZZNS1_16scan_by_key_implILNS1_25lookback_scan_determinismE0ELb0ES3_N6thrust23THRUST_200600_302600_NS6detail15normal_iteratorINS9_10device_ptrIiEEEENSB_INSC_IsEEEESG_sNS9_4plusIvEENS9_8equal_toIvEEsEE10hipError_tPvRmT2_T3_T4_T5_mT6_T7_P12ihipStream_tbENKUlT_T0_E_clISt17integral_constantIbLb0EES10_IbLb1EEEEDaSW_SX_EUlSW_E_NS1_11comp_targetILNS1_3genE3ELNS1_11target_archE908ELNS1_3gpuE7ELNS1_3repE0EEENS1_30default_config_static_selectorELNS0_4arch9wavefront6targetE0EEEvT1_,@function
_ZN7rocprim17ROCPRIM_400000_NS6detail17trampoline_kernelINS0_14default_configENS1_27scan_by_key_config_selectorIisEEZZNS1_16scan_by_key_implILNS1_25lookback_scan_determinismE0ELb0ES3_N6thrust23THRUST_200600_302600_NS6detail15normal_iteratorINS9_10device_ptrIiEEEENSB_INSC_IsEEEESG_sNS9_4plusIvEENS9_8equal_toIvEEsEE10hipError_tPvRmT2_T3_T4_T5_mT6_T7_P12ihipStream_tbENKUlT_T0_E_clISt17integral_constantIbLb0EES10_IbLb1EEEEDaSW_SX_EUlSW_E_NS1_11comp_targetILNS1_3genE3ELNS1_11target_archE908ELNS1_3gpuE7ELNS1_3repE0EEENS1_30default_config_static_selectorELNS0_4arch9wavefront6targetE0EEEvT1_: ; @_ZN7rocprim17ROCPRIM_400000_NS6detail17trampoline_kernelINS0_14default_configENS1_27scan_by_key_config_selectorIisEEZZNS1_16scan_by_key_implILNS1_25lookback_scan_determinismE0ELb0ES3_N6thrust23THRUST_200600_302600_NS6detail15normal_iteratorINS9_10device_ptrIiEEEENSB_INSC_IsEEEESG_sNS9_4plusIvEENS9_8equal_toIvEEsEE10hipError_tPvRmT2_T3_T4_T5_mT6_T7_P12ihipStream_tbENKUlT_T0_E_clISt17integral_constantIbLb0EES10_IbLb1EEEEDaSW_SX_EUlSW_E_NS1_11comp_targetILNS1_3genE3ELNS1_11target_archE908ELNS1_3gpuE7ELNS1_3repE0EEENS1_30default_config_static_selectorELNS0_4arch9wavefront6targetE0EEEvT1_
; %bb.0:
	.section	.rodata,"a",@progbits
	.p2align	6, 0x0
	.amdhsa_kernel _ZN7rocprim17ROCPRIM_400000_NS6detail17trampoline_kernelINS0_14default_configENS1_27scan_by_key_config_selectorIisEEZZNS1_16scan_by_key_implILNS1_25lookback_scan_determinismE0ELb0ES3_N6thrust23THRUST_200600_302600_NS6detail15normal_iteratorINS9_10device_ptrIiEEEENSB_INSC_IsEEEESG_sNS9_4plusIvEENS9_8equal_toIvEEsEE10hipError_tPvRmT2_T3_T4_T5_mT6_T7_P12ihipStream_tbENKUlT_T0_E_clISt17integral_constantIbLb0EES10_IbLb1EEEEDaSW_SX_EUlSW_E_NS1_11comp_targetILNS1_3genE3ELNS1_11target_archE908ELNS1_3gpuE7ELNS1_3repE0EEENS1_30default_config_static_selectorELNS0_4arch9wavefront6targetE0EEEvT1_
		.amdhsa_group_segment_fixed_size 0
		.amdhsa_private_segment_fixed_size 0
		.amdhsa_kernarg_size 112
		.amdhsa_user_sgpr_count 2
		.amdhsa_user_sgpr_dispatch_ptr 0
		.amdhsa_user_sgpr_queue_ptr 0
		.amdhsa_user_sgpr_kernarg_segment_ptr 1
		.amdhsa_user_sgpr_dispatch_id 0
		.amdhsa_user_sgpr_kernarg_preload_length 0
		.amdhsa_user_sgpr_kernarg_preload_offset 0
		.amdhsa_user_sgpr_private_segment_size 0
		.amdhsa_wavefront_size32 1
		.amdhsa_uses_dynamic_stack 0
		.amdhsa_enable_private_segment 0
		.amdhsa_system_sgpr_workgroup_id_x 1
		.amdhsa_system_sgpr_workgroup_id_y 0
		.amdhsa_system_sgpr_workgroup_id_z 0
		.amdhsa_system_sgpr_workgroup_info 0
		.amdhsa_system_vgpr_workitem_id 0
		.amdhsa_next_free_vgpr 1
		.amdhsa_next_free_sgpr 1
		.amdhsa_named_barrier_count 0
		.amdhsa_reserve_vcc 0
		.amdhsa_float_round_mode_32 0
		.amdhsa_float_round_mode_16_64 0
		.amdhsa_float_denorm_mode_32 3
		.amdhsa_float_denorm_mode_16_64 3
		.amdhsa_fp16_overflow 0
		.amdhsa_memory_ordered 1
		.amdhsa_forward_progress 1
		.amdhsa_inst_pref_size 0
		.amdhsa_round_robin_scheduling 0
		.amdhsa_exception_fp_ieee_invalid_op 0
		.amdhsa_exception_fp_denorm_src 0
		.amdhsa_exception_fp_ieee_div_zero 0
		.amdhsa_exception_fp_ieee_overflow 0
		.amdhsa_exception_fp_ieee_underflow 0
		.amdhsa_exception_fp_ieee_inexact 0
		.amdhsa_exception_int_div_zero 0
	.end_amdhsa_kernel
	.section	.text._ZN7rocprim17ROCPRIM_400000_NS6detail17trampoline_kernelINS0_14default_configENS1_27scan_by_key_config_selectorIisEEZZNS1_16scan_by_key_implILNS1_25lookback_scan_determinismE0ELb0ES3_N6thrust23THRUST_200600_302600_NS6detail15normal_iteratorINS9_10device_ptrIiEEEENSB_INSC_IsEEEESG_sNS9_4plusIvEENS9_8equal_toIvEEsEE10hipError_tPvRmT2_T3_T4_T5_mT6_T7_P12ihipStream_tbENKUlT_T0_E_clISt17integral_constantIbLb0EES10_IbLb1EEEEDaSW_SX_EUlSW_E_NS1_11comp_targetILNS1_3genE3ELNS1_11target_archE908ELNS1_3gpuE7ELNS1_3repE0EEENS1_30default_config_static_selectorELNS0_4arch9wavefront6targetE0EEEvT1_,"axG",@progbits,_ZN7rocprim17ROCPRIM_400000_NS6detail17trampoline_kernelINS0_14default_configENS1_27scan_by_key_config_selectorIisEEZZNS1_16scan_by_key_implILNS1_25lookback_scan_determinismE0ELb0ES3_N6thrust23THRUST_200600_302600_NS6detail15normal_iteratorINS9_10device_ptrIiEEEENSB_INSC_IsEEEESG_sNS9_4plusIvEENS9_8equal_toIvEEsEE10hipError_tPvRmT2_T3_T4_T5_mT6_T7_P12ihipStream_tbENKUlT_T0_E_clISt17integral_constantIbLb0EES10_IbLb1EEEEDaSW_SX_EUlSW_E_NS1_11comp_targetILNS1_3genE3ELNS1_11target_archE908ELNS1_3gpuE7ELNS1_3repE0EEENS1_30default_config_static_selectorELNS0_4arch9wavefront6targetE0EEEvT1_,comdat
.Lfunc_end1386:
	.size	_ZN7rocprim17ROCPRIM_400000_NS6detail17trampoline_kernelINS0_14default_configENS1_27scan_by_key_config_selectorIisEEZZNS1_16scan_by_key_implILNS1_25lookback_scan_determinismE0ELb0ES3_N6thrust23THRUST_200600_302600_NS6detail15normal_iteratorINS9_10device_ptrIiEEEENSB_INSC_IsEEEESG_sNS9_4plusIvEENS9_8equal_toIvEEsEE10hipError_tPvRmT2_T3_T4_T5_mT6_T7_P12ihipStream_tbENKUlT_T0_E_clISt17integral_constantIbLb0EES10_IbLb1EEEEDaSW_SX_EUlSW_E_NS1_11comp_targetILNS1_3genE3ELNS1_11target_archE908ELNS1_3gpuE7ELNS1_3repE0EEENS1_30default_config_static_selectorELNS0_4arch9wavefront6targetE0EEEvT1_, .Lfunc_end1386-_ZN7rocprim17ROCPRIM_400000_NS6detail17trampoline_kernelINS0_14default_configENS1_27scan_by_key_config_selectorIisEEZZNS1_16scan_by_key_implILNS1_25lookback_scan_determinismE0ELb0ES3_N6thrust23THRUST_200600_302600_NS6detail15normal_iteratorINS9_10device_ptrIiEEEENSB_INSC_IsEEEESG_sNS9_4plusIvEENS9_8equal_toIvEEsEE10hipError_tPvRmT2_T3_T4_T5_mT6_T7_P12ihipStream_tbENKUlT_T0_E_clISt17integral_constantIbLb0EES10_IbLb1EEEEDaSW_SX_EUlSW_E_NS1_11comp_targetILNS1_3genE3ELNS1_11target_archE908ELNS1_3gpuE7ELNS1_3repE0EEENS1_30default_config_static_selectorELNS0_4arch9wavefront6targetE0EEEvT1_
                                        ; -- End function
	.set _ZN7rocprim17ROCPRIM_400000_NS6detail17trampoline_kernelINS0_14default_configENS1_27scan_by_key_config_selectorIisEEZZNS1_16scan_by_key_implILNS1_25lookback_scan_determinismE0ELb0ES3_N6thrust23THRUST_200600_302600_NS6detail15normal_iteratorINS9_10device_ptrIiEEEENSB_INSC_IsEEEESG_sNS9_4plusIvEENS9_8equal_toIvEEsEE10hipError_tPvRmT2_T3_T4_T5_mT6_T7_P12ihipStream_tbENKUlT_T0_E_clISt17integral_constantIbLb0EES10_IbLb1EEEEDaSW_SX_EUlSW_E_NS1_11comp_targetILNS1_3genE3ELNS1_11target_archE908ELNS1_3gpuE7ELNS1_3repE0EEENS1_30default_config_static_selectorELNS0_4arch9wavefront6targetE0EEEvT1_.num_vgpr, 0
	.set _ZN7rocprim17ROCPRIM_400000_NS6detail17trampoline_kernelINS0_14default_configENS1_27scan_by_key_config_selectorIisEEZZNS1_16scan_by_key_implILNS1_25lookback_scan_determinismE0ELb0ES3_N6thrust23THRUST_200600_302600_NS6detail15normal_iteratorINS9_10device_ptrIiEEEENSB_INSC_IsEEEESG_sNS9_4plusIvEENS9_8equal_toIvEEsEE10hipError_tPvRmT2_T3_T4_T5_mT6_T7_P12ihipStream_tbENKUlT_T0_E_clISt17integral_constantIbLb0EES10_IbLb1EEEEDaSW_SX_EUlSW_E_NS1_11comp_targetILNS1_3genE3ELNS1_11target_archE908ELNS1_3gpuE7ELNS1_3repE0EEENS1_30default_config_static_selectorELNS0_4arch9wavefront6targetE0EEEvT1_.num_agpr, 0
	.set _ZN7rocprim17ROCPRIM_400000_NS6detail17trampoline_kernelINS0_14default_configENS1_27scan_by_key_config_selectorIisEEZZNS1_16scan_by_key_implILNS1_25lookback_scan_determinismE0ELb0ES3_N6thrust23THRUST_200600_302600_NS6detail15normal_iteratorINS9_10device_ptrIiEEEENSB_INSC_IsEEEESG_sNS9_4plusIvEENS9_8equal_toIvEEsEE10hipError_tPvRmT2_T3_T4_T5_mT6_T7_P12ihipStream_tbENKUlT_T0_E_clISt17integral_constantIbLb0EES10_IbLb1EEEEDaSW_SX_EUlSW_E_NS1_11comp_targetILNS1_3genE3ELNS1_11target_archE908ELNS1_3gpuE7ELNS1_3repE0EEENS1_30default_config_static_selectorELNS0_4arch9wavefront6targetE0EEEvT1_.numbered_sgpr, 0
	.set _ZN7rocprim17ROCPRIM_400000_NS6detail17trampoline_kernelINS0_14default_configENS1_27scan_by_key_config_selectorIisEEZZNS1_16scan_by_key_implILNS1_25lookback_scan_determinismE0ELb0ES3_N6thrust23THRUST_200600_302600_NS6detail15normal_iteratorINS9_10device_ptrIiEEEENSB_INSC_IsEEEESG_sNS9_4plusIvEENS9_8equal_toIvEEsEE10hipError_tPvRmT2_T3_T4_T5_mT6_T7_P12ihipStream_tbENKUlT_T0_E_clISt17integral_constantIbLb0EES10_IbLb1EEEEDaSW_SX_EUlSW_E_NS1_11comp_targetILNS1_3genE3ELNS1_11target_archE908ELNS1_3gpuE7ELNS1_3repE0EEENS1_30default_config_static_selectorELNS0_4arch9wavefront6targetE0EEEvT1_.num_named_barrier, 0
	.set _ZN7rocprim17ROCPRIM_400000_NS6detail17trampoline_kernelINS0_14default_configENS1_27scan_by_key_config_selectorIisEEZZNS1_16scan_by_key_implILNS1_25lookback_scan_determinismE0ELb0ES3_N6thrust23THRUST_200600_302600_NS6detail15normal_iteratorINS9_10device_ptrIiEEEENSB_INSC_IsEEEESG_sNS9_4plusIvEENS9_8equal_toIvEEsEE10hipError_tPvRmT2_T3_T4_T5_mT6_T7_P12ihipStream_tbENKUlT_T0_E_clISt17integral_constantIbLb0EES10_IbLb1EEEEDaSW_SX_EUlSW_E_NS1_11comp_targetILNS1_3genE3ELNS1_11target_archE908ELNS1_3gpuE7ELNS1_3repE0EEENS1_30default_config_static_selectorELNS0_4arch9wavefront6targetE0EEEvT1_.private_seg_size, 0
	.set _ZN7rocprim17ROCPRIM_400000_NS6detail17trampoline_kernelINS0_14default_configENS1_27scan_by_key_config_selectorIisEEZZNS1_16scan_by_key_implILNS1_25lookback_scan_determinismE0ELb0ES3_N6thrust23THRUST_200600_302600_NS6detail15normal_iteratorINS9_10device_ptrIiEEEENSB_INSC_IsEEEESG_sNS9_4plusIvEENS9_8equal_toIvEEsEE10hipError_tPvRmT2_T3_T4_T5_mT6_T7_P12ihipStream_tbENKUlT_T0_E_clISt17integral_constantIbLb0EES10_IbLb1EEEEDaSW_SX_EUlSW_E_NS1_11comp_targetILNS1_3genE3ELNS1_11target_archE908ELNS1_3gpuE7ELNS1_3repE0EEENS1_30default_config_static_selectorELNS0_4arch9wavefront6targetE0EEEvT1_.uses_vcc, 0
	.set _ZN7rocprim17ROCPRIM_400000_NS6detail17trampoline_kernelINS0_14default_configENS1_27scan_by_key_config_selectorIisEEZZNS1_16scan_by_key_implILNS1_25lookback_scan_determinismE0ELb0ES3_N6thrust23THRUST_200600_302600_NS6detail15normal_iteratorINS9_10device_ptrIiEEEENSB_INSC_IsEEEESG_sNS9_4plusIvEENS9_8equal_toIvEEsEE10hipError_tPvRmT2_T3_T4_T5_mT6_T7_P12ihipStream_tbENKUlT_T0_E_clISt17integral_constantIbLb0EES10_IbLb1EEEEDaSW_SX_EUlSW_E_NS1_11comp_targetILNS1_3genE3ELNS1_11target_archE908ELNS1_3gpuE7ELNS1_3repE0EEENS1_30default_config_static_selectorELNS0_4arch9wavefront6targetE0EEEvT1_.uses_flat_scratch, 0
	.set _ZN7rocprim17ROCPRIM_400000_NS6detail17trampoline_kernelINS0_14default_configENS1_27scan_by_key_config_selectorIisEEZZNS1_16scan_by_key_implILNS1_25lookback_scan_determinismE0ELb0ES3_N6thrust23THRUST_200600_302600_NS6detail15normal_iteratorINS9_10device_ptrIiEEEENSB_INSC_IsEEEESG_sNS9_4plusIvEENS9_8equal_toIvEEsEE10hipError_tPvRmT2_T3_T4_T5_mT6_T7_P12ihipStream_tbENKUlT_T0_E_clISt17integral_constantIbLb0EES10_IbLb1EEEEDaSW_SX_EUlSW_E_NS1_11comp_targetILNS1_3genE3ELNS1_11target_archE908ELNS1_3gpuE7ELNS1_3repE0EEENS1_30default_config_static_selectorELNS0_4arch9wavefront6targetE0EEEvT1_.has_dyn_sized_stack, 0
	.set _ZN7rocprim17ROCPRIM_400000_NS6detail17trampoline_kernelINS0_14default_configENS1_27scan_by_key_config_selectorIisEEZZNS1_16scan_by_key_implILNS1_25lookback_scan_determinismE0ELb0ES3_N6thrust23THRUST_200600_302600_NS6detail15normal_iteratorINS9_10device_ptrIiEEEENSB_INSC_IsEEEESG_sNS9_4plusIvEENS9_8equal_toIvEEsEE10hipError_tPvRmT2_T3_T4_T5_mT6_T7_P12ihipStream_tbENKUlT_T0_E_clISt17integral_constantIbLb0EES10_IbLb1EEEEDaSW_SX_EUlSW_E_NS1_11comp_targetILNS1_3genE3ELNS1_11target_archE908ELNS1_3gpuE7ELNS1_3repE0EEENS1_30default_config_static_selectorELNS0_4arch9wavefront6targetE0EEEvT1_.has_recursion, 0
	.set _ZN7rocprim17ROCPRIM_400000_NS6detail17trampoline_kernelINS0_14default_configENS1_27scan_by_key_config_selectorIisEEZZNS1_16scan_by_key_implILNS1_25lookback_scan_determinismE0ELb0ES3_N6thrust23THRUST_200600_302600_NS6detail15normal_iteratorINS9_10device_ptrIiEEEENSB_INSC_IsEEEESG_sNS9_4plusIvEENS9_8equal_toIvEEsEE10hipError_tPvRmT2_T3_T4_T5_mT6_T7_P12ihipStream_tbENKUlT_T0_E_clISt17integral_constantIbLb0EES10_IbLb1EEEEDaSW_SX_EUlSW_E_NS1_11comp_targetILNS1_3genE3ELNS1_11target_archE908ELNS1_3gpuE7ELNS1_3repE0EEENS1_30default_config_static_selectorELNS0_4arch9wavefront6targetE0EEEvT1_.has_indirect_call, 0
	.section	.AMDGPU.csdata,"",@progbits
; Kernel info:
; codeLenInByte = 0
; TotalNumSgprs: 0
; NumVgprs: 0
; ScratchSize: 0
; MemoryBound: 0
; FloatMode: 240
; IeeeMode: 1
; LDSByteSize: 0 bytes/workgroup (compile time only)
; SGPRBlocks: 0
; VGPRBlocks: 0
; NumSGPRsForWavesPerEU: 1
; NumVGPRsForWavesPerEU: 1
; NamedBarCnt: 0
; Occupancy: 16
; WaveLimiterHint : 0
; COMPUTE_PGM_RSRC2:SCRATCH_EN: 0
; COMPUTE_PGM_RSRC2:USER_SGPR: 2
; COMPUTE_PGM_RSRC2:TRAP_HANDLER: 0
; COMPUTE_PGM_RSRC2:TGID_X_EN: 1
; COMPUTE_PGM_RSRC2:TGID_Y_EN: 0
; COMPUTE_PGM_RSRC2:TGID_Z_EN: 0
; COMPUTE_PGM_RSRC2:TIDIG_COMP_CNT: 0
	.section	.text._ZN7rocprim17ROCPRIM_400000_NS6detail17trampoline_kernelINS0_14default_configENS1_27scan_by_key_config_selectorIisEEZZNS1_16scan_by_key_implILNS1_25lookback_scan_determinismE0ELb0ES3_N6thrust23THRUST_200600_302600_NS6detail15normal_iteratorINS9_10device_ptrIiEEEENSB_INSC_IsEEEESG_sNS9_4plusIvEENS9_8equal_toIvEEsEE10hipError_tPvRmT2_T3_T4_T5_mT6_T7_P12ihipStream_tbENKUlT_T0_E_clISt17integral_constantIbLb0EES10_IbLb1EEEEDaSW_SX_EUlSW_E_NS1_11comp_targetILNS1_3genE2ELNS1_11target_archE906ELNS1_3gpuE6ELNS1_3repE0EEENS1_30default_config_static_selectorELNS0_4arch9wavefront6targetE0EEEvT1_,"axG",@progbits,_ZN7rocprim17ROCPRIM_400000_NS6detail17trampoline_kernelINS0_14default_configENS1_27scan_by_key_config_selectorIisEEZZNS1_16scan_by_key_implILNS1_25lookback_scan_determinismE0ELb0ES3_N6thrust23THRUST_200600_302600_NS6detail15normal_iteratorINS9_10device_ptrIiEEEENSB_INSC_IsEEEESG_sNS9_4plusIvEENS9_8equal_toIvEEsEE10hipError_tPvRmT2_T3_T4_T5_mT6_T7_P12ihipStream_tbENKUlT_T0_E_clISt17integral_constantIbLb0EES10_IbLb1EEEEDaSW_SX_EUlSW_E_NS1_11comp_targetILNS1_3genE2ELNS1_11target_archE906ELNS1_3gpuE6ELNS1_3repE0EEENS1_30default_config_static_selectorELNS0_4arch9wavefront6targetE0EEEvT1_,comdat
	.protected	_ZN7rocprim17ROCPRIM_400000_NS6detail17trampoline_kernelINS0_14default_configENS1_27scan_by_key_config_selectorIisEEZZNS1_16scan_by_key_implILNS1_25lookback_scan_determinismE0ELb0ES3_N6thrust23THRUST_200600_302600_NS6detail15normal_iteratorINS9_10device_ptrIiEEEENSB_INSC_IsEEEESG_sNS9_4plusIvEENS9_8equal_toIvEEsEE10hipError_tPvRmT2_T3_T4_T5_mT6_T7_P12ihipStream_tbENKUlT_T0_E_clISt17integral_constantIbLb0EES10_IbLb1EEEEDaSW_SX_EUlSW_E_NS1_11comp_targetILNS1_3genE2ELNS1_11target_archE906ELNS1_3gpuE6ELNS1_3repE0EEENS1_30default_config_static_selectorELNS0_4arch9wavefront6targetE0EEEvT1_ ; -- Begin function _ZN7rocprim17ROCPRIM_400000_NS6detail17trampoline_kernelINS0_14default_configENS1_27scan_by_key_config_selectorIisEEZZNS1_16scan_by_key_implILNS1_25lookback_scan_determinismE0ELb0ES3_N6thrust23THRUST_200600_302600_NS6detail15normal_iteratorINS9_10device_ptrIiEEEENSB_INSC_IsEEEESG_sNS9_4plusIvEENS9_8equal_toIvEEsEE10hipError_tPvRmT2_T3_T4_T5_mT6_T7_P12ihipStream_tbENKUlT_T0_E_clISt17integral_constantIbLb0EES10_IbLb1EEEEDaSW_SX_EUlSW_E_NS1_11comp_targetILNS1_3genE2ELNS1_11target_archE906ELNS1_3gpuE6ELNS1_3repE0EEENS1_30default_config_static_selectorELNS0_4arch9wavefront6targetE0EEEvT1_
	.globl	_ZN7rocprim17ROCPRIM_400000_NS6detail17trampoline_kernelINS0_14default_configENS1_27scan_by_key_config_selectorIisEEZZNS1_16scan_by_key_implILNS1_25lookback_scan_determinismE0ELb0ES3_N6thrust23THRUST_200600_302600_NS6detail15normal_iteratorINS9_10device_ptrIiEEEENSB_INSC_IsEEEESG_sNS9_4plusIvEENS9_8equal_toIvEEsEE10hipError_tPvRmT2_T3_T4_T5_mT6_T7_P12ihipStream_tbENKUlT_T0_E_clISt17integral_constantIbLb0EES10_IbLb1EEEEDaSW_SX_EUlSW_E_NS1_11comp_targetILNS1_3genE2ELNS1_11target_archE906ELNS1_3gpuE6ELNS1_3repE0EEENS1_30default_config_static_selectorELNS0_4arch9wavefront6targetE0EEEvT1_
	.p2align	8
	.type	_ZN7rocprim17ROCPRIM_400000_NS6detail17trampoline_kernelINS0_14default_configENS1_27scan_by_key_config_selectorIisEEZZNS1_16scan_by_key_implILNS1_25lookback_scan_determinismE0ELb0ES3_N6thrust23THRUST_200600_302600_NS6detail15normal_iteratorINS9_10device_ptrIiEEEENSB_INSC_IsEEEESG_sNS9_4plusIvEENS9_8equal_toIvEEsEE10hipError_tPvRmT2_T3_T4_T5_mT6_T7_P12ihipStream_tbENKUlT_T0_E_clISt17integral_constantIbLb0EES10_IbLb1EEEEDaSW_SX_EUlSW_E_NS1_11comp_targetILNS1_3genE2ELNS1_11target_archE906ELNS1_3gpuE6ELNS1_3repE0EEENS1_30default_config_static_selectorELNS0_4arch9wavefront6targetE0EEEvT1_,@function
_ZN7rocprim17ROCPRIM_400000_NS6detail17trampoline_kernelINS0_14default_configENS1_27scan_by_key_config_selectorIisEEZZNS1_16scan_by_key_implILNS1_25lookback_scan_determinismE0ELb0ES3_N6thrust23THRUST_200600_302600_NS6detail15normal_iteratorINS9_10device_ptrIiEEEENSB_INSC_IsEEEESG_sNS9_4plusIvEENS9_8equal_toIvEEsEE10hipError_tPvRmT2_T3_T4_T5_mT6_T7_P12ihipStream_tbENKUlT_T0_E_clISt17integral_constantIbLb0EES10_IbLb1EEEEDaSW_SX_EUlSW_E_NS1_11comp_targetILNS1_3genE2ELNS1_11target_archE906ELNS1_3gpuE6ELNS1_3repE0EEENS1_30default_config_static_selectorELNS0_4arch9wavefront6targetE0EEEvT1_: ; @_ZN7rocprim17ROCPRIM_400000_NS6detail17trampoline_kernelINS0_14default_configENS1_27scan_by_key_config_selectorIisEEZZNS1_16scan_by_key_implILNS1_25lookback_scan_determinismE0ELb0ES3_N6thrust23THRUST_200600_302600_NS6detail15normal_iteratorINS9_10device_ptrIiEEEENSB_INSC_IsEEEESG_sNS9_4plusIvEENS9_8equal_toIvEEsEE10hipError_tPvRmT2_T3_T4_T5_mT6_T7_P12ihipStream_tbENKUlT_T0_E_clISt17integral_constantIbLb0EES10_IbLb1EEEEDaSW_SX_EUlSW_E_NS1_11comp_targetILNS1_3genE2ELNS1_11target_archE906ELNS1_3gpuE6ELNS1_3repE0EEENS1_30default_config_static_selectorELNS0_4arch9wavefront6targetE0EEEvT1_
; %bb.0:
	.section	.rodata,"a",@progbits
	.p2align	6, 0x0
	.amdhsa_kernel _ZN7rocprim17ROCPRIM_400000_NS6detail17trampoline_kernelINS0_14default_configENS1_27scan_by_key_config_selectorIisEEZZNS1_16scan_by_key_implILNS1_25lookback_scan_determinismE0ELb0ES3_N6thrust23THRUST_200600_302600_NS6detail15normal_iteratorINS9_10device_ptrIiEEEENSB_INSC_IsEEEESG_sNS9_4plusIvEENS9_8equal_toIvEEsEE10hipError_tPvRmT2_T3_T4_T5_mT6_T7_P12ihipStream_tbENKUlT_T0_E_clISt17integral_constantIbLb0EES10_IbLb1EEEEDaSW_SX_EUlSW_E_NS1_11comp_targetILNS1_3genE2ELNS1_11target_archE906ELNS1_3gpuE6ELNS1_3repE0EEENS1_30default_config_static_selectorELNS0_4arch9wavefront6targetE0EEEvT1_
		.amdhsa_group_segment_fixed_size 0
		.amdhsa_private_segment_fixed_size 0
		.amdhsa_kernarg_size 112
		.amdhsa_user_sgpr_count 2
		.amdhsa_user_sgpr_dispatch_ptr 0
		.amdhsa_user_sgpr_queue_ptr 0
		.amdhsa_user_sgpr_kernarg_segment_ptr 1
		.amdhsa_user_sgpr_dispatch_id 0
		.amdhsa_user_sgpr_kernarg_preload_length 0
		.amdhsa_user_sgpr_kernarg_preload_offset 0
		.amdhsa_user_sgpr_private_segment_size 0
		.amdhsa_wavefront_size32 1
		.amdhsa_uses_dynamic_stack 0
		.amdhsa_enable_private_segment 0
		.amdhsa_system_sgpr_workgroup_id_x 1
		.amdhsa_system_sgpr_workgroup_id_y 0
		.amdhsa_system_sgpr_workgroup_id_z 0
		.amdhsa_system_sgpr_workgroup_info 0
		.amdhsa_system_vgpr_workitem_id 0
		.amdhsa_next_free_vgpr 1
		.amdhsa_next_free_sgpr 1
		.amdhsa_named_barrier_count 0
		.amdhsa_reserve_vcc 0
		.amdhsa_float_round_mode_32 0
		.amdhsa_float_round_mode_16_64 0
		.amdhsa_float_denorm_mode_32 3
		.amdhsa_float_denorm_mode_16_64 3
		.amdhsa_fp16_overflow 0
		.amdhsa_memory_ordered 1
		.amdhsa_forward_progress 1
		.amdhsa_inst_pref_size 0
		.amdhsa_round_robin_scheduling 0
		.amdhsa_exception_fp_ieee_invalid_op 0
		.amdhsa_exception_fp_denorm_src 0
		.amdhsa_exception_fp_ieee_div_zero 0
		.amdhsa_exception_fp_ieee_overflow 0
		.amdhsa_exception_fp_ieee_underflow 0
		.amdhsa_exception_fp_ieee_inexact 0
		.amdhsa_exception_int_div_zero 0
	.end_amdhsa_kernel
	.section	.text._ZN7rocprim17ROCPRIM_400000_NS6detail17trampoline_kernelINS0_14default_configENS1_27scan_by_key_config_selectorIisEEZZNS1_16scan_by_key_implILNS1_25lookback_scan_determinismE0ELb0ES3_N6thrust23THRUST_200600_302600_NS6detail15normal_iteratorINS9_10device_ptrIiEEEENSB_INSC_IsEEEESG_sNS9_4plusIvEENS9_8equal_toIvEEsEE10hipError_tPvRmT2_T3_T4_T5_mT6_T7_P12ihipStream_tbENKUlT_T0_E_clISt17integral_constantIbLb0EES10_IbLb1EEEEDaSW_SX_EUlSW_E_NS1_11comp_targetILNS1_3genE2ELNS1_11target_archE906ELNS1_3gpuE6ELNS1_3repE0EEENS1_30default_config_static_selectorELNS0_4arch9wavefront6targetE0EEEvT1_,"axG",@progbits,_ZN7rocprim17ROCPRIM_400000_NS6detail17trampoline_kernelINS0_14default_configENS1_27scan_by_key_config_selectorIisEEZZNS1_16scan_by_key_implILNS1_25lookback_scan_determinismE0ELb0ES3_N6thrust23THRUST_200600_302600_NS6detail15normal_iteratorINS9_10device_ptrIiEEEENSB_INSC_IsEEEESG_sNS9_4plusIvEENS9_8equal_toIvEEsEE10hipError_tPvRmT2_T3_T4_T5_mT6_T7_P12ihipStream_tbENKUlT_T0_E_clISt17integral_constantIbLb0EES10_IbLb1EEEEDaSW_SX_EUlSW_E_NS1_11comp_targetILNS1_3genE2ELNS1_11target_archE906ELNS1_3gpuE6ELNS1_3repE0EEENS1_30default_config_static_selectorELNS0_4arch9wavefront6targetE0EEEvT1_,comdat
.Lfunc_end1387:
	.size	_ZN7rocprim17ROCPRIM_400000_NS6detail17trampoline_kernelINS0_14default_configENS1_27scan_by_key_config_selectorIisEEZZNS1_16scan_by_key_implILNS1_25lookback_scan_determinismE0ELb0ES3_N6thrust23THRUST_200600_302600_NS6detail15normal_iteratorINS9_10device_ptrIiEEEENSB_INSC_IsEEEESG_sNS9_4plusIvEENS9_8equal_toIvEEsEE10hipError_tPvRmT2_T3_T4_T5_mT6_T7_P12ihipStream_tbENKUlT_T0_E_clISt17integral_constantIbLb0EES10_IbLb1EEEEDaSW_SX_EUlSW_E_NS1_11comp_targetILNS1_3genE2ELNS1_11target_archE906ELNS1_3gpuE6ELNS1_3repE0EEENS1_30default_config_static_selectorELNS0_4arch9wavefront6targetE0EEEvT1_, .Lfunc_end1387-_ZN7rocprim17ROCPRIM_400000_NS6detail17trampoline_kernelINS0_14default_configENS1_27scan_by_key_config_selectorIisEEZZNS1_16scan_by_key_implILNS1_25lookback_scan_determinismE0ELb0ES3_N6thrust23THRUST_200600_302600_NS6detail15normal_iteratorINS9_10device_ptrIiEEEENSB_INSC_IsEEEESG_sNS9_4plusIvEENS9_8equal_toIvEEsEE10hipError_tPvRmT2_T3_T4_T5_mT6_T7_P12ihipStream_tbENKUlT_T0_E_clISt17integral_constantIbLb0EES10_IbLb1EEEEDaSW_SX_EUlSW_E_NS1_11comp_targetILNS1_3genE2ELNS1_11target_archE906ELNS1_3gpuE6ELNS1_3repE0EEENS1_30default_config_static_selectorELNS0_4arch9wavefront6targetE0EEEvT1_
                                        ; -- End function
	.set _ZN7rocprim17ROCPRIM_400000_NS6detail17trampoline_kernelINS0_14default_configENS1_27scan_by_key_config_selectorIisEEZZNS1_16scan_by_key_implILNS1_25lookback_scan_determinismE0ELb0ES3_N6thrust23THRUST_200600_302600_NS6detail15normal_iteratorINS9_10device_ptrIiEEEENSB_INSC_IsEEEESG_sNS9_4plusIvEENS9_8equal_toIvEEsEE10hipError_tPvRmT2_T3_T4_T5_mT6_T7_P12ihipStream_tbENKUlT_T0_E_clISt17integral_constantIbLb0EES10_IbLb1EEEEDaSW_SX_EUlSW_E_NS1_11comp_targetILNS1_3genE2ELNS1_11target_archE906ELNS1_3gpuE6ELNS1_3repE0EEENS1_30default_config_static_selectorELNS0_4arch9wavefront6targetE0EEEvT1_.num_vgpr, 0
	.set _ZN7rocprim17ROCPRIM_400000_NS6detail17trampoline_kernelINS0_14default_configENS1_27scan_by_key_config_selectorIisEEZZNS1_16scan_by_key_implILNS1_25lookback_scan_determinismE0ELb0ES3_N6thrust23THRUST_200600_302600_NS6detail15normal_iteratorINS9_10device_ptrIiEEEENSB_INSC_IsEEEESG_sNS9_4plusIvEENS9_8equal_toIvEEsEE10hipError_tPvRmT2_T3_T4_T5_mT6_T7_P12ihipStream_tbENKUlT_T0_E_clISt17integral_constantIbLb0EES10_IbLb1EEEEDaSW_SX_EUlSW_E_NS1_11comp_targetILNS1_3genE2ELNS1_11target_archE906ELNS1_3gpuE6ELNS1_3repE0EEENS1_30default_config_static_selectorELNS0_4arch9wavefront6targetE0EEEvT1_.num_agpr, 0
	.set _ZN7rocprim17ROCPRIM_400000_NS6detail17trampoline_kernelINS0_14default_configENS1_27scan_by_key_config_selectorIisEEZZNS1_16scan_by_key_implILNS1_25lookback_scan_determinismE0ELb0ES3_N6thrust23THRUST_200600_302600_NS6detail15normal_iteratorINS9_10device_ptrIiEEEENSB_INSC_IsEEEESG_sNS9_4plusIvEENS9_8equal_toIvEEsEE10hipError_tPvRmT2_T3_T4_T5_mT6_T7_P12ihipStream_tbENKUlT_T0_E_clISt17integral_constantIbLb0EES10_IbLb1EEEEDaSW_SX_EUlSW_E_NS1_11comp_targetILNS1_3genE2ELNS1_11target_archE906ELNS1_3gpuE6ELNS1_3repE0EEENS1_30default_config_static_selectorELNS0_4arch9wavefront6targetE0EEEvT1_.numbered_sgpr, 0
	.set _ZN7rocprim17ROCPRIM_400000_NS6detail17trampoline_kernelINS0_14default_configENS1_27scan_by_key_config_selectorIisEEZZNS1_16scan_by_key_implILNS1_25lookback_scan_determinismE0ELb0ES3_N6thrust23THRUST_200600_302600_NS6detail15normal_iteratorINS9_10device_ptrIiEEEENSB_INSC_IsEEEESG_sNS9_4plusIvEENS9_8equal_toIvEEsEE10hipError_tPvRmT2_T3_T4_T5_mT6_T7_P12ihipStream_tbENKUlT_T0_E_clISt17integral_constantIbLb0EES10_IbLb1EEEEDaSW_SX_EUlSW_E_NS1_11comp_targetILNS1_3genE2ELNS1_11target_archE906ELNS1_3gpuE6ELNS1_3repE0EEENS1_30default_config_static_selectorELNS0_4arch9wavefront6targetE0EEEvT1_.num_named_barrier, 0
	.set _ZN7rocprim17ROCPRIM_400000_NS6detail17trampoline_kernelINS0_14default_configENS1_27scan_by_key_config_selectorIisEEZZNS1_16scan_by_key_implILNS1_25lookback_scan_determinismE0ELb0ES3_N6thrust23THRUST_200600_302600_NS6detail15normal_iteratorINS9_10device_ptrIiEEEENSB_INSC_IsEEEESG_sNS9_4plusIvEENS9_8equal_toIvEEsEE10hipError_tPvRmT2_T3_T4_T5_mT6_T7_P12ihipStream_tbENKUlT_T0_E_clISt17integral_constantIbLb0EES10_IbLb1EEEEDaSW_SX_EUlSW_E_NS1_11comp_targetILNS1_3genE2ELNS1_11target_archE906ELNS1_3gpuE6ELNS1_3repE0EEENS1_30default_config_static_selectorELNS0_4arch9wavefront6targetE0EEEvT1_.private_seg_size, 0
	.set _ZN7rocprim17ROCPRIM_400000_NS6detail17trampoline_kernelINS0_14default_configENS1_27scan_by_key_config_selectorIisEEZZNS1_16scan_by_key_implILNS1_25lookback_scan_determinismE0ELb0ES3_N6thrust23THRUST_200600_302600_NS6detail15normal_iteratorINS9_10device_ptrIiEEEENSB_INSC_IsEEEESG_sNS9_4plusIvEENS9_8equal_toIvEEsEE10hipError_tPvRmT2_T3_T4_T5_mT6_T7_P12ihipStream_tbENKUlT_T0_E_clISt17integral_constantIbLb0EES10_IbLb1EEEEDaSW_SX_EUlSW_E_NS1_11comp_targetILNS1_3genE2ELNS1_11target_archE906ELNS1_3gpuE6ELNS1_3repE0EEENS1_30default_config_static_selectorELNS0_4arch9wavefront6targetE0EEEvT1_.uses_vcc, 0
	.set _ZN7rocprim17ROCPRIM_400000_NS6detail17trampoline_kernelINS0_14default_configENS1_27scan_by_key_config_selectorIisEEZZNS1_16scan_by_key_implILNS1_25lookback_scan_determinismE0ELb0ES3_N6thrust23THRUST_200600_302600_NS6detail15normal_iteratorINS9_10device_ptrIiEEEENSB_INSC_IsEEEESG_sNS9_4plusIvEENS9_8equal_toIvEEsEE10hipError_tPvRmT2_T3_T4_T5_mT6_T7_P12ihipStream_tbENKUlT_T0_E_clISt17integral_constantIbLb0EES10_IbLb1EEEEDaSW_SX_EUlSW_E_NS1_11comp_targetILNS1_3genE2ELNS1_11target_archE906ELNS1_3gpuE6ELNS1_3repE0EEENS1_30default_config_static_selectorELNS0_4arch9wavefront6targetE0EEEvT1_.uses_flat_scratch, 0
	.set _ZN7rocprim17ROCPRIM_400000_NS6detail17trampoline_kernelINS0_14default_configENS1_27scan_by_key_config_selectorIisEEZZNS1_16scan_by_key_implILNS1_25lookback_scan_determinismE0ELb0ES3_N6thrust23THRUST_200600_302600_NS6detail15normal_iteratorINS9_10device_ptrIiEEEENSB_INSC_IsEEEESG_sNS9_4plusIvEENS9_8equal_toIvEEsEE10hipError_tPvRmT2_T3_T4_T5_mT6_T7_P12ihipStream_tbENKUlT_T0_E_clISt17integral_constantIbLb0EES10_IbLb1EEEEDaSW_SX_EUlSW_E_NS1_11comp_targetILNS1_3genE2ELNS1_11target_archE906ELNS1_3gpuE6ELNS1_3repE0EEENS1_30default_config_static_selectorELNS0_4arch9wavefront6targetE0EEEvT1_.has_dyn_sized_stack, 0
	.set _ZN7rocprim17ROCPRIM_400000_NS6detail17trampoline_kernelINS0_14default_configENS1_27scan_by_key_config_selectorIisEEZZNS1_16scan_by_key_implILNS1_25lookback_scan_determinismE0ELb0ES3_N6thrust23THRUST_200600_302600_NS6detail15normal_iteratorINS9_10device_ptrIiEEEENSB_INSC_IsEEEESG_sNS9_4plusIvEENS9_8equal_toIvEEsEE10hipError_tPvRmT2_T3_T4_T5_mT6_T7_P12ihipStream_tbENKUlT_T0_E_clISt17integral_constantIbLb0EES10_IbLb1EEEEDaSW_SX_EUlSW_E_NS1_11comp_targetILNS1_3genE2ELNS1_11target_archE906ELNS1_3gpuE6ELNS1_3repE0EEENS1_30default_config_static_selectorELNS0_4arch9wavefront6targetE0EEEvT1_.has_recursion, 0
	.set _ZN7rocprim17ROCPRIM_400000_NS6detail17trampoline_kernelINS0_14default_configENS1_27scan_by_key_config_selectorIisEEZZNS1_16scan_by_key_implILNS1_25lookback_scan_determinismE0ELb0ES3_N6thrust23THRUST_200600_302600_NS6detail15normal_iteratorINS9_10device_ptrIiEEEENSB_INSC_IsEEEESG_sNS9_4plusIvEENS9_8equal_toIvEEsEE10hipError_tPvRmT2_T3_T4_T5_mT6_T7_P12ihipStream_tbENKUlT_T0_E_clISt17integral_constantIbLb0EES10_IbLb1EEEEDaSW_SX_EUlSW_E_NS1_11comp_targetILNS1_3genE2ELNS1_11target_archE906ELNS1_3gpuE6ELNS1_3repE0EEENS1_30default_config_static_selectorELNS0_4arch9wavefront6targetE0EEEvT1_.has_indirect_call, 0
	.section	.AMDGPU.csdata,"",@progbits
; Kernel info:
; codeLenInByte = 0
; TotalNumSgprs: 0
; NumVgprs: 0
; ScratchSize: 0
; MemoryBound: 0
; FloatMode: 240
; IeeeMode: 1
; LDSByteSize: 0 bytes/workgroup (compile time only)
; SGPRBlocks: 0
; VGPRBlocks: 0
; NumSGPRsForWavesPerEU: 1
; NumVGPRsForWavesPerEU: 1
; NamedBarCnt: 0
; Occupancy: 16
; WaveLimiterHint : 0
; COMPUTE_PGM_RSRC2:SCRATCH_EN: 0
; COMPUTE_PGM_RSRC2:USER_SGPR: 2
; COMPUTE_PGM_RSRC2:TRAP_HANDLER: 0
; COMPUTE_PGM_RSRC2:TGID_X_EN: 1
; COMPUTE_PGM_RSRC2:TGID_Y_EN: 0
; COMPUTE_PGM_RSRC2:TGID_Z_EN: 0
; COMPUTE_PGM_RSRC2:TIDIG_COMP_CNT: 0
	.section	.text._ZN7rocprim17ROCPRIM_400000_NS6detail17trampoline_kernelINS0_14default_configENS1_27scan_by_key_config_selectorIisEEZZNS1_16scan_by_key_implILNS1_25lookback_scan_determinismE0ELb0ES3_N6thrust23THRUST_200600_302600_NS6detail15normal_iteratorINS9_10device_ptrIiEEEENSB_INSC_IsEEEESG_sNS9_4plusIvEENS9_8equal_toIvEEsEE10hipError_tPvRmT2_T3_T4_T5_mT6_T7_P12ihipStream_tbENKUlT_T0_E_clISt17integral_constantIbLb0EES10_IbLb1EEEEDaSW_SX_EUlSW_E_NS1_11comp_targetILNS1_3genE10ELNS1_11target_archE1200ELNS1_3gpuE4ELNS1_3repE0EEENS1_30default_config_static_selectorELNS0_4arch9wavefront6targetE0EEEvT1_,"axG",@progbits,_ZN7rocprim17ROCPRIM_400000_NS6detail17trampoline_kernelINS0_14default_configENS1_27scan_by_key_config_selectorIisEEZZNS1_16scan_by_key_implILNS1_25lookback_scan_determinismE0ELb0ES3_N6thrust23THRUST_200600_302600_NS6detail15normal_iteratorINS9_10device_ptrIiEEEENSB_INSC_IsEEEESG_sNS9_4plusIvEENS9_8equal_toIvEEsEE10hipError_tPvRmT2_T3_T4_T5_mT6_T7_P12ihipStream_tbENKUlT_T0_E_clISt17integral_constantIbLb0EES10_IbLb1EEEEDaSW_SX_EUlSW_E_NS1_11comp_targetILNS1_3genE10ELNS1_11target_archE1200ELNS1_3gpuE4ELNS1_3repE0EEENS1_30default_config_static_selectorELNS0_4arch9wavefront6targetE0EEEvT1_,comdat
	.protected	_ZN7rocprim17ROCPRIM_400000_NS6detail17trampoline_kernelINS0_14default_configENS1_27scan_by_key_config_selectorIisEEZZNS1_16scan_by_key_implILNS1_25lookback_scan_determinismE0ELb0ES3_N6thrust23THRUST_200600_302600_NS6detail15normal_iteratorINS9_10device_ptrIiEEEENSB_INSC_IsEEEESG_sNS9_4plusIvEENS9_8equal_toIvEEsEE10hipError_tPvRmT2_T3_T4_T5_mT6_T7_P12ihipStream_tbENKUlT_T0_E_clISt17integral_constantIbLb0EES10_IbLb1EEEEDaSW_SX_EUlSW_E_NS1_11comp_targetILNS1_3genE10ELNS1_11target_archE1200ELNS1_3gpuE4ELNS1_3repE0EEENS1_30default_config_static_selectorELNS0_4arch9wavefront6targetE0EEEvT1_ ; -- Begin function _ZN7rocprim17ROCPRIM_400000_NS6detail17trampoline_kernelINS0_14default_configENS1_27scan_by_key_config_selectorIisEEZZNS1_16scan_by_key_implILNS1_25lookback_scan_determinismE0ELb0ES3_N6thrust23THRUST_200600_302600_NS6detail15normal_iteratorINS9_10device_ptrIiEEEENSB_INSC_IsEEEESG_sNS9_4plusIvEENS9_8equal_toIvEEsEE10hipError_tPvRmT2_T3_T4_T5_mT6_T7_P12ihipStream_tbENKUlT_T0_E_clISt17integral_constantIbLb0EES10_IbLb1EEEEDaSW_SX_EUlSW_E_NS1_11comp_targetILNS1_3genE10ELNS1_11target_archE1200ELNS1_3gpuE4ELNS1_3repE0EEENS1_30default_config_static_selectorELNS0_4arch9wavefront6targetE0EEEvT1_
	.globl	_ZN7rocprim17ROCPRIM_400000_NS6detail17trampoline_kernelINS0_14default_configENS1_27scan_by_key_config_selectorIisEEZZNS1_16scan_by_key_implILNS1_25lookback_scan_determinismE0ELb0ES3_N6thrust23THRUST_200600_302600_NS6detail15normal_iteratorINS9_10device_ptrIiEEEENSB_INSC_IsEEEESG_sNS9_4plusIvEENS9_8equal_toIvEEsEE10hipError_tPvRmT2_T3_T4_T5_mT6_T7_P12ihipStream_tbENKUlT_T0_E_clISt17integral_constantIbLb0EES10_IbLb1EEEEDaSW_SX_EUlSW_E_NS1_11comp_targetILNS1_3genE10ELNS1_11target_archE1200ELNS1_3gpuE4ELNS1_3repE0EEENS1_30default_config_static_selectorELNS0_4arch9wavefront6targetE0EEEvT1_
	.p2align	8
	.type	_ZN7rocprim17ROCPRIM_400000_NS6detail17trampoline_kernelINS0_14default_configENS1_27scan_by_key_config_selectorIisEEZZNS1_16scan_by_key_implILNS1_25lookback_scan_determinismE0ELb0ES3_N6thrust23THRUST_200600_302600_NS6detail15normal_iteratorINS9_10device_ptrIiEEEENSB_INSC_IsEEEESG_sNS9_4plusIvEENS9_8equal_toIvEEsEE10hipError_tPvRmT2_T3_T4_T5_mT6_T7_P12ihipStream_tbENKUlT_T0_E_clISt17integral_constantIbLb0EES10_IbLb1EEEEDaSW_SX_EUlSW_E_NS1_11comp_targetILNS1_3genE10ELNS1_11target_archE1200ELNS1_3gpuE4ELNS1_3repE0EEENS1_30default_config_static_selectorELNS0_4arch9wavefront6targetE0EEEvT1_,@function
_ZN7rocprim17ROCPRIM_400000_NS6detail17trampoline_kernelINS0_14default_configENS1_27scan_by_key_config_selectorIisEEZZNS1_16scan_by_key_implILNS1_25lookback_scan_determinismE0ELb0ES3_N6thrust23THRUST_200600_302600_NS6detail15normal_iteratorINS9_10device_ptrIiEEEENSB_INSC_IsEEEESG_sNS9_4plusIvEENS9_8equal_toIvEEsEE10hipError_tPvRmT2_T3_T4_T5_mT6_T7_P12ihipStream_tbENKUlT_T0_E_clISt17integral_constantIbLb0EES10_IbLb1EEEEDaSW_SX_EUlSW_E_NS1_11comp_targetILNS1_3genE10ELNS1_11target_archE1200ELNS1_3gpuE4ELNS1_3repE0EEENS1_30default_config_static_selectorELNS0_4arch9wavefront6targetE0EEEvT1_: ; @_ZN7rocprim17ROCPRIM_400000_NS6detail17trampoline_kernelINS0_14default_configENS1_27scan_by_key_config_selectorIisEEZZNS1_16scan_by_key_implILNS1_25lookback_scan_determinismE0ELb0ES3_N6thrust23THRUST_200600_302600_NS6detail15normal_iteratorINS9_10device_ptrIiEEEENSB_INSC_IsEEEESG_sNS9_4plusIvEENS9_8equal_toIvEEsEE10hipError_tPvRmT2_T3_T4_T5_mT6_T7_P12ihipStream_tbENKUlT_T0_E_clISt17integral_constantIbLb0EES10_IbLb1EEEEDaSW_SX_EUlSW_E_NS1_11comp_targetILNS1_3genE10ELNS1_11target_archE1200ELNS1_3gpuE4ELNS1_3repE0EEENS1_30default_config_static_selectorELNS0_4arch9wavefront6targetE0EEEvT1_
; %bb.0:
	.section	.rodata,"a",@progbits
	.p2align	6, 0x0
	.amdhsa_kernel _ZN7rocprim17ROCPRIM_400000_NS6detail17trampoline_kernelINS0_14default_configENS1_27scan_by_key_config_selectorIisEEZZNS1_16scan_by_key_implILNS1_25lookback_scan_determinismE0ELb0ES3_N6thrust23THRUST_200600_302600_NS6detail15normal_iteratorINS9_10device_ptrIiEEEENSB_INSC_IsEEEESG_sNS9_4plusIvEENS9_8equal_toIvEEsEE10hipError_tPvRmT2_T3_T4_T5_mT6_T7_P12ihipStream_tbENKUlT_T0_E_clISt17integral_constantIbLb0EES10_IbLb1EEEEDaSW_SX_EUlSW_E_NS1_11comp_targetILNS1_3genE10ELNS1_11target_archE1200ELNS1_3gpuE4ELNS1_3repE0EEENS1_30default_config_static_selectorELNS0_4arch9wavefront6targetE0EEEvT1_
		.amdhsa_group_segment_fixed_size 0
		.amdhsa_private_segment_fixed_size 0
		.amdhsa_kernarg_size 112
		.amdhsa_user_sgpr_count 2
		.amdhsa_user_sgpr_dispatch_ptr 0
		.amdhsa_user_sgpr_queue_ptr 0
		.amdhsa_user_sgpr_kernarg_segment_ptr 1
		.amdhsa_user_sgpr_dispatch_id 0
		.amdhsa_user_sgpr_kernarg_preload_length 0
		.amdhsa_user_sgpr_kernarg_preload_offset 0
		.amdhsa_user_sgpr_private_segment_size 0
		.amdhsa_wavefront_size32 1
		.amdhsa_uses_dynamic_stack 0
		.amdhsa_enable_private_segment 0
		.amdhsa_system_sgpr_workgroup_id_x 1
		.amdhsa_system_sgpr_workgroup_id_y 0
		.amdhsa_system_sgpr_workgroup_id_z 0
		.amdhsa_system_sgpr_workgroup_info 0
		.amdhsa_system_vgpr_workitem_id 0
		.amdhsa_next_free_vgpr 1
		.amdhsa_next_free_sgpr 1
		.amdhsa_named_barrier_count 0
		.amdhsa_reserve_vcc 0
		.amdhsa_float_round_mode_32 0
		.amdhsa_float_round_mode_16_64 0
		.amdhsa_float_denorm_mode_32 3
		.amdhsa_float_denorm_mode_16_64 3
		.amdhsa_fp16_overflow 0
		.amdhsa_memory_ordered 1
		.amdhsa_forward_progress 1
		.amdhsa_inst_pref_size 0
		.amdhsa_round_robin_scheduling 0
		.amdhsa_exception_fp_ieee_invalid_op 0
		.amdhsa_exception_fp_denorm_src 0
		.amdhsa_exception_fp_ieee_div_zero 0
		.amdhsa_exception_fp_ieee_overflow 0
		.amdhsa_exception_fp_ieee_underflow 0
		.amdhsa_exception_fp_ieee_inexact 0
		.amdhsa_exception_int_div_zero 0
	.end_amdhsa_kernel
	.section	.text._ZN7rocprim17ROCPRIM_400000_NS6detail17trampoline_kernelINS0_14default_configENS1_27scan_by_key_config_selectorIisEEZZNS1_16scan_by_key_implILNS1_25lookback_scan_determinismE0ELb0ES3_N6thrust23THRUST_200600_302600_NS6detail15normal_iteratorINS9_10device_ptrIiEEEENSB_INSC_IsEEEESG_sNS9_4plusIvEENS9_8equal_toIvEEsEE10hipError_tPvRmT2_T3_T4_T5_mT6_T7_P12ihipStream_tbENKUlT_T0_E_clISt17integral_constantIbLb0EES10_IbLb1EEEEDaSW_SX_EUlSW_E_NS1_11comp_targetILNS1_3genE10ELNS1_11target_archE1200ELNS1_3gpuE4ELNS1_3repE0EEENS1_30default_config_static_selectorELNS0_4arch9wavefront6targetE0EEEvT1_,"axG",@progbits,_ZN7rocprim17ROCPRIM_400000_NS6detail17trampoline_kernelINS0_14default_configENS1_27scan_by_key_config_selectorIisEEZZNS1_16scan_by_key_implILNS1_25lookback_scan_determinismE0ELb0ES3_N6thrust23THRUST_200600_302600_NS6detail15normal_iteratorINS9_10device_ptrIiEEEENSB_INSC_IsEEEESG_sNS9_4plusIvEENS9_8equal_toIvEEsEE10hipError_tPvRmT2_T3_T4_T5_mT6_T7_P12ihipStream_tbENKUlT_T0_E_clISt17integral_constantIbLb0EES10_IbLb1EEEEDaSW_SX_EUlSW_E_NS1_11comp_targetILNS1_3genE10ELNS1_11target_archE1200ELNS1_3gpuE4ELNS1_3repE0EEENS1_30default_config_static_selectorELNS0_4arch9wavefront6targetE0EEEvT1_,comdat
.Lfunc_end1388:
	.size	_ZN7rocprim17ROCPRIM_400000_NS6detail17trampoline_kernelINS0_14default_configENS1_27scan_by_key_config_selectorIisEEZZNS1_16scan_by_key_implILNS1_25lookback_scan_determinismE0ELb0ES3_N6thrust23THRUST_200600_302600_NS6detail15normal_iteratorINS9_10device_ptrIiEEEENSB_INSC_IsEEEESG_sNS9_4plusIvEENS9_8equal_toIvEEsEE10hipError_tPvRmT2_T3_T4_T5_mT6_T7_P12ihipStream_tbENKUlT_T0_E_clISt17integral_constantIbLb0EES10_IbLb1EEEEDaSW_SX_EUlSW_E_NS1_11comp_targetILNS1_3genE10ELNS1_11target_archE1200ELNS1_3gpuE4ELNS1_3repE0EEENS1_30default_config_static_selectorELNS0_4arch9wavefront6targetE0EEEvT1_, .Lfunc_end1388-_ZN7rocprim17ROCPRIM_400000_NS6detail17trampoline_kernelINS0_14default_configENS1_27scan_by_key_config_selectorIisEEZZNS1_16scan_by_key_implILNS1_25lookback_scan_determinismE0ELb0ES3_N6thrust23THRUST_200600_302600_NS6detail15normal_iteratorINS9_10device_ptrIiEEEENSB_INSC_IsEEEESG_sNS9_4plusIvEENS9_8equal_toIvEEsEE10hipError_tPvRmT2_T3_T4_T5_mT6_T7_P12ihipStream_tbENKUlT_T0_E_clISt17integral_constantIbLb0EES10_IbLb1EEEEDaSW_SX_EUlSW_E_NS1_11comp_targetILNS1_3genE10ELNS1_11target_archE1200ELNS1_3gpuE4ELNS1_3repE0EEENS1_30default_config_static_selectorELNS0_4arch9wavefront6targetE0EEEvT1_
                                        ; -- End function
	.set _ZN7rocprim17ROCPRIM_400000_NS6detail17trampoline_kernelINS0_14default_configENS1_27scan_by_key_config_selectorIisEEZZNS1_16scan_by_key_implILNS1_25lookback_scan_determinismE0ELb0ES3_N6thrust23THRUST_200600_302600_NS6detail15normal_iteratorINS9_10device_ptrIiEEEENSB_INSC_IsEEEESG_sNS9_4plusIvEENS9_8equal_toIvEEsEE10hipError_tPvRmT2_T3_T4_T5_mT6_T7_P12ihipStream_tbENKUlT_T0_E_clISt17integral_constantIbLb0EES10_IbLb1EEEEDaSW_SX_EUlSW_E_NS1_11comp_targetILNS1_3genE10ELNS1_11target_archE1200ELNS1_3gpuE4ELNS1_3repE0EEENS1_30default_config_static_selectorELNS0_4arch9wavefront6targetE0EEEvT1_.num_vgpr, 0
	.set _ZN7rocprim17ROCPRIM_400000_NS6detail17trampoline_kernelINS0_14default_configENS1_27scan_by_key_config_selectorIisEEZZNS1_16scan_by_key_implILNS1_25lookback_scan_determinismE0ELb0ES3_N6thrust23THRUST_200600_302600_NS6detail15normal_iteratorINS9_10device_ptrIiEEEENSB_INSC_IsEEEESG_sNS9_4plusIvEENS9_8equal_toIvEEsEE10hipError_tPvRmT2_T3_T4_T5_mT6_T7_P12ihipStream_tbENKUlT_T0_E_clISt17integral_constantIbLb0EES10_IbLb1EEEEDaSW_SX_EUlSW_E_NS1_11comp_targetILNS1_3genE10ELNS1_11target_archE1200ELNS1_3gpuE4ELNS1_3repE0EEENS1_30default_config_static_selectorELNS0_4arch9wavefront6targetE0EEEvT1_.num_agpr, 0
	.set _ZN7rocprim17ROCPRIM_400000_NS6detail17trampoline_kernelINS0_14default_configENS1_27scan_by_key_config_selectorIisEEZZNS1_16scan_by_key_implILNS1_25lookback_scan_determinismE0ELb0ES3_N6thrust23THRUST_200600_302600_NS6detail15normal_iteratorINS9_10device_ptrIiEEEENSB_INSC_IsEEEESG_sNS9_4plusIvEENS9_8equal_toIvEEsEE10hipError_tPvRmT2_T3_T4_T5_mT6_T7_P12ihipStream_tbENKUlT_T0_E_clISt17integral_constantIbLb0EES10_IbLb1EEEEDaSW_SX_EUlSW_E_NS1_11comp_targetILNS1_3genE10ELNS1_11target_archE1200ELNS1_3gpuE4ELNS1_3repE0EEENS1_30default_config_static_selectorELNS0_4arch9wavefront6targetE0EEEvT1_.numbered_sgpr, 0
	.set _ZN7rocprim17ROCPRIM_400000_NS6detail17trampoline_kernelINS0_14default_configENS1_27scan_by_key_config_selectorIisEEZZNS1_16scan_by_key_implILNS1_25lookback_scan_determinismE0ELb0ES3_N6thrust23THRUST_200600_302600_NS6detail15normal_iteratorINS9_10device_ptrIiEEEENSB_INSC_IsEEEESG_sNS9_4plusIvEENS9_8equal_toIvEEsEE10hipError_tPvRmT2_T3_T4_T5_mT6_T7_P12ihipStream_tbENKUlT_T0_E_clISt17integral_constantIbLb0EES10_IbLb1EEEEDaSW_SX_EUlSW_E_NS1_11comp_targetILNS1_3genE10ELNS1_11target_archE1200ELNS1_3gpuE4ELNS1_3repE0EEENS1_30default_config_static_selectorELNS0_4arch9wavefront6targetE0EEEvT1_.num_named_barrier, 0
	.set _ZN7rocprim17ROCPRIM_400000_NS6detail17trampoline_kernelINS0_14default_configENS1_27scan_by_key_config_selectorIisEEZZNS1_16scan_by_key_implILNS1_25lookback_scan_determinismE0ELb0ES3_N6thrust23THRUST_200600_302600_NS6detail15normal_iteratorINS9_10device_ptrIiEEEENSB_INSC_IsEEEESG_sNS9_4plusIvEENS9_8equal_toIvEEsEE10hipError_tPvRmT2_T3_T4_T5_mT6_T7_P12ihipStream_tbENKUlT_T0_E_clISt17integral_constantIbLb0EES10_IbLb1EEEEDaSW_SX_EUlSW_E_NS1_11comp_targetILNS1_3genE10ELNS1_11target_archE1200ELNS1_3gpuE4ELNS1_3repE0EEENS1_30default_config_static_selectorELNS0_4arch9wavefront6targetE0EEEvT1_.private_seg_size, 0
	.set _ZN7rocprim17ROCPRIM_400000_NS6detail17trampoline_kernelINS0_14default_configENS1_27scan_by_key_config_selectorIisEEZZNS1_16scan_by_key_implILNS1_25lookback_scan_determinismE0ELb0ES3_N6thrust23THRUST_200600_302600_NS6detail15normal_iteratorINS9_10device_ptrIiEEEENSB_INSC_IsEEEESG_sNS9_4plusIvEENS9_8equal_toIvEEsEE10hipError_tPvRmT2_T3_T4_T5_mT6_T7_P12ihipStream_tbENKUlT_T0_E_clISt17integral_constantIbLb0EES10_IbLb1EEEEDaSW_SX_EUlSW_E_NS1_11comp_targetILNS1_3genE10ELNS1_11target_archE1200ELNS1_3gpuE4ELNS1_3repE0EEENS1_30default_config_static_selectorELNS0_4arch9wavefront6targetE0EEEvT1_.uses_vcc, 0
	.set _ZN7rocprim17ROCPRIM_400000_NS6detail17trampoline_kernelINS0_14default_configENS1_27scan_by_key_config_selectorIisEEZZNS1_16scan_by_key_implILNS1_25lookback_scan_determinismE0ELb0ES3_N6thrust23THRUST_200600_302600_NS6detail15normal_iteratorINS9_10device_ptrIiEEEENSB_INSC_IsEEEESG_sNS9_4plusIvEENS9_8equal_toIvEEsEE10hipError_tPvRmT2_T3_T4_T5_mT6_T7_P12ihipStream_tbENKUlT_T0_E_clISt17integral_constantIbLb0EES10_IbLb1EEEEDaSW_SX_EUlSW_E_NS1_11comp_targetILNS1_3genE10ELNS1_11target_archE1200ELNS1_3gpuE4ELNS1_3repE0EEENS1_30default_config_static_selectorELNS0_4arch9wavefront6targetE0EEEvT1_.uses_flat_scratch, 0
	.set _ZN7rocprim17ROCPRIM_400000_NS6detail17trampoline_kernelINS0_14default_configENS1_27scan_by_key_config_selectorIisEEZZNS1_16scan_by_key_implILNS1_25lookback_scan_determinismE0ELb0ES3_N6thrust23THRUST_200600_302600_NS6detail15normal_iteratorINS9_10device_ptrIiEEEENSB_INSC_IsEEEESG_sNS9_4plusIvEENS9_8equal_toIvEEsEE10hipError_tPvRmT2_T3_T4_T5_mT6_T7_P12ihipStream_tbENKUlT_T0_E_clISt17integral_constantIbLb0EES10_IbLb1EEEEDaSW_SX_EUlSW_E_NS1_11comp_targetILNS1_3genE10ELNS1_11target_archE1200ELNS1_3gpuE4ELNS1_3repE0EEENS1_30default_config_static_selectorELNS0_4arch9wavefront6targetE0EEEvT1_.has_dyn_sized_stack, 0
	.set _ZN7rocprim17ROCPRIM_400000_NS6detail17trampoline_kernelINS0_14default_configENS1_27scan_by_key_config_selectorIisEEZZNS1_16scan_by_key_implILNS1_25lookback_scan_determinismE0ELb0ES3_N6thrust23THRUST_200600_302600_NS6detail15normal_iteratorINS9_10device_ptrIiEEEENSB_INSC_IsEEEESG_sNS9_4plusIvEENS9_8equal_toIvEEsEE10hipError_tPvRmT2_T3_T4_T5_mT6_T7_P12ihipStream_tbENKUlT_T0_E_clISt17integral_constantIbLb0EES10_IbLb1EEEEDaSW_SX_EUlSW_E_NS1_11comp_targetILNS1_3genE10ELNS1_11target_archE1200ELNS1_3gpuE4ELNS1_3repE0EEENS1_30default_config_static_selectorELNS0_4arch9wavefront6targetE0EEEvT1_.has_recursion, 0
	.set _ZN7rocprim17ROCPRIM_400000_NS6detail17trampoline_kernelINS0_14default_configENS1_27scan_by_key_config_selectorIisEEZZNS1_16scan_by_key_implILNS1_25lookback_scan_determinismE0ELb0ES3_N6thrust23THRUST_200600_302600_NS6detail15normal_iteratorINS9_10device_ptrIiEEEENSB_INSC_IsEEEESG_sNS9_4plusIvEENS9_8equal_toIvEEsEE10hipError_tPvRmT2_T3_T4_T5_mT6_T7_P12ihipStream_tbENKUlT_T0_E_clISt17integral_constantIbLb0EES10_IbLb1EEEEDaSW_SX_EUlSW_E_NS1_11comp_targetILNS1_3genE10ELNS1_11target_archE1200ELNS1_3gpuE4ELNS1_3repE0EEENS1_30default_config_static_selectorELNS0_4arch9wavefront6targetE0EEEvT1_.has_indirect_call, 0
	.section	.AMDGPU.csdata,"",@progbits
; Kernel info:
; codeLenInByte = 0
; TotalNumSgprs: 0
; NumVgprs: 0
; ScratchSize: 0
; MemoryBound: 0
; FloatMode: 240
; IeeeMode: 1
; LDSByteSize: 0 bytes/workgroup (compile time only)
; SGPRBlocks: 0
; VGPRBlocks: 0
; NumSGPRsForWavesPerEU: 1
; NumVGPRsForWavesPerEU: 1
; NamedBarCnt: 0
; Occupancy: 16
; WaveLimiterHint : 0
; COMPUTE_PGM_RSRC2:SCRATCH_EN: 0
; COMPUTE_PGM_RSRC2:USER_SGPR: 2
; COMPUTE_PGM_RSRC2:TRAP_HANDLER: 0
; COMPUTE_PGM_RSRC2:TGID_X_EN: 1
; COMPUTE_PGM_RSRC2:TGID_Y_EN: 0
; COMPUTE_PGM_RSRC2:TGID_Z_EN: 0
; COMPUTE_PGM_RSRC2:TIDIG_COMP_CNT: 0
	.section	.text._ZN7rocprim17ROCPRIM_400000_NS6detail17trampoline_kernelINS0_14default_configENS1_27scan_by_key_config_selectorIisEEZZNS1_16scan_by_key_implILNS1_25lookback_scan_determinismE0ELb0ES3_N6thrust23THRUST_200600_302600_NS6detail15normal_iteratorINS9_10device_ptrIiEEEENSB_INSC_IsEEEESG_sNS9_4plusIvEENS9_8equal_toIvEEsEE10hipError_tPvRmT2_T3_T4_T5_mT6_T7_P12ihipStream_tbENKUlT_T0_E_clISt17integral_constantIbLb0EES10_IbLb1EEEEDaSW_SX_EUlSW_E_NS1_11comp_targetILNS1_3genE9ELNS1_11target_archE1100ELNS1_3gpuE3ELNS1_3repE0EEENS1_30default_config_static_selectorELNS0_4arch9wavefront6targetE0EEEvT1_,"axG",@progbits,_ZN7rocprim17ROCPRIM_400000_NS6detail17trampoline_kernelINS0_14default_configENS1_27scan_by_key_config_selectorIisEEZZNS1_16scan_by_key_implILNS1_25lookback_scan_determinismE0ELb0ES3_N6thrust23THRUST_200600_302600_NS6detail15normal_iteratorINS9_10device_ptrIiEEEENSB_INSC_IsEEEESG_sNS9_4plusIvEENS9_8equal_toIvEEsEE10hipError_tPvRmT2_T3_T4_T5_mT6_T7_P12ihipStream_tbENKUlT_T0_E_clISt17integral_constantIbLb0EES10_IbLb1EEEEDaSW_SX_EUlSW_E_NS1_11comp_targetILNS1_3genE9ELNS1_11target_archE1100ELNS1_3gpuE3ELNS1_3repE0EEENS1_30default_config_static_selectorELNS0_4arch9wavefront6targetE0EEEvT1_,comdat
	.protected	_ZN7rocprim17ROCPRIM_400000_NS6detail17trampoline_kernelINS0_14default_configENS1_27scan_by_key_config_selectorIisEEZZNS1_16scan_by_key_implILNS1_25lookback_scan_determinismE0ELb0ES3_N6thrust23THRUST_200600_302600_NS6detail15normal_iteratorINS9_10device_ptrIiEEEENSB_INSC_IsEEEESG_sNS9_4plusIvEENS9_8equal_toIvEEsEE10hipError_tPvRmT2_T3_T4_T5_mT6_T7_P12ihipStream_tbENKUlT_T0_E_clISt17integral_constantIbLb0EES10_IbLb1EEEEDaSW_SX_EUlSW_E_NS1_11comp_targetILNS1_3genE9ELNS1_11target_archE1100ELNS1_3gpuE3ELNS1_3repE0EEENS1_30default_config_static_selectorELNS0_4arch9wavefront6targetE0EEEvT1_ ; -- Begin function _ZN7rocprim17ROCPRIM_400000_NS6detail17trampoline_kernelINS0_14default_configENS1_27scan_by_key_config_selectorIisEEZZNS1_16scan_by_key_implILNS1_25lookback_scan_determinismE0ELb0ES3_N6thrust23THRUST_200600_302600_NS6detail15normal_iteratorINS9_10device_ptrIiEEEENSB_INSC_IsEEEESG_sNS9_4plusIvEENS9_8equal_toIvEEsEE10hipError_tPvRmT2_T3_T4_T5_mT6_T7_P12ihipStream_tbENKUlT_T0_E_clISt17integral_constantIbLb0EES10_IbLb1EEEEDaSW_SX_EUlSW_E_NS1_11comp_targetILNS1_3genE9ELNS1_11target_archE1100ELNS1_3gpuE3ELNS1_3repE0EEENS1_30default_config_static_selectorELNS0_4arch9wavefront6targetE0EEEvT1_
	.globl	_ZN7rocprim17ROCPRIM_400000_NS6detail17trampoline_kernelINS0_14default_configENS1_27scan_by_key_config_selectorIisEEZZNS1_16scan_by_key_implILNS1_25lookback_scan_determinismE0ELb0ES3_N6thrust23THRUST_200600_302600_NS6detail15normal_iteratorINS9_10device_ptrIiEEEENSB_INSC_IsEEEESG_sNS9_4plusIvEENS9_8equal_toIvEEsEE10hipError_tPvRmT2_T3_T4_T5_mT6_T7_P12ihipStream_tbENKUlT_T0_E_clISt17integral_constantIbLb0EES10_IbLb1EEEEDaSW_SX_EUlSW_E_NS1_11comp_targetILNS1_3genE9ELNS1_11target_archE1100ELNS1_3gpuE3ELNS1_3repE0EEENS1_30default_config_static_selectorELNS0_4arch9wavefront6targetE0EEEvT1_
	.p2align	8
	.type	_ZN7rocprim17ROCPRIM_400000_NS6detail17trampoline_kernelINS0_14default_configENS1_27scan_by_key_config_selectorIisEEZZNS1_16scan_by_key_implILNS1_25lookback_scan_determinismE0ELb0ES3_N6thrust23THRUST_200600_302600_NS6detail15normal_iteratorINS9_10device_ptrIiEEEENSB_INSC_IsEEEESG_sNS9_4plusIvEENS9_8equal_toIvEEsEE10hipError_tPvRmT2_T3_T4_T5_mT6_T7_P12ihipStream_tbENKUlT_T0_E_clISt17integral_constantIbLb0EES10_IbLb1EEEEDaSW_SX_EUlSW_E_NS1_11comp_targetILNS1_3genE9ELNS1_11target_archE1100ELNS1_3gpuE3ELNS1_3repE0EEENS1_30default_config_static_selectorELNS0_4arch9wavefront6targetE0EEEvT1_,@function
_ZN7rocprim17ROCPRIM_400000_NS6detail17trampoline_kernelINS0_14default_configENS1_27scan_by_key_config_selectorIisEEZZNS1_16scan_by_key_implILNS1_25lookback_scan_determinismE0ELb0ES3_N6thrust23THRUST_200600_302600_NS6detail15normal_iteratorINS9_10device_ptrIiEEEENSB_INSC_IsEEEESG_sNS9_4plusIvEENS9_8equal_toIvEEsEE10hipError_tPvRmT2_T3_T4_T5_mT6_T7_P12ihipStream_tbENKUlT_T0_E_clISt17integral_constantIbLb0EES10_IbLb1EEEEDaSW_SX_EUlSW_E_NS1_11comp_targetILNS1_3genE9ELNS1_11target_archE1100ELNS1_3gpuE3ELNS1_3repE0EEENS1_30default_config_static_selectorELNS0_4arch9wavefront6targetE0EEEvT1_: ; @_ZN7rocprim17ROCPRIM_400000_NS6detail17trampoline_kernelINS0_14default_configENS1_27scan_by_key_config_selectorIisEEZZNS1_16scan_by_key_implILNS1_25lookback_scan_determinismE0ELb0ES3_N6thrust23THRUST_200600_302600_NS6detail15normal_iteratorINS9_10device_ptrIiEEEENSB_INSC_IsEEEESG_sNS9_4plusIvEENS9_8equal_toIvEEsEE10hipError_tPvRmT2_T3_T4_T5_mT6_T7_P12ihipStream_tbENKUlT_T0_E_clISt17integral_constantIbLb0EES10_IbLb1EEEEDaSW_SX_EUlSW_E_NS1_11comp_targetILNS1_3genE9ELNS1_11target_archE1100ELNS1_3gpuE3ELNS1_3repE0EEENS1_30default_config_static_selectorELNS0_4arch9wavefront6targetE0EEEvT1_
; %bb.0:
	.section	.rodata,"a",@progbits
	.p2align	6, 0x0
	.amdhsa_kernel _ZN7rocprim17ROCPRIM_400000_NS6detail17trampoline_kernelINS0_14default_configENS1_27scan_by_key_config_selectorIisEEZZNS1_16scan_by_key_implILNS1_25lookback_scan_determinismE0ELb0ES3_N6thrust23THRUST_200600_302600_NS6detail15normal_iteratorINS9_10device_ptrIiEEEENSB_INSC_IsEEEESG_sNS9_4plusIvEENS9_8equal_toIvEEsEE10hipError_tPvRmT2_T3_T4_T5_mT6_T7_P12ihipStream_tbENKUlT_T0_E_clISt17integral_constantIbLb0EES10_IbLb1EEEEDaSW_SX_EUlSW_E_NS1_11comp_targetILNS1_3genE9ELNS1_11target_archE1100ELNS1_3gpuE3ELNS1_3repE0EEENS1_30default_config_static_selectorELNS0_4arch9wavefront6targetE0EEEvT1_
		.amdhsa_group_segment_fixed_size 0
		.amdhsa_private_segment_fixed_size 0
		.amdhsa_kernarg_size 112
		.amdhsa_user_sgpr_count 2
		.amdhsa_user_sgpr_dispatch_ptr 0
		.amdhsa_user_sgpr_queue_ptr 0
		.amdhsa_user_sgpr_kernarg_segment_ptr 1
		.amdhsa_user_sgpr_dispatch_id 0
		.amdhsa_user_sgpr_kernarg_preload_length 0
		.amdhsa_user_sgpr_kernarg_preload_offset 0
		.amdhsa_user_sgpr_private_segment_size 0
		.amdhsa_wavefront_size32 1
		.amdhsa_uses_dynamic_stack 0
		.amdhsa_enable_private_segment 0
		.amdhsa_system_sgpr_workgroup_id_x 1
		.amdhsa_system_sgpr_workgroup_id_y 0
		.amdhsa_system_sgpr_workgroup_id_z 0
		.amdhsa_system_sgpr_workgroup_info 0
		.amdhsa_system_vgpr_workitem_id 0
		.amdhsa_next_free_vgpr 1
		.amdhsa_next_free_sgpr 1
		.amdhsa_named_barrier_count 0
		.amdhsa_reserve_vcc 0
		.amdhsa_float_round_mode_32 0
		.amdhsa_float_round_mode_16_64 0
		.amdhsa_float_denorm_mode_32 3
		.amdhsa_float_denorm_mode_16_64 3
		.amdhsa_fp16_overflow 0
		.amdhsa_memory_ordered 1
		.amdhsa_forward_progress 1
		.amdhsa_inst_pref_size 0
		.amdhsa_round_robin_scheduling 0
		.amdhsa_exception_fp_ieee_invalid_op 0
		.amdhsa_exception_fp_denorm_src 0
		.amdhsa_exception_fp_ieee_div_zero 0
		.amdhsa_exception_fp_ieee_overflow 0
		.amdhsa_exception_fp_ieee_underflow 0
		.amdhsa_exception_fp_ieee_inexact 0
		.amdhsa_exception_int_div_zero 0
	.end_amdhsa_kernel
	.section	.text._ZN7rocprim17ROCPRIM_400000_NS6detail17trampoline_kernelINS0_14default_configENS1_27scan_by_key_config_selectorIisEEZZNS1_16scan_by_key_implILNS1_25lookback_scan_determinismE0ELb0ES3_N6thrust23THRUST_200600_302600_NS6detail15normal_iteratorINS9_10device_ptrIiEEEENSB_INSC_IsEEEESG_sNS9_4plusIvEENS9_8equal_toIvEEsEE10hipError_tPvRmT2_T3_T4_T5_mT6_T7_P12ihipStream_tbENKUlT_T0_E_clISt17integral_constantIbLb0EES10_IbLb1EEEEDaSW_SX_EUlSW_E_NS1_11comp_targetILNS1_3genE9ELNS1_11target_archE1100ELNS1_3gpuE3ELNS1_3repE0EEENS1_30default_config_static_selectorELNS0_4arch9wavefront6targetE0EEEvT1_,"axG",@progbits,_ZN7rocprim17ROCPRIM_400000_NS6detail17trampoline_kernelINS0_14default_configENS1_27scan_by_key_config_selectorIisEEZZNS1_16scan_by_key_implILNS1_25lookback_scan_determinismE0ELb0ES3_N6thrust23THRUST_200600_302600_NS6detail15normal_iteratorINS9_10device_ptrIiEEEENSB_INSC_IsEEEESG_sNS9_4plusIvEENS9_8equal_toIvEEsEE10hipError_tPvRmT2_T3_T4_T5_mT6_T7_P12ihipStream_tbENKUlT_T0_E_clISt17integral_constantIbLb0EES10_IbLb1EEEEDaSW_SX_EUlSW_E_NS1_11comp_targetILNS1_3genE9ELNS1_11target_archE1100ELNS1_3gpuE3ELNS1_3repE0EEENS1_30default_config_static_selectorELNS0_4arch9wavefront6targetE0EEEvT1_,comdat
.Lfunc_end1389:
	.size	_ZN7rocprim17ROCPRIM_400000_NS6detail17trampoline_kernelINS0_14default_configENS1_27scan_by_key_config_selectorIisEEZZNS1_16scan_by_key_implILNS1_25lookback_scan_determinismE0ELb0ES3_N6thrust23THRUST_200600_302600_NS6detail15normal_iteratorINS9_10device_ptrIiEEEENSB_INSC_IsEEEESG_sNS9_4plusIvEENS9_8equal_toIvEEsEE10hipError_tPvRmT2_T3_T4_T5_mT6_T7_P12ihipStream_tbENKUlT_T0_E_clISt17integral_constantIbLb0EES10_IbLb1EEEEDaSW_SX_EUlSW_E_NS1_11comp_targetILNS1_3genE9ELNS1_11target_archE1100ELNS1_3gpuE3ELNS1_3repE0EEENS1_30default_config_static_selectorELNS0_4arch9wavefront6targetE0EEEvT1_, .Lfunc_end1389-_ZN7rocprim17ROCPRIM_400000_NS6detail17trampoline_kernelINS0_14default_configENS1_27scan_by_key_config_selectorIisEEZZNS1_16scan_by_key_implILNS1_25lookback_scan_determinismE0ELb0ES3_N6thrust23THRUST_200600_302600_NS6detail15normal_iteratorINS9_10device_ptrIiEEEENSB_INSC_IsEEEESG_sNS9_4plusIvEENS9_8equal_toIvEEsEE10hipError_tPvRmT2_T3_T4_T5_mT6_T7_P12ihipStream_tbENKUlT_T0_E_clISt17integral_constantIbLb0EES10_IbLb1EEEEDaSW_SX_EUlSW_E_NS1_11comp_targetILNS1_3genE9ELNS1_11target_archE1100ELNS1_3gpuE3ELNS1_3repE0EEENS1_30default_config_static_selectorELNS0_4arch9wavefront6targetE0EEEvT1_
                                        ; -- End function
	.set _ZN7rocprim17ROCPRIM_400000_NS6detail17trampoline_kernelINS0_14default_configENS1_27scan_by_key_config_selectorIisEEZZNS1_16scan_by_key_implILNS1_25lookback_scan_determinismE0ELb0ES3_N6thrust23THRUST_200600_302600_NS6detail15normal_iteratorINS9_10device_ptrIiEEEENSB_INSC_IsEEEESG_sNS9_4plusIvEENS9_8equal_toIvEEsEE10hipError_tPvRmT2_T3_T4_T5_mT6_T7_P12ihipStream_tbENKUlT_T0_E_clISt17integral_constantIbLb0EES10_IbLb1EEEEDaSW_SX_EUlSW_E_NS1_11comp_targetILNS1_3genE9ELNS1_11target_archE1100ELNS1_3gpuE3ELNS1_3repE0EEENS1_30default_config_static_selectorELNS0_4arch9wavefront6targetE0EEEvT1_.num_vgpr, 0
	.set _ZN7rocprim17ROCPRIM_400000_NS6detail17trampoline_kernelINS0_14default_configENS1_27scan_by_key_config_selectorIisEEZZNS1_16scan_by_key_implILNS1_25lookback_scan_determinismE0ELb0ES3_N6thrust23THRUST_200600_302600_NS6detail15normal_iteratorINS9_10device_ptrIiEEEENSB_INSC_IsEEEESG_sNS9_4plusIvEENS9_8equal_toIvEEsEE10hipError_tPvRmT2_T3_T4_T5_mT6_T7_P12ihipStream_tbENKUlT_T0_E_clISt17integral_constantIbLb0EES10_IbLb1EEEEDaSW_SX_EUlSW_E_NS1_11comp_targetILNS1_3genE9ELNS1_11target_archE1100ELNS1_3gpuE3ELNS1_3repE0EEENS1_30default_config_static_selectorELNS0_4arch9wavefront6targetE0EEEvT1_.num_agpr, 0
	.set _ZN7rocprim17ROCPRIM_400000_NS6detail17trampoline_kernelINS0_14default_configENS1_27scan_by_key_config_selectorIisEEZZNS1_16scan_by_key_implILNS1_25lookback_scan_determinismE0ELb0ES3_N6thrust23THRUST_200600_302600_NS6detail15normal_iteratorINS9_10device_ptrIiEEEENSB_INSC_IsEEEESG_sNS9_4plusIvEENS9_8equal_toIvEEsEE10hipError_tPvRmT2_T3_T4_T5_mT6_T7_P12ihipStream_tbENKUlT_T0_E_clISt17integral_constantIbLb0EES10_IbLb1EEEEDaSW_SX_EUlSW_E_NS1_11comp_targetILNS1_3genE9ELNS1_11target_archE1100ELNS1_3gpuE3ELNS1_3repE0EEENS1_30default_config_static_selectorELNS0_4arch9wavefront6targetE0EEEvT1_.numbered_sgpr, 0
	.set _ZN7rocprim17ROCPRIM_400000_NS6detail17trampoline_kernelINS0_14default_configENS1_27scan_by_key_config_selectorIisEEZZNS1_16scan_by_key_implILNS1_25lookback_scan_determinismE0ELb0ES3_N6thrust23THRUST_200600_302600_NS6detail15normal_iteratorINS9_10device_ptrIiEEEENSB_INSC_IsEEEESG_sNS9_4plusIvEENS9_8equal_toIvEEsEE10hipError_tPvRmT2_T3_T4_T5_mT6_T7_P12ihipStream_tbENKUlT_T0_E_clISt17integral_constantIbLb0EES10_IbLb1EEEEDaSW_SX_EUlSW_E_NS1_11comp_targetILNS1_3genE9ELNS1_11target_archE1100ELNS1_3gpuE3ELNS1_3repE0EEENS1_30default_config_static_selectorELNS0_4arch9wavefront6targetE0EEEvT1_.num_named_barrier, 0
	.set _ZN7rocprim17ROCPRIM_400000_NS6detail17trampoline_kernelINS0_14default_configENS1_27scan_by_key_config_selectorIisEEZZNS1_16scan_by_key_implILNS1_25lookback_scan_determinismE0ELb0ES3_N6thrust23THRUST_200600_302600_NS6detail15normal_iteratorINS9_10device_ptrIiEEEENSB_INSC_IsEEEESG_sNS9_4plusIvEENS9_8equal_toIvEEsEE10hipError_tPvRmT2_T3_T4_T5_mT6_T7_P12ihipStream_tbENKUlT_T0_E_clISt17integral_constantIbLb0EES10_IbLb1EEEEDaSW_SX_EUlSW_E_NS1_11comp_targetILNS1_3genE9ELNS1_11target_archE1100ELNS1_3gpuE3ELNS1_3repE0EEENS1_30default_config_static_selectorELNS0_4arch9wavefront6targetE0EEEvT1_.private_seg_size, 0
	.set _ZN7rocprim17ROCPRIM_400000_NS6detail17trampoline_kernelINS0_14default_configENS1_27scan_by_key_config_selectorIisEEZZNS1_16scan_by_key_implILNS1_25lookback_scan_determinismE0ELb0ES3_N6thrust23THRUST_200600_302600_NS6detail15normal_iteratorINS9_10device_ptrIiEEEENSB_INSC_IsEEEESG_sNS9_4plusIvEENS9_8equal_toIvEEsEE10hipError_tPvRmT2_T3_T4_T5_mT6_T7_P12ihipStream_tbENKUlT_T0_E_clISt17integral_constantIbLb0EES10_IbLb1EEEEDaSW_SX_EUlSW_E_NS1_11comp_targetILNS1_3genE9ELNS1_11target_archE1100ELNS1_3gpuE3ELNS1_3repE0EEENS1_30default_config_static_selectorELNS0_4arch9wavefront6targetE0EEEvT1_.uses_vcc, 0
	.set _ZN7rocprim17ROCPRIM_400000_NS6detail17trampoline_kernelINS0_14default_configENS1_27scan_by_key_config_selectorIisEEZZNS1_16scan_by_key_implILNS1_25lookback_scan_determinismE0ELb0ES3_N6thrust23THRUST_200600_302600_NS6detail15normal_iteratorINS9_10device_ptrIiEEEENSB_INSC_IsEEEESG_sNS9_4plusIvEENS9_8equal_toIvEEsEE10hipError_tPvRmT2_T3_T4_T5_mT6_T7_P12ihipStream_tbENKUlT_T0_E_clISt17integral_constantIbLb0EES10_IbLb1EEEEDaSW_SX_EUlSW_E_NS1_11comp_targetILNS1_3genE9ELNS1_11target_archE1100ELNS1_3gpuE3ELNS1_3repE0EEENS1_30default_config_static_selectorELNS0_4arch9wavefront6targetE0EEEvT1_.uses_flat_scratch, 0
	.set _ZN7rocprim17ROCPRIM_400000_NS6detail17trampoline_kernelINS0_14default_configENS1_27scan_by_key_config_selectorIisEEZZNS1_16scan_by_key_implILNS1_25lookback_scan_determinismE0ELb0ES3_N6thrust23THRUST_200600_302600_NS6detail15normal_iteratorINS9_10device_ptrIiEEEENSB_INSC_IsEEEESG_sNS9_4plusIvEENS9_8equal_toIvEEsEE10hipError_tPvRmT2_T3_T4_T5_mT6_T7_P12ihipStream_tbENKUlT_T0_E_clISt17integral_constantIbLb0EES10_IbLb1EEEEDaSW_SX_EUlSW_E_NS1_11comp_targetILNS1_3genE9ELNS1_11target_archE1100ELNS1_3gpuE3ELNS1_3repE0EEENS1_30default_config_static_selectorELNS0_4arch9wavefront6targetE0EEEvT1_.has_dyn_sized_stack, 0
	.set _ZN7rocprim17ROCPRIM_400000_NS6detail17trampoline_kernelINS0_14default_configENS1_27scan_by_key_config_selectorIisEEZZNS1_16scan_by_key_implILNS1_25lookback_scan_determinismE0ELb0ES3_N6thrust23THRUST_200600_302600_NS6detail15normal_iteratorINS9_10device_ptrIiEEEENSB_INSC_IsEEEESG_sNS9_4plusIvEENS9_8equal_toIvEEsEE10hipError_tPvRmT2_T3_T4_T5_mT6_T7_P12ihipStream_tbENKUlT_T0_E_clISt17integral_constantIbLb0EES10_IbLb1EEEEDaSW_SX_EUlSW_E_NS1_11comp_targetILNS1_3genE9ELNS1_11target_archE1100ELNS1_3gpuE3ELNS1_3repE0EEENS1_30default_config_static_selectorELNS0_4arch9wavefront6targetE0EEEvT1_.has_recursion, 0
	.set _ZN7rocprim17ROCPRIM_400000_NS6detail17trampoline_kernelINS0_14default_configENS1_27scan_by_key_config_selectorIisEEZZNS1_16scan_by_key_implILNS1_25lookback_scan_determinismE0ELb0ES3_N6thrust23THRUST_200600_302600_NS6detail15normal_iteratorINS9_10device_ptrIiEEEENSB_INSC_IsEEEESG_sNS9_4plusIvEENS9_8equal_toIvEEsEE10hipError_tPvRmT2_T3_T4_T5_mT6_T7_P12ihipStream_tbENKUlT_T0_E_clISt17integral_constantIbLb0EES10_IbLb1EEEEDaSW_SX_EUlSW_E_NS1_11comp_targetILNS1_3genE9ELNS1_11target_archE1100ELNS1_3gpuE3ELNS1_3repE0EEENS1_30default_config_static_selectorELNS0_4arch9wavefront6targetE0EEEvT1_.has_indirect_call, 0
	.section	.AMDGPU.csdata,"",@progbits
; Kernel info:
; codeLenInByte = 0
; TotalNumSgprs: 0
; NumVgprs: 0
; ScratchSize: 0
; MemoryBound: 0
; FloatMode: 240
; IeeeMode: 1
; LDSByteSize: 0 bytes/workgroup (compile time only)
; SGPRBlocks: 0
; VGPRBlocks: 0
; NumSGPRsForWavesPerEU: 1
; NumVGPRsForWavesPerEU: 1
; NamedBarCnt: 0
; Occupancy: 16
; WaveLimiterHint : 0
; COMPUTE_PGM_RSRC2:SCRATCH_EN: 0
; COMPUTE_PGM_RSRC2:USER_SGPR: 2
; COMPUTE_PGM_RSRC2:TRAP_HANDLER: 0
; COMPUTE_PGM_RSRC2:TGID_X_EN: 1
; COMPUTE_PGM_RSRC2:TGID_Y_EN: 0
; COMPUTE_PGM_RSRC2:TGID_Z_EN: 0
; COMPUTE_PGM_RSRC2:TIDIG_COMP_CNT: 0
	.section	.text._ZN7rocprim17ROCPRIM_400000_NS6detail17trampoline_kernelINS0_14default_configENS1_27scan_by_key_config_selectorIisEEZZNS1_16scan_by_key_implILNS1_25lookback_scan_determinismE0ELb0ES3_N6thrust23THRUST_200600_302600_NS6detail15normal_iteratorINS9_10device_ptrIiEEEENSB_INSC_IsEEEESG_sNS9_4plusIvEENS9_8equal_toIvEEsEE10hipError_tPvRmT2_T3_T4_T5_mT6_T7_P12ihipStream_tbENKUlT_T0_E_clISt17integral_constantIbLb0EES10_IbLb1EEEEDaSW_SX_EUlSW_E_NS1_11comp_targetILNS1_3genE8ELNS1_11target_archE1030ELNS1_3gpuE2ELNS1_3repE0EEENS1_30default_config_static_selectorELNS0_4arch9wavefront6targetE0EEEvT1_,"axG",@progbits,_ZN7rocprim17ROCPRIM_400000_NS6detail17trampoline_kernelINS0_14default_configENS1_27scan_by_key_config_selectorIisEEZZNS1_16scan_by_key_implILNS1_25lookback_scan_determinismE0ELb0ES3_N6thrust23THRUST_200600_302600_NS6detail15normal_iteratorINS9_10device_ptrIiEEEENSB_INSC_IsEEEESG_sNS9_4plusIvEENS9_8equal_toIvEEsEE10hipError_tPvRmT2_T3_T4_T5_mT6_T7_P12ihipStream_tbENKUlT_T0_E_clISt17integral_constantIbLb0EES10_IbLb1EEEEDaSW_SX_EUlSW_E_NS1_11comp_targetILNS1_3genE8ELNS1_11target_archE1030ELNS1_3gpuE2ELNS1_3repE0EEENS1_30default_config_static_selectorELNS0_4arch9wavefront6targetE0EEEvT1_,comdat
	.protected	_ZN7rocprim17ROCPRIM_400000_NS6detail17trampoline_kernelINS0_14default_configENS1_27scan_by_key_config_selectorIisEEZZNS1_16scan_by_key_implILNS1_25lookback_scan_determinismE0ELb0ES3_N6thrust23THRUST_200600_302600_NS6detail15normal_iteratorINS9_10device_ptrIiEEEENSB_INSC_IsEEEESG_sNS9_4plusIvEENS9_8equal_toIvEEsEE10hipError_tPvRmT2_T3_T4_T5_mT6_T7_P12ihipStream_tbENKUlT_T0_E_clISt17integral_constantIbLb0EES10_IbLb1EEEEDaSW_SX_EUlSW_E_NS1_11comp_targetILNS1_3genE8ELNS1_11target_archE1030ELNS1_3gpuE2ELNS1_3repE0EEENS1_30default_config_static_selectorELNS0_4arch9wavefront6targetE0EEEvT1_ ; -- Begin function _ZN7rocprim17ROCPRIM_400000_NS6detail17trampoline_kernelINS0_14default_configENS1_27scan_by_key_config_selectorIisEEZZNS1_16scan_by_key_implILNS1_25lookback_scan_determinismE0ELb0ES3_N6thrust23THRUST_200600_302600_NS6detail15normal_iteratorINS9_10device_ptrIiEEEENSB_INSC_IsEEEESG_sNS9_4plusIvEENS9_8equal_toIvEEsEE10hipError_tPvRmT2_T3_T4_T5_mT6_T7_P12ihipStream_tbENKUlT_T0_E_clISt17integral_constantIbLb0EES10_IbLb1EEEEDaSW_SX_EUlSW_E_NS1_11comp_targetILNS1_3genE8ELNS1_11target_archE1030ELNS1_3gpuE2ELNS1_3repE0EEENS1_30default_config_static_selectorELNS0_4arch9wavefront6targetE0EEEvT1_
	.globl	_ZN7rocprim17ROCPRIM_400000_NS6detail17trampoline_kernelINS0_14default_configENS1_27scan_by_key_config_selectorIisEEZZNS1_16scan_by_key_implILNS1_25lookback_scan_determinismE0ELb0ES3_N6thrust23THRUST_200600_302600_NS6detail15normal_iteratorINS9_10device_ptrIiEEEENSB_INSC_IsEEEESG_sNS9_4plusIvEENS9_8equal_toIvEEsEE10hipError_tPvRmT2_T3_T4_T5_mT6_T7_P12ihipStream_tbENKUlT_T0_E_clISt17integral_constantIbLb0EES10_IbLb1EEEEDaSW_SX_EUlSW_E_NS1_11comp_targetILNS1_3genE8ELNS1_11target_archE1030ELNS1_3gpuE2ELNS1_3repE0EEENS1_30default_config_static_selectorELNS0_4arch9wavefront6targetE0EEEvT1_
	.p2align	8
	.type	_ZN7rocprim17ROCPRIM_400000_NS6detail17trampoline_kernelINS0_14default_configENS1_27scan_by_key_config_selectorIisEEZZNS1_16scan_by_key_implILNS1_25lookback_scan_determinismE0ELb0ES3_N6thrust23THRUST_200600_302600_NS6detail15normal_iteratorINS9_10device_ptrIiEEEENSB_INSC_IsEEEESG_sNS9_4plusIvEENS9_8equal_toIvEEsEE10hipError_tPvRmT2_T3_T4_T5_mT6_T7_P12ihipStream_tbENKUlT_T0_E_clISt17integral_constantIbLb0EES10_IbLb1EEEEDaSW_SX_EUlSW_E_NS1_11comp_targetILNS1_3genE8ELNS1_11target_archE1030ELNS1_3gpuE2ELNS1_3repE0EEENS1_30default_config_static_selectorELNS0_4arch9wavefront6targetE0EEEvT1_,@function
_ZN7rocprim17ROCPRIM_400000_NS6detail17trampoline_kernelINS0_14default_configENS1_27scan_by_key_config_selectorIisEEZZNS1_16scan_by_key_implILNS1_25lookback_scan_determinismE0ELb0ES3_N6thrust23THRUST_200600_302600_NS6detail15normal_iteratorINS9_10device_ptrIiEEEENSB_INSC_IsEEEESG_sNS9_4plusIvEENS9_8equal_toIvEEsEE10hipError_tPvRmT2_T3_T4_T5_mT6_T7_P12ihipStream_tbENKUlT_T0_E_clISt17integral_constantIbLb0EES10_IbLb1EEEEDaSW_SX_EUlSW_E_NS1_11comp_targetILNS1_3genE8ELNS1_11target_archE1030ELNS1_3gpuE2ELNS1_3repE0EEENS1_30default_config_static_selectorELNS0_4arch9wavefront6targetE0EEEvT1_: ; @_ZN7rocprim17ROCPRIM_400000_NS6detail17trampoline_kernelINS0_14default_configENS1_27scan_by_key_config_selectorIisEEZZNS1_16scan_by_key_implILNS1_25lookback_scan_determinismE0ELb0ES3_N6thrust23THRUST_200600_302600_NS6detail15normal_iteratorINS9_10device_ptrIiEEEENSB_INSC_IsEEEESG_sNS9_4plusIvEENS9_8equal_toIvEEsEE10hipError_tPvRmT2_T3_T4_T5_mT6_T7_P12ihipStream_tbENKUlT_T0_E_clISt17integral_constantIbLb0EES10_IbLb1EEEEDaSW_SX_EUlSW_E_NS1_11comp_targetILNS1_3genE8ELNS1_11target_archE1030ELNS1_3gpuE2ELNS1_3repE0EEENS1_30default_config_static_selectorELNS0_4arch9wavefront6targetE0EEEvT1_
; %bb.0:
	.section	.rodata,"a",@progbits
	.p2align	6, 0x0
	.amdhsa_kernel _ZN7rocprim17ROCPRIM_400000_NS6detail17trampoline_kernelINS0_14default_configENS1_27scan_by_key_config_selectorIisEEZZNS1_16scan_by_key_implILNS1_25lookback_scan_determinismE0ELb0ES3_N6thrust23THRUST_200600_302600_NS6detail15normal_iteratorINS9_10device_ptrIiEEEENSB_INSC_IsEEEESG_sNS9_4plusIvEENS9_8equal_toIvEEsEE10hipError_tPvRmT2_T3_T4_T5_mT6_T7_P12ihipStream_tbENKUlT_T0_E_clISt17integral_constantIbLb0EES10_IbLb1EEEEDaSW_SX_EUlSW_E_NS1_11comp_targetILNS1_3genE8ELNS1_11target_archE1030ELNS1_3gpuE2ELNS1_3repE0EEENS1_30default_config_static_selectorELNS0_4arch9wavefront6targetE0EEEvT1_
		.amdhsa_group_segment_fixed_size 0
		.amdhsa_private_segment_fixed_size 0
		.amdhsa_kernarg_size 112
		.amdhsa_user_sgpr_count 2
		.amdhsa_user_sgpr_dispatch_ptr 0
		.amdhsa_user_sgpr_queue_ptr 0
		.amdhsa_user_sgpr_kernarg_segment_ptr 1
		.amdhsa_user_sgpr_dispatch_id 0
		.amdhsa_user_sgpr_kernarg_preload_length 0
		.amdhsa_user_sgpr_kernarg_preload_offset 0
		.amdhsa_user_sgpr_private_segment_size 0
		.amdhsa_wavefront_size32 1
		.amdhsa_uses_dynamic_stack 0
		.amdhsa_enable_private_segment 0
		.amdhsa_system_sgpr_workgroup_id_x 1
		.amdhsa_system_sgpr_workgroup_id_y 0
		.amdhsa_system_sgpr_workgroup_id_z 0
		.amdhsa_system_sgpr_workgroup_info 0
		.amdhsa_system_vgpr_workitem_id 0
		.amdhsa_next_free_vgpr 1
		.amdhsa_next_free_sgpr 1
		.amdhsa_named_barrier_count 0
		.amdhsa_reserve_vcc 0
		.amdhsa_float_round_mode_32 0
		.amdhsa_float_round_mode_16_64 0
		.amdhsa_float_denorm_mode_32 3
		.amdhsa_float_denorm_mode_16_64 3
		.amdhsa_fp16_overflow 0
		.amdhsa_memory_ordered 1
		.amdhsa_forward_progress 1
		.amdhsa_inst_pref_size 0
		.amdhsa_round_robin_scheduling 0
		.amdhsa_exception_fp_ieee_invalid_op 0
		.amdhsa_exception_fp_denorm_src 0
		.amdhsa_exception_fp_ieee_div_zero 0
		.amdhsa_exception_fp_ieee_overflow 0
		.amdhsa_exception_fp_ieee_underflow 0
		.amdhsa_exception_fp_ieee_inexact 0
		.amdhsa_exception_int_div_zero 0
	.end_amdhsa_kernel
	.section	.text._ZN7rocprim17ROCPRIM_400000_NS6detail17trampoline_kernelINS0_14default_configENS1_27scan_by_key_config_selectorIisEEZZNS1_16scan_by_key_implILNS1_25lookback_scan_determinismE0ELb0ES3_N6thrust23THRUST_200600_302600_NS6detail15normal_iteratorINS9_10device_ptrIiEEEENSB_INSC_IsEEEESG_sNS9_4plusIvEENS9_8equal_toIvEEsEE10hipError_tPvRmT2_T3_T4_T5_mT6_T7_P12ihipStream_tbENKUlT_T0_E_clISt17integral_constantIbLb0EES10_IbLb1EEEEDaSW_SX_EUlSW_E_NS1_11comp_targetILNS1_3genE8ELNS1_11target_archE1030ELNS1_3gpuE2ELNS1_3repE0EEENS1_30default_config_static_selectorELNS0_4arch9wavefront6targetE0EEEvT1_,"axG",@progbits,_ZN7rocprim17ROCPRIM_400000_NS6detail17trampoline_kernelINS0_14default_configENS1_27scan_by_key_config_selectorIisEEZZNS1_16scan_by_key_implILNS1_25lookback_scan_determinismE0ELb0ES3_N6thrust23THRUST_200600_302600_NS6detail15normal_iteratorINS9_10device_ptrIiEEEENSB_INSC_IsEEEESG_sNS9_4plusIvEENS9_8equal_toIvEEsEE10hipError_tPvRmT2_T3_T4_T5_mT6_T7_P12ihipStream_tbENKUlT_T0_E_clISt17integral_constantIbLb0EES10_IbLb1EEEEDaSW_SX_EUlSW_E_NS1_11comp_targetILNS1_3genE8ELNS1_11target_archE1030ELNS1_3gpuE2ELNS1_3repE0EEENS1_30default_config_static_selectorELNS0_4arch9wavefront6targetE0EEEvT1_,comdat
.Lfunc_end1390:
	.size	_ZN7rocprim17ROCPRIM_400000_NS6detail17trampoline_kernelINS0_14default_configENS1_27scan_by_key_config_selectorIisEEZZNS1_16scan_by_key_implILNS1_25lookback_scan_determinismE0ELb0ES3_N6thrust23THRUST_200600_302600_NS6detail15normal_iteratorINS9_10device_ptrIiEEEENSB_INSC_IsEEEESG_sNS9_4plusIvEENS9_8equal_toIvEEsEE10hipError_tPvRmT2_T3_T4_T5_mT6_T7_P12ihipStream_tbENKUlT_T0_E_clISt17integral_constantIbLb0EES10_IbLb1EEEEDaSW_SX_EUlSW_E_NS1_11comp_targetILNS1_3genE8ELNS1_11target_archE1030ELNS1_3gpuE2ELNS1_3repE0EEENS1_30default_config_static_selectorELNS0_4arch9wavefront6targetE0EEEvT1_, .Lfunc_end1390-_ZN7rocprim17ROCPRIM_400000_NS6detail17trampoline_kernelINS0_14default_configENS1_27scan_by_key_config_selectorIisEEZZNS1_16scan_by_key_implILNS1_25lookback_scan_determinismE0ELb0ES3_N6thrust23THRUST_200600_302600_NS6detail15normal_iteratorINS9_10device_ptrIiEEEENSB_INSC_IsEEEESG_sNS9_4plusIvEENS9_8equal_toIvEEsEE10hipError_tPvRmT2_T3_T4_T5_mT6_T7_P12ihipStream_tbENKUlT_T0_E_clISt17integral_constantIbLb0EES10_IbLb1EEEEDaSW_SX_EUlSW_E_NS1_11comp_targetILNS1_3genE8ELNS1_11target_archE1030ELNS1_3gpuE2ELNS1_3repE0EEENS1_30default_config_static_selectorELNS0_4arch9wavefront6targetE0EEEvT1_
                                        ; -- End function
	.set _ZN7rocprim17ROCPRIM_400000_NS6detail17trampoline_kernelINS0_14default_configENS1_27scan_by_key_config_selectorIisEEZZNS1_16scan_by_key_implILNS1_25lookback_scan_determinismE0ELb0ES3_N6thrust23THRUST_200600_302600_NS6detail15normal_iteratorINS9_10device_ptrIiEEEENSB_INSC_IsEEEESG_sNS9_4plusIvEENS9_8equal_toIvEEsEE10hipError_tPvRmT2_T3_T4_T5_mT6_T7_P12ihipStream_tbENKUlT_T0_E_clISt17integral_constantIbLb0EES10_IbLb1EEEEDaSW_SX_EUlSW_E_NS1_11comp_targetILNS1_3genE8ELNS1_11target_archE1030ELNS1_3gpuE2ELNS1_3repE0EEENS1_30default_config_static_selectorELNS0_4arch9wavefront6targetE0EEEvT1_.num_vgpr, 0
	.set _ZN7rocprim17ROCPRIM_400000_NS6detail17trampoline_kernelINS0_14default_configENS1_27scan_by_key_config_selectorIisEEZZNS1_16scan_by_key_implILNS1_25lookback_scan_determinismE0ELb0ES3_N6thrust23THRUST_200600_302600_NS6detail15normal_iteratorINS9_10device_ptrIiEEEENSB_INSC_IsEEEESG_sNS9_4plusIvEENS9_8equal_toIvEEsEE10hipError_tPvRmT2_T3_T4_T5_mT6_T7_P12ihipStream_tbENKUlT_T0_E_clISt17integral_constantIbLb0EES10_IbLb1EEEEDaSW_SX_EUlSW_E_NS1_11comp_targetILNS1_3genE8ELNS1_11target_archE1030ELNS1_3gpuE2ELNS1_3repE0EEENS1_30default_config_static_selectorELNS0_4arch9wavefront6targetE0EEEvT1_.num_agpr, 0
	.set _ZN7rocprim17ROCPRIM_400000_NS6detail17trampoline_kernelINS0_14default_configENS1_27scan_by_key_config_selectorIisEEZZNS1_16scan_by_key_implILNS1_25lookback_scan_determinismE0ELb0ES3_N6thrust23THRUST_200600_302600_NS6detail15normal_iteratorINS9_10device_ptrIiEEEENSB_INSC_IsEEEESG_sNS9_4plusIvEENS9_8equal_toIvEEsEE10hipError_tPvRmT2_T3_T4_T5_mT6_T7_P12ihipStream_tbENKUlT_T0_E_clISt17integral_constantIbLb0EES10_IbLb1EEEEDaSW_SX_EUlSW_E_NS1_11comp_targetILNS1_3genE8ELNS1_11target_archE1030ELNS1_3gpuE2ELNS1_3repE0EEENS1_30default_config_static_selectorELNS0_4arch9wavefront6targetE0EEEvT1_.numbered_sgpr, 0
	.set _ZN7rocprim17ROCPRIM_400000_NS6detail17trampoline_kernelINS0_14default_configENS1_27scan_by_key_config_selectorIisEEZZNS1_16scan_by_key_implILNS1_25lookback_scan_determinismE0ELb0ES3_N6thrust23THRUST_200600_302600_NS6detail15normal_iteratorINS9_10device_ptrIiEEEENSB_INSC_IsEEEESG_sNS9_4plusIvEENS9_8equal_toIvEEsEE10hipError_tPvRmT2_T3_T4_T5_mT6_T7_P12ihipStream_tbENKUlT_T0_E_clISt17integral_constantIbLb0EES10_IbLb1EEEEDaSW_SX_EUlSW_E_NS1_11comp_targetILNS1_3genE8ELNS1_11target_archE1030ELNS1_3gpuE2ELNS1_3repE0EEENS1_30default_config_static_selectorELNS0_4arch9wavefront6targetE0EEEvT1_.num_named_barrier, 0
	.set _ZN7rocprim17ROCPRIM_400000_NS6detail17trampoline_kernelINS0_14default_configENS1_27scan_by_key_config_selectorIisEEZZNS1_16scan_by_key_implILNS1_25lookback_scan_determinismE0ELb0ES3_N6thrust23THRUST_200600_302600_NS6detail15normal_iteratorINS9_10device_ptrIiEEEENSB_INSC_IsEEEESG_sNS9_4plusIvEENS9_8equal_toIvEEsEE10hipError_tPvRmT2_T3_T4_T5_mT6_T7_P12ihipStream_tbENKUlT_T0_E_clISt17integral_constantIbLb0EES10_IbLb1EEEEDaSW_SX_EUlSW_E_NS1_11comp_targetILNS1_3genE8ELNS1_11target_archE1030ELNS1_3gpuE2ELNS1_3repE0EEENS1_30default_config_static_selectorELNS0_4arch9wavefront6targetE0EEEvT1_.private_seg_size, 0
	.set _ZN7rocprim17ROCPRIM_400000_NS6detail17trampoline_kernelINS0_14default_configENS1_27scan_by_key_config_selectorIisEEZZNS1_16scan_by_key_implILNS1_25lookback_scan_determinismE0ELb0ES3_N6thrust23THRUST_200600_302600_NS6detail15normal_iteratorINS9_10device_ptrIiEEEENSB_INSC_IsEEEESG_sNS9_4plusIvEENS9_8equal_toIvEEsEE10hipError_tPvRmT2_T3_T4_T5_mT6_T7_P12ihipStream_tbENKUlT_T0_E_clISt17integral_constantIbLb0EES10_IbLb1EEEEDaSW_SX_EUlSW_E_NS1_11comp_targetILNS1_3genE8ELNS1_11target_archE1030ELNS1_3gpuE2ELNS1_3repE0EEENS1_30default_config_static_selectorELNS0_4arch9wavefront6targetE0EEEvT1_.uses_vcc, 0
	.set _ZN7rocprim17ROCPRIM_400000_NS6detail17trampoline_kernelINS0_14default_configENS1_27scan_by_key_config_selectorIisEEZZNS1_16scan_by_key_implILNS1_25lookback_scan_determinismE0ELb0ES3_N6thrust23THRUST_200600_302600_NS6detail15normal_iteratorINS9_10device_ptrIiEEEENSB_INSC_IsEEEESG_sNS9_4plusIvEENS9_8equal_toIvEEsEE10hipError_tPvRmT2_T3_T4_T5_mT6_T7_P12ihipStream_tbENKUlT_T0_E_clISt17integral_constantIbLb0EES10_IbLb1EEEEDaSW_SX_EUlSW_E_NS1_11comp_targetILNS1_3genE8ELNS1_11target_archE1030ELNS1_3gpuE2ELNS1_3repE0EEENS1_30default_config_static_selectorELNS0_4arch9wavefront6targetE0EEEvT1_.uses_flat_scratch, 0
	.set _ZN7rocprim17ROCPRIM_400000_NS6detail17trampoline_kernelINS0_14default_configENS1_27scan_by_key_config_selectorIisEEZZNS1_16scan_by_key_implILNS1_25lookback_scan_determinismE0ELb0ES3_N6thrust23THRUST_200600_302600_NS6detail15normal_iteratorINS9_10device_ptrIiEEEENSB_INSC_IsEEEESG_sNS9_4plusIvEENS9_8equal_toIvEEsEE10hipError_tPvRmT2_T3_T4_T5_mT6_T7_P12ihipStream_tbENKUlT_T0_E_clISt17integral_constantIbLb0EES10_IbLb1EEEEDaSW_SX_EUlSW_E_NS1_11comp_targetILNS1_3genE8ELNS1_11target_archE1030ELNS1_3gpuE2ELNS1_3repE0EEENS1_30default_config_static_selectorELNS0_4arch9wavefront6targetE0EEEvT1_.has_dyn_sized_stack, 0
	.set _ZN7rocprim17ROCPRIM_400000_NS6detail17trampoline_kernelINS0_14default_configENS1_27scan_by_key_config_selectorIisEEZZNS1_16scan_by_key_implILNS1_25lookback_scan_determinismE0ELb0ES3_N6thrust23THRUST_200600_302600_NS6detail15normal_iteratorINS9_10device_ptrIiEEEENSB_INSC_IsEEEESG_sNS9_4plusIvEENS9_8equal_toIvEEsEE10hipError_tPvRmT2_T3_T4_T5_mT6_T7_P12ihipStream_tbENKUlT_T0_E_clISt17integral_constantIbLb0EES10_IbLb1EEEEDaSW_SX_EUlSW_E_NS1_11comp_targetILNS1_3genE8ELNS1_11target_archE1030ELNS1_3gpuE2ELNS1_3repE0EEENS1_30default_config_static_selectorELNS0_4arch9wavefront6targetE0EEEvT1_.has_recursion, 0
	.set _ZN7rocprim17ROCPRIM_400000_NS6detail17trampoline_kernelINS0_14default_configENS1_27scan_by_key_config_selectorIisEEZZNS1_16scan_by_key_implILNS1_25lookback_scan_determinismE0ELb0ES3_N6thrust23THRUST_200600_302600_NS6detail15normal_iteratorINS9_10device_ptrIiEEEENSB_INSC_IsEEEESG_sNS9_4plusIvEENS9_8equal_toIvEEsEE10hipError_tPvRmT2_T3_T4_T5_mT6_T7_P12ihipStream_tbENKUlT_T0_E_clISt17integral_constantIbLb0EES10_IbLb1EEEEDaSW_SX_EUlSW_E_NS1_11comp_targetILNS1_3genE8ELNS1_11target_archE1030ELNS1_3gpuE2ELNS1_3repE0EEENS1_30default_config_static_selectorELNS0_4arch9wavefront6targetE0EEEvT1_.has_indirect_call, 0
	.section	.AMDGPU.csdata,"",@progbits
; Kernel info:
; codeLenInByte = 0
; TotalNumSgprs: 0
; NumVgprs: 0
; ScratchSize: 0
; MemoryBound: 0
; FloatMode: 240
; IeeeMode: 1
; LDSByteSize: 0 bytes/workgroup (compile time only)
; SGPRBlocks: 0
; VGPRBlocks: 0
; NumSGPRsForWavesPerEU: 1
; NumVGPRsForWavesPerEU: 1
; NamedBarCnt: 0
; Occupancy: 16
; WaveLimiterHint : 0
; COMPUTE_PGM_RSRC2:SCRATCH_EN: 0
; COMPUTE_PGM_RSRC2:USER_SGPR: 2
; COMPUTE_PGM_RSRC2:TRAP_HANDLER: 0
; COMPUTE_PGM_RSRC2:TGID_X_EN: 1
; COMPUTE_PGM_RSRC2:TGID_Y_EN: 0
; COMPUTE_PGM_RSRC2:TGID_Z_EN: 0
; COMPUTE_PGM_RSRC2:TIDIG_COMP_CNT: 0
	.section	.text._ZN7rocprim17ROCPRIM_400000_NS6detail17trampoline_kernelINS0_14default_configENS1_27scan_by_key_config_selectorIidEEZZNS1_16scan_by_key_implILNS1_25lookback_scan_determinismE0ELb1ES3_N6thrust23THRUST_200600_302600_NS6detail15normal_iteratorINS9_10device_ptrIiEEEENSB_INSC_IdEEEESG_dNS9_4plusIvEENS9_8equal_toIvEEdEE10hipError_tPvRmT2_T3_T4_T5_mT6_T7_P12ihipStream_tbENKUlT_T0_E_clISt17integral_constantIbLb0EES11_EEDaSW_SX_EUlSW_E_NS1_11comp_targetILNS1_3genE0ELNS1_11target_archE4294967295ELNS1_3gpuE0ELNS1_3repE0EEENS1_30default_config_static_selectorELNS0_4arch9wavefront6targetE0EEEvT1_,"axG",@progbits,_ZN7rocprim17ROCPRIM_400000_NS6detail17trampoline_kernelINS0_14default_configENS1_27scan_by_key_config_selectorIidEEZZNS1_16scan_by_key_implILNS1_25lookback_scan_determinismE0ELb1ES3_N6thrust23THRUST_200600_302600_NS6detail15normal_iteratorINS9_10device_ptrIiEEEENSB_INSC_IdEEEESG_dNS9_4plusIvEENS9_8equal_toIvEEdEE10hipError_tPvRmT2_T3_T4_T5_mT6_T7_P12ihipStream_tbENKUlT_T0_E_clISt17integral_constantIbLb0EES11_EEDaSW_SX_EUlSW_E_NS1_11comp_targetILNS1_3genE0ELNS1_11target_archE4294967295ELNS1_3gpuE0ELNS1_3repE0EEENS1_30default_config_static_selectorELNS0_4arch9wavefront6targetE0EEEvT1_,comdat
	.protected	_ZN7rocprim17ROCPRIM_400000_NS6detail17trampoline_kernelINS0_14default_configENS1_27scan_by_key_config_selectorIidEEZZNS1_16scan_by_key_implILNS1_25lookback_scan_determinismE0ELb1ES3_N6thrust23THRUST_200600_302600_NS6detail15normal_iteratorINS9_10device_ptrIiEEEENSB_INSC_IdEEEESG_dNS9_4plusIvEENS9_8equal_toIvEEdEE10hipError_tPvRmT2_T3_T4_T5_mT6_T7_P12ihipStream_tbENKUlT_T0_E_clISt17integral_constantIbLb0EES11_EEDaSW_SX_EUlSW_E_NS1_11comp_targetILNS1_3genE0ELNS1_11target_archE4294967295ELNS1_3gpuE0ELNS1_3repE0EEENS1_30default_config_static_selectorELNS0_4arch9wavefront6targetE0EEEvT1_ ; -- Begin function _ZN7rocprim17ROCPRIM_400000_NS6detail17trampoline_kernelINS0_14default_configENS1_27scan_by_key_config_selectorIidEEZZNS1_16scan_by_key_implILNS1_25lookback_scan_determinismE0ELb1ES3_N6thrust23THRUST_200600_302600_NS6detail15normal_iteratorINS9_10device_ptrIiEEEENSB_INSC_IdEEEESG_dNS9_4plusIvEENS9_8equal_toIvEEdEE10hipError_tPvRmT2_T3_T4_T5_mT6_T7_P12ihipStream_tbENKUlT_T0_E_clISt17integral_constantIbLb0EES11_EEDaSW_SX_EUlSW_E_NS1_11comp_targetILNS1_3genE0ELNS1_11target_archE4294967295ELNS1_3gpuE0ELNS1_3repE0EEENS1_30default_config_static_selectorELNS0_4arch9wavefront6targetE0EEEvT1_
	.globl	_ZN7rocprim17ROCPRIM_400000_NS6detail17trampoline_kernelINS0_14default_configENS1_27scan_by_key_config_selectorIidEEZZNS1_16scan_by_key_implILNS1_25lookback_scan_determinismE0ELb1ES3_N6thrust23THRUST_200600_302600_NS6detail15normal_iteratorINS9_10device_ptrIiEEEENSB_INSC_IdEEEESG_dNS9_4plusIvEENS9_8equal_toIvEEdEE10hipError_tPvRmT2_T3_T4_T5_mT6_T7_P12ihipStream_tbENKUlT_T0_E_clISt17integral_constantIbLb0EES11_EEDaSW_SX_EUlSW_E_NS1_11comp_targetILNS1_3genE0ELNS1_11target_archE4294967295ELNS1_3gpuE0ELNS1_3repE0EEENS1_30default_config_static_selectorELNS0_4arch9wavefront6targetE0EEEvT1_
	.p2align	8
	.type	_ZN7rocprim17ROCPRIM_400000_NS6detail17trampoline_kernelINS0_14default_configENS1_27scan_by_key_config_selectorIidEEZZNS1_16scan_by_key_implILNS1_25lookback_scan_determinismE0ELb1ES3_N6thrust23THRUST_200600_302600_NS6detail15normal_iteratorINS9_10device_ptrIiEEEENSB_INSC_IdEEEESG_dNS9_4plusIvEENS9_8equal_toIvEEdEE10hipError_tPvRmT2_T3_T4_T5_mT6_T7_P12ihipStream_tbENKUlT_T0_E_clISt17integral_constantIbLb0EES11_EEDaSW_SX_EUlSW_E_NS1_11comp_targetILNS1_3genE0ELNS1_11target_archE4294967295ELNS1_3gpuE0ELNS1_3repE0EEENS1_30default_config_static_selectorELNS0_4arch9wavefront6targetE0EEEvT1_,@function
_ZN7rocprim17ROCPRIM_400000_NS6detail17trampoline_kernelINS0_14default_configENS1_27scan_by_key_config_selectorIidEEZZNS1_16scan_by_key_implILNS1_25lookback_scan_determinismE0ELb1ES3_N6thrust23THRUST_200600_302600_NS6detail15normal_iteratorINS9_10device_ptrIiEEEENSB_INSC_IdEEEESG_dNS9_4plusIvEENS9_8equal_toIvEEdEE10hipError_tPvRmT2_T3_T4_T5_mT6_T7_P12ihipStream_tbENKUlT_T0_E_clISt17integral_constantIbLb0EES11_EEDaSW_SX_EUlSW_E_NS1_11comp_targetILNS1_3genE0ELNS1_11target_archE4294967295ELNS1_3gpuE0ELNS1_3repE0EEENS1_30default_config_static_selectorELNS0_4arch9wavefront6targetE0EEEvT1_: ; @_ZN7rocprim17ROCPRIM_400000_NS6detail17trampoline_kernelINS0_14default_configENS1_27scan_by_key_config_selectorIidEEZZNS1_16scan_by_key_implILNS1_25lookback_scan_determinismE0ELb1ES3_N6thrust23THRUST_200600_302600_NS6detail15normal_iteratorINS9_10device_ptrIiEEEENSB_INSC_IdEEEESG_dNS9_4plusIvEENS9_8equal_toIvEEdEE10hipError_tPvRmT2_T3_T4_T5_mT6_T7_P12ihipStream_tbENKUlT_T0_E_clISt17integral_constantIbLb0EES11_EEDaSW_SX_EUlSW_E_NS1_11comp_targetILNS1_3genE0ELNS1_11target_archE4294967295ELNS1_3gpuE0ELNS1_3repE0EEENS1_30default_config_static_selectorELNS0_4arch9wavefront6targetE0EEEvT1_
; %bb.0:
	s_clause 0x2
	s_load_b96 s[36:38], s[0:1], 0x50
	s_load_b256 s[12:19], s[0:1], 0x0
	s_load_b128 s[28:31], s[0:1], 0x60
	s_bfe_u32 s4, ttmp6, 0x4000c
	s_load_b64 s[40:41], s[0:1], 0x20
	s_add_co_i32 s4, s4, 1
	s_load_b256 s[20:27], s[0:1], 0x30
	s_and_b32 s2, ttmp6, 15
	s_wait_xcnt 0x0
	s_mul_i32 s0, ttmp9, s4
	s_getreg_b32 s5, hwreg(HW_REG_IB_STS2, 6, 4)
	s_add_co_i32 s6, s2, s0
	s_mov_b32 s3, 0
	s_delay_alu instid0(SALU_CYCLE_1)
	s_mov_b32 s39, s3
	s_barrier_signal -1
	s_barrier_wait -1
	s_wait_kmcnt 0x0
	s_mov_b32 s2, s38
	s_lshl_b64 s[0:1], s[14:15], 2
	s_lshl_b64 s[34:35], s[14:15], 3
	s_cmp_eq_u32 s5, 0
	s_mul_u64 s[4:5], s[36:37], s[2:3]
	s_cselect_b32 s38, ttmp9, s6
	s_add_nc_u64 s[8:9], s[28:29], -1
	s_add_nc_u64 s[4:5], s[4:5], s[38:39]
	s_mul_i32 s2, s38, 0x500
	v_cmp_ge_u64_e64 s15, s[4:5], s[8:9]
	s_add_nc_u64 s[0:1], s[12:13], s[0:1]
	s_add_nc_u64 s[6:7], s[16:17], s[34:35]
	s_lshl_b64 s[4:5], s[2:3], 2
	s_lshl_b64 s[16:17], s[2:3], 3
	s_add_nc_u64 s[12:13], s[0:1], s[4:5]
	s_add_nc_u64 s[10:11], s[6:7], s[16:17]
	s_and_b32 vcc_lo, exec_lo, s15
	s_mul_i32 s27, s8, 0xfffffb00
	s_cbranch_vccz .LBB1391_56
; %bb.1:
	v_mov_b32_e32 v1, 0
	s_add_co_i32 s29, s27, s26
	s_delay_alu instid0(SALU_CYCLE_1)
	v_cmp_gt_u32_e32 vcc_lo, s29, v0
	flat_load_b32 v1, v1, s[12:13]
	s_wait_loadcnt_dscnt 0x0
	v_mov_b32_e32 v2, v1
	s_and_saveexec_b32 s0, vcc_lo
	s_cbranch_execz .LBB1391_3
; %bb.2:
	flat_load_b32 v2, v0, s[12:13] scale_offset
.LBB1391_3:
	s_wait_xcnt 0x0
	s_or_b32 exec_lo, exec_lo, s0
	v_or_b32_e32 v3, 0x80, v0
	s_delay_alu instid0(VALU_DEP_1)
	v_cmp_gt_u32_e64 s0, s29, v3
	v_mov_b32_e32 v3, v1
	s_and_saveexec_b32 s1, s0
	s_cbranch_execz .LBB1391_5
; %bb.4:
	flat_load_b32 v3, v0, s[12:13] offset:512 scale_offset
.LBB1391_5:
	s_wait_xcnt 0x0
	s_or_b32 exec_lo, exec_lo, s1
	v_or_b32_e32 v4, 0x100, v0
	s_delay_alu instid0(VALU_DEP_1)
	v_cmp_gt_u32_e64 s1, s29, v4
	v_mov_b32_e32 v4, v1
	s_and_saveexec_b32 s2, s1
	s_cbranch_execz .LBB1391_7
; %bb.6:
	flat_load_b32 v4, v0, s[12:13] offset:1024 scale_offset
.LBB1391_7:
	;; [unrolled: 11-line block ×8, first 2 shown]
	s_wait_xcnt 0x0
	s_or_b32 exec_lo, exec_lo, s8
	v_or_b32_e32 v11, 0x480, v0
	s_delay_alu instid0(VALU_DEP_1) | instskip(SKIP_2) | instid1(SALU_CYCLE_1)
	v_cmp_gt_u32_e64 s8, s29, v11
	v_cmp_le_u32_e64 s9, s29, v11
	s_and_saveexec_b32 s14, s9
	s_xor_b32 s9, exec_lo, s14
	s_delay_alu instid0(SALU_CYCLE_1)
	s_and_not1_saveexec_b32 s9, s9
	s_cbranch_execz .LBB1391_21
; %bb.20:
	flat_load_b32 v1, v0, s[12:13] offset:4608 scale_offset
.LBB1391_21:
	s_wait_xcnt 0x0
	s_or_b32 exec_lo, exec_lo, s9
	v_lshlrev_b32_e32 v11, 2, v0
	s_mov_b32 s14, exec_lo
	s_wait_loadcnt_dscnt 0x0
	ds_store_2addr_stride64_b32 v11, v2, v3 offset1:2
	ds_store_2addr_stride64_b32 v11, v4, v5 offset0:4 offset1:6
	ds_store_2addr_stride64_b32 v11, v6, v7 offset0:8 offset1:10
	;; [unrolled: 1-line block ×4, first 2 shown]
	v_mov_b32_e32 v1, 0
	s_wait_dscnt 0x0
	s_barrier_signal -1
	s_barrier_wait -1
	flat_load_b32 v60, v1, s[12:13]
	s_wait_xcnt 0x0
	v_mad_u32_u24 v1, v0, 36, v11
	ds_load_2addr_b64 v[6:9], v1 offset1:1
	ds_load_2addr_b64 v[2:5], v1 offset0:2 offset1:3
	ds_load_b64 v[50:51], v1 offset:32
	v_mad_i32_i24 v1, 0xffffffdc, v0, v1
	s_wait_dscnt 0x2
	ds_store_b32 v1, v6 offset:5632
	s_wait_loadcnt_dscnt 0x0
	s_barrier_signal -1
	s_barrier_wait -1
	v_cmpx_ne_u32_e32 0x7f, v0
; %bb.22:
	ds_load_b32 v60, v1 offset:5636
; %bb.23:
	s_or_b32 exec_lo, exec_lo, s14
	s_wait_dscnt 0x0
	s_barrier_signal -1
	s_barrier_wait -1
                                        ; implicit-def: $vgpr10_vgpr11
	s_and_saveexec_b32 s9, vcc_lo
	s_cbranch_execz .LBB1391_120
; %bb.24:
	flat_load_b64 v[10:11], v0, s[10:11] scale_offset
	s_wait_xcnt 0x0
	s_or_b32 exec_lo, exec_lo, s9
                                        ; implicit-def: $vgpr12_vgpr13
	s_and_saveexec_b32 s9, s0
	s_cbranch_execnz .LBB1391_121
.LBB1391_25:
	s_or_b32 exec_lo, exec_lo, s9
                                        ; implicit-def: $vgpr14_vgpr15
	s_and_saveexec_b32 s0, s1
	s_cbranch_execz .LBB1391_122
.LBB1391_26:
	flat_load_b64 v[14:15], v0, s[10:11] offset:2048 scale_offset
	s_wait_xcnt 0x0
	s_or_b32 exec_lo, exec_lo, s0
                                        ; implicit-def: $vgpr16_vgpr17
	s_and_saveexec_b32 s0, s2
	s_cbranch_execnz .LBB1391_123
.LBB1391_27:
	s_or_b32 exec_lo, exec_lo, s0
                                        ; implicit-def: $vgpr18_vgpr19
	s_and_saveexec_b32 s0, s3
	s_cbranch_execz .LBB1391_124
.LBB1391_28:
	flat_load_b64 v[18:19], v0, s[10:11] offset:4096 scale_offset
	s_wait_xcnt 0x0
	s_or_b32 exec_lo, exec_lo, s0
                                        ; implicit-def: $vgpr20_vgpr21
	s_and_saveexec_b32 s0, s4
	s_cbranch_execnz .LBB1391_125
.LBB1391_29:
	s_or_b32 exec_lo, exec_lo, s0
                                        ; implicit-def: $vgpr22_vgpr23
	s_and_saveexec_b32 s0, s5
	s_cbranch_execz .LBB1391_126
.LBB1391_30:
	flat_load_b64 v[22:23], v0, s[10:11] offset:6144 scale_offset
	s_wait_xcnt 0x0
	s_or_b32 exec_lo, exec_lo, s0
                                        ; implicit-def: $vgpr24_vgpr25
	s_and_saveexec_b32 s0, s6
	s_cbranch_execnz .LBB1391_127
.LBB1391_31:
	s_or_b32 exec_lo, exec_lo, s0
                                        ; implicit-def: $vgpr26_vgpr27
	s_and_saveexec_b32 s0, s7
	s_cbranch_execz .LBB1391_33
.LBB1391_32:
	flat_load_b64 v[26:27], v0, s[10:11] offset:8192 scale_offset
.LBB1391_33:
	s_wait_xcnt 0x0
	s_or_b32 exec_lo, exec_lo, s0
	v_mul_u32_u24_e32 v67, 10, v0
                                        ; implicit-def: $vgpr28_vgpr29
	s_and_saveexec_b32 s0, s8
	s_cbranch_execz .LBB1391_35
; %bb.34:
	flat_load_b64 v[28:29], v0, s[10:11] offset:9216 scale_offset
.LBB1391_35:
	s_wait_xcnt 0x0
	s_or_b32 exec_lo, exec_lo, s0
	v_lshl_add_u32 v68, v0, 2, v1
	v_mov_b64_e32 v[48:49], 0
	v_mov_b64_e32 v[46:47], 0
	;; [unrolled: 1-line block ×4, first 2 shown]
	s_wait_loadcnt_dscnt 0x0
	ds_store_2addr_stride64_b64 v68, v[10:11], v[12:13] offset1:2
	ds_store_2addr_stride64_b64 v68, v[14:15], v[16:17] offset0:4 offset1:6
	ds_store_2addr_stride64_b64 v68, v[18:19], v[20:21] offset0:8 offset1:10
	;; [unrolled: 1-line block ×4, first 2 shown]
	v_mov_b64_e32 v[26:27], 0
	v_mov_b64_e32 v[14:15], 0
	;; [unrolled: 1-line block ×14, first 2 shown]
	v_cmp_gt_u32_e32 vcc_lo, s29, v67
	v_dual_mov_b32 v52, 0 :: v_dual_mov_b32 v53, 0
	v_dual_mov_b32 v54, 0 :: v_dual_mov_b32 v55, 0
	;; [unrolled: 1-line block ×9, first 2 shown]
	s_mov_b32 s9, 0
	s_mov_b32 s3, 0
	s_wait_dscnt 0x0
	s_barrier_signal -1
	s_barrier_wait -1
                                        ; implicit-def: $sgpr14
	s_and_saveexec_b32 s28, vcc_lo
	s_cbranch_execz .LBB1391_55
; %bb.36:
	v_mad_u32_u24 v1, 0x48, v0, v68
	v_dual_mov_b32 v52, 0 :: v_dual_bitop2_b32 v12, 1, v67 bitop3:0x54
	v_cmp_ne_u32_e32 vcc_lo, v6, v7
	v_mov_b64_e32 v[14:15], 0
	ds_load_b64 v[10:11], v1
	v_mov_b64_e32 v[48:49], 0
	v_mov_b64_e32 v[16:17], 0
	;; [unrolled: 1-line block ×16, first 2 shown]
	v_dual_mov_b32 v53, 0 :: v_dual_mov_b32 v54, 0
	v_dual_mov_b32 v55, 0 :: v_dual_mov_b32 v56, 0
	;; [unrolled: 1-line block ×4, first 2 shown]
	v_cmp_gt_u32_e64 s0, s29, v12
	s_wait_dscnt 0x0
	v_cndmask_b32_e64 v27, v11, s41, vcc_lo
	v_cndmask_b32_e64 v26, v10, s40, vcc_lo
	v_dual_mov_b32 v63, 0 :: v_dual_mov_b32 v57, 0
	v_dual_mov_b32 v65, 0 :: v_dual_mov_b32 v10, 0
	;; [unrolled: 1-line block ×3, first 2 shown]
	v_mov_b32_e32 v12, 0
	s_mov_b32 s1, 0
                                        ; implicit-def: $sgpr14
	s_and_saveexec_b32 s33, s0
	s_cbranch_execz .LBB1391_54
; %bb.37:
	v_mul_u32_u24_e32 v1, 0x48, v0
	v_cmp_ne_u32_e64 s0, v7, v8
	v_mov_b64_e32 v[14:15], 0
	v_mov_b64_e32 v[48:49], 0
	;; [unrolled: 1-line block ×3, first 2 shown]
	v_dual_add_nc_u32 v1, v68, v1 :: v_dual_mov_b32 v53, 0
	v_mov_b64_e32 v[20:21], 0
	v_mov_b64_e32 v[18:19], 0
	;; [unrolled: 1-line block ×3, first 2 shown]
	ds_load_2addr_b64 v[10:13], v1 offset0:1 offset1:2
	v_mov_b64_e32 v[42:43], 0
	v_mov_b64_e32 v[34:35], 0
	v_mov_b64_e32 v[24:25], 0
	v_mov_b64_e32 v[22:23], 0
	v_mov_b64_e32 v[28:29], 0
	v_mov_b64_e32 v[30:31], 0
	v_mov_b64_e32 v[32:33], 0
	v_mov_b64_e32 v[36:37], 0
	v_mov_b64_e32 v[38:39], 0
	v_dual_add_nc_u32 v6, 2, v67 :: v_dual_mov_b32 v52, 0
	v_dual_mov_b32 v54, 0 :: v_dual_mov_b32 v55, 0
	v_dual_mov_b32 v56, 0 :: v_dual_mov_b32 v58, 0
	;; [unrolled: 1-line block ×4, first 2 shown]
	v_mov_b32_e32 v65, 0
	s_wait_dscnt 0x0
	v_cndmask_b32_e64 v45, v11, s41, s0
	v_cndmask_b32_e64 v44, v10, s40, s0
	v_dual_mov_b32 v10, 0 :: v_dual_mov_b32 v11, 0
	v_mov_b32_e32 v66, 0
	s_mov_b32 s2, 0
	s_mov_b32 s39, exec_lo
                                        ; implicit-def: $sgpr14
	v_cmpx_gt_u32_e64 s29, v6
	s_cbranch_execz .LBB1391_53
; %bb.38:
	v_cmp_ne_u32_e64 s1, v8, v9
	v_dual_add_nc_u32 v6, 3, v67 :: v_dual_mov_b32 v52, 0
	v_mov_b64_e32 v[14:15], 0
	v_mov_b64_e32 v[48:49], 0
	;; [unrolled: 1-line block ×13, first 2 shown]
	v_cndmask_b32_e64 v43, v13, s41, s1
	v_cndmask_b32_e64 v42, v12, s40, s1
	v_cmp_gt_u32_e64 s2, s29, v6
	v_dual_mov_b32 v53, 0 :: v_dual_mov_b32 v54, 0
	v_dual_mov_b32 v55, 0 :: v_dual_mov_b32 v56, 0
	;; [unrolled: 1-line block ×5, first 2 shown]
	v_mov_b32_e32 v11, 0
                                        ; implicit-def: $sgpr14
	s_and_saveexec_b32 s42, s2
	s_cbranch_execz .LBB1391_52
; %bb.39:
	ds_load_2addr_b64 v[10:13], v1 offset0:3 offset1:4
	v_cmp_ne_u32_e64 s2, v9, v2
	v_mov_b64_e32 v[14:15], 0
	v_mov_b64_e32 v[48:49], 0
	;; [unrolled: 1-line block ×11, first 2 shown]
	v_dual_add_nc_u32 v6, 4, v67 :: v_dual_mov_b32 v52, 0
	v_dual_mov_b32 v53, 0 :: v_dual_mov_b32 v54, 0
	v_dual_mov_b32 v55, 0 :: v_dual_mov_b32 v56, 0
	;; [unrolled: 1-line block ×3, first 2 shown]
	s_wait_dscnt 0x0
	v_cndmask_b32_e64 v47, v11, s41, s2
	v_cndmask_b32_e64 v46, v10, s40, s2
	v_dual_mov_b32 v57, 0 :: v_dual_mov_b32 v65, 0
	v_mov_b32_e32 v10, 0
	s_mov_b32 s4, 0
	s_mov_b32 s43, exec_lo
                                        ; implicit-def: $sgpr14
	v_cmpx_gt_u32_e64 s29, v6
	s_cbranch_execz .LBB1391_51
; %bb.40:
	v_cmp_ne_u32_e64 s3, v2, v3
	v_mov_b64_e32 v[14:15], 0
	v_mov_b64_e32 v[48:49], 0
	;; [unrolled: 1-line block ×9, first 2 shown]
	v_dual_add_nc_u32 v2, 5, v67 :: v_dual_mov_b32 v52, 0
	v_cndmask_b32_e64 v19, v13, s41, s3
	v_cndmask_b32_e64 v18, v12, s40, s3
	v_dual_mov_b32 v53, 0 :: v_dual_mov_b32 v54, 0
	v_dual_mov_b32 v55, 0 :: v_dual_mov_b32 v64, 0
	;; [unrolled: 1-line block ×3, first 2 shown]
	v_mov_b32_e32 v65, 0
	s_mov_b32 s5, 0
	s_mov_b32 s44, exec_lo
                                        ; implicit-def: $sgpr14
	v_cmpx_gt_u32_e64 s29, v2
	s_cbranch_execz .LBB1391_50
; %bb.41:
	ds_load_2addr_b64 v[6:9], v1 offset0:5 offset1:6
	v_cmp_ne_u32_e64 s4, v3, v4
	v_mov_b64_e32 v[14:15], 0
	v_mov_b64_e32 v[48:49], 0
	v_mov_b64_e32 v[16:17], 0
	v_mov_b64_e32 v[34:35], 0
	v_mov_b64_e32 v[24:25], 0
	v_mov_b64_e32 v[22:23], 0
	v_mov_b64_e32 v[28:29], 0
	v_dual_add_nc_u32 v2, 6, v67 :: v_dual_mov_b32 v52, 0
	v_dual_mov_b32 v53, 0 :: v_dual_mov_b32 v54, 0
	v_dual_mov_b32 v64, 0 :: v_dual_mov_b32 v63, 0
	v_mov_b32_e32 v57, 0
	s_mov_b32 s6, 0
	s_mov_b32 s45, exec_lo
                                        ; implicit-def: $sgpr14
	s_wait_dscnt 0x0
	v_cndmask_b32_e64 v21, v7, s41, s4
	v_cndmask_b32_e64 v20, v6, s40, s4
	v_cmpx_gt_u32_e64 s29, v2
	s_cbranch_execz .LBB1391_49
; %bb.42:
	v_cmp_ne_u32_e64 s5, v4, v5
	v_mov_b64_e32 v[14:15], 0
	v_mov_b64_e32 v[48:49], 0
	;; [unrolled: 1-line block ×4, first 2 shown]
	v_dual_add_nc_u32 v2, 7, v67 :: v_dual_mov_b32 v52, 0
	v_cndmask_b32_e64 v17, v9, s41, s5
	v_cndmask_b32_e64 v16, v8, s40, s5
	v_dual_mov_b32 v53, 0 :: v_dual_mov_b32 v63, 0
	s_mov_b32 s7, 0
	s_mov_b32 s46, exec_lo
                                        ; implicit-def: $sgpr14
	v_cmpx_gt_u32_e64 s29, v2
	s_cbranch_execz .LBB1391_48
; %bb.43:
	ds_load_2addr_b64 v[6:9], v1 offset0:7 offset1:8
	v_cmp_ne_u32_e64 s6, v5, v50
	v_mov_b64_e32 v[14:15], 0
	v_mov_b64_e32 v[34:35], 0
	v_dual_add_nc_u32 v2, 8, v67 :: v_dual_mov_b32 v52, 0
	s_mov_b32 s8, 0
	s_mov_b32 s47, exec_lo
                                        ; implicit-def: $sgpr14
	s_wait_dscnt 0x0
	v_cndmask_b32_e64 v49, v7, s41, s6
	v_cndmask_b32_e64 v48, v6, s40, s6
	v_cmpx_gt_u32_e64 s29, v2
	s_cbranch_execz .LBB1391_47
; %bb.44:
	v_cmp_ne_u32_e64 s7, v50, v51
	v_add_nc_u32_e32 v2, 9, v67
	v_mov_b64_e32 v[34:35], 0
                                        ; implicit-def: $sgpr14
	s_delay_alu instid0(VALU_DEP_3) | instskip(SKIP_1) | instid1(VALU_DEP_4)
	v_cndmask_b32_e64 v15, v9, s41, s7
	v_cndmask_b32_e64 v14, v8, s40, s7
	v_cmp_gt_u32_e64 s8, s29, v2
	s_mov_b32 s29, 0
	s_and_saveexec_b32 s48, s8
	s_delay_alu instid0(SALU_CYCLE_1)
	s_xor_b32 s8, exec_lo, s48
	s_cbranch_execz .LBB1391_46
; %bb.45:
	ds_load_b64 v[2:3], v1 offset:72
	v_cmp_ne_u32_e64 s14, v51, v60
	s_mov_b32 s29, exec_lo
	s_wait_dscnt 0x0
	v_cndmask_b32_e64 v35, v3, s41, s14
	v_cndmask_b32_e64 v34, v2, s40, s14
.LBB1391_46:
	s_or_b32 exec_lo, exec_lo, s8
	v_cndmask_b32_e64 v52, 0, 1, s7
	s_and_b32 s8, s29, exec_lo
.LBB1391_47:
	s_or_b32 exec_lo, exec_lo, s47
	v_cndmask_b32_e64 v53, 0, 1, s6
	v_mov_b64_e32 v[22:23], v[48:49]
	s_and_b32 s7, s8, exec_lo
	s_delay_alu instid0(VALU_DEP_2)
	v_mov_b32_e32 v63, v53
.LBB1391_48:
	s_or_b32 exec_lo, exec_lo, s46
	v_cndmask_b32_e64 v54, 0, 1, s5
	v_mov_b64_e32 v[24:25], v[14:15]
	v_mov_b64_e32 v[28:29], v[16:17]
	v_mov_b32_e32 v64, v52
	s_and_b32 s6, s7, exec_lo
	v_mov_b32_e32 v57, v54
.LBB1391_49:
	s_or_b32 exec_lo, exec_lo, s45
	v_cndmask_b32_e64 v55, 0, 1, s4
	v_mov_b64_e32 v[30:31], v[20:21]
	s_and_b32 s5, s6, exec_lo
	s_delay_alu instid0(VALU_DEP_2)
	v_mov_b32_e32 v65, v55
.LBB1391_50:
	s_or_b32 exec_lo, exec_lo, s44
	v_cndmask_b32_e64 v56, 0, 1, s3
	v_mov_b64_e32 v[32:33], v[18:19]
	s_and_b32 s4, s5, exec_lo
	s_delay_alu instid0(VALU_DEP_2)
	v_mov_b32_e32 v10, v56
.LBB1391_51:
	s_or_b32 exec_lo, exec_lo, s43
	v_cndmask_b32_e64 v58, 0, 1, s2
	v_mov_b64_e32 v[36:37], v[46:47]
	s_and_b32 s3, s4, exec_lo
	s_delay_alu instid0(VALU_DEP_2)
	v_mov_b32_e32 v11, v58
.LBB1391_52:
	s_or_b32 exec_lo, exec_lo, s42
	v_cndmask_b32_e64 v59, 0, 1, s1
	v_mov_b64_e32 v[38:39], v[42:43]
	s_and_b32 s2, s3, exec_lo
	s_delay_alu instid0(VALU_DEP_2)
	v_mov_b32_e32 v66, v59
.LBB1391_53:
	s_or_b32 exec_lo, exec_lo, s39
	v_cndmask_b32_e64 v61, 0, 1, s0
	v_mov_b64_e32 v[40:41], v[44:45]
	s_and_b32 s1, s2, exec_lo
	s_delay_alu instid0(VALU_DEP_2)
	v_mov_b32_e32 v12, v61
.LBB1391_54:
	s_or_b32 exec_lo, exec_lo, s33
	v_cndmask_b32_e64 v62, 0, 1, vcc_lo
	s_and_b32 s3, s1, exec_lo
	s_delay_alu instid0(VALU_DEP_1)
	v_mov_b32_e32 v1, v62
.LBB1391_55:
	s_or_b32 exec_lo, exec_lo, s28
	s_delay_alu instid0(SALU_CYCLE_1)
	s_and_b32 vcc_lo, exec_lo, s9
	s_cbranch_vccnz .LBB1391_57
	s_branch .LBB1391_62
.LBB1391_56:
                                        ; implicit-def: $sgpr14
                                        ; implicit-def: $vgpr26_vgpr27
                                        ; implicit-def: $vgpr52
                                        ; implicit-def: $vgpr14_vgpr15
                                        ; implicit-def: $vgpr53
                                        ; implicit-def: $vgpr48_vgpr49
                                        ; implicit-def: $vgpr54
                                        ; implicit-def: $vgpr16_vgpr17
                                        ; implicit-def: $vgpr55
                                        ; implicit-def: $vgpr20_vgpr21
                                        ; implicit-def: $vgpr56
                                        ; implicit-def: $vgpr18_vgpr19
                                        ; implicit-def: $vgpr58
                                        ; implicit-def: $vgpr46_vgpr47
                                        ; implicit-def: $vgpr59
                                        ; implicit-def: $vgpr42_vgpr43
                                        ; implicit-def: $vgpr61
                                        ; implicit-def: $vgpr44_vgpr45
                                        ; implicit-def: $vgpr62
                                        ; implicit-def: $vgpr34_vgpr35
                                        ; implicit-def: $vgpr64
                                        ; implicit-def: $vgpr24_vgpr25
                                        ; implicit-def: $vgpr63
                                        ; implicit-def: $vgpr22_vgpr23
                                        ; implicit-def: $vgpr57
                                        ; implicit-def: $vgpr28_vgpr29
                                        ; implicit-def: $vgpr65
                                        ; implicit-def: $vgpr30_vgpr31
                                        ; implicit-def: $vgpr10
                                        ; implicit-def: $vgpr32_vgpr33
                                        ; implicit-def: $vgpr11
                                        ; implicit-def: $vgpr36_vgpr37
                                        ; implicit-def: $vgpr66
                                        ; implicit-def: $vgpr38_vgpr39
                                        ; implicit-def: $vgpr12
                                        ; implicit-def: $vgpr40_vgpr41
                                        ; implicit-def: $vgpr1
	s_cbranch_execz .LBB1391_62
.LBB1391_57:
	s_clause 0x9
	flat_load_b32 v1, v0, s[12:13] scale_offset
	flat_load_b32 v2, v0, s[12:13] offset:512 scale_offset
	flat_load_b32 v3, v0, s[12:13] offset:1024 scale_offset
	;; [unrolled: 1-line block ×9, first 2 shown]
	v_dual_mov_b32 v12, 0 :: v_dual_lshlrev_b32 v11, 2, v0
	s_mov_b32 s0, exec_lo
	s_wait_loadcnt_dscnt 0x808
	ds_store_2addr_stride64_b32 v11, v1, v2 offset1:2
	s_wait_loadcnt_dscnt 0x607
	ds_store_2addr_stride64_b32 v11, v3, v4 offset0:4 offset1:6
	s_wait_loadcnt_dscnt 0x406
	ds_store_2addr_stride64_b32 v11, v5, v6 offset0:8 offset1:10
	;; [unrolled: 2-line block ×4, first 2 shown]
	s_wait_dscnt 0x0
	s_barrier_signal -1
	s_barrier_wait -1
	flat_load_b32 v1, v12, s[12:13] offset:5120
	v_mad_u32_u24 v10, v0, 36, v11
	ds_load_2addr_b64 v[6:9], v10 offset1:1
	ds_load_2addr_b64 v[2:5], v10 offset0:2 offset1:3
	ds_load_b64 v[28:29], v10 offset:32
	v_mad_i32_i24 v10, 0xffffffdc, v0, v10
	s_wait_dscnt 0x2
	ds_store_b32 v10, v6 offset:5632
	s_wait_loadcnt_dscnt 0x0
	s_barrier_signal -1
	s_barrier_wait -1
	v_cmpx_ne_u32_e32 0x7f, v0
; %bb.58:
	ds_load_b32 v1, v10 offset:5636
; %bb.59:
	s_or_b32 exec_lo, exec_lo, s0
	s_wait_dscnt 0x0
	s_barrier_signal -1
	s_barrier_wait -1
	s_clause 0x9
	flat_load_b64 v[12:13], v0, s[10:11] scale_offset
	flat_load_b64 v[14:15], v0, s[10:11] offset:1024 scale_offset
	flat_load_b64 v[16:17], v0, s[10:11] offset:2048 scale_offset
	;; [unrolled: 1-line block ×9, first 2 shown]
	v_lshl_add_u32 v32, v0, 2, v10
	s_mov_b32 s1, exec_lo
	v_cmp_ne_u32_e32 vcc_lo, v6, v7
	s_wait_loadcnt_dscnt 0x808
	ds_store_2addr_stride64_b64 v32, v[12:13], v[14:15] offset1:2
	s_wait_loadcnt_dscnt 0x607
	ds_store_2addr_stride64_b64 v32, v[16:17], v[18:19] offset0:4 offset1:6
	s_wait_loadcnt_dscnt 0x406
	ds_store_2addr_stride64_b64 v32, v[20:21], v[22:23] offset0:8 offset1:10
	;; [unrolled: 2-line block ×4, first 2 shown]
	v_mad_u32_u24 v33, 0x48, v0, v32
	s_wait_dscnt 0x0
	s_barrier_signal -1
	s_barrier_wait -1
	ds_load_2addr_b64 v[22:25], v33 offset0:1 offset1:2
	ds_load_2addr_b64 v[18:21], v33 offset0:3 offset1:4
	;; [unrolled: 1-line block ×4, first 2 shown]
	ds_load_b64 v[30:31], v33 offset:72
	v_mov_b64_e32 v[26:27], s[40:41]
	v_cmpx_eq_u32_e64 v6, v7
; %bb.60:
	v_mul_u32_u24_e32 v6, 0x48, v0
	s_delay_alu instid0(VALU_DEP_1)
	v_add_nc_u32_e32 v6, v32, v6
	ds_load_b64 v[26:27], v6
; %bb.61:
	s_or_b32 exec_lo, exec_lo, s1
	v_cndmask_b32_e64 v62, 0, 1, vcc_lo
	v_cmp_ne_u32_e32 vcc_lo, v7, v8
	v_cmp_ne_u32_e64 s0, v8, v9
	v_cmp_ne_u32_e64 s1, v9, v2
	;; [unrolled: 1-line block ×8, first 2 shown]
	s_wait_dscnt 0x4
	v_cndmask_b32_e64 v45, v23, s41, vcc_lo
	v_cndmask_b32_e64 v44, v22, s40, vcc_lo
	v_cndmask_b32_e64 v43, v25, s41, s0
	v_cndmask_b32_e64 v42, v24, s40, s0
	s_wait_dscnt 0x3
	v_cndmask_b32_e64 v47, v19, s41, s1
	v_cndmask_b32_e64 v46, v18, s40, s1
	v_cndmask_b32_e64 v19, v21, s41, s2
	v_cndmask_b32_e64 v18, v20, s40, s2
	s_wait_dscnt 0x2
	v_cndmask_b32_e64 v21, v15, s41, s3
	v_cndmask_b32_e64 v20, v14, s40, s3
	;; [unrolled: 5-line block ×3, first 2 shown]
	v_cndmask_b32_e64 v14, v12, s40, s6
	v_cndmask_b32_e64 v48, v10, s40, s5
	v_cndmask_b32_e64 v61, 0, 1, vcc_lo
	v_cndmask_b32_e64 v59, 0, 1, s0
	v_cndmask_b32_e64 v58, 0, 1, s1
	;; [unrolled: 1-line block ×7, first 2 shown]
	s_wait_dscnt 0x0
	v_cndmask_b32_e64 v35, v31, s41, s14
	v_cndmask_b32_e64 v34, v30, s40, s14
	v_mov_b64_e32 v[24:25], v[14:15]
	v_mov_b64_e32 v[22:23], v[48:49]
	;; [unrolled: 1-line block ×8, first 2 shown]
	v_dual_mov_b32 v64, v52 :: v_dual_mov_b32 v63, v53
	v_dual_mov_b32 v57, v54 :: v_dual_mov_b32 v65, v55
	v_dual_mov_b32 v10, v56 :: v_dual_mov_b32 v11, v58
	v_dual_mov_b32 v66, v59 :: v_dual_mov_b32 v12, v61
	v_mov_b32_e32 v1, v62
	s_mov_b32 s3, -1
.LBB1391_62:
	v_mov_b32_e32 v50, 0
	s_and_saveexec_b32 s0, s3
	s_cbranch_execz .LBB1391_64
; %bb.63:
	v_mov_b64_e32 v[40:41], v[44:45]
	v_mov_b64_e32 v[38:39], v[42:43]
	;; [unrolled: 1-line block ×8, first 2 shown]
	v_cndmask_b32_e64 v50, 0, 1, s14
	v_dual_mov_b32 v1, v62 :: v_dual_mov_b32 v12, v61
	v_dual_mov_b32 v66, v59 :: v_dual_mov_b32 v11, v58
	;; [unrolled: 1-line block ×4, first 2 shown]
	v_mov_b32_e32 v64, v52
.LBB1391_64:
	s_or_b32 exec_lo, exec_lo, s0
	v_dual_add_f64 v[42:43], v[40:41], v[26:27] :: v_dual_bitop2_b32 v47, 1, v1 bitop3:0x40
	v_and_b32_e32 v48, 1, v11
	v_and_b32_e32 v49, 1, v57
	v_and_b32_e32 v62, 0xff, v12
	v_and_b32_e32 v61, 0xff, v66
	v_bitop3_b16 v51, v66, 0xff, v12 bitop3:0xc8
	v_and_b32_e32 v60, 0xff, v11
	v_cmp_eq_u32_e64 s9, 1, v48
	v_and_b32_e32 v59, 0xff, v10
	v_and_b32_e32 v58, 0xff, v65
	v_bitop3_b16 v53, v65, 0xff, v10 bitop3:0xc8
	v_and_b32_e32 v57, 0xff, v57
	v_cmp_eq_u32_e64 s10, 1, v49
	v_and_b32_e32 v56, 0xff, v63
	v_and_b32_e32 v55, 0xff, v64
	v_bitop3_b16 v54, v64, 0xff, v63 bitop3:0xc8
	v_cmp_eq_u16_e64 s8, 0, v50
	v_and_b32_e32 v52, 1, v50
	v_mbcnt_lo_u32_b32 v46, -1, 0
	s_cmp_lg_u32 s38, 0
	v_cmp_eq_u32_e32 vcc_lo, 1, v47
	s_barrier_signal -1
	s_barrier_wait -1
	s_cbranch_scc0 .LBB1391_128
; %bb.65:
	v_cmp_eq_u16_e64 s0, 0, v62
	v_cmp_eq_u16_e64 s1, 0, v61
	;; [unrolled: 1-line block ×5, first 2 shown]
	v_dual_cndmask_b32 v3, v41, v43, s0 :: v_dual_cndmask_b32 v2, v40, v42, s0
	v_cmp_eq_u16_e64 s5, 0, v57
	v_cmp_eq_u16_e64 s6, 0, v56
	;; [unrolled: 1-line block ×3, first 2 shown]
	v_cmp_ne_u16_e64 s11, 0, v53
	v_add_f64_e32 v[2:3], v[38:39], v[2:3]
	v_cmp_ne_u16_e64 s12, 0, v54
	v_cmp_eq_u32_e64 s13, 1, v52
	v_cmp_ne_u16_e64 s14, 0, v51
	s_or_b32 s10, s11, s10
	v_and_b32_e32 v6, 15, v46
	s_or_b32 s11, s12, s13
	s_or_b32 s9, s14, s9
	;; [unrolled: 1-line block ×3, first 2 shown]
	s_delay_alu instid0(SALU_CYCLE_1) | instskip(NEXT) | instid1(SALU_CYCLE_1)
	s_or_b32 s9, s10, s9
	s_or_b32 vcc_lo, s9, vcc_lo
	s_mov_b32 s9, exec_lo
	v_cndmask_b32_e64 v7, 0, 1, vcc_lo
	v_cndmask_b32_e64 v8, 0, 1, vcc_lo
	s_delay_alu instid0(VALU_DEP_2) | instskip(SKIP_1) | instid1(VALU_DEP_1)
	v_mov_b32_dpp v9, v7 row_shr:1 row_mask:0xf bank_mask:0xf
	v_dual_cndmask_b32 v3, v39, v3, s1 :: v_dual_cndmask_b32 v2, v38, v2, s1
	v_add_f64_e32 v[2:3], v[36:37], v[2:3]
	s_delay_alu instid0(VALU_DEP_1) | instskip(NEXT) | instid1(VALU_DEP_1)
	v_dual_cndmask_b32 v3, v37, v3, s2 :: v_dual_cndmask_b32 v2, v36, v2, s2
	v_add_f64_e32 v[2:3], v[32:33], v[2:3]
	s_delay_alu instid0(VALU_DEP_1) | instskip(NEXT) | instid1(VALU_DEP_1)
	;; [unrolled: 3-line block ×7, first 2 shown]
	v_dual_cndmask_b32 v4, v34, v2, s8 :: v_dual_cndmask_b32 v5, v35, v3, s8
	v_mov_b32_dpp v2, v4 row_shr:1 row_mask:0xf bank_mask:0xf
	s_delay_alu instid0(VALU_DEP_2)
	v_mov_b32_dpp v3, v5 row_shr:1 row_mask:0xf bank_mask:0xf
	v_cmpx_ne_u32_e32 0, v6
	s_cbranch_execz .LBB1391_67
; %bb.66:
	s_delay_alu instid0(VALU_DEP_2) | instskip(SKIP_1) | instid1(VALU_DEP_1)
	v_add_f64_e32 v[2:3], v[4:5], v[2:3]
	v_bitop3_b16 v8, v9, v8, 1 bitop3:0xec
	v_and_b32_e32 v7, 0xffff, v8
	s_delay_alu instid0(VALU_DEP_3)
	v_dual_cndmask_b32 v5, v3, v5 :: v_dual_cndmask_b32 v4, v2, v4
.LBB1391_67:
	s_or_b32 exec_lo, exec_lo, s9
	s_delay_alu instid0(VALU_DEP_1) | instskip(NEXT) | instid1(VALU_DEP_2)
	v_mov_b32_dpp v2, v4 row_shr:2 row_mask:0xf bank_mask:0xf
	v_mov_b32_dpp v3, v5 row_shr:2 row_mask:0xf bank_mask:0xf
	;; [unrolled: 1-line block ×3, first 2 shown]
	s_mov_b32 s10, exec_lo
	v_cmpx_lt_u32_e32 1, v6
	s_cbranch_execz .LBB1391_69
; %bb.68:
	v_dual_add_f64 v[2:3], v[4:5], v[2:3] :: v_dual_bitop2_b32 v7, 1, v8 bitop3:0x40
	v_cmp_eq_u16_e64 s9, 0, v8
	v_and_b32_e32 v9, 1, v9
	s_delay_alu instid0(VALU_DEP_3) | instskip(NEXT) | instid1(VALU_DEP_3)
	v_cmp_eq_u32_e32 vcc_lo, 1, v7
	v_cndmask_b32_e64 v5, v5, v3, s9
	s_delay_alu instid0(VALU_DEP_3) | instskip(SKIP_2) | instid1(SALU_CYCLE_1)
	v_cmp_eq_u32_e64 s8, 1, v9
	v_cndmask_b32_e64 v4, v4, v2, s9
	s_or_b32 s8, vcc_lo, s8
	v_cndmask_b32_e64 v8, 0, 1, s8
	v_cndmask_b32_e64 v7, 0, 1, s8
.LBB1391_69:
	s_or_b32 exec_lo, exec_lo, s10
	v_mov_b32_dpp v2, v4 row_shr:4 row_mask:0xf bank_mask:0xf
	v_mov_b32_dpp v3, v5 row_shr:4 row_mask:0xf bank_mask:0xf
	s_delay_alu instid0(VALU_DEP_3)
	v_mov_b32_dpp v9, v7 row_shr:4 row_mask:0xf bank_mask:0xf
	s_mov_b32 s10, exec_lo
	v_cmpx_lt_u32_e32 3, v6
	s_cbranch_execz .LBB1391_71
; %bb.70:
	v_dual_add_f64 v[2:3], v[4:5], v[2:3] :: v_dual_bitop2_b32 v7, 1, v8 bitop3:0x40
	v_cmp_eq_u16_e64 s9, 0, v8
	v_and_b32_e32 v9, 1, v9
	s_delay_alu instid0(VALU_DEP_3) | instskip(NEXT) | instid1(VALU_DEP_3)
	v_cmp_eq_u32_e32 vcc_lo, 1, v7
	v_cndmask_b32_e64 v5, v5, v3, s9
	s_delay_alu instid0(VALU_DEP_3) | instskip(SKIP_2) | instid1(SALU_CYCLE_1)
	v_cmp_eq_u32_e64 s8, 1, v9
	v_cndmask_b32_e64 v4, v4, v2, s9
	s_or_b32 s8, vcc_lo, s8
	v_cndmask_b32_e64 v8, 0, 1, s8
	v_cndmask_b32_e64 v7, 0, 1, s8
.LBB1391_71:
	s_or_b32 exec_lo, exec_lo, s10
	v_mov_b32_dpp v2, v4 row_shr:8 row_mask:0xf bank_mask:0xf
	v_mov_b32_dpp v3, v5 row_shr:8 row_mask:0xf bank_mask:0xf
	s_delay_alu instid0(VALU_DEP_3)
	v_mov_b32_dpp v9, v7 row_shr:8 row_mask:0xf bank_mask:0xf
	s_mov_b32 s10, exec_lo
	v_cmpx_lt_u32_e32 7, v6
	s_cbranch_execz .LBB1391_73
; %bb.72:
	v_dual_add_f64 v[2:3], v[4:5], v[2:3] :: v_dual_bitop2_b32 v6, 1, v8 bitop3:0x40
	v_cmp_eq_u16_e64 s9, 0, v8
	v_and_b32_e32 v7, 1, v9
	s_delay_alu instid0(VALU_DEP_3) | instskip(NEXT) | instid1(VALU_DEP_3)
	v_cmp_eq_u32_e32 vcc_lo, 1, v6
	v_cndmask_b32_e64 v5, v5, v3, s9
	s_delay_alu instid0(VALU_DEP_3) | instskip(SKIP_2) | instid1(SALU_CYCLE_1)
	v_cmp_eq_u32_e64 s8, 1, v7
	v_cndmask_b32_e64 v4, v4, v2, s9
	s_or_b32 s8, vcc_lo, s8
	v_cndmask_b32_e64 v8, 0, 1, s8
	v_cndmask_b32_e64 v7, 0, 1, s8
.LBB1391_73:
	s_or_b32 exec_lo, exec_lo, s10
	ds_swizzle_b32 v2, v4 offset:swizzle(BROADCAST,32,15)
	ds_swizzle_b32 v3, v5 offset:swizzle(BROADCAST,32,15)
	;; [unrolled: 1-line block ×3, first 2 shown]
	v_and_b32_e32 v7, 16, v46
	s_mov_b32 s10, exec_lo
	s_delay_alu instid0(VALU_DEP_1)
	v_cmpx_ne_u32_e32 0, v7
	s_cbranch_execz .LBB1391_75
; %bb.74:
	s_wait_dscnt 0x1
	v_dual_add_f64 v[2:3], v[4:5], v[2:3] :: v_dual_bitop2_b32 v7, 1, v8 bitop3:0x40
	v_cmp_eq_u16_e32 vcc_lo, 0, v8
	s_wait_dscnt 0x0
	v_and_b32_e32 v6, 1, v6
	s_delay_alu instid0(VALU_DEP_3) | instskip(NEXT) | instid1(VALU_DEP_4)
	v_cmp_eq_u32_e64 s8, 1, v7
	v_cndmask_b32_e32 v5, v5, v3, vcc_lo
	s_delay_alu instid0(VALU_DEP_3) | instskip(SKIP_2) | instid1(SALU_CYCLE_1)
	v_cmp_eq_u32_e64 s9, 1, v6
	v_cndmask_b32_e32 v4, v4, v2, vcc_lo
	s_or_b32 s8, s8, s9
	v_cndmask_b32_e64 v8, 0, 1, s8
.LBB1391_75:
	s_or_b32 exec_lo, exec_lo, s10
	s_wait_dscnt 0x1
	v_dual_lshrrev_b32 v3, 5, v0 :: v_dual_bitop2_b32 v2, 31, v0 bitop3:0x54
	s_mov_b32 s8, exec_lo
	s_delay_alu instid0(VALU_DEP_1) | instskip(NEXT) | instid1(VALU_DEP_2)
	v_lshlrev_b32_e32 v9, 4, v3
	v_cmpx_eq_u32_e64 v0, v2
	s_cbranch_execz .LBB1391_77
; %bb.76:
	ds_store_b64 v9, v[4:5]
	ds_store_b8 v9, v8 offset:8
.LBB1391_77:
	s_or_b32 exec_lo, exec_lo, s8
	s_delay_alu instid0(SALU_CYCLE_1)
	s_mov_b32 s10, exec_lo
	s_wait_dscnt 0x0
	s_barrier_signal -1
	s_barrier_wait -1
	v_cmpx_gt_u32_e32 4, v0
	s_cbranch_execz .LBB1391_83
; %bb.78:
	v_dual_lshlrev_b32 v10, 4, v0 :: v_dual_bitop2_b32 v12, 3, v46 bitop3:0x40
	s_mov_b32 s8, exec_lo
	ds_load_b64 v[2:3], v10
	ds_load_b32 v11, v10 offset:8
	s_wait_dscnt 0x1
	v_mov_b32_dpp v6, v2 row_shr:1 row_mask:0xf bank_mask:0xf
	v_mov_b32_dpp v7, v3 row_shr:1 row_mask:0xf bank_mask:0xf
	s_wait_dscnt 0x0
	v_mov_b32_dpp v15, v11 row_shr:1 row_mask:0xf bank_mask:0xf
	v_dual_mov_b32 v14, v11 :: v_dual_mov_b32 v13, v11
	v_cmpx_ne_u32_e32 0, v12
	s_cbranch_execz .LBB1391_80
; %bb.79:
	v_add_f64_e32 v[6:7], v[2:3], v[6:7]
	v_and_b32_e32 v13, 0xff, v11
	s_delay_alu instid0(VALU_DEP_1) | instskip(SKIP_2) | instid1(VALU_DEP_1)
	v_cmp_eq_u16_e32 vcc_lo, 0, v13
	v_or_b32_e32 v14, v15, v11
	v_bitop3_b32 v13, v15, 1, v11 bitop3:0xc8
	v_and_or_b32 v11, 0xffffff00, v11, v13
	v_dual_cndmask_b32 v3, v3, v7 :: v_dual_cndmask_b32 v2, v2, v6
	s_delay_alu instid0(VALU_DEP_4)
	v_and_b32_e32 v14, 1, v14
.LBB1391_80:
	s_or_b32 exec_lo, exec_lo, s8
	s_delay_alu instid0(VALU_DEP_2) | instskip(NEXT) | instid1(VALU_DEP_3)
	v_mov_b32_dpp v6, v2 row_shr:2 row_mask:0xf bank_mask:0xf
	v_mov_b32_dpp v7, v3 row_shr:2 row_mask:0xf bank_mask:0xf
	;; [unrolled: 1-line block ×3, first 2 shown]
	s_mov_b32 s11, exec_lo
	v_cmpx_lt_u32_e32 1, v12
	s_cbranch_execz .LBB1391_82
; %bb.81:
	v_add_f64_e32 v[6:7], v[2:3], v[6:7]
	v_and_b32_e32 v12, 0xff, v13
	v_and_b32_e32 v13, 1, v13
	s_delay_alu instid0(VALU_DEP_2) | instskip(SKIP_1) | instid1(VALU_DEP_3)
	v_cmp_eq_u16_e32 vcc_lo, 0, v12
	v_and_b32_e32 v11, 1, v11
	v_cmp_eq_u32_e64 s8, 1, v13
	v_cndmask_b32_e32 v2, v2, v6, vcc_lo
	s_delay_alu instid0(VALU_DEP_3) | instskip(SKIP_2) | instid1(SALU_CYCLE_1)
	v_cmp_eq_u32_e64 s9, 1, v11
	v_cndmask_b32_e32 v3, v3, v7, vcc_lo
	s_or_b32 s8, s8, s9
	v_cndmask_b32_e64 v14, 0, 1, s8
.LBB1391_82:
	s_or_b32 exec_lo, exec_lo, s11
	ds_store_b64 v10, v[2:3]
	ds_store_b8 v10, v14 offset:8
.LBB1391_83:
	s_or_b32 exec_lo, exec_lo, s10
	v_mov_b64_e32 v[2:3], 0
	v_mov_b32_e32 v14, 0
	s_mov_b32 s9, exec_lo
	v_cmp_gt_u32_e32 vcc_lo, 32, v0
	s_wait_dscnt 0x0
	s_barrier_signal -1
	s_barrier_wait -1
	v_cmpx_lt_u32_e32 31, v0
	s_cbranch_execz .LBB1391_85
; %bb.84:
	v_dual_add_nc_u32 v2, -16, v9 :: v_dual_add_nc_u32 v6, -8, v9
	v_cmp_eq_u16_e64 s8, 0, v8
	ds_load_b64 v[2:3], v2
	ds_load_u8 v14, v6
	s_wait_dscnt 0x0
	v_dual_add_f64 v[6:7], v[4:5], v[2:3] :: v_dual_bitop2_b32 v8, v14, v8 bitop3:0x54
	s_delay_alu instid0(VALU_DEP_1)
	v_dual_cndmask_b32 v5, v5, v7, s8 :: v_dual_cndmask_b32 v4, v4, v6, s8
.LBB1391_85:
	s_or_b32 exec_lo, exec_lo, s9
	v_sub_co_u32 v6, s8, v46, 1
	s_delay_alu instid0(VALU_DEP_3) | instskip(NEXT) | instid1(VALU_DEP_2)
	v_and_b32_e32 v7, 0xff, v8
	v_cmp_gt_i32_e64 s9, 0, v6
	s_delay_alu instid0(VALU_DEP_1) | instskip(NEXT) | instid1(VALU_DEP_1)
	v_cndmask_b32_e64 v6, v6, v46, s9
	v_lshlrev_b32_e32 v6, 2, v6
	ds_bpermute_b32 v16, v6, v4
	ds_bpermute_b32 v17, v6, v5
	;; [unrolled: 1-line block ×3, first 2 shown]
	s_and_saveexec_b32 s11, vcc_lo
	s_cbranch_execz .LBB1391_165
; %bb.86:
	v_mov_b32_e32 v9, 0
	ds_load_b64 v[4:5], v9 offset:48
	ds_load_u8 v18, v9 offset:56
	s_and_saveexec_b32 s9, s8
	s_cbranch_execz .LBB1391_88
; %bb.87:
	s_add_co_i32 s12, s38, 32
	s_mov_b32 s13, 0
	v_dual_mov_b32 v6, 1 :: v_dual_mov_b32 v7, s12
	s_lshl_b64 s[28:29], s[12:13], 4
	s_delay_alu instid0(SALU_CYCLE_1)
	s_add_nc_u64 s[12:13], s[20:21], s[28:29]
	s_wait_dscnt 0x1
	global_store_b64 v9, v[4:5], s[12:13]
	s_wait_dscnt 0x0
	global_store_b8 v9, v18, s[12:13] offset:8
	global_wb scope:SCOPE_DEV
	s_wait_storecnt 0x0
	global_inv scope:SCOPE_DEV
	s_wait_xcnt 0x0
	global_store_b8 v7, v6, s[24:25] scope:SCOPE_DEV
.LBB1391_88:
	s_wait_xcnt 0x0
	s_or_b32 exec_lo, exec_lo, s9
	v_xad_u32 v6, v46, -1, s38
	s_mov_b32 s10, 0
	s_mov_b32 s9, exec_lo
	s_delay_alu instid0(VALU_DEP_1)
	v_add_nc_u32_e32 v8, 32, v6
	global_load_u8 v19, v8, s[24:25] scope:SCOPE_DEV
	s_wait_loadcnt 0x0
	v_cmpx_eq_u16_e32 0, v19
	s_cbranch_execz .LBB1391_92
; %bb.89:
	v_add_nc_u64_e32 v[10:11], s[24:25], v[8:9]
.LBB1391_90:                            ; =>This Inner Loop Header: Depth=1
	global_load_u8 v19, v[10:11], off scope:SCOPE_DEV
	s_wait_loadcnt 0x0
	v_cmp_ne_u16_e32 vcc_lo, 0, v19
	s_or_b32 s10, vcc_lo, s10
	s_wait_xcnt 0x0
	s_and_not1_b32 exec_lo, exec_lo, s10
	s_cbranch_execnz .LBB1391_90
; %bb.91:
	s_or_b32 exec_lo, exec_lo, s10
.LBB1391_92:
	s_delay_alu instid0(SALU_CYCLE_1)
	s_or_b32 exec_lo, exec_lo, s9
	v_dual_mov_b32 v7, s21 :: v_dual_mov_b32 v10, s20
	v_cmp_eq_u16_e32 vcc_lo, 1, v19
	global_wb scope:SCOPE_DEV
	s_wait_storecnt_dscnt 0x0
	global_inv scope:SCOPE_DEV
	v_lshlrev_b32_e64 v21, v46, -1
	s_mov_b32 s9, exec_lo
	v_cndmask_b32_e32 v11, s23, v7, vcc_lo
	v_cndmask_b32_e32 v10, s22, v10, vcc_lo
	v_cmp_ne_u32_e32 vcc_lo, 31, v46
	v_add_co_ci_u32_e64 v7, null, 0, v46, vcc_lo
	v_cmp_eq_u16_e32 vcc_lo, 2, v19
	s_delay_alu instid0(VALU_DEP_2)
	v_lshlrev_b32_e32 v20, 2, v7
	v_lshl_add_u64 v[8:9], v[8:9], 4, v[10:11]
	s_clause 0x1
	global_load_u8 v12, v[8:9], off offset:8
	global_load_b64 v[10:11], v[8:9], off
	v_and_or_b32 v7, vcc_lo, v21, 0x80000000
	s_delay_alu instid0(VALU_DEP_1)
	v_ctz_i32_b32_e32 v7, v7
	s_wait_loadcnt 0x1
	v_and_b32_e32 v13, 1, v12
	s_wait_loadcnt 0x0
	ds_bpermute_b32 v8, v20, v10
	ds_bpermute_b32 v9, v20, v11
	;; [unrolled: 1-line block ×3, first 2 shown]
	v_cmpx_lt_u32_e64 v46, v7
	s_cbranch_execz .LBB1391_94
; %bb.93:
	s_wait_dscnt 0x1
	v_add_f64_e32 v[8:9], v[10:11], v[8:9]
	v_and_b32_e32 v13, 0xff, v12
	s_wait_dscnt 0x0
	v_bitop3_b16 v12, v44, v12, 1 bitop3:0xec
	s_delay_alu instid0(VALU_DEP_2) | instskip(NEXT) | instid1(VALU_DEP_2)
	v_cmp_eq_u16_e32 vcc_lo, 0, v13
	v_and_b32_e32 v13, 0xff, v12
	v_dual_cndmask_b32 v11, v11, v9 :: v_dual_cndmask_b32 v10, v10, v8
.LBB1391_94:
	s_or_b32 exec_lo, exec_lo, s9
	v_cmp_gt_u32_e32 vcc_lo, 30, v46
	v_add_nc_u32_e32 v45, 2, v46
	s_mov_b32 s12, exec_lo
	s_wait_dscnt 0x2
	v_cndmask_b32_e64 v8, 0, 2, vcc_lo
	s_wait_dscnt 0x0
	s_delay_alu instid0(VALU_DEP_1)
	v_add_lshl_u32 v44, v8, v46, 2
	ds_bpermute_b32 v8, v44, v10
	ds_bpermute_b32 v9, v44, v11
	;; [unrolled: 1-line block ×3, first 2 shown]
	v_cmpx_le_u32_e64 v45, v7
	s_cbranch_execz .LBB1391_96
; %bb.95:
	s_wait_dscnt 0x0
	v_dual_add_f64 v[8:9], v[10:11], v[8:9] :: v_dual_bitop2_b32 v63, 1, v63 bitop3:0x40
	v_and_b32_e32 v13, 1, v12
	v_and_b32_e32 v12, 0xff, v12
	s_delay_alu instid0(VALU_DEP_3) | instskip(NEXT) | instid1(VALU_DEP_2)
	v_cmp_eq_u32_e64 s9, 1, v63
	v_cmp_eq_u16_e64 s10, 0, v12
	s_delay_alu instid0(VALU_DEP_1) | instskip(SKIP_3) | instid1(SALU_CYCLE_1)
	v_cndmask_b32_e64 v11, v11, v9, s10
	v_cmp_eq_u32_e32 vcc_lo, 1, v13
	v_cndmask_b32_e64 v10, v10, v8, s10
	s_or_b32 s9, vcc_lo, s9
	v_cndmask_b32_e64 v12, 0, 1, s9
	v_cndmask_b32_e64 v13, 0, 1, s9
.LBB1391_96:
	s_or_b32 exec_lo, exec_lo, s12
	v_cmp_gt_u32_e32 vcc_lo, 28, v46
	v_add_nc_u32_e32 v64, 4, v46
	s_mov_b32 s12, exec_lo
	s_wait_dscnt 0x2
	v_cndmask_b32_e64 v8, 0, 4, vcc_lo
	s_wait_dscnt 0x0
	s_delay_alu instid0(VALU_DEP_1)
	v_add_lshl_u32 v63, v8, v46, 2
	ds_bpermute_b32 v8, v63, v10
	ds_bpermute_b32 v9, v63, v11
	;; [unrolled: 1-line block ×3, first 2 shown]
	v_cmpx_le_u32_e64 v64, v7
	s_cbranch_execz .LBB1391_98
; %bb.97:
	s_wait_dscnt 0x1
	v_add_f64_e32 v[8:9], v[10:11], v[8:9]
	v_and_b32_e32 v13, 1, v12
	v_and_b32_e32 v12, 0xff, v12
	s_delay_alu instid0(VALU_DEP_1) | instskip(SKIP_1) | instid1(VALU_DEP_1)
	v_cmp_eq_u16_e64 s10, 0, v12
	s_wait_dscnt 0x0
	v_dual_cndmask_b32 v10, v10, v8, s10 :: v_dual_bitop2_b32 v65, 1, v65 bitop3:0x40
	s_delay_alu instid0(VALU_DEP_1) | instskip(SKIP_3) | instid1(SALU_CYCLE_1)
	v_cmp_eq_u32_e64 s9, 1, v65
	v_cndmask_b32_e64 v11, v11, v9, s10
	v_cmp_eq_u32_e32 vcc_lo, 1, v13
	s_or_b32 s9, vcc_lo, s9
	v_cndmask_b32_e64 v12, 0, 1, s9
	v_cndmask_b32_e64 v13, 0, 1, s9
.LBB1391_98:
	s_or_b32 exec_lo, exec_lo, s12
	v_cmp_gt_u32_e32 vcc_lo, 24, v46
	v_add_nc_u32_e32 v66, 8, v46
	s_mov_b32 s12, exec_lo
	s_wait_dscnt 0x2
	v_cndmask_b32_e64 v8, 0, 8, vcc_lo
	s_wait_dscnt 0x0
	s_delay_alu instid0(VALU_DEP_1)
	v_add_lshl_u32 v65, v8, v46, 2
	ds_bpermute_b32 v8, v65, v10
	ds_bpermute_b32 v9, v65, v11
	;; [unrolled: 1-line block ×3, first 2 shown]
	v_cmpx_le_u32_e64 v66, v7
	s_cbranch_execz .LBB1391_100
; %bb.99:
	s_wait_dscnt 0x0
	v_dual_add_f64 v[8:9], v[10:11], v[8:9] :: v_dual_bitop2_b32 v67, 1, v67 bitop3:0x40
	v_and_b32_e32 v13, 1, v12
	v_and_b32_e32 v12, 0xff, v12
	s_delay_alu instid0(VALU_DEP_3) | instskip(NEXT) | instid1(VALU_DEP_2)
	v_cmp_eq_u32_e64 s9, 1, v67
	v_cmp_eq_u16_e64 s10, 0, v12
	s_delay_alu instid0(VALU_DEP_1) | instskip(SKIP_3) | instid1(SALU_CYCLE_1)
	v_cndmask_b32_e64 v11, v11, v9, s10
	v_cmp_eq_u32_e32 vcc_lo, 1, v13
	v_cndmask_b32_e64 v10, v10, v8, s10
	s_or_b32 s9, vcc_lo, s9
	v_cndmask_b32_e64 v12, 0, 1, s9
	v_cndmask_b32_e64 v13, 0, 1, s9
.LBB1391_100:
	s_or_b32 exec_lo, exec_lo, s12
	s_wait_dscnt 0x0
	v_lshl_or_b32 v67, v46, 2, 64
	v_add_nc_u32_e32 v69, 16, v46
	s_mov_b32 s12, exec_lo
	ds_bpermute_b32 v8, v67, v10
	ds_bpermute_b32 v9, v67, v11
	;; [unrolled: 1-line block ×3, first 2 shown]
	v_cmpx_le_u32_e64 v69, v7
	s_cbranch_execz .LBB1391_102
; %bb.101:
	s_wait_dscnt 0x1
	v_add_f64_e32 v[8:9], v[10:11], v[8:9]
	v_and_b32_e32 v7, 0xff, v12
	s_delay_alu instid0(VALU_DEP_1) | instskip(SKIP_2) | instid1(VALU_DEP_4)
	v_cmp_eq_u16_e32 vcc_lo, 0, v7
	v_and_b32_e32 v12, 1, v12
	s_wait_dscnt 0x0
	v_dual_cndmask_b32 v10, v10, v8, vcc_lo :: v_dual_bitop2_b32 v13, 1, v13 bitop3:0x40
	s_delay_alu instid0(VALU_DEP_1) | instskip(SKIP_3) | instid1(SALU_CYCLE_1)
	v_cmp_eq_u32_e64 s10, 1, v13
	v_cndmask_b32_e32 v11, v11, v9, vcc_lo
	v_cmp_eq_u32_e64 s9, 1, v12
	s_or_b32 s9, s9, s10
	v_cndmask_b32_e64 v12, 0, 1, s9
.LBB1391_102:
	s_or_b32 exec_lo, exec_lo, s12
	v_mov_b32_e32 v7, 0
	s_branch .LBB1391_105
.LBB1391_103:                           ;   in Loop: Header=BB1391_105 Depth=1
	s_or_b32 exec_lo, exec_lo, s13
	s_wait_dscnt 0x1
	v_dual_add_f64 v[10:11], v[8:9], v[10:11] :: v_dual_bitop2_b32 v13, 1, v68 bitop3:0x40
	v_and_b32_e32 v12, 0xff, v68
	v_subrev_nc_u32_e32 v6, 32, v6
	s_delay_alu instid0(VALU_DEP_3) | instskip(NEXT) | instid1(VALU_DEP_3)
	v_cmp_eq_u32_e64 s9, 1, v13
	v_cmp_eq_u16_e32 vcc_lo, 0, v12
	s_or_b32 s9, s9, s12
	s_delay_alu instid0(SALU_CYCLE_1)
	v_cndmask_b32_e64 v12, 0, 1, s9
	s_mov_b32 s9, 0
	v_dual_cndmask_b32 v11, v9, v11 :: v_dual_cndmask_b32 v10, v8, v10
.LBB1391_104:                           ;   in Loop: Header=BB1391_105 Depth=1
	s_and_b32 vcc_lo, exec_lo, s9
	s_cbranch_vccnz .LBB1391_161
.LBB1391_105:                           ; =>This Loop Header: Depth=1
                                        ;     Child Loop BB1391_108 Depth 2
	s_wait_dscnt 0x2
	v_and_b32_e32 v8, 0xff, v19
	v_mov_b32_e32 v68, v12
	s_mov_b32 s9, -1
                                        ; implicit-def: $vgpr12
                                        ; implicit-def: $vgpr19
	s_delay_alu instid0(VALU_DEP_2)
	v_cmp_ne_u16_e32 vcc_lo, 2, v8
	s_wait_dscnt 0x1
	v_mov_b64_e32 v[8:9], v[10:11]
                                        ; implicit-def: $vgpr10_vgpr11
	s_cmp_lg_u32 vcc_lo, exec_lo
	s_cbranch_scc1 .LBB1391_104
; %bb.106:                              ;   in Loop: Header=BB1391_105 Depth=1
	global_load_u8 v19, v6, s[24:25] scope:SCOPE_DEV
	s_mov_b32 s9, exec_lo
	s_wait_loadcnt 0x0
	s_wait_xcnt 0x0
	v_cmpx_eq_u16_e32 0, v19
	s_cbranch_execz .LBB1391_110
; %bb.107:                              ;   in Loop: Header=BB1391_105 Depth=1
	v_add_nc_u64_e32 v[10:11], s[24:25], v[6:7]
	s_mov_b32 s10, 0
.LBB1391_108:                           ;   Parent Loop BB1391_105 Depth=1
                                        ; =>  This Inner Loop Header: Depth=2
	global_load_u8 v19, v[10:11], off scope:SCOPE_DEV
	s_wait_loadcnt 0x0
	v_cmp_ne_u16_e32 vcc_lo, 0, v19
	s_or_b32 s10, vcc_lo, s10
	s_wait_xcnt 0x0
	s_and_not1_b32 exec_lo, exec_lo, s10
	s_cbranch_execnz .LBB1391_108
; %bb.109:                              ;   in Loop: Header=BB1391_105 Depth=1
	s_or_b32 exec_lo, exec_lo, s10
.LBB1391_110:                           ;   in Loop: Header=BB1391_105 Depth=1
	s_delay_alu instid0(SALU_CYCLE_1)
	s_or_b32 exec_lo, exec_lo, s9
	v_dual_mov_b32 v10, s21 :: v_dual_mov_b32 v12, s20
	v_cmp_eq_u16_e32 vcc_lo, 1, v19
	global_wb scope:SCOPE_DEV
	s_wait_storecnt_dscnt 0x0
	global_inv scope:SCOPE_DEV
	s_mov_b32 s9, exec_lo
	v_cndmask_b32_e32 v11, s23, v10, vcc_lo
	v_cndmask_b32_e32 v10, s22, v12, vcc_lo
	v_cmp_eq_u16_e32 vcc_lo, 2, v19
	s_delay_alu instid0(VALU_DEP_2)
	v_lshl_add_u64 v[12:13], v[6:7], 4, v[10:11]
	v_and_or_b32 v71, vcc_lo, v21, 0x80000000
	s_clause 0x1
	global_load_u8 v70, v[12:13], off offset:8
	global_load_b64 v[10:11], v[12:13], off
	v_ctz_i32_b32_e32 v71, v71
	s_wait_loadcnt 0x1
	v_and_b32_e32 v72, 1, v70
	s_wait_loadcnt 0x0
	s_wait_xcnt 0x0
	ds_bpermute_b32 v12, v20, v10
	ds_bpermute_b32 v13, v20, v11
	;; [unrolled: 1-line block ×3, first 2 shown]
	v_cmpx_lt_u32_e64 v46, v71
	s_cbranch_execz .LBB1391_112
; %bb.111:                              ;   in Loop: Header=BB1391_105 Depth=1
	s_wait_dscnt 0x1
	v_add_f64_e32 v[12:13], v[10:11], v[12:13]
	v_and_b32_e32 v72, 0xff, v70
	s_wait_dscnt 0x0
	v_bitop3_b16 v70, v73, v70, 1 bitop3:0xec
	s_delay_alu instid0(VALU_DEP_2) | instskip(NEXT) | instid1(VALU_DEP_2)
	v_cmp_eq_u16_e32 vcc_lo, 0, v72
	v_and_b32_e32 v72, 0xff, v70
	v_dual_cndmask_b32 v11, v11, v13 :: v_dual_cndmask_b32 v10, v10, v12
.LBB1391_112:                           ;   in Loop: Header=BB1391_105 Depth=1
	s_or_b32 exec_lo, exec_lo, s9
	s_wait_dscnt 0x2
	ds_bpermute_b32 v12, v44, v10
	s_wait_dscnt 0x2
	ds_bpermute_b32 v13, v44, v11
	;; [unrolled: 2-line block ×3, first 2 shown]
	v_and_b32_e32 v74, 1, v70
	s_mov_b32 s10, exec_lo
	s_delay_alu instid0(VALU_DEP_1)
	v_cmp_eq_u32_e64 s12, 1, v74
	v_cmpx_le_u32_e64 v45, v71
	s_cbranch_execz .LBB1391_114
; %bb.113:                              ;   in Loop: Header=BB1391_105 Depth=1
	s_wait_dscnt 0x1
	v_add_f64_e32 v[12:13], v[10:11], v[12:13]
	v_and_b32_e32 v70, 0xff, v70
	s_delay_alu instid0(VALU_DEP_1) | instskip(SKIP_1) | instid1(VALU_DEP_1)
	v_cmp_eq_u16_e64 s9, 0, v70
	s_wait_dscnt 0x0
	v_dual_cndmask_b32 v10, v10, v12, s9 :: v_dual_bitop2_b32 v72, 1, v73 bitop3:0x40
	s_delay_alu instid0(VALU_DEP_1) | instskip(SKIP_3) | instid1(SALU_CYCLE_1)
	v_cmp_eq_u32_e32 vcc_lo, 1, v72
	v_cndmask_b32_e64 v11, v11, v13, s9
	s_and_not1_b32 s9, s12, exec_lo
	s_or_b32 s13, s12, vcc_lo
	v_cndmask_b32_e64 v70, 0, 1, s13
	v_cndmask_b32_e64 v72, 0, 1, s13
	s_and_b32 s12, s13, exec_lo
	s_delay_alu instid0(SALU_CYCLE_1)
	s_or_b32 s12, s9, s12
.LBB1391_114:                           ;   in Loop: Header=BB1391_105 Depth=1
	s_or_b32 exec_lo, exec_lo, s10
	s_wait_dscnt 0x2
	ds_bpermute_b32 v12, v63, v10
	s_wait_dscnt 0x2
	ds_bpermute_b32 v13, v63, v11
	s_wait_dscnt 0x2
	ds_bpermute_b32 v73, v63, v72
	s_mov_b32 s13, exec_lo
	v_cmpx_le_u32_e64 v64, v71
	s_cbranch_execz .LBB1391_116
; %bb.115:                              ;   in Loop: Header=BB1391_105 Depth=1
	s_wait_dscnt 0x1
	v_dual_add_f64 v[12:13], v[10:11], v[12:13] :: v_dual_bitop2_b32 v72, 1, v70 bitop3:0x40
	v_and_b32_e32 v70, 0xff, v70
	s_delay_alu instid0(VALU_DEP_2) | instskip(NEXT) | instid1(VALU_DEP_2)
	v_cmp_eq_u32_e32 vcc_lo, 1, v72
	v_cmp_eq_u16_e64 s10, 0, v70
	s_wait_dscnt 0x0
	s_delay_alu instid0(VALU_DEP_1) | instskip(NEXT) | instid1(VALU_DEP_1)
	v_dual_cndmask_b32 v10, v10, v12, s10 :: v_dual_bitop2_b32 v73, 1, v73 bitop3:0x40
	v_cmp_eq_u32_e64 s9, 1, v73
	v_cndmask_b32_e64 v11, v11, v13, s10
	s_and_not1_b32 s10, s12, exec_lo
	s_or_b32 s9, vcc_lo, s9
	s_delay_alu instid0(SALU_CYCLE_1) | instskip(SKIP_2) | instid1(SALU_CYCLE_1)
	v_cndmask_b32_e64 v70, 0, 1, s9
	v_cndmask_b32_e64 v72, 0, 1, s9
	s_and_b32 s9, s9, exec_lo
	s_or_b32 s12, s10, s9
.LBB1391_116:                           ;   in Loop: Header=BB1391_105 Depth=1
	s_or_b32 exec_lo, exec_lo, s13
	s_wait_dscnt 0x2
	ds_bpermute_b32 v12, v65, v10
	s_wait_dscnt 0x2
	ds_bpermute_b32 v13, v65, v11
	;; [unrolled: 2-line block ×3, first 2 shown]
	s_mov_b32 s13, exec_lo
	v_cmpx_le_u32_e64 v66, v71
	s_cbranch_execz .LBB1391_118
; %bb.117:                              ;   in Loop: Header=BB1391_105 Depth=1
	s_wait_dscnt 0x1
	v_dual_add_f64 v[12:13], v[10:11], v[12:13] :: v_dual_bitop2_b32 v72, 1, v70 bitop3:0x40
	v_and_b32_e32 v70, 0xff, v70
	s_delay_alu instid0(VALU_DEP_2) | instskip(NEXT) | instid1(VALU_DEP_2)
	v_cmp_eq_u32_e32 vcc_lo, 1, v72
	v_cmp_eq_u16_e64 s10, 0, v70
	s_wait_dscnt 0x0
	s_delay_alu instid0(VALU_DEP_1) | instskip(NEXT) | instid1(VALU_DEP_1)
	v_dual_cndmask_b32 v10, v10, v12, s10 :: v_dual_bitop2_b32 v73, 1, v73 bitop3:0x40
	v_cmp_eq_u32_e64 s9, 1, v73
	v_cndmask_b32_e64 v11, v11, v13, s10
	s_and_not1_b32 s10, s12, exec_lo
	s_or_b32 s9, vcc_lo, s9
	s_delay_alu instid0(SALU_CYCLE_1) | instskip(SKIP_2) | instid1(SALU_CYCLE_1)
	v_cndmask_b32_e64 v70, 0, 1, s9
	v_cndmask_b32_e64 v72, 0, 1, s9
	s_and_b32 s9, s9, exec_lo
	s_or_b32 s12, s10, s9
.LBB1391_118:                           ;   in Loop: Header=BB1391_105 Depth=1
	s_or_b32 exec_lo, exec_lo, s13
	s_wait_dscnt 0x2
	ds_bpermute_b32 v12, v67, v10
	s_wait_dscnt 0x2
	ds_bpermute_b32 v13, v67, v11
	ds_bpermute_b32 v72, v67, v72
	s_mov_b32 s13, exec_lo
	v_cmpx_le_u32_e64 v69, v71
	s_cbranch_execz .LBB1391_103
; %bb.119:                              ;   in Loop: Header=BB1391_105 Depth=1
	s_wait_dscnt 0x1
	v_dual_add_f64 v[12:13], v[10:11], v[12:13] :: v_dual_bitop2_b32 v71, 1, v70 bitop3:0x40
	v_and_b32_e32 v70, 0xff, v70
	s_delay_alu instid0(VALU_DEP_2) | instskip(NEXT) | instid1(VALU_DEP_2)
	v_cmp_eq_u32_e32 vcc_lo, 1, v71
	v_cmp_eq_u16_e64 s10, 0, v70
	s_wait_dscnt 0x0
	s_delay_alu instid0(VALU_DEP_1) | instskip(NEXT) | instid1(VALU_DEP_1)
	v_dual_cndmask_b32 v11, v11, v13, s10 :: v_dual_bitop2_b32 v72, 1, v72 bitop3:0x40
	v_cmp_eq_u32_e64 s9, 1, v72
	v_cndmask_b32_e64 v10, v10, v12, s10
	s_and_not1_b32 s10, s12, exec_lo
	s_or_b32 s9, vcc_lo, s9
	s_delay_alu instid0(SALU_CYCLE_1) | instskip(NEXT) | instid1(SALU_CYCLE_1)
	s_and_b32 s9, s9, exec_lo
	s_or_b32 s12, s10, s9
	s_branch .LBB1391_103
.LBB1391_120:
	s_or_b32 exec_lo, exec_lo, s9
                                        ; implicit-def: $vgpr12_vgpr13
	s_and_saveexec_b32 s9, s0
	s_cbranch_execz .LBB1391_25
.LBB1391_121:
	flat_load_b64 v[12:13], v0, s[10:11] offset:1024 scale_offset
	s_wait_xcnt 0x0
	s_or_b32 exec_lo, exec_lo, s9
                                        ; implicit-def: $vgpr14_vgpr15
	s_and_saveexec_b32 s0, s1
	s_cbranch_execnz .LBB1391_26
.LBB1391_122:
	s_or_b32 exec_lo, exec_lo, s0
                                        ; implicit-def: $vgpr16_vgpr17
	s_and_saveexec_b32 s0, s2
	s_cbranch_execz .LBB1391_27
.LBB1391_123:
	flat_load_b64 v[16:17], v0, s[10:11] offset:3072 scale_offset
	s_wait_xcnt 0x0
	s_or_b32 exec_lo, exec_lo, s0
                                        ; implicit-def: $vgpr18_vgpr19
	s_and_saveexec_b32 s0, s3
	s_cbranch_execnz .LBB1391_28
.LBB1391_124:
	s_or_b32 exec_lo, exec_lo, s0
                                        ; implicit-def: $vgpr20_vgpr21
	s_and_saveexec_b32 s0, s4
	s_cbranch_execz .LBB1391_29
.LBB1391_125:
	flat_load_b64 v[20:21], v0, s[10:11] offset:5120 scale_offset
	s_wait_xcnt 0x0
	s_or_b32 exec_lo, exec_lo, s0
                                        ; implicit-def: $vgpr22_vgpr23
	s_and_saveexec_b32 s0, s5
	s_cbranch_execnz .LBB1391_30
.LBB1391_126:
	s_or_b32 exec_lo, exec_lo, s0
                                        ; implicit-def: $vgpr24_vgpr25
	s_and_saveexec_b32 s0, s6
	s_cbranch_execz .LBB1391_31
.LBB1391_127:
	flat_load_b64 v[24:25], v0, s[10:11] offset:7168 scale_offset
	s_wait_xcnt 0x0
	s_or_b32 exec_lo, exec_lo, s0
                                        ; implicit-def: $vgpr26_vgpr27
	s_and_saveexec_b32 s0, s7
	s_cbranch_execz .LBB1391_33
	s_branch .LBB1391_32
.LBB1391_128:
                                        ; implicit-def: $vgpr2_vgpr3
                                        ; implicit-def: $vgpr20_vgpr21
                                        ; implicit-def: $vgpr16_vgpr17
                                        ; implicit-def: $vgpr12_vgpr13
                                        ; implicit-def: $vgpr8_vgpr9
	s_cbranch_execnz .LBB1391_166
.LBB1391_129:
	s_add_nc_u64 s[0:1], s[18:19], s[34:35]
	s_and_b32 vcc_lo, exec_lo, s15
	s_add_nc_u64 s[0:1], s[0:1], s[16:17]
	s_cbranch_vccz .LBB1391_191
.LBB1391_130:
	v_mul_u32_u24_e32 v1, 10, v0
	s_add_co_i32 s27, s27, s26
	s_mov_b32 s2, exec_lo
	s_delay_alu instid0(VALU_DEP_1)
	v_cmpx_gt_u32_e64 s27, v1
	s_cbranch_execz .LBB1391_142
; %bb.131:
	v_or_b32_e32 v22, 1, v1
	s_mov_b32 s3, exec_lo
	s_delay_alu instid0(VALU_DEP_1)
	v_cmpx_gt_u32_e64 s27, v22
	s_cbranch_execz .LBB1391_141
; %bb.132:
	v_add_nc_u32_e32 v22, 2, v1
	s_mov_b32 s4, exec_lo
	s_delay_alu instid0(VALU_DEP_1)
	v_cmpx_gt_u32_e64 s27, v22
	s_cbranch_execz .LBB1391_140
; %bb.133:
	v_add_nc_u32_e32 v22, 3, v1
	;; [unrolled: 6-line block ×4, first 2 shown]
	s_mov_b32 s7, exec_lo
	s_delay_alu instid0(VALU_DEP_1)
	v_cmpx_gt_u32_e64 s27, v22
; %bb.136:
	v_add_nc_u32_e32 v22, 6, v1
	s_mov_b32 s8, exec_lo
	s_delay_alu instid0(VALU_DEP_1)
	v_cmpx_gt_u32_e64 s27, v22
	s_or_b32 exec_lo, exec_lo, s8
; %bb.137:
	s_delay_alu instid0(SALU_CYCLE_1)
	s_or_b32 exec_lo, exec_lo, s7
.LBB1391_138:
	s_delay_alu instid0(SALU_CYCLE_1)
	s_or_b32 exec_lo, exec_lo, s6
.LBB1391_139:
	s_delay_alu instid0(SALU_CYCLE_1)
	s_or_b32 exec_lo, exec_lo, s5
.LBB1391_140:
	s_delay_alu instid0(SALU_CYCLE_1)
	s_or_b32 exec_lo, exec_lo, s4
.LBB1391_141:
	s_delay_alu instid0(SALU_CYCLE_1)
	s_or_b32 exec_lo, exec_lo, s3
.LBB1391_142:
	s_delay_alu instid0(SALU_CYCLE_1)
	s_or_b32 exec_lo, exec_lo, s2
	v_dual_lshlrev_b32 v1, 3, v1 :: v_dual_mov_b32 v41, 0
	s_wait_loadcnt 0x0
	s_wait_storecnt 0x0
	s_barrier_signal -1
	s_barrier_wait -1
	v_mad_i32_i24 v22, 0xffffffb8, v0, v1
	ds_store_b128 v1, v[2:5]
	ds_store_b128 v1, v[6:9] offset:16
	ds_store_b128 v1, v[10:13] offset:32
	;; [unrolled: 1-line block ×4, first 2 shown]
	s_wait_dscnt 0x0
	s_barrier_signal -1
	s_barrier_wait -1
	ds_load_2addr_stride64_b64 v[36:39], v22 offset0:2 offset1:4
	ds_load_2addr_stride64_b64 v[32:35], v22 offset0:6 offset1:8
	;; [unrolled: 1-line block ×4, first 2 shown]
	ds_load_b64 v[22:23], v22 offset:9216
	v_lshlrev_b32_e32 v40, 3, v0
	s_mov_b32 s2, exec_lo
	s_delay_alu instid0(VALU_DEP_1)
	v_add_nc_u64_e32 v[40:41], s[0:1], v[40:41]
	v_cmpx_gt_u32_e64 s27, v0
	s_cbranch_execz .LBB1391_144
; %bb.143:
	v_mul_i32_i24_e32 v42, 0xffffffb8, v0
	s_delay_alu instid0(VALU_DEP_1)
	v_add_nc_u32_e32 v1, v1, v42
	ds_load_b64 v[42:43], v1
	s_wait_dscnt 0x0
	flat_store_b64 v[40:41], v[42:43]
.LBB1391_144:
	s_wait_xcnt 0x0
	s_or_b32 exec_lo, exec_lo, s2
	v_or_b32_e32 v1, 0x80, v0
	s_mov_b32 s2, exec_lo
	s_delay_alu instid0(VALU_DEP_1)
	v_cmpx_gt_u32_e64 s27, v1
	s_cbranch_execz .LBB1391_146
; %bb.145:
	s_wait_dscnt 0x4
	flat_store_b64 v[40:41], v[36:37] offset:1024
.LBB1391_146:
	s_wait_xcnt 0x0
	s_or_b32 exec_lo, exec_lo, s2
	v_or_b32_e32 v1, 0x100, v0
	s_mov_b32 s2, exec_lo
	s_delay_alu instid0(VALU_DEP_1)
	v_cmpx_gt_u32_e64 s27, v1
	s_cbranch_execz .LBB1391_148
; %bb.147:
	s_wait_dscnt 0x4
	flat_store_b64 v[40:41], v[38:39] offset:2048
.LBB1391_148:
	;; [unrolled: 11-line block ×8, first 2 shown]
	s_wait_xcnt 0x0
	s_or_b32 exec_lo, exec_lo, s2
	v_or_b32_e32 v1, 0x480, v0
	s_delay_alu instid0(VALU_DEP_1)
	v_cmp_gt_u32_e64 s2, s27, v1
	s_branch .LBB1391_193
.LBB1391_161:
	s_and_saveexec_b32 s9, s8
	s_cbranch_execz .LBB1391_163
; %bb.162:
	v_add_f64_e32 v[6:7], v[4:5], v[8:9]
	v_and_b32_e32 v10, 0xff, v18
	s_add_co_i32 s12, s38, 32
	s_mov_b32 s13, 0
	v_bitop3_b16 v11, v18, 1, v68 bitop3:0xc8
	s_lshl_b64 s[20:21], s[12:13], 4
	v_cmp_eq_u32_e32 vcc_lo, 0, v10
	v_dual_mov_b32 v10, 0 :: v_dual_mov_b32 v12, 2
	v_dual_cndmask_b32 v5, v5, v7 :: v_dual_cndmask_b32 v4, v4, v6
	v_mov_b32_e32 v6, s12
	s_add_nc_u64 s[12:13], s[22:23], s[20:21]
	s_clause 0x1
	global_store_b64 v10, v[4:5], s[12:13]
	global_store_b8 v10, v11, s[12:13] offset:8
	global_wb scope:SCOPE_DEV
	s_wait_storecnt_dscnt 0x0
	global_inv scope:SCOPE_DEV
	s_wait_xcnt 0x0
	global_store_b8 v6, v12, s[24:25] scope:SCOPE_DEV
.LBB1391_163:
	s_wait_xcnt 0x0
	s_or_b32 exec_lo, exec_lo, s9
	v_cmp_eq_u32_e32 vcc_lo, 0, v0
	s_and_b32 exec_lo, exec_lo, vcc_lo
	s_cbranch_execz .LBB1391_165
; %bb.164:
	v_mov_b32_e32 v4, 0
	ds_store_b64 v4, v[8:9] offset:48
	ds_store_b8 v4, v68 offset:56
.LBB1391_165:
	s_or_b32 exec_lo, exec_lo, s11
	s_wait_dscnt 0x1
	v_dual_mov_b32 v4, 0 :: v_dual_cndmask_b32 v3, v17, v3, s8
	s_wait_storecnt 0x0
	s_wait_loadcnt_dscnt 0x0
	s_barrier_signal -1
	s_barrier_wait -1
	ds_load_b64 v[4:5], v4 offset:48
	v_cndmask_b32_e64 v8, v15, v14, s8
	s_delay_alu instid0(VALU_DEP_1) | instskip(NEXT) | instid1(VALU_DEP_1)
	v_and_b32_e32 v8, 0xff, v8
	v_cmp_eq_u16_e32 vcc_lo, 0, v8
	v_cndmask_b32_e64 v2, v16, v2, s8
	s_wait_dscnt 0x0
	s_delay_alu instid0(VALU_DEP_1) | instskip(NEXT) | instid1(VALU_DEP_1)
	v_add_f64_e32 v[6:7], v[2:3], v[4:5]
	v_dual_cndmask_b32 v3, v3, v7 :: v_dual_cndmask_b32 v2, v2, v6
	v_cmp_eq_u32_e32 vcc_lo, 0, v0
	v_and_b32_e32 v6, 0xff, v1
	s_delay_alu instid0(VALU_DEP_3) | instskip(NEXT) | instid1(VALU_DEP_2)
	v_dual_cndmask_b32 v3, v3, v5 :: v_dual_cndmask_b32 v2, v2, v4
	v_cmp_eq_u16_e32 vcc_lo, 0, v6
	s_delay_alu instid0(VALU_DEP_2) | instskip(NEXT) | instid1(VALU_DEP_1)
	v_add_f64_e32 v[4:5], v[26:27], v[2:3]
	v_dual_cndmask_b32 v5, v27, v5 :: v_dual_cndmask_b32 v4, v26, v4
	s_delay_alu instid0(VALU_DEP_1) | instskip(NEXT) | instid1(VALU_DEP_1)
	v_add_f64_e32 v[6:7], v[40:41], v[4:5]
	v_dual_cndmask_b32 v7, v41, v7, s0 :: v_dual_cndmask_b32 v6, v40, v6, s0
	s_delay_alu instid0(VALU_DEP_1) | instskip(NEXT) | instid1(VALU_DEP_1)
	v_add_f64_e32 v[8:9], v[38:39], v[6:7]
	v_dual_cndmask_b32 v9, v39, v9, s1 :: v_dual_cndmask_b32 v8, v38, v8, s1
	;; [unrolled: 3-line block ×8, first 2 shown]
	s_branch .LBB1391_129
.LBB1391_166:
	s_cmp_eq_u64 s[36:37], 0
	v_mov_b64_e32 v[44:45], s[40:41]
	s_cselect_b32 s0, -1, 0
	s_cmp_eq_u64 s[30:31], 0
	s_cselect_b32 s1, -1, 0
	s_delay_alu instid0(SALU_CYCLE_1) | instskip(NEXT) | instid1(SALU_CYCLE_1)
	s_or_b32 s0, s0, s1
	s_and_b32 vcc_lo, exec_lo, s0
	s_cbranch_vccnz .LBB1391_168
; %bb.167:
	v_mov_b32_e32 v2, 0
	global_load_b64 v[44:45], v2, s[30:31]
.LBB1391_168:
	v_cmp_eq_u16_e32 vcc_lo, 0, v62
	v_cmp_eq_u16_e64 s0, 0, v61
	v_cmp_eq_u16_e64 s1, 0, v60
	;; [unrolled: 1-line block ×4, first 2 shown]
	s_wait_xcnt 0x0
	v_dual_cndmask_b32 v3, v41, v43 :: v_dual_cndmask_b32 v2, v40, v42
	v_cmp_eq_u16_e64 s4, 0, v57
	v_cmp_eq_u16_e64 s5, 0, v56
	;; [unrolled: 1-line block ×3, first 2 shown]
	v_cmp_ne_u16_e64 s8, 0, v53
	v_add_f64_e32 v[2:3], v[38:39], v[2:3]
	v_cmp_eq_u32_e64 s9, 1, v49
	v_cmp_ne_u16_e64 s10, 0, v54
	v_cmp_eq_u32_e64 s11, 1, v52
	v_cmp_ne_u16_e64 s7, 0, v51
	v_cmp_eq_u32_e64 s12, 1, v48
	s_or_b32 s8, s8, s9
	v_cmp_eq_u32_e64 s13, 1, v47
	s_or_b32 s9, s10, s11
	v_and_b32_e32 v6, 15, v46
	s_or_b32 s7, s7, s12
	s_or_b32 s8, s9, s8
	s_mov_b32 s9, exec_lo
	s_or_b32 s7, s8, s7
	v_cmp_eq_u16_e64 s8, 0, v50
	s_or_b32 s7, s7, s13
	s_delay_alu instid0(SALU_CYCLE_1) | instskip(SKIP_1) | instid1(VALU_DEP_2)
	v_cndmask_b32_e64 v7, 0, 1, s7
	v_cndmask_b32_e64 v8, 0, 1, s7
	v_mov_b32_dpp v9, v7 row_shr:1 row_mask:0xf bank_mask:0xf
	v_dual_cndmask_b32 v3, v39, v3, s0 :: v_dual_cndmask_b32 v2, v38, v2, s0
	s_delay_alu instid0(VALU_DEP_1) | instskip(NEXT) | instid1(VALU_DEP_1)
	v_add_f64_e32 v[2:3], v[36:37], v[2:3]
	v_dual_cndmask_b32 v3, v37, v3, s1 :: v_dual_cndmask_b32 v2, v36, v2, s1
	s_delay_alu instid0(VALU_DEP_1) | instskip(NEXT) | instid1(VALU_DEP_1)
	v_add_f64_e32 v[2:3], v[32:33], v[2:3]
	;; [unrolled: 3-line block ×7, first 2 shown]
	v_dual_cndmask_b32 v3, v35, v3, s8 :: v_dual_cndmask_b32 v2, v34, v2, s8
	s_delay_alu instid0(VALU_DEP_1) | instskip(NEXT) | instid1(VALU_DEP_2)
	v_mov_b32_dpp v5, v3 row_shr:1 row_mask:0xf bank_mask:0xf
	v_mov_b32_dpp v4, v2 row_shr:1 row_mask:0xf bank_mask:0xf
	v_cmpx_ne_u32_e32 0, v6
	s_cbranch_execz .LBB1391_170
; %bb.169:
	s_delay_alu instid0(VALU_DEP_2) | instskip(SKIP_1) | instid1(VALU_DEP_1)
	v_add_f64_e32 v[4:5], v[2:3], v[4:5]
	v_bitop3_b16 v8, v9, v8, 1 bitop3:0xec
	v_and_b32_e32 v7, 0xffff, v8
	s_delay_alu instid0(VALU_DEP_3)
	v_dual_cndmask_b32 v3, v5, v3, s7 :: v_dual_cndmask_b32 v2, v4, v2, s7
.LBB1391_170:
	s_or_b32 exec_lo, exec_lo, s9
	s_delay_alu instid0(VALU_DEP_1) | instskip(NEXT) | instid1(VALU_DEP_2)
	v_mov_b32_dpp v4, v2 row_shr:2 row_mask:0xf bank_mask:0xf
	v_mov_b32_dpp v5, v3 row_shr:2 row_mask:0xf bank_mask:0xf
	;; [unrolled: 1-line block ×3, first 2 shown]
	s_mov_b32 s10, exec_lo
	v_cmpx_lt_u32_e32 1, v6
	s_cbranch_execz .LBB1391_172
; %bb.171:
	v_add_f64_e32 v[4:5], v[2:3], v[4:5]
	v_cmp_eq_u16_e64 s9, 0, v8
	v_and_b32_e32 v7, 1, v8
	s_delay_alu instid0(VALU_DEP_2) | instskip(NEXT) | instid1(VALU_DEP_1)
	v_dual_cndmask_b32 v2, v2, v4, s9 :: v_dual_bitop2_b32 v9, 1, v9 bitop3:0x40
	v_cmp_eq_u32_e64 s8, 1, v9
	v_cndmask_b32_e64 v3, v3, v5, s9
	s_delay_alu instid0(VALU_DEP_4) | instskip(SKIP_1) | instid1(SALU_CYCLE_1)
	v_cmp_eq_u32_e64 s7, 1, v7
	s_or_b32 s7, s7, s8
	v_cndmask_b32_e64 v8, 0, 1, s7
	v_cndmask_b32_e64 v7, 0, 1, s7
.LBB1391_172:
	s_or_b32 exec_lo, exec_lo, s10
	v_mov_b32_dpp v4, v2 row_shr:4 row_mask:0xf bank_mask:0xf
	v_mov_b32_dpp v5, v3 row_shr:4 row_mask:0xf bank_mask:0xf
	s_delay_alu instid0(VALU_DEP_3)
	v_mov_b32_dpp v9, v7 row_shr:4 row_mask:0xf bank_mask:0xf
	s_mov_b32 s10, exec_lo
	v_cmpx_lt_u32_e32 3, v6
	s_cbranch_execz .LBB1391_174
; %bb.173:
	v_add_f64_e32 v[4:5], v[2:3], v[4:5]
	v_cmp_eq_u16_e64 s9, 0, v8
	v_and_b32_e32 v7, 1, v8
	s_delay_alu instid0(VALU_DEP_2) | instskip(NEXT) | instid1(VALU_DEP_1)
	v_dual_cndmask_b32 v2, v2, v4, s9 :: v_dual_bitop2_b32 v9, 1, v9 bitop3:0x40
	v_cmp_eq_u32_e64 s8, 1, v9
	v_cndmask_b32_e64 v3, v3, v5, s9
	s_delay_alu instid0(VALU_DEP_4) | instskip(SKIP_1) | instid1(SALU_CYCLE_1)
	v_cmp_eq_u32_e64 s7, 1, v7
	s_or_b32 s7, s7, s8
	v_cndmask_b32_e64 v8, 0, 1, s7
	v_cndmask_b32_e64 v7, 0, 1, s7
.LBB1391_174:
	s_or_b32 exec_lo, exec_lo, s10
	v_mov_b32_dpp v4, v2 row_shr:8 row_mask:0xf bank_mask:0xf
	v_mov_b32_dpp v5, v3 row_shr:8 row_mask:0xf bank_mask:0xf
	s_delay_alu instid0(VALU_DEP_3)
	v_mov_b32_dpp v9, v7 row_shr:8 row_mask:0xf bank_mask:0xf
	s_mov_b32 s10, exec_lo
	v_cmpx_lt_u32_e32 7, v6
	s_cbranch_execz .LBB1391_176
; %bb.175:
	v_add_f64_e32 v[4:5], v[2:3], v[4:5]
	v_cmp_eq_u16_e64 s9, 0, v8
	v_and_b32_e32 v6, 1, v8
	s_delay_alu instid0(VALU_DEP_2) | instskip(NEXT) | instid1(VALU_DEP_1)
	v_dual_cndmask_b32 v2, v2, v4, s9 :: v_dual_bitop2_b32 v7, 1, v9 bitop3:0x40
	v_cmp_eq_u32_e64 s8, 1, v7
	v_cndmask_b32_e64 v3, v3, v5, s9
	s_delay_alu instid0(VALU_DEP_4) | instskip(SKIP_1) | instid1(SALU_CYCLE_1)
	v_cmp_eq_u32_e64 s7, 1, v6
	s_or_b32 s7, s7, s8
	v_cndmask_b32_e64 v8, 0, 1, s7
	v_cndmask_b32_e64 v7, 0, 1, s7
.LBB1391_176:
	s_or_b32 exec_lo, exec_lo, s10
	ds_swizzle_b32 v4, v2 offset:swizzle(BROADCAST,32,15)
	ds_swizzle_b32 v5, v3 offset:swizzle(BROADCAST,32,15)
	;; [unrolled: 1-line block ×3, first 2 shown]
	v_and_b32_e32 v7, 16, v46
	s_mov_b32 s10, exec_lo
	s_delay_alu instid0(VALU_DEP_1)
	v_cmpx_ne_u32_e32 0, v7
	s_cbranch_execz .LBB1391_178
; %bb.177:
	s_wait_dscnt 0x0
	v_dual_add_f64 v[4:5], v[2:3], v[4:5] :: v_dual_bitop2_b32 v6, 1, v6 bitop3:0x40
	v_cmp_eq_u16_e64 s7, 0, v8
	v_and_b32_e32 v7, 1, v8
	s_delay_alu instid0(VALU_DEP_3) | instskip(NEXT) | instid1(VALU_DEP_3)
	v_cmp_eq_u32_e64 s9, 1, v6
	v_cndmask_b32_e64 v3, v3, v5, s7
	s_delay_alu instid0(VALU_DEP_3) | instskip(SKIP_2) | instid1(SALU_CYCLE_1)
	v_cmp_eq_u32_e64 s8, 1, v7
	v_cndmask_b32_e64 v2, v2, v4, s7
	s_or_b32 s7, s8, s9
	v_cndmask_b32_e64 v8, 0, 1, s7
.LBB1391_178:
	s_or_b32 exec_lo, exec_lo, s10
	s_wait_dscnt 0x1
	v_dual_lshrrev_b32 v5, 5, v0 :: v_dual_bitop2_b32 v4, 31, v0 bitop3:0x54
	s_mov_b32 s8, exec_lo
	s_delay_alu instid0(VALU_DEP_1) | instskip(NEXT) | instid1(VALU_DEP_2)
	v_lshlrev_b32_e32 v9, 4, v5
	v_cmpx_eq_u32_e64 v0, v4
	s_cbranch_execz .LBB1391_180
; %bb.179:
	ds_store_b64 v9, v[2:3]
	ds_store_b8 v9, v8 offset:8
.LBB1391_180:
	s_or_b32 exec_lo, exec_lo, s8
	s_delay_alu instid0(SALU_CYCLE_1)
	s_mov_b32 s10, exec_lo
	s_wait_loadcnt_dscnt 0x0
	s_barrier_signal -1
	s_barrier_wait -1
	v_cmpx_gt_u32_e32 4, v0
	s_cbranch_execz .LBB1391_186
; %bb.181:
	v_dual_lshlrev_b32 v10, 4, v0 :: v_dual_bitop2_b32 v12, 3, v46 bitop3:0x40
	s_mov_b32 s8, exec_lo
	ds_load_b64 v[4:5], v10
	ds_load_b32 v11, v10 offset:8
	s_wait_dscnt 0x1
	v_mov_b32_dpp v6, v4 row_shr:1 row_mask:0xf bank_mask:0xf
	v_mov_b32_dpp v7, v5 row_shr:1 row_mask:0xf bank_mask:0xf
	s_wait_dscnt 0x0
	v_mov_b32_dpp v15, v11 row_shr:1 row_mask:0xf bank_mask:0xf
	v_dual_mov_b32 v14, v11 :: v_dual_mov_b32 v13, v11
	v_cmpx_ne_u32_e32 0, v12
	s_cbranch_execz .LBB1391_183
; %bb.182:
	v_add_f64_e32 v[6:7], v[4:5], v[6:7]
	v_and_b32_e32 v13, 0xff, v11
	s_delay_alu instid0(VALU_DEP_1) | instskip(SKIP_2) | instid1(VALU_DEP_1)
	v_cmp_eq_u16_e64 s7, 0, v13
	v_or_b32_e32 v14, v15, v11
	v_bitop3_b32 v13, v15, 1, v11 bitop3:0xc8
	v_and_or_b32 v11, 0xffffff00, v11, v13
	s_delay_alu instid0(VALU_DEP_4) | instskip(NEXT) | instid1(VALU_DEP_4)
	v_dual_cndmask_b32 v5, v5, v7, s7 :: v_dual_cndmask_b32 v4, v4, v6, s7
	v_and_b32_e32 v14, 1, v14
.LBB1391_183:
	s_or_b32 exec_lo, exec_lo, s8
	s_delay_alu instid0(VALU_DEP_2) | instskip(NEXT) | instid1(VALU_DEP_3)
	v_mov_b32_dpp v6, v4 row_shr:2 row_mask:0xf bank_mask:0xf
	v_mov_b32_dpp v7, v5 row_shr:2 row_mask:0xf bank_mask:0xf
	;; [unrolled: 1-line block ×3, first 2 shown]
	s_mov_b32 s11, exec_lo
	v_cmpx_lt_u32_e32 1, v12
	s_cbranch_execz .LBB1391_185
; %bb.184:
	v_add_f64_e32 v[6:7], v[4:5], v[6:7]
	v_and_b32_e32 v12, 0xff, v13
	v_and_b32_e32 v13, 1, v13
	s_delay_alu instid0(VALU_DEP_2) | instskip(SKIP_1) | instid1(VALU_DEP_3)
	v_cmp_eq_u16_e64 s7, 0, v12
	v_and_b32_e32 v11, 1, v11
	v_cmp_eq_u32_e64 s8, 1, v13
	s_delay_alu instid0(VALU_DEP_3) | instskip(NEXT) | instid1(VALU_DEP_3)
	v_cndmask_b32_e64 v4, v4, v6, s7
	v_cmp_eq_u32_e64 s9, 1, v11
	v_cndmask_b32_e64 v5, v5, v7, s7
	s_or_b32 s7, s8, s9
	s_delay_alu instid0(SALU_CYCLE_1)
	v_cndmask_b32_e64 v14, 0, 1, s7
.LBB1391_185:
	s_or_b32 exec_lo, exec_lo, s11
	ds_store_b64 v10, v[4:5]
	ds_store_b8 v10, v14 offset:8
.LBB1391_186:
	s_or_b32 exec_lo, exec_lo, s10
	v_mov_b64_e32 v[4:5], v[44:45]
	s_mov_b32 s8, exec_lo
	s_wait_dscnt 0x0
	s_barrier_signal -1
	s_barrier_wait -1
	v_cmpx_lt_u32_e32 31, v0
	s_cbranch_execz .LBB1391_188
; %bb.187:
	v_dual_add_nc_u32 v4, -16, v9 :: v_dual_add_nc_u32 v6, -8, v9
	ds_load_b64 v[4:5], v4
	ds_load_u8 v9, v6
	s_wait_dscnt 0x1
	v_add_f64_e32 v[6:7], v[44:45], v[4:5]
	s_wait_dscnt 0x0
	v_cmp_eq_u16_e64 s7, 0, v9
	s_delay_alu instid0(VALU_DEP_1)
	v_dual_cndmask_b32 v5, v5, v7, s7 :: v_dual_cndmask_b32 v4, v4, v6, s7
.LBB1391_188:
	s_or_b32 exec_lo, exec_lo, s8
	v_sub_co_u32 v9, s7, v46, 1
	v_and_b32_e32 v1, 0xff, v1
	s_delay_alu instid0(VALU_DEP_2) | instskip(NEXT) | instid1(VALU_DEP_1)
	v_cmp_gt_i32_e64 s8, 0, v9
	v_dual_add_f64 v[6:7], v[2:3], v[4:5] :: v_dual_cndmask_b32 v9, v9, v46, s8
	v_cmp_eq_u16_e64 s8, 0, v8
	s_delay_alu instid0(VALU_DEP_1)
	v_dual_lshlrev_b32 v8, 2, v9 :: v_dual_cndmask_b32 v3, v3, v7, s8
	ds_bpermute_b32 v3, v8, v3
	v_cndmask_b32_e64 v2, v2, v6, s8
	v_cmp_eq_u16_e64 s8, 0, v1
	s_wait_dscnt 0x0
	v_cndmask_b32_e64 v3, v3, v5, s7
	ds_bpermute_b32 v2, v8, v2
	s_wait_dscnt 0x0
	v_cndmask_b32_e64 v2, v2, v4, s7
	v_cmp_eq_u32_e64 s7, 0, v0
	s_delay_alu instid0(VALU_DEP_1) | instskip(NEXT) | instid1(VALU_DEP_1)
	v_dual_cndmask_b32 v5, v3, v45, s7 :: v_dual_cndmask_b32 v4, v2, v44, s7
	v_add_f64_e32 v[4:5], v[26:27], v[4:5]
	s_delay_alu instid0(VALU_DEP_1) | instskip(NEXT) | instid1(VALU_DEP_1)
	v_dual_cndmask_b32 v5, v27, v5, s8 :: v_dual_cndmask_b32 v4, v26, v4, s8
	v_add_f64_e32 v[6:7], v[40:41], v[4:5]
	s_delay_alu instid0(VALU_DEP_1) | instskip(NEXT) | instid1(VALU_DEP_1)
	v_dual_cndmask_b32 v7, v41, v7 :: v_dual_cndmask_b32 v6, v40, v6
	v_add_f64_e32 v[8:9], v[38:39], v[6:7]
	s_delay_alu instid0(VALU_DEP_1) | instskip(NEXT) | instid1(VALU_DEP_1)
	v_dual_cndmask_b32 v9, v39, v9, s0 :: v_dual_cndmask_b32 v8, v38, v8, s0
	v_add_f64_e32 v[10:11], v[36:37], v[8:9]
	s_delay_alu instid0(VALU_DEP_1) | instskip(NEXT) | instid1(VALU_DEP_1)
	v_dual_cndmask_b32 v11, v37, v11, s1 :: v_dual_cndmask_b32 v10, v36, v10, s1
	;; [unrolled: 3-line block ×6, first 2 shown]
	v_add_f64_e32 v[20:21], v[24:25], v[18:19]
	s_delay_alu instid0(VALU_DEP_1)
	v_dual_cndmask_b32 v21, v25, v21, s6 :: v_dual_cndmask_b32 v20, v24, v20, s6
	s_and_saveexec_b32 s0, s7
	s_cbranch_execz .LBB1391_190
; %bb.189:
	v_mov_b32_e32 v1, 0
	ds_load_b64 v[2:3], v1 offset:48
	ds_load_u8 v24, v1 offset:56
	s_wait_dscnt 0x1
	v_add_f64_e32 v[22:23], v[44:45], v[2:3]
	s_wait_dscnt 0x0
	v_and_b32_e32 v25, 0xffff, v24
	s_delay_alu instid0(VALU_DEP_1) | instskip(NEXT) | instid1(VALU_DEP_3)
	v_cmp_eq_u32_e32 vcc_lo, 0, v25
	v_dual_mov_b32 v25, 2 :: v_dual_cndmask_b32 v23, v3, v23, vcc_lo
	s_delay_alu instid0(VALU_DEP_4)
	v_cndmask_b32_e32 v22, v2, v22, vcc_lo
	v_mov_b64_e32 v[2:3], v[44:45]
	s_clause 0x1
	global_store_b64 v1, v[22:23], s[22:23] offset:512
	global_store_b8 v1, v24, s[22:23] offset:520
	global_wb scope:SCOPE_DEV
	s_wait_storecnt 0x0
	global_inv scope:SCOPE_DEV
	s_wait_xcnt 0x0
	global_store_b8 v1, v25, s[24:25] offset:32 scope:SCOPE_DEV
.LBB1391_190:
	s_wait_xcnt 0x0
	s_or_b32 exec_lo, exec_lo, s0
	s_add_nc_u64 s[0:1], s[18:19], s[34:35]
	s_and_b32 vcc_lo, exec_lo, s15
	s_add_nc_u64 s[0:1], s[0:1], s[16:17]
	s_cbranch_vccnz .LBB1391_130
.LBB1391_191:
	s_mov_b32 s2, 0
                                        ; implicit-def: $vgpr22_vgpr23
	s_cbranch_execz .LBB1391_193
; %bb.192:
	v_mul_u32_u24_e32 v1, 0x50, v0
	s_wait_dscnt 0x0
	v_mul_i32_i24_e32 v22, 0xffffffb8, v0
	s_wait_loadcnt 0x0
	s_wait_storecnt 0x0
	s_barrier_signal -1
	s_barrier_wait -1
	ds_store_b128 v1, v[2:5]
	ds_store_b128 v1, v[6:9] offset:16
	ds_store_b128 v1, v[10:13] offset:32
	;; [unrolled: 1-line block ×4, first 2 shown]
	v_mad_u32_u24 v1, 0x50, v0, v22
	s_wait_dscnt 0x0
	s_barrier_signal -1
	s_barrier_wait -1
	ds_load_2addr_stride64_b64 v[2:5], v1 offset1:2
	ds_load_2addr_stride64_b64 v[6:9], v1 offset0:4 offset1:6
	ds_load_2addr_stride64_b64 v[10:13], v1 offset0:8 offset1:10
	;; [unrolled: 1-line block ×4, first 2 shown]
	s_or_b32 s2, s2, exec_lo
	s_wait_dscnt 0x4
	s_clause 0x1
	flat_store_b64 v0, v[2:3], s[0:1] scale_offset
	flat_store_b64 v0, v[4:5], s[0:1] offset:1024 scale_offset
	s_wait_dscnt 0x5
	s_clause 0x1
	flat_store_b64 v0, v[6:7], s[0:1] offset:2048 scale_offset
	flat_store_b64 v0, v[8:9], s[0:1] offset:3072 scale_offset
	s_wait_dscnt 0x6
	s_clause 0x1
	flat_store_b64 v0, v[10:11], s[0:1] offset:4096 scale_offset
	;; [unrolled: 4-line block ×3, first 2 shown]
	flat_store_b64 v0, v[16:17], s[0:1] offset:7168 scale_offset
	s_wait_dscnt 0x8
	flat_store_b64 v0, v[20:21], s[0:1] offset:8192 scale_offset
.LBB1391_193:
	s_wait_xcnt 0x0
	s_delay_alu instid0(VALU_DEP_1)
	s_and_saveexec_b32 s3, s2
	s_cbranch_execz .LBB1391_195
; %bb.194:
	s_wait_dscnt 0x0
	flat_store_b64 v0, v[22:23], s[0:1] offset:9216 scale_offset
	s_sendmsg sendmsg(MSG_DEALLOC_VGPRS)
	s_endpgm
.LBB1391_195:
	s_sendmsg sendmsg(MSG_DEALLOC_VGPRS)
	s_endpgm
	.section	.rodata,"a",@progbits
	.p2align	6, 0x0
	.amdhsa_kernel _ZN7rocprim17ROCPRIM_400000_NS6detail17trampoline_kernelINS0_14default_configENS1_27scan_by_key_config_selectorIidEEZZNS1_16scan_by_key_implILNS1_25lookback_scan_determinismE0ELb1ES3_N6thrust23THRUST_200600_302600_NS6detail15normal_iteratorINS9_10device_ptrIiEEEENSB_INSC_IdEEEESG_dNS9_4plusIvEENS9_8equal_toIvEEdEE10hipError_tPvRmT2_T3_T4_T5_mT6_T7_P12ihipStream_tbENKUlT_T0_E_clISt17integral_constantIbLb0EES11_EEDaSW_SX_EUlSW_E_NS1_11comp_targetILNS1_3genE0ELNS1_11target_archE4294967295ELNS1_3gpuE0ELNS1_3repE0EEENS1_30default_config_static_selectorELNS0_4arch9wavefront6targetE0EEEvT1_
		.amdhsa_group_segment_fixed_size 10240
		.amdhsa_private_segment_fixed_size 0
		.amdhsa_kernarg_size 136
		.amdhsa_user_sgpr_count 2
		.amdhsa_user_sgpr_dispatch_ptr 0
		.amdhsa_user_sgpr_queue_ptr 0
		.amdhsa_user_sgpr_kernarg_segment_ptr 1
		.amdhsa_user_sgpr_dispatch_id 0
		.amdhsa_user_sgpr_kernarg_preload_length 0
		.amdhsa_user_sgpr_kernarg_preload_offset 0
		.amdhsa_user_sgpr_private_segment_size 0
		.amdhsa_wavefront_size32 1
		.amdhsa_uses_dynamic_stack 0
		.amdhsa_enable_private_segment 0
		.amdhsa_system_sgpr_workgroup_id_x 1
		.amdhsa_system_sgpr_workgroup_id_y 0
		.amdhsa_system_sgpr_workgroup_id_z 0
		.amdhsa_system_sgpr_workgroup_info 0
		.amdhsa_system_vgpr_workitem_id 0
		.amdhsa_next_free_vgpr 75
		.amdhsa_next_free_sgpr 49
		.amdhsa_named_barrier_count 0
		.amdhsa_reserve_vcc 1
		.amdhsa_float_round_mode_32 0
		.amdhsa_float_round_mode_16_64 0
		.amdhsa_float_denorm_mode_32 3
		.amdhsa_float_denorm_mode_16_64 3
		.amdhsa_fp16_overflow 0
		.amdhsa_memory_ordered 1
		.amdhsa_forward_progress 1
		.amdhsa_inst_pref_size 92
		.amdhsa_round_robin_scheduling 0
		.amdhsa_exception_fp_ieee_invalid_op 0
		.amdhsa_exception_fp_denorm_src 0
		.amdhsa_exception_fp_ieee_div_zero 0
		.amdhsa_exception_fp_ieee_overflow 0
		.amdhsa_exception_fp_ieee_underflow 0
		.amdhsa_exception_fp_ieee_inexact 0
		.amdhsa_exception_int_div_zero 0
	.end_amdhsa_kernel
	.section	.text._ZN7rocprim17ROCPRIM_400000_NS6detail17trampoline_kernelINS0_14default_configENS1_27scan_by_key_config_selectorIidEEZZNS1_16scan_by_key_implILNS1_25lookback_scan_determinismE0ELb1ES3_N6thrust23THRUST_200600_302600_NS6detail15normal_iteratorINS9_10device_ptrIiEEEENSB_INSC_IdEEEESG_dNS9_4plusIvEENS9_8equal_toIvEEdEE10hipError_tPvRmT2_T3_T4_T5_mT6_T7_P12ihipStream_tbENKUlT_T0_E_clISt17integral_constantIbLb0EES11_EEDaSW_SX_EUlSW_E_NS1_11comp_targetILNS1_3genE0ELNS1_11target_archE4294967295ELNS1_3gpuE0ELNS1_3repE0EEENS1_30default_config_static_selectorELNS0_4arch9wavefront6targetE0EEEvT1_,"axG",@progbits,_ZN7rocprim17ROCPRIM_400000_NS6detail17trampoline_kernelINS0_14default_configENS1_27scan_by_key_config_selectorIidEEZZNS1_16scan_by_key_implILNS1_25lookback_scan_determinismE0ELb1ES3_N6thrust23THRUST_200600_302600_NS6detail15normal_iteratorINS9_10device_ptrIiEEEENSB_INSC_IdEEEESG_dNS9_4plusIvEENS9_8equal_toIvEEdEE10hipError_tPvRmT2_T3_T4_T5_mT6_T7_P12ihipStream_tbENKUlT_T0_E_clISt17integral_constantIbLb0EES11_EEDaSW_SX_EUlSW_E_NS1_11comp_targetILNS1_3genE0ELNS1_11target_archE4294967295ELNS1_3gpuE0ELNS1_3repE0EEENS1_30default_config_static_selectorELNS0_4arch9wavefront6targetE0EEEvT1_,comdat
.Lfunc_end1391:
	.size	_ZN7rocprim17ROCPRIM_400000_NS6detail17trampoline_kernelINS0_14default_configENS1_27scan_by_key_config_selectorIidEEZZNS1_16scan_by_key_implILNS1_25lookback_scan_determinismE0ELb1ES3_N6thrust23THRUST_200600_302600_NS6detail15normal_iteratorINS9_10device_ptrIiEEEENSB_INSC_IdEEEESG_dNS9_4plusIvEENS9_8equal_toIvEEdEE10hipError_tPvRmT2_T3_T4_T5_mT6_T7_P12ihipStream_tbENKUlT_T0_E_clISt17integral_constantIbLb0EES11_EEDaSW_SX_EUlSW_E_NS1_11comp_targetILNS1_3genE0ELNS1_11target_archE4294967295ELNS1_3gpuE0ELNS1_3repE0EEENS1_30default_config_static_selectorELNS0_4arch9wavefront6targetE0EEEvT1_, .Lfunc_end1391-_ZN7rocprim17ROCPRIM_400000_NS6detail17trampoline_kernelINS0_14default_configENS1_27scan_by_key_config_selectorIidEEZZNS1_16scan_by_key_implILNS1_25lookback_scan_determinismE0ELb1ES3_N6thrust23THRUST_200600_302600_NS6detail15normal_iteratorINS9_10device_ptrIiEEEENSB_INSC_IdEEEESG_dNS9_4plusIvEENS9_8equal_toIvEEdEE10hipError_tPvRmT2_T3_T4_T5_mT6_T7_P12ihipStream_tbENKUlT_T0_E_clISt17integral_constantIbLb0EES11_EEDaSW_SX_EUlSW_E_NS1_11comp_targetILNS1_3genE0ELNS1_11target_archE4294967295ELNS1_3gpuE0ELNS1_3repE0EEENS1_30default_config_static_selectorELNS0_4arch9wavefront6targetE0EEEvT1_
                                        ; -- End function
	.set _ZN7rocprim17ROCPRIM_400000_NS6detail17trampoline_kernelINS0_14default_configENS1_27scan_by_key_config_selectorIidEEZZNS1_16scan_by_key_implILNS1_25lookback_scan_determinismE0ELb1ES3_N6thrust23THRUST_200600_302600_NS6detail15normal_iteratorINS9_10device_ptrIiEEEENSB_INSC_IdEEEESG_dNS9_4plusIvEENS9_8equal_toIvEEdEE10hipError_tPvRmT2_T3_T4_T5_mT6_T7_P12ihipStream_tbENKUlT_T0_E_clISt17integral_constantIbLb0EES11_EEDaSW_SX_EUlSW_E_NS1_11comp_targetILNS1_3genE0ELNS1_11target_archE4294967295ELNS1_3gpuE0ELNS1_3repE0EEENS1_30default_config_static_selectorELNS0_4arch9wavefront6targetE0EEEvT1_.num_vgpr, 75
	.set _ZN7rocprim17ROCPRIM_400000_NS6detail17trampoline_kernelINS0_14default_configENS1_27scan_by_key_config_selectorIidEEZZNS1_16scan_by_key_implILNS1_25lookback_scan_determinismE0ELb1ES3_N6thrust23THRUST_200600_302600_NS6detail15normal_iteratorINS9_10device_ptrIiEEEENSB_INSC_IdEEEESG_dNS9_4plusIvEENS9_8equal_toIvEEdEE10hipError_tPvRmT2_T3_T4_T5_mT6_T7_P12ihipStream_tbENKUlT_T0_E_clISt17integral_constantIbLb0EES11_EEDaSW_SX_EUlSW_E_NS1_11comp_targetILNS1_3genE0ELNS1_11target_archE4294967295ELNS1_3gpuE0ELNS1_3repE0EEENS1_30default_config_static_selectorELNS0_4arch9wavefront6targetE0EEEvT1_.num_agpr, 0
	.set _ZN7rocprim17ROCPRIM_400000_NS6detail17trampoline_kernelINS0_14default_configENS1_27scan_by_key_config_selectorIidEEZZNS1_16scan_by_key_implILNS1_25lookback_scan_determinismE0ELb1ES3_N6thrust23THRUST_200600_302600_NS6detail15normal_iteratorINS9_10device_ptrIiEEEENSB_INSC_IdEEEESG_dNS9_4plusIvEENS9_8equal_toIvEEdEE10hipError_tPvRmT2_T3_T4_T5_mT6_T7_P12ihipStream_tbENKUlT_T0_E_clISt17integral_constantIbLb0EES11_EEDaSW_SX_EUlSW_E_NS1_11comp_targetILNS1_3genE0ELNS1_11target_archE4294967295ELNS1_3gpuE0ELNS1_3repE0EEENS1_30default_config_static_selectorELNS0_4arch9wavefront6targetE0EEEvT1_.numbered_sgpr, 49
	.set _ZN7rocprim17ROCPRIM_400000_NS6detail17trampoline_kernelINS0_14default_configENS1_27scan_by_key_config_selectorIidEEZZNS1_16scan_by_key_implILNS1_25lookback_scan_determinismE0ELb1ES3_N6thrust23THRUST_200600_302600_NS6detail15normal_iteratorINS9_10device_ptrIiEEEENSB_INSC_IdEEEESG_dNS9_4plusIvEENS9_8equal_toIvEEdEE10hipError_tPvRmT2_T3_T4_T5_mT6_T7_P12ihipStream_tbENKUlT_T0_E_clISt17integral_constantIbLb0EES11_EEDaSW_SX_EUlSW_E_NS1_11comp_targetILNS1_3genE0ELNS1_11target_archE4294967295ELNS1_3gpuE0ELNS1_3repE0EEENS1_30default_config_static_selectorELNS0_4arch9wavefront6targetE0EEEvT1_.num_named_barrier, 0
	.set _ZN7rocprim17ROCPRIM_400000_NS6detail17trampoline_kernelINS0_14default_configENS1_27scan_by_key_config_selectorIidEEZZNS1_16scan_by_key_implILNS1_25lookback_scan_determinismE0ELb1ES3_N6thrust23THRUST_200600_302600_NS6detail15normal_iteratorINS9_10device_ptrIiEEEENSB_INSC_IdEEEESG_dNS9_4plusIvEENS9_8equal_toIvEEdEE10hipError_tPvRmT2_T3_T4_T5_mT6_T7_P12ihipStream_tbENKUlT_T0_E_clISt17integral_constantIbLb0EES11_EEDaSW_SX_EUlSW_E_NS1_11comp_targetILNS1_3genE0ELNS1_11target_archE4294967295ELNS1_3gpuE0ELNS1_3repE0EEENS1_30default_config_static_selectorELNS0_4arch9wavefront6targetE0EEEvT1_.private_seg_size, 0
	.set _ZN7rocprim17ROCPRIM_400000_NS6detail17trampoline_kernelINS0_14default_configENS1_27scan_by_key_config_selectorIidEEZZNS1_16scan_by_key_implILNS1_25lookback_scan_determinismE0ELb1ES3_N6thrust23THRUST_200600_302600_NS6detail15normal_iteratorINS9_10device_ptrIiEEEENSB_INSC_IdEEEESG_dNS9_4plusIvEENS9_8equal_toIvEEdEE10hipError_tPvRmT2_T3_T4_T5_mT6_T7_P12ihipStream_tbENKUlT_T0_E_clISt17integral_constantIbLb0EES11_EEDaSW_SX_EUlSW_E_NS1_11comp_targetILNS1_3genE0ELNS1_11target_archE4294967295ELNS1_3gpuE0ELNS1_3repE0EEENS1_30default_config_static_selectorELNS0_4arch9wavefront6targetE0EEEvT1_.uses_vcc, 1
	.set _ZN7rocprim17ROCPRIM_400000_NS6detail17trampoline_kernelINS0_14default_configENS1_27scan_by_key_config_selectorIidEEZZNS1_16scan_by_key_implILNS1_25lookback_scan_determinismE0ELb1ES3_N6thrust23THRUST_200600_302600_NS6detail15normal_iteratorINS9_10device_ptrIiEEEENSB_INSC_IdEEEESG_dNS9_4plusIvEENS9_8equal_toIvEEdEE10hipError_tPvRmT2_T3_T4_T5_mT6_T7_P12ihipStream_tbENKUlT_T0_E_clISt17integral_constantIbLb0EES11_EEDaSW_SX_EUlSW_E_NS1_11comp_targetILNS1_3genE0ELNS1_11target_archE4294967295ELNS1_3gpuE0ELNS1_3repE0EEENS1_30default_config_static_selectorELNS0_4arch9wavefront6targetE0EEEvT1_.uses_flat_scratch, 1
	.set _ZN7rocprim17ROCPRIM_400000_NS6detail17trampoline_kernelINS0_14default_configENS1_27scan_by_key_config_selectorIidEEZZNS1_16scan_by_key_implILNS1_25lookback_scan_determinismE0ELb1ES3_N6thrust23THRUST_200600_302600_NS6detail15normal_iteratorINS9_10device_ptrIiEEEENSB_INSC_IdEEEESG_dNS9_4plusIvEENS9_8equal_toIvEEdEE10hipError_tPvRmT2_T3_T4_T5_mT6_T7_P12ihipStream_tbENKUlT_T0_E_clISt17integral_constantIbLb0EES11_EEDaSW_SX_EUlSW_E_NS1_11comp_targetILNS1_3genE0ELNS1_11target_archE4294967295ELNS1_3gpuE0ELNS1_3repE0EEENS1_30default_config_static_selectorELNS0_4arch9wavefront6targetE0EEEvT1_.has_dyn_sized_stack, 0
	.set _ZN7rocprim17ROCPRIM_400000_NS6detail17trampoline_kernelINS0_14default_configENS1_27scan_by_key_config_selectorIidEEZZNS1_16scan_by_key_implILNS1_25lookback_scan_determinismE0ELb1ES3_N6thrust23THRUST_200600_302600_NS6detail15normal_iteratorINS9_10device_ptrIiEEEENSB_INSC_IdEEEESG_dNS9_4plusIvEENS9_8equal_toIvEEdEE10hipError_tPvRmT2_T3_T4_T5_mT6_T7_P12ihipStream_tbENKUlT_T0_E_clISt17integral_constantIbLb0EES11_EEDaSW_SX_EUlSW_E_NS1_11comp_targetILNS1_3genE0ELNS1_11target_archE4294967295ELNS1_3gpuE0ELNS1_3repE0EEENS1_30default_config_static_selectorELNS0_4arch9wavefront6targetE0EEEvT1_.has_recursion, 0
	.set _ZN7rocprim17ROCPRIM_400000_NS6detail17trampoline_kernelINS0_14default_configENS1_27scan_by_key_config_selectorIidEEZZNS1_16scan_by_key_implILNS1_25lookback_scan_determinismE0ELb1ES3_N6thrust23THRUST_200600_302600_NS6detail15normal_iteratorINS9_10device_ptrIiEEEENSB_INSC_IdEEEESG_dNS9_4plusIvEENS9_8equal_toIvEEdEE10hipError_tPvRmT2_T3_T4_T5_mT6_T7_P12ihipStream_tbENKUlT_T0_E_clISt17integral_constantIbLb0EES11_EEDaSW_SX_EUlSW_E_NS1_11comp_targetILNS1_3genE0ELNS1_11target_archE4294967295ELNS1_3gpuE0ELNS1_3repE0EEENS1_30default_config_static_selectorELNS0_4arch9wavefront6targetE0EEEvT1_.has_indirect_call, 0
	.section	.AMDGPU.csdata,"",@progbits
; Kernel info:
; codeLenInByte = 11664
; TotalNumSgprs: 51
; NumVgprs: 75
; ScratchSize: 0
; MemoryBound: 0
; FloatMode: 240
; IeeeMode: 1
; LDSByteSize: 10240 bytes/workgroup (compile time only)
; SGPRBlocks: 0
; VGPRBlocks: 4
; NumSGPRsForWavesPerEU: 51
; NumVGPRsForWavesPerEU: 75
; NamedBarCnt: 0
; Occupancy: 12
; WaveLimiterHint : 1
; COMPUTE_PGM_RSRC2:SCRATCH_EN: 0
; COMPUTE_PGM_RSRC2:USER_SGPR: 2
; COMPUTE_PGM_RSRC2:TRAP_HANDLER: 0
; COMPUTE_PGM_RSRC2:TGID_X_EN: 1
; COMPUTE_PGM_RSRC2:TGID_Y_EN: 0
; COMPUTE_PGM_RSRC2:TGID_Z_EN: 0
; COMPUTE_PGM_RSRC2:TIDIG_COMP_CNT: 0
	.section	.text._ZN7rocprim17ROCPRIM_400000_NS6detail17trampoline_kernelINS0_14default_configENS1_27scan_by_key_config_selectorIidEEZZNS1_16scan_by_key_implILNS1_25lookback_scan_determinismE0ELb1ES3_N6thrust23THRUST_200600_302600_NS6detail15normal_iteratorINS9_10device_ptrIiEEEENSB_INSC_IdEEEESG_dNS9_4plusIvEENS9_8equal_toIvEEdEE10hipError_tPvRmT2_T3_T4_T5_mT6_T7_P12ihipStream_tbENKUlT_T0_E_clISt17integral_constantIbLb0EES11_EEDaSW_SX_EUlSW_E_NS1_11comp_targetILNS1_3genE10ELNS1_11target_archE1201ELNS1_3gpuE5ELNS1_3repE0EEENS1_30default_config_static_selectorELNS0_4arch9wavefront6targetE0EEEvT1_,"axG",@progbits,_ZN7rocprim17ROCPRIM_400000_NS6detail17trampoline_kernelINS0_14default_configENS1_27scan_by_key_config_selectorIidEEZZNS1_16scan_by_key_implILNS1_25lookback_scan_determinismE0ELb1ES3_N6thrust23THRUST_200600_302600_NS6detail15normal_iteratorINS9_10device_ptrIiEEEENSB_INSC_IdEEEESG_dNS9_4plusIvEENS9_8equal_toIvEEdEE10hipError_tPvRmT2_T3_T4_T5_mT6_T7_P12ihipStream_tbENKUlT_T0_E_clISt17integral_constantIbLb0EES11_EEDaSW_SX_EUlSW_E_NS1_11comp_targetILNS1_3genE10ELNS1_11target_archE1201ELNS1_3gpuE5ELNS1_3repE0EEENS1_30default_config_static_selectorELNS0_4arch9wavefront6targetE0EEEvT1_,comdat
	.protected	_ZN7rocprim17ROCPRIM_400000_NS6detail17trampoline_kernelINS0_14default_configENS1_27scan_by_key_config_selectorIidEEZZNS1_16scan_by_key_implILNS1_25lookback_scan_determinismE0ELb1ES3_N6thrust23THRUST_200600_302600_NS6detail15normal_iteratorINS9_10device_ptrIiEEEENSB_INSC_IdEEEESG_dNS9_4plusIvEENS9_8equal_toIvEEdEE10hipError_tPvRmT2_T3_T4_T5_mT6_T7_P12ihipStream_tbENKUlT_T0_E_clISt17integral_constantIbLb0EES11_EEDaSW_SX_EUlSW_E_NS1_11comp_targetILNS1_3genE10ELNS1_11target_archE1201ELNS1_3gpuE5ELNS1_3repE0EEENS1_30default_config_static_selectorELNS0_4arch9wavefront6targetE0EEEvT1_ ; -- Begin function _ZN7rocprim17ROCPRIM_400000_NS6detail17trampoline_kernelINS0_14default_configENS1_27scan_by_key_config_selectorIidEEZZNS1_16scan_by_key_implILNS1_25lookback_scan_determinismE0ELb1ES3_N6thrust23THRUST_200600_302600_NS6detail15normal_iteratorINS9_10device_ptrIiEEEENSB_INSC_IdEEEESG_dNS9_4plusIvEENS9_8equal_toIvEEdEE10hipError_tPvRmT2_T3_T4_T5_mT6_T7_P12ihipStream_tbENKUlT_T0_E_clISt17integral_constantIbLb0EES11_EEDaSW_SX_EUlSW_E_NS1_11comp_targetILNS1_3genE10ELNS1_11target_archE1201ELNS1_3gpuE5ELNS1_3repE0EEENS1_30default_config_static_selectorELNS0_4arch9wavefront6targetE0EEEvT1_
	.globl	_ZN7rocprim17ROCPRIM_400000_NS6detail17trampoline_kernelINS0_14default_configENS1_27scan_by_key_config_selectorIidEEZZNS1_16scan_by_key_implILNS1_25lookback_scan_determinismE0ELb1ES3_N6thrust23THRUST_200600_302600_NS6detail15normal_iteratorINS9_10device_ptrIiEEEENSB_INSC_IdEEEESG_dNS9_4plusIvEENS9_8equal_toIvEEdEE10hipError_tPvRmT2_T3_T4_T5_mT6_T7_P12ihipStream_tbENKUlT_T0_E_clISt17integral_constantIbLb0EES11_EEDaSW_SX_EUlSW_E_NS1_11comp_targetILNS1_3genE10ELNS1_11target_archE1201ELNS1_3gpuE5ELNS1_3repE0EEENS1_30default_config_static_selectorELNS0_4arch9wavefront6targetE0EEEvT1_
	.p2align	8
	.type	_ZN7rocprim17ROCPRIM_400000_NS6detail17trampoline_kernelINS0_14default_configENS1_27scan_by_key_config_selectorIidEEZZNS1_16scan_by_key_implILNS1_25lookback_scan_determinismE0ELb1ES3_N6thrust23THRUST_200600_302600_NS6detail15normal_iteratorINS9_10device_ptrIiEEEENSB_INSC_IdEEEESG_dNS9_4plusIvEENS9_8equal_toIvEEdEE10hipError_tPvRmT2_T3_T4_T5_mT6_T7_P12ihipStream_tbENKUlT_T0_E_clISt17integral_constantIbLb0EES11_EEDaSW_SX_EUlSW_E_NS1_11comp_targetILNS1_3genE10ELNS1_11target_archE1201ELNS1_3gpuE5ELNS1_3repE0EEENS1_30default_config_static_selectorELNS0_4arch9wavefront6targetE0EEEvT1_,@function
_ZN7rocprim17ROCPRIM_400000_NS6detail17trampoline_kernelINS0_14default_configENS1_27scan_by_key_config_selectorIidEEZZNS1_16scan_by_key_implILNS1_25lookback_scan_determinismE0ELb1ES3_N6thrust23THRUST_200600_302600_NS6detail15normal_iteratorINS9_10device_ptrIiEEEENSB_INSC_IdEEEESG_dNS9_4plusIvEENS9_8equal_toIvEEdEE10hipError_tPvRmT2_T3_T4_T5_mT6_T7_P12ihipStream_tbENKUlT_T0_E_clISt17integral_constantIbLb0EES11_EEDaSW_SX_EUlSW_E_NS1_11comp_targetILNS1_3genE10ELNS1_11target_archE1201ELNS1_3gpuE5ELNS1_3repE0EEENS1_30default_config_static_selectorELNS0_4arch9wavefront6targetE0EEEvT1_: ; @_ZN7rocprim17ROCPRIM_400000_NS6detail17trampoline_kernelINS0_14default_configENS1_27scan_by_key_config_selectorIidEEZZNS1_16scan_by_key_implILNS1_25lookback_scan_determinismE0ELb1ES3_N6thrust23THRUST_200600_302600_NS6detail15normal_iteratorINS9_10device_ptrIiEEEENSB_INSC_IdEEEESG_dNS9_4plusIvEENS9_8equal_toIvEEdEE10hipError_tPvRmT2_T3_T4_T5_mT6_T7_P12ihipStream_tbENKUlT_T0_E_clISt17integral_constantIbLb0EES11_EEDaSW_SX_EUlSW_E_NS1_11comp_targetILNS1_3genE10ELNS1_11target_archE1201ELNS1_3gpuE5ELNS1_3repE0EEENS1_30default_config_static_selectorELNS0_4arch9wavefront6targetE0EEEvT1_
; %bb.0:
	.section	.rodata,"a",@progbits
	.p2align	6, 0x0
	.amdhsa_kernel _ZN7rocprim17ROCPRIM_400000_NS6detail17trampoline_kernelINS0_14default_configENS1_27scan_by_key_config_selectorIidEEZZNS1_16scan_by_key_implILNS1_25lookback_scan_determinismE0ELb1ES3_N6thrust23THRUST_200600_302600_NS6detail15normal_iteratorINS9_10device_ptrIiEEEENSB_INSC_IdEEEESG_dNS9_4plusIvEENS9_8equal_toIvEEdEE10hipError_tPvRmT2_T3_T4_T5_mT6_T7_P12ihipStream_tbENKUlT_T0_E_clISt17integral_constantIbLb0EES11_EEDaSW_SX_EUlSW_E_NS1_11comp_targetILNS1_3genE10ELNS1_11target_archE1201ELNS1_3gpuE5ELNS1_3repE0EEENS1_30default_config_static_selectorELNS0_4arch9wavefront6targetE0EEEvT1_
		.amdhsa_group_segment_fixed_size 0
		.amdhsa_private_segment_fixed_size 0
		.amdhsa_kernarg_size 136
		.amdhsa_user_sgpr_count 2
		.amdhsa_user_sgpr_dispatch_ptr 0
		.amdhsa_user_sgpr_queue_ptr 0
		.amdhsa_user_sgpr_kernarg_segment_ptr 1
		.amdhsa_user_sgpr_dispatch_id 0
		.amdhsa_user_sgpr_kernarg_preload_length 0
		.amdhsa_user_sgpr_kernarg_preload_offset 0
		.amdhsa_user_sgpr_private_segment_size 0
		.amdhsa_wavefront_size32 1
		.amdhsa_uses_dynamic_stack 0
		.amdhsa_enable_private_segment 0
		.amdhsa_system_sgpr_workgroup_id_x 1
		.amdhsa_system_sgpr_workgroup_id_y 0
		.amdhsa_system_sgpr_workgroup_id_z 0
		.amdhsa_system_sgpr_workgroup_info 0
		.amdhsa_system_vgpr_workitem_id 0
		.amdhsa_next_free_vgpr 1
		.amdhsa_next_free_sgpr 1
		.amdhsa_named_barrier_count 0
		.amdhsa_reserve_vcc 0
		.amdhsa_float_round_mode_32 0
		.amdhsa_float_round_mode_16_64 0
		.amdhsa_float_denorm_mode_32 3
		.amdhsa_float_denorm_mode_16_64 3
		.amdhsa_fp16_overflow 0
		.amdhsa_memory_ordered 1
		.amdhsa_forward_progress 1
		.amdhsa_inst_pref_size 0
		.amdhsa_round_robin_scheduling 0
		.amdhsa_exception_fp_ieee_invalid_op 0
		.amdhsa_exception_fp_denorm_src 0
		.amdhsa_exception_fp_ieee_div_zero 0
		.amdhsa_exception_fp_ieee_overflow 0
		.amdhsa_exception_fp_ieee_underflow 0
		.amdhsa_exception_fp_ieee_inexact 0
		.amdhsa_exception_int_div_zero 0
	.end_amdhsa_kernel
	.section	.text._ZN7rocprim17ROCPRIM_400000_NS6detail17trampoline_kernelINS0_14default_configENS1_27scan_by_key_config_selectorIidEEZZNS1_16scan_by_key_implILNS1_25lookback_scan_determinismE0ELb1ES3_N6thrust23THRUST_200600_302600_NS6detail15normal_iteratorINS9_10device_ptrIiEEEENSB_INSC_IdEEEESG_dNS9_4plusIvEENS9_8equal_toIvEEdEE10hipError_tPvRmT2_T3_T4_T5_mT6_T7_P12ihipStream_tbENKUlT_T0_E_clISt17integral_constantIbLb0EES11_EEDaSW_SX_EUlSW_E_NS1_11comp_targetILNS1_3genE10ELNS1_11target_archE1201ELNS1_3gpuE5ELNS1_3repE0EEENS1_30default_config_static_selectorELNS0_4arch9wavefront6targetE0EEEvT1_,"axG",@progbits,_ZN7rocprim17ROCPRIM_400000_NS6detail17trampoline_kernelINS0_14default_configENS1_27scan_by_key_config_selectorIidEEZZNS1_16scan_by_key_implILNS1_25lookback_scan_determinismE0ELb1ES3_N6thrust23THRUST_200600_302600_NS6detail15normal_iteratorINS9_10device_ptrIiEEEENSB_INSC_IdEEEESG_dNS9_4plusIvEENS9_8equal_toIvEEdEE10hipError_tPvRmT2_T3_T4_T5_mT6_T7_P12ihipStream_tbENKUlT_T0_E_clISt17integral_constantIbLb0EES11_EEDaSW_SX_EUlSW_E_NS1_11comp_targetILNS1_3genE10ELNS1_11target_archE1201ELNS1_3gpuE5ELNS1_3repE0EEENS1_30default_config_static_selectorELNS0_4arch9wavefront6targetE0EEEvT1_,comdat
.Lfunc_end1392:
	.size	_ZN7rocprim17ROCPRIM_400000_NS6detail17trampoline_kernelINS0_14default_configENS1_27scan_by_key_config_selectorIidEEZZNS1_16scan_by_key_implILNS1_25lookback_scan_determinismE0ELb1ES3_N6thrust23THRUST_200600_302600_NS6detail15normal_iteratorINS9_10device_ptrIiEEEENSB_INSC_IdEEEESG_dNS9_4plusIvEENS9_8equal_toIvEEdEE10hipError_tPvRmT2_T3_T4_T5_mT6_T7_P12ihipStream_tbENKUlT_T0_E_clISt17integral_constantIbLb0EES11_EEDaSW_SX_EUlSW_E_NS1_11comp_targetILNS1_3genE10ELNS1_11target_archE1201ELNS1_3gpuE5ELNS1_3repE0EEENS1_30default_config_static_selectorELNS0_4arch9wavefront6targetE0EEEvT1_, .Lfunc_end1392-_ZN7rocprim17ROCPRIM_400000_NS6detail17trampoline_kernelINS0_14default_configENS1_27scan_by_key_config_selectorIidEEZZNS1_16scan_by_key_implILNS1_25lookback_scan_determinismE0ELb1ES3_N6thrust23THRUST_200600_302600_NS6detail15normal_iteratorINS9_10device_ptrIiEEEENSB_INSC_IdEEEESG_dNS9_4plusIvEENS9_8equal_toIvEEdEE10hipError_tPvRmT2_T3_T4_T5_mT6_T7_P12ihipStream_tbENKUlT_T0_E_clISt17integral_constantIbLb0EES11_EEDaSW_SX_EUlSW_E_NS1_11comp_targetILNS1_3genE10ELNS1_11target_archE1201ELNS1_3gpuE5ELNS1_3repE0EEENS1_30default_config_static_selectorELNS0_4arch9wavefront6targetE0EEEvT1_
                                        ; -- End function
	.set _ZN7rocprim17ROCPRIM_400000_NS6detail17trampoline_kernelINS0_14default_configENS1_27scan_by_key_config_selectorIidEEZZNS1_16scan_by_key_implILNS1_25lookback_scan_determinismE0ELb1ES3_N6thrust23THRUST_200600_302600_NS6detail15normal_iteratorINS9_10device_ptrIiEEEENSB_INSC_IdEEEESG_dNS9_4plusIvEENS9_8equal_toIvEEdEE10hipError_tPvRmT2_T3_T4_T5_mT6_T7_P12ihipStream_tbENKUlT_T0_E_clISt17integral_constantIbLb0EES11_EEDaSW_SX_EUlSW_E_NS1_11comp_targetILNS1_3genE10ELNS1_11target_archE1201ELNS1_3gpuE5ELNS1_3repE0EEENS1_30default_config_static_selectorELNS0_4arch9wavefront6targetE0EEEvT1_.num_vgpr, 0
	.set _ZN7rocprim17ROCPRIM_400000_NS6detail17trampoline_kernelINS0_14default_configENS1_27scan_by_key_config_selectorIidEEZZNS1_16scan_by_key_implILNS1_25lookback_scan_determinismE0ELb1ES3_N6thrust23THRUST_200600_302600_NS6detail15normal_iteratorINS9_10device_ptrIiEEEENSB_INSC_IdEEEESG_dNS9_4plusIvEENS9_8equal_toIvEEdEE10hipError_tPvRmT2_T3_T4_T5_mT6_T7_P12ihipStream_tbENKUlT_T0_E_clISt17integral_constantIbLb0EES11_EEDaSW_SX_EUlSW_E_NS1_11comp_targetILNS1_3genE10ELNS1_11target_archE1201ELNS1_3gpuE5ELNS1_3repE0EEENS1_30default_config_static_selectorELNS0_4arch9wavefront6targetE0EEEvT1_.num_agpr, 0
	.set _ZN7rocprim17ROCPRIM_400000_NS6detail17trampoline_kernelINS0_14default_configENS1_27scan_by_key_config_selectorIidEEZZNS1_16scan_by_key_implILNS1_25lookback_scan_determinismE0ELb1ES3_N6thrust23THRUST_200600_302600_NS6detail15normal_iteratorINS9_10device_ptrIiEEEENSB_INSC_IdEEEESG_dNS9_4plusIvEENS9_8equal_toIvEEdEE10hipError_tPvRmT2_T3_T4_T5_mT6_T7_P12ihipStream_tbENKUlT_T0_E_clISt17integral_constantIbLb0EES11_EEDaSW_SX_EUlSW_E_NS1_11comp_targetILNS1_3genE10ELNS1_11target_archE1201ELNS1_3gpuE5ELNS1_3repE0EEENS1_30default_config_static_selectorELNS0_4arch9wavefront6targetE0EEEvT1_.numbered_sgpr, 0
	.set _ZN7rocprim17ROCPRIM_400000_NS6detail17trampoline_kernelINS0_14default_configENS1_27scan_by_key_config_selectorIidEEZZNS1_16scan_by_key_implILNS1_25lookback_scan_determinismE0ELb1ES3_N6thrust23THRUST_200600_302600_NS6detail15normal_iteratorINS9_10device_ptrIiEEEENSB_INSC_IdEEEESG_dNS9_4plusIvEENS9_8equal_toIvEEdEE10hipError_tPvRmT2_T3_T4_T5_mT6_T7_P12ihipStream_tbENKUlT_T0_E_clISt17integral_constantIbLb0EES11_EEDaSW_SX_EUlSW_E_NS1_11comp_targetILNS1_3genE10ELNS1_11target_archE1201ELNS1_3gpuE5ELNS1_3repE0EEENS1_30default_config_static_selectorELNS0_4arch9wavefront6targetE0EEEvT1_.num_named_barrier, 0
	.set _ZN7rocprim17ROCPRIM_400000_NS6detail17trampoline_kernelINS0_14default_configENS1_27scan_by_key_config_selectorIidEEZZNS1_16scan_by_key_implILNS1_25lookback_scan_determinismE0ELb1ES3_N6thrust23THRUST_200600_302600_NS6detail15normal_iteratorINS9_10device_ptrIiEEEENSB_INSC_IdEEEESG_dNS9_4plusIvEENS9_8equal_toIvEEdEE10hipError_tPvRmT2_T3_T4_T5_mT6_T7_P12ihipStream_tbENKUlT_T0_E_clISt17integral_constantIbLb0EES11_EEDaSW_SX_EUlSW_E_NS1_11comp_targetILNS1_3genE10ELNS1_11target_archE1201ELNS1_3gpuE5ELNS1_3repE0EEENS1_30default_config_static_selectorELNS0_4arch9wavefront6targetE0EEEvT1_.private_seg_size, 0
	.set _ZN7rocprim17ROCPRIM_400000_NS6detail17trampoline_kernelINS0_14default_configENS1_27scan_by_key_config_selectorIidEEZZNS1_16scan_by_key_implILNS1_25lookback_scan_determinismE0ELb1ES3_N6thrust23THRUST_200600_302600_NS6detail15normal_iteratorINS9_10device_ptrIiEEEENSB_INSC_IdEEEESG_dNS9_4plusIvEENS9_8equal_toIvEEdEE10hipError_tPvRmT2_T3_T4_T5_mT6_T7_P12ihipStream_tbENKUlT_T0_E_clISt17integral_constantIbLb0EES11_EEDaSW_SX_EUlSW_E_NS1_11comp_targetILNS1_3genE10ELNS1_11target_archE1201ELNS1_3gpuE5ELNS1_3repE0EEENS1_30default_config_static_selectorELNS0_4arch9wavefront6targetE0EEEvT1_.uses_vcc, 0
	.set _ZN7rocprim17ROCPRIM_400000_NS6detail17trampoline_kernelINS0_14default_configENS1_27scan_by_key_config_selectorIidEEZZNS1_16scan_by_key_implILNS1_25lookback_scan_determinismE0ELb1ES3_N6thrust23THRUST_200600_302600_NS6detail15normal_iteratorINS9_10device_ptrIiEEEENSB_INSC_IdEEEESG_dNS9_4plusIvEENS9_8equal_toIvEEdEE10hipError_tPvRmT2_T3_T4_T5_mT6_T7_P12ihipStream_tbENKUlT_T0_E_clISt17integral_constantIbLb0EES11_EEDaSW_SX_EUlSW_E_NS1_11comp_targetILNS1_3genE10ELNS1_11target_archE1201ELNS1_3gpuE5ELNS1_3repE0EEENS1_30default_config_static_selectorELNS0_4arch9wavefront6targetE0EEEvT1_.uses_flat_scratch, 0
	.set _ZN7rocprim17ROCPRIM_400000_NS6detail17trampoline_kernelINS0_14default_configENS1_27scan_by_key_config_selectorIidEEZZNS1_16scan_by_key_implILNS1_25lookback_scan_determinismE0ELb1ES3_N6thrust23THRUST_200600_302600_NS6detail15normal_iteratorINS9_10device_ptrIiEEEENSB_INSC_IdEEEESG_dNS9_4plusIvEENS9_8equal_toIvEEdEE10hipError_tPvRmT2_T3_T4_T5_mT6_T7_P12ihipStream_tbENKUlT_T0_E_clISt17integral_constantIbLb0EES11_EEDaSW_SX_EUlSW_E_NS1_11comp_targetILNS1_3genE10ELNS1_11target_archE1201ELNS1_3gpuE5ELNS1_3repE0EEENS1_30default_config_static_selectorELNS0_4arch9wavefront6targetE0EEEvT1_.has_dyn_sized_stack, 0
	.set _ZN7rocprim17ROCPRIM_400000_NS6detail17trampoline_kernelINS0_14default_configENS1_27scan_by_key_config_selectorIidEEZZNS1_16scan_by_key_implILNS1_25lookback_scan_determinismE0ELb1ES3_N6thrust23THRUST_200600_302600_NS6detail15normal_iteratorINS9_10device_ptrIiEEEENSB_INSC_IdEEEESG_dNS9_4plusIvEENS9_8equal_toIvEEdEE10hipError_tPvRmT2_T3_T4_T5_mT6_T7_P12ihipStream_tbENKUlT_T0_E_clISt17integral_constantIbLb0EES11_EEDaSW_SX_EUlSW_E_NS1_11comp_targetILNS1_3genE10ELNS1_11target_archE1201ELNS1_3gpuE5ELNS1_3repE0EEENS1_30default_config_static_selectorELNS0_4arch9wavefront6targetE0EEEvT1_.has_recursion, 0
	.set _ZN7rocprim17ROCPRIM_400000_NS6detail17trampoline_kernelINS0_14default_configENS1_27scan_by_key_config_selectorIidEEZZNS1_16scan_by_key_implILNS1_25lookback_scan_determinismE0ELb1ES3_N6thrust23THRUST_200600_302600_NS6detail15normal_iteratorINS9_10device_ptrIiEEEENSB_INSC_IdEEEESG_dNS9_4plusIvEENS9_8equal_toIvEEdEE10hipError_tPvRmT2_T3_T4_T5_mT6_T7_P12ihipStream_tbENKUlT_T0_E_clISt17integral_constantIbLb0EES11_EEDaSW_SX_EUlSW_E_NS1_11comp_targetILNS1_3genE10ELNS1_11target_archE1201ELNS1_3gpuE5ELNS1_3repE0EEENS1_30default_config_static_selectorELNS0_4arch9wavefront6targetE0EEEvT1_.has_indirect_call, 0
	.section	.AMDGPU.csdata,"",@progbits
; Kernel info:
; codeLenInByte = 0
; TotalNumSgprs: 0
; NumVgprs: 0
; ScratchSize: 0
; MemoryBound: 0
; FloatMode: 240
; IeeeMode: 1
; LDSByteSize: 0 bytes/workgroup (compile time only)
; SGPRBlocks: 0
; VGPRBlocks: 0
; NumSGPRsForWavesPerEU: 1
; NumVGPRsForWavesPerEU: 1
; NamedBarCnt: 0
; Occupancy: 16
; WaveLimiterHint : 0
; COMPUTE_PGM_RSRC2:SCRATCH_EN: 0
; COMPUTE_PGM_RSRC2:USER_SGPR: 2
; COMPUTE_PGM_RSRC2:TRAP_HANDLER: 0
; COMPUTE_PGM_RSRC2:TGID_X_EN: 1
; COMPUTE_PGM_RSRC2:TGID_Y_EN: 0
; COMPUTE_PGM_RSRC2:TGID_Z_EN: 0
; COMPUTE_PGM_RSRC2:TIDIG_COMP_CNT: 0
	.section	.text._ZN7rocprim17ROCPRIM_400000_NS6detail17trampoline_kernelINS0_14default_configENS1_27scan_by_key_config_selectorIidEEZZNS1_16scan_by_key_implILNS1_25lookback_scan_determinismE0ELb1ES3_N6thrust23THRUST_200600_302600_NS6detail15normal_iteratorINS9_10device_ptrIiEEEENSB_INSC_IdEEEESG_dNS9_4plusIvEENS9_8equal_toIvEEdEE10hipError_tPvRmT2_T3_T4_T5_mT6_T7_P12ihipStream_tbENKUlT_T0_E_clISt17integral_constantIbLb0EES11_EEDaSW_SX_EUlSW_E_NS1_11comp_targetILNS1_3genE5ELNS1_11target_archE942ELNS1_3gpuE9ELNS1_3repE0EEENS1_30default_config_static_selectorELNS0_4arch9wavefront6targetE0EEEvT1_,"axG",@progbits,_ZN7rocprim17ROCPRIM_400000_NS6detail17trampoline_kernelINS0_14default_configENS1_27scan_by_key_config_selectorIidEEZZNS1_16scan_by_key_implILNS1_25lookback_scan_determinismE0ELb1ES3_N6thrust23THRUST_200600_302600_NS6detail15normal_iteratorINS9_10device_ptrIiEEEENSB_INSC_IdEEEESG_dNS9_4plusIvEENS9_8equal_toIvEEdEE10hipError_tPvRmT2_T3_T4_T5_mT6_T7_P12ihipStream_tbENKUlT_T0_E_clISt17integral_constantIbLb0EES11_EEDaSW_SX_EUlSW_E_NS1_11comp_targetILNS1_3genE5ELNS1_11target_archE942ELNS1_3gpuE9ELNS1_3repE0EEENS1_30default_config_static_selectorELNS0_4arch9wavefront6targetE0EEEvT1_,comdat
	.protected	_ZN7rocprim17ROCPRIM_400000_NS6detail17trampoline_kernelINS0_14default_configENS1_27scan_by_key_config_selectorIidEEZZNS1_16scan_by_key_implILNS1_25lookback_scan_determinismE0ELb1ES3_N6thrust23THRUST_200600_302600_NS6detail15normal_iteratorINS9_10device_ptrIiEEEENSB_INSC_IdEEEESG_dNS9_4plusIvEENS9_8equal_toIvEEdEE10hipError_tPvRmT2_T3_T4_T5_mT6_T7_P12ihipStream_tbENKUlT_T0_E_clISt17integral_constantIbLb0EES11_EEDaSW_SX_EUlSW_E_NS1_11comp_targetILNS1_3genE5ELNS1_11target_archE942ELNS1_3gpuE9ELNS1_3repE0EEENS1_30default_config_static_selectorELNS0_4arch9wavefront6targetE0EEEvT1_ ; -- Begin function _ZN7rocprim17ROCPRIM_400000_NS6detail17trampoline_kernelINS0_14default_configENS1_27scan_by_key_config_selectorIidEEZZNS1_16scan_by_key_implILNS1_25lookback_scan_determinismE0ELb1ES3_N6thrust23THRUST_200600_302600_NS6detail15normal_iteratorINS9_10device_ptrIiEEEENSB_INSC_IdEEEESG_dNS9_4plusIvEENS9_8equal_toIvEEdEE10hipError_tPvRmT2_T3_T4_T5_mT6_T7_P12ihipStream_tbENKUlT_T0_E_clISt17integral_constantIbLb0EES11_EEDaSW_SX_EUlSW_E_NS1_11comp_targetILNS1_3genE5ELNS1_11target_archE942ELNS1_3gpuE9ELNS1_3repE0EEENS1_30default_config_static_selectorELNS0_4arch9wavefront6targetE0EEEvT1_
	.globl	_ZN7rocprim17ROCPRIM_400000_NS6detail17trampoline_kernelINS0_14default_configENS1_27scan_by_key_config_selectorIidEEZZNS1_16scan_by_key_implILNS1_25lookback_scan_determinismE0ELb1ES3_N6thrust23THRUST_200600_302600_NS6detail15normal_iteratorINS9_10device_ptrIiEEEENSB_INSC_IdEEEESG_dNS9_4plusIvEENS9_8equal_toIvEEdEE10hipError_tPvRmT2_T3_T4_T5_mT6_T7_P12ihipStream_tbENKUlT_T0_E_clISt17integral_constantIbLb0EES11_EEDaSW_SX_EUlSW_E_NS1_11comp_targetILNS1_3genE5ELNS1_11target_archE942ELNS1_3gpuE9ELNS1_3repE0EEENS1_30default_config_static_selectorELNS0_4arch9wavefront6targetE0EEEvT1_
	.p2align	8
	.type	_ZN7rocprim17ROCPRIM_400000_NS6detail17trampoline_kernelINS0_14default_configENS1_27scan_by_key_config_selectorIidEEZZNS1_16scan_by_key_implILNS1_25lookback_scan_determinismE0ELb1ES3_N6thrust23THRUST_200600_302600_NS6detail15normal_iteratorINS9_10device_ptrIiEEEENSB_INSC_IdEEEESG_dNS9_4plusIvEENS9_8equal_toIvEEdEE10hipError_tPvRmT2_T3_T4_T5_mT6_T7_P12ihipStream_tbENKUlT_T0_E_clISt17integral_constantIbLb0EES11_EEDaSW_SX_EUlSW_E_NS1_11comp_targetILNS1_3genE5ELNS1_11target_archE942ELNS1_3gpuE9ELNS1_3repE0EEENS1_30default_config_static_selectorELNS0_4arch9wavefront6targetE0EEEvT1_,@function
_ZN7rocprim17ROCPRIM_400000_NS6detail17trampoline_kernelINS0_14default_configENS1_27scan_by_key_config_selectorIidEEZZNS1_16scan_by_key_implILNS1_25lookback_scan_determinismE0ELb1ES3_N6thrust23THRUST_200600_302600_NS6detail15normal_iteratorINS9_10device_ptrIiEEEENSB_INSC_IdEEEESG_dNS9_4plusIvEENS9_8equal_toIvEEdEE10hipError_tPvRmT2_T3_T4_T5_mT6_T7_P12ihipStream_tbENKUlT_T0_E_clISt17integral_constantIbLb0EES11_EEDaSW_SX_EUlSW_E_NS1_11comp_targetILNS1_3genE5ELNS1_11target_archE942ELNS1_3gpuE9ELNS1_3repE0EEENS1_30default_config_static_selectorELNS0_4arch9wavefront6targetE0EEEvT1_: ; @_ZN7rocprim17ROCPRIM_400000_NS6detail17trampoline_kernelINS0_14default_configENS1_27scan_by_key_config_selectorIidEEZZNS1_16scan_by_key_implILNS1_25lookback_scan_determinismE0ELb1ES3_N6thrust23THRUST_200600_302600_NS6detail15normal_iteratorINS9_10device_ptrIiEEEENSB_INSC_IdEEEESG_dNS9_4plusIvEENS9_8equal_toIvEEdEE10hipError_tPvRmT2_T3_T4_T5_mT6_T7_P12ihipStream_tbENKUlT_T0_E_clISt17integral_constantIbLb0EES11_EEDaSW_SX_EUlSW_E_NS1_11comp_targetILNS1_3genE5ELNS1_11target_archE942ELNS1_3gpuE9ELNS1_3repE0EEENS1_30default_config_static_selectorELNS0_4arch9wavefront6targetE0EEEvT1_
; %bb.0:
	.section	.rodata,"a",@progbits
	.p2align	6, 0x0
	.amdhsa_kernel _ZN7rocprim17ROCPRIM_400000_NS6detail17trampoline_kernelINS0_14default_configENS1_27scan_by_key_config_selectorIidEEZZNS1_16scan_by_key_implILNS1_25lookback_scan_determinismE0ELb1ES3_N6thrust23THRUST_200600_302600_NS6detail15normal_iteratorINS9_10device_ptrIiEEEENSB_INSC_IdEEEESG_dNS9_4plusIvEENS9_8equal_toIvEEdEE10hipError_tPvRmT2_T3_T4_T5_mT6_T7_P12ihipStream_tbENKUlT_T0_E_clISt17integral_constantIbLb0EES11_EEDaSW_SX_EUlSW_E_NS1_11comp_targetILNS1_3genE5ELNS1_11target_archE942ELNS1_3gpuE9ELNS1_3repE0EEENS1_30default_config_static_selectorELNS0_4arch9wavefront6targetE0EEEvT1_
		.amdhsa_group_segment_fixed_size 0
		.amdhsa_private_segment_fixed_size 0
		.amdhsa_kernarg_size 136
		.amdhsa_user_sgpr_count 2
		.amdhsa_user_sgpr_dispatch_ptr 0
		.amdhsa_user_sgpr_queue_ptr 0
		.amdhsa_user_sgpr_kernarg_segment_ptr 1
		.amdhsa_user_sgpr_dispatch_id 0
		.amdhsa_user_sgpr_kernarg_preload_length 0
		.amdhsa_user_sgpr_kernarg_preload_offset 0
		.amdhsa_user_sgpr_private_segment_size 0
		.amdhsa_wavefront_size32 1
		.amdhsa_uses_dynamic_stack 0
		.amdhsa_enable_private_segment 0
		.amdhsa_system_sgpr_workgroup_id_x 1
		.amdhsa_system_sgpr_workgroup_id_y 0
		.amdhsa_system_sgpr_workgroup_id_z 0
		.amdhsa_system_sgpr_workgroup_info 0
		.amdhsa_system_vgpr_workitem_id 0
		.amdhsa_next_free_vgpr 1
		.amdhsa_next_free_sgpr 1
		.amdhsa_named_barrier_count 0
		.amdhsa_reserve_vcc 0
		.amdhsa_float_round_mode_32 0
		.amdhsa_float_round_mode_16_64 0
		.amdhsa_float_denorm_mode_32 3
		.amdhsa_float_denorm_mode_16_64 3
		.amdhsa_fp16_overflow 0
		.amdhsa_memory_ordered 1
		.amdhsa_forward_progress 1
		.amdhsa_inst_pref_size 0
		.amdhsa_round_robin_scheduling 0
		.amdhsa_exception_fp_ieee_invalid_op 0
		.amdhsa_exception_fp_denorm_src 0
		.amdhsa_exception_fp_ieee_div_zero 0
		.amdhsa_exception_fp_ieee_overflow 0
		.amdhsa_exception_fp_ieee_underflow 0
		.amdhsa_exception_fp_ieee_inexact 0
		.amdhsa_exception_int_div_zero 0
	.end_amdhsa_kernel
	.section	.text._ZN7rocprim17ROCPRIM_400000_NS6detail17trampoline_kernelINS0_14default_configENS1_27scan_by_key_config_selectorIidEEZZNS1_16scan_by_key_implILNS1_25lookback_scan_determinismE0ELb1ES3_N6thrust23THRUST_200600_302600_NS6detail15normal_iteratorINS9_10device_ptrIiEEEENSB_INSC_IdEEEESG_dNS9_4plusIvEENS9_8equal_toIvEEdEE10hipError_tPvRmT2_T3_T4_T5_mT6_T7_P12ihipStream_tbENKUlT_T0_E_clISt17integral_constantIbLb0EES11_EEDaSW_SX_EUlSW_E_NS1_11comp_targetILNS1_3genE5ELNS1_11target_archE942ELNS1_3gpuE9ELNS1_3repE0EEENS1_30default_config_static_selectorELNS0_4arch9wavefront6targetE0EEEvT1_,"axG",@progbits,_ZN7rocprim17ROCPRIM_400000_NS6detail17trampoline_kernelINS0_14default_configENS1_27scan_by_key_config_selectorIidEEZZNS1_16scan_by_key_implILNS1_25lookback_scan_determinismE0ELb1ES3_N6thrust23THRUST_200600_302600_NS6detail15normal_iteratorINS9_10device_ptrIiEEEENSB_INSC_IdEEEESG_dNS9_4plusIvEENS9_8equal_toIvEEdEE10hipError_tPvRmT2_T3_T4_T5_mT6_T7_P12ihipStream_tbENKUlT_T0_E_clISt17integral_constantIbLb0EES11_EEDaSW_SX_EUlSW_E_NS1_11comp_targetILNS1_3genE5ELNS1_11target_archE942ELNS1_3gpuE9ELNS1_3repE0EEENS1_30default_config_static_selectorELNS0_4arch9wavefront6targetE0EEEvT1_,comdat
.Lfunc_end1393:
	.size	_ZN7rocprim17ROCPRIM_400000_NS6detail17trampoline_kernelINS0_14default_configENS1_27scan_by_key_config_selectorIidEEZZNS1_16scan_by_key_implILNS1_25lookback_scan_determinismE0ELb1ES3_N6thrust23THRUST_200600_302600_NS6detail15normal_iteratorINS9_10device_ptrIiEEEENSB_INSC_IdEEEESG_dNS9_4plusIvEENS9_8equal_toIvEEdEE10hipError_tPvRmT2_T3_T4_T5_mT6_T7_P12ihipStream_tbENKUlT_T0_E_clISt17integral_constantIbLb0EES11_EEDaSW_SX_EUlSW_E_NS1_11comp_targetILNS1_3genE5ELNS1_11target_archE942ELNS1_3gpuE9ELNS1_3repE0EEENS1_30default_config_static_selectorELNS0_4arch9wavefront6targetE0EEEvT1_, .Lfunc_end1393-_ZN7rocprim17ROCPRIM_400000_NS6detail17trampoline_kernelINS0_14default_configENS1_27scan_by_key_config_selectorIidEEZZNS1_16scan_by_key_implILNS1_25lookback_scan_determinismE0ELb1ES3_N6thrust23THRUST_200600_302600_NS6detail15normal_iteratorINS9_10device_ptrIiEEEENSB_INSC_IdEEEESG_dNS9_4plusIvEENS9_8equal_toIvEEdEE10hipError_tPvRmT2_T3_T4_T5_mT6_T7_P12ihipStream_tbENKUlT_T0_E_clISt17integral_constantIbLb0EES11_EEDaSW_SX_EUlSW_E_NS1_11comp_targetILNS1_3genE5ELNS1_11target_archE942ELNS1_3gpuE9ELNS1_3repE0EEENS1_30default_config_static_selectorELNS0_4arch9wavefront6targetE0EEEvT1_
                                        ; -- End function
	.set _ZN7rocprim17ROCPRIM_400000_NS6detail17trampoline_kernelINS0_14default_configENS1_27scan_by_key_config_selectorIidEEZZNS1_16scan_by_key_implILNS1_25lookback_scan_determinismE0ELb1ES3_N6thrust23THRUST_200600_302600_NS6detail15normal_iteratorINS9_10device_ptrIiEEEENSB_INSC_IdEEEESG_dNS9_4plusIvEENS9_8equal_toIvEEdEE10hipError_tPvRmT2_T3_T4_T5_mT6_T7_P12ihipStream_tbENKUlT_T0_E_clISt17integral_constantIbLb0EES11_EEDaSW_SX_EUlSW_E_NS1_11comp_targetILNS1_3genE5ELNS1_11target_archE942ELNS1_3gpuE9ELNS1_3repE0EEENS1_30default_config_static_selectorELNS0_4arch9wavefront6targetE0EEEvT1_.num_vgpr, 0
	.set _ZN7rocprim17ROCPRIM_400000_NS6detail17trampoline_kernelINS0_14default_configENS1_27scan_by_key_config_selectorIidEEZZNS1_16scan_by_key_implILNS1_25lookback_scan_determinismE0ELb1ES3_N6thrust23THRUST_200600_302600_NS6detail15normal_iteratorINS9_10device_ptrIiEEEENSB_INSC_IdEEEESG_dNS9_4plusIvEENS9_8equal_toIvEEdEE10hipError_tPvRmT2_T3_T4_T5_mT6_T7_P12ihipStream_tbENKUlT_T0_E_clISt17integral_constantIbLb0EES11_EEDaSW_SX_EUlSW_E_NS1_11comp_targetILNS1_3genE5ELNS1_11target_archE942ELNS1_3gpuE9ELNS1_3repE0EEENS1_30default_config_static_selectorELNS0_4arch9wavefront6targetE0EEEvT1_.num_agpr, 0
	.set _ZN7rocprim17ROCPRIM_400000_NS6detail17trampoline_kernelINS0_14default_configENS1_27scan_by_key_config_selectorIidEEZZNS1_16scan_by_key_implILNS1_25lookback_scan_determinismE0ELb1ES3_N6thrust23THRUST_200600_302600_NS6detail15normal_iteratorINS9_10device_ptrIiEEEENSB_INSC_IdEEEESG_dNS9_4plusIvEENS9_8equal_toIvEEdEE10hipError_tPvRmT2_T3_T4_T5_mT6_T7_P12ihipStream_tbENKUlT_T0_E_clISt17integral_constantIbLb0EES11_EEDaSW_SX_EUlSW_E_NS1_11comp_targetILNS1_3genE5ELNS1_11target_archE942ELNS1_3gpuE9ELNS1_3repE0EEENS1_30default_config_static_selectorELNS0_4arch9wavefront6targetE0EEEvT1_.numbered_sgpr, 0
	.set _ZN7rocprim17ROCPRIM_400000_NS6detail17trampoline_kernelINS0_14default_configENS1_27scan_by_key_config_selectorIidEEZZNS1_16scan_by_key_implILNS1_25lookback_scan_determinismE0ELb1ES3_N6thrust23THRUST_200600_302600_NS6detail15normal_iteratorINS9_10device_ptrIiEEEENSB_INSC_IdEEEESG_dNS9_4plusIvEENS9_8equal_toIvEEdEE10hipError_tPvRmT2_T3_T4_T5_mT6_T7_P12ihipStream_tbENKUlT_T0_E_clISt17integral_constantIbLb0EES11_EEDaSW_SX_EUlSW_E_NS1_11comp_targetILNS1_3genE5ELNS1_11target_archE942ELNS1_3gpuE9ELNS1_3repE0EEENS1_30default_config_static_selectorELNS0_4arch9wavefront6targetE0EEEvT1_.num_named_barrier, 0
	.set _ZN7rocprim17ROCPRIM_400000_NS6detail17trampoline_kernelINS0_14default_configENS1_27scan_by_key_config_selectorIidEEZZNS1_16scan_by_key_implILNS1_25lookback_scan_determinismE0ELb1ES3_N6thrust23THRUST_200600_302600_NS6detail15normal_iteratorINS9_10device_ptrIiEEEENSB_INSC_IdEEEESG_dNS9_4plusIvEENS9_8equal_toIvEEdEE10hipError_tPvRmT2_T3_T4_T5_mT6_T7_P12ihipStream_tbENKUlT_T0_E_clISt17integral_constantIbLb0EES11_EEDaSW_SX_EUlSW_E_NS1_11comp_targetILNS1_3genE5ELNS1_11target_archE942ELNS1_3gpuE9ELNS1_3repE0EEENS1_30default_config_static_selectorELNS0_4arch9wavefront6targetE0EEEvT1_.private_seg_size, 0
	.set _ZN7rocprim17ROCPRIM_400000_NS6detail17trampoline_kernelINS0_14default_configENS1_27scan_by_key_config_selectorIidEEZZNS1_16scan_by_key_implILNS1_25lookback_scan_determinismE0ELb1ES3_N6thrust23THRUST_200600_302600_NS6detail15normal_iteratorINS9_10device_ptrIiEEEENSB_INSC_IdEEEESG_dNS9_4plusIvEENS9_8equal_toIvEEdEE10hipError_tPvRmT2_T3_T4_T5_mT6_T7_P12ihipStream_tbENKUlT_T0_E_clISt17integral_constantIbLb0EES11_EEDaSW_SX_EUlSW_E_NS1_11comp_targetILNS1_3genE5ELNS1_11target_archE942ELNS1_3gpuE9ELNS1_3repE0EEENS1_30default_config_static_selectorELNS0_4arch9wavefront6targetE0EEEvT1_.uses_vcc, 0
	.set _ZN7rocprim17ROCPRIM_400000_NS6detail17trampoline_kernelINS0_14default_configENS1_27scan_by_key_config_selectorIidEEZZNS1_16scan_by_key_implILNS1_25lookback_scan_determinismE0ELb1ES3_N6thrust23THRUST_200600_302600_NS6detail15normal_iteratorINS9_10device_ptrIiEEEENSB_INSC_IdEEEESG_dNS9_4plusIvEENS9_8equal_toIvEEdEE10hipError_tPvRmT2_T3_T4_T5_mT6_T7_P12ihipStream_tbENKUlT_T0_E_clISt17integral_constantIbLb0EES11_EEDaSW_SX_EUlSW_E_NS1_11comp_targetILNS1_3genE5ELNS1_11target_archE942ELNS1_3gpuE9ELNS1_3repE0EEENS1_30default_config_static_selectorELNS0_4arch9wavefront6targetE0EEEvT1_.uses_flat_scratch, 0
	.set _ZN7rocprim17ROCPRIM_400000_NS6detail17trampoline_kernelINS0_14default_configENS1_27scan_by_key_config_selectorIidEEZZNS1_16scan_by_key_implILNS1_25lookback_scan_determinismE0ELb1ES3_N6thrust23THRUST_200600_302600_NS6detail15normal_iteratorINS9_10device_ptrIiEEEENSB_INSC_IdEEEESG_dNS9_4plusIvEENS9_8equal_toIvEEdEE10hipError_tPvRmT2_T3_T4_T5_mT6_T7_P12ihipStream_tbENKUlT_T0_E_clISt17integral_constantIbLb0EES11_EEDaSW_SX_EUlSW_E_NS1_11comp_targetILNS1_3genE5ELNS1_11target_archE942ELNS1_3gpuE9ELNS1_3repE0EEENS1_30default_config_static_selectorELNS0_4arch9wavefront6targetE0EEEvT1_.has_dyn_sized_stack, 0
	.set _ZN7rocprim17ROCPRIM_400000_NS6detail17trampoline_kernelINS0_14default_configENS1_27scan_by_key_config_selectorIidEEZZNS1_16scan_by_key_implILNS1_25lookback_scan_determinismE0ELb1ES3_N6thrust23THRUST_200600_302600_NS6detail15normal_iteratorINS9_10device_ptrIiEEEENSB_INSC_IdEEEESG_dNS9_4plusIvEENS9_8equal_toIvEEdEE10hipError_tPvRmT2_T3_T4_T5_mT6_T7_P12ihipStream_tbENKUlT_T0_E_clISt17integral_constantIbLb0EES11_EEDaSW_SX_EUlSW_E_NS1_11comp_targetILNS1_3genE5ELNS1_11target_archE942ELNS1_3gpuE9ELNS1_3repE0EEENS1_30default_config_static_selectorELNS0_4arch9wavefront6targetE0EEEvT1_.has_recursion, 0
	.set _ZN7rocprim17ROCPRIM_400000_NS6detail17trampoline_kernelINS0_14default_configENS1_27scan_by_key_config_selectorIidEEZZNS1_16scan_by_key_implILNS1_25lookback_scan_determinismE0ELb1ES3_N6thrust23THRUST_200600_302600_NS6detail15normal_iteratorINS9_10device_ptrIiEEEENSB_INSC_IdEEEESG_dNS9_4plusIvEENS9_8equal_toIvEEdEE10hipError_tPvRmT2_T3_T4_T5_mT6_T7_P12ihipStream_tbENKUlT_T0_E_clISt17integral_constantIbLb0EES11_EEDaSW_SX_EUlSW_E_NS1_11comp_targetILNS1_3genE5ELNS1_11target_archE942ELNS1_3gpuE9ELNS1_3repE0EEENS1_30default_config_static_selectorELNS0_4arch9wavefront6targetE0EEEvT1_.has_indirect_call, 0
	.section	.AMDGPU.csdata,"",@progbits
; Kernel info:
; codeLenInByte = 0
; TotalNumSgprs: 0
; NumVgprs: 0
; ScratchSize: 0
; MemoryBound: 0
; FloatMode: 240
; IeeeMode: 1
; LDSByteSize: 0 bytes/workgroup (compile time only)
; SGPRBlocks: 0
; VGPRBlocks: 0
; NumSGPRsForWavesPerEU: 1
; NumVGPRsForWavesPerEU: 1
; NamedBarCnt: 0
; Occupancy: 16
; WaveLimiterHint : 0
; COMPUTE_PGM_RSRC2:SCRATCH_EN: 0
; COMPUTE_PGM_RSRC2:USER_SGPR: 2
; COMPUTE_PGM_RSRC2:TRAP_HANDLER: 0
; COMPUTE_PGM_RSRC2:TGID_X_EN: 1
; COMPUTE_PGM_RSRC2:TGID_Y_EN: 0
; COMPUTE_PGM_RSRC2:TGID_Z_EN: 0
; COMPUTE_PGM_RSRC2:TIDIG_COMP_CNT: 0
	.section	.text._ZN7rocprim17ROCPRIM_400000_NS6detail17trampoline_kernelINS0_14default_configENS1_27scan_by_key_config_selectorIidEEZZNS1_16scan_by_key_implILNS1_25lookback_scan_determinismE0ELb1ES3_N6thrust23THRUST_200600_302600_NS6detail15normal_iteratorINS9_10device_ptrIiEEEENSB_INSC_IdEEEESG_dNS9_4plusIvEENS9_8equal_toIvEEdEE10hipError_tPvRmT2_T3_T4_T5_mT6_T7_P12ihipStream_tbENKUlT_T0_E_clISt17integral_constantIbLb0EES11_EEDaSW_SX_EUlSW_E_NS1_11comp_targetILNS1_3genE4ELNS1_11target_archE910ELNS1_3gpuE8ELNS1_3repE0EEENS1_30default_config_static_selectorELNS0_4arch9wavefront6targetE0EEEvT1_,"axG",@progbits,_ZN7rocprim17ROCPRIM_400000_NS6detail17trampoline_kernelINS0_14default_configENS1_27scan_by_key_config_selectorIidEEZZNS1_16scan_by_key_implILNS1_25lookback_scan_determinismE0ELb1ES3_N6thrust23THRUST_200600_302600_NS6detail15normal_iteratorINS9_10device_ptrIiEEEENSB_INSC_IdEEEESG_dNS9_4plusIvEENS9_8equal_toIvEEdEE10hipError_tPvRmT2_T3_T4_T5_mT6_T7_P12ihipStream_tbENKUlT_T0_E_clISt17integral_constantIbLb0EES11_EEDaSW_SX_EUlSW_E_NS1_11comp_targetILNS1_3genE4ELNS1_11target_archE910ELNS1_3gpuE8ELNS1_3repE0EEENS1_30default_config_static_selectorELNS0_4arch9wavefront6targetE0EEEvT1_,comdat
	.protected	_ZN7rocprim17ROCPRIM_400000_NS6detail17trampoline_kernelINS0_14default_configENS1_27scan_by_key_config_selectorIidEEZZNS1_16scan_by_key_implILNS1_25lookback_scan_determinismE0ELb1ES3_N6thrust23THRUST_200600_302600_NS6detail15normal_iteratorINS9_10device_ptrIiEEEENSB_INSC_IdEEEESG_dNS9_4plusIvEENS9_8equal_toIvEEdEE10hipError_tPvRmT2_T3_T4_T5_mT6_T7_P12ihipStream_tbENKUlT_T0_E_clISt17integral_constantIbLb0EES11_EEDaSW_SX_EUlSW_E_NS1_11comp_targetILNS1_3genE4ELNS1_11target_archE910ELNS1_3gpuE8ELNS1_3repE0EEENS1_30default_config_static_selectorELNS0_4arch9wavefront6targetE0EEEvT1_ ; -- Begin function _ZN7rocprim17ROCPRIM_400000_NS6detail17trampoline_kernelINS0_14default_configENS1_27scan_by_key_config_selectorIidEEZZNS1_16scan_by_key_implILNS1_25lookback_scan_determinismE0ELb1ES3_N6thrust23THRUST_200600_302600_NS6detail15normal_iteratorINS9_10device_ptrIiEEEENSB_INSC_IdEEEESG_dNS9_4plusIvEENS9_8equal_toIvEEdEE10hipError_tPvRmT2_T3_T4_T5_mT6_T7_P12ihipStream_tbENKUlT_T0_E_clISt17integral_constantIbLb0EES11_EEDaSW_SX_EUlSW_E_NS1_11comp_targetILNS1_3genE4ELNS1_11target_archE910ELNS1_3gpuE8ELNS1_3repE0EEENS1_30default_config_static_selectorELNS0_4arch9wavefront6targetE0EEEvT1_
	.globl	_ZN7rocprim17ROCPRIM_400000_NS6detail17trampoline_kernelINS0_14default_configENS1_27scan_by_key_config_selectorIidEEZZNS1_16scan_by_key_implILNS1_25lookback_scan_determinismE0ELb1ES3_N6thrust23THRUST_200600_302600_NS6detail15normal_iteratorINS9_10device_ptrIiEEEENSB_INSC_IdEEEESG_dNS9_4plusIvEENS9_8equal_toIvEEdEE10hipError_tPvRmT2_T3_T4_T5_mT6_T7_P12ihipStream_tbENKUlT_T0_E_clISt17integral_constantIbLb0EES11_EEDaSW_SX_EUlSW_E_NS1_11comp_targetILNS1_3genE4ELNS1_11target_archE910ELNS1_3gpuE8ELNS1_3repE0EEENS1_30default_config_static_selectorELNS0_4arch9wavefront6targetE0EEEvT1_
	.p2align	8
	.type	_ZN7rocprim17ROCPRIM_400000_NS6detail17trampoline_kernelINS0_14default_configENS1_27scan_by_key_config_selectorIidEEZZNS1_16scan_by_key_implILNS1_25lookback_scan_determinismE0ELb1ES3_N6thrust23THRUST_200600_302600_NS6detail15normal_iteratorINS9_10device_ptrIiEEEENSB_INSC_IdEEEESG_dNS9_4plusIvEENS9_8equal_toIvEEdEE10hipError_tPvRmT2_T3_T4_T5_mT6_T7_P12ihipStream_tbENKUlT_T0_E_clISt17integral_constantIbLb0EES11_EEDaSW_SX_EUlSW_E_NS1_11comp_targetILNS1_3genE4ELNS1_11target_archE910ELNS1_3gpuE8ELNS1_3repE0EEENS1_30default_config_static_selectorELNS0_4arch9wavefront6targetE0EEEvT1_,@function
_ZN7rocprim17ROCPRIM_400000_NS6detail17trampoline_kernelINS0_14default_configENS1_27scan_by_key_config_selectorIidEEZZNS1_16scan_by_key_implILNS1_25lookback_scan_determinismE0ELb1ES3_N6thrust23THRUST_200600_302600_NS6detail15normal_iteratorINS9_10device_ptrIiEEEENSB_INSC_IdEEEESG_dNS9_4plusIvEENS9_8equal_toIvEEdEE10hipError_tPvRmT2_T3_T4_T5_mT6_T7_P12ihipStream_tbENKUlT_T0_E_clISt17integral_constantIbLb0EES11_EEDaSW_SX_EUlSW_E_NS1_11comp_targetILNS1_3genE4ELNS1_11target_archE910ELNS1_3gpuE8ELNS1_3repE0EEENS1_30default_config_static_selectorELNS0_4arch9wavefront6targetE0EEEvT1_: ; @_ZN7rocprim17ROCPRIM_400000_NS6detail17trampoline_kernelINS0_14default_configENS1_27scan_by_key_config_selectorIidEEZZNS1_16scan_by_key_implILNS1_25lookback_scan_determinismE0ELb1ES3_N6thrust23THRUST_200600_302600_NS6detail15normal_iteratorINS9_10device_ptrIiEEEENSB_INSC_IdEEEESG_dNS9_4plusIvEENS9_8equal_toIvEEdEE10hipError_tPvRmT2_T3_T4_T5_mT6_T7_P12ihipStream_tbENKUlT_T0_E_clISt17integral_constantIbLb0EES11_EEDaSW_SX_EUlSW_E_NS1_11comp_targetILNS1_3genE4ELNS1_11target_archE910ELNS1_3gpuE8ELNS1_3repE0EEENS1_30default_config_static_selectorELNS0_4arch9wavefront6targetE0EEEvT1_
; %bb.0:
	.section	.rodata,"a",@progbits
	.p2align	6, 0x0
	.amdhsa_kernel _ZN7rocprim17ROCPRIM_400000_NS6detail17trampoline_kernelINS0_14default_configENS1_27scan_by_key_config_selectorIidEEZZNS1_16scan_by_key_implILNS1_25lookback_scan_determinismE0ELb1ES3_N6thrust23THRUST_200600_302600_NS6detail15normal_iteratorINS9_10device_ptrIiEEEENSB_INSC_IdEEEESG_dNS9_4plusIvEENS9_8equal_toIvEEdEE10hipError_tPvRmT2_T3_T4_T5_mT6_T7_P12ihipStream_tbENKUlT_T0_E_clISt17integral_constantIbLb0EES11_EEDaSW_SX_EUlSW_E_NS1_11comp_targetILNS1_3genE4ELNS1_11target_archE910ELNS1_3gpuE8ELNS1_3repE0EEENS1_30default_config_static_selectorELNS0_4arch9wavefront6targetE0EEEvT1_
		.amdhsa_group_segment_fixed_size 0
		.amdhsa_private_segment_fixed_size 0
		.amdhsa_kernarg_size 136
		.amdhsa_user_sgpr_count 2
		.amdhsa_user_sgpr_dispatch_ptr 0
		.amdhsa_user_sgpr_queue_ptr 0
		.amdhsa_user_sgpr_kernarg_segment_ptr 1
		.amdhsa_user_sgpr_dispatch_id 0
		.amdhsa_user_sgpr_kernarg_preload_length 0
		.amdhsa_user_sgpr_kernarg_preload_offset 0
		.amdhsa_user_sgpr_private_segment_size 0
		.amdhsa_wavefront_size32 1
		.amdhsa_uses_dynamic_stack 0
		.amdhsa_enable_private_segment 0
		.amdhsa_system_sgpr_workgroup_id_x 1
		.amdhsa_system_sgpr_workgroup_id_y 0
		.amdhsa_system_sgpr_workgroup_id_z 0
		.amdhsa_system_sgpr_workgroup_info 0
		.amdhsa_system_vgpr_workitem_id 0
		.amdhsa_next_free_vgpr 1
		.amdhsa_next_free_sgpr 1
		.amdhsa_named_barrier_count 0
		.amdhsa_reserve_vcc 0
		.amdhsa_float_round_mode_32 0
		.amdhsa_float_round_mode_16_64 0
		.amdhsa_float_denorm_mode_32 3
		.amdhsa_float_denorm_mode_16_64 3
		.amdhsa_fp16_overflow 0
		.amdhsa_memory_ordered 1
		.amdhsa_forward_progress 1
		.amdhsa_inst_pref_size 0
		.amdhsa_round_robin_scheduling 0
		.amdhsa_exception_fp_ieee_invalid_op 0
		.amdhsa_exception_fp_denorm_src 0
		.amdhsa_exception_fp_ieee_div_zero 0
		.amdhsa_exception_fp_ieee_overflow 0
		.amdhsa_exception_fp_ieee_underflow 0
		.amdhsa_exception_fp_ieee_inexact 0
		.amdhsa_exception_int_div_zero 0
	.end_amdhsa_kernel
	.section	.text._ZN7rocprim17ROCPRIM_400000_NS6detail17trampoline_kernelINS0_14default_configENS1_27scan_by_key_config_selectorIidEEZZNS1_16scan_by_key_implILNS1_25lookback_scan_determinismE0ELb1ES3_N6thrust23THRUST_200600_302600_NS6detail15normal_iteratorINS9_10device_ptrIiEEEENSB_INSC_IdEEEESG_dNS9_4plusIvEENS9_8equal_toIvEEdEE10hipError_tPvRmT2_T3_T4_T5_mT6_T7_P12ihipStream_tbENKUlT_T0_E_clISt17integral_constantIbLb0EES11_EEDaSW_SX_EUlSW_E_NS1_11comp_targetILNS1_3genE4ELNS1_11target_archE910ELNS1_3gpuE8ELNS1_3repE0EEENS1_30default_config_static_selectorELNS0_4arch9wavefront6targetE0EEEvT1_,"axG",@progbits,_ZN7rocprim17ROCPRIM_400000_NS6detail17trampoline_kernelINS0_14default_configENS1_27scan_by_key_config_selectorIidEEZZNS1_16scan_by_key_implILNS1_25lookback_scan_determinismE0ELb1ES3_N6thrust23THRUST_200600_302600_NS6detail15normal_iteratorINS9_10device_ptrIiEEEENSB_INSC_IdEEEESG_dNS9_4plusIvEENS9_8equal_toIvEEdEE10hipError_tPvRmT2_T3_T4_T5_mT6_T7_P12ihipStream_tbENKUlT_T0_E_clISt17integral_constantIbLb0EES11_EEDaSW_SX_EUlSW_E_NS1_11comp_targetILNS1_3genE4ELNS1_11target_archE910ELNS1_3gpuE8ELNS1_3repE0EEENS1_30default_config_static_selectorELNS0_4arch9wavefront6targetE0EEEvT1_,comdat
.Lfunc_end1394:
	.size	_ZN7rocprim17ROCPRIM_400000_NS6detail17trampoline_kernelINS0_14default_configENS1_27scan_by_key_config_selectorIidEEZZNS1_16scan_by_key_implILNS1_25lookback_scan_determinismE0ELb1ES3_N6thrust23THRUST_200600_302600_NS6detail15normal_iteratorINS9_10device_ptrIiEEEENSB_INSC_IdEEEESG_dNS9_4plusIvEENS9_8equal_toIvEEdEE10hipError_tPvRmT2_T3_T4_T5_mT6_T7_P12ihipStream_tbENKUlT_T0_E_clISt17integral_constantIbLb0EES11_EEDaSW_SX_EUlSW_E_NS1_11comp_targetILNS1_3genE4ELNS1_11target_archE910ELNS1_3gpuE8ELNS1_3repE0EEENS1_30default_config_static_selectorELNS0_4arch9wavefront6targetE0EEEvT1_, .Lfunc_end1394-_ZN7rocprim17ROCPRIM_400000_NS6detail17trampoline_kernelINS0_14default_configENS1_27scan_by_key_config_selectorIidEEZZNS1_16scan_by_key_implILNS1_25lookback_scan_determinismE0ELb1ES3_N6thrust23THRUST_200600_302600_NS6detail15normal_iteratorINS9_10device_ptrIiEEEENSB_INSC_IdEEEESG_dNS9_4plusIvEENS9_8equal_toIvEEdEE10hipError_tPvRmT2_T3_T4_T5_mT6_T7_P12ihipStream_tbENKUlT_T0_E_clISt17integral_constantIbLb0EES11_EEDaSW_SX_EUlSW_E_NS1_11comp_targetILNS1_3genE4ELNS1_11target_archE910ELNS1_3gpuE8ELNS1_3repE0EEENS1_30default_config_static_selectorELNS0_4arch9wavefront6targetE0EEEvT1_
                                        ; -- End function
	.set _ZN7rocprim17ROCPRIM_400000_NS6detail17trampoline_kernelINS0_14default_configENS1_27scan_by_key_config_selectorIidEEZZNS1_16scan_by_key_implILNS1_25lookback_scan_determinismE0ELb1ES3_N6thrust23THRUST_200600_302600_NS6detail15normal_iteratorINS9_10device_ptrIiEEEENSB_INSC_IdEEEESG_dNS9_4plusIvEENS9_8equal_toIvEEdEE10hipError_tPvRmT2_T3_T4_T5_mT6_T7_P12ihipStream_tbENKUlT_T0_E_clISt17integral_constantIbLb0EES11_EEDaSW_SX_EUlSW_E_NS1_11comp_targetILNS1_3genE4ELNS1_11target_archE910ELNS1_3gpuE8ELNS1_3repE0EEENS1_30default_config_static_selectorELNS0_4arch9wavefront6targetE0EEEvT1_.num_vgpr, 0
	.set _ZN7rocprim17ROCPRIM_400000_NS6detail17trampoline_kernelINS0_14default_configENS1_27scan_by_key_config_selectorIidEEZZNS1_16scan_by_key_implILNS1_25lookback_scan_determinismE0ELb1ES3_N6thrust23THRUST_200600_302600_NS6detail15normal_iteratorINS9_10device_ptrIiEEEENSB_INSC_IdEEEESG_dNS9_4plusIvEENS9_8equal_toIvEEdEE10hipError_tPvRmT2_T3_T4_T5_mT6_T7_P12ihipStream_tbENKUlT_T0_E_clISt17integral_constantIbLb0EES11_EEDaSW_SX_EUlSW_E_NS1_11comp_targetILNS1_3genE4ELNS1_11target_archE910ELNS1_3gpuE8ELNS1_3repE0EEENS1_30default_config_static_selectorELNS0_4arch9wavefront6targetE0EEEvT1_.num_agpr, 0
	.set _ZN7rocprim17ROCPRIM_400000_NS6detail17trampoline_kernelINS0_14default_configENS1_27scan_by_key_config_selectorIidEEZZNS1_16scan_by_key_implILNS1_25lookback_scan_determinismE0ELb1ES3_N6thrust23THRUST_200600_302600_NS6detail15normal_iteratorINS9_10device_ptrIiEEEENSB_INSC_IdEEEESG_dNS9_4plusIvEENS9_8equal_toIvEEdEE10hipError_tPvRmT2_T3_T4_T5_mT6_T7_P12ihipStream_tbENKUlT_T0_E_clISt17integral_constantIbLb0EES11_EEDaSW_SX_EUlSW_E_NS1_11comp_targetILNS1_3genE4ELNS1_11target_archE910ELNS1_3gpuE8ELNS1_3repE0EEENS1_30default_config_static_selectorELNS0_4arch9wavefront6targetE0EEEvT1_.numbered_sgpr, 0
	.set _ZN7rocprim17ROCPRIM_400000_NS6detail17trampoline_kernelINS0_14default_configENS1_27scan_by_key_config_selectorIidEEZZNS1_16scan_by_key_implILNS1_25lookback_scan_determinismE0ELb1ES3_N6thrust23THRUST_200600_302600_NS6detail15normal_iteratorINS9_10device_ptrIiEEEENSB_INSC_IdEEEESG_dNS9_4plusIvEENS9_8equal_toIvEEdEE10hipError_tPvRmT2_T3_T4_T5_mT6_T7_P12ihipStream_tbENKUlT_T0_E_clISt17integral_constantIbLb0EES11_EEDaSW_SX_EUlSW_E_NS1_11comp_targetILNS1_3genE4ELNS1_11target_archE910ELNS1_3gpuE8ELNS1_3repE0EEENS1_30default_config_static_selectorELNS0_4arch9wavefront6targetE0EEEvT1_.num_named_barrier, 0
	.set _ZN7rocprim17ROCPRIM_400000_NS6detail17trampoline_kernelINS0_14default_configENS1_27scan_by_key_config_selectorIidEEZZNS1_16scan_by_key_implILNS1_25lookback_scan_determinismE0ELb1ES3_N6thrust23THRUST_200600_302600_NS6detail15normal_iteratorINS9_10device_ptrIiEEEENSB_INSC_IdEEEESG_dNS9_4plusIvEENS9_8equal_toIvEEdEE10hipError_tPvRmT2_T3_T4_T5_mT6_T7_P12ihipStream_tbENKUlT_T0_E_clISt17integral_constantIbLb0EES11_EEDaSW_SX_EUlSW_E_NS1_11comp_targetILNS1_3genE4ELNS1_11target_archE910ELNS1_3gpuE8ELNS1_3repE0EEENS1_30default_config_static_selectorELNS0_4arch9wavefront6targetE0EEEvT1_.private_seg_size, 0
	.set _ZN7rocprim17ROCPRIM_400000_NS6detail17trampoline_kernelINS0_14default_configENS1_27scan_by_key_config_selectorIidEEZZNS1_16scan_by_key_implILNS1_25lookback_scan_determinismE0ELb1ES3_N6thrust23THRUST_200600_302600_NS6detail15normal_iteratorINS9_10device_ptrIiEEEENSB_INSC_IdEEEESG_dNS9_4plusIvEENS9_8equal_toIvEEdEE10hipError_tPvRmT2_T3_T4_T5_mT6_T7_P12ihipStream_tbENKUlT_T0_E_clISt17integral_constantIbLb0EES11_EEDaSW_SX_EUlSW_E_NS1_11comp_targetILNS1_3genE4ELNS1_11target_archE910ELNS1_3gpuE8ELNS1_3repE0EEENS1_30default_config_static_selectorELNS0_4arch9wavefront6targetE0EEEvT1_.uses_vcc, 0
	.set _ZN7rocprim17ROCPRIM_400000_NS6detail17trampoline_kernelINS0_14default_configENS1_27scan_by_key_config_selectorIidEEZZNS1_16scan_by_key_implILNS1_25lookback_scan_determinismE0ELb1ES3_N6thrust23THRUST_200600_302600_NS6detail15normal_iteratorINS9_10device_ptrIiEEEENSB_INSC_IdEEEESG_dNS9_4plusIvEENS9_8equal_toIvEEdEE10hipError_tPvRmT2_T3_T4_T5_mT6_T7_P12ihipStream_tbENKUlT_T0_E_clISt17integral_constantIbLb0EES11_EEDaSW_SX_EUlSW_E_NS1_11comp_targetILNS1_3genE4ELNS1_11target_archE910ELNS1_3gpuE8ELNS1_3repE0EEENS1_30default_config_static_selectorELNS0_4arch9wavefront6targetE0EEEvT1_.uses_flat_scratch, 0
	.set _ZN7rocprim17ROCPRIM_400000_NS6detail17trampoline_kernelINS0_14default_configENS1_27scan_by_key_config_selectorIidEEZZNS1_16scan_by_key_implILNS1_25lookback_scan_determinismE0ELb1ES3_N6thrust23THRUST_200600_302600_NS6detail15normal_iteratorINS9_10device_ptrIiEEEENSB_INSC_IdEEEESG_dNS9_4plusIvEENS9_8equal_toIvEEdEE10hipError_tPvRmT2_T3_T4_T5_mT6_T7_P12ihipStream_tbENKUlT_T0_E_clISt17integral_constantIbLb0EES11_EEDaSW_SX_EUlSW_E_NS1_11comp_targetILNS1_3genE4ELNS1_11target_archE910ELNS1_3gpuE8ELNS1_3repE0EEENS1_30default_config_static_selectorELNS0_4arch9wavefront6targetE0EEEvT1_.has_dyn_sized_stack, 0
	.set _ZN7rocprim17ROCPRIM_400000_NS6detail17trampoline_kernelINS0_14default_configENS1_27scan_by_key_config_selectorIidEEZZNS1_16scan_by_key_implILNS1_25lookback_scan_determinismE0ELb1ES3_N6thrust23THRUST_200600_302600_NS6detail15normal_iteratorINS9_10device_ptrIiEEEENSB_INSC_IdEEEESG_dNS9_4plusIvEENS9_8equal_toIvEEdEE10hipError_tPvRmT2_T3_T4_T5_mT6_T7_P12ihipStream_tbENKUlT_T0_E_clISt17integral_constantIbLb0EES11_EEDaSW_SX_EUlSW_E_NS1_11comp_targetILNS1_3genE4ELNS1_11target_archE910ELNS1_3gpuE8ELNS1_3repE0EEENS1_30default_config_static_selectorELNS0_4arch9wavefront6targetE0EEEvT1_.has_recursion, 0
	.set _ZN7rocprim17ROCPRIM_400000_NS6detail17trampoline_kernelINS0_14default_configENS1_27scan_by_key_config_selectorIidEEZZNS1_16scan_by_key_implILNS1_25lookback_scan_determinismE0ELb1ES3_N6thrust23THRUST_200600_302600_NS6detail15normal_iteratorINS9_10device_ptrIiEEEENSB_INSC_IdEEEESG_dNS9_4plusIvEENS9_8equal_toIvEEdEE10hipError_tPvRmT2_T3_T4_T5_mT6_T7_P12ihipStream_tbENKUlT_T0_E_clISt17integral_constantIbLb0EES11_EEDaSW_SX_EUlSW_E_NS1_11comp_targetILNS1_3genE4ELNS1_11target_archE910ELNS1_3gpuE8ELNS1_3repE0EEENS1_30default_config_static_selectorELNS0_4arch9wavefront6targetE0EEEvT1_.has_indirect_call, 0
	.section	.AMDGPU.csdata,"",@progbits
; Kernel info:
; codeLenInByte = 0
; TotalNumSgprs: 0
; NumVgprs: 0
; ScratchSize: 0
; MemoryBound: 0
; FloatMode: 240
; IeeeMode: 1
; LDSByteSize: 0 bytes/workgroup (compile time only)
; SGPRBlocks: 0
; VGPRBlocks: 0
; NumSGPRsForWavesPerEU: 1
; NumVGPRsForWavesPerEU: 1
; NamedBarCnt: 0
; Occupancy: 16
; WaveLimiterHint : 0
; COMPUTE_PGM_RSRC2:SCRATCH_EN: 0
; COMPUTE_PGM_RSRC2:USER_SGPR: 2
; COMPUTE_PGM_RSRC2:TRAP_HANDLER: 0
; COMPUTE_PGM_RSRC2:TGID_X_EN: 1
; COMPUTE_PGM_RSRC2:TGID_Y_EN: 0
; COMPUTE_PGM_RSRC2:TGID_Z_EN: 0
; COMPUTE_PGM_RSRC2:TIDIG_COMP_CNT: 0
	.section	.text._ZN7rocprim17ROCPRIM_400000_NS6detail17trampoline_kernelINS0_14default_configENS1_27scan_by_key_config_selectorIidEEZZNS1_16scan_by_key_implILNS1_25lookback_scan_determinismE0ELb1ES3_N6thrust23THRUST_200600_302600_NS6detail15normal_iteratorINS9_10device_ptrIiEEEENSB_INSC_IdEEEESG_dNS9_4plusIvEENS9_8equal_toIvEEdEE10hipError_tPvRmT2_T3_T4_T5_mT6_T7_P12ihipStream_tbENKUlT_T0_E_clISt17integral_constantIbLb0EES11_EEDaSW_SX_EUlSW_E_NS1_11comp_targetILNS1_3genE3ELNS1_11target_archE908ELNS1_3gpuE7ELNS1_3repE0EEENS1_30default_config_static_selectorELNS0_4arch9wavefront6targetE0EEEvT1_,"axG",@progbits,_ZN7rocprim17ROCPRIM_400000_NS6detail17trampoline_kernelINS0_14default_configENS1_27scan_by_key_config_selectorIidEEZZNS1_16scan_by_key_implILNS1_25lookback_scan_determinismE0ELb1ES3_N6thrust23THRUST_200600_302600_NS6detail15normal_iteratorINS9_10device_ptrIiEEEENSB_INSC_IdEEEESG_dNS9_4plusIvEENS9_8equal_toIvEEdEE10hipError_tPvRmT2_T3_T4_T5_mT6_T7_P12ihipStream_tbENKUlT_T0_E_clISt17integral_constantIbLb0EES11_EEDaSW_SX_EUlSW_E_NS1_11comp_targetILNS1_3genE3ELNS1_11target_archE908ELNS1_3gpuE7ELNS1_3repE0EEENS1_30default_config_static_selectorELNS0_4arch9wavefront6targetE0EEEvT1_,comdat
	.protected	_ZN7rocprim17ROCPRIM_400000_NS6detail17trampoline_kernelINS0_14default_configENS1_27scan_by_key_config_selectorIidEEZZNS1_16scan_by_key_implILNS1_25lookback_scan_determinismE0ELb1ES3_N6thrust23THRUST_200600_302600_NS6detail15normal_iteratorINS9_10device_ptrIiEEEENSB_INSC_IdEEEESG_dNS9_4plusIvEENS9_8equal_toIvEEdEE10hipError_tPvRmT2_T3_T4_T5_mT6_T7_P12ihipStream_tbENKUlT_T0_E_clISt17integral_constantIbLb0EES11_EEDaSW_SX_EUlSW_E_NS1_11comp_targetILNS1_3genE3ELNS1_11target_archE908ELNS1_3gpuE7ELNS1_3repE0EEENS1_30default_config_static_selectorELNS0_4arch9wavefront6targetE0EEEvT1_ ; -- Begin function _ZN7rocprim17ROCPRIM_400000_NS6detail17trampoline_kernelINS0_14default_configENS1_27scan_by_key_config_selectorIidEEZZNS1_16scan_by_key_implILNS1_25lookback_scan_determinismE0ELb1ES3_N6thrust23THRUST_200600_302600_NS6detail15normal_iteratorINS9_10device_ptrIiEEEENSB_INSC_IdEEEESG_dNS9_4plusIvEENS9_8equal_toIvEEdEE10hipError_tPvRmT2_T3_T4_T5_mT6_T7_P12ihipStream_tbENKUlT_T0_E_clISt17integral_constantIbLb0EES11_EEDaSW_SX_EUlSW_E_NS1_11comp_targetILNS1_3genE3ELNS1_11target_archE908ELNS1_3gpuE7ELNS1_3repE0EEENS1_30default_config_static_selectorELNS0_4arch9wavefront6targetE0EEEvT1_
	.globl	_ZN7rocprim17ROCPRIM_400000_NS6detail17trampoline_kernelINS0_14default_configENS1_27scan_by_key_config_selectorIidEEZZNS1_16scan_by_key_implILNS1_25lookback_scan_determinismE0ELb1ES3_N6thrust23THRUST_200600_302600_NS6detail15normal_iteratorINS9_10device_ptrIiEEEENSB_INSC_IdEEEESG_dNS9_4plusIvEENS9_8equal_toIvEEdEE10hipError_tPvRmT2_T3_T4_T5_mT6_T7_P12ihipStream_tbENKUlT_T0_E_clISt17integral_constantIbLb0EES11_EEDaSW_SX_EUlSW_E_NS1_11comp_targetILNS1_3genE3ELNS1_11target_archE908ELNS1_3gpuE7ELNS1_3repE0EEENS1_30default_config_static_selectorELNS0_4arch9wavefront6targetE0EEEvT1_
	.p2align	8
	.type	_ZN7rocprim17ROCPRIM_400000_NS6detail17trampoline_kernelINS0_14default_configENS1_27scan_by_key_config_selectorIidEEZZNS1_16scan_by_key_implILNS1_25lookback_scan_determinismE0ELb1ES3_N6thrust23THRUST_200600_302600_NS6detail15normal_iteratorINS9_10device_ptrIiEEEENSB_INSC_IdEEEESG_dNS9_4plusIvEENS9_8equal_toIvEEdEE10hipError_tPvRmT2_T3_T4_T5_mT6_T7_P12ihipStream_tbENKUlT_T0_E_clISt17integral_constantIbLb0EES11_EEDaSW_SX_EUlSW_E_NS1_11comp_targetILNS1_3genE3ELNS1_11target_archE908ELNS1_3gpuE7ELNS1_3repE0EEENS1_30default_config_static_selectorELNS0_4arch9wavefront6targetE0EEEvT1_,@function
_ZN7rocprim17ROCPRIM_400000_NS6detail17trampoline_kernelINS0_14default_configENS1_27scan_by_key_config_selectorIidEEZZNS1_16scan_by_key_implILNS1_25lookback_scan_determinismE0ELb1ES3_N6thrust23THRUST_200600_302600_NS6detail15normal_iteratorINS9_10device_ptrIiEEEENSB_INSC_IdEEEESG_dNS9_4plusIvEENS9_8equal_toIvEEdEE10hipError_tPvRmT2_T3_T4_T5_mT6_T7_P12ihipStream_tbENKUlT_T0_E_clISt17integral_constantIbLb0EES11_EEDaSW_SX_EUlSW_E_NS1_11comp_targetILNS1_3genE3ELNS1_11target_archE908ELNS1_3gpuE7ELNS1_3repE0EEENS1_30default_config_static_selectorELNS0_4arch9wavefront6targetE0EEEvT1_: ; @_ZN7rocprim17ROCPRIM_400000_NS6detail17trampoline_kernelINS0_14default_configENS1_27scan_by_key_config_selectorIidEEZZNS1_16scan_by_key_implILNS1_25lookback_scan_determinismE0ELb1ES3_N6thrust23THRUST_200600_302600_NS6detail15normal_iteratorINS9_10device_ptrIiEEEENSB_INSC_IdEEEESG_dNS9_4plusIvEENS9_8equal_toIvEEdEE10hipError_tPvRmT2_T3_T4_T5_mT6_T7_P12ihipStream_tbENKUlT_T0_E_clISt17integral_constantIbLb0EES11_EEDaSW_SX_EUlSW_E_NS1_11comp_targetILNS1_3genE3ELNS1_11target_archE908ELNS1_3gpuE7ELNS1_3repE0EEENS1_30default_config_static_selectorELNS0_4arch9wavefront6targetE0EEEvT1_
; %bb.0:
	.section	.rodata,"a",@progbits
	.p2align	6, 0x0
	.amdhsa_kernel _ZN7rocprim17ROCPRIM_400000_NS6detail17trampoline_kernelINS0_14default_configENS1_27scan_by_key_config_selectorIidEEZZNS1_16scan_by_key_implILNS1_25lookback_scan_determinismE0ELb1ES3_N6thrust23THRUST_200600_302600_NS6detail15normal_iteratorINS9_10device_ptrIiEEEENSB_INSC_IdEEEESG_dNS9_4plusIvEENS9_8equal_toIvEEdEE10hipError_tPvRmT2_T3_T4_T5_mT6_T7_P12ihipStream_tbENKUlT_T0_E_clISt17integral_constantIbLb0EES11_EEDaSW_SX_EUlSW_E_NS1_11comp_targetILNS1_3genE3ELNS1_11target_archE908ELNS1_3gpuE7ELNS1_3repE0EEENS1_30default_config_static_selectorELNS0_4arch9wavefront6targetE0EEEvT1_
		.amdhsa_group_segment_fixed_size 0
		.amdhsa_private_segment_fixed_size 0
		.amdhsa_kernarg_size 136
		.amdhsa_user_sgpr_count 2
		.amdhsa_user_sgpr_dispatch_ptr 0
		.amdhsa_user_sgpr_queue_ptr 0
		.amdhsa_user_sgpr_kernarg_segment_ptr 1
		.amdhsa_user_sgpr_dispatch_id 0
		.amdhsa_user_sgpr_kernarg_preload_length 0
		.amdhsa_user_sgpr_kernarg_preload_offset 0
		.amdhsa_user_sgpr_private_segment_size 0
		.amdhsa_wavefront_size32 1
		.amdhsa_uses_dynamic_stack 0
		.amdhsa_enable_private_segment 0
		.amdhsa_system_sgpr_workgroup_id_x 1
		.amdhsa_system_sgpr_workgroup_id_y 0
		.amdhsa_system_sgpr_workgroup_id_z 0
		.amdhsa_system_sgpr_workgroup_info 0
		.amdhsa_system_vgpr_workitem_id 0
		.amdhsa_next_free_vgpr 1
		.amdhsa_next_free_sgpr 1
		.amdhsa_named_barrier_count 0
		.amdhsa_reserve_vcc 0
		.amdhsa_float_round_mode_32 0
		.amdhsa_float_round_mode_16_64 0
		.amdhsa_float_denorm_mode_32 3
		.amdhsa_float_denorm_mode_16_64 3
		.amdhsa_fp16_overflow 0
		.amdhsa_memory_ordered 1
		.amdhsa_forward_progress 1
		.amdhsa_inst_pref_size 0
		.amdhsa_round_robin_scheduling 0
		.amdhsa_exception_fp_ieee_invalid_op 0
		.amdhsa_exception_fp_denorm_src 0
		.amdhsa_exception_fp_ieee_div_zero 0
		.amdhsa_exception_fp_ieee_overflow 0
		.amdhsa_exception_fp_ieee_underflow 0
		.amdhsa_exception_fp_ieee_inexact 0
		.amdhsa_exception_int_div_zero 0
	.end_amdhsa_kernel
	.section	.text._ZN7rocprim17ROCPRIM_400000_NS6detail17trampoline_kernelINS0_14default_configENS1_27scan_by_key_config_selectorIidEEZZNS1_16scan_by_key_implILNS1_25lookback_scan_determinismE0ELb1ES3_N6thrust23THRUST_200600_302600_NS6detail15normal_iteratorINS9_10device_ptrIiEEEENSB_INSC_IdEEEESG_dNS9_4plusIvEENS9_8equal_toIvEEdEE10hipError_tPvRmT2_T3_T4_T5_mT6_T7_P12ihipStream_tbENKUlT_T0_E_clISt17integral_constantIbLb0EES11_EEDaSW_SX_EUlSW_E_NS1_11comp_targetILNS1_3genE3ELNS1_11target_archE908ELNS1_3gpuE7ELNS1_3repE0EEENS1_30default_config_static_selectorELNS0_4arch9wavefront6targetE0EEEvT1_,"axG",@progbits,_ZN7rocprim17ROCPRIM_400000_NS6detail17trampoline_kernelINS0_14default_configENS1_27scan_by_key_config_selectorIidEEZZNS1_16scan_by_key_implILNS1_25lookback_scan_determinismE0ELb1ES3_N6thrust23THRUST_200600_302600_NS6detail15normal_iteratorINS9_10device_ptrIiEEEENSB_INSC_IdEEEESG_dNS9_4plusIvEENS9_8equal_toIvEEdEE10hipError_tPvRmT2_T3_T4_T5_mT6_T7_P12ihipStream_tbENKUlT_T0_E_clISt17integral_constantIbLb0EES11_EEDaSW_SX_EUlSW_E_NS1_11comp_targetILNS1_3genE3ELNS1_11target_archE908ELNS1_3gpuE7ELNS1_3repE0EEENS1_30default_config_static_selectorELNS0_4arch9wavefront6targetE0EEEvT1_,comdat
.Lfunc_end1395:
	.size	_ZN7rocprim17ROCPRIM_400000_NS6detail17trampoline_kernelINS0_14default_configENS1_27scan_by_key_config_selectorIidEEZZNS1_16scan_by_key_implILNS1_25lookback_scan_determinismE0ELb1ES3_N6thrust23THRUST_200600_302600_NS6detail15normal_iteratorINS9_10device_ptrIiEEEENSB_INSC_IdEEEESG_dNS9_4plusIvEENS9_8equal_toIvEEdEE10hipError_tPvRmT2_T3_T4_T5_mT6_T7_P12ihipStream_tbENKUlT_T0_E_clISt17integral_constantIbLb0EES11_EEDaSW_SX_EUlSW_E_NS1_11comp_targetILNS1_3genE3ELNS1_11target_archE908ELNS1_3gpuE7ELNS1_3repE0EEENS1_30default_config_static_selectorELNS0_4arch9wavefront6targetE0EEEvT1_, .Lfunc_end1395-_ZN7rocprim17ROCPRIM_400000_NS6detail17trampoline_kernelINS0_14default_configENS1_27scan_by_key_config_selectorIidEEZZNS1_16scan_by_key_implILNS1_25lookback_scan_determinismE0ELb1ES3_N6thrust23THRUST_200600_302600_NS6detail15normal_iteratorINS9_10device_ptrIiEEEENSB_INSC_IdEEEESG_dNS9_4plusIvEENS9_8equal_toIvEEdEE10hipError_tPvRmT2_T3_T4_T5_mT6_T7_P12ihipStream_tbENKUlT_T0_E_clISt17integral_constantIbLb0EES11_EEDaSW_SX_EUlSW_E_NS1_11comp_targetILNS1_3genE3ELNS1_11target_archE908ELNS1_3gpuE7ELNS1_3repE0EEENS1_30default_config_static_selectorELNS0_4arch9wavefront6targetE0EEEvT1_
                                        ; -- End function
	.set _ZN7rocprim17ROCPRIM_400000_NS6detail17trampoline_kernelINS0_14default_configENS1_27scan_by_key_config_selectorIidEEZZNS1_16scan_by_key_implILNS1_25lookback_scan_determinismE0ELb1ES3_N6thrust23THRUST_200600_302600_NS6detail15normal_iteratorINS9_10device_ptrIiEEEENSB_INSC_IdEEEESG_dNS9_4plusIvEENS9_8equal_toIvEEdEE10hipError_tPvRmT2_T3_T4_T5_mT6_T7_P12ihipStream_tbENKUlT_T0_E_clISt17integral_constantIbLb0EES11_EEDaSW_SX_EUlSW_E_NS1_11comp_targetILNS1_3genE3ELNS1_11target_archE908ELNS1_3gpuE7ELNS1_3repE0EEENS1_30default_config_static_selectorELNS0_4arch9wavefront6targetE0EEEvT1_.num_vgpr, 0
	.set _ZN7rocprim17ROCPRIM_400000_NS6detail17trampoline_kernelINS0_14default_configENS1_27scan_by_key_config_selectorIidEEZZNS1_16scan_by_key_implILNS1_25lookback_scan_determinismE0ELb1ES3_N6thrust23THRUST_200600_302600_NS6detail15normal_iteratorINS9_10device_ptrIiEEEENSB_INSC_IdEEEESG_dNS9_4plusIvEENS9_8equal_toIvEEdEE10hipError_tPvRmT2_T3_T4_T5_mT6_T7_P12ihipStream_tbENKUlT_T0_E_clISt17integral_constantIbLb0EES11_EEDaSW_SX_EUlSW_E_NS1_11comp_targetILNS1_3genE3ELNS1_11target_archE908ELNS1_3gpuE7ELNS1_3repE0EEENS1_30default_config_static_selectorELNS0_4arch9wavefront6targetE0EEEvT1_.num_agpr, 0
	.set _ZN7rocprim17ROCPRIM_400000_NS6detail17trampoline_kernelINS0_14default_configENS1_27scan_by_key_config_selectorIidEEZZNS1_16scan_by_key_implILNS1_25lookback_scan_determinismE0ELb1ES3_N6thrust23THRUST_200600_302600_NS6detail15normal_iteratorINS9_10device_ptrIiEEEENSB_INSC_IdEEEESG_dNS9_4plusIvEENS9_8equal_toIvEEdEE10hipError_tPvRmT2_T3_T4_T5_mT6_T7_P12ihipStream_tbENKUlT_T0_E_clISt17integral_constantIbLb0EES11_EEDaSW_SX_EUlSW_E_NS1_11comp_targetILNS1_3genE3ELNS1_11target_archE908ELNS1_3gpuE7ELNS1_3repE0EEENS1_30default_config_static_selectorELNS0_4arch9wavefront6targetE0EEEvT1_.numbered_sgpr, 0
	.set _ZN7rocprim17ROCPRIM_400000_NS6detail17trampoline_kernelINS0_14default_configENS1_27scan_by_key_config_selectorIidEEZZNS1_16scan_by_key_implILNS1_25lookback_scan_determinismE0ELb1ES3_N6thrust23THRUST_200600_302600_NS6detail15normal_iteratorINS9_10device_ptrIiEEEENSB_INSC_IdEEEESG_dNS9_4plusIvEENS9_8equal_toIvEEdEE10hipError_tPvRmT2_T3_T4_T5_mT6_T7_P12ihipStream_tbENKUlT_T0_E_clISt17integral_constantIbLb0EES11_EEDaSW_SX_EUlSW_E_NS1_11comp_targetILNS1_3genE3ELNS1_11target_archE908ELNS1_3gpuE7ELNS1_3repE0EEENS1_30default_config_static_selectorELNS0_4arch9wavefront6targetE0EEEvT1_.num_named_barrier, 0
	.set _ZN7rocprim17ROCPRIM_400000_NS6detail17trampoline_kernelINS0_14default_configENS1_27scan_by_key_config_selectorIidEEZZNS1_16scan_by_key_implILNS1_25lookback_scan_determinismE0ELb1ES3_N6thrust23THRUST_200600_302600_NS6detail15normal_iteratorINS9_10device_ptrIiEEEENSB_INSC_IdEEEESG_dNS9_4plusIvEENS9_8equal_toIvEEdEE10hipError_tPvRmT2_T3_T4_T5_mT6_T7_P12ihipStream_tbENKUlT_T0_E_clISt17integral_constantIbLb0EES11_EEDaSW_SX_EUlSW_E_NS1_11comp_targetILNS1_3genE3ELNS1_11target_archE908ELNS1_3gpuE7ELNS1_3repE0EEENS1_30default_config_static_selectorELNS0_4arch9wavefront6targetE0EEEvT1_.private_seg_size, 0
	.set _ZN7rocprim17ROCPRIM_400000_NS6detail17trampoline_kernelINS0_14default_configENS1_27scan_by_key_config_selectorIidEEZZNS1_16scan_by_key_implILNS1_25lookback_scan_determinismE0ELb1ES3_N6thrust23THRUST_200600_302600_NS6detail15normal_iteratorINS9_10device_ptrIiEEEENSB_INSC_IdEEEESG_dNS9_4plusIvEENS9_8equal_toIvEEdEE10hipError_tPvRmT2_T3_T4_T5_mT6_T7_P12ihipStream_tbENKUlT_T0_E_clISt17integral_constantIbLb0EES11_EEDaSW_SX_EUlSW_E_NS1_11comp_targetILNS1_3genE3ELNS1_11target_archE908ELNS1_3gpuE7ELNS1_3repE0EEENS1_30default_config_static_selectorELNS0_4arch9wavefront6targetE0EEEvT1_.uses_vcc, 0
	.set _ZN7rocprim17ROCPRIM_400000_NS6detail17trampoline_kernelINS0_14default_configENS1_27scan_by_key_config_selectorIidEEZZNS1_16scan_by_key_implILNS1_25lookback_scan_determinismE0ELb1ES3_N6thrust23THRUST_200600_302600_NS6detail15normal_iteratorINS9_10device_ptrIiEEEENSB_INSC_IdEEEESG_dNS9_4plusIvEENS9_8equal_toIvEEdEE10hipError_tPvRmT2_T3_T4_T5_mT6_T7_P12ihipStream_tbENKUlT_T0_E_clISt17integral_constantIbLb0EES11_EEDaSW_SX_EUlSW_E_NS1_11comp_targetILNS1_3genE3ELNS1_11target_archE908ELNS1_3gpuE7ELNS1_3repE0EEENS1_30default_config_static_selectorELNS0_4arch9wavefront6targetE0EEEvT1_.uses_flat_scratch, 0
	.set _ZN7rocprim17ROCPRIM_400000_NS6detail17trampoline_kernelINS0_14default_configENS1_27scan_by_key_config_selectorIidEEZZNS1_16scan_by_key_implILNS1_25lookback_scan_determinismE0ELb1ES3_N6thrust23THRUST_200600_302600_NS6detail15normal_iteratorINS9_10device_ptrIiEEEENSB_INSC_IdEEEESG_dNS9_4plusIvEENS9_8equal_toIvEEdEE10hipError_tPvRmT2_T3_T4_T5_mT6_T7_P12ihipStream_tbENKUlT_T0_E_clISt17integral_constantIbLb0EES11_EEDaSW_SX_EUlSW_E_NS1_11comp_targetILNS1_3genE3ELNS1_11target_archE908ELNS1_3gpuE7ELNS1_3repE0EEENS1_30default_config_static_selectorELNS0_4arch9wavefront6targetE0EEEvT1_.has_dyn_sized_stack, 0
	.set _ZN7rocprim17ROCPRIM_400000_NS6detail17trampoline_kernelINS0_14default_configENS1_27scan_by_key_config_selectorIidEEZZNS1_16scan_by_key_implILNS1_25lookback_scan_determinismE0ELb1ES3_N6thrust23THRUST_200600_302600_NS6detail15normal_iteratorINS9_10device_ptrIiEEEENSB_INSC_IdEEEESG_dNS9_4plusIvEENS9_8equal_toIvEEdEE10hipError_tPvRmT2_T3_T4_T5_mT6_T7_P12ihipStream_tbENKUlT_T0_E_clISt17integral_constantIbLb0EES11_EEDaSW_SX_EUlSW_E_NS1_11comp_targetILNS1_3genE3ELNS1_11target_archE908ELNS1_3gpuE7ELNS1_3repE0EEENS1_30default_config_static_selectorELNS0_4arch9wavefront6targetE0EEEvT1_.has_recursion, 0
	.set _ZN7rocprim17ROCPRIM_400000_NS6detail17trampoline_kernelINS0_14default_configENS1_27scan_by_key_config_selectorIidEEZZNS1_16scan_by_key_implILNS1_25lookback_scan_determinismE0ELb1ES3_N6thrust23THRUST_200600_302600_NS6detail15normal_iteratorINS9_10device_ptrIiEEEENSB_INSC_IdEEEESG_dNS9_4plusIvEENS9_8equal_toIvEEdEE10hipError_tPvRmT2_T3_T4_T5_mT6_T7_P12ihipStream_tbENKUlT_T0_E_clISt17integral_constantIbLb0EES11_EEDaSW_SX_EUlSW_E_NS1_11comp_targetILNS1_3genE3ELNS1_11target_archE908ELNS1_3gpuE7ELNS1_3repE0EEENS1_30default_config_static_selectorELNS0_4arch9wavefront6targetE0EEEvT1_.has_indirect_call, 0
	.section	.AMDGPU.csdata,"",@progbits
; Kernel info:
; codeLenInByte = 0
; TotalNumSgprs: 0
; NumVgprs: 0
; ScratchSize: 0
; MemoryBound: 0
; FloatMode: 240
; IeeeMode: 1
; LDSByteSize: 0 bytes/workgroup (compile time only)
; SGPRBlocks: 0
; VGPRBlocks: 0
; NumSGPRsForWavesPerEU: 1
; NumVGPRsForWavesPerEU: 1
; NamedBarCnt: 0
; Occupancy: 16
; WaveLimiterHint : 0
; COMPUTE_PGM_RSRC2:SCRATCH_EN: 0
; COMPUTE_PGM_RSRC2:USER_SGPR: 2
; COMPUTE_PGM_RSRC2:TRAP_HANDLER: 0
; COMPUTE_PGM_RSRC2:TGID_X_EN: 1
; COMPUTE_PGM_RSRC2:TGID_Y_EN: 0
; COMPUTE_PGM_RSRC2:TGID_Z_EN: 0
; COMPUTE_PGM_RSRC2:TIDIG_COMP_CNT: 0
	.section	.text._ZN7rocprim17ROCPRIM_400000_NS6detail17trampoline_kernelINS0_14default_configENS1_27scan_by_key_config_selectorIidEEZZNS1_16scan_by_key_implILNS1_25lookback_scan_determinismE0ELb1ES3_N6thrust23THRUST_200600_302600_NS6detail15normal_iteratorINS9_10device_ptrIiEEEENSB_INSC_IdEEEESG_dNS9_4plusIvEENS9_8equal_toIvEEdEE10hipError_tPvRmT2_T3_T4_T5_mT6_T7_P12ihipStream_tbENKUlT_T0_E_clISt17integral_constantIbLb0EES11_EEDaSW_SX_EUlSW_E_NS1_11comp_targetILNS1_3genE2ELNS1_11target_archE906ELNS1_3gpuE6ELNS1_3repE0EEENS1_30default_config_static_selectorELNS0_4arch9wavefront6targetE0EEEvT1_,"axG",@progbits,_ZN7rocprim17ROCPRIM_400000_NS6detail17trampoline_kernelINS0_14default_configENS1_27scan_by_key_config_selectorIidEEZZNS1_16scan_by_key_implILNS1_25lookback_scan_determinismE0ELb1ES3_N6thrust23THRUST_200600_302600_NS6detail15normal_iteratorINS9_10device_ptrIiEEEENSB_INSC_IdEEEESG_dNS9_4plusIvEENS9_8equal_toIvEEdEE10hipError_tPvRmT2_T3_T4_T5_mT6_T7_P12ihipStream_tbENKUlT_T0_E_clISt17integral_constantIbLb0EES11_EEDaSW_SX_EUlSW_E_NS1_11comp_targetILNS1_3genE2ELNS1_11target_archE906ELNS1_3gpuE6ELNS1_3repE0EEENS1_30default_config_static_selectorELNS0_4arch9wavefront6targetE0EEEvT1_,comdat
	.protected	_ZN7rocprim17ROCPRIM_400000_NS6detail17trampoline_kernelINS0_14default_configENS1_27scan_by_key_config_selectorIidEEZZNS1_16scan_by_key_implILNS1_25lookback_scan_determinismE0ELb1ES3_N6thrust23THRUST_200600_302600_NS6detail15normal_iteratorINS9_10device_ptrIiEEEENSB_INSC_IdEEEESG_dNS9_4plusIvEENS9_8equal_toIvEEdEE10hipError_tPvRmT2_T3_T4_T5_mT6_T7_P12ihipStream_tbENKUlT_T0_E_clISt17integral_constantIbLb0EES11_EEDaSW_SX_EUlSW_E_NS1_11comp_targetILNS1_3genE2ELNS1_11target_archE906ELNS1_3gpuE6ELNS1_3repE0EEENS1_30default_config_static_selectorELNS0_4arch9wavefront6targetE0EEEvT1_ ; -- Begin function _ZN7rocprim17ROCPRIM_400000_NS6detail17trampoline_kernelINS0_14default_configENS1_27scan_by_key_config_selectorIidEEZZNS1_16scan_by_key_implILNS1_25lookback_scan_determinismE0ELb1ES3_N6thrust23THRUST_200600_302600_NS6detail15normal_iteratorINS9_10device_ptrIiEEEENSB_INSC_IdEEEESG_dNS9_4plusIvEENS9_8equal_toIvEEdEE10hipError_tPvRmT2_T3_T4_T5_mT6_T7_P12ihipStream_tbENKUlT_T0_E_clISt17integral_constantIbLb0EES11_EEDaSW_SX_EUlSW_E_NS1_11comp_targetILNS1_3genE2ELNS1_11target_archE906ELNS1_3gpuE6ELNS1_3repE0EEENS1_30default_config_static_selectorELNS0_4arch9wavefront6targetE0EEEvT1_
	.globl	_ZN7rocprim17ROCPRIM_400000_NS6detail17trampoline_kernelINS0_14default_configENS1_27scan_by_key_config_selectorIidEEZZNS1_16scan_by_key_implILNS1_25lookback_scan_determinismE0ELb1ES3_N6thrust23THRUST_200600_302600_NS6detail15normal_iteratorINS9_10device_ptrIiEEEENSB_INSC_IdEEEESG_dNS9_4plusIvEENS9_8equal_toIvEEdEE10hipError_tPvRmT2_T3_T4_T5_mT6_T7_P12ihipStream_tbENKUlT_T0_E_clISt17integral_constantIbLb0EES11_EEDaSW_SX_EUlSW_E_NS1_11comp_targetILNS1_3genE2ELNS1_11target_archE906ELNS1_3gpuE6ELNS1_3repE0EEENS1_30default_config_static_selectorELNS0_4arch9wavefront6targetE0EEEvT1_
	.p2align	8
	.type	_ZN7rocprim17ROCPRIM_400000_NS6detail17trampoline_kernelINS0_14default_configENS1_27scan_by_key_config_selectorIidEEZZNS1_16scan_by_key_implILNS1_25lookback_scan_determinismE0ELb1ES3_N6thrust23THRUST_200600_302600_NS6detail15normal_iteratorINS9_10device_ptrIiEEEENSB_INSC_IdEEEESG_dNS9_4plusIvEENS9_8equal_toIvEEdEE10hipError_tPvRmT2_T3_T4_T5_mT6_T7_P12ihipStream_tbENKUlT_T0_E_clISt17integral_constantIbLb0EES11_EEDaSW_SX_EUlSW_E_NS1_11comp_targetILNS1_3genE2ELNS1_11target_archE906ELNS1_3gpuE6ELNS1_3repE0EEENS1_30default_config_static_selectorELNS0_4arch9wavefront6targetE0EEEvT1_,@function
_ZN7rocprim17ROCPRIM_400000_NS6detail17trampoline_kernelINS0_14default_configENS1_27scan_by_key_config_selectorIidEEZZNS1_16scan_by_key_implILNS1_25lookback_scan_determinismE0ELb1ES3_N6thrust23THRUST_200600_302600_NS6detail15normal_iteratorINS9_10device_ptrIiEEEENSB_INSC_IdEEEESG_dNS9_4plusIvEENS9_8equal_toIvEEdEE10hipError_tPvRmT2_T3_T4_T5_mT6_T7_P12ihipStream_tbENKUlT_T0_E_clISt17integral_constantIbLb0EES11_EEDaSW_SX_EUlSW_E_NS1_11comp_targetILNS1_3genE2ELNS1_11target_archE906ELNS1_3gpuE6ELNS1_3repE0EEENS1_30default_config_static_selectorELNS0_4arch9wavefront6targetE0EEEvT1_: ; @_ZN7rocprim17ROCPRIM_400000_NS6detail17trampoline_kernelINS0_14default_configENS1_27scan_by_key_config_selectorIidEEZZNS1_16scan_by_key_implILNS1_25lookback_scan_determinismE0ELb1ES3_N6thrust23THRUST_200600_302600_NS6detail15normal_iteratorINS9_10device_ptrIiEEEENSB_INSC_IdEEEESG_dNS9_4plusIvEENS9_8equal_toIvEEdEE10hipError_tPvRmT2_T3_T4_T5_mT6_T7_P12ihipStream_tbENKUlT_T0_E_clISt17integral_constantIbLb0EES11_EEDaSW_SX_EUlSW_E_NS1_11comp_targetILNS1_3genE2ELNS1_11target_archE906ELNS1_3gpuE6ELNS1_3repE0EEENS1_30default_config_static_selectorELNS0_4arch9wavefront6targetE0EEEvT1_
; %bb.0:
	.section	.rodata,"a",@progbits
	.p2align	6, 0x0
	.amdhsa_kernel _ZN7rocprim17ROCPRIM_400000_NS6detail17trampoline_kernelINS0_14default_configENS1_27scan_by_key_config_selectorIidEEZZNS1_16scan_by_key_implILNS1_25lookback_scan_determinismE0ELb1ES3_N6thrust23THRUST_200600_302600_NS6detail15normal_iteratorINS9_10device_ptrIiEEEENSB_INSC_IdEEEESG_dNS9_4plusIvEENS9_8equal_toIvEEdEE10hipError_tPvRmT2_T3_T4_T5_mT6_T7_P12ihipStream_tbENKUlT_T0_E_clISt17integral_constantIbLb0EES11_EEDaSW_SX_EUlSW_E_NS1_11comp_targetILNS1_3genE2ELNS1_11target_archE906ELNS1_3gpuE6ELNS1_3repE0EEENS1_30default_config_static_selectorELNS0_4arch9wavefront6targetE0EEEvT1_
		.amdhsa_group_segment_fixed_size 0
		.amdhsa_private_segment_fixed_size 0
		.amdhsa_kernarg_size 136
		.amdhsa_user_sgpr_count 2
		.amdhsa_user_sgpr_dispatch_ptr 0
		.amdhsa_user_sgpr_queue_ptr 0
		.amdhsa_user_sgpr_kernarg_segment_ptr 1
		.amdhsa_user_sgpr_dispatch_id 0
		.amdhsa_user_sgpr_kernarg_preload_length 0
		.amdhsa_user_sgpr_kernarg_preload_offset 0
		.amdhsa_user_sgpr_private_segment_size 0
		.amdhsa_wavefront_size32 1
		.amdhsa_uses_dynamic_stack 0
		.amdhsa_enable_private_segment 0
		.amdhsa_system_sgpr_workgroup_id_x 1
		.amdhsa_system_sgpr_workgroup_id_y 0
		.amdhsa_system_sgpr_workgroup_id_z 0
		.amdhsa_system_sgpr_workgroup_info 0
		.amdhsa_system_vgpr_workitem_id 0
		.amdhsa_next_free_vgpr 1
		.amdhsa_next_free_sgpr 1
		.amdhsa_named_barrier_count 0
		.amdhsa_reserve_vcc 0
		.amdhsa_float_round_mode_32 0
		.amdhsa_float_round_mode_16_64 0
		.amdhsa_float_denorm_mode_32 3
		.amdhsa_float_denorm_mode_16_64 3
		.amdhsa_fp16_overflow 0
		.amdhsa_memory_ordered 1
		.amdhsa_forward_progress 1
		.amdhsa_inst_pref_size 0
		.amdhsa_round_robin_scheduling 0
		.amdhsa_exception_fp_ieee_invalid_op 0
		.amdhsa_exception_fp_denorm_src 0
		.amdhsa_exception_fp_ieee_div_zero 0
		.amdhsa_exception_fp_ieee_overflow 0
		.amdhsa_exception_fp_ieee_underflow 0
		.amdhsa_exception_fp_ieee_inexact 0
		.amdhsa_exception_int_div_zero 0
	.end_amdhsa_kernel
	.section	.text._ZN7rocprim17ROCPRIM_400000_NS6detail17trampoline_kernelINS0_14default_configENS1_27scan_by_key_config_selectorIidEEZZNS1_16scan_by_key_implILNS1_25lookback_scan_determinismE0ELb1ES3_N6thrust23THRUST_200600_302600_NS6detail15normal_iteratorINS9_10device_ptrIiEEEENSB_INSC_IdEEEESG_dNS9_4plusIvEENS9_8equal_toIvEEdEE10hipError_tPvRmT2_T3_T4_T5_mT6_T7_P12ihipStream_tbENKUlT_T0_E_clISt17integral_constantIbLb0EES11_EEDaSW_SX_EUlSW_E_NS1_11comp_targetILNS1_3genE2ELNS1_11target_archE906ELNS1_3gpuE6ELNS1_3repE0EEENS1_30default_config_static_selectorELNS0_4arch9wavefront6targetE0EEEvT1_,"axG",@progbits,_ZN7rocprim17ROCPRIM_400000_NS6detail17trampoline_kernelINS0_14default_configENS1_27scan_by_key_config_selectorIidEEZZNS1_16scan_by_key_implILNS1_25lookback_scan_determinismE0ELb1ES3_N6thrust23THRUST_200600_302600_NS6detail15normal_iteratorINS9_10device_ptrIiEEEENSB_INSC_IdEEEESG_dNS9_4plusIvEENS9_8equal_toIvEEdEE10hipError_tPvRmT2_T3_T4_T5_mT6_T7_P12ihipStream_tbENKUlT_T0_E_clISt17integral_constantIbLb0EES11_EEDaSW_SX_EUlSW_E_NS1_11comp_targetILNS1_3genE2ELNS1_11target_archE906ELNS1_3gpuE6ELNS1_3repE0EEENS1_30default_config_static_selectorELNS0_4arch9wavefront6targetE0EEEvT1_,comdat
.Lfunc_end1396:
	.size	_ZN7rocprim17ROCPRIM_400000_NS6detail17trampoline_kernelINS0_14default_configENS1_27scan_by_key_config_selectorIidEEZZNS1_16scan_by_key_implILNS1_25lookback_scan_determinismE0ELb1ES3_N6thrust23THRUST_200600_302600_NS6detail15normal_iteratorINS9_10device_ptrIiEEEENSB_INSC_IdEEEESG_dNS9_4plusIvEENS9_8equal_toIvEEdEE10hipError_tPvRmT2_T3_T4_T5_mT6_T7_P12ihipStream_tbENKUlT_T0_E_clISt17integral_constantIbLb0EES11_EEDaSW_SX_EUlSW_E_NS1_11comp_targetILNS1_3genE2ELNS1_11target_archE906ELNS1_3gpuE6ELNS1_3repE0EEENS1_30default_config_static_selectorELNS0_4arch9wavefront6targetE0EEEvT1_, .Lfunc_end1396-_ZN7rocprim17ROCPRIM_400000_NS6detail17trampoline_kernelINS0_14default_configENS1_27scan_by_key_config_selectorIidEEZZNS1_16scan_by_key_implILNS1_25lookback_scan_determinismE0ELb1ES3_N6thrust23THRUST_200600_302600_NS6detail15normal_iteratorINS9_10device_ptrIiEEEENSB_INSC_IdEEEESG_dNS9_4plusIvEENS9_8equal_toIvEEdEE10hipError_tPvRmT2_T3_T4_T5_mT6_T7_P12ihipStream_tbENKUlT_T0_E_clISt17integral_constantIbLb0EES11_EEDaSW_SX_EUlSW_E_NS1_11comp_targetILNS1_3genE2ELNS1_11target_archE906ELNS1_3gpuE6ELNS1_3repE0EEENS1_30default_config_static_selectorELNS0_4arch9wavefront6targetE0EEEvT1_
                                        ; -- End function
	.set _ZN7rocprim17ROCPRIM_400000_NS6detail17trampoline_kernelINS0_14default_configENS1_27scan_by_key_config_selectorIidEEZZNS1_16scan_by_key_implILNS1_25lookback_scan_determinismE0ELb1ES3_N6thrust23THRUST_200600_302600_NS6detail15normal_iteratorINS9_10device_ptrIiEEEENSB_INSC_IdEEEESG_dNS9_4plusIvEENS9_8equal_toIvEEdEE10hipError_tPvRmT2_T3_T4_T5_mT6_T7_P12ihipStream_tbENKUlT_T0_E_clISt17integral_constantIbLb0EES11_EEDaSW_SX_EUlSW_E_NS1_11comp_targetILNS1_3genE2ELNS1_11target_archE906ELNS1_3gpuE6ELNS1_3repE0EEENS1_30default_config_static_selectorELNS0_4arch9wavefront6targetE0EEEvT1_.num_vgpr, 0
	.set _ZN7rocprim17ROCPRIM_400000_NS6detail17trampoline_kernelINS0_14default_configENS1_27scan_by_key_config_selectorIidEEZZNS1_16scan_by_key_implILNS1_25lookback_scan_determinismE0ELb1ES3_N6thrust23THRUST_200600_302600_NS6detail15normal_iteratorINS9_10device_ptrIiEEEENSB_INSC_IdEEEESG_dNS9_4plusIvEENS9_8equal_toIvEEdEE10hipError_tPvRmT2_T3_T4_T5_mT6_T7_P12ihipStream_tbENKUlT_T0_E_clISt17integral_constantIbLb0EES11_EEDaSW_SX_EUlSW_E_NS1_11comp_targetILNS1_3genE2ELNS1_11target_archE906ELNS1_3gpuE6ELNS1_3repE0EEENS1_30default_config_static_selectorELNS0_4arch9wavefront6targetE0EEEvT1_.num_agpr, 0
	.set _ZN7rocprim17ROCPRIM_400000_NS6detail17trampoline_kernelINS0_14default_configENS1_27scan_by_key_config_selectorIidEEZZNS1_16scan_by_key_implILNS1_25lookback_scan_determinismE0ELb1ES3_N6thrust23THRUST_200600_302600_NS6detail15normal_iteratorINS9_10device_ptrIiEEEENSB_INSC_IdEEEESG_dNS9_4plusIvEENS9_8equal_toIvEEdEE10hipError_tPvRmT2_T3_T4_T5_mT6_T7_P12ihipStream_tbENKUlT_T0_E_clISt17integral_constantIbLb0EES11_EEDaSW_SX_EUlSW_E_NS1_11comp_targetILNS1_3genE2ELNS1_11target_archE906ELNS1_3gpuE6ELNS1_3repE0EEENS1_30default_config_static_selectorELNS0_4arch9wavefront6targetE0EEEvT1_.numbered_sgpr, 0
	.set _ZN7rocprim17ROCPRIM_400000_NS6detail17trampoline_kernelINS0_14default_configENS1_27scan_by_key_config_selectorIidEEZZNS1_16scan_by_key_implILNS1_25lookback_scan_determinismE0ELb1ES3_N6thrust23THRUST_200600_302600_NS6detail15normal_iteratorINS9_10device_ptrIiEEEENSB_INSC_IdEEEESG_dNS9_4plusIvEENS9_8equal_toIvEEdEE10hipError_tPvRmT2_T3_T4_T5_mT6_T7_P12ihipStream_tbENKUlT_T0_E_clISt17integral_constantIbLb0EES11_EEDaSW_SX_EUlSW_E_NS1_11comp_targetILNS1_3genE2ELNS1_11target_archE906ELNS1_3gpuE6ELNS1_3repE0EEENS1_30default_config_static_selectorELNS0_4arch9wavefront6targetE0EEEvT1_.num_named_barrier, 0
	.set _ZN7rocprim17ROCPRIM_400000_NS6detail17trampoline_kernelINS0_14default_configENS1_27scan_by_key_config_selectorIidEEZZNS1_16scan_by_key_implILNS1_25lookback_scan_determinismE0ELb1ES3_N6thrust23THRUST_200600_302600_NS6detail15normal_iteratorINS9_10device_ptrIiEEEENSB_INSC_IdEEEESG_dNS9_4plusIvEENS9_8equal_toIvEEdEE10hipError_tPvRmT2_T3_T4_T5_mT6_T7_P12ihipStream_tbENKUlT_T0_E_clISt17integral_constantIbLb0EES11_EEDaSW_SX_EUlSW_E_NS1_11comp_targetILNS1_3genE2ELNS1_11target_archE906ELNS1_3gpuE6ELNS1_3repE0EEENS1_30default_config_static_selectorELNS0_4arch9wavefront6targetE0EEEvT1_.private_seg_size, 0
	.set _ZN7rocprim17ROCPRIM_400000_NS6detail17trampoline_kernelINS0_14default_configENS1_27scan_by_key_config_selectorIidEEZZNS1_16scan_by_key_implILNS1_25lookback_scan_determinismE0ELb1ES3_N6thrust23THRUST_200600_302600_NS6detail15normal_iteratorINS9_10device_ptrIiEEEENSB_INSC_IdEEEESG_dNS9_4plusIvEENS9_8equal_toIvEEdEE10hipError_tPvRmT2_T3_T4_T5_mT6_T7_P12ihipStream_tbENKUlT_T0_E_clISt17integral_constantIbLb0EES11_EEDaSW_SX_EUlSW_E_NS1_11comp_targetILNS1_3genE2ELNS1_11target_archE906ELNS1_3gpuE6ELNS1_3repE0EEENS1_30default_config_static_selectorELNS0_4arch9wavefront6targetE0EEEvT1_.uses_vcc, 0
	.set _ZN7rocprim17ROCPRIM_400000_NS6detail17trampoline_kernelINS0_14default_configENS1_27scan_by_key_config_selectorIidEEZZNS1_16scan_by_key_implILNS1_25lookback_scan_determinismE0ELb1ES3_N6thrust23THRUST_200600_302600_NS6detail15normal_iteratorINS9_10device_ptrIiEEEENSB_INSC_IdEEEESG_dNS9_4plusIvEENS9_8equal_toIvEEdEE10hipError_tPvRmT2_T3_T4_T5_mT6_T7_P12ihipStream_tbENKUlT_T0_E_clISt17integral_constantIbLb0EES11_EEDaSW_SX_EUlSW_E_NS1_11comp_targetILNS1_3genE2ELNS1_11target_archE906ELNS1_3gpuE6ELNS1_3repE0EEENS1_30default_config_static_selectorELNS0_4arch9wavefront6targetE0EEEvT1_.uses_flat_scratch, 0
	.set _ZN7rocprim17ROCPRIM_400000_NS6detail17trampoline_kernelINS0_14default_configENS1_27scan_by_key_config_selectorIidEEZZNS1_16scan_by_key_implILNS1_25lookback_scan_determinismE0ELb1ES3_N6thrust23THRUST_200600_302600_NS6detail15normal_iteratorINS9_10device_ptrIiEEEENSB_INSC_IdEEEESG_dNS9_4plusIvEENS9_8equal_toIvEEdEE10hipError_tPvRmT2_T3_T4_T5_mT6_T7_P12ihipStream_tbENKUlT_T0_E_clISt17integral_constantIbLb0EES11_EEDaSW_SX_EUlSW_E_NS1_11comp_targetILNS1_3genE2ELNS1_11target_archE906ELNS1_3gpuE6ELNS1_3repE0EEENS1_30default_config_static_selectorELNS0_4arch9wavefront6targetE0EEEvT1_.has_dyn_sized_stack, 0
	.set _ZN7rocprim17ROCPRIM_400000_NS6detail17trampoline_kernelINS0_14default_configENS1_27scan_by_key_config_selectorIidEEZZNS1_16scan_by_key_implILNS1_25lookback_scan_determinismE0ELb1ES3_N6thrust23THRUST_200600_302600_NS6detail15normal_iteratorINS9_10device_ptrIiEEEENSB_INSC_IdEEEESG_dNS9_4plusIvEENS9_8equal_toIvEEdEE10hipError_tPvRmT2_T3_T4_T5_mT6_T7_P12ihipStream_tbENKUlT_T0_E_clISt17integral_constantIbLb0EES11_EEDaSW_SX_EUlSW_E_NS1_11comp_targetILNS1_3genE2ELNS1_11target_archE906ELNS1_3gpuE6ELNS1_3repE0EEENS1_30default_config_static_selectorELNS0_4arch9wavefront6targetE0EEEvT1_.has_recursion, 0
	.set _ZN7rocprim17ROCPRIM_400000_NS6detail17trampoline_kernelINS0_14default_configENS1_27scan_by_key_config_selectorIidEEZZNS1_16scan_by_key_implILNS1_25lookback_scan_determinismE0ELb1ES3_N6thrust23THRUST_200600_302600_NS6detail15normal_iteratorINS9_10device_ptrIiEEEENSB_INSC_IdEEEESG_dNS9_4plusIvEENS9_8equal_toIvEEdEE10hipError_tPvRmT2_T3_T4_T5_mT6_T7_P12ihipStream_tbENKUlT_T0_E_clISt17integral_constantIbLb0EES11_EEDaSW_SX_EUlSW_E_NS1_11comp_targetILNS1_3genE2ELNS1_11target_archE906ELNS1_3gpuE6ELNS1_3repE0EEENS1_30default_config_static_selectorELNS0_4arch9wavefront6targetE0EEEvT1_.has_indirect_call, 0
	.section	.AMDGPU.csdata,"",@progbits
; Kernel info:
; codeLenInByte = 0
; TotalNumSgprs: 0
; NumVgprs: 0
; ScratchSize: 0
; MemoryBound: 0
; FloatMode: 240
; IeeeMode: 1
; LDSByteSize: 0 bytes/workgroup (compile time only)
; SGPRBlocks: 0
; VGPRBlocks: 0
; NumSGPRsForWavesPerEU: 1
; NumVGPRsForWavesPerEU: 1
; NamedBarCnt: 0
; Occupancy: 16
; WaveLimiterHint : 0
; COMPUTE_PGM_RSRC2:SCRATCH_EN: 0
; COMPUTE_PGM_RSRC2:USER_SGPR: 2
; COMPUTE_PGM_RSRC2:TRAP_HANDLER: 0
; COMPUTE_PGM_RSRC2:TGID_X_EN: 1
; COMPUTE_PGM_RSRC2:TGID_Y_EN: 0
; COMPUTE_PGM_RSRC2:TGID_Z_EN: 0
; COMPUTE_PGM_RSRC2:TIDIG_COMP_CNT: 0
	.section	.text._ZN7rocprim17ROCPRIM_400000_NS6detail17trampoline_kernelINS0_14default_configENS1_27scan_by_key_config_selectorIidEEZZNS1_16scan_by_key_implILNS1_25lookback_scan_determinismE0ELb1ES3_N6thrust23THRUST_200600_302600_NS6detail15normal_iteratorINS9_10device_ptrIiEEEENSB_INSC_IdEEEESG_dNS9_4plusIvEENS9_8equal_toIvEEdEE10hipError_tPvRmT2_T3_T4_T5_mT6_T7_P12ihipStream_tbENKUlT_T0_E_clISt17integral_constantIbLb0EES11_EEDaSW_SX_EUlSW_E_NS1_11comp_targetILNS1_3genE10ELNS1_11target_archE1200ELNS1_3gpuE4ELNS1_3repE0EEENS1_30default_config_static_selectorELNS0_4arch9wavefront6targetE0EEEvT1_,"axG",@progbits,_ZN7rocprim17ROCPRIM_400000_NS6detail17trampoline_kernelINS0_14default_configENS1_27scan_by_key_config_selectorIidEEZZNS1_16scan_by_key_implILNS1_25lookback_scan_determinismE0ELb1ES3_N6thrust23THRUST_200600_302600_NS6detail15normal_iteratorINS9_10device_ptrIiEEEENSB_INSC_IdEEEESG_dNS9_4plusIvEENS9_8equal_toIvEEdEE10hipError_tPvRmT2_T3_T4_T5_mT6_T7_P12ihipStream_tbENKUlT_T0_E_clISt17integral_constantIbLb0EES11_EEDaSW_SX_EUlSW_E_NS1_11comp_targetILNS1_3genE10ELNS1_11target_archE1200ELNS1_3gpuE4ELNS1_3repE0EEENS1_30default_config_static_selectorELNS0_4arch9wavefront6targetE0EEEvT1_,comdat
	.protected	_ZN7rocprim17ROCPRIM_400000_NS6detail17trampoline_kernelINS0_14default_configENS1_27scan_by_key_config_selectorIidEEZZNS1_16scan_by_key_implILNS1_25lookback_scan_determinismE0ELb1ES3_N6thrust23THRUST_200600_302600_NS6detail15normal_iteratorINS9_10device_ptrIiEEEENSB_INSC_IdEEEESG_dNS9_4plusIvEENS9_8equal_toIvEEdEE10hipError_tPvRmT2_T3_T4_T5_mT6_T7_P12ihipStream_tbENKUlT_T0_E_clISt17integral_constantIbLb0EES11_EEDaSW_SX_EUlSW_E_NS1_11comp_targetILNS1_3genE10ELNS1_11target_archE1200ELNS1_3gpuE4ELNS1_3repE0EEENS1_30default_config_static_selectorELNS0_4arch9wavefront6targetE0EEEvT1_ ; -- Begin function _ZN7rocprim17ROCPRIM_400000_NS6detail17trampoline_kernelINS0_14default_configENS1_27scan_by_key_config_selectorIidEEZZNS1_16scan_by_key_implILNS1_25lookback_scan_determinismE0ELb1ES3_N6thrust23THRUST_200600_302600_NS6detail15normal_iteratorINS9_10device_ptrIiEEEENSB_INSC_IdEEEESG_dNS9_4plusIvEENS9_8equal_toIvEEdEE10hipError_tPvRmT2_T3_T4_T5_mT6_T7_P12ihipStream_tbENKUlT_T0_E_clISt17integral_constantIbLb0EES11_EEDaSW_SX_EUlSW_E_NS1_11comp_targetILNS1_3genE10ELNS1_11target_archE1200ELNS1_3gpuE4ELNS1_3repE0EEENS1_30default_config_static_selectorELNS0_4arch9wavefront6targetE0EEEvT1_
	.globl	_ZN7rocprim17ROCPRIM_400000_NS6detail17trampoline_kernelINS0_14default_configENS1_27scan_by_key_config_selectorIidEEZZNS1_16scan_by_key_implILNS1_25lookback_scan_determinismE0ELb1ES3_N6thrust23THRUST_200600_302600_NS6detail15normal_iteratorINS9_10device_ptrIiEEEENSB_INSC_IdEEEESG_dNS9_4plusIvEENS9_8equal_toIvEEdEE10hipError_tPvRmT2_T3_T4_T5_mT6_T7_P12ihipStream_tbENKUlT_T0_E_clISt17integral_constantIbLb0EES11_EEDaSW_SX_EUlSW_E_NS1_11comp_targetILNS1_3genE10ELNS1_11target_archE1200ELNS1_3gpuE4ELNS1_3repE0EEENS1_30default_config_static_selectorELNS0_4arch9wavefront6targetE0EEEvT1_
	.p2align	8
	.type	_ZN7rocprim17ROCPRIM_400000_NS6detail17trampoline_kernelINS0_14default_configENS1_27scan_by_key_config_selectorIidEEZZNS1_16scan_by_key_implILNS1_25lookback_scan_determinismE0ELb1ES3_N6thrust23THRUST_200600_302600_NS6detail15normal_iteratorINS9_10device_ptrIiEEEENSB_INSC_IdEEEESG_dNS9_4plusIvEENS9_8equal_toIvEEdEE10hipError_tPvRmT2_T3_T4_T5_mT6_T7_P12ihipStream_tbENKUlT_T0_E_clISt17integral_constantIbLb0EES11_EEDaSW_SX_EUlSW_E_NS1_11comp_targetILNS1_3genE10ELNS1_11target_archE1200ELNS1_3gpuE4ELNS1_3repE0EEENS1_30default_config_static_selectorELNS0_4arch9wavefront6targetE0EEEvT1_,@function
_ZN7rocprim17ROCPRIM_400000_NS6detail17trampoline_kernelINS0_14default_configENS1_27scan_by_key_config_selectorIidEEZZNS1_16scan_by_key_implILNS1_25lookback_scan_determinismE0ELb1ES3_N6thrust23THRUST_200600_302600_NS6detail15normal_iteratorINS9_10device_ptrIiEEEENSB_INSC_IdEEEESG_dNS9_4plusIvEENS9_8equal_toIvEEdEE10hipError_tPvRmT2_T3_T4_T5_mT6_T7_P12ihipStream_tbENKUlT_T0_E_clISt17integral_constantIbLb0EES11_EEDaSW_SX_EUlSW_E_NS1_11comp_targetILNS1_3genE10ELNS1_11target_archE1200ELNS1_3gpuE4ELNS1_3repE0EEENS1_30default_config_static_selectorELNS0_4arch9wavefront6targetE0EEEvT1_: ; @_ZN7rocprim17ROCPRIM_400000_NS6detail17trampoline_kernelINS0_14default_configENS1_27scan_by_key_config_selectorIidEEZZNS1_16scan_by_key_implILNS1_25lookback_scan_determinismE0ELb1ES3_N6thrust23THRUST_200600_302600_NS6detail15normal_iteratorINS9_10device_ptrIiEEEENSB_INSC_IdEEEESG_dNS9_4plusIvEENS9_8equal_toIvEEdEE10hipError_tPvRmT2_T3_T4_T5_mT6_T7_P12ihipStream_tbENKUlT_T0_E_clISt17integral_constantIbLb0EES11_EEDaSW_SX_EUlSW_E_NS1_11comp_targetILNS1_3genE10ELNS1_11target_archE1200ELNS1_3gpuE4ELNS1_3repE0EEENS1_30default_config_static_selectorELNS0_4arch9wavefront6targetE0EEEvT1_
; %bb.0:
	.section	.rodata,"a",@progbits
	.p2align	6, 0x0
	.amdhsa_kernel _ZN7rocprim17ROCPRIM_400000_NS6detail17trampoline_kernelINS0_14default_configENS1_27scan_by_key_config_selectorIidEEZZNS1_16scan_by_key_implILNS1_25lookback_scan_determinismE0ELb1ES3_N6thrust23THRUST_200600_302600_NS6detail15normal_iteratorINS9_10device_ptrIiEEEENSB_INSC_IdEEEESG_dNS9_4plusIvEENS9_8equal_toIvEEdEE10hipError_tPvRmT2_T3_T4_T5_mT6_T7_P12ihipStream_tbENKUlT_T0_E_clISt17integral_constantIbLb0EES11_EEDaSW_SX_EUlSW_E_NS1_11comp_targetILNS1_3genE10ELNS1_11target_archE1200ELNS1_3gpuE4ELNS1_3repE0EEENS1_30default_config_static_selectorELNS0_4arch9wavefront6targetE0EEEvT1_
		.amdhsa_group_segment_fixed_size 0
		.amdhsa_private_segment_fixed_size 0
		.amdhsa_kernarg_size 136
		.amdhsa_user_sgpr_count 2
		.amdhsa_user_sgpr_dispatch_ptr 0
		.amdhsa_user_sgpr_queue_ptr 0
		.amdhsa_user_sgpr_kernarg_segment_ptr 1
		.amdhsa_user_sgpr_dispatch_id 0
		.amdhsa_user_sgpr_kernarg_preload_length 0
		.amdhsa_user_sgpr_kernarg_preload_offset 0
		.amdhsa_user_sgpr_private_segment_size 0
		.amdhsa_wavefront_size32 1
		.amdhsa_uses_dynamic_stack 0
		.amdhsa_enable_private_segment 0
		.amdhsa_system_sgpr_workgroup_id_x 1
		.amdhsa_system_sgpr_workgroup_id_y 0
		.amdhsa_system_sgpr_workgroup_id_z 0
		.amdhsa_system_sgpr_workgroup_info 0
		.amdhsa_system_vgpr_workitem_id 0
		.amdhsa_next_free_vgpr 1
		.amdhsa_next_free_sgpr 1
		.amdhsa_named_barrier_count 0
		.amdhsa_reserve_vcc 0
		.amdhsa_float_round_mode_32 0
		.amdhsa_float_round_mode_16_64 0
		.amdhsa_float_denorm_mode_32 3
		.amdhsa_float_denorm_mode_16_64 3
		.amdhsa_fp16_overflow 0
		.amdhsa_memory_ordered 1
		.amdhsa_forward_progress 1
		.amdhsa_inst_pref_size 0
		.amdhsa_round_robin_scheduling 0
		.amdhsa_exception_fp_ieee_invalid_op 0
		.amdhsa_exception_fp_denorm_src 0
		.amdhsa_exception_fp_ieee_div_zero 0
		.amdhsa_exception_fp_ieee_overflow 0
		.amdhsa_exception_fp_ieee_underflow 0
		.amdhsa_exception_fp_ieee_inexact 0
		.amdhsa_exception_int_div_zero 0
	.end_amdhsa_kernel
	.section	.text._ZN7rocprim17ROCPRIM_400000_NS6detail17trampoline_kernelINS0_14default_configENS1_27scan_by_key_config_selectorIidEEZZNS1_16scan_by_key_implILNS1_25lookback_scan_determinismE0ELb1ES3_N6thrust23THRUST_200600_302600_NS6detail15normal_iteratorINS9_10device_ptrIiEEEENSB_INSC_IdEEEESG_dNS9_4plusIvEENS9_8equal_toIvEEdEE10hipError_tPvRmT2_T3_T4_T5_mT6_T7_P12ihipStream_tbENKUlT_T0_E_clISt17integral_constantIbLb0EES11_EEDaSW_SX_EUlSW_E_NS1_11comp_targetILNS1_3genE10ELNS1_11target_archE1200ELNS1_3gpuE4ELNS1_3repE0EEENS1_30default_config_static_selectorELNS0_4arch9wavefront6targetE0EEEvT1_,"axG",@progbits,_ZN7rocprim17ROCPRIM_400000_NS6detail17trampoline_kernelINS0_14default_configENS1_27scan_by_key_config_selectorIidEEZZNS1_16scan_by_key_implILNS1_25lookback_scan_determinismE0ELb1ES3_N6thrust23THRUST_200600_302600_NS6detail15normal_iteratorINS9_10device_ptrIiEEEENSB_INSC_IdEEEESG_dNS9_4plusIvEENS9_8equal_toIvEEdEE10hipError_tPvRmT2_T3_T4_T5_mT6_T7_P12ihipStream_tbENKUlT_T0_E_clISt17integral_constantIbLb0EES11_EEDaSW_SX_EUlSW_E_NS1_11comp_targetILNS1_3genE10ELNS1_11target_archE1200ELNS1_3gpuE4ELNS1_3repE0EEENS1_30default_config_static_selectorELNS0_4arch9wavefront6targetE0EEEvT1_,comdat
.Lfunc_end1397:
	.size	_ZN7rocprim17ROCPRIM_400000_NS6detail17trampoline_kernelINS0_14default_configENS1_27scan_by_key_config_selectorIidEEZZNS1_16scan_by_key_implILNS1_25lookback_scan_determinismE0ELb1ES3_N6thrust23THRUST_200600_302600_NS6detail15normal_iteratorINS9_10device_ptrIiEEEENSB_INSC_IdEEEESG_dNS9_4plusIvEENS9_8equal_toIvEEdEE10hipError_tPvRmT2_T3_T4_T5_mT6_T7_P12ihipStream_tbENKUlT_T0_E_clISt17integral_constantIbLb0EES11_EEDaSW_SX_EUlSW_E_NS1_11comp_targetILNS1_3genE10ELNS1_11target_archE1200ELNS1_3gpuE4ELNS1_3repE0EEENS1_30default_config_static_selectorELNS0_4arch9wavefront6targetE0EEEvT1_, .Lfunc_end1397-_ZN7rocprim17ROCPRIM_400000_NS6detail17trampoline_kernelINS0_14default_configENS1_27scan_by_key_config_selectorIidEEZZNS1_16scan_by_key_implILNS1_25lookback_scan_determinismE0ELb1ES3_N6thrust23THRUST_200600_302600_NS6detail15normal_iteratorINS9_10device_ptrIiEEEENSB_INSC_IdEEEESG_dNS9_4plusIvEENS9_8equal_toIvEEdEE10hipError_tPvRmT2_T3_T4_T5_mT6_T7_P12ihipStream_tbENKUlT_T0_E_clISt17integral_constantIbLb0EES11_EEDaSW_SX_EUlSW_E_NS1_11comp_targetILNS1_3genE10ELNS1_11target_archE1200ELNS1_3gpuE4ELNS1_3repE0EEENS1_30default_config_static_selectorELNS0_4arch9wavefront6targetE0EEEvT1_
                                        ; -- End function
	.set _ZN7rocprim17ROCPRIM_400000_NS6detail17trampoline_kernelINS0_14default_configENS1_27scan_by_key_config_selectorIidEEZZNS1_16scan_by_key_implILNS1_25lookback_scan_determinismE0ELb1ES3_N6thrust23THRUST_200600_302600_NS6detail15normal_iteratorINS9_10device_ptrIiEEEENSB_INSC_IdEEEESG_dNS9_4plusIvEENS9_8equal_toIvEEdEE10hipError_tPvRmT2_T3_T4_T5_mT6_T7_P12ihipStream_tbENKUlT_T0_E_clISt17integral_constantIbLb0EES11_EEDaSW_SX_EUlSW_E_NS1_11comp_targetILNS1_3genE10ELNS1_11target_archE1200ELNS1_3gpuE4ELNS1_3repE0EEENS1_30default_config_static_selectorELNS0_4arch9wavefront6targetE0EEEvT1_.num_vgpr, 0
	.set _ZN7rocprim17ROCPRIM_400000_NS6detail17trampoline_kernelINS0_14default_configENS1_27scan_by_key_config_selectorIidEEZZNS1_16scan_by_key_implILNS1_25lookback_scan_determinismE0ELb1ES3_N6thrust23THRUST_200600_302600_NS6detail15normal_iteratorINS9_10device_ptrIiEEEENSB_INSC_IdEEEESG_dNS9_4plusIvEENS9_8equal_toIvEEdEE10hipError_tPvRmT2_T3_T4_T5_mT6_T7_P12ihipStream_tbENKUlT_T0_E_clISt17integral_constantIbLb0EES11_EEDaSW_SX_EUlSW_E_NS1_11comp_targetILNS1_3genE10ELNS1_11target_archE1200ELNS1_3gpuE4ELNS1_3repE0EEENS1_30default_config_static_selectorELNS0_4arch9wavefront6targetE0EEEvT1_.num_agpr, 0
	.set _ZN7rocprim17ROCPRIM_400000_NS6detail17trampoline_kernelINS0_14default_configENS1_27scan_by_key_config_selectorIidEEZZNS1_16scan_by_key_implILNS1_25lookback_scan_determinismE0ELb1ES3_N6thrust23THRUST_200600_302600_NS6detail15normal_iteratorINS9_10device_ptrIiEEEENSB_INSC_IdEEEESG_dNS9_4plusIvEENS9_8equal_toIvEEdEE10hipError_tPvRmT2_T3_T4_T5_mT6_T7_P12ihipStream_tbENKUlT_T0_E_clISt17integral_constantIbLb0EES11_EEDaSW_SX_EUlSW_E_NS1_11comp_targetILNS1_3genE10ELNS1_11target_archE1200ELNS1_3gpuE4ELNS1_3repE0EEENS1_30default_config_static_selectorELNS0_4arch9wavefront6targetE0EEEvT1_.numbered_sgpr, 0
	.set _ZN7rocprim17ROCPRIM_400000_NS6detail17trampoline_kernelINS0_14default_configENS1_27scan_by_key_config_selectorIidEEZZNS1_16scan_by_key_implILNS1_25lookback_scan_determinismE0ELb1ES3_N6thrust23THRUST_200600_302600_NS6detail15normal_iteratorINS9_10device_ptrIiEEEENSB_INSC_IdEEEESG_dNS9_4plusIvEENS9_8equal_toIvEEdEE10hipError_tPvRmT2_T3_T4_T5_mT6_T7_P12ihipStream_tbENKUlT_T0_E_clISt17integral_constantIbLb0EES11_EEDaSW_SX_EUlSW_E_NS1_11comp_targetILNS1_3genE10ELNS1_11target_archE1200ELNS1_3gpuE4ELNS1_3repE0EEENS1_30default_config_static_selectorELNS0_4arch9wavefront6targetE0EEEvT1_.num_named_barrier, 0
	.set _ZN7rocprim17ROCPRIM_400000_NS6detail17trampoline_kernelINS0_14default_configENS1_27scan_by_key_config_selectorIidEEZZNS1_16scan_by_key_implILNS1_25lookback_scan_determinismE0ELb1ES3_N6thrust23THRUST_200600_302600_NS6detail15normal_iteratorINS9_10device_ptrIiEEEENSB_INSC_IdEEEESG_dNS9_4plusIvEENS9_8equal_toIvEEdEE10hipError_tPvRmT2_T3_T4_T5_mT6_T7_P12ihipStream_tbENKUlT_T0_E_clISt17integral_constantIbLb0EES11_EEDaSW_SX_EUlSW_E_NS1_11comp_targetILNS1_3genE10ELNS1_11target_archE1200ELNS1_3gpuE4ELNS1_3repE0EEENS1_30default_config_static_selectorELNS0_4arch9wavefront6targetE0EEEvT1_.private_seg_size, 0
	.set _ZN7rocprim17ROCPRIM_400000_NS6detail17trampoline_kernelINS0_14default_configENS1_27scan_by_key_config_selectorIidEEZZNS1_16scan_by_key_implILNS1_25lookback_scan_determinismE0ELb1ES3_N6thrust23THRUST_200600_302600_NS6detail15normal_iteratorINS9_10device_ptrIiEEEENSB_INSC_IdEEEESG_dNS9_4plusIvEENS9_8equal_toIvEEdEE10hipError_tPvRmT2_T3_T4_T5_mT6_T7_P12ihipStream_tbENKUlT_T0_E_clISt17integral_constantIbLb0EES11_EEDaSW_SX_EUlSW_E_NS1_11comp_targetILNS1_3genE10ELNS1_11target_archE1200ELNS1_3gpuE4ELNS1_3repE0EEENS1_30default_config_static_selectorELNS0_4arch9wavefront6targetE0EEEvT1_.uses_vcc, 0
	.set _ZN7rocprim17ROCPRIM_400000_NS6detail17trampoline_kernelINS0_14default_configENS1_27scan_by_key_config_selectorIidEEZZNS1_16scan_by_key_implILNS1_25lookback_scan_determinismE0ELb1ES3_N6thrust23THRUST_200600_302600_NS6detail15normal_iteratorINS9_10device_ptrIiEEEENSB_INSC_IdEEEESG_dNS9_4plusIvEENS9_8equal_toIvEEdEE10hipError_tPvRmT2_T3_T4_T5_mT6_T7_P12ihipStream_tbENKUlT_T0_E_clISt17integral_constantIbLb0EES11_EEDaSW_SX_EUlSW_E_NS1_11comp_targetILNS1_3genE10ELNS1_11target_archE1200ELNS1_3gpuE4ELNS1_3repE0EEENS1_30default_config_static_selectorELNS0_4arch9wavefront6targetE0EEEvT1_.uses_flat_scratch, 0
	.set _ZN7rocprim17ROCPRIM_400000_NS6detail17trampoline_kernelINS0_14default_configENS1_27scan_by_key_config_selectorIidEEZZNS1_16scan_by_key_implILNS1_25lookback_scan_determinismE0ELb1ES3_N6thrust23THRUST_200600_302600_NS6detail15normal_iteratorINS9_10device_ptrIiEEEENSB_INSC_IdEEEESG_dNS9_4plusIvEENS9_8equal_toIvEEdEE10hipError_tPvRmT2_T3_T4_T5_mT6_T7_P12ihipStream_tbENKUlT_T0_E_clISt17integral_constantIbLb0EES11_EEDaSW_SX_EUlSW_E_NS1_11comp_targetILNS1_3genE10ELNS1_11target_archE1200ELNS1_3gpuE4ELNS1_3repE0EEENS1_30default_config_static_selectorELNS0_4arch9wavefront6targetE0EEEvT1_.has_dyn_sized_stack, 0
	.set _ZN7rocprim17ROCPRIM_400000_NS6detail17trampoline_kernelINS0_14default_configENS1_27scan_by_key_config_selectorIidEEZZNS1_16scan_by_key_implILNS1_25lookback_scan_determinismE0ELb1ES3_N6thrust23THRUST_200600_302600_NS6detail15normal_iteratorINS9_10device_ptrIiEEEENSB_INSC_IdEEEESG_dNS9_4plusIvEENS9_8equal_toIvEEdEE10hipError_tPvRmT2_T3_T4_T5_mT6_T7_P12ihipStream_tbENKUlT_T0_E_clISt17integral_constantIbLb0EES11_EEDaSW_SX_EUlSW_E_NS1_11comp_targetILNS1_3genE10ELNS1_11target_archE1200ELNS1_3gpuE4ELNS1_3repE0EEENS1_30default_config_static_selectorELNS0_4arch9wavefront6targetE0EEEvT1_.has_recursion, 0
	.set _ZN7rocprim17ROCPRIM_400000_NS6detail17trampoline_kernelINS0_14default_configENS1_27scan_by_key_config_selectorIidEEZZNS1_16scan_by_key_implILNS1_25lookback_scan_determinismE0ELb1ES3_N6thrust23THRUST_200600_302600_NS6detail15normal_iteratorINS9_10device_ptrIiEEEENSB_INSC_IdEEEESG_dNS9_4plusIvEENS9_8equal_toIvEEdEE10hipError_tPvRmT2_T3_T4_T5_mT6_T7_P12ihipStream_tbENKUlT_T0_E_clISt17integral_constantIbLb0EES11_EEDaSW_SX_EUlSW_E_NS1_11comp_targetILNS1_3genE10ELNS1_11target_archE1200ELNS1_3gpuE4ELNS1_3repE0EEENS1_30default_config_static_selectorELNS0_4arch9wavefront6targetE0EEEvT1_.has_indirect_call, 0
	.section	.AMDGPU.csdata,"",@progbits
; Kernel info:
; codeLenInByte = 0
; TotalNumSgprs: 0
; NumVgprs: 0
; ScratchSize: 0
; MemoryBound: 0
; FloatMode: 240
; IeeeMode: 1
; LDSByteSize: 0 bytes/workgroup (compile time only)
; SGPRBlocks: 0
; VGPRBlocks: 0
; NumSGPRsForWavesPerEU: 1
; NumVGPRsForWavesPerEU: 1
; NamedBarCnt: 0
; Occupancy: 16
; WaveLimiterHint : 0
; COMPUTE_PGM_RSRC2:SCRATCH_EN: 0
; COMPUTE_PGM_RSRC2:USER_SGPR: 2
; COMPUTE_PGM_RSRC2:TRAP_HANDLER: 0
; COMPUTE_PGM_RSRC2:TGID_X_EN: 1
; COMPUTE_PGM_RSRC2:TGID_Y_EN: 0
; COMPUTE_PGM_RSRC2:TGID_Z_EN: 0
; COMPUTE_PGM_RSRC2:TIDIG_COMP_CNT: 0
	.section	.text._ZN7rocprim17ROCPRIM_400000_NS6detail17trampoline_kernelINS0_14default_configENS1_27scan_by_key_config_selectorIidEEZZNS1_16scan_by_key_implILNS1_25lookback_scan_determinismE0ELb1ES3_N6thrust23THRUST_200600_302600_NS6detail15normal_iteratorINS9_10device_ptrIiEEEENSB_INSC_IdEEEESG_dNS9_4plusIvEENS9_8equal_toIvEEdEE10hipError_tPvRmT2_T3_T4_T5_mT6_T7_P12ihipStream_tbENKUlT_T0_E_clISt17integral_constantIbLb0EES11_EEDaSW_SX_EUlSW_E_NS1_11comp_targetILNS1_3genE9ELNS1_11target_archE1100ELNS1_3gpuE3ELNS1_3repE0EEENS1_30default_config_static_selectorELNS0_4arch9wavefront6targetE0EEEvT1_,"axG",@progbits,_ZN7rocprim17ROCPRIM_400000_NS6detail17trampoline_kernelINS0_14default_configENS1_27scan_by_key_config_selectorIidEEZZNS1_16scan_by_key_implILNS1_25lookback_scan_determinismE0ELb1ES3_N6thrust23THRUST_200600_302600_NS6detail15normal_iteratorINS9_10device_ptrIiEEEENSB_INSC_IdEEEESG_dNS9_4plusIvEENS9_8equal_toIvEEdEE10hipError_tPvRmT2_T3_T4_T5_mT6_T7_P12ihipStream_tbENKUlT_T0_E_clISt17integral_constantIbLb0EES11_EEDaSW_SX_EUlSW_E_NS1_11comp_targetILNS1_3genE9ELNS1_11target_archE1100ELNS1_3gpuE3ELNS1_3repE0EEENS1_30default_config_static_selectorELNS0_4arch9wavefront6targetE0EEEvT1_,comdat
	.protected	_ZN7rocprim17ROCPRIM_400000_NS6detail17trampoline_kernelINS0_14default_configENS1_27scan_by_key_config_selectorIidEEZZNS1_16scan_by_key_implILNS1_25lookback_scan_determinismE0ELb1ES3_N6thrust23THRUST_200600_302600_NS6detail15normal_iteratorINS9_10device_ptrIiEEEENSB_INSC_IdEEEESG_dNS9_4plusIvEENS9_8equal_toIvEEdEE10hipError_tPvRmT2_T3_T4_T5_mT6_T7_P12ihipStream_tbENKUlT_T0_E_clISt17integral_constantIbLb0EES11_EEDaSW_SX_EUlSW_E_NS1_11comp_targetILNS1_3genE9ELNS1_11target_archE1100ELNS1_3gpuE3ELNS1_3repE0EEENS1_30default_config_static_selectorELNS0_4arch9wavefront6targetE0EEEvT1_ ; -- Begin function _ZN7rocprim17ROCPRIM_400000_NS6detail17trampoline_kernelINS0_14default_configENS1_27scan_by_key_config_selectorIidEEZZNS1_16scan_by_key_implILNS1_25lookback_scan_determinismE0ELb1ES3_N6thrust23THRUST_200600_302600_NS6detail15normal_iteratorINS9_10device_ptrIiEEEENSB_INSC_IdEEEESG_dNS9_4plusIvEENS9_8equal_toIvEEdEE10hipError_tPvRmT2_T3_T4_T5_mT6_T7_P12ihipStream_tbENKUlT_T0_E_clISt17integral_constantIbLb0EES11_EEDaSW_SX_EUlSW_E_NS1_11comp_targetILNS1_3genE9ELNS1_11target_archE1100ELNS1_3gpuE3ELNS1_3repE0EEENS1_30default_config_static_selectorELNS0_4arch9wavefront6targetE0EEEvT1_
	.globl	_ZN7rocprim17ROCPRIM_400000_NS6detail17trampoline_kernelINS0_14default_configENS1_27scan_by_key_config_selectorIidEEZZNS1_16scan_by_key_implILNS1_25lookback_scan_determinismE0ELb1ES3_N6thrust23THRUST_200600_302600_NS6detail15normal_iteratorINS9_10device_ptrIiEEEENSB_INSC_IdEEEESG_dNS9_4plusIvEENS9_8equal_toIvEEdEE10hipError_tPvRmT2_T3_T4_T5_mT6_T7_P12ihipStream_tbENKUlT_T0_E_clISt17integral_constantIbLb0EES11_EEDaSW_SX_EUlSW_E_NS1_11comp_targetILNS1_3genE9ELNS1_11target_archE1100ELNS1_3gpuE3ELNS1_3repE0EEENS1_30default_config_static_selectorELNS0_4arch9wavefront6targetE0EEEvT1_
	.p2align	8
	.type	_ZN7rocprim17ROCPRIM_400000_NS6detail17trampoline_kernelINS0_14default_configENS1_27scan_by_key_config_selectorIidEEZZNS1_16scan_by_key_implILNS1_25lookback_scan_determinismE0ELb1ES3_N6thrust23THRUST_200600_302600_NS6detail15normal_iteratorINS9_10device_ptrIiEEEENSB_INSC_IdEEEESG_dNS9_4plusIvEENS9_8equal_toIvEEdEE10hipError_tPvRmT2_T3_T4_T5_mT6_T7_P12ihipStream_tbENKUlT_T0_E_clISt17integral_constantIbLb0EES11_EEDaSW_SX_EUlSW_E_NS1_11comp_targetILNS1_3genE9ELNS1_11target_archE1100ELNS1_3gpuE3ELNS1_3repE0EEENS1_30default_config_static_selectorELNS0_4arch9wavefront6targetE0EEEvT1_,@function
_ZN7rocprim17ROCPRIM_400000_NS6detail17trampoline_kernelINS0_14default_configENS1_27scan_by_key_config_selectorIidEEZZNS1_16scan_by_key_implILNS1_25lookback_scan_determinismE0ELb1ES3_N6thrust23THRUST_200600_302600_NS6detail15normal_iteratorINS9_10device_ptrIiEEEENSB_INSC_IdEEEESG_dNS9_4plusIvEENS9_8equal_toIvEEdEE10hipError_tPvRmT2_T3_T4_T5_mT6_T7_P12ihipStream_tbENKUlT_T0_E_clISt17integral_constantIbLb0EES11_EEDaSW_SX_EUlSW_E_NS1_11comp_targetILNS1_3genE9ELNS1_11target_archE1100ELNS1_3gpuE3ELNS1_3repE0EEENS1_30default_config_static_selectorELNS0_4arch9wavefront6targetE0EEEvT1_: ; @_ZN7rocprim17ROCPRIM_400000_NS6detail17trampoline_kernelINS0_14default_configENS1_27scan_by_key_config_selectorIidEEZZNS1_16scan_by_key_implILNS1_25lookback_scan_determinismE0ELb1ES3_N6thrust23THRUST_200600_302600_NS6detail15normal_iteratorINS9_10device_ptrIiEEEENSB_INSC_IdEEEESG_dNS9_4plusIvEENS9_8equal_toIvEEdEE10hipError_tPvRmT2_T3_T4_T5_mT6_T7_P12ihipStream_tbENKUlT_T0_E_clISt17integral_constantIbLb0EES11_EEDaSW_SX_EUlSW_E_NS1_11comp_targetILNS1_3genE9ELNS1_11target_archE1100ELNS1_3gpuE3ELNS1_3repE0EEENS1_30default_config_static_selectorELNS0_4arch9wavefront6targetE0EEEvT1_
; %bb.0:
	.section	.rodata,"a",@progbits
	.p2align	6, 0x0
	.amdhsa_kernel _ZN7rocprim17ROCPRIM_400000_NS6detail17trampoline_kernelINS0_14default_configENS1_27scan_by_key_config_selectorIidEEZZNS1_16scan_by_key_implILNS1_25lookback_scan_determinismE0ELb1ES3_N6thrust23THRUST_200600_302600_NS6detail15normal_iteratorINS9_10device_ptrIiEEEENSB_INSC_IdEEEESG_dNS9_4plusIvEENS9_8equal_toIvEEdEE10hipError_tPvRmT2_T3_T4_T5_mT6_T7_P12ihipStream_tbENKUlT_T0_E_clISt17integral_constantIbLb0EES11_EEDaSW_SX_EUlSW_E_NS1_11comp_targetILNS1_3genE9ELNS1_11target_archE1100ELNS1_3gpuE3ELNS1_3repE0EEENS1_30default_config_static_selectorELNS0_4arch9wavefront6targetE0EEEvT1_
		.amdhsa_group_segment_fixed_size 0
		.amdhsa_private_segment_fixed_size 0
		.amdhsa_kernarg_size 136
		.amdhsa_user_sgpr_count 2
		.amdhsa_user_sgpr_dispatch_ptr 0
		.amdhsa_user_sgpr_queue_ptr 0
		.amdhsa_user_sgpr_kernarg_segment_ptr 1
		.amdhsa_user_sgpr_dispatch_id 0
		.amdhsa_user_sgpr_kernarg_preload_length 0
		.amdhsa_user_sgpr_kernarg_preload_offset 0
		.amdhsa_user_sgpr_private_segment_size 0
		.amdhsa_wavefront_size32 1
		.amdhsa_uses_dynamic_stack 0
		.amdhsa_enable_private_segment 0
		.amdhsa_system_sgpr_workgroup_id_x 1
		.amdhsa_system_sgpr_workgroup_id_y 0
		.amdhsa_system_sgpr_workgroup_id_z 0
		.amdhsa_system_sgpr_workgroup_info 0
		.amdhsa_system_vgpr_workitem_id 0
		.amdhsa_next_free_vgpr 1
		.amdhsa_next_free_sgpr 1
		.amdhsa_named_barrier_count 0
		.amdhsa_reserve_vcc 0
		.amdhsa_float_round_mode_32 0
		.amdhsa_float_round_mode_16_64 0
		.amdhsa_float_denorm_mode_32 3
		.amdhsa_float_denorm_mode_16_64 3
		.amdhsa_fp16_overflow 0
		.amdhsa_memory_ordered 1
		.amdhsa_forward_progress 1
		.amdhsa_inst_pref_size 0
		.amdhsa_round_robin_scheduling 0
		.amdhsa_exception_fp_ieee_invalid_op 0
		.amdhsa_exception_fp_denorm_src 0
		.amdhsa_exception_fp_ieee_div_zero 0
		.amdhsa_exception_fp_ieee_overflow 0
		.amdhsa_exception_fp_ieee_underflow 0
		.amdhsa_exception_fp_ieee_inexact 0
		.amdhsa_exception_int_div_zero 0
	.end_amdhsa_kernel
	.section	.text._ZN7rocprim17ROCPRIM_400000_NS6detail17trampoline_kernelINS0_14default_configENS1_27scan_by_key_config_selectorIidEEZZNS1_16scan_by_key_implILNS1_25lookback_scan_determinismE0ELb1ES3_N6thrust23THRUST_200600_302600_NS6detail15normal_iteratorINS9_10device_ptrIiEEEENSB_INSC_IdEEEESG_dNS9_4plusIvEENS9_8equal_toIvEEdEE10hipError_tPvRmT2_T3_T4_T5_mT6_T7_P12ihipStream_tbENKUlT_T0_E_clISt17integral_constantIbLb0EES11_EEDaSW_SX_EUlSW_E_NS1_11comp_targetILNS1_3genE9ELNS1_11target_archE1100ELNS1_3gpuE3ELNS1_3repE0EEENS1_30default_config_static_selectorELNS0_4arch9wavefront6targetE0EEEvT1_,"axG",@progbits,_ZN7rocprim17ROCPRIM_400000_NS6detail17trampoline_kernelINS0_14default_configENS1_27scan_by_key_config_selectorIidEEZZNS1_16scan_by_key_implILNS1_25lookback_scan_determinismE0ELb1ES3_N6thrust23THRUST_200600_302600_NS6detail15normal_iteratorINS9_10device_ptrIiEEEENSB_INSC_IdEEEESG_dNS9_4plusIvEENS9_8equal_toIvEEdEE10hipError_tPvRmT2_T3_T4_T5_mT6_T7_P12ihipStream_tbENKUlT_T0_E_clISt17integral_constantIbLb0EES11_EEDaSW_SX_EUlSW_E_NS1_11comp_targetILNS1_3genE9ELNS1_11target_archE1100ELNS1_3gpuE3ELNS1_3repE0EEENS1_30default_config_static_selectorELNS0_4arch9wavefront6targetE0EEEvT1_,comdat
.Lfunc_end1398:
	.size	_ZN7rocprim17ROCPRIM_400000_NS6detail17trampoline_kernelINS0_14default_configENS1_27scan_by_key_config_selectorIidEEZZNS1_16scan_by_key_implILNS1_25lookback_scan_determinismE0ELb1ES3_N6thrust23THRUST_200600_302600_NS6detail15normal_iteratorINS9_10device_ptrIiEEEENSB_INSC_IdEEEESG_dNS9_4plusIvEENS9_8equal_toIvEEdEE10hipError_tPvRmT2_T3_T4_T5_mT6_T7_P12ihipStream_tbENKUlT_T0_E_clISt17integral_constantIbLb0EES11_EEDaSW_SX_EUlSW_E_NS1_11comp_targetILNS1_3genE9ELNS1_11target_archE1100ELNS1_3gpuE3ELNS1_3repE0EEENS1_30default_config_static_selectorELNS0_4arch9wavefront6targetE0EEEvT1_, .Lfunc_end1398-_ZN7rocprim17ROCPRIM_400000_NS6detail17trampoline_kernelINS0_14default_configENS1_27scan_by_key_config_selectorIidEEZZNS1_16scan_by_key_implILNS1_25lookback_scan_determinismE0ELb1ES3_N6thrust23THRUST_200600_302600_NS6detail15normal_iteratorINS9_10device_ptrIiEEEENSB_INSC_IdEEEESG_dNS9_4plusIvEENS9_8equal_toIvEEdEE10hipError_tPvRmT2_T3_T4_T5_mT6_T7_P12ihipStream_tbENKUlT_T0_E_clISt17integral_constantIbLb0EES11_EEDaSW_SX_EUlSW_E_NS1_11comp_targetILNS1_3genE9ELNS1_11target_archE1100ELNS1_3gpuE3ELNS1_3repE0EEENS1_30default_config_static_selectorELNS0_4arch9wavefront6targetE0EEEvT1_
                                        ; -- End function
	.set _ZN7rocprim17ROCPRIM_400000_NS6detail17trampoline_kernelINS0_14default_configENS1_27scan_by_key_config_selectorIidEEZZNS1_16scan_by_key_implILNS1_25lookback_scan_determinismE0ELb1ES3_N6thrust23THRUST_200600_302600_NS6detail15normal_iteratorINS9_10device_ptrIiEEEENSB_INSC_IdEEEESG_dNS9_4plusIvEENS9_8equal_toIvEEdEE10hipError_tPvRmT2_T3_T4_T5_mT6_T7_P12ihipStream_tbENKUlT_T0_E_clISt17integral_constantIbLb0EES11_EEDaSW_SX_EUlSW_E_NS1_11comp_targetILNS1_3genE9ELNS1_11target_archE1100ELNS1_3gpuE3ELNS1_3repE0EEENS1_30default_config_static_selectorELNS0_4arch9wavefront6targetE0EEEvT1_.num_vgpr, 0
	.set _ZN7rocprim17ROCPRIM_400000_NS6detail17trampoline_kernelINS0_14default_configENS1_27scan_by_key_config_selectorIidEEZZNS1_16scan_by_key_implILNS1_25lookback_scan_determinismE0ELb1ES3_N6thrust23THRUST_200600_302600_NS6detail15normal_iteratorINS9_10device_ptrIiEEEENSB_INSC_IdEEEESG_dNS9_4plusIvEENS9_8equal_toIvEEdEE10hipError_tPvRmT2_T3_T4_T5_mT6_T7_P12ihipStream_tbENKUlT_T0_E_clISt17integral_constantIbLb0EES11_EEDaSW_SX_EUlSW_E_NS1_11comp_targetILNS1_3genE9ELNS1_11target_archE1100ELNS1_3gpuE3ELNS1_3repE0EEENS1_30default_config_static_selectorELNS0_4arch9wavefront6targetE0EEEvT1_.num_agpr, 0
	.set _ZN7rocprim17ROCPRIM_400000_NS6detail17trampoline_kernelINS0_14default_configENS1_27scan_by_key_config_selectorIidEEZZNS1_16scan_by_key_implILNS1_25lookback_scan_determinismE0ELb1ES3_N6thrust23THRUST_200600_302600_NS6detail15normal_iteratorINS9_10device_ptrIiEEEENSB_INSC_IdEEEESG_dNS9_4plusIvEENS9_8equal_toIvEEdEE10hipError_tPvRmT2_T3_T4_T5_mT6_T7_P12ihipStream_tbENKUlT_T0_E_clISt17integral_constantIbLb0EES11_EEDaSW_SX_EUlSW_E_NS1_11comp_targetILNS1_3genE9ELNS1_11target_archE1100ELNS1_3gpuE3ELNS1_3repE0EEENS1_30default_config_static_selectorELNS0_4arch9wavefront6targetE0EEEvT1_.numbered_sgpr, 0
	.set _ZN7rocprim17ROCPRIM_400000_NS6detail17trampoline_kernelINS0_14default_configENS1_27scan_by_key_config_selectorIidEEZZNS1_16scan_by_key_implILNS1_25lookback_scan_determinismE0ELb1ES3_N6thrust23THRUST_200600_302600_NS6detail15normal_iteratorINS9_10device_ptrIiEEEENSB_INSC_IdEEEESG_dNS9_4plusIvEENS9_8equal_toIvEEdEE10hipError_tPvRmT2_T3_T4_T5_mT6_T7_P12ihipStream_tbENKUlT_T0_E_clISt17integral_constantIbLb0EES11_EEDaSW_SX_EUlSW_E_NS1_11comp_targetILNS1_3genE9ELNS1_11target_archE1100ELNS1_3gpuE3ELNS1_3repE0EEENS1_30default_config_static_selectorELNS0_4arch9wavefront6targetE0EEEvT1_.num_named_barrier, 0
	.set _ZN7rocprim17ROCPRIM_400000_NS6detail17trampoline_kernelINS0_14default_configENS1_27scan_by_key_config_selectorIidEEZZNS1_16scan_by_key_implILNS1_25lookback_scan_determinismE0ELb1ES3_N6thrust23THRUST_200600_302600_NS6detail15normal_iteratorINS9_10device_ptrIiEEEENSB_INSC_IdEEEESG_dNS9_4plusIvEENS9_8equal_toIvEEdEE10hipError_tPvRmT2_T3_T4_T5_mT6_T7_P12ihipStream_tbENKUlT_T0_E_clISt17integral_constantIbLb0EES11_EEDaSW_SX_EUlSW_E_NS1_11comp_targetILNS1_3genE9ELNS1_11target_archE1100ELNS1_3gpuE3ELNS1_3repE0EEENS1_30default_config_static_selectorELNS0_4arch9wavefront6targetE0EEEvT1_.private_seg_size, 0
	.set _ZN7rocprim17ROCPRIM_400000_NS6detail17trampoline_kernelINS0_14default_configENS1_27scan_by_key_config_selectorIidEEZZNS1_16scan_by_key_implILNS1_25lookback_scan_determinismE0ELb1ES3_N6thrust23THRUST_200600_302600_NS6detail15normal_iteratorINS9_10device_ptrIiEEEENSB_INSC_IdEEEESG_dNS9_4plusIvEENS9_8equal_toIvEEdEE10hipError_tPvRmT2_T3_T4_T5_mT6_T7_P12ihipStream_tbENKUlT_T0_E_clISt17integral_constantIbLb0EES11_EEDaSW_SX_EUlSW_E_NS1_11comp_targetILNS1_3genE9ELNS1_11target_archE1100ELNS1_3gpuE3ELNS1_3repE0EEENS1_30default_config_static_selectorELNS0_4arch9wavefront6targetE0EEEvT1_.uses_vcc, 0
	.set _ZN7rocprim17ROCPRIM_400000_NS6detail17trampoline_kernelINS0_14default_configENS1_27scan_by_key_config_selectorIidEEZZNS1_16scan_by_key_implILNS1_25lookback_scan_determinismE0ELb1ES3_N6thrust23THRUST_200600_302600_NS6detail15normal_iteratorINS9_10device_ptrIiEEEENSB_INSC_IdEEEESG_dNS9_4plusIvEENS9_8equal_toIvEEdEE10hipError_tPvRmT2_T3_T4_T5_mT6_T7_P12ihipStream_tbENKUlT_T0_E_clISt17integral_constantIbLb0EES11_EEDaSW_SX_EUlSW_E_NS1_11comp_targetILNS1_3genE9ELNS1_11target_archE1100ELNS1_3gpuE3ELNS1_3repE0EEENS1_30default_config_static_selectorELNS0_4arch9wavefront6targetE0EEEvT1_.uses_flat_scratch, 0
	.set _ZN7rocprim17ROCPRIM_400000_NS6detail17trampoline_kernelINS0_14default_configENS1_27scan_by_key_config_selectorIidEEZZNS1_16scan_by_key_implILNS1_25lookback_scan_determinismE0ELb1ES3_N6thrust23THRUST_200600_302600_NS6detail15normal_iteratorINS9_10device_ptrIiEEEENSB_INSC_IdEEEESG_dNS9_4plusIvEENS9_8equal_toIvEEdEE10hipError_tPvRmT2_T3_T4_T5_mT6_T7_P12ihipStream_tbENKUlT_T0_E_clISt17integral_constantIbLb0EES11_EEDaSW_SX_EUlSW_E_NS1_11comp_targetILNS1_3genE9ELNS1_11target_archE1100ELNS1_3gpuE3ELNS1_3repE0EEENS1_30default_config_static_selectorELNS0_4arch9wavefront6targetE0EEEvT1_.has_dyn_sized_stack, 0
	.set _ZN7rocprim17ROCPRIM_400000_NS6detail17trampoline_kernelINS0_14default_configENS1_27scan_by_key_config_selectorIidEEZZNS1_16scan_by_key_implILNS1_25lookback_scan_determinismE0ELb1ES3_N6thrust23THRUST_200600_302600_NS6detail15normal_iteratorINS9_10device_ptrIiEEEENSB_INSC_IdEEEESG_dNS9_4plusIvEENS9_8equal_toIvEEdEE10hipError_tPvRmT2_T3_T4_T5_mT6_T7_P12ihipStream_tbENKUlT_T0_E_clISt17integral_constantIbLb0EES11_EEDaSW_SX_EUlSW_E_NS1_11comp_targetILNS1_3genE9ELNS1_11target_archE1100ELNS1_3gpuE3ELNS1_3repE0EEENS1_30default_config_static_selectorELNS0_4arch9wavefront6targetE0EEEvT1_.has_recursion, 0
	.set _ZN7rocprim17ROCPRIM_400000_NS6detail17trampoline_kernelINS0_14default_configENS1_27scan_by_key_config_selectorIidEEZZNS1_16scan_by_key_implILNS1_25lookback_scan_determinismE0ELb1ES3_N6thrust23THRUST_200600_302600_NS6detail15normal_iteratorINS9_10device_ptrIiEEEENSB_INSC_IdEEEESG_dNS9_4plusIvEENS9_8equal_toIvEEdEE10hipError_tPvRmT2_T3_T4_T5_mT6_T7_P12ihipStream_tbENKUlT_T0_E_clISt17integral_constantIbLb0EES11_EEDaSW_SX_EUlSW_E_NS1_11comp_targetILNS1_3genE9ELNS1_11target_archE1100ELNS1_3gpuE3ELNS1_3repE0EEENS1_30default_config_static_selectorELNS0_4arch9wavefront6targetE0EEEvT1_.has_indirect_call, 0
	.section	.AMDGPU.csdata,"",@progbits
; Kernel info:
; codeLenInByte = 0
; TotalNumSgprs: 0
; NumVgprs: 0
; ScratchSize: 0
; MemoryBound: 0
; FloatMode: 240
; IeeeMode: 1
; LDSByteSize: 0 bytes/workgroup (compile time only)
; SGPRBlocks: 0
; VGPRBlocks: 0
; NumSGPRsForWavesPerEU: 1
; NumVGPRsForWavesPerEU: 1
; NamedBarCnt: 0
; Occupancy: 16
; WaveLimiterHint : 0
; COMPUTE_PGM_RSRC2:SCRATCH_EN: 0
; COMPUTE_PGM_RSRC2:USER_SGPR: 2
; COMPUTE_PGM_RSRC2:TRAP_HANDLER: 0
; COMPUTE_PGM_RSRC2:TGID_X_EN: 1
; COMPUTE_PGM_RSRC2:TGID_Y_EN: 0
; COMPUTE_PGM_RSRC2:TGID_Z_EN: 0
; COMPUTE_PGM_RSRC2:TIDIG_COMP_CNT: 0
	.section	.text._ZN7rocprim17ROCPRIM_400000_NS6detail17trampoline_kernelINS0_14default_configENS1_27scan_by_key_config_selectorIidEEZZNS1_16scan_by_key_implILNS1_25lookback_scan_determinismE0ELb1ES3_N6thrust23THRUST_200600_302600_NS6detail15normal_iteratorINS9_10device_ptrIiEEEENSB_INSC_IdEEEESG_dNS9_4plusIvEENS9_8equal_toIvEEdEE10hipError_tPvRmT2_T3_T4_T5_mT6_T7_P12ihipStream_tbENKUlT_T0_E_clISt17integral_constantIbLb0EES11_EEDaSW_SX_EUlSW_E_NS1_11comp_targetILNS1_3genE8ELNS1_11target_archE1030ELNS1_3gpuE2ELNS1_3repE0EEENS1_30default_config_static_selectorELNS0_4arch9wavefront6targetE0EEEvT1_,"axG",@progbits,_ZN7rocprim17ROCPRIM_400000_NS6detail17trampoline_kernelINS0_14default_configENS1_27scan_by_key_config_selectorIidEEZZNS1_16scan_by_key_implILNS1_25lookback_scan_determinismE0ELb1ES3_N6thrust23THRUST_200600_302600_NS6detail15normal_iteratorINS9_10device_ptrIiEEEENSB_INSC_IdEEEESG_dNS9_4plusIvEENS9_8equal_toIvEEdEE10hipError_tPvRmT2_T3_T4_T5_mT6_T7_P12ihipStream_tbENKUlT_T0_E_clISt17integral_constantIbLb0EES11_EEDaSW_SX_EUlSW_E_NS1_11comp_targetILNS1_3genE8ELNS1_11target_archE1030ELNS1_3gpuE2ELNS1_3repE0EEENS1_30default_config_static_selectorELNS0_4arch9wavefront6targetE0EEEvT1_,comdat
	.protected	_ZN7rocprim17ROCPRIM_400000_NS6detail17trampoline_kernelINS0_14default_configENS1_27scan_by_key_config_selectorIidEEZZNS1_16scan_by_key_implILNS1_25lookback_scan_determinismE0ELb1ES3_N6thrust23THRUST_200600_302600_NS6detail15normal_iteratorINS9_10device_ptrIiEEEENSB_INSC_IdEEEESG_dNS9_4plusIvEENS9_8equal_toIvEEdEE10hipError_tPvRmT2_T3_T4_T5_mT6_T7_P12ihipStream_tbENKUlT_T0_E_clISt17integral_constantIbLb0EES11_EEDaSW_SX_EUlSW_E_NS1_11comp_targetILNS1_3genE8ELNS1_11target_archE1030ELNS1_3gpuE2ELNS1_3repE0EEENS1_30default_config_static_selectorELNS0_4arch9wavefront6targetE0EEEvT1_ ; -- Begin function _ZN7rocprim17ROCPRIM_400000_NS6detail17trampoline_kernelINS0_14default_configENS1_27scan_by_key_config_selectorIidEEZZNS1_16scan_by_key_implILNS1_25lookback_scan_determinismE0ELb1ES3_N6thrust23THRUST_200600_302600_NS6detail15normal_iteratorINS9_10device_ptrIiEEEENSB_INSC_IdEEEESG_dNS9_4plusIvEENS9_8equal_toIvEEdEE10hipError_tPvRmT2_T3_T4_T5_mT6_T7_P12ihipStream_tbENKUlT_T0_E_clISt17integral_constantIbLb0EES11_EEDaSW_SX_EUlSW_E_NS1_11comp_targetILNS1_3genE8ELNS1_11target_archE1030ELNS1_3gpuE2ELNS1_3repE0EEENS1_30default_config_static_selectorELNS0_4arch9wavefront6targetE0EEEvT1_
	.globl	_ZN7rocprim17ROCPRIM_400000_NS6detail17trampoline_kernelINS0_14default_configENS1_27scan_by_key_config_selectorIidEEZZNS1_16scan_by_key_implILNS1_25lookback_scan_determinismE0ELb1ES3_N6thrust23THRUST_200600_302600_NS6detail15normal_iteratorINS9_10device_ptrIiEEEENSB_INSC_IdEEEESG_dNS9_4plusIvEENS9_8equal_toIvEEdEE10hipError_tPvRmT2_T3_T4_T5_mT6_T7_P12ihipStream_tbENKUlT_T0_E_clISt17integral_constantIbLb0EES11_EEDaSW_SX_EUlSW_E_NS1_11comp_targetILNS1_3genE8ELNS1_11target_archE1030ELNS1_3gpuE2ELNS1_3repE0EEENS1_30default_config_static_selectorELNS0_4arch9wavefront6targetE0EEEvT1_
	.p2align	8
	.type	_ZN7rocprim17ROCPRIM_400000_NS6detail17trampoline_kernelINS0_14default_configENS1_27scan_by_key_config_selectorIidEEZZNS1_16scan_by_key_implILNS1_25lookback_scan_determinismE0ELb1ES3_N6thrust23THRUST_200600_302600_NS6detail15normal_iteratorINS9_10device_ptrIiEEEENSB_INSC_IdEEEESG_dNS9_4plusIvEENS9_8equal_toIvEEdEE10hipError_tPvRmT2_T3_T4_T5_mT6_T7_P12ihipStream_tbENKUlT_T0_E_clISt17integral_constantIbLb0EES11_EEDaSW_SX_EUlSW_E_NS1_11comp_targetILNS1_3genE8ELNS1_11target_archE1030ELNS1_3gpuE2ELNS1_3repE0EEENS1_30default_config_static_selectorELNS0_4arch9wavefront6targetE0EEEvT1_,@function
_ZN7rocprim17ROCPRIM_400000_NS6detail17trampoline_kernelINS0_14default_configENS1_27scan_by_key_config_selectorIidEEZZNS1_16scan_by_key_implILNS1_25lookback_scan_determinismE0ELb1ES3_N6thrust23THRUST_200600_302600_NS6detail15normal_iteratorINS9_10device_ptrIiEEEENSB_INSC_IdEEEESG_dNS9_4plusIvEENS9_8equal_toIvEEdEE10hipError_tPvRmT2_T3_T4_T5_mT6_T7_P12ihipStream_tbENKUlT_T0_E_clISt17integral_constantIbLb0EES11_EEDaSW_SX_EUlSW_E_NS1_11comp_targetILNS1_3genE8ELNS1_11target_archE1030ELNS1_3gpuE2ELNS1_3repE0EEENS1_30default_config_static_selectorELNS0_4arch9wavefront6targetE0EEEvT1_: ; @_ZN7rocprim17ROCPRIM_400000_NS6detail17trampoline_kernelINS0_14default_configENS1_27scan_by_key_config_selectorIidEEZZNS1_16scan_by_key_implILNS1_25lookback_scan_determinismE0ELb1ES3_N6thrust23THRUST_200600_302600_NS6detail15normal_iteratorINS9_10device_ptrIiEEEENSB_INSC_IdEEEESG_dNS9_4plusIvEENS9_8equal_toIvEEdEE10hipError_tPvRmT2_T3_T4_T5_mT6_T7_P12ihipStream_tbENKUlT_T0_E_clISt17integral_constantIbLb0EES11_EEDaSW_SX_EUlSW_E_NS1_11comp_targetILNS1_3genE8ELNS1_11target_archE1030ELNS1_3gpuE2ELNS1_3repE0EEENS1_30default_config_static_selectorELNS0_4arch9wavefront6targetE0EEEvT1_
; %bb.0:
	.section	.rodata,"a",@progbits
	.p2align	6, 0x0
	.amdhsa_kernel _ZN7rocprim17ROCPRIM_400000_NS6detail17trampoline_kernelINS0_14default_configENS1_27scan_by_key_config_selectorIidEEZZNS1_16scan_by_key_implILNS1_25lookback_scan_determinismE0ELb1ES3_N6thrust23THRUST_200600_302600_NS6detail15normal_iteratorINS9_10device_ptrIiEEEENSB_INSC_IdEEEESG_dNS9_4plusIvEENS9_8equal_toIvEEdEE10hipError_tPvRmT2_T3_T4_T5_mT6_T7_P12ihipStream_tbENKUlT_T0_E_clISt17integral_constantIbLb0EES11_EEDaSW_SX_EUlSW_E_NS1_11comp_targetILNS1_3genE8ELNS1_11target_archE1030ELNS1_3gpuE2ELNS1_3repE0EEENS1_30default_config_static_selectorELNS0_4arch9wavefront6targetE0EEEvT1_
		.amdhsa_group_segment_fixed_size 0
		.amdhsa_private_segment_fixed_size 0
		.amdhsa_kernarg_size 136
		.amdhsa_user_sgpr_count 2
		.amdhsa_user_sgpr_dispatch_ptr 0
		.amdhsa_user_sgpr_queue_ptr 0
		.amdhsa_user_sgpr_kernarg_segment_ptr 1
		.amdhsa_user_sgpr_dispatch_id 0
		.amdhsa_user_sgpr_kernarg_preload_length 0
		.amdhsa_user_sgpr_kernarg_preload_offset 0
		.amdhsa_user_sgpr_private_segment_size 0
		.amdhsa_wavefront_size32 1
		.amdhsa_uses_dynamic_stack 0
		.amdhsa_enable_private_segment 0
		.amdhsa_system_sgpr_workgroup_id_x 1
		.amdhsa_system_sgpr_workgroup_id_y 0
		.amdhsa_system_sgpr_workgroup_id_z 0
		.amdhsa_system_sgpr_workgroup_info 0
		.amdhsa_system_vgpr_workitem_id 0
		.amdhsa_next_free_vgpr 1
		.amdhsa_next_free_sgpr 1
		.amdhsa_named_barrier_count 0
		.amdhsa_reserve_vcc 0
		.amdhsa_float_round_mode_32 0
		.amdhsa_float_round_mode_16_64 0
		.amdhsa_float_denorm_mode_32 3
		.amdhsa_float_denorm_mode_16_64 3
		.amdhsa_fp16_overflow 0
		.amdhsa_memory_ordered 1
		.amdhsa_forward_progress 1
		.amdhsa_inst_pref_size 0
		.amdhsa_round_robin_scheduling 0
		.amdhsa_exception_fp_ieee_invalid_op 0
		.amdhsa_exception_fp_denorm_src 0
		.amdhsa_exception_fp_ieee_div_zero 0
		.amdhsa_exception_fp_ieee_overflow 0
		.amdhsa_exception_fp_ieee_underflow 0
		.amdhsa_exception_fp_ieee_inexact 0
		.amdhsa_exception_int_div_zero 0
	.end_amdhsa_kernel
	.section	.text._ZN7rocprim17ROCPRIM_400000_NS6detail17trampoline_kernelINS0_14default_configENS1_27scan_by_key_config_selectorIidEEZZNS1_16scan_by_key_implILNS1_25lookback_scan_determinismE0ELb1ES3_N6thrust23THRUST_200600_302600_NS6detail15normal_iteratorINS9_10device_ptrIiEEEENSB_INSC_IdEEEESG_dNS9_4plusIvEENS9_8equal_toIvEEdEE10hipError_tPvRmT2_T3_T4_T5_mT6_T7_P12ihipStream_tbENKUlT_T0_E_clISt17integral_constantIbLb0EES11_EEDaSW_SX_EUlSW_E_NS1_11comp_targetILNS1_3genE8ELNS1_11target_archE1030ELNS1_3gpuE2ELNS1_3repE0EEENS1_30default_config_static_selectorELNS0_4arch9wavefront6targetE0EEEvT1_,"axG",@progbits,_ZN7rocprim17ROCPRIM_400000_NS6detail17trampoline_kernelINS0_14default_configENS1_27scan_by_key_config_selectorIidEEZZNS1_16scan_by_key_implILNS1_25lookback_scan_determinismE0ELb1ES3_N6thrust23THRUST_200600_302600_NS6detail15normal_iteratorINS9_10device_ptrIiEEEENSB_INSC_IdEEEESG_dNS9_4plusIvEENS9_8equal_toIvEEdEE10hipError_tPvRmT2_T3_T4_T5_mT6_T7_P12ihipStream_tbENKUlT_T0_E_clISt17integral_constantIbLb0EES11_EEDaSW_SX_EUlSW_E_NS1_11comp_targetILNS1_3genE8ELNS1_11target_archE1030ELNS1_3gpuE2ELNS1_3repE0EEENS1_30default_config_static_selectorELNS0_4arch9wavefront6targetE0EEEvT1_,comdat
.Lfunc_end1399:
	.size	_ZN7rocprim17ROCPRIM_400000_NS6detail17trampoline_kernelINS0_14default_configENS1_27scan_by_key_config_selectorIidEEZZNS1_16scan_by_key_implILNS1_25lookback_scan_determinismE0ELb1ES3_N6thrust23THRUST_200600_302600_NS6detail15normal_iteratorINS9_10device_ptrIiEEEENSB_INSC_IdEEEESG_dNS9_4plusIvEENS9_8equal_toIvEEdEE10hipError_tPvRmT2_T3_T4_T5_mT6_T7_P12ihipStream_tbENKUlT_T0_E_clISt17integral_constantIbLb0EES11_EEDaSW_SX_EUlSW_E_NS1_11comp_targetILNS1_3genE8ELNS1_11target_archE1030ELNS1_3gpuE2ELNS1_3repE0EEENS1_30default_config_static_selectorELNS0_4arch9wavefront6targetE0EEEvT1_, .Lfunc_end1399-_ZN7rocprim17ROCPRIM_400000_NS6detail17trampoline_kernelINS0_14default_configENS1_27scan_by_key_config_selectorIidEEZZNS1_16scan_by_key_implILNS1_25lookback_scan_determinismE0ELb1ES3_N6thrust23THRUST_200600_302600_NS6detail15normal_iteratorINS9_10device_ptrIiEEEENSB_INSC_IdEEEESG_dNS9_4plusIvEENS9_8equal_toIvEEdEE10hipError_tPvRmT2_T3_T4_T5_mT6_T7_P12ihipStream_tbENKUlT_T0_E_clISt17integral_constantIbLb0EES11_EEDaSW_SX_EUlSW_E_NS1_11comp_targetILNS1_3genE8ELNS1_11target_archE1030ELNS1_3gpuE2ELNS1_3repE0EEENS1_30default_config_static_selectorELNS0_4arch9wavefront6targetE0EEEvT1_
                                        ; -- End function
	.set _ZN7rocprim17ROCPRIM_400000_NS6detail17trampoline_kernelINS0_14default_configENS1_27scan_by_key_config_selectorIidEEZZNS1_16scan_by_key_implILNS1_25lookback_scan_determinismE0ELb1ES3_N6thrust23THRUST_200600_302600_NS6detail15normal_iteratorINS9_10device_ptrIiEEEENSB_INSC_IdEEEESG_dNS9_4plusIvEENS9_8equal_toIvEEdEE10hipError_tPvRmT2_T3_T4_T5_mT6_T7_P12ihipStream_tbENKUlT_T0_E_clISt17integral_constantIbLb0EES11_EEDaSW_SX_EUlSW_E_NS1_11comp_targetILNS1_3genE8ELNS1_11target_archE1030ELNS1_3gpuE2ELNS1_3repE0EEENS1_30default_config_static_selectorELNS0_4arch9wavefront6targetE0EEEvT1_.num_vgpr, 0
	.set _ZN7rocprim17ROCPRIM_400000_NS6detail17trampoline_kernelINS0_14default_configENS1_27scan_by_key_config_selectorIidEEZZNS1_16scan_by_key_implILNS1_25lookback_scan_determinismE0ELb1ES3_N6thrust23THRUST_200600_302600_NS6detail15normal_iteratorINS9_10device_ptrIiEEEENSB_INSC_IdEEEESG_dNS9_4plusIvEENS9_8equal_toIvEEdEE10hipError_tPvRmT2_T3_T4_T5_mT6_T7_P12ihipStream_tbENKUlT_T0_E_clISt17integral_constantIbLb0EES11_EEDaSW_SX_EUlSW_E_NS1_11comp_targetILNS1_3genE8ELNS1_11target_archE1030ELNS1_3gpuE2ELNS1_3repE0EEENS1_30default_config_static_selectorELNS0_4arch9wavefront6targetE0EEEvT1_.num_agpr, 0
	.set _ZN7rocprim17ROCPRIM_400000_NS6detail17trampoline_kernelINS0_14default_configENS1_27scan_by_key_config_selectorIidEEZZNS1_16scan_by_key_implILNS1_25lookback_scan_determinismE0ELb1ES3_N6thrust23THRUST_200600_302600_NS6detail15normal_iteratorINS9_10device_ptrIiEEEENSB_INSC_IdEEEESG_dNS9_4plusIvEENS9_8equal_toIvEEdEE10hipError_tPvRmT2_T3_T4_T5_mT6_T7_P12ihipStream_tbENKUlT_T0_E_clISt17integral_constantIbLb0EES11_EEDaSW_SX_EUlSW_E_NS1_11comp_targetILNS1_3genE8ELNS1_11target_archE1030ELNS1_3gpuE2ELNS1_3repE0EEENS1_30default_config_static_selectorELNS0_4arch9wavefront6targetE0EEEvT1_.numbered_sgpr, 0
	.set _ZN7rocprim17ROCPRIM_400000_NS6detail17trampoline_kernelINS0_14default_configENS1_27scan_by_key_config_selectorIidEEZZNS1_16scan_by_key_implILNS1_25lookback_scan_determinismE0ELb1ES3_N6thrust23THRUST_200600_302600_NS6detail15normal_iteratorINS9_10device_ptrIiEEEENSB_INSC_IdEEEESG_dNS9_4plusIvEENS9_8equal_toIvEEdEE10hipError_tPvRmT2_T3_T4_T5_mT6_T7_P12ihipStream_tbENKUlT_T0_E_clISt17integral_constantIbLb0EES11_EEDaSW_SX_EUlSW_E_NS1_11comp_targetILNS1_3genE8ELNS1_11target_archE1030ELNS1_3gpuE2ELNS1_3repE0EEENS1_30default_config_static_selectorELNS0_4arch9wavefront6targetE0EEEvT1_.num_named_barrier, 0
	.set _ZN7rocprim17ROCPRIM_400000_NS6detail17trampoline_kernelINS0_14default_configENS1_27scan_by_key_config_selectorIidEEZZNS1_16scan_by_key_implILNS1_25lookback_scan_determinismE0ELb1ES3_N6thrust23THRUST_200600_302600_NS6detail15normal_iteratorINS9_10device_ptrIiEEEENSB_INSC_IdEEEESG_dNS9_4plusIvEENS9_8equal_toIvEEdEE10hipError_tPvRmT2_T3_T4_T5_mT6_T7_P12ihipStream_tbENKUlT_T0_E_clISt17integral_constantIbLb0EES11_EEDaSW_SX_EUlSW_E_NS1_11comp_targetILNS1_3genE8ELNS1_11target_archE1030ELNS1_3gpuE2ELNS1_3repE0EEENS1_30default_config_static_selectorELNS0_4arch9wavefront6targetE0EEEvT1_.private_seg_size, 0
	.set _ZN7rocprim17ROCPRIM_400000_NS6detail17trampoline_kernelINS0_14default_configENS1_27scan_by_key_config_selectorIidEEZZNS1_16scan_by_key_implILNS1_25lookback_scan_determinismE0ELb1ES3_N6thrust23THRUST_200600_302600_NS6detail15normal_iteratorINS9_10device_ptrIiEEEENSB_INSC_IdEEEESG_dNS9_4plusIvEENS9_8equal_toIvEEdEE10hipError_tPvRmT2_T3_T4_T5_mT6_T7_P12ihipStream_tbENKUlT_T0_E_clISt17integral_constantIbLb0EES11_EEDaSW_SX_EUlSW_E_NS1_11comp_targetILNS1_3genE8ELNS1_11target_archE1030ELNS1_3gpuE2ELNS1_3repE0EEENS1_30default_config_static_selectorELNS0_4arch9wavefront6targetE0EEEvT1_.uses_vcc, 0
	.set _ZN7rocprim17ROCPRIM_400000_NS6detail17trampoline_kernelINS0_14default_configENS1_27scan_by_key_config_selectorIidEEZZNS1_16scan_by_key_implILNS1_25lookback_scan_determinismE0ELb1ES3_N6thrust23THRUST_200600_302600_NS6detail15normal_iteratorINS9_10device_ptrIiEEEENSB_INSC_IdEEEESG_dNS9_4plusIvEENS9_8equal_toIvEEdEE10hipError_tPvRmT2_T3_T4_T5_mT6_T7_P12ihipStream_tbENKUlT_T0_E_clISt17integral_constantIbLb0EES11_EEDaSW_SX_EUlSW_E_NS1_11comp_targetILNS1_3genE8ELNS1_11target_archE1030ELNS1_3gpuE2ELNS1_3repE0EEENS1_30default_config_static_selectorELNS0_4arch9wavefront6targetE0EEEvT1_.uses_flat_scratch, 0
	.set _ZN7rocprim17ROCPRIM_400000_NS6detail17trampoline_kernelINS0_14default_configENS1_27scan_by_key_config_selectorIidEEZZNS1_16scan_by_key_implILNS1_25lookback_scan_determinismE0ELb1ES3_N6thrust23THRUST_200600_302600_NS6detail15normal_iteratorINS9_10device_ptrIiEEEENSB_INSC_IdEEEESG_dNS9_4plusIvEENS9_8equal_toIvEEdEE10hipError_tPvRmT2_T3_T4_T5_mT6_T7_P12ihipStream_tbENKUlT_T0_E_clISt17integral_constantIbLb0EES11_EEDaSW_SX_EUlSW_E_NS1_11comp_targetILNS1_3genE8ELNS1_11target_archE1030ELNS1_3gpuE2ELNS1_3repE0EEENS1_30default_config_static_selectorELNS0_4arch9wavefront6targetE0EEEvT1_.has_dyn_sized_stack, 0
	.set _ZN7rocprim17ROCPRIM_400000_NS6detail17trampoline_kernelINS0_14default_configENS1_27scan_by_key_config_selectorIidEEZZNS1_16scan_by_key_implILNS1_25lookback_scan_determinismE0ELb1ES3_N6thrust23THRUST_200600_302600_NS6detail15normal_iteratorINS9_10device_ptrIiEEEENSB_INSC_IdEEEESG_dNS9_4plusIvEENS9_8equal_toIvEEdEE10hipError_tPvRmT2_T3_T4_T5_mT6_T7_P12ihipStream_tbENKUlT_T0_E_clISt17integral_constantIbLb0EES11_EEDaSW_SX_EUlSW_E_NS1_11comp_targetILNS1_3genE8ELNS1_11target_archE1030ELNS1_3gpuE2ELNS1_3repE0EEENS1_30default_config_static_selectorELNS0_4arch9wavefront6targetE0EEEvT1_.has_recursion, 0
	.set _ZN7rocprim17ROCPRIM_400000_NS6detail17trampoline_kernelINS0_14default_configENS1_27scan_by_key_config_selectorIidEEZZNS1_16scan_by_key_implILNS1_25lookback_scan_determinismE0ELb1ES3_N6thrust23THRUST_200600_302600_NS6detail15normal_iteratorINS9_10device_ptrIiEEEENSB_INSC_IdEEEESG_dNS9_4plusIvEENS9_8equal_toIvEEdEE10hipError_tPvRmT2_T3_T4_T5_mT6_T7_P12ihipStream_tbENKUlT_T0_E_clISt17integral_constantIbLb0EES11_EEDaSW_SX_EUlSW_E_NS1_11comp_targetILNS1_3genE8ELNS1_11target_archE1030ELNS1_3gpuE2ELNS1_3repE0EEENS1_30default_config_static_selectorELNS0_4arch9wavefront6targetE0EEEvT1_.has_indirect_call, 0
	.section	.AMDGPU.csdata,"",@progbits
; Kernel info:
; codeLenInByte = 0
; TotalNumSgprs: 0
; NumVgprs: 0
; ScratchSize: 0
; MemoryBound: 0
; FloatMode: 240
; IeeeMode: 1
; LDSByteSize: 0 bytes/workgroup (compile time only)
; SGPRBlocks: 0
; VGPRBlocks: 0
; NumSGPRsForWavesPerEU: 1
; NumVGPRsForWavesPerEU: 1
; NamedBarCnt: 0
; Occupancy: 16
; WaveLimiterHint : 0
; COMPUTE_PGM_RSRC2:SCRATCH_EN: 0
; COMPUTE_PGM_RSRC2:USER_SGPR: 2
; COMPUTE_PGM_RSRC2:TRAP_HANDLER: 0
; COMPUTE_PGM_RSRC2:TGID_X_EN: 1
; COMPUTE_PGM_RSRC2:TGID_Y_EN: 0
; COMPUTE_PGM_RSRC2:TGID_Z_EN: 0
; COMPUTE_PGM_RSRC2:TIDIG_COMP_CNT: 0
	.section	.text._ZN7rocprim17ROCPRIM_400000_NS6detail17trampoline_kernelINS0_14default_configENS1_27scan_by_key_config_selectorIidEEZZNS1_16scan_by_key_implILNS1_25lookback_scan_determinismE0ELb1ES3_N6thrust23THRUST_200600_302600_NS6detail15normal_iteratorINS9_10device_ptrIiEEEENSB_INSC_IdEEEESG_dNS9_4plusIvEENS9_8equal_toIvEEdEE10hipError_tPvRmT2_T3_T4_T5_mT6_T7_P12ihipStream_tbENKUlT_T0_E_clISt17integral_constantIbLb1EES11_EEDaSW_SX_EUlSW_E_NS1_11comp_targetILNS1_3genE0ELNS1_11target_archE4294967295ELNS1_3gpuE0ELNS1_3repE0EEENS1_30default_config_static_selectorELNS0_4arch9wavefront6targetE0EEEvT1_,"axG",@progbits,_ZN7rocprim17ROCPRIM_400000_NS6detail17trampoline_kernelINS0_14default_configENS1_27scan_by_key_config_selectorIidEEZZNS1_16scan_by_key_implILNS1_25lookback_scan_determinismE0ELb1ES3_N6thrust23THRUST_200600_302600_NS6detail15normal_iteratorINS9_10device_ptrIiEEEENSB_INSC_IdEEEESG_dNS9_4plusIvEENS9_8equal_toIvEEdEE10hipError_tPvRmT2_T3_T4_T5_mT6_T7_P12ihipStream_tbENKUlT_T0_E_clISt17integral_constantIbLb1EES11_EEDaSW_SX_EUlSW_E_NS1_11comp_targetILNS1_3genE0ELNS1_11target_archE4294967295ELNS1_3gpuE0ELNS1_3repE0EEENS1_30default_config_static_selectorELNS0_4arch9wavefront6targetE0EEEvT1_,comdat
	.protected	_ZN7rocprim17ROCPRIM_400000_NS6detail17trampoline_kernelINS0_14default_configENS1_27scan_by_key_config_selectorIidEEZZNS1_16scan_by_key_implILNS1_25lookback_scan_determinismE0ELb1ES3_N6thrust23THRUST_200600_302600_NS6detail15normal_iteratorINS9_10device_ptrIiEEEENSB_INSC_IdEEEESG_dNS9_4plusIvEENS9_8equal_toIvEEdEE10hipError_tPvRmT2_T3_T4_T5_mT6_T7_P12ihipStream_tbENKUlT_T0_E_clISt17integral_constantIbLb1EES11_EEDaSW_SX_EUlSW_E_NS1_11comp_targetILNS1_3genE0ELNS1_11target_archE4294967295ELNS1_3gpuE0ELNS1_3repE0EEENS1_30default_config_static_selectorELNS0_4arch9wavefront6targetE0EEEvT1_ ; -- Begin function _ZN7rocprim17ROCPRIM_400000_NS6detail17trampoline_kernelINS0_14default_configENS1_27scan_by_key_config_selectorIidEEZZNS1_16scan_by_key_implILNS1_25lookback_scan_determinismE0ELb1ES3_N6thrust23THRUST_200600_302600_NS6detail15normal_iteratorINS9_10device_ptrIiEEEENSB_INSC_IdEEEESG_dNS9_4plusIvEENS9_8equal_toIvEEdEE10hipError_tPvRmT2_T3_T4_T5_mT6_T7_P12ihipStream_tbENKUlT_T0_E_clISt17integral_constantIbLb1EES11_EEDaSW_SX_EUlSW_E_NS1_11comp_targetILNS1_3genE0ELNS1_11target_archE4294967295ELNS1_3gpuE0ELNS1_3repE0EEENS1_30default_config_static_selectorELNS0_4arch9wavefront6targetE0EEEvT1_
	.globl	_ZN7rocprim17ROCPRIM_400000_NS6detail17trampoline_kernelINS0_14default_configENS1_27scan_by_key_config_selectorIidEEZZNS1_16scan_by_key_implILNS1_25lookback_scan_determinismE0ELb1ES3_N6thrust23THRUST_200600_302600_NS6detail15normal_iteratorINS9_10device_ptrIiEEEENSB_INSC_IdEEEESG_dNS9_4plusIvEENS9_8equal_toIvEEdEE10hipError_tPvRmT2_T3_T4_T5_mT6_T7_P12ihipStream_tbENKUlT_T0_E_clISt17integral_constantIbLb1EES11_EEDaSW_SX_EUlSW_E_NS1_11comp_targetILNS1_3genE0ELNS1_11target_archE4294967295ELNS1_3gpuE0ELNS1_3repE0EEENS1_30default_config_static_selectorELNS0_4arch9wavefront6targetE0EEEvT1_
	.p2align	8
	.type	_ZN7rocprim17ROCPRIM_400000_NS6detail17trampoline_kernelINS0_14default_configENS1_27scan_by_key_config_selectorIidEEZZNS1_16scan_by_key_implILNS1_25lookback_scan_determinismE0ELb1ES3_N6thrust23THRUST_200600_302600_NS6detail15normal_iteratorINS9_10device_ptrIiEEEENSB_INSC_IdEEEESG_dNS9_4plusIvEENS9_8equal_toIvEEdEE10hipError_tPvRmT2_T3_T4_T5_mT6_T7_P12ihipStream_tbENKUlT_T0_E_clISt17integral_constantIbLb1EES11_EEDaSW_SX_EUlSW_E_NS1_11comp_targetILNS1_3genE0ELNS1_11target_archE4294967295ELNS1_3gpuE0ELNS1_3repE0EEENS1_30default_config_static_selectorELNS0_4arch9wavefront6targetE0EEEvT1_,@function
_ZN7rocprim17ROCPRIM_400000_NS6detail17trampoline_kernelINS0_14default_configENS1_27scan_by_key_config_selectorIidEEZZNS1_16scan_by_key_implILNS1_25lookback_scan_determinismE0ELb1ES3_N6thrust23THRUST_200600_302600_NS6detail15normal_iteratorINS9_10device_ptrIiEEEENSB_INSC_IdEEEESG_dNS9_4plusIvEENS9_8equal_toIvEEdEE10hipError_tPvRmT2_T3_T4_T5_mT6_T7_P12ihipStream_tbENKUlT_T0_E_clISt17integral_constantIbLb1EES11_EEDaSW_SX_EUlSW_E_NS1_11comp_targetILNS1_3genE0ELNS1_11target_archE4294967295ELNS1_3gpuE0ELNS1_3repE0EEENS1_30default_config_static_selectorELNS0_4arch9wavefront6targetE0EEEvT1_: ; @_ZN7rocprim17ROCPRIM_400000_NS6detail17trampoline_kernelINS0_14default_configENS1_27scan_by_key_config_selectorIidEEZZNS1_16scan_by_key_implILNS1_25lookback_scan_determinismE0ELb1ES3_N6thrust23THRUST_200600_302600_NS6detail15normal_iteratorINS9_10device_ptrIiEEEENSB_INSC_IdEEEESG_dNS9_4plusIvEENS9_8equal_toIvEEdEE10hipError_tPvRmT2_T3_T4_T5_mT6_T7_P12ihipStream_tbENKUlT_T0_E_clISt17integral_constantIbLb1EES11_EEDaSW_SX_EUlSW_E_NS1_11comp_targetILNS1_3genE0ELNS1_11target_archE4294967295ELNS1_3gpuE0ELNS1_3repE0EEENS1_30default_config_static_selectorELNS0_4arch9wavefront6targetE0EEEvT1_
; %bb.0:
	s_endpgm
	.section	.rodata,"a",@progbits
	.p2align	6, 0x0
	.amdhsa_kernel _ZN7rocprim17ROCPRIM_400000_NS6detail17trampoline_kernelINS0_14default_configENS1_27scan_by_key_config_selectorIidEEZZNS1_16scan_by_key_implILNS1_25lookback_scan_determinismE0ELb1ES3_N6thrust23THRUST_200600_302600_NS6detail15normal_iteratorINS9_10device_ptrIiEEEENSB_INSC_IdEEEESG_dNS9_4plusIvEENS9_8equal_toIvEEdEE10hipError_tPvRmT2_T3_T4_T5_mT6_T7_P12ihipStream_tbENKUlT_T0_E_clISt17integral_constantIbLb1EES11_EEDaSW_SX_EUlSW_E_NS1_11comp_targetILNS1_3genE0ELNS1_11target_archE4294967295ELNS1_3gpuE0ELNS1_3repE0EEENS1_30default_config_static_selectorELNS0_4arch9wavefront6targetE0EEEvT1_
		.amdhsa_group_segment_fixed_size 0
		.amdhsa_private_segment_fixed_size 0
		.amdhsa_kernarg_size 136
		.amdhsa_user_sgpr_count 2
		.amdhsa_user_sgpr_dispatch_ptr 0
		.amdhsa_user_sgpr_queue_ptr 0
		.amdhsa_user_sgpr_kernarg_segment_ptr 1
		.amdhsa_user_sgpr_dispatch_id 0
		.amdhsa_user_sgpr_kernarg_preload_length 0
		.amdhsa_user_sgpr_kernarg_preload_offset 0
		.amdhsa_user_sgpr_private_segment_size 0
		.amdhsa_wavefront_size32 1
		.amdhsa_uses_dynamic_stack 0
		.amdhsa_enable_private_segment 0
		.amdhsa_system_sgpr_workgroup_id_x 1
		.amdhsa_system_sgpr_workgroup_id_y 0
		.amdhsa_system_sgpr_workgroup_id_z 0
		.amdhsa_system_sgpr_workgroup_info 0
		.amdhsa_system_vgpr_workitem_id 0
		.amdhsa_next_free_vgpr 1
		.amdhsa_next_free_sgpr 1
		.amdhsa_named_barrier_count 0
		.amdhsa_reserve_vcc 0
		.amdhsa_float_round_mode_32 0
		.amdhsa_float_round_mode_16_64 0
		.amdhsa_float_denorm_mode_32 3
		.amdhsa_float_denorm_mode_16_64 3
		.amdhsa_fp16_overflow 0
		.amdhsa_memory_ordered 1
		.amdhsa_forward_progress 1
		.amdhsa_inst_pref_size 1
		.amdhsa_round_robin_scheduling 0
		.amdhsa_exception_fp_ieee_invalid_op 0
		.amdhsa_exception_fp_denorm_src 0
		.amdhsa_exception_fp_ieee_div_zero 0
		.amdhsa_exception_fp_ieee_overflow 0
		.amdhsa_exception_fp_ieee_underflow 0
		.amdhsa_exception_fp_ieee_inexact 0
		.amdhsa_exception_int_div_zero 0
	.end_amdhsa_kernel
	.section	.text._ZN7rocprim17ROCPRIM_400000_NS6detail17trampoline_kernelINS0_14default_configENS1_27scan_by_key_config_selectorIidEEZZNS1_16scan_by_key_implILNS1_25lookback_scan_determinismE0ELb1ES3_N6thrust23THRUST_200600_302600_NS6detail15normal_iteratorINS9_10device_ptrIiEEEENSB_INSC_IdEEEESG_dNS9_4plusIvEENS9_8equal_toIvEEdEE10hipError_tPvRmT2_T3_T4_T5_mT6_T7_P12ihipStream_tbENKUlT_T0_E_clISt17integral_constantIbLb1EES11_EEDaSW_SX_EUlSW_E_NS1_11comp_targetILNS1_3genE0ELNS1_11target_archE4294967295ELNS1_3gpuE0ELNS1_3repE0EEENS1_30default_config_static_selectorELNS0_4arch9wavefront6targetE0EEEvT1_,"axG",@progbits,_ZN7rocprim17ROCPRIM_400000_NS6detail17trampoline_kernelINS0_14default_configENS1_27scan_by_key_config_selectorIidEEZZNS1_16scan_by_key_implILNS1_25lookback_scan_determinismE0ELb1ES3_N6thrust23THRUST_200600_302600_NS6detail15normal_iteratorINS9_10device_ptrIiEEEENSB_INSC_IdEEEESG_dNS9_4plusIvEENS9_8equal_toIvEEdEE10hipError_tPvRmT2_T3_T4_T5_mT6_T7_P12ihipStream_tbENKUlT_T0_E_clISt17integral_constantIbLb1EES11_EEDaSW_SX_EUlSW_E_NS1_11comp_targetILNS1_3genE0ELNS1_11target_archE4294967295ELNS1_3gpuE0ELNS1_3repE0EEENS1_30default_config_static_selectorELNS0_4arch9wavefront6targetE0EEEvT1_,comdat
.Lfunc_end1400:
	.size	_ZN7rocprim17ROCPRIM_400000_NS6detail17trampoline_kernelINS0_14default_configENS1_27scan_by_key_config_selectorIidEEZZNS1_16scan_by_key_implILNS1_25lookback_scan_determinismE0ELb1ES3_N6thrust23THRUST_200600_302600_NS6detail15normal_iteratorINS9_10device_ptrIiEEEENSB_INSC_IdEEEESG_dNS9_4plusIvEENS9_8equal_toIvEEdEE10hipError_tPvRmT2_T3_T4_T5_mT6_T7_P12ihipStream_tbENKUlT_T0_E_clISt17integral_constantIbLb1EES11_EEDaSW_SX_EUlSW_E_NS1_11comp_targetILNS1_3genE0ELNS1_11target_archE4294967295ELNS1_3gpuE0ELNS1_3repE0EEENS1_30default_config_static_selectorELNS0_4arch9wavefront6targetE0EEEvT1_, .Lfunc_end1400-_ZN7rocprim17ROCPRIM_400000_NS6detail17trampoline_kernelINS0_14default_configENS1_27scan_by_key_config_selectorIidEEZZNS1_16scan_by_key_implILNS1_25lookback_scan_determinismE0ELb1ES3_N6thrust23THRUST_200600_302600_NS6detail15normal_iteratorINS9_10device_ptrIiEEEENSB_INSC_IdEEEESG_dNS9_4plusIvEENS9_8equal_toIvEEdEE10hipError_tPvRmT2_T3_T4_T5_mT6_T7_P12ihipStream_tbENKUlT_T0_E_clISt17integral_constantIbLb1EES11_EEDaSW_SX_EUlSW_E_NS1_11comp_targetILNS1_3genE0ELNS1_11target_archE4294967295ELNS1_3gpuE0ELNS1_3repE0EEENS1_30default_config_static_selectorELNS0_4arch9wavefront6targetE0EEEvT1_
                                        ; -- End function
	.set _ZN7rocprim17ROCPRIM_400000_NS6detail17trampoline_kernelINS0_14default_configENS1_27scan_by_key_config_selectorIidEEZZNS1_16scan_by_key_implILNS1_25lookback_scan_determinismE0ELb1ES3_N6thrust23THRUST_200600_302600_NS6detail15normal_iteratorINS9_10device_ptrIiEEEENSB_INSC_IdEEEESG_dNS9_4plusIvEENS9_8equal_toIvEEdEE10hipError_tPvRmT2_T3_T4_T5_mT6_T7_P12ihipStream_tbENKUlT_T0_E_clISt17integral_constantIbLb1EES11_EEDaSW_SX_EUlSW_E_NS1_11comp_targetILNS1_3genE0ELNS1_11target_archE4294967295ELNS1_3gpuE0ELNS1_3repE0EEENS1_30default_config_static_selectorELNS0_4arch9wavefront6targetE0EEEvT1_.num_vgpr, 0
	.set _ZN7rocprim17ROCPRIM_400000_NS6detail17trampoline_kernelINS0_14default_configENS1_27scan_by_key_config_selectorIidEEZZNS1_16scan_by_key_implILNS1_25lookback_scan_determinismE0ELb1ES3_N6thrust23THRUST_200600_302600_NS6detail15normal_iteratorINS9_10device_ptrIiEEEENSB_INSC_IdEEEESG_dNS9_4plusIvEENS9_8equal_toIvEEdEE10hipError_tPvRmT2_T3_T4_T5_mT6_T7_P12ihipStream_tbENKUlT_T0_E_clISt17integral_constantIbLb1EES11_EEDaSW_SX_EUlSW_E_NS1_11comp_targetILNS1_3genE0ELNS1_11target_archE4294967295ELNS1_3gpuE0ELNS1_3repE0EEENS1_30default_config_static_selectorELNS0_4arch9wavefront6targetE0EEEvT1_.num_agpr, 0
	.set _ZN7rocprim17ROCPRIM_400000_NS6detail17trampoline_kernelINS0_14default_configENS1_27scan_by_key_config_selectorIidEEZZNS1_16scan_by_key_implILNS1_25lookback_scan_determinismE0ELb1ES3_N6thrust23THRUST_200600_302600_NS6detail15normal_iteratorINS9_10device_ptrIiEEEENSB_INSC_IdEEEESG_dNS9_4plusIvEENS9_8equal_toIvEEdEE10hipError_tPvRmT2_T3_T4_T5_mT6_T7_P12ihipStream_tbENKUlT_T0_E_clISt17integral_constantIbLb1EES11_EEDaSW_SX_EUlSW_E_NS1_11comp_targetILNS1_3genE0ELNS1_11target_archE4294967295ELNS1_3gpuE0ELNS1_3repE0EEENS1_30default_config_static_selectorELNS0_4arch9wavefront6targetE0EEEvT1_.numbered_sgpr, 0
	.set _ZN7rocprim17ROCPRIM_400000_NS6detail17trampoline_kernelINS0_14default_configENS1_27scan_by_key_config_selectorIidEEZZNS1_16scan_by_key_implILNS1_25lookback_scan_determinismE0ELb1ES3_N6thrust23THRUST_200600_302600_NS6detail15normal_iteratorINS9_10device_ptrIiEEEENSB_INSC_IdEEEESG_dNS9_4plusIvEENS9_8equal_toIvEEdEE10hipError_tPvRmT2_T3_T4_T5_mT6_T7_P12ihipStream_tbENKUlT_T0_E_clISt17integral_constantIbLb1EES11_EEDaSW_SX_EUlSW_E_NS1_11comp_targetILNS1_3genE0ELNS1_11target_archE4294967295ELNS1_3gpuE0ELNS1_3repE0EEENS1_30default_config_static_selectorELNS0_4arch9wavefront6targetE0EEEvT1_.num_named_barrier, 0
	.set _ZN7rocprim17ROCPRIM_400000_NS6detail17trampoline_kernelINS0_14default_configENS1_27scan_by_key_config_selectorIidEEZZNS1_16scan_by_key_implILNS1_25lookback_scan_determinismE0ELb1ES3_N6thrust23THRUST_200600_302600_NS6detail15normal_iteratorINS9_10device_ptrIiEEEENSB_INSC_IdEEEESG_dNS9_4plusIvEENS9_8equal_toIvEEdEE10hipError_tPvRmT2_T3_T4_T5_mT6_T7_P12ihipStream_tbENKUlT_T0_E_clISt17integral_constantIbLb1EES11_EEDaSW_SX_EUlSW_E_NS1_11comp_targetILNS1_3genE0ELNS1_11target_archE4294967295ELNS1_3gpuE0ELNS1_3repE0EEENS1_30default_config_static_selectorELNS0_4arch9wavefront6targetE0EEEvT1_.private_seg_size, 0
	.set _ZN7rocprim17ROCPRIM_400000_NS6detail17trampoline_kernelINS0_14default_configENS1_27scan_by_key_config_selectorIidEEZZNS1_16scan_by_key_implILNS1_25lookback_scan_determinismE0ELb1ES3_N6thrust23THRUST_200600_302600_NS6detail15normal_iteratorINS9_10device_ptrIiEEEENSB_INSC_IdEEEESG_dNS9_4plusIvEENS9_8equal_toIvEEdEE10hipError_tPvRmT2_T3_T4_T5_mT6_T7_P12ihipStream_tbENKUlT_T0_E_clISt17integral_constantIbLb1EES11_EEDaSW_SX_EUlSW_E_NS1_11comp_targetILNS1_3genE0ELNS1_11target_archE4294967295ELNS1_3gpuE0ELNS1_3repE0EEENS1_30default_config_static_selectorELNS0_4arch9wavefront6targetE0EEEvT1_.uses_vcc, 0
	.set _ZN7rocprim17ROCPRIM_400000_NS6detail17trampoline_kernelINS0_14default_configENS1_27scan_by_key_config_selectorIidEEZZNS1_16scan_by_key_implILNS1_25lookback_scan_determinismE0ELb1ES3_N6thrust23THRUST_200600_302600_NS6detail15normal_iteratorINS9_10device_ptrIiEEEENSB_INSC_IdEEEESG_dNS9_4plusIvEENS9_8equal_toIvEEdEE10hipError_tPvRmT2_T3_T4_T5_mT6_T7_P12ihipStream_tbENKUlT_T0_E_clISt17integral_constantIbLb1EES11_EEDaSW_SX_EUlSW_E_NS1_11comp_targetILNS1_3genE0ELNS1_11target_archE4294967295ELNS1_3gpuE0ELNS1_3repE0EEENS1_30default_config_static_selectorELNS0_4arch9wavefront6targetE0EEEvT1_.uses_flat_scratch, 0
	.set _ZN7rocprim17ROCPRIM_400000_NS6detail17trampoline_kernelINS0_14default_configENS1_27scan_by_key_config_selectorIidEEZZNS1_16scan_by_key_implILNS1_25lookback_scan_determinismE0ELb1ES3_N6thrust23THRUST_200600_302600_NS6detail15normal_iteratorINS9_10device_ptrIiEEEENSB_INSC_IdEEEESG_dNS9_4plusIvEENS9_8equal_toIvEEdEE10hipError_tPvRmT2_T3_T4_T5_mT6_T7_P12ihipStream_tbENKUlT_T0_E_clISt17integral_constantIbLb1EES11_EEDaSW_SX_EUlSW_E_NS1_11comp_targetILNS1_3genE0ELNS1_11target_archE4294967295ELNS1_3gpuE0ELNS1_3repE0EEENS1_30default_config_static_selectorELNS0_4arch9wavefront6targetE0EEEvT1_.has_dyn_sized_stack, 0
	.set _ZN7rocprim17ROCPRIM_400000_NS6detail17trampoline_kernelINS0_14default_configENS1_27scan_by_key_config_selectorIidEEZZNS1_16scan_by_key_implILNS1_25lookback_scan_determinismE0ELb1ES3_N6thrust23THRUST_200600_302600_NS6detail15normal_iteratorINS9_10device_ptrIiEEEENSB_INSC_IdEEEESG_dNS9_4plusIvEENS9_8equal_toIvEEdEE10hipError_tPvRmT2_T3_T4_T5_mT6_T7_P12ihipStream_tbENKUlT_T0_E_clISt17integral_constantIbLb1EES11_EEDaSW_SX_EUlSW_E_NS1_11comp_targetILNS1_3genE0ELNS1_11target_archE4294967295ELNS1_3gpuE0ELNS1_3repE0EEENS1_30default_config_static_selectorELNS0_4arch9wavefront6targetE0EEEvT1_.has_recursion, 0
	.set _ZN7rocprim17ROCPRIM_400000_NS6detail17trampoline_kernelINS0_14default_configENS1_27scan_by_key_config_selectorIidEEZZNS1_16scan_by_key_implILNS1_25lookback_scan_determinismE0ELb1ES3_N6thrust23THRUST_200600_302600_NS6detail15normal_iteratorINS9_10device_ptrIiEEEENSB_INSC_IdEEEESG_dNS9_4plusIvEENS9_8equal_toIvEEdEE10hipError_tPvRmT2_T3_T4_T5_mT6_T7_P12ihipStream_tbENKUlT_T0_E_clISt17integral_constantIbLb1EES11_EEDaSW_SX_EUlSW_E_NS1_11comp_targetILNS1_3genE0ELNS1_11target_archE4294967295ELNS1_3gpuE0ELNS1_3repE0EEENS1_30default_config_static_selectorELNS0_4arch9wavefront6targetE0EEEvT1_.has_indirect_call, 0
	.section	.AMDGPU.csdata,"",@progbits
; Kernel info:
; codeLenInByte = 4
; TotalNumSgprs: 0
; NumVgprs: 0
; ScratchSize: 0
; MemoryBound: 0
; FloatMode: 240
; IeeeMode: 1
; LDSByteSize: 0 bytes/workgroup (compile time only)
; SGPRBlocks: 0
; VGPRBlocks: 0
; NumSGPRsForWavesPerEU: 1
; NumVGPRsForWavesPerEU: 1
; NamedBarCnt: 0
; Occupancy: 16
; WaveLimiterHint : 0
; COMPUTE_PGM_RSRC2:SCRATCH_EN: 0
; COMPUTE_PGM_RSRC2:USER_SGPR: 2
; COMPUTE_PGM_RSRC2:TRAP_HANDLER: 0
; COMPUTE_PGM_RSRC2:TGID_X_EN: 1
; COMPUTE_PGM_RSRC2:TGID_Y_EN: 0
; COMPUTE_PGM_RSRC2:TGID_Z_EN: 0
; COMPUTE_PGM_RSRC2:TIDIG_COMP_CNT: 0
	.section	.text._ZN7rocprim17ROCPRIM_400000_NS6detail17trampoline_kernelINS0_14default_configENS1_27scan_by_key_config_selectorIidEEZZNS1_16scan_by_key_implILNS1_25lookback_scan_determinismE0ELb1ES3_N6thrust23THRUST_200600_302600_NS6detail15normal_iteratorINS9_10device_ptrIiEEEENSB_INSC_IdEEEESG_dNS9_4plusIvEENS9_8equal_toIvEEdEE10hipError_tPvRmT2_T3_T4_T5_mT6_T7_P12ihipStream_tbENKUlT_T0_E_clISt17integral_constantIbLb1EES11_EEDaSW_SX_EUlSW_E_NS1_11comp_targetILNS1_3genE10ELNS1_11target_archE1201ELNS1_3gpuE5ELNS1_3repE0EEENS1_30default_config_static_selectorELNS0_4arch9wavefront6targetE0EEEvT1_,"axG",@progbits,_ZN7rocprim17ROCPRIM_400000_NS6detail17trampoline_kernelINS0_14default_configENS1_27scan_by_key_config_selectorIidEEZZNS1_16scan_by_key_implILNS1_25lookback_scan_determinismE0ELb1ES3_N6thrust23THRUST_200600_302600_NS6detail15normal_iteratorINS9_10device_ptrIiEEEENSB_INSC_IdEEEESG_dNS9_4plusIvEENS9_8equal_toIvEEdEE10hipError_tPvRmT2_T3_T4_T5_mT6_T7_P12ihipStream_tbENKUlT_T0_E_clISt17integral_constantIbLb1EES11_EEDaSW_SX_EUlSW_E_NS1_11comp_targetILNS1_3genE10ELNS1_11target_archE1201ELNS1_3gpuE5ELNS1_3repE0EEENS1_30default_config_static_selectorELNS0_4arch9wavefront6targetE0EEEvT1_,comdat
	.protected	_ZN7rocprim17ROCPRIM_400000_NS6detail17trampoline_kernelINS0_14default_configENS1_27scan_by_key_config_selectorIidEEZZNS1_16scan_by_key_implILNS1_25lookback_scan_determinismE0ELb1ES3_N6thrust23THRUST_200600_302600_NS6detail15normal_iteratorINS9_10device_ptrIiEEEENSB_INSC_IdEEEESG_dNS9_4plusIvEENS9_8equal_toIvEEdEE10hipError_tPvRmT2_T3_T4_T5_mT6_T7_P12ihipStream_tbENKUlT_T0_E_clISt17integral_constantIbLb1EES11_EEDaSW_SX_EUlSW_E_NS1_11comp_targetILNS1_3genE10ELNS1_11target_archE1201ELNS1_3gpuE5ELNS1_3repE0EEENS1_30default_config_static_selectorELNS0_4arch9wavefront6targetE0EEEvT1_ ; -- Begin function _ZN7rocprim17ROCPRIM_400000_NS6detail17trampoline_kernelINS0_14default_configENS1_27scan_by_key_config_selectorIidEEZZNS1_16scan_by_key_implILNS1_25lookback_scan_determinismE0ELb1ES3_N6thrust23THRUST_200600_302600_NS6detail15normal_iteratorINS9_10device_ptrIiEEEENSB_INSC_IdEEEESG_dNS9_4plusIvEENS9_8equal_toIvEEdEE10hipError_tPvRmT2_T3_T4_T5_mT6_T7_P12ihipStream_tbENKUlT_T0_E_clISt17integral_constantIbLb1EES11_EEDaSW_SX_EUlSW_E_NS1_11comp_targetILNS1_3genE10ELNS1_11target_archE1201ELNS1_3gpuE5ELNS1_3repE0EEENS1_30default_config_static_selectorELNS0_4arch9wavefront6targetE0EEEvT1_
	.globl	_ZN7rocprim17ROCPRIM_400000_NS6detail17trampoline_kernelINS0_14default_configENS1_27scan_by_key_config_selectorIidEEZZNS1_16scan_by_key_implILNS1_25lookback_scan_determinismE0ELb1ES3_N6thrust23THRUST_200600_302600_NS6detail15normal_iteratorINS9_10device_ptrIiEEEENSB_INSC_IdEEEESG_dNS9_4plusIvEENS9_8equal_toIvEEdEE10hipError_tPvRmT2_T3_T4_T5_mT6_T7_P12ihipStream_tbENKUlT_T0_E_clISt17integral_constantIbLb1EES11_EEDaSW_SX_EUlSW_E_NS1_11comp_targetILNS1_3genE10ELNS1_11target_archE1201ELNS1_3gpuE5ELNS1_3repE0EEENS1_30default_config_static_selectorELNS0_4arch9wavefront6targetE0EEEvT1_
	.p2align	8
	.type	_ZN7rocprim17ROCPRIM_400000_NS6detail17trampoline_kernelINS0_14default_configENS1_27scan_by_key_config_selectorIidEEZZNS1_16scan_by_key_implILNS1_25lookback_scan_determinismE0ELb1ES3_N6thrust23THRUST_200600_302600_NS6detail15normal_iteratorINS9_10device_ptrIiEEEENSB_INSC_IdEEEESG_dNS9_4plusIvEENS9_8equal_toIvEEdEE10hipError_tPvRmT2_T3_T4_T5_mT6_T7_P12ihipStream_tbENKUlT_T0_E_clISt17integral_constantIbLb1EES11_EEDaSW_SX_EUlSW_E_NS1_11comp_targetILNS1_3genE10ELNS1_11target_archE1201ELNS1_3gpuE5ELNS1_3repE0EEENS1_30default_config_static_selectorELNS0_4arch9wavefront6targetE0EEEvT1_,@function
_ZN7rocprim17ROCPRIM_400000_NS6detail17trampoline_kernelINS0_14default_configENS1_27scan_by_key_config_selectorIidEEZZNS1_16scan_by_key_implILNS1_25lookback_scan_determinismE0ELb1ES3_N6thrust23THRUST_200600_302600_NS6detail15normal_iteratorINS9_10device_ptrIiEEEENSB_INSC_IdEEEESG_dNS9_4plusIvEENS9_8equal_toIvEEdEE10hipError_tPvRmT2_T3_T4_T5_mT6_T7_P12ihipStream_tbENKUlT_T0_E_clISt17integral_constantIbLb1EES11_EEDaSW_SX_EUlSW_E_NS1_11comp_targetILNS1_3genE10ELNS1_11target_archE1201ELNS1_3gpuE5ELNS1_3repE0EEENS1_30default_config_static_selectorELNS0_4arch9wavefront6targetE0EEEvT1_: ; @_ZN7rocprim17ROCPRIM_400000_NS6detail17trampoline_kernelINS0_14default_configENS1_27scan_by_key_config_selectorIidEEZZNS1_16scan_by_key_implILNS1_25lookback_scan_determinismE0ELb1ES3_N6thrust23THRUST_200600_302600_NS6detail15normal_iteratorINS9_10device_ptrIiEEEENSB_INSC_IdEEEESG_dNS9_4plusIvEENS9_8equal_toIvEEdEE10hipError_tPvRmT2_T3_T4_T5_mT6_T7_P12ihipStream_tbENKUlT_T0_E_clISt17integral_constantIbLb1EES11_EEDaSW_SX_EUlSW_E_NS1_11comp_targetILNS1_3genE10ELNS1_11target_archE1201ELNS1_3gpuE5ELNS1_3repE0EEENS1_30default_config_static_selectorELNS0_4arch9wavefront6targetE0EEEvT1_
; %bb.0:
	.section	.rodata,"a",@progbits
	.p2align	6, 0x0
	.amdhsa_kernel _ZN7rocprim17ROCPRIM_400000_NS6detail17trampoline_kernelINS0_14default_configENS1_27scan_by_key_config_selectorIidEEZZNS1_16scan_by_key_implILNS1_25lookback_scan_determinismE0ELb1ES3_N6thrust23THRUST_200600_302600_NS6detail15normal_iteratorINS9_10device_ptrIiEEEENSB_INSC_IdEEEESG_dNS9_4plusIvEENS9_8equal_toIvEEdEE10hipError_tPvRmT2_T3_T4_T5_mT6_T7_P12ihipStream_tbENKUlT_T0_E_clISt17integral_constantIbLb1EES11_EEDaSW_SX_EUlSW_E_NS1_11comp_targetILNS1_3genE10ELNS1_11target_archE1201ELNS1_3gpuE5ELNS1_3repE0EEENS1_30default_config_static_selectorELNS0_4arch9wavefront6targetE0EEEvT1_
		.amdhsa_group_segment_fixed_size 0
		.amdhsa_private_segment_fixed_size 0
		.amdhsa_kernarg_size 136
		.amdhsa_user_sgpr_count 2
		.amdhsa_user_sgpr_dispatch_ptr 0
		.amdhsa_user_sgpr_queue_ptr 0
		.amdhsa_user_sgpr_kernarg_segment_ptr 1
		.amdhsa_user_sgpr_dispatch_id 0
		.amdhsa_user_sgpr_kernarg_preload_length 0
		.amdhsa_user_sgpr_kernarg_preload_offset 0
		.amdhsa_user_sgpr_private_segment_size 0
		.amdhsa_wavefront_size32 1
		.amdhsa_uses_dynamic_stack 0
		.amdhsa_enable_private_segment 0
		.amdhsa_system_sgpr_workgroup_id_x 1
		.amdhsa_system_sgpr_workgroup_id_y 0
		.amdhsa_system_sgpr_workgroup_id_z 0
		.amdhsa_system_sgpr_workgroup_info 0
		.amdhsa_system_vgpr_workitem_id 0
		.amdhsa_next_free_vgpr 1
		.amdhsa_next_free_sgpr 1
		.amdhsa_named_barrier_count 0
		.amdhsa_reserve_vcc 0
		.amdhsa_float_round_mode_32 0
		.amdhsa_float_round_mode_16_64 0
		.amdhsa_float_denorm_mode_32 3
		.amdhsa_float_denorm_mode_16_64 3
		.amdhsa_fp16_overflow 0
		.amdhsa_memory_ordered 1
		.amdhsa_forward_progress 1
		.amdhsa_inst_pref_size 0
		.amdhsa_round_robin_scheduling 0
		.amdhsa_exception_fp_ieee_invalid_op 0
		.amdhsa_exception_fp_denorm_src 0
		.amdhsa_exception_fp_ieee_div_zero 0
		.amdhsa_exception_fp_ieee_overflow 0
		.amdhsa_exception_fp_ieee_underflow 0
		.amdhsa_exception_fp_ieee_inexact 0
		.amdhsa_exception_int_div_zero 0
	.end_amdhsa_kernel
	.section	.text._ZN7rocprim17ROCPRIM_400000_NS6detail17trampoline_kernelINS0_14default_configENS1_27scan_by_key_config_selectorIidEEZZNS1_16scan_by_key_implILNS1_25lookback_scan_determinismE0ELb1ES3_N6thrust23THRUST_200600_302600_NS6detail15normal_iteratorINS9_10device_ptrIiEEEENSB_INSC_IdEEEESG_dNS9_4plusIvEENS9_8equal_toIvEEdEE10hipError_tPvRmT2_T3_T4_T5_mT6_T7_P12ihipStream_tbENKUlT_T0_E_clISt17integral_constantIbLb1EES11_EEDaSW_SX_EUlSW_E_NS1_11comp_targetILNS1_3genE10ELNS1_11target_archE1201ELNS1_3gpuE5ELNS1_3repE0EEENS1_30default_config_static_selectorELNS0_4arch9wavefront6targetE0EEEvT1_,"axG",@progbits,_ZN7rocprim17ROCPRIM_400000_NS6detail17trampoline_kernelINS0_14default_configENS1_27scan_by_key_config_selectorIidEEZZNS1_16scan_by_key_implILNS1_25lookback_scan_determinismE0ELb1ES3_N6thrust23THRUST_200600_302600_NS6detail15normal_iteratorINS9_10device_ptrIiEEEENSB_INSC_IdEEEESG_dNS9_4plusIvEENS9_8equal_toIvEEdEE10hipError_tPvRmT2_T3_T4_T5_mT6_T7_P12ihipStream_tbENKUlT_T0_E_clISt17integral_constantIbLb1EES11_EEDaSW_SX_EUlSW_E_NS1_11comp_targetILNS1_3genE10ELNS1_11target_archE1201ELNS1_3gpuE5ELNS1_3repE0EEENS1_30default_config_static_selectorELNS0_4arch9wavefront6targetE0EEEvT1_,comdat
.Lfunc_end1401:
	.size	_ZN7rocprim17ROCPRIM_400000_NS6detail17trampoline_kernelINS0_14default_configENS1_27scan_by_key_config_selectorIidEEZZNS1_16scan_by_key_implILNS1_25lookback_scan_determinismE0ELb1ES3_N6thrust23THRUST_200600_302600_NS6detail15normal_iteratorINS9_10device_ptrIiEEEENSB_INSC_IdEEEESG_dNS9_4plusIvEENS9_8equal_toIvEEdEE10hipError_tPvRmT2_T3_T4_T5_mT6_T7_P12ihipStream_tbENKUlT_T0_E_clISt17integral_constantIbLb1EES11_EEDaSW_SX_EUlSW_E_NS1_11comp_targetILNS1_3genE10ELNS1_11target_archE1201ELNS1_3gpuE5ELNS1_3repE0EEENS1_30default_config_static_selectorELNS0_4arch9wavefront6targetE0EEEvT1_, .Lfunc_end1401-_ZN7rocprim17ROCPRIM_400000_NS6detail17trampoline_kernelINS0_14default_configENS1_27scan_by_key_config_selectorIidEEZZNS1_16scan_by_key_implILNS1_25lookback_scan_determinismE0ELb1ES3_N6thrust23THRUST_200600_302600_NS6detail15normal_iteratorINS9_10device_ptrIiEEEENSB_INSC_IdEEEESG_dNS9_4plusIvEENS9_8equal_toIvEEdEE10hipError_tPvRmT2_T3_T4_T5_mT6_T7_P12ihipStream_tbENKUlT_T0_E_clISt17integral_constantIbLb1EES11_EEDaSW_SX_EUlSW_E_NS1_11comp_targetILNS1_3genE10ELNS1_11target_archE1201ELNS1_3gpuE5ELNS1_3repE0EEENS1_30default_config_static_selectorELNS0_4arch9wavefront6targetE0EEEvT1_
                                        ; -- End function
	.set _ZN7rocprim17ROCPRIM_400000_NS6detail17trampoline_kernelINS0_14default_configENS1_27scan_by_key_config_selectorIidEEZZNS1_16scan_by_key_implILNS1_25lookback_scan_determinismE0ELb1ES3_N6thrust23THRUST_200600_302600_NS6detail15normal_iteratorINS9_10device_ptrIiEEEENSB_INSC_IdEEEESG_dNS9_4plusIvEENS9_8equal_toIvEEdEE10hipError_tPvRmT2_T3_T4_T5_mT6_T7_P12ihipStream_tbENKUlT_T0_E_clISt17integral_constantIbLb1EES11_EEDaSW_SX_EUlSW_E_NS1_11comp_targetILNS1_3genE10ELNS1_11target_archE1201ELNS1_3gpuE5ELNS1_3repE0EEENS1_30default_config_static_selectorELNS0_4arch9wavefront6targetE0EEEvT1_.num_vgpr, 0
	.set _ZN7rocprim17ROCPRIM_400000_NS6detail17trampoline_kernelINS0_14default_configENS1_27scan_by_key_config_selectorIidEEZZNS1_16scan_by_key_implILNS1_25lookback_scan_determinismE0ELb1ES3_N6thrust23THRUST_200600_302600_NS6detail15normal_iteratorINS9_10device_ptrIiEEEENSB_INSC_IdEEEESG_dNS9_4plusIvEENS9_8equal_toIvEEdEE10hipError_tPvRmT2_T3_T4_T5_mT6_T7_P12ihipStream_tbENKUlT_T0_E_clISt17integral_constantIbLb1EES11_EEDaSW_SX_EUlSW_E_NS1_11comp_targetILNS1_3genE10ELNS1_11target_archE1201ELNS1_3gpuE5ELNS1_3repE0EEENS1_30default_config_static_selectorELNS0_4arch9wavefront6targetE0EEEvT1_.num_agpr, 0
	.set _ZN7rocprim17ROCPRIM_400000_NS6detail17trampoline_kernelINS0_14default_configENS1_27scan_by_key_config_selectorIidEEZZNS1_16scan_by_key_implILNS1_25lookback_scan_determinismE0ELb1ES3_N6thrust23THRUST_200600_302600_NS6detail15normal_iteratorINS9_10device_ptrIiEEEENSB_INSC_IdEEEESG_dNS9_4plusIvEENS9_8equal_toIvEEdEE10hipError_tPvRmT2_T3_T4_T5_mT6_T7_P12ihipStream_tbENKUlT_T0_E_clISt17integral_constantIbLb1EES11_EEDaSW_SX_EUlSW_E_NS1_11comp_targetILNS1_3genE10ELNS1_11target_archE1201ELNS1_3gpuE5ELNS1_3repE0EEENS1_30default_config_static_selectorELNS0_4arch9wavefront6targetE0EEEvT1_.numbered_sgpr, 0
	.set _ZN7rocprim17ROCPRIM_400000_NS6detail17trampoline_kernelINS0_14default_configENS1_27scan_by_key_config_selectorIidEEZZNS1_16scan_by_key_implILNS1_25lookback_scan_determinismE0ELb1ES3_N6thrust23THRUST_200600_302600_NS6detail15normal_iteratorINS9_10device_ptrIiEEEENSB_INSC_IdEEEESG_dNS9_4plusIvEENS9_8equal_toIvEEdEE10hipError_tPvRmT2_T3_T4_T5_mT6_T7_P12ihipStream_tbENKUlT_T0_E_clISt17integral_constantIbLb1EES11_EEDaSW_SX_EUlSW_E_NS1_11comp_targetILNS1_3genE10ELNS1_11target_archE1201ELNS1_3gpuE5ELNS1_3repE0EEENS1_30default_config_static_selectorELNS0_4arch9wavefront6targetE0EEEvT1_.num_named_barrier, 0
	.set _ZN7rocprim17ROCPRIM_400000_NS6detail17trampoline_kernelINS0_14default_configENS1_27scan_by_key_config_selectorIidEEZZNS1_16scan_by_key_implILNS1_25lookback_scan_determinismE0ELb1ES3_N6thrust23THRUST_200600_302600_NS6detail15normal_iteratorINS9_10device_ptrIiEEEENSB_INSC_IdEEEESG_dNS9_4plusIvEENS9_8equal_toIvEEdEE10hipError_tPvRmT2_T3_T4_T5_mT6_T7_P12ihipStream_tbENKUlT_T0_E_clISt17integral_constantIbLb1EES11_EEDaSW_SX_EUlSW_E_NS1_11comp_targetILNS1_3genE10ELNS1_11target_archE1201ELNS1_3gpuE5ELNS1_3repE0EEENS1_30default_config_static_selectorELNS0_4arch9wavefront6targetE0EEEvT1_.private_seg_size, 0
	.set _ZN7rocprim17ROCPRIM_400000_NS6detail17trampoline_kernelINS0_14default_configENS1_27scan_by_key_config_selectorIidEEZZNS1_16scan_by_key_implILNS1_25lookback_scan_determinismE0ELb1ES3_N6thrust23THRUST_200600_302600_NS6detail15normal_iteratorINS9_10device_ptrIiEEEENSB_INSC_IdEEEESG_dNS9_4plusIvEENS9_8equal_toIvEEdEE10hipError_tPvRmT2_T3_T4_T5_mT6_T7_P12ihipStream_tbENKUlT_T0_E_clISt17integral_constantIbLb1EES11_EEDaSW_SX_EUlSW_E_NS1_11comp_targetILNS1_3genE10ELNS1_11target_archE1201ELNS1_3gpuE5ELNS1_3repE0EEENS1_30default_config_static_selectorELNS0_4arch9wavefront6targetE0EEEvT1_.uses_vcc, 0
	.set _ZN7rocprim17ROCPRIM_400000_NS6detail17trampoline_kernelINS0_14default_configENS1_27scan_by_key_config_selectorIidEEZZNS1_16scan_by_key_implILNS1_25lookback_scan_determinismE0ELb1ES3_N6thrust23THRUST_200600_302600_NS6detail15normal_iteratorINS9_10device_ptrIiEEEENSB_INSC_IdEEEESG_dNS9_4plusIvEENS9_8equal_toIvEEdEE10hipError_tPvRmT2_T3_T4_T5_mT6_T7_P12ihipStream_tbENKUlT_T0_E_clISt17integral_constantIbLb1EES11_EEDaSW_SX_EUlSW_E_NS1_11comp_targetILNS1_3genE10ELNS1_11target_archE1201ELNS1_3gpuE5ELNS1_3repE0EEENS1_30default_config_static_selectorELNS0_4arch9wavefront6targetE0EEEvT1_.uses_flat_scratch, 0
	.set _ZN7rocprim17ROCPRIM_400000_NS6detail17trampoline_kernelINS0_14default_configENS1_27scan_by_key_config_selectorIidEEZZNS1_16scan_by_key_implILNS1_25lookback_scan_determinismE0ELb1ES3_N6thrust23THRUST_200600_302600_NS6detail15normal_iteratorINS9_10device_ptrIiEEEENSB_INSC_IdEEEESG_dNS9_4plusIvEENS9_8equal_toIvEEdEE10hipError_tPvRmT2_T3_T4_T5_mT6_T7_P12ihipStream_tbENKUlT_T0_E_clISt17integral_constantIbLb1EES11_EEDaSW_SX_EUlSW_E_NS1_11comp_targetILNS1_3genE10ELNS1_11target_archE1201ELNS1_3gpuE5ELNS1_3repE0EEENS1_30default_config_static_selectorELNS0_4arch9wavefront6targetE0EEEvT1_.has_dyn_sized_stack, 0
	.set _ZN7rocprim17ROCPRIM_400000_NS6detail17trampoline_kernelINS0_14default_configENS1_27scan_by_key_config_selectorIidEEZZNS1_16scan_by_key_implILNS1_25lookback_scan_determinismE0ELb1ES3_N6thrust23THRUST_200600_302600_NS6detail15normal_iteratorINS9_10device_ptrIiEEEENSB_INSC_IdEEEESG_dNS9_4plusIvEENS9_8equal_toIvEEdEE10hipError_tPvRmT2_T3_T4_T5_mT6_T7_P12ihipStream_tbENKUlT_T0_E_clISt17integral_constantIbLb1EES11_EEDaSW_SX_EUlSW_E_NS1_11comp_targetILNS1_3genE10ELNS1_11target_archE1201ELNS1_3gpuE5ELNS1_3repE0EEENS1_30default_config_static_selectorELNS0_4arch9wavefront6targetE0EEEvT1_.has_recursion, 0
	.set _ZN7rocprim17ROCPRIM_400000_NS6detail17trampoline_kernelINS0_14default_configENS1_27scan_by_key_config_selectorIidEEZZNS1_16scan_by_key_implILNS1_25lookback_scan_determinismE0ELb1ES3_N6thrust23THRUST_200600_302600_NS6detail15normal_iteratorINS9_10device_ptrIiEEEENSB_INSC_IdEEEESG_dNS9_4plusIvEENS9_8equal_toIvEEdEE10hipError_tPvRmT2_T3_T4_T5_mT6_T7_P12ihipStream_tbENKUlT_T0_E_clISt17integral_constantIbLb1EES11_EEDaSW_SX_EUlSW_E_NS1_11comp_targetILNS1_3genE10ELNS1_11target_archE1201ELNS1_3gpuE5ELNS1_3repE0EEENS1_30default_config_static_selectorELNS0_4arch9wavefront6targetE0EEEvT1_.has_indirect_call, 0
	.section	.AMDGPU.csdata,"",@progbits
; Kernel info:
; codeLenInByte = 0
; TotalNumSgprs: 0
; NumVgprs: 0
; ScratchSize: 0
; MemoryBound: 0
; FloatMode: 240
; IeeeMode: 1
; LDSByteSize: 0 bytes/workgroup (compile time only)
; SGPRBlocks: 0
; VGPRBlocks: 0
; NumSGPRsForWavesPerEU: 1
; NumVGPRsForWavesPerEU: 1
; NamedBarCnt: 0
; Occupancy: 16
; WaveLimiterHint : 0
; COMPUTE_PGM_RSRC2:SCRATCH_EN: 0
; COMPUTE_PGM_RSRC2:USER_SGPR: 2
; COMPUTE_PGM_RSRC2:TRAP_HANDLER: 0
; COMPUTE_PGM_RSRC2:TGID_X_EN: 1
; COMPUTE_PGM_RSRC2:TGID_Y_EN: 0
; COMPUTE_PGM_RSRC2:TGID_Z_EN: 0
; COMPUTE_PGM_RSRC2:TIDIG_COMP_CNT: 0
	.section	.text._ZN7rocprim17ROCPRIM_400000_NS6detail17trampoline_kernelINS0_14default_configENS1_27scan_by_key_config_selectorIidEEZZNS1_16scan_by_key_implILNS1_25lookback_scan_determinismE0ELb1ES3_N6thrust23THRUST_200600_302600_NS6detail15normal_iteratorINS9_10device_ptrIiEEEENSB_INSC_IdEEEESG_dNS9_4plusIvEENS9_8equal_toIvEEdEE10hipError_tPvRmT2_T3_T4_T5_mT6_T7_P12ihipStream_tbENKUlT_T0_E_clISt17integral_constantIbLb1EES11_EEDaSW_SX_EUlSW_E_NS1_11comp_targetILNS1_3genE5ELNS1_11target_archE942ELNS1_3gpuE9ELNS1_3repE0EEENS1_30default_config_static_selectorELNS0_4arch9wavefront6targetE0EEEvT1_,"axG",@progbits,_ZN7rocprim17ROCPRIM_400000_NS6detail17trampoline_kernelINS0_14default_configENS1_27scan_by_key_config_selectorIidEEZZNS1_16scan_by_key_implILNS1_25lookback_scan_determinismE0ELb1ES3_N6thrust23THRUST_200600_302600_NS6detail15normal_iteratorINS9_10device_ptrIiEEEENSB_INSC_IdEEEESG_dNS9_4plusIvEENS9_8equal_toIvEEdEE10hipError_tPvRmT2_T3_T4_T5_mT6_T7_P12ihipStream_tbENKUlT_T0_E_clISt17integral_constantIbLb1EES11_EEDaSW_SX_EUlSW_E_NS1_11comp_targetILNS1_3genE5ELNS1_11target_archE942ELNS1_3gpuE9ELNS1_3repE0EEENS1_30default_config_static_selectorELNS0_4arch9wavefront6targetE0EEEvT1_,comdat
	.protected	_ZN7rocprim17ROCPRIM_400000_NS6detail17trampoline_kernelINS0_14default_configENS1_27scan_by_key_config_selectorIidEEZZNS1_16scan_by_key_implILNS1_25lookback_scan_determinismE0ELb1ES3_N6thrust23THRUST_200600_302600_NS6detail15normal_iteratorINS9_10device_ptrIiEEEENSB_INSC_IdEEEESG_dNS9_4plusIvEENS9_8equal_toIvEEdEE10hipError_tPvRmT2_T3_T4_T5_mT6_T7_P12ihipStream_tbENKUlT_T0_E_clISt17integral_constantIbLb1EES11_EEDaSW_SX_EUlSW_E_NS1_11comp_targetILNS1_3genE5ELNS1_11target_archE942ELNS1_3gpuE9ELNS1_3repE0EEENS1_30default_config_static_selectorELNS0_4arch9wavefront6targetE0EEEvT1_ ; -- Begin function _ZN7rocprim17ROCPRIM_400000_NS6detail17trampoline_kernelINS0_14default_configENS1_27scan_by_key_config_selectorIidEEZZNS1_16scan_by_key_implILNS1_25lookback_scan_determinismE0ELb1ES3_N6thrust23THRUST_200600_302600_NS6detail15normal_iteratorINS9_10device_ptrIiEEEENSB_INSC_IdEEEESG_dNS9_4plusIvEENS9_8equal_toIvEEdEE10hipError_tPvRmT2_T3_T4_T5_mT6_T7_P12ihipStream_tbENKUlT_T0_E_clISt17integral_constantIbLb1EES11_EEDaSW_SX_EUlSW_E_NS1_11comp_targetILNS1_3genE5ELNS1_11target_archE942ELNS1_3gpuE9ELNS1_3repE0EEENS1_30default_config_static_selectorELNS0_4arch9wavefront6targetE0EEEvT1_
	.globl	_ZN7rocprim17ROCPRIM_400000_NS6detail17trampoline_kernelINS0_14default_configENS1_27scan_by_key_config_selectorIidEEZZNS1_16scan_by_key_implILNS1_25lookback_scan_determinismE0ELb1ES3_N6thrust23THRUST_200600_302600_NS6detail15normal_iteratorINS9_10device_ptrIiEEEENSB_INSC_IdEEEESG_dNS9_4plusIvEENS9_8equal_toIvEEdEE10hipError_tPvRmT2_T3_T4_T5_mT6_T7_P12ihipStream_tbENKUlT_T0_E_clISt17integral_constantIbLb1EES11_EEDaSW_SX_EUlSW_E_NS1_11comp_targetILNS1_3genE5ELNS1_11target_archE942ELNS1_3gpuE9ELNS1_3repE0EEENS1_30default_config_static_selectorELNS0_4arch9wavefront6targetE0EEEvT1_
	.p2align	8
	.type	_ZN7rocprim17ROCPRIM_400000_NS6detail17trampoline_kernelINS0_14default_configENS1_27scan_by_key_config_selectorIidEEZZNS1_16scan_by_key_implILNS1_25lookback_scan_determinismE0ELb1ES3_N6thrust23THRUST_200600_302600_NS6detail15normal_iteratorINS9_10device_ptrIiEEEENSB_INSC_IdEEEESG_dNS9_4plusIvEENS9_8equal_toIvEEdEE10hipError_tPvRmT2_T3_T4_T5_mT6_T7_P12ihipStream_tbENKUlT_T0_E_clISt17integral_constantIbLb1EES11_EEDaSW_SX_EUlSW_E_NS1_11comp_targetILNS1_3genE5ELNS1_11target_archE942ELNS1_3gpuE9ELNS1_3repE0EEENS1_30default_config_static_selectorELNS0_4arch9wavefront6targetE0EEEvT1_,@function
_ZN7rocprim17ROCPRIM_400000_NS6detail17trampoline_kernelINS0_14default_configENS1_27scan_by_key_config_selectorIidEEZZNS1_16scan_by_key_implILNS1_25lookback_scan_determinismE0ELb1ES3_N6thrust23THRUST_200600_302600_NS6detail15normal_iteratorINS9_10device_ptrIiEEEENSB_INSC_IdEEEESG_dNS9_4plusIvEENS9_8equal_toIvEEdEE10hipError_tPvRmT2_T3_T4_T5_mT6_T7_P12ihipStream_tbENKUlT_T0_E_clISt17integral_constantIbLb1EES11_EEDaSW_SX_EUlSW_E_NS1_11comp_targetILNS1_3genE5ELNS1_11target_archE942ELNS1_3gpuE9ELNS1_3repE0EEENS1_30default_config_static_selectorELNS0_4arch9wavefront6targetE0EEEvT1_: ; @_ZN7rocprim17ROCPRIM_400000_NS6detail17trampoline_kernelINS0_14default_configENS1_27scan_by_key_config_selectorIidEEZZNS1_16scan_by_key_implILNS1_25lookback_scan_determinismE0ELb1ES3_N6thrust23THRUST_200600_302600_NS6detail15normal_iteratorINS9_10device_ptrIiEEEENSB_INSC_IdEEEESG_dNS9_4plusIvEENS9_8equal_toIvEEdEE10hipError_tPvRmT2_T3_T4_T5_mT6_T7_P12ihipStream_tbENKUlT_T0_E_clISt17integral_constantIbLb1EES11_EEDaSW_SX_EUlSW_E_NS1_11comp_targetILNS1_3genE5ELNS1_11target_archE942ELNS1_3gpuE9ELNS1_3repE0EEENS1_30default_config_static_selectorELNS0_4arch9wavefront6targetE0EEEvT1_
; %bb.0:
	.section	.rodata,"a",@progbits
	.p2align	6, 0x0
	.amdhsa_kernel _ZN7rocprim17ROCPRIM_400000_NS6detail17trampoline_kernelINS0_14default_configENS1_27scan_by_key_config_selectorIidEEZZNS1_16scan_by_key_implILNS1_25lookback_scan_determinismE0ELb1ES3_N6thrust23THRUST_200600_302600_NS6detail15normal_iteratorINS9_10device_ptrIiEEEENSB_INSC_IdEEEESG_dNS9_4plusIvEENS9_8equal_toIvEEdEE10hipError_tPvRmT2_T3_T4_T5_mT6_T7_P12ihipStream_tbENKUlT_T0_E_clISt17integral_constantIbLb1EES11_EEDaSW_SX_EUlSW_E_NS1_11comp_targetILNS1_3genE5ELNS1_11target_archE942ELNS1_3gpuE9ELNS1_3repE0EEENS1_30default_config_static_selectorELNS0_4arch9wavefront6targetE0EEEvT1_
		.amdhsa_group_segment_fixed_size 0
		.amdhsa_private_segment_fixed_size 0
		.amdhsa_kernarg_size 136
		.amdhsa_user_sgpr_count 2
		.amdhsa_user_sgpr_dispatch_ptr 0
		.amdhsa_user_sgpr_queue_ptr 0
		.amdhsa_user_sgpr_kernarg_segment_ptr 1
		.amdhsa_user_sgpr_dispatch_id 0
		.amdhsa_user_sgpr_kernarg_preload_length 0
		.amdhsa_user_sgpr_kernarg_preload_offset 0
		.amdhsa_user_sgpr_private_segment_size 0
		.amdhsa_wavefront_size32 1
		.amdhsa_uses_dynamic_stack 0
		.amdhsa_enable_private_segment 0
		.amdhsa_system_sgpr_workgroup_id_x 1
		.amdhsa_system_sgpr_workgroup_id_y 0
		.amdhsa_system_sgpr_workgroup_id_z 0
		.amdhsa_system_sgpr_workgroup_info 0
		.amdhsa_system_vgpr_workitem_id 0
		.amdhsa_next_free_vgpr 1
		.amdhsa_next_free_sgpr 1
		.amdhsa_named_barrier_count 0
		.amdhsa_reserve_vcc 0
		.amdhsa_float_round_mode_32 0
		.amdhsa_float_round_mode_16_64 0
		.amdhsa_float_denorm_mode_32 3
		.amdhsa_float_denorm_mode_16_64 3
		.amdhsa_fp16_overflow 0
		.amdhsa_memory_ordered 1
		.amdhsa_forward_progress 1
		.amdhsa_inst_pref_size 0
		.amdhsa_round_robin_scheduling 0
		.amdhsa_exception_fp_ieee_invalid_op 0
		.amdhsa_exception_fp_denorm_src 0
		.amdhsa_exception_fp_ieee_div_zero 0
		.amdhsa_exception_fp_ieee_overflow 0
		.amdhsa_exception_fp_ieee_underflow 0
		.amdhsa_exception_fp_ieee_inexact 0
		.amdhsa_exception_int_div_zero 0
	.end_amdhsa_kernel
	.section	.text._ZN7rocprim17ROCPRIM_400000_NS6detail17trampoline_kernelINS0_14default_configENS1_27scan_by_key_config_selectorIidEEZZNS1_16scan_by_key_implILNS1_25lookback_scan_determinismE0ELb1ES3_N6thrust23THRUST_200600_302600_NS6detail15normal_iteratorINS9_10device_ptrIiEEEENSB_INSC_IdEEEESG_dNS9_4plusIvEENS9_8equal_toIvEEdEE10hipError_tPvRmT2_T3_T4_T5_mT6_T7_P12ihipStream_tbENKUlT_T0_E_clISt17integral_constantIbLb1EES11_EEDaSW_SX_EUlSW_E_NS1_11comp_targetILNS1_3genE5ELNS1_11target_archE942ELNS1_3gpuE9ELNS1_3repE0EEENS1_30default_config_static_selectorELNS0_4arch9wavefront6targetE0EEEvT1_,"axG",@progbits,_ZN7rocprim17ROCPRIM_400000_NS6detail17trampoline_kernelINS0_14default_configENS1_27scan_by_key_config_selectorIidEEZZNS1_16scan_by_key_implILNS1_25lookback_scan_determinismE0ELb1ES3_N6thrust23THRUST_200600_302600_NS6detail15normal_iteratorINS9_10device_ptrIiEEEENSB_INSC_IdEEEESG_dNS9_4plusIvEENS9_8equal_toIvEEdEE10hipError_tPvRmT2_T3_T4_T5_mT6_T7_P12ihipStream_tbENKUlT_T0_E_clISt17integral_constantIbLb1EES11_EEDaSW_SX_EUlSW_E_NS1_11comp_targetILNS1_3genE5ELNS1_11target_archE942ELNS1_3gpuE9ELNS1_3repE0EEENS1_30default_config_static_selectorELNS0_4arch9wavefront6targetE0EEEvT1_,comdat
.Lfunc_end1402:
	.size	_ZN7rocprim17ROCPRIM_400000_NS6detail17trampoline_kernelINS0_14default_configENS1_27scan_by_key_config_selectorIidEEZZNS1_16scan_by_key_implILNS1_25lookback_scan_determinismE0ELb1ES3_N6thrust23THRUST_200600_302600_NS6detail15normal_iteratorINS9_10device_ptrIiEEEENSB_INSC_IdEEEESG_dNS9_4plusIvEENS9_8equal_toIvEEdEE10hipError_tPvRmT2_T3_T4_T5_mT6_T7_P12ihipStream_tbENKUlT_T0_E_clISt17integral_constantIbLb1EES11_EEDaSW_SX_EUlSW_E_NS1_11comp_targetILNS1_3genE5ELNS1_11target_archE942ELNS1_3gpuE9ELNS1_3repE0EEENS1_30default_config_static_selectorELNS0_4arch9wavefront6targetE0EEEvT1_, .Lfunc_end1402-_ZN7rocprim17ROCPRIM_400000_NS6detail17trampoline_kernelINS0_14default_configENS1_27scan_by_key_config_selectorIidEEZZNS1_16scan_by_key_implILNS1_25lookback_scan_determinismE0ELb1ES3_N6thrust23THRUST_200600_302600_NS6detail15normal_iteratorINS9_10device_ptrIiEEEENSB_INSC_IdEEEESG_dNS9_4plusIvEENS9_8equal_toIvEEdEE10hipError_tPvRmT2_T3_T4_T5_mT6_T7_P12ihipStream_tbENKUlT_T0_E_clISt17integral_constantIbLb1EES11_EEDaSW_SX_EUlSW_E_NS1_11comp_targetILNS1_3genE5ELNS1_11target_archE942ELNS1_3gpuE9ELNS1_3repE0EEENS1_30default_config_static_selectorELNS0_4arch9wavefront6targetE0EEEvT1_
                                        ; -- End function
	.set _ZN7rocprim17ROCPRIM_400000_NS6detail17trampoline_kernelINS0_14default_configENS1_27scan_by_key_config_selectorIidEEZZNS1_16scan_by_key_implILNS1_25lookback_scan_determinismE0ELb1ES3_N6thrust23THRUST_200600_302600_NS6detail15normal_iteratorINS9_10device_ptrIiEEEENSB_INSC_IdEEEESG_dNS9_4plusIvEENS9_8equal_toIvEEdEE10hipError_tPvRmT2_T3_T4_T5_mT6_T7_P12ihipStream_tbENKUlT_T0_E_clISt17integral_constantIbLb1EES11_EEDaSW_SX_EUlSW_E_NS1_11comp_targetILNS1_3genE5ELNS1_11target_archE942ELNS1_3gpuE9ELNS1_3repE0EEENS1_30default_config_static_selectorELNS0_4arch9wavefront6targetE0EEEvT1_.num_vgpr, 0
	.set _ZN7rocprim17ROCPRIM_400000_NS6detail17trampoline_kernelINS0_14default_configENS1_27scan_by_key_config_selectorIidEEZZNS1_16scan_by_key_implILNS1_25lookback_scan_determinismE0ELb1ES3_N6thrust23THRUST_200600_302600_NS6detail15normal_iteratorINS9_10device_ptrIiEEEENSB_INSC_IdEEEESG_dNS9_4plusIvEENS9_8equal_toIvEEdEE10hipError_tPvRmT2_T3_T4_T5_mT6_T7_P12ihipStream_tbENKUlT_T0_E_clISt17integral_constantIbLb1EES11_EEDaSW_SX_EUlSW_E_NS1_11comp_targetILNS1_3genE5ELNS1_11target_archE942ELNS1_3gpuE9ELNS1_3repE0EEENS1_30default_config_static_selectorELNS0_4arch9wavefront6targetE0EEEvT1_.num_agpr, 0
	.set _ZN7rocprim17ROCPRIM_400000_NS6detail17trampoline_kernelINS0_14default_configENS1_27scan_by_key_config_selectorIidEEZZNS1_16scan_by_key_implILNS1_25lookback_scan_determinismE0ELb1ES3_N6thrust23THRUST_200600_302600_NS6detail15normal_iteratorINS9_10device_ptrIiEEEENSB_INSC_IdEEEESG_dNS9_4plusIvEENS9_8equal_toIvEEdEE10hipError_tPvRmT2_T3_T4_T5_mT6_T7_P12ihipStream_tbENKUlT_T0_E_clISt17integral_constantIbLb1EES11_EEDaSW_SX_EUlSW_E_NS1_11comp_targetILNS1_3genE5ELNS1_11target_archE942ELNS1_3gpuE9ELNS1_3repE0EEENS1_30default_config_static_selectorELNS0_4arch9wavefront6targetE0EEEvT1_.numbered_sgpr, 0
	.set _ZN7rocprim17ROCPRIM_400000_NS6detail17trampoline_kernelINS0_14default_configENS1_27scan_by_key_config_selectorIidEEZZNS1_16scan_by_key_implILNS1_25lookback_scan_determinismE0ELb1ES3_N6thrust23THRUST_200600_302600_NS6detail15normal_iteratorINS9_10device_ptrIiEEEENSB_INSC_IdEEEESG_dNS9_4plusIvEENS9_8equal_toIvEEdEE10hipError_tPvRmT2_T3_T4_T5_mT6_T7_P12ihipStream_tbENKUlT_T0_E_clISt17integral_constantIbLb1EES11_EEDaSW_SX_EUlSW_E_NS1_11comp_targetILNS1_3genE5ELNS1_11target_archE942ELNS1_3gpuE9ELNS1_3repE0EEENS1_30default_config_static_selectorELNS0_4arch9wavefront6targetE0EEEvT1_.num_named_barrier, 0
	.set _ZN7rocprim17ROCPRIM_400000_NS6detail17trampoline_kernelINS0_14default_configENS1_27scan_by_key_config_selectorIidEEZZNS1_16scan_by_key_implILNS1_25lookback_scan_determinismE0ELb1ES3_N6thrust23THRUST_200600_302600_NS6detail15normal_iteratorINS9_10device_ptrIiEEEENSB_INSC_IdEEEESG_dNS9_4plusIvEENS9_8equal_toIvEEdEE10hipError_tPvRmT2_T3_T4_T5_mT6_T7_P12ihipStream_tbENKUlT_T0_E_clISt17integral_constantIbLb1EES11_EEDaSW_SX_EUlSW_E_NS1_11comp_targetILNS1_3genE5ELNS1_11target_archE942ELNS1_3gpuE9ELNS1_3repE0EEENS1_30default_config_static_selectorELNS0_4arch9wavefront6targetE0EEEvT1_.private_seg_size, 0
	.set _ZN7rocprim17ROCPRIM_400000_NS6detail17trampoline_kernelINS0_14default_configENS1_27scan_by_key_config_selectorIidEEZZNS1_16scan_by_key_implILNS1_25lookback_scan_determinismE0ELb1ES3_N6thrust23THRUST_200600_302600_NS6detail15normal_iteratorINS9_10device_ptrIiEEEENSB_INSC_IdEEEESG_dNS9_4plusIvEENS9_8equal_toIvEEdEE10hipError_tPvRmT2_T3_T4_T5_mT6_T7_P12ihipStream_tbENKUlT_T0_E_clISt17integral_constantIbLb1EES11_EEDaSW_SX_EUlSW_E_NS1_11comp_targetILNS1_3genE5ELNS1_11target_archE942ELNS1_3gpuE9ELNS1_3repE0EEENS1_30default_config_static_selectorELNS0_4arch9wavefront6targetE0EEEvT1_.uses_vcc, 0
	.set _ZN7rocprim17ROCPRIM_400000_NS6detail17trampoline_kernelINS0_14default_configENS1_27scan_by_key_config_selectorIidEEZZNS1_16scan_by_key_implILNS1_25lookback_scan_determinismE0ELb1ES3_N6thrust23THRUST_200600_302600_NS6detail15normal_iteratorINS9_10device_ptrIiEEEENSB_INSC_IdEEEESG_dNS9_4plusIvEENS9_8equal_toIvEEdEE10hipError_tPvRmT2_T3_T4_T5_mT6_T7_P12ihipStream_tbENKUlT_T0_E_clISt17integral_constantIbLb1EES11_EEDaSW_SX_EUlSW_E_NS1_11comp_targetILNS1_3genE5ELNS1_11target_archE942ELNS1_3gpuE9ELNS1_3repE0EEENS1_30default_config_static_selectorELNS0_4arch9wavefront6targetE0EEEvT1_.uses_flat_scratch, 0
	.set _ZN7rocprim17ROCPRIM_400000_NS6detail17trampoline_kernelINS0_14default_configENS1_27scan_by_key_config_selectorIidEEZZNS1_16scan_by_key_implILNS1_25lookback_scan_determinismE0ELb1ES3_N6thrust23THRUST_200600_302600_NS6detail15normal_iteratorINS9_10device_ptrIiEEEENSB_INSC_IdEEEESG_dNS9_4plusIvEENS9_8equal_toIvEEdEE10hipError_tPvRmT2_T3_T4_T5_mT6_T7_P12ihipStream_tbENKUlT_T0_E_clISt17integral_constantIbLb1EES11_EEDaSW_SX_EUlSW_E_NS1_11comp_targetILNS1_3genE5ELNS1_11target_archE942ELNS1_3gpuE9ELNS1_3repE0EEENS1_30default_config_static_selectorELNS0_4arch9wavefront6targetE0EEEvT1_.has_dyn_sized_stack, 0
	.set _ZN7rocprim17ROCPRIM_400000_NS6detail17trampoline_kernelINS0_14default_configENS1_27scan_by_key_config_selectorIidEEZZNS1_16scan_by_key_implILNS1_25lookback_scan_determinismE0ELb1ES3_N6thrust23THRUST_200600_302600_NS6detail15normal_iteratorINS9_10device_ptrIiEEEENSB_INSC_IdEEEESG_dNS9_4plusIvEENS9_8equal_toIvEEdEE10hipError_tPvRmT2_T3_T4_T5_mT6_T7_P12ihipStream_tbENKUlT_T0_E_clISt17integral_constantIbLb1EES11_EEDaSW_SX_EUlSW_E_NS1_11comp_targetILNS1_3genE5ELNS1_11target_archE942ELNS1_3gpuE9ELNS1_3repE0EEENS1_30default_config_static_selectorELNS0_4arch9wavefront6targetE0EEEvT1_.has_recursion, 0
	.set _ZN7rocprim17ROCPRIM_400000_NS6detail17trampoline_kernelINS0_14default_configENS1_27scan_by_key_config_selectorIidEEZZNS1_16scan_by_key_implILNS1_25lookback_scan_determinismE0ELb1ES3_N6thrust23THRUST_200600_302600_NS6detail15normal_iteratorINS9_10device_ptrIiEEEENSB_INSC_IdEEEESG_dNS9_4plusIvEENS9_8equal_toIvEEdEE10hipError_tPvRmT2_T3_T4_T5_mT6_T7_P12ihipStream_tbENKUlT_T0_E_clISt17integral_constantIbLb1EES11_EEDaSW_SX_EUlSW_E_NS1_11comp_targetILNS1_3genE5ELNS1_11target_archE942ELNS1_3gpuE9ELNS1_3repE0EEENS1_30default_config_static_selectorELNS0_4arch9wavefront6targetE0EEEvT1_.has_indirect_call, 0
	.section	.AMDGPU.csdata,"",@progbits
; Kernel info:
; codeLenInByte = 0
; TotalNumSgprs: 0
; NumVgprs: 0
; ScratchSize: 0
; MemoryBound: 0
; FloatMode: 240
; IeeeMode: 1
; LDSByteSize: 0 bytes/workgroup (compile time only)
; SGPRBlocks: 0
; VGPRBlocks: 0
; NumSGPRsForWavesPerEU: 1
; NumVGPRsForWavesPerEU: 1
; NamedBarCnt: 0
; Occupancy: 16
; WaveLimiterHint : 0
; COMPUTE_PGM_RSRC2:SCRATCH_EN: 0
; COMPUTE_PGM_RSRC2:USER_SGPR: 2
; COMPUTE_PGM_RSRC2:TRAP_HANDLER: 0
; COMPUTE_PGM_RSRC2:TGID_X_EN: 1
; COMPUTE_PGM_RSRC2:TGID_Y_EN: 0
; COMPUTE_PGM_RSRC2:TGID_Z_EN: 0
; COMPUTE_PGM_RSRC2:TIDIG_COMP_CNT: 0
	.section	.text._ZN7rocprim17ROCPRIM_400000_NS6detail17trampoline_kernelINS0_14default_configENS1_27scan_by_key_config_selectorIidEEZZNS1_16scan_by_key_implILNS1_25lookback_scan_determinismE0ELb1ES3_N6thrust23THRUST_200600_302600_NS6detail15normal_iteratorINS9_10device_ptrIiEEEENSB_INSC_IdEEEESG_dNS9_4plusIvEENS9_8equal_toIvEEdEE10hipError_tPvRmT2_T3_T4_T5_mT6_T7_P12ihipStream_tbENKUlT_T0_E_clISt17integral_constantIbLb1EES11_EEDaSW_SX_EUlSW_E_NS1_11comp_targetILNS1_3genE4ELNS1_11target_archE910ELNS1_3gpuE8ELNS1_3repE0EEENS1_30default_config_static_selectorELNS0_4arch9wavefront6targetE0EEEvT1_,"axG",@progbits,_ZN7rocprim17ROCPRIM_400000_NS6detail17trampoline_kernelINS0_14default_configENS1_27scan_by_key_config_selectorIidEEZZNS1_16scan_by_key_implILNS1_25lookback_scan_determinismE0ELb1ES3_N6thrust23THRUST_200600_302600_NS6detail15normal_iteratorINS9_10device_ptrIiEEEENSB_INSC_IdEEEESG_dNS9_4plusIvEENS9_8equal_toIvEEdEE10hipError_tPvRmT2_T3_T4_T5_mT6_T7_P12ihipStream_tbENKUlT_T0_E_clISt17integral_constantIbLb1EES11_EEDaSW_SX_EUlSW_E_NS1_11comp_targetILNS1_3genE4ELNS1_11target_archE910ELNS1_3gpuE8ELNS1_3repE0EEENS1_30default_config_static_selectorELNS0_4arch9wavefront6targetE0EEEvT1_,comdat
	.protected	_ZN7rocprim17ROCPRIM_400000_NS6detail17trampoline_kernelINS0_14default_configENS1_27scan_by_key_config_selectorIidEEZZNS1_16scan_by_key_implILNS1_25lookback_scan_determinismE0ELb1ES3_N6thrust23THRUST_200600_302600_NS6detail15normal_iteratorINS9_10device_ptrIiEEEENSB_INSC_IdEEEESG_dNS9_4plusIvEENS9_8equal_toIvEEdEE10hipError_tPvRmT2_T3_T4_T5_mT6_T7_P12ihipStream_tbENKUlT_T0_E_clISt17integral_constantIbLb1EES11_EEDaSW_SX_EUlSW_E_NS1_11comp_targetILNS1_3genE4ELNS1_11target_archE910ELNS1_3gpuE8ELNS1_3repE0EEENS1_30default_config_static_selectorELNS0_4arch9wavefront6targetE0EEEvT1_ ; -- Begin function _ZN7rocprim17ROCPRIM_400000_NS6detail17trampoline_kernelINS0_14default_configENS1_27scan_by_key_config_selectorIidEEZZNS1_16scan_by_key_implILNS1_25lookback_scan_determinismE0ELb1ES3_N6thrust23THRUST_200600_302600_NS6detail15normal_iteratorINS9_10device_ptrIiEEEENSB_INSC_IdEEEESG_dNS9_4plusIvEENS9_8equal_toIvEEdEE10hipError_tPvRmT2_T3_T4_T5_mT6_T7_P12ihipStream_tbENKUlT_T0_E_clISt17integral_constantIbLb1EES11_EEDaSW_SX_EUlSW_E_NS1_11comp_targetILNS1_3genE4ELNS1_11target_archE910ELNS1_3gpuE8ELNS1_3repE0EEENS1_30default_config_static_selectorELNS0_4arch9wavefront6targetE0EEEvT1_
	.globl	_ZN7rocprim17ROCPRIM_400000_NS6detail17trampoline_kernelINS0_14default_configENS1_27scan_by_key_config_selectorIidEEZZNS1_16scan_by_key_implILNS1_25lookback_scan_determinismE0ELb1ES3_N6thrust23THRUST_200600_302600_NS6detail15normal_iteratorINS9_10device_ptrIiEEEENSB_INSC_IdEEEESG_dNS9_4plusIvEENS9_8equal_toIvEEdEE10hipError_tPvRmT2_T3_T4_T5_mT6_T7_P12ihipStream_tbENKUlT_T0_E_clISt17integral_constantIbLb1EES11_EEDaSW_SX_EUlSW_E_NS1_11comp_targetILNS1_3genE4ELNS1_11target_archE910ELNS1_3gpuE8ELNS1_3repE0EEENS1_30default_config_static_selectorELNS0_4arch9wavefront6targetE0EEEvT1_
	.p2align	8
	.type	_ZN7rocprim17ROCPRIM_400000_NS6detail17trampoline_kernelINS0_14default_configENS1_27scan_by_key_config_selectorIidEEZZNS1_16scan_by_key_implILNS1_25lookback_scan_determinismE0ELb1ES3_N6thrust23THRUST_200600_302600_NS6detail15normal_iteratorINS9_10device_ptrIiEEEENSB_INSC_IdEEEESG_dNS9_4plusIvEENS9_8equal_toIvEEdEE10hipError_tPvRmT2_T3_T4_T5_mT6_T7_P12ihipStream_tbENKUlT_T0_E_clISt17integral_constantIbLb1EES11_EEDaSW_SX_EUlSW_E_NS1_11comp_targetILNS1_3genE4ELNS1_11target_archE910ELNS1_3gpuE8ELNS1_3repE0EEENS1_30default_config_static_selectorELNS0_4arch9wavefront6targetE0EEEvT1_,@function
_ZN7rocprim17ROCPRIM_400000_NS6detail17trampoline_kernelINS0_14default_configENS1_27scan_by_key_config_selectorIidEEZZNS1_16scan_by_key_implILNS1_25lookback_scan_determinismE0ELb1ES3_N6thrust23THRUST_200600_302600_NS6detail15normal_iteratorINS9_10device_ptrIiEEEENSB_INSC_IdEEEESG_dNS9_4plusIvEENS9_8equal_toIvEEdEE10hipError_tPvRmT2_T3_T4_T5_mT6_T7_P12ihipStream_tbENKUlT_T0_E_clISt17integral_constantIbLb1EES11_EEDaSW_SX_EUlSW_E_NS1_11comp_targetILNS1_3genE4ELNS1_11target_archE910ELNS1_3gpuE8ELNS1_3repE0EEENS1_30default_config_static_selectorELNS0_4arch9wavefront6targetE0EEEvT1_: ; @_ZN7rocprim17ROCPRIM_400000_NS6detail17trampoline_kernelINS0_14default_configENS1_27scan_by_key_config_selectorIidEEZZNS1_16scan_by_key_implILNS1_25lookback_scan_determinismE0ELb1ES3_N6thrust23THRUST_200600_302600_NS6detail15normal_iteratorINS9_10device_ptrIiEEEENSB_INSC_IdEEEESG_dNS9_4plusIvEENS9_8equal_toIvEEdEE10hipError_tPvRmT2_T3_T4_T5_mT6_T7_P12ihipStream_tbENKUlT_T0_E_clISt17integral_constantIbLb1EES11_EEDaSW_SX_EUlSW_E_NS1_11comp_targetILNS1_3genE4ELNS1_11target_archE910ELNS1_3gpuE8ELNS1_3repE0EEENS1_30default_config_static_selectorELNS0_4arch9wavefront6targetE0EEEvT1_
; %bb.0:
	.section	.rodata,"a",@progbits
	.p2align	6, 0x0
	.amdhsa_kernel _ZN7rocprim17ROCPRIM_400000_NS6detail17trampoline_kernelINS0_14default_configENS1_27scan_by_key_config_selectorIidEEZZNS1_16scan_by_key_implILNS1_25lookback_scan_determinismE0ELb1ES3_N6thrust23THRUST_200600_302600_NS6detail15normal_iteratorINS9_10device_ptrIiEEEENSB_INSC_IdEEEESG_dNS9_4plusIvEENS9_8equal_toIvEEdEE10hipError_tPvRmT2_T3_T4_T5_mT6_T7_P12ihipStream_tbENKUlT_T0_E_clISt17integral_constantIbLb1EES11_EEDaSW_SX_EUlSW_E_NS1_11comp_targetILNS1_3genE4ELNS1_11target_archE910ELNS1_3gpuE8ELNS1_3repE0EEENS1_30default_config_static_selectorELNS0_4arch9wavefront6targetE0EEEvT1_
		.amdhsa_group_segment_fixed_size 0
		.amdhsa_private_segment_fixed_size 0
		.amdhsa_kernarg_size 136
		.amdhsa_user_sgpr_count 2
		.amdhsa_user_sgpr_dispatch_ptr 0
		.amdhsa_user_sgpr_queue_ptr 0
		.amdhsa_user_sgpr_kernarg_segment_ptr 1
		.amdhsa_user_sgpr_dispatch_id 0
		.amdhsa_user_sgpr_kernarg_preload_length 0
		.amdhsa_user_sgpr_kernarg_preload_offset 0
		.amdhsa_user_sgpr_private_segment_size 0
		.amdhsa_wavefront_size32 1
		.amdhsa_uses_dynamic_stack 0
		.amdhsa_enable_private_segment 0
		.amdhsa_system_sgpr_workgroup_id_x 1
		.amdhsa_system_sgpr_workgroup_id_y 0
		.amdhsa_system_sgpr_workgroup_id_z 0
		.amdhsa_system_sgpr_workgroup_info 0
		.amdhsa_system_vgpr_workitem_id 0
		.amdhsa_next_free_vgpr 1
		.amdhsa_next_free_sgpr 1
		.amdhsa_named_barrier_count 0
		.amdhsa_reserve_vcc 0
		.amdhsa_float_round_mode_32 0
		.amdhsa_float_round_mode_16_64 0
		.amdhsa_float_denorm_mode_32 3
		.amdhsa_float_denorm_mode_16_64 3
		.amdhsa_fp16_overflow 0
		.amdhsa_memory_ordered 1
		.amdhsa_forward_progress 1
		.amdhsa_inst_pref_size 0
		.amdhsa_round_robin_scheduling 0
		.amdhsa_exception_fp_ieee_invalid_op 0
		.amdhsa_exception_fp_denorm_src 0
		.amdhsa_exception_fp_ieee_div_zero 0
		.amdhsa_exception_fp_ieee_overflow 0
		.amdhsa_exception_fp_ieee_underflow 0
		.amdhsa_exception_fp_ieee_inexact 0
		.amdhsa_exception_int_div_zero 0
	.end_amdhsa_kernel
	.section	.text._ZN7rocprim17ROCPRIM_400000_NS6detail17trampoline_kernelINS0_14default_configENS1_27scan_by_key_config_selectorIidEEZZNS1_16scan_by_key_implILNS1_25lookback_scan_determinismE0ELb1ES3_N6thrust23THRUST_200600_302600_NS6detail15normal_iteratorINS9_10device_ptrIiEEEENSB_INSC_IdEEEESG_dNS9_4plusIvEENS9_8equal_toIvEEdEE10hipError_tPvRmT2_T3_T4_T5_mT6_T7_P12ihipStream_tbENKUlT_T0_E_clISt17integral_constantIbLb1EES11_EEDaSW_SX_EUlSW_E_NS1_11comp_targetILNS1_3genE4ELNS1_11target_archE910ELNS1_3gpuE8ELNS1_3repE0EEENS1_30default_config_static_selectorELNS0_4arch9wavefront6targetE0EEEvT1_,"axG",@progbits,_ZN7rocprim17ROCPRIM_400000_NS6detail17trampoline_kernelINS0_14default_configENS1_27scan_by_key_config_selectorIidEEZZNS1_16scan_by_key_implILNS1_25lookback_scan_determinismE0ELb1ES3_N6thrust23THRUST_200600_302600_NS6detail15normal_iteratorINS9_10device_ptrIiEEEENSB_INSC_IdEEEESG_dNS9_4plusIvEENS9_8equal_toIvEEdEE10hipError_tPvRmT2_T3_T4_T5_mT6_T7_P12ihipStream_tbENKUlT_T0_E_clISt17integral_constantIbLb1EES11_EEDaSW_SX_EUlSW_E_NS1_11comp_targetILNS1_3genE4ELNS1_11target_archE910ELNS1_3gpuE8ELNS1_3repE0EEENS1_30default_config_static_selectorELNS0_4arch9wavefront6targetE0EEEvT1_,comdat
.Lfunc_end1403:
	.size	_ZN7rocprim17ROCPRIM_400000_NS6detail17trampoline_kernelINS0_14default_configENS1_27scan_by_key_config_selectorIidEEZZNS1_16scan_by_key_implILNS1_25lookback_scan_determinismE0ELb1ES3_N6thrust23THRUST_200600_302600_NS6detail15normal_iteratorINS9_10device_ptrIiEEEENSB_INSC_IdEEEESG_dNS9_4plusIvEENS9_8equal_toIvEEdEE10hipError_tPvRmT2_T3_T4_T5_mT6_T7_P12ihipStream_tbENKUlT_T0_E_clISt17integral_constantIbLb1EES11_EEDaSW_SX_EUlSW_E_NS1_11comp_targetILNS1_3genE4ELNS1_11target_archE910ELNS1_3gpuE8ELNS1_3repE0EEENS1_30default_config_static_selectorELNS0_4arch9wavefront6targetE0EEEvT1_, .Lfunc_end1403-_ZN7rocprim17ROCPRIM_400000_NS6detail17trampoline_kernelINS0_14default_configENS1_27scan_by_key_config_selectorIidEEZZNS1_16scan_by_key_implILNS1_25lookback_scan_determinismE0ELb1ES3_N6thrust23THRUST_200600_302600_NS6detail15normal_iteratorINS9_10device_ptrIiEEEENSB_INSC_IdEEEESG_dNS9_4plusIvEENS9_8equal_toIvEEdEE10hipError_tPvRmT2_T3_T4_T5_mT6_T7_P12ihipStream_tbENKUlT_T0_E_clISt17integral_constantIbLb1EES11_EEDaSW_SX_EUlSW_E_NS1_11comp_targetILNS1_3genE4ELNS1_11target_archE910ELNS1_3gpuE8ELNS1_3repE0EEENS1_30default_config_static_selectorELNS0_4arch9wavefront6targetE0EEEvT1_
                                        ; -- End function
	.set _ZN7rocprim17ROCPRIM_400000_NS6detail17trampoline_kernelINS0_14default_configENS1_27scan_by_key_config_selectorIidEEZZNS1_16scan_by_key_implILNS1_25lookback_scan_determinismE0ELb1ES3_N6thrust23THRUST_200600_302600_NS6detail15normal_iteratorINS9_10device_ptrIiEEEENSB_INSC_IdEEEESG_dNS9_4plusIvEENS9_8equal_toIvEEdEE10hipError_tPvRmT2_T3_T4_T5_mT6_T7_P12ihipStream_tbENKUlT_T0_E_clISt17integral_constantIbLb1EES11_EEDaSW_SX_EUlSW_E_NS1_11comp_targetILNS1_3genE4ELNS1_11target_archE910ELNS1_3gpuE8ELNS1_3repE0EEENS1_30default_config_static_selectorELNS0_4arch9wavefront6targetE0EEEvT1_.num_vgpr, 0
	.set _ZN7rocprim17ROCPRIM_400000_NS6detail17trampoline_kernelINS0_14default_configENS1_27scan_by_key_config_selectorIidEEZZNS1_16scan_by_key_implILNS1_25lookback_scan_determinismE0ELb1ES3_N6thrust23THRUST_200600_302600_NS6detail15normal_iteratorINS9_10device_ptrIiEEEENSB_INSC_IdEEEESG_dNS9_4plusIvEENS9_8equal_toIvEEdEE10hipError_tPvRmT2_T3_T4_T5_mT6_T7_P12ihipStream_tbENKUlT_T0_E_clISt17integral_constantIbLb1EES11_EEDaSW_SX_EUlSW_E_NS1_11comp_targetILNS1_3genE4ELNS1_11target_archE910ELNS1_3gpuE8ELNS1_3repE0EEENS1_30default_config_static_selectorELNS0_4arch9wavefront6targetE0EEEvT1_.num_agpr, 0
	.set _ZN7rocprim17ROCPRIM_400000_NS6detail17trampoline_kernelINS0_14default_configENS1_27scan_by_key_config_selectorIidEEZZNS1_16scan_by_key_implILNS1_25lookback_scan_determinismE0ELb1ES3_N6thrust23THRUST_200600_302600_NS6detail15normal_iteratorINS9_10device_ptrIiEEEENSB_INSC_IdEEEESG_dNS9_4plusIvEENS9_8equal_toIvEEdEE10hipError_tPvRmT2_T3_T4_T5_mT6_T7_P12ihipStream_tbENKUlT_T0_E_clISt17integral_constantIbLb1EES11_EEDaSW_SX_EUlSW_E_NS1_11comp_targetILNS1_3genE4ELNS1_11target_archE910ELNS1_3gpuE8ELNS1_3repE0EEENS1_30default_config_static_selectorELNS0_4arch9wavefront6targetE0EEEvT1_.numbered_sgpr, 0
	.set _ZN7rocprim17ROCPRIM_400000_NS6detail17trampoline_kernelINS0_14default_configENS1_27scan_by_key_config_selectorIidEEZZNS1_16scan_by_key_implILNS1_25lookback_scan_determinismE0ELb1ES3_N6thrust23THRUST_200600_302600_NS6detail15normal_iteratorINS9_10device_ptrIiEEEENSB_INSC_IdEEEESG_dNS9_4plusIvEENS9_8equal_toIvEEdEE10hipError_tPvRmT2_T3_T4_T5_mT6_T7_P12ihipStream_tbENKUlT_T0_E_clISt17integral_constantIbLb1EES11_EEDaSW_SX_EUlSW_E_NS1_11comp_targetILNS1_3genE4ELNS1_11target_archE910ELNS1_3gpuE8ELNS1_3repE0EEENS1_30default_config_static_selectorELNS0_4arch9wavefront6targetE0EEEvT1_.num_named_barrier, 0
	.set _ZN7rocprim17ROCPRIM_400000_NS6detail17trampoline_kernelINS0_14default_configENS1_27scan_by_key_config_selectorIidEEZZNS1_16scan_by_key_implILNS1_25lookback_scan_determinismE0ELb1ES3_N6thrust23THRUST_200600_302600_NS6detail15normal_iteratorINS9_10device_ptrIiEEEENSB_INSC_IdEEEESG_dNS9_4plusIvEENS9_8equal_toIvEEdEE10hipError_tPvRmT2_T3_T4_T5_mT6_T7_P12ihipStream_tbENKUlT_T0_E_clISt17integral_constantIbLb1EES11_EEDaSW_SX_EUlSW_E_NS1_11comp_targetILNS1_3genE4ELNS1_11target_archE910ELNS1_3gpuE8ELNS1_3repE0EEENS1_30default_config_static_selectorELNS0_4arch9wavefront6targetE0EEEvT1_.private_seg_size, 0
	.set _ZN7rocprim17ROCPRIM_400000_NS6detail17trampoline_kernelINS0_14default_configENS1_27scan_by_key_config_selectorIidEEZZNS1_16scan_by_key_implILNS1_25lookback_scan_determinismE0ELb1ES3_N6thrust23THRUST_200600_302600_NS6detail15normal_iteratorINS9_10device_ptrIiEEEENSB_INSC_IdEEEESG_dNS9_4plusIvEENS9_8equal_toIvEEdEE10hipError_tPvRmT2_T3_T4_T5_mT6_T7_P12ihipStream_tbENKUlT_T0_E_clISt17integral_constantIbLb1EES11_EEDaSW_SX_EUlSW_E_NS1_11comp_targetILNS1_3genE4ELNS1_11target_archE910ELNS1_3gpuE8ELNS1_3repE0EEENS1_30default_config_static_selectorELNS0_4arch9wavefront6targetE0EEEvT1_.uses_vcc, 0
	.set _ZN7rocprim17ROCPRIM_400000_NS6detail17trampoline_kernelINS0_14default_configENS1_27scan_by_key_config_selectorIidEEZZNS1_16scan_by_key_implILNS1_25lookback_scan_determinismE0ELb1ES3_N6thrust23THRUST_200600_302600_NS6detail15normal_iteratorINS9_10device_ptrIiEEEENSB_INSC_IdEEEESG_dNS9_4plusIvEENS9_8equal_toIvEEdEE10hipError_tPvRmT2_T3_T4_T5_mT6_T7_P12ihipStream_tbENKUlT_T0_E_clISt17integral_constantIbLb1EES11_EEDaSW_SX_EUlSW_E_NS1_11comp_targetILNS1_3genE4ELNS1_11target_archE910ELNS1_3gpuE8ELNS1_3repE0EEENS1_30default_config_static_selectorELNS0_4arch9wavefront6targetE0EEEvT1_.uses_flat_scratch, 0
	.set _ZN7rocprim17ROCPRIM_400000_NS6detail17trampoline_kernelINS0_14default_configENS1_27scan_by_key_config_selectorIidEEZZNS1_16scan_by_key_implILNS1_25lookback_scan_determinismE0ELb1ES3_N6thrust23THRUST_200600_302600_NS6detail15normal_iteratorINS9_10device_ptrIiEEEENSB_INSC_IdEEEESG_dNS9_4plusIvEENS9_8equal_toIvEEdEE10hipError_tPvRmT2_T3_T4_T5_mT6_T7_P12ihipStream_tbENKUlT_T0_E_clISt17integral_constantIbLb1EES11_EEDaSW_SX_EUlSW_E_NS1_11comp_targetILNS1_3genE4ELNS1_11target_archE910ELNS1_3gpuE8ELNS1_3repE0EEENS1_30default_config_static_selectorELNS0_4arch9wavefront6targetE0EEEvT1_.has_dyn_sized_stack, 0
	.set _ZN7rocprim17ROCPRIM_400000_NS6detail17trampoline_kernelINS0_14default_configENS1_27scan_by_key_config_selectorIidEEZZNS1_16scan_by_key_implILNS1_25lookback_scan_determinismE0ELb1ES3_N6thrust23THRUST_200600_302600_NS6detail15normal_iteratorINS9_10device_ptrIiEEEENSB_INSC_IdEEEESG_dNS9_4plusIvEENS9_8equal_toIvEEdEE10hipError_tPvRmT2_T3_T4_T5_mT6_T7_P12ihipStream_tbENKUlT_T0_E_clISt17integral_constantIbLb1EES11_EEDaSW_SX_EUlSW_E_NS1_11comp_targetILNS1_3genE4ELNS1_11target_archE910ELNS1_3gpuE8ELNS1_3repE0EEENS1_30default_config_static_selectorELNS0_4arch9wavefront6targetE0EEEvT1_.has_recursion, 0
	.set _ZN7rocprim17ROCPRIM_400000_NS6detail17trampoline_kernelINS0_14default_configENS1_27scan_by_key_config_selectorIidEEZZNS1_16scan_by_key_implILNS1_25lookback_scan_determinismE0ELb1ES3_N6thrust23THRUST_200600_302600_NS6detail15normal_iteratorINS9_10device_ptrIiEEEENSB_INSC_IdEEEESG_dNS9_4plusIvEENS9_8equal_toIvEEdEE10hipError_tPvRmT2_T3_T4_T5_mT6_T7_P12ihipStream_tbENKUlT_T0_E_clISt17integral_constantIbLb1EES11_EEDaSW_SX_EUlSW_E_NS1_11comp_targetILNS1_3genE4ELNS1_11target_archE910ELNS1_3gpuE8ELNS1_3repE0EEENS1_30default_config_static_selectorELNS0_4arch9wavefront6targetE0EEEvT1_.has_indirect_call, 0
	.section	.AMDGPU.csdata,"",@progbits
; Kernel info:
; codeLenInByte = 0
; TotalNumSgprs: 0
; NumVgprs: 0
; ScratchSize: 0
; MemoryBound: 0
; FloatMode: 240
; IeeeMode: 1
; LDSByteSize: 0 bytes/workgroup (compile time only)
; SGPRBlocks: 0
; VGPRBlocks: 0
; NumSGPRsForWavesPerEU: 1
; NumVGPRsForWavesPerEU: 1
; NamedBarCnt: 0
; Occupancy: 16
; WaveLimiterHint : 0
; COMPUTE_PGM_RSRC2:SCRATCH_EN: 0
; COMPUTE_PGM_RSRC2:USER_SGPR: 2
; COMPUTE_PGM_RSRC2:TRAP_HANDLER: 0
; COMPUTE_PGM_RSRC2:TGID_X_EN: 1
; COMPUTE_PGM_RSRC2:TGID_Y_EN: 0
; COMPUTE_PGM_RSRC2:TGID_Z_EN: 0
; COMPUTE_PGM_RSRC2:TIDIG_COMP_CNT: 0
	.section	.text._ZN7rocprim17ROCPRIM_400000_NS6detail17trampoline_kernelINS0_14default_configENS1_27scan_by_key_config_selectorIidEEZZNS1_16scan_by_key_implILNS1_25lookback_scan_determinismE0ELb1ES3_N6thrust23THRUST_200600_302600_NS6detail15normal_iteratorINS9_10device_ptrIiEEEENSB_INSC_IdEEEESG_dNS9_4plusIvEENS9_8equal_toIvEEdEE10hipError_tPvRmT2_T3_T4_T5_mT6_T7_P12ihipStream_tbENKUlT_T0_E_clISt17integral_constantIbLb1EES11_EEDaSW_SX_EUlSW_E_NS1_11comp_targetILNS1_3genE3ELNS1_11target_archE908ELNS1_3gpuE7ELNS1_3repE0EEENS1_30default_config_static_selectorELNS0_4arch9wavefront6targetE0EEEvT1_,"axG",@progbits,_ZN7rocprim17ROCPRIM_400000_NS6detail17trampoline_kernelINS0_14default_configENS1_27scan_by_key_config_selectorIidEEZZNS1_16scan_by_key_implILNS1_25lookback_scan_determinismE0ELb1ES3_N6thrust23THRUST_200600_302600_NS6detail15normal_iteratorINS9_10device_ptrIiEEEENSB_INSC_IdEEEESG_dNS9_4plusIvEENS9_8equal_toIvEEdEE10hipError_tPvRmT2_T3_T4_T5_mT6_T7_P12ihipStream_tbENKUlT_T0_E_clISt17integral_constantIbLb1EES11_EEDaSW_SX_EUlSW_E_NS1_11comp_targetILNS1_3genE3ELNS1_11target_archE908ELNS1_3gpuE7ELNS1_3repE0EEENS1_30default_config_static_selectorELNS0_4arch9wavefront6targetE0EEEvT1_,comdat
	.protected	_ZN7rocprim17ROCPRIM_400000_NS6detail17trampoline_kernelINS0_14default_configENS1_27scan_by_key_config_selectorIidEEZZNS1_16scan_by_key_implILNS1_25lookback_scan_determinismE0ELb1ES3_N6thrust23THRUST_200600_302600_NS6detail15normal_iteratorINS9_10device_ptrIiEEEENSB_INSC_IdEEEESG_dNS9_4plusIvEENS9_8equal_toIvEEdEE10hipError_tPvRmT2_T3_T4_T5_mT6_T7_P12ihipStream_tbENKUlT_T0_E_clISt17integral_constantIbLb1EES11_EEDaSW_SX_EUlSW_E_NS1_11comp_targetILNS1_3genE3ELNS1_11target_archE908ELNS1_3gpuE7ELNS1_3repE0EEENS1_30default_config_static_selectorELNS0_4arch9wavefront6targetE0EEEvT1_ ; -- Begin function _ZN7rocprim17ROCPRIM_400000_NS6detail17trampoline_kernelINS0_14default_configENS1_27scan_by_key_config_selectorIidEEZZNS1_16scan_by_key_implILNS1_25lookback_scan_determinismE0ELb1ES3_N6thrust23THRUST_200600_302600_NS6detail15normal_iteratorINS9_10device_ptrIiEEEENSB_INSC_IdEEEESG_dNS9_4plusIvEENS9_8equal_toIvEEdEE10hipError_tPvRmT2_T3_T4_T5_mT6_T7_P12ihipStream_tbENKUlT_T0_E_clISt17integral_constantIbLb1EES11_EEDaSW_SX_EUlSW_E_NS1_11comp_targetILNS1_3genE3ELNS1_11target_archE908ELNS1_3gpuE7ELNS1_3repE0EEENS1_30default_config_static_selectorELNS0_4arch9wavefront6targetE0EEEvT1_
	.globl	_ZN7rocprim17ROCPRIM_400000_NS6detail17trampoline_kernelINS0_14default_configENS1_27scan_by_key_config_selectorIidEEZZNS1_16scan_by_key_implILNS1_25lookback_scan_determinismE0ELb1ES3_N6thrust23THRUST_200600_302600_NS6detail15normal_iteratorINS9_10device_ptrIiEEEENSB_INSC_IdEEEESG_dNS9_4plusIvEENS9_8equal_toIvEEdEE10hipError_tPvRmT2_T3_T4_T5_mT6_T7_P12ihipStream_tbENKUlT_T0_E_clISt17integral_constantIbLb1EES11_EEDaSW_SX_EUlSW_E_NS1_11comp_targetILNS1_3genE3ELNS1_11target_archE908ELNS1_3gpuE7ELNS1_3repE0EEENS1_30default_config_static_selectorELNS0_4arch9wavefront6targetE0EEEvT1_
	.p2align	8
	.type	_ZN7rocprim17ROCPRIM_400000_NS6detail17trampoline_kernelINS0_14default_configENS1_27scan_by_key_config_selectorIidEEZZNS1_16scan_by_key_implILNS1_25lookback_scan_determinismE0ELb1ES3_N6thrust23THRUST_200600_302600_NS6detail15normal_iteratorINS9_10device_ptrIiEEEENSB_INSC_IdEEEESG_dNS9_4plusIvEENS9_8equal_toIvEEdEE10hipError_tPvRmT2_T3_T4_T5_mT6_T7_P12ihipStream_tbENKUlT_T0_E_clISt17integral_constantIbLb1EES11_EEDaSW_SX_EUlSW_E_NS1_11comp_targetILNS1_3genE3ELNS1_11target_archE908ELNS1_3gpuE7ELNS1_3repE0EEENS1_30default_config_static_selectorELNS0_4arch9wavefront6targetE0EEEvT1_,@function
_ZN7rocprim17ROCPRIM_400000_NS6detail17trampoline_kernelINS0_14default_configENS1_27scan_by_key_config_selectorIidEEZZNS1_16scan_by_key_implILNS1_25lookback_scan_determinismE0ELb1ES3_N6thrust23THRUST_200600_302600_NS6detail15normal_iteratorINS9_10device_ptrIiEEEENSB_INSC_IdEEEESG_dNS9_4plusIvEENS9_8equal_toIvEEdEE10hipError_tPvRmT2_T3_T4_T5_mT6_T7_P12ihipStream_tbENKUlT_T0_E_clISt17integral_constantIbLb1EES11_EEDaSW_SX_EUlSW_E_NS1_11comp_targetILNS1_3genE3ELNS1_11target_archE908ELNS1_3gpuE7ELNS1_3repE0EEENS1_30default_config_static_selectorELNS0_4arch9wavefront6targetE0EEEvT1_: ; @_ZN7rocprim17ROCPRIM_400000_NS6detail17trampoline_kernelINS0_14default_configENS1_27scan_by_key_config_selectorIidEEZZNS1_16scan_by_key_implILNS1_25lookback_scan_determinismE0ELb1ES3_N6thrust23THRUST_200600_302600_NS6detail15normal_iteratorINS9_10device_ptrIiEEEENSB_INSC_IdEEEESG_dNS9_4plusIvEENS9_8equal_toIvEEdEE10hipError_tPvRmT2_T3_T4_T5_mT6_T7_P12ihipStream_tbENKUlT_T0_E_clISt17integral_constantIbLb1EES11_EEDaSW_SX_EUlSW_E_NS1_11comp_targetILNS1_3genE3ELNS1_11target_archE908ELNS1_3gpuE7ELNS1_3repE0EEENS1_30default_config_static_selectorELNS0_4arch9wavefront6targetE0EEEvT1_
; %bb.0:
	.section	.rodata,"a",@progbits
	.p2align	6, 0x0
	.amdhsa_kernel _ZN7rocprim17ROCPRIM_400000_NS6detail17trampoline_kernelINS0_14default_configENS1_27scan_by_key_config_selectorIidEEZZNS1_16scan_by_key_implILNS1_25lookback_scan_determinismE0ELb1ES3_N6thrust23THRUST_200600_302600_NS6detail15normal_iteratorINS9_10device_ptrIiEEEENSB_INSC_IdEEEESG_dNS9_4plusIvEENS9_8equal_toIvEEdEE10hipError_tPvRmT2_T3_T4_T5_mT6_T7_P12ihipStream_tbENKUlT_T0_E_clISt17integral_constantIbLb1EES11_EEDaSW_SX_EUlSW_E_NS1_11comp_targetILNS1_3genE3ELNS1_11target_archE908ELNS1_3gpuE7ELNS1_3repE0EEENS1_30default_config_static_selectorELNS0_4arch9wavefront6targetE0EEEvT1_
		.amdhsa_group_segment_fixed_size 0
		.amdhsa_private_segment_fixed_size 0
		.amdhsa_kernarg_size 136
		.amdhsa_user_sgpr_count 2
		.amdhsa_user_sgpr_dispatch_ptr 0
		.amdhsa_user_sgpr_queue_ptr 0
		.amdhsa_user_sgpr_kernarg_segment_ptr 1
		.amdhsa_user_sgpr_dispatch_id 0
		.amdhsa_user_sgpr_kernarg_preload_length 0
		.amdhsa_user_sgpr_kernarg_preload_offset 0
		.amdhsa_user_sgpr_private_segment_size 0
		.amdhsa_wavefront_size32 1
		.amdhsa_uses_dynamic_stack 0
		.amdhsa_enable_private_segment 0
		.amdhsa_system_sgpr_workgroup_id_x 1
		.amdhsa_system_sgpr_workgroup_id_y 0
		.amdhsa_system_sgpr_workgroup_id_z 0
		.amdhsa_system_sgpr_workgroup_info 0
		.amdhsa_system_vgpr_workitem_id 0
		.amdhsa_next_free_vgpr 1
		.amdhsa_next_free_sgpr 1
		.amdhsa_named_barrier_count 0
		.amdhsa_reserve_vcc 0
		.amdhsa_float_round_mode_32 0
		.amdhsa_float_round_mode_16_64 0
		.amdhsa_float_denorm_mode_32 3
		.amdhsa_float_denorm_mode_16_64 3
		.amdhsa_fp16_overflow 0
		.amdhsa_memory_ordered 1
		.amdhsa_forward_progress 1
		.amdhsa_inst_pref_size 0
		.amdhsa_round_robin_scheduling 0
		.amdhsa_exception_fp_ieee_invalid_op 0
		.amdhsa_exception_fp_denorm_src 0
		.amdhsa_exception_fp_ieee_div_zero 0
		.amdhsa_exception_fp_ieee_overflow 0
		.amdhsa_exception_fp_ieee_underflow 0
		.amdhsa_exception_fp_ieee_inexact 0
		.amdhsa_exception_int_div_zero 0
	.end_amdhsa_kernel
	.section	.text._ZN7rocprim17ROCPRIM_400000_NS6detail17trampoline_kernelINS0_14default_configENS1_27scan_by_key_config_selectorIidEEZZNS1_16scan_by_key_implILNS1_25lookback_scan_determinismE0ELb1ES3_N6thrust23THRUST_200600_302600_NS6detail15normal_iteratorINS9_10device_ptrIiEEEENSB_INSC_IdEEEESG_dNS9_4plusIvEENS9_8equal_toIvEEdEE10hipError_tPvRmT2_T3_T4_T5_mT6_T7_P12ihipStream_tbENKUlT_T0_E_clISt17integral_constantIbLb1EES11_EEDaSW_SX_EUlSW_E_NS1_11comp_targetILNS1_3genE3ELNS1_11target_archE908ELNS1_3gpuE7ELNS1_3repE0EEENS1_30default_config_static_selectorELNS0_4arch9wavefront6targetE0EEEvT1_,"axG",@progbits,_ZN7rocprim17ROCPRIM_400000_NS6detail17trampoline_kernelINS0_14default_configENS1_27scan_by_key_config_selectorIidEEZZNS1_16scan_by_key_implILNS1_25lookback_scan_determinismE0ELb1ES3_N6thrust23THRUST_200600_302600_NS6detail15normal_iteratorINS9_10device_ptrIiEEEENSB_INSC_IdEEEESG_dNS9_4plusIvEENS9_8equal_toIvEEdEE10hipError_tPvRmT2_T3_T4_T5_mT6_T7_P12ihipStream_tbENKUlT_T0_E_clISt17integral_constantIbLb1EES11_EEDaSW_SX_EUlSW_E_NS1_11comp_targetILNS1_3genE3ELNS1_11target_archE908ELNS1_3gpuE7ELNS1_3repE0EEENS1_30default_config_static_selectorELNS0_4arch9wavefront6targetE0EEEvT1_,comdat
.Lfunc_end1404:
	.size	_ZN7rocprim17ROCPRIM_400000_NS6detail17trampoline_kernelINS0_14default_configENS1_27scan_by_key_config_selectorIidEEZZNS1_16scan_by_key_implILNS1_25lookback_scan_determinismE0ELb1ES3_N6thrust23THRUST_200600_302600_NS6detail15normal_iteratorINS9_10device_ptrIiEEEENSB_INSC_IdEEEESG_dNS9_4plusIvEENS9_8equal_toIvEEdEE10hipError_tPvRmT2_T3_T4_T5_mT6_T7_P12ihipStream_tbENKUlT_T0_E_clISt17integral_constantIbLb1EES11_EEDaSW_SX_EUlSW_E_NS1_11comp_targetILNS1_3genE3ELNS1_11target_archE908ELNS1_3gpuE7ELNS1_3repE0EEENS1_30default_config_static_selectorELNS0_4arch9wavefront6targetE0EEEvT1_, .Lfunc_end1404-_ZN7rocprim17ROCPRIM_400000_NS6detail17trampoline_kernelINS0_14default_configENS1_27scan_by_key_config_selectorIidEEZZNS1_16scan_by_key_implILNS1_25lookback_scan_determinismE0ELb1ES3_N6thrust23THRUST_200600_302600_NS6detail15normal_iteratorINS9_10device_ptrIiEEEENSB_INSC_IdEEEESG_dNS9_4plusIvEENS9_8equal_toIvEEdEE10hipError_tPvRmT2_T3_T4_T5_mT6_T7_P12ihipStream_tbENKUlT_T0_E_clISt17integral_constantIbLb1EES11_EEDaSW_SX_EUlSW_E_NS1_11comp_targetILNS1_3genE3ELNS1_11target_archE908ELNS1_3gpuE7ELNS1_3repE0EEENS1_30default_config_static_selectorELNS0_4arch9wavefront6targetE0EEEvT1_
                                        ; -- End function
	.set _ZN7rocprim17ROCPRIM_400000_NS6detail17trampoline_kernelINS0_14default_configENS1_27scan_by_key_config_selectorIidEEZZNS1_16scan_by_key_implILNS1_25lookback_scan_determinismE0ELb1ES3_N6thrust23THRUST_200600_302600_NS6detail15normal_iteratorINS9_10device_ptrIiEEEENSB_INSC_IdEEEESG_dNS9_4plusIvEENS9_8equal_toIvEEdEE10hipError_tPvRmT2_T3_T4_T5_mT6_T7_P12ihipStream_tbENKUlT_T0_E_clISt17integral_constantIbLb1EES11_EEDaSW_SX_EUlSW_E_NS1_11comp_targetILNS1_3genE3ELNS1_11target_archE908ELNS1_3gpuE7ELNS1_3repE0EEENS1_30default_config_static_selectorELNS0_4arch9wavefront6targetE0EEEvT1_.num_vgpr, 0
	.set _ZN7rocprim17ROCPRIM_400000_NS6detail17trampoline_kernelINS0_14default_configENS1_27scan_by_key_config_selectorIidEEZZNS1_16scan_by_key_implILNS1_25lookback_scan_determinismE0ELb1ES3_N6thrust23THRUST_200600_302600_NS6detail15normal_iteratorINS9_10device_ptrIiEEEENSB_INSC_IdEEEESG_dNS9_4plusIvEENS9_8equal_toIvEEdEE10hipError_tPvRmT2_T3_T4_T5_mT6_T7_P12ihipStream_tbENKUlT_T0_E_clISt17integral_constantIbLb1EES11_EEDaSW_SX_EUlSW_E_NS1_11comp_targetILNS1_3genE3ELNS1_11target_archE908ELNS1_3gpuE7ELNS1_3repE0EEENS1_30default_config_static_selectorELNS0_4arch9wavefront6targetE0EEEvT1_.num_agpr, 0
	.set _ZN7rocprim17ROCPRIM_400000_NS6detail17trampoline_kernelINS0_14default_configENS1_27scan_by_key_config_selectorIidEEZZNS1_16scan_by_key_implILNS1_25lookback_scan_determinismE0ELb1ES3_N6thrust23THRUST_200600_302600_NS6detail15normal_iteratorINS9_10device_ptrIiEEEENSB_INSC_IdEEEESG_dNS9_4plusIvEENS9_8equal_toIvEEdEE10hipError_tPvRmT2_T3_T4_T5_mT6_T7_P12ihipStream_tbENKUlT_T0_E_clISt17integral_constantIbLb1EES11_EEDaSW_SX_EUlSW_E_NS1_11comp_targetILNS1_3genE3ELNS1_11target_archE908ELNS1_3gpuE7ELNS1_3repE0EEENS1_30default_config_static_selectorELNS0_4arch9wavefront6targetE0EEEvT1_.numbered_sgpr, 0
	.set _ZN7rocprim17ROCPRIM_400000_NS6detail17trampoline_kernelINS0_14default_configENS1_27scan_by_key_config_selectorIidEEZZNS1_16scan_by_key_implILNS1_25lookback_scan_determinismE0ELb1ES3_N6thrust23THRUST_200600_302600_NS6detail15normal_iteratorINS9_10device_ptrIiEEEENSB_INSC_IdEEEESG_dNS9_4plusIvEENS9_8equal_toIvEEdEE10hipError_tPvRmT2_T3_T4_T5_mT6_T7_P12ihipStream_tbENKUlT_T0_E_clISt17integral_constantIbLb1EES11_EEDaSW_SX_EUlSW_E_NS1_11comp_targetILNS1_3genE3ELNS1_11target_archE908ELNS1_3gpuE7ELNS1_3repE0EEENS1_30default_config_static_selectorELNS0_4arch9wavefront6targetE0EEEvT1_.num_named_barrier, 0
	.set _ZN7rocprim17ROCPRIM_400000_NS6detail17trampoline_kernelINS0_14default_configENS1_27scan_by_key_config_selectorIidEEZZNS1_16scan_by_key_implILNS1_25lookback_scan_determinismE0ELb1ES3_N6thrust23THRUST_200600_302600_NS6detail15normal_iteratorINS9_10device_ptrIiEEEENSB_INSC_IdEEEESG_dNS9_4plusIvEENS9_8equal_toIvEEdEE10hipError_tPvRmT2_T3_T4_T5_mT6_T7_P12ihipStream_tbENKUlT_T0_E_clISt17integral_constantIbLb1EES11_EEDaSW_SX_EUlSW_E_NS1_11comp_targetILNS1_3genE3ELNS1_11target_archE908ELNS1_3gpuE7ELNS1_3repE0EEENS1_30default_config_static_selectorELNS0_4arch9wavefront6targetE0EEEvT1_.private_seg_size, 0
	.set _ZN7rocprim17ROCPRIM_400000_NS6detail17trampoline_kernelINS0_14default_configENS1_27scan_by_key_config_selectorIidEEZZNS1_16scan_by_key_implILNS1_25lookback_scan_determinismE0ELb1ES3_N6thrust23THRUST_200600_302600_NS6detail15normal_iteratorINS9_10device_ptrIiEEEENSB_INSC_IdEEEESG_dNS9_4plusIvEENS9_8equal_toIvEEdEE10hipError_tPvRmT2_T3_T4_T5_mT6_T7_P12ihipStream_tbENKUlT_T0_E_clISt17integral_constantIbLb1EES11_EEDaSW_SX_EUlSW_E_NS1_11comp_targetILNS1_3genE3ELNS1_11target_archE908ELNS1_3gpuE7ELNS1_3repE0EEENS1_30default_config_static_selectorELNS0_4arch9wavefront6targetE0EEEvT1_.uses_vcc, 0
	.set _ZN7rocprim17ROCPRIM_400000_NS6detail17trampoline_kernelINS0_14default_configENS1_27scan_by_key_config_selectorIidEEZZNS1_16scan_by_key_implILNS1_25lookback_scan_determinismE0ELb1ES3_N6thrust23THRUST_200600_302600_NS6detail15normal_iteratorINS9_10device_ptrIiEEEENSB_INSC_IdEEEESG_dNS9_4plusIvEENS9_8equal_toIvEEdEE10hipError_tPvRmT2_T3_T4_T5_mT6_T7_P12ihipStream_tbENKUlT_T0_E_clISt17integral_constantIbLb1EES11_EEDaSW_SX_EUlSW_E_NS1_11comp_targetILNS1_3genE3ELNS1_11target_archE908ELNS1_3gpuE7ELNS1_3repE0EEENS1_30default_config_static_selectorELNS0_4arch9wavefront6targetE0EEEvT1_.uses_flat_scratch, 0
	.set _ZN7rocprim17ROCPRIM_400000_NS6detail17trampoline_kernelINS0_14default_configENS1_27scan_by_key_config_selectorIidEEZZNS1_16scan_by_key_implILNS1_25lookback_scan_determinismE0ELb1ES3_N6thrust23THRUST_200600_302600_NS6detail15normal_iteratorINS9_10device_ptrIiEEEENSB_INSC_IdEEEESG_dNS9_4plusIvEENS9_8equal_toIvEEdEE10hipError_tPvRmT2_T3_T4_T5_mT6_T7_P12ihipStream_tbENKUlT_T0_E_clISt17integral_constantIbLb1EES11_EEDaSW_SX_EUlSW_E_NS1_11comp_targetILNS1_3genE3ELNS1_11target_archE908ELNS1_3gpuE7ELNS1_3repE0EEENS1_30default_config_static_selectorELNS0_4arch9wavefront6targetE0EEEvT1_.has_dyn_sized_stack, 0
	.set _ZN7rocprim17ROCPRIM_400000_NS6detail17trampoline_kernelINS0_14default_configENS1_27scan_by_key_config_selectorIidEEZZNS1_16scan_by_key_implILNS1_25lookback_scan_determinismE0ELb1ES3_N6thrust23THRUST_200600_302600_NS6detail15normal_iteratorINS9_10device_ptrIiEEEENSB_INSC_IdEEEESG_dNS9_4plusIvEENS9_8equal_toIvEEdEE10hipError_tPvRmT2_T3_T4_T5_mT6_T7_P12ihipStream_tbENKUlT_T0_E_clISt17integral_constantIbLb1EES11_EEDaSW_SX_EUlSW_E_NS1_11comp_targetILNS1_3genE3ELNS1_11target_archE908ELNS1_3gpuE7ELNS1_3repE0EEENS1_30default_config_static_selectorELNS0_4arch9wavefront6targetE0EEEvT1_.has_recursion, 0
	.set _ZN7rocprim17ROCPRIM_400000_NS6detail17trampoline_kernelINS0_14default_configENS1_27scan_by_key_config_selectorIidEEZZNS1_16scan_by_key_implILNS1_25lookback_scan_determinismE0ELb1ES3_N6thrust23THRUST_200600_302600_NS6detail15normal_iteratorINS9_10device_ptrIiEEEENSB_INSC_IdEEEESG_dNS9_4plusIvEENS9_8equal_toIvEEdEE10hipError_tPvRmT2_T3_T4_T5_mT6_T7_P12ihipStream_tbENKUlT_T0_E_clISt17integral_constantIbLb1EES11_EEDaSW_SX_EUlSW_E_NS1_11comp_targetILNS1_3genE3ELNS1_11target_archE908ELNS1_3gpuE7ELNS1_3repE0EEENS1_30default_config_static_selectorELNS0_4arch9wavefront6targetE0EEEvT1_.has_indirect_call, 0
	.section	.AMDGPU.csdata,"",@progbits
; Kernel info:
; codeLenInByte = 0
; TotalNumSgprs: 0
; NumVgprs: 0
; ScratchSize: 0
; MemoryBound: 0
; FloatMode: 240
; IeeeMode: 1
; LDSByteSize: 0 bytes/workgroup (compile time only)
; SGPRBlocks: 0
; VGPRBlocks: 0
; NumSGPRsForWavesPerEU: 1
; NumVGPRsForWavesPerEU: 1
; NamedBarCnt: 0
; Occupancy: 16
; WaveLimiterHint : 0
; COMPUTE_PGM_RSRC2:SCRATCH_EN: 0
; COMPUTE_PGM_RSRC2:USER_SGPR: 2
; COMPUTE_PGM_RSRC2:TRAP_HANDLER: 0
; COMPUTE_PGM_RSRC2:TGID_X_EN: 1
; COMPUTE_PGM_RSRC2:TGID_Y_EN: 0
; COMPUTE_PGM_RSRC2:TGID_Z_EN: 0
; COMPUTE_PGM_RSRC2:TIDIG_COMP_CNT: 0
	.section	.text._ZN7rocprim17ROCPRIM_400000_NS6detail17trampoline_kernelINS0_14default_configENS1_27scan_by_key_config_selectorIidEEZZNS1_16scan_by_key_implILNS1_25lookback_scan_determinismE0ELb1ES3_N6thrust23THRUST_200600_302600_NS6detail15normal_iteratorINS9_10device_ptrIiEEEENSB_INSC_IdEEEESG_dNS9_4plusIvEENS9_8equal_toIvEEdEE10hipError_tPvRmT2_T3_T4_T5_mT6_T7_P12ihipStream_tbENKUlT_T0_E_clISt17integral_constantIbLb1EES11_EEDaSW_SX_EUlSW_E_NS1_11comp_targetILNS1_3genE2ELNS1_11target_archE906ELNS1_3gpuE6ELNS1_3repE0EEENS1_30default_config_static_selectorELNS0_4arch9wavefront6targetE0EEEvT1_,"axG",@progbits,_ZN7rocprim17ROCPRIM_400000_NS6detail17trampoline_kernelINS0_14default_configENS1_27scan_by_key_config_selectorIidEEZZNS1_16scan_by_key_implILNS1_25lookback_scan_determinismE0ELb1ES3_N6thrust23THRUST_200600_302600_NS6detail15normal_iteratorINS9_10device_ptrIiEEEENSB_INSC_IdEEEESG_dNS9_4plusIvEENS9_8equal_toIvEEdEE10hipError_tPvRmT2_T3_T4_T5_mT6_T7_P12ihipStream_tbENKUlT_T0_E_clISt17integral_constantIbLb1EES11_EEDaSW_SX_EUlSW_E_NS1_11comp_targetILNS1_3genE2ELNS1_11target_archE906ELNS1_3gpuE6ELNS1_3repE0EEENS1_30default_config_static_selectorELNS0_4arch9wavefront6targetE0EEEvT1_,comdat
	.protected	_ZN7rocprim17ROCPRIM_400000_NS6detail17trampoline_kernelINS0_14default_configENS1_27scan_by_key_config_selectorIidEEZZNS1_16scan_by_key_implILNS1_25lookback_scan_determinismE0ELb1ES3_N6thrust23THRUST_200600_302600_NS6detail15normal_iteratorINS9_10device_ptrIiEEEENSB_INSC_IdEEEESG_dNS9_4plusIvEENS9_8equal_toIvEEdEE10hipError_tPvRmT2_T3_T4_T5_mT6_T7_P12ihipStream_tbENKUlT_T0_E_clISt17integral_constantIbLb1EES11_EEDaSW_SX_EUlSW_E_NS1_11comp_targetILNS1_3genE2ELNS1_11target_archE906ELNS1_3gpuE6ELNS1_3repE0EEENS1_30default_config_static_selectorELNS0_4arch9wavefront6targetE0EEEvT1_ ; -- Begin function _ZN7rocprim17ROCPRIM_400000_NS6detail17trampoline_kernelINS0_14default_configENS1_27scan_by_key_config_selectorIidEEZZNS1_16scan_by_key_implILNS1_25lookback_scan_determinismE0ELb1ES3_N6thrust23THRUST_200600_302600_NS6detail15normal_iteratorINS9_10device_ptrIiEEEENSB_INSC_IdEEEESG_dNS9_4plusIvEENS9_8equal_toIvEEdEE10hipError_tPvRmT2_T3_T4_T5_mT6_T7_P12ihipStream_tbENKUlT_T0_E_clISt17integral_constantIbLb1EES11_EEDaSW_SX_EUlSW_E_NS1_11comp_targetILNS1_3genE2ELNS1_11target_archE906ELNS1_3gpuE6ELNS1_3repE0EEENS1_30default_config_static_selectorELNS0_4arch9wavefront6targetE0EEEvT1_
	.globl	_ZN7rocprim17ROCPRIM_400000_NS6detail17trampoline_kernelINS0_14default_configENS1_27scan_by_key_config_selectorIidEEZZNS1_16scan_by_key_implILNS1_25lookback_scan_determinismE0ELb1ES3_N6thrust23THRUST_200600_302600_NS6detail15normal_iteratorINS9_10device_ptrIiEEEENSB_INSC_IdEEEESG_dNS9_4plusIvEENS9_8equal_toIvEEdEE10hipError_tPvRmT2_T3_T4_T5_mT6_T7_P12ihipStream_tbENKUlT_T0_E_clISt17integral_constantIbLb1EES11_EEDaSW_SX_EUlSW_E_NS1_11comp_targetILNS1_3genE2ELNS1_11target_archE906ELNS1_3gpuE6ELNS1_3repE0EEENS1_30default_config_static_selectorELNS0_4arch9wavefront6targetE0EEEvT1_
	.p2align	8
	.type	_ZN7rocprim17ROCPRIM_400000_NS6detail17trampoline_kernelINS0_14default_configENS1_27scan_by_key_config_selectorIidEEZZNS1_16scan_by_key_implILNS1_25lookback_scan_determinismE0ELb1ES3_N6thrust23THRUST_200600_302600_NS6detail15normal_iteratorINS9_10device_ptrIiEEEENSB_INSC_IdEEEESG_dNS9_4plusIvEENS9_8equal_toIvEEdEE10hipError_tPvRmT2_T3_T4_T5_mT6_T7_P12ihipStream_tbENKUlT_T0_E_clISt17integral_constantIbLb1EES11_EEDaSW_SX_EUlSW_E_NS1_11comp_targetILNS1_3genE2ELNS1_11target_archE906ELNS1_3gpuE6ELNS1_3repE0EEENS1_30default_config_static_selectorELNS0_4arch9wavefront6targetE0EEEvT1_,@function
_ZN7rocprim17ROCPRIM_400000_NS6detail17trampoline_kernelINS0_14default_configENS1_27scan_by_key_config_selectorIidEEZZNS1_16scan_by_key_implILNS1_25lookback_scan_determinismE0ELb1ES3_N6thrust23THRUST_200600_302600_NS6detail15normal_iteratorINS9_10device_ptrIiEEEENSB_INSC_IdEEEESG_dNS9_4plusIvEENS9_8equal_toIvEEdEE10hipError_tPvRmT2_T3_T4_T5_mT6_T7_P12ihipStream_tbENKUlT_T0_E_clISt17integral_constantIbLb1EES11_EEDaSW_SX_EUlSW_E_NS1_11comp_targetILNS1_3genE2ELNS1_11target_archE906ELNS1_3gpuE6ELNS1_3repE0EEENS1_30default_config_static_selectorELNS0_4arch9wavefront6targetE0EEEvT1_: ; @_ZN7rocprim17ROCPRIM_400000_NS6detail17trampoline_kernelINS0_14default_configENS1_27scan_by_key_config_selectorIidEEZZNS1_16scan_by_key_implILNS1_25lookback_scan_determinismE0ELb1ES3_N6thrust23THRUST_200600_302600_NS6detail15normal_iteratorINS9_10device_ptrIiEEEENSB_INSC_IdEEEESG_dNS9_4plusIvEENS9_8equal_toIvEEdEE10hipError_tPvRmT2_T3_T4_T5_mT6_T7_P12ihipStream_tbENKUlT_T0_E_clISt17integral_constantIbLb1EES11_EEDaSW_SX_EUlSW_E_NS1_11comp_targetILNS1_3genE2ELNS1_11target_archE906ELNS1_3gpuE6ELNS1_3repE0EEENS1_30default_config_static_selectorELNS0_4arch9wavefront6targetE0EEEvT1_
; %bb.0:
	.section	.rodata,"a",@progbits
	.p2align	6, 0x0
	.amdhsa_kernel _ZN7rocprim17ROCPRIM_400000_NS6detail17trampoline_kernelINS0_14default_configENS1_27scan_by_key_config_selectorIidEEZZNS1_16scan_by_key_implILNS1_25lookback_scan_determinismE0ELb1ES3_N6thrust23THRUST_200600_302600_NS6detail15normal_iteratorINS9_10device_ptrIiEEEENSB_INSC_IdEEEESG_dNS9_4plusIvEENS9_8equal_toIvEEdEE10hipError_tPvRmT2_T3_T4_T5_mT6_T7_P12ihipStream_tbENKUlT_T0_E_clISt17integral_constantIbLb1EES11_EEDaSW_SX_EUlSW_E_NS1_11comp_targetILNS1_3genE2ELNS1_11target_archE906ELNS1_3gpuE6ELNS1_3repE0EEENS1_30default_config_static_selectorELNS0_4arch9wavefront6targetE0EEEvT1_
		.amdhsa_group_segment_fixed_size 0
		.amdhsa_private_segment_fixed_size 0
		.amdhsa_kernarg_size 136
		.amdhsa_user_sgpr_count 2
		.amdhsa_user_sgpr_dispatch_ptr 0
		.amdhsa_user_sgpr_queue_ptr 0
		.amdhsa_user_sgpr_kernarg_segment_ptr 1
		.amdhsa_user_sgpr_dispatch_id 0
		.amdhsa_user_sgpr_kernarg_preload_length 0
		.amdhsa_user_sgpr_kernarg_preload_offset 0
		.amdhsa_user_sgpr_private_segment_size 0
		.amdhsa_wavefront_size32 1
		.amdhsa_uses_dynamic_stack 0
		.amdhsa_enable_private_segment 0
		.amdhsa_system_sgpr_workgroup_id_x 1
		.amdhsa_system_sgpr_workgroup_id_y 0
		.amdhsa_system_sgpr_workgroup_id_z 0
		.amdhsa_system_sgpr_workgroup_info 0
		.amdhsa_system_vgpr_workitem_id 0
		.amdhsa_next_free_vgpr 1
		.amdhsa_next_free_sgpr 1
		.amdhsa_named_barrier_count 0
		.amdhsa_reserve_vcc 0
		.amdhsa_float_round_mode_32 0
		.amdhsa_float_round_mode_16_64 0
		.amdhsa_float_denorm_mode_32 3
		.amdhsa_float_denorm_mode_16_64 3
		.amdhsa_fp16_overflow 0
		.amdhsa_memory_ordered 1
		.amdhsa_forward_progress 1
		.amdhsa_inst_pref_size 0
		.amdhsa_round_robin_scheduling 0
		.amdhsa_exception_fp_ieee_invalid_op 0
		.amdhsa_exception_fp_denorm_src 0
		.amdhsa_exception_fp_ieee_div_zero 0
		.amdhsa_exception_fp_ieee_overflow 0
		.amdhsa_exception_fp_ieee_underflow 0
		.amdhsa_exception_fp_ieee_inexact 0
		.amdhsa_exception_int_div_zero 0
	.end_amdhsa_kernel
	.section	.text._ZN7rocprim17ROCPRIM_400000_NS6detail17trampoline_kernelINS0_14default_configENS1_27scan_by_key_config_selectorIidEEZZNS1_16scan_by_key_implILNS1_25lookback_scan_determinismE0ELb1ES3_N6thrust23THRUST_200600_302600_NS6detail15normal_iteratorINS9_10device_ptrIiEEEENSB_INSC_IdEEEESG_dNS9_4plusIvEENS9_8equal_toIvEEdEE10hipError_tPvRmT2_T3_T4_T5_mT6_T7_P12ihipStream_tbENKUlT_T0_E_clISt17integral_constantIbLb1EES11_EEDaSW_SX_EUlSW_E_NS1_11comp_targetILNS1_3genE2ELNS1_11target_archE906ELNS1_3gpuE6ELNS1_3repE0EEENS1_30default_config_static_selectorELNS0_4arch9wavefront6targetE0EEEvT1_,"axG",@progbits,_ZN7rocprim17ROCPRIM_400000_NS6detail17trampoline_kernelINS0_14default_configENS1_27scan_by_key_config_selectorIidEEZZNS1_16scan_by_key_implILNS1_25lookback_scan_determinismE0ELb1ES3_N6thrust23THRUST_200600_302600_NS6detail15normal_iteratorINS9_10device_ptrIiEEEENSB_INSC_IdEEEESG_dNS9_4plusIvEENS9_8equal_toIvEEdEE10hipError_tPvRmT2_T3_T4_T5_mT6_T7_P12ihipStream_tbENKUlT_T0_E_clISt17integral_constantIbLb1EES11_EEDaSW_SX_EUlSW_E_NS1_11comp_targetILNS1_3genE2ELNS1_11target_archE906ELNS1_3gpuE6ELNS1_3repE0EEENS1_30default_config_static_selectorELNS0_4arch9wavefront6targetE0EEEvT1_,comdat
.Lfunc_end1405:
	.size	_ZN7rocprim17ROCPRIM_400000_NS6detail17trampoline_kernelINS0_14default_configENS1_27scan_by_key_config_selectorIidEEZZNS1_16scan_by_key_implILNS1_25lookback_scan_determinismE0ELb1ES3_N6thrust23THRUST_200600_302600_NS6detail15normal_iteratorINS9_10device_ptrIiEEEENSB_INSC_IdEEEESG_dNS9_4plusIvEENS9_8equal_toIvEEdEE10hipError_tPvRmT2_T3_T4_T5_mT6_T7_P12ihipStream_tbENKUlT_T0_E_clISt17integral_constantIbLb1EES11_EEDaSW_SX_EUlSW_E_NS1_11comp_targetILNS1_3genE2ELNS1_11target_archE906ELNS1_3gpuE6ELNS1_3repE0EEENS1_30default_config_static_selectorELNS0_4arch9wavefront6targetE0EEEvT1_, .Lfunc_end1405-_ZN7rocprim17ROCPRIM_400000_NS6detail17trampoline_kernelINS0_14default_configENS1_27scan_by_key_config_selectorIidEEZZNS1_16scan_by_key_implILNS1_25lookback_scan_determinismE0ELb1ES3_N6thrust23THRUST_200600_302600_NS6detail15normal_iteratorINS9_10device_ptrIiEEEENSB_INSC_IdEEEESG_dNS9_4plusIvEENS9_8equal_toIvEEdEE10hipError_tPvRmT2_T3_T4_T5_mT6_T7_P12ihipStream_tbENKUlT_T0_E_clISt17integral_constantIbLb1EES11_EEDaSW_SX_EUlSW_E_NS1_11comp_targetILNS1_3genE2ELNS1_11target_archE906ELNS1_3gpuE6ELNS1_3repE0EEENS1_30default_config_static_selectorELNS0_4arch9wavefront6targetE0EEEvT1_
                                        ; -- End function
	.set _ZN7rocprim17ROCPRIM_400000_NS6detail17trampoline_kernelINS0_14default_configENS1_27scan_by_key_config_selectorIidEEZZNS1_16scan_by_key_implILNS1_25lookback_scan_determinismE0ELb1ES3_N6thrust23THRUST_200600_302600_NS6detail15normal_iteratorINS9_10device_ptrIiEEEENSB_INSC_IdEEEESG_dNS9_4plusIvEENS9_8equal_toIvEEdEE10hipError_tPvRmT2_T3_T4_T5_mT6_T7_P12ihipStream_tbENKUlT_T0_E_clISt17integral_constantIbLb1EES11_EEDaSW_SX_EUlSW_E_NS1_11comp_targetILNS1_3genE2ELNS1_11target_archE906ELNS1_3gpuE6ELNS1_3repE0EEENS1_30default_config_static_selectorELNS0_4arch9wavefront6targetE0EEEvT1_.num_vgpr, 0
	.set _ZN7rocprim17ROCPRIM_400000_NS6detail17trampoline_kernelINS0_14default_configENS1_27scan_by_key_config_selectorIidEEZZNS1_16scan_by_key_implILNS1_25lookback_scan_determinismE0ELb1ES3_N6thrust23THRUST_200600_302600_NS6detail15normal_iteratorINS9_10device_ptrIiEEEENSB_INSC_IdEEEESG_dNS9_4plusIvEENS9_8equal_toIvEEdEE10hipError_tPvRmT2_T3_T4_T5_mT6_T7_P12ihipStream_tbENKUlT_T0_E_clISt17integral_constantIbLb1EES11_EEDaSW_SX_EUlSW_E_NS1_11comp_targetILNS1_3genE2ELNS1_11target_archE906ELNS1_3gpuE6ELNS1_3repE0EEENS1_30default_config_static_selectorELNS0_4arch9wavefront6targetE0EEEvT1_.num_agpr, 0
	.set _ZN7rocprim17ROCPRIM_400000_NS6detail17trampoline_kernelINS0_14default_configENS1_27scan_by_key_config_selectorIidEEZZNS1_16scan_by_key_implILNS1_25lookback_scan_determinismE0ELb1ES3_N6thrust23THRUST_200600_302600_NS6detail15normal_iteratorINS9_10device_ptrIiEEEENSB_INSC_IdEEEESG_dNS9_4plusIvEENS9_8equal_toIvEEdEE10hipError_tPvRmT2_T3_T4_T5_mT6_T7_P12ihipStream_tbENKUlT_T0_E_clISt17integral_constantIbLb1EES11_EEDaSW_SX_EUlSW_E_NS1_11comp_targetILNS1_3genE2ELNS1_11target_archE906ELNS1_3gpuE6ELNS1_3repE0EEENS1_30default_config_static_selectorELNS0_4arch9wavefront6targetE0EEEvT1_.numbered_sgpr, 0
	.set _ZN7rocprim17ROCPRIM_400000_NS6detail17trampoline_kernelINS0_14default_configENS1_27scan_by_key_config_selectorIidEEZZNS1_16scan_by_key_implILNS1_25lookback_scan_determinismE0ELb1ES3_N6thrust23THRUST_200600_302600_NS6detail15normal_iteratorINS9_10device_ptrIiEEEENSB_INSC_IdEEEESG_dNS9_4plusIvEENS9_8equal_toIvEEdEE10hipError_tPvRmT2_T3_T4_T5_mT6_T7_P12ihipStream_tbENKUlT_T0_E_clISt17integral_constantIbLb1EES11_EEDaSW_SX_EUlSW_E_NS1_11comp_targetILNS1_3genE2ELNS1_11target_archE906ELNS1_3gpuE6ELNS1_3repE0EEENS1_30default_config_static_selectorELNS0_4arch9wavefront6targetE0EEEvT1_.num_named_barrier, 0
	.set _ZN7rocprim17ROCPRIM_400000_NS6detail17trampoline_kernelINS0_14default_configENS1_27scan_by_key_config_selectorIidEEZZNS1_16scan_by_key_implILNS1_25lookback_scan_determinismE0ELb1ES3_N6thrust23THRUST_200600_302600_NS6detail15normal_iteratorINS9_10device_ptrIiEEEENSB_INSC_IdEEEESG_dNS9_4plusIvEENS9_8equal_toIvEEdEE10hipError_tPvRmT2_T3_T4_T5_mT6_T7_P12ihipStream_tbENKUlT_T0_E_clISt17integral_constantIbLb1EES11_EEDaSW_SX_EUlSW_E_NS1_11comp_targetILNS1_3genE2ELNS1_11target_archE906ELNS1_3gpuE6ELNS1_3repE0EEENS1_30default_config_static_selectorELNS0_4arch9wavefront6targetE0EEEvT1_.private_seg_size, 0
	.set _ZN7rocprim17ROCPRIM_400000_NS6detail17trampoline_kernelINS0_14default_configENS1_27scan_by_key_config_selectorIidEEZZNS1_16scan_by_key_implILNS1_25lookback_scan_determinismE0ELb1ES3_N6thrust23THRUST_200600_302600_NS6detail15normal_iteratorINS9_10device_ptrIiEEEENSB_INSC_IdEEEESG_dNS9_4plusIvEENS9_8equal_toIvEEdEE10hipError_tPvRmT2_T3_T4_T5_mT6_T7_P12ihipStream_tbENKUlT_T0_E_clISt17integral_constantIbLb1EES11_EEDaSW_SX_EUlSW_E_NS1_11comp_targetILNS1_3genE2ELNS1_11target_archE906ELNS1_3gpuE6ELNS1_3repE0EEENS1_30default_config_static_selectorELNS0_4arch9wavefront6targetE0EEEvT1_.uses_vcc, 0
	.set _ZN7rocprim17ROCPRIM_400000_NS6detail17trampoline_kernelINS0_14default_configENS1_27scan_by_key_config_selectorIidEEZZNS1_16scan_by_key_implILNS1_25lookback_scan_determinismE0ELb1ES3_N6thrust23THRUST_200600_302600_NS6detail15normal_iteratorINS9_10device_ptrIiEEEENSB_INSC_IdEEEESG_dNS9_4plusIvEENS9_8equal_toIvEEdEE10hipError_tPvRmT2_T3_T4_T5_mT6_T7_P12ihipStream_tbENKUlT_T0_E_clISt17integral_constantIbLb1EES11_EEDaSW_SX_EUlSW_E_NS1_11comp_targetILNS1_3genE2ELNS1_11target_archE906ELNS1_3gpuE6ELNS1_3repE0EEENS1_30default_config_static_selectorELNS0_4arch9wavefront6targetE0EEEvT1_.uses_flat_scratch, 0
	.set _ZN7rocprim17ROCPRIM_400000_NS6detail17trampoline_kernelINS0_14default_configENS1_27scan_by_key_config_selectorIidEEZZNS1_16scan_by_key_implILNS1_25lookback_scan_determinismE0ELb1ES3_N6thrust23THRUST_200600_302600_NS6detail15normal_iteratorINS9_10device_ptrIiEEEENSB_INSC_IdEEEESG_dNS9_4plusIvEENS9_8equal_toIvEEdEE10hipError_tPvRmT2_T3_T4_T5_mT6_T7_P12ihipStream_tbENKUlT_T0_E_clISt17integral_constantIbLb1EES11_EEDaSW_SX_EUlSW_E_NS1_11comp_targetILNS1_3genE2ELNS1_11target_archE906ELNS1_3gpuE6ELNS1_3repE0EEENS1_30default_config_static_selectorELNS0_4arch9wavefront6targetE0EEEvT1_.has_dyn_sized_stack, 0
	.set _ZN7rocprim17ROCPRIM_400000_NS6detail17trampoline_kernelINS0_14default_configENS1_27scan_by_key_config_selectorIidEEZZNS1_16scan_by_key_implILNS1_25lookback_scan_determinismE0ELb1ES3_N6thrust23THRUST_200600_302600_NS6detail15normal_iteratorINS9_10device_ptrIiEEEENSB_INSC_IdEEEESG_dNS9_4plusIvEENS9_8equal_toIvEEdEE10hipError_tPvRmT2_T3_T4_T5_mT6_T7_P12ihipStream_tbENKUlT_T0_E_clISt17integral_constantIbLb1EES11_EEDaSW_SX_EUlSW_E_NS1_11comp_targetILNS1_3genE2ELNS1_11target_archE906ELNS1_3gpuE6ELNS1_3repE0EEENS1_30default_config_static_selectorELNS0_4arch9wavefront6targetE0EEEvT1_.has_recursion, 0
	.set _ZN7rocprim17ROCPRIM_400000_NS6detail17trampoline_kernelINS0_14default_configENS1_27scan_by_key_config_selectorIidEEZZNS1_16scan_by_key_implILNS1_25lookback_scan_determinismE0ELb1ES3_N6thrust23THRUST_200600_302600_NS6detail15normal_iteratorINS9_10device_ptrIiEEEENSB_INSC_IdEEEESG_dNS9_4plusIvEENS9_8equal_toIvEEdEE10hipError_tPvRmT2_T3_T4_T5_mT6_T7_P12ihipStream_tbENKUlT_T0_E_clISt17integral_constantIbLb1EES11_EEDaSW_SX_EUlSW_E_NS1_11comp_targetILNS1_3genE2ELNS1_11target_archE906ELNS1_3gpuE6ELNS1_3repE0EEENS1_30default_config_static_selectorELNS0_4arch9wavefront6targetE0EEEvT1_.has_indirect_call, 0
	.section	.AMDGPU.csdata,"",@progbits
; Kernel info:
; codeLenInByte = 0
; TotalNumSgprs: 0
; NumVgprs: 0
; ScratchSize: 0
; MemoryBound: 0
; FloatMode: 240
; IeeeMode: 1
; LDSByteSize: 0 bytes/workgroup (compile time only)
; SGPRBlocks: 0
; VGPRBlocks: 0
; NumSGPRsForWavesPerEU: 1
; NumVGPRsForWavesPerEU: 1
; NamedBarCnt: 0
; Occupancy: 16
; WaveLimiterHint : 0
; COMPUTE_PGM_RSRC2:SCRATCH_EN: 0
; COMPUTE_PGM_RSRC2:USER_SGPR: 2
; COMPUTE_PGM_RSRC2:TRAP_HANDLER: 0
; COMPUTE_PGM_RSRC2:TGID_X_EN: 1
; COMPUTE_PGM_RSRC2:TGID_Y_EN: 0
; COMPUTE_PGM_RSRC2:TGID_Z_EN: 0
; COMPUTE_PGM_RSRC2:TIDIG_COMP_CNT: 0
	.section	.text._ZN7rocprim17ROCPRIM_400000_NS6detail17trampoline_kernelINS0_14default_configENS1_27scan_by_key_config_selectorIidEEZZNS1_16scan_by_key_implILNS1_25lookback_scan_determinismE0ELb1ES3_N6thrust23THRUST_200600_302600_NS6detail15normal_iteratorINS9_10device_ptrIiEEEENSB_INSC_IdEEEESG_dNS9_4plusIvEENS9_8equal_toIvEEdEE10hipError_tPvRmT2_T3_T4_T5_mT6_T7_P12ihipStream_tbENKUlT_T0_E_clISt17integral_constantIbLb1EES11_EEDaSW_SX_EUlSW_E_NS1_11comp_targetILNS1_3genE10ELNS1_11target_archE1200ELNS1_3gpuE4ELNS1_3repE0EEENS1_30default_config_static_selectorELNS0_4arch9wavefront6targetE0EEEvT1_,"axG",@progbits,_ZN7rocprim17ROCPRIM_400000_NS6detail17trampoline_kernelINS0_14default_configENS1_27scan_by_key_config_selectorIidEEZZNS1_16scan_by_key_implILNS1_25lookback_scan_determinismE0ELb1ES3_N6thrust23THRUST_200600_302600_NS6detail15normal_iteratorINS9_10device_ptrIiEEEENSB_INSC_IdEEEESG_dNS9_4plusIvEENS9_8equal_toIvEEdEE10hipError_tPvRmT2_T3_T4_T5_mT6_T7_P12ihipStream_tbENKUlT_T0_E_clISt17integral_constantIbLb1EES11_EEDaSW_SX_EUlSW_E_NS1_11comp_targetILNS1_3genE10ELNS1_11target_archE1200ELNS1_3gpuE4ELNS1_3repE0EEENS1_30default_config_static_selectorELNS0_4arch9wavefront6targetE0EEEvT1_,comdat
	.protected	_ZN7rocprim17ROCPRIM_400000_NS6detail17trampoline_kernelINS0_14default_configENS1_27scan_by_key_config_selectorIidEEZZNS1_16scan_by_key_implILNS1_25lookback_scan_determinismE0ELb1ES3_N6thrust23THRUST_200600_302600_NS6detail15normal_iteratorINS9_10device_ptrIiEEEENSB_INSC_IdEEEESG_dNS9_4plusIvEENS9_8equal_toIvEEdEE10hipError_tPvRmT2_T3_T4_T5_mT6_T7_P12ihipStream_tbENKUlT_T0_E_clISt17integral_constantIbLb1EES11_EEDaSW_SX_EUlSW_E_NS1_11comp_targetILNS1_3genE10ELNS1_11target_archE1200ELNS1_3gpuE4ELNS1_3repE0EEENS1_30default_config_static_selectorELNS0_4arch9wavefront6targetE0EEEvT1_ ; -- Begin function _ZN7rocprim17ROCPRIM_400000_NS6detail17trampoline_kernelINS0_14default_configENS1_27scan_by_key_config_selectorIidEEZZNS1_16scan_by_key_implILNS1_25lookback_scan_determinismE0ELb1ES3_N6thrust23THRUST_200600_302600_NS6detail15normal_iteratorINS9_10device_ptrIiEEEENSB_INSC_IdEEEESG_dNS9_4plusIvEENS9_8equal_toIvEEdEE10hipError_tPvRmT2_T3_T4_T5_mT6_T7_P12ihipStream_tbENKUlT_T0_E_clISt17integral_constantIbLb1EES11_EEDaSW_SX_EUlSW_E_NS1_11comp_targetILNS1_3genE10ELNS1_11target_archE1200ELNS1_3gpuE4ELNS1_3repE0EEENS1_30default_config_static_selectorELNS0_4arch9wavefront6targetE0EEEvT1_
	.globl	_ZN7rocprim17ROCPRIM_400000_NS6detail17trampoline_kernelINS0_14default_configENS1_27scan_by_key_config_selectorIidEEZZNS1_16scan_by_key_implILNS1_25lookback_scan_determinismE0ELb1ES3_N6thrust23THRUST_200600_302600_NS6detail15normal_iteratorINS9_10device_ptrIiEEEENSB_INSC_IdEEEESG_dNS9_4plusIvEENS9_8equal_toIvEEdEE10hipError_tPvRmT2_T3_T4_T5_mT6_T7_P12ihipStream_tbENKUlT_T0_E_clISt17integral_constantIbLb1EES11_EEDaSW_SX_EUlSW_E_NS1_11comp_targetILNS1_3genE10ELNS1_11target_archE1200ELNS1_3gpuE4ELNS1_3repE0EEENS1_30default_config_static_selectorELNS0_4arch9wavefront6targetE0EEEvT1_
	.p2align	8
	.type	_ZN7rocprim17ROCPRIM_400000_NS6detail17trampoline_kernelINS0_14default_configENS1_27scan_by_key_config_selectorIidEEZZNS1_16scan_by_key_implILNS1_25lookback_scan_determinismE0ELb1ES3_N6thrust23THRUST_200600_302600_NS6detail15normal_iteratorINS9_10device_ptrIiEEEENSB_INSC_IdEEEESG_dNS9_4plusIvEENS9_8equal_toIvEEdEE10hipError_tPvRmT2_T3_T4_T5_mT6_T7_P12ihipStream_tbENKUlT_T0_E_clISt17integral_constantIbLb1EES11_EEDaSW_SX_EUlSW_E_NS1_11comp_targetILNS1_3genE10ELNS1_11target_archE1200ELNS1_3gpuE4ELNS1_3repE0EEENS1_30default_config_static_selectorELNS0_4arch9wavefront6targetE0EEEvT1_,@function
_ZN7rocprim17ROCPRIM_400000_NS6detail17trampoline_kernelINS0_14default_configENS1_27scan_by_key_config_selectorIidEEZZNS1_16scan_by_key_implILNS1_25lookback_scan_determinismE0ELb1ES3_N6thrust23THRUST_200600_302600_NS6detail15normal_iteratorINS9_10device_ptrIiEEEENSB_INSC_IdEEEESG_dNS9_4plusIvEENS9_8equal_toIvEEdEE10hipError_tPvRmT2_T3_T4_T5_mT6_T7_P12ihipStream_tbENKUlT_T0_E_clISt17integral_constantIbLb1EES11_EEDaSW_SX_EUlSW_E_NS1_11comp_targetILNS1_3genE10ELNS1_11target_archE1200ELNS1_3gpuE4ELNS1_3repE0EEENS1_30default_config_static_selectorELNS0_4arch9wavefront6targetE0EEEvT1_: ; @_ZN7rocprim17ROCPRIM_400000_NS6detail17trampoline_kernelINS0_14default_configENS1_27scan_by_key_config_selectorIidEEZZNS1_16scan_by_key_implILNS1_25lookback_scan_determinismE0ELb1ES3_N6thrust23THRUST_200600_302600_NS6detail15normal_iteratorINS9_10device_ptrIiEEEENSB_INSC_IdEEEESG_dNS9_4plusIvEENS9_8equal_toIvEEdEE10hipError_tPvRmT2_T3_T4_T5_mT6_T7_P12ihipStream_tbENKUlT_T0_E_clISt17integral_constantIbLb1EES11_EEDaSW_SX_EUlSW_E_NS1_11comp_targetILNS1_3genE10ELNS1_11target_archE1200ELNS1_3gpuE4ELNS1_3repE0EEENS1_30default_config_static_selectorELNS0_4arch9wavefront6targetE0EEEvT1_
; %bb.0:
	.section	.rodata,"a",@progbits
	.p2align	6, 0x0
	.amdhsa_kernel _ZN7rocprim17ROCPRIM_400000_NS6detail17trampoline_kernelINS0_14default_configENS1_27scan_by_key_config_selectorIidEEZZNS1_16scan_by_key_implILNS1_25lookback_scan_determinismE0ELb1ES3_N6thrust23THRUST_200600_302600_NS6detail15normal_iteratorINS9_10device_ptrIiEEEENSB_INSC_IdEEEESG_dNS9_4plusIvEENS9_8equal_toIvEEdEE10hipError_tPvRmT2_T3_T4_T5_mT6_T7_P12ihipStream_tbENKUlT_T0_E_clISt17integral_constantIbLb1EES11_EEDaSW_SX_EUlSW_E_NS1_11comp_targetILNS1_3genE10ELNS1_11target_archE1200ELNS1_3gpuE4ELNS1_3repE0EEENS1_30default_config_static_selectorELNS0_4arch9wavefront6targetE0EEEvT1_
		.amdhsa_group_segment_fixed_size 0
		.amdhsa_private_segment_fixed_size 0
		.amdhsa_kernarg_size 136
		.amdhsa_user_sgpr_count 2
		.amdhsa_user_sgpr_dispatch_ptr 0
		.amdhsa_user_sgpr_queue_ptr 0
		.amdhsa_user_sgpr_kernarg_segment_ptr 1
		.amdhsa_user_sgpr_dispatch_id 0
		.amdhsa_user_sgpr_kernarg_preload_length 0
		.amdhsa_user_sgpr_kernarg_preload_offset 0
		.amdhsa_user_sgpr_private_segment_size 0
		.amdhsa_wavefront_size32 1
		.amdhsa_uses_dynamic_stack 0
		.amdhsa_enable_private_segment 0
		.amdhsa_system_sgpr_workgroup_id_x 1
		.amdhsa_system_sgpr_workgroup_id_y 0
		.amdhsa_system_sgpr_workgroup_id_z 0
		.amdhsa_system_sgpr_workgroup_info 0
		.amdhsa_system_vgpr_workitem_id 0
		.amdhsa_next_free_vgpr 1
		.amdhsa_next_free_sgpr 1
		.amdhsa_named_barrier_count 0
		.amdhsa_reserve_vcc 0
		.amdhsa_float_round_mode_32 0
		.amdhsa_float_round_mode_16_64 0
		.amdhsa_float_denorm_mode_32 3
		.amdhsa_float_denorm_mode_16_64 3
		.amdhsa_fp16_overflow 0
		.amdhsa_memory_ordered 1
		.amdhsa_forward_progress 1
		.amdhsa_inst_pref_size 0
		.amdhsa_round_robin_scheduling 0
		.amdhsa_exception_fp_ieee_invalid_op 0
		.amdhsa_exception_fp_denorm_src 0
		.amdhsa_exception_fp_ieee_div_zero 0
		.amdhsa_exception_fp_ieee_overflow 0
		.amdhsa_exception_fp_ieee_underflow 0
		.amdhsa_exception_fp_ieee_inexact 0
		.amdhsa_exception_int_div_zero 0
	.end_amdhsa_kernel
	.section	.text._ZN7rocprim17ROCPRIM_400000_NS6detail17trampoline_kernelINS0_14default_configENS1_27scan_by_key_config_selectorIidEEZZNS1_16scan_by_key_implILNS1_25lookback_scan_determinismE0ELb1ES3_N6thrust23THRUST_200600_302600_NS6detail15normal_iteratorINS9_10device_ptrIiEEEENSB_INSC_IdEEEESG_dNS9_4plusIvEENS9_8equal_toIvEEdEE10hipError_tPvRmT2_T3_T4_T5_mT6_T7_P12ihipStream_tbENKUlT_T0_E_clISt17integral_constantIbLb1EES11_EEDaSW_SX_EUlSW_E_NS1_11comp_targetILNS1_3genE10ELNS1_11target_archE1200ELNS1_3gpuE4ELNS1_3repE0EEENS1_30default_config_static_selectorELNS0_4arch9wavefront6targetE0EEEvT1_,"axG",@progbits,_ZN7rocprim17ROCPRIM_400000_NS6detail17trampoline_kernelINS0_14default_configENS1_27scan_by_key_config_selectorIidEEZZNS1_16scan_by_key_implILNS1_25lookback_scan_determinismE0ELb1ES3_N6thrust23THRUST_200600_302600_NS6detail15normal_iteratorINS9_10device_ptrIiEEEENSB_INSC_IdEEEESG_dNS9_4plusIvEENS9_8equal_toIvEEdEE10hipError_tPvRmT2_T3_T4_T5_mT6_T7_P12ihipStream_tbENKUlT_T0_E_clISt17integral_constantIbLb1EES11_EEDaSW_SX_EUlSW_E_NS1_11comp_targetILNS1_3genE10ELNS1_11target_archE1200ELNS1_3gpuE4ELNS1_3repE0EEENS1_30default_config_static_selectorELNS0_4arch9wavefront6targetE0EEEvT1_,comdat
.Lfunc_end1406:
	.size	_ZN7rocprim17ROCPRIM_400000_NS6detail17trampoline_kernelINS0_14default_configENS1_27scan_by_key_config_selectorIidEEZZNS1_16scan_by_key_implILNS1_25lookback_scan_determinismE0ELb1ES3_N6thrust23THRUST_200600_302600_NS6detail15normal_iteratorINS9_10device_ptrIiEEEENSB_INSC_IdEEEESG_dNS9_4plusIvEENS9_8equal_toIvEEdEE10hipError_tPvRmT2_T3_T4_T5_mT6_T7_P12ihipStream_tbENKUlT_T0_E_clISt17integral_constantIbLb1EES11_EEDaSW_SX_EUlSW_E_NS1_11comp_targetILNS1_3genE10ELNS1_11target_archE1200ELNS1_3gpuE4ELNS1_3repE0EEENS1_30default_config_static_selectorELNS0_4arch9wavefront6targetE0EEEvT1_, .Lfunc_end1406-_ZN7rocprim17ROCPRIM_400000_NS6detail17trampoline_kernelINS0_14default_configENS1_27scan_by_key_config_selectorIidEEZZNS1_16scan_by_key_implILNS1_25lookback_scan_determinismE0ELb1ES3_N6thrust23THRUST_200600_302600_NS6detail15normal_iteratorINS9_10device_ptrIiEEEENSB_INSC_IdEEEESG_dNS9_4plusIvEENS9_8equal_toIvEEdEE10hipError_tPvRmT2_T3_T4_T5_mT6_T7_P12ihipStream_tbENKUlT_T0_E_clISt17integral_constantIbLb1EES11_EEDaSW_SX_EUlSW_E_NS1_11comp_targetILNS1_3genE10ELNS1_11target_archE1200ELNS1_3gpuE4ELNS1_3repE0EEENS1_30default_config_static_selectorELNS0_4arch9wavefront6targetE0EEEvT1_
                                        ; -- End function
	.set _ZN7rocprim17ROCPRIM_400000_NS6detail17trampoline_kernelINS0_14default_configENS1_27scan_by_key_config_selectorIidEEZZNS1_16scan_by_key_implILNS1_25lookback_scan_determinismE0ELb1ES3_N6thrust23THRUST_200600_302600_NS6detail15normal_iteratorINS9_10device_ptrIiEEEENSB_INSC_IdEEEESG_dNS9_4plusIvEENS9_8equal_toIvEEdEE10hipError_tPvRmT2_T3_T4_T5_mT6_T7_P12ihipStream_tbENKUlT_T0_E_clISt17integral_constantIbLb1EES11_EEDaSW_SX_EUlSW_E_NS1_11comp_targetILNS1_3genE10ELNS1_11target_archE1200ELNS1_3gpuE4ELNS1_3repE0EEENS1_30default_config_static_selectorELNS0_4arch9wavefront6targetE0EEEvT1_.num_vgpr, 0
	.set _ZN7rocprim17ROCPRIM_400000_NS6detail17trampoline_kernelINS0_14default_configENS1_27scan_by_key_config_selectorIidEEZZNS1_16scan_by_key_implILNS1_25lookback_scan_determinismE0ELb1ES3_N6thrust23THRUST_200600_302600_NS6detail15normal_iteratorINS9_10device_ptrIiEEEENSB_INSC_IdEEEESG_dNS9_4plusIvEENS9_8equal_toIvEEdEE10hipError_tPvRmT2_T3_T4_T5_mT6_T7_P12ihipStream_tbENKUlT_T0_E_clISt17integral_constantIbLb1EES11_EEDaSW_SX_EUlSW_E_NS1_11comp_targetILNS1_3genE10ELNS1_11target_archE1200ELNS1_3gpuE4ELNS1_3repE0EEENS1_30default_config_static_selectorELNS0_4arch9wavefront6targetE0EEEvT1_.num_agpr, 0
	.set _ZN7rocprim17ROCPRIM_400000_NS6detail17trampoline_kernelINS0_14default_configENS1_27scan_by_key_config_selectorIidEEZZNS1_16scan_by_key_implILNS1_25lookback_scan_determinismE0ELb1ES3_N6thrust23THRUST_200600_302600_NS6detail15normal_iteratorINS9_10device_ptrIiEEEENSB_INSC_IdEEEESG_dNS9_4plusIvEENS9_8equal_toIvEEdEE10hipError_tPvRmT2_T3_T4_T5_mT6_T7_P12ihipStream_tbENKUlT_T0_E_clISt17integral_constantIbLb1EES11_EEDaSW_SX_EUlSW_E_NS1_11comp_targetILNS1_3genE10ELNS1_11target_archE1200ELNS1_3gpuE4ELNS1_3repE0EEENS1_30default_config_static_selectorELNS0_4arch9wavefront6targetE0EEEvT1_.numbered_sgpr, 0
	.set _ZN7rocprim17ROCPRIM_400000_NS6detail17trampoline_kernelINS0_14default_configENS1_27scan_by_key_config_selectorIidEEZZNS1_16scan_by_key_implILNS1_25lookback_scan_determinismE0ELb1ES3_N6thrust23THRUST_200600_302600_NS6detail15normal_iteratorINS9_10device_ptrIiEEEENSB_INSC_IdEEEESG_dNS9_4plusIvEENS9_8equal_toIvEEdEE10hipError_tPvRmT2_T3_T4_T5_mT6_T7_P12ihipStream_tbENKUlT_T0_E_clISt17integral_constantIbLb1EES11_EEDaSW_SX_EUlSW_E_NS1_11comp_targetILNS1_3genE10ELNS1_11target_archE1200ELNS1_3gpuE4ELNS1_3repE0EEENS1_30default_config_static_selectorELNS0_4arch9wavefront6targetE0EEEvT1_.num_named_barrier, 0
	.set _ZN7rocprim17ROCPRIM_400000_NS6detail17trampoline_kernelINS0_14default_configENS1_27scan_by_key_config_selectorIidEEZZNS1_16scan_by_key_implILNS1_25lookback_scan_determinismE0ELb1ES3_N6thrust23THRUST_200600_302600_NS6detail15normal_iteratorINS9_10device_ptrIiEEEENSB_INSC_IdEEEESG_dNS9_4plusIvEENS9_8equal_toIvEEdEE10hipError_tPvRmT2_T3_T4_T5_mT6_T7_P12ihipStream_tbENKUlT_T0_E_clISt17integral_constantIbLb1EES11_EEDaSW_SX_EUlSW_E_NS1_11comp_targetILNS1_3genE10ELNS1_11target_archE1200ELNS1_3gpuE4ELNS1_3repE0EEENS1_30default_config_static_selectorELNS0_4arch9wavefront6targetE0EEEvT1_.private_seg_size, 0
	.set _ZN7rocprim17ROCPRIM_400000_NS6detail17trampoline_kernelINS0_14default_configENS1_27scan_by_key_config_selectorIidEEZZNS1_16scan_by_key_implILNS1_25lookback_scan_determinismE0ELb1ES3_N6thrust23THRUST_200600_302600_NS6detail15normal_iteratorINS9_10device_ptrIiEEEENSB_INSC_IdEEEESG_dNS9_4plusIvEENS9_8equal_toIvEEdEE10hipError_tPvRmT2_T3_T4_T5_mT6_T7_P12ihipStream_tbENKUlT_T0_E_clISt17integral_constantIbLb1EES11_EEDaSW_SX_EUlSW_E_NS1_11comp_targetILNS1_3genE10ELNS1_11target_archE1200ELNS1_3gpuE4ELNS1_3repE0EEENS1_30default_config_static_selectorELNS0_4arch9wavefront6targetE0EEEvT1_.uses_vcc, 0
	.set _ZN7rocprim17ROCPRIM_400000_NS6detail17trampoline_kernelINS0_14default_configENS1_27scan_by_key_config_selectorIidEEZZNS1_16scan_by_key_implILNS1_25lookback_scan_determinismE0ELb1ES3_N6thrust23THRUST_200600_302600_NS6detail15normal_iteratorINS9_10device_ptrIiEEEENSB_INSC_IdEEEESG_dNS9_4plusIvEENS9_8equal_toIvEEdEE10hipError_tPvRmT2_T3_T4_T5_mT6_T7_P12ihipStream_tbENKUlT_T0_E_clISt17integral_constantIbLb1EES11_EEDaSW_SX_EUlSW_E_NS1_11comp_targetILNS1_3genE10ELNS1_11target_archE1200ELNS1_3gpuE4ELNS1_3repE0EEENS1_30default_config_static_selectorELNS0_4arch9wavefront6targetE0EEEvT1_.uses_flat_scratch, 0
	.set _ZN7rocprim17ROCPRIM_400000_NS6detail17trampoline_kernelINS0_14default_configENS1_27scan_by_key_config_selectorIidEEZZNS1_16scan_by_key_implILNS1_25lookback_scan_determinismE0ELb1ES3_N6thrust23THRUST_200600_302600_NS6detail15normal_iteratorINS9_10device_ptrIiEEEENSB_INSC_IdEEEESG_dNS9_4plusIvEENS9_8equal_toIvEEdEE10hipError_tPvRmT2_T3_T4_T5_mT6_T7_P12ihipStream_tbENKUlT_T0_E_clISt17integral_constantIbLb1EES11_EEDaSW_SX_EUlSW_E_NS1_11comp_targetILNS1_3genE10ELNS1_11target_archE1200ELNS1_3gpuE4ELNS1_3repE0EEENS1_30default_config_static_selectorELNS0_4arch9wavefront6targetE0EEEvT1_.has_dyn_sized_stack, 0
	.set _ZN7rocprim17ROCPRIM_400000_NS6detail17trampoline_kernelINS0_14default_configENS1_27scan_by_key_config_selectorIidEEZZNS1_16scan_by_key_implILNS1_25lookback_scan_determinismE0ELb1ES3_N6thrust23THRUST_200600_302600_NS6detail15normal_iteratorINS9_10device_ptrIiEEEENSB_INSC_IdEEEESG_dNS9_4plusIvEENS9_8equal_toIvEEdEE10hipError_tPvRmT2_T3_T4_T5_mT6_T7_P12ihipStream_tbENKUlT_T0_E_clISt17integral_constantIbLb1EES11_EEDaSW_SX_EUlSW_E_NS1_11comp_targetILNS1_3genE10ELNS1_11target_archE1200ELNS1_3gpuE4ELNS1_3repE0EEENS1_30default_config_static_selectorELNS0_4arch9wavefront6targetE0EEEvT1_.has_recursion, 0
	.set _ZN7rocprim17ROCPRIM_400000_NS6detail17trampoline_kernelINS0_14default_configENS1_27scan_by_key_config_selectorIidEEZZNS1_16scan_by_key_implILNS1_25lookback_scan_determinismE0ELb1ES3_N6thrust23THRUST_200600_302600_NS6detail15normal_iteratorINS9_10device_ptrIiEEEENSB_INSC_IdEEEESG_dNS9_4plusIvEENS9_8equal_toIvEEdEE10hipError_tPvRmT2_T3_T4_T5_mT6_T7_P12ihipStream_tbENKUlT_T0_E_clISt17integral_constantIbLb1EES11_EEDaSW_SX_EUlSW_E_NS1_11comp_targetILNS1_3genE10ELNS1_11target_archE1200ELNS1_3gpuE4ELNS1_3repE0EEENS1_30default_config_static_selectorELNS0_4arch9wavefront6targetE0EEEvT1_.has_indirect_call, 0
	.section	.AMDGPU.csdata,"",@progbits
; Kernel info:
; codeLenInByte = 0
; TotalNumSgprs: 0
; NumVgprs: 0
; ScratchSize: 0
; MemoryBound: 0
; FloatMode: 240
; IeeeMode: 1
; LDSByteSize: 0 bytes/workgroup (compile time only)
; SGPRBlocks: 0
; VGPRBlocks: 0
; NumSGPRsForWavesPerEU: 1
; NumVGPRsForWavesPerEU: 1
; NamedBarCnt: 0
; Occupancy: 16
; WaveLimiterHint : 0
; COMPUTE_PGM_RSRC2:SCRATCH_EN: 0
; COMPUTE_PGM_RSRC2:USER_SGPR: 2
; COMPUTE_PGM_RSRC2:TRAP_HANDLER: 0
; COMPUTE_PGM_RSRC2:TGID_X_EN: 1
; COMPUTE_PGM_RSRC2:TGID_Y_EN: 0
; COMPUTE_PGM_RSRC2:TGID_Z_EN: 0
; COMPUTE_PGM_RSRC2:TIDIG_COMP_CNT: 0
	.section	.text._ZN7rocprim17ROCPRIM_400000_NS6detail17trampoline_kernelINS0_14default_configENS1_27scan_by_key_config_selectorIidEEZZNS1_16scan_by_key_implILNS1_25lookback_scan_determinismE0ELb1ES3_N6thrust23THRUST_200600_302600_NS6detail15normal_iteratorINS9_10device_ptrIiEEEENSB_INSC_IdEEEESG_dNS9_4plusIvEENS9_8equal_toIvEEdEE10hipError_tPvRmT2_T3_T4_T5_mT6_T7_P12ihipStream_tbENKUlT_T0_E_clISt17integral_constantIbLb1EES11_EEDaSW_SX_EUlSW_E_NS1_11comp_targetILNS1_3genE9ELNS1_11target_archE1100ELNS1_3gpuE3ELNS1_3repE0EEENS1_30default_config_static_selectorELNS0_4arch9wavefront6targetE0EEEvT1_,"axG",@progbits,_ZN7rocprim17ROCPRIM_400000_NS6detail17trampoline_kernelINS0_14default_configENS1_27scan_by_key_config_selectorIidEEZZNS1_16scan_by_key_implILNS1_25lookback_scan_determinismE0ELb1ES3_N6thrust23THRUST_200600_302600_NS6detail15normal_iteratorINS9_10device_ptrIiEEEENSB_INSC_IdEEEESG_dNS9_4plusIvEENS9_8equal_toIvEEdEE10hipError_tPvRmT2_T3_T4_T5_mT6_T7_P12ihipStream_tbENKUlT_T0_E_clISt17integral_constantIbLb1EES11_EEDaSW_SX_EUlSW_E_NS1_11comp_targetILNS1_3genE9ELNS1_11target_archE1100ELNS1_3gpuE3ELNS1_3repE0EEENS1_30default_config_static_selectorELNS0_4arch9wavefront6targetE0EEEvT1_,comdat
	.protected	_ZN7rocprim17ROCPRIM_400000_NS6detail17trampoline_kernelINS0_14default_configENS1_27scan_by_key_config_selectorIidEEZZNS1_16scan_by_key_implILNS1_25lookback_scan_determinismE0ELb1ES3_N6thrust23THRUST_200600_302600_NS6detail15normal_iteratorINS9_10device_ptrIiEEEENSB_INSC_IdEEEESG_dNS9_4plusIvEENS9_8equal_toIvEEdEE10hipError_tPvRmT2_T3_T4_T5_mT6_T7_P12ihipStream_tbENKUlT_T0_E_clISt17integral_constantIbLb1EES11_EEDaSW_SX_EUlSW_E_NS1_11comp_targetILNS1_3genE9ELNS1_11target_archE1100ELNS1_3gpuE3ELNS1_3repE0EEENS1_30default_config_static_selectorELNS0_4arch9wavefront6targetE0EEEvT1_ ; -- Begin function _ZN7rocprim17ROCPRIM_400000_NS6detail17trampoline_kernelINS0_14default_configENS1_27scan_by_key_config_selectorIidEEZZNS1_16scan_by_key_implILNS1_25lookback_scan_determinismE0ELb1ES3_N6thrust23THRUST_200600_302600_NS6detail15normal_iteratorINS9_10device_ptrIiEEEENSB_INSC_IdEEEESG_dNS9_4plusIvEENS9_8equal_toIvEEdEE10hipError_tPvRmT2_T3_T4_T5_mT6_T7_P12ihipStream_tbENKUlT_T0_E_clISt17integral_constantIbLb1EES11_EEDaSW_SX_EUlSW_E_NS1_11comp_targetILNS1_3genE9ELNS1_11target_archE1100ELNS1_3gpuE3ELNS1_3repE0EEENS1_30default_config_static_selectorELNS0_4arch9wavefront6targetE0EEEvT1_
	.globl	_ZN7rocprim17ROCPRIM_400000_NS6detail17trampoline_kernelINS0_14default_configENS1_27scan_by_key_config_selectorIidEEZZNS1_16scan_by_key_implILNS1_25lookback_scan_determinismE0ELb1ES3_N6thrust23THRUST_200600_302600_NS6detail15normal_iteratorINS9_10device_ptrIiEEEENSB_INSC_IdEEEESG_dNS9_4plusIvEENS9_8equal_toIvEEdEE10hipError_tPvRmT2_T3_T4_T5_mT6_T7_P12ihipStream_tbENKUlT_T0_E_clISt17integral_constantIbLb1EES11_EEDaSW_SX_EUlSW_E_NS1_11comp_targetILNS1_3genE9ELNS1_11target_archE1100ELNS1_3gpuE3ELNS1_3repE0EEENS1_30default_config_static_selectorELNS0_4arch9wavefront6targetE0EEEvT1_
	.p2align	8
	.type	_ZN7rocprim17ROCPRIM_400000_NS6detail17trampoline_kernelINS0_14default_configENS1_27scan_by_key_config_selectorIidEEZZNS1_16scan_by_key_implILNS1_25lookback_scan_determinismE0ELb1ES3_N6thrust23THRUST_200600_302600_NS6detail15normal_iteratorINS9_10device_ptrIiEEEENSB_INSC_IdEEEESG_dNS9_4plusIvEENS9_8equal_toIvEEdEE10hipError_tPvRmT2_T3_T4_T5_mT6_T7_P12ihipStream_tbENKUlT_T0_E_clISt17integral_constantIbLb1EES11_EEDaSW_SX_EUlSW_E_NS1_11comp_targetILNS1_3genE9ELNS1_11target_archE1100ELNS1_3gpuE3ELNS1_3repE0EEENS1_30default_config_static_selectorELNS0_4arch9wavefront6targetE0EEEvT1_,@function
_ZN7rocprim17ROCPRIM_400000_NS6detail17trampoline_kernelINS0_14default_configENS1_27scan_by_key_config_selectorIidEEZZNS1_16scan_by_key_implILNS1_25lookback_scan_determinismE0ELb1ES3_N6thrust23THRUST_200600_302600_NS6detail15normal_iteratorINS9_10device_ptrIiEEEENSB_INSC_IdEEEESG_dNS9_4plusIvEENS9_8equal_toIvEEdEE10hipError_tPvRmT2_T3_T4_T5_mT6_T7_P12ihipStream_tbENKUlT_T0_E_clISt17integral_constantIbLb1EES11_EEDaSW_SX_EUlSW_E_NS1_11comp_targetILNS1_3genE9ELNS1_11target_archE1100ELNS1_3gpuE3ELNS1_3repE0EEENS1_30default_config_static_selectorELNS0_4arch9wavefront6targetE0EEEvT1_: ; @_ZN7rocprim17ROCPRIM_400000_NS6detail17trampoline_kernelINS0_14default_configENS1_27scan_by_key_config_selectorIidEEZZNS1_16scan_by_key_implILNS1_25lookback_scan_determinismE0ELb1ES3_N6thrust23THRUST_200600_302600_NS6detail15normal_iteratorINS9_10device_ptrIiEEEENSB_INSC_IdEEEESG_dNS9_4plusIvEENS9_8equal_toIvEEdEE10hipError_tPvRmT2_T3_T4_T5_mT6_T7_P12ihipStream_tbENKUlT_T0_E_clISt17integral_constantIbLb1EES11_EEDaSW_SX_EUlSW_E_NS1_11comp_targetILNS1_3genE9ELNS1_11target_archE1100ELNS1_3gpuE3ELNS1_3repE0EEENS1_30default_config_static_selectorELNS0_4arch9wavefront6targetE0EEEvT1_
; %bb.0:
	.section	.rodata,"a",@progbits
	.p2align	6, 0x0
	.amdhsa_kernel _ZN7rocprim17ROCPRIM_400000_NS6detail17trampoline_kernelINS0_14default_configENS1_27scan_by_key_config_selectorIidEEZZNS1_16scan_by_key_implILNS1_25lookback_scan_determinismE0ELb1ES3_N6thrust23THRUST_200600_302600_NS6detail15normal_iteratorINS9_10device_ptrIiEEEENSB_INSC_IdEEEESG_dNS9_4plusIvEENS9_8equal_toIvEEdEE10hipError_tPvRmT2_T3_T4_T5_mT6_T7_P12ihipStream_tbENKUlT_T0_E_clISt17integral_constantIbLb1EES11_EEDaSW_SX_EUlSW_E_NS1_11comp_targetILNS1_3genE9ELNS1_11target_archE1100ELNS1_3gpuE3ELNS1_3repE0EEENS1_30default_config_static_selectorELNS0_4arch9wavefront6targetE0EEEvT1_
		.amdhsa_group_segment_fixed_size 0
		.amdhsa_private_segment_fixed_size 0
		.amdhsa_kernarg_size 136
		.amdhsa_user_sgpr_count 2
		.amdhsa_user_sgpr_dispatch_ptr 0
		.amdhsa_user_sgpr_queue_ptr 0
		.amdhsa_user_sgpr_kernarg_segment_ptr 1
		.amdhsa_user_sgpr_dispatch_id 0
		.amdhsa_user_sgpr_kernarg_preload_length 0
		.amdhsa_user_sgpr_kernarg_preload_offset 0
		.amdhsa_user_sgpr_private_segment_size 0
		.amdhsa_wavefront_size32 1
		.amdhsa_uses_dynamic_stack 0
		.amdhsa_enable_private_segment 0
		.amdhsa_system_sgpr_workgroup_id_x 1
		.amdhsa_system_sgpr_workgroup_id_y 0
		.amdhsa_system_sgpr_workgroup_id_z 0
		.amdhsa_system_sgpr_workgroup_info 0
		.amdhsa_system_vgpr_workitem_id 0
		.amdhsa_next_free_vgpr 1
		.amdhsa_next_free_sgpr 1
		.amdhsa_named_barrier_count 0
		.amdhsa_reserve_vcc 0
		.amdhsa_float_round_mode_32 0
		.amdhsa_float_round_mode_16_64 0
		.amdhsa_float_denorm_mode_32 3
		.amdhsa_float_denorm_mode_16_64 3
		.amdhsa_fp16_overflow 0
		.amdhsa_memory_ordered 1
		.amdhsa_forward_progress 1
		.amdhsa_inst_pref_size 0
		.amdhsa_round_robin_scheduling 0
		.amdhsa_exception_fp_ieee_invalid_op 0
		.amdhsa_exception_fp_denorm_src 0
		.amdhsa_exception_fp_ieee_div_zero 0
		.amdhsa_exception_fp_ieee_overflow 0
		.amdhsa_exception_fp_ieee_underflow 0
		.amdhsa_exception_fp_ieee_inexact 0
		.amdhsa_exception_int_div_zero 0
	.end_amdhsa_kernel
	.section	.text._ZN7rocprim17ROCPRIM_400000_NS6detail17trampoline_kernelINS0_14default_configENS1_27scan_by_key_config_selectorIidEEZZNS1_16scan_by_key_implILNS1_25lookback_scan_determinismE0ELb1ES3_N6thrust23THRUST_200600_302600_NS6detail15normal_iteratorINS9_10device_ptrIiEEEENSB_INSC_IdEEEESG_dNS9_4plusIvEENS9_8equal_toIvEEdEE10hipError_tPvRmT2_T3_T4_T5_mT6_T7_P12ihipStream_tbENKUlT_T0_E_clISt17integral_constantIbLb1EES11_EEDaSW_SX_EUlSW_E_NS1_11comp_targetILNS1_3genE9ELNS1_11target_archE1100ELNS1_3gpuE3ELNS1_3repE0EEENS1_30default_config_static_selectorELNS0_4arch9wavefront6targetE0EEEvT1_,"axG",@progbits,_ZN7rocprim17ROCPRIM_400000_NS6detail17trampoline_kernelINS0_14default_configENS1_27scan_by_key_config_selectorIidEEZZNS1_16scan_by_key_implILNS1_25lookback_scan_determinismE0ELb1ES3_N6thrust23THRUST_200600_302600_NS6detail15normal_iteratorINS9_10device_ptrIiEEEENSB_INSC_IdEEEESG_dNS9_4plusIvEENS9_8equal_toIvEEdEE10hipError_tPvRmT2_T3_T4_T5_mT6_T7_P12ihipStream_tbENKUlT_T0_E_clISt17integral_constantIbLb1EES11_EEDaSW_SX_EUlSW_E_NS1_11comp_targetILNS1_3genE9ELNS1_11target_archE1100ELNS1_3gpuE3ELNS1_3repE0EEENS1_30default_config_static_selectorELNS0_4arch9wavefront6targetE0EEEvT1_,comdat
.Lfunc_end1407:
	.size	_ZN7rocprim17ROCPRIM_400000_NS6detail17trampoline_kernelINS0_14default_configENS1_27scan_by_key_config_selectorIidEEZZNS1_16scan_by_key_implILNS1_25lookback_scan_determinismE0ELb1ES3_N6thrust23THRUST_200600_302600_NS6detail15normal_iteratorINS9_10device_ptrIiEEEENSB_INSC_IdEEEESG_dNS9_4plusIvEENS9_8equal_toIvEEdEE10hipError_tPvRmT2_T3_T4_T5_mT6_T7_P12ihipStream_tbENKUlT_T0_E_clISt17integral_constantIbLb1EES11_EEDaSW_SX_EUlSW_E_NS1_11comp_targetILNS1_3genE9ELNS1_11target_archE1100ELNS1_3gpuE3ELNS1_3repE0EEENS1_30default_config_static_selectorELNS0_4arch9wavefront6targetE0EEEvT1_, .Lfunc_end1407-_ZN7rocprim17ROCPRIM_400000_NS6detail17trampoline_kernelINS0_14default_configENS1_27scan_by_key_config_selectorIidEEZZNS1_16scan_by_key_implILNS1_25lookback_scan_determinismE0ELb1ES3_N6thrust23THRUST_200600_302600_NS6detail15normal_iteratorINS9_10device_ptrIiEEEENSB_INSC_IdEEEESG_dNS9_4plusIvEENS9_8equal_toIvEEdEE10hipError_tPvRmT2_T3_T4_T5_mT6_T7_P12ihipStream_tbENKUlT_T0_E_clISt17integral_constantIbLb1EES11_EEDaSW_SX_EUlSW_E_NS1_11comp_targetILNS1_3genE9ELNS1_11target_archE1100ELNS1_3gpuE3ELNS1_3repE0EEENS1_30default_config_static_selectorELNS0_4arch9wavefront6targetE0EEEvT1_
                                        ; -- End function
	.set _ZN7rocprim17ROCPRIM_400000_NS6detail17trampoline_kernelINS0_14default_configENS1_27scan_by_key_config_selectorIidEEZZNS1_16scan_by_key_implILNS1_25lookback_scan_determinismE0ELb1ES3_N6thrust23THRUST_200600_302600_NS6detail15normal_iteratorINS9_10device_ptrIiEEEENSB_INSC_IdEEEESG_dNS9_4plusIvEENS9_8equal_toIvEEdEE10hipError_tPvRmT2_T3_T4_T5_mT6_T7_P12ihipStream_tbENKUlT_T0_E_clISt17integral_constantIbLb1EES11_EEDaSW_SX_EUlSW_E_NS1_11comp_targetILNS1_3genE9ELNS1_11target_archE1100ELNS1_3gpuE3ELNS1_3repE0EEENS1_30default_config_static_selectorELNS0_4arch9wavefront6targetE0EEEvT1_.num_vgpr, 0
	.set _ZN7rocprim17ROCPRIM_400000_NS6detail17trampoline_kernelINS0_14default_configENS1_27scan_by_key_config_selectorIidEEZZNS1_16scan_by_key_implILNS1_25lookback_scan_determinismE0ELb1ES3_N6thrust23THRUST_200600_302600_NS6detail15normal_iteratorINS9_10device_ptrIiEEEENSB_INSC_IdEEEESG_dNS9_4plusIvEENS9_8equal_toIvEEdEE10hipError_tPvRmT2_T3_T4_T5_mT6_T7_P12ihipStream_tbENKUlT_T0_E_clISt17integral_constantIbLb1EES11_EEDaSW_SX_EUlSW_E_NS1_11comp_targetILNS1_3genE9ELNS1_11target_archE1100ELNS1_3gpuE3ELNS1_3repE0EEENS1_30default_config_static_selectorELNS0_4arch9wavefront6targetE0EEEvT1_.num_agpr, 0
	.set _ZN7rocprim17ROCPRIM_400000_NS6detail17trampoline_kernelINS0_14default_configENS1_27scan_by_key_config_selectorIidEEZZNS1_16scan_by_key_implILNS1_25lookback_scan_determinismE0ELb1ES3_N6thrust23THRUST_200600_302600_NS6detail15normal_iteratorINS9_10device_ptrIiEEEENSB_INSC_IdEEEESG_dNS9_4plusIvEENS9_8equal_toIvEEdEE10hipError_tPvRmT2_T3_T4_T5_mT6_T7_P12ihipStream_tbENKUlT_T0_E_clISt17integral_constantIbLb1EES11_EEDaSW_SX_EUlSW_E_NS1_11comp_targetILNS1_3genE9ELNS1_11target_archE1100ELNS1_3gpuE3ELNS1_3repE0EEENS1_30default_config_static_selectorELNS0_4arch9wavefront6targetE0EEEvT1_.numbered_sgpr, 0
	.set _ZN7rocprim17ROCPRIM_400000_NS6detail17trampoline_kernelINS0_14default_configENS1_27scan_by_key_config_selectorIidEEZZNS1_16scan_by_key_implILNS1_25lookback_scan_determinismE0ELb1ES3_N6thrust23THRUST_200600_302600_NS6detail15normal_iteratorINS9_10device_ptrIiEEEENSB_INSC_IdEEEESG_dNS9_4plusIvEENS9_8equal_toIvEEdEE10hipError_tPvRmT2_T3_T4_T5_mT6_T7_P12ihipStream_tbENKUlT_T0_E_clISt17integral_constantIbLb1EES11_EEDaSW_SX_EUlSW_E_NS1_11comp_targetILNS1_3genE9ELNS1_11target_archE1100ELNS1_3gpuE3ELNS1_3repE0EEENS1_30default_config_static_selectorELNS0_4arch9wavefront6targetE0EEEvT1_.num_named_barrier, 0
	.set _ZN7rocprim17ROCPRIM_400000_NS6detail17trampoline_kernelINS0_14default_configENS1_27scan_by_key_config_selectorIidEEZZNS1_16scan_by_key_implILNS1_25lookback_scan_determinismE0ELb1ES3_N6thrust23THRUST_200600_302600_NS6detail15normal_iteratorINS9_10device_ptrIiEEEENSB_INSC_IdEEEESG_dNS9_4plusIvEENS9_8equal_toIvEEdEE10hipError_tPvRmT2_T3_T4_T5_mT6_T7_P12ihipStream_tbENKUlT_T0_E_clISt17integral_constantIbLb1EES11_EEDaSW_SX_EUlSW_E_NS1_11comp_targetILNS1_3genE9ELNS1_11target_archE1100ELNS1_3gpuE3ELNS1_3repE0EEENS1_30default_config_static_selectorELNS0_4arch9wavefront6targetE0EEEvT1_.private_seg_size, 0
	.set _ZN7rocprim17ROCPRIM_400000_NS6detail17trampoline_kernelINS0_14default_configENS1_27scan_by_key_config_selectorIidEEZZNS1_16scan_by_key_implILNS1_25lookback_scan_determinismE0ELb1ES3_N6thrust23THRUST_200600_302600_NS6detail15normal_iteratorINS9_10device_ptrIiEEEENSB_INSC_IdEEEESG_dNS9_4plusIvEENS9_8equal_toIvEEdEE10hipError_tPvRmT2_T3_T4_T5_mT6_T7_P12ihipStream_tbENKUlT_T0_E_clISt17integral_constantIbLb1EES11_EEDaSW_SX_EUlSW_E_NS1_11comp_targetILNS1_3genE9ELNS1_11target_archE1100ELNS1_3gpuE3ELNS1_3repE0EEENS1_30default_config_static_selectorELNS0_4arch9wavefront6targetE0EEEvT1_.uses_vcc, 0
	.set _ZN7rocprim17ROCPRIM_400000_NS6detail17trampoline_kernelINS0_14default_configENS1_27scan_by_key_config_selectorIidEEZZNS1_16scan_by_key_implILNS1_25lookback_scan_determinismE0ELb1ES3_N6thrust23THRUST_200600_302600_NS6detail15normal_iteratorINS9_10device_ptrIiEEEENSB_INSC_IdEEEESG_dNS9_4plusIvEENS9_8equal_toIvEEdEE10hipError_tPvRmT2_T3_T4_T5_mT6_T7_P12ihipStream_tbENKUlT_T0_E_clISt17integral_constantIbLb1EES11_EEDaSW_SX_EUlSW_E_NS1_11comp_targetILNS1_3genE9ELNS1_11target_archE1100ELNS1_3gpuE3ELNS1_3repE0EEENS1_30default_config_static_selectorELNS0_4arch9wavefront6targetE0EEEvT1_.uses_flat_scratch, 0
	.set _ZN7rocprim17ROCPRIM_400000_NS6detail17trampoline_kernelINS0_14default_configENS1_27scan_by_key_config_selectorIidEEZZNS1_16scan_by_key_implILNS1_25lookback_scan_determinismE0ELb1ES3_N6thrust23THRUST_200600_302600_NS6detail15normal_iteratorINS9_10device_ptrIiEEEENSB_INSC_IdEEEESG_dNS9_4plusIvEENS9_8equal_toIvEEdEE10hipError_tPvRmT2_T3_T4_T5_mT6_T7_P12ihipStream_tbENKUlT_T0_E_clISt17integral_constantIbLb1EES11_EEDaSW_SX_EUlSW_E_NS1_11comp_targetILNS1_3genE9ELNS1_11target_archE1100ELNS1_3gpuE3ELNS1_3repE0EEENS1_30default_config_static_selectorELNS0_4arch9wavefront6targetE0EEEvT1_.has_dyn_sized_stack, 0
	.set _ZN7rocprim17ROCPRIM_400000_NS6detail17trampoline_kernelINS0_14default_configENS1_27scan_by_key_config_selectorIidEEZZNS1_16scan_by_key_implILNS1_25lookback_scan_determinismE0ELb1ES3_N6thrust23THRUST_200600_302600_NS6detail15normal_iteratorINS9_10device_ptrIiEEEENSB_INSC_IdEEEESG_dNS9_4plusIvEENS9_8equal_toIvEEdEE10hipError_tPvRmT2_T3_T4_T5_mT6_T7_P12ihipStream_tbENKUlT_T0_E_clISt17integral_constantIbLb1EES11_EEDaSW_SX_EUlSW_E_NS1_11comp_targetILNS1_3genE9ELNS1_11target_archE1100ELNS1_3gpuE3ELNS1_3repE0EEENS1_30default_config_static_selectorELNS0_4arch9wavefront6targetE0EEEvT1_.has_recursion, 0
	.set _ZN7rocprim17ROCPRIM_400000_NS6detail17trampoline_kernelINS0_14default_configENS1_27scan_by_key_config_selectorIidEEZZNS1_16scan_by_key_implILNS1_25lookback_scan_determinismE0ELb1ES3_N6thrust23THRUST_200600_302600_NS6detail15normal_iteratorINS9_10device_ptrIiEEEENSB_INSC_IdEEEESG_dNS9_4plusIvEENS9_8equal_toIvEEdEE10hipError_tPvRmT2_T3_T4_T5_mT6_T7_P12ihipStream_tbENKUlT_T0_E_clISt17integral_constantIbLb1EES11_EEDaSW_SX_EUlSW_E_NS1_11comp_targetILNS1_3genE9ELNS1_11target_archE1100ELNS1_3gpuE3ELNS1_3repE0EEENS1_30default_config_static_selectorELNS0_4arch9wavefront6targetE0EEEvT1_.has_indirect_call, 0
	.section	.AMDGPU.csdata,"",@progbits
; Kernel info:
; codeLenInByte = 0
; TotalNumSgprs: 0
; NumVgprs: 0
; ScratchSize: 0
; MemoryBound: 0
; FloatMode: 240
; IeeeMode: 1
; LDSByteSize: 0 bytes/workgroup (compile time only)
; SGPRBlocks: 0
; VGPRBlocks: 0
; NumSGPRsForWavesPerEU: 1
; NumVGPRsForWavesPerEU: 1
; NamedBarCnt: 0
; Occupancy: 16
; WaveLimiterHint : 0
; COMPUTE_PGM_RSRC2:SCRATCH_EN: 0
; COMPUTE_PGM_RSRC2:USER_SGPR: 2
; COMPUTE_PGM_RSRC2:TRAP_HANDLER: 0
; COMPUTE_PGM_RSRC2:TGID_X_EN: 1
; COMPUTE_PGM_RSRC2:TGID_Y_EN: 0
; COMPUTE_PGM_RSRC2:TGID_Z_EN: 0
; COMPUTE_PGM_RSRC2:TIDIG_COMP_CNT: 0
	.section	.text._ZN7rocprim17ROCPRIM_400000_NS6detail17trampoline_kernelINS0_14default_configENS1_27scan_by_key_config_selectorIidEEZZNS1_16scan_by_key_implILNS1_25lookback_scan_determinismE0ELb1ES3_N6thrust23THRUST_200600_302600_NS6detail15normal_iteratorINS9_10device_ptrIiEEEENSB_INSC_IdEEEESG_dNS9_4plusIvEENS9_8equal_toIvEEdEE10hipError_tPvRmT2_T3_T4_T5_mT6_T7_P12ihipStream_tbENKUlT_T0_E_clISt17integral_constantIbLb1EES11_EEDaSW_SX_EUlSW_E_NS1_11comp_targetILNS1_3genE8ELNS1_11target_archE1030ELNS1_3gpuE2ELNS1_3repE0EEENS1_30default_config_static_selectorELNS0_4arch9wavefront6targetE0EEEvT1_,"axG",@progbits,_ZN7rocprim17ROCPRIM_400000_NS6detail17trampoline_kernelINS0_14default_configENS1_27scan_by_key_config_selectorIidEEZZNS1_16scan_by_key_implILNS1_25lookback_scan_determinismE0ELb1ES3_N6thrust23THRUST_200600_302600_NS6detail15normal_iteratorINS9_10device_ptrIiEEEENSB_INSC_IdEEEESG_dNS9_4plusIvEENS9_8equal_toIvEEdEE10hipError_tPvRmT2_T3_T4_T5_mT6_T7_P12ihipStream_tbENKUlT_T0_E_clISt17integral_constantIbLb1EES11_EEDaSW_SX_EUlSW_E_NS1_11comp_targetILNS1_3genE8ELNS1_11target_archE1030ELNS1_3gpuE2ELNS1_3repE0EEENS1_30default_config_static_selectorELNS0_4arch9wavefront6targetE0EEEvT1_,comdat
	.protected	_ZN7rocprim17ROCPRIM_400000_NS6detail17trampoline_kernelINS0_14default_configENS1_27scan_by_key_config_selectorIidEEZZNS1_16scan_by_key_implILNS1_25lookback_scan_determinismE0ELb1ES3_N6thrust23THRUST_200600_302600_NS6detail15normal_iteratorINS9_10device_ptrIiEEEENSB_INSC_IdEEEESG_dNS9_4plusIvEENS9_8equal_toIvEEdEE10hipError_tPvRmT2_T3_T4_T5_mT6_T7_P12ihipStream_tbENKUlT_T0_E_clISt17integral_constantIbLb1EES11_EEDaSW_SX_EUlSW_E_NS1_11comp_targetILNS1_3genE8ELNS1_11target_archE1030ELNS1_3gpuE2ELNS1_3repE0EEENS1_30default_config_static_selectorELNS0_4arch9wavefront6targetE0EEEvT1_ ; -- Begin function _ZN7rocprim17ROCPRIM_400000_NS6detail17trampoline_kernelINS0_14default_configENS1_27scan_by_key_config_selectorIidEEZZNS1_16scan_by_key_implILNS1_25lookback_scan_determinismE0ELb1ES3_N6thrust23THRUST_200600_302600_NS6detail15normal_iteratorINS9_10device_ptrIiEEEENSB_INSC_IdEEEESG_dNS9_4plusIvEENS9_8equal_toIvEEdEE10hipError_tPvRmT2_T3_T4_T5_mT6_T7_P12ihipStream_tbENKUlT_T0_E_clISt17integral_constantIbLb1EES11_EEDaSW_SX_EUlSW_E_NS1_11comp_targetILNS1_3genE8ELNS1_11target_archE1030ELNS1_3gpuE2ELNS1_3repE0EEENS1_30default_config_static_selectorELNS0_4arch9wavefront6targetE0EEEvT1_
	.globl	_ZN7rocprim17ROCPRIM_400000_NS6detail17trampoline_kernelINS0_14default_configENS1_27scan_by_key_config_selectorIidEEZZNS1_16scan_by_key_implILNS1_25lookback_scan_determinismE0ELb1ES3_N6thrust23THRUST_200600_302600_NS6detail15normal_iteratorINS9_10device_ptrIiEEEENSB_INSC_IdEEEESG_dNS9_4plusIvEENS9_8equal_toIvEEdEE10hipError_tPvRmT2_T3_T4_T5_mT6_T7_P12ihipStream_tbENKUlT_T0_E_clISt17integral_constantIbLb1EES11_EEDaSW_SX_EUlSW_E_NS1_11comp_targetILNS1_3genE8ELNS1_11target_archE1030ELNS1_3gpuE2ELNS1_3repE0EEENS1_30default_config_static_selectorELNS0_4arch9wavefront6targetE0EEEvT1_
	.p2align	8
	.type	_ZN7rocprim17ROCPRIM_400000_NS6detail17trampoline_kernelINS0_14default_configENS1_27scan_by_key_config_selectorIidEEZZNS1_16scan_by_key_implILNS1_25lookback_scan_determinismE0ELb1ES3_N6thrust23THRUST_200600_302600_NS6detail15normal_iteratorINS9_10device_ptrIiEEEENSB_INSC_IdEEEESG_dNS9_4plusIvEENS9_8equal_toIvEEdEE10hipError_tPvRmT2_T3_T4_T5_mT6_T7_P12ihipStream_tbENKUlT_T0_E_clISt17integral_constantIbLb1EES11_EEDaSW_SX_EUlSW_E_NS1_11comp_targetILNS1_3genE8ELNS1_11target_archE1030ELNS1_3gpuE2ELNS1_3repE0EEENS1_30default_config_static_selectorELNS0_4arch9wavefront6targetE0EEEvT1_,@function
_ZN7rocprim17ROCPRIM_400000_NS6detail17trampoline_kernelINS0_14default_configENS1_27scan_by_key_config_selectorIidEEZZNS1_16scan_by_key_implILNS1_25lookback_scan_determinismE0ELb1ES3_N6thrust23THRUST_200600_302600_NS6detail15normal_iteratorINS9_10device_ptrIiEEEENSB_INSC_IdEEEESG_dNS9_4plusIvEENS9_8equal_toIvEEdEE10hipError_tPvRmT2_T3_T4_T5_mT6_T7_P12ihipStream_tbENKUlT_T0_E_clISt17integral_constantIbLb1EES11_EEDaSW_SX_EUlSW_E_NS1_11comp_targetILNS1_3genE8ELNS1_11target_archE1030ELNS1_3gpuE2ELNS1_3repE0EEENS1_30default_config_static_selectorELNS0_4arch9wavefront6targetE0EEEvT1_: ; @_ZN7rocprim17ROCPRIM_400000_NS6detail17trampoline_kernelINS0_14default_configENS1_27scan_by_key_config_selectorIidEEZZNS1_16scan_by_key_implILNS1_25lookback_scan_determinismE0ELb1ES3_N6thrust23THRUST_200600_302600_NS6detail15normal_iteratorINS9_10device_ptrIiEEEENSB_INSC_IdEEEESG_dNS9_4plusIvEENS9_8equal_toIvEEdEE10hipError_tPvRmT2_T3_T4_T5_mT6_T7_P12ihipStream_tbENKUlT_T0_E_clISt17integral_constantIbLb1EES11_EEDaSW_SX_EUlSW_E_NS1_11comp_targetILNS1_3genE8ELNS1_11target_archE1030ELNS1_3gpuE2ELNS1_3repE0EEENS1_30default_config_static_selectorELNS0_4arch9wavefront6targetE0EEEvT1_
; %bb.0:
	.section	.rodata,"a",@progbits
	.p2align	6, 0x0
	.amdhsa_kernel _ZN7rocprim17ROCPRIM_400000_NS6detail17trampoline_kernelINS0_14default_configENS1_27scan_by_key_config_selectorIidEEZZNS1_16scan_by_key_implILNS1_25lookback_scan_determinismE0ELb1ES3_N6thrust23THRUST_200600_302600_NS6detail15normal_iteratorINS9_10device_ptrIiEEEENSB_INSC_IdEEEESG_dNS9_4plusIvEENS9_8equal_toIvEEdEE10hipError_tPvRmT2_T3_T4_T5_mT6_T7_P12ihipStream_tbENKUlT_T0_E_clISt17integral_constantIbLb1EES11_EEDaSW_SX_EUlSW_E_NS1_11comp_targetILNS1_3genE8ELNS1_11target_archE1030ELNS1_3gpuE2ELNS1_3repE0EEENS1_30default_config_static_selectorELNS0_4arch9wavefront6targetE0EEEvT1_
		.amdhsa_group_segment_fixed_size 0
		.amdhsa_private_segment_fixed_size 0
		.amdhsa_kernarg_size 136
		.amdhsa_user_sgpr_count 2
		.amdhsa_user_sgpr_dispatch_ptr 0
		.amdhsa_user_sgpr_queue_ptr 0
		.amdhsa_user_sgpr_kernarg_segment_ptr 1
		.amdhsa_user_sgpr_dispatch_id 0
		.amdhsa_user_sgpr_kernarg_preload_length 0
		.amdhsa_user_sgpr_kernarg_preload_offset 0
		.amdhsa_user_sgpr_private_segment_size 0
		.amdhsa_wavefront_size32 1
		.amdhsa_uses_dynamic_stack 0
		.amdhsa_enable_private_segment 0
		.amdhsa_system_sgpr_workgroup_id_x 1
		.amdhsa_system_sgpr_workgroup_id_y 0
		.amdhsa_system_sgpr_workgroup_id_z 0
		.amdhsa_system_sgpr_workgroup_info 0
		.amdhsa_system_vgpr_workitem_id 0
		.amdhsa_next_free_vgpr 1
		.amdhsa_next_free_sgpr 1
		.amdhsa_named_barrier_count 0
		.amdhsa_reserve_vcc 0
		.amdhsa_float_round_mode_32 0
		.amdhsa_float_round_mode_16_64 0
		.amdhsa_float_denorm_mode_32 3
		.amdhsa_float_denorm_mode_16_64 3
		.amdhsa_fp16_overflow 0
		.amdhsa_memory_ordered 1
		.amdhsa_forward_progress 1
		.amdhsa_inst_pref_size 0
		.amdhsa_round_robin_scheduling 0
		.amdhsa_exception_fp_ieee_invalid_op 0
		.amdhsa_exception_fp_denorm_src 0
		.amdhsa_exception_fp_ieee_div_zero 0
		.amdhsa_exception_fp_ieee_overflow 0
		.amdhsa_exception_fp_ieee_underflow 0
		.amdhsa_exception_fp_ieee_inexact 0
		.amdhsa_exception_int_div_zero 0
	.end_amdhsa_kernel
	.section	.text._ZN7rocprim17ROCPRIM_400000_NS6detail17trampoline_kernelINS0_14default_configENS1_27scan_by_key_config_selectorIidEEZZNS1_16scan_by_key_implILNS1_25lookback_scan_determinismE0ELb1ES3_N6thrust23THRUST_200600_302600_NS6detail15normal_iteratorINS9_10device_ptrIiEEEENSB_INSC_IdEEEESG_dNS9_4plusIvEENS9_8equal_toIvEEdEE10hipError_tPvRmT2_T3_T4_T5_mT6_T7_P12ihipStream_tbENKUlT_T0_E_clISt17integral_constantIbLb1EES11_EEDaSW_SX_EUlSW_E_NS1_11comp_targetILNS1_3genE8ELNS1_11target_archE1030ELNS1_3gpuE2ELNS1_3repE0EEENS1_30default_config_static_selectorELNS0_4arch9wavefront6targetE0EEEvT1_,"axG",@progbits,_ZN7rocprim17ROCPRIM_400000_NS6detail17trampoline_kernelINS0_14default_configENS1_27scan_by_key_config_selectorIidEEZZNS1_16scan_by_key_implILNS1_25lookback_scan_determinismE0ELb1ES3_N6thrust23THRUST_200600_302600_NS6detail15normal_iteratorINS9_10device_ptrIiEEEENSB_INSC_IdEEEESG_dNS9_4plusIvEENS9_8equal_toIvEEdEE10hipError_tPvRmT2_T3_T4_T5_mT6_T7_P12ihipStream_tbENKUlT_T0_E_clISt17integral_constantIbLb1EES11_EEDaSW_SX_EUlSW_E_NS1_11comp_targetILNS1_3genE8ELNS1_11target_archE1030ELNS1_3gpuE2ELNS1_3repE0EEENS1_30default_config_static_selectorELNS0_4arch9wavefront6targetE0EEEvT1_,comdat
.Lfunc_end1408:
	.size	_ZN7rocprim17ROCPRIM_400000_NS6detail17trampoline_kernelINS0_14default_configENS1_27scan_by_key_config_selectorIidEEZZNS1_16scan_by_key_implILNS1_25lookback_scan_determinismE0ELb1ES3_N6thrust23THRUST_200600_302600_NS6detail15normal_iteratorINS9_10device_ptrIiEEEENSB_INSC_IdEEEESG_dNS9_4plusIvEENS9_8equal_toIvEEdEE10hipError_tPvRmT2_T3_T4_T5_mT6_T7_P12ihipStream_tbENKUlT_T0_E_clISt17integral_constantIbLb1EES11_EEDaSW_SX_EUlSW_E_NS1_11comp_targetILNS1_3genE8ELNS1_11target_archE1030ELNS1_3gpuE2ELNS1_3repE0EEENS1_30default_config_static_selectorELNS0_4arch9wavefront6targetE0EEEvT1_, .Lfunc_end1408-_ZN7rocprim17ROCPRIM_400000_NS6detail17trampoline_kernelINS0_14default_configENS1_27scan_by_key_config_selectorIidEEZZNS1_16scan_by_key_implILNS1_25lookback_scan_determinismE0ELb1ES3_N6thrust23THRUST_200600_302600_NS6detail15normal_iteratorINS9_10device_ptrIiEEEENSB_INSC_IdEEEESG_dNS9_4plusIvEENS9_8equal_toIvEEdEE10hipError_tPvRmT2_T3_T4_T5_mT6_T7_P12ihipStream_tbENKUlT_T0_E_clISt17integral_constantIbLb1EES11_EEDaSW_SX_EUlSW_E_NS1_11comp_targetILNS1_3genE8ELNS1_11target_archE1030ELNS1_3gpuE2ELNS1_3repE0EEENS1_30default_config_static_selectorELNS0_4arch9wavefront6targetE0EEEvT1_
                                        ; -- End function
	.set _ZN7rocprim17ROCPRIM_400000_NS6detail17trampoline_kernelINS0_14default_configENS1_27scan_by_key_config_selectorIidEEZZNS1_16scan_by_key_implILNS1_25lookback_scan_determinismE0ELb1ES3_N6thrust23THRUST_200600_302600_NS6detail15normal_iteratorINS9_10device_ptrIiEEEENSB_INSC_IdEEEESG_dNS9_4plusIvEENS9_8equal_toIvEEdEE10hipError_tPvRmT2_T3_T4_T5_mT6_T7_P12ihipStream_tbENKUlT_T0_E_clISt17integral_constantIbLb1EES11_EEDaSW_SX_EUlSW_E_NS1_11comp_targetILNS1_3genE8ELNS1_11target_archE1030ELNS1_3gpuE2ELNS1_3repE0EEENS1_30default_config_static_selectorELNS0_4arch9wavefront6targetE0EEEvT1_.num_vgpr, 0
	.set _ZN7rocprim17ROCPRIM_400000_NS6detail17trampoline_kernelINS0_14default_configENS1_27scan_by_key_config_selectorIidEEZZNS1_16scan_by_key_implILNS1_25lookback_scan_determinismE0ELb1ES3_N6thrust23THRUST_200600_302600_NS6detail15normal_iteratorINS9_10device_ptrIiEEEENSB_INSC_IdEEEESG_dNS9_4plusIvEENS9_8equal_toIvEEdEE10hipError_tPvRmT2_T3_T4_T5_mT6_T7_P12ihipStream_tbENKUlT_T0_E_clISt17integral_constantIbLb1EES11_EEDaSW_SX_EUlSW_E_NS1_11comp_targetILNS1_3genE8ELNS1_11target_archE1030ELNS1_3gpuE2ELNS1_3repE0EEENS1_30default_config_static_selectorELNS0_4arch9wavefront6targetE0EEEvT1_.num_agpr, 0
	.set _ZN7rocprim17ROCPRIM_400000_NS6detail17trampoline_kernelINS0_14default_configENS1_27scan_by_key_config_selectorIidEEZZNS1_16scan_by_key_implILNS1_25lookback_scan_determinismE0ELb1ES3_N6thrust23THRUST_200600_302600_NS6detail15normal_iteratorINS9_10device_ptrIiEEEENSB_INSC_IdEEEESG_dNS9_4plusIvEENS9_8equal_toIvEEdEE10hipError_tPvRmT2_T3_T4_T5_mT6_T7_P12ihipStream_tbENKUlT_T0_E_clISt17integral_constantIbLb1EES11_EEDaSW_SX_EUlSW_E_NS1_11comp_targetILNS1_3genE8ELNS1_11target_archE1030ELNS1_3gpuE2ELNS1_3repE0EEENS1_30default_config_static_selectorELNS0_4arch9wavefront6targetE0EEEvT1_.numbered_sgpr, 0
	.set _ZN7rocprim17ROCPRIM_400000_NS6detail17trampoline_kernelINS0_14default_configENS1_27scan_by_key_config_selectorIidEEZZNS1_16scan_by_key_implILNS1_25lookback_scan_determinismE0ELb1ES3_N6thrust23THRUST_200600_302600_NS6detail15normal_iteratorINS9_10device_ptrIiEEEENSB_INSC_IdEEEESG_dNS9_4plusIvEENS9_8equal_toIvEEdEE10hipError_tPvRmT2_T3_T4_T5_mT6_T7_P12ihipStream_tbENKUlT_T0_E_clISt17integral_constantIbLb1EES11_EEDaSW_SX_EUlSW_E_NS1_11comp_targetILNS1_3genE8ELNS1_11target_archE1030ELNS1_3gpuE2ELNS1_3repE0EEENS1_30default_config_static_selectorELNS0_4arch9wavefront6targetE0EEEvT1_.num_named_barrier, 0
	.set _ZN7rocprim17ROCPRIM_400000_NS6detail17trampoline_kernelINS0_14default_configENS1_27scan_by_key_config_selectorIidEEZZNS1_16scan_by_key_implILNS1_25lookback_scan_determinismE0ELb1ES3_N6thrust23THRUST_200600_302600_NS6detail15normal_iteratorINS9_10device_ptrIiEEEENSB_INSC_IdEEEESG_dNS9_4plusIvEENS9_8equal_toIvEEdEE10hipError_tPvRmT2_T3_T4_T5_mT6_T7_P12ihipStream_tbENKUlT_T0_E_clISt17integral_constantIbLb1EES11_EEDaSW_SX_EUlSW_E_NS1_11comp_targetILNS1_3genE8ELNS1_11target_archE1030ELNS1_3gpuE2ELNS1_3repE0EEENS1_30default_config_static_selectorELNS0_4arch9wavefront6targetE0EEEvT1_.private_seg_size, 0
	.set _ZN7rocprim17ROCPRIM_400000_NS6detail17trampoline_kernelINS0_14default_configENS1_27scan_by_key_config_selectorIidEEZZNS1_16scan_by_key_implILNS1_25lookback_scan_determinismE0ELb1ES3_N6thrust23THRUST_200600_302600_NS6detail15normal_iteratorINS9_10device_ptrIiEEEENSB_INSC_IdEEEESG_dNS9_4plusIvEENS9_8equal_toIvEEdEE10hipError_tPvRmT2_T3_T4_T5_mT6_T7_P12ihipStream_tbENKUlT_T0_E_clISt17integral_constantIbLb1EES11_EEDaSW_SX_EUlSW_E_NS1_11comp_targetILNS1_3genE8ELNS1_11target_archE1030ELNS1_3gpuE2ELNS1_3repE0EEENS1_30default_config_static_selectorELNS0_4arch9wavefront6targetE0EEEvT1_.uses_vcc, 0
	.set _ZN7rocprim17ROCPRIM_400000_NS6detail17trampoline_kernelINS0_14default_configENS1_27scan_by_key_config_selectorIidEEZZNS1_16scan_by_key_implILNS1_25lookback_scan_determinismE0ELb1ES3_N6thrust23THRUST_200600_302600_NS6detail15normal_iteratorINS9_10device_ptrIiEEEENSB_INSC_IdEEEESG_dNS9_4plusIvEENS9_8equal_toIvEEdEE10hipError_tPvRmT2_T3_T4_T5_mT6_T7_P12ihipStream_tbENKUlT_T0_E_clISt17integral_constantIbLb1EES11_EEDaSW_SX_EUlSW_E_NS1_11comp_targetILNS1_3genE8ELNS1_11target_archE1030ELNS1_3gpuE2ELNS1_3repE0EEENS1_30default_config_static_selectorELNS0_4arch9wavefront6targetE0EEEvT1_.uses_flat_scratch, 0
	.set _ZN7rocprim17ROCPRIM_400000_NS6detail17trampoline_kernelINS0_14default_configENS1_27scan_by_key_config_selectorIidEEZZNS1_16scan_by_key_implILNS1_25lookback_scan_determinismE0ELb1ES3_N6thrust23THRUST_200600_302600_NS6detail15normal_iteratorINS9_10device_ptrIiEEEENSB_INSC_IdEEEESG_dNS9_4plusIvEENS9_8equal_toIvEEdEE10hipError_tPvRmT2_T3_T4_T5_mT6_T7_P12ihipStream_tbENKUlT_T0_E_clISt17integral_constantIbLb1EES11_EEDaSW_SX_EUlSW_E_NS1_11comp_targetILNS1_3genE8ELNS1_11target_archE1030ELNS1_3gpuE2ELNS1_3repE0EEENS1_30default_config_static_selectorELNS0_4arch9wavefront6targetE0EEEvT1_.has_dyn_sized_stack, 0
	.set _ZN7rocprim17ROCPRIM_400000_NS6detail17trampoline_kernelINS0_14default_configENS1_27scan_by_key_config_selectorIidEEZZNS1_16scan_by_key_implILNS1_25lookback_scan_determinismE0ELb1ES3_N6thrust23THRUST_200600_302600_NS6detail15normal_iteratorINS9_10device_ptrIiEEEENSB_INSC_IdEEEESG_dNS9_4plusIvEENS9_8equal_toIvEEdEE10hipError_tPvRmT2_T3_T4_T5_mT6_T7_P12ihipStream_tbENKUlT_T0_E_clISt17integral_constantIbLb1EES11_EEDaSW_SX_EUlSW_E_NS1_11comp_targetILNS1_3genE8ELNS1_11target_archE1030ELNS1_3gpuE2ELNS1_3repE0EEENS1_30default_config_static_selectorELNS0_4arch9wavefront6targetE0EEEvT1_.has_recursion, 0
	.set _ZN7rocprim17ROCPRIM_400000_NS6detail17trampoline_kernelINS0_14default_configENS1_27scan_by_key_config_selectorIidEEZZNS1_16scan_by_key_implILNS1_25lookback_scan_determinismE0ELb1ES3_N6thrust23THRUST_200600_302600_NS6detail15normal_iteratorINS9_10device_ptrIiEEEENSB_INSC_IdEEEESG_dNS9_4plusIvEENS9_8equal_toIvEEdEE10hipError_tPvRmT2_T3_T4_T5_mT6_T7_P12ihipStream_tbENKUlT_T0_E_clISt17integral_constantIbLb1EES11_EEDaSW_SX_EUlSW_E_NS1_11comp_targetILNS1_3genE8ELNS1_11target_archE1030ELNS1_3gpuE2ELNS1_3repE0EEENS1_30default_config_static_selectorELNS0_4arch9wavefront6targetE0EEEvT1_.has_indirect_call, 0
	.section	.AMDGPU.csdata,"",@progbits
; Kernel info:
; codeLenInByte = 0
; TotalNumSgprs: 0
; NumVgprs: 0
; ScratchSize: 0
; MemoryBound: 0
; FloatMode: 240
; IeeeMode: 1
; LDSByteSize: 0 bytes/workgroup (compile time only)
; SGPRBlocks: 0
; VGPRBlocks: 0
; NumSGPRsForWavesPerEU: 1
; NumVGPRsForWavesPerEU: 1
; NamedBarCnt: 0
; Occupancy: 16
; WaveLimiterHint : 0
; COMPUTE_PGM_RSRC2:SCRATCH_EN: 0
; COMPUTE_PGM_RSRC2:USER_SGPR: 2
; COMPUTE_PGM_RSRC2:TRAP_HANDLER: 0
; COMPUTE_PGM_RSRC2:TGID_X_EN: 1
; COMPUTE_PGM_RSRC2:TGID_Y_EN: 0
; COMPUTE_PGM_RSRC2:TGID_Z_EN: 0
; COMPUTE_PGM_RSRC2:TIDIG_COMP_CNT: 0
	.section	.text._ZN7rocprim17ROCPRIM_400000_NS6detail17trampoline_kernelINS0_14default_configENS1_27scan_by_key_config_selectorIidEEZZNS1_16scan_by_key_implILNS1_25lookback_scan_determinismE0ELb1ES3_N6thrust23THRUST_200600_302600_NS6detail15normal_iteratorINS9_10device_ptrIiEEEENSB_INSC_IdEEEESG_dNS9_4plusIvEENS9_8equal_toIvEEdEE10hipError_tPvRmT2_T3_T4_T5_mT6_T7_P12ihipStream_tbENKUlT_T0_E_clISt17integral_constantIbLb1EES10_IbLb0EEEEDaSW_SX_EUlSW_E_NS1_11comp_targetILNS1_3genE0ELNS1_11target_archE4294967295ELNS1_3gpuE0ELNS1_3repE0EEENS1_30default_config_static_selectorELNS0_4arch9wavefront6targetE0EEEvT1_,"axG",@progbits,_ZN7rocprim17ROCPRIM_400000_NS6detail17trampoline_kernelINS0_14default_configENS1_27scan_by_key_config_selectorIidEEZZNS1_16scan_by_key_implILNS1_25lookback_scan_determinismE0ELb1ES3_N6thrust23THRUST_200600_302600_NS6detail15normal_iteratorINS9_10device_ptrIiEEEENSB_INSC_IdEEEESG_dNS9_4plusIvEENS9_8equal_toIvEEdEE10hipError_tPvRmT2_T3_T4_T5_mT6_T7_P12ihipStream_tbENKUlT_T0_E_clISt17integral_constantIbLb1EES10_IbLb0EEEEDaSW_SX_EUlSW_E_NS1_11comp_targetILNS1_3genE0ELNS1_11target_archE4294967295ELNS1_3gpuE0ELNS1_3repE0EEENS1_30default_config_static_selectorELNS0_4arch9wavefront6targetE0EEEvT1_,comdat
	.protected	_ZN7rocprim17ROCPRIM_400000_NS6detail17trampoline_kernelINS0_14default_configENS1_27scan_by_key_config_selectorIidEEZZNS1_16scan_by_key_implILNS1_25lookback_scan_determinismE0ELb1ES3_N6thrust23THRUST_200600_302600_NS6detail15normal_iteratorINS9_10device_ptrIiEEEENSB_INSC_IdEEEESG_dNS9_4plusIvEENS9_8equal_toIvEEdEE10hipError_tPvRmT2_T3_T4_T5_mT6_T7_P12ihipStream_tbENKUlT_T0_E_clISt17integral_constantIbLb1EES10_IbLb0EEEEDaSW_SX_EUlSW_E_NS1_11comp_targetILNS1_3genE0ELNS1_11target_archE4294967295ELNS1_3gpuE0ELNS1_3repE0EEENS1_30default_config_static_selectorELNS0_4arch9wavefront6targetE0EEEvT1_ ; -- Begin function _ZN7rocprim17ROCPRIM_400000_NS6detail17trampoline_kernelINS0_14default_configENS1_27scan_by_key_config_selectorIidEEZZNS1_16scan_by_key_implILNS1_25lookback_scan_determinismE0ELb1ES3_N6thrust23THRUST_200600_302600_NS6detail15normal_iteratorINS9_10device_ptrIiEEEENSB_INSC_IdEEEESG_dNS9_4plusIvEENS9_8equal_toIvEEdEE10hipError_tPvRmT2_T3_T4_T5_mT6_T7_P12ihipStream_tbENKUlT_T0_E_clISt17integral_constantIbLb1EES10_IbLb0EEEEDaSW_SX_EUlSW_E_NS1_11comp_targetILNS1_3genE0ELNS1_11target_archE4294967295ELNS1_3gpuE0ELNS1_3repE0EEENS1_30default_config_static_selectorELNS0_4arch9wavefront6targetE0EEEvT1_
	.globl	_ZN7rocprim17ROCPRIM_400000_NS6detail17trampoline_kernelINS0_14default_configENS1_27scan_by_key_config_selectorIidEEZZNS1_16scan_by_key_implILNS1_25lookback_scan_determinismE0ELb1ES3_N6thrust23THRUST_200600_302600_NS6detail15normal_iteratorINS9_10device_ptrIiEEEENSB_INSC_IdEEEESG_dNS9_4plusIvEENS9_8equal_toIvEEdEE10hipError_tPvRmT2_T3_T4_T5_mT6_T7_P12ihipStream_tbENKUlT_T0_E_clISt17integral_constantIbLb1EES10_IbLb0EEEEDaSW_SX_EUlSW_E_NS1_11comp_targetILNS1_3genE0ELNS1_11target_archE4294967295ELNS1_3gpuE0ELNS1_3repE0EEENS1_30default_config_static_selectorELNS0_4arch9wavefront6targetE0EEEvT1_
	.p2align	8
	.type	_ZN7rocprim17ROCPRIM_400000_NS6detail17trampoline_kernelINS0_14default_configENS1_27scan_by_key_config_selectorIidEEZZNS1_16scan_by_key_implILNS1_25lookback_scan_determinismE0ELb1ES3_N6thrust23THRUST_200600_302600_NS6detail15normal_iteratorINS9_10device_ptrIiEEEENSB_INSC_IdEEEESG_dNS9_4plusIvEENS9_8equal_toIvEEdEE10hipError_tPvRmT2_T3_T4_T5_mT6_T7_P12ihipStream_tbENKUlT_T0_E_clISt17integral_constantIbLb1EES10_IbLb0EEEEDaSW_SX_EUlSW_E_NS1_11comp_targetILNS1_3genE0ELNS1_11target_archE4294967295ELNS1_3gpuE0ELNS1_3repE0EEENS1_30default_config_static_selectorELNS0_4arch9wavefront6targetE0EEEvT1_,@function
_ZN7rocprim17ROCPRIM_400000_NS6detail17trampoline_kernelINS0_14default_configENS1_27scan_by_key_config_selectorIidEEZZNS1_16scan_by_key_implILNS1_25lookback_scan_determinismE0ELb1ES3_N6thrust23THRUST_200600_302600_NS6detail15normal_iteratorINS9_10device_ptrIiEEEENSB_INSC_IdEEEESG_dNS9_4plusIvEENS9_8equal_toIvEEdEE10hipError_tPvRmT2_T3_T4_T5_mT6_T7_P12ihipStream_tbENKUlT_T0_E_clISt17integral_constantIbLb1EES10_IbLb0EEEEDaSW_SX_EUlSW_E_NS1_11comp_targetILNS1_3genE0ELNS1_11target_archE4294967295ELNS1_3gpuE0ELNS1_3repE0EEENS1_30default_config_static_selectorELNS0_4arch9wavefront6targetE0EEEvT1_: ; @_ZN7rocprim17ROCPRIM_400000_NS6detail17trampoline_kernelINS0_14default_configENS1_27scan_by_key_config_selectorIidEEZZNS1_16scan_by_key_implILNS1_25lookback_scan_determinismE0ELb1ES3_N6thrust23THRUST_200600_302600_NS6detail15normal_iteratorINS9_10device_ptrIiEEEENSB_INSC_IdEEEESG_dNS9_4plusIvEENS9_8equal_toIvEEdEE10hipError_tPvRmT2_T3_T4_T5_mT6_T7_P12ihipStream_tbENKUlT_T0_E_clISt17integral_constantIbLb1EES10_IbLb0EEEEDaSW_SX_EUlSW_E_NS1_11comp_targetILNS1_3genE0ELNS1_11target_archE4294967295ELNS1_3gpuE0ELNS1_3repE0EEENS1_30default_config_static_selectorELNS0_4arch9wavefront6targetE0EEEvT1_
; %bb.0:
	s_endpgm
	.section	.rodata,"a",@progbits
	.p2align	6, 0x0
	.amdhsa_kernel _ZN7rocprim17ROCPRIM_400000_NS6detail17trampoline_kernelINS0_14default_configENS1_27scan_by_key_config_selectorIidEEZZNS1_16scan_by_key_implILNS1_25lookback_scan_determinismE0ELb1ES3_N6thrust23THRUST_200600_302600_NS6detail15normal_iteratorINS9_10device_ptrIiEEEENSB_INSC_IdEEEESG_dNS9_4plusIvEENS9_8equal_toIvEEdEE10hipError_tPvRmT2_T3_T4_T5_mT6_T7_P12ihipStream_tbENKUlT_T0_E_clISt17integral_constantIbLb1EES10_IbLb0EEEEDaSW_SX_EUlSW_E_NS1_11comp_targetILNS1_3genE0ELNS1_11target_archE4294967295ELNS1_3gpuE0ELNS1_3repE0EEENS1_30default_config_static_selectorELNS0_4arch9wavefront6targetE0EEEvT1_
		.amdhsa_group_segment_fixed_size 0
		.amdhsa_private_segment_fixed_size 0
		.amdhsa_kernarg_size 136
		.amdhsa_user_sgpr_count 2
		.amdhsa_user_sgpr_dispatch_ptr 0
		.amdhsa_user_sgpr_queue_ptr 0
		.amdhsa_user_sgpr_kernarg_segment_ptr 1
		.amdhsa_user_sgpr_dispatch_id 0
		.amdhsa_user_sgpr_kernarg_preload_length 0
		.amdhsa_user_sgpr_kernarg_preload_offset 0
		.amdhsa_user_sgpr_private_segment_size 0
		.amdhsa_wavefront_size32 1
		.amdhsa_uses_dynamic_stack 0
		.amdhsa_enable_private_segment 0
		.amdhsa_system_sgpr_workgroup_id_x 1
		.amdhsa_system_sgpr_workgroup_id_y 0
		.amdhsa_system_sgpr_workgroup_id_z 0
		.amdhsa_system_sgpr_workgroup_info 0
		.amdhsa_system_vgpr_workitem_id 0
		.amdhsa_next_free_vgpr 1
		.amdhsa_next_free_sgpr 1
		.amdhsa_named_barrier_count 0
		.amdhsa_reserve_vcc 0
		.amdhsa_float_round_mode_32 0
		.amdhsa_float_round_mode_16_64 0
		.amdhsa_float_denorm_mode_32 3
		.amdhsa_float_denorm_mode_16_64 3
		.amdhsa_fp16_overflow 0
		.amdhsa_memory_ordered 1
		.amdhsa_forward_progress 1
		.amdhsa_inst_pref_size 1
		.amdhsa_round_robin_scheduling 0
		.amdhsa_exception_fp_ieee_invalid_op 0
		.amdhsa_exception_fp_denorm_src 0
		.amdhsa_exception_fp_ieee_div_zero 0
		.amdhsa_exception_fp_ieee_overflow 0
		.amdhsa_exception_fp_ieee_underflow 0
		.amdhsa_exception_fp_ieee_inexact 0
		.amdhsa_exception_int_div_zero 0
	.end_amdhsa_kernel
	.section	.text._ZN7rocprim17ROCPRIM_400000_NS6detail17trampoline_kernelINS0_14default_configENS1_27scan_by_key_config_selectorIidEEZZNS1_16scan_by_key_implILNS1_25lookback_scan_determinismE0ELb1ES3_N6thrust23THRUST_200600_302600_NS6detail15normal_iteratorINS9_10device_ptrIiEEEENSB_INSC_IdEEEESG_dNS9_4plusIvEENS9_8equal_toIvEEdEE10hipError_tPvRmT2_T3_T4_T5_mT6_T7_P12ihipStream_tbENKUlT_T0_E_clISt17integral_constantIbLb1EES10_IbLb0EEEEDaSW_SX_EUlSW_E_NS1_11comp_targetILNS1_3genE0ELNS1_11target_archE4294967295ELNS1_3gpuE0ELNS1_3repE0EEENS1_30default_config_static_selectorELNS0_4arch9wavefront6targetE0EEEvT1_,"axG",@progbits,_ZN7rocprim17ROCPRIM_400000_NS6detail17trampoline_kernelINS0_14default_configENS1_27scan_by_key_config_selectorIidEEZZNS1_16scan_by_key_implILNS1_25lookback_scan_determinismE0ELb1ES3_N6thrust23THRUST_200600_302600_NS6detail15normal_iteratorINS9_10device_ptrIiEEEENSB_INSC_IdEEEESG_dNS9_4plusIvEENS9_8equal_toIvEEdEE10hipError_tPvRmT2_T3_T4_T5_mT6_T7_P12ihipStream_tbENKUlT_T0_E_clISt17integral_constantIbLb1EES10_IbLb0EEEEDaSW_SX_EUlSW_E_NS1_11comp_targetILNS1_3genE0ELNS1_11target_archE4294967295ELNS1_3gpuE0ELNS1_3repE0EEENS1_30default_config_static_selectorELNS0_4arch9wavefront6targetE0EEEvT1_,comdat
.Lfunc_end1409:
	.size	_ZN7rocprim17ROCPRIM_400000_NS6detail17trampoline_kernelINS0_14default_configENS1_27scan_by_key_config_selectorIidEEZZNS1_16scan_by_key_implILNS1_25lookback_scan_determinismE0ELb1ES3_N6thrust23THRUST_200600_302600_NS6detail15normal_iteratorINS9_10device_ptrIiEEEENSB_INSC_IdEEEESG_dNS9_4plusIvEENS9_8equal_toIvEEdEE10hipError_tPvRmT2_T3_T4_T5_mT6_T7_P12ihipStream_tbENKUlT_T0_E_clISt17integral_constantIbLb1EES10_IbLb0EEEEDaSW_SX_EUlSW_E_NS1_11comp_targetILNS1_3genE0ELNS1_11target_archE4294967295ELNS1_3gpuE0ELNS1_3repE0EEENS1_30default_config_static_selectorELNS0_4arch9wavefront6targetE0EEEvT1_, .Lfunc_end1409-_ZN7rocprim17ROCPRIM_400000_NS6detail17trampoline_kernelINS0_14default_configENS1_27scan_by_key_config_selectorIidEEZZNS1_16scan_by_key_implILNS1_25lookback_scan_determinismE0ELb1ES3_N6thrust23THRUST_200600_302600_NS6detail15normal_iteratorINS9_10device_ptrIiEEEENSB_INSC_IdEEEESG_dNS9_4plusIvEENS9_8equal_toIvEEdEE10hipError_tPvRmT2_T3_T4_T5_mT6_T7_P12ihipStream_tbENKUlT_T0_E_clISt17integral_constantIbLb1EES10_IbLb0EEEEDaSW_SX_EUlSW_E_NS1_11comp_targetILNS1_3genE0ELNS1_11target_archE4294967295ELNS1_3gpuE0ELNS1_3repE0EEENS1_30default_config_static_selectorELNS0_4arch9wavefront6targetE0EEEvT1_
                                        ; -- End function
	.set _ZN7rocprim17ROCPRIM_400000_NS6detail17trampoline_kernelINS0_14default_configENS1_27scan_by_key_config_selectorIidEEZZNS1_16scan_by_key_implILNS1_25lookback_scan_determinismE0ELb1ES3_N6thrust23THRUST_200600_302600_NS6detail15normal_iteratorINS9_10device_ptrIiEEEENSB_INSC_IdEEEESG_dNS9_4plusIvEENS9_8equal_toIvEEdEE10hipError_tPvRmT2_T3_T4_T5_mT6_T7_P12ihipStream_tbENKUlT_T0_E_clISt17integral_constantIbLb1EES10_IbLb0EEEEDaSW_SX_EUlSW_E_NS1_11comp_targetILNS1_3genE0ELNS1_11target_archE4294967295ELNS1_3gpuE0ELNS1_3repE0EEENS1_30default_config_static_selectorELNS0_4arch9wavefront6targetE0EEEvT1_.num_vgpr, 0
	.set _ZN7rocprim17ROCPRIM_400000_NS6detail17trampoline_kernelINS0_14default_configENS1_27scan_by_key_config_selectorIidEEZZNS1_16scan_by_key_implILNS1_25lookback_scan_determinismE0ELb1ES3_N6thrust23THRUST_200600_302600_NS6detail15normal_iteratorINS9_10device_ptrIiEEEENSB_INSC_IdEEEESG_dNS9_4plusIvEENS9_8equal_toIvEEdEE10hipError_tPvRmT2_T3_T4_T5_mT6_T7_P12ihipStream_tbENKUlT_T0_E_clISt17integral_constantIbLb1EES10_IbLb0EEEEDaSW_SX_EUlSW_E_NS1_11comp_targetILNS1_3genE0ELNS1_11target_archE4294967295ELNS1_3gpuE0ELNS1_3repE0EEENS1_30default_config_static_selectorELNS0_4arch9wavefront6targetE0EEEvT1_.num_agpr, 0
	.set _ZN7rocprim17ROCPRIM_400000_NS6detail17trampoline_kernelINS0_14default_configENS1_27scan_by_key_config_selectorIidEEZZNS1_16scan_by_key_implILNS1_25lookback_scan_determinismE0ELb1ES3_N6thrust23THRUST_200600_302600_NS6detail15normal_iteratorINS9_10device_ptrIiEEEENSB_INSC_IdEEEESG_dNS9_4plusIvEENS9_8equal_toIvEEdEE10hipError_tPvRmT2_T3_T4_T5_mT6_T7_P12ihipStream_tbENKUlT_T0_E_clISt17integral_constantIbLb1EES10_IbLb0EEEEDaSW_SX_EUlSW_E_NS1_11comp_targetILNS1_3genE0ELNS1_11target_archE4294967295ELNS1_3gpuE0ELNS1_3repE0EEENS1_30default_config_static_selectorELNS0_4arch9wavefront6targetE0EEEvT1_.numbered_sgpr, 0
	.set _ZN7rocprim17ROCPRIM_400000_NS6detail17trampoline_kernelINS0_14default_configENS1_27scan_by_key_config_selectorIidEEZZNS1_16scan_by_key_implILNS1_25lookback_scan_determinismE0ELb1ES3_N6thrust23THRUST_200600_302600_NS6detail15normal_iteratorINS9_10device_ptrIiEEEENSB_INSC_IdEEEESG_dNS9_4plusIvEENS9_8equal_toIvEEdEE10hipError_tPvRmT2_T3_T4_T5_mT6_T7_P12ihipStream_tbENKUlT_T0_E_clISt17integral_constantIbLb1EES10_IbLb0EEEEDaSW_SX_EUlSW_E_NS1_11comp_targetILNS1_3genE0ELNS1_11target_archE4294967295ELNS1_3gpuE0ELNS1_3repE0EEENS1_30default_config_static_selectorELNS0_4arch9wavefront6targetE0EEEvT1_.num_named_barrier, 0
	.set _ZN7rocprim17ROCPRIM_400000_NS6detail17trampoline_kernelINS0_14default_configENS1_27scan_by_key_config_selectorIidEEZZNS1_16scan_by_key_implILNS1_25lookback_scan_determinismE0ELb1ES3_N6thrust23THRUST_200600_302600_NS6detail15normal_iteratorINS9_10device_ptrIiEEEENSB_INSC_IdEEEESG_dNS9_4plusIvEENS9_8equal_toIvEEdEE10hipError_tPvRmT2_T3_T4_T5_mT6_T7_P12ihipStream_tbENKUlT_T0_E_clISt17integral_constantIbLb1EES10_IbLb0EEEEDaSW_SX_EUlSW_E_NS1_11comp_targetILNS1_3genE0ELNS1_11target_archE4294967295ELNS1_3gpuE0ELNS1_3repE0EEENS1_30default_config_static_selectorELNS0_4arch9wavefront6targetE0EEEvT1_.private_seg_size, 0
	.set _ZN7rocprim17ROCPRIM_400000_NS6detail17trampoline_kernelINS0_14default_configENS1_27scan_by_key_config_selectorIidEEZZNS1_16scan_by_key_implILNS1_25lookback_scan_determinismE0ELb1ES3_N6thrust23THRUST_200600_302600_NS6detail15normal_iteratorINS9_10device_ptrIiEEEENSB_INSC_IdEEEESG_dNS9_4plusIvEENS9_8equal_toIvEEdEE10hipError_tPvRmT2_T3_T4_T5_mT6_T7_P12ihipStream_tbENKUlT_T0_E_clISt17integral_constantIbLb1EES10_IbLb0EEEEDaSW_SX_EUlSW_E_NS1_11comp_targetILNS1_3genE0ELNS1_11target_archE4294967295ELNS1_3gpuE0ELNS1_3repE0EEENS1_30default_config_static_selectorELNS0_4arch9wavefront6targetE0EEEvT1_.uses_vcc, 0
	.set _ZN7rocprim17ROCPRIM_400000_NS6detail17trampoline_kernelINS0_14default_configENS1_27scan_by_key_config_selectorIidEEZZNS1_16scan_by_key_implILNS1_25lookback_scan_determinismE0ELb1ES3_N6thrust23THRUST_200600_302600_NS6detail15normal_iteratorINS9_10device_ptrIiEEEENSB_INSC_IdEEEESG_dNS9_4plusIvEENS9_8equal_toIvEEdEE10hipError_tPvRmT2_T3_T4_T5_mT6_T7_P12ihipStream_tbENKUlT_T0_E_clISt17integral_constantIbLb1EES10_IbLb0EEEEDaSW_SX_EUlSW_E_NS1_11comp_targetILNS1_3genE0ELNS1_11target_archE4294967295ELNS1_3gpuE0ELNS1_3repE0EEENS1_30default_config_static_selectorELNS0_4arch9wavefront6targetE0EEEvT1_.uses_flat_scratch, 0
	.set _ZN7rocprim17ROCPRIM_400000_NS6detail17trampoline_kernelINS0_14default_configENS1_27scan_by_key_config_selectorIidEEZZNS1_16scan_by_key_implILNS1_25lookback_scan_determinismE0ELb1ES3_N6thrust23THRUST_200600_302600_NS6detail15normal_iteratorINS9_10device_ptrIiEEEENSB_INSC_IdEEEESG_dNS9_4plusIvEENS9_8equal_toIvEEdEE10hipError_tPvRmT2_T3_T4_T5_mT6_T7_P12ihipStream_tbENKUlT_T0_E_clISt17integral_constantIbLb1EES10_IbLb0EEEEDaSW_SX_EUlSW_E_NS1_11comp_targetILNS1_3genE0ELNS1_11target_archE4294967295ELNS1_3gpuE0ELNS1_3repE0EEENS1_30default_config_static_selectorELNS0_4arch9wavefront6targetE0EEEvT1_.has_dyn_sized_stack, 0
	.set _ZN7rocprim17ROCPRIM_400000_NS6detail17trampoline_kernelINS0_14default_configENS1_27scan_by_key_config_selectorIidEEZZNS1_16scan_by_key_implILNS1_25lookback_scan_determinismE0ELb1ES3_N6thrust23THRUST_200600_302600_NS6detail15normal_iteratorINS9_10device_ptrIiEEEENSB_INSC_IdEEEESG_dNS9_4plusIvEENS9_8equal_toIvEEdEE10hipError_tPvRmT2_T3_T4_T5_mT6_T7_P12ihipStream_tbENKUlT_T0_E_clISt17integral_constantIbLb1EES10_IbLb0EEEEDaSW_SX_EUlSW_E_NS1_11comp_targetILNS1_3genE0ELNS1_11target_archE4294967295ELNS1_3gpuE0ELNS1_3repE0EEENS1_30default_config_static_selectorELNS0_4arch9wavefront6targetE0EEEvT1_.has_recursion, 0
	.set _ZN7rocprim17ROCPRIM_400000_NS6detail17trampoline_kernelINS0_14default_configENS1_27scan_by_key_config_selectorIidEEZZNS1_16scan_by_key_implILNS1_25lookback_scan_determinismE0ELb1ES3_N6thrust23THRUST_200600_302600_NS6detail15normal_iteratorINS9_10device_ptrIiEEEENSB_INSC_IdEEEESG_dNS9_4plusIvEENS9_8equal_toIvEEdEE10hipError_tPvRmT2_T3_T4_T5_mT6_T7_P12ihipStream_tbENKUlT_T0_E_clISt17integral_constantIbLb1EES10_IbLb0EEEEDaSW_SX_EUlSW_E_NS1_11comp_targetILNS1_3genE0ELNS1_11target_archE4294967295ELNS1_3gpuE0ELNS1_3repE0EEENS1_30default_config_static_selectorELNS0_4arch9wavefront6targetE0EEEvT1_.has_indirect_call, 0
	.section	.AMDGPU.csdata,"",@progbits
; Kernel info:
; codeLenInByte = 4
; TotalNumSgprs: 0
; NumVgprs: 0
; ScratchSize: 0
; MemoryBound: 0
; FloatMode: 240
; IeeeMode: 1
; LDSByteSize: 0 bytes/workgroup (compile time only)
; SGPRBlocks: 0
; VGPRBlocks: 0
; NumSGPRsForWavesPerEU: 1
; NumVGPRsForWavesPerEU: 1
; NamedBarCnt: 0
; Occupancy: 16
; WaveLimiterHint : 0
; COMPUTE_PGM_RSRC2:SCRATCH_EN: 0
; COMPUTE_PGM_RSRC2:USER_SGPR: 2
; COMPUTE_PGM_RSRC2:TRAP_HANDLER: 0
; COMPUTE_PGM_RSRC2:TGID_X_EN: 1
; COMPUTE_PGM_RSRC2:TGID_Y_EN: 0
; COMPUTE_PGM_RSRC2:TGID_Z_EN: 0
; COMPUTE_PGM_RSRC2:TIDIG_COMP_CNT: 0
	.section	.text._ZN7rocprim17ROCPRIM_400000_NS6detail17trampoline_kernelINS0_14default_configENS1_27scan_by_key_config_selectorIidEEZZNS1_16scan_by_key_implILNS1_25lookback_scan_determinismE0ELb1ES3_N6thrust23THRUST_200600_302600_NS6detail15normal_iteratorINS9_10device_ptrIiEEEENSB_INSC_IdEEEESG_dNS9_4plusIvEENS9_8equal_toIvEEdEE10hipError_tPvRmT2_T3_T4_T5_mT6_T7_P12ihipStream_tbENKUlT_T0_E_clISt17integral_constantIbLb1EES10_IbLb0EEEEDaSW_SX_EUlSW_E_NS1_11comp_targetILNS1_3genE10ELNS1_11target_archE1201ELNS1_3gpuE5ELNS1_3repE0EEENS1_30default_config_static_selectorELNS0_4arch9wavefront6targetE0EEEvT1_,"axG",@progbits,_ZN7rocprim17ROCPRIM_400000_NS6detail17trampoline_kernelINS0_14default_configENS1_27scan_by_key_config_selectorIidEEZZNS1_16scan_by_key_implILNS1_25lookback_scan_determinismE0ELb1ES3_N6thrust23THRUST_200600_302600_NS6detail15normal_iteratorINS9_10device_ptrIiEEEENSB_INSC_IdEEEESG_dNS9_4plusIvEENS9_8equal_toIvEEdEE10hipError_tPvRmT2_T3_T4_T5_mT6_T7_P12ihipStream_tbENKUlT_T0_E_clISt17integral_constantIbLb1EES10_IbLb0EEEEDaSW_SX_EUlSW_E_NS1_11comp_targetILNS1_3genE10ELNS1_11target_archE1201ELNS1_3gpuE5ELNS1_3repE0EEENS1_30default_config_static_selectorELNS0_4arch9wavefront6targetE0EEEvT1_,comdat
	.protected	_ZN7rocprim17ROCPRIM_400000_NS6detail17trampoline_kernelINS0_14default_configENS1_27scan_by_key_config_selectorIidEEZZNS1_16scan_by_key_implILNS1_25lookback_scan_determinismE0ELb1ES3_N6thrust23THRUST_200600_302600_NS6detail15normal_iteratorINS9_10device_ptrIiEEEENSB_INSC_IdEEEESG_dNS9_4plusIvEENS9_8equal_toIvEEdEE10hipError_tPvRmT2_T3_T4_T5_mT6_T7_P12ihipStream_tbENKUlT_T0_E_clISt17integral_constantIbLb1EES10_IbLb0EEEEDaSW_SX_EUlSW_E_NS1_11comp_targetILNS1_3genE10ELNS1_11target_archE1201ELNS1_3gpuE5ELNS1_3repE0EEENS1_30default_config_static_selectorELNS0_4arch9wavefront6targetE0EEEvT1_ ; -- Begin function _ZN7rocprim17ROCPRIM_400000_NS6detail17trampoline_kernelINS0_14default_configENS1_27scan_by_key_config_selectorIidEEZZNS1_16scan_by_key_implILNS1_25lookback_scan_determinismE0ELb1ES3_N6thrust23THRUST_200600_302600_NS6detail15normal_iteratorINS9_10device_ptrIiEEEENSB_INSC_IdEEEESG_dNS9_4plusIvEENS9_8equal_toIvEEdEE10hipError_tPvRmT2_T3_T4_T5_mT6_T7_P12ihipStream_tbENKUlT_T0_E_clISt17integral_constantIbLb1EES10_IbLb0EEEEDaSW_SX_EUlSW_E_NS1_11comp_targetILNS1_3genE10ELNS1_11target_archE1201ELNS1_3gpuE5ELNS1_3repE0EEENS1_30default_config_static_selectorELNS0_4arch9wavefront6targetE0EEEvT1_
	.globl	_ZN7rocprim17ROCPRIM_400000_NS6detail17trampoline_kernelINS0_14default_configENS1_27scan_by_key_config_selectorIidEEZZNS1_16scan_by_key_implILNS1_25lookback_scan_determinismE0ELb1ES3_N6thrust23THRUST_200600_302600_NS6detail15normal_iteratorINS9_10device_ptrIiEEEENSB_INSC_IdEEEESG_dNS9_4plusIvEENS9_8equal_toIvEEdEE10hipError_tPvRmT2_T3_T4_T5_mT6_T7_P12ihipStream_tbENKUlT_T0_E_clISt17integral_constantIbLb1EES10_IbLb0EEEEDaSW_SX_EUlSW_E_NS1_11comp_targetILNS1_3genE10ELNS1_11target_archE1201ELNS1_3gpuE5ELNS1_3repE0EEENS1_30default_config_static_selectorELNS0_4arch9wavefront6targetE0EEEvT1_
	.p2align	8
	.type	_ZN7rocprim17ROCPRIM_400000_NS6detail17trampoline_kernelINS0_14default_configENS1_27scan_by_key_config_selectorIidEEZZNS1_16scan_by_key_implILNS1_25lookback_scan_determinismE0ELb1ES3_N6thrust23THRUST_200600_302600_NS6detail15normal_iteratorINS9_10device_ptrIiEEEENSB_INSC_IdEEEESG_dNS9_4plusIvEENS9_8equal_toIvEEdEE10hipError_tPvRmT2_T3_T4_T5_mT6_T7_P12ihipStream_tbENKUlT_T0_E_clISt17integral_constantIbLb1EES10_IbLb0EEEEDaSW_SX_EUlSW_E_NS1_11comp_targetILNS1_3genE10ELNS1_11target_archE1201ELNS1_3gpuE5ELNS1_3repE0EEENS1_30default_config_static_selectorELNS0_4arch9wavefront6targetE0EEEvT1_,@function
_ZN7rocprim17ROCPRIM_400000_NS6detail17trampoline_kernelINS0_14default_configENS1_27scan_by_key_config_selectorIidEEZZNS1_16scan_by_key_implILNS1_25lookback_scan_determinismE0ELb1ES3_N6thrust23THRUST_200600_302600_NS6detail15normal_iteratorINS9_10device_ptrIiEEEENSB_INSC_IdEEEESG_dNS9_4plusIvEENS9_8equal_toIvEEdEE10hipError_tPvRmT2_T3_T4_T5_mT6_T7_P12ihipStream_tbENKUlT_T0_E_clISt17integral_constantIbLb1EES10_IbLb0EEEEDaSW_SX_EUlSW_E_NS1_11comp_targetILNS1_3genE10ELNS1_11target_archE1201ELNS1_3gpuE5ELNS1_3repE0EEENS1_30default_config_static_selectorELNS0_4arch9wavefront6targetE0EEEvT1_: ; @_ZN7rocprim17ROCPRIM_400000_NS6detail17trampoline_kernelINS0_14default_configENS1_27scan_by_key_config_selectorIidEEZZNS1_16scan_by_key_implILNS1_25lookback_scan_determinismE0ELb1ES3_N6thrust23THRUST_200600_302600_NS6detail15normal_iteratorINS9_10device_ptrIiEEEENSB_INSC_IdEEEESG_dNS9_4plusIvEENS9_8equal_toIvEEdEE10hipError_tPvRmT2_T3_T4_T5_mT6_T7_P12ihipStream_tbENKUlT_T0_E_clISt17integral_constantIbLb1EES10_IbLb0EEEEDaSW_SX_EUlSW_E_NS1_11comp_targetILNS1_3genE10ELNS1_11target_archE1201ELNS1_3gpuE5ELNS1_3repE0EEENS1_30default_config_static_selectorELNS0_4arch9wavefront6targetE0EEEvT1_
; %bb.0:
	.section	.rodata,"a",@progbits
	.p2align	6, 0x0
	.amdhsa_kernel _ZN7rocprim17ROCPRIM_400000_NS6detail17trampoline_kernelINS0_14default_configENS1_27scan_by_key_config_selectorIidEEZZNS1_16scan_by_key_implILNS1_25lookback_scan_determinismE0ELb1ES3_N6thrust23THRUST_200600_302600_NS6detail15normal_iteratorINS9_10device_ptrIiEEEENSB_INSC_IdEEEESG_dNS9_4plusIvEENS9_8equal_toIvEEdEE10hipError_tPvRmT2_T3_T4_T5_mT6_T7_P12ihipStream_tbENKUlT_T0_E_clISt17integral_constantIbLb1EES10_IbLb0EEEEDaSW_SX_EUlSW_E_NS1_11comp_targetILNS1_3genE10ELNS1_11target_archE1201ELNS1_3gpuE5ELNS1_3repE0EEENS1_30default_config_static_selectorELNS0_4arch9wavefront6targetE0EEEvT1_
		.amdhsa_group_segment_fixed_size 0
		.amdhsa_private_segment_fixed_size 0
		.amdhsa_kernarg_size 136
		.amdhsa_user_sgpr_count 2
		.amdhsa_user_sgpr_dispatch_ptr 0
		.amdhsa_user_sgpr_queue_ptr 0
		.amdhsa_user_sgpr_kernarg_segment_ptr 1
		.amdhsa_user_sgpr_dispatch_id 0
		.amdhsa_user_sgpr_kernarg_preload_length 0
		.amdhsa_user_sgpr_kernarg_preload_offset 0
		.amdhsa_user_sgpr_private_segment_size 0
		.amdhsa_wavefront_size32 1
		.amdhsa_uses_dynamic_stack 0
		.amdhsa_enable_private_segment 0
		.amdhsa_system_sgpr_workgroup_id_x 1
		.amdhsa_system_sgpr_workgroup_id_y 0
		.amdhsa_system_sgpr_workgroup_id_z 0
		.amdhsa_system_sgpr_workgroup_info 0
		.amdhsa_system_vgpr_workitem_id 0
		.amdhsa_next_free_vgpr 1
		.amdhsa_next_free_sgpr 1
		.amdhsa_named_barrier_count 0
		.amdhsa_reserve_vcc 0
		.amdhsa_float_round_mode_32 0
		.amdhsa_float_round_mode_16_64 0
		.amdhsa_float_denorm_mode_32 3
		.amdhsa_float_denorm_mode_16_64 3
		.amdhsa_fp16_overflow 0
		.amdhsa_memory_ordered 1
		.amdhsa_forward_progress 1
		.amdhsa_inst_pref_size 0
		.amdhsa_round_robin_scheduling 0
		.amdhsa_exception_fp_ieee_invalid_op 0
		.amdhsa_exception_fp_denorm_src 0
		.amdhsa_exception_fp_ieee_div_zero 0
		.amdhsa_exception_fp_ieee_overflow 0
		.amdhsa_exception_fp_ieee_underflow 0
		.amdhsa_exception_fp_ieee_inexact 0
		.amdhsa_exception_int_div_zero 0
	.end_amdhsa_kernel
	.section	.text._ZN7rocprim17ROCPRIM_400000_NS6detail17trampoline_kernelINS0_14default_configENS1_27scan_by_key_config_selectorIidEEZZNS1_16scan_by_key_implILNS1_25lookback_scan_determinismE0ELb1ES3_N6thrust23THRUST_200600_302600_NS6detail15normal_iteratorINS9_10device_ptrIiEEEENSB_INSC_IdEEEESG_dNS9_4plusIvEENS9_8equal_toIvEEdEE10hipError_tPvRmT2_T3_T4_T5_mT6_T7_P12ihipStream_tbENKUlT_T0_E_clISt17integral_constantIbLb1EES10_IbLb0EEEEDaSW_SX_EUlSW_E_NS1_11comp_targetILNS1_3genE10ELNS1_11target_archE1201ELNS1_3gpuE5ELNS1_3repE0EEENS1_30default_config_static_selectorELNS0_4arch9wavefront6targetE0EEEvT1_,"axG",@progbits,_ZN7rocprim17ROCPRIM_400000_NS6detail17trampoline_kernelINS0_14default_configENS1_27scan_by_key_config_selectorIidEEZZNS1_16scan_by_key_implILNS1_25lookback_scan_determinismE0ELb1ES3_N6thrust23THRUST_200600_302600_NS6detail15normal_iteratorINS9_10device_ptrIiEEEENSB_INSC_IdEEEESG_dNS9_4plusIvEENS9_8equal_toIvEEdEE10hipError_tPvRmT2_T3_T4_T5_mT6_T7_P12ihipStream_tbENKUlT_T0_E_clISt17integral_constantIbLb1EES10_IbLb0EEEEDaSW_SX_EUlSW_E_NS1_11comp_targetILNS1_3genE10ELNS1_11target_archE1201ELNS1_3gpuE5ELNS1_3repE0EEENS1_30default_config_static_selectorELNS0_4arch9wavefront6targetE0EEEvT1_,comdat
.Lfunc_end1410:
	.size	_ZN7rocprim17ROCPRIM_400000_NS6detail17trampoline_kernelINS0_14default_configENS1_27scan_by_key_config_selectorIidEEZZNS1_16scan_by_key_implILNS1_25lookback_scan_determinismE0ELb1ES3_N6thrust23THRUST_200600_302600_NS6detail15normal_iteratorINS9_10device_ptrIiEEEENSB_INSC_IdEEEESG_dNS9_4plusIvEENS9_8equal_toIvEEdEE10hipError_tPvRmT2_T3_T4_T5_mT6_T7_P12ihipStream_tbENKUlT_T0_E_clISt17integral_constantIbLb1EES10_IbLb0EEEEDaSW_SX_EUlSW_E_NS1_11comp_targetILNS1_3genE10ELNS1_11target_archE1201ELNS1_3gpuE5ELNS1_3repE0EEENS1_30default_config_static_selectorELNS0_4arch9wavefront6targetE0EEEvT1_, .Lfunc_end1410-_ZN7rocprim17ROCPRIM_400000_NS6detail17trampoline_kernelINS0_14default_configENS1_27scan_by_key_config_selectorIidEEZZNS1_16scan_by_key_implILNS1_25lookback_scan_determinismE0ELb1ES3_N6thrust23THRUST_200600_302600_NS6detail15normal_iteratorINS9_10device_ptrIiEEEENSB_INSC_IdEEEESG_dNS9_4plusIvEENS9_8equal_toIvEEdEE10hipError_tPvRmT2_T3_T4_T5_mT6_T7_P12ihipStream_tbENKUlT_T0_E_clISt17integral_constantIbLb1EES10_IbLb0EEEEDaSW_SX_EUlSW_E_NS1_11comp_targetILNS1_3genE10ELNS1_11target_archE1201ELNS1_3gpuE5ELNS1_3repE0EEENS1_30default_config_static_selectorELNS0_4arch9wavefront6targetE0EEEvT1_
                                        ; -- End function
	.set _ZN7rocprim17ROCPRIM_400000_NS6detail17trampoline_kernelINS0_14default_configENS1_27scan_by_key_config_selectorIidEEZZNS1_16scan_by_key_implILNS1_25lookback_scan_determinismE0ELb1ES3_N6thrust23THRUST_200600_302600_NS6detail15normal_iteratorINS9_10device_ptrIiEEEENSB_INSC_IdEEEESG_dNS9_4plusIvEENS9_8equal_toIvEEdEE10hipError_tPvRmT2_T3_T4_T5_mT6_T7_P12ihipStream_tbENKUlT_T0_E_clISt17integral_constantIbLb1EES10_IbLb0EEEEDaSW_SX_EUlSW_E_NS1_11comp_targetILNS1_3genE10ELNS1_11target_archE1201ELNS1_3gpuE5ELNS1_3repE0EEENS1_30default_config_static_selectorELNS0_4arch9wavefront6targetE0EEEvT1_.num_vgpr, 0
	.set _ZN7rocprim17ROCPRIM_400000_NS6detail17trampoline_kernelINS0_14default_configENS1_27scan_by_key_config_selectorIidEEZZNS1_16scan_by_key_implILNS1_25lookback_scan_determinismE0ELb1ES3_N6thrust23THRUST_200600_302600_NS6detail15normal_iteratorINS9_10device_ptrIiEEEENSB_INSC_IdEEEESG_dNS9_4plusIvEENS9_8equal_toIvEEdEE10hipError_tPvRmT2_T3_T4_T5_mT6_T7_P12ihipStream_tbENKUlT_T0_E_clISt17integral_constantIbLb1EES10_IbLb0EEEEDaSW_SX_EUlSW_E_NS1_11comp_targetILNS1_3genE10ELNS1_11target_archE1201ELNS1_3gpuE5ELNS1_3repE0EEENS1_30default_config_static_selectorELNS0_4arch9wavefront6targetE0EEEvT1_.num_agpr, 0
	.set _ZN7rocprim17ROCPRIM_400000_NS6detail17trampoline_kernelINS0_14default_configENS1_27scan_by_key_config_selectorIidEEZZNS1_16scan_by_key_implILNS1_25lookback_scan_determinismE0ELb1ES3_N6thrust23THRUST_200600_302600_NS6detail15normal_iteratorINS9_10device_ptrIiEEEENSB_INSC_IdEEEESG_dNS9_4plusIvEENS9_8equal_toIvEEdEE10hipError_tPvRmT2_T3_T4_T5_mT6_T7_P12ihipStream_tbENKUlT_T0_E_clISt17integral_constantIbLb1EES10_IbLb0EEEEDaSW_SX_EUlSW_E_NS1_11comp_targetILNS1_3genE10ELNS1_11target_archE1201ELNS1_3gpuE5ELNS1_3repE0EEENS1_30default_config_static_selectorELNS0_4arch9wavefront6targetE0EEEvT1_.numbered_sgpr, 0
	.set _ZN7rocprim17ROCPRIM_400000_NS6detail17trampoline_kernelINS0_14default_configENS1_27scan_by_key_config_selectorIidEEZZNS1_16scan_by_key_implILNS1_25lookback_scan_determinismE0ELb1ES3_N6thrust23THRUST_200600_302600_NS6detail15normal_iteratorINS9_10device_ptrIiEEEENSB_INSC_IdEEEESG_dNS9_4plusIvEENS9_8equal_toIvEEdEE10hipError_tPvRmT2_T3_T4_T5_mT6_T7_P12ihipStream_tbENKUlT_T0_E_clISt17integral_constantIbLb1EES10_IbLb0EEEEDaSW_SX_EUlSW_E_NS1_11comp_targetILNS1_3genE10ELNS1_11target_archE1201ELNS1_3gpuE5ELNS1_3repE0EEENS1_30default_config_static_selectorELNS0_4arch9wavefront6targetE0EEEvT1_.num_named_barrier, 0
	.set _ZN7rocprim17ROCPRIM_400000_NS6detail17trampoline_kernelINS0_14default_configENS1_27scan_by_key_config_selectorIidEEZZNS1_16scan_by_key_implILNS1_25lookback_scan_determinismE0ELb1ES3_N6thrust23THRUST_200600_302600_NS6detail15normal_iteratorINS9_10device_ptrIiEEEENSB_INSC_IdEEEESG_dNS9_4plusIvEENS9_8equal_toIvEEdEE10hipError_tPvRmT2_T3_T4_T5_mT6_T7_P12ihipStream_tbENKUlT_T0_E_clISt17integral_constantIbLb1EES10_IbLb0EEEEDaSW_SX_EUlSW_E_NS1_11comp_targetILNS1_3genE10ELNS1_11target_archE1201ELNS1_3gpuE5ELNS1_3repE0EEENS1_30default_config_static_selectorELNS0_4arch9wavefront6targetE0EEEvT1_.private_seg_size, 0
	.set _ZN7rocprim17ROCPRIM_400000_NS6detail17trampoline_kernelINS0_14default_configENS1_27scan_by_key_config_selectorIidEEZZNS1_16scan_by_key_implILNS1_25lookback_scan_determinismE0ELb1ES3_N6thrust23THRUST_200600_302600_NS6detail15normal_iteratorINS9_10device_ptrIiEEEENSB_INSC_IdEEEESG_dNS9_4plusIvEENS9_8equal_toIvEEdEE10hipError_tPvRmT2_T3_T4_T5_mT6_T7_P12ihipStream_tbENKUlT_T0_E_clISt17integral_constantIbLb1EES10_IbLb0EEEEDaSW_SX_EUlSW_E_NS1_11comp_targetILNS1_3genE10ELNS1_11target_archE1201ELNS1_3gpuE5ELNS1_3repE0EEENS1_30default_config_static_selectorELNS0_4arch9wavefront6targetE0EEEvT1_.uses_vcc, 0
	.set _ZN7rocprim17ROCPRIM_400000_NS6detail17trampoline_kernelINS0_14default_configENS1_27scan_by_key_config_selectorIidEEZZNS1_16scan_by_key_implILNS1_25lookback_scan_determinismE0ELb1ES3_N6thrust23THRUST_200600_302600_NS6detail15normal_iteratorINS9_10device_ptrIiEEEENSB_INSC_IdEEEESG_dNS9_4plusIvEENS9_8equal_toIvEEdEE10hipError_tPvRmT2_T3_T4_T5_mT6_T7_P12ihipStream_tbENKUlT_T0_E_clISt17integral_constantIbLb1EES10_IbLb0EEEEDaSW_SX_EUlSW_E_NS1_11comp_targetILNS1_3genE10ELNS1_11target_archE1201ELNS1_3gpuE5ELNS1_3repE0EEENS1_30default_config_static_selectorELNS0_4arch9wavefront6targetE0EEEvT1_.uses_flat_scratch, 0
	.set _ZN7rocprim17ROCPRIM_400000_NS6detail17trampoline_kernelINS0_14default_configENS1_27scan_by_key_config_selectorIidEEZZNS1_16scan_by_key_implILNS1_25lookback_scan_determinismE0ELb1ES3_N6thrust23THRUST_200600_302600_NS6detail15normal_iteratorINS9_10device_ptrIiEEEENSB_INSC_IdEEEESG_dNS9_4plusIvEENS9_8equal_toIvEEdEE10hipError_tPvRmT2_T3_T4_T5_mT6_T7_P12ihipStream_tbENKUlT_T0_E_clISt17integral_constantIbLb1EES10_IbLb0EEEEDaSW_SX_EUlSW_E_NS1_11comp_targetILNS1_3genE10ELNS1_11target_archE1201ELNS1_3gpuE5ELNS1_3repE0EEENS1_30default_config_static_selectorELNS0_4arch9wavefront6targetE0EEEvT1_.has_dyn_sized_stack, 0
	.set _ZN7rocprim17ROCPRIM_400000_NS6detail17trampoline_kernelINS0_14default_configENS1_27scan_by_key_config_selectorIidEEZZNS1_16scan_by_key_implILNS1_25lookback_scan_determinismE0ELb1ES3_N6thrust23THRUST_200600_302600_NS6detail15normal_iteratorINS9_10device_ptrIiEEEENSB_INSC_IdEEEESG_dNS9_4plusIvEENS9_8equal_toIvEEdEE10hipError_tPvRmT2_T3_T4_T5_mT6_T7_P12ihipStream_tbENKUlT_T0_E_clISt17integral_constantIbLb1EES10_IbLb0EEEEDaSW_SX_EUlSW_E_NS1_11comp_targetILNS1_3genE10ELNS1_11target_archE1201ELNS1_3gpuE5ELNS1_3repE0EEENS1_30default_config_static_selectorELNS0_4arch9wavefront6targetE0EEEvT1_.has_recursion, 0
	.set _ZN7rocprim17ROCPRIM_400000_NS6detail17trampoline_kernelINS0_14default_configENS1_27scan_by_key_config_selectorIidEEZZNS1_16scan_by_key_implILNS1_25lookback_scan_determinismE0ELb1ES3_N6thrust23THRUST_200600_302600_NS6detail15normal_iteratorINS9_10device_ptrIiEEEENSB_INSC_IdEEEESG_dNS9_4plusIvEENS9_8equal_toIvEEdEE10hipError_tPvRmT2_T3_T4_T5_mT6_T7_P12ihipStream_tbENKUlT_T0_E_clISt17integral_constantIbLb1EES10_IbLb0EEEEDaSW_SX_EUlSW_E_NS1_11comp_targetILNS1_3genE10ELNS1_11target_archE1201ELNS1_3gpuE5ELNS1_3repE0EEENS1_30default_config_static_selectorELNS0_4arch9wavefront6targetE0EEEvT1_.has_indirect_call, 0
	.section	.AMDGPU.csdata,"",@progbits
; Kernel info:
; codeLenInByte = 0
; TotalNumSgprs: 0
; NumVgprs: 0
; ScratchSize: 0
; MemoryBound: 0
; FloatMode: 240
; IeeeMode: 1
; LDSByteSize: 0 bytes/workgroup (compile time only)
; SGPRBlocks: 0
; VGPRBlocks: 0
; NumSGPRsForWavesPerEU: 1
; NumVGPRsForWavesPerEU: 1
; NamedBarCnt: 0
; Occupancy: 16
; WaveLimiterHint : 0
; COMPUTE_PGM_RSRC2:SCRATCH_EN: 0
; COMPUTE_PGM_RSRC2:USER_SGPR: 2
; COMPUTE_PGM_RSRC2:TRAP_HANDLER: 0
; COMPUTE_PGM_RSRC2:TGID_X_EN: 1
; COMPUTE_PGM_RSRC2:TGID_Y_EN: 0
; COMPUTE_PGM_RSRC2:TGID_Z_EN: 0
; COMPUTE_PGM_RSRC2:TIDIG_COMP_CNT: 0
	.section	.text._ZN7rocprim17ROCPRIM_400000_NS6detail17trampoline_kernelINS0_14default_configENS1_27scan_by_key_config_selectorIidEEZZNS1_16scan_by_key_implILNS1_25lookback_scan_determinismE0ELb1ES3_N6thrust23THRUST_200600_302600_NS6detail15normal_iteratorINS9_10device_ptrIiEEEENSB_INSC_IdEEEESG_dNS9_4plusIvEENS9_8equal_toIvEEdEE10hipError_tPvRmT2_T3_T4_T5_mT6_T7_P12ihipStream_tbENKUlT_T0_E_clISt17integral_constantIbLb1EES10_IbLb0EEEEDaSW_SX_EUlSW_E_NS1_11comp_targetILNS1_3genE5ELNS1_11target_archE942ELNS1_3gpuE9ELNS1_3repE0EEENS1_30default_config_static_selectorELNS0_4arch9wavefront6targetE0EEEvT1_,"axG",@progbits,_ZN7rocprim17ROCPRIM_400000_NS6detail17trampoline_kernelINS0_14default_configENS1_27scan_by_key_config_selectorIidEEZZNS1_16scan_by_key_implILNS1_25lookback_scan_determinismE0ELb1ES3_N6thrust23THRUST_200600_302600_NS6detail15normal_iteratorINS9_10device_ptrIiEEEENSB_INSC_IdEEEESG_dNS9_4plusIvEENS9_8equal_toIvEEdEE10hipError_tPvRmT2_T3_T4_T5_mT6_T7_P12ihipStream_tbENKUlT_T0_E_clISt17integral_constantIbLb1EES10_IbLb0EEEEDaSW_SX_EUlSW_E_NS1_11comp_targetILNS1_3genE5ELNS1_11target_archE942ELNS1_3gpuE9ELNS1_3repE0EEENS1_30default_config_static_selectorELNS0_4arch9wavefront6targetE0EEEvT1_,comdat
	.protected	_ZN7rocprim17ROCPRIM_400000_NS6detail17trampoline_kernelINS0_14default_configENS1_27scan_by_key_config_selectorIidEEZZNS1_16scan_by_key_implILNS1_25lookback_scan_determinismE0ELb1ES3_N6thrust23THRUST_200600_302600_NS6detail15normal_iteratorINS9_10device_ptrIiEEEENSB_INSC_IdEEEESG_dNS9_4plusIvEENS9_8equal_toIvEEdEE10hipError_tPvRmT2_T3_T4_T5_mT6_T7_P12ihipStream_tbENKUlT_T0_E_clISt17integral_constantIbLb1EES10_IbLb0EEEEDaSW_SX_EUlSW_E_NS1_11comp_targetILNS1_3genE5ELNS1_11target_archE942ELNS1_3gpuE9ELNS1_3repE0EEENS1_30default_config_static_selectorELNS0_4arch9wavefront6targetE0EEEvT1_ ; -- Begin function _ZN7rocprim17ROCPRIM_400000_NS6detail17trampoline_kernelINS0_14default_configENS1_27scan_by_key_config_selectorIidEEZZNS1_16scan_by_key_implILNS1_25lookback_scan_determinismE0ELb1ES3_N6thrust23THRUST_200600_302600_NS6detail15normal_iteratorINS9_10device_ptrIiEEEENSB_INSC_IdEEEESG_dNS9_4plusIvEENS9_8equal_toIvEEdEE10hipError_tPvRmT2_T3_T4_T5_mT6_T7_P12ihipStream_tbENKUlT_T0_E_clISt17integral_constantIbLb1EES10_IbLb0EEEEDaSW_SX_EUlSW_E_NS1_11comp_targetILNS1_3genE5ELNS1_11target_archE942ELNS1_3gpuE9ELNS1_3repE0EEENS1_30default_config_static_selectorELNS0_4arch9wavefront6targetE0EEEvT1_
	.globl	_ZN7rocprim17ROCPRIM_400000_NS6detail17trampoline_kernelINS0_14default_configENS1_27scan_by_key_config_selectorIidEEZZNS1_16scan_by_key_implILNS1_25lookback_scan_determinismE0ELb1ES3_N6thrust23THRUST_200600_302600_NS6detail15normal_iteratorINS9_10device_ptrIiEEEENSB_INSC_IdEEEESG_dNS9_4plusIvEENS9_8equal_toIvEEdEE10hipError_tPvRmT2_T3_T4_T5_mT6_T7_P12ihipStream_tbENKUlT_T0_E_clISt17integral_constantIbLb1EES10_IbLb0EEEEDaSW_SX_EUlSW_E_NS1_11comp_targetILNS1_3genE5ELNS1_11target_archE942ELNS1_3gpuE9ELNS1_3repE0EEENS1_30default_config_static_selectorELNS0_4arch9wavefront6targetE0EEEvT1_
	.p2align	8
	.type	_ZN7rocprim17ROCPRIM_400000_NS6detail17trampoline_kernelINS0_14default_configENS1_27scan_by_key_config_selectorIidEEZZNS1_16scan_by_key_implILNS1_25lookback_scan_determinismE0ELb1ES3_N6thrust23THRUST_200600_302600_NS6detail15normal_iteratorINS9_10device_ptrIiEEEENSB_INSC_IdEEEESG_dNS9_4plusIvEENS9_8equal_toIvEEdEE10hipError_tPvRmT2_T3_T4_T5_mT6_T7_P12ihipStream_tbENKUlT_T0_E_clISt17integral_constantIbLb1EES10_IbLb0EEEEDaSW_SX_EUlSW_E_NS1_11comp_targetILNS1_3genE5ELNS1_11target_archE942ELNS1_3gpuE9ELNS1_3repE0EEENS1_30default_config_static_selectorELNS0_4arch9wavefront6targetE0EEEvT1_,@function
_ZN7rocprim17ROCPRIM_400000_NS6detail17trampoline_kernelINS0_14default_configENS1_27scan_by_key_config_selectorIidEEZZNS1_16scan_by_key_implILNS1_25lookback_scan_determinismE0ELb1ES3_N6thrust23THRUST_200600_302600_NS6detail15normal_iteratorINS9_10device_ptrIiEEEENSB_INSC_IdEEEESG_dNS9_4plusIvEENS9_8equal_toIvEEdEE10hipError_tPvRmT2_T3_T4_T5_mT6_T7_P12ihipStream_tbENKUlT_T0_E_clISt17integral_constantIbLb1EES10_IbLb0EEEEDaSW_SX_EUlSW_E_NS1_11comp_targetILNS1_3genE5ELNS1_11target_archE942ELNS1_3gpuE9ELNS1_3repE0EEENS1_30default_config_static_selectorELNS0_4arch9wavefront6targetE0EEEvT1_: ; @_ZN7rocprim17ROCPRIM_400000_NS6detail17trampoline_kernelINS0_14default_configENS1_27scan_by_key_config_selectorIidEEZZNS1_16scan_by_key_implILNS1_25lookback_scan_determinismE0ELb1ES3_N6thrust23THRUST_200600_302600_NS6detail15normal_iteratorINS9_10device_ptrIiEEEENSB_INSC_IdEEEESG_dNS9_4plusIvEENS9_8equal_toIvEEdEE10hipError_tPvRmT2_T3_T4_T5_mT6_T7_P12ihipStream_tbENKUlT_T0_E_clISt17integral_constantIbLb1EES10_IbLb0EEEEDaSW_SX_EUlSW_E_NS1_11comp_targetILNS1_3genE5ELNS1_11target_archE942ELNS1_3gpuE9ELNS1_3repE0EEENS1_30default_config_static_selectorELNS0_4arch9wavefront6targetE0EEEvT1_
; %bb.0:
	.section	.rodata,"a",@progbits
	.p2align	6, 0x0
	.amdhsa_kernel _ZN7rocprim17ROCPRIM_400000_NS6detail17trampoline_kernelINS0_14default_configENS1_27scan_by_key_config_selectorIidEEZZNS1_16scan_by_key_implILNS1_25lookback_scan_determinismE0ELb1ES3_N6thrust23THRUST_200600_302600_NS6detail15normal_iteratorINS9_10device_ptrIiEEEENSB_INSC_IdEEEESG_dNS9_4plusIvEENS9_8equal_toIvEEdEE10hipError_tPvRmT2_T3_T4_T5_mT6_T7_P12ihipStream_tbENKUlT_T0_E_clISt17integral_constantIbLb1EES10_IbLb0EEEEDaSW_SX_EUlSW_E_NS1_11comp_targetILNS1_3genE5ELNS1_11target_archE942ELNS1_3gpuE9ELNS1_3repE0EEENS1_30default_config_static_selectorELNS0_4arch9wavefront6targetE0EEEvT1_
		.amdhsa_group_segment_fixed_size 0
		.amdhsa_private_segment_fixed_size 0
		.amdhsa_kernarg_size 136
		.amdhsa_user_sgpr_count 2
		.amdhsa_user_sgpr_dispatch_ptr 0
		.amdhsa_user_sgpr_queue_ptr 0
		.amdhsa_user_sgpr_kernarg_segment_ptr 1
		.amdhsa_user_sgpr_dispatch_id 0
		.amdhsa_user_sgpr_kernarg_preload_length 0
		.amdhsa_user_sgpr_kernarg_preload_offset 0
		.amdhsa_user_sgpr_private_segment_size 0
		.amdhsa_wavefront_size32 1
		.amdhsa_uses_dynamic_stack 0
		.amdhsa_enable_private_segment 0
		.amdhsa_system_sgpr_workgroup_id_x 1
		.amdhsa_system_sgpr_workgroup_id_y 0
		.amdhsa_system_sgpr_workgroup_id_z 0
		.amdhsa_system_sgpr_workgroup_info 0
		.amdhsa_system_vgpr_workitem_id 0
		.amdhsa_next_free_vgpr 1
		.amdhsa_next_free_sgpr 1
		.amdhsa_named_barrier_count 0
		.amdhsa_reserve_vcc 0
		.amdhsa_float_round_mode_32 0
		.amdhsa_float_round_mode_16_64 0
		.amdhsa_float_denorm_mode_32 3
		.amdhsa_float_denorm_mode_16_64 3
		.amdhsa_fp16_overflow 0
		.amdhsa_memory_ordered 1
		.amdhsa_forward_progress 1
		.amdhsa_inst_pref_size 0
		.amdhsa_round_robin_scheduling 0
		.amdhsa_exception_fp_ieee_invalid_op 0
		.amdhsa_exception_fp_denorm_src 0
		.amdhsa_exception_fp_ieee_div_zero 0
		.amdhsa_exception_fp_ieee_overflow 0
		.amdhsa_exception_fp_ieee_underflow 0
		.amdhsa_exception_fp_ieee_inexact 0
		.amdhsa_exception_int_div_zero 0
	.end_amdhsa_kernel
	.section	.text._ZN7rocprim17ROCPRIM_400000_NS6detail17trampoline_kernelINS0_14default_configENS1_27scan_by_key_config_selectorIidEEZZNS1_16scan_by_key_implILNS1_25lookback_scan_determinismE0ELb1ES3_N6thrust23THRUST_200600_302600_NS6detail15normal_iteratorINS9_10device_ptrIiEEEENSB_INSC_IdEEEESG_dNS9_4plusIvEENS9_8equal_toIvEEdEE10hipError_tPvRmT2_T3_T4_T5_mT6_T7_P12ihipStream_tbENKUlT_T0_E_clISt17integral_constantIbLb1EES10_IbLb0EEEEDaSW_SX_EUlSW_E_NS1_11comp_targetILNS1_3genE5ELNS1_11target_archE942ELNS1_3gpuE9ELNS1_3repE0EEENS1_30default_config_static_selectorELNS0_4arch9wavefront6targetE0EEEvT1_,"axG",@progbits,_ZN7rocprim17ROCPRIM_400000_NS6detail17trampoline_kernelINS0_14default_configENS1_27scan_by_key_config_selectorIidEEZZNS1_16scan_by_key_implILNS1_25lookback_scan_determinismE0ELb1ES3_N6thrust23THRUST_200600_302600_NS6detail15normal_iteratorINS9_10device_ptrIiEEEENSB_INSC_IdEEEESG_dNS9_4plusIvEENS9_8equal_toIvEEdEE10hipError_tPvRmT2_T3_T4_T5_mT6_T7_P12ihipStream_tbENKUlT_T0_E_clISt17integral_constantIbLb1EES10_IbLb0EEEEDaSW_SX_EUlSW_E_NS1_11comp_targetILNS1_3genE5ELNS1_11target_archE942ELNS1_3gpuE9ELNS1_3repE0EEENS1_30default_config_static_selectorELNS0_4arch9wavefront6targetE0EEEvT1_,comdat
.Lfunc_end1411:
	.size	_ZN7rocprim17ROCPRIM_400000_NS6detail17trampoline_kernelINS0_14default_configENS1_27scan_by_key_config_selectorIidEEZZNS1_16scan_by_key_implILNS1_25lookback_scan_determinismE0ELb1ES3_N6thrust23THRUST_200600_302600_NS6detail15normal_iteratorINS9_10device_ptrIiEEEENSB_INSC_IdEEEESG_dNS9_4plusIvEENS9_8equal_toIvEEdEE10hipError_tPvRmT2_T3_T4_T5_mT6_T7_P12ihipStream_tbENKUlT_T0_E_clISt17integral_constantIbLb1EES10_IbLb0EEEEDaSW_SX_EUlSW_E_NS1_11comp_targetILNS1_3genE5ELNS1_11target_archE942ELNS1_3gpuE9ELNS1_3repE0EEENS1_30default_config_static_selectorELNS0_4arch9wavefront6targetE0EEEvT1_, .Lfunc_end1411-_ZN7rocprim17ROCPRIM_400000_NS6detail17trampoline_kernelINS0_14default_configENS1_27scan_by_key_config_selectorIidEEZZNS1_16scan_by_key_implILNS1_25lookback_scan_determinismE0ELb1ES3_N6thrust23THRUST_200600_302600_NS6detail15normal_iteratorINS9_10device_ptrIiEEEENSB_INSC_IdEEEESG_dNS9_4plusIvEENS9_8equal_toIvEEdEE10hipError_tPvRmT2_T3_T4_T5_mT6_T7_P12ihipStream_tbENKUlT_T0_E_clISt17integral_constantIbLb1EES10_IbLb0EEEEDaSW_SX_EUlSW_E_NS1_11comp_targetILNS1_3genE5ELNS1_11target_archE942ELNS1_3gpuE9ELNS1_3repE0EEENS1_30default_config_static_selectorELNS0_4arch9wavefront6targetE0EEEvT1_
                                        ; -- End function
	.set _ZN7rocprim17ROCPRIM_400000_NS6detail17trampoline_kernelINS0_14default_configENS1_27scan_by_key_config_selectorIidEEZZNS1_16scan_by_key_implILNS1_25lookback_scan_determinismE0ELb1ES3_N6thrust23THRUST_200600_302600_NS6detail15normal_iteratorINS9_10device_ptrIiEEEENSB_INSC_IdEEEESG_dNS9_4plusIvEENS9_8equal_toIvEEdEE10hipError_tPvRmT2_T3_T4_T5_mT6_T7_P12ihipStream_tbENKUlT_T0_E_clISt17integral_constantIbLb1EES10_IbLb0EEEEDaSW_SX_EUlSW_E_NS1_11comp_targetILNS1_3genE5ELNS1_11target_archE942ELNS1_3gpuE9ELNS1_3repE0EEENS1_30default_config_static_selectorELNS0_4arch9wavefront6targetE0EEEvT1_.num_vgpr, 0
	.set _ZN7rocprim17ROCPRIM_400000_NS6detail17trampoline_kernelINS0_14default_configENS1_27scan_by_key_config_selectorIidEEZZNS1_16scan_by_key_implILNS1_25lookback_scan_determinismE0ELb1ES3_N6thrust23THRUST_200600_302600_NS6detail15normal_iteratorINS9_10device_ptrIiEEEENSB_INSC_IdEEEESG_dNS9_4plusIvEENS9_8equal_toIvEEdEE10hipError_tPvRmT2_T3_T4_T5_mT6_T7_P12ihipStream_tbENKUlT_T0_E_clISt17integral_constantIbLb1EES10_IbLb0EEEEDaSW_SX_EUlSW_E_NS1_11comp_targetILNS1_3genE5ELNS1_11target_archE942ELNS1_3gpuE9ELNS1_3repE0EEENS1_30default_config_static_selectorELNS0_4arch9wavefront6targetE0EEEvT1_.num_agpr, 0
	.set _ZN7rocprim17ROCPRIM_400000_NS6detail17trampoline_kernelINS0_14default_configENS1_27scan_by_key_config_selectorIidEEZZNS1_16scan_by_key_implILNS1_25lookback_scan_determinismE0ELb1ES3_N6thrust23THRUST_200600_302600_NS6detail15normal_iteratorINS9_10device_ptrIiEEEENSB_INSC_IdEEEESG_dNS9_4plusIvEENS9_8equal_toIvEEdEE10hipError_tPvRmT2_T3_T4_T5_mT6_T7_P12ihipStream_tbENKUlT_T0_E_clISt17integral_constantIbLb1EES10_IbLb0EEEEDaSW_SX_EUlSW_E_NS1_11comp_targetILNS1_3genE5ELNS1_11target_archE942ELNS1_3gpuE9ELNS1_3repE0EEENS1_30default_config_static_selectorELNS0_4arch9wavefront6targetE0EEEvT1_.numbered_sgpr, 0
	.set _ZN7rocprim17ROCPRIM_400000_NS6detail17trampoline_kernelINS0_14default_configENS1_27scan_by_key_config_selectorIidEEZZNS1_16scan_by_key_implILNS1_25lookback_scan_determinismE0ELb1ES3_N6thrust23THRUST_200600_302600_NS6detail15normal_iteratorINS9_10device_ptrIiEEEENSB_INSC_IdEEEESG_dNS9_4plusIvEENS9_8equal_toIvEEdEE10hipError_tPvRmT2_T3_T4_T5_mT6_T7_P12ihipStream_tbENKUlT_T0_E_clISt17integral_constantIbLb1EES10_IbLb0EEEEDaSW_SX_EUlSW_E_NS1_11comp_targetILNS1_3genE5ELNS1_11target_archE942ELNS1_3gpuE9ELNS1_3repE0EEENS1_30default_config_static_selectorELNS0_4arch9wavefront6targetE0EEEvT1_.num_named_barrier, 0
	.set _ZN7rocprim17ROCPRIM_400000_NS6detail17trampoline_kernelINS0_14default_configENS1_27scan_by_key_config_selectorIidEEZZNS1_16scan_by_key_implILNS1_25lookback_scan_determinismE0ELb1ES3_N6thrust23THRUST_200600_302600_NS6detail15normal_iteratorINS9_10device_ptrIiEEEENSB_INSC_IdEEEESG_dNS9_4plusIvEENS9_8equal_toIvEEdEE10hipError_tPvRmT2_T3_T4_T5_mT6_T7_P12ihipStream_tbENKUlT_T0_E_clISt17integral_constantIbLb1EES10_IbLb0EEEEDaSW_SX_EUlSW_E_NS1_11comp_targetILNS1_3genE5ELNS1_11target_archE942ELNS1_3gpuE9ELNS1_3repE0EEENS1_30default_config_static_selectorELNS0_4arch9wavefront6targetE0EEEvT1_.private_seg_size, 0
	.set _ZN7rocprim17ROCPRIM_400000_NS6detail17trampoline_kernelINS0_14default_configENS1_27scan_by_key_config_selectorIidEEZZNS1_16scan_by_key_implILNS1_25lookback_scan_determinismE0ELb1ES3_N6thrust23THRUST_200600_302600_NS6detail15normal_iteratorINS9_10device_ptrIiEEEENSB_INSC_IdEEEESG_dNS9_4plusIvEENS9_8equal_toIvEEdEE10hipError_tPvRmT2_T3_T4_T5_mT6_T7_P12ihipStream_tbENKUlT_T0_E_clISt17integral_constantIbLb1EES10_IbLb0EEEEDaSW_SX_EUlSW_E_NS1_11comp_targetILNS1_3genE5ELNS1_11target_archE942ELNS1_3gpuE9ELNS1_3repE0EEENS1_30default_config_static_selectorELNS0_4arch9wavefront6targetE0EEEvT1_.uses_vcc, 0
	.set _ZN7rocprim17ROCPRIM_400000_NS6detail17trampoline_kernelINS0_14default_configENS1_27scan_by_key_config_selectorIidEEZZNS1_16scan_by_key_implILNS1_25lookback_scan_determinismE0ELb1ES3_N6thrust23THRUST_200600_302600_NS6detail15normal_iteratorINS9_10device_ptrIiEEEENSB_INSC_IdEEEESG_dNS9_4plusIvEENS9_8equal_toIvEEdEE10hipError_tPvRmT2_T3_T4_T5_mT6_T7_P12ihipStream_tbENKUlT_T0_E_clISt17integral_constantIbLb1EES10_IbLb0EEEEDaSW_SX_EUlSW_E_NS1_11comp_targetILNS1_3genE5ELNS1_11target_archE942ELNS1_3gpuE9ELNS1_3repE0EEENS1_30default_config_static_selectorELNS0_4arch9wavefront6targetE0EEEvT1_.uses_flat_scratch, 0
	.set _ZN7rocprim17ROCPRIM_400000_NS6detail17trampoline_kernelINS0_14default_configENS1_27scan_by_key_config_selectorIidEEZZNS1_16scan_by_key_implILNS1_25lookback_scan_determinismE0ELb1ES3_N6thrust23THRUST_200600_302600_NS6detail15normal_iteratorINS9_10device_ptrIiEEEENSB_INSC_IdEEEESG_dNS9_4plusIvEENS9_8equal_toIvEEdEE10hipError_tPvRmT2_T3_T4_T5_mT6_T7_P12ihipStream_tbENKUlT_T0_E_clISt17integral_constantIbLb1EES10_IbLb0EEEEDaSW_SX_EUlSW_E_NS1_11comp_targetILNS1_3genE5ELNS1_11target_archE942ELNS1_3gpuE9ELNS1_3repE0EEENS1_30default_config_static_selectorELNS0_4arch9wavefront6targetE0EEEvT1_.has_dyn_sized_stack, 0
	.set _ZN7rocprim17ROCPRIM_400000_NS6detail17trampoline_kernelINS0_14default_configENS1_27scan_by_key_config_selectorIidEEZZNS1_16scan_by_key_implILNS1_25lookback_scan_determinismE0ELb1ES3_N6thrust23THRUST_200600_302600_NS6detail15normal_iteratorINS9_10device_ptrIiEEEENSB_INSC_IdEEEESG_dNS9_4plusIvEENS9_8equal_toIvEEdEE10hipError_tPvRmT2_T3_T4_T5_mT6_T7_P12ihipStream_tbENKUlT_T0_E_clISt17integral_constantIbLb1EES10_IbLb0EEEEDaSW_SX_EUlSW_E_NS1_11comp_targetILNS1_3genE5ELNS1_11target_archE942ELNS1_3gpuE9ELNS1_3repE0EEENS1_30default_config_static_selectorELNS0_4arch9wavefront6targetE0EEEvT1_.has_recursion, 0
	.set _ZN7rocprim17ROCPRIM_400000_NS6detail17trampoline_kernelINS0_14default_configENS1_27scan_by_key_config_selectorIidEEZZNS1_16scan_by_key_implILNS1_25lookback_scan_determinismE0ELb1ES3_N6thrust23THRUST_200600_302600_NS6detail15normal_iteratorINS9_10device_ptrIiEEEENSB_INSC_IdEEEESG_dNS9_4plusIvEENS9_8equal_toIvEEdEE10hipError_tPvRmT2_T3_T4_T5_mT6_T7_P12ihipStream_tbENKUlT_T0_E_clISt17integral_constantIbLb1EES10_IbLb0EEEEDaSW_SX_EUlSW_E_NS1_11comp_targetILNS1_3genE5ELNS1_11target_archE942ELNS1_3gpuE9ELNS1_3repE0EEENS1_30default_config_static_selectorELNS0_4arch9wavefront6targetE0EEEvT1_.has_indirect_call, 0
	.section	.AMDGPU.csdata,"",@progbits
; Kernel info:
; codeLenInByte = 0
; TotalNumSgprs: 0
; NumVgprs: 0
; ScratchSize: 0
; MemoryBound: 0
; FloatMode: 240
; IeeeMode: 1
; LDSByteSize: 0 bytes/workgroup (compile time only)
; SGPRBlocks: 0
; VGPRBlocks: 0
; NumSGPRsForWavesPerEU: 1
; NumVGPRsForWavesPerEU: 1
; NamedBarCnt: 0
; Occupancy: 16
; WaveLimiterHint : 0
; COMPUTE_PGM_RSRC2:SCRATCH_EN: 0
; COMPUTE_PGM_RSRC2:USER_SGPR: 2
; COMPUTE_PGM_RSRC2:TRAP_HANDLER: 0
; COMPUTE_PGM_RSRC2:TGID_X_EN: 1
; COMPUTE_PGM_RSRC2:TGID_Y_EN: 0
; COMPUTE_PGM_RSRC2:TGID_Z_EN: 0
; COMPUTE_PGM_RSRC2:TIDIG_COMP_CNT: 0
	.section	.text._ZN7rocprim17ROCPRIM_400000_NS6detail17trampoline_kernelINS0_14default_configENS1_27scan_by_key_config_selectorIidEEZZNS1_16scan_by_key_implILNS1_25lookback_scan_determinismE0ELb1ES3_N6thrust23THRUST_200600_302600_NS6detail15normal_iteratorINS9_10device_ptrIiEEEENSB_INSC_IdEEEESG_dNS9_4plusIvEENS9_8equal_toIvEEdEE10hipError_tPvRmT2_T3_T4_T5_mT6_T7_P12ihipStream_tbENKUlT_T0_E_clISt17integral_constantIbLb1EES10_IbLb0EEEEDaSW_SX_EUlSW_E_NS1_11comp_targetILNS1_3genE4ELNS1_11target_archE910ELNS1_3gpuE8ELNS1_3repE0EEENS1_30default_config_static_selectorELNS0_4arch9wavefront6targetE0EEEvT1_,"axG",@progbits,_ZN7rocprim17ROCPRIM_400000_NS6detail17trampoline_kernelINS0_14default_configENS1_27scan_by_key_config_selectorIidEEZZNS1_16scan_by_key_implILNS1_25lookback_scan_determinismE0ELb1ES3_N6thrust23THRUST_200600_302600_NS6detail15normal_iteratorINS9_10device_ptrIiEEEENSB_INSC_IdEEEESG_dNS9_4plusIvEENS9_8equal_toIvEEdEE10hipError_tPvRmT2_T3_T4_T5_mT6_T7_P12ihipStream_tbENKUlT_T0_E_clISt17integral_constantIbLb1EES10_IbLb0EEEEDaSW_SX_EUlSW_E_NS1_11comp_targetILNS1_3genE4ELNS1_11target_archE910ELNS1_3gpuE8ELNS1_3repE0EEENS1_30default_config_static_selectorELNS0_4arch9wavefront6targetE0EEEvT1_,comdat
	.protected	_ZN7rocprim17ROCPRIM_400000_NS6detail17trampoline_kernelINS0_14default_configENS1_27scan_by_key_config_selectorIidEEZZNS1_16scan_by_key_implILNS1_25lookback_scan_determinismE0ELb1ES3_N6thrust23THRUST_200600_302600_NS6detail15normal_iteratorINS9_10device_ptrIiEEEENSB_INSC_IdEEEESG_dNS9_4plusIvEENS9_8equal_toIvEEdEE10hipError_tPvRmT2_T3_T4_T5_mT6_T7_P12ihipStream_tbENKUlT_T0_E_clISt17integral_constantIbLb1EES10_IbLb0EEEEDaSW_SX_EUlSW_E_NS1_11comp_targetILNS1_3genE4ELNS1_11target_archE910ELNS1_3gpuE8ELNS1_3repE0EEENS1_30default_config_static_selectorELNS0_4arch9wavefront6targetE0EEEvT1_ ; -- Begin function _ZN7rocprim17ROCPRIM_400000_NS6detail17trampoline_kernelINS0_14default_configENS1_27scan_by_key_config_selectorIidEEZZNS1_16scan_by_key_implILNS1_25lookback_scan_determinismE0ELb1ES3_N6thrust23THRUST_200600_302600_NS6detail15normal_iteratorINS9_10device_ptrIiEEEENSB_INSC_IdEEEESG_dNS9_4plusIvEENS9_8equal_toIvEEdEE10hipError_tPvRmT2_T3_T4_T5_mT6_T7_P12ihipStream_tbENKUlT_T0_E_clISt17integral_constantIbLb1EES10_IbLb0EEEEDaSW_SX_EUlSW_E_NS1_11comp_targetILNS1_3genE4ELNS1_11target_archE910ELNS1_3gpuE8ELNS1_3repE0EEENS1_30default_config_static_selectorELNS0_4arch9wavefront6targetE0EEEvT1_
	.globl	_ZN7rocprim17ROCPRIM_400000_NS6detail17trampoline_kernelINS0_14default_configENS1_27scan_by_key_config_selectorIidEEZZNS1_16scan_by_key_implILNS1_25lookback_scan_determinismE0ELb1ES3_N6thrust23THRUST_200600_302600_NS6detail15normal_iteratorINS9_10device_ptrIiEEEENSB_INSC_IdEEEESG_dNS9_4plusIvEENS9_8equal_toIvEEdEE10hipError_tPvRmT2_T3_T4_T5_mT6_T7_P12ihipStream_tbENKUlT_T0_E_clISt17integral_constantIbLb1EES10_IbLb0EEEEDaSW_SX_EUlSW_E_NS1_11comp_targetILNS1_3genE4ELNS1_11target_archE910ELNS1_3gpuE8ELNS1_3repE0EEENS1_30default_config_static_selectorELNS0_4arch9wavefront6targetE0EEEvT1_
	.p2align	8
	.type	_ZN7rocprim17ROCPRIM_400000_NS6detail17trampoline_kernelINS0_14default_configENS1_27scan_by_key_config_selectorIidEEZZNS1_16scan_by_key_implILNS1_25lookback_scan_determinismE0ELb1ES3_N6thrust23THRUST_200600_302600_NS6detail15normal_iteratorINS9_10device_ptrIiEEEENSB_INSC_IdEEEESG_dNS9_4plusIvEENS9_8equal_toIvEEdEE10hipError_tPvRmT2_T3_T4_T5_mT6_T7_P12ihipStream_tbENKUlT_T0_E_clISt17integral_constantIbLb1EES10_IbLb0EEEEDaSW_SX_EUlSW_E_NS1_11comp_targetILNS1_3genE4ELNS1_11target_archE910ELNS1_3gpuE8ELNS1_3repE0EEENS1_30default_config_static_selectorELNS0_4arch9wavefront6targetE0EEEvT1_,@function
_ZN7rocprim17ROCPRIM_400000_NS6detail17trampoline_kernelINS0_14default_configENS1_27scan_by_key_config_selectorIidEEZZNS1_16scan_by_key_implILNS1_25lookback_scan_determinismE0ELb1ES3_N6thrust23THRUST_200600_302600_NS6detail15normal_iteratorINS9_10device_ptrIiEEEENSB_INSC_IdEEEESG_dNS9_4plusIvEENS9_8equal_toIvEEdEE10hipError_tPvRmT2_T3_T4_T5_mT6_T7_P12ihipStream_tbENKUlT_T0_E_clISt17integral_constantIbLb1EES10_IbLb0EEEEDaSW_SX_EUlSW_E_NS1_11comp_targetILNS1_3genE4ELNS1_11target_archE910ELNS1_3gpuE8ELNS1_3repE0EEENS1_30default_config_static_selectorELNS0_4arch9wavefront6targetE0EEEvT1_: ; @_ZN7rocprim17ROCPRIM_400000_NS6detail17trampoline_kernelINS0_14default_configENS1_27scan_by_key_config_selectorIidEEZZNS1_16scan_by_key_implILNS1_25lookback_scan_determinismE0ELb1ES3_N6thrust23THRUST_200600_302600_NS6detail15normal_iteratorINS9_10device_ptrIiEEEENSB_INSC_IdEEEESG_dNS9_4plusIvEENS9_8equal_toIvEEdEE10hipError_tPvRmT2_T3_T4_T5_mT6_T7_P12ihipStream_tbENKUlT_T0_E_clISt17integral_constantIbLb1EES10_IbLb0EEEEDaSW_SX_EUlSW_E_NS1_11comp_targetILNS1_3genE4ELNS1_11target_archE910ELNS1_3gpuE8ELNS1_3repE0EEENS1_30default_config_static_selectorELNS0_4arch9wavefront6targetE0EEEvT1_
; %bb.0:
	.section	.rodata,"a",@progbits
	.p2align	6, 0x0
	.amdhsa_kernel _ZN7rocprim17ROCPRIM_400000_NS6detail17trampoline_kernelINS0_14default_configENS1_27scan_by_key_config_selectorIidEEZZNS1_16scan_by_key_implILNS1_25lookback_scan_determinismE0ELb1ES3_N6thrust23THRUST_200600_302600_NS6detail15normal_iteratorINS9_10device_ptrIiEEEENSB_INSC_IdEEEESG_dNS9_4plusIvEENS9_8equal_toIvEEdEE10hipError_tPvRmT2_T3_T4_T5_mT6_T7_P12ihipStream_tbENKUlT_T0_E_clISt17integral_constantIbLb1EES10_IbLb0EEEEDaSW_SX_EUlSW_E_NS1_11comp_targetILNS1_3genE4ELNS1_11target_archE910ELNS1_3gpuE8ELNS1_3repE0EEENS1_30default_config_static_selectorELNS0_4arch9wavefront6targetE0EEEvT1_
		.amdhsa_group_segment_fixed_size 0
		.amdhsa_private_segment_fixed_size 0
		.amdhsa_kernarg_size 136
		.amdhsa_user_sgpr_count 2
		.amdhsa_user_sgpr_dispatch_ptr 0
		.amdhsa_user_sgpr_queue_ptr 0
		.amdhsa_user_sgpr_kernarg_segment_ptr 1
		.amdhsa_user_sgpr_dispatch_id 0
		.amdhsa_user_sgpr_kernarg_preload_length 0
		.amdhsa_user_sgpr_kernarg_preload_offset 0
		.amdhsa_user_sgpr_private_segment_size 0
		.amdhsa_wavefront_size32 1
		.amdhsa_uses_dynamic_stack 0
		.amdhsa_enable_private_segment 0
		.amdhsa_system_sgpr_workgroup_id_x 1
		.amdhsa_system_sgpr_workgroup_id_y 0
		.amdhsa_system_sgpr_workgroup_id_z 0
		.amdhsa_system_sgpr_workgroup_info 0
		.amdhsa_system_vgpr_workitem_id 0
		.amdhsa_next_free_vgpr 1
		.amdhsa_next_free_sgpr 1
		.amdhsa_named_barrier_count 0
		.amdhsa_reserve_vcc 0
		.amdhsa_float_round_mode_32 0
		.amdhsa_float_round_mode_16_64 0
		.amdhsa_float_denorm_mode_32 3
		.amdhsa_float_denorm_mode_16_64 3
		.amdhsa_fp16_overflow 0
		.amdhsa_memory_ordered 1
		.amdhsa_forward_progress 1
		.amdhsa_inst_pref_size 0
		.amdhsa_round_robin_scheduling 0
		.amdhsa_exception_fp_ieee_invalid_op 0
		.amdhsa_exception_fp_denorm_src 0
		.amdhsa_exception_fp_ieee_div_zero 0
		.amdhsa_exception_fp_ieee_overflow 0
		.amdhsa_exception_fp_ieee_underflow 0
		.amdhsa_exception_fp_ieee_inexact 0
		.amdhsa_exception_int_div_zero 0
	.end_amdhsa_kernel
	.section	.text._ZN7rocprim17ROCPRIM_400000_NS6detail17trampoline_kernelINS0_14default_configENS1_27scan_by_key_config_selectorIidEEZZNS1_16scan_by_key_implILNS1_25lookback_scan_determinismE0ELb1ES3_N6thrust23THRUST_200600_302600_NS6detail15normal_iteratorINS9_10device_ptrIiEEEENSB_INSC_IdEEEESG_dNS9_4plusIvEENS9_8equal_toIvEEdEE10hipError_tPvRmT2_T3_T4_T5_mT6_T7_P12ihipStream_tbENKUlT_T0_E_clISt17integral_constantIbLb1EES10_IbLb0EEEEDaSW_SX_EUlSW_E_NS1_11comp_targetILNS1_3genE4ELNS1_11target_archE910ELNS1_3gpuE8ELNS1_3repE0EEENS1_30default_config_static_selectorELNS0_4arch9wavefront6targetE0EEEvT1_,"axG",@progbits,_ZN7rocprim17ROCPRIM_400000_NS6detail17trampoline_kernelINS0_14default_configENS1_27scan_by_key_config_selectorIidEEZZNS1_16scan_by_key_implILNS1_25lookback_scan_determinismE0ELb1ES3_N6thrust23THRUST_200600_302600_NS6detail15normal_iteratorINS9_10device_ptrIiEEEENSB_INSC_IdEEEESG_dNS9_4plusIvEENS9_8equal_toIvEEdEE10hipError_tPvRmT2_T3_T4_T5_mT6_T7_P12ihipStream_tbENKUlT_T0_E_clISt17integral_constantIbLb1EES10_IbLb0EEEEDaSW_SX_EUlSW_E_NS1_11comp_targetILNS1_3genE4ELNS1_11target_archE910ELNS1_3gpuE8ELNS1_3repE0EEENS1_30default_config_static_selectorELNS0_4arch9wavefront6targetE0EEEvT1_,comdat
.Lfunc_end1412:
	.size	_ZN7rocprim17ROCPRIM_400000_NS6detail17trampoline_kernelINS0_14default_configENS1_27scan_by_key_config_selectorIidEEZZNS1_16scan_by_key_implILNS1_25lookback_scan_determinismE0ELb1ES3_N6thrust23THRUST_200600_302600_NS6detail15normal_iteratorINS9_10device_ptrIiEEEENSB_INSC_IdEEEESG_dNS9_4plusIvEENS9_8equal_toIvEEdEE10hipError_tPvRmT2_T3_T4_T5_mT6_T7_P12ihipStream_tbENKUlT_T0_E_clISt17integral_constantIbLb1EES10_IbLb0EEEEDaSW_SX_EUlSW_E_NS1_11comp_targetILNS1_3genE4ELNS1_11target_archE910ELNS1_3gpuE8ELNS1_3repE0EEENS1_30default_config_static_selectorELNS0_4arch9wavefront6targetE0EEEvT1_, .Lfunc_end1412-_ZN7rocprim17ROCPRIM_400000_NS6detail17trampoline_kernelINS0_14default_configENS1_27scan_by_key_config_selectorIidEEZZNS1_16scan_by_key_implILNS1_25lookback_scan_determinismE0ELb1ES3_N6thrust23THRUST_200600_302600_NS6detail15normal_iteratorINS9_10device_ptrIiEEEENSB_INSC_IdEEEESG_dNS9_4plusIvEENS9_8equal_toIvEEdEE10hipError_tPvRmT2_T3_T4_T5_mT6_T7_P12ihipStream_tbENKUlT_T0_E_clISt17integral_constantIbLb1EES10_IbLb0EEEEDaSW_SX_EUlSW_E_NS1_11comp_targetILNS1_3genE4ELNS1_11target_archE910ELNS1_3gpuE8ELNS1_3repE0EEENS1_30default_config_static_selectorELNS0_4arch9wavefront6targetE0EEEvT1_
                                        ; -- End function
	.set _ZN7rocprim17ROCPRIM_400000_NS6detail17trampoline_kernelINS0_14default_configENS1_27scan_by_key_config_selectorIidEEZZNS1_16scan_by_key_implILNS1_25lookback_scan_determinismE0ELb1ES3_N6thrust23THRUST_200600_302600_NS6detail15normal_iteratorINS9_10device_ptrIiEEEENSB_INSC_IdEEEESG_dNS9_4plusIvEENS9_8equal_toIvEEdEE10hipError_tPvRmT2_T3_T4_T5_mT6_T7_P12ihipStream_tbENKUlT_T0_E_clISt17integral_constantIbLb1EES10_IbLb0EEEEDaSW_SX_EUlSW_E_NS1_11comp_targetILNS1_3genE4ELNS1_11target_archE910ELNS1_3gpuE8ELNS1_3repE0EEENS1_30default_config_static_selectorELNS0_4arch9wavefront6targetE0EEEvT1_.num_vgpr, 0
	.set _ZN7rocprim17ROCPRIM_400000_NS6detail17trampoline_kernelINS0_14default_configENS1_27scan_by_key_config_selectorIidEEZZNS1_16scan_by_key_implILNS1_25lookback_scan_determinismE0ELb1ES3_N6thrust23THRUST_200600_302600_NS6detail15normal_iteratorINS9_10device_ptrIiEEEENSB_INSC_IdEEEESG_dNS9_4plusIvEENS9_8equal_toIvEEdEE10hipError_tPvRmT2_T3_T4_T5_mT6_T7_P12ihipStream_tbENKUlT_T0_E_clISt17integral_constantIbLb1EES10_IbLb0EEEEDaSW_SX_EUlSW_E_NS1_11comp_targetILNS1_3genE4ELNS1_11target_archE910ELNS1_3gpuE8ELNS1_3repE0EEENS1_30default_config_static_selectorELNS0_4arch9wavefront6targetE0EEEvT1_.num_agpr, 0
	.set _ZN7rocprim17ROCPRIM_400000_NS6detail17trampoline_kernelINS0_14default_configENS1_27scan_by_key_config_selectorIidEEZZNS1_16scan_by_key_implILNS1_25lookback_scan_determinismE0ELb1ES3_N6thrust23THRUST_200600_302600_NS6detail15normal_iteratorINS9_10device_ptrIiEEEENSB_INSC_IdEEEESG_dNS9_4plusIvEENS9_8equal_toIvEEdEE10hipError_tPvRmT2_T3_T4_T5_mT6_T7_P12ihipStream_tbENKUlT_T0_E_clISt17integral_constantIbLb1EES10_IbLb0EEEEDaSW_SX_EUlSW_E_NS1_11comp_targetILNS1_3genE4ELNS1_11target_archE910ELNS1_3gpuE8ELNS1_3repE0EEENS1_30default_config_static_selectorELNS0_4arch9wavefront6targetE0EEEvT1_.numbered_sgpr, 0
	.set _ZN7rocprim17ROCPRIM_400000_NS6detail17trampoline_kernelINS0_14default_configENS1_27scan_by_key_config_selectorIidEEZZNS1_16scan_by_key_implILNS1_25lookback_scan_determinismE0ELb1ES3_N6thrust23THRUST_200600_302600_NS6detail15normal_iteratorINS9_10device_ptrIiEEEENSB_INSC_IdEEEESG_dNS9_4plusIvEENS9_8equal_toIvEEdEE10hipError_tPvRmT2_T3_T4_T5_mT6_T7_P12ihipStream_tbENKUlT_T0_E_clISt17integral_constantIbLb1EES10_IbLb0EEEEDaSW_SX_EUlSW_E_NS1_11comp_targetILNS1_3genE4ELNS1_11target_archE910ELNS1_3gpuE8ELNS1_3repE0EEENS1_30default_config_static_selectorELNS0_4arch9wavefront6targetE0EEEvT1_.num_named_barrier, 0
	.set _ZN7rocprim17ROCPRIM_400000_NS6detail17trampoline_kernelINS0_14default_configENS1_27scan_by_key_config_selectorIidEEZZNS1_16scan_by_key_implILNS1_25lookback_scan_determinismE0ELb1ES3_N6thrust23THRUST_200600_302600_NS6detail15normal_iteratorINS9_10device_ptrIiEEEENSB_INSC_IdEEEESG_dNS9_4plusIvEENS9_8equal_toIvEEdEE10hipError_tPvRmT2_T3_T4_T5_mT6_T7_P12ihipStream_tbENKUlT_T0_E_clISt17integral_constantIbLb1EES10_IbLb0EEEEDaSW_SX_EUlSW_E_NS1_11comp_targetILNS1_3genE4ELNS1_11target_archE910ELNS1_3gpuE8ELNS1_3repE0EEENS1_30default_config_static_selectorELNS0_4arch9wavefront6targetE0EEEvT1_.private_seg_size, 0
	.set _ZN7rocprim17ROCPRIM_400000_NS6detail17trampoline_kernelINS0_14default_configENS1_27scan_by_key_config_selectorIidEEZZNS1_16scan_by_key_implILNS1_25lookback_scan_determinismE0ELb1ES3_N6thrust23THRUST_200600_302600_NS6detail15normal_iteratorINS9_10device_ptrIiEEEENSB_INSC_IdEEEESG_dNS9_4plusIvEENS9_8equal_toIvEEdEE10hipError_tPvRmT2_T3_T4_T5_mT6_T7_P12ihipStream_tbENKUlT_T0_E_clISt17integral_constantIbLb1EES10_IbLb0EEEEDaSW_SX_EUlSW_E_NS1_11comp_targetILNS1_3genE4ELNS1_11target_archE910ELNS1_3gpuE8ELNS1_3repE0EEENS1_30default_config_static_selectorELNS0_4arch9wavefront6targetE0EEEvT1_.uses_vcc, 0
	.set _ZN7rocprim17ROCPRIM_400000_NS6detail17trampoline_kernelINS0_14default_configENS1_27scan_by_key_config_selectorIidEEZZNS1_16scan_by_key_implILNS1_25lookback_scan_determinismE0ELb1ES3_N6thrust23THRUST_200600_302600_NS6detail15normal_iteratorINS9_10device_ptrIiEEEENSB_INSC_IdEEEESG_dNS9_4plusIvEENS9_8equal_toIvEEdEE10hipError_tPvRmT2_T3_T4_T5_mT6_T7_P12ihipStream_tbENKUlT_T0_E_clISt17integral_constantIbLb1EES10_IbLb0EEEEDaSW_SX_EUlSW_E_NS1_11comp_targetILNS1_3genE4ELNS1_11target_archE910ELNS1_3gpuE8ELNS1_3repE0EEENS1_30default_config_static_selectorELNS0_4arch9wavefront6targetE0EEEvT1_.uses_flat_scratch, 0
	.set _ZN7rocprim17ROCPRIM_400000_NS6detail17trampoline_kernelINS0_14default_configENS1_27scan_by_key_config_selectorIidEEZZNS1_16scan_by_key_implILNS1_25lookback_scan_determinismE0ELb1ES3_N6thrust23THRUST_200600_302600_NS6detail15normal_iteratorINS9_10device_ptrIiEEEENSB_INSC_IdEEEESG_dNS9_4plusIvEENS9_8equal_toIvEEdEE10hipError_tPvRmT2_T3_T4_T5_mT6_T7_P12ihipStream_tbENKUlT_T0_E_clISt17integral_constantIbLb1EES10_IbLb0EEEEDaSW_SX_EUlSW_E_NS1_11comp_targetILNS1_3genE4ELNS1_11target_archE910ELNS1_3gpuE8ELNS1_3repE0EEENS1_30default_config_static_selectorELNS0_4arch9wavefront6targetE0EEEvT1_.has_dyn_sized_stack, 0
	.set _ZN7rocprim17ROCPRIM_400000_NS6detail17trampoline_kernelINS0_14default_configENS1_27scan_by_key_config_selectorIidEEZZNS1_16scan_by_key_implILNS1_25lookback_scan_determinismE0ELb1ES3_N6thrust23THRUST_200600_302600_NS6detail15normal_iteratorINS9_10device_ptrIiEEEENSB_INSC_IdEEEESG_dNS9_4plusIvEENS9_8equal_toIvEEdEE10hipError_tPvRmT2_T3_T4_T5_mT6_T7_P12ihipStream_tbENKUlT_T0_E_clISt17integral_constantIbLb1EES10_IbLb0EEEEDaSW_SX_EUlSW_E_NS1_11comp_targetILNS1_3genE4ELNS1_11target_archE910ELNS1_3gpuE8ELNS1_3repE0EEENS1_30default_config_static_selectorELNS0_4arch9wavefront6targetE0EEEvT1_.has_recursion, 0
	.set _ZN7rocprim17ROCPRIM_400000_NS6detail17trampoline_kernelINS0_14default_configENS1_27scan_by_key_config_selectorIidEEZZNS1_16scan_by_key_implILNS1_25lookback_scan_determinismE0ELb1ES3_N6thrust23THRUST_200600_302600_NS6detail15normal_iteratorINS9_10device_ptrIiEEEENSB_INSC_IdEEEESG_dNS9_4plusIvEENS9_8equal_toIvEEdEE10hipError_tPvRmT2_T3_T4_T5_mT6_T7_P12ihipStream_tbENKUlT_T0_E_clISt17integral_constantIbLb1EES10_IbLb0EEEEDaSW_SX_EUlSW_E_NS1_11comp_targetILNS1_3genE4ELNS1_11target_archE910ELNS1_3gpuE8ELNS1_3repE0EEENS1_30default_config_static_selectorELNS0_4arch9wavefront6targetE0EEEvT1_.has_indirect_call, 0
	.section	.AMDGPU.csdata,"",@progbits
; Kernel info:
; codeLenInByte = 0
; TotalNumSgprs: 0
; NumVgprs: 0
; ScratchSize: 0
; MemoryBound: 0
; FloatMode: 240
; IeeeMode: 1
; LDSByteSize: 0 bytes/workgroup (compile time only)
; SGPRBlocks: 0
; VGPRBlocks: 0
; NumSGPRsForWavesPerEU: 1
; NumVGPRsForWavesPerEU: 1
; NamedBarCnt: 0
; Occupancy: 16
; WaveLimiterHint : 0
; COMPUTE_PGM_RSRC2:SCRATCH_EN: 0
; COMPUTE_PGM_RSRC2:USER_SGPR: 2
; COMPUTE_PGM_RSRC2:TRAP_HANDLER: 0
; COMPUTE_PGM_RSRC2:TGID_X_EN: 1
; COMPUTE_PGM_RSRC2:TGID_Y_EN: 0
; COMPUTE_PGM_RSRC2:TGID_Z_EN: 0
; COMPUTE_PGM_RSRC2:TIDIG_COMP_CNT: 0
	.section	.text._ZN7rocprim17ROCPRIM_400000_NS6detail17trampoline_kernelINS0_14default_configENS1_27scan_by_key_config_selectorIidEEZZNS1_16scan_by_key_implILNS1_25lookback_scan_determinismE0ELb1ES3_N6thrust23THRUST_200600_302600_NS6detail15normal_iteratorINS9_10device_ptrIiEEEENSB_INSC_IdEEEESG_dNS9_4plusIvEENS9_8equal_toIvEEdEE10hipError_tPvRmT2_T3_T4_T5_mT6_T7_P12ihipStream_tbENKUlT_T0_E_clISt17integral_constantIbLb1EES10_IbLb0EEEEDaSW_SX_EUlSW_E_NS1_11comp_targetILNS1_3genE3ELNS1_11target_archE908ELNS1_3gpuE7ELNS1_3repE0EEENS1_30default_config_static_selectorELNS0_4arch9wavefront6targetE0EEEvT1_,"axG",@progbits,_ZN7rocprim17ROCPRIM_400000_NS6detail17trampoline_kernelINS0_14default_configENS1_27scan_by_key_config_selectorIidEEZZNS1_16scan_by_key_implILNS1_25lookback_scan_determinismE0ELb1ES3_N6thrust23THRUST_200600_302600_NS6detail15normal_iteratorINS9_10device_ptrIiEEEENSB_INSC_IdEEEESG_dNS9_4plusIvEENS9_8equal_toIvEEdEE10hipError_tPvRmT2_T3_T4_T5_mT6_T7_P12ihipStream_tbENKUlT_T0_E_clISt17integral_constantIbLb1EES10_IbLb0EEEEDaSW_SX_EUlSW_E_NS1_11comp_targetILNS1_3genE3ELNS1_11target_archE908ELNS1_3gpuE7ELNS1_3repE0EEENS1_30default_config_static_selectorELNS0_4arch9wavefront6targetE0EEEvT1_,comdat
	.protected	_ZN7rocprim17ROCPRIM_400000_NS6detail17trampoline_kernelINS0_14default_configENS1_27scan_by_key_config_selectorIidEEZZNS1_16scan_by_key_implILNS1_25lookback_scan_determinismE0ELb1ES3_N6thrust23THRUST_200600_302600_NS6detail15normal_iteratorINS9_10device_ptrIiEEEENSB_INSC_IdEEEESG_dNS9_4plusIvEENS9_8equal_toIvEEdEE10hipError_tPvRmT2_T3_T4_T5_mT6_T7_P12ihipStream_tbENKUlT_T0_E_clISt17integral_constantIbLb1EES10_IbLb0EEEEDaSW_SX_EUlSW_E_NS1_11comp_targetILNS1_3genE3ELNS1_11target_archE908ELNS1_3gpuE7ELNS1_3repE0EEENS1_30default_config_static_selectorELNS0_4arch9wavefront6targetE0EEEvT1_ ; -- Begin function _ZN7rocprim17ROCPRIM_400000_NS6detail17trampoline_kernelINS0_14default_configENS1_27scan_by_key_config_selectorIidEEZZNS1_16scan_by_key_implILNS1_25lookback_scan_determinismE0ELb1ES3_N6thrust23THRUST_200600_302600_NS6detail15normal_iteratorINS9_10device_ptrIiEEEENSB_INSC_IdEEEESG_dNS9_4plusIvEENS9_8equal_toIvEEdEE10hipError_tPvRmT2_T3_T4_T5_mT6_T7_P12ihipStream_tbENKUlT_T0_E_clISt17integral_constantIbLb1EES10_IbLb0EEEEDaSW_SX_EUlSW_E_NS1_11comp_targetILNS1_3genE3ELNS1_11target_archE908ELNS1_3gpuE7ELNS1_3repE0EEENS1_30default_config_static_selectorELNS0_4arch9wavefront6targetE0EEEvT1_
	.globl	_ZN7rocprim17ROCPRIM_400000_NS6detail17trampoline_kernelINS0_14default_configENS1_27scan_by_key_config_selectorIidEEZZNS1_16scan_by_key_implILNS1_25lookback_scan_determinismE0ELb1ES3_N6thrust23THRUST_200600_302600_NS6detail15normal_iteratorINS9_10device_ptrIiEEEENSB_INSC_IdEEEESG_dNS9_4plusIvEENS9_8equal_toIvEEdEE10hipError_tPvRmT2_T3_T4_T5_mT6_T7_P12ihipStream_tbENKUlT_T0_E_clISt17integral_constantIbLb1EES10_IbLb0EEEEDaSW_SX_EUlSW_E_NS1_11comp_targetILNS1_3genE3ELNS1_11target_archE908ELNS1_3gpuE7ELNS1_3repE0EEENS1_30default_config_static_selectorELNS0_4arch9wavefront6targetE0EEEvT1_
	.p2align	8
	.type	_ZN7rocprim17ROCPRIM_400000_NS6detail17trampoline_kernelINS0_14default_configENS1_27scan_by_key_config_selectorIidEEZZNS1_16scan_by_key_implILNS1_25lookback_scan_determinismE0ELb1ES3_N6thrust23THRUST_200600_302600_NS6detail15normal_iteratorINS9_10device_ptrIiEEEENSB_INSC_IdEEEESG_dNS9_4plusIvEENS9_8equal_toIvEEdEE10hipError_tPvRmT2_T3_T4_T5_mT6_T7_P12ihipStream_tbENKUlT_T0_E_clISt17integral_constantIbLb1EES10_IbLb0EEEEDaSW_SX_EUlSW_E_NS1_11comp_targetILNS1_3genE3ELNS1_11target_archE908ELNS1_3gpuE7ELNS1_3repE0EEENS1_30default_config_static_selectorELNS0_4arch9wavefront6targetE0EEEvT1_,@function
_ZN7rocprim17ROCPRIM_400000_NS6detail17trampoline_kernelINS0_14default_configENS1_27scan_by_key_config_selectorIidEEZZNS1_16scan_by_key_implILNS1_25lookback_scan_determinismE0ELb1ES3_N6thrust23THRUST_200600_302600_NS6detail15normal_iteratorINS9_10device_ptrIiEEEENSB_INSC_IdEEEESG_dNS9_4plusIvEENS9_8equal_toIvEEdEE10hipError_tPvRmT2_T3_T4_T5_mT6_T7_P12ihipStream_tbENKUlT_T0_E_clISt17integral_constantIbLb1EES10_IbLb0EEEEDaSW_SX_EUlSW_E_NS1_11comp_targetILNS1_3genE3ELNS1_11target_archE908ELNS1_3gpuE7ELNS1_3repE0EEENS1_30default_config_static_selectorELNS0_4arch9wavefront6targetE0EEEvT1_: ; @_ZN7rocprim17ROCPRIM_400000_NS6detail17trampoline_kernelINS0_14default_configENS1_27scan_by_key_config_selectorIidEEZZNS1_16scan_by_key_implILNS1_25lookback_scan_determinismE0ELb1ES3_N6thrust23THRUST_200600_302600_NS6detail15normal_iteratorINS9_10device_ptrIiEEEENSB_INSC_IdEEEESG_dNS9_4plusIvEENS9_8equal_toIvEEdEE10hipError_tPvRmT2_T3_T4_T5_mT6_T7_P12ihipStream_tbENKUlT_T0_E_clISt17integral_constantIbLb1EES10_IbLb0EEEEDaSW_SX_EUlSW_E_NS1_11comp_targetILNS1_3genE3ELNS1_11target_archE908ELNS1_3gpuE7ELNS1_3repE0EEENS1_30default_config_static_selectorELNS0_4arch9wavefront6targetE0EEEvT1_
; %bb.0:
	.section	.rodata,"a",@progbits
	.p2align	6, 0x0
	.amdhsa_kernel _ZN7rocprim17ROCPRIM_400000_NS6detail17trampoline_kernelINS0_14default_configENS1_27scan_by_key_config_selectorIidEEZZNS1_16scan_by_key_implILNS1_25lookback_scan_determinismE0ELb1ES3_N6thrust23THRUST_200600_302600_NS6detail15normal_iteratorINS9_10device_ptrIiEEEENSB_INSC_IdEEEESG_dNS9_4plusIvEENS9_8equal_toIvEEdEE10hipError_tPvRmT2_T3_T4_T5_mT6_T7_P12ihipStream_tbENKUlT_T0_E_clISt17integral_constantIbLb1EES10_IbLb0EEEEDaSW_SX_EUlSW_E_NS1_11comp_targetILNS1_3genE3ELNS1_11target_archE908ELNS1_3gpuE7ELNS1_3repE0EEENS1_30default_config_static_selectorELNS0_4arch9wavefront6targetE0EEEvT1_
		.amdhsa_group_segment_fixed_size 0
		.amdhsa_private_segment_fixed_size 0
		.amdhsa_kernarg_size 136
		.amdhsa_user_sgpr_count 2
		.amdhsa_user_sgpr_dispatch_ptr 0
		.amdhsa_user_sgpr_queue_ptr 0
		.amdhsa_user_sgpr_kernarg_segment_ptr 1
		.amdhsa_user_sgpr_dispatch_id 0
		.amdhsa_user_sgpr_kernarg_preload_length 0
		.amdhsa_user_sgpr_kernarg_preload_offset 0
		.amdhsa_user_sgpr_private_segment_size 0
		.amdhsa_wavefront_size32 1
		.amdhsa_uses_dynamic_stack 0
		.amdhsa_enable_private_segment 0
		.amdhsa_system_sgpr_workgroup_id_x 1
		.amdhsa_system_sgpr_workgroup_id_y 0
		.amdhsa_system_sgpr_workgroup_id_z 0
		.amdhsa_system_sgpr_workgroup_info 0
		.amdhsa_system_vgpr_workitem_id 0
		.amdhsa_next_free_vgpr 1
		.amdhsa_next_free_sgpr 1
		.amdhsa_named_barrier_count 0
		.amdhsa_reserve_vcc 0
		.amdhsa_float_round_mode_32 0
		.amdhsa_float_round_mode_16_64 0
		.amdhsa_float_denorm_mode_32 3
		.amdhsa_float_denorm_mode_16_64 3
		.amdhsa_fp16_overflow 0
		.amdhsa_memory_ordered 1
		.amdhsa_forward_progress 1
		.amdhsa_inst_pref_size 0
		.amdhsa_round_robin_scheduling 0
		.amdhsa_exception_fp_ieee_invalid_op 0
		.amdhsa_exception_fp_denorm_src 0
		.amdhsa_exception_fp_ieee_div_zero 0
		.amdhsa_exception_fp_ieee_overflow 0
		.amdhsa_exception_fp_ieee_underflow 0
		.amdhsa_exception_fp_ieee_inexact 0
		.amdhsa_exception_int_div_zero 0
	.end_amdhsa_kernel
	.section	.text._ZN7rocprim17ROCPRIM_400000_NS6detail17trampoline_kernelINS0_14default_configENS1_27scan_by_key_config_selectorIidEEZZNS1_16scan_by_key_implILNS1_25lookback_scan_determinismE0ELb1ES3_N6thrust23THRUST_200600_302600_NS6detail15normal_iteratorINS9_10device_ptrIiEEEENSB_INSC_IdEEEESG_dNS9_4plusIvEENS9_8equal_toIvEEdEE10hipError_tPvRmT2_T3_T4_T5_mT6_T7_P12ihipStream_tbENKUlT_T0_E_clISt17integral_constantIbLb1EES10_IbLb0EEEEDaSW_SX_EUlSW_E_NS1_11comp_targetILNS1_3genE3ELNS1_11target_archE908ELNS1_3gpuE7ELNS1_3repE0EEENS1_30default_config_static_selectorELNS0_4arch9wavefront6targetE0EEEvT1_,"axG",@progbits,_ZN7rocprim17ROCPRIM_400000_NS6detail17trampoline_kernelINS0_14default_configENS1_27scan_by_key_config_selectorIidEEZZNS1_16scan_by_key_implILNS1_25lookback_scan_determinismE0ELb1ES3_N6thrust23THRUST_200600_302600_NS6detail15normal_iteratorINS9_10device_ptrIiEEEENSB_INSC_IdEEEESG_dNS9_4plusIvEENS9_8equal_toIvEEdEE10hipError_tPvRmT2_T3_T4_T5_mT6_T7_P12ihipStream_tbENKUlT_T0_E_clISt17integral_constantIbLb1EES10_IbLb0EEEEDaSW_SX_EUlSW_E_NS1_11comp_targetILNS1_3genE3ELNS1_11target_archE908ELNS1_3gpuE7ELNS1_3repE0EEENS1_30default_config_static_selectorELNS0_4arch9wavefront6targetE0EEEvT1_,comdat
.Lfunc_end1413:
	.size	_ZN7rocprim17ROCPRIM_400000_NS6detail17trampoline_kernelINS0_14default_configENS1_27scan_by_key_config_selectorIidEEZZNS1_16scan_by_key_implILNS1_25lookback_scan_determinismE0ELb1ES3_N6thrust23THRUST_200600_302600_NS6detail15normal_iteratorINS9_10device_ptrIiEEEENSB_INSC_IdEEEESG_dNS9_4plusIvEENS9_8equal_toIvEEdEE10hipError_tPvRmT2_T3_T4_T5_mT6_T7_P12ihipStream_tbENKUlT_T0_E_clISt17integral_constantIbLb1EES10_IbLb0EEEEDaSW_SX_EUlSW_E_NS1_11comp_targetILNS1_3genE3ELNS1_11target_archE908ELNS1_3gpuE7ELNS1_3repE0EEENS1_30default_config_static_selectorELNS0_4arch9wavefront6targetE0EEEvT1_, .Lfunc_end1413-_ZN7rocprim17ROCPRIM_400000_NS6detail17trampoline_kernelINS0_14default_configENS1_27scan_by_key_config_selectorIidEEZZNS1_16scan_by_key_implILNS1_25lookback_scan_determinismE0ELb1ES3_N6thrust23THRUST_200600_302600_NS6detail15normal_iteratorINS9_10device_ptrIiEEEENSB_INSC_IdEEEESG_dNS9_4plusIvEENS9_8equal_toIvEEdEE10hipError_tPvRmT2_T3_T4_T5_mT6_T7_P12ihipStream_tbENKUlT_T0_E_clISt17integral_constantIbLb1EES10_IbLb0EEEEDaSW_SX_EUlSW_E_NS1_11comp_targetILNS1_3genE3ELNS1_11target_archE908ELNS1_3gpuE7ELNS1_3repE0EEENS1_30default_config_static_selectorELNS0_4arch9wavefront6targetE0EEEvT1_
                                        ; -- End function
	.set _ZN7rocprim17ROCPRIM_400000_NS6detail17trampoline_kernelINS0_14default_configENS1_27scan_by_key_config_selectorIidEEZZNS1_16scan_by_key_implILNS1_25lookback_scan_determinismE0ELb1ES3_N6thrust23THRUST_200600_302600_NS6detail15normal_iteratorINS9_10device_ptrIiEEEENSB_INSC_IdEEEESG_dNS9_4plusIvEENS9_8equal_toIvEEdEE10hipError_tPvRmT2_T3_T4_T5_mT6_T7_P12ihipStream_tbENKUlT_T0_E_clISt17integral_constantIbLb1EES10_IbLb0EEEEDaSW_SX_EUlSW_E_NS1_11comp_targetILNS1_3genE3ELNS1_11target_archE908ELNS1_3gpuE7ELNS1_3repE0EEENS1_30default_config_static_selectorELNS0_4arch9wavefront6targetE0EEEvT1_.num_vgpr, 0
	.set _ZN7rocprim17ROCPRIM_400000_NS6detail17trampoline_kernelINS0_14default_configENS1_27scan_by_key_config_selectorIidEEZZNS1_16scan_by_key_implILNS1_25lookback_scan_determinismE0ELb1ES3_N6thrust23THRUST_200600_302600_NS6detail15normal_iteratorINS9_10device_ptrIiEEEENSB_INSC_IdEEEESG_dNS9_4plusIvEENS9_8equal_toIvEEdEE10hipError_tPvRmT2_T3_T4_T5_mT6_T7_P12ihipStream_tbENKUlT_T0_E_clISt17integral_constantIbLb1EES10_IbLb0EEEEDaSW_SX_EUlSW_E_NS1_11comp_targetILNS1_3genE3ELNS1_11target_archE908ELNS1_3gpuE7ELNS1_3repE0EEENS1_30default_config_static_selectorELNS0_4arch9wavefront6targetE0EEEvT1_.num_agpr, 0
	.set _ZN7rocprim17ROCPRIM_400000_NS6detail17trampoline_kernelINS0_14default_configENS1_27scan_by_key_config_selectorIidEEZZNS1_16scan_by_key_implILNS1_25lookback_scan_determinismE0ELb1ES3_N6thrust23THRUST_200600_302600_NS6detail15normal_iteratorINS9_10device_ptrIiEEEENSB_INSC_IdEEEESG_dNS9_4plusIvEENS9_8equal_toIvEEdEE10hipError_tPvRmT2_T3_T4_T5_mT6_T7_P12ihipStream_tbENKUlT_T0_E_clISt17integral_constantIbLb1EES10_IbLb0EEEEDaSW_SX_EUlSW_E_NS1_11comp_targetILNS1_3genE3ELNS1_11target_archE908ELNS1_3gpuE7ELNS1_3repE0EEENS1_30default_config_static_selectorELNS0_4arch9wavefront6targetE0EEEvT1_.numbered_sgpr, 0
	.set _ZN7rocprim17ROCPRIM_400000_NS6detail17trampoline_kernelINS0_14default_configENS1_27scan_by_key_config_selectorIidEEZZNS1_16scan_by_key_implILNS1_25lookback_scan_determinismE0ELb1ES3_N6thrust23THRUST_200600_302600_NS6detail15normal_iteratorINS9_10device_ptrIiEEEENSB_INSC_IdEEEESG_dNS9_4plusIvEENS9_8equal_toIvEEdEE10hipError_tPvRmT2_T3_T4_T5_mT6_T7_P12ihipStream_tbENKUlT_T0_E_clISt17integral_constantIbLb1EES10_IbLb0EEEEDaSW_SX_EUlSW_E_NS1_11comp_targetILNS1_3genE3ELNS1_11target_archE908ELNS1_3gpuE7ELNS1_3repE0EEENS1_30default_config_static_selectorELNS0_4arch9wavefront6targetE0EEEvT1_.num_named_barrier, 0
	.set _ZN7rocprim17ROCPRIM_400000_NS6detail17trampoline_kernelINS0_14default_configENS1_27scan_by_key_config_selectorIidEEZZNS1_16scan_by_key_implILNS1_25lookback_scan_determinismE0ELb1ES3_N6thrust23THRUST_200600_302600_NS6detail15normal_iteratorINS9_10device_ptrIiEEEENSB_INSC_IdEEEESG_dNS9_4plusIvEENS9_8equal_toIvEEdEE10hipError_tPvRmT2_T3_T4_T5_mT6_T7_P12ihipStream_tbENKUlT_T0_E_clISt17integral_constantIbLb1EES10_IbLb0EEEEDaSW_SX_EUlSW_E_NS1_11comp_targetILNS1_3genE3ELNS1_11target_archE908ELNS1_3gpuE7ELNS1_3repE0EEENS1_30default_config_static_selectorELNS0_4arch9wavefront6targetE0EEEvT1_.private_seg_size, 0
	.set _ZN7rocprim17ROCPRIM_400000_NS6detail17trampoline_kernelINS0_14default_configENS1_27scan_by_key_config_selectorIidEEZZNS1_16scan_by_key_implILNS1_25lookback_scan_determinismE0ELb1ES3_N6thrust23THRUST_200600_302600_NS6detail15normal_iteratorINS9_10device_ptrIiEEEENSB_INSC_IdEEEESG_dNS9_4plusIvEENS9_8equal_toIvEEdEE10hipError_tPvRmT2_T3_T4_T5_mT6_T7_P12ihipStream_tbENKUlT_T0_E_clISt17integral_constantIbLb1EES10_IbLb0EEEEDaSW_SX_EUlSW_E_NS1_11comp_targetILNS1_3genE3ELNS1_11target_archE908ELNS1_3gpuE7ELNS1_3repE0EEENS1_30default_config_static_selectorELNS0_4arch9wavefront6targetE0EEEvT1_.uses_vcc, 0
	.set _ZN7rocprim17ROCPRIM_400000_NS6detail17trampoline_kernelINS0_14default_configENS1_27scan_by_key_config_selectorIidEEZZNS1_16scan_by_key_implILNS1_25lookback_scan_determinismE0ELb1ES3_N6thrust23THRUST_200600_302600_NS6detail15normal_iteratorINS9_10device_ptrIiEEEENSB_INSC_IdEEEESG_dNS9_4plusIvEENS9_8equal_toIvEEdEE10hipError_tPvRmT2_T3_T4_T5_mT6_T7_P12ihipStream_tbENKUlT_T0_E_clISt17integral_constantIbLb1EES10_IbLb0EEEEDaSW_SX_EUlSW_E_NS1_11comp_targetILNS1_3genE3ELNS1_11target_archE908ELNS1_3gpuE7ELNS1_3repE0EEENS1_30default_config_static_selectorELNS0_4arch9wavefront6targetE0EEEvT1_.uses_flat_scratch, 0
	.set _ZN7rocprim17ROCPRIM_400000_NS6detail17trampoline_kernelINS0_14default_configENS1_27scan_by_key_config_selectorIidEEZZNS1_16scan_by_key_implILNS1_25lookback_scan_determinismE0ELb1ES3_N6thrust23THRUST_200600_302600_NS6detail15normal_iteratorINS9_10device_ptrIiEEEENSB_INSC_IdEEEESG_dNS9_4plusIvEENS9_8equal_toIvEEdEE10hipError_tPvRmT2_T3_T4_T5_mT6_T7_P12ihipStream_tbENKUlT_T0_E_clISt17integral_constantIbLb1EES10_IbLb0EEEEDaSW_SX_EUlSW_E_NS1_11comp_targetILNS1_3genE3ELNS1_11target_archE908ELNS1_3gpuE7ELNS1_3repE0EEENS1_30default_config_static_selectorELNS0_4arch9wavefront6targetE0EEEvT1_.has_dyn_sized_stack, 0
	.set _ZN7rocprim17ROCPRIM_400000_NS6detail17trampoline_kernelINS0_14default_configENS1_27scan_by_key_config_selectorIidEEZZNS1_16scan_by_key_implILNS1_25lookback_scan_determinismE0ELb1ES3_N6thrust23THRUST_200600_302600_NS6detail15normal_iteratorINS9_10device_ptrIiEEEENSB_INSC_IdEEEESG_dNS9_4plusIvEENS9_8equal_toIvEEdEE10hipError_tPvRmT2_T3_T4_T5_mT6_T7_P12ihipStream_tbENKUlT_T0_E_clISt17integral_constantIbLb1EES10_IbLb0EEEEDaSW_SX_EUlSW_E_NS1_11comp_targetILNS1_3genE3ELNS1_11target_archE908ELNS1_3gpuE7ELNS1_3repE0EEENS1_30default_config_static_selectorELNS0_4arch9wavefront6targetE0EEEvT1_.has_recursion, 0
	.set _ZN7rocprim17ROCPRIM_400000_NS6detail17trampoline_kernelINS0_14default_configENS1_27scan_by_key_config_selectorIidEEZZNS1_16scan_by_key_implILNS1_25lookback_scan_determinismE0ELb1ES3_N6thrust23THRUST_200600_302600_NS6detail15normal_iteratorINS9_10device_ptrIiEEEENSB_INSC_IdEEEESG_dNS9_4plusIvEENS9_8equal_toIvEEdEE10hipError_tPvRmT2_T3_T4_T5_mT6_T7_P12ihipStream_tbENKUlT_T0_E_clISt17integral_constantIbLb1EES10_IbLb0EEEEDaSW_SX_EUlSW_E_NS1_11comp_targetILNS1_3genE3ELNS1_11target_archE908ELNS1_3gpuE7ELNS1_3repE0EEENS1_30default_config_static_selectorELNS0_4arch9wavefront6targetE0EEEvT1_.has_indirect_call, 0
	.section	.AMDGPU.csdata,"",@progbits
; Kernel info:
; codeLenInByte = 0
; TotalNumSgprs: 0
; NumVgprs: 0
; ScratchSize: 0
; MemoryBound: 0
; FloatMode: 240
; IeeeMode: 1
; LDSByteSize: 0 bytes/workgroup (compile time only)
; SGPRBlocks: 0
; VGPRBlocks: 0
; NumSGPRsForWavesPerEU: 1
; NumVGPRsForWavesPerEU: 1
; NamedBarCnt: 0
; Occupancy: 16
; WaveLimiterHint : 0
; COMPUTE_PGM_RSRC2:SCRATCH_EN: 0
; COMPUTE_PGM_RSRC2:USER_SGPR: 2
; COMPUTE_PGM_RSRC2:TRAP_HANDLER: 0
; COMPUTE_PGM_RSRC2:TGID_X_EN: 1
; COMPUTE_PGM_RSRC2:TGID_Y_EN: 0
; COMPUTE_PGM_RSRC2:TGID_Z_EN: 0
; COMPUTE_PGM_RSRC2:TIDIG_COMP_CNT: 0
	.section	.text._ZN7rocprim17ROCPRIM_400000_NS6detail17trampoline_kernelINS0_14default_configENS1_27scan_by_key_config_selectorIidEEZZNS1_16scan_by_key_implILNS1_25lookback_scan_determinismE0ELb1ES3_N6thrust23THRUST_200600_302600_NS6detail15normal_iteratorINS9_10device_ptrIiEEEENSB_INSC_IdEEEESG_dNS9_4plusIvEENS9_8equal_toIvEEdEE10hipError_tPvRmT2_T3_T4_T5_mT6_T7_P12ihipStream_tbENKUlT_T0_E_clISt17integral_constantIbLb1EES10_IbLb0EEEEDaSW_SX_EUlSW_E_NS1_11comp_targetILNS1_3genE2ELNS1_11target_archE906ELNS1_3gpuE6ELNS1_3repE0EEENS1_30default_config_static_selectorELNS0_4arch9wavefront6targetE0EEEvT1_,"axG",@progbits,_ZN7rocprim17ROCPRIM_400000_NS6detail17trampoline_kernelINS0_14default_configENS1_27scan_by_key_config_selectorIidEEZZNS1_16scan_by_key_implILNS1_25lookback_scan_determinismE0ELb1ES3_N6thrust23THRUST_200600_302600_NS6detail15normal_iteratorINS9_10device_ptrIiEEEENSB_INSC_IdEEEESG_dNS9_4plusIvEENS9_8equal_toIvEEdEE10hipError_tPvRmT2_T3_T4_T5_mT6_T7_P12ihipStream_tbENKUlT_T0_E_clISt17integral_constantIbLb1EES10_IbLb0EEEEDaSW_SX_EUlSW_E_NS1_11comp_targetILNS1_3genE2ELNS1_11target_archE906ELNS1_3gpuE6ELNS1_3repE0EEENS1_30default_config_static_selectorELNS0_4arch9wavefront6targetE0EEEvT1_,comdat
	.protected	_ZN7rocprim17ROCPRIM_400000_NS6detail17trampoline_kernelINS0_14default_configENS1_27scan_by_key_config_selectorIidEEZZNS1_16scan_by_key_implILNS1_25lookback_scan_determinismE0ELb1ES3_N6thrust23THRUST_200600_302600_NS6detail15normal_iteratorINS9_10device_ptrIiEEEENSB_INSC_IdEEEESG_dNS9_4plusIvEENS9_8equal_toIvEEdEE10hipError_tPvRmT2_T3_T4_T5_mT6_T7_P12ihipStream_tbENKUlT_T0_E_clISt17integral_constantIbLb1EES10_IbLb0EEEEDaSW_SX_EUlSW_E_NS1_11comp_targetILNS1_3genE2ELNS1_11target_archE906ELNS1_3gpuE6ELNS1_3repE0EEENS1_30default_config_static_selectorELNS0_4arch9wavefront6targetE0EEEvT1_ ; -- Begin function _ZN7rocprim17ROCPRIM_400000_NS6detail17trampoline_kernelINS0_14default_configENS1_27scan_by_key_config_selectorIidEEZZNS1_16scan_by_key_implILNS1_25lookback_scan_determinismE0ELb1ES3_N6thrust23THRUST_200600_302600_NS6detail15normal_iteratorINS9_10device_ptrIiEEEENSB_INSC_IdEEEESG_dNS9_4plusIvEENS9_8equal_toIvEEdEE10hipError_tPvRmT2_T3_T4_T5_mT6_T7_P12ihipStream_tbENKUlT_T0_E_clISt17integral_constantIbLb1EES10_IbLb0EEEEDaSW_SX_EUlSW_E_NS1_11comp_targetILNS1_3genE2ELNS1_11target_archE906ELNS1_3gpuE6ELNS1_3repE0EEENS1_30default_config_static_selectorELNS0_4arch9wavefront6targetE0EEEvT1_
	.globl	_ZN7rocprim17ROCPRIM_400000_NS6detail17trampoline_kernelINS0_14default_configENS1_27scan_by_key_config_selectorIidEEZZNS1_16scan_by_key_implILNS1_25lookback_scan_determinismE0ELb1ES3_N6thrust23THRUST_200600_302600_NS6detail15normal_iteratorINS9_10device_ptrIiEEEENSB_INSC_IdEEEESG_dNS9_4plusIvEENS9_8equal_toIvEEdEE10hipError_tPvRmT2_T3_T4_T5_mT6_T7_P12ihipStream_tbENKUlT_T0_E_clISt17integral_constantIbLb1EES10_IbLb0EEEEDaSW_SX_EUlSW_E_NS1_11comp_targetILNS1_3genE2ELNS1_11target_archE906ELNS1_3gpuE6ELNS1_3repE0EEENS1_30default_config_static_selectorELNS0_4arch9wavefront6targetE0EEEvT1_
	.p2align	8
	.type	_ZN7rocprim17ROCPRIM_400000_NS6detail17trampoline_kernelINS0_14default_configENS1_27scan_by_key_config_selectorIidEEZZNS1_16scan_by_key_implILNS1_25lookback_scan_determinismE0ELb1ES3_N6thrust23THRUST_200600_302600_NS6detail15normal_iteratorINS9_10device_ptrIiEEEENSB_INSC_IdEEEESG_dNS9_4plusIvEENS9_8equal_toIvEEdEE10hipError_tPvRmT2_T3_T4_T5_mT6_T7_P12ihipStream_tbENKUlT_T0_E_clISt17integral_constantIbLb1EES10_IbLb0EEEEDaSW_SX_EUlSW_E_NS1_11comp_targetILNS1_3genE2ELNS1_11target_archE906ELNS1_3gpuE6ELNS1_3repE0EEENS1_30default_config_static_selectorELNS0_4arch9wavefront6targetE0EEEvT1_,@function
_ZN7rocprim17ROCPRIM_400000_NS6detail17trampoline_kernelINS0_14default_configENS1_27scan_by_key_config_selectorIidEEZZNS1_16scan_by_key_implILNS1_25lookback_scan_determinismE0ELb1ES3_N6thrust23THRUST_200600_302600_NS6detail15normal_iteratorINS9_10device_ptrIiEEEENSB_INSC_IdEEEESG_dNS9_4plusIvEENS9_8equal_toIvEEdEE10hipError_tPvRmT2_T3_T4_T5_mT6_T7_P12ihipStream_tbENKUlT_T0_E_clISt17integral_constantIbLb1EES10_IbLb0EEEEDaSW_SX_EUlSW_E_NS1_11comp_targetILNS1_3genE2ELNS1_11target_archE906ELNS1_3gpuE6ELNS1_3repE0EEENS1_30default_config_static_selectorELNS0_4arch9wavefront6targetE0EEEvT1_: ; @_ZN7rocprim17ROCPRIM_400000_NS6detail17trampoline_kernelINS0_14default_configENS1_27scan_by_key_config_selectorIidEEZZNS1_16scan_by_key_implILNS1_25lookback_scan_determinismE0ELb1ES3_N6thrust23THRUST_200600_302600_NS6detail15normal_iteratorINS9_10device_ptrIiEEEENSB_INSC_IdEEEESG_dNS9_4plusIvEENS9_8equal_toIvEEdEE10hipError_tPvRmT2_T3_T4_T5_mT6_T7_P12ihipStream_tbENKUlT_T0_E_clISt17integral_constantIbLb1EES10_IbLb0EEEEDaSW_SX_EUlSW_E_NS1_11comp_targetILNS1_3genE2ELNS1_11target_archE906ELNS1_3gpuE6ELNS1_3repE0EEENS1_30default_config_static_selectorELNS0_4arch9wavefront6targetE0EEEvT1_
; %bb.0:
	.section	.rodata,"a",@progbits
	.p2align	6, 0x0
	.amdhsa_kernel _ZN7rocprim17ROCPRIM_400000_NS6detail17trampoline_kernelINS0_14default_configENS1_27scan_by_key_config_selectorIidEEZZNS1_16scan_by_key_implILNS1_25lookback_scan_determinismE0ELb1ES3_N6thrust23THRUST_200600_302600_NS6detail15normal_iteratorINS9_10device_ptrIiEEEENSB_INSC_IdEEEESG_dNS9_4plusIvEENS9_8equal_toIvEEdEE10hipError_tPvRmT2_T3_T4_T5_mT6_T7_P12ihipStream_tbENKUlT_T0_E_clISt17integral_constantIbLb1EES10_IbLb0EEEEDaSW_SX_EUlSW_E_NS1_11comp_targetILNS1_3genE2ELNS1_11target_archE906ELNS1_3gpuE6ELNS1_3repE0EEENS1_30default_config_static_selectorELNS0_4arch9wavefront6targetE0EEEvT1_
		.amdhsa_group_segment_fixed_size 0
		.amdhsa_private_segment_fixed_size 0
		.amdhsa_kernarg_size 136
		.amdhsa_user_sgpr_count 2
		.amdhsa_user_sgpr_dispatch_ptr 0
		.amdhsa_user_sgpr_queue_ptr 0
		.amdhsa_user_sgpr_kernarg_segment_ptr 1
		.amdhsa_user_sgpr_dispatch_id 0
		.amdhsa_user_sgpr_kernarg_preload_length 0
		.amdhsa_user_sgpr_kernarg_preload_offset 0
		.amdhsa_user_sgpr_private_segment_size 0
		.amdhsa_wavefront_size32 1
		.amdhsa_uses_dynamic_stack 0
		.amdhsa_enable_private_segment 0
		.amdhsa_system_sgpr_workgroup_id_x 1
		.amdhsa_system_sgpr_workgroup_id_y 0
		.amdhsa_system_sgpr_workgroup_id_z 0
		.amdhsa_system_sgpr_workgroup_info 0
		.amdhsa_system_vgpr_workitem_id 0
		.amdhsa_next_free_vgpr 1
		.amdhsa_next_free_sgpr 1
		.amdhsa_named_barrier_count 0
		.amdhsa_reserve_vcc 0
		.amdhsa_float_round_mode_32 0
		.amdhsa_float_round_mode_16_64 0
		.amdhsa_float_denorm_mode_32 3
		.amdhsa_float_denorm_mode_16_64 3
		.amdhsa_fp16_overflow 0
		.amdhsa_memory_ordered 1
		.amdhsa_forward_progress 1
		.amdhsa_inst_pref_size 0
		.amdhsa_round_robin_scheduling 0
		.amdhsa_exception_fp_ieee_invalid_op 0
		.amdhsa_exception_fp_denorm_src 0
		.amdhsa_exception_fp_ieee_div_zero 0
		.amdhsa_exception_fp_ieee_overflow 0
		.amdhsa_exception_fp_ieee_underflow 0
		.amdhsa_exception_fp_ieee_inexact 0
		.amdhsa_exception_int_div_zero 0
	.end_amdhsa_kernel
	.section	.text._ZN7rocprim17ROCPRIM_400000_NS6detail17trampoline_kernelINS0_14default_configENS1_27scan_by_key_config_selectorIidEEZZNS1_16scan_by_key_implILNS1_25lookback_scan_determinismE0ELb1ES3_N6thrust23THRUST_200600_302600_NS6detail15normal_iteratorINS9_10device_ptrIiEEEENSB_INSC_IdEEEESG_dNS9_4plusIvEENS9_8equal_toIvEEdEE10hipError_tPvRmT2_T3_T4_T5_mT6_T7_P12ihipStream_tbENKUlT_T0_E_clISt17integral_constantIbLb1EES10_IbLb0EEEEDaSW_SX_EUlSW_E_NS1_11comp_targetILNS1_3genE2ELNS1_11target_archE906ELNS1_3gpuE6ELNS1_3repE0EEENS1_30default_config_static_selectorELNS0_4arch9wavefront6targetE0EEEvT1_,"axG",@progbits,_ZN7rocprim17ROCPRIM_400000_NS6detail17trampoline_kernelINS0_14default_configENS1_27scan_by_key_config_selectorIidEEZZNS1_16scan_by_key_implILNS1_25lookback_scan_determinismE0ELb1ES3_N6thrust23THRUST_200600_302600_NS6detail15normal_iteratorINS9_10device_ptrIiEEEENSB_INSC_IdEEEESG_dNS9_4plusIvEENS9_8equal_toIvEEdEE10hipError_tPvRmT2_T3_T4_T5_mT6_T7_P12ihipStream_tbENKUlT_T0_E_clISt17integral_constantIbLb1EES10_IbLb0EEEEDaSW_SX_EUlSW_E_NS1_11comp_targetILNS1_3genE2ELNS1_11target_archE906ELNS1_3gpuE6ELNS1_3repE0EEENS1_30default_config_static_selectorELNS0_4arch9wavefront6targetE0EEEvT1_,comdat
.Lfunc_end1414:
	.size	_ZN7rocprim17ROCPRIM_400000_NS6detail17trampoline_kernelINS0_14default_configENS1_27scan_by_key_config_selectorIidEEZZNS1_16scan_by_key_implILNS1_25lookback_scan_determinismE0ELb1ES3_N6thrust23THRUST_200600_302600_NS6detail15normal_iteratorINS9_10device_ptrIiEEEENSB_INSC_IdEEEESG_dNS9_4plusIvEENS9_8equal_toIvEEdEE10hipError_tPvRmT2_T3_T4_T5_mT6_T7_P12ihipStream_tbENKUlT_T0_E_clISt17integral_constantIbLb1EES10_IbLb0EEEEDaSW_SX_EUlSW_E_NS1_11comp_targetILNS1_3genE2ELNS1_11target_archE906ELNS1_3gpuE6ELNS1_3repE0EEENS1_30default_config_static_selectorELNS0_4arch9wavefront6targetE0EEEvT1_, .Lfunc_end1414-_ZN7rocprim17ROCPRIM_400000_NS6detail17trampoline_kernelINS0_14default_configENS1_27scan_by_key_config_selectorIidEEZZNS1_16scan_by_key_implILNS1_25lookback_scan_determinismE0ELb1ES3_N6thrust23THRUST_200600_302600_NS6detail15normal_iteratorINS9_10device_ptrIiEEEENSB_INSC_IdEEEESG_dNS9_4plusIvEENS9_8equal_toIvEEdEE10hipError_tPvRmT2_T3_T4_T5_mT6_T7_P12ihipStream_tbENKUlT_T0_E_clISt17integral_constantIbLb1EES10_IbLb0EEEEDaSW_SX_EUlSW_E_NS1_11comp_targetILNS1_3genE2ELNS1_11target_archE906ELNS1_3gpuE6ELNS1_3repE0EEENS1_30default_config_static_selectorELNS0_4arch9wavefront6targetE0EEEvT1_
                                        ; -- End function
	.set _ZN7rocprim17ROCPRIM_400000_NS6detail17trampoline_kernelINS0_14default_configENS1_27scan_by_key_config_selectorIidEEZZNS1_16scan_by_key_implILNS1_25lookback_scan_determinismE0ELb1ES3_N6thrust23THRUST_200600_302600_NS6detail15normal_iteratorINS9_10device_ptrIiEEEENSB_INSC_IdEEEESG_dNS9_4plusIvEENS9_8equal_toIvEEdEE10hipError_tPvRmT2_T3_T4_T5_mT6_T7_P12ihipStream_tbENKUlT_T0_E_clISt17integral_constantIbLb1EES10_IbLb0EEEEDaSW_SX_EUlSW_E_NS1_11comp_targetILNS1_3genE2ELNS1_11target_archE906ELNS1_3gpuE6ELNS1_3repE0EEENS1_30default_config_static_selectorELNS0_4arch9wavefront6targetE0EEEvT1_.num_vgpr, 0
	.set _ZN7rocprim17ROCPRIM_400000_NS6detail17trampoline_kernelINS0_14default_configENS1_27scan_by_key_config_selectorIidEEZZNS1_16scan_by_key_implILNS1_25lookback_scan_determinismE0ELb1ES3_N6thrust23THRUST_200600_302600_NS6detail15normal_iteratorINS9_10device_ptrIiEEEENSB_INSC_IdEEEESG_dNS9_4plusIvEENS9_8equal_toIvEEdEE10hipError_tPvRmT2_T3_T4_T5_mT6_T7_P12ihipStream_tbENKUlT_T0_E_clISt17integral_constantIbLb1EES10_IbLb0EEEEDaSW_SX_EUlSW_E_NS1_11comp_targetILNS1_3genE2ELNS1_11target_archE906ELNS1_3gpuE6ELNS1_3repE0EEENS1_30default_config_static_selectorELNS0_4arch9wavefront6targetE0EEEvT1_.num_agpr, 0
	.set _ZN7rocprim17ROCPRIM_400000_NS6detail17trampoline_kernelINS0_14default_configENS1_27scan_by_key_config_selectorIidEEZZNS1_16scan_by_key_implILNS1_25lookback_scan_determinismE0ELb1ES3_N6thrust23THRUST_200600_302600_NS6detail15normal_iteratorINS9_10device_ptrIiEEEENSB_INSC_IdEEEESG_dNS9_4plusIvEENS9_8equal_toIvEEdEE10hipError_tPvRmT2_T3_T4_T5_mT6_T7_P12ihipStream_tbENKUlT_T0_E_clISt17integral_constantIbLb1EES10_IbLb0EEEEDaSW_SX_EUlSW_E_NS1_11comp_targetILNS1_3genE2ELNS1_11target_archE906ELNS1_3gpuE6ELNS1_3repE0EEENS1_30default_config_static_selectorELNS0_4arch9wavefront6targetE0EEEvT1_.numbered_sgpr, 0
	.set _ZN7rocprim17ROCPRIM_400000_NS6detail17trampoline_kernelINS0_14default_configENS1_27scan_by_key_config_selectorIidEEZZNS1_16scan_by_key_implILNS1_25lookback_scan_determinismE0ELb1ES3_N6thrust23THRUST_200600_302600_NS6detail15normal_iteratorINS9_10device_ptrIiEEEENSB_INSC_IdEEEESG_dNS9_4plusIvEENS9_8equal_toIvEEdEE10hipError_tPvRmT2_T3_T4_T5_mT6_T7_P12ihipStream_tbENKUlT_T0_E_clISt17integral_constantIbLb1EES10_IbLb0EEEEDaSW_SX_EUlSW_E_NS1_11comp_targetILNS1_3genE2ELNS1_11target_archE906ELNS1_3gpuE6ELNS1_3repE0EEENS1_30default_config_static_selectorELNS0_4arch9wavefront6targetE0EEEvT1_.num_named_barrier, 0
	.set _ZN7rocprim17ROCPRIM_400000_NS6detail17trampoline_kernelINS0_14default_configENS1_27scan_by_key_config_selectorIidEEZZNS1_16scan_by_key_implILNS1_25lookback_scan_determinismE0ELb1ES3_N6thrust23THRUST_200600_302600_NS6detail15normal_iteratorINS9_10device_ptrIiEEEENSB_INSC_IdEEEESG_dNS9_4plusIvEENS9_8equal_toIvEEdEE10hipError_tPvRmT2_T3_T4_T5_mT6_T7_P12ihipStream_tbENKUlT_T0_E_clISt17integral_constantIbLb1EES10_IbLb0EEEEDaSW_SX_EUlSW_E_NS1_11comp_targetILNS1_3genE2ELNS1_11target_archE906ELNS1_3gpuE6ELNS1_3repE0EEENS1_30default_config_static_selectorELNS0_4arch9wavefront6targetE0EEEvT1_.private_seg_size, 0
	.set _ZN7rocprim17ROCPRIM_400000_NS6detail17trampoline_kernelINS0_14default_configENS1_27scan_by_key_config_selectorIidEEZZNS1_16scan_by_key_implILNS1_25lookback_scan_determinismE0ELb1ES3_N6thrust23THRUST_200600_302600_NS6detail15normal_iteratorINS9_10device_ptrIiEEEENSB_INSC_IdEEEESG_dNS9_4plusIvEENS9_8equal_toIvEEdEE10hipError_tPvRmT2_T3_T4_T5_mT6_T7_P12ihipStream_tbENKUlT_T0_E_clISt17integral_constantIbLb1EES10_IbLb0EEEEDaSW_SX_EUlSW_E_NS1_11comp_targetILNS1_3genE2ELNS1_11target_archE906ELNS1_3gpuE6ELNS1_3repE0EEENS1_30default_config_static_selectorELNS0_4arch9wavefront6targetE0EEEvT1_.uses_vcc, 0
	.set _ZN7rocprim17ROCPRIM_400000_NS6detail17trampoline_kernelINS0_14default_configENS1_27scan_by_key_config_selectorIidEEZZNS1_16scan_by_key_implILNS1_25lookback_scan_determinismE0ELb1ES3_N6thrust23THRUST_200600_302600_NS6detail15normal_iteratorINS9_10device_ptrIiEEEENSB_INSC_IdEEEESG_dNS9_4plusIvEENS9_8equal_toIvEEdEE10hipError_tPvRmT2_T3_T4_T5_mT6_T7_P12ihipStream_tbENKUlT_T0_E_clISt17integral_constantIbLb1EES10_IbLb0EEEEDaSW_SX_EUlSW_E_NS1_11comp_targetILNS1_3genE2ELNS1_11target_archE906ELNS1_3gpuE6ELNS1_3repE0EEENS1_30default_config_static_selectorELNS0_4arch9wavefront6targetE0EEEvT1_.uses_flat_scratch, 0
	.set _ZN7rocprim17ROCPRIM_400000_NS6detail17trampoline_kernelINS0_14default_configENS1_27scan_by_key_config_selectorIidEEZZNS1_16scan_by_key_implILNS1_25lookback_scan_determinismE0ELb1ES3_N6thrust23THRUST_200600_302600_NS6detail15normal_iteratorINS9_10device_ptrIiEEEENSB_INSC_IdEEEESG_dNS9_4plusIvEENS9_8equal_toIvEEdEE10hipError_tPvRmT2_T3_T4_T5_mT6_T7_P12ihipStream_tbENKUlT_T0_E_clISt17integral_constantIbLb1EES10_IbLb0EEEEDaSW_SX_EUlSW_E_NS1_11comp_targetILNS1_3genE2ELNS1_11target_archE906ELNS1_3gpuE6ELNS1_3repE0EEENS1_30default_config_static_selectorELNS0_4arch9wavefront6targetE0EEEvT1_.has_dyn_sized_stack, 0
	.set _ZN7rocprim17ROCPRIM_400000_NS6detail17trampoline_kernelINS0_14default_configENS1_27scan_by_key_config_selectorIidEEZZNS1_16scan_by_key_implILNS1_25lookback_scan_determinismE0ELb1ES3_N6thrust23THRUST_200600_302600_NS6detail15normal_iteratorINS9_10device_ptrIiEEEENSB_INSC_IdEEEESG_dNS9_4plusIvEENS9_8equal_toIvEEdEE10hipError_tPvRmT2_T3_T4_T5_mT6_T7_P12ihipStream_tbENKUlT_T0_E_clISt17integral_constantIbLb1EES10_IbLb0EEEEDaSW_SX_EUlSW_E_NS1_11comp_targetILNS1_3genE2ELNS1_11target_archE906ELNS1_3gpuE6ELNS1_3repE0EEENS1_30default_config_static_selectorELNS0_4arch9wavefront6targetE0EEEvT1_.has_recursion, 0
	.set _ZN7rocprim17ROCPRIM_400000_NS6detail17trampoline_kernelINS0_14default_configENS1_27scan_by_key_config_selectorIidEEZZNS1_16scan_by_key_implILNS1_25lookback_scan_determinismE0ELb1ES3_N6thrust23THRUST_200600_302600_NS6detail15normal_iteratorINS9_10device_ptrIiEEEENSB_INSC_IdEEEESG_dNS9_4plusIvEENS9_8equal_toIvEEdEE10hipError_tPvRmT2_T3_T4_T5_mT6_T7_P12ihipStream_tbENKUlT_T0_E_clISt17integral_constantIbLb1EES10_IbLb0EEEEDaSW_SX_EUlSW_E_NS1_11comp_targetILNS1_3genE2ELNS1_11target_archE906ELNS1_3gpuE6ELNS1_3repE0EEENS1_30default_config_static_selectorELNS0_4arch9wavefront6targetE0EEEvT1_.has_indirect_call, 0
	.section	.AMDGPU.csdata,"",@progbits
; Kernel info:
; codeLenInByte = 0
; TotalNumSgprs: 0
; NumVgprs: 0
; ScratchSize: 0
; MemoryBound: 0
; FloatMode: 240
; IeeeMode: 1
; LDSByteSize: 0 bytes/workgroup (compile time only)
; SGPRBlocks: 0
; VGPRBlocks: 0
; NumSGPRsForWavesPerEU: 1
; NumVGPRsForWavesPerEU: 1
; NamedBarCnt: 0
; Occupancy: 16
; WaveLimiterHint : 0
; COMPUTE_PGM_RSRC2:SCRATCH_EN: 0
; COMPUTE_PGM_RSRC2:USER_SGPR: 2
; COMPUTE_PGM_RSRC2:TRAP_HANDLER: 0
; COMPUTE_PGM_RSRC2:TGID_X_EN: 1
; COMPUTE_PGM_RSRC2:TGID_Y_EN: 0
; COMPUTE_PGM_RSRC2:TGID_Z_EN: 0
; COMPUTE_PGM_RSRC2:TIDIG_COMP_CNT: 0
	.section	.text._ZN7rocprim17ROCPRIM_400000_NS6detail17trampoline_kernelINS0_14default_configENS1_27scan_by_key_config_selectorIidEEZZNS1_16scan_by_key_implILNS1_25lookback_scan_determinismE0ELb1ES3_N6thrust23THRUST_200600_302600_NS6detail15normal_iteratorINS9_10device_ptrIiEEEENSB_INSC_IdEEEESG_dNS9_4plusIvEENS9_8equal_toIvEEdEE10hipError_tPvRmT2_T3_T4_T5_mT6_T7_P12ihipStream_tbENKUlT_T0_E_clISt17integral_constantIbLb1EES10_IbLb0EEEEDaSW_SX_EUlSW_E_NS1_11comp_targetILNS1_3genE10ELNS1_11target_archE1200ELNS1_3gpuE4ELNS1_3repE0EEENS1_30default_config_static_selectorELNS0_4arch9wavefront6targetE0EEEvT1_,"axG",@progbits,_ZN7rocprim17ROCPRIM_400000_NS6detail17trampoline_kernelINS0_14default_configENS1_27scan_by_key_config_selectorIidEEZZNS1_16scan_by_key_implILNS1_25lookback_scan_determinismE0ELb1ES3_N6thrust23THRUST_200600_302600_NS6detail15normal_iteratorINS9_10device_ptrIiEEEENSB_INSC_IdEEEESG_dNS9_4plusIvEENS9_8equal_toIvEEdEE10hipError_tPvRmT2_T3_T4_T5_mT6_T7_P12ihipStream_tbENKUlT_T0_E_clISt17integral_constantIbLb1EES10_IbLb0EEEEDaSW_SX_EUlSW_E_NS1_11comp_targetILNS1_3genE10ELNS1_11target_archE1200ELNS1_3gpuE4ELNS1_3repE0EEENS1_30default_config_static_selectorELNS0_4arch9wavefront6targetE0EEEvT1_,comdat
	.protected	_ZN7rocprim17ROCPRIM_400000_NS6detail17trampoline_kernelINS0_14default_configENS1_27scan_by_key_config_selectorIidEEZZNS1_16scan_by_key_implILNS1_25lookback_scan_determinismE0ELb1ES3_N6thrust23THRUST_200600_302600_NS6detail15normal_iteratorINS9_10device_ptrIiEEEENSB_INSC_IdEEEESG_dNS9_4plusIvEENS9_8equal_toIvEEdEE10hipError_tPvRmT2_T3_T4_T5_mT6_T7_P12ihipStream_tbENKUlT_T0_E_clISt17integral_constantIbLb1EES10_IbLb0EEEEDaSW_SX_EUlSW_E_NS1_11comp_targetILNS1_3genE10ELNS1_11target_archE1200ELNS1_3gpuE4ELNS1_3repE0EEENS1_30default_config_static_selectorELNS0_4arch9wavefront6targetE0EEEvT1_ ; -- Begin function _ZN7rocprim17ROCPRIM_400000_NS6detail17trampoline_kernelINS0_14default_configENS1_27scan_by_key_config_selectorIidEEZZNS1_16scan_by_key_implILNS1_25lookback_scan_determinismE0ELb1ES3_N6thrust23THRUST_200600_302600_NS6detail15normal_iteratorINS9_10device_ptrIiEEEENSB_INSC_IdEEEESG_dNS9_4plusIvEENS9_8equal_toIvEEdEE10hipError_tPvRmT2_T3_T4_T5_mT6_T7_P12ihipStream_tbENKUlT_T0_E_clISt17integral_constantIbLb1EES10_IbLb0EEEEDaSW_SX_EUlSW_E_NS1_11comp_targetILNS1_3genE10ELNS1_11target_archE1200ELNS1_3gpuE4ELNS1_3repE0EEENS1_30default_config_static_selectorELNS0_4arch9wavefront6targetE0EEEvT1_
	.globl	_ZN7rocprim17ROCPRIM_400000_NS6detail17trampoline_kernelINS0_14default_configENS1_27scan_by_key_config_selectorIidEEZZNS1_16scan_by_key_implILNS1_25lookback_scan_determinismE0ELb1ES3_N6thrust23THRUST_200600_302600_NS6detail15normal_iteratorINS9_10device_ptrIiEEEENSB_INSC_IdEEEESG_dNS9_4plusIvEENS9_8equal_toIvEEdEE10hipError_tPvRmT2_T3_T4_T5_mT6_T7_P12ihipStream_tbENKUlT_T0_E_clISt17integral_constantIbLb1EES10_IbLb0EEEEDaSW_SX_EUlSW_E_NS1_11comp_targetILNS1_3genE10ELNS1_11target_archE1200ELNS1_3gpuE4ELNS1_3repE0EEENS1_30default_config_static_selectorELNS0_4arch9wavefront6targetE0EEEvT1_
	.p2align	8
	.type	_ZN7rocprim17ROCPRIM_400000_NS6detail17trampoline_kernelINS0_14default_configENS1_27scan_by_key_config_selectorIidEEZZNS1_16scan_by_key_implILNS1_25lookback_scan_determinismE0ELb1ES3_N6thrust23THRUST_200600_302600_NS6detail15normal_iteratorINS9_10device_ptrIiEEEENSB_INSC_IdEEEESG_dNS9_4plusIvEENS9_8equal_toIvEEdEE10hipError_tPvRmT2_T3_T4_T5_mT6_T7_P12ihipStream_tbENKUlT_T0_E_clISt17integral_constantIbLb1EES10_IbLb0EEEEDaSW_SX_EUlSW_E_NS1_11comp_targetILNS1_3genE10ELNS1_11target_archE1200ELNS1_3gpuE4ELNS1_3repE0EEENS1_30default_config_static_selectorELNS0_4arch9wavefront6targetE0EEEvT1_,@function
_ZN7rocprim17ROCPRIM_400000_NS6detail17trampoline_kernelINS0_14default_configENS1_27scan_by_key_config_selectorIidEEZZNS1_16scan_by_key_implILNS1_25lookback_scan_determinismE0ELb1ES3_N6thrust23THRUST_200600_302600_NS6detail15normal_iteratorINS9_10device_ptrIiEEEENSB_INSC_IdEEEESG_dNS9_4plusIvEENS9_8equal_toIvEEdEE10hipError_tPvRmT2_T3_T4_T5_mT6_T7_P12ihipStream_tbENKUlT_T0_E_clISt17integral_constantIbLb1EES10_IbLb0EEEEDaSW_SX_EUlSW_E_NS1_11comp_targetILNS1_3genE10ELNS1_11target_archE1200ELNS1_3gpuE4ELNS1_3repE0EEENS1_30default_config_static_selectorELNS0_4arch9wavefront6targetE0EEEvT1_: ; @_ZN7rocprim17ROCPRIM_400000_NS6detail17trampoline_kernelINS0_14default_configENS1_27scan_by_key_config_selectorIidEEZZNS1_16scan_by_key_implILNS1_25lookback_scan_determinismE0ELb1ES3_N6thrust23THRUST_200600_302600_NS6detail15normal_iteratorINS9_10device_ptrIiEEEENSB_INSC_IdEEEESG_dNS9_4plusIvEENS9_8equal_toIvEEdEE10hipError_tPvRmT2_T3_T4_T5_mT6_T7_P12ihipStream_tbENKUlT_T0_E_clISt17integral_constantIbLb1EES10_IbLb0EEEEDaSW_SX_EUlSW_E_NS1_11comp_targetILNS1_3genE10ELNS1_11target_archE1200ELNS1_3gpuE4ELNS1_3repE0EEENS1_30default_config_static_selectorELNS0_4arch9wavefront6targetE0EEEvT1_
; %bb.0:
	.section	.rodata,"a",@progbits
	.p2align	6, 0x0
	.amdhsa_kernel _ZN7rocprim17ROCPRIM_400000_NS6detail17trampoline_kernelINS0_14default_configENS1_27scan_by_key_config_selectorIidEEZZNS1_16scan_by_key_implILNS1_25lookback_scan_determinismE0ELb1ES3_N6thrust23THRUST_200600_302600_NS6detail15normal_iteratorINS9_10device_ptrIiEEEENSB_INSC_IdEEEESG_dNS9_4plusIvEENS9_8equal_toIvEEdEE10hipError_tPvRmT2_T3_T4_T5_mT6_T7_P12ihipStream_tbENKUlT_T0_E_clISt17integral_constantIbLb1EES10_IbLb0EEEEDaSW_SX_EUlSW_E_NS1_11comp_targetILNS1_3genE10ELNS1_11target_archE1200ELNS1_3gpuE4ELNS1_3repE0EEENS1_30default_config_static_selectorELNS0_4arch9wavefront6targetE0EEEvT1_
		.amdhsa_group_segment_fixed_size 0
		.amdhsa_private_segment_fixed_size 0
		.amdhsa_kernarg_size 136
		.amdhsa_user_sgpr_count 2
		.amdhsa_user_sgpr_dispatch_ptr 0
		.amdhsa_user_sgpr_queue_ptr 0
		.amdhsa_user_sgpr_kernarg_segment_ptr 1
		.amdhsa_user_sgpr_dispatch_id 0
		.amdhsa_user_sgpr_kernarg_preload_length 0
		.amdhsa_user_sgpr_kernarg_preload_offset 0
		.amdhsa_user_sgpr_private_segment_size 0
		.amdhsa_wavefront_size32 1
		.amdhsa_uses_dynamic_stack 0
		.amdhsa_enable_private_segment 0
		.amdhsa_system_sgpr_workgroup_id_x 1
		.amdhsa_system_sgpr_workgroup_id_y 0
		.amdhsa_system_sgpr_workgroup_id_z 0
		.amdhsa_system_sgpr_workgroup_info 0
		.amdhsa_system_vgpr_workitem_id 0
		.amdhsa_next_free_vgpr 1
		.amdhsa_next_free_sgpr 1
		.amdhsa_named_barrier_count 0
		.amdhsa_reserve_vcc 0
		.amdhsa_float_round_mode_32 0
		.amdhsa_float_round_mode_16_64 0
		.amdhsa_float_denorm_mode_32 3
		.amdhsa_float_denorm_mode_16_64 3
		.amdhsa_fp16_overflow 0
		.amdhsa_memory_ordered 1
		.amdhsa_forward_progress 1
		.amdhsa_inst_pref_size 0
		.amdhsa_round_robin_scheduling 0
		.amdhsa_exception_fp_ieee_invalid_op 0
		.amdhsa_exception_fp_denorm_src 0
		.amdhsa_exception_fp_ieee_div_zero 0
		.amdhsa_exception_fp_ieee_overflow 0
		.amdhsa_exception_fp_ieee_underflow 0
		.amdhsa_exception_fp_ieee_inexact 0
		.amdhsa_exception_int_div_zero 0
	.end_amdhsa_kernel
	.section	.text._ZN7rocprim17ROCPRIM_400000_NS6detail17trampoline_kernelINS0_14default_configENS1_27scan_by_key_config_selectorIidEEZZNS1_16scan_by_key_implILNS1_25lookback_scan_determinismE0ELb1ES3_N6thrust23THRUST_200600_302600_NS6detail15normal_iteratorINS9_10device_ptrIiEEEENSB_INSC_IdEEEESG_dNS9_4plusIvEENS9_8equal_toIvEEdEE10hipError_tPvRmT2_T3_T4_T5_mT6_T7_P12ihipStream_tbENKUlT_T0_E_clISt17integral_constantIbLb1EES10_IbLb0EEEEDaSW_SX_EUlSW_E_NS1_11comp_targetILNS1_3genE10ELNS1_11target_archE1200ELNS1_3gpuE4ELNS1_3repE0EEENS1_30default_config_static_selectorELNS0_4arch9wavefront6targetE0EEEvT1_,"axG",@progbits,_ZN7rocprim17ROCPRIM_400000_NS6detail17trampoline_kernelINS0_14default_configENS1_27scan_by_key_config_selectorIidEEZZNS1_16scan_by_key_implILNS1_25lookback_scan_determinismE0ELb1ES3_N6thrust23THRUST_200600_302600_NS6detail15normal_iteratorINS9_10device_ptrIiEEEENSB_INSC_IdEEEESG_dNS9_4plusIvEENS9_8equal_toIvEEdEE10hipError_tPvRmT2_T3_T4_T5_mT6_T7_P12ihipStream_tbENKUlT_T0_E_clISt17integral_constantIbLb1EES10_IbLb0EEEEDaSW_SX_EUlSW_E_NS1_11comp_targetILNS1_3genE10ELNS1_11target_archE1200ELNS1_3gpuE4ELNS1_3repE0EEENS1_30default_config_static_selectorELNS0_4arch9wavefront6targetE0EEEvT1_,comdat
.Lfunc_end1415:
	.size	_ZN7rocprim17ROCPRIM_400000_NS6detail17trampoline_kernelINS0_14default_configENS1_27scan_by_key_config_selectorIidEEZZNS1_16scan_by_key_implILNS1_25lookback_scan_determinismE0ELb1ES3_N6thrust23THRUST_200600_302600_NS6detail15normal_iteratorINS9_10device_ptrIiEEEENSB_INSC_IdEEEESG_dNS9_4plusIvEENS9_8equal_toIvEEdEE10hipError_tPvRmT2_T3_T4_T5_mT6_T7_P12ihipStream_tbENKUlT_T0_E_clISt17integral_constantIbLb1EES10_IbLb0EEEEDaSW_SX_EUlSW_E_NS1_11comp_targetILNS1_3genE10ELNS1_11target_archE1200ELNS1_3gpuE4ELNS1_3repE0EEENS1_30default_config_static_selectorELNS0_4arch9wavefront6targetE0EEEvT1_, .Lfunc_end1415-_ZN7rocprim17ROCPRIM_400000_NS6detail17trampoline_kernelINS0_14default_configENS1_27scan_by_key_config_selectorIidEEZZNS1_16scan_by_key_implILNS1_25lookback_scan_determinismE0ELb1ES3_N6thrust23THRUST_200600_302600_NS6detail15normal_iteratorINS9_10device_ptrIiEEEENSB_INSC_IdEEEESG_dNS9_4plusIvEENS9_8equal_toIvEEdEE10hipError_tPvRmT2_T3_T4_T5_mT6_T7_P12ihipStream_tbENKUlT_T0_E_clISt17integral_constantIbLb1EES10_IbLb0EEEEDaSW_SX_EUlSW_E_NS1_11comp_targetILNS1_3genE10ELNS1_11target_archE1200ELNS1_3gpuE4ELNS1_3repE0EEENS1_30default_config_static_selectorELNS0_4arch9wavefront6targetE0EEEvT1_
                                        ; -- End function
	.set _ZN7rocprim17ROCPRIM_400000_NS6detail17trampoline_kernelINS0_14default_configENS1_27scan_by_key_config_selectorIidEEZZNS1_16scan_by_key_implILNS1_25lookback_scan_determinismE0ELb1ES3_N6thrust23THRUST_200600_302600_NS6detail15normal_iteratorINS9_10device_ptrIiEEEENSB_INSC_IdEEEESG_dNS9_4plusIvEENS9_8equal_toIvEEdEE10hipError_tPvRmT2_T3_T4_T5_mT6_T7_P12ihipStream_tbENKUlT_T0_E_clISt17integral_constantIbLb1EES10_IbLb0EEEEDaSW_SX_EUlSW_E_NS1_11comp_targetILNS1_3genE10ELNS1_11target_archE1200ELNS1_3gpuE4ELNS1_3repE0EEENS1_30default_config_static_selectorELNS0_4arch9wavefront6targetE0EEEvT1_.num_vgpr, 0
	.set _ZN7rocprim17ROCPRIM_400000_NS6detail17trampoline_kernelINS0_14default_configENS1_27scan_by_key_config_selectorIidEEZZNS1_16scan_by_key_implILNS1_25lookback_scan_determinismE0ELb1ES3_N6thrust23THRUST_200600_302600_NS6detail15normal_iteratorINS9_10device_ptrIiEEEENSB_INSC_IdEEEESG_dNS9_4plusIvEENS9_8equal_toIvEEdEE10hipError_tPvRmT2_T3_T4_T5_mT6_T7_P12ihipStream_tbENKUlT_T0_E_clISt17integral_constantIbLb1EES10_IbLb0EEEEDaSW_SX_EUlSW_E_NS1_11comp_targetILNS1_3genE10ELNS1_11target_archE1200ELNS1_3gpuE4ELNS1_3repE0EEENS1_30default_config_static_selectorELNS0_4arch9wavefront6targetE0EEEvT1_.num_agpr, 0
	.set _ZN7rocprim17ROCPRIM_400000_NS6detail17trampoline_kernelINS0_14default_configENS1_27scan_by_key_config_selectorIidEEZZNS1_16scan_by_key_implILNS1_25lookback_scan_determinismE0ELb1ES3_N6thrust23THRUST_200600_302600_NS6detail15normal_iteratorINS9_10device_ptrIiEEEENSB_INSC_IdEEEESG_dNS9_4plusIvEENS9_8equal_toIvEEdEE10hipError_tPvRmT2_T3_T4_T5_mT6_T7_P12ihipStream_tbENKUlT_T0_E_clISt17integral_constantIbLb1EES10_IbLb0EEEEDaSW_SX_EUlSW_E_NS1_11comp_targetILNS1_3genE10ELNS1_11target_archE1200ELNS1_3gpuE4ELNS1_3repE0EEENS1_30default_config_static_selectorELNS0_4arch9wavefront6targetE0EEEvT1_.numbered_sgpr, 0
	.set _ZN7rocprim17ROCPRIM_400000_NS6detail17trampoline_kernelINS0_14default_configENS1_27scan_by_key_config_selectorIidEEZZNS1_16scan_by_key_implILNS1_25lookback_scan_determinismE0ELb1ES3_N6thrust23THRUST_200600_302600_NS6detail15normal_iteratorINS9_10device_ptrIiEEEENSB_INSC_IdEEEESG_dNS9_4plusIvEENS9_8equal_toIvEEdEE10hipError_tPvRmT2_T3_T4_T5_mT6_T7_P12ihipStream_tbENKUlT_T0_E_clISt17integral_constantIbLb1EES10_IbLb0EEEEDaSW_SX_EUlSW_E_NS1_11comp_targetILNS1_3genE10ELNS1_11target_archE1200ELNS1_3gpuE4ELNS1_3repE0EEENS1_30default_config_static_selectorELNS0_4arch9wavefront6targetE0EEEvT1_.num_named_barrier, 0
	.set _ZN7rocprim17ROCPRIM_400000_NS6detail17trampoline_kernelINS0_14default_configENS1_27scan_by_key_config_selectorIidEEZZNS1_16scan_by_key_implILNS1_25lookback_scan_determinismE0ELb1ES3_N6thrust23THRUST_200600_302600_NS6detail15normal_iteratorINS9_10device_ptrIiEEEENSB_INSC_IdEEEESG_dNS9_4plusIvEENS9_8equal_toIvEEdEE10hipError_tPvRmT2_T3_T4_T5_mT6_T7_P12ihipStream_tbENKUlT_T0_E_clISt17integral_constantIbLb1EES10_IbLb0EEEEDaSW_SX_EUlSW_E_NS1_11comp_targetILNS1_3genE10ELNS1_11target_archE1200ELNS1_3gpuE4ELNS1_3repE0EEENS1_30default_config_static_selectorELNS0_4arch9wavefront6targetE0EEEvT1_.private_seg_size, 0
	.set _ZN7rocprim17ROCPRIM_400000_NS6detail17trampoline_kernelINS0_14default_configENS1_27scan_by_key_config_selectorIidEEZZNS1_16scan_by_key_implILNS1_25lookback_scan_determinismE0ELb1ES3_N6thrust23THRUST_200600_302600_NS6detail15normal_iteratorINS9_10device_ptrIiEEEENSB_INSC_IdEEEESG_dNS9_4plusIvEENS9_8equal_toIvEEdEE10hipError_tPvRmT2_T3_T4_T5_mT6_T7_P12ihipStream_tbENKUlT_T0_E_clISt17integral_constantIbLb1EES10_IbLb0EEEEDaSW_SX_EUlSW_E_NS1_11comp_targetILNS1_3genE10ELNS1_11target_archE1200ELNS1_3gpuE4ELNS1_3repE0EEENS1_30default_config_static_selectorELNS0_4arch9wavefront6targetE0EEEvT1_.uses_vcc, 0
	.set _ZN7rocprim17ROCPRIM_400000_NS6detail17trampoline_kernelINS0_14default_configENS1_27scan_by_key_config_selectorIidEEZZNS1_16scan_by_key_implILNS1_25lookback_scan_determinismE0ELb1ES3_N6thrust23THRUST_200600_302600_NS6detail15normal_iteratorINS9_10device_ptrIiEEEENSB_INSC_IdEEEESG_dNS9_4plusIvEENS9_8equal_toIvEEdEE10hipError_tPvRmT2_T3_T4_T5_mT6_T7_P12ihipStream_tbENKUlT_T0_E_clISt17integral_constantIbLb1EES10_IbLb0EEEEDaSW_SX_EUlSW_E_NS1_11comp_targetILNS1_3genE10ELNS1_11target_archE1200ELNS1_3gpuE4ELNS1_3repE0EEENS1_30default_config_static_selectorELNS0_4arch9wavefront6targetE0EEEvT1_.uses_flat_scratch, 0
	.set _ZN7rocprim17ROCPRIM_400000_NS6detail17trampoline_kernelINS0_14default_configENS1_27scan_by_key_config_selectorIidEEZZNS1_16scan_by_key_implILNS1_25lookback_scan_determinismE0ELb1ES3_N6thrust23THRUST_200600_302600_NS6detail15normal_iteratorINS9_10device_ptrIiEEEENSB_INSC_IdEEEESG_dNS9_4plusIvEENS9_8equal_toIvEEdEE10hipError_tPvRmT2_T3_T4_T5_mT6_T7_P12ihipStream_tbENKUlT_T0_E_clISt17integral_constantIbLb1EES10_IbLb0EEEEDaSW_SX_EUlSW_E_NS1_11comp_targetILNS1_3genE10ELNS1_11target_archE1200ELNS1_3gpuE4ELNS1_3repE0EEENS1_30default_config_static_selectorELNS0_4arch9wavefront6targetE0EEEvT1_.has_dyn_sized_stack, 0
	.set _ZN7rocprim17ROCPRIM_400000_NS6detail17trampoline_kernelINS0_14default_configENS1_27scan_by_key_config_selectorIidEEZZNS1_16scan_by_key_implILNS1_25lookback_scan_determinismE0ELb1ES3_N6thrust23THRUST_200600_302600_NS6detail15normal_iteratorINS9_10device_ptrIiEEEENSB_INSC_IdEEEESG_dNS9_4plusIvEENS9_8equal_toIvEEdEE10hipError_tPvRmT2_T3_T4_T5_mT6_T7_P12ihipStream_tbENKUlT_T0_E_clISt17integral_constantIbLb1EES10_IbLb0EEEEDaSW_SX_EUlSW_E_NS1_11comp_targetILNS1_3genE10ELNS1_11target_archE1200ELNS1_3gpuE4ELNS1_3repE0EEENS1_30default_config_static_selectorELNS0_4arch9wavefront6targetE0EEEvT1_.has_recursion, 0
	.set _ZN7rocprim17ROCPRIM_400000_NS6detail17trampoline_kernelINS0_14default_configENS1_27scan_by_key_config_selectorIidEEZZNS1_16scan_by_key_implILNS1_25lookback_scan_determinismE0ELb1ES3_N6thrust23THRUST_200600_302600_NS6detail15normal_iteratorINS9_10device_ptrIiEEEENSB_INSC_IdEEEESG_dNS9_4plusIvEENS9_8equal_toIvEEdEE10hipError_tPvRmT2_T3_T4_T5_mT6_T7_P12ihipStream_tbENKUlT_T0_E_clISt17integral_constantIbLb1EES10_IbLb0EEEEDaSW_SX_EUlSW_E_NS1_11comp_targetILNS1_3genE10ELNS1_11target_archE1200ELNS1_3gpuE4ELNS1_3repE0EEENS1_30default_config_static_selectorELNS0_4arch9wavefront6targetE0EEEvT1_.has_indirect_call, 0
	.section	.AMDGPU.csdata,"",@progbits
; Kernel info:
; codeLenInByte = 0
; TotalNumSgprs: 0
; NumVgprs: 0
; ScratchSize: 0
; MemoryBound: 0
; FloatMode: 240
; IeeeMode: 1
; LDSByteSize: 0 bytes/workgroup (compile time only)
; SGPRBlocks: 0
; VGPRBlocks: 0
; NumSGPRsForWavesPerEU: 1
; NumVGPRsForWavesPerEU: 1
; NamedBarCnt: 0
; Occupancy: 16
; WaveLimiterHint : 0
; COMPUTE_PGM_RSRC2:SCRATCH_EN: 0
; COMPUTE_PGM_RSRC2:USER_SGPR: 2
; COMPUTE_PGM_RSRC2:TRAP_HANDLER: 0
; COMPUTE_PGM_RSRC2:TGID_X_EN: 1
; COMPUTE_PGM_RSRC2:TGID_Y_EN: 0
; COMPUTE_PGM_RSRC2:TGID_Z_EN: 0
; COMPUTE_PGM_RSRC2:TIDIG_COMP_CNT: 0
	.section	.text._ZN7rocprim17ROCPRIM_400000_NS6detail17trampoline_kernelINS0_14default_configENS1_27scan_by_key_config_selectorIidEEZZNS1_16scan_by_key_implILNS1_25lookback_scan_determinismE0ELb1ES3_N6thrust23THRUST_200600_302600_NS6detail15normal_iteratorINS9_10device_ptrIiEEEENSB_INSC_IdEEEESG_dNS9_4plusIvEENS9_8equal_toIvEEdEE10hipError_tPvRmT2_T3_T4_T5_mT6_T7_P12ihipStream_tbENKUlT_T0_E_clISt17integral_constantIbLb1EES10_IbLb0EEEEDaSW_SX_EUlSW_E_NS1_11comp_targetILNS1_3genE9ELNS1_11target_archE1100ELNS1_3gpuE3ELNS1_3repE0EEENS1_30default_config_static_selectorELNS0_4arch9wavefront6targetE0EEEvT1_,"axG",@progbits,_ZN7rocprim17ROCPRIM_400000_NS6detail17trampoline_kernelINS0_14default_configENS1_27scan_by_key_config_selectorIidEEZZNS1_16scan_by_key_implILNS1_25lookback_scan_determinismE0ELb1ES3_N6thrust23THRUST_200600_302600_NS6detail15normal_iteratorINS9_10device_ptrIiEEEENSB_INSC_IdEEEESG_dNS9_4plusIvEENS9_8equal_toIvEEdEE10hipError_tPvRmT2_T3_T4_T5_mT6_T7_P12ihipStream_tbENKUlT_T0_E_clISt17integral_constantIbLb1EES10_IbLb0EEEEDaSW_SX_EUlSW_E_NS1_11comp_targetILNS1_3genE9ELNS1_11target_archE1100ELNS1_3gpuE3ELNS1_3repE0EEENS1_30default_config_static_selectorELNS0_4arch9wavefront6targetE0EEEvT1_,comdat
	.protected	_ZN7rocprim17ROCPRIM_400000_NS6detail17trampoline_kernelINS0_14default_configENS1_27scan_by_key_config_selectorIidEEZZNS1_16scan_by_key_implILNS1_25lookback_scan_determinismE0ELb1ES3_N6thrust23THRUST_200600_302600_NS6detail15normal_iteratorINS9_10device_ptrIiEEEENSB_INSC_IdEEEESG_dNS9_4plusIvEENS9_8equal_toIvEEdEE10hipError_tPvRmT2_T3_T4_T5_mT6_T7_P12ihipStream_tbENKUlT_T0_E_clISt17integral_constantIbLb1EES10_IbLb0EEEEDaSW_SX_EUlSW_E_NS1_11comp_targetILNS1_3genE9ELNS1_11target_archE1100ELNS1_3gpuE3ELNS1_3repE0EEENS1_30default_config_static_selectorELNS0_4arch9wavefront6targetE0EEEvT1_ ; -- Begin function _ZN7rocprim17ROCPRIM_400000_NS6detail17trampoline_kernelINS0_14default_configENS1_27scan_by_key_config_selectorIidEEZZNS1_16scan_by_key_implILNS1_25lookback_scan_determinismE0ELb1ES3_N6thrust23THRUST_200600_302600_NS6detail15normal_iteratorINS9_10device_ptrIiEEEENSB_INSC_IdEEEESG_dNS9_4plusIvEENS9_8equal_toIvEEdEE10hipError_tPvRmT2_T3_T4_T5_mT6_T7_P12ihipStream_tbENKUlT_T0_E_clISt17integral_constantIbLb1EES10_IbLb0EEEEDaSW_SX_EUlSW_E_NS1_11comp_targetILNS1_3genE9ELNS1_11target_archE1100ELNS1_3gpuE3ELNS1_3repE0EEENS1_30default_config_static_selectorELNS0_4arch9wavefront6targetE0EEEvT1_
	.globl	_ZN7rocprim17ROCPRIM_400000_NS6detail17trampoline_kernelINS0_14default_configENS1_27scan_by_key_config_selectorIidEEZZNS1_16scan_by_key_implILNS1_25lookback_scan_determinismE0ELb1ES3_N6thrust23THRUST_200600_302600_NS6detail15normal_iteratorINS9_10device_ptrIiEEEENSB_INSC_IdEEEESG_dNS9_4plusIvEENS9_8equal_toIvEEdEE10hipError_tPvRmT2_T3_T4_T5_mT6_T7_P12ihipStream_tbENKUlT_T0_E_clISt17integral_constantIbLb1EES10_IbLb0EEEEDaSW_SX_EUlSW_E_NS1_11comp_targetILNS1_3genE9ELNS1_11target_archE1100ELNS1_3gpuE3ELNS1_3repE0EEENS1_30default_config_static_selectorELNS0_4arch9wavefront6targetE0EEEvT1_
	.p2align	8
	.type	_ZN7rocprim17ROCPRIM_400000_NS6detail17trampoline_kernelINS0_14default_configENS1_27scan_by_key_config_selectorIidEEZZNS1_16scan_by_key_implILNS1_25lookback_scan_determinismE0ELb1ES3_N6thrust23THRUST_200600_302600_NS6detail15normal_iteratorINS9_10device_ptrIiEEEENSB_INSC_IdEEEESG_dNS9_4plusIvEENS9_8equal_toIvEEdEE10hipError_tPvRmT2_T3_T4_T5_mT6_T7_P12ihipStream_tbENKUlT_T0_E_clISt17integral_constantIbLb1EES10_IbLb0EEEEDaSW_SX_EUlSW_E_NS1_11comp_targetILNS1_3genE9ELNS1_11target_archE1100ELNS1_3gpuE3ELNS1_3repE0EEENS1_30default_config_static_selectorELNS0_4arch9wavefront6targetE0EEEvT1_,@function
_ZN7rocprim17ROCPRIM_400000_NS6detail17trampoline_kernelINS0_14default_configENS1_27scan_by_key_config_selectorIidEEZZNS1_16scan_by_key_implILNS1_25lookback_scan_determinismE0ELb1ES3_N6thrust23THRUST_200600_302600_NS6detail15normal_iteratorINS9_10device_ptrIiEEEENSB_INSC_IdEEEESG_dNS9_4plusIvEENS9_8equal_toIvEEdEE10hipError_tPvRmT2_T3_T4_T5_mT6_T7_P12ihipStream_tbENKUlT_T0_E_clISt17integral_constantIbLb1EES10_IbLb0EEEEDaSW_SX_EUlSW_E_NS1_11comp_targetILNS1_3genE9ELNS1_11target_archE1100ELNS1_3gpuE3ELNS1_3repE0EEENS1_30default_config_static_selectorELNS0_4arch9wavefront6targetE0EEEvT1_: ; @_ZN7rocprim17ROCPRIM_400000_NS6detail17trampoline_kernelINS0_14default_configENS1_27scan_by_key_config_selectorIidEEZZNS1_16scan_by_key_implILNS1_25lookback_scan_determinismE0ELb1ES3_N6thrust23THRUST_200600_302600_NS6detail15normal_iteratorINS9_10device_ptrIiEEEENSB_INSC_IdEEEESG_dNS9_4plusIvEENS9_8equal_toIvEEdEE10hipError_tPvRmT2_T3_T4_T5_mT6_T7_P12ihipStream_tbENKUlT_T0_E_clISt17integral_constantIbLb1EES10_IbLb0EEEEDaSW_SX_EUlSW_E_NS1_11comp_targetILNS1_3genE9ELNS1_11target_archE1100ELNS1_3gpuE3ELNS1_3repE0EEENS1_30default_config_static_selectorELNS0_4arch9wavefront6targetE0EEEvT1_
; %bb.0:
	.section	.rodata,"a",@progbits
	.p2align	6, 0x0
	.amdhsa_kernel _ZN7rocprim17ROCPRIM_400000_NS6detail17trampoline_kernelINS0_14default_configENS1_27scan_by_key_config_selectorIidEEZZNS1_16scan_by_key_implILNS1_25lookback_scan_determinismE0ELb1ES3_N6thrust23THRUST_200600_302600_NS6detail15normal_iteratorINS9_10device_ptrIiEEEENSB_INSC_IdEEEESG_dNS9_4plusIvEENS9_8equal_toIvEEdEE10hipError_tPvRmT2_T3_T4_T5_mT6_T7_P12ihipStream_tbENKUlT_T0_E_clISt17integral_constantIbLb1EES10_IbLb0EEEEDaSW_SX_EUlSW_E_NS1_11comp_targetILNS1_3genE9ELNS1_11target_archE1100ELNS1_3gpuE3ELNS1_3repE0EEENS1_30default_config_static_selectorELNS0_4arch9wavefront6targetE0EEEvT1_
		.amdhsa_group_segment_fixed_size 0
		.amdhsa_private_segment_fixed_size 0
		.amdhsa_kernarg_size 136
		.amdhsa_user_sgpr_count 2
		.amdhsa_user_sgpr_dispatch_ptr 0
		.amdhsa_user_sgpr_queue_ptr 0
		.amdhsa_user_sgpr_kernarg_segment_ptr 1
		.amdhsa_user_sgpr_dispatch_id 0
		.amdhsa_user_sgpr_kernarg_preload_length 0
		.amdhsa_user_sgpr_kernarg_preload_offset 0
		.amdhsa_user_sgpr_private_segment_size 0
		.amdhsa_wavefront_size32 1
		.amdhsa_uses_dynamic_stack 0
		.amdhsa_enable_private_segment 0
		.amdhsa_system_sgpr_workgroup_id_x 1
		.amdhsa_system_sgpr_workgroup_id_y 0
		.amdhsa_system_sgpr_workgroup_id_z 0
		.amdhsa_system_sgpr_workgroup_info 0
		.amdhsa_system_vgpr_workitem_id 0
		.amdhsa_next_free_vgpr 1
		.amdhsa_next_free_sgpr 1
		.amdhsa_named_barrier_count 0
		.amdhsa_reserve_vcc 0
		.amdhsa_float_round_mode_32 0
		.amdhsa_float_round_mode_16_64 0
		.amdhsa_float_denorm_mode_32 3
		.amdhsa_float_denorm_mode_16_64 3
		.amdhsa_fp16_overflow 0
		.amdhsa_memory_ordered 1
		.amdhsa_forward_progress 1
		.amdhsa_inst_pref_size 0
		.amdhsa_round_robin_scheduling 0
		.amdhsa_exception_fp_ieee_invalid_op 0
		.amdhsa_exception_fp_denorm_src 0
		.amdhsa_exception_fp_ieee_div_zero 0
		.amdhsa_exception_fp_ieee_overflow 0
		.amdhsa_exception_fp_ieee_underflow 0
		.amdhsa_exception_fp_ieee_inexact 0
		.amdhsa_exception_int_div_zero 0
	.end_amdhsa_kernel
	.section	.text._ZN7rocprim17ROCPRIM_400000_NS6detail17trampoline_kernelINS0_14default_configENS1_27scan_by_key_config_selectorIidEEZZNS1_16scan_by_key_implILNS1_25lookback_scan_determinismE0ELb1ES3_N6thrust23THRUST_200600_302600_NS6detail15normal_iteratorINS9_10device_ptrIiEEEENSB_INSC_IdEEEESG_dNS9_4plusIvEENS9_8equal_toIvEEdEE10hipError_tPvRmT2_T3_T4_T5_mT6_T7_P12ihipStream_tbENKUlT_T0_E_clISt17integral_constantIbLb1EES10_IbLb0EEEEDaSW_SX_EUlSW_E_NS1_11comp_targetILNS1_3genE9ELNS1_11target_archE1100ELNS1_3gpuE3ELNS1_3repE0EEENS1_30default_config_static_selectorELNS0_4arch9wavefront6targetE0EEEvT1_,"axG",@progbits,_ZN7rocprim17ROCPRIM_400000_NS6detail17trampoline_kernelINS0_14default_configENS1_27scan_by_key_config_selectorIidEEZZNS1_16scan_by_key_implILNS1_25lookback_scan_determinismE0ELb1ES3_N6thrust23THRUST_200600_302600_NS6detail15normal_iteratorINS9_10device_ptrIiEEEENSB_INSC_IdEEEESG_dNS9_4plusIvEENS9_8equal_toIvEEdEE10hipError_tPvRmT2_T3_T4_T5_mT6_T7_P12ihipStream_tbENKUlT_T0_E_clISt17integral_constantIbLb1EES10_IbLb0EEEEDaSW_SX_EUlSW_E_NS1_11comp_targetILNS1_3genE9ELNS1_11target_archE1100ELNS1_3gpuE3ELNS1_3repE0EEENS1_30default_config_static_selectorELNS0_4arch9wavefront6targetE0EEEvT1_,comdat
.Lfunc_end1416:
	.size	_ZN7rocprim17ROCPRIM_400000_NS6detail17trampoline_kernelINS0_14default_configENS1_27scan_by_key_config_selectorIidEEZZNS1_16scan_by_key_implILNS1_25lookback_scan_determinismE0ELb1ES3_N6thrust23THRUST_200600_302600_NS6detail15normal_iteratorINS9_10device_ptrIiEEEENSB_INSC_IdEEEESG_dNS9_4plusIvEENS9_8equal_toIvEEdEE10hipError_tPvRmT2_T3_T4_T5_mT6_T7_P12ihipStream_tbENKUlT_T0_E_clISt17integral_constantIbLb1EES10_IbLb0EEEEDaSW_SX_EUlSW_E_NS1_11comp_targetILNS1_3genE9ELNS1_11target_archE1100ELNS1_3gpuE3ELNS1_3repE0EEENS1_30default_config_static_selectorELNS0_4arch9wavefront6targetE0EEEvT1_, .Lfunc_end1416-_ZN7rocprim17ROCPRIM_400000_NS6detail17trampoline_kernelINS0_14default_configENS1_27scan_by_key_config_selectorIidEEZZNS1_16scan_by_key_implILNS1_25lookback_scan_determinismE0ELb1ES3_N6thrust23THRUST_200600_302600_NS6detail15normal_iteratorINS9_10device_ptrIiEEEENSB_INSC_IdEEEESG_dNS9_4plusIvEENS9_8equal_toIvEEdEE10hipError_tPvRmT2_T3_T4_T5_mT6_T7_P12ihipStream_tbENKUlT_T0_E_clISt17integral_constantIbLb1EES10_IbLb0EEEEDaSW_SX_EUlSW_E_NS1_11comp_targetILNS1_3genE9ELNS1_11target_archE1100ELNS1_3gpuE3ELNS1_3repE0EEENS1_30default_config_static_selectorELNS0_4arch9wavefront6targetE0EEEvT1_
                                        ; -- End function
	.set _ZN7rocprim17ROCPRIM_400000_NS6detail17trampoline_kernelINS0_14default_configENS1_27scan_by_key_config_selectorIidEEZZNS1_16scan_by_key_implILNS1_25lookback_scan_determinismE0ELb1ES3_N6thrust23THRUST_200600_302600_NS6detail15normal_iteratorINS9_10device_ptrIiEEEENSB_INSC_IdEEEESG_dNS9_4plusIvEENS9_8equal_toIvEEdEE10hipError_tPvRmT2_T3_T4_T5_mT6_T7_P12ihipStream_tbENKUlT_T0_E_clISt17integral_constantIbLb1EES10_IbLb0EEEEDaSW_SX_EUlSW_E_NS1_11comp_targetILNS1_3genE9ELNS1_11target_archE1100ELNS1_3gpuE3ELNS1_3repE0EEENS1_30default_config_static_selectorELNS0_4arch9wavefront6targetE0EEEvT1_.num_vgpr, 0
	.set _ZN7rocprim17ROCPRIM_400000_NS6detail17trampoline_kernelINS0_14default_configENS1_27scan_by_key_config_selectorIidEEZZNS1_16scan_by_key_implILNS1_25lookback_scan_determinismE0ELb1ES3_N6thrust23THRUST_200600_302600_NS6detail15normal_iteratorINS9_10device_ptrIiEEEENSB_INSC_IdEEEESG_dNS9_4plusIvEENS9_8equal_toIvEEdEE10hipError_tPvRmT2_T3_T4_T5_mT6_T7_P12ihipStream_tbENKUlT_T0_E_clISt17integral_constantIbLb1EES10_IbLb0EEEEDaSW_SX_EUlSW_E_NS1_11comp_targetILNS1_3genE9ELNS1_11target_archE1100ELNS1_3gpuE3ELNS1_3repE0EEENS1_30default_config_static_selectorELNS0_4arch9wavefront6targetE0EEEvT1_.num_agpr, 0
	.set _ZN7rocprim17ROCPRIM_400000_NS6detail17trampoline_kernelINS0_14default_configENS1_27scan_by_key_config_selectorIidEEZZNS1_16scan_by_key_implILNS1_25lookback_scan_determinismE0ELb1ES3_N6thrust23THRUST_200600_302600_NS6detail15normal_iteratorINS9_10device_ptrIiEEEENSB_INSC_IdEEEESG_dNS9_4plusIvEENS9_8equal_toIvEEdEE10hipError_tPvRmT2_T3_T4_T5_mT6_T7_P12ihipStream_tbENKUlT_T0_E_clISt17integral_constantIbLb1EES10_IbLb0EEEEDaSW_SX_EUlSW_E_NS1_11comp_targetILNS1_3genE9ELNS1_11target_archE1100ELNS1_3gpuE3ELNS1_3repE0EEENS1_30default_config_static_selectorELNS0_4arch9wavefront6targetE0EEEvT1_.numbered_sgpr, 0
	.set _ZN7rocprim17ROCPRIM_400000_NS6detail17trampoline_kernelINS0_14default_configENS1_27scan_by_key_config_selectorIidEEZZNS1_16scan_by_key_implILNS1_25lookback_scan_determinismE0ELb1ES3_N6thrust23THRUST_200600_302600_NS6detail15normal_iteratorINS9_10device_ptrIiEEEENSB_INSC_IdEEEESG_dNS9_4plusIvEENS9_8equal_toIvEEdEE10hipError_tPvRmT2_T3_T4_T5_mT6_T7_P12ihipStream_tbENKUlT_T0_E_clISt17integral_constantIbLb1EES10_IbLb0EEEEDaSW_SX_EUlSW_E_NS1_11comp_targetILNS1_3genE9ELNS1_11target_archE1100ELNS1_3gpuE3ELNS1_3repE0EEENS1_30default_config_static_selectorELNS0_4arch9wavefront6targetE0EEEvT1_.num_named_barrier, 0
	.set _ZN7rocprim17ROCPRIM_400000_NS6detail17trampoline_kernelINS0_14default_configENS1_27scan_by_key_config_selectorIidEEZZNS1_16scan_by_key_implILNS1_25lookback_scan_determinismE0ELb1ES3_N6thrust23THRUST_200600_302600_NS6detail15normal_iteratorINS9_10device_ptrIiEEEENSB_INSC_IdEEEESG_dNS9_4plusIvEENS9_8equal_toIvEEdEE10hipError_tPvRmT2_T3_T4_T5_mT6_T7_P12ihipStream_tbENKUlT_T0_E_clISt17integral_constantIbLb1EES10_IbLb0EEEEDaSW_SX_EUlSW_E_NS1_11comp_targetILNS1_3genE9ELNS1_11target_archE1100ELNS1_3gpuE3ELNS1_3repE0EEENS1_30default_config_static_selectorELNS0_4arch9wavefront6targetE0EEEvT1_.private_seg_size, 0
	.set _ZN7rocprim17ROCPRIM_400000_NS6detail17trampoline_kernelINS0_14default_configENS1_27scan_by_key_config_selectorIidEEZZNS1_16scan_by_key_implILNS1_25lookback_scan_determinismE0ELb1ES3_N6thrust23THRUST_200600_302600_NS6detail15normal_iteratorINS9_10device_ptrIiEEEENSB_INSC_IdEEEESG_dNS9_4plusIvEENS9_8equal_toIvEEdEE10hipError_tPvRmT2_T3_T4_T5_mT6_T7_P12ihipStream_tbENKUlT_T0_E_clISt17integral_constantIbLb1EES10_IbLb0EEEEDaSW_SX_EUlSW_E_NS1_11comp_targetILNS1_3genE9ELNS1_11target_archE1100ELNS1_3gpuE3ELNS1_3repE0EEENS1_30default_config_static_selectorELNS0_4arch9wavefront6targetE0EEEvT1_.uses_vcc, 0
	.set _ZN7rocprim17ROCPRIM_400000_NS6detail17trampoline_kernelINS0_14default_configENS1_27scan_by_key_config_selectorIidEEZZNS1_16scan_by_key_implILNS1_25lookback_scan_determinismE0ELb1ES3_N6thrust23THRUST_200600_302600_NS6detail15normal_iteratorINS9_10device_ptrIiEEEENSB_INSC_IdEEEESG_dNS9_4plusIvEENS9_8equal_toIvEEdEE10hipError_tPvRmT2_T3_T4_T5_mT6_T7_P12ihipStream_tbENKUlT_T0_E_clISt17integral_constantIbLb1EES10_IbLb0EEEEDaSW_SX_EUlSW_E_NS1_11comp_targetILNS1_3genE9ELNS1_11target_archE1100ELNS1_3gpuE3ELNS1_3repE0EEENS1_30default_config_static_selectorELNS0_4arch9wavefront6targetE0EEEvT1_.uses_flat_scratch, 0
	.set _ZN7rocprim17ROCPRIM_400000_NS6detail17trampoline_kernelINS0_14default_configENS1_27scan_by_key_config_selectorIidEEZZNS1_16scan_by_key_implILNS1_25lookback_scan_determinismE0ELb1ES3_N6thrust23THRUST_200600_302600_NS6detail15normal_iteratorINS9_10device_ptrIiEEEENSB_INSC_IdEEEESG_dNS9_4plusIvEENS9_8equal_toIvEEdEE10hipError_tPvRmT2_T3_T4_T5_mT6_T7_P12ihipStream_tbENKUlT_T0_E_clISt17integral_constantIbLb1EES10_IbLb0EEEEDaSW_SX_EUlSW_E_NS1_11comp_targetILNS1_3genE9ELNS1_11target_archE1100ELNS1_3gpuE3ELNS1_3repE0EEENS1_30default_config_static_selectorELNS0_4arch9wavefront6targetE0EEEvT1_.has_dyn_sized_stack, 0
	.set _ZN7rocprim17ROCPRIM_400000_NS6detail17trampoline_kernelINS0_14default_configENS1_27scan_by_key_config_selectorIidEEZZNS1_16scan_by_key_implILNS1_25lookback_scan_determinismE0ELb1ES3_N6thrust23THRUST_200600_302600_NS6detail15normal_iteratorINS9_10device_ptrIiEEEENSB_INSC_IdEEEESG_dNS9_4plusIvEENS9_8equal_toIvEEdEE10hipError_tPvRmT2_T3_T4_T5_mT6_T7_P12ihipStream_tbENKUlT_T0_E_clISt17integral_constantIbLb1EES10_IbLb0EEEEDaSW_SX_EUlSW_E_NS1_11comp_targetILNS1_3genE9ELNS1_11target_archE1100ELNS1_3gpuE3ELNS1_3repE0EEENS1_30default_config_static_selectorELNS0_4arch9wavefront6targetE0EEEvT1_.has_recursion, 0
	.set _ZN7rocprim17ROCPRIM_400000_NS6detail17trampoline_kernelINS0_14default_configENS1_27scan_by_key_config_selectorIidEEZZNS1_16scan_by_key_implILNS1_25lookback_scan_determinismE0ELb1ES3_N6thrust23THRUST_200600_302600_NS6detail15normal_iteratorINS9_10device_ptrIiEEEENSB_INSC_IdEEEESG_dNS9_4plusIvEENS9_8equal_toIvEEdEE10hipError_tPvRmT2_T3_T4_T5_mT6_T7_P12ihipStream_tbENKUlT_T0_E_clISt17integral_constantIbLb1EES10_IbLb0EEEEDaSW_SX_EUlSW_E_NS1_11comp_targetILNS1_3genE9ELNS1_11target_archE1100ELNS1_3gpuE3ELNS1_3repE0EEENS1_30default_config_static_selectorELNS0_4arch9wavefront6targetE0EEEvT1_.has_indirect_call, 0
	.section	.AMDGPU.csdata,"",@progbits
; Kernel info:
; codeLenInByte = 0
; TotalNumSgprs: 0
; NumVgprs: 0
; ScratchSize: 0
; MemoryBound: 0
; FloatMode: 240
; IeeeMode: 1
; LDSByteSize: 0 bytes/workgroup (compile time only)
; SGPRBlocks: 0
; VGPRBlocks: 0
; NumSGPRsForWavesPerEU: 1
; NumVGPRsForWavesPerEU: 1
; NamedBarCnt: 0
; Occupancy: 16
; WaveLimiterHint : 0
; COMPUTE_PGM_RSRC2:SCRATCH_EN: 0
; COMPUTE_PGM_RSRC2:USER_SGPR: 2
; COMPUTE_PGM_RSRC2:TRAP_HANDLER: 0
; COMPUTE_PGM_RSRC2:TGID_X_EN: 1
; COMPUTE_PGM_RSRC2:TGID_Y_EN: 0
; COMPUTE_PGM_RSRC2:TGID_Z_EN: 0
; COMPUTE_PGM_RSRC2:TIDIG_COMP_CNT: 0
	.section	.text._ZN7rocprim17ROCPRIM_400000_NS6detail17trampoline_kernelINS0_14default_configENS1_27scan_by_key_config_selectorIidEEZZNS1_16scan_by_key_implILNS1_25lookback_scan_determinismE0ELb1ES3_N6thrust23THRUST_200600_302600_NS6detail15normal_iteratorINS9_10device_ptrIiEEEENSB_INSC_IdEEEESG_dNS9_4plusIvEENS9_8equal_toIvEEdEE10hipError_tPvRmT2_T3_T4_T5_mT6_T7_P12ihipStream_tbENKUlT_T0_E_clISt17integral_constantIbLb1EES10_IbLb0EEEEDaSW_SX_EUlSW_E_NS1_11comp_targetILNS1_3genE8ELNS1_11target_archE1030ELNS1_3gpuE2ELNS1_3repE0EEENS1_30default_config_static_selectorELNS0_4arch9wavefront6targetE0EEEvT1_,"axG",@progbits,_ZN7rocprim17ROCPRIM_400000_NS6detail17trampoline_kernelINS0_14default_configENS1_27scan_by_key_config_selectorIidEEZZNS1_16scan_by_key_implILNS1_25lookback_scan_determinismE0ELb1ES3_N6thrust23THRUST_200600_302600_NS6detail15normal_iteratorINS9_10device_ptrIiEEEENSB_INSC_IdEEEESG_dNS9_4plusIvEENS9_8equal_toIvEEdEE10hipError_tPvRmT2_T3_T4_T5_mT6_T7_P12ihipStream_tbENKUlT_T0_E_clISt17integral_constantIbLb1EES10_IbLb0EEEEDaSW_SX_EUlSW_E_NS1_11comp_targetILNS1_3genE8ELNS1_11target_archE1030ELNS1_3gpuE2ELNS1_3repE0EEENS1_30default_config_static_selectorELNS0_4arch9wavefront6targetE0EEEvT1_,comdat
	.protected	_ZN7rocprim17ROCPRIM_400000_NS6detail17trampoline_kernelINS0_14default_configENS1_27scan_by_key_config_selectorIidEEZZNS1_16scan_by_key_implILNS1_25lookback_scan_determinismE0ELb1ES3_N6thrust23THRUST_200600_302600_NS6detail15normal_iteratorINS9_10device_ptrIiEEEENSB_INSC_IdEEEESG_dNS9_4plusIvEENS9_8equal_toIvEEdEE10hipError_tPvRmT2_T3_T4_T5_mT6_T7_P12ihipStream_tbENKUlT_T0_E_clISt17integral_constantIbLb1EES10_IbLb0EEEEDaSW_SX_EUlSW_E_NS1_11comp_targetILNS1_3genE8ELNS1_11target_archE1030ELNS1_3gpuE2ELNS1_3repE0EEENS1_30default_config_static_selectorELNS0_4arch9wavefront6targetE0EEEvT1_ ; -- Begin function _ZN7rocprim17ROCPRIM_400000_NS6detail17trampoline_kernelINS0_14default_configENS1_27scan_by_key_config_selectorIidEEZZNS1_16scan_by_key_implILNS1_25lookback_scan_determinismE0ELb1ES3_N6thrust23THRUST_200600_302600_NS6detail15normal_iteratorINS9_10device_ptrIiEEEENSB_INSC_IdEEEESG_dNS9_4plusIvEENS9_8equal_toIvEEdEE10hipError_tPvRmT2_T3_T4_T5_mT6_T7_P12ihipStream_tbENKUlT_T0_E_clISt17integral_constantIbLb1EES10_IbLb0EEEEDaSW_SX_EUlSW_E_NS1_11comp_targetILNS1_3genE8ELNS1_11target_archE1030ELNS1_3gpuE2ELNS1_3repE0EEENS1_30default_config_static_selectorELNS0_4arch9wavefront6targetE0EEEvT1_
	.globl	_ZN7rocprim17ROCPRIM_400000_NS6detail17trampoline_kernelINS0_14default_configENS1_27scan_by_key_config_selectorIidEEZZNS1_16scan_by_key_implILNS1_25lookback_scan_determinismE0ELb1ES3_N6thrust23THRUST_200600_302600_NS6detail15normal_iteratorINS9_10device_ptrIiEEEENSB_INSC_IdEEEESG_dNS9_4plusIvEENS9_8equal_toIvEEdEE10hipError_tPvRmT2_T3_T4_T5_mT6_T7_P12ihipStream_tbENKUlT_T0_E_clISt17integral_constantIbLb1EES10_IbLb0EEEEDaSW_SX_EUlSW_E_NS1_11comp_targetILNS1_3genE8ELNS1_11target_archE1030ELNS1_3gpuE2ELNS1_3repE0EEENS1_30default_config_static_selectorELNS0_4arch9wavefront6targetE0EEEvT1_
	.p2align	8
	.type	_ZN7rocprim17ROCPRIM_400000_NS6detail17trampoline_kernelINS0_14default_configENS1_27scan_by_key_config_selectorIidEEZZNS1_16scan_by_key_implILNS1_25lookback_scan_determinismE0ELb1ES3_N6thrust23THRUST_200600_302600_NS6detail15normal_iteratorINS9_10device_ptrIiEEEENSB_INSC_IdEEEESG_dNS9_4plusIvEENS9_8equal_toIvEEdEE10hipError_tPvRmT2_T3_T4_T5_mT6_T7_P12ihipStream_tbENKUlT_T0_E_clISt17integral_constantIbLb1EES10_IbLb0EEEEDaSW_SX_EUlSW_E_NS1_11comp_targetILNS1_3genE8ELNS1_11target_archE1030ELNS1_3gpuE2ELNS1_3repE0EEENS1_30default_config_static_selectorELNS0_4arch9wavefront6targetE0EEEvT1_,@function
_ZN7rocprim17ROCPRIM_400000_NS6detail17trampoline_kernelINS0_14default_configENS1_27scan_by_key_config_selectorIidEEZZNS1_16scan_by_key_implILNS1_25lookback_scan_determinismE0ELb1ES3_N6thrust23THRUST_200600_302600_NS6detail15normal_iteratorINS9_10device_ptrIiEEEENSB_INSC_IdEEEESG_dNS9_4plusIvEENS9_8equal_toIvEEdEE10hipError_tPvRmT2_T3_T4_T5_mT6_T7_P12ihipStream_tbENKUlT_T0_E_clISt17integral_constantIbLb1EES10_IbLb0EEEEDaSW_SX_EUlSW_E_NS1_11comp_targetILNS1_3genE8ELNS1_11target_archE1030ELNS1_3gpuE2ELNS1_3repE0EEENS1_30default_config_static_selectorELNS0_4arch9wavefront6targetE0EEEvT1_: ; @_ZN7rocprim17ROCPRIM_400000_NS6detail17trampoline_kernelINS0_14default_configENS1_27scan_by_key_config_selectorIidEEZZNS1_16scan_by_key_implILNS1_25lookback_scan_determinismE0ELb1ES3_N6thrust23THRUST_200600_302600_NS6detail15normal_iteratorINS9_10device_ptrIiEEEENSB_INSC_IdEEEESG_dNS9_4plusIvEENS9_8equal_toIvEEdEE10hipError_tPvRmT2_T3_T4_T5_mT6_T7_P12ihipStream_tbENKUlT_T0_E_clISt17integral_constantIbLb1EES10_IbLb0EEEEDaSW_SX_EUlSW_E_NS1_11comp_targetILNS1_3genE8ELNS1_11target_archE1030ELNS1_3gpuE2ELNS1_3repE0EEENS1_30default_config_static_selectorELNS0_4arch9wavefront6targetE0EEEvT1_
; %bb.0:
	.section	.rodata,"a",@progbits
	.p2align	6, 0x0
	.amdhsa_kernel _ZN7rocprim17ROCPRIM_400000_NS6detail17trampoline_kernelINS0_14default_configENS1_27scan_by_key_config_selectorIidEEZZNS1_16scan_by_key_implILNS1_25lookback_scan_determinismE0ELb1ES3_N6thrust23THRUST_200600_302600_NS6detail15normal_iteratorINS9_10device_ptrIiEEEENSB_INSC_IdEEEESG_dNS9_4plusIvEENS9_8equal_toIvEEdEE10hipError_tPvRmT2_T3_T4_T5_mT6_T7_P12ihipStream_tbENKUlT_T0_E_clISt17integral_constantIbLb1EES10_IbLb0EEEEDaSW_SX_EUlSW_E_NS1_11comp_targetILNS1_3genE8ELNS1_11target_archE1030ELNS1_3gpuE2ELNS1_3repE0EEENS1_30default_config_static_selectorELNS0_4arch9wavefront6targetE0EEEvT1_
		.amdhsa_group_segment_fixed_size 0
		.amdhsa_private_segment_fixed_size 0
		.amdhsa_kernarg_size 136
		.amdhsa_user_sgpr_count 2
		.amdhsa_user_sgpr_dispatch_ptr 0
		.amdhsa_user_sgpr_queue_ptr 0
		.amdhsa_user_sgpr_kernarg_segment_ptr 1
		.amdhsa_user_sgpr_dispatch_id 0
		.amdhsa_user_sgpr_kernarg_preload_length 0
		.amdhsa_user_sgpr_kernarg_preload_offset 0
		.amdhsa_user_sgpr_private_segment_size 0
		.amdhsa_wavefront_size32 1
		.amdhsa_uses_dynamic_stack 0
		.amdhsa_enable_private_segment 0
		.amdhsa_system_sgpr_workgroup_id_x 1
		.amdhsa_system_sgpr_workgroup_id_y 0
		.amdhsa_system_sgpr_workgroup_id_z 0
		.amdhsa_system_sgpr_workgroup_info 0
		.amdhsa_system_vgpr_workitem_id 0
		.amdhsa_next_free_vgpr 1
		.amdhsa_next_free_sgpr 1
		.amdhsa_named_barrier_count 0
		.amdhsa_reserve_vcc 0
		.amdhsa_float_round_mode_32 0
		.amdhsa_float_round_mode_16_64 0
		.amdhsa_float_denorm_mode_32 3
		.amdhsa_float_denorm_mode_16_64 3
		.amdhsa_fp16_overflow 0
		.amdhsa_memory_ordered 1
		.amdhsa_forward_progress 1
		.amdhsa_inst_pref_size 0
		.amdhsa_round_robin_scheduling 0
		.amdhsa_exception_fp_ieee_invalid_op 0
		.amdhsa_exception_fp_denorm_src 0
		.amdhsa_exception_fp_ieee_div_zero 0
		.amdhsa_exception_fp_ieee_overflow 0
		.amdhsa_exception_fp_ieee_underflow 0
		.amdhsa_exception_fp_ieee_inexact 0
		.amdhsa_exception_int_div_zero 0
	.end_amdhsa_kernel
	.section	.text._ZN7rocprim17ROCPRIM_400000_NS6detail17trampoline_kernelINS0_14default_configENS1_27scan_by_key_config_selectorIidEEZZNS1_16scan_by_key_implILNS1_25lookback_scan_determinismE0ELb1ES3_N6thrust23THRUST_200600_302600_NS6detail15normal_iteratorINS9_10device_ptrIiEEEENSB_INSC_IdEEEESG_dNS9_4plusIvEENS9_8equal_toIvEEdEE10hipError_tPvRmT2_T3_T4_T5_mT6_T7_P12ihipStream_tbENKUlT_T0_E_clISt17integral_constantIbLb1EES10_IbLb0EEEEDaSW_SX_EUlSW_E_NS1_11comp_targetILNS1_3genE8ELNS1_11target_archE1030ELNS1_3gpuE2ELNS1_3repE0EEENS1_30default_config_static_selectorELNS0_4arch9wavefront6targetE0EEEvT1_,"axG",@progbits,_ZN7rocprim17ROCPRIM_400000_NS6detail17trampoline_kernelINS0_14default_configENS1_27scan_by_key_config_selectorIidEEZZNS1_16scan_by_key_implILNS1_25lookback_scan_determinismE0ELb1ES3_N6thrust23THRUST_200600_302600_NS6detail15normal_iteratorINS9_10device_ptrIiEEEENSB_INSC_IdEEEESG_dNS9_4plusIvEENS9_8equal_toIvEEdEE10hipError_tPvRmT2_T3_T4_T5_mT6_T7_P12ihipStream_tbENKUlT_T0_E_clISt17integral_constantIbLb1EES10_IbLb0EEEEDaSW_SX_EUlSW_E_NS1_11comp_targetILNS1_3genE8ELNS1_11target_archE1030ELNS1_3gpuE2ELNS1_3repE0EEENS1_30default_config_static_selectorELNS0_4arch9wavefront6targetE0EEEvT1_,comdat
.Lfunc_end1417:
	.size	_ZN7rocprim17ROCPRIM_400000_NS6detail17trampoline_kernelINS0_14default_configENS1_27scan_by_key_config_selectorIidEEZZNS1_16scan_by_key_implILNS1_25lookback_scan_determinismE0ELb1ES3_N6thrust23THRUST_200600_302600_NS6detail15normal_iteratorINS9_10device_ptrIiEEEENSB_INSC_IdEEEESG_dNS9_4plusIvEENS9_8equal_toIvEEdEE10hipError_tPvRmT2_T3_T4_T5_mT6_T7_P12ihipStream_tbENKUlT_T0_E_clISt17integral_constantIbLb1EES10_IbLb0EEEEDaSW_SX_EUlSW_E_NS1_11comp_targetILNS1_3genE8ELNS1_11target_archE1030ELNS1_3gpuE2ELNS1_3repE0EEENS1_30default_config_static_selectorELNS0_4arch9wavefront6targetE0EEEvT1_, .Lfunc_end1417-_ZN7rocprim17ROCPRIM_400000_NS6detail17trampoline_kernelINS0_14default_configENS1_27scan_by_key_config_selectorIidEEZZNS1_16scan_by_key_implILNS1_25lookback_scan_determinismE0ELb1ES3_N6thrust23THRUST_200600_302600_NS6detail15normal_iteratorINS9_10device_ptrIiEEEENSB_INSC_IdEEEESG_dNS9_4plusIvEENS9_8equal_toIvEEdEE10hipError_tPvRmT2_T3_T4_T5_mT6_T7_P12ihipStream_tbENKUlT_T0_E_clISt17integral_constantIbLb1EES10_IbLb0EEEEDaSW_SX_EUlSW_E_NS1_11comp_targetILNS1_3genE8ELNS1_11target_archE1030ELNS1_3gpuE2ELNS1_3repE0EEENS1_30default_config_static_selectorELNS0_4arch9wavefront6targetE0EEEvT1_
                                        ; -- End function
	.set _ZN7rocprim17ROCPRIM_400000_NS6detail17trampoline_kernelINS0_14default_configENS1_27scan_by_key_config_selectorIidEEZZNS1_16scan_by_key_implILNS1_25lookback_scan_determinismE0ELb1ES3_N6thrust23THRUST_200600_302600_NS6detail15normal_iteratorINS9_10device_ptrIiEEEENSB_INSC_IdEEEESG_dNS9_4plusIvEENS9_8equal_toIvEEdEE10hipError_tPvRmT2_T3_T4_T5_mT6_T7_P12ihipStream_tbENKUlT_T0_E_clISt17integral_constantIbLb1EES10_IbLb0EEEEDaSW_SX_EUlSW_E_NS1_11comp_targetILNS1_3genE8ELNS1_11target_archE1030ELNS1_3gpuE2ELNS1_3repE0EEENS1_30default_config_static_selectorELNS0_4arch9wavefront6targetE0EEEvT1_.num_vgpr, 0
	.set _ZN7rocprim17ROCPRIM_400000_NS6detail17trampoline_kernelINS0_14default_configENS1_27scan_by_key_config_selectorIidEEZZNS1_16scan_by_key_implILNS1_25lookback_scan_determinismE0ELb1ES3_N6thrust23THRUST_200600_302600_NS6detail15normal_iteratorINS9_10device_ptrIiEEEENSB_INSC_IdEEEESG_dNS9_4plusIvEENS9_8equal_toIvEEdEE10hipError_tPvRmT2_T3_T4_T5_mT6_T7_P12ihipStream_tbENKUlT_T0_E_clISt17integral_constantIbLb1EES10_IbLb0EEEEDaSW_SX_EUlSW_E_NS1_11comp_targetILNS1_3genE8ELNS1_11target_archE1030ELNS1_3gpuE2ELNS1_3repE0EEENS1_30default_config_static_selectorELNS0_4arch9wavefront6targetE0EEEvT1_.num_agpr, 0
	.set _ZN7rocprim17ROCPRIM_400000_NS6detail17trampoline_kernelINS0_14default_configENS1_27scan_by_key_config_selectorIidEEZZNS1_16scan_by_key_implILNS1_25lookback_scan_determinismE0ELb1ES3_N6thrust23THRUST_200600_302600_NS6detail15normal_iteratorINS9_10device_ptrIiEEEENSB_INSC_IdEEEESG_dNS9_4plusIvEENS9_8equal_toIvEEdEE10hipError_tPvRmT2_T3_T4_T5_mT6_T7_P12ihipStream_tbENKUlT_T0_E_clISt17integral_constantIbLb1EES10_IbLb0EEEEDaSW_SX_EUlSW_E_NS1_11comp_targetILNS1_3genE8ELNS1_11target_archE1030ELNS1_3gpuE2ELNS1_3repE0EEENS1_30default_config_static_selectorELNS0_4arch9wavefront6targetE0EEEvT1_.numbered_sgpr, 0
	.set _ZN7rocprim17ROCPRIM_400000_NS6detail17trampoline_kernelINS0_14default_configENS1_27scan_by_key_config_selectorIidEEZZNS1_16scan_by_key_implILNS1_25lookback_scan_determinismE0ELb1ES3_N6thrust23THRUST_200600_302600_NS6detail15normal_iteratorINS9_10device_ptrIiEEEENSB_INSC_IdEEEESG_dNS9_4plusIvEENS9_8equal_toIvEEdEE10hipError_tPvRmT2_T3_T4_T5_mT6_T7_P12ihipStream_tbENKUlT_T0_E_clISt17integral_constantIbLb1EES10_IbLb0EEEEDaSW_SX_EUlSW_E_NS1_11comp_targetILNS1_3genE8ELNS1_11target_archE1030ELNS1_3gpuE2ELNS1_3repE0EEENS1_30default_config_static_selectorELNS0_4arch9wavefront6targetE0EEEvT1_.num_named_barrier, 0
	.set _ZN7rocprim17ROCPRIM_400000_NS6detail17trampoline_kernelINS0_14default_configENS1_27scan_by_key_config_selectorIidEEZZNS1_16scan_by_key_implILNS1_25lookback_scan_determinismE0ELb1ES3_N6thrust23THRUST_200600_302600_NS6detail15normal_iteratorINS9_10device_ptrIiEEEENSB_INSC_IdEEEESG_dNS9_4plusIvEENS9_8equal_toIvEEdEE10hipError_tPvRmT2_T3_T4_T5_mT6_T7_P12ihipStream_tbENKUlT_T0_E_clISt17integral_constantIbLb1EES10_IbLb0EEEEDaSW_SX_EUlSW_E_NS1_11comp_targetILNS1_3genE8ELNS1_11target_archE1030ELNS1_3gpuE2ELNS1_3repE0EEENS1_30default_config_static_selectorELNS0_4arch9wavefront6targetE0EEEvT1_.private_seg_size, 0
	.set _ZN7rocprim17ROCPRIM_400000_NS6detail17trampoline_kernelINS0_14default_configENS1_27scan_by_key_config_selectorIidEEZZNS1_16scan_by_key_implILNS1_25lookback_scan_determinismE0ELb1ES3_N6thrust23THRUST_200600_302600_NS6detail15normal_iteratorINS9_10device_ptrIiEEEENSB_INSC_IdEEEESG_dNS9_4plusIvEENS9_8equal_toIvEEdEE10hipError_tPvRmT2_T3_T4_T5_mT6_T7_P12ihipStream_tbENKUlT_T0_E_clISt17integral_constantIbLb1EES10_IbLb0EEEEDaSW_SX_EUlSW_E_NS1_11comp_targetILNS1_3genE8ELNS1_11target_archE1030ELNS1_3gpuE2ELNS1_3repE0EEENS1_30default_config_static_selectorELNS0_4arch9wavefront6targetE0EEEvT1_.uses_vcc, 0
	.set _ZN7rocprim17ROCPRIM_400000_NS6detail17trampoline_kernelINS0_14default_configENS1_27scan_by_key_config_selectorIidEEZZNS1_16scan_by_key_implILNS1_25lookback_scan_determinismE0ELb1ES3_N6thrust23THRUST_200600_302600_NS6detail15normal_iteratorINS9_10device_ptrIiEEEENSB_INSC_IdEEEESG_dNS9_4plusIvEENS9_8equal_toIvEEdEE10hipError_tPvRmT2_T3_T4_T5_mT6_T7_P12ihipStream_tbENKUlT_T0_E_clISt17integral_constantIbLb1EES10_IbLb0EEEEDaSW_SX_EUlSW_E_NS1_11comp_targetILNS1_3genE8ELNS1_11target_archE1030ELNS1_3gpuE2ELNS1_3repE0EEENS1_30default_config_static_selectorELNS0_4arch9wavefront6targetE0EEEvT1_.uses_flat_scratch, 0
	.set _ZN7rocprim17ROCPRIM_400000_NS6detail17trampoline_kernelINS0_14default_configENS1_27scan_by_key_config_selectorIidEEZZNS1_16scan_by_key_implILNS1_25lookback_scan_determinismE0ELb1ES3_N6thrust23THRUST_200600_302600_NS6detail15normal_iteratorINS9_10device_ptrIiEEEENSB_INSC_IdEEEESG_dNS9_4plusIvEENS9_8equal_toIvEEdEE10hipError_tPvRmT2_T3_T4_T5_mT6_T7_P12ihipStream_tbENKUlT_T0_E_clISt17integral_constantIbLb1EES10_IbLb0EEEEDaSW_SX_EUlSW_E_NS1_11comp_targetILNS1_3genE8ELNS1_11target_archE1030ELNS1_3gpuE2ELNS1_3repE0EEENS1_30default_config_static_selectorELNS0_4arch9wavefront6targetE0EEEvT1_.has_dyn_sized_stack, 0
	.set _ZN7rocprim17ROCPRIM_400000_NS6detail17trampoline_kernelINS0_14default_configENS1_27scan_by_key_config_selectorIidEEZZNS1_16scan_by_key_implILNS1_25lookback_scan_determinismE0ELb1ES3_N6thrust23THRUST_200600_302600_NS6detail15normal_iteratorINS9_10device_ptrIiEEEENSB_INSC_IdEEEESG_dNS9_4plusIvEENS9_8equal_toIvEEdEE10hipError_tPvRmT2_T3_T4_T5_mT6_T7_P12ihipStream_tbENKUlT_T0_E_clISt17integral_constantIbLb1EES10_IbLb0EEEEDaSW_SX_EUlSW_E_NS1_11comp_targetILNS1_3genE8ELNS1_11target_archE1030ELNS1_3gpuE2ELNS1_3repE0EEENS1_30default_config_static_selectorELNS0_4arch9wavefront6targetE0EEEvT1_.has_recursion, 0
	.set _ZN7rocprim17ROCPRIM_400000_NS6detail17trampoline_kernelINS0_14default_configENS1_27scan_by_key_config_selectorIidEEZZNS1_16scan_by_key_implILNS1_25lookback_scan_determinismE0ELb1ES3_N6thrust23THRUST_200600_302600_NS6detail15normal_iteratorINS9_10device_ptrIiEEEENSB_INSC_IdEEEESG_dNS9_4plusIvEENS9_8equal_toIvEEdEE10hipError_tPvRmT2_T3_T4_T5_mT6_T7_P12ihipStream_tbENKUlT_T0_E_clISt17integral_constantIbLb1EES10_IbLb0EEEEDaSW_SX_EUlSW_E_NS1_11comp_targetILNS1_3genE8ELNS1_11target_archE1030ELNS1_3gpuE2ELNS1_3repE0EEENS1_30default_config_static_selectorELNS0_4arch9wavefront6targetE0EEEvT1_.has_indirect_call, 0
	.section	.AMDGPU.csdata,"",@progbits
; Kernel info:
; codeLenInByte = 0
; TotalNumSgprs: 0
; NumVgprs: 0
; ScratchSize: 0
; MemoryBound: 0
; FloatMode: 240
; IeeeMode: 1
; LDSByteSize: 0 bytes/workgroup (compile time only)
; SGPRBlocks: 0
; VGPRBlocks: 0
; NumSGPRsForWavesPerEU: 1
; NumVGPRsForWavesPerEU: 1
; NamedBarCnt: 0
; Occupancy: 16
; WaveLimiterHint : 0
; COMPUTE_PGM_RSRC2:SCRATCH_EN: 0
; COMPUTE_PGM_RSRC2:USER_SGPR: 2
; COMPUTE_PGM_RSRC2:TRAP_HANDLER: 0
; COMPUTE_PGM_RSRC2:TGID_X_EN: 1
; COMPUTE_PGM_RSRC2:TGID_Y_EN: 0
; COMPUTE_PGM_RSRC2:TGID_Z_EN: 0
; COMPUTE_PGM_RSRC2:TIDIG_COMP_CNT: 0
	.section	.text._ZN7rocprim17ROCPRIM_400000_NS6detail17trampoline_kernelINS0_14default_configENS1_27scan_by_key_config_selectorIidEEZZNS1_16scan_by_key_implILNS1_25lookback_scan_determinismE0ELb1ES3_N6thrust23THRUST_200600_302600_NS6detail15normal_iteratorINS9_10device_ptrIiEEEENSB_INSC_IdEEEESG_dNS9_4plusIvEENS9_8equal_toIvEEdEE10hipError_tPvRmT2_T3_T4_T5_mT6_T7_P12ihipStream_tbENKUlT_T0_E_clISt17integral_constantIbLb0EES10_IbLb1EEEEDaSW_SX_EUlSW_E_NS1_11comp_targetILNS1_3genE0ELNS1_11target_archE4294967295ELNS1_3gpuE0ELNS1_3repE0EEENS1_30default_config_static_selectorELNS0_4arch9wavefront6targetE0EEEvT1_,"axG",@progbits,_ZN7rocprim17ROCPRIM_400000_NS6detail17trampoline_kernelINS0_14default_configENS1_27scan_by_key_config_selectorIidEEZZNS1_16scan_by_key_implILNS1_25lookback_scan_determinismE0ELb1ES3_N6thrust23THRUST_200600_302600_NS6detail15normal_iteratorINS9_10device_ptrIiEEEENSB_INSC_IdEEEESG_dNS9_4plusIvEENS9_8equal_toIvEEdEE10hipError_tPvRmT2_T3_T4_T5_mT6_T7_P12ihipStream_tbENKUlT_T0_E_clISt17integral_constantIbLb0EES10_IbLb1EEEEDaSW_SX_EUlSW_E_NS1_11comp_targetILNS1_3genE0ELNS1_11target_archE4294967295ELNS1_3gpuE0ELNS1_3repE0EEENS1_30default_config_static_selectorELNS0_4arch9wavefront6targetE0EEEvT1_,comdat
	.protected	_ZN7rocprim17ROCPRIM_400000_NS6detail17trampoline_kernelINS0_14default_configENS1_27scan_by_key_config_selectorIidEEZZNS1_16scan_by_key_implILNS1_25lookback_scan_determinismE0ELb1ES3_N6thrust23THRUST_200600_302600_NS6detail15normal_iteratorINS9_10device_ptrIiEEEENSB_INSC_IdEEEESG_dNS9_4plusIvEENS9_8equal_toIvEEdEE10hipError_tPvRmT2_T3_T4_T5_mT6_T7_P12ihipStream_tbENKUlT_T0_E_clISt17integral_constantIbLb0EES10_IbLb1EEEEDaSW_SX_EUlSW_E_NS1_11comp_targetILNS1_3genE0ELNS1_11target_archE4294967295ELNS1_3gpuE0ELNS1_3repE0EEENS1_30default_config_static_selectorELNS0_4arch9wavefront6targetE0EEEvT1_ ; -- Begin function _ZN7rocprim17ROCPRIM_400000_NS6detail17trampoline_kernelINS0_14default_configENS1_27scan_by_key_config_selectorIidEEZZNS1_16scan_by_key_implILNS1_25lookback_scan_determinismE0ELb1ES3_N6thrust23THRUST_200600_302600_NS6detail15normal_iteratorINS9_10device_ptrIiEEEENSB_INSC_IdEEEESG_dNS9_4plusIvEENS9_8equal_toIvEEdEE10hipError_tPvRmT2_T3_T4_T5_mT6_T7_P12ihipStream_tbENKUlT_T0_E_clISt17integral_constantIbLb0EES10_IbLb1EEEEDaSW_SX_EUlSW_E_NS1_11comp_targetILNS1_3genE0ELNS1_11target_archE4294967295ELNS1_3gpuE0ELNS1_3repE0EEENS1_30default_config_static_selectorELNS0_4arch9wavefront6targetE0EEEvT1_
	.globl	_ZN7rocprim17ROCPRIM_400000_NS6detail17trampoline_kernelINS0_14default_configENS1_27scan_by_key_config_selectorIidEEZZNS1_16scan_by_key_implILNS1_25lookback_scan_determinismE0ELb1ES3_N6thrust23THRUST_200600_302600_NS6detail15normal_iteratorINS9_10device_ptrIiEEEENSB_INSC_IdEEEESG_dNS9_4plusIvEENS9_8equal_toIvEEdEE10hipError_tPvRmT2_T3_T4_T5_mT6_T7_P12ihipStream_tbENKUlT_T0_E_clISt17integral_constantIbLb0EES10_IbLb1EEEEDaSW_SX_EUlSW_E_NS1_11comp_targetILNS1_3genE0ELNS1_11target_archE4294967295ELNS1_3gpuE0ELNS1_3repE0EEENS1_30default_config_static_selectorELNS0_4arch9wavefront6targetE0EEEvT1_
	.p2align	8
	.type	_ZN7rocprim17ROCPRIM_400000_NS6detail17trampoline_kernelINS0_14default_configENS1_27scan_by_key_config_selectorIidEEZZNS1_16scan_by_key_implILNS1_25lookback_scan_determinismE0ELb1ES3_N6thrust23THRUST_200600_302600_NS6detail15normal_iteratorINS9_10device_ptrIiEEEENSB_INSC_IdEEEESG_dNS9_4plusIvEENS9_8equal_toIvEEdEE10hipError_tPvRmT2_T3_T4_T5_mT6_T7_P12ihipStream_tbENKUlT_T0_E_clISt17integral_constantIbLb0EES10_IbLb1EEEEDaSW_SX_EUlSW_E_NS1_11comp_targetILNS1_3genE0ELNS1_11target_archE4294967295ELNS1_3gpuE0ELNS1_3repE0EEENS1_30default_config_static_selectorELNS0_4arch9wavefront6targetE0EEEvT1_,@function
_ZN7rocprim17ROCPRIM_400000_NS6detail17trampoline_kernelINS0_14default_configENS1_27scan_by_key_config_selectorIidEEZZNS1_16scan_by_key_implILNS1_25lookback_scan_determinismE0ELb1ES3_N6thrust23THRUST_200600_302600_NS6detail15normal_iteratorINS9_10device_ptrIiEEEENSB_INSC_IdEEEESG_dNS9_4plusIvEENS9_8equal_toIvEEdEE10hipError_tPvRmT2_T3_T4_T5_mT6_T7_P12ihipStream_tbENKUlT_T0_E_clISt17integral_constantIbLb0EES10_IbLb1EEEEDaSW_SX_EUlSW_E_NS1_11comp_targetILNS1_3genE0ELNS1_11target_archE4294967295ELNS1_3gpuE0ELNS1_3repE0EEENS1_30default_config_static_selectorELNS0_4arch9wavefront6targetE0EEEvT1_: ; @_ZN7rocprim17ROCPRIM_400000_NS6detail17trampoline_kernelINS0_14default_configENS1_27scan_by_key_config_selectorIidEEZZNS1_16scan_by_key_implILNS1_25lookback_scan_determinismE0ELb1ES3_N6thrust23THRUST_200600_302600_NS6detail15normal_iteratorINS9_10device_ptrIiEEEENSB_INSC_IdEEEESG_dNS9_4plusIvEENS9_8equal_toIvEEdEE10hipError_tPvRmT2_T3_T4_T5_mT6_T7_P12ihipStream_tbENKUlT_T0_E_clISt17integral_constantIbLb0EES10_IbLb1EEEEDaSW_SX_EUlSW_E_NS1_11comp_targetILNS1_3genE0ELNS1_11target_archE4294967295ELNS1_3gpuE0ELNS1_3repE0EEENS1_30default_config_static_selectorELNS0_4arch9wavefront6targetE0EEEvT1_
; %bb.0:
	s_clause 0x3
	s_load_b256 s[12:19], s[0:1], 0x0
	s_load_b64 s[36:37], s[0:1], 0x20
	s_load_b256 s[20:27], s[0:1], 0x30
	s_load_b64 s[38:39], s[0:1], 0x50
	v_cmp_eq_u32_e64 s2, 0, v0
	s_and_saveexec_b32 s3, s2
	s_cbranch_execz .LBB1418_4
; %bb.1:
	s_mov_b32 s5, exec_lo
	s_mov_b32 s4, exec_lo
	v_mbcnt_lo_u32_b32 v1, s5, 0
                                        ; implicit-def: $vgpr2
	s_delay_alu instid0(VALU_DEP_1)
	v_cmpx_eq_u32_e32 0, v1
	s_cbranch_execz .LBB1418_3
; %bb.2:
	s_load_b64 s[6:7], s[0:1], 0x80
	s_bcnt1_i32_b32 s5, s5
	s_delay_alu instid0(SALU_CYCLE_1)
	v_dual_mov_b32 v2, 0 :: v_dual_mov_b32 v3, s5
	s_wait_xcnt 0x0
	s_wait_kmcnt 0x0
	global_atomic_add_u32 v2, v2, v3, s[6:7] th:TH_ATOMIC_RETURN scope:SCOPE_DEV
.LBB1418_3:
	s_wait_xcnt 0x0
	s_or_b32 exec_lo, exec_lo, s4
	s_wait_loadcnt 0x0
	v_readfirstlane_b32 s4, v2
	s_delay_alu instid0(VALU_DEP_1)
	v_dual_mov_b32 v2, 0 :: v_dual_add_nc_u32 v1, s4, v1
	ds_store_b32 v2, v1
.LBB1418_4:
	s_or_b32 exec_lo, exec_lo, s3
	v_mov_b32_e32 v3, 0
	s_clause 0x1
	s_load_b32 s4, s[0:1], 0x58
	s_load_b128 s[28:31], s[0:1], 0x60
	s_wait_dscnt 0x0
	s_barrier_signal -1
	s_barrier_wait -1
	ds_load_b32 v2, v3
	s_wait_kmcnt 0x0
	s_lshl_b64 s[0:1], s[14:15], 2
	s_mov_b32 s5, 0
	s_add_nc_u64 s[6:7], s[12:13], s[0:1]
	s_lshl_b64 s[34:35], s[14:15], 3
	s_wait_dscnt 0x0
	s_add_nc_u64 s[8:9], s[16:17], s[34:35]
	s_barrier_signal -1
	s_barrier_wait -1
	s_barrier_signal -1
	s_barrier_wait -1
	s_mul_u64 s[0:1], s[38:39], s[4:5]
	s_add_nc_u64 s[10:11], s[28:29], -1
	s_delay_alu instid0(SALU_CYCLE_1)
	s_mul_i32 s17, s10, 0xfffffb00
	v_add_nc_u64_e32 v[4:5], s[0:1], v[2:3]
	v_readfirstlane_b32 s27, v2
	s_mul_i32 s4, s27, 0x500
	v_cmp_le_u64_e64 s0, s[10:11], v[4:5]
	s_lshl_b64 s[12:13], s[4:5], 2
	s_lshl_b64 s[28:29], s[4:5], 3
	s_add_nc_u64 s[14:15], s[6:7], s[12:13]
	s_add_nc_u64 s[12:13], s[8:9], s[28:29]
	s_and_b32 vcc_lo, exec_lo, s0
	s_cbranch_vccz .LBB1418_60
; %bb.5:
	flat_load_b32 v1, v3, s[14:15]
	s_add_co_i32 s40, s17, s26
	s_delay_alu instid0(SALU_CYCLE_1)
	v_cmp_gt_u32_e32 vcc_lo, s40, v0
	s_wait_loadcnt_dscnt 0x0
	v_mov_b32_e32 v2, v1
	s_and_saveexec_b32 s1, vcc_lo
	s_cbranch_execz .LBB1418_7
; %bb.6:
	flat_load_b32 v2, v0, s[14:15] scale_offset
.LBB1418_7:
	s_wait_xcnt 0x0
	s_or_b32 exec_lo, exec_lo, s1
	v_or_b32_e32 v3, 0x80, v0
	s_delay_alu instid0(VALU_DEP_1)
	v_cmp_gt_u32_e64 s1, s40, v3
	v_mov_b32_e32 v3, v1
	s_and_saveexec_b32 s3, s1
	s_cbranch_execz .LBB1418_9
; %bb.8:
	flat_load_b32 v3, v0, s[14:15] offset:512 scale_offset
.LBB1418_9:
	s_wait_xcnt 0x0
	s_or_b32 exec_lo, exec_lo, s3
	v_or_b32_e32 v4, 0x100, v0
	s_delay_alu instid0(VALU_DEP_1)
	v_cmp_gt_u32_e64 s3, s40, v4
	v_mov_b32_e32 v4, v1
	s_and_saveexec_b32 s4, s3
	s_cbranch_execz .LBB1418_11
; %bb.10:
	flat_load_b32 v4, v0, s[14:15] offset:1024 scale_offset
.LBB1418_11:
	;; [unrolled: 11-line block ×8, first 2 shown]
	s_wait_xcnt 0x0
	s_or_b32 exec_lo, exec_lo, s10
	v_or_b32_e32 v11, 0x480, v0
	s_delay_alu instid0(VALU_DEP_1) | instskip(SKIP_2) | instid1(SALU_CYCLE_1)
	v_cmp_gt_u32_e64 s10, s40, v11
	v_cmp_le_u32_e64 s11, s40, v11
	s_and_saveexec_b32 s16, s11
	s_xor_b32 s11, exec_lo, s16
	s_delay_alu instid0(SALU_CYCLE_1)
	s_and_not1_saveexec_b32 s11, s11
	s_cbranch_execz .LBB1418_25
; %bb.24:
	flat_load_b32 v1, v0, s[14:15] offset:4608 scale_offset
.LBB1418_25:
	s_wait_xcnt 0x0
	s_or_b32 exec_lo, exec_lo, s11
	v_lshlrev_b32_e32 v11, 2, v0
	s_mov_b32 s16, exec_lo
	s_wait_loadcnt_dscnt 0x0
	ds_store_2addr_stride64_b32 v11, v2, v3 offset1:2
	ds_store_2addr_stride64_b32 v11, v4, v5 offset0:4 offset1:6
	ds_store_2addr_stride64_b32 v11, v6, v7 offset0:8 offset1:10
	;; [unrolled: 1-line block ×4, first 2 shown]
	v_mov_b32_e32 v1, 0
	s_wait_dscnt 0x0
	s_barrier_signal -1
	s_barrier_wait -1
	flat_load_b32 v60, v1, s[14:15]
	s_wait_xcnt 0x0
	v_mad_u32_u24 v1, v0, 36, v11
	ds_load_2addr_b64 v[6:9], v1 offset1:1
	ds_load_2addr_b64 v[2:5], v1 offset0:2 offset1:3
	ds_load_b64 v[50:51], v1 offset:32
	v_mad_i32_i24 v1, 0xffffffdc, v0, v1
	s_wait_dscnt 0x2
	ds_store_b32 v1, v6 offset:5632
	s_wait_loadcnt_dscnt 0x0
	s_barrier_signal -1
	s_barrier_wait -1
	v_cmpx_ne_u32_e32 0x7f, v0
; %bb.26:
	ds_load_b32 v60, v1 offset:5636
; %bb.27:
	s_or_b32 exec_lo, exec_lo, s16
	s_wait_dscnt 0x0
	s_barrier_signal -1
	s_barrier_wait -1
                                        ; implicit-def: $vgpr10_vgpr11
	s_and_saveexec_b32 s11, vcc_lo
	s_cbranch_execz .LBB1418_124
; %bb.28:
	flat_load_b64 v[10:11], v0, s[12:13] scale_offset
	s_wait_xcnt 0x0
	s_or_b32 exec_lo, exec_lo, s11
                                        ; implicit-def: $vgpr12_vgpr13
	s_and_saveexec_b32 s11, s1
	s_cbranch_execnz .LBB1418_125
.LBB1418_29:
	s_or_b32 exec_lo, exec_lo, s11
                                        ; implicit-def: $vgpr14_vgpr15
	s_and_saveexec_b32 s1, s3
	s_cbranch_execz .LBB1418_126
.LBB1418_30:
	flat_load_b64 v[14:15], v0, s[12:13] offset:2048 scale_offset
	s_wait_xcnt 0x0
	s_or_b32 exec_lo, exec_lo, s1
                                        ; implicit-def: $vgpr16_vgpr17
	s_and_saveexec_b32 s1, s4
	s_cbranch_execnz .LBB1418_127
.LBB1418_31:
	s_or_b32 exec_lo, exec_lo, s1
                                        ; implicit-def: $vgpr18_vgpr19
	s_and_saveexec_b32 s1, s5
	s_cbranch_execz .LBB1418_128
.LBB1418_32:
	flat_load_b64 v[18:19], v0, s[12:13] offset:4096 scale_offset
	s_wait_xcnt 0x0
	s_or_b32 exec_lo, exec_lo, s1
                                        ; implicit-def: $vgpr20_vgpr21
	s_and_saveexec_b32 s1, s6
	s_cbranch_execnz .LBB1418_129
.LBB1418_33:
	s_or_b32 exec_lo, exec_lo, s1
                                        ; implicit-def: $vgpr22_vgpr23
	s_and_saveexec_b32 s1, s7
	s_cbranch_execz .LBB1418_130
.LBB1418_34:
	flat_load_b64 v[22:23], v0, s[12:13] offset:6144 scale_offset
	s_wait_xcnt 0x0
	s_or_b32 exec_lo, exec_lo, s1
                                        ; implicit-def: $vgpr24_vgpr25
	s_and_saveexec_b32 s1, s8
	s_cbranch_execnz .LBB1418_131
.LBB1418_35:
	s_or_b32 exec_lo, exec_lo, s1
                                        ; implicit-def: $vgpr26_vgpr27
	s_and_saveexec_b32 s1, s9
	s_cbranch_execz .LBB1418_37
.LBB1418_36:
	flat_load_b64 v[26:27], v0, s[12:13] offset:8192 scale_offset
.LBB1418_37:
	s_wait_xcnt 0x0
	s_or_b32 exec_lo, exec_lo, s1
	v_mul_u32_u24_e32 v67, 10, v0
                                        ; implicit-def: $vgpr28_vgpr29
	s_and_saveexec_b32 s1, s10
	s_cbranch_execz .LBB1418_39
; %bb.38:
	flat_load_b64 v[28:29], v0, s[12:13] offset:9216 scale_offset
.LBB1418_39:
	s_wait_xcnt 0x0
	s_or_b32 exec_lo, exec_lo, s1
	v_lshl_add_u32 v68, v0, 2, v1
	v_mov_b64_e32 v[48:49], 0
	v_mov_b64_e32 v[46:47], 0
	;; [unrolled: 1-line block ×4, first 2 shown]
	s_wait_loadcnt_dscnt 0x0
	ds_store_2addr_stride64_b64 v68, v[10:11], v[12:13] offset1:2
	ds_store_2addr_stride64_b64 v68, v[14:15], v[16:17] offset0:4 offset1:6
	ds_store_2addr_stride64_b64 v68, v[18:19], v[20:21] offset0:8 offset1:10
	ds_store_2addr_stride64_b64 v68, v[22:23], v[24:25] offset0:12 offset1:14
	ds_store_2addr_stride64_b64 v68, v[26:27], v[28:29] offset0:16 offset1:18
	v_mov_b64_e32 v[26:27], 0
	v_mov_b64_e32 v[14:15], 0
	v_mov_b64_e32 v[16:17], 0
	v_mov_b64_e32 v[20:21], 0
	v_mov_b64_e32 v[18:19], 0
	v_mov_b64_e32 v[34:35], 0
	v_mov_b64_e32 v[24:25], 0
	v_mov_b64_e32 v[22:23], 0
	v_mov_b64_e32 v[28:29], 0
	v_mov_b64_e32 v[30:31], 0
	v_mov_b64_e32 v[32:33], 0
	v_mov_b64_e32 v[36:37], 0
	v_mov_b64_e32 v[38:39], 0
	v_mov_b64_e32 v[40:41], 0
	v_cmp_gt_u32_e32 vcc_lo, s40, v67
	v_dual_mov_b32 v52, 0 :: v_dual_mov_b32 v53, 0
	v_dual_mov_b32 v54, 0 :: v_dual_mov_b32 v55, 0
	;; [unrolled: 1-line block ×9, first 2 shown]
	s_mov_b32 s11, 0
	s_mov_b32 s5, 0
	s_wait_dscnt 0x0
	s_barrier_signal -1
	s_barrier_wait -1
                                        ; implicit-def: $sgpr16
	s_and_saveexec_b32 s33, vcc_lo
	s_cbranch_execz .LBB1418_59
; %bb.40:
	v_mad_u32_u24 v1, 0x48, v0, v68
	v_dual_mov_b32 v52, 0 :: v_dual_bitop2_b32 v12, 1, v67 bitop3:0x54
	v_cmp_ne_u32_e32 vcc_lo, v6, v7
	v_mov_b64_e32 v[14:15], 0
	ds_load_b64 v[10:11], v1
	v_mov_b64_e32 v[48:49], 0
	v_mov_b64_e32 v[16:17], 0
	;; [unrolled: 1-line block ×16, first 2 shown]
	v_dual_mov_b32 v53, 0 :: v_dual_mov_b32 v54, 0
	v_dual_mov_b32 v55, 0 :: v_dual_mov_b32 v56, 0
	;; [unrolled: 1-line block ×4, first 2 shown]
	v_cmp_gt_u32_e64 s1, s40, v12
	s_wait_dscnt 0x0
	v_cndmask_b32_e64 v27, v11, s37, vcc_lo
	v_cndmask_b32_e64 v26, v10, s36, vcc_lo
	v_dual_mov_b32 v63, 0 :: v_dual_mov_b32 v57, 0
	v_dual_mov_b32 v65, 0 :: v_dual_mov_b32 v10, 0
	;; [unrolled: 1-line block ×3, first 2 shown]
	v_mov_b32_e32 v12, 0
	s_mov_b32 s3, 0
                                        ; implicit-def: $sgpr16
	s_and_saveexec_b32 s41, s1
	s_cbranch_execz .LBB1418_58
; %bb.41:
	v_mul_u32_u24_e32 v1, 0x48, v0
	v_cmp_ne_u32_e64 s1, v7, v8
	v_mov_b64_e32 v[14:15], 0
	v_mov_b64_e32 v[48:49], 0
	;; [unrolled: 1-line block ×3, first 2 shown]
	v_dual_add_nc_u32 v1, v68, v1 :: v_dual_mov_b32 v53, 0
	v_mov_b64_e32 v[20:21], 0
	v_mov_b64_e32 v[18:19], 0
	;; [unrolled: 1-line block ×3, first 2 shown]
	ds_load_2addr_b64 v[10:13], v1 offset0:1 offset1:2
	v_mov_b64_e32 v[42:43], 0
	v_mov_b64_e32 v[34:35], 0
	;; [unrolled: 1-line block ×9, first 2 shown]
	v_dual_add_nc_u32 v6, 2, v67 :: v_dual_mov_b32 v52, 0
	v_dual_mov_b32 v54, 0 :: v_dual_mov_b32 v55, 0
	v_dual_mov_b32 v56, 0 :: v_dual_mov_b32 v58, 0
	;; [unrolled: 1-line block ×4, first 2 shown]
	v_mov_b32_e32 v65, 0
	s_wait_dscnt 0x0
	v_cndmask_b32_e64 v45, v11, s37, s1
	v_cndmask_b32_e64 v44, v10, s36, s1
	v_dual_mov_b32 v10, 0 :: v_dual_mov_b32 v11, 0
	v_mov_b32_e32 v66, 0
	s_mov_b32 s4, 0
	s_mov_b32 s42, exec_lo
                                        ; implicit-def: $sgpr16
	v_cmpx_gt_u32_e64 s40, v6
	s_cbranch_execz .LBB1418_57
; %bb.42:
	v_cmp_ne_u32_e64 s3, v8, v9
	v_dual_add_nc_u32 v6, 3, v67 :: v_dual_mov_b32 v52, 0
	v_mov_b64_e32 v[14:15], 0
	v_mov_b64_e32 v[48:49], 0
	;; [unrolled: 1-line block ×13, first 2 shown]
	v_cndmask_b32_e64 v43, v13, s37, s3
	v_cndmask_b32_e64 v42, v12, s36, s3
	v_cmp_gt_u32_e64 s4, s40, v6
	v_dual_mov_b32 v53, 0 :: v_dual_mov_b32 v54, 0
	v_dual_mov_b32 v55, 0 :: v_dual_mov_b32 v56, 0
	;; [unrolled: 1-line block ×5, first 2 shown]
	v_mov_b32_e32 v11, 0
                                        ; implicit-def: $sgpr16
	s_and_saveexec_b32 s43, s4
	s_cbranch_execz .LBB1418_56
; %bb.43:
	ds_load_2addr_b64 v[10:13], v1 offset0:3 offset1:4
	v_cmp_ne_u32_e64 s4, v9, v2
	v_mov_b64_e32 v[14:15], 0
	v_mov_b64_e32 v[48:49], 0
	;; [unrolled: 1-line block ×11, first 2 shown]
	v_dual_add_nc_u32 v6, 4, v67 :: v_dual_mov_b32 v52, 0
	v_dual_mov_b32 v53, 0 :: v_dual_mov_b32 v54, 0
	v_dual_mov_b32 v55, 0 :: v_dual_mov_b32 v56, 0
	v_dual_mov_b32 v64, 0 :: v_dual_mov_b32 v63, 0
	s_wait_dscnt 0x0
	v_cndmask_b32_e64 v47, v11, s37, s4
	v_cndmask_b32_e64 v46, v10, s36, s4
	v_dual_mov_b32 v57, 0 :: v_dual_mov_b32 v65, 0
	v_mov_b32_e32 v10, 0
	s_mov_b32 s6, 0
	s_mov_b32 s44, exec_lo
                                        ; implicit-def: $sgpr16
	v_cmpx_gt_u32_e64 s40, v6
	s_cbranch_execz .LBB1418_55
; %bb.44:
	v_cmp_ne_u32_e64 s5, v2, v3
	v_mov_b64_e32 v[14:15], 0
	v_mov_b64_e32 v[48:49], 0
	;; [unrolled: 1-line block ×9, first 2 shown]
	v_dual_add_nc_u32 v2, 5, v67 :: v_dual_mov_b32 v52, 0
	v_cndmask_b32_e64 v19, v13, s37, s5
	v_cndmask_b32_e64 v18, v12, s36, s5
	v_dual_mov_b32 v53, 0 :: v_dual_mov_b32 v54, 0
	v_dual_mov_b32 v55, 0 :: v_dual_mov_b32 v64, 0
	;; [unrolled: 1-line block ×3, first 2 shown]
	v_mov_b32_e32 v65, 0
	s_mov_b32 s7, 0
	s_mov_b32 s45, exec_lo
                                        ; implicit-def: $sgpr16
	v_cmpx_gt_u32_e64 s40, v2
	s_cbranch_execz .LBB1418_54
; %bb.45:
	ds_load_2addr_b64 v[6:9], v1 offset0:5 offset1:6
	v_cmp_ne_u32_e64 s6, v3, v4
	v_mov_b64_e32 v[14:15], 0
	v_mov_b64_e32 v[48:49], 0
	;; [unrolled: 1-line block ×7, first 2 shown]
	v_dual_add_nc_u32 v2, 6, v67 :: v_dual_mov_b32 v52, 0
	v_dual_mov_b32 v53, 0 :: v_dual_mov_b32 v54, 0
	v_dual_mov_b32 v64, 0 :: v_dual_mov_b32 v63, 0
	v_mov_b32_e32 v57, 0
	s_mov_b32 s8, 0
	s_mov_b32 s46, exec_lo
                                        ; implicit-def: $sgpr16
	s_wait_dscnt 0x0
	v_cndmask_b32_e64 v21, v7, s37, s6
	v_cndmask_b32_e64 v20, v6, s36, s6
	v_cmpx_gt_u32_e64 s40, v2
	s_cbranch_execz .LBB1418_53
; %bb.46:
	v_cmp_ne_u32_e64 s7, v4, v5
	v_mov_b64_e32 v[14:15], 0
	v_mov_b64_e32 v[48:49], 0
	;; [unrolled: 1-line block ×4, first 2 shown]
	v_dual_add_nc_u32 v2, 7, v67 :: v_dual_mov_b32 v52, 0
	v_cndmask_b32_e64 v17, v9, s37, s7
	v_cndmask_b32_e64 v16, v8, s36, s7
	v_dual_mov_b32 v53, 0 :: v_dual_mov_b32 v63, 0
	s_mov_b32 s9, 0
	s_mov_b32 s47, exec_lo
                                        ; implicit-def: $sgpr16
	v_cmpx_gt_u32_e64 s40, v2
	s_cbranch_execz .LBB1418_52
; %bb.47:
	ds_load_2addr_b64 v[6:9], v1 offset0:7 offset1:8
	v_cmp_ne_u32_e64 s8, v5, v50
	v_mov_b64_e32 v[14:15], 0
	v_mov_b64_e32 v[34:35], 0
	v_dual_add_nc_u32 v2, 8, v67 :: v_dual_mov_b32 v52, 0
	s_mov_b32 s10, 0
	s_mov_b32 s48, exec_lo
                                        ; implicit-def: $sgpr16
	s_wait_dscnt 0x0
	v_cndmask_b32_e64 v49, v7, s37, s8
	v_cndmask_b32_e64 v48, v6, s36, s8
	v_cmpx_gt_u32_e64 s40, v2
	s_cbranch_execz .LBB1418_51
; %bb.48:
	v_cmp_ne_u32_e64 s9, v50, v51
	v_add_nc_u32_e32 v2, 9, v67
	v_mov_b64_e32 v[34:35], 0
                                        ; implicit-def: $sgpr16
	s_delay_alu instid0(VALU_DEP_3) | instskip(SKIP_1) | instid1(VALU_DEP_4)
	v_cndmask_b32_e64 v15, v9, s37, s9
	v_cndmask_b32_e64 v14, v8, s36, s9
	v_cmp_gt_u32_e64 s10, s40, v2
	s_mov_b32 s40, 0
	s_and_saveexec_b32 s49, s10
	s_delay_alu instid0(SALU_CYCLE_1)
	s_xor_b32 s10, exec_lo, s49
	s_cbranch_execz .LBB1418_50
; %bb.49:
	ds_load_b64 v[2:3], v1 offset:72
	v_cmp_ne_u32_e64 s16, v51, v60
	s_mov_b32 s40, exec_lo
	s_wait_dscnt 0x0
	v_cndmask_b32_e64 v35, v3, s37, s16
	v_cndmask_b32_e64 v34, v2, s36, s16
.LBB1418_50:
	s_or_b32 exec_lo, exec_lo, s10
	v_cndmask_b32_e64 v52, 0, 1, s9
	s_and_b32 s10, s40, exec_lo
.LBB1418_51:
	s_or_b32 exec_lo, exec_lo, s48
	v_cndmask_b32_e64 v53, 0, 1, s8
	v_mov_b64_e32 v[22:23], v[48:49]
	s_and_b32 s9, s10, exec_lo
	s_delay_alu instid0(VALU_DEP_2)
	v_mov_b32_e32 v63, v53
.LBB1418_52:
	s_or_b32 exec_lo, exec_lo, s47
	v_cndmask_b32_e64 v54, 0, 1, s7
	v_mov_b64_e32 v[24:25], v[14:15]
	v_mov_b64_e32 v[28:29], v[16:17]
	v_mov_b32_e32 v64, v52
	s_and_b32 s8, s9, exec_lo
	v_mov_b32_e32 v57, v54
.LBB1418_53:
	s_or_b32 exec_lo, exec_lo, s46
	v_cndmask_b32_e64 v55, 0, 1, s6
	v_mov_b64_e32 v[30:31], v[20:21]
	s_and_b32 s7, s8, exec_lo
	s_delay_alu instid0(VALU_DEP_2)
	v_mov_b32_e32 v65, v55
.LBB1418_54:
	s_or_b32 exec_lo, exec_lo, s45
	v_cndmask_b32_e64 v56, 0, 1, s5
	v_mov_b64_e32 v[32:33], v[18:19]
	s_and_b32 s6, s7, exec_lo
	s_delay_alu instid0(VALU_DEP_2)
	v_mov_b32_e32 v10, v56
.LBB1418_55:
	s_or_b32 exec_lo, exec_lo, s44
	v_cndmask_b32_e64 v58, 0, 1, s4
	v_mov_b64_e32 v[36:37], v[46:47]
	s_and_b32 s5, s6, exec_lo
	s_delay_alu instid0(VALU_DEP_2)
	v_mov_b32_e32 v11, v58
.LBB1418_56:
	s_or_b32 exec_lo, exec_lo, s43
	v_cndmask_b32_e64 v59, 0, 1, s3
	v_mov_b64_e32 v[38:39], v[42:43]
	s_and_b32 s4, s5, exec_lo
	s_delay_alu instid0(VALU_DEP_2)
	v_mov_b32_e32 v66, v59
.LBB1418_57:
	s_or_b32 exec_lo, exec_lo, s42
	v_cndmask_b32_e64 v61, 0, 1, s1
	v_mov_b64_e32 v[40:41], v[44:45]
	s_and_b32 s3, s4, exec_lo
	s_delay_alu instid0(VALU_DEP_2)
	v_mov_b32_e32 v12, v61
.LBB1418_58:
	s_or_b32 exec_lo, exec_lo, s41
	v_cndmask_b32_e64 v62, 0, 1, vcc_lo
	s_and_b32 s5, s3, exec_lo
	s_delay_alu instid0(VALU_DEP_1)
	v_mov_b32_e32 v1, v62
.LBB1418_59:
	s_or_b32 exec_lo, exec_lo, s33
	s_delay_alu instid0(SALU_CYCLE_1)
	s_and_b32 vcc_lo, exec_lo, s11
	s_cbranch_vccnz .LBB1418_61
	s_branch .LBB1418_66
.LBB1418_60:
                                        ; implicit-def: $sgpr16
                                        ; implicit-def: $vgpr26_vgpr27
                                        ; implicit-def: $vgpr52
                                        ; implicit-def: $vgpr14_vgpr15
                                        ; implicit-def: $vgpr53
                                        ; implicit-def: $vgpr48_vgpr49
                                        ; implicit-def: $vgpr54
                                        ; implicit-def: $vgpr16_vgpr17
                                        ; implicit-def: $vgpr55
                                        ; implicit-def: $vgpr20_vgpr21
                                        ; implicit-def: $vgpr56
                                        ; implicit-def: $vgpr18_vgpr19
                                        ; implicit-def: $vgpr58
                                        ; implicit-def: $vgpr46_vgpr47
                                        ; implicit-def: $vgpr59
                                        ; implicit-def: $vgpr42_vgpr43
                                        ; implicit-def: $vgpr61
                                        ; implicit-def: $vgpr44_vgpr45
                                        ; implicit-def: $vgpr62
                                        ; implicit-def: $vgpr34_vgpr35
                                        ; implicit-def: $vgpr64
                                        ; implicit-def: $vgpr24_vgpr25
                                        ; implicit-def: $vgpr63
                                        ; implicit-def: $vgpr22_vgpr23
                                        ; implicit-def: $vgpr57
                                        ; implicit-def: $vgpr28_vgpr29
                                        ; implicit-def: $vgpr65
                                        ; implicit-def: $vgpr30_vgpr31
                                        ; implicit-def: $vgpr10
                                        ; implicit-def: $vgpr32_vgpr33
                                        ; implicit-def: $vgpr11
                                        ; implicit-def: $vgpr36_vgpr37
                                        ; implicit-def: $vgpr66
                                        ; implicit-def: $vgpr38_vgpr39
                                        ; implicit-def: $vgpr12
                                        ; implicit-def: $vgpr40_vgpr41
                                        ; implicit-def: $vgpr1
	s_cbranch_execz .LBB1418_66
.LBB1418_61:
	s_clause 0x9
	flat_load_b32 v1, v0, s[14:15] scale_offset
	flat_load_b32 v2, v0, s[14:15] offset:512 scale_offset
	flat_load_b32 v3, v0, s[14:15] offset:1024 scale_offset
	flat_load_b32 v4, v0, s[14:15] offset:1536 scale_offset
	flat_load_b32 v5, v0, s[14:15] offset:2048 scale_offset
	flat_load_b32 v6, v0, s[14:15] offset:2560 scale_offset
	flat_load_b32 v7, v0, s[14:15] offset:3072 scale_offset
	flat_load_b32 v8, v0, s[14:15] offset:3584 scale_offset
	flat_load_b32 v9, v0, s[14:15] offset:4096 scale_offset
	flat_load_b32 v10, v0, s[14:15] offset:4608 scale_offset
	v_dual_mov_b32 v12, 0 :: v_dual_lshlrev_b32 v11, 2, v0
	s_mov_b32 s1, exec_lo
	s_wait_loadcnt_dscnt 0x808
	ds_store_2addr_stride64_b32 v11, v1, v2 offset1:2
	s_wait_loadcnt_dscnt 0x607
	ds_store_2addr_stride64_b32 v11, v3, v4 offset0:4 offset1:6
	s_wait_loadcnt_dscnt 0x406
	ds_store_2addr_stride64_b32 v11, v5, v6 offset0:8 offset1:10
	;; [unrolled: 2-line block ×4, first 2 shown]
	s_wait_dscnt 0x0
	s_barrier_signal -1
	s_barrier_wait -1
	flat_load_b32 v1, v12, s[14:15] offset:5120
	v_mad_u32_u24 v10, v0, 36, v11
	ds_load_2addr_b64 v[6:9], v10 offset1:1
	ds_load_2addr_b64 v[2:5], v10 offset0:2 offset1:3
	ds_load_b64 v[28:29], v10 offset:32
	v_mad_i32_i24 v10, 0xffffffdc, v0, v10
	s_wait_dscnt 0x2
	ds_store_b32 v10, v6 offset:5632
	s_wait_loadcnt_dscnt 0x0
	s_barrier_signal -1
	s_barrier_wait -1
	v_cmpx_ne_u32_e32 0x7f, v0
; %bb.62:
	ds_load_b32 v1, v10 offset:5636
; %bb.63:
	s_or_b32 exec_lo, exec_lo, s1
	s_wait_dscnt 0x0
	s_barrier_signal -1
	s_barrier_wait -1
	s_clause 0x9
	flat_load_b64 v[12:13], v0, s[12:13] scale_offset
	flat_load_b64 v[14:15], v0, s[12:13] offset:1024 scale_offset
	flat_load_b64 v[16:17], v0, s[12:13] offset:2048 scale_offset
	;; [unrolled: 1-line block ×9, first 2 shown]
	v_lshl_add_u32 v32, v0, 2, v10
	s_mov_b32 s3, exec_lo
	v_cmp_ne_u32_e32 vcc_lo, v6, v7
	s_wait_loadcnt_dscnt 0x808
	ds_store_2addr_stride64_b64 v32, v[12:13], v[14:15] offset1:2
	s_wait_loadcnt_dscnt 0x607
	ds_store_2addr_stride64_b64 v32, v[16:17], v[18:19] offset0:4 offset1:6
	s_wait_loadcnt_dscnt 0x406
	ds_store_2addr_stride64_b64 v32, v[20:21], v[22:23] offset0:8 offset1:10
	;; [unrolled: 2-line block ×4, first 2 shown]
	v_mad_u32_u24 v33, 0x48, v0, v32
	s_wait_dscnt 0x0
	s_barrier_signal -1
	s_barrier_wait -1
	ds_load_2addr_b64 v[22:25], v33 offset0:1 offset1:2
	ds_load_2addr_b64 v[18:21], v33 offset0:3 offset1:4
	ds_load_2addr_b64 v[14:17], v33 offset0:5 offset1:6
	ds_load_2addr_b64 v[10:13], v33 offset0:7 offset1:8
	ds_load_b64 v[30:31], v33 offset:72
	v_mov_b64_e32 v[26:27], s[36:37]
	v_cmpx_eq_u32_e64 v6, v7
; %bb.64:
	v_mul_u32_u24_e32 v6, 0x48, v0
	s_delay_alu instid0(VALU_DEP_1)
	v_add_nc_u32_e32 v6, v32, v6
	ds_load_b64 v[26:27], v6
; %bb.65:
	s_or_b32 exec_lo, exec_lo, s3
	v_cndmask_b32_e64 v62, 0, 1, vcc_lo
	v_cmp_ne_u32_e32 vcc_lo, v7, v8
	v_cmp_ne_u32_e64 s1, v8, v9
	v_cmp_ne_u32_e64 s3, v9, v2
	;; [unrolled: 1-line block ×8, first 2 shown]
	s_wait_dscnt 0x4
	v_cndmask_b32_e64 v45, v23, s37, vcc_lo
	v_cndmask_b32_e64 v44, v22, s36, vcc_lo
	v_cndmask_b32_e64 v43, v25, s37, s1
	v_cndmask_b32_e64 v42, v24, s36, s1
	s_wait_dscnt 0x3
	v_cndmask_b32_e64 v47, v19, s37, s3
	v_cndmask_b32_e64 v46, v18, s36, s3
	v_cndmask_b32_e64 v19, v21, s37, s4
	v_cndmask_b32_e64 v18, v20, s36, s4
	s_wait_dscnt 0x2
	v_cndmask_b32_e64 v21, v15, s37, s5
	v_cndmask_b32_e64 v20, v14, s36, s5
	;; [unrolled: 5-line block ×3, first 2 shown]
	v_cndmask_b32_e64 v14, v12, s36, s8
	v_cndmask_b32_e64 v48, v10, s36, s7
	v_cndmask_b32_e64 v61, 0, 1, vcc_lo
	v_cndmask_b32_e64 v59, 0, 1, s1
	v_cndmask_b32_e64 v58, 0, 1, s3
	;; [unrolled: 1-line block ×7, first 2 shown]
	s_wait_dscnt 0x0
	v_cndmask_b32_e64 v35, v31, s37, s16
	v_cndmask_b32_e64 v34, v30, s36, s16
	v_mov_b64_e32 v[24:25], v[14:15]
	v_mov_b64_e32 v[22:23], v[48:49]
	;; [unrolled: 1-line block ×8, first 2 shown]
	v_dual_mov_b32 v64, v52 :: v_dual_mov_b32 v63, v53
	v_dual_mov_b32 v57, v54 :: v_dual_mov_b32 v65, v55
	;; [unrolled: 1-line block ×4, first 2 shown]
	v_mov_b32_e32 v1, v62
	s_mov_b32 s5, -1
.LBB1418_66:
	v_mov_b32_e32 v50, 0
	s_and_saveexec_b32 s1, s5
	s_cbranch_execz .LBB1418_68
; %bb.67:
	v_mov_b64_e32 v[40:41], v[44:45]
	v_mov_b64_e32 v[38:39], v[42:43]
	;; [unrolled: 1-line block ×8, first 2 shown]
	v_cndmask_b32_e64 v50, 0, 1, s16
	v_dual_mov_b32 v1, v62 :: v_dual_mov_b32 v12, v61
	v_dual_mov_b32 v66, v59 :: v_dual_mov_b32 v11, v58
	;; [unrolled: 1-line block ×4, first 2 shown]
	v_mov_b32_e32 v64, v52
.LBB1418_68:
	s_or_b32 exec_lo, exec_lo, s1
	v_dual_add_f64 v[42:43], v[40:41], v[26:27] :: v_dual_bitop2_b32 v47, 1, v1 bitop3:0x40
	v_and_b32_e32 v48, 1, v11
	v_and_b32_e32 v49, 1, v57
	;; [unrolled: 1-line block ×4, first 2 shown]
	v_bitop3_b16 v51, v66, 0xff, v12 bitop3:0xc8
	v_and_b32_e32 v60, 0xff, v11
	v_cmp_eq_u32_e64 s11, 1, v48
	v_and_b32_e32 v59, 0xff, v10
	v_and_b32_e32 v58, 0xff, v65
	v_bitop3_b16 v53, v65, 0xff, v10 bitop3:0xc8
	v_and_b32_e32 v57, 0xff, v57
	v_cmp_eq_u32_e64 s12, 1, v49
	v_and_b32_e32 v56, 0xff, v63
	v_and_b32_e32 v55, 0xff, v64
	v_bitop3_b16 v54, v64, 0xff, v63 bitop3:0xc8
	v_cmp_eq_u16_e64 s10, 0, v50
	v_and_b32_e32 v52, 1, v50
	v_mbcnt_lo_u32_b32 v46, -1, 0
	s_cmp_lg_u32 s27, 0
	v_cmp_eq_u32_e32 vcc_lo, 1, v47
	s_barrier_signal -1
	s_barrier_wait -1
	s_cbranch_scc0 .LBB1418_132
; %bb.69:
	v_cmp_eq_u16_e64 s1, 0, v62
	v_cmp_eq_u16_e64 s3, 0, v61
	;; [unrolled: 1-line block ×5, first 2 shown]
	v_dual_cndmask_b32 v3, v41, v43, s1 :: v_dual_cndmask_b32 v2, v40, v42, s1
	v_cmp_eq_u16_e64 s7, 0, v57
	v_cmp_eq_u16_e64 s8, 0, v56
	;; [unrolled: 1-line block ×3, first 2 shown]
	v_cmp_ne_u16_e64 s13, 0, v53
	v_add_f64_e32 v[2:3], v[38:39], v[2:3]
	v_cmp_ne_u16_e64 s14, 0, v54
	v_cmp_eq_u32_e64 s15, 1, v52
	v_cmp_ne_u16_e64 s16, 0, v51
	s_or_b32 s12, s13, s12
	v_and_b32_e32 v6, 15, v46
	s_or_b32 s13, s14, s15
	s_or_b32 s11, s16, s11
	;; [unrolled: 1-line block ×3, first 2 shown]
	s_delay_alu instid0(SALU_CYCLE_1) | instskip(NEXT) | instid1(SALU_CYCLE_1)
	s_or_b32 s11, s12, s11
	s_or_b32 vcc_lo, s11, vcc_lo
	s_mov_b32 s11, exec_lo
	v_cndmask_b32_e64 v7, 0, 1, vcc_lo
	v_cndmask_b32_e64 v8, 0, 1, vcc_lo
	s_delay_alu instid0(VALU_DEP_2) | instskip(SKIP_1) | instid1(VALU_DEP_1)
	v_mov_b32_dpp v9, v7 row_shr:1 row_mask:0xf bank_mask:0xf
	v_dual_cndmask_b32 v3, v39, v3, s3 :: v_dual_cndmask_b32 v2, v38, v2, s3
	v_add_f64_e32 v[2:3], v[36:37], v[2:3]
	s_delay_alu instid0(VALU_DEP_1) | instskip(NEXT) | instid1(VALU_DEP_1)
	v_dual_cndmask_b32 v3, v37, v3, s4 :: v_dual_cndmask_b32 v2, v36, v2, s4
	v_add_f64_e32 v[2:3], v[32:33], v[2:3]
	s_delay_alu instid0(VALU_DEP_1) | instskip(NEXT) | instid1(VALU_DEP_1)
	;; [unrolled: 3-line block ×7, first 2 shown]
	v_dual_cndmask_b32 v4, v34, v2, s10 :: v_dual_cndmask_b32 v5, v35, v3, s10
	v_mov_b32_dpp v2, v4 row_shr:1 row_mask:0xf bank_mask:0xf
	s_delay_alu instid0(VALU_DEP_2)
	v_mov_b32_dpp v3, v5 row_shr:1 row_mask:0xf bank_mask:0xf
	v_cmpx_ne_u32_e32 0, v6
	s_cbranch_execz .LBB1418_71
; %bb.70:
	s_delay_alu instid0(VALU_DEP_2) | instskip(SKIP_1) | instid1(VALU_DEP_1)
	v_add_f64_e32 v[2:3], v[4:5], v[2:3]
	v_bitop3_b16 v8, v9, v8, 1 bitop3:0xec
	v_and_b32_e32 v7, 0xffff, v8
	s_delay_alu instid0(VALU_DEP_3)
	v_dual_cndmask_b32 v5, v3, v5 :: v_dual_cndmask_b32 v4, v2, v4
.LBB1418_71:
	s_or_b32 exec_lo, exec_lo, s11
	s_delay_alu instid0(VALU_DEP_1) | instskip(NEXT) | instid1(VALU_DEP_2)
	v_mov_b32_dpp v2, v4 row_shr:2 row_mask:0xf bank_mask:0xf
	v_mov_b32_dpp v3, v5 row_shr:2 row_mask:0xf bank_mask:0xf
	v_mov_b32_dpp v9, v7 row_shr:2 row_mask:0xf bank_mask:0xf
	s_mov_b32 s12, exec_lo
	v_cmpx_lt_u32_e32 1, v6
	s_cbranch_execz .LBB1418_73
; %bb.72:
	v_dual_add_f64 v[2:3], v[4:5], v[2:3] :: v_dual_bitop2_b32 v7, 1, v8 bitop3:0x40
	v_cmp_eq_u16_e64 s11, 0, v8
	v_and_b32_e32 v9, 1, v9
	s_delay_alu instid0(VALU_DEP_3) | instskip(NEXT) | instid1(VALU_DEP_3)
	v_cmp_eq_u32_e32 vcc_lo, 1, v7
	v_cndmask_b32_e64 v5, v5, v3, s11
	s_delay_alu instid0(VALU_DEP_3) | instskip(SKIP_2) | instid1(SALU_CYCLE_1)
	v_cmp_eq_u32_e64 s10, 1, v9
	v_cndmask_b32_e64 v4, v4, v2, s11
	s_or_b32 s10, vcc_lo, s10
	v_cndmask_b32_e64 v8, 0, 1, s10
	v_cndmask_b32_e64 v7, 0, 1, s10
.LBB1418_73:
	s_or_b32 exec_lo, exec_lo, s12
	v_mov_b32_dpp v2, v4 row_shr:4 row_mask:0xf bank_mask:0xf
	v_mov_b32_dpp v3, v5 row_shr:4 row_mask:0xf bank_mask:0xf
	s_delay_alu instid0(VALU_DEP_3)
	v_mov_b32_dpp v9, v7 row_shr:4 row_mask:0xf bank_mask:0xf
	s_mov_b32 s12, exec_lo
	v_cmpx_lt_u32_e32 3, v6
	s_cbranch_execz .LBB1418_75
; %bb.74:
	v_dual_add_f64 v[2:3], v[4:5], v[2:3] :: v_dual_bitop2_b32 v7, 1, v8 bitop3:0x40
	v_cmp_eq_u16_e64 s11, 0, v8
	v_and_b32_e32 v9, 1, v9
	s_delay_alu instid0(VALU_DEP_3) | instskip(NEXT) | instid1(VALU_DEP_3)
	v_cmp_eq_u32_e32 vcc_lo, 1, v7
	v_cndmask_b32_e64 v5, v5, v3, s11
	s_delay_alu instid0(VALU_DEP_3) | instskip(SKIP_2) | instid1(SALU_CYCLE_1)
	v_cmp_eq_u32_e64 s10, 1, v9
	v_cndmask_b32_e64 v4, v4, v2, s11
	s_or_b32 s10, vcc_lo, s10
	v_cndmask_b32_e64 v8, 0, 1, s10
	v_cndmask_b32_e64 v7, 0, 1, s10
.LBB1418_75:
	s_or_b32 exec_lo, exec_lo, s12
	v_mov_b32_dpp v2, v4 row_shr:8 row_mask:0xf bank_mask:0xf
	v_mov_b32_dpp v3, v5 row_shr:8 row_mask:0xf bank_mask:0xf
	s_delay_alu instid0(VALU_DEP_3)
	v_mov_b32_dpp v9, v7 row_shr:8 row_mask:0xf bank_mask:0xf
	s_mov_b32 s12, exec_lo
	v_cmpx_lt_u32_e32 7, v6
	s_cbranch_execz .LBB1418_77
; %bb.76:
	v_dual_add_f64 v[2:3], v[4:5], v[2:3] :: v_dual_bitop2_b32 v6, 1, v8 bitop3:0x40
	v_cmp_eq_u16_e64 s11, 0, v8
	v_and_b32_e32 v7, 1, v9
	s_delay_alu instid0(VALU_DEP_3) | instskip(NEXT) | instid1(VALU_DEP_3)
	v_cmp_eq_u32_e32 vcc_lo, 1, v6
	v_cndmask_b32_e64 v5, v5, v3, s11
	s_delay_alu instid0(VALU_DEP_3) | instskip(SKIP_2) | instid1(SALU_CYCLE_1)
	v_cmp_eq_u32_e64 s10, 1, v7
	v_cndmask_b32_e64 v4, v4, v2, s11
	s_or_b32 s10, vcc_lo, s10
	v_cndmask_b32_e64 v8, 0, 1, s10
	v_cndmask_b32_e64 v7, 0, 1, s10
.LBB1418_77:
	s_or_b32 exec_lo, exec_lo, s12
	ds_swizzle_b32 v2, v4 offset:swizzle(BROADCAST,32,15)
	ds_swizzle_b32 v3, v5 offset:swizzle(BROADCAST,32,15)
	;; [unrolled: 1-line block ×3, first 2 shown]
	v_and_b32_e32 v7, 16, v46
	s_mov_b32 s12, exec_lo
	s_delay_alu instid0(VALU_DEP_1)
	v_cmpx_ne_u32_e32 0, v7
	s_cbranch_execz .LBB1418_79
; %bb.78:
	s_wait_dscnt 0x1
	v_dual_add_f64 v[2:3], v[4:5], v[2:3] :: v_dual_bitop2_b32 v7, 1, v8 bitop3:0x40
	v_cmp_eq_u16_e32 vcc_lo, 0, v8
	s_wait_dscnt 0x0
	v_and_b32_e32 v6, 1, v6
	s_delay_alu instid0(VALU_DEP_3) | instskip(NEXT) | instid1(VALU_DEP_4)
	v_cmp_eq_u32_e64 s10, 1, v7
	v_cndmask_b32_e32 v5, v5, v3, vcc_lo
	s_delay_alu instid0(VALU_DEP_3) | instskip(SKIP_2) | instid1(SALU_CYCLE_1)
	v_cmp_eq_u32_e64 s11, 1, v6
	v_cndmask_b32_e32 v4, v4, v2, vcc_lo
	s_or_b32 s10, s10, s11
	v_cndmask_b32_e64 v8, 0, 1, s10
.LBB1418_79:
	s_or_b32 exec_lo, exec_lo, s12
	s_wait_dscnt 0x1
	v_dual_lshrrev_b32 v3, 5, v0 :: v_dual_bitop2_b32 v2, 31, v0 bitop3:0x54
	s_mov_b32 s10, exec_lo
	s_delay_alu instid0(VALU_DEP_1) | instskip(NEXT) | instid1(VALU_DEP_2)
	v_lshlrev_b32_e32 v9, 4, v3
	v_cmpx_eq_u32_e64 v0, v2
	s_cbranch_execz .LBB1418_81
; %bb.80:
	ds_store_b64 v9, v[4:5]
	ds_store_b8 v9, v8 offset:8
.LBB1418_81:
	s_or_b32 exec_lo, exec_lo, s10
	s_delay_alu instid0(SALU_CYCLE_1)
	s_mov_b32 s12, exec_lo
	s_wait_dscnt 0x0
	s_barrier_signal -1
	s_barrier_wait -1
	v_cmpx_gt_u32_e32 4, v0
	s_cbranch_execz .LBB1418_87
; %bb.82:
	v_dual_lshlrev_b32 v10, 4, v0 :: v_dual_bitop2_b32 v12, 3, v46 bitop3:0x40
	s_mov_b32 s10, exec_lo
	ds_load_b64 v[2:3], v10
	ds_load_b32 v11, v10 offset:8
	s_wait_dscnt 0x1
	v_mov_b32_dpp v6, v2 row_shr:1 row_mask:0xf bank_mask:0xf
	v_mov_b32_dpp v7, v3 row_shr:1 row_mask:0xf bank_mask:0xf
	s_wait_dscnt 0x0
	v_mov_b32_dpp v15, v11 row_shr:1 row_mask:0xf bank_mask:0xf
	v_dual_mov_b32 v14, v11 :: v_dual_mov_b32 v13, v11
	v_cmpx_ne_u32_e32 0, v12
	s_cbranch_execz .LBB1418_84
; %bb.83:
	v_add_f64_e32 v[6:7], v[2:3], v[6:7]
	v_and_b32_e32 v13, 0xff, v11
	s_delay_alu instid0(VALU_DEP_1) | instskip(SKIP_2) | instid1(VALU_DEP_1)
	v_cmp_eq_u16_e32 vcc_lo, 0, v13
	v_or_b32_e32 v14, v15, v11
	v_bitop3_b32 v13, v15, 1, v11 bitop3:0xc8
	v_and_or_b32 v11, 0xffffff00, v11, v13
	v_dual_cndmask_b32 v3, v3, v7 :: v_dual_cndmask_b32 v2, v2, v6
	s_delay_alu instid0(VALU_DEP_4)
	v_and_b32_e32 v14, 1, v14
.LBB1418_84:
	s_or_b32 exec_lo, exec_lo, s10
	s_delay_alu instid0(VALU_DEP_2) | instskip(NEXT) | instid1(VALU_DEP_3)
	v_mov_b32_dpp v6, v2 row_shr:2 row_mask:0xf bank_mask:0xf
	v_mov_b32_dpp v7, v3 row_shr:2 row_mask:0xf bank_mask:0xf
	;; [unrolled: 1-line block ×3, first 2 shown]
	s_mov_b32 s13, exec_lo
	v_cmpx_lt_u32_e32 1, v12
	s_cbranch_execz .LBB1418_86
; %bb.85:
	v_add_f64_e32 v[6:7], v[2:3], v[6:7]
	v_and_b32_e32 v12, 0xff, v13
	v_and_b32_e32 v13, 1, v13
	s_delay_alu instid0(VALU_DEP_2) | instskip(SKIP_1) | instid1(VALU_DEP_3)
	v_cmp_eq_u16_e32 vcc_lo, 0, v12
	v_and_b32_e32 v11, 1, v11
	v_cmp_eq_u32_e64 s10, 1, v13
	v_cndmask_b32_e32 v2, v2, v6, vcc_lo
	s_delay_alu instid0(VALU_DEP_3) | instskip(SKIP_2) | instid1(SALU_CYCLE_1)
	v_cmp_eq_u32_e64 s11, 1, v11
	v_cndmask_b32_e32 v3, v3, v7, vcc_lo
	s_or_b32 s10, s10, s11
	v_cndmask_b32_e64 v14, 0, 1, s10
.LBB1418_86:
	s_or_b32 exec_lo, exec_lo, s13
	ds_store_b64 v10, v[2:3]
	ds_store_b8 v10, v14 offset:8
.LBB1418_87:
	s_or_b32 exec_lo, exec_lo, s12
	v_mov_b64_e32 v[2:3], 0
	v_mov_b32_e32 v14, 0
	s_mov_b32 s11, exec_lo
	v_cmp_gt_u32_e32 vcc_lo, 32, v0
	s_wait_dscnt 0x0
	s_barrier_signal -1
	s_barrier_wait -1
	v_cmpx_lt_u32_e32 31, v0
	s_cbranch_execz .LBB1418_89
; %bb.88:
	v_dual_add_nc_u32 v2, -16, v9 :: v_dual_add_nc_u32 v6, -8, v9
	v_cmp_eq_u16_e64 s10, 0, v8
	ds_load_b64 v[2:3], v2
	ds_load_u8 v14, v6
	s_wait_dscnt 0x0
	v_dual_add_f64 v[6:7], v[4:5], v[2:3] :: v_dual_bitop2_b32 v8, v14, v8 bitop3:0x54
	s_delay_alu instid0(VALU_DEP_1)
	v_dual_cndmask_b32 v5, v5, v7, s10 :: v_dual_cndmask_b32 v4, v4, v6, s10
.LBB1418_89:
	s_or_b32 exec_lo, exec_lo, s11
	v_sub_co_u32 v6, s10, v46, 1
	s_delay_alu instid0(VALU_DEP_3) | instskip(NEXT) | instid1(VALU_DEP_2)
	v_and_b32_e32 v7, 0xff, v8
	v_cmp_gt_i32_e64 s11, 0, v6
	s_delay_alu instid0(VALU_DEP_1) | instskip(NEXT) | instid1(VALU_DEP_1)
	v_cndmask_b32_e64 v6, v6, v46, s11
	v_lshlrev_b32_e32 v6, 2, v6
	ds_bpermute_b32 v16, v6, v4
	ds_bpermute_b32 v17, v6, v5
	;; [unrolled: 1-line block ×3, first 2 shown]
	s_and_saveexec_b32 s13, vcc_lo
	s_cbranch_execz .LBB1418_169
; %bb.90:
	v_mov_b32_e32 v9, 0
	ds_load_b64 v[4:5], v9 offset:48
	ds_load_u8 v18, v9 offset:56
	s_and_saveexec_b32 s11, s10
	s_cbranch_execz .LBB1418_92
; %bb.91:
	s_add_co_i32 s14, s27, 32
	s_mov_b32 s15, 0
	v_dual_mov_b32 v6, 1 :: v_dual_mov_b32 v7, s14
	s_lshl_b64 s[40:41], s[14:15], 4
	s_delay_alu instid0(SALU_CYCLE_1)
	s_add_nc_u64 s[14:15], s[20:21], s[40:41]
	s_wait_dscnt 0x1
	global_store_b64 v9, v[4:5], s[14:15]
	s_wait_dscnt 0x0
	global_store_b8 v9, v18, s[14:15] offset:8
	global_wb scope:SCOPE_DEV
	s_wait_storecnt 0x0
	global_inv scope:SCOPE_DEV
	s_wait_xcnt 0x0
	global_store_b8 v7, v6, s[24:25] scope:SCOPE_DEV
.LBB1418_92:
	s_wait_xcnt 0x0
	s_or_b32 exec_lo, exec_lo, s11
	v_xad_u32 v6, v46, -1, s27
	s_mov_b32 s12, 0
	s_mov_b32 s11, exec_lo
	s_delay_alu instid0(VALU_DEP_1)
	v_add_nc_u32_e32 v8, 32, v6
	global_load_u8 v19, v8, s[24:25] scope:SCOPE_DEV
	s_wait_loadcnt 0x0
	v_cmpx_eq_u16_e32 0, v19
	s_cbranch_execz .LBB1418_96
; %bb.93:
	v_add_nc_u64_e32 v[10:11], s[24:25], v[8:9]
.LBB1418_94:                            ; =>This Inner Loop Header: Depth=1
	global_load_u8 v19, v[10:11], off scope:SCOPE_DEV
	s_wait_loadcnt 0x0
	v_cmp_ne_u16_e32 vcc_lo, 0, v19
	s_or_b32 s12, vcc_lo, s12
	s_wait_xcnt 0x0
	s_and_not1_b32 exec_lo, exec_lo, s12
	s_cbranch_execnz .LBB1418_94
; %bb.95:
	s_or_b32 exec_lo, exec_lo, s12
.LBB1418_96:
	s_delay_alu instid0(SALU_CYCLE_1)
	s_or_b32 exec_lo, exec_lo, s11
	v_dual_mov_b32 v7, s21 :: v_dual_mov_b32 v10, s20
	v_cmp_eq_u16_e32 vcc_lo, 1, v19
	global_wb scope:SCOPE_DEV
	s_wait_storecnt_dscnt 0x0
	global_inv scope:SCOPE_DEV
	v_lshlrev_b32_e64 v21, v46, -1
	s_mov_b32 s11, exec_lo
	v_cndmask_b32_e32 v11, s23, v7, vcc_lo
	v_cndmask_b32_e32 v10, s22, v10, vcc_lo
	v_cmp_ne_u32_e32 vcc_lo, 31, v46
	v_add_co_ci_u32_e64 v7, null, 0, v46, vcc_lo
	v_cmp_eq_u16_e32 vcc_lo, 2, v19
	s_delay_alu instid0(VALU_DEP_2)
	v_lshlrev_b32_e32 v20, 2, v7
	v_lshl_add_u64 v[8:9], v[8:9], 4, v[10:11]
	s_clause 0x1
	global_load_u8 v12, v[8:9], off offset:8
	global_load_b64 v[10:11], v[8:9], off
	v_and_or_b32 v7, vcc_lo, v21, 0x80000000
	s_delay_alu instid0(VALU_DEP_1)
	v_ctz_i32_b32_e32 v7, v7
	s_wait_loadcnt 0x1
	v_and_b32_e32 v13, 1, v12
	s_wait_loadcnt 0x0
	ds_bpermute_b32 v8, v20, v10
	ds_bpermute_b32 v9, v20, v11
	;; [unrolled: 1-line block ×3, first 2 shown]
	v_cmpx_lt_u32_e64 v46, v7
	s_cbranch_execz .LBB1418_98
; %bb.97:
	s_wait_dscnt 0x1
	v_add_f64_e32 v[8:9], v[10:11], v[8:9]
	v_and_b32_e32 v13, 0xff, v12
	s_wait_dscnt 0x0
	v_bitop3_b16 v12, v44, v12, 1 bitop3:0xec
	s_delay_alu instid0(VALU_DEP_2) | instskip(NEXT) | instid1(VALU_DEP_2)
	v_cmp_eq_u16_e32 vcc_lo, 0, v13
	v_and_b32_e32 v13, 0xff, v12
	v_dual_cndmask_b32 v11, v11, v9 :: v_dual_cndmask_b32 v10, v10, v8
.LBB1418_98:
	s_or_b32 exec_lo, exec_lo, s11
	v_cmp_gt_u32_e32 vcc_lo, 30, v46
	v_add_nc_u32_e32 v45, 2, v46
	s_mov_b32 s14, exec_lo
	s_wait_dscnt 0x2
	v_cndmask_b32_e64 v8, 0, 2, vcc_lo
	s_wait_dscnt 0x0
	s_delay_alu instid0(VALU_DEP_1)
	v_add_lshl_u32 v44, v8, v46, 2
	ds_bpermute_b32 v8, v44, v10
	ds_bpermute_b32 v9, v44, v11
	;; [unrolled: 1-line block ×3, first 2 shown]
	v_cmpx_le_u32_e64 v45, v7
	s_cbranch_execz .LBB1418_100
; %bb.99:
	s_wait_dscnt 0x0
	v_dual_add_f64 v[8:9], v[10:11], v[8:9] :: v_dual_bitop2_b32 v63, 1, v63 bitop3:0x40
	v_and_b32_e32 v13, 1, v12
	v_and_b32_e32 v12, 0xff, v12
	s_delay_alu instid0(VALU_DEP_3) | instskip(NEXT) | instid1(VALU_DEP_2)
	v_cmp_eq_u32_e64 s11, 1, v63
	v_cmp_eq_u16_e64 s12, 0, v12
	s_delay_alu instid0(VALU_DEP_1) | instskip(SKIP_3) | instid1(SALU_CYCLE_1)
	v_cndmask_b32_e64 v11, v11, v9, s12
	v_cmp_eq_u32_e32 vcc_lo, 1, v13
	v_cndmask_b32_e64 v10, v10, v8, s12
	s_or_b32 s11, vcc_lo, s11
	v_cndmask_b32_e64 v12, 0, 1, s11
	v_cndmask_b32_e64 v13, 0, 1, s11
.LBB1418_100:
	s_or_b32 exec_lo, exec_lo, s14
	v_cmp_gt_u32_e32 vcc_lo, 28, v46
	v_add_nc_u32_e32 v64, 4, v46
	s_mov_b32 s14, exec_lo
	s_wait_dscnt 0x2
	v_cndmask_b32_e64 v8, 0, 4, vcc_lo
	s_wait_dscnt 0x0
	s_delay_alu instid0(VALU_DEP_1)
	v_add_lshl_u32 v63, v8, v46, 2
	ds_bpermute_b32 v8, v63, v10
	ds_bpermute_b32 v9, v63, v11
	;; [unrolled: 1-line block ×3, first 2 shown]
	v_cmpx_le_u32_e64 v64, v7
	s_cbranch_execz .LBB1418_102
; %bb.101:
	s_wait_dscnt 0x1
	v_add_f64_e32 v[8:9], v[10:11], v[8:9]
	v_and_b32_e32 v13, 1, v12
	v_and_b32_e32 v12, 0xff, v12
	s_delay_alu instid0(VALU_DEP_1) | instskip(SKIP_1) | instid1(VALU_DEP_1)
	v_cmp_eq_u16_e64 s12, 0, v12
	s_wait_dscnt 0x0
	v_dual_cndmask_b32 v10, v10, v8, s12 :: v_dual_bitop2_b32 v65, 1, v65 bitop3:0x40
	s_delay_alu instid0(VALU_DEP_1) | instskip(SKIP_3) | instid1(SALU_CYCLE_1)
	v_cmp_eq_u32_e64 s11, 1, v65
	v_cndmask_b32_e64 v11, v11, v9, s12
	v_cmp_eq_u32_e32 vcc_lo, 1, v13
	s_or_b32 s11, vcc_lo, s11
	v_cndmask_b32_e64 v12, 0, 1, s11
	v_cndmask_b32_e64 v13, 0, 1, s11
.LBB1418_102:
	s_or_b32 exec_lo, exec_lo, s14
	v_cmp_gt_u32_e32 vcc_lo, 24, v46
	v_add_nc_u32_e32 v66, 8, v46
	s_mov_b32 s14, exec_lo
	s_wait_dscnt 0x2
	v_cndmask_b32_e64 v8, 0, 8, vcc_lo
	s_wait_dscnt 0x0
	s_delay_alu instid0(VALU_DEP_1)
	v_add_lshl_u32 v65, v8, v46, 2
	ds_bpermute_b32 v8, v65, v10
	ds_bpermute_b32 v9, v65, v11
	;; [unrolled: 1-line block ×3, first 2 shown]
	v_cmpx_le_u32_e64 v66, v7
	s_cbranch_execz .LBB1418_104
; %bb.103:
	s_wait_dscnt 0x0
	v_dual_add_f64 v[8:9], v[10:11], v[8:9] :: v_dual_bitop2_b32 v67, 1, v67 bitop3:0x40
	v_and_b32_e32 v13, 1, v12
	v_and_b32_e32 v12, 0xff, v12
	s_delay_alu instid0(VALU_DEP_3) | instskip(NEXT) | instid1(VALU_DEP_2)
	v_cmp_eq_u32_e64 s11, 1, v67
	v_cmp_eq_u16_e64 s12, 0, v12
	s_delay_alu instid0(VALU_DEP_1) | instskip(SKIP_3) | instid1(SALU_CYCLE_1)
	v_cndmask_b32_e64 v11, v11, v9, s12
	v_cmp_eq_u32_e32 vcc_lo, 1, v13
	v_cndmask_b32_e64 v10, v10, v8, s12
	s_or_b32 s11, vcc_lo, s11
	v_cndmask_b32_e64 v12, 0, 1, s11
	v_cndmask_b32_e64 v13, 0, 1, s11
.LBB1418_104:
	s_or_b32 exec_lo, exec_lo, s14
	s_wait_dscnt 0x0
	v_lshl_or_b32 v67, v46, 2, 64
	v_add_nc_u32_e32 v68, 16, v46
	s_mov_b32 s14, exec_lo
	ds_bpermute_b32 v8, v67, v10
	ds_bpermute_b32 v9, v67, v11
	;; [unrolled: 1-line block ×3, first 2 shown]
	v_cmpx_le_u32_e64 v68, v7
	s_cbranch_execz .LBB1418_106
; %bb.105:
	s_wait_dscnt 0x1
	v_add_f64_e32 v[8:9], v[10:11], v[8:9]
	v_and_b32_e32 v7, 0xff, v12
	s_delay_alu instid0(VALU_DEP_1) | instskip(SKIP_2) | instid1(VALU_DEP_4)
	v_cmp_eq_u16_e32 vcc_lo, 0, v7
	v_and_b32_e32 v12, 1, v12
	s_wait_dscnt 0x0
	v_dual_cndmask_b32 v10, v10, v8, vcc_lo :: v_dual_bitop2_b32 v13, 1, v13 bitop3:0x40
	s_delay_alu instid0(VALU_DEP_1) | instskip(SKIP_3) | instid1(SALU_CYCLE_1)
	v_cmp_eq_u32_e64 s12, 1, v13
	v_cndmask_b32_e32 v11, v11, v9, vcc_lo
	v_cmp_eq_u32_e64 s11, 1, v12
	s_or_b32 s11, s11, s12
	v_cndmask_b32_e64 v12, 0, 1, s11
.LBB1418_106:
	s_or_b32 exec_lo, exec_lo, s14
	v_mov_b32_e32 v7, 0
	s_branch .LBB1418_109
.LBB1418_107:                           ;   in Loop: Header=BB1418_109 Depth=1
	s_or_b32 exec_lo, exec_lo, s15
	s_wait_dscnt 0x1
	v_dual_add_f64 v[10:11], v[8:9], v[10:11] :: v_dual_bitop2_b32 v13, 1, v69 bitop3:0x40
	v_and_b32_e32 v12, 0xff, v69
	v_subrev_nc_u32_e32 v6, 32, v6
	s_delay_alu instid0(VALU_DEP_3) | instskip(NEXT) | instid1(VALU_DEP_3)
	v_cmp_eq_u32_e64 s11, 1, v13
	v_cmp_eq_u16_e32 vcc_lo, 0, v12
	s_or_b32 s11, s11, s14
	s_delay_alu instid0(SALU_CYCLE_1)
	v_cndmask_b32_e64 v12, 0, 1, s11
	s_mov_b32 s11, 0
	v_dual_cndmask_b32 v11, v9, v11 :: v_dual_cndmask_b32 v10, v8, v10
.LBB1418_108:                           ;   in Loop: Header=BB1418_109 Depth=1
	s_and_b32 vcc_lo, exec_lo, s11
	s_cbranch_vccnz .LBB1418_165
.LBB1418_109:                           ; =>This Loop Header: Depth=1
                                        ;     Child Loop BB1418_112 Depth 2
	s_wait_dscnt 0x2
	v_and_b32_e32 v8, 0xff, v19
	v_mov_b32_e32 v69, v12
	s_mov_b32 s11, -1
                                        ; implicit-def: $vgpr12
                                        ; implicit-def: $vgpr19
	s_delay_alu instid0(VALU_DEP_2)
	v_cmp_ne_u16_e32 vcc_lo, 2, v8
	s_wait_dscnt 0x1
	v_mov_b64_e32 v[8:9], v[10:11]
                                        ; implicit-def: $vgpr10_vgpr11
	s_cmp_lg_u32 vcc_lo, exec_lo
	s_cbranch_scc1 .LBB1418_108
; %bb.110:                              ;   in Loop: Header=BB1418_109 Depth=1
	global_load_u8 v19, v6, s[24:25] scope:SCOPE_DEV
	s_mov_b32 s11, exec_lo
	s_wait_loadcnt 0x0
	s_wait_xcnt 0x0
	v_cmpx_eq_u16_e32 0, v19
	s_cbranch_execz .LBB1418_114
; %bb.111:                              ;   in Loop: Header=BB1418_109 Depth=1
	v_add_nc_u64_e32 v[10:11], s[24:25], v[6:7]
	s_mov_b32 s12, 0
.LBB1418_112:                           ;   Parent Loop BB1418_109 Depth=1
                                        ; =>  This Inner Loop Header: Depth=2
	global_load_u8 v19, v[10:11], off scope:SCOPE_DEV
	s_wait_loadcnt 0x0
	v_cmp_ne_u16_e32 vcc_lo, 0, v19
	s_or_b32 s12, vcc_lo, s12
	s_wait_xcnt 0x0
	s_and_not1_b32 exec_lo, exec_lo, s12
	s_cbranch_execnz .LBB1418_112
; %bb.113:                              ;   in Loop: Header=BB1418_109 Depth=1
	s_or_b32 exec_lo, exec_lo, s12
.LBB1418_114:                           ;   in Loop: Header=BB1418_109 Depth=1
	s_delay_alu instid0(SALU_CYCLE_1)
	s_or_b32 exec_lo, exec_lo, s11
	v_dual_mov_b32 v10, s21 :: v_dual_mov_b32 v12, s20
	v_cmp_eq_u16_e32 vcc_lo, 1, v19
	global_wb scope:SCOPE_DEV
	s_wait_storecnt_dscnt 0x0
	global_inv scope:SCOPE_DEV
	s_mov_b32 s11, exec_lo
	v_cndmask_b32_e32 v11, s23, v10, vcc_lo
	v_cndmask_b32_e32 v10, s22, v12, vcc_lo
	v_cmp_eq_u16_e32 vcc_lo, 2, v19
	s_delay_alu instid0(VALU_DEP_2)
	v_lshl_add_u64 v[12:13], v[6:7], 4, v[10:11]
	v_and_or_b32 v71, vcc_lo, v21, 0x80000000
	s_clause 0x1
	global_load_u8 v70, v[12:13], off offset:8
	global_load_b64 v[10:11], v[12:13], off
	v_ctz_i32_b32_e32 v71, v71
	s_wait_loadcnt 0x1
	v_and_b32_e32 v72, 1, v70
	s_wait_loadcnt 0x0
	s_wait_xcnt 0x0
	ds_bpermute_b32 v12, v20, v10
	ds_bpermute_b32 v13, v20, v11
	;; [unrolled: 1-line block ×3, first 2 shown]
	v_cmpx_lt_u32_e64 v46, v71
	s_cbranch_execz .LBB1418_116
; %bb.115:                              ;   in Loop: Header=BB1418_109 Depth=1
	s_wait_dscnt 0x1
	v_add_f64_e32 v[12:13], v[10:11], v[12:13]
	v_and_b32_e32 v72, 0xff, v70
	s_wait_dscnt 0x0
	v_bitop3_b16 v70, v73, v70, 1 bitop3:0xec
	s_delay_alu instid0(VALU_DEP_2) | instskip(NEXT) | instid1(VALU_DEP_2)
	v_cmp_eq_u16_e32 vcc_lo, 0, v72
	v_and_b32_e32 v72, 0xff, v70
	v_dual_cndmask_b32 v11, v11, v13 :: v_dual_cndmask_b32 v10, v10, v12
.LBB1418_116:                           ;   in Loop: Header=BB1418_109 Depth=1
	s_or_b32 exec_lo, exec_lo, s11
	s_wait_dscnt 0x2
	ds_bpermute_b32 v12, v44, v10
	s_wait_dscnt 0x2
	ds_bpermute_b32 v13, v44, v11
	;; [unrolled: 2-line block ×3, first 2 shown]
	v_and_b32_e32 v74, 1, v70
	s_mov_b32 s12, exec_lo
	s_delay_alu instid0(VALU_DEP_1)
	v_cmp_eq_u32_e64 s14, 1, v74
	v_cmpx_le_u32_e64 v45, v71
	s_cbranch_execz .LBB1418_118
; %bb.117:                              ;   in Loop: Header=BB1418_109 Depth=1
	s_wait_dscnt 0x1
	v_add_f64_e32 v[12:13], v[10:11], v[12:13]
	v_and_b32_e32 v70, 0xff, v70
	s_delay_alu instid0(VALU_DEP_1) | instskip(SKIP_1) | instid1(VALU_DEP_1)
	v_cmp_eq_u16_e64 s11, 0, v70
	s_wait_dscnt 0x0
	v_dual_cndmask_b32 v10, v10, v12, s11 :: v_dual_bitop2_b32 v72, 1, v73 bitop3:0x40
	s_delay_alu instid0(VALU_DEP_1) | instskip(SKIP_3) | instid1(SALU_CYCLE_1)
	v_cmp_eq_u32_e32 vcc_lo, 1, v72
	v_cndmask_b32_e64 v11, v11, v13, s11
	s_and_not1_b32 s11, s14, exec_lo
	s_or_b32 s15, s14, vcc_lo
	v_cndmask_b32_e64 v70, 0, 1, s15
	v_cndmask_b32_e64 v72, 0, 1, s15
	s_and_b32 s14, s15, exec_lo
	s_delay_alu instid0(SALU_CYCLE_1)
	s_or_b32 s14, s11, s14
.LBB1418_118:                           ;   in Loop: Header=BB1418_109 Depth=1
	s_or_b32 exec_lo, exec_lo, s12
	s_wait_dscnt 0x2
	ds_bpermute_b32 v12, v63, v10
	s_wait_dscnt 0x2
	ds_bpermute_b32 v13, v63, v11
	;; [unrolled: 2-line block ×3, first 2 shown]
	s_mov_b32 s15, exec_lo
	v_cmpx_le_u32_e64 v64, v71
	s_cbranch_execz .LBB1418_120
; %bb.119:                              ;   in Loop: Header=BB1418_109 Depth=1
	s_wait_dscnt 0x1
	v_dual_add_f64 v[12:13], v[10:11], v[12:13] :: v_dual_bitop2_b32 v72, 1, v70 bitop3:0x40
	v_and_b32_e32 v70, 0xff, v70
	s_delay_alu instid0(VALU_DEP_2) | instskip(NEXT) | instid1(VALU_DEP_2)
	v_cmp_eq_u32_e32 vcc_lo, 1, v72
	v_cmp_eq_u16_e64 s12, 0, v70
	s_wait_dscnt 0x0
	s_delay_alu instid0(VALU_DEP_1) | instskip(NEXT) | instid1(VALU_DEP_1)
	v_dual_cndmask_b32 v10, v10, v12, s12 :: v_dual_bitop2_b32 v73, 1, v73 bitop3:0x40
	v_cmp_eq_u32_e64 s11, 1, v73
	v_cndmask_b32_e64 v11, v11, v13, s12
	s_and_not1_b32 s12, s14, exec_lo
	s_or_b32 s11, vcc_lo, s11
	s_delay_alu instid0(SALU_CYCLE_1) | instskip(SKIP_2) | instid1(SALU_CYCLE_1)
	v_cndmask_b32_e64 v70, 0, 1, s11
	v_cndmask_b32_e64 v72, 0, 1, s11
	s_and_b32 s11, s11, exec_lo
	s_or_b32 s14, s12, s11
.LBB1418_120:                           ;   in Loop: Header=BB1418_109 Depth=1
	s_or_b32 exec_lo, exec_lo, s15
	s_wait_dscnt 0x2
	ds_bpermute_b32 v12, v65, v10
	s_wait_dscnt 0x2
	ds_bpermute_b32 v13, v65, v11
	;; [unrolled: 2-line block ×3, first 2 shown]
	s_mov_b32 s15, exec_lo
	v_cmpx_le_u32_e64 v66, v71
	s_cbranch_execz .LBB1418_122
; %bb.121:                              ;   in Loop: Header=BB1418_109 Depth=1
	s_wait_dscnt 0x1
	v_dual_add_f64 v[12:13], v[10:11], v[12:13] :: v_dual_bitop2_b32 v72, 1, v70 bitop3:0x40
	v_and_b32_e32 v70, 0xff, v70
	s_delay_alu instid0(VALU_DEP_2) | instskip(NEXT) | instid1(VALU_DEP_2)
	v_cmp_eq_u32_e32 vcc_lo, 1, v72
	v_cmp_eq_u16_e64 s12, 0, v70
	s_wait_dscnt 0x0
	s_delay_alu instid0(VALU_DEP_1) | instskip(NEXT) | instid1(VALU_DEP_1)
	v_dual_cndmask_b32 v10, v10, v12, s12 :: v_dual_bitop2_b32 v73, 1, v73 bitop3:0x40
	v_cmp_eq_u32_e64 s11, 1, v73
	v_cndmask_b32_e64 v11, v11, v13, s12
	s_and_not1_b32 s12, s14, exec_lo
	s_or_b32 s11, vcc_lo, s11
	s_delay_alu instid0(SALU_CYCLE_1) | instskip(SKIP_2) | instid1(SALU_CYCLE_1)
	v_cndmask_b32_e64 v70, 0, 1, s11
	v_cndmask_b32_e64 v72, 0, 1, s11
	s_and_b32 s11, s11, exec_lo
	s_or_b32 s14, s12, s11
.LBB1418_122:                           ;   in Loop: Header=BB1418_109 Depth=1
	s_or_b32 exec_lo, exec_lo, s15
	s_wait_dscnt 0x2
	ds_bpermute_b32 v12, v67, v10
	s_wait_dscnt 0x2
	ds_bpermute_b32 v13, v67, v11
	ds_bpermute_b32 v72, v67, v72
	s_mov_b32 s15, exec_lo
	v_cmpx_le_u32_e64 v68, v71
	s_cbranch_execz .LBB1418_107
; %bb.123:                              ;   in Loop: Header=BB1418_109 Depth=1
	s_wait_dscnt 0x1
	v_dual_add_f64 v[12:13], v[10:11], v[12:13] :: v_dual_bitop2_b32 v71, 1, v70 bitop3:0x40
	v_and_b32_e32 v70, 0xff, v70
	s_delay_alu instid0(VALU_DEP_2) | instskip(NEXT) | instid1(VALU_DEP_2)
	v_cmp_eq_u32_e32 vcc_lo, 1, v71
	v_cmp_eq_u16_e64 s12, 0, v70
	s_wait_dscnt 0x0
	s_delay_alu instid0(VALU_DEP_1) | instskip(NEXT) | instid1(VALU_DEP_1)
	v_dual_cndmask_b32 v11, v11, v13, s12 :: v_dual_bitop2_b32 v72, 1, v72 bitop3:0x40
	v_cmp_eq_u32_e64 s11, 1, v72
	v_cndmask_b32_e64 v10, v10, v12, s12
	s_and_not1_b32 s12, s14, exec_lo
	s_or_b32 s11, vcc_lo, s11
	s_delay_alu instid0(SALU_CYCLE_1) | instskip(NEXT) | instid1(SALU_CYCLE_1)
	s_and_b32 s11, s11, exec_lo
	s_or_b32 s14, s12, s11
	s_branch .LBB1418_107
.LBB1418_124:
	s_or_b32 exec_lo, exec_lo, s11
                                        ; implicit-def: $vgpr12_vgpr13
	s_and_saveexec_b32 s11, s1
	s_cbranch_execz .LBB1418_29
.LBB1418_125:
	flat_load_b64 v[12:13], v0, s[12:13] offset:1024 scale_offset
	s_wait_xcnt 0x0
	s_or_b32 exec_lo, exec_lo, s11
                                        ; implicit-def: $vgpr14_vgpr15
	s_and_saveexec_b32 s1, s3
	s_cbranch_execnz .LBB1418_30
.LBB1418_126:
	s_or_b32 exec_lo, exec_lo, s1
                                        ; implicit-def: $vgpr16_vgpr17
	s_and_saveexec_b32 s1, s4
	s_cbranch_execz .LBB1418_31
.LBB1418_127:
	flat_load_b64 v[16:17], v0, s[12:13] offset:3072 scale_offset
	s_wait_xcnt 0x0
	s_or_b32 exec_lo, exec_lo, s1
                                        ; implicit-def: $vgpr18_vgpr19
	s_and_saveexec_b32 s1, s5
	s_cbranch_execnz .LBB1418_32
.LBB1418_128:
	s_or_b32 exec_lo, exec_lo, s1
                                        ; implicit-def: $vgpr20_vgpr21
	s_and_saveexec_b32 s1, s6
	s_cbranch_execz .LBB1418_33
.LBB1418_129:
	flat_load_b64 v[20:21], v0, s[12:13] offset:5120 scale_offset
	s_wait_xcnt 0x0
	s_or_b32 exec_lo, exec_lo, s1
                                        ; implicit-def: $vgpr22_vgpr23
	s_and_saveexec_b32 s1, s7
	s_cbranch_execnz .LBB1418_34
.LBB1418_130:
	s_or_b32 exec_lo, exec_lo, s1
                                        ; implicit-def: $vgpr24_vgpr25
	s_and_saveexec_b32 s1, s8
	s_cbranch_execz .LBB1418_35
.LBB1418_131:
	flat_load_b64 v[24:25], v0, s[12:13] offset:7168 scale_offset
	s_wait_xcnt 0x0
	s_or_b32 exec_lo, exec_lo, s1
                                        ; implicit-def: $vgpr26_vgpr27
	s_and_saveexec_b32 s1, s9
	s_cbranch_execz .LBB1418_37
	s_branch .LBB1418_36
.LBB1418_132:
                                        ; implicit-def: $vgpr2_vgpr3
                                        ; implicit-def: $vgpr20_vgpr21
                                        ; implicit-def: $vgpr16_vgpr17
                                        ; implicit-def: $vgpr12_vgpr13
                                        ; implicit-def: $vgpr8_vgpr9
	s_cbranch_execnz .LBB1418_170
.LBB1418_133:
	s_add_nc_u64 s[2:3], s[18:19], s[34:35]
	s_and_b32 vcc_lo, exec_lo, s0
	s_add_nc_u64 s[0:1], s[2:3], s[28:29]
	s_cbranch_vccz .LBB1418_195
.LBB1418_134:
	v_mul_u32_u24_e32 v1, 10, v0
	s_add_co_i32 s17, s17, s26
	s_mov_b32 s2, exec_lo
	s_delay_alu instid0(VALU_DEP_1)
	v_cmpx_gt_u32_e64 s17, v1
	s_cbranch_execz .LBB1418_146
; %bb.135:
	v_or_b32_e32 v22, 1, v1
	s_mov_b32 s3, exec_lo
	s_delay_alu instid0(VALU_DEP_1)
	v_cmpx_gt_u32_e64 s17, v22
	s_cbranch_execz .LBB1418_145
; %bb.136:
	v_add_nc_u32_e32 v22, 2, v1
	s_mov_b32 s4, exec_lo
	s_delay_alu instid0(VALU_DEP_1)
	v_cmpx_gt_u32_e64 s17, v22
	s_cbranch_execz .LBB1418_144
; %bb.137:
	v_add_nc_u32_e32 v22, 3, v1
	s_mov_b32 s5, exec_lo
	s_delay_alu instid0(VALU_DEP_1)
	v_cmpx_gt_u32_e64 s17, v22
	s_cbranch_execz .LBB1418_143
; %bb.138:
	v_add_nc_u32_e32 v22, 4, v1
	s_mov_b32 s6, exec_lo
	s_delay_alu instid0(VALU_DEP_1)
	v_cmpx_gt_u32_e64 s17, v22
	s_cbranch_execz .LBB1418_142
; %bb.139:
	v_add_nc_u32_e32 v22, 5, v1
	s_mov_b32 s7, exec_lo
	s_delay_alu instid0(VALU_DEP_1)
	v_cmpx_gt_u32_e64 s17, v22
; %bb.140:
	v_add_nc_u32_e32 v22, 6, v1
	s_mov_b32 s8, exec_lo
	s_delay_alu instid0(VALU_DEP_1)
	v_cmpx_gt_u32_e64 s17, v22
	s_or_b32 exec_lo, exec_lo, s8
; %bb.141:
	s_delay_alu instid0(SALU_CYCLE_1)
	s_or_b32 exec_lo, exec_lo, s7
.LBB1418_142:
	s_delay_alu instid0(SALU_CYCLE_1)
	s_or_b32 exec_lo, exec_lo, s6
.LBB1418_143:
	s_delay_alu instid0(SALU_CYCLE_1)
	s_or_b32 exec_lo, exec_lo, s5
.LBB1418_144:
	s_delay_alu instid0(SALU_CYCLE_1)
	s_or_b32 exec_lo, exec_lo, s4
.LBB1418_145:
	s_delay_alu instid0(SALU_CYCLE_1)
	s_or_b32 exec_lo, exec_lo, s3
.LBB1418_146:
	s_delay_alu instid0(SALU_CYCLE_1)
	s_or_b32 exec_lo, exec_lo, s2
	v_dual_lshlrev_b32 v1, 3, v1 :: v_dual_mov_b32 v41, 0
	s_wait_loadcnt 0x0
	s_wait_storecnt 0x0
	s_barrier_signal -1
	s_barrier_wait -1
	v_mad_i32_i24 v22, 0xffffffb8, v0, v1
	ds_store_b128 v1, v[2:5]
	ds_store_b128 v1, v[6:9] offset:16
	ds_store_b128 v1, v[10:13] offset:32
	ds_store_b128 v1, v[14:17] offset:48
	ds_store_b128 v1, v[18:21] offset:64
	s_wait_dscnt 0x0
	s_barrier_signal -1
	s_barrier_wait -1
	ds_load_2addr_stride64_b64 v[36:39], v22 offset0:2 offset1:4
	ds_load_2addr_stride64_b64 v[32:35], v22 offset0:6 offset1:8
	;; [unrolled: 1-line block ×4, first 2 shown]
	ds_load_b64 v[22:23], v22 offset:9216
	v_lshlrev_b32_e32 v40, 3, v0
	s_mov_b32 s2, exec_lo
	s_delay_alu instid0(VALU_DEP_1)
	v_add_nc_u64_e32 v[40:41], s[0:1], v[40:41]
	v_cmpx_gt_u32_e64 s17, v0
	s_cbranch_execz .LBB1418_148
; %bb.147:
	v_mul_i32_i24_e32 v42, 0xffffffb8, v0
	s_delay_alu instid0(VALU_DEP_1)
	v_add_nc_u32_e32 v1, v1, v42
	ds_load_b64 v[42:43], v1
	s_wait_dscnt 0x0
	flat_store_b64 v[40:41], v[42:43]
.LBB1418_148:
	s_wait_xcnt 0x0
	s_or_b32 exec_lo, exec_lo, s2
	v_or_b32_e32 v1, 0x80, v0
	s_mov_b32 s2, exec_lo
	s_delay_alu instid0(VALU_DEP_1)
	v_cmpx_gt_u32_e64 s17, v1
	s_cbranch_execz .LBB1418_150
; %bb.149:
	s_wait_dscnt 0x4
	flat_store_b64 v[40:41], v[36:37] offset:1024
.LBB1418_150:
	s_wait_xcnt 0x0
	s_or_b32 exec_lo, exec_lo, s2
	v_or_b32_e32 v1, 0x100, v0
	s_mov_b32 s2, exec_lo
	s_delay_alu instid0(VALU_DEP_1)
	v_cmpx_gt_u32_e64 s17, v1
	s_cbranch_execz .LBB1418_152
; %bb.151:
	s_wait_dscnt 0x4
	flat_store_b64 v[40:41], v[38:39] offset:2048
.LBB1418_152:
	;; [unrolled: 11-line block ×8, first 2 shown]
	s_wait_xcnt 0x0
	s_or_b32 exec_lo, exec_lo, s2
	v_or_b32_e32 v1, 0x480, v0
	s_delay_alu instid0(VALU_DEP_1)
	v_cmp_gt_u32_e64 s2, s17, v1
	s_branch .LBB1418_197
.LBB1418_165:
	s_and_saveexec_b32 s11, s10
	s_cbranch_execz .LBB1418_167
; %bb.166:
	v_add_f64_e32 v[6:7], v[4:5], v[8:9]
	v_and_b32_e32 v10, 0xff, v18
	s_add_co_i32 s14, s27, 32
	s_mov_b32 s15, 0
	v_bitop3_b16 v11, v18, 1, v69 bitop3:0xc8
	s_lshl_b64 s[20:21], s[14:15], 4
	v_cmp_eq_u32_e32 vcc_lo, 0, v10
	v_dual_mov_b32 v10, 0 :: v_dual_mov_b32 v12, 2
	v_dual_cndmask_b32 v5, v5, v7 :: v_dual_cndmask_b32 v4, v4, v6
	v_mov_b32_e32 v6, s14
	s_add_nc_u64 s[14:15], s[22:23], s[20:21]
	s_clause 0x1
	global_store_b64 v10, v[4:5], s[14:15]
	global_store_b8 v10, v11, s[14:15] offset:8
	global_wb scope:SCOPE_DEV
	s_wait_storecnt_dscnt 0x0
	global_inv scope:SCOPE_DEV
	s_wait_xcnt 0x0
	global_store_b8 v6, v12, s[24:25] scope:SCOPE_DEV
.LBB1418_167:
	s_wait_xcnt 0x0
	s_or_b32 exec_lo, exec_lo, s11
	s_delay_alu instid0(SALU_CYCLE_1)
	s_and_b32 exec_lo, exec_lo, s2
	s_cbranch_execz .LBB1418_169
; %bb.168:
	v_mov_b32_e32 v4, 0
	ds_store_b64 v4, v[8:9] offset:48
	ds_store_b8 v4, v69 offset:56
.LBB1418_169:
	s_or_b32 exec_lo, exec_lo, s13
	s_wait_dscnt 0x1
	v_dual_mov_b32 v4, 0 :: v_dual_cndmask_b32 v3, v17, v3, s10
	s_wait_storecnt 0x0
	s_wait_loadcnt_dscnt 0x0
	s_barrier_signal -1
	s_barrier_wait -1
	ds_load_b64 v[4:5], v4 offset:48
	v_cndmask_b32_e64 v8, v15, v14, s10
	s_delay_alu instid0(VALU_DEP_1) | instskip(NEXT) | instid1(VALU_DEP_1)
	v_and_b32_e32 v8, 0xff, v8
	v_cmp_eq_u16_e32 vcc_lo, 0, v8
	v_cndmask_b32_e64 v2, v16, v2, s10
	s_wait_dscnt 0x0
	s_delay_alu instid0(VALU_DEP_1) | instskip(NEXT) | instid1(VALU_DEP_1)
	v_add_f64_e32 v[6:7], v[2:3], v[4:5]
	v_dual_cndmask_b32 v3, v3, v7 :: v_dual_cndmask_b32 v2, v2, v6
	v_and_b32_e32 v6, 0xff, v1
	s_delay_alu instid0(VALU_DEP_2) | instskip(NEXT) | instid1(VALU_DEP_2)
	v_dual_cndmask_b32 v3, v3, v5, s2 :: v_dual_cndmask_b32 v2, v2, v4, s2
	v_cmp_eq_u16_e32 vcc_lo, 0, v6
	s_delay_alu instid0(VALU_DEP_2) | instskip(NEXT) | instid1(VALU_DEP_1)
	v_add_f64_e32 v[4:5], v[26:27], v[2:3]
	v_dual_cndmask_b32 v5, v27, v5 :: v_dual_cndmask_b32 v4, v26, v4
	s_delay_alu instid0(VALU_DEP_1) | instskip(NEXT) | instid1(VALU_DEP_1)
	v_add_f64_e32 v[6:7], v[40:41], v[4:5]
	v_dual_cndmask_b32 v7, v41, v7, s1 :: v_dual_cndmask_b32 v6, v40, v6, s1
	s_delay_alu instid0(VALU_DEP_1) | instskip(NEXT) | instid1(VALU_DEP_1)
	v_add_f64_e32 v[8:9], v[38:39], v[6:7]
	v_dual_cndmask_b32 v9, v39, v9, s3 :: v_dual_cndmask_b32 v8, v38, v8, s3
	;; [unrolled: 3-line block ×8, first 2 shown]
	s_branch .LBB1418_133
.LBB1418_170:
	s_cmp_eq_u64 s[38:39], 0
	v_mov_b64_e32 v[44:45], s[36:37]
	s_cselect_b32 s1, -1, 0
	s_cmp_eq_u64 s[30:31], 0
	s_cselect_b32 s3, -1, 0
	s_delay_alu instid0(SALU_CYCLE_1) | instskip(NEXT) | instid1(SALU_CYCLE_1)
	s_or_b32 s1, s1, s3
	s_and_b32 vcc_lo, exec_lo, s1
	s_cbranch_vccnz .LBB1418_172
; %bb.171:
	v_mov_b32_e32 v2, 0
	global_load_b64 v[44:45], v2, s[30:31]
.LBB1418_172:
	v_cmp_eq_u16_e32 vcc_lo, 0, v62
	v_cmp_eq_u16_e64 s1, 0, v61
	v_cmp_eq_u16_e64 s3, 0, v60
	;; [unrolled: 1-line block ×4, first 2 shown]
	s_wait_xcnt 0x0
	v_dual_cndmask_b32 v3, v41, v43 :: v_dual_cndmask_b32 v2, v40, v42
	v_cmp_eq_u16_e64 s6, 0, v57
	v_cmp_eq_u16_e64 s7, 0, v56
	;; [unrolled: 1-line block ×3, first 2 shown]
	v_cmp_ne_u16_e64 s10, 0, v53
	v_add_f64_e32 v[2:3], v[38:39], v[2:3]
	v_cmp_eq_u32_e64 s11, 1, v49
	v_cmp_ne_u16_e64 s12, 0, v54
	v_cmp_eq_u32_e64 s13, 1, v52
	v_cmp_ne_u16_e64 s9, 0, v51
	v_cmp_eq_u32_e64 s14, 1, v48
	s_or_b32 s10, s10, s11
	v_cmp_eq_u32_e64 s15, 1, v47
	s_or_b32 s11, s12, s13
	v_and_b32_e32 v6, 15, v46
	s_or_b32 s9, s9, s14
	s_or_b32 s10, s11, s10
	s_mov_b32 s11, exec_lo
	s_or_b32 s9, s10, s9
	v_cmp_eq_u16_e64 s10, 0, v50
	s_or_b32 s9, s9, s15
	s_delay_alu instid0(SALU_CYCLE_1) | instskip(SKIP_1) | instid1(VALU_DEP_2)
	v_cndmask_b32_e64 v7, 0, 1, s9
	v_cndmask_b32_e64 v8, 0, 1, s9
	v_mov_b32_dpp v9, v7 row_shr:1 row_mask:0xf bank_mask:0xf
	v_dual_cndmask_b32 v3, v39, v3, s1 :: v_dual_cndmask_b32 v2, v38, v2, s1
	s_delay_alu instid0(VALU_DEP_1) | instskip(NEXT) | instid1(VALU_DEP_1)
	v_add_f64_e32 v[2:3], v[36:37], v[2:3]
	v_dual_cndmask_b32 v3, v37, v3, s3 :: v_dual_cndmask_b32 v2, v36, v2, s3
	s_delay_alu instid0(VALU_DEP_1) | instskip(NEXT) | instid1(VALU_DEP_1)
	v_add_f64_e32 v[2:3], v[32:33], v[2:3]
	;; [unrolled: 3-line block ×7, first 2 shown]
	v_dual_cndmask_b32 v3, v35, v3, s10 :: v_dual_cndmask_b32 v2, v34, v2, s10
	s_delay_alu instid0(VALU_DEP_1) | instskip(NEXT) | instid1(VALU_DEP_2)
	v_mov_b32_dpp v5, v3 row_shr:1 row_mask:0xf bank_mask:0xf
	v_mov_b32_dpp v4, v2 row_shr:1 row_mask:0xf bank_mask:0xf
	v_cmpx_ne_u32_e32 0, v6
	s_cbranch_execz .LBB1418_174
; %bb.173:
	s_delay_alu instid0(VALU_DEP_2) | instskip(SKIP_1) | instid1(VALU_DEP_1)
	v_add_f64_e32 v[4:5], v[2:3], v[4:5]
	v_bitop3_b16 v8, v9, v8, 1 bitop3:0xec
	v_and_b32_e32 v7, 0xffff, v8
	s_delay_alu instid0(VALU_DEP_3)
	v_dual_cndmask_b32 v3, v5, v3, s9 :: v_dual_cndmask_b32 v2, v4, v2, s9
.LBB1418_174:
	s_or_b32 exec_lo, exec_lo, s11
	s_delay_alu instid0(VALU_DEP_1) | instskip(NEXT) | instid1(VALU_DEP_2)
	v_mov_b32_dpp v4, v2 row_shr:2 row_mask:0xf bank_mask:0xf
	v_mov_b32_dpp v5, v3 row_shr:2 row_mask:0xf bank_mask:0xf
	;; [unrolled: 1-line block ×3, first 2 shown]
	s_mov_b32 s12, exec_lo
	v_cmpx_lt_u32_e32 1, v6
	s_cbranch_execz .LBB1418_176
; %bb.175:
	v_add_f64_e32 v[4:5], v[2:3], v[4:5]
	v_cmp_eq_u16_e64 s11, 0, v8
	v_and_b32_e32 v7, 1, v8
	s_delay_alu instid0(VALU_DEP_2) | instskip(NEXT) | instid1(VALU_DEP_1)
	v_dual_cndmask_b32 v2, v2, v4, s11 :: v_dual_bitop2_b32 v9, 1, v9 bitop3:0x40
	v_cmp_eq_u32_e64 s10, 1, v9
	v_cndmask_b32_e64 v3, v3, v5, s11
	s_delay_alu instid0(VALU_DEP_4) | instskip(SKIP_1) | instid1(SALU_CYCLE_1)
	v_cmp_eq_u32_e64 s9, 1, v7
	s_or_b32 s9, s9, s10
	v_cndmask_b32_e64 v8, 0, 1, s9
	v_cndmask_b32_e64 v7, 0, 1, s9
.LBB1418_176:
	s_or_b32 exec_lo, exec_lo, s12
	v_mov_b32_dpp v4, v2 row_shr:4 row_mask:0xf bank_mask:0xf
	v_mov_b32_dpp v5, v3 row_shr:4 row_mask:0xf bank_mask:0xf
	s_delay_alu instid0(VALU_DEP_3)
	v_mov_b32_dpp v9, v7 row_shr:4 row_mask:0xf bank_mask:0xf
	s_mov_b32 s12, exec_lo
	v_cmpx_lt_u32_e32 3, v6
	s_cbranch_execz .LBB1418_178
; %bb.177:
	v_add_f64_e32 v[4:5], v[2:3], v[4:5]
	v_cmp_eq_u16_e64 s11, 0, v8
	v_and_b32_e32 v7, 1, v8
	s_delay_alu instid0(VALU_DEP_2) | instskip(NEXT) | instid1(VALU_DEP_1)
	v_dual_cndmask_b32 v2, v2, v4, s11 :: v_dual_bitop2_b32 v9, 1, v9 bitop3:0x40
	v_cmp_eq_u32_e64 s10, 1, v9
	v_cndmask_b32_e64 v3, v3, v5, s11
	s_delay_alu instid0(VALU_DEP_4) | instskip(SKIP_1) | instid1(SALU_CYCLE_1)
	v_cmp_eq_u32_e64 s9, 1, v7
	s_or_b32 s9, s9, s10
	v_cndmask_b32_e64 v8, 0, 1, s9
	v_cndmask_b32_e64 v7, 0, 1, s9
.LBB1418_178:
	s_or_b32 exec_lo, exec_lo, s12
	v_mov_b32_dpp v4, v2 row_shr:8 row_mask:0xf bank_mask:0xf
	v_mov_b32_dpp v5, v3 row_shr:8 row_mask:0xf bank_mask:0xf
	s_delay_alu instid0(VALU_DEP_3)
	v_mov_b32_dpp v9, v7 row_shr:8 row_mask:0xf bank_mask:0xf
	s_mov_b32 s12, exec_lo
	v_cmpx_lt_u32_e32 7, v6
	s_cbranch_execz .LBB1418_180
; %bb.179:
	v_add_f64_e32 v[4:5], v[2:3], v[4:5]
	v_cmp_eq_u16_e64 s11, 0, v8
	v_and_b32_e32 v6, 1, v8
	s_delay_alu instid0(VALU_DEP_2) | instskip(NEXT) | instid1(VALU_DEP_1)
	v_dual_cndmask_b32 v2, v2, v4, s11 :: v_dual_bitop2_b32 v7, 1, v9 bitop3:0x40
	v_cmp_eq_u32_e64 s10, 1, v7
	v_cndmask_b32_e64 v3, v3, v5, s11
	s_delay_alu instid0(VALU_DEP_4) | instskip(SKIP_1) | instid1(SALU_CYCLE_1)
	v_cmp_eq_u32_e64 s9, 1, v6
	s_or_b32 s9, s9, s10
	v_cndmask_b32_e64 v8, 0, 1, s9
	v_cndmask_b32_e64 v7, 0, 1, s9
.LBB1418_180:
	s_or_b32 exec_lo, exec_lo, s12
	ds_swizzle_b32 v4, v2 offset:swizzle(BROADCAST,32,15)
	ds_swizzle_b32 v5, v3 offset:swizzle(BROADCAST,32,15)
	;; [unrolled: 1-line block ×3, first 2 shown]
	v_and_b32_e32 v7, 16, v46
	s_mov_b32 s12, exec_lo
	s_delay_alu instid0(VALU_DEP_1)
	v_cmpx_ne_u32_e32 0, v7
	s_cbranch_execz .LBB1418_182
; %bb.181:
	s_wait_dscnt 0x0
	v_dual_add_f64 v[4:5], v[2:3], v[4:5] :: v_dual_bitop2_b32 v6, 1, v6 bitop3:0x40
	v_cmp_eq_u16_e64 s9, 0, v8
	v_and_b32_e32 v7, 1, v8
	s_delay_alu instid0(VALU_DEP_3) | instskip(NEXT) | instid1(VALU_DEP_3)
	v_cmp_eq_u32_e64 s11, 1, v6
	v_cndmask_b32_e64 v3, v3, v5, s9
	s_delay_alu instid0(VALU_DEP_3) | instskip(SKIP_2) | instid1(SALU_CYCLE_1)
	v_cmp_eq_u32_e64 s10, 1, v7
	v_cndmask_b32_e64 v2, v2, v4, s9
	s_or_b32 s9, s10, s11
	v_cndmask_b32_e64 v8, 0, 1, s9
.LBB1418_182:
	s_or_b32 exec_lo, exec_lo, s12
	s_wait_dscnt 0x1
	v_dual_lshrrev_b32 v5, 5, v0 :: v_dual_bitop2_b32 v4, 31, v0 bitop3:0x54
	s_mov_b32 s10, exec_lo
	s_delay_alu instid0(VALU_DEP_1) | instskip(NEXT) | instid1(VALU_DEP_2)
	v_lshlrev_b32_e32 v9, 4, v5
	v_cmpx_eq_u32_e64 v0, v4
	s_cbranch_execz .LBB1418_184
; %bb.183:
	ds_store_b64 v9, v[2:3]
	ds_store_b8 v9, v8 offset:8
.LBB1418_184:
	s_or_b32 exec_lo, exec_lo, s10
	s_delay_alu instid0(SALU_CYCLE_1)
	s_mov_b32 s12, exec_lo
	s_wait_loadcnt_dscnt 0x0
	s_barrier_signal -1
	s_barrier_wait -1
	v_cmpx_gt_u32_e32 4, v0
	s_cbranch_execz .LBB1418_190
; %bb.185:
	v_dual_lshlrev_b32 v10, 4, v0 :: v_dual_bitop2_b32 v12, 3, v46 bitop3:0x40
	s_mov_b32 s10, exec_lo
	ds_load_b64 v[4:5], v10
	ds_load_b32 v11, v10 offset:8
	s_wait_dscnt 0x1
	v_mov_b32_dpp v6, v4 row_shr:1 row_mask:0xf bank_mask:0xf
	v_mov_b32_dpp v7, v5 row_shr:1 row_mask:0xf bank_mask:0xf
	s_wait_dscnt 0x0
	v_mov_b32_dpp v15, v11 row_shr:1 row_mask:0xf bank_mask:0xf
	v_dual_mov_b32 v14, v11 :: v_dual_mov_b32 v13, v11
	v_cmpx_ne_u32_e32 0, v12
	s_cbranch_execz .LBB1418_187
; %bb.186:
	v_add_f64_e32 v[6:7], v[4:5], v[6:7]
	v_and_b32_e32 v13, 0xff, v11
	s_delay_alu instid0(VALU_DEP_1) | instskip(SKIP_2) | instid1(VALU_DEP_1)
	v_cmp_eq_u16_e64 s9, 0, v13
	v_or_b32_e32 v14, v15, v11
	v_bitop3_b32 v13, v15, 1, v11 bitop3:0xc8
	v_and_or_b32 v11, 0xffffff00, v11, v13
	s_delay_alu instid0(VALU_DEP_4) | instskip(NEXT) | instid1(VALU_DEP_4)
	v_dual_cndmask_b32 v5, v5, v7, s9 :: v_dual_cndmask_b32 v4, v4, v6, s9
	v_and_b32_e32 v14, 1, v14
.LBB1418_187:
	s_or_b32 exec_lo, exec_lo, s10
	s_delay_alu instid0(VALU_DEP_2) | instskip(NEXT) | instid1(VALU_DEP_3)
	v_mov_b32_dpp v6, v4 row_shr:2 row_mask:0xf bank_mask:0xf
	v_mov_b32_dpp v7, v5 row_shr:2 row_mask:0xf bank_mask:0xf
	;; [unrolled: 1-line block ×3, first 2 shown]
	s_mov_b32 s13, exec_lo
	v_cmpx_lt_u32_e32 1, v12
	s_cbranch_execz .LBB1418_189
; %bb.188:
	v_add_f64_e32 v[6:7], v[4:5], v[6:7]
	v_and_b32_e32 v12, 0xff, v13
	v_and_b32_e32 v13, 1, v13
	s_delay_alu instid0(VALU_DEP_2) | instskip(SKIP_1) | instid1(VALU_DEP_3)
	v_cmp_eq_u16_e64 s9, 0, v12
	v_and_b32_e32 v11, 1, v11
	v_cmp_eq_u32_e64 s10, 1, v13
	s_delay_alu instid0(VALU_DEP_3) | instskip(NEXT) | instid1(VALU_DEP_3)
	v_cndmask_b32_e64 v4, v4, v6, s9
	v_cmp_eq_u32_e64 s11, 1, v11
	v_cndmask_b32_e64 v5, v5, v7, s9
	s_or_b32 s9, s10, s11
	s_delay_alu instid0(SALU_CYCLE_1)
	v_cndmask_b32_e64 v14, 0, 1, s9
.LBB1418_189:
	s_or_b32 exec_lo, exec_lo, s13
	ds_store_b64 v10, v[4:5]
	ds_store_b8 v10, v14 offset:8
.LBB1418_190:
	s_or_b32 exec_lo, exec_lo, s12
	v_mov_b64_e32 v[4:5], v[44:45]
	s_mov_b32 s10, exec_lo
	s_wait_dscnt 0x0
	s_barrier_signal -1
	s_barrier_wait -1
	v_cmpx_lt_u32_e32 31, v0
	s_cbranch_execz .LBB1418_192
; %bb.191:
	v_dual_add_nc_u32 v4, -16, v9 :: v_dual_add_nc_u32 v6, -8, v9
	ds_load_b64 v[4:5], v4
	ds_load_u8 v9, v6
	s_wait_dscnt 0x1
	v_add_f64_e32 v[6:7], v[44:45], v[4:5]
	s_wait_dscnt 0x0
	v_cmp_eq_u16_e64 s9, 0, v9
	s_delay_alu instid0(VALU_DEP_1)
	v_dual_cndmask_b32 v5, v5, v7, s9 :: v_dual_cndmask_b32 v4, v4, v6, s9
.LBB1418_192:
	s_or_b32 exec_lo, exec_lo, s10
	v_sub_co_u32 v9, s9, v46, 1
	v_and_b32_e32 v1, 0xff, v1
	s_delay_alu instid0(VALU_DEP_2) | instskip(NEXT) | instid1(VALU_DEP_1)
	v_cmp_gt_i32_e64 s10, 0, v9
	v_dual_add_f64 v[6:7], v[2:3], v[4:5] :: v_dual_cndmask_b32 v9, v9, v46, s10
	v_cmp_eq_u16_e64 s10, 0, v8
	s_delay_alu instid0(VALU_DEP_1)
	v_dual_lshlrev_b32 v8, 2, v9 :: v_dual_cndmask_b32 v3, v3, v7, s10
	ds_bpermute_b32 v3, v8, v3
	s_wait_dscnt 0x0
	v_dual_cndmask_b32 v2, v2, v6, s10 :: v_dual_cndmask_b32 v3, v3, v5, s9
	ds_bpermute_b32 v2, v8, v2
	s_wait_dscnt 0x0
	v_dual_cndmask_b32 v5, v3, v45, s2 :: v_dual_cndmask_b32 v2, v2, v4, s9
	v_cmp_eq_u16_e64 s9, 0, v1
	s_delay_alu instid0(VALU_DEP_2) | instskip(NEXT) | instid1(VALU_DEP_1)
	v_cndmask_b32_e64 v4, v2, v44, s2
	v_add_f64_e32 v[4:5], v[26:27], v[4:5]
	s_delay_alu instid0(VALU_DEP_1) | instskip(NEXT) | instid1(VALU_DEP_1)
	v_dual_cndmask_b32 v5, v27, v5, s9 :: v_dual_cndmask_b32 v4, v26, v4, s9
	v_add_f64_e32 v[6:7], v[40:41], v[4:5]
	s_delay_alu instid0(VALU_DEP_1) | instskip(NEXT) | instid1(VALU_DEP_1)
	v_dual_cndmask_b32 v7, v41, v7 :: v_dual_cndmask_b32 v6, v40, v6
	v_add_f64_e32 v[8:9], v[38:39], v[6:7]
	s_delay_alu instid0(VALU_DEP_1) | instskip(NEXT) | instid1(VALU_DEP_1)
	v_dual_cndmask_b32 v9, v39, v9, s1 :: v_dual_cndmask_b32 v8, v38, v8, s1
	v_add_f64_e32 v[10:11], v[36:37], v[8:9]
	s_delay_alu instid0(VALU_DEP_1) | instskip(NEXT) | instid1(VALU_DEP_1)
	v_dual_cndmask_b32 v11, v37, v11, s3 :: v_dual_cndmask_b32 v10, v36, v10, s3
	;; [unrolled: 3-line block ×6, first 2 shown]
	v_add_f64_e32 v[20:21], v[24:25], v[18:19]
	s_delay_alu instid0(VALU_DEP_1)
	v_dual_cndmask_b32 v21, v25, v21, s8 :: v_dual_cndmask_b32 v20, v24, v20, s8
	s_and_saveexec_b32 s1, s2
	s_cbranch_execz .LBB1418_194
; %bb.193:
	v_mov_b32_e32 v1, 0
	ds_load_b64 v[2:3], v1 offset:48
	ds_load_u8 v24, v1 offset:56
	s_wait_dscnt 0x1
	v_add_f64_e32 v[22:23], v[44:45], v[2:3]
	s_wait_dscnt 0x0
	v_and_b32_e32 v25, 0xffff, v24
	s_delay_alu instid0(VALU_DEP_1) | instskip(NEXT) | instid1(VALU_DEP_3)
	v_cmp_eq_u32_e32 vcc_lo, 0, v25
	v_dual_mov_b32 v25, 2 :: v_dual_cndmask_b32 v23, v3, v23, vcc_lo
	s_delay_alu instid0(VALU_DEP_4)
	v_cndmask_b32_e32 v22, v2, v22, vcc_lo
	v_mov_b64_e32 v[2:3], v[44:45]
	s_clause 0x1
	global_store_b64 v1, v[22:23], s[22:23] offset:512
	global_store_b8 v1, v24, s[22:23] offset:520
	global_wb scope:SCOPE_DEV
	s_wait_storecnt 0x0
	global_inv scope:SCOPE_DEV
	s_wait_xcnt 0x0
	global_store_b8 v1, v25, s[24:25] offset:32 scope:SCOPE_DEV
.LBB1418_194:
	s_wait_xcnt 0x0
	s_or_b32 exec_lo, exec_lo, s1
	s_add_nc_u64 s[2:3], s[18:19], s[34:35]
	s_and_b32 vcc_lo, exec_lo, s0
	s_add_nc_u64 s[0:1], s[2:3], s[28:29]
	s_cbranch_vccnz .LBB1418_134
.LBB1418_195:
	s_mov_b32 s2, 0
                                        ; implicit-def: $vgpr22_vgpr23
	s_cbranch_execz .LBB1418_197
; %bb.196:
	v_mul_u32_u24_e32 v1, 0x50, v0
	s_wait_dscnt 0x0
	v_mul_i32_i24_e32 v22, 0xffffffb8, v0
	s_wait_loadcnt 0x0
	s_wait_storecnt 0x0
	s_barrier_signal -1
	s_barrier_wait -1
	ds_store_b128 v1, v[2:5]
	ds_store_b128 v1, v[6:9] offset:16
	ds_store_b128 v1, v[10:13] offset:32
	;; [unrolled: 1-line block ×4, first 2 shown]
	v_mad_u32_u24 v1, 0x50, v0, v22
	s_wait_dscnt 0x0
	s_barrier_signal -1
	s_barrier_wait -1
	ds_load_2addr_stride64_b64 v[2:5], v1 offset1:2
	ds_load_2addr_stride64_b64 v[6:9], v1 offset0:4 offset1:6
	ds_load_2addr_stride64_b64 v[10:13], v1 offset0:8 offset1:10
	ds_load_2addr_stride64_b64 v[14:17], v1 offset0:12 offset1:14
	ds_load_2addr_stride64_b64 v[20:23], v1 offset0:16 offset1:18
	s_or_b32 s2, s2, exec_lo
	s_wait_dscnt 0x4
	s_clause 0x1
	flat_store_b64 v0, v[2:3], s[0:1] scale_offset
	flat_store_b64 v0, v[4:5], s[0:1] offset:1024 scale_offset
	s_wait_dscnt 0x5
	s_clause 0x1
	flat_store_b64 v0, v[6:7], s[0:1] offset:2048 scale_offset
	flat_store_b64 v0, v[8:9], s[0:1] offset:3072 scale_offset
	s_wait_dscnt 0x6
	s_clause 0x1
	flat_store_b64 v0, v[10:11], s[0:1] offset:4096 scale_offset
	;; [unrolled: 4-line block ×3, first 2 shown]
	flat_store_b64 v0, v[16:17], s[0:1] offset:7168 scale_offset
	s_wait_dscnt 0x8
	flat_store_b64 v0, v[20:21], s[0:1] offset:8192 scale_offset
.LBB1418_197:
	s_wait_xcnt 0x0
	s_delay_alu instid0(VALU_DEP_1)
	s_and_saveexec_b32 s3, s2
	s_cbranch_execz .LBB1418_199
; %bb.198:
	s_wait_dscnt 0x0
	flat_store_b64 v0, v[22:23], s[0:1] offset:9216 scale_offset
	s_sendmsg sendmsg(MSG_DEALLOC_VGPRS)
	s_endpgm
.LBB1418_199:
	s_sendmsg sendmsg(MSG_DEALLOC_VGPRS)
	s_endpgm
	.section	.rodata,"a",@progbits
	.p2align	6, 0x0
	.amdhsa_kernel _ZN7rocprim17ROCPRIM_400000_NS6detail17trampoline_kernelINS0_14default_configENS1_27scan_by_key_config_selectorIidEEZZNS1_16scan_by_key_implILNS1_25lookback_scan_determinismE0ELb1ES3_N6thrust23THRUST_200600_302600_NS6detail15normal_iteratorINS9_10device_ptrIiEEEENSB_INSC_IdEEEESG_dNS9_4plusIvEENS9_8equal_toIvEEdEE10hipError_tPvRmT2_T3_T4_T5_mT6_T7_P12ihipStream_tbENKUlT_T0_E_clISt17integral_constantIbLb0EES10_IbLb1EEEEDaSW_SX_EUlSW_E_NS1_11comp_targetILNS1_3genE0ELNS1_11target_archE4294967295ELNS1_3gpuE0ELNS1_3repE0EEENS1_30default_config_static_selectorELNS0_4arch9wavefront6targetE0EEEvT1_
		.amdhsa_group_segment_fixed_size 10240
		.amdhsa_private_segment_fixed_size 0
		.amdhsa_kernarg_size 136
		.amdhsa_user_sgpr_count 2
		.amdhsa_user_sgpr_dispatch_ptr 0
		.amdhsa_user_sgpr_queue_ptr 0
		.amdhsa_user_sgpr_kernarg_segment_ptr 1
		.amdhsa_user_sgpr_dispatch_id 0
		.amdhsa_user_sgpr_kernarg_preload_length 0
		.amdhsa_user_sgpr_kernarg_preload_offset 0
		.amdhsa_user_sgpr_private_segment_size 0
		.amdhsa_wavefront_size32 1
		.amdhsa_uses_dynamic_stack 0
		.amdhsa_enable_private_segment 0
		.amdhsa_system_sgpr_workgroup_id_x 1
		.amdhsa_system_sgpr_workgroup_id_y 0
		.amdhsa_system_sgpr_workgroup_id_z 0
		.amdhsa_system_sgpr_workgroup_info 0
		.amdhsa_system_vgpr_workitem_id 0
		.amdhsa_next_free_vgpr 75
		.amdhsa_next_free_sgpr 50
		.amdhsa_named_barrier_count 0
		.amdhsa_reserve_vcc 1
		.amdhsa_float_round_mode_32 0
		.amdhsa_float_round_mode_16_64 0
		.amdhsa_float_denorm_mode_32 3
		.amdhsa_float_denorm_mode_16_64 3
		.amdhsa_fp16_overflow 0
		.amdhsa_memory_ordered 1
		.amdhsa_forward_progress 1
		.amdhsa_inst_pref_size 93
		.amdhsa_round_robin_scheduling 0
		.amdhsa_exception_fp_ieee_invalid_op 0
		.amdhsa_exception_fp_denorm_src 0
		.amdhsa_exception_fp_ieee_div_zero 0
		.amdhsa_exception_fp_ieee_overflow 0
		.amdhsa_exception_fp_ieee_underflow 0
		.amdhsa_exception_fp_ieee_inexact 0
		.amdhsa_exception_int_div_zero 0
	.end_amdhsa_kernel
	.section	.text._ZN7rocprim17ROCPRIM_400000_NS6detail17trampoline_kernelINS0_14default_configENS1_27scan_by_key_config_selectorIidEEZZNS1_16scan_by_key_implILNS1_25lookback_scan_determinismE0ELb1ES3_N6thrust23THRUST_200600_302600_NS6detail15normal_iteratorINS9_10device_ptrIiEEEENSB_INSC_IdEEEESG_dNS9_4plusIvEENS9_8equal_toIvEEdEE10hipError_tPvRmT2_T3_T4_T5_mT6_T7_P12ihipStream_tbENKUlT_T0_E_clISt17integral_constantIbLb0EES10_IbLb1EEEEDaSW_SX_EUlSW_E_NS1_11comp_targetILNS1_3genE0ELNS1_11target_archE4294967295ELNS1_3gpuE0ELNS1_3repE0EEENS1_30default_config_static_selectorELNS0_4arch9wavefront6targetE0EEEvT1_,"axG",@progbits,_ZN7rocprim17ROCPRIM_400000_NS6detail17trampoline_kernelINS0_14default_configENS1_27scan_by_key_config_selectorIidEEZZNS1_16scan_by_key_implILNS1_25lookback_scan_determinismE0ELb1ES3_N6thrust23THRUST_200600_302600_NS6detail15normal_iteratorINS9_10device_ptrIiEEEENSB_INSC_IdEEEESG_dNS9_4plusIvEENS9_8equal_toIvEEdEE10hipError_tPvRmT2_T3_T4_T5_mT6_T7_P12ihipStream_tbENKUlT_T0_E_clISt17integral_constantIbLb0EES10_IbLb1EEEEDaSW_SX_EUlSW_E_NS1_11comp_targetILNS1_3genE0ELNS1_11target_archE4294967295ELNS1_3gpuE0ELNS1_3repE0EEENS1_30default_config_static_selectorELNS0_4arch9wavefront6targetE0EEEvT1_,comdat
.Lfunc_end1418:
	.size	_ZN7rocprim17ROCPRIM_400000_NS6detail17trampoline_kernelINS0_14default_configENS1_27scan_by_key_config_selectorIidEEZZNS1_16scan_by_key_implILNS1_25lookback_scan_determinismE0ELb1ES3_N6thrust23THRUST_200600_302600_NS6detail15normal_iteratorINS9_10device_ptrIiEEEENSB_INSC_IdEEEESG_dNS9_4plusIvEENS9_8equal_toIvEEdEE10hipError_tPvRmT2_T3_T4_T5_mT6_T7_P12ihipStream_tbENKUlT_T0_E_clISt17integral_constantIbLb0EES10_IbLb1EEEEDaSW_SX_EUlSW_E_NS1_11comp_targetILNS1_3genE0ELNS1_11target_archE4294967295ELNS1_3gpuE0ELNS1_3repE0EEENS1_30default_config_static_selectorELNS0_4arch9wavefront6targetE0EEEvT1_, .Lfunc_end1418-_ZN7rocprim17ROCPRIM_400000_NS6detail17trampoline_kernelINS0_14default_configENS1_27scan_by_key_config_selectorIidEEZZNS1_16scan_by_key_implILNS1_25lookback_scan_determinismE0ELb1ES3_N6thrust23THRUST_200600_302600_NS6detail15normal_iteratorINS9_10device_ptrIiEEEENSB_INSC_IdEEEESG_dNS9_4plusIvEENS9_8equal_toIvEEdEE10hipError_tPvRmT2_T3_T4_T5_mT6_T7_P12ihipStream_tbENKUlT_T0_E_clISt17integral_constantIbLb0EES10_IbLb1EEEEDaSW_SX_EUlSW_E_NS1_11comp_targetILNS1_3genE0ELNS1_11target_archE4294967295ELNS1_3gpuE0ELNS1_3repE0EEENS1_30default_config_static_selectorELNS0_4arch9wavefront6targetE0EEEvT1_
                                        ; -- End function
	.set _ZN7rocprim17ROCPRIM_400000_NS6detail17trampoline_kernelINS0_14default_configENS1_27scan_by_key_config_selectorIidEEZZNS1_16scan_by_key_implILNS1_25lookback_scan_determinismE0ELb1ES3_N6thrust23THRUST_200600_302600_NS6detail15normal_iteratorINS9_10device_ptrIiEEEENSB_INSC_IdEEEESG_dNS9_4plusIvEENS9_8equal_toIvEEdEE10hipError_tPvRmT2_T3_T4_T5_mT6_T7_P12ihipStream_tbENKUlT_T0_E_clISt17integral_constantIbLb0EES10_IbLb1EEEEDaSW_SX_EUlSW_E_NS1_11comp_targetILNS1_3genE0ELNS1_11target_archE4294967295ELNS1_3gpuE0ELNS1_3repE0EEENS1_30default_config_static_selectorELNS0_4arch9wavefront6targetE0EEEvT1_.num_vgpr, 75
	.set _ZN7rocprim17ROCPRIM_400000_NS6detail17trampoline_kernelINS0_14default_configENS1_27scan_by_key_config_selectorIidEEZZNS1_16scan_by_key_implILNS1_25lookback_scan_determinismE0ELb1ES3_N6thrust23THRUST_200600_302600_NS6detail15normal_iteratorINS9_10device_ptrIiEEEENSB_INSC_IdEEEESG_dNS9_4plusIvEENS9_8equal_toIvEEdEE10hipError_tPvRmT2_T3_T4_T5_mT6_T7_P12ihipStream_tbENKUlT_T0_E_clISt17integral_constantIbLb0EES10_IbLb1EEEEDaSW_SX_EUlSW_E_NS1_11comp_targetILNS1_3genE0ELNS1_11target_archE4294967295ELNS1_3gpuE0ELNS1_3repE0EEENS1_30default_config_static_selectorELNS0_4arch9wavefront6targetE0EEEvT1_.num_agpr, 0
	.set _ZN7rocprim17ROCPRIM_400000_NS6detail17trampoline_kernelINS0_14default_configENS1_27scan_by_key_config_selectorIidEEZZNS1_16scan_by_key_implILNS1_25lookback_scan_determinismE0ELb1ES3_N6thrust23THRUST_200600_302600_NS6detail15normal_iteratorINS9_10device_ptrIiEEEENSB_INSC_IdEEEESG_dNS9_4plusIvEENS9_8equal_toIvEEdEE10hipError_tPvRmT2_T3_T4_T5_mT6_T7_P12ihipStream_tbENKUlT_T0_E_clISt17integral_constantIbLb0EES10_IbLb1EEEEDaSW_SX_EUlSW_E_NS1_11comp_targetILNS1_3genE0ELNS1_11target_archE4294967295ELNS1_3gpuE0ELNS1_3repE0EEENS1_30default_config_static_selectorELNS0_4arch9wavefront6targetE0EEEvT1_.numbered_sgpr, 50
	.set _ZN7rocprim17ROCPRIM_400000_NS6detail17trampoline_kernelINS0_14default_configENS1_27scan_by_key_config_selectorIidEEZZNS1_16scan_by_key_implILNS1_25lookback_scan_determinismE0ELb1ES3_N6thrust23THRUST_200600_302600_NS6detail15normal_iteratorINS9_10device_ptrIiEEEENSB_INSC_IdEEEESG_dNS9_4plusIvEENS9_8equal_toIvEEdEE10hipError_tPvRmT2_T3_T4_T5_mT6_T7_P12ihipStream_tbENKUlT_T0_E_clISt17integral_constantIbLb0EES10_IbLb1EEEEDaSW_SX_EUlSW_E_NS1_11comp_targetILNS1_3genE0ELNS1_11target_archE4294967295ELNS1_3gpuE0ELNS1_3repE0EEENS1_30default_config_static_selectorELNS0_4arch9wavefront6targetE0EEEvT1_.num_named_barrier, 0
	.set _ZN7rocprim17ROCPRIM_400000_NS6detail17trampoline_kernelINS0_14default_configENS1_27scan_by_key_config_selectorIidEEZZNS1_16scan_by_key_implILNS1_25lookback_scan_determinismE0ELb1ES3_N6thrust23THRUST_200600_302600_NS6detail15normal_iteratorINS9_10device_ptrIiEEEENSB_INSC_IdEEEESG_dNS9_4plusIvEENS9_8equal_toIvEEdEE10hipError_tPvRmT2_T3_T4_T5_mT6_T7_P12ihipStream_tbENKUlT_T0_E_clISt17integral_constantIbLb0EES10_IbLb1EEEEDaSW_SX_EUlSW_E_NS1_11comp_targetILNS1_3genE0ELNS1_11target_archE4294967295ELNS1_3gpuE0ELNS1_3repE0EEENS1_30default_config_static_selectorELNS0_4arch9wavefront6targetE0EEEvT1_.private_seg_size, 0
	.set _ZN7rocprim17ROCPRIM_400000_NS6detail17trampoline_kernelINS0_14default_configENS1_27scan_by_key_config_selectorIidEEZZNS1_16scan_by_key_implILNS1_25lookback_scan_determinismE0ELb1ES3_N6thrust23THRUST_200600_302600_NS6detail15normal_iteratorINS9_10device_ptrIiEEEENSB_INSC_IdEEEESG_dNS9_4plusIvEENS9_8equal_toIvEEdEE10hipError_tPvRmT2_T3_T4_T5_mT6_T7_P12ihipStream_tbENKUlT_T0_E_clISt17integral_constantIbLb0EES10_IbLb1EEEEDaSW_SX_EUlSW_E_NS1_11comp_targetILNS1_3genE0ELNS1_11target_archE4294967295ELNS1_3gpuE0ELNS1_3repE0EEENS1_30default_config_static_selectorELNS0_4arch9wavefront6targetE0EEEvT1_.uses_vcc, 1
	.set _ZN7rocprim17ROCPRIM_400000_NS6detail17trampoline_kernelINS0_14default_configENS1_27scan_by_key_config_selectorIidEEZZNS1_16scan_by_key_implILNS1_25lookback_scan_determinismE0ELb1ES3_N6thrust23THRUST_200600_302600_NS6detail15normal_iteratorINS9_10device_ptrIiEEEENSB_INSC_IdEEEESG_dNS9_4plusIvEENS9_8equal_toIvEEdEE10hipError_tPvRmT2_T3_T4_T5_mT6_T7_P12ihipStream_tbENKUlT_T0_E_clISt17integral_constantIbLb0EES10_IbLb1EEEEDaSW_SX_EUlSW_E_NS1_11comp_targetILNS1_3genE0ELNS1_11target_archE4294967295ELNS1_3gpuE0ELNS1_3repE0EEENS1_30default_config_static_selectorELNS0_4arch9wavefront6targetE0EEEvT1_.uses_flat_scratch, 1
	.set _ZN7rocprim17ROCPRIM_400000_NS6detail17trampoline_kernelINS0_14default_configENS1_27scan_by_key_config_selectorIidEEZZNS1_16scan_by_key_implILNS1_25lookback_scan_determinismE0ELb1ES3_N6thrust23THRUST_200600_302600_NS6detail15normal_iteratorINS9_10device_ptrIiEEEENSB_INSC_IdEEEESG_dNS9_4plusIvEENS9_8equal_toIvEEdEE10hipError_tPvRmT2_T3_T4_T5_mT6_T7_P12ihipStream_tbENKUlT_T0_E_clISt17integral_constantIbLb0EES10_IbLb1EEEEDaSW_SX_EUlSW_E_NS1_11comp_targetILNS1_3genE0ELNS1_11target_archE4294967295ELNS1_3gpuE0ELNS1_3repE0EEENS1_30default_config_static_selectorELNS0_4arch9wavefront6targetE0EEEvT1_.has_dyn_sized_stack, 0
	.set _ZN7rocprim17ROCPRIM_400000_NS6detail17trampoline_kernelINS0_14default_configENS1_27scan_by_key_config_selectorIidEEZZNS1_16scan_by_key_implILNS1_25lookback_scan_determinismE0ELb1ES3_N6thrust23THRUST_200600_302600_NS6detail15normal_iteratorINS9_10device_ptrIiEEEENSB_INSC_IdEEEESG_dNS9_4plusIvEENS9_8equal_toIvEEdEE10hipError_tPvRmT2_T3_T4_T5_mT6_T7_P12ihipStream_tbENKUlT_T0_E_clISt17integral_constantIbLb0EES10_IbLb1EEEEDaSW_SX_EUlSW_E_NS1_11comp_targetILNS1_3genE0ELNS1_11target_archE4294967295ELNS1_3gpuE0ELNS1_3repE0EEENS1_30default_config_static_selectorELNS0_4arch9wavefront6targetE0EEEvT1_.has_recursion, 0
	.set _ZN7rocprim17ROCPRIM_400000_NS6detail17trampoline_kernelINS0_14default_configENS1_27scan_by_key_config_selectorIidEEZZNS1_16scan_by_key_implILNS1_25lookback_scan_determinismE0ELb1ES3_N6thrust23THRUST_200600_302600_NS6detail15normal_iteratorINS9_10device_ptrIiEEEENSB_INSC_IdEEEESG_dNS9_4plusIvEENS9_8equal_toIvEEdEE10hipError_tPvRmT2_T3_T4_T5_mT6_T7_P12ihipStream_tbENKUlT_T0_E_clISt17integral_constantIbLb0EES10_IbLb1EEEEDaSW_SX_EUlSW_E_NS1_11comp_targetILNS1_3genE0ELNS1_11target_archE4294967295ELNS1_3gpuE0ELNS1_3repE0EEENS1_30default_config_static_selectorELNS0_4arch9wavefront6targetE0EEEvT1_.has_indirect_call, 0
	.section	.AMDGPU.csdata,"",@progbits
; Kernel info:
; codeLenInByte = 11780
; TotalNumSgprs: 52
; NumVgprs: 75
; ScratchSize: 0
; MemoryBound: 0
; FloatMode: 240
; IeeeMode: 1
; LDSByteSize: 10240 bytes/workgroup (compile time only)
; SGPRBlocks: 0
; VGPRBlocks: 4
; NumSGPRsForWavesPerEU: 52
; NumVGPRsForWavesPerEU: 75
; NamedBarCnt: 0
; Occupancy: 12
; WaveLimiterHint : 1
; COMPUTE_PGM_RSRC2:SCRATCH_EN: 0
; COMPUTE_PGM_RSRC2:USER_SGPR: 2
; COMPUTE_PGM_RSRC2:TRAP_HANDLER: 0
; COMPUTE_PGM_RSRC2:TGID_X_EN: 1
; COMPUTE_PGM_RSRC2:TGID_Y_EN: 0
; COMPUTE_PGM_RSRC2:TGID_Z_EN: 0
; COMPUTE_PGM_RSRC2:TIDIG_COMP_CNT: 0
	.section	.text._ZN7rocprim17ROCPRIM_400000_NS6detail17trampoline_kernelINS0_14default_configENS1_27scan_by_key_config_selectorIidEEZZNS1_16scan_by_key_implILNS1_25lookback_scan_determinismE0ELb1ES3_N6thrust23THRUST_200600_302600_NS6detail15normal_iteratorINS9_10device_ptrIiEEEENSB_INSC_IdEEEESG_dNS9_4plusIvEENS9_8equal_toIvEEdEE10hipError_tPvRmT2_T3_T4_T5_mT6_T7_P12ihipStream_tbENKUlT_T0_E_clISt17integral_constantIbLb0EES10_IbLb1EEEEDaSW_SX_EUlSW_E_NS1_11comp_targetILNS1_3genE10ELNS1_11target_archE1201ELNS1_3gpuE5ELNS1_3repE0EEENS1_30default_config_static_selectorELNS0_4arch9wavefront6targetE0EEEvT1_,"axG",@progbits,_ZN7rocprim17ROCPRIM_400000_NS6detail17trampoline_kernelINS0_14default_configENS1_27scan_by_key_config_selectorIidEEZZNS1_16scan_by_key_implILNS1_25lookback_scan_determinismE0ELb1ES3_N6thrust23THRUST_200600_302600_NS6detail15normal_iteratorINS9_10device_ptrIiEEEENSB_INSC_IdEEEESG_dNS9_4plusIvEENS9_8equal_toIvEEdEE10hipError_tPvRmT2_T3_T4_T5_mT6_T7_P12ihipStream_tbENKUlT_T0_E_clISt17integral_constantIbLb0EES10_IbLb1EEEEDaSW_SX_EUlSW_E_NS1_11comp_targetILNS1_3genE10ELNS1_11target_archE1201ELNS1_3gpuE5ELNS1_3repE0EEENS1_30default_config_static_selectorELNS0_4arch9wavefront6targetE0EEEvT1_,comdat
	.protected	_ZN7rocprim17ROCPRIM_400000_NS6detail17trampoline_kernelINS0_14default_configENS1_27scan_by_key_config_selectorIidEEZZNS1_16scan_by_key_implILNS1_25lookback_scan_determinismE0ELb1ES3_N6thrust23THRUST_200600_302600_NS6detail15normal_iteratorINS9_10device_ptrIiEEEENSB_INSC_IdEEEESG_dNS9_4plusIvEENS9_8equal_toIvEEdEE10hipError_tPvRmT2_T3_T4_T5_mT6_T7_P12ihipStream_tbENKUlT_T0_E_clISt17integral_constantIbLb0EES10_IbLb1EEEEDaSW_SX_EUlSW_E_NS1_11comp_targetILNS1_3genE10ELNS1_11target_archE1201ELNS1_3gpuE5ELNS1_3repE0EEENS1_30default_config_static_selectorELNS0_4arch9wavefront6targetE0EEEvT1_ ; -- Begin function _ZN7rocprim17ROCPRIM_400000_NS6detail17trampoline_kernelINS0_14default_configENS1_27scan_by_key_config_selectorIidEEZZNS1_16scan_by_key_implILNS1_25lookback_scan_determinismE0ELb1ES3_N6thrust23THRUST_200600_302600_NS6detail15normal_iteratorINS9_10device_ptrIiEEEENSB_INSC_IdEEEESG_dNS9_4plusIvEENS9_8equal_toIvEEdEE10hipError_tPvRmT2_T3_T4_T5_mT6_T7_P12ihipStream_tbENKUlT_T0_E_clISt17integral_constantIbLb0EES10_IbLb1EEEEDaSW_SX_EUlSW_E_NS1_11comp_targetILNS1_3genE10ELNS1_11target_archE1201ELNS1_3gpuE5ELNS1_3repE0EEENS1_30default_config_static_selectorELNS0_4arch9wavefront6targetE0EEEvT1_
	.globl	_ZN7rocprim17ROCPRIM_400000_NS6detail17trampoline_kernelINS0_14default_configENS1_27scan_by_key_config_selectorIidEEZZNS1_16scan_by_key_implILNS1_25lookback_scan_determinismE0ELb1ES3_N6thrust23THRUST_200600_302600_NS6detail15normal_iteratorINS9_10device_ptrIiEEEENSB_INSC_IdEEEESG_dNS9_4plusIvEENS9_8equal_toIvEEdEE10hipError_tPvRmT2_T3_T4_T5_mT6_T7_P12ihipStream_tbENKUlT_T0_E_clISt17integral_constantIbLb0EES10_IbLb1EEEEDaSW_SX_EUlSW_E_NS1_11comp_targetILNS1_3genE10ELNS1_11target_archE1201ELNS1_3gpuE5ELNS1_3repE0EEENS1_30default_config_static_selectorELNS0_4arch9wavefront6targetE0EEEvT1_
	.p2align	8
	.type	_ZN7rocprim17ROCPRIM_400000_NS6detail17trampoline_kernelINS0_14default_configENS1_27scan_by_key_config_selectorIidEEZZNS1_16scan_by_key_implILNS1_25lookback_scan_determinismE0ELb1ES3_N6thrust23THRUST_200600_302600_NS6detail15normal_iteratorINS9_10device_ptrIiEEEENSB_INSC_IdEEEESG_dNS9_4plusIvEENS9_8equal_toIvEEdEE10hipError_tPvRmT2_T3_T4_T5_mT6_T7_P12ihipStream_tbENKUlT_T0_E_clISt17integral_constantIbLb0EES10_IbLb1EEEEDaSW_SX_EUlSW_E_NS1_11comp_targetILNS1_3genE10ELNS1_11target_archE1201ELNS1_3gpuE5ELNS1_3repE0EEENS1_30default_config_static_selectorELNS0_4arch9wavefront6targetE0EEEvT1_,@function
_ZN7rocprim17ROCPRIM_400000_NS6detail17trampoline_kernelINS0_14default_configENS1_27scan_by_key_config_selectorIidEEZZNS1_16scan_by_key_implILNS1_25lookback_scan_determinismE0ELb1ES3_N6thrust23THRUST_200600_302600_NS6detail15normal_iteratorINS9_10device_ptrIiEEEENSB_INSC_IdEEEESG_dNS9_4plusIvEENS9_8equal_toIvEEdEE10hipError_tPvRmT2_T3_T4_T5_mT6_T7_P12ihipStream_tbENKUlT_T0_E_clISt17integral_constantIbLb0EES10_IbLb1EEEEDaSW_SX_EUlSW_E_NS1_11comp_targetILNS1_3genE10ELNS1_11target_archE1201ELNS1_3gpuE5ELNS1_3repE0EEENS1_30default_config_static_selectorELNS0_4arch9wavefront6targetE0EEEvT1_: ; @_ZN7rocprim17ROCPRIM_400000_NS6detail17trampoline_kernelINS0_14default_configENS1_27scan_by_key_config_selectorIidEEZZNS1_16scan_by_key_implILNS1_25lookback_scan_determinismE0ELb1ES3_N6thrust23THRUST_200600_302600_NS6detail15normal_iteratorINS9_10device_ptrIiEEEENSB_INSC_IdEEEESG_dNS9_4plusIvEENS9_8equal_toIvEEdEE10hipError_tPvRmT2_T3_T4_T5_mT6_T7_P12ihipStream_tbENKUlT_T0_E_clISt17integral_constantIbLb0EES10_IbLb1EEEEDaSW_SX_EUlSW_E_NS1_11comp_targetILNS1_3genE10ELNS1_11target_archE1201ELNS1_3gpuE5ELNS1_3repE0EEENS1_30default_config_static_selectorELNS0_4arch9wavefront6targetE0EEEvT1_
; %bb.0:
	.section	.rodata,"a",@progbits
	.p2align	6, 0x0
	.amdhsa_kernel _ZN7rocprim17ROCPRIM_400000_NS6detail17trampoline_kernelINS0_14default_configENS1_27scan_by_key_config_selectorIidEEZZNS1_16scan_by_key_implILNS1_25lookback_scan_determinismE0ELb1ES3_N6thrust23THRUST_200600_302600_NS6detail15normal_iteratorINS9_10device_ptrIiEEEENSB_INSC_IdEEEESG_dNS9_4plusIvEENS9_8equal_toIvEEdEE10hipError_tPvRmT2_T3_T4_T5_mT6_T7_P12ihipStream_tbENKUlT_T0_E_clISt17integral_constantIbLb0EES10_IbLb1EEEEDaSW_SX_EUlSW_E_NS1_11comp_targetILNS1_3genE10ELNS1_11target_archE1201ELNS1_3gpuE5ELNS1_3repE0EEENS1_30default_config_static_selectorELNS0_4arch9wavefront6targetE0EEEvT1_
		.amdhsa_group_segment_fixed_size 0
		.amdhsa_private_segment_fixed_size 0
		.amdhsa_kernarg_size 136
		.amdhsa_user_sgpr_count 2
		.amdhsa_user_sgpr_dispatch_ptr 0
		.amdhsa_user_sgpr_queue_ptr 0
		.amdhsa_user_sgpr_kernarg_segment_ptr 1
		.amdhsa_user_sgpr_dispatch_id 0
		.amdhsa_user_sgpr_kernarg_preload_length 0
		.amdhsa_user_sgpr_kernarg_preload_offset 0
		.amdhsa_user_sgpr_private_segment_size 0
		.amdhsa_wavefront_size32 1
		.amdhsa_uses_dynamic_stack 0
		.amdhsa_enable_private_segment 0
		.amdhsa_system_sgpr_workgroup_id_x 1
		.amdhsa_system_sgpr_workgroup_id_y 0
		.amdhsa_system_sgpr_workgroup_id_z 0
		.amdhsa_system_sgpr_workgroup_info 0
		.amdhsa_system_vgpr_workitem_id 0
		.amdhsa_next_free_vgpr 1
		.amdhsa_next_free_sgpr 1
		.amdhsa_named_barrier_count 0
		.amdhsa_reserve_vcc 0
		.amdhsa_float_round_mode_32 0
		.amdhsa_float_round_mode_16_64 0
		.amdhsa_float_denorm_mode_32 3
		.amdhsa_float_denorm_mode_16_64 3
		.amdhsa_fp16_overflow 0
		.amdhsa_memory_ordered 1
		.amdhsa_forward_progress 1
		.amdhsa_inst_pref_size 0
		.amdhsa_round_robin_scheduling 0
		.amdhsa_exception_fp_ieee_invalid_op 0
		.amdhsa_exception_fp_denorm_src 0
		.amdhsa_exception_fp_ieee_div_zero 0
		.amdhsa_exception_fp_ieee_overflow 0
		.amdhsa_exception_fp_ieee_underflow 0
		.amdhsa_exception_fp_ieee_inexact 0
		.amdhsa_exception_int_div_zero 0
	.end_amdhsa_kernel
	.section	.text._ZN7rocprim17ROCPRIM_400000_NS6detail17trampoline_kernelINS0_14default_configENS1_27scan_by_key_config_selectorIidEEZZNS1_16scan_by_key_implILNS1_25lookback_scan_determinismE0ELb1ES3_N6thrust23THRUST_200600_302600_NS6detail15normal_iteratorINS9_10device_ptrIiEEEENSB_INSC_IdEEEESG_dNS9_4plusIvEENS9_8equal_toIvEEdEE10hipError_tPvRmT2_T3_T4_T5_mT6_T7_P12ihipStream_tbENKUlT_T0_E_clISt17integral_constantIbLb0EES10_IbLb1EEEEDaSW_SX_EUlSW_E_NS1_11comp_targetILNS1_3genE10ELNS1_11target_archE1201ELNS1_3gpuE5ELNS1_3repE0EEENS1_30default_config_static_selectorELNS0_4arch9wavefront6targetE0EEEvT1_,"axG",@progbits,_ZN7rocprim17ROCPRIM_400000_NS6detail17trampoline_kernelINS0_14default_configENS1_27scan_by_key_config_selectorIidEEZZNS1_16scan_by_key_implILNS1_25lookback_scan_determinismE0ELb1ES3_N6thrust23THRUST_200600_302600_NS6detail15normal_iteratorINS9_10device_ptrIiEEEENSB_INSC_IdEEEESG_dNS9_4plusIvEENS9_8equal_toIvEEdEE10hipError_tPvRmT2_T3_T4_T5_mT6_T7_P12ihipStream_tbENKUlT_T0_E_clISt17integral_constantIbLb0EES10_IbLb1EEEEDaSW_SX_EUlSW_E_NS1_11comp_targetILNS1_3genE10ELNS1_11target_archE1201ELNS1_3gpuE5ELNS1_3repE0EEENS1_30default_config_static_selectorELNS0_4arch9wavefront6targetE0EEEvT1_,comdat
.Lfunc_end1419:
	.size	_ZN7rocprim17ROCPRIM_400000_NS6detail17trampoline_kernelINS0_14default_configENS1_27scan_by_key_config_selectorIidEEZZNS1_16scan_by_key_implILNS1_25lookback_scan_determinismE0ELb1ES3_N6thrust23THRUST_200600_302600_NS6detail15normal_iteratorINS9_10device_ptrIiEEEENSB_INSC_IdEEEESG_dNS9_4plusIvEENS9_8equal_toIvEEdEE10hipError_tPvRmT2_T3_T4_T5_mT6_T7_P12ihipStream_tbENKUlT_T0_E_clISt17integral_constantIbLb0EES10_IbLb1EEEEDaSW_SX_EUlSW_E_NS1_11comp_targetILNS1_3genE10ELNS1_11target_archE1201ELNS1_3gpuE5ELNS1_3repE0EEENS1_30default_config_static_selectorELNS0_4arch9wavefront6targetE0EEEvT1_, .Lfunc_end1419-_ZN7rocprim17ROCPRIM_400000_NS6detail17trampoline_kernelINS0_14default_configENS1_27scan_by_key_config_selectorIidEEZZNS1_16scan_by_key_implILNS1_25lookback_scan_determinismE0ELb1ES3_N6thrust23THRUST_200600_302600_NS6detail15normal_iteratorINS9_10device_ptrIiEEEENSB_INSC_IdEEEESG_dNS9_4plusIvEENS9_8equal_toIvEEdEE10hipError_tPvRmT2_T3_T4_T5_mT6_T7_P12ihipStream_tbENKUlT_T0_E_clISt17integral_constantIbLb0EES10_IbLb1EEEEDaSW_SX_EUlSW_E_NS1_11comp_targetILNS1_3genE10ELNS1_11target_archE1201ELNS1_3gpuE5ELNS1_3repE0EEENS1_30default_config_static_selectorELNS0_4arch9wavefront6targetE0EEEvT1_
                                        ; -- End function
	.set _ZN7rocprim17ROCPRIM_400000_NS6detail17trampoline_kernelINS0_14default_configENS1_27scan_by_key_config_selectorIidEEZZNS1_16scan_by_key_implILNS1_25lookback_scan_determinismE0ELb1ES3_N6thrust23THRUST_200600_302600_NS6detail15normal_iteratorINS9_10device_ptrIiEEEENSB_INSC_IdEEEESG_dNS9_4plusIvEENS9_8equal_toIvEEdEE10hipError_tPvRmT2_T3_T4_T5_mT6_T7_P12ihipStream_tbENKUlT_T0_E_clISt17integral_constantIbLb0EES10_IbLb1EEEEDaSW_SX_EUlSW_E_NS1_11comp_targetILNS1_3genE10ELNS1_11target_archE1201ELNS1_3gpuE5ELNS1_3repE0EEENS1_30default_config_static_selectorELNS0_4arch9wavefront6targetE0EEEvT1_.num_vgpr, 0
	.set _ZN7rocprim17ROCPRIM_400000_NS6detail17trampoline_kernelINS0_14default_configENS1_27scan_by_key_config_selectorIidEEZZNS1_16scan_by_key_implILNS1_25lookback_scan_determinismE0ELb1ES3_N6thrust23THRUST_200600_302600_NS6detail15normal_iteratorINS9_10device_ptrIiEEEENSB_INSC_IdEEEESG_dNS9_4plusIvEENS9_8equal_toIvEEdEE10hipError_tPvRmT2_T3_T4_T5_mT6_T7_P12ihipStream_tbENKUlT_T0_E_clISt17integral_constantIbLb0EES10_IbLb1EEEEDaSW_SX_EUlSW_E_NS1_11comp_targetILNS1_3genE10ELNS1_11target_archE1201ELNS1_3gpuE5ELNS1_3repE0EEENS1_30default_config_static_selectorELNS0_4arch9wavefront6targetE0EEEvT1_.num_agpr, 0
	.set _ZN7rocprim17ROCPRIM_400000_NS6detail17trampoline_kernelINS0_14default_configENS1_27scan_by_key_config_selectorIidEEZZNS1_16scan_by_key_implILNS1_25lookback_scan_determinismE0ELb1ES3_N6thrust23THRUST_200600_302600_NS6detail15normal_iteratorINS9_10device_ptrIiEEEENSB_INSC_IdEEEESG_dNS9_4plusIvEENS9_8equal_toIvEEdEE10hipError_tPvRmT2_T3_T4_T5_mT6_T7_P12ihipStream_tbENKUlT_T0_E_clISt17integral_constantIbLb0EES10_IbLb1EEEEDaSW_SX_EUlSW_E_NS1_11comp_targetILNS1_3genE10ELNS1_11target_archE1201ELNS1_3gpuE5ELNS1_3repE0EEENS1_30default_config_static_selectorELNS0_4arch9wavefront6targetE0EEEvT1_.numbered_sgpr, 0
	.set _ZN7rocprim17ROCPRIM_400000_NS6detail17trampoline_kernelINS0_14default_configENS1_27scan_by_key_config_selectorIidEEZZNS1_16scan_by_key_implILNS1_25lookback_scan_determinismE0ELb1ES3_N6thrust23THRUST_200600_302600_NS6detail15normal_iteratorINS9_10device_ptrIiEEEENSB_INSC_IdEEEESG_dNS9_4plusIvEENS9_8equal_toIvEEdEE10hipError_tPvRmT2_T3_T4_T5_mT6_T7_P12ihipStream_tbENKUlT_T0_E_clISt17integral_constantIbLb0EES10_IbLb1EEEEDaSW_SX_EUlSW_E_NS1_11comp_targetILNS1_3genE10ELNS1_11target_archE1201ELNS1_3gpuE5ELNS1_3repE0EEENS1_30default_config_static_selectorELNS0_4arch9wavefront6targetE0EEEvT1_.num_named_barrier, 0
	.set _ZN7rocprim17ROCPRIM_400000_NS6detail17trampoline_kernelINS0_14default_configENS1_27scan_by_key_config_selectorIidEEZZNS1_16scan_by_key_implILNS1_25lookback_scan_determinismE0ELb1ES3_N6thrust23THRUST_200600_302600_NS6detail15normal_iteratorINS9_10device_ptrIiEEEENSB_INSC_IdEEEESG_dNS9_4plusIvEENS9_8equal_toIvEEdEE10hipError_tPvRmT2_T3_T4_T5_mT6_T7_P12ihipStream_tbENKUlT_T0_E_clISt17integral_constantIbLb0EES10_IbLb1EEEEDaSW_SX_EUlSW_E_NS1_11comp_targetILNS1_3genE10ELNS1_11target_archE1201ELNS1_3gpuE5ELNS1_3repE0EEENS1_30default_config_static_selectorELNS0_4arch9wavefront6targetE0EEEvT1_.private_seg_size, 0
	.set _ZN7rocprim17ROCPRIM_400000_NS6detail17trampoline_kernelINS0_14default_configENS1_27scan_by_key_config_selectorIidEEZZNS1_16scan_by_key_implILNS1_25lookback_scan_determinismE0ELb1ES3_N6thrust23THRUST_200600_302600_NS6detail15normal_iteratorINS9_10device_ptrIiEEEENSB_INSC_IdEEEESG_dNS9_4plusIvEENS9_8equal_toIvEEdEE10hipError_tPvRmT2_T3_T4_T5_mT6_T7_P12ihipStream_tbENKUlT_T0_E_clISt17integral_constantIbLb0EES10_IbLb1EEEEDaSW_SX_EUlSW_E_NS1_11comp_targetILNS1_3genE10ELNS1_11target_archE1201ELNS1_3gpuE5ELNS1_3repE0EEENS1_30default_config_static_selectorELNS0_4arch9wavefront6targetE0EEEvT1_.uses_vcc, 0
	.set _ZN7rocprim17ROCPRIM_400000_NS6detail17trampoline_kernelINS0_14default_configENS1_27scan_by_key_config_selectorIidEEZZNS1_16scan_by_key_implILNS1_25lookback_scan_determinismE0ELb1ES3_N6thrust23THRUST_200600_302600_NS6detail15normal_iteratorINS9_10device_ptrIiEEEENSB_INSC_IdEEEESG_dNS9_4plusIvEENS9_8equal_toIvEEdEE10hipError_tPvRmT2_T3_T4_T5_mT6_T7_P12ihipStream_tbENKUlT_T0_E_clISt17integral_constantIbLb0EES10_IbLb1EEEEDaSW_SX_EUlSW_E_NS1_11comp_targetILNS1_3genE10ELNS1_11target_archE1201ELNS1_3gpuE5ELNS1_3repE0EEENS1_30default_config_static_selectorELNS0_4arch9wavefront6targetE0EEEvT1_.uses_flat_scratch, 0
	.set _ZN7rocprim17ROCPRIM_400000_NS6detail17trampoline_kernelINS0_14default_configENS1_27scan_by_key_config_selectorIidEEZZNS1_16scan_by_key_implILNS1_25lookback_scan_determinismE0ELb1ES3_N6thrust23THRUST_200600_302600_NS6detail15normal_iteratorINS9_10device_ptrIiEEEENSB_INSC_IdEEEESG_dNS9_4plusIvEENS9_8equal_toIvEEdEE10hipError_tPvRmT2_T3_T4_T5_mT6_T7_P12ihipStream_tbENKUlT_T0_E_clISt17integral_constantIbLb0EES10_IbLb1EEEEDaSW_SX_EUlSW_E_NS1_11comp_targetILNS1_3genE10ELNS1_11target_archE1201ELNS1_3gpuE5ELNS1_3repE0EEENS1_30default_config_static_selectorELNS0_4arch9wavefront6targetE0EEEvT1_.has_dyn_sized_stack, 0
	.set _ZN7rocprim17ROCPRIM_400000_NS6detail17trampoline_kernelINS0_14default_configENS1_27scan_by_key_config_selectorIidEEZZNS1_16scan_by_key_implILNS1_25lookback_scan_determinismE0ELb1ES3_N6thrust23THRUST_200600_302600_NS6detail15normal_iteratorINS9_10device_ptrIiEEEENSB_INSC_IdEEEESG_dNS9_4plusIvEENS9_8equal_toIvEEdEE10hipError_tPvRmT2_T3_T4_T5_mT6_T7_P12ihipStream_tbENKUlT_T0_E_clISt17integral_constantIbLb0EES10_IbLb1EEEEDaSW_SX_EUlSW_E_NS1_11comp_targetILNS1_3genE10ELNS1_11target_archE1201ELNS1_3gpuE5ELNS1_3repE0EEENS1_30default_config_static_selectorELNS0_4arch9wavefront6targetE0EEEvT1_.has_recursion, 0
	.set _ZN7rocprim17ROCPRIM_400000_NS6detail17trampoline_kernelINS0_14default_configENS1_27scan_by_key_config_selectorIidEEZZNS1_16scan_by_key_implILNS1_25lookback_scan_determinismE0ELb1ES3_N6thrust23THRUST_200600_302600_NS6detail15normal_iteratorINS9_10device_ptrIiEEEENSB_INSC_IdEEEESG_dNS9_4plusIvEENS9_8equal_toIvEEdEE10hipError_tPvRmT2_T3_T4_T5_mT6_T7_P12ihipStream_tbENKUlT_T0_E_clISt17integral_constantIbLb0EES10_IbLb1EEEEDaSW_SX_EUlSW_E_NS1_11comp_targetILNS1_3genE10ELNS1_11target_archE1201ELNS1_3gpuE5ELNS1_3repE0EEENS1_30default_config_static_selectorELNS0_4arch9wavefront6targetE0EEEvT1_.has_indirect_call, 0
	.section	.AMDGPU.csdata,"",@progbits
; Kernel info:
; codeLenInByte = 0
; TotalNumSgprs: 0
; NumVgprs: 0
; ScratchSize: 0
; MemoryBound: 0
; FloatMode: 240
; IeeeMode: 1
; LDSByteSize: 0 bytes/workgroup (compile time only)
; SGPRBlocks: 0
; VGPRBlocks: 0
; NumSGPRsForWavesPerEU: 1
; NumVGPRsForWavesPerEU: 1
; NamedBarCnt: 0
; Occupancy: 16
; WaveLimiterHint : 0
; COMPUTE_PGM_RSRC2:SCRATCH_EN: 0
; COMPUTE_PGM_RSRC2:USER_SGPR: 2
; COMPUTE_PGM_RSRC2:TRAP_HANDLER: 0
; COMPUTE_PGM_RSRC2:TGID_X_EN: 1
; COMPUTE_PGM_RSRC2:TGID_Y_EN: 0
; COMPUTE_PGM_RSRC2:TGID_Z_EN: 0
; COMPUTE_PGM_RSRC2:TIDIG_COMP_CNT: 0
	.section	.text._ZN7rocprim17ROCPRIM_400000_NS6detail17trampoline_kernelINS0_14default_configENS1_27scan_by_key_config_selectorIidEEZZNS1_16scan_by_key_implILNS1_25lookback_scan_determinismE0ELb1ES3_N6thrust23THRUST_200600_302600_NS6detail15normal_iteratorINS9_10device_ptrIiEEEENSB_INSC_IdEEEESG_dNS9_4plusIvEENS9_8equal_toIvEEdEE10hipError_tPvRmT2_T3_T4_T5_mT6_T7_P12ihipStream_tbENKUlT_T0_E_clISt17integral_constantIbLb0EES10_IbLb1EEEEDaSW_SX_EUlSW_E_NS1_11comp_targetILNS1_3genE5ELNS1_11target_archE942ELNS1_3gpuE9ELNS1_3repE0EEENS1_30default_config_static_selectorELNS0_4arch9wavefront6targetE0EEEvT1_,"axG",@progbits,_ZN7rocprim17ROCPRIM_400000_NS6detail17trampoline_kernelINS0_14default_configENS1_27scan_by_key_config_selectorIidEEZZNS1_16scan_by_key_implILNS1_25lookback_scan_determinismE0ELb1ES3_N6thrust23THRUST_200600_302600_NS6detail15normal_iteratorINS9_10device_ptrIiEEEENSB_INSC_IdEEEESG_dNS9_4plusIvEENS9_8equal_toIvEEdEE10hipError_tPvRmT2_T3_T4_T5_mT6_T7_P12ihipStream_tbENKUlT_T0_E_clISt17integral_constantIbLb0EES10_IbLb1EEEEDaSW_SX_EUlSW_E_NS1_11comp_targetILNS1_3genE5ELNS1_11target_archE942ELNS1_3gpuE9ELNS1_3repE0EEENS1_30default_config_static_selectorELNS0_4arch9wavefront6targetE0EEEvT1_,comdat
	.protected	_ZN7rocprim17ROCPRIM_400000_NS6detail17trampoline_kernelINS0_14default_configENS1_27scan_by_key_config_selectorIidEEZZNS1_16scan_by_key_implILNS1_25lookback_scan_determinismE0ELb1ES3_N6thrust23THRUST_200600_302600_NS6detail15normal_iteratorINS9_10device_ptrIiEEEENSB_INSC_IdEEEESG_dNS9_4plusIvEENS9_8equal_toIvEEdEE10hipError_tPvRmT2_T3_T4_T5_mT6_T7_P12ihipStream_tbENKUlT_T0_E_clISt17integral_constantIbLb0EES10_IbLb1EEEEDaSW_SX_EUlSW_E_NS1_11comp_targetILNS1_3genE5ELNS1_11target_archE942ELNS1_3gpuE9ELNS1_3repE0EEENS1_30default_config_static_selectorELNS0_4arch9wavefront6targetE0EEEvT1_ ; -- Begin function _ZN7rocprim17ROCPRIM_400000_NS6detail17trampoline_kernelINS0_14default_configENS1_27scan_by_key_config_selectorIidEEZZNS1_16scan_by_key_implILNS1_25lookback_scan_determinismE0ELb1ES3_N6thrust23THRUST_200600_302600_NS6detail15normal_iteratorINS9_10device_ptrIiEEEENSB_INSC_IdEEEESG_dNS9_4plusIvEENS9_8equal_toIvEEdEE10hipError_tPvRmT2_T3_T4_T5_mT6_T7_P12ihipStream_tbENKUlT_T0_E_clISt17integral_constantIbLb0EES10_IbLb1EEEEDaSW_SX_EUlSW_E_NS1_11comp_targetILNS1_3genE5ELNS1_11target_archE942ELNS1_3gpuE9ELNS1_3repE0EEENS1_30default_config_static_selectorELNS0_4arch9wavefront6targetE0EEEvT1_
	.globl	_ZN7rocprim17ROCPRIM_400000_NS6detail17trampoline_kernelINS0_14default_configENS1_27scan_by_key_config_selectorIidEEZZNS1_16scan_by_key_implILNS1_25lookback_scan_determinismE0ELb1ES3_N6thrust23THRUST_200600_302600_NS6detail15normal_iteratorINS9_10device_ptrIiEEEENSB_INSC_IdEEEESG_dNS9_4plusIvEENS9_8equal_toIvEEdEE10hipError_tPvRmT2_T3_T4_T5_mT6_T7_P12ihipStream_tbENKUlT_T0_E_clISt17integral_constantIbLb0EES10_IbLb1EEEEDaSW_SX_EUlSW_E_NS1_11comp_targetILNS1_3genE5ELNS1_11target_archE942ELNS1_3gpuE9ELNS1_3repE0EEENS1_30default_config_static_selectorELNS0_4arch9wavefront6targetE0EEEvT1_
	.p2align	8
	.type	_ZN7rocprim17ROCPRIM_400000_NS6detail17trampoline_kernelINS0_14default_configENS1_27scan_by_key_config_selectorIidEEZZNS1_16scan_by_key_implILNS1_25lookback_scan_determinismE0ELb1ES3_N6thrust23THRUST_200600_302600_NS6detail15normal_iteratorINS9_10device_ptrIiEEEENSB_INSC_IdEEEESG_dNS9_4plusIvEENS9_8equal_toIvEEdEE10hipError_tPvRmT2_T3_T4_T5_mT6_T7_P12ihipStream_tbENKUlT_T0_E_clISt17integral_constantIbLb0EES10_IbLb1EEEEDaSW_SX_EUlSW_E_NS1_11comp_targetILNS1_3genE5ELNS1_11target_archE942ELNS1_3gpuE9ELNS1_3repE0EEENS1_30default_config_static_selectorELNS0_4arch9wavefront6targetE0EEEvT1_,@function
_ZN7rocprim17ROCPRIM_400000_NS6detail17trampoline_kernelINS0_14default_configENS1_27scan_by_key_config_selectorIidEEZZNS1_16scan_by_key_implILNS1_25lookback_scan_determinismE0ELb1ES3_N6thrust23THRUST_200600_302600_NS6detail15normal_iteratorINS9_10device_ptrIiEEEENSB_INSC_IdEEEESG_dNS9_4plusIvEENS9_8equal_toIvEEdEE10hipError_tPvRmT2_T3_T4_T5_mT6_T7_P12ihipStream_tbENKUlT_T0_E_clISt17integral_constantIbLb0EES10_IbLb1EEEEDaSW_SX_EUlSW_E_NS1_11comp_targetILNS1_3genE5ELNS1_11target_archE942ELNS1_3gpuE9ELNS1_3repE0EEENS1_30default_config_static_selectorELNS0_4arch9wavefront6targetE0EEEvT1_: ; @_ZN7rocprim17ROCPRIM_400000_NS6detail17trampoline_kernelINS0_14default_configENS1_27scan_by_key_config_selectorIidEEZZNS1_16scan_by_key_implILNS1_25lookback_scan_determinismE0ELb1ES3_N6thrust23THRUST_200600_302600_NS6detail15normal_iteratorINS9_10device_ptrIiEEEENSB_INSC_IdEEEESG_dNS9_4plusIvEENS9_8equal_toIvEEdEE10hipError_tPvRmT2_T3_T4_T5_mT6_T7_P12ihipStream_tbENKUlT_T0_E_clISt17integral_constantIbLb0EES10_IbLb1EEEEDaSW_SX_EUlSW_E_NS1_11comp_targetILNS1_3genE5ELNS1_11target_archE942ELNS1_3gpuE9ELNS1_3repE0EEENS1_30default_config_static_selectorELNS0_4arch9wavefront6targetE0EEEvT1_
; %bb.0:
	.section	.rodata,"a",@progbits
	.p2align	6, 0x0
	.amdhsa_kernel _ZN7rocprim17ROCPRIM_400000_NS6detail17trampoline_kernelINS0_14default_configENS1_27scan_by_key_config_selectorIidEEZZNS1_16scan_by_key_implILNS1_25lookback_scan_determinismE0ELb1ES3_N6thrust23THRUST_200600_302600_NS6detail15normal_iteratorINS9_10device_ptrIiEEEENSB_INSC_IdEEEESG_dNS9_4plusIvEENS9_8equal_toIvEEdEE10hipError_tPvRmT2_T3_T4_T5_mT6_T7_P12ihipStream_tbENKUlT_T0_E_clISt17integral_constantIbLb0EES10_IbLb1EEEEDaSW_SX_EUlSW_E_NS1_11comp_targetILNS1_3genE5ELNS1_11target_archE942ELNS1_3gpuE9ELNS1_3repE0EEENS1_30default_config_static_selectorELNS0_4arch9wavefront6targetE0EEEvT1_
		.amdhsa_group_segment_fixed_size 0
		.amdhsa_private_segment_fixed_size 0
		.amdhsa_kernarg_size 136
		.amdhsa_user_sgpr_count 2
		.amdhsa_user_sgpr_dispatch_ptr 0
		.amdhsa_user_sgpr_queue_ptr 0
		.amdhsa_user_sgpr_kernarg_segment_ptr 1
		.amdhsa_user_sgpr_dispatch_id 0
		.amdhsa_user_sgpr_kernarg_preload_length 0
		.amdhsa_user_sgpr_kernarg_preload_offset 0
		.amdhsa_user_sgpr_private_segment_size 0
		.amdhsa_wavefront_size32 1
		.amdhsa_uses_dynamic_stack 0
		.amdhsa_enable_private_segment 0
		.amdhsa_system_sgpr_workgroup_id_x 1
		.amdhsa_system_sgpr_workgroup_id_y 0
		.amdhsa_system_sgpr_workgroup_id_z 0
		.amdhsa_system_sgpr_workgroup_info 0
		.amdhsa_system_vgpr_workitem_id 0
		.amdhsa_next_free_vgpr 1
		.amdhsa_next_free_sgpr 1
		.amdhsa_named_barrier_count 0
		.amdhsa_reserve_vcc 0
		.amdhsa_float_round_mode_32 0
		.amdhsa_float_round_mode_16_64 0
		.amdhsa_float_denorm_mode_32 3
		.amdhsa_float_denorm_mode_16_64 3
		.amdhsa_fp16_overflow 0
		.amdhsa_memory_ordered 1
		.amdhsa_forward_progress 1
		.amdhsa_inst_pref_size 0
		.amdhsa_round_robin_scheduling 0
		.amdhsa_exception_fp_ieee_invalid_op 0
		.amdhsa_exception_fp_denorm_src 0
		.amdhsa_exception_fp_ieee_div_zero 0
		.amdhsa_exception_fp_ieee_overflow 0
		.amdhsa_exception_fp_ieee_underflow 0
		.amdhsa_exception_fp_ieee_inexact 0
		.amdhsa_exception_int_div_zero 0
	.end_amdhsa_kernel
	.section	.text._ZN7rocprim17ROCPRIM_400000_NS6detail17trampoline_kernelINS0_14default_configENS1_27scan_by_key_config_selectorIidEEZZNS1_16scan_by_key_implILNS1_25lookback_scan_determinismE0ELb1ES3_N6thrust23THRUST_200600_302600_NS6detail15normal_iteratorINS9_10device_ptrIiEEEENSB_INSC_IdEEEESG_dNS9_4plusIvEENS9_8equal_toIvEEdEE10hipError_tPvRmT2_T3_T4_T5_mT6_T7_P12ihipStream_tbENKUlT_T0_E_clISt17integral_constantIbLb0EES10_IbLb1EEEEDaSW_SX_EUlSW_E_NS1_11comp_targetILNS1_3genE5ELNS1_11target_archE942ELNS1_3gpuE9ELNS1_3repE0EEENS1_30default_config_static_selectorELNS0_4arch9wavefront6targetE0EEEvT1_,"axG",@progbits,_ZN7rocprim17ROCPRIM_400000_NS6detail17trampoline_kernelINS0_14default_configENS1_27scan_by_key_config_selectorIidEEZZNS1_16scan_by_key_implILNS1_25lookback_scan_determinismE0ELb1ES3_N6thrust23THRUST_200600_302600_NS6detail15normal_iteratorINS9_10device_ptrIiEEEENSB_INSC_IdEEEESG_dNS9_4plusIvEENS9_8equal_toIvEEdEE10hipError_tPvRmT2_T3_T4_T5_mT6_T7_P12ihipStream_tbENKUlT_T0_E_clISt17integral_constantIbLb0EES10_IbLb1EEEEDaSW_SX_EUlSW_E_NS1_11comp_targetILNS1_3genE5ELNS1_11target_archE942ELNS1_3gpuE9ELNS1_3repE0EEENS1_30default_config_static_selectorELNS0_4arch9wavefront6targetE0EEEvT1_,comdat
.Lfunc_end1420:
	.size	_ZN7rocprim17ROCPRIM_400000_NS6detail17trampoline_kernelINS0_14default_configENS1_27scan_by_key_config_selectorIidEEZZNS1_16scan_by_key_implILNS1_25lookback_scan_determinismE0ELb1ES3_N6thrust23THRUST_200600_302600_NS6detail15normal_iteratorINS9_10device_ptrIiEEEENSB_INSC_IdEEEESG_dNS9_4plusIvEENS9_8equal_toIvEEdEE10hipError_tPvRmT2_T3_T4_T5_mT6_T7_P12ihipStream_tbENKUlT_T0_E_clISt17integral_constantIbLb0EES10_IbLb1EEEEDaSW_SX_EUlSW_E_NS1_11comp_targetILNS1_3genE5ELNS1_11target_archE942ELNS1_3gpuE9ELNS1_3repE0EEENS1_30default_config_static_selectorELNS0_4arch9wavefront6targetE0EEEvT1_, .Lfunc_end1420-_ZN7rocprim17ROCPRIM_400000_NS6detail17trampoline_kernelINS0_14default_configENS1_27scan_by_key_config_selectorIidEEZZNS1_16scan_by_key_implILNS1_25lookback_scan_determinismE0ELb1ES3_N6thrust23THRUST_200600_302600_NS6detail15normal_iteratorINS9_10device_ptrIiEEEENSB_INSC_IdEEEESG_dNS9_4plusIvEENS9_8equal_toIvEEdEE10hipError_tPvRmT2_T3_T4_T5_mT6_T7_P12ihipStream_tbENKUlT_T0_E_clISt17integral_constantIbLb0EES10_IbLb1EEEEDaSW_SX_EUlSW_E_NS1_11comp_targetILNS1_3genE5ELNS1_11target_archE942ELNS1_3gpuE9ELNS1_3repE0EEENS1_30default_config_static_selectorELNS0_4arch9wavefront6targetE0EEEvT1_
                                        ; -- End function
	.set _ZN7rocprim17ROCPRIM_400000_NS6detail17trampoline_kernelINS0_14default_configENS1_27scan_by_key_config_selectorIidEEZZNS1_16scan_by_key_implILNS1_25lookback_scan_determinismE0ELb1ES3_N6thrust23THRUST_200600_302600_NS6detail15normal_iteratorINS9_10device_ptrIiEEEENSB_INSC_IdEEEESG_dNS9_4plusIvEENS9_8equal_toIvEEdEE10hipError_tPvRmT2_T3_T4_T5_mT6_T7_P12ihipStream_tbENKUlT_T0_E_clISt17integral_constantIbLb0EES10_IbLb1EEEEDaSW_SX_EUlSW_E_NS1_11comp_targetILNS1_3genE5ELNS1_11target_archE942ELNS1_3gpuE9ELNS1_3repE0EEENS1_30default_config_static_selectorELNS0_4arch9wavefront6targetE0EEEvT1_.num_vgpr, 0
	.set _ZN7rocprim17ROCPRIM_400000_NS6detail17trampoline_kernelINS0_14default_configENS1_27scan_by_key_config_selectorIidEEZZNS1_16scan_by_key_implILNS1_25lookback_scan_determinismE0ELb1ES3_N6thrust23THRUST_200600_302600_NS6detail15normal_iteratorINS9_10device_ptrIiEEEENSB_INSC_IdEEEESG_dNS9_4plusIvEENS9_8equal_toIvEEdEE10hipError_tPvRmT2_T3_T4_T5_mT6_T7_P12ihipStream_tbENKUlT_T0_E_clISt17integral_constantIbLb0EES10_IbLb1EEEEDaSW_SX_EUlSW_E_NS1_11comp_targetILNS1_3genE5ELNS1_11target_archE942ELNS1_3gpuE9ELNS1_3repE0EEENS1_30default_config_static_selectorELNS0_4arch9wavefront6targetE0EEEvT1_.num_agpr, 0
	.set _ZN7rocprim17ROCPRIM_400000_NS6detail17trampoline_kernelINS0_14default_configENS1_27scan_by_key_config_selectorIidEEZZNS1_16scan_by_key_implILNS1_25lookback_scan_determinismE0ELb1ES3_N6thrust23THRUST_200600_302600_NS6detail15normal_iteratorINS9_10device_ptrIiEEEENSB_INSC_IdEEEESG_dNS9_4plusIvEENS9_8equal_toIvEEdEE10hipError_tPvRmT2_T3_T4_T5_mT6_T7_P12ihipStream_tbENKUlT_T0_E_clISt17integral_constantIbLb0EES10_IbLb1EEEEDaSW_SX_EUlSW_E_NS1_11comp_targetILNS1_3genE5ELNS1_11target_archE942ELNS1_3gpuE9ELNS1_3repE0EEENS1_30default_config_static_selectorELNS0_4arch9wavefront6targetE0EEEvT1_.numbered_sgpr, 0
	.set _ZN7rocprim17ROCPRIM_400000_NS6detail17trampoline_kernelINS0_14default_configENS1_27scan_by_key_config_selectorIidEEZZNS1_16scan_by_key_implILNS1_25lookback_scan_determinismE0ELb1ES3_N6thrust23THRUST_200600_302600_NS6detail15normal_iteratorINS9_10device_ptrIiEEEENSB_INSC_IdEEEESG_dNS9_4plusIvEENS9_8equal_toIvEEdEE10hipError_tPvRmT2_T3_T4_T5_mT6_T7_P12ihipStream_tbENKUlT_T0_E_clISt17integral_constantIbLb0EES10_IbLb1EEEEDaSW_SX_EUlSW_E_NS1_11comp_targetILNS1_3genE5ELNS1_11target_archE942ELNS1_3gpuE9ELNS1_3repE0EEENS1_30default_config_static_selectorELNS0_4arch9wavefront6targetE0EEEvT1_.num_named_barrier, 0
	.set _ZN7rocprim17ROCPRIM_400000_NS6detail17trampoline_kernelINS0_14default_configENS1_27scan_by_key_config_selectorIidEEZZNS1_16scan_by_key_implILNS1_25lookback_scan_determinismE0ELb1ES3_N6thrust23THRUST_200600_302600_NS6detail15normal_iteratorINS9_10device_ptrIiEEEENSB_INSC_IdEEEESG_dNS9_4plusIvEENS9_8equal_toIvEEdEE10hipError_tPvRmT2_T3_T4_T5_mT6_T7_P12ihipStream_tbENKUlT_T0_E_clISt17integral_constantIbLb0EES10_IbLb1EEEEDaSW_SX_EUlSW_E_NS1_11comp_targetILNS1_3genE5ELNS1_11target_archE942ELNS1_3gpuE9ELNS1_3repE0EEENS1_30default_config_static_selectorELNS0_4arch9wavefront6targetE0EEEvT1_.private_seg_size, 0
	.set _ZN7rocprim17ROCPRIM_400000_NS6detail17trampoline_kernelINS0_14default_configENS1_27scan_by_key_config_selectorIidEEZZNS1_16scan_by_key_implILNS1_25lookback_scan_determinismE0ELb1ES3_N6thrust23THRUST_200600_302600_NS6detail15normal_iteratorINS9_10device_ptrIiEEEENSB_INSC_IdEEEESG_dNS9_4plusIvEENS9_8equal_toIvEEdEE10hipError_tPvRmT2_T3_T4_T5_mT6_T7_P12ihipStream_tbENKUlT_T0_E_clISt17integral_constantIbLb0EES10_IbLb1EEEEDaSW_SX_EUlSW_E_NS1_11comp_targetILNS1_3genE5ELNS1_11target_archE942ELNS1_3gpuE9ELNS1_3repE0EEENS1_30default_config_static_selectorELNS0_4arch9wavefront6targetE0EEEvT1_.uses_vcc, 0
	.set _ZN7rocprim17ROCPRIM_400000_NS6detail17trampoline_kernelINS0_14default_configENS1_27scan_by_key_config_selectorIidEEZZNS1_16scan_by_key_implILNS1_25lookback_scan_determinismE0ELb1ES3_N6thrust23THRUST_200600_302600_NS6detail15normal_iteratorINS9_10device_ptrIiEEEENSB_INSC_IdEEEESG_dNS9_4plusIvEENS9_8equal_toIvEEdEE10hipError_tPvRmT2_T3_T4_T5_mT6_T7_P12ihipStream_tbENKUlT_T0_E_clISt17integral_constantIbLb0EES10_IbLb1EEEEDaSW_SX_EUlSW_E_NS1_11comp_targetILNS1_3genE5ELNS1_11target_archE942ELNS1_3gpuE9ELNS1_3repE0EEENS1_30default_config_static_selectorELNS0_4arch9wavefront6targetE0EEEvT1_.uses_flat_scratch, 0
	.set _ZN7rocprim17ROCPRIM_400000_NS6detail17trampoline_kernelINS0_14default_configENS1_27scan_by_key_config_selectorIidEEZZNS1_16scan_by_key_implILNS1_25lookback_scan_determinismE0ELb1ES3_N6thrust23THRUST_200600_302600_NS6detail15normal_iteratorINS9_10device_ptrIiEEEENSB_INSC_IdEEEESG_dNS9_4plusIvEENS9_8equal_toIvEEdEE10hipError_tPvRmT2_T3_T4_T5_mT6_T7_P12ihipStream_tbENKUlT_T0_E_clISt17integral_constantIbLb0EES10_IbLb1EEEEDaSW_SX_EUlSW_E_NS1_11comp_targetILNS1_3genE5ELNS1_11target_archE942ELNS1_3gpuE9ELNS1_3repE0EEENS1_30default_config_static_selectorELNS0_4arch9wavefront6targetE0EEEvT1_.has_dyn_sized_stack, 0
	.set _ZN7rocprim17ROCPRIM_400000_NS6detail17trampoline_kernelINS0_14default_configENS1_27scan_by_key_config_selectorIidEEZZNS1_16scan_by_key_implILNS1_25lookback_scan_determinismE0ELb1ES3_N6thrust23THRUST_200600_302600_NS6detail15normal_iteratorINS9_10device_ptrIiEEEENSB_INSC_IdEEEESG_dNS9_4plusIvEENS9_8equal_toIvEEdEE10hipError_tPvRmT2_T3_T4_T5_mT6_T7_P12ihipStream_tbENKUlT_T0_E_clISt17integral_constantIbLb0EES10_IbLb1EEEEDaSW_SX_EUlSW_E_NS1_11comp_targetILNS1_3genE5ELNS1_11target_archE942ELNS1_3gpuE9ELNS1_3repE0EEENS1_30default_config_static_selectorELNS0_4arch9wavefront6targetE0EEEvT1_.has_recursion, 0
	.set _ZN7rocprim17ROCPRIM_400000_NS6detail17trampoline_kernelINS0_14default_configENS1_27scan_by_key_config_selectorIidEEZZNS1_16scan_by_key_implILNS1_25lookback_scan_determinismE0ELb1ES3_N6thrust23THRUST_200600_302600_NS6detail15normal_iteratorINS9_10device_ptrIiEEEENSB_INSC_IdEEEESG_dNS9_4plusIvEENS9_8equal_toIvEEdEE10hipError_tPvRmT2_T3_T4_T5_mT6_T7_P12ihipStream_tbENKUlT_T0_E_clISt17integral_constantIbLb0EES10_IbLb1EEEEDaSW_SX_EUlSW_E_NS1_11comp_targetILNS1_3genE5ELNS1_11target_archE942ELNS1_3gpuE9ELNS1_3repE0EEENS1_30default_config_static_selectorELNS0_4arch9wavefront6targetE0EEEvT1_.has_indirect_call, 0
	.section	.AMDGPU.csdata,"",@progbits
; Kernel info:
; codeLenInByte = 0
; TotalNumSgprs: 0
; NumVgprs: 0
; ScratchSize: 0
; MemoryBound: 0
; FloatMode: 240
; IeeeMode: 1
; LDSByteSize: 0 bytes/workgroup (compile time only)
; SGPRBlocks: 0
; VGPRBlocks: 0
; NumSGPRsForWavesPerEU: 1
; NumVGPRsForWavesPerEU: 1
; NamedBarCnt: 0
; Occupancy: 16
; WaveLimiterHint : 0
; COMPUTE_PGM_RSRC2:SCRATCH_EN: 0
; COMPUTE_PGM_RSRC2:USER_SGPR: 2
; COMPUTE_PGM_RSRC2:TRAP_HANDLER: 0
; COMPUTE_PGM_RSRC2:TGID_X_EN: 1
; COMPUTE_PGM_RSRC2:TGID_Y_EN: 0
; COMPUTE_PGM_RSRC2:TGID_Z_EN: 0
; COMPUTE_PGM_RSRC2:TIDIG_COMP_CNT: 0
	.section	.text._ZN7rocprim17ROCPRIM_400000_NS6detail17trampoline_kernelINS0_14default_configENS1_27scan_by_key_config_selectorIidEEZZNS1_16scan_by_key_implILNS1_25lookback_scan_determinismE0ELb1ES3_N6thrust23THRUST_200600_302600_NS6detail15normal_iteratorINS9_10device_ptrIiEEEENSB_INSC_IdEEEESG_dNS9_4plusIvEENS9_8equal_toIvEEdEE10hipError_tPvRmT2_T3_T4_T5_mT6_T7_P12ihipStream_tbENKUlT_T0_E_clISt17integral_constantIbLb0EES10_IbLb1EEEEDaSW_SX_EUlSW_E_NS1_11comp_targetILNS1_3genE4ELNS1_11target_archE910ELNS1_3gpuE8ELNS1_3repE0EEENS1_30default_config_static_selectorELNS0_4arch9wavefront6targetE0EEEvT1_,"axG",@progbits,_ZN7rocprim17ROCPRIM_400000_NS6detail17trampoline_kernelINS0_14default_configENS1_27scan_by_key_config_selectorIidEEZZNS1_16scan_by_key_implILNS1_25lookback_scan_determinismE0ELb1ES3_N6thrust23THRUST_200600_302600_NS6detail15normal_iteratorINS9_10device_ptrIiEEEENSB_INSC_IdEEEESG_dNS9_4plusIvEENS9_8equal_toIvEEdEE10hipError_tPvRmT2_T3_T4_T5_mT6_T7_P12ihipStream_tbENKUlT_T0_E_clISt17integral_constantIbLb0EES10_IbLb1EEEEDaSW_SX_EUlSW_E_NS1_11comp_targetILNS1_3genE4ELNS1_11target_archE910ELNS1_3gpuE8ELNS1_3repE0EEENS1_30default_config_static_selectorELNS0_4arch9wavefront6targetE0EEEvT1_,comdat
	.protected	_ZN7rocprim17ROCPRIM_400000_NS6detail17trampoline_kernelINS0_14default_configENS1_27scan_by_key_config_selectorIidEEZZNS1_16scan_by_key_implILNS1_25lookback_scan_determinismE0ELb1ES3_N6thrust23THRUST_200600_302600_NS6detail15normal_iteratorINS9_10device_ptrIiEEEENSB_INSC_IdEEEESG_dNS9_4plusIvEENS9_8equal_toIvEEdEE10hipError_tPvRmT2_T3_T4_T5_mT6_T7_P12ihipStream_tbENKUlT_T0_E_clISt17integral_constantIbLb0EES10_IbLb1EEEEDaSW_SX_EUlSW_E_NS1_11comp_targetILNS1_3genE4ELNS1_11target_archE910ELNS1_3gpuE8ELNS1_3repE0EEENS1_30default_config_static_selectorELNS0_4arch9wavefront6targetE0EEEvT1_ ; -- Begin function _ZN7rocprim17ROCPRIM_400000_NS6detail17trampoline_kernelINS0_14default_configENS1_27scan_by_key_config_selectorIidEEZZNS1_16scan_by_key_implILNS1_25lookback_scan_determinismE0ELb1ES3_N6thrust23THRUST_200600_302600_NS6detail15normal_iteratorINS9_10device_ptrIiEEEENSB_INSC_IdEEEESG_dNS9_4plusIvEENS9_8equal_toIvEEdEE10hipError_tPvRmT2_T3_T4_T5_mT6_T7_P12ihipStream_tbENKUlT_T0_E_clISt17integral_constantIbLb0EES10_IbLb1EEEEDaSW_SX_EUlSW_E_NS1_11comp_targetILNS1_3genE4ELNS1_11target_archE910ELNS1_3gpuE8ELNS1_3repE0EEENS1_30default_config_static_selectorELNS0_4arch9wavefront6targetE0EEEvT1_
	.globl	_ZN7rocprim17ROCPRIM_400000_NS6detail17trampoline_kernelINS0_14default_configENS1_27scan_by_key_config_selectorIidEEZZNS1_16scan_by_key_implILNS1_25lookback_scan_determinismE0ELb1ES3_N6thrust23THRUST_200600_302600_NS6detail15normal_iteratorINS9_10device_ptrIiEEEENSB_INSC_IdEEEESG_dNS9_4plusIvEENS9_8equal_toIvEEdEE10hipError_tPvRmT2_T3_T4_T5_mT6_T7_P12ihipStream_tbENKUlT_T0_E_clISt17integral_constantIbLb0EES10_IbLb1EEEEDaSW_SX_EUlSW_E_NS1_11comp_targetILNS1_3genE4ELNS1_11target_archE910ELNS1_3gpuE8ELNS1_3repE0EEENS1_30default_config_static_selectorELNS0_4arch9wavefront6targetE0EEEvT1_
	.p2align	8
	.type	_ZN7rocprim17ROCPRIM_400000_NS6detail17trampoline_kernelINS0_14default_configENS1_27scan_by_key_config_selectorIidEEZZNS1_16scan_by_key_implILNS1_25lookback_scan_determinismE0ELb1ES3_N6thrust23THRUST_200600_302600_NS6detail15normal_iteratorINS9_10device_ptrIiEEEENSB_INSC_IdEEEESG_dNS9_4plusIvEENS9_8equal_toIvEEdEE10hipError_tPvRmT2_T3_T4_T5_mT6_T7_P12ihipStream_tbENKUlT_T0_E_clISt17integral_constantIbLb0EES10_IbLb1EEEEDaSW_SX_EUlSW_E_NS1_11comp_targetILNS1_3genE4ELNS1_11target_archE910ELNS1_3gpuE8ELNS1_3repE0EEENS1_30default_config_static_selectorELNS0_4arch9wavefront6targetE0EEEvT1_,@function
_ZN7rocprim17ROCPRIM_400000_NS6detail17trampoline_kernelINS0_14default_configENS1_27scan_by_key_config_selectorIidEEZZNS1_16scan_by_key_implILNS1_25lookback_scan_determinismE0ELb1ES3_N6thrust23THRUST_200600_302600_NS6detail15normal_iteratorINS9_10device_ptrIiEEEENSB_INSC_IdEEEESG_dNS9_4plusIvEENS9_8equal_toIvEEdEE10hipError_tPvRmT2_T3_T4_T5_mT6_T7_P12ihipStream_tbENKUlT_T0_E_clISt17integral_constantIbLb0EES10_IbLb1EEEEDaSW_SX_EUlSW_E_NS1_11comp_targetILNS1_3genE4ELNS1_11target_archE910ELNS1_3gpuE8ELNS1_3repE0EEENS1_30default_config_static_selectorELNS0_4arch9wavefront6targetE0EEEvT1_: ; @_ZN7rocprim17ROCPRIM_400000_NS6detail17trampoline_kernelINS0_14default_configENS1_27scan_by_key_config_selectorIidEEZZNS1_16scan_by_key_implILNS1_25lookback_scan_determinismE0ELb1ES3_N6thrust23THRUST_200600_302600_NS6detail15normal_iteratorINS9_10device_ptrIiEEEENSB_INSC_IdEEEESG_dNS9_4plusIvEENS9_8equal_toIvEEdEE10hipError_tPvRmT2_T3_T4_T5_mT6_T7_P12ihipStream_tbENKUlT_T0_E_clISt17integral_constantIbLb0EES10_IbLb1EEEEDaSW_SX_EUlSW_E_NS1_11comp_targetILNS1_3genE4ELNS1_11target_archE910ELNS1_3gpuE8ELNS1_3repE0EEENS1_30default_config_static_selectorELNS0_4arch9wavefront6targetE0EEEvT1_
; %bb.0:
	.section	.rodata,"a",@progbits
	.p2align	6, 0x0
	.amdhsa_kernel _ZN7rocprim17ROCPRIM_400000_NS6detail17trampoline_kernelINS0_14default_configENS1_27scan_by_key_config_selectorIidEEZZNS1_16scan_by_key_implILNS1_25lookback_scan_determinismE0ELb1ES3_N6thrust23THRUST_200600_302600_NS6detail15normal_iteratorINS9_10device_ptrIiEEEENSB_INSC_IdEEEESG_dNS9_4plusIvEENS9_8equal_toIvEEdEE10hipError_tPvRmT2_T3_T4_T5_mT6_T7_P12ihipStream_tbENKUlT_T0_E_clISt17integral_constantIbLb0EES10_IbLb1EEEEDaSW_SX_EUlSW_E_NS1_11comp_targetILNS1_3genE4ELNS1_11target_archE910ELNS1_3gpuE8ELNS1_3repE0EEENS1_30default_config_static_selectorELNS0_4arch9wavefront6targetE0EEEvT1_
		.amdhsa_group_segment_fixed_size 0
		.amdhsa_private_segment_fixed_size 0
		.amdhsa_kernarg_size 136
		.amdhsa_user_sgpr_count 2
		.amdhsa_user_sgpr_dispatch_ptr 0
		.amdhsa_user_sgpr_queue_ptr 0
		.amdhsa_user_sgpr_kernarg_segment_ptr 1
		.amdhsa_user_sgpr_dispatch_id 0
		.amdhsa_user_sgpr_kernarg_preload_length 0
		.amdhsa_user_sgpr_kernarg_preload_offset 0
		.amdhsa_user_sgpr_private_segment_size 0
		.amdhsa_wavefront_size32 1
		.amdhsa_uses_dynamic_stack 0
		.amdhsa_enable_private_segment 0
		.amdhsa_system_sgpr_workgroup_id_x 1
		.amdhsa_system_sgpr_workgroup_id_y 0
		.amdhsa_system_sgpr_workgroup_id_z 0
		.amdhsa_system_sgpr_workgroup_info 0
		.amdhsa_system_vgpr_workitem_id 0
		.amdhsa_next_free_vgpr 1
		.amdhsa_next_free_sgpr 1
		.amdhsa_named_barrier_count 0
		.amdhsa_reserve_vcc 0
		.amdhsa_float_round_mode_32 0
		.amdhsa_float_round_mode_16_64 0
		.amdhsa_float_denorm_mode_32 3
		.amdhsa_float_denorm_mode_16_64 3
		.amdhsa_fp16_overflow 0
		.amdhsa_memory_ordered 1
		.amdhsa_forward_progress 1
		.amdhsa_inst_pref_size 0
		.amdhsa_round_robin_scheduling 0
		.amdhsa_exception_fp_ieee_invalid_op 0
		.amdhsa_exception_fp_denorm_src 0
		.amdhsa_exception_fp_ieee_div_zero 0
		.amdhsa_exception_fp_ieee_overflow 0
		.amdhsa_exception_fp_ieee_underflow 0
		.amdhsa_exception_fp_ieee_inexact 0
		.amdhsa_exception_int_div_zero 0
	.end_amdhsa_kernel
	.section	.text._ZN7rocprim17ROCPRIM_400000_NS6detail17trampoline_kernelINS0_14default_configENS1_27scan_by_key_config_selectorIidEEZZNS1_16scan_by_key_implILNS1_25lookback_scan_determinismE0ELb1ES3_N6thrust23THRUST_200600_302600_NS6detail15normal_iteratorINS9_10device_ptrIiEEEENSB_INSC_IdEEEESG_dNS9_4plusIvEENS9_8equal_toIvEEdEE10hipError_tPvRmT2_T3_T4_T5_mT6_T7_P12ihipStream_tbENKUlT_T0_E_clISt17integral_constantIbLb0EES10_IbLb1EEEEDaSW_SX_EUlSW_E_NS1_11comp_targetILNS1_3genE4ELNS1_11target_archE910ELNS1_3gpuE8ELNS1_3repE0EEENS1_30default_config_static_selectorELNS0_4arch9wavefront6targetE0EEEvT1_,"axG",@progbits,_ZN7rocprim17ROCPRIM_400000_NS6detail17trampoline_kernelINS0_14default_configENS1_27scan_by_key_config_selectorIidEEZZNS1_16scan_by_key_implILNS1_25lookback_scan_determinismE0ELb1ES3_N6thrust23THRUST_200600_302600_NS6detail15normal_iteratorINS9_10device_ptrIiEEEENSB_INSC_IdEEEESG_dNS9_4plusIvEENS9_8equal_toIvEEdEE10hipError_tPvRmT2_T3_T4_T5_mT6_T7_P12ihipStream_tbENKUlT_T0_E_clISt17integral_constantIbLb0EES10_IbLb1EEEEDaSW_SX_EUlSW_E_NS1_11comp_targetILNS1_3genE4ELNS1_11target_archE910ELNS1_3gpuE8ELNS1_3repE0EEENS1_30default_config_static_selectorELNS0_4arch9wavefront6targetE0EEEvT1_,comdat
.Lfunc_end1421:
	.size	_ZN7rocprim17ROCPRIM_400000_NS6detail17trampoline_kernelINS0_14default_configENS1_27scan_by_key_config_selectorIidEEZZNS1_16scan_by_key_implILNS1_25lookback_scan_determinismE0ELb1ES3_N6thrust23THRUST_200600_302600_NS6detail15normal_iteratorINS9_10device_ptrIiEEEENSB_INSC_IdEEEESG_dNS9_4plusIvEENS9_8equal_toIvEEdEE10hipError_tPvRmT2_T3_T4_T5_mT6_T7_P12ihipStream_tbENKUlT_T0_E_clISt17integral_constantIbLb0EES10_IbLb1EEEEDaSW_SX_EUlSW_E_NS1_11comp_targetILNS1_3genE4ELNS1_11target_archE910ELNS1_3gpuE8ELNS1_3repE0EEENS1_30default_config_static_selectorELNS0_4arch9wavefront6targetE0EEEvT1_, .Lfunc_end1421-_ZN7rocprim17ROCPRIM_400000_NS6detail17trampoline_kernelINS0_14default_configENS1_27scan_by_key_config_selectorIidEEZZNS1_16scan_by_key_implILNS1_25lookback_scan_determinismE0ELb1ES3_N6thrust23THRUST_200600_302600_NS6detail15normal_iteratorINS9_10device_ptrIiEEEENSB_INSC_IdEEEESG_dNS9_4plusIvEENS9_8equal_toIvEEdEE10hipError_tPvRmT2_T3_T4_T5_mT6_T7_P12ihipStream_tbENKUlT_T0_E_clISt17integral_constantIbLb0EES10_IbLb1EEEEDaSW_SX_EUlSW_E_NS1_11comp_targetILNS1_3genE4ELNS1_11target_archE910ELNS1_3gpuE8ELNS1_3repE0EEENS1_30default_config_static_selectorELNS0_4arch9wavefront6targetE0EEEvT1_
                                        ; -- End function
	.set _ZN7rocprim17ROCPRIM_400000_NS6detail17trampoline_kernelINS0_14default_configENS1_27scan_by_key_config_selectorIidEEZZNS1_16scan_by_key_implILNS1_25lookback_scan_determinismE0ELb1ES3_N6thrust23THRUST_200600_302600_NS6detail15normal_iteratorINS9_10device_ptrIiEEEENSB_INSC_IdEEEESG_dNS9_4plusIvEENS9_8equal_toIvEEdEE10hipError_tPvRmT2_T3_T4_T5_mT6_T7_P12ihipStream_tbENKUlT_T0_E_clISt17integral_constantIbLb0EES10_IbLb1EEEEDaSW_SX_EUlSW_E_NS1_11comp_targetILNS1_3genE4ELNS1_11target_archE910ELNS1_3gpuE8ELNS1_3repE0EEENS1_30default_config_static_selectorELNS0_4arch9wavefront6targetE0EEEvT1_.num_vgpr, 0
	.set _ZN7rocprim17ROCPRIM_400000_NS6detail17trampoline_kernelINS0_14default_configENS1_27scan_by_key_config_selectorIidEEZZNS1_16scan_by_key_implILNS1_25lookback_scan_determinismE0ELb1ES3_N6thrust23THRUST_200600_302600_NS6detail15normal_iteratorINS9_10device_ptrIiEEEENSB_INSC_IdEEEESG_dNS9_4plusIvEENS9_8equal_toIvEEdEE10hipError_tPvRmT2_T3_T4_T5_mT6_T7_P12ihipStream_tbENKUlT_T0_E_clISt17integral_constantIbLb0EES10_IbLb1EEEEDaSW_SX_EUlSW_E_NS1_11comp_targetILNS1_3genE4ELNS1_11target_archE910ELNS1_3gpuE8ELNS1_3repE0EEENS1_30default_config_static_selectorELNS0_4arch9wavefront6targetE0EEEvT1_.num_agpr, 0
	.set _ZN7rocprim17ROCPRIM_400000_NS6detail17trampoline_kernelINS0_14default_configENS1_27scan_by_key_config_selectorIidEEZZNS1_16scan_by_key_implILNS1_25lookback_scan_determinismE0ELb1ES3_N6thrust23THRUST_200600_302600_NS6detail15normal_iteratorINS9_10device_ptrIiEEEENSB_INSC_IdEEEESG_dNS9_4plusIvEENS9_8equal_toIvEEdEE10hipError_tPvRmT2_T3_T4_T5_mT6_T7_P12ihipStream_tbENKUlT_T0_E_clISt17integral_constantIbLb0EES10_IbLb1EEEEDaSW_SX_EUlSW_E_NS1_11comp_targetILNS1_3genE4ELNS1_11target_archE910ELNS1_3gpuE8ELNS1_3repE0EEENS1_30default_config_static_selectorELNS0_4arch9wavefront6targetE0EEEvT1_.numbered_sgpr, 0
	.set _ZN7rocprim17ROCPRIM_400000_NS6detail17trampoline_kernelINS0_14default_configENS1_27scan_by_key_config_selectorIidEEZZNS1_16scan_by_key_implILNS1_25lookback_scan_determinismE0ELb1ES3_N6thrust23THRUST_200600_302600_NS6detail15normal_iteratorINS9_10device_ptrIiEEEENSB_INSC_IdEEEESG_dNS9_4plusIvEENS9_8equal_toIvEEdEE10hipError_tPvRmT2_T3_T4_T5_mT6_T7_P12ihipStream_tbENKUlT_T0_E_clISt17integral_constantIbLb0EES10_IbLb1EEEEDaSW_SX_EUlSW_E_NS1_11comp_targetILNS1_3genE4ELNS1_11target_archE910ELNS1_3gpuE8ELNS1_3repE0EEENS1_30default_config_static_selectorELNS0_4arch9wavefront6targetE0EEEvT1_.num_named_barrier, 0
	.set _ZN7rocprim17ROCPRIM_400000_NS6detail17trampoline_kernelINS0_14default_configENS1_27scan_by_key_config_selectorIidEEZZNS1_16scan_by_key_implILNS1_25lookback_scan_determinismE0ELb1ES3_N6thrust23THRUST_200600_302600_NS6detail15normal_iteratorINS9_10device_ptrIiEEEENSB_INSC_IdEEEESG_dNS9_4plusIvEENS9_8equal_toIvEEdEE10hipError_tPvRmT2_T3_T4_T5_mT6_T7_P12ihipStream_tbENKUlT_T0_E_clISt17integral_constantIbLb0EES10_IbLb1EEEEDaSW_SX_EUlSW_E_NS1_11comp_targetILNS1_3genE4ELNS1_11target_archE910ELNS1_3gpuE8ELNS1_3repE0EEENS1_30default_config_static_selectorELNS0_4arch9wavefront6targetE0EEEvT1_.private_seg_size, 0
	.set _ZN7rocprim17ROCPRIM_400000_NS6detail17trampoline_kernelINS0_14default_configENS1_27scan_by_key_config_selectorIidEEZZNS1_16scan_by_key_implILNS1_25lookback_scan_determinismE0ELb1ES3_N6thrust23THRUST_200600_302600_NS6detail15normal_iteratorINS9_10device_ptrIiEEEENSB_INSC_IdEEEESG_dNS9_4plusIvEENS9_8equal_toIvEEdEE10hipError_tPvRmT2_T3_T4_T5_mT6_T7_P12ihipStream_tbENKUlT_T0_E_clISt17integral_constantIbLb0EES10_IbLb1EEEEDaSW_SX_EUlSW_E_NS1_11comp_targetILNS1_3genE4ELNS1_11target_archE910ELNS1_3gpuE8ELNS1_3repE0EEENS1_30default_config_static_selectorELNS0_4arch9wavefront6targetE0EEEvT1_.uses_vcc, 0
	.set _ZN7rocprim17ROCPRIM_400000_NS6detail17trampoline_kernelINS0_14default_configENS1_27scan_by_key_config_selectorIidEEZZNS1_16scan_by_key_implILNS1_25lookback_scan_determinismE0ELb1ES3_N6thrust23THRUST_200600_302600_NS6detail15normal_iteratorINS9_10device_ptrIiEEEENSB_INSC_IdEEEESG_dNS9_4plusIvEENS9_8equal_toIvEEdEE10hipError_tPvRmT2_T3_T4_T5_mT6_T7_P12ihipStream_tbENKUlT_T0_E_clISt17integral_constantIbLb0EES10_IbLb1EEEEDaSW_SX_EUlSW_E_NS1_11comp_targetILNS1_3genE4ELNS1_11target_archE910ELNS1_3gpuE8ELNS1_3repE0EEENS1_30default_config_static_selectorELNS0_4arch9wavefront6targetE0EEEvT1_.uses_flat_scratch, 0
	.set _ZN7rocprim17ROCPRIM_400000_NS6detail17trampoline_kernelINS0_14default_configENS1_27scan_by_key_config_selectorIidEEZZNS1_16scan_by_key_implILNS1_25lookback_scan_determinismE0ELb1ES3_N6thrust23THRUST_200600_302600_NS6detail15normal_iteratorINS9_10device_ptrIiEEEENSB_INSC_IdEEEESG_dNS9_4plusIvEENS9_8equal_toIvEEdEE10hipError_tPvRmT2_T3_T4_T5_mT6_T7_P12ihipStream_tbENKUlT_T0_E_clISt17integral_constantIbLb0EES10_IbLb1EEEEDaSW_SX_EUlSW_E_NS1_11comp_targetILNS1_3genE4ELNS1_11target_archE910ELNS1_3gpuE8ELNS1_3repE0EEENS1_30default_config_static_selectorELNS0_4arch9wavefront6targetE0EEEvT1_.has_dyn_sized_stack, 0
	.set _ZN7rocprim17ROCPRIM_400000_NS6detail17trampoline_kernelINS0_14default_configENS1_27scan_by_key_config_selectorIidEEZZNS1_16scan_by_key_implILNS1_25lookback_scan_determinismE0ELb1ES3_N6thrust23THRUST_200600_302600_NS6detail15normal_iteratorINS9_10device_ptrIiEEEENSB_INSC_IdEEEESG_dNS9_4plusIvEENS9_8equal_toIvEEdEE10hipError_tPvRmT2_T3_T4_T5_mT6_T7_P12ihipStream_tbENKUlT_T0_E_clISt17integral_constantIbLb0EES10_IbLb1EEEEDaSW_SX_EUlSW_E_NS1_11comp_targetILNS1_3genE4ELNS1_11target_archE910ELNS1_3gpuE8ELNS1_3repE0EEENS1_30default_config_static_selectorELNS0_4arch9wavefront6targetE0EEEvT1_.has_recursion, 0
	.set _ZN7rocprim17ROCPRIM_400000_NS6detail17trampoline_kernelINS0_14default_configENS1_27scan_by_key_config_selectorIidEEZZNS1_16scan_by_key_implILNS1_25lookback_scan_determinismE0ELb1ES3_N6thrust23THRUST_200600_302600_NS6detail15normal_iteratorINS9_10device_ptrIiEEEENSB_INSC_IdEEEESG_dNS9_4plusIvEENS9_8equal_toIvEEdEE10hipError_tPvRmT2_T3_T4_T5_mT6_T7_P12ihipStream_tbENKUlT_T0_E_clISt17integral_constantIbLb0EES10_IbLb1EEEEDaSW_SX_EUlSW_E_NS1_11comp_targetILNS1_3genE4ELNS1_11target_archE910ELNS1_3gpuE8ELNS1_3repE0EEENS1_30default_config_static_selectorELNS0_4arch9wavefront6targetE0EEEvT1_.has_indirect_call, 0
	.section	.AMDGPU.csdata,"",@progbits
; Kernel info:
; codeLenInByte = 0
; TotalNumSgprs: 0
; NumVgprs: 0
; ScratchSize: 0
; MemoryBound: 0
; FloatMode: 240
; IeeeMode: 1
; LDSByteSize: 0 bytes/workgroup (compile time only)
; SGPRBlocks: 0
; VGPRBlocks: 0
; NumSGPRsForWavesPerEU: 1
; NumVGPRsForWavesPerEU: 1
; NamedBarCnt: 0
; Occupancy: 16
; WaveLimiterHint : 0
; COMPUTE_PGM_RSRC2:SCRATCH_EN: 0
; COMPUTE_PGM_RSRC2:USER_SGPR: 2
; COMPUTE_PGM_RSRC2:TRAP_HANDLER: 0
; COMPUTE_PGM_RSRC2:TGID_X_EN: 1
; COMPUTE_PGM_RSRC2:TGID_Y_EN: 0
; COMPUTE_PGM_RSRC2:TGID_Z_EN: 0
; COMPUTE_PGM_RSRC2:TIDIG_COMP_CNT: 0
	.section	.text._ZN7rocprim17ROCPRIM_400000_NS6detail17trampoline_kernelINS0_14default_configENS1_27scan_by_key_config_selectorIidEEZZNS1_16scan_by_key_implILNS1_25lookback_scan_determinismE0ELb1ES3_N6thrust23THRUST_200600_302600_NS6detail15normal_iteratorINS9_10device_ptrIiEEEENSB_INSC_IdEEEESG_dNS9_4plusIvEENS9_8equal_toIvEEdEE10hipError_tPvRmT2_T3_T4_T5_mT6_T7_P12ihipStream_tbENKUlT_T0_E_clISt17integral_constantIbLb0EES10_IbLb1EEEEDaSW_SX_EUlSW_E_NS1_11comp_targetILNS1_3genE3ELNS1_11target_archE908ELNS1_3gpuE7ELNS1_3repE0EEENS1_30default_config_static_selectorELNS0_4arch9wavefront6targetE0EEEvT1_,"axG",@progbits,_ZN7rocprim17ROCPRIM_400000_NS6detail17trampoline_kernelINS0_14default_configENS1_27scan_by_key_config_selectorIidEEZZNS1_16scan_by_key_implILNS1_25lookback_scan_determinismE0ELb1ES3_N6thrust23THRUST_200600_302600_NS6detail15normal_iteratorINS9_10device_ptrIiEEEENSB_INSC_IdEEEESG_dNS9_4plusIvEENS9_8equal_toIvEEdEE10hipError_tPvRmT2_T3_T4_T5_mT6_T7_P12ihipStream_tbENKUlT_T0_E_clISt17integral_constantIbLb0EES10_IbLb1EEEEDaSW_SX_EUlSW_E_NS1_11comp_targetILNS1_3genE3ELNS1_11target_archE908ELNS1_3gpuE7ELNS1_3repE0EEENS1_30default_config_static_selectorELNS0_4arch9wavefront6targetE0EEEvT1_,comdat
	.protected	_ZN7rocprim17ROCPRIM_400000_NS6detail17trampoline_kernelINS0_14default_configENS1_27scan_by_key_config_selectorIidEEZZNS1_16scan_by_key_implILNS1_25lookback_scan_determinismE0ELb1ES3_N6thrust23THRUST_200600_302600_NS6detail15normal_iteratorINS9_10device_ptrIiEEEENSB_INSC_IdEEEESG_dNS9_4plusIvEENS9_8equal_toIvEEdEE10hipError_tPvRmT2_T3_T4_T5_mT6_T7_P12ihipStream_tbENKUlT_T0_E_clISt17integral_constantIbLb0EES10_IbLb1EEEEDaSW_SX_EUlSW_E_NS1_11comp_targetILNS1_3genE3ELNS1_11target_archE908ELNS1_3gpuE7ELNS1_3repE0EEENS1_30default_config_static_selectorELNS0_4arch9wavefront6targetE0EEEvT1_ ; -- Begin function _ZN7rocprim17ROCPRIM_400000_NS6detail17trampoline_kernelINS0_14default_configENS1_27scan_by_key_config_selectorIidEEZZNS1_16scan_by_key_implILNS1_25lookback_scan_determinismE0ELb1ES3_N6thrust23THRUST_200600_302600_NS6detail15normal_iteratorINS9_10device_ptrIiEEEENSB_INSC_IdEEEESG_dNS9_4plusIvEENS9_8equal_toIvEEdEE10hipError_tPvRmT2_T3_T4_T5_mT6_T7_P12ihipStream_tbENKUlT_T0_E_clISt17integral_constantIbLb0EES10_IbLb1EEEEDaSW_SX_EUlSW_E_NS1_11comp_targetILNS1_3genE3ELNS1_11target_archE908ELNS1_3gpuE7ELNS1_3repE0EEENS1_30default_config_static_selectorELNS0_4arch9wavefront6targetE0EEEvT1_
	.globl	_ZN7rocprim17ROCPRIM_400000_NS6detail17trampoline_kernelINS0_14default_configENS1_27scan_by_key_config_selectorIidEEZZNS1_16scan_by_key_implILNS1_25lookback_scan_determinismE0ELb1ES3_N6thrust23THRUST_200600_302600_NS6detail15normal_iteratorINS9_10device_ptrIiEEEENSB_INSC_IdEEEESG_dNS9_4plusIvEENS9_8equal_toIvEEdEE10hipError_tPvRmT2_T3_T4_T5_mT6_T7_P12ihipStream_tbENKUlT_T0_E_clISt17integral_constantIbLb0EES10_IbLb1EEEEDaSW_SX_EUlSW_E_NS1_11comp_targetILNS1_3genE3ELNS1_11target_archE908ELNS1_3gpuE7ELNS1_3repE0EEENS1_30default_config_static_selectorELNS0_4arch9wavefront6targetE0EEEvT1_
	.p2align	8
	.type	_ZN7rocprim17ROCPRIM_400000_NS6detail17trampoline_kernelINS0_14default_configENS1_27scan_by_key_config_selectorIidEEZZNS1_16scan_by_key_implILNS1_25lookback_scan_determinismE0ELb1ES3_N6thrust23THRUST_200600_302600_NS6detail15normal_iteratorINS9_10device_ptrIiEEEENSB_INSC_IdEEEESG_dNS9_4plusIvEENS9_8equal_toIvEEdEE10hipError_tPvRmT2_T3_T4_T5_mT6_T7_P12ihipStream_tbENKUlT_T0_E_clISt17integral_constantIbLb0EES10_IbLb1EEEEDaSW_SX_EUlSW_E_NS1_11comp_targetILNS1_3genE3ELNS1_11target_archE908ELNS1_3gpuE7ELNS1_3repE0EEENS1_30default_config_static_selectorELNS0_4arch9wavefront6targetE0EEEvT1_,@function
_ZN7rocprim17ROCPRIM_400000_NS6detail17trampoline_kernelINS0_14default_configENS1_27scan_by_key_config_selectorIidEEZZNS1_16scan_by_key_implILNS1_25lookback_scan_determinismE0ELb1ES3_N6thrust23THRUST_200600_302600_NS6detail15normal_iteratorINS9_10device_ptrIiEEEENSB_INSC_IdEEEESG_dNS9_4plusIvEENS9_8equal_toIvEEdEE10hipError_tPvRmT2_T3_T4_T5_mT6_T7_P12ihipStream_tbENKUlT_T0_E_clISt17integral_constantIbLb0EES10_IbLb1EEEEDaSW_SX_EUlSW_E_NS1_11comp_targetILNS1_3genE3ELNS1_11target_archE908ELNS1_3gpuE7ELNS1_3repE0EEENS1_30default_config_static_selectorELNS0_4arch9wavefront6targetE0EEEvT1_: ; @_ZN7rocprim17ROCPRIM_400000_NS6detail17trampoline_kernelINS0_14default_configENS1_27scan_by_key_config_selectorIidEEZZNS1_16scan_by_key_implILNS1_25lookback_scan_determinismE0ELb1ES3_N6thrust23THRUST_200600_302600_NS6detail15normal_iteratorINS9_10device_ptrIiEEEENSB_INSC_IdEEEESG_dNS9_4plusIvEENS9_8equal_toIvEEdEE10hipError_tPvRmT2_T3_T4_T5_mT6_T7_P12ihipStream_tbENKUlT_T0_E_clISt17integral_constantIbLb0EES10_IbLb1EEEEDaSW_SX_EUlSW_E_NS1_11comp_targetILNS1_3genE3ELNS1_11target_archE908ELNS1_3gpuE7ELNS1_3repE0EEENS1_30default_config_static_selectorELNS0_4arch9wavefront6targetE0EEEvT1_
; %bb.0:
	.section	.rodata,"a",@progbits
	.p2align	6, 0x0
	.amdhsa_kernel _ZN7rocprim17ROCPRIM_400000_NS6detail17trampoline_kernelINS0_14default_configENS1_27scan_by_key_config_selectorIidEEZZNS1_16scan_by_key_implILNS1_25lookback_scan_determinismE0ELb1ES3_N6thrust23THRUST_200600_302600_NS6detail15normal_iteratorINS9_10device_ptrIiEEEENSB_INSC_IdEEEESG_dNS9_4plusIvEENS9_8equal_toIvEEdEE10hipError_tPvRmT2_T3_T4_T5_mT6_T7_P12ihipStream_tbENKUlT_T0_E_clISt17integral_constantIbLb0EES10_IbLb1EEEEDaSW_SX_EUlSW_E_NS1_11comp_targetILNS1_3genE3ELNS1_11target_archE908ELNS1_3gpuE7ELNS1_3repE0EEENS1_30default_config_static_selectorELNS0_4arch9wavefront6targetE0EEEvT1_
		.amdhsa_group_segment_fixed_size 0
		.amdhsa_private_segment_fixed_size 0
		.amdhsa_kernarg_size 136
		.amdhsa_user_sgpr_count 2
		.amdhsa_user_sgpr_dispatch_ptr 0
		.amdhsa_user_sgpr_queue_ptr 0
		.amdhsa_user_sgpr_kernarg_segment_ptr 1
		.amdhsa_user_sgpr_dispatch_id 0
		.amdhsa_user_sgpr_kernarg_preload_length 0
		.amdhsa_user_sgpr_kernarg_preload_offset 0
		.amdhsa_user_sgpr_private_segment_size 0
		.amdhsa_wavefront_size32 1
		.amdhsa_uses_dynamic_stack 0
		.amdhsa_enable_private_segment 0
		.amdhsa_system_sgpr_workgroup_id_x 1
		.amdhsa_system_sgpr_workgroup_id_y 0
		.amdhsa_system_sgpr_workgroup_id_z 0
		.amdhsa_system_sgpr_workgroup_info 0
		.amdhsa_system_vgpr_workitem_id 0
		.amdhsa_next_free_vgpr 1
		.amdhsa_next_free_sgpr 1
		.amdhsa_named_barrier_count 0
		.amdhsa_reserve_vcc 0
		.amdhsa_float_round_mode_32 0
		.amdhsa_float_round_mode_16_64 0
		.amdhsa_float_denorm_mode_32 3
		.amdhsa_float_denorm_mode_16_64 3
		.amdhsa_fp16_overflow 0
		.amdhsa_memory_ordered 1
		.amdhsa_forward_progress 1
		.amdhsa_inst_pref_size 0
		.amdhsa_round_robin_scheduling 0
		.amdhsa_exception_fp_ieee_invalid_op 0
		.amdhsa_exception_fp_denorm_src 0
		.amdhsa_exception_fp_ieee_div_zero 0
		.amdhsa_exception_fp_ieee_overflow 0
		.amdhsa_exception_fp_ieee_underflow 0
		.amdhsa_exception_fp_ieee_inexact 0
		.amdhsa_exception_int_div_zero 0
	.end_amdhsa_kernel
	.section	.text._ZN7rocprim17ROCPRIM_400000_NS6detail17trampoline_kernelINS0_14default_configENS1_27scan_by_key_config_selectorIidEEZZNS1_16scan_by_key_implILNS1_25lookback_scan_determinismE0ELb1ES3_N6thrust23THRUST_200600_302600_NS6detail15normal_iteratorINS9_10device_ptrIiEEEENSB_INSC_IdEEEESG_dNS9_4plusIvEENS9_8equal_toIvEEdEE10hipError_tPvRmT2_T3_T4_T5_mT6_T7_P12ihipStream_tbENKUlT_T0_E_clISt17integral_constantIbLb0EES10_IbLb1EEEEDaSW_SX_EUlSW_E_NS1_11comp_targetILNS1_3genE3ELNS1_11target_archE908ELNS1_3gpuE7ELNS1_3repE0EEENS1_30default_config_static_selectorELNS0_4arch9wavefront6targetE0EEEvT1_,"axG",@progbits,_ZN7rocprim17ROCPRIM_400000_NS6detail17trampoline_kernelINS0_14default_configENS1_27scan_by_key_config_selectorIidEEZZNS1_16scan_by_key_implILNS1_25lookback_scan_determinismE0ELb1ES3_N6thrust23THRUST_200600_302600_NS6detail15normal_iteratorINS9_10device_ptrIiEEEENSB_INSC_IdEEEESG_dNS9_4plusIvEENS9_8equal_toIvEEdEE10hipError_tPvRmT2_T3_T4_T5_mT6_T7_P12ihipStream_tbENKUlT_T0_E_clISt17integral_constantIbLb0EES10_IbLb1EEEEDaSW_SX_EUlSW_E_NS1_11comp_targetILNS1_3genE3ELNS1_11target_archE908ELNS1_3gpuE7ELNS1_3repE0EEENS1_30default_config_static_selectorELNS0_4arch9wavefront6targetE0EEEvT1_,comdat
.Lfunc_end1422:
	.size	_ZN7rocprim17ROCPRIM_400000_NS6detail17trampoline_kernelINS0_14default_configENS1_27scan_by_key_config_selectorIidEEZZNS1_16scan_by_key_implILNS1_25lookback_scan_determinismE0ELb1ES3_N6thrust23THRUST_200600_302600_NS6detail15normal_iteratorINS9_10device_ptrIiEEEENSB_INSC_IdEEEESG_dNS9_4plusIvEENS9_8equal_toIvEEdEE10hipError_tPvRmT2_T3_T4_T5_mT6_T7_P12ihipStream_tbENKUlT_T0_E_clISt17integral_constantIbLb0EES10_IbLb1EEEEDaSW_SX_EUlSW_E_NS1_11comp_targetILNS1_3genE3ELNS1_11target_archE908ELNS1_3gpuE7ELNS1_3repE0EEENS1_30default_config_static_selectorELNS0_4arch9wavefront6targetE0EEEvT1_, .Lfunc_end1422-_ZN7rocprim17ROCPRIM_400000_NS6detail17trampoline_kernelINS0_14default_configENS1_27scan_by_key_config_selectorIidEEZZNS1_16scan_by_key_implILNS1_25lookback_scan_determinismE0ELb1ES3_N6thrust23THRUST_200600_302600_NS6detail15normal_iteratorINS9_10device_ptrIiEEEENSB_INSC_IdEEEESG_dNS9_4plusIvEENS9_8equal_toIvEEdEE10hipError_tPvRmT2_T3_T4_T5_mT6_T7_P12ihipStream_tbENKUlT_T0_E_clISt17integral_constantIbLb0EES10_IbLb1EEEEDaSW_SX_EUlSW_E_NS1_11comp_targetILNS1_3genE3ELNS1_11target_archE908ELNS1_3gpuE7ELNS1_3repE0EEENS1_30default_config_static_selectorELNS0_4arch9wavefront6targetE0EEEvT1_
                                        ; -- End function
	.set _ZN7rocprim17ROCPRIM_400000_NS6detail17trampoline_kernelINS0_14default_configENS1_27scan_by_key_config_selectorIidEEZZNS1_16scan_by_key_implILNS1_25lookback_scan_determinismE0ELb1ES3_N6thrust23THRUST_200600_302600_NS6detail15normal_iteratorINS9_10device_ptrIiEEEENSB_INSC_IdEEEESG_dNS9_4plusIvEENS9_8equal_toIvEEdEE10hipError_tPvRmT2_T3_T4_T5_mT6_T7_P12ihipStream_tbENKUlT_T0_E_clISt17integral_constantIbLb0EES10_IbLb1EEEEDaSW_SX_EUlSW_E_NS1_11comp_targetILNS1_3genE3ELNS1_11target_archE908ELNS1_3gpuE7ELNS1_3repE0EEENS1_30default_config_static_selectorELNS0_4arch9wavefront6targetE0EEEvT1_.num_vgpr, 0
	.set _ZN7rocprim17ROCPRIM_400000_NS6detail17trampoline_kernelINS0_14default_configENS1_27scan_by_key_config_selectorIidEEZZNS1_16scan_by_key_implILNS1_25lookback_scan_determinismE0ELb1ES3_N6thrust23THRUST_200600_302600_NS6detail15normal_iteratorINS9_10device_ptrIiEEEENSB_INSC_IdEEEESG_dNS9_4plusIvEENS9_8equal_toIvEEdEE10hipError_tPvRmT2_T3_T4_T5_mT6_T7_P12ihipStream_tbENKUlT_T0_E_clISt17integral_constantIbLb0EES10_IbLb1EEEEDaSW_SX_EUlSW_E_NS1_11comp_targetILNS1_3genE3ELNS1_11target_archE908ELNS1_3gpuE7ELNS1_3repE0EEENS1_30default_config_static_selectorELNS0_4arch9wavefront6targetE0EEEvT1_.num_agpr, 0
	.set _ZN7rocprim17ROCPRIM_400000_NS6detail17trampoline_kernelINS0_14default_configENS1_27scan_by_key_config_selectorIidEEZZNS1_16scan_by_key_implILNS1_25lookback_scan_determinismE0ELb1ES3_N6thrust23THRUST_200600_302600_NS6detail15normal_iteratorINS9_10device_ptrIiEEEENSB_INSC_IdEEEESG_dNS9_4plusIvEENS9_8equal_toIvEEdEE10hipError_tPvRmT2_T3_T4_T5_mT6_T7_P12ihipStream_tbENKUlT_T0_E_clISt17integral_constantIbLb0EES10_IbLb1EEEEDaSW_SX_EUlSW_E_NS1_11comp_targetILNS1_3genE3ELNS1_11target_archE908ELNS1_3gpuE7ELNS1_3repE0EEENS1_30default_config_static_selectorELNS0_4arch9wavefront6targetE0EEEvT1_.numbered_sgpr, 0
	.set _ZN7rocprim17ROCPRIM_400000_NS6detail17trampoline_kernelINS0_14default_configENS1_27scan_by_key_config_selectorIidEEZZNS1_16scan_by_key_implILNS1_25lookback_scan_determinismE0ELb1ES3_N6thrust23THRUST_200600_302600_NS6detail15normal_iteratorINS9_10device_ptrIiEEEENSB_INSC_IdEEEESG_dNS9_4plusIvEENS9_8equal_toIvEEdEE10hipError_tPvRmT2_T3_T4_T5_mT6_T7_P12ihipStream_tbENKUlT_T0_E_clISt17integral_constantIbLb0EES10_IbLb1EEEEDaSW_SX_EUlSW_E_NS1_11comp_targetILNS1_3genE3ELNS1_11target_archE908ELNS1_3gpuE7ELNS1_3repE0EEENS1_30default_config_static_selectorELNS0_4arch9wavefront6targetE0EEEvT1_.num_named_barrier, 0
	.set _ZN7rocprim17ROCPRIM_400000_NS6detail17trampoline_kernelINS0_14default_configENS1_27scan_by_key_config_selectorIidEEZZNS1_16scan_by_key_implILNS1_25lookback_scan_determinismE0ELb1ES3_N6thrust23THRUST_200600_302600_NS6detail15normal_iteratorINS9_10device_ptrIiEEEENSB_INSC_IdEEEESG_dNS9_4plusIvEENS9_8equal_toIvEEdEE10hipError_tPvRmT2_T3_T4_T5_mT6_T7_P12ihipStream_tbENKUlT_T0_E_clISt17integral_constantIbLb0EES10_IbLb1EEEEDaSW_SX_EUlSW_E_NS1_11comp_targetILNS1_3genE3ELNS1_11target_archE908ELNS1_3gpuE7ELNS1_3repE0EEENS1_30default_config_static_selectorELNS0_4arch9wavefront6targetE0EEEvT1_.private_seg_size, 0
	.set _ZN7rocprim17ROCPRIM_400000_NS6detail17trampoline_kernelINS0_14default_configENS1_27scan_by_key_config_selectorIidEEZZNS1_16scan_by_key_implILNS1_25lookback_scan_determinismE0ELb1ES3_N6thrust23THRUST_200600_302600_NS6detail15normal_iteratorINS9_10device_ptrIiEEEENSB_INSC_IdEEEESG_dNS9_4plusIvEENS9_8equal_toIvEEdEE10hipError_tPvRmT2_T3_T4_T5_mT6_T7_P12ihipStream_tbENKUlT_T0_E_clISt17integral_constantIbLb0EES10_IbLb1EEEEDaSW_SX_EUlSW_E_NS1_11comp_targetILNS1_3genE3ELNS1_11target_archE908ELNS1_3gpuE7ELNS1_3repE0EEENS1_30default_config_static_selectorELNS0_4arch9wavefront6targetE0EEEvT1_.uses_vcc, 0
	.set _ZN7rocprim17ROCPRIM_400000_NS6detail17trampoline_kernelINS0_14default_configENS1_27scan_by_key_config_selectorIidEEZZNS1_16scan_by_key_implILNS1_25lookback_scan_determinismE0ELb1ES3_N6thrust23THRUST_200600_302600_NS6detail15normal_iteratorINS9_10device_ptrIiEEEENSB_INSC_IdEEEESG_dNS9_4plusIvEENS9_8equal_toIvEEdEE10hipError_tPvRmT2_T3_T4_T5_mT6_T7_P12ihipStream_tbENKUlT_T0_E_clISt17integral_constantIbLb0EES10_IbLb1EEEEDaSW_SX_EUlSW_E_NS1_11comp_targetILNS1_3genE3ELNS1_11target_archE908ELNS1_3gpuE7ELNS1_3repE0EEENS1_30default_config_static_selectorELNS0_4arch9wavefront6targetE0EEEvT1_.uses_flat_scratch, 0
	.set _ZN7rocprim17ROCPRIM_400000_NS6detail17trampoline_kernelINS0_14default_configENS1_27scan_by_key_config_selectorIidEEZZNS1_16scan_by_key_implILNS1_25lookback_scan_determinismE0ELb1ES3_N6thrust23THRUST_200600_302600_NS6detail15normal_iteratorINS9_10device_ptrIiEEEENSB_INSC_IdEEEESG_dNS9_4plusIvEENS9_8equal_toIvEEdEE10hipError_tPvRmT2_T3_T4_T5_mT6_T7_P12ihipStream_tbENKUlT_T0_E_clISt17integral_constantIbLb0EES10_IbLb1EEEEDaSW_SX_EUlSW_E_NS1_11comp_targetILNS1_3genE3ELNS1_11target_archE908ELNS1_3gpuE7ELNS1_3repE0EEENS1_30default_config_static_selectorELNS0_4arch9wavefront6targetE0EEEvT1_.has_dyn_sized_stack, 0
	.set _ZN7rocprim17ROCPRIM_400000_NS6detail17trampoline_kernelINS0_14default_configENS1_27scan_by_key_config_selectorIidEEZZNS1_16scan_by_key_implILNS1_25lookback_scan_determinismE0ELb1ES3_N6thrust23THRUST_200600_302600_NS6detail15normal_iteratorINS9_10device_ptrIiEEEENSB_INSC_IdEEEESG_dNS9_4plusIvEENS9_8equal_toIvEEdEE10hipError_tPvRmT2_T3_T4_T5_mT6_T7_P12ihipStream_tbENKUlT_T0_E_clISt17integral_constantIbLb0EES10_IbLb1EEEEDaSW_SX_EUlSW_E_NS1_11comp_targetILNS1_3genE3ELNS1_11target_archE908ELNS1_3gpuE7ELNS1_3repE0EEENS1_30default_config_static_selectorELNS0_4arch9wavefront6targetE0EEEvT1_.has_recursion, 0
	.set _ZN7rocprim17ROCPRIM_400000_NS6detail17trampoline_kernelINS0_14default_configENS1_27scan_by_key_config_selectorIidEEZZNS1_16scan_by_key_implILNS1_25lookback_scan_determinismE0ELb1ES3_N6thrust23THRUST_200600_302600_NS6detail15normal_iteratorINS9_10device_ptrIiEEEENSB_INSC_IdEEEESG_dNS9_4plusIvEENS9_8equal_toIvEEdEE10hipError_tPvRmT2_T3_T4_T5_mT6_T7_P12ihipStream_tbENKUlT_T0_E_clISt17integral_constantIbLb0EES10_IbLb1EEEEDaSW_SX_EUlSW_E_NS1_11comp_targetILNS1_3genE3ELNS1_11target_archE908ELNS1_3gpuE7ELNS1_3repE0EEENS1_30default_config_static_selectorELNS0_4arch9wavefront6targetE0EEEvT1_.has_indirect_call, 0
	.section	.AMDGPU.csdata,"",@progbits
; Kernel info:
; codeLenInByte = 0
; TotalNumSgprs: 0
; NumVgprs: 0
; ScratchSize: 0
; MemoryBound: 0
; FloatMode: 240
; IeeeMode: 1
; LDSByteSize: 0 bytes/workgroup (compile time only)
; SGPRBlocks: 0
; VGPRBlocks: 0
; NumSGPRsForWavesPerEU: 1
; NumVGPRsForWavesPerEU: 1
; NamedBarCnt: 0
; Occupancy: 16
; WaveLimiterHint : 0
; COMPUTE_PGM_RSRC2:SCRATCH_EN: 0
; COMPUTE_PGM_RSRC2:USER_SGPR: 2
; COMPUTE_PGM_RSRC2:TRAP_HANDLER: 0
; COMPUTE_PGM_RSRC2:TGID_X_EN: 1
; COMPUTE_PGM_RSRC2:TGID_Y_EN: 0
; COMPUTE_PGM_RSRC2:TGID_Z_EN: 0
; COMPUTE_PGM_RSRC2:TIDIG_COMP_CNT: 0
	.section	.text._ZN7rocprim17ROCPRIM_400000_NS6detail17trampoline_kernelINS0_14default_configENS1_27scan_by_key_config_selectorIidEEZZNS1_16scan_by_key_implILNS1_25lookback_scan_determinismE0ELb1ES3_N6thrust23THRUST_200600_302600_NS6detail15normal_iteratorINS9_10device_ptrIiEEEENSB_INSC_IdEEEESG_dNS9_4plusIvEENS9_8equal_toIvEEdEE10hipError_tPvRmT2_T3_T4_T5_mT6_T7_P12ihipStream_tbENKUlT_T0_E_clISt17integral_constantIbLb0EES10_IbLb1EEEEDaSW_SX_EUlSW_E_NS1_11comp_targetILNS1_3genE2ELNS1_11target_archE906ELNS1_3gpuE6ELNS1_3repE0EEENS1_30default_config_static_selectorELNS0_4arch9wavefront6targetE0EEEvT1_,"axG",@progbits,_ZN7rocprim17ROCPRIM_400000_NS6detail17trampoline_kernelINS0_14default_configENS1_27scan_by_key_config_selectorIidEEZZNS1_16scan_by_key_implILNS1_25lookback_scan_determinismE0ELb1ES3_N6thrust23THRUST_200600_302600_NS6detail15normal_iteratorINS9_10device_ptrIiEEEENSB_INSC_IdEEEESG_dNS9_4plusIvEENS9_8equal_toIvEEdEE10hipError_tPvRmT2_T3_T4_T5_mT6_T7_P12ihipStream_tbENKUlT_T0_E_clISt17integral_constantIbLb0EES10_IbLb1EEEEDaSW_SX_EUlSW_E_NS1_11comp_targetILNS1_3genE2ELNS1_11target_archE906ELNS1_3gpuE6ELNS1_3repE0EEENS1_30default_config_static_selectorELNS0_4arch9wavefront6targetE0EEEvT1_,comdat
	.protected	_ZN7rocprim17ROCPRIM_400000_NS6detail17trampoline_kernelINS0_14default_configENS1_27scan_by_key_config_selectorIidEEZZNS1_16scan_by_key_implILNS1_25lookback_scan_determinismE0ELb1ES3_N6thrust23THRUST_200600_302600_NS6detail15normal_iteratorINS9_10device_ptrIiEEEENSB_INSC_IdEEEESG_dNS9_4plusIvEENS9_8equal_toIvEEdEE10hipError_tPvRmT2_T3_T4_T5_mT6_T7_P12ihipStream_tbENKUlT_T0_E_clISt17integral_constantIbLb0EES10_IbLb1EEEEDaSW_SX_EUlSW_E_NS1_11comp_targetILNS1_3genE2ELNS1_11target_archE906ELNS1_3gpuE6ELNS1_3repE0EEENS1_30default_config_static_selectorELNS0_4arch9wavefront6targetE0EEEvT1_ ; -- Begin function _ZN7rocprim17ROCPRIM_400000_NS6detail17trampoline_kernelINS0_14default_configENS1_27scan_by_key_config_selectorIidEEZZNS1_16scan_by_key_implILNS1_25lookback_scan_determinismE0ELb1ES3_N6thrust23THRUST_200600_302600_NS6detail15normal_iteratorINS9_10device_ptrIiEEEENSB_INSC_IdEEEESG_dNS9_4plusIvEENS9_8equal_toIvEEdEE10hipError_tPvRmT2_T3_T4_T5_mT6_T7_P12ihipStream_tbENKUlT_T0_E_clISt17integral_constantIbLb0EES10_IbLb1EEEEDaSW_SX_EUlSW_E_NS1_11comp_targetILNS1_3genE2ELNS1_11target_archE906ELNS1_3gpuE6ELNS1_3repE0EEENS1_30default_config_static_selectorELNS0_4arch9wavefront6targetE0EEEvT1_
	.globl	_ZN7rocprim17ROCPRIM_400000_NS6detail17trampoline_kernelINS0_14default_configENS1_27scan_by_key_config_selectorIidEEZZNS1_16scan_by_key_implILNS1_25lookback_scan_determinismE0ELb1ES3_N6thrust23THRUST_200600_302600_NS6detail15normal_iteratorINS9_10device_ptrIiEEEENSB_INSC_IdEEEESG_dNS9_4plusIvEENS9_8equal_toIvEEdEE10hipError_tPvRmT2_T3_T4_T5_mT6_T7_P12ihipStream_tbENKUlT_T0_E_clISt17integral_constantIbLb0EES10_IbLb1EEEEDaSW_SX_EUlSW_E_NS1_11comp_targetILNS1_3genE2ELNS1_11target_archE906ELNS1_3gpuE6ELNS1_3repE0EEENS1_30default_config_static_selectorELNS0_4arch9wavefront6targetE0EEEvT1_
	.p2align	8
	.type	_ZN7rocprim17ROCPRIM_400000_NS6detail17trampoline_kernelINS0_14default_configENS1_27scan_by_key_config_selectorIidEEZZNS1_16scan_by_key_implILNS1_25lookback_scan_determinismE0ELb1ES3_N6thrust23THRUST_200600_302600_NS6detail15normal_iteratorINS9_10device_ptrIiEEEENSB_INSC_IdEEEESG_dNS9_4plusIvEENS9_8equal_toIvEEdEE10hipError_tPvRmT2_T3_T4_T5_mT6_T7_P12ihipStream_tbENKUlT_T0_E_clISt17integral_constantIbLb0EES10_IbLb1EEEEDaSW_SX_EUlSW_E_NS1_11comp_targetILNS1_3genE2ELNS1_11target_archE906ELNS1_3gpuE6ELNS1_3repE0EEENS1_30default_config_static_selectorELNS0_4arch9wavefront6targetE0EEEvT1_,@function
_ZN7rocprim17ROCPRIM_400000_NS6detail17trampoline_kernelINS0_14default_configENS1_27scan_by_key_config_selectorIidEEZZNS1_16scan_by_key_implILNS1_25lookback_scan_determinismE0ELb1ES3_N6thrust23THRUST_200600_302600_NS6detail15normal_iteratorINS9_10device_ptrIiEEEENSB_INSC_IdEEEESG_dNS9_4plusIvEENS9_8equal_toIvEEdEE10hipError_tPvRmT2_T3_T4_T5_mT6_T7_P12ihipStream_tbENKUlT_T0_E_clISt17integral_constantIbLb0EES10_IbLb1EEEEDaSW_SX_EUlSW_E_NS1_11comp_targetILNS1_3genE2ELNS1_11target_archE906ELNS1_3gpuE6ELNS1_3repE0EEENS1_30default_config_static_selectorELNS0_4arch9wavefront6targetE0EEEvT1_: ; @_ZN7rocprim17ROCPRIM_400000_NS6detail17trampoline_kernelINS0_14default_configENS1_27scan_by_key_config_selectorIidEEZZNS1_16scan_by_key_implILNS1_25lookback_scan_determinismE0ELb1ES3_N6thrust23THRUST_200600_302600_NS6detail15normal_iteratorINS9_10device_ptrIiEEEENSB_INSC_IdEEEESG_dNS9_4plusIvEENS9_8equal_toIvEEdEE10hipError_tPvRmT2_T3_T4_T5_mT6_T7_P12ihipStream_tbENKUlT_T0_E_clISt17integral_constantIbLb0EES10_IbLb1EEEEDaSW_SX_EUlSW_E_NS1_11comp_targetILNS1_3genE2ELNS1_11target_archE906ELNS1_3gpuE6ELNS1_3repE0EEENS1_30default_config_static_selectorELNS0_4arch9wavefront6targetE0EEEvT1_
; %bb.0:
	.section	.rodata,"a",@progbits
	.p2align	6, 0x0
	.amdhsa_kernel _ZN7rocprim17ROCPRIM_400000_NS6detail17trampoline_kernelINS0_14default_configENS1_27scan_by_key_config_selectorIidEEZZNS1_16scan_by_key_implILNS1_25lookback_scan_determinismE0ELb1ES3_N6thrust23THRUST_200600_302600_NS6detail15normal_iteratorINS9_10device_ptrIiEEEENSB_INSC_IdEEEESG_dNS9_4plusIvEENS9_8equal_toIvEEdEE10hipError_tPvRmT2_T3_T4_T5_mT6_T7_P12ihipStream_tbENKUlT_T0_E_clISt17integral_constantIbLb0EES10_IbLb1EEEEDaSW_SX_EUlSW_E_NS1_11comp_targetILNS1_3genE2ELNS1_11target_archE906ELNS1_3gpuE6ELNS1_3repE0EEENS1_30default_config_static_selectorELNS0_4arch9wavefront6targetE0EEEvT1_
		.amdhsa_group_segment_fixed_size 0
		.amdhsa_private_segment_fixed_size 0
		.amdhsa_kernarg_size 136
		.amdhsa_user_sgpr_count 2
		.amdhsa_user_sgpr_dispatch_ptr 0
		.amdhsa_user_sgpr_queue_ptr 0
		.amdhsa_user_sgpr_kernarg_segment_ptr 1
		.amdhsa_user_sgpr_dispatch_id 0
		.amdhsa_user_sgpr_kernarg_preload_length 0
		.amdhsa_user_sgpr_kernarg_preload_offset 0
		.amdhsa_user_sgpr_private_segment_size 0
		.amdhsa_wavefront_size32 1
		.amdhsa_uses_dynamic_stack 0
		.amdhsa_enable_private_segment 0
		.amdhsa_system_sgpr_workgroup_id_x 1
		.amdhsa_system_sgpr_workgroup_id_y 0
		.amdhsa_system_sgpr_workgroup_id_z 0
		.amdhsa_system_sgpr_workgroup_info 0
		.amdhsa_system_vgpr_workitem_id 0
		.amdhsa_next_free_vgpr 1
		.amdhsa_next_free_sgpr 1
		.amdhsa_named_barrier_count 0
		.amdhsa_reserve_vcc 0
		.amdhsa_float_round_mode_32 0
		.amdhsa_float_round_mode_16_64 0
		.amdhsa_float_denorm_mode_32 3
		.amdhsa_float_denorm_mode_16_64 3
		.amdhsa_fp16_overflow 0
		.amdhsa_memory_ordered 1
		.amdhsa_forward_progress 1
		.amdhsa_inst_pref_size 0
		.amdhsa_round_robin_scheduling 0
		.amdhsa_exception_fp_ieee_invalid_op 0
		.amdhsa_exception_fp_denorm_src 0
		.amdhsa_exception_fp_ieee_div_zero 0
		.amdhsa_exception_fp_ieee_overflow 0
		.amdhsa_exception_fp_ieee_underflow 0
		.amdhsa_exception_fp_ieee_inexact 0
		.amdhsa_exception_int_div_zero 0
	.end_amdhsa_kernel
	.section	.text._ZN7rocprim17ROCPRIM_400000_NS6detail17trampoline_kernelINS0_14default_configENS1_27scan_by_key_config_selectorIidEEZZNS1_16scan_by_key_implILNS1_25lookback_scan_determinismE0ELb1ES3_N6thrust23THRUST_200600_302600_NS6detail15normal_iteratorINS9_10device_ptrIiEEEENSB_INSC_IdEEEESG_dNS9_4plusIvEENS9_8equal_toIvEEdEE10hipError_tPvRmT2_T3_T4_T5_mT6_T7_P12ihipStream_tbENKUlT_T0_E_clISt17integral_constantIbLb0EES10_IbLb1EEEEDaSW_SX_EUlSW_E_NS1_11comp_targetILNS1_3genE2ELNS1_11target_archE906ELNS1_3gpuE6ELNS1_3repE0EEENS1_30default_config_static_selectorELNS0_4arch9wavefront6targetE0EEEvT1_,"axG",@progbits,_ZN7rocprim17ROCPRIM_400000_NS6detail17trampoline_kernelINS0_14default_configENS1_27scan_by_key_config_selectorIidEEZZNS1_16scan_by_key_implILNS1_25lookback_scan_determinismE0ELb1ES3_N6thrust23THRUST_200600_302600_NS6detail15normal_iteratorINS9_10device_ptrIiEEEENSB_INSC_IdEEEESG_dNS9_4plusIvEENS9_8equal_toIvEEdEE10hipError_tPvRmT2_T3_T4_T5_mT6_T7_P12ihipStream_tbENKUlT_T0_E_clISt17integral_constantIbLb0EES10_IbLb1EEEEDaSW_SX_EUlSW_E_NS1_11comp_targetILNS1_3genE2ELNS1_11target_archE906ELNS1_3gpuE6ELNS1_3repE0EEENS1_30default_config_static_selectorELNS0_4arch9wavefront6targetE0EEEvT1_,comdat
.Lfunc_end1423:
	.size	_ZN7rocprim17ROCPRIM_400000_NS6detail17trampoline_kernelINS0_14default_configENS1_27scan_by_key_config_selectorIidEEZZNS1_16scan_by_key_implILNS1_25lookback_scan_determinismE0ELb1ES3_N6thrust23THRUST_200600_302600_NS6detail15normal_iteratorINS9_10device_ptrIiEEEENSB_INSC_IdEEEESG_dNS9_4plusIvEENS9_8equal_toIvEEdEE10hipError_tPvRmT2_T3_T4_T5_mT6_T7_P12ihipStream_tbENKUlT_T0_E_clISt17integral_constantIbLb0EES10_IbLb1EEEEDaSW_SX_EUlSW_E_NS1_11comp_targetILNS1_3genE2ELNS1_11target_archE906ELNS1_3gpuE6ELNS1_3repE0EEENS1_30default_config_static_selectorELNS0_4arch9wavefront6targetE0EEEvT1_, .Lfunc_end1423-_ZN7rocprim17ROCPRIM_400000_NS6detail17trampoline_kernelINS0_14default_configENS1_27scan_by_key_config_selectorIidEEZZNS1_16scan_by_key_implILNS1_25lookback_scan_determinismE0ELb1ES3_N6thrust23THRUST_200600_302600_NS6detail15normal_iteratorINS9_10device_ptrIiEEEENSB_INSC_IdEEEESG_dNS9_4plusIvEENS9_8equal_toIvEEdEE10hipError_tPvRmT2_T3_T4_T5_mT6_T7_P12ihipStream_tbENKUlT_T0_E_clISt17integral_constantIbLb0EES10_IbLb1EEEEDaSW_SX_EUlSW_E_NS1_11comp_targetILNS1_3genE2ELNS1_11target_archE906ELNS1_3gpuE6ELNS1_3repE0EEENS1_30default_config_static_selectorELNS0_4arch9wavefront6targetE0EEEvT1_
                                        ; -- End function
	.set _ZN7rocprim17ROCPRIM_400000_NS6detail17trampoline_kernelINS0_14default_configENS1_27scan_by_key_config_selectorIidEEZZNS1_16scan_by_key_implILNS1_25lookback_scan_determinismE0ELb1ES3_N6thrust23THRUST_200600_302600_NS6detail15normal_iteratorINS9_10device_ptrIiEEEENSB_INSC_IdEEEESG_dNS9_4plusIvEENS9_8equal_toIvEEdEE10hipError_tPvRmT2_T3_T4_T5_mT6_T7_P12ihipStream_tbENKUlT_T0_E_clISt17integral_constantIbLb0EES10_IbLb1EEEEDaSW_SX_EUlSW_E_NS1_11comp_targetILNS1_3genE2ELNS1_11target_archE906ELNS1_3gpuE6ELNS1_3repE0EEENS1_30default_config_static_selectorELNS0_4arch9wavefront6targetE0EEEvT1_.num_vgpr, 0
	.set _ZN7rocprim17ROCPRIM_400000_NS6detail17trampoline_kernelINS0_14default_configENS1_27scan_by_key_config_selectorIidEEZZNS1_16scan_by_key_implILNS1_25lookback_scan_determinismE0ELb1ES3_N6thrust23THRUST_200600_302600_NS6detail15normal_iteratorINS9_10device_ptrIiEEEENSB_INSC_IdEEEESG_dNS9_4plusIvEENS9_8equal_toIvEEdEE10hipError_tPvRmT2_T3_T4_T5_mT6_T7_P12ihipStream_tbENKUlT_T0_E_clISt17integral_constantIbLb0EES10_IbLb1EEEEDaSW_SX_EUlSW_E_NS1_11comp_targetILNS1_3genE2ELNS1_11target_archE906ELNS1_3gpuE6ELNS1_3repE0EEENS1_30default_config_static_selectorELNS0_4arch9wavefront6targetE0EEEvT1_.num_agpr, 0
	.set _ZN7rocprim17ROCPRIM_400000_NS6detail17trampoline_kernelINS0_14default_configENS1_27scan_by_key_config_selectorIidEEZZNS1_16scan_by_key_implILNS1_25lookback_scan_determinismE0ELb1ES3_N6thrust23THRUST_200600_302600_NS6detail15normal_iteratorINS9_10device_ptrIiEEEENSB_INSC_IdEEEESG_dNS9_4plusIvEENS9_8equal_toIvEEdEE10hipError_tPvRmT2_T3_T4_T5_mT6_T7_P12ihipStream_tbENKUlT_T0_E_clISt17integral_constantIbLb0EES10_IbLb1EEEEDaSW_SX_EUlSW_E_NS1_11comp_targetILNS1_3genE2ELNS1_11target_archE906ELNS1_3gpuE6ELNS1_3repE0EEENS1_30default_config_static_selectorELNS0_4arch9wavefront6targetE0EEEvT1_.numbered_sgpr, 0
	.set _ZN7rocprim17ROCPRIM_400000_NS6detail17trampoline_kernelINS0_14default_configENS1_27scan_by_key_config_selectorIidEEZZNS1_16scan_by_key_implILNS1_25lookback_scan_determinismE0ELb1ES3_N6thrust23THRUST_200600_302600_NS6detail15normal_iteratorINS9_10device_ptrIiEEEENSB_INSC_IdEEEESG_dNS9_4plusIvEENS9_8equal_toIvEEdEE10hipError_tPvRmT2_T3_T4_T5_mT6_T7_P12ihipStream_tbENKUlT_T0_E_clISt17integral_constantIbLb0EES10_IbLb1EEEEDaSW_SX_EUlSW_E_NS1_11comp_targetILNS1_3genE2ELNS1_11target_archE906ELNS1_3gpuE6ELNS1_3repE0EEENS1_30default_config_static_selectorELNS0_4arch9wavefront6targetE0EEEvT1_.num_named_barrier, 0
	.set _ZN7rocprim17ROCPRIM_400000_NS6detail17trampoline_kernelINS0_14default_configENS1_27scan_by_key_config_selectorIidEEZZNS1_16scan_by_key_implILNS1_25lookback_scan_determinismE0ELb1ES3_N6thrust23THRUST_200600_302600_NS6detail15normal_iteratorINS9_10device_ptrIiEEEENSB_INSC_IdEEEESG_dNS9_4plusIvEENS9_8equal_toIvEEdEE10hipError_tPvRmT2_T3_T4_T5_mT6_T7_P12ihipStream_tbENKUlT_T0_E_clISt17integral_constantIbLb0EES10_IbLb1EEEEDaSW_SX_EUlSW_E_NS1_11comp_targetILNS1_3genE2ELNS1_11target_archE906ELNS1_3gpuE6ELNS1_3repE0EEENS1_30default_config_static_selectorELNS0_4arch9wavefront6targetE0EEEvT1_.private_seg_size, 0
	.set _ZN7rocprim17ROCPRIM_400000_NS6detail17trampoline_kernelINS0_14default_configENS1_27scan_by_key_config_selectorIidEEZZNS1_16scan_by_key_implILNS1_25lookback_scan_determinismE0ELb1ES3_N6thrust23THRUST_200600_302600_NS6detail15normal_iteratorINS9_10device_ptrIiEEEENSB_INSC_IdEEEESG_dNS9_4plusIvEENS9_8equal_toIvEEdEE10hipError_tPvRmT2_T3_T4_T5_mT6_T7_P12ihipStream_tbENKUlT_T0_E_clISt17integral_constantIbLb0EES10_IbLb1EEEEDaSW_SX_EUlSW_E_NS1_11comp_targetILNS1_3genE2ELNS1_11target_archE906ELNS1_3gpuE6ELNS1_3repE0EEENS1_30default_config_static_selectorELNS0_4arch9wavefront6targetE0EEEvT1_.uses_vcc, 0
	.set _ZN7rocprim17ROCPRIM_400000_NS6detail17trampoline_kernelINS0_14default_configENS1_27scan_by_key_config_selectorIidEEZZNS1_16scan_by_key_implILNS1_25lookback_scan_determinismE0ELb1ES3_N6thrust23THRUST_200600_302600_NS6detail15normal_iteratorINS9_10device_ptrIiEEEENSB_INSC_IdEEEESG_dNS9_4plusIvEENS9_8equal_toIvEEdEE10hipError_tPvRmT2_T3_T4_T5_mT6_T7_P12ihipStream_tbENKUlT_T0_E_clISt17integral_constantIbLb0EES10_IbLb1EEEEDaSW_SX_EUlSW_E_NS1_11comp_targetILNS1_3genE2ELNS1_11target_archE906ELNS1_3gpuE6ELNS1_3repE0EEENS1_30default_config_static_selectorELNS0_4arch9wavefront6targetE0EEEvT1_.uses_flat_scratch, 0
	.set _ZN7rocprim17ROCPRIM_400000_NS6detail17trampoline_kernelINS0_14default_configENS1_27scan_by_key_config_selectorIidEEZZNS1_16scan_by_key_implILNS1_25lookback_scan_determinismE0ELb1ES3_N6thrust23THRUST_200600_302600_NS6detail15normal_iteratorINS9_10device_ptrIiEEEENSB_INSC_IdEEEESG_dNS9_4plusIvEENS9_8equal_toIvEEdEE10hipError_tPvRmT2_T3_T4_T5_mT6_T7_P12ihipStream_tbENKUlT_T0_E_clISt17integral_constantIbLb0EES10_IbLb1EEEEDaSW_SX_EUlSW_E_NS1_11comp_targetILNS1_3genE2ELNS1_11target_archE906ELNS1_3gpuE6ELNS1_3repE0EEENS1_30default_config_static_selectorELNS0_4arch9wavefront6targetE0EEEvT1_.has_dyn_sized_stack, 0
	.set _ZN7rocprim17ROCPRIM_400000_NS6detail17trampoline_kernelINS0_14default_configENS1_27scan_by_key_config_selectorIidEEZZNS1_16scan_by_key_implILNS1_25lookback_scan_determinismE0ELb1ES3_N6thrust23THRUST_200600_302600_NS6detail15normal_iteratorINS9_10device_ptrIiEEEENSB_INSC_IdEEEESG_dNS9_4plusIvEENS9_8equal_toIvEEdEE10hipError_tPvRmT2_T3_T4_T5_mT6_T7_P12ihipStream_tbENKUlT_T0_E_clISt17integral_constantIbLb0EES10_IbLb1EEEEDaSW_SX_EUlSW_E_NS1_11comp_targetILNS1_3genE2ELNS1_11target_archE906ELNS1_3gpuE6ELNS1_3repE0EEENS1_30default_config_static_selectorELNS0_4arch9wavefront6targetE0EEEvT1_.has_recursion, 0
	.set _ZN7rocprim17ROCPRIM_400000_NS6detail17trampoline_kernelINS0_14default_configENS1_27scan_by_key_config_selectorIidEEZZNS1_16scan_by_key_implILNS1_25lookback_scan_determinismE0ELb1ES3_N6thrust23THRUST_200600_302600_NS6detail15normal_iteratorINS9_10device_ptrIiEEEENSB_INSC_IdEEEESG_dNS9_4plusIvEENS9_8equal_toIvEEdEE10hipError_tPvRmT2_T3_T4_T5_mT6_T7_P12ihipStream_tbENKUlT_T0_E_clISt17integral_constantIbLb0EES10_IbLb1EEEEDaSW_SX_EUlSW_E_NS1_11comp_targetILNS1_3genE2ELNS1_11target_archE906ELNS1_3gpuE6ELNS1_3repE0EEENS1_30default_config_static_selectorELNS0_4arch9wavefront6targetE0EEEvT1_.has_indirect_call, 0
	.section	.AMDGPU.csdata,"",@progbits
; Kernel info:
; codeLenInByte = 0
; TotalNumSgprs: 0
; NumVgprs: 0
; ScratchSize: 0
; MemoryBound: 0
; FloatMode: 240
; IeeeMode: 1
; LDSByteSize: 0 bytes/workgroup (compile time only)
; SGPRBlocks: 0
; VGPRBlocks: 0
; NumSGPRsForWavesPerEU: 1
; NumVGPRsForWavesPerEU: 1
; NamedBarCnt: 0
; Occupancy: 16
; WaveLimiterHint : 0
; COMPUTE_PGM_RSRC2:SCRATCH_EN: 0
; COMPUTE_PGM_RSRC2:USER_SGPR: 2
; COMPUTE_PGM_RSRC2:TRAP_HANDLER: 0
; COMPUTE_PGM_RSRC2:TGID_X_EN: 1
; COMPUTE_PGM_RSRC2:TGID_Y_EN: 0
; COMPUTE_PGM_RSRC2:TGID_Z_EN: 0
; COMPUTE_PGM_RSRC2:TIDIG_COMP_CNT: 0
	.section	.text._ZN7rocprim17ROCPRIM_400000_NS6detail17trampoline_kernelINS0_14default_configENS1_27scan_by_key_config_selectorIidEEZZNS1_16scan_by_key_implILNS1_25lookback_scan_determinismE0ELb1ES3_N6thrust23THRUST_200600_302600_NS6detail15normal_iteratorINS9_10device_ptrIiEEEENSB_INSC_IdEEEESG_dNS9_4plusIvEENS9_8equal_toIvEEdEE10hipError_tPvRmT2_T3_T4_T5_mT6_T7_P12ihipStream_tbENKUlT_T0_E_clISt17integral_constantIbLb0EES10_IbLb1EEEEDaSW_SX_EUlSW_E_NS1_11comp_targetILNS1_3genE10ELNS1_11target_archE1200ELNS1_3gpuE4ELNS1_3repE0EEENS1_30default_config_static_selectorELNS0_4arch9wavefront6targetE0EEEvT1_,"axG",@progbits,_ZN7rocprim17ROCPRIM_400000_NS6detail17trampoline_kernelINS0_14default_configENS1_27scan_by_key_config_selectorIidEEZZNS1_16scan_by_key_implILNS1_25lookback_scan_determinismE0ELb1ES3_N6thrust23THRUST_200600_302600_NS6detail15normal_iteratorINS9_10device_ptrIiEEEENSB_INSC_IdEEEESG_dNS9_4plusIvEENS9_8equal_toIvEEdEE10hipError_tPvRmT2_T3_T4_T5_mT6_T7_P12ihipStream_tbENKUlT_T0_E_clISt17integral_constantIbLb0EES10_IbLb1EEEEDaSW_SX_EUlSW_E_NS1_11comp_targetILNS1_3genE10ELNS1_11target_archE1200ELNS1_3gpuE4ELNS1_3repE0EEENS1_30default_config_static_selectorELNS0_4arch9wavefront6targetE0EEEvT1_,comdat
	.protected	_ZN7rocprim17ROCPRIM_400000_NS6detail17trampoline_kernelINS0_14default_configENS1_27scan_by_key_config_selectorIidEEZZNS1_16scan_by_key_implILNS1_25lookback_scan_determinismE0ELb1ES3_N6thrust23THRUST_200600_302600_NS6detail15normal_iteratorINS9_10device_ptrIiEEEENSB_INSC_IdEEEESG_dNS9_4plusIvEENS9_8equal_toIvEEdEE10hipError_tPvRmT2_T3_T4_T5_mT6_T7_P12ihipStream_tbENKUlT_T0_E_clISt17integral_constantIbLb0EES10_IbLb1EEEEDaSW_SX_EUlSW_E_NS1_11comp_targetILNS1_3genE10ELNS1_11target_archE1200ELNS1_3gpuE4ELNS1_3repE0EEENS1_30default_config_static_selectorELNS0_4arch9wavefront6targetE0EEEvT1_ ; -- Begin function _ZN7rocprim17ROCPRIM_400000_NS6detail17trampoline_kernelINS0_14default_configENS1_27scan_by_key_config_selectorIidEEZZNS1_16scan_by_key_implILNS1_25lookback_scan_determinismE0ELb1ES3_N6thrust23THRUST_200600_302600_NS6detail15normal_iteratorINS9_10device_ptrIiEEEENSB_INSC_IdEEEESG_dNS9_4plusIvEENS9_8equal_toIvEEdEE10hipError_tPvRmT2_T3_T4_T5_mT6_T7_P12ihipStream_tbENKUlT_T0_E_clISt17integral_constantIbLb0EES10_IbLb1EEEEDaSW_SX_EUlSW_E_NS1_11comp_targetILNS1_3genE10ELNS1_11target_archE1200ELNS1_3gpuE4ELNS1_3repE0EEENS1_30default_config_static_selectorELNS0_4arch9wavefront6targetE0EEEvT1_
	.globl	_ZN7rocprim17ROCPRIM_400000_NS6detail17trampoline_kernelINS0_14default_configENS1_27scan_by_key_config_selectorIidEEZZNS1_16scan_by_key_implILNS1_25lookback_scan_determinismE0ELb1ES3_N6thrust23THRUST_200600_302600_NS6detail15normal_iteratorINS9_10device_ptrIiEEEENSB_INSC_IdEEEESG_dNS9_4plusIvEENS9_8equal_toIvEEdEE10hipError_tPvRmT2_T3_T4_T5_mT6_T7_P12ihipStream_tbENKUlT_T0_E_clISt17integral_constantIbLb0EES10_IbLb1EEEEDaSW_SX_EUlSW_E_NS1_11comp_targetILNS1_3genE10ELNS1_11target_archE1200ELNS1_3gpuE4ELNS1_3repE0EEENS1_30default_config_static_selectorELNS0_4arch9wavefront6targetE0EEEvT1_
	.p2align	8
	.type	_ZN7rocprim17ROCPRIM_400000_NS6detail17trampoline_kernelINS0_14default_configENS1_27scan_by_key_config_selectorIidEEZZNS1_16scan_by_key_implILNS1_25lookback_scan_determinismE0ELb1ES3_N6thrust23THRUST_200600_302600_NS6detail15normal_iteratorINS9_10device_ptrIiEEEENSB_INSC_IdEEEESG_dNS9_4plusIvEENS9_8equal_toIvEEdEE10hipError_tPvRmT2_T3_T4_T5_mT6_T7_P12ihipStream_tbENKUlT_T0_E_clISt17integral_constantIbLb0EES10_IbLb1EEEEDaSW_SX_EUlSW_E_NS1_11comp_targetILNS1_3genE10ELNS1_11target_archE1200ELNS1_3gpuE4ELNS1_3repE0EEENS1_30default_config_static_selectorELNS0_4arch9wavefront6targetE0EEEvT1_,@function
_ZN7rocprim17ROCPRIM_400000_NS6detail17trampoline_kernelINS0_14default_configENS1_27scan_by_key_config_selectorIidEEZZNS1_16scan_by_key_implILNS1_25lookback_scan_determinismE0ELb1ES3_N6thrust23THRUST_200600_302600_NS6detail15normal_iteratorINS9_10device_ptrIiEEEENSB_INSC_IdEEEESG_dNS9_4plusIvEENS9_8equal_toIvEEdEE10hipError_tPvRmT2_T3_T4_T5_mT6_T7_P12ihipStream_tbENKUlT_T0_E_clISt17integral_constantIbLb0EES10_IbLb1EEEEDaSW_SX_EUlSW_E_NS1_11comp_targetILNS1_3genE10ELNS1_11target_archE1200ELNS1_3gpuE4ELNS1_3repE0EEENS1_30default_config_static_selectorELNS0_4arch9wavefront6targetE0EEEvT1_: ; @_ZN7rocprim17ROCPRIM_400000_NS6detail17trampoline_kernelINS0_14default_configENS1_27scan_by_key_config_selectorIidEEZZNS1_16scan_by_key_implILNS1_25lookback_scan_determinismE0ELb1ES3_N6thrust23THRUST_200600_302600_NS6detail15normal_iteratorINS9_10device_ptrIiEEEENSB_INSC_IdEEEESG_dNS9_4plusIvEENS9_8equal_toIvEEdEE10hipError_tPvRmT2_T3_T4_T5_mT6_T7_P12ihipStream_tbENKUlT_T0_E_clISt17integral_constantIbLb0EES10_IbLb1EEEEDaSW_SX_EUlSW_E_NS1_11comp_targetILNS1_3genE10ELNS1_11target_archE1200ELNS1_3gpuE4ELNS1_3repE0EEENS1_30default_config_static_selectorELNS0_4arch9wavefront6targetE0EEEvT1_
; %bb.0:
	.section	.rodata,"a",@progbits
	.p2align	6, 0x0
	.amdhsa_kernel _ZN7rocprim17ROCPRIM_400000_NS6detail17trampoline_kernelINS0_14default_configENS1_27scan_by_key_config_selectorIidEEZZNS1_16scan_by_key_implILNS1_25lookback_scan_determinismE0ELb1ES3_N6thrust23THRUST_200600_302600_NS6detail15normal_iteratorINS9_10device_ptrIiEEEENSB_INSC_IdEEEESG_dNS9_4plusIvEENS9_8equal_toIvEEdEE10hipError_tPvRmT2_T3_T4_T5_mT6_T7_P12ihipStream_tbENKUlT_T0_E_clISt17integral_constantIbLb0EES10_IbLb1EEEEDaSW_SX_EUlSW_E_NS1_11comp_targetILNS1_3genE10ELNS1_11target_archE1200ELNS1_3gpuE4ELNS1_3repE0EEENS1_30default_config_static_selectorELNS0_4arch9wavefront6targetE0EEEvT1_
		.amdhsa_group_segment_fixed_size 0
		.amdhsa_private_segment_fixed_size 0
		.amdhsa_kernarg_size 136
		.amdhsa_user_sgpr_count 2
		.amdhsa_user_sgpr_dispatch_ptr 0
		.amdhsa_user_sgpr_queue_ptr 0
		.amdhsa_user_sgpr_kernarg_segment_ptr 1
		.amdhsa_user_sgpr_dispatch_id 0
		.amdhsa_user_sgpr_kernarg_preload_length 0
		.amdhsa_user_sgpr_kernarg_preload_offset 0
		.amdhsa_user_sgpr_private_segment_size 0
		.amdhsa_wavefront_size32 1
		.amdhsa_uses_dynamic_stack 0
		.amdhsa_enable_private_segment 0
		.amdhsa_system_sgpr_workgroup_id_x 1
		.amdhsa_system_sgpr_workgroup_id_y 0
		.amdhsa_system_sgpr_workgroup_id_z 0
		.amdhsa_system_sgpr_workgroup_info 0
		.amdhsa_system_vgpr_workitem_id 0
		.amdhsa_next_free_vgpr 1
		.amdhsa_next_free_sgpr 1
		.amdhsa_named_barrier_count 0
		.amdhsa_reserve_vcc 0
		.amdhsa_float_round_mode_32 0
		.amdhsa_float_round_mode_16_64 0
		.amdhsa_float_denorm_mode_32 3
		.amdhsa_float_denorm_mode_16_64 3
		.amdhsa_fp16_overflow 0
		.amdhsa_memory_ordered 1
		.amdhsa_forward_progress 1
		.amdhsa_inst_pref_size 0
		.amdhsa_round_robin_scheduling 0
		.amdhsa_exception_fp_ieee_invalid_op 0
		.amdhsa_exception_fp_denorm_src 0
		.amdhsa_exception_fp_ieee_div_zero 0
		.amdhsa_exception_fp_ieee_overflow 0
		.amdhsa_exception_fp_ieee_underflow 0
		.amdhsa_exception_fp_ieee_inexact 0
		.amdhsa_exception_int_div_zero 0
	.end_amdhsa_kernel
	.section	.text._ZN7rocprim17ROCPRIM_400000_NS6detail17trampoline_kernelINS0_14default_configENS1_27scan_by_key_config_selectorIidEEZZNS1_16scan_by_key_implILNS1_25lookback_scan_determinismE0ELb1ES3_N6thrust23THRUST_200600_302600_NS6detail15normal_iteratorINS9_10device_ptrIiEEEENSB_INSC_IdEEEESG_dNS9_4plusIvEENS9_8equal_toIvEEdEE10hipError_tPvRmT2_T3_T4_T5_mT6_T7_P12ihipStream_tbENKUlT_T0_E_clISt17integral_constantIbLb0EES10_IbLb1EEEEDaSW_SX_EUlSW_E_NS1_11comp_targetILNS1_3genE10ELNS1_11target_archE1200ELNS1_3gpuE4ELNS1_3repE0EEENS1_30default_config_static_selectorELNS0_4arch9wavefront6targetE0EEEvT1_,"axG",@progbits,_ZN7rocprim17ROCPRIM_400000_NS6detail17trampoline_kernelINS0_14default_configENS1_27scan_by_key_config_selectorIidEEZZNS1_16scan_by_key_implILNS1_25lookback_scan_determinismE0ELb1ES3_N6thrust23THRUST_200600_302600_NS6detail15normal_iteratorINS9_10device_ptrIiEEEENSB_INSC_IdEEEESG_dNS9_4plusIvEENS9_8equal_toIvEEdEE10hipError_tPvRmT2_T3_T4_T5_mT6_T7_P12ihipStream_tbENKUlT_T0_E_clISt17integral_constantIbLb0EES10_IbLb1EEEEDaSW_SX_EUlSW_E_NS1_11comp_targetILNS1_3genE10ELNS1_11target_archE1200ELNS1_3gpuE4ELNS1_3repE0EEENS1_30default_config_static_selectorELNS0_4arch9wavefront6targetE0EEEvT1_,comdat
.Lfunc_end1424:
	.size	_ZN7rocprim17ROCPRIM_400000_NS6detail17trampoline_kernelINS0_14default_configENS1_27scan_by_key_config_selectorIidEEZZNS1_16scan_by_key_implILNS1_25lookback_scan_determinismE0ELb1ES3_N6thrust23THRUST_200600_302600_NS6detail15normal_iteratorINS9_10device_ptrIiEEEENSB_INSC_IdEEEESG_dNS9_4plusIvEENS9_8equal_toIvEEdEE10hipError_tPvRmT2_T3_T4_T5_mT6_T7_P12ihipStream_tbENKUlT_T0_E_clISt17integral_constantIbLb0EES10_IbLb1EEEEDaSW_SX_EUlSW_E_NS1_11comp_targetILNS1_3genE10ELNS1_11target_archE1200ELNS1_3gpuE4ELNS1_3repE0EEENS1_30default_config_static_selectorELNS0_4arch9wavefront6targetE0EEEvT1_, .Lfunc_end1424-_ZN7rocprim17ROCPRIM_400000_NS6detail17trampoline_kernelINS0_14default_configENS1_27scan_by_key_config_selectorIidEEZZNS1_16scan_by_key_implILNS1_25lookback_scan_determinismE0ELb1ES3_N6thrust23THRUST_200600_302600_NS6detail15normal_iteratorINS9_10device_ptrIiEEEENSB_INSC_IdEEEESG_dNS9_4plusIvEENS9_8equal_toIvEEdEE10hipError_tPvRmT2_T3_T4_T5_mT6_T7_P12ihipStream_tbENKUlT_T0_E_clISt17integral_constantIbLb0EES10_IbLb1EEEEDaSW_SX_EUlSW_E_NS1_11comp_targetILNS1_3genE10ELNS1_11target_archE1200ELNS1_3gpuE4ELNS1_3repE0EEENS1_30default_config_static_selectorELNS0_4arch9wavefront6targetE0EEEvT1_
                                        ; -- End function
	.set _ZN7rocprim17ROCPRIM_400000_NS6detail17trampoline_kernelINS0_14default_configENS1_27scan_by_key_config_selectorIidEEZZNS1_16scan_by_key_implILNS1_25lookback_scan_determinismE0ELb1ES3_N6thrust23THRUST_200600_302600_NS6detail15normal_iteratorINS9_10device_ptrIiEEEENSB_INSC_IdEEEESG_dNS9_4plusIvEENS9_8equal_toIvEEdEE10hipError_tPvRmT2_T3_T4_T5_mT6_T7_P12ihipStream_tbENKUlT_T0_E_clISt17integral_constantIbLb0EES10_IbLb1EEEEDaSW_SX_EUlSW_E_NS1_11comp_targetILNS1_3genE10ELNS1_11target_archE1200ELNS1_3gpuE4ELNS1_3repE0EEENS1_30default_config_static_selectorELNS0_4arch9wavefront6targetE0EEEvT1_.num_vgpr, 0
	.set _ZN7rocprim17ROCPRIM_400000_NS6detail17trampoline_kernelINS0_14default_configENS1_27scan_by_key_config_selectorIidEEZZNS1_16scan_by_key_implILNS1_25lookback_scan_determinismE0ELb1ES3_N6thrust23THRUST_200600_302600_NS6detail15normal_iteratorINS9_10device_ptrIiEEEENSB_INSC_IdEEEESG_dNS9_4plusIvEENS9_8equal_toIvEEdEE10hipError_tPvRmT2_T3_T4_T5_mT6_T7_P12ihipStream_tbENKUlT_T0_E_clISt17integral_constantIbLb0EES10_IbLb1EEEEDaSW_SX_EUlSW_E_NS1_11comp_targetILNS1_3genE10ELNS1_11target_archE1200ELNS1_3gpuE4ELNS1_3repE0EEENS1_30default_config_static_selectorELNS0_4arch9wavefront6targetE0EEEvT1_.num_agpr, 0
	.set _ZN7rocprim17ROCPRIM_400000_NS6detail17trampoline_kernelINS0_14default_configENS1_27scan_by_key_config_selectorIidEEZZNS1_16scan_by_key_implILNS1_25lookback_scan_determinismE0ELb1ES3_N6thrust23THRUST_200600_302600_NS6detail15normal_iteratorINS9_10device_ptrIiEEEENSB_INSC_IdEEEESG_dNS9_4plusIvEENS9_8equal_toIvEEdEE10hipError_tPvRmT2_T3_T4_T5_mT6_T7_P12ihipStream_tbENKUlT_T0_E_clISt17integral_constantIbLb0EES10_IbLb1EEEEDaSW_SX_EUlSW_E_NS1_11comp_targetILNS1_3genE10ELNS1_11target_archE1200ELNS1_3gpuE4ELNS1_3repE0EEENS1_30default_config_static_selectorELNS0_4arch9wavefront6targetE0EEEvT1_.numbered_sgpr, 0
	.set _ZN7rocprim17ROCPRIM_400000_NS6detail17trampoline_kernelINS0_14default_configENS1_27scan_by_key_config_selectorIidEEZZNS1_16scan_by_key_implILNS1_25lookback_scan_determinismE0ELb1ES3_N6thrust23THRUST_200600_302600_NS6detail15normal_iteratorINS9_10device_ptrIiEEEENSB_INSC_IdEEEESG_dNS9_4plusIvEENS9_8equal_toIvEEdEE10hipError_tPvRmT2_T3_T4_T5_mT6_T7_P12ihipStream_tbENKUlT_T0_E_clISt17integral_constantIbLb0EES10_IbLb1EEEEDaSW_SX_EUlSW_E_NS1_11comp_targetILNS1_3genE10ELNS1_11target_archE1200ELNS1_3gpuE4ELNS1_3repE0EEENS1_30default_config_static_selectorELNS0_4arch9wavefront6targetE0EEEvT1_.num_named_barrier, 0
	.set _ZN7rocprim17ROCPRIM_400000_NS6detail17trampoline_kernelINS0_14default_configENS1_27scan_by_key_config_selectorIidEEZZNS1_16scan_by_key_implILNS1_25lookback_scan_determinismE0ELb1ES3_N6thrust23THRUST_200600_302600_NS6detail15normal_iteratorINS9_10device_ptrIiEEEENSB_INSC_IdEEEESG_dNS9_4plusIvEENS9_8equal_toIvEEdEE10hipError_tPvRmT2_T3_T4_T5_mT6_T7_P12ihipStream_tbENKUlT_T0_E_clISt17integral_constantIbLb0EES10_IbLb1EEEEDaSW_SX_EUlSW_E_NS1_11comp_targetILNS1_3genE10ELNS1_11target_archE1200ELNS1_3gpuE4ELNS1_3repE0EEENS1_30default_config_static_selectorELNS0_4arch9wavefront6targetE0EEEvT1_.private_seg_size, 0
	.set _ZN7rocprim17ROCPRIM_400000_NS6detail17trampoline_kernelINS0_14default_configENS1_27scan_by_key_config_selectorIidEEZZNS1_16scan_by_key_implILNS1_25lookback_scan_determinismE0ELb1ES3_N6thrust23THRUST_200600_302600_NS6detail15normal_iteratorINS9_10device_ptrIiEEEENSB_INSC_IdEEEESG_dNS9_4plusIvEENS9_8equal_toIvEEdEE10hipError_tPvRmT2_T3_T4_T5_mT6_T7_P12ihipStream_tbENKUlT_T0_E_clISt17integral_constantIbLb0EES10_IbLb1EEEEDaSW_SX_EUlSW_E_NS1_11comp_targetILNS1_3genE10ELNS1_11target_archE1200ELNS1_3gpuE4ELNS1_3repE0EEENS1_30default_config_static_selectorELNS0_4arch9wavefront6targetE0EEEvT1_.uses_vcc, 0
	.set _ZN7rocprim17ROCPRIM_400000_NS6detail17trampoline_kernelINS0_14default_configENS1_27scan_by_key_config_selectorIidEEZZNS1_16scan_by_key_implILNS1_25lookback_scan_determinismE0ELb1ES3_N6thrust23THRUST_200600_302600_NS6detail15normal_iteratorINS9_10device_ptrIiEEEENSB_INSC_IdEEEESG_dNS9_4plusIvEENS9_8equal_toIvEEdEE10hipError_tPvRmT2_T3_T4_T5_mT6_T7_P12ihipStream_tbENKUlT_T0_E_clISt17integral_constantIbLb0EES10_IbLb1EEEEDaSW_SX_EUlSW_E_NS1_11comp_targetILNS1_3genE10ELNS1_11target_archE1200ELNS1_3gpuE4ELNS1_3repE0EEENS1_30default_config_static_selectorELNS0_4arch9wavefront6targetE0EEEvT1_.uses_flat_scratch, 0
	.set _ZN7rocprim17ROCPRIM_400000_NS6detail17trampoline_kernelINS0_14default_configENS1_27scan_by_key_config_selectorIidEEZZNS1_16scan_by_key_implILNS1_25lookback_scan_determinismE0ELb1ES3_N6thrust23THRUST_200600_302600_NS6detail15normal_iteratorINS9_10device_ptrIiEEEENSB_INSC_IdEEEESG_dNS9_4plusIvEENS9_8equal_toIvEEdEE10hipError_tPvRmT2_T3_T4_T5_mT6_T7_P12ihipStream_tbENKUlT_T0_E_clISt17integral_constantIbLb0EES10_IbLb1EEEEDaSW_SX_EUlSW_E_NS1_11comp_targetILNS1_3genE10ELNS1_11target_archE1200ELNS1_3gpuE4ELNS1_3repE0EEENS1_30default_config_static_selectorELNS0_4arch9wavefront6targetE0EEEvT1_.has_dyn_sized_stack, 0
	.set _ZN7rocprim17ROCPRIM_400000_NS6detail17trampoline_kernelINS0_14default_configENS1_27scan_by_key_config_selectorIidEEZZNS1_16scan_by_key_implILNS1_25lookback_scan_determinismE0ELb1ES3_N6thrust23THRUST_200600_302600_NS6detail15normal_iteratorINS9_10device_ptrIiEEEENSB_INSC_IdEEEESG_dNS9_4plusIvEENS9_8equal_toIvEEdEE10hipError_tPvRmT2_T3_T4_T5_mT6_T7_P12ihipStream_tbENKUlT_T0_E_clISt17integral_constantIbLb0EES10_IbLb1EEEEDaSW_SX_EUlSW_E_NS1_11comp_targetILNS1_3genE10ELNS1_11target_archE1200ELNS1_3gpuE4ELNS1_3repE0EEENS1_30default_config_static_selectorELNS0_4arch9wavefront6targetE0EEEvT1_.has_recursion, 0
	.set _ZN7rocprim17ROCPRIM_400000_NS6detail17trampoline_kernelINS0_14default_configENS1_27scan_by_key_config_selectorIidEEZZNS1_16scan_by_key_implILNS1_25lookback_scan_determinismE0ELb1ES3_N6thrust23THRUST_200600_302600_NS6detail15normal_iteratorINS9_10device_ptrIiEEEENSB_INSC_IdEEEESG_dNS9_4plusIvEENS9_8equal_toIvEEdEE10hipError_tPvRmT2_T3_T4_T5_mT6_T7_P12ihipStream_tbENKUlT_T0_E_clISt17integral_constantIbLb0EES10_IbLb1EEEEDaSW_SX_EUlSW_E_NS1_11comp_targetILNS1_3genE10ELNS1_11target_archE1200ELNS1_3gpuE4ELNS1_3repE0EEENS1_30default_config_static_selectorELNS0_4arch9wavefront6targetE0EEEvT1_.has_indirect_call, 0
	.section	.AMDGPU.csdata,"",@progbits
; Kernel info:
; codeLenInByte = 0
; TotalNumSgprs: 0
; NumVgprs: 0
; ScratchSize: 0
; MemoryBound: 0
; FloatMode: 240
; IeeeMode: 1
; LDSByteSize: 0 bytes/workgroup (compile time only)
; SGPRBlocks: 0
; VGPRBlocks: 0
; NumSGPRsForWavesPerEU: 1
; NumVGPRsForWavesPerEU: 1
; NamedBarCnt: 0
; Occupancy: 16
; WaveLimiterHint : 0
; COMPUTE_PGM_RSRC2:SCRATCH_EN: 0
; COMPUTE_PGM_RSRC2:USER_SGPR: 2
; COMPUTE_PGM_RSRC2:TRAP_HANDLER: 0
; COMPUTE_PGM_RSRC2:TGID_X_EN: 1
; COMPUTE_PGM_RSRC2:TGID_Y_EN: 0
; COMPUTE_PGM_RSRC2:TGID_Z_EN: 0
; COMPUTE_PGM_RSRC2:TIDIG_COMP_CNT: 0
	.section	.text._ZN7rocprim17ROCPRIM_400000_NS6detail17trampoline_kernelINS0_14default_configENS1_27scan_by_key_config_selectorIidEEZZNS1_16scan_by_key_implILNS1_25lookback_scan_determinismE0ELb1ES3_N6thrust23THRUST_200600_302600_NS6detail15normal_iteratorINS9_10device_ptrIiEEEENSB_INSC_IdEEEESG_dNS9_4plusIvEENS9_8equal_toIvEEdEE10hipError_tPvRmT2_T3_T4_T5_mT6_T7_P12ihipStream_tbENKUlT_T0_E_clISt17integral_constantIbLb0EES10_IbLb1EEEEDaSW_SX_EUlSW_E_NS1_11comp_targetILNS1_3genE9ELNS1_11target_archE1100ELNS1_3gpuE3ELNS1_3repE0EEENS1_30default_config_static_selectorELNS0_4arch9wavefront6targetE0EEEvT1_,"axG",@progbits,_ZN7rocprim17ROCPRIM_400000_NS6detail17trampoline_kernelINS0_14default_configENS1_27scan_by_key_config_selectorIidEEZZNS1_16scan_by_key_implILNS1_25lookback_scan_determinismE0ELb1ES3_N6thrust23THRUST_200600_302600_NS6detail15normal_iteratorINS9_10device_ptrIiEEEENSB_INSC_IdEEEESG_dNS9_4plusIvEENS9_8equal_toIvEEdEE10hipError_tPvRmT2_T3_T4_T5_mT6_T7_P12ihipStream_tbENKUlT_T0_E_clISt17integral_constantIbLb0EES10_IbLb1EEEEDaSW_SX_EUlSW_E_NS1_11comp_targetILNS1_3genE9ELNS1_11target_archE1100ELNS1_3gpuE3ELNS1_3repE0EEENS1_30default_config_static_selectorELNS0_4arch9wavefront6targetE0EEEvT1_,comdat
	.protected	_ZN7rocprim17ROCPRIM_400000_NS6detail17trampoline_kernelINS0_14default_configENS1_27scan_by_key_config_selectorIidEEZZNS1_16scan_by_key_implILNS1_25lookback_scan_determinismE0ELb1ES3_N6thrust23THRUST_200600_302600_NS6detail15normal_iteratorINS9_10device_ptrIiEEEENSB_INSC_IdEEEESG_dNS9_4plusIvEENS9_8equal_toIvEEdEE10hipError_tPvRmT2_T3_T4_T5_mT6_T7_P12ihipStream_tbENKUlT_T0_E_clISt17integral_constantIbLb0EES10_IbLb1EEEEDaSW_SX_EUlSW_E_NS1_11comp_targetILNS1_3genE9ELNS1_11target_archE1100ELNS1_3gpuE3ELNS1_3repE0EEENS1_30default_config_static_selectorELNS0_4arch9wavefront6targetE0EEEvT1_ ; -- Begin function _ZN7rocprim17ROCPRIM_400000_NS6detail17trampoline_kernelINS0_14default_configENS1_27scan_by_key_config_selectorIidEEZZNS1_16scan_by_key_implILNS1_25lookback_scan_determinismE0ELb1ES3_N6thrust23THRUST_200600_302600_NS6detail15normal_iteratorINS9_10device_ptrIiEEEENSB_INSC_IdEEEESG_dNS9_4plusIvEENS9_8equal_toIvEEdEE10hipError_tPvRmT2_T3_T4_T5_mT6_T7_P12ihipStream_tbENKUlT_T0_E_clISt17integral_constantIbLb0EES10_IbLb1EEEEDaSW_SX_EUlSW_E_NS1_11comp_targetILNS1_3genE9ELNS1_11target_archE1100ELNS1_3gpuE3ELNS1_3repE0EEENS1_30default_config_static_selectorELNS0_4arch9wavefront6targetE0EEEvT1_
	.globl	_ZN7rocprim17ROCPRIM_400000_NS6detail17trampoline_kernelINS0_14default_configENS1_27scan_by_key_config_selectorIidEEZZNS1_16scan_by_key_implILNS1_25lookback_scan_determinismE0ELb1ES3_N6thrust23THRUST_200600_302600_NS6detail15normal_iteratorINS9_10device_ptrIiEEEENSB_INSC_IdEEEESG_dNS9_4plusIvEENS9_8equal_toIvEEdEE10hipError_tPvRmT2_T3_T4_T5_mT6_T7_P12ihipStream_tbENKUlT_T0_E_clISt17integral_constantIbLb0EES10_IbLb1EEEEDaSW_SX_EUlSW_E_NS1_11comp_targetILNS1_3genE9ELNS1_11target_archE1100ELNS1_3gpuE3ELNS1_3repE0EEENS1_30default_config_static_selectorELNS0_4arch9wavefront6targetE0EEEvT1_
	.p2align	8
	.type	_ZN7rocprim17ROCPRIM_400000_NS6detail17trampoline_kernelINS0_14default_configENS1_27scan_by_key_config_selectorIidEEZZNS1_16scan_by_key_implILNS1_25lookback_scan_determinismE0ELb1ES3_N6thrust23THRUST_200600_302600_NS6detail15normal_iteratorINS9_10device_ptrIiEEEENSB_INSC_IdEEEESG_dNS9_4plusIvEENS9_8equal_toIvEEdEE10hipError_tPvRmT2_T3_T4_T5_mT6_T7_P12ihipStream_tbENKUlT_T0_E_clISt17integral_constantIbLb0EES10_IbLb1EEEEDaSW_SX_EUlSW_E_NS1_11comp_targetILNS1_3genE9ELNS1_11target_archE1100ELNS1_3gpuE3ELNS1_3repE0EEENS1_30default_config_static_selectorELNS0_4arch9wavefront6targetE0EEEvT1_,@function
_ZN7rocprim17ROCPRIM_400000_NS6detail17trampoline_kernelINS0_14default_configENS1_27scan_by_key_config_selectorIidEEZZNS1_16scan_by_key_implILNS1_25lookback_scan_determinismE0ELb1ES3_N6thrust23THRUST_200600_302600_NS6detail15normal_iteratorINS9_10device_ptrIiEEEENSB_INSC_IdEEEESG_dNS9_4plusIvEENS9_8equal_toIvEEdEE10hipError_tPvRmT2_T3_T4_T5_mT6_T7_P12ihipStream_tbENKUlT_T0_E_clISt17integral_constantIbLb0EES10_IbLb1EEEEDaSW_SX_EUlSW_E_NS1_11comp_targetILNS1_3genE9ELNS1_11target_archE1100ELNS1_3gpuE3ELNS1_3repE0EEENS1_30default_config_static_selectorELNS0_4arch9wavefront6targetE0EEEvT1_: ; @_ZN7rocprim17ROCPRIM_400000_NS6detail17trampoline_kernelINS0_14default_configENS1_27scan_by_key_config_selectorIidEEZZNS1_16scan_by_key_implILNS1_25lookback_scan_determinismE0ELb1ES3_N6thrust23THRUST_200600_302600_NS6detail15normal_iteratorINS9_10device_ptrIiEEEENSB_INSC_IdEEEESG_dNS9_4plusIvEENS9_8equal_toIvEEdEE10hipError_tPvRmT2_T3_T4_T5_mT6_T7_P12ihipStream_tbENKUlT_T0_E_clISt17integral_constantIbLb0EES10_IbLb1EEEEDaSW_SX_EUlSW_E_NS1_11comp_targetILNS1_3genE9ELNS1_11target_archE1100ELNS1_3gpuE3ELNS1_3repE0EEENS1_30default_config_static_selectorELNS0_4arch9wavefront6targetE0EEEvT1_
; %bb.0:
	.section	.rodata,"a",@progbits
	.p2align	6, 0x0
	.amdhsa_kernel _ZN7rocprim17ROCPRIM_400000_NS6detail17trampoline_kernelINS0_14default_configENS1_27scan_by_key_config_selectorIidEEZZNS1_16scan_by_key_implILNS1_25lookback_scan_determinismE0ELb1ES3_N6thrust23THRUST_200600_302600_NS6detail15normal_iteratorINS9_10device_ptrIiEEEENSB_INSC_IdEEEESG_dNS9_4plusIvEENS9_8equal_toIvEEdEE10hipError_tPvRmT2_T3_T4_T5_mT6_T7_P12ihipStream_tbENKUlT_T0_E_clISt17integral_constantIbLb0EES10_IbLb1EEEEDaSW_SX_EUlSW_E_NS1_11comp_targetILNS1_3genE9ELNS1_11target_archE1100ELNS1_3gpuE3ELNS1_3repE0EEENS1_30default_config_static_selectorELNS0_4arch9wavefront6targetE0EEEvT1_
		.amdhsa_group_segment_fixed_size 0
		.amdhsa_private_segment_fixed_size 0
		.amdhsa_kernarg_size 136
		.amdhsa_user_sgpr_count 2
		.amdhsa_user_sgpr_dispatch_ptr 0
		.amdhsa_user_sgpr_queue_ptr 0
		.amdhsa_user_sgpr_kernarg_segment_ptr 1
		.amdhsa_user_sgpr_dispatch_id 0
		.amdhsa_user_sgpr_kernarg_preload_length 0
		.amdhsa_user_sgpr_kernarg_preload_offset 0
		.amdhsa_user_sgpr_private_segment_size 0
		.amdhsa_wavefront_size32 1
		.amdhsa_uses_dynamic_stack 0
		.amdhsa_enable_private_segment 0
		.amdhsa_system_sgpr_workgroup_id_x 1
		.amdhsa_system_sgpr_workgroup_id_y 0
		.amdhsa_system_sgpr_workgroup_id_z 0
		.amdhsa_system_sgpr_workgroup_info 0
		.amdhsa_system_vgpr_workitem_id 0
		.amdhsa_next_free_vgpr 1
		.amdhsa_next_free_sgpr 1
		.amdhsa_named_barrier_count 0
		.amdhsa_reserve_vcc 0
		.amdhsa_float_round_mode_32 0
		.amdhsa_float_round_mode_16_64 0
		.amdhsa_float_denorm_mode_32 3
		.amdhsa_float_denorm_mode_16_64 3
		.amdhsa_fp16_overflow 0
		.amdhsa_memory_ordered 1
		.amdhsa_forward_progress 1
		.amdhsa_inst_pref_size 0
		.amdhsa_round_robin_scheduling 0
		.amdhsa_exception_fp_ieee_invalid_op 0
		.amdhsa_exception_fp_denorm_src 0
		.amdhsa_exception_fp_ieee_div_zero 0
		.amdhsa_exception_fp_ieee_overflow 0
		.amdhsa_exception_fp_ieee_underflow 0
		.amdhsa_exception_fp_ieee_inexact 0
		.amdhsa_exception_int_div_zero 0
	.end_amdhsa_kernel
	.section	.text._ZN7rocprim17ROCPRIM_400000_NS6detail17trampoline_kernelINS0_14default_configENS1_27scan_by_key_config_selectorIidEEZZNS1_16scan_by_key_implILNS1_25lookback_scan_determinismE0ELb1ES3_N6thrust23THRUST_200600_302600_NS6detail15normal_iteratorINS9_10device_ptrIiEEEENSB_INSC_IdEEEESG_dNS9_4plusIvEENS9_8equal_toIvEEdEE10hipError_tPvRmT2_T3_T4_T5_mT6_T7_P12ihipStream_tbENKUlT_T0_E_clISt17integral_constantIbLb0EES10_IbLb1EEEEDaSW_SX_EUlSW_E_NS1_11comp_targetILNS1_3genE9ELNS1_11target_archE1100ELNS1_3gpuE3ELNS1_3repE0EEENS1_30default_config_static_selectorELNS0_4arch9wavefront6targetE0EEEvT1_,"axG",@progbits,_ZN7rocprim17ROCPRIM_400000_NS6detail17trampoline_kernelINS0_14default_configENS1_27scan_by_key_config_selectorIidEEZZNS1_16scan_by_key_implILNS1_25lookback_scan_determinismE0ELb1ES3_N6thrust23THRUST_200600_302600_NS6detail15normal_iteratorINS9_10device_ptrIiEEEENSB_INSC_IdEEEESG_dNS9_4plusIvEENS9_8equal_toIvEEdEE10hipError_tPvRmT2_T3_T4_T5_mT6_T7_P12ihipStream_tbENKUlT_T0_E_clISt17integral_constantIbLb0EES10_IbLb1EEEEDaSW_SX_EUlSW_E_NS1_11comp_targetILNS1_3genE9ELNS1_11target_archE1100ELNS1_3gpuE3ELNS1_3repE0EEENS1_30default_config_static_selectorELNS0_4arch9wavefront6targetE0EEEvT1_,comdat
.Lfunc_end1425:
	.size	_ZN7rocprim17ROCPRIM_400000_NS6detail17trampoline_kernelINS0_14default_configENS1_27scan_by_key_config_selectorIidEEZZNS1_16scan_by_key_implILNS1_25lookback_scan_determinismE0ELb1ES3_N6thrust23THRUST_200600_302600_NS6detail15normal_iteratorINS9_10device_ptrIiEEEENSB_INSC_IdEEEESG_dNS9_4plusIvEENS9_8equal_toIvEEdEE10hipError_tPvRmT2_T3_T4_T5_mT6_T7_P12ihipStream_tbENKUlT_T0_E_clISt17integral_constantIbLb0EES10_IbLb1EEEEDaSW_SX_EUlSW_E_NS1_11comp_targetILNS1_3genE9ELNS1_11target_archE1100ELNS1_3gpuE3ELNS1_3repE0EEENS1_30default_config_static_selectorELNS0_4arch9wavefront6targetE0EEEvT1_, .Lfunc_end1425-_ZN7rocprim17ROCPRIM_400000_NS6detail17trampoline_kernelINS0_14default_configENS1_27scan_by_key_config_selectorIidEEZZNS1_16scan_by_key_implILNS1_25lookback_scan_determinismE0ELb1ES3_N6thrust23THRUST_200600_302600_NS6detail15normal_iteratorINS9_10device_ptrIiEEEENSB_INSC_IdEEEESG_dNS9_4plusIvEENS9_8equal_toIvEEdEE10hipError_tPvRmT2_T3_T4_T5_mT6_T7_P12ihipStream_tbENKUlT_T0_E_clISt17integral_constantIbLb0EES10_IbLb1EEEEDaSW_SX_EUlSW_E_NS1_11comp_targetILNS1_3genE9ELNS1_11target_archE1100ELNS1_3gpuE3ELNS1_3repE0EEENS1_30default_config_static_selectorELNS0_4arch9wavefront6targetE0EEEvT1_
                                        ; -- End function
	.set _ZN7rocprim17ROCPRIM_400000_NS6detail17trampoline_kernelINS0_14default_configENS1_27scan_by_key_config_selectorIidEEZZNS1_16scan_by_key_implILNS1_25lookback_scan_determinismE0ELb1ES3_N6thrust23THRUST_200600_302600_NS6detail15normal_iteratorINS9_10device_ptrIiEEEENSB_INSC_IdEEEESG_dNS9_4plusIvEENS9_8equal_toIvEEdEE10hipError_tPvRmT2_T3_T4_T5_mT6_T7_P12ihipStream_tbENKUlT_T0_E_clISt17integral_constantIbLb0EES10_IbLb1EEEEDaSW_SX_EUlSW_E_NS1_11comp_targetILNS1_3genE9ELNS1_11target_archE1100ELNS1_3gpuE3ELNS1_3repE0EEENS1_30default_config_static_selectorELNS0_4arch9wavefront6targetE0EEEvT1_.num_vgpr, 0
	.set _ZN7rocprim17ROCPRIM_400000_NS6detail17trampoline_kernelINS0_14default_configENS1_27scan_by_key_config_selectorIidEEZZNS1_16scan_by_key_implILNS1_25lookback_scan_determinismE0ELb1ES3_N6thrust23THRUST_200600_302600_NS6detail15normal_iteratorINS9_10device_ptrIiEEEENSB_INSC_IdEEEESG_dNS9_4plusIvEENS9_8equal_toIvEEdEE10hipError_tPvRmT2_T3_T4_T5_mT6_T7_P12ihipStream_tbENKUlT_T0_E_clISt17integral_constantIbLb0EES10_IbLb1EEEEDaSW_SX_EUlSW_E_NS1_11comp_targetILNS1_3genE9ELNS1_11target_archE1100ELNS1_3gpuE3ELNS1_3repE0EEENS1_30default_config_static_selectorELNS0_4arch9wavefront6targetE0EEEvT1_.num_agpr, 0
	.set _ZN7rocprim17ROCPRIM_400000_NS6detail17trampoline_kernelINS0_14default_configENS1_27scan_by_key_config_selectorIidEEZZNS1_16scan_by_key_implILNS1_25lookback_scan_determinismE0ELb1ES3_N6thrust23THRUST_200600_302600_NS6detail15normal_iteratorINS9_10device_ptrIiEEEENSB_INSC_IdEEEESG_dNS9_4plusIvEENS9_8equal_toIvEEdEE10hipError_tPvRmT2_T3_T4_T5_mT6_T7_P12ihipStream_tbENKUlT_T0_E_clISt17integral_constantIbLb0EES10_IbLb1EEEEDaSW_SX_EUlSW_E_NS1_11comp_targetILNS1_3genE9ELNS1_11target_archE1100ELNS1_3gpuE3ELNS1_3repE0EEENS1_30default_config_static_selectorELNS0_4arch9wavefront6targetE0EEEvT1_.numbered_sgpr, 0
	.set _ZN7rocprim17ROCPRIM_400000_NS6detail17trampoline_kernelINS0_14default_configENS1_27scan_by_key_config_selectorIidEEZZNS1_16scan_by_key_implILNS1_25lookback_scan_determinismE0ELb1ES3_N6thrust23THRUST_200600_302600_NS6detail15normal_iteratorINS9_10device_ptrIiEEEENSB_INSC_IdEEEESG_dNS9_4plusIvEENS9_8equal_toIvEEdEE10hipError_tPvRmT2_T3_T4_T5_mT6_T7_P12ihipStream_tbENKUlT_T0_E_clISt17integral_constantIbLb0EES10_IbLb1EEEEDaSW_SX_EUlSW_E_NS1_11comp_targetILNS1_3genE9ELNS1_11target_archE1100ELNS1_3gpuE3ELNS1_3repE0EEENS1_30default_config_static_selectorELNS0_4arch9wavefront6targetE0EEEvT1_.num_named_barrier, 0
	.set _ZN7rocprim17ROCPRIM_400000_NS6detail17trampoline_kernelINS0_14default_configENS1_27scan_by_key_config_selectorIidEEZZNS1_16scan_by_key_implILNS1_25lookback_scan_determinismE0ELb1ES3_N6thrust23THRUST_200600_302600_NS6detail15normal_iteratorINS9_10device_ptrIiEEEENSB_INSC_IdEEEESG_dNS9_4plusIvEENS9_8equal_toIvEEdEE10hipError_tPvRmT2_T3_T4_T5_mT6_T7_P12ihipStream_tbENKUlT_T0_E_clISt17integral_constantIbLb0EES10_IbLb1EEEEDaSW_SX_EUlSW_E_NS1_11comp_targetILNS1_3genE9ELNS1_11target_archE1100ELNS1_3gpuE3ELNS1_3repE0EEENS1_30default_config_static_selectorELNS0_4arch9wavefront6targetE0EEEvT1_.private_seg_size, 0
	.set _ZN7rocprim17ROCPRIM_400000_NS6detail17trampoline_kernelINS0_14default_configENS1_27scan_by_key_config_selectorIidEEZZNS1_16scan_by_key_implILNS1_25lookback_scan_determinismE0ELb1ES3_N6thrust23THRUST_200600_302600_NS6detail15normal_iteratorINS9_10device_ptrIiEEEENSB_INSC_IdEEEESG_dNS9_4plusIvEENS9_8equal_toIvEEdEE10hipError_tPvRmT2_T3_T4_T5_mT6_T7_P12ihipStream_tbENKUlT_T0_E_clISt17integral_constantIbLb0EES10_IbLb1EEEEDaSW_SX_EUlSW_E_NS1_11comp_targetILNS1_3genE9ELNS1_11target_archE1100ELNS1_3gpuE3ELNS1_3repE0EEENS1_30default_config_static_selectorELNS0_4arch9wavefront6targetE0EEEvT1_.uses_vcc, 0
	.set _ZN7rocprim17ROCPRIM_400000_NS6detail17trampoline_kernelINS0_14default_configENS1_27scan_by_key_config_selectorIidEEZZNS1_16scan_by_key_implILNS1_25lookback_scan_determinismE0ELb1ES3_N6thrust23THRUST_200600_302600_NS6detail15normal_iteratorINS9_10device_ptrIiEEEENSB_INSC_IdEEEESG_dNS9_4plusIvEENS9_8equal_toIvEEdEE10hipError_tPvRmT2_T3_T4_T5_mT6_T7_P12ihipStream_tbENKUlT_T0_E_clISt17integral_constantIbLb0EES10_IbLb1EEEEDaSW_SX_EUlSW_E_NS1_11comp_targetILNS1_3genE9ELNS1_11target_archE1100ELNS1_3gpuE3ELNS1_3repE0EEENS1_30default_config_static_selectorELNS0_4arch9wavefront6targetE0EEEvT1_.uses_flat_scratch, 0
	.set _ZN7rocprim17ROCPRIM_400000_NS6detail17trampoline_kernelINS0_14default_configENS1_27scan_by_key_config_selectorIidEEZZNS1_16scan_by_key_implILNS1_25lookback_scan_determinismE0ELb1ES3_N6thrust23THRUST_200600_302600_NS6detail15normal_iteratorINS9_10device_ptrIiEEEENSB_INSC_IdEEEESG_dNS9_4plusIvEENS9_8equal_toIvEEdEE10hipError_tPvRmT2_T3_T4_T5_mT6_T7_P12ihipStream_tbENKUlT_T0_E_clISt17integral_constantIbLb0EES10_IbLb1EEEEDaSW_SX_EUlSW_E_NS1_11comp_targetILNS1_3genE9ELNS1_11target_archE1100ELNS1_3gpuE3ELNS1_3repE0EEENS1_30default_config_static_selectorELNS0_4arch9wavefront6targetE0EEEvT1_.has_dyn_sized_stack, 0
	.set _ZN7rocprim17ROCPRIM_400000_NS6detail17trampoline_kernelINS0_14default_configENS1_27scan_by_key_config_selectorIidEEZZNS1_16scan_by_key_implILNS1_25lookback_scan_determinismE0ELb1ES3_N6thrust23THRUST_200600_302600_NS6detail15normal_iteratorINS9_10device_ptrIiEEEENSB_INSC_IdEEEESG_dNS9_4plusIvEENS9_8equal_toIvEEdEE10hipError_tPvRmT2_T3_T4_T5_mT6_T7_P12ihipStream_tbENKUlT_T0_E_clISt17integral_constantIbLb0EES10_IbLb1EEEEDaSW_SX_EUlSW_E_NS1_11comp_targetILNS1_3genE9ELNS1_11target_archE1100ELNS1_3gpuE3ELNS1_3repE0EEENS1_30default_config_static_selectorELNS0_4arch9wavefront6targetE0EEEvT1_.has_recursion, 0
	.set _ZN7rocprim17ROCPRIM_400000_NS6detail17trampoline_kernelINS0_14default_configENS1_27scan_by_key_config_selectorIidEEZZNS1_16scan_by_key_implILNS1_25lookback_scan_determinismE0ELb1ES3_N6thrust23THRUST_200600_302600_NS6detail15normal_iteratorINS9_10device_ptrIiEEEENSB_INSC_IdEEEESG_dNS9_4plusIvEENS9_8equal_toIvEEdEE10hipError_tPvRmT2_T3_T4_T5_mT6_T7_P12ihipStream_tbENKUlT_T0_E_clISt17integral_constantIbLb0EES10_IbLb1EEEEDaSW_SX_EUlSW_E_NS1_11comp_targetILNS1_3genE9ELNS1_11target_archE1100ELNS1_3gpuE3ELNS1_3repE0EEENS1_30default_config_static_selectorELNS0_4arch9wavefront6targetE0EEEvT1_.has_indirect_call, 0
	.section	.AMDGPU.csdata,"",@progbits
; Kernel info:
; codeLenInByte = 0
; TotalNumSgprs: 0
; NumVgprs: 0
; ScratchSize: 0
; MemoryBound: 0
; FloatMode: 240
; IeeeMode: 1
; LDSByteSize: 0 bytes/workgroup (compile time only)
; SGPRBlocks: 0
; VGPRBlocks: 0
; NumSGPRsForWavesPerEU: 1
; NumVGPRsForWavesPerEU: 1
; NamedBarCnt: 0
; Occupancy: 16
; WaveLimiterHint : 0
; COMPUTE_PGM_RSRC2:SCRATCH_EN: 0
; COMPUTE_PGM_RSRC2:USER_SGPR: 2
; COMPUTE_PGM_RSRC2:TRAP_HANDLER: 0
; COMPUTE_PGM_RSRC2:TGID_X_EN: 1
; COMPUTE_PGM_RSRC2:TGID_Y_EN: 0
; COMPUTE_PGM_RSRC2:TGID_Z_EN: 0
; COMPUTE_PGM_RSRC2:TIDIG_COMP_CNT: 0
	.section	.text._ZN7rocprim17ROCPRIM_400000_NS6detail17trampoline_kernelINS0_14default_configENS1_27scan_by_key_config_selectorIidEEZZNS1_16scan_by_key_implILNS1_25lookback_scan_determinismE0ELb1ES3_N6thrust23THRUST_200600_302600_NS6detail15normal_iteratorINS9_10device_ptrIiEEEENSB_INSC_IdEEEESG_dNS9_4plusIvEENS9_8equal_toIvEEdEE10hipError_tPvRmT2_T3_T4_T5_mT6_T7_P12ihipStream_tbENKUlT_T0_E_clISt17integral_constantIbLb0EES10_IbLb1EEEEDaSW_SX_EUlSW_E_NS1_11comp_targetILNS1_3genE8ELNS1_11target_archE1030ELNS1_3gpuE2ELNS1_3repE0EEENS1_30default_config_static_selectorELNS0_4arch9wavefront6targetE0EEEvT1_,"axG",@progbits,_ZN7rocprim17ROCPRIM_400000_NS6detail17trampoline_kernelINS0_14default_configENS1_27scan_by_key_config_selectorIidEEZZNS1_16scan_by_key_implILNS1_25lookback_scan_determinismE0ELb1ES3_N6thrust23THRUST_200600_302600_NS6detail15normal_iteratorINS9_10device_ptrIiEEEENSB_INSC_IdEEEESG_dNS9_4plusIvEENS9_8equal_toIvEEdEE10hipError_tPvRmT2_T3_T4_T5_mT6_T7_P12ihipStream_tbENKUlT_T0_E_clISt17integral_constantIbLb0EES10_IbLb1EEEEDaSW_SX_EUlSW_E_NS1_11comp_targetILNS1_3genE8ELNS1_11target_archE1030ELNS1_3gpuE2ELNS1_3repE0EEENS1_30default_config_static_selectorELNS0_4arch9wavefront6targetE0EEEvT1_,comdat
	.protected	_ZN7rocprim17ROCPRIM_400000_NS6detail17trampoline_kernelINS0_14default_configENS1_27scan_by_key_config_selectorIidEEZZNS1_16scan_by_key_implILNS1_25lookback_scan_determinismE0ELb1ES3_N6thrust23THRUST_200600_302600_NS6detail15normal_iteratorINS9_10device_ptrIiEEEENSB_INSC_IdEEEESG_dNS9_4plusIvEENS9_8equal_toIvEEdEE10hipError_tPvRmT2_T3_T4_T5_mT6_T7_P12ihipStream_tbENKUlT_T0_E_clISt17integral_constantIbLb0EES10_IbLb1EEEEDaSW_SX_EUlSW_E_NS1_11comp_targetILNS1_3genE8ELNS1_11target_archE1030ELNS1_3gpuE2ELNS1_3repE0EEENS1_30default_config_static_selectorELNS0_4arch9wavefront6targetE0EEEvT1_ ; -- Begin function _ZN7rocprim17ROCPRIM_400000_NS6detail17trampoline_kernelINS0_14default_configENS1_27scan_by_key_config_selectorIidEEZZNS1_16scan_by_key_implILNS1_25lookback_scan_determinismE0ELb1ES3_N6thrust23THRUST_200600_302600_NS6detail15normal_iteratorINS9_10device_ptrIiEEEENSB_INSC_IdEEEESG_dNS9_4plusIvEENS9_8equal_toIvEEdEE10hipError_tPvRmT2_T3_T4_T5_mT6_T7_P12ihipStream_tbENKUlT_T0_E_clISt17integral_constantIbLb0EES10_IbLb1EEEEDaSW_SX_EUlSW_E_NS1_11comp_targetILNS1_3genE8ELNS1_11target_archE1030ELNS1_3gpuE2ELNS1_3repE0EEENS1_30default_config_static_selectorELNS0_4arch9wavefront6targetE0EEEvT1_
	.globl	_ZN7rocprim17ROCPRIM_400000_NS6detail17trampoline_kernelINS0_14default_configENS1_27scan_by_key_config_selectorIidEEZZNS1_16scan_by_key_implILNS1_25lookback_scan_determinismE0ELb1ES3_N6thrust23THRUST_200600_302600_NS6detail15normal_iteratorINS9_10device_ptrIiEEEENSB_INSC_IdEEEESG_dNS9_4plusIvEENS9_8equal_toIvEEdEE10hipError_tPvRmT2_T3_T4_T5_mT6_T7_P12ihipStream_tbENKUlT_T0_E_clISt17integral_constantIbLb0EES10_IbLb1EEEEDaSW_SX_EUlSW_E_NS1_11comp_targetILNS1_3genE8ELNS1_11target_archE1030ELNS1_3gpuE2ELNS1_3repE0EEENS1_30default_config_static_selectorELNS0_4arch9wavefront6targetE0EEEvT1_
	.p2align	8
	.type	_ZN7rocprim17ROCPRIM_400000_NS6detail17trampoline_kernelINS0_14default_configENS1_27scan_by_key_config_selectorIidEEZZNS1_16scan_by_key_implILNS1_25lookback_scan_determinismE0ELb1ES3_N6thrust23THRUST_200600_302600_NS6detail15normal_iteratorINS9_10device_ptrIiEEEENSB_INSC_IdEEEESG_dNS9_4plusIvEENS9_8equal_toIvEEdEE10hipError_tPvRmT2_T3_T4_T5_mT6_T7_P12ihipStream_tbENKUlT_T0_E_clISt17integral_constantIbLb0EES10_IbLb1EEEEDaSW_SX_EUlSW_E_NS1_11comp_targetILNS1_3genE8ELNS1_11target_archE1030ELNS1_3gpuE2ELNS1_3repE0EEENS1_30default_config_static_selectorELNS0_4arch9wavefront6targetE0EEEvT1_,@function
_ZN7rocprim17ROCPRIM_400000_NS6detail17trampoline_kernelINS0_14default_configENS1_27scan_by_key_config_selectorIidEEZZNS1_16scan_by_key_implILNS1_25lookback_scan_determinismE0ELb1ES3_N6thrust23THRUST_200600_302600_NS6detail15normal_iteratorINS9_10device_ptrIiEEEENSB_INSC_IdEEEESG_dNS9_4plusIvEENS9_8equal_toIvEEdEE10hipError_tPvRmT2_T3_T4_T5_mT6_T7_P12ihipStream_tbENKUlT_T0_E_clISt17integral_constantIbLb0EES10_IbLb1EEEEDaSW_SX_EUlSW_E_NS1_11comp_targetILNS1_3genE8ELNS1_11target_archE1030ELNS1_3gpuE2ELNS1_3repE0EEENS1_30default_config_static_selectorELNS0_4arch9wavefront6targetE0EEEvT1_: ; @_ZN7rocprim17ROCPRIM_400000_NS6detail17trampoline_kernelINS0_14default_configENS1_27scan_by_key_config_selectorIidEEZZNS1_16scan_by_key_implILNS1_25lookback_scan_determinismE0ELb1ES3_N6thrust23THRUST_200600_302600_NS6detail15normal_iteratorINS9_10device_ptrIiEEEENSB_INSC_IdEEEESG_dNS9_4plusIvEENS9_8equal_toIvEEdEE10hipError_tPvRmT2_T3_T4_T5_mT6_T7_P12ihipStream_tbENKUlT_T0_E_clISt17integral_constantIbLb0EES10_IbLb1EEEEDaSW_SX_EUlSW_E_NS1_11comp_targetILNS1_3genE8ELNS1_11target_archE1030ELNS1_3gpuE2ELNS1_3repE0EEENS1_30default_config_static_selectorELNS0_4arch9wavefront6targetE0EEEvT1_
; %bb.0:
	.section	.rodata,"a",@progbits
	.p2align	6, 0x0
	.amdhsa_kernel _ZN7rocprim17ROCPRIM_400000_NS6detail17trampoline_kernelINS0_14default_configENS1_27scan_by_key_config_selectorIidEEZZNS1_16scan_by_key_implILNS1_25lookback_scan_determinismE0ELb1ES3_N6thrust23THRUST_200600_302600_NS6detail15normal_iteratorINS9_10device_ptrIiEEEENSB_INSC_IdEEEESG_dNS9_4plusIvEENS9_8equal_toIvEEdEE10hipError_tPvRmT2_T3_T4_T5_mT6_T7_P12ihipStream_tbENKUlT_T0_E_clISt17integral_constantIbLb0EES10_IbLb1EEEEDaSW_SX_EUlSW_E_NS1_11comp_targetILNS1_3genE8ELNS1_11target_archE1030ELNS1_3gpuE2ELNS1_3repE0EEENS1_30default_config_static_selectorELNS0_4arch9wavefront6targetE0EEEvT1_
		.amdhsa_group_segment_fixed_size 0
		.amdhsa_private_segment_fixed_size 0
		.amdhsa_kernarg_size 136
		.amdhsa_user_sgpr_count 2
		.amdhsa_user_sgpr_dispatch_ptr 0
		.amdhsa_user_sgpr_queue_ptr 0
		.amdhsa_user_sgpr_kernarg_segment_ptr 1
		.amdhsa_user_sgpr_dispatch_id 0
		.amdhsa_user_sgpr_kernarg_preload_length 0
		.amdhsa_user_sgpr_kernarg_preload_offset 0
		.amdhsa_user_sgpr_private_segment_size 0
		.amdhsa_wavefront_size32 1
		.amdhsa_uses_dynamic_stack 0
		.amdhsa_enable_private_segment 0
		.amdhsa_system_sgpr_workgroup_id_x 1
		.amdhsa_system_sgpr_workgroup_id_y 0
		.amdhsa_system_sgpr_workgroup_id_z 0
		.amdhsa_system_sgpr_workgroup_info 0
		.amdhsa_system_vgpr_workitem_id 0
		.amdhsa_next_free_vgpr 1
		.amdhsa_next_free_sgpr 1
		.amdhsa_named_barrier_count 0
		.amdhsa_reserve_vcc 0
		.amdhsa_float_round_mode_32 0
		.amdhsa_float_round_mode_16_64 0
		.amdhsa_float_denorm_mode_32 3
		.amdhsa_float_denorm_mode_16_64 3
		.amdhsa_fp16_overflow 0
		.amdhsa_memory_ordered 1
		.amdhsa_forward_progress 1
		.amdhsa_inst_pref_size 0
		.amdhsa_round_robin_scheduling 0
		.amdhsa_exception_fp_ieee_invalid_op 0
		.amdhsa_exception_fp_denorm_src 0
		.amdhsa_exception_fp_ieee_div_zero 0
		.amdhsa_exception_fp_ieee_overflow 0
		.amdhsa_exception_fp_ieee_underflow 0
		.amdhsa_exception_fp_ieee_inexact 0
		.amdhsa_exception_int_div_zero 0
	.end_amdhsa_kernel
	.section	.text._ZN7rocprim17ROCPRIM_400000_NS6detail17trampoline_kernelINS0_14default_configENS1_27scan_by_key_config_selectorIidEEZZNS1_16scan_by_key_implILNS1_25lookback_scan_determinismE0ELb1ES3_N6thrust23THRUST_200600_302600_NS6detail15normal_iteratorINS9_10device_ptrIiEEEENSB_INSC_IdEEEESG_dNS9_4plusIvEENS9_8equal_toIvEEdEE10hipError_tPvRmT2_T3_T4_T5_mT6_T7_P12ihipStream_tbENKUlT_T0_E_clISt17integral_constantIbLb0EES10_IbLb1EEEEDaSW_SX_EUlSW_E_NS1_11comp_targetILNS1_3genE8ELNS1_11target_archE1030ELNS1_3gpuE2ELNS1_3repE0EEENS1_30default_config_static_selectorELNS0_4arch9wavefront6targetE0EEEvT1_,"axG",@progbits,_ZN7rocprim17ROCPRIM_400000_NS6detail17trampoline_kernelINS0_14default_configENS1_27scan_by_key_config_selectorIidEEZZNS1_16scan_by_key_implILNS1_25lookback_scan_determinismE0ELb1ES3_N6thrust23THRUST_200600_302600_NS6detail15normal_iteratorINS9_10device_ptrIiEEEENSB_INSC_IdEEEESG_dNS9_4plusIvEENS9_8equal_toIvEEdEE10hipError_tPvRmT2_T3_T4_T5_mT6_T7_P12ihipStream_tbENKUlT_T0_E_clISt17integral_constantIbLb0EES10_IbLb1EEEEDaSW_SX_EUlSW_E_NS1_11comp_targetILNS1_3genE8ELNS1_11target_archE1030ELNS1_3gpuE2ELNS1_3repE0EEENS1_30default_config_static_selectorELNS0_4arch9wavefront6targetE0EEEvT1_,comdat
.Lfunc_end1426:
	.size	_ZN7rocprim17ROCPRIM_400000_NS6detail17trampoline_kernelINS0_14default_configENS1_27scan_by_key_config_selectorIidEEZZNS1_16scan_by_key_implILNS1_25lookback_scan_determinismE0ELb1ES3_N6thrust23THRUST_200600_302600_NS6detail15normal_iteratorINS9_10device_ptrIiEEEENSB_INSC_IdEEEESG_dNS9_4plusIvEENS9_8equal_toIvEEdEE10hipError_tPvRmT2_T3_T4_T5_mT6_T7_P12ihipStream_tbENKUlT_T0_E_clISt17integral_constantIbLb0EES10_IbLb1EEEEDaSW_SX_EUlSW_E_NS1_11comp_targetILNS1_3genE8ELNS1_11target_archE1030ELNS1_3gpuE2ELNS1_3repE0EEENS1_30default_config_static_selectorELNS0_4arch9wavefront6targetE0EEEvT1_, .Lfunc_end1426-_ZN7rocprim17ROCPRIM_400000_NS6detail17trampoline_kernelINS0_14default_configENS1_27scan_by_key_config_selectorIidEEZZNS1_16scan_by_key_implILNS1_25lookback_scan_determinismE0ELb1ES3_N6thrust23THRUST_200600_302600_NS6detail15normal_iteratorINS9_10device_ptrIiEEEENSB_INSC_IdEEEESG_dNS9_4plusIvEENS9_8equal_toIvEEdEE10hipError_tPvRmT2_T3_T4_T5_mT6_T7_P12ihipStream_tbENKUlT_T0_E_clISt17integral_constantIbLb0EES10_IbLb1EEEEDaSW_SX_EUlSW_E_NS1_11comp_targetILNS1_3genE8ELNS1_11target_archE1030ELNS1_3gpuE2ELNS1_3repE0EEENS1_30default_config_static_selectorELNS0_4arch9wavefront6targetE0EEEvT1_
                                        ; -- End function
	.set _ZN7rocprim17ROCPRIM_400000_NS6detail17trampoline_kernelINS0_14default_configENS1_27scan_by_key_config_selectorIidEEZZNS1_16scan_by_key_implILNS1_25lookback_scan_determinismE0ELb1ES3_N6thrust23THRUST_200600_302600_NS6detail15normal_iteratorINS9_10device_ptrIiEEEENSB_INSC_IdEEEESG_dNS9_4plusIvEENS9_8equal_toIvEEdEE10hipError_tPvRmT2_T3_T4_T5_mT6_T7_P12ihipStream_tbENKUlT_T0_E_clISt17integral_constantIbLb0EES10_IbLb1EEEEDaSW_SX_EUlSW_E_NS1_11comp_targetILNS1_3genE8ELNS1_11target_archE1030ELNS1_3gpuE2ELNS1_3repE0EEENS1_30default_config_static_selectorELNS0_4arch9wavefront6targetE0EEEvT1_.num_vgpr, 0
	.set _ZN7rocprim17ROCPRIM_400000_NS6detail17trampoline_kernelINS0_14default_configENS1_27scan_by_key_config_selectorIidEEZZNS1_16scan_by_key_implILNS1_25lookback_scan_determinismE0ELb1ES3_N6thrust23THRUST_200600_302600_NS6detail15normal_iteratorINS9_10device_ptrIiEEEENSB_INSC_IdEEEESG_dNS9_4plusIvEENS9_8equal_toIvEEdEE10hipError_tPvRmT2_T3_T4_T5_mT6_T7_P12ihipStream_tbENKUlT_T0_E_clISt17integral_constantIbLb0EES10_IbLb1EEEEDaSW_SX_EUlSW_E_NS1_11comp_targetILNS1_3genE8ELNS1_11target_archE1030ELNS1_3gpuE2ELNS1_3repE0EEENS1_30default_config_static_selectorELNS0_4arch9wavefront6targetE0EEEvT1_.num_agpr, 0
	.set _ZN7rocprim17ROCPRIM_400000_NS6detail17trampoline_kernelINS0_14default_configENS1_27scan_by_key_config_selectorIidEEZZNS1_16scan_by_key_implILNS1_25lookback_scan_determinismE0ELb1ES3_N6thrust23THRUST_200600_302600_NS6detail15normal_iteratorINS9_10device_ptrIiEEEENSB_INSC_IdEEEESG_dNS9_4plusIvEENS9_8equal_toIvEEdEE10hipError_tPvRmT2_T3_T4_T5_mT6_T7_P12ihipStream_tbENKUlT_T0_E_clISt17integral_constantIbLb0EES10_IbLb1EEEEDaSW_SX_EUlSW_E_NS1_11comp_targetILNS1_3genE8ELNS1_11target_archE1030ELNS1_3gpuE2ELNS1_3repE0EEENS1_30default_config_static_selectorELNS0_4arch9wavefront6targetE0EEEvT1_.numbered_sgpr, 0
	.set _ZN7rocprim17ROCPRIM_400000_NS6detail17trampoline_kernelINS0_14default_configENS1_27scan_by_key_config_selectorIidEEZZNS1_16scan_by_key_implILNS1_25lookback_scan_determinismE0ELb1ES3_N6thrust23THRUST_200600_302600_NS6detail15normal_iteratorINS9_10device_ptrIiEEEENSB_INSC_IdEEEESG_dNS9_4plusIvEENS9_8equal_toIvEEdEE10hipError_tPvRmT2_T3_T4_T5_mT6_T7_P12ihipStream_tbENKUlT_T0_E_clISt17integral_constantIbLb0EES10_IbLb1EEEEDaSW_SX_EUlSW_E_NS1_11comp_targetILNS1_3genE8ELNS1_11target_archE1030ELNS1_3gpuE2ELNS1_3repE0EEENS1_30default_config_static_selectorELNS0_4arch9wavefront6targetE0EEEvT1_.num_named_barrier, 0
	.set _ZN7rocprim17ROCPRIM_400000_NS6detail17trampoline_kernelINS0_14default_configENS1_27scan_by_key_config_selectorIidEEZZNS1_16scan_by_key_implILNS1_25lookback_scan_determinismE0ELb1ES3_N6thrust23THRUST_200600_302600_NS6detail15normal_iteratorINS9_10device_ptrIiEEEENSB_INSC_IdEEEESG_dNS9_4plusIvEENS9_8equal_toIvEEdEE10hipError_tPvRmT2_T3_T4_T5_mT6_T7_P12ihipStream_tbENKUlT_T0_E_clISt17integral_constantIbLb0EES10_IbLb1EEEEDaSW_SX_EUlSW_E_NS1_11comp_targetILNS1_3genE8ELNS1_11target_archE1030ELNS1_3gpuE2ELNS1_3repE0EEENS1_30default_config_static_selectorELNS0_4arch9wavefront6targetE0EEEvT1_.private_seg_size, 0
	.set _ZN7rocprim17ROCPRIM_400000_NS6detail17trampoline_kernelINS0_14default_configENS1_27scan_by_key_config_selectorIidEEZZNS1_16scan_by_key_implILNS1_25lookback_scan_determinismE0ELb1ES3_N6thrust23THRUST_200600_302600_NS6detail15normal_iteratorINS9_10device_ptrIiEEEENSB_INSC_IdEEEESG_dNS9_4plusIvEENS9_8equal_toIvEEdEE10hipError_tPvRmT2_T3_T4_T5_mT6_T7_P12ihipStream_tbENKUlT_T0_E_clISt17integral_constantIbLb0EES10_IbLb1EEEEDaSW_SX_EUlSW_E_NS1_11comp_targetILNS1_3genE8ELNS1_11target_archE1030ELNS1_3gpuE2ELNS1_3repE0EEENS1_30default_config_static_selectorELNS0_4arch9wavefront6targetE0EEEvT1_.uses_vcc, 0
	.set _ZN7rocprim17ROCPRIM_400000_NS6detail17trampoline_kernelINS0_14default_configENS1_27scan_by_key_config_selectorIidEEZZNS1_16scan_by_key_implILNS1_25lookback_scan_determinismE0ELb1ES3_N6thrust23THRUST_200600_302600_NS6detail15normal_iteratorINS9_10device_ptrIiEEEENSB_INSC_IdEEEESG_dNS9_4plusIvEENS9_8equal_toIvEEdEE10hipError_tPvRmT2_T3_T4_T5_mT6_T7_P12ihipStream_tbENKUlT_T0_E_clISt17integral_constantIbLb0EES10_IbLb1EEEEDaSW_SX_EUlSW_E_NS1_11comp_targetILNS1_3genE8ELNS1_11target_archE1030ELNS1_3gpuE2ELNS1_3repE0EEENS1_30default_config_static_selectorELNS0_4arch9wavefront6targetE0EEEvT1_.uses_flat_scratch, 0
	.set _ZN7rocprim17ROCPRIM_400000_NS6detail17trampoline_kernelINS0_14default_configENS1_27scan_by_key_config_selectorIidEEZZNS1_16scan_by_key_implILNS1_25lookback_scan_determinismE0ELb1ES3_N6thrust23THRUST_200600_302600_NS6detail15normal_iteratorINS9_10device_ptrIiEEEENSB_INSC_IdEEEESG_dNS9_4plusIvEENS9_8equal_toIvEEdEE10hipError_tPvRmT2_T3_T4_T5_mT6_T7_P12ihipStream_tbENKUlT_T0_E_clISt17integral_constantIbLb0EES10_IbLb1EEEEDaSW_SX_EUlSW_E_NS1_11comp_targetILNS1_3genE8ELNS1_11target_archE1030ELNS1_3gpuE2ELNS1_3repE0EEENS1_30default_config_static_selectorELNS0_4arch9wavefront6targetE0EEEvT1_.has_dyn_sized_stack, 0
	.set _ZN7rocprim17ROCPRIM_400000_NS6detail17trampoline_kernelINS0_14default_configENS1_27scan_by_key_config_selectorIidEEZZNS1_16scan_by_key_implILNS1_25lookback_scan_determinismE0ELb1ES3_N6thrust23THRUST_200600_302600_NS6detail15normal_iteratorINS9_10device_ptrIiEEEENSB_INSC_IdEEEESG_dNS9_4plusIvEENS9_8equal_toIvEEdEE10hipError_tPvRmT2_T3_T4_T5_mT6_T7_P12ihipStream_tbENKUlT_T0_E_clISt17integral_constantIbLb0EES10_IbLb1EEEEDaSW_SX_EUlSW_E_NS1_11comp_targetILNS1_3genE8ELNS1_11target_archE1030ELNS1_3gpuE2ELNS1_3repE0EEENS1_30default_config_static_selectorELNS0_4arch9wavefront6targetE0EEEvT1_.has_recursion, 0
	.set _ZN7rocprim17ROCPRIM_400000_NS6detail17trampoline_kernelINS0_14default_configENS1_27scan_by_key_config_selectorIidEEZZNS1_16scan_by_key_implILNS1_25lookback_scan_determinismE0ELb1ES3_N6thrust23THRUST_200600_302600_NS6detail15normal_iteratorINS9_10device_ptrIiEEEENSB_INSC_IdEEEESG_dNS9_4plusIvEENS9_8equal_toIvEEdEE10hipError_tPvRmT2_T3_T4_T5_mT6_T7_P12ihipStream_tbENKUlT_T0_E_clISt17integral_constantIbLb0EES10_IbLb1EEEEDaSW_SX_EUlSW_E_NS1_11comp_targetILNS1_3genE8ELNS1_11target_archE1030ELNS1_3gpuE2ELNS1_3repE0EEENS1_30default_config_static_selectorELNS0_4arch9wavefront6targetE0EEEvT1_.has_indirect_call, 0
	.section	.AMDGPU.csdata,"",@progbits
; Kernel info:
; codeLenInByte = 0
; TotalNumSgprs: 0
; NumVgprs: 0
; ScratchSize: 0
; MemoryBound: 0
; FloatMode: 240
; IeeeMode: 1
; LDSByteSize: 0 bytes/workgroup (compile time only)
; SGPRBlocks: 0
; VGPRBlocks: 0
; NumSGPRsForWavesPerEU: 1
; NumVGPRsForWavesPerEU: 1
; NamedBarCnt: 0
; Occupancy: 16
; WaveLimiterHint : 0
; COMPUTE_PGM_RSRC2:SCRATCH_EN: 0
; COMPUTE_PGM_RSRC2:USER_SGPR: 2
; COMPUTE_PGM_RSRC2:TRAP_HANDLER: 0
; COMPUTE_PGM_RSRC2:TGID_X_EN: 1
; COMPUTE_PGM_RSRC2:TGID_Y_EN: 0
; COMPUTE_PGM_RSRC2:TGID_Z_EN: 0
; COMPUTE_PGM_RSRC2:TIDIG_COMP_CNT: 0
	.section	.text._ZN7rocprim17ROCPRIM_400000_NS6detail17trampoline_kernelINS0_14default_configENS1_27scan_by_key_config_selectorIifEEZZNS1_16scan_by_key_implILNS1_25lookback_scan_determinismE0ELb1ES3_N6thrust23THRUST_200600_302600_NS6detail15normal_iteratorINS9_10device_ptrIiEEEENSB_INSC_IfEEEESG_fNS9_4plusIvEENS9_8equal_toIvEEfEE10hipError_tPvRmT2_T3_T4_T5_mT6_T7_P12ihipStream_tbENKUlT_T0_E_clISt17integral_constantIbLb0EES11_EEDaSW_SX_EUlSW_E_NS1_11comp_targetILNS1_3genE0ELNS1_11target_archE4294967295ELNS1_3gpuE0ELNS1_3repE0EEENS1_30default_config_static_selectorELNS0_4arch9wavefront6targetE0EEEvT1_,"axG",@progbits,_ZN7rocprim17ROCPRIM_400000_NS6detail17trampoline_kernelINS0_14default_configENS1_27scan_by_key_config_selectorIifEEZZNS1_16scan_by_key_implILNS1_25lookback_scan_determinismE0ELb1ES3_N6thrust23THRUST_200600_302600_NS6detail15normal_iteratorINS9_10device_ptrIiEEEENSB_INSC_IfEEEESG_fNS9_4plusIvEENS9_8equal_toIvEEfEE10hipError_tPvRmT2_T3_T4_T5_mT6_T7_P12ihipStream_tbENKUlT_T0_E_clISt17integral_constantIbLb0EES11_EEDaSW_SX_EUlSW_E_NS1_11comp_targetILNS1_3genE0ELNS1_11target_archE4294967295ELNS1_3gpuE0ELNS1_3repE0EEENS1_30default_config_static_selectorELNS0_4arch9wavefront6targetE0EEEvT1_,comdat
	.protected	_ZN7rocprim17ROCPRIM_400000_NS6detail17trampoline_kernelINS0_14default_configENS1_27scan_by_key_config_selectorIifEEZZNS1_16scan_by_key_implILNS1_25lookback_scan_determinismE0ELb1ES3_N6thrust23THRUST_200600_302600_NS6detail15normal_iteratorINS9_10device_ptrIiEEEENSB_INSC_IfEEEESG_fNS9_4plusIvEENS9_8equal_toIvEEfEE10hipError_tPvRmT2_T3_T4_T5_mT6_T7_P12ihipStream_tbENKUlT_T0_E_clISt17integral_constantIbLb0EES11_EEDaSW_SX_EUlSW_E_NS1_11comp_targetILNS1_3genE0ELNS1_11target_archE4294967295ELNS1_3gpuE0ELNS1_3repE0EEENS1_30default_config_static_selectorELNS0_4arch9wavefront6targetE0EEEvT1_ ; -- Begin function _ZN7rocprim17ROCPRIM_400000_NS6detail17trampoline_kernelINS0_14default_configENS1_27scan_by_key_config_selectorIifEEZZNS1_16scan_by_key_implILNS1_25lookback_scan_determinismE0ELb1ES3_N6thrust23THRUST_200600_302600_NS6detail15normal_iteratorINS9_10device_ptrIiEEEENSB_INSC_IfEEEESG_fNS9_4plusIvEENS9_8equal_toIvEEfEE10hipError_tPvRmT2_T3_T4_T5_mT6_T7_P12ihipStream_tbENKUlT_T0_E_clISt17integral_constantIbLb0EES11_EEDaSW_SX_EUlSW_E_NS1_11comp_targetILNS1_3genE0ELNS1_11target_archE4294967295ELNS1_3gpuE0ELNS1_3repE0EEENS1_30default_config_static_selectorELNS0_4arch9wavefront6targetE0EEEvT1_
	.globl	_ZN7rocprim17ROCPRIM_400000_NS6detail17trampoline_kernelINS0_14default_configENS1_27scan_by_key_config_selectorIifEEZZNS1_16scan_by_key_implILNS1_25lookback_scan_determinismE0ELb1ES3_N6thrust23THRUST_200600_302600_NS6detail15normal_iteratorINS9_10device_ptrIiEEEENSB_INSC_IfEEEESG_fNS9_4plusIvEENS9_8equal_toIvEEfEE10hipError_tPvRmT2_T3_T4_T5_mT6_T7_P12ihipStream_tbENKUlT_T0_E_clISt17integral_constantIbLb0EES11_EEDaSW_SX_EUlSW_E_NS1_11comp_targetILNS1_3genE0ELNS1_11target_archE4294967295ELNS1_3gpuE0ELNS1_3repE0EEENS1_30default_config_static_selectorELNS0_4arch9wavefront6targetE0EEEvT1_
	.p2align	8
	.type	_ZN7rocprim17ROCPRIM_400000_NS6detail17trampoline_kernelINS0_14default_configENS1_27scan_by_key_config_selectorIifEEZZNS1_16scan_by_key_implILNS1_25lookback_scan_determinismE0ELb1ES3_N6thrust23THRUST_200600_302600_NS6detail15normal_iteratorINS9_10device_ptrIiEEEENSB_INSC_IfEEEESG_fNS9_4plusIvEENS9_8equal_toIvEEfEE10hipError_tPvRmT2_T3_T4_T5_mT6_T7_P12ihipStream_tbENKUlT_T0_E_clISt17integral_constantIbLb0EES11_EEDaSW_SX_EUlSW_E_NS1_11comp_targetILNS1_3genE0ELNS1_11target_archE4294967295ELNS1_3gpuE0ELNS1_3repE0EEENS1_30default_config_static_selectorELNS0_4arch9wavefront6targetE0EEEvT1_,@function
_ZN7rocprim17ROCPRIM_400000_NS6detail17trampoline_kernelINS0_14default_configENS1_27scan_by_key_config_selectorIifEEZZNS1_16scan_by_key_implILNS1_25lookback_scan_determinismE0ELb1ES3_N6thrust23THRUST_200600_302600_NS6detail15normal_iteratorINS9_10device_ptrIiEEEENSB_INSC_IfEEEESG_fNS9_4plusIvEENS9_8equal_toIvEEfEE10hipError_tPvRmT2_T3_T4_T5_mT6_T7_P12ihipStream_tbENKUlT_T0_E_clISt17integral_constantIbLb0EES11_EEDaSW_SX_EUlSW_E_NS1_11comp_targetILNS1_3genE0ELNS1_11target_archE4294967295ELNS1_3gpuE0ELNS1_3repE0EEENS1_30default_config_static_selectorELNS0_4arch9wavefront6targetE0EEEvT1_: ; @_ZN7rocprim17ROCPRIM_400000_NS6detail17trampoline_kernelINS0_14default_configENS1_27scan_by_key_config_selectorIifEEZZNS1_16scan_by_key_implILNS1_25lookback_scan_determinismE0ELb1ES3_N6thrust23THRUST_200600_302600_NS6detail15normal_iteratorINS9_10device_ptrIiEEEENSB_INSC_IfEEEESG_fNS9_4plusIvEENS9_8equal_toIvEEfEE10hipError_tPvRmT2_T3_T4_T5_mT6_T7_P12ihipStream_tbENKUlT_T0_E_clISt17integral_constantIbLb0EES11_EEDaSW_SX_EUlSW_E_NS1_11comp_targetILNS1_3genE0ELNS1_11target_archE4294967295ELNS1_3gpuE0ELNS1_3repE0EEENS1_30default_config_static_selectorELNS0_4arch9wavefront6targetE0EEEvT1_
; %bb.0:
	s_clause 0x2
	s_load_b96 s[24:26], s[0:1], 0x38
	s_load_b256 s[8:15], s[0:1], 0x0
	s_load_b128 s[20:23], s[0:1], 0x48
	s_bfe_u32 s4, ttmp6, 0x4000c
	s_delay_alu instid0(SALU_CYCLE_1)
	s_add_co_i32 s4, s4, 1
	s_clause 0x1
	s_load_b32 s33, s[0:1], 0x20
	s_load_b128 s[16:19], s[0:1], 0x28
	s_and_b32 s2, ttmp6, 15
	s_wait_xcnt 0x0
	s_mul_i32 s0, ttmp9, s4
	s_getreg_b32 s5, hwreg(HW_REG_IB_STS2, 6, 4)
	s_add_co_i32 s6, s2, s0
	s_mov_b32 s3, 0
	s_barrier_signal -1
	s_mov_b32 s29, s3
	s_barrier_wait -1
	s_wait_kmcnt 0x0
	s_mov_b32 s2, s26
	s_lshl_b64 s[26:27], s[10:11], 2
	s_cmp_eq_u32 s5, 0
	s_mul_u64 s[4:5], s[24:25], s[2:3]
	s_cselect_b32 s28, ttmp9, s6
	s_add_nc_u64 s[0:1], s[8:9], s[26:27]
	s_add_nc_u64 s[4:5], s[4:5], s[28:29]
	s_add_nc_u64 s[8:9], s[20:21], -1
	s_mul_i32 s2, s28, 0xc00
	v_cmp_ge_u64_e64 s19, s[4:5], s[8:9]
	s_add_nc_u64 s[6:7], s[12:13], s[26:27]
	s_lshl_b64 s[20:21], s[2:3], 2
	s_mul_i32 s29, s8, 0xfffff400
	s_add_nc_u64 s[30:31], s[0:1], s[20:21]
	s_add_nc_u64 s[12:13], s[6:7], s[20:21]
	s_and_b32 vcc_lo, exec_lo, s19
	s_cbranch_vccz .LBB1427_66
; %bb.1:
	v_mov_b32_e32 v1, 0
	s_add_co_i32 s37, s29, s18
	s_delay_alu instid0(SALU_CYCLE_1)
	v_cmp_gt_u32_e32 vcc_lo, s37, v0
	flat_load_b32 v2, v1, s[30:31]
	s_wait_loadcnt_dscnt 0x0
	v_mov_b32_e32 v3, v2
	s_and_saveexec_b32 s0, vcc_lo
	s_cbranch_execz .LBB1427_3
; %bb.2:
	flat_load_b32 v3, v0, s[30:31] scale_offset
.LBB1427_3:
	s_wait_xcnt 0x0
	s_or_b32 exec_lo, exec_lo, s0
	v_or_b32_e32 v1, 0x100, v0
	v_mov_b32_e32 v4, v2
	s_delay_alu instid0(VALU_DEP_2)
	v_cmp_gt_u32_e64 s0, s37, v1
	s_and_saveexec_b32 s1, s0
	s_cbranch_execz .LBB1427_5
; %bb.4:
	flat_load_b32 v4, v0, s[30:31] offset:1024 scale_offset
.LBB1427_5:
	s_wait_xcnt 0x0
	s_or_b32 exec_lo, exec_lo, s1
	v_or_b32_e32 v1, 0x200, v0
	v_mov_b32_e32 v5, v2
	s_delay_alu instid0(VALU_DEP_2)
	v_cmp_gt_u32_e64 s1, s37, v1
	s_and_saveexec_b32 s2, s1
	s_cbranch_execz .LBB1427_7
; %bb.6:
	flat_load_b32 v5, v0, s[30:31] offset:2048 scale_offset
.LBB1427_7:
	;; [unrolled: 11-line block ×10, first 2 shown]
	s_wait_xcnt 0x0
	s_or_b32 exec_lo, exec_lo, s10
	v_or_b32_e32 v1, 0xb00, v0
	s_delay_alu instid0(VALU_DEP_1) | instskip(SKIP_2) | instid1(SALU_CYCLE_1)
	v_cmp_gt_u32_e64 s10, s37, v1
	v_cmp_le_u32_e64 s11, s37, v1
	s_and_saveexec_b32 s34, s11
	s_xor_b32 s11, exec_lo, s34
	s_delay_alu instid0(SALU_CYCLE_1)
	s_and_not1_saveexec_b32 s11, s11
	s_cbranch_execz .LBB1427_25
; %bb.24:
	flat_load_b32 v2, v0, s[30:31] offset:11264 scale_offset
.LBB1427_25:
	s_wait_xcnt 0x0
	s_or_b32 exec_lo, exec_lo, s11
	v_lshlrev_b32_e32 v1, 2, v0
	s_mov_b32 s34, exec_lo
	s_wait_loadcnt_dscnt 0x0
	ds_store_2addr_stride64_b32 v1, v3, v4 offset1:4
	ds_store_2addr_stride64_b32 v1, v5, v6 offset0:8 offset1:12
	ds_store_2addr_stride64_b32 v1, v7, v8 offset0:16 offset1:20
	;; [unrolled: 1-line block ×5, first 2 shown]
	v_mov_b32_e32 v2, 0
	s_wait_dscnt 0x0
	s_barrier_signal -1
	s_barrier_wait -1
	flat_load_b32 v54, v2, s[30:31]
	v_mad_u32_u24 v31, v0, 44, v1
	ds_load_b128 v[10:13], v31
	ds_load_b128 v[6:9], v31 offset:16
	s_wait_xcnt 0x0
	ds_load_b128 v[2:5], v31 offset:32
	v_mad_i32_i24 v14, 0xffffffd4, v0, v31
	s_wait_dscnt 0x2
	ds_store_b32 v14, v10 offset:13312
	s_wait_loadcnt_dscnt 0x0
	s_barrier_signal -1
	s_barrier_wait -1
	v_cmpx_ne_u32_e32 0xff, v0
; %bb.26:
	v_mul_i32_i24_e32 v14, 0xffffffd4, v0
	s_delay_alu instid0(VALU_DEP_1)
	v_add_nc_u32_e32 v14, v31, v14
	ds_load_b32 v54, v14 offset:13316
; %bb.27:
	s_or_b32 exec_lo, exec_lo, s34
	s_wait_dscnt 0x0
	s_barrier_signal -1
	s_barrier_wait -1
                                        ; implicit-def: $vgpr14
	s_and_saveexec_b32 s11, vcc_lo
	s_cbranch_execz .LBB1427_122
; %bb.28:
	flat_load_b32 v14, v0, s[12:13] scale_offset
	s_wait_xcnt 0x0
	s_or_b32 exec_lo, exec_lo, s11
                                        ; implicit-def: $vgpr15
	s_and_saveexec_b32 s11, s0
	s_cbranch_execnz .LBB1427_123
.LBB1427_29:
	s_or_b32 exec_lo, exec_lo, s11
                                        ; implicit-def: $vgpr16
	s_and_saveexec_b32 s0, s1
	s_cbranch_execz .LBB1427_124
.LBB1427_30:
	flat_load_b32 v16, v0, s[12:13] offset:2048 scale_offset
	s_wait_xcnt 0x0
	s_or_b32 exec_lo, exec_lo, s0
                                        ; implicit-def: $vgpr17
	s_and_saveexec_b32 s0, s2
	s_cbranch_execnz .LBB1427_125
.LBB1427_31:
	s_or_b32 exec_lo, exec_lo, s0
                                        ; implicit-def: $vgpr18
	s_and_saveexec_b32 s0, s3
	s_cbranch_execz .LBB1427_126
.LBB1427_32:
	flat_load_b32 v18, v0, s[12:13] offset:4096 scale_offset
	s_wait_xcnt 0x0
	s_or_b32 exec_lo, exec_lo, s0
                                        ; implicit-def: $vgpr19
	s_and_saveexec_b32 s0, s4
	s_cbranch_execnz .LBB1427_127
.LBB1427_33:
	s_or_b32 exec_lo, exec_lo, s0
                                        ; implicit-def: $vgpr20
	s_and_saveexec_b32 s0, s5
	s_cbranch_execz .LBB1427_128
.LBB1427_34:
	flat_load_b32 v20, v0, s[12:13] offset:6144 scale_offset
	s_wait_xcnt 0x0
	s_or_b32 exec_lo, exec_lo, s0
                                        ; implicit-def: $vgpr21
	s_and_saveexec_b32 s0, s6
	s_cbranch_execnz .LBB1427_129
.LBB1427_35:
	s_or_b32 exec_lo, exec_lo, s0
                                        ; implicit-def: $vgpr22
	s_and_saveexec_b32 s0, s7
	s_cbranch_execz .LBB1427_130
.LBB1427_36:
	flat_load_b32 v22, v0, s[12:13] offset:8192 scale_offset
	s_wait_xcnt 0x0
	s_or_b32 exec_lo, exec_lo, s0
                                        ; implicit-def: $vgpr23
	s_and_saveexec_b32 s0, s8
	s_cbranch_execnz .LBB1427_131
.LBB1427_37:
	s_or_b32 exec_lo, exec_lo, s0
                                        ; implicit-def: $vgpr24
	s_and_saveexec_b32 s0, s9
	s_cbranch_execz .LBB1427_39
.LBB1427_38:
	flat_load_b32 v24, v0, s[12:13] offset:10240 scale_offset
.LBB1427_39:
	s_wait_xcnt 0x0
	s_or_b32 exec_lo, exec_lo, s0
	v_mul_u32_u24_e32 v60, 12, v0
                                        ; implicit-def: $vgpr25
	s_and_saveexec_b32 s0, s10
	s_cbranch_execz .LBB1427_41
; %bb.40:
	flat_load_b32 v25, v0, s[12:13] offset:11264 scale_offset
.LBB1427_41:
	s_wait_xcnt 0x0
	s_or_b32 exec_lo, exec_lo, s0
	s_wait_loadcnt_dscnt 0x0
	ds_store_2addr_stride64_b32 v1, v14, v15 offset1:4
	ds_store_2addr_stride64_b32 v1, v16, v17 offset0:8 offset1:12
	ds_store_2addr_stride64_b32 v1, v18, v19 offset0:16 offset1:20
	;; [unrolled: 1-line block ×5, first 2 shown]
	v_cmp_gt_u32_e32 vcc_lo, s37, v60
	v_dual_mov_b32 v32, 0 :: v_dual_mov_b32 v58, 0
	v_dual_mov_b32 v30, 0 :: v_dual_mov_b32 v59, 0
	v_dual_mov_b32 v33, 0 :: v_dual_mov_b32 v34, 0
	v_dual_mov_b32 v56, 0 :: v_dual_mov_b32 v36, 0
	v_dual_mov_b32 v35, 0 :: v_dual_mov_b32 v57, 0
	v_dual_mov_b32 v38, 0 :: v_dual_mov_b32 v37, 0
	v_dual_mov_b32 v51, 0 :: v_dual_mov_b32 v40, 0
	v_dual_mov_b32 v39, 0 :: v_dual_mov_b32 v53, 0
	v_dual_mov_b32 v42, 0 :: v_dual_mov_b32 v41, 0
	v_dual_mov_b32 v45, 0 :: v_dual_mov_b32 v44, 0
	v_dual_mov_b32 v43, 0 :: v_dual_mov_b32 v46, 0
	v_dual_mov_b32 v21, 0 :: v_dual_mov_b32 v16, 0
	v_dual_mov_b32 v48, 0 :: v_dual_mov_b32 v27, 0
	v_dual_mov_b32 v1, 0 :: v_dual_mov_b32 v47, 0
	v_dual_mov_b32 v29, 0 :: v_dual_mov_b32 v17, 0
	v_dual_mov_b32 v24, 0 :: v_dual_mov_b32 v15, 0
	v_dual_mov_b32 v18, 0 :: v_dual_mov_b32 v26, 0
	v_dual_mov_b32 v28, 0 :: v_dual_mov_b32 v19, 0
	v_dual_mov_b32 v49, 0 :: v_dual_mov_b32 v25, 0
	v_dual_mov_b32 v20, 0 :: v_dual_mov_b32 v50, 0
	v_dual_mov_b32 v55, 0 :: v_dual_mov_b32 v22, 0
	v_dual_mov_b32 v52, 0 :: v_dual_mov_b32 v23, 0
	s_mov_b32 s11, 0
	s_mov_b32 s3, 0
	s_wait_dscnt 0x0
	s_barrier_signal -1
	s_barrier_wait -1
                                        ; implicit-def: $sgpr34
	s_and_saveexec_b32 s35, vcc_lo
	s_cbranch_execz .LBB1427_65
; %bb.42:
	ds_load_b32 v27, v31
	v_dual_mov_b32 v30, 0 :: v_dual_bitop2_b32 v1, 1, v60 bitop3:0x54
	v_dual_mov_b32 v32, 0 :: v_dual_mov_b32 v33, 0
	v_dual_mov_b32 v34, 0 :: v_dual_mov_b32 v56, 0
	s_delay_alu instid0(VALU_DEP_3)
	v_cmp_gt_u32_e64 s0, s37, v1
	v_dual_mov_b32 v36, 0 :: v_dual_mov_b32 v35, 0
	v_dual_mov_b32 v57, 0 :: v_dual_mov_b32 v38, 0
	;; [unrolled: 1-line block ×18, first 2 shown]
	s_mov_b32 s1, 0
	v_cmp_ne_u32_e32 vcc_lo, v10, v11
                                        ; implicit-def: $sgpr34
	s_and_saveexec_b32 s36, s0
	s_cbranch_execz .LBB1427_64
; %bb.43:
	ds_load_2addr_b32 v[14:15], v31 offset0:1 offset1:2
	v_dual_mov_b32 v30, 0 :: v_dual_bitop2_b32 v1, 2, v60 bitop3:0x54
	v_cmp_ne_u32_e64 s0, v11, v12
	v_dual_mov_b32 v32, 0 :: v_dual_mov_b32 v33, 0
	s_delay_alu instid0(VALU_DEP_3)
	v_cmp_gt_u32_e64 s1, s37, v1
	v_dual_mov_b32 v34, 0 :: v_dual_mov_b32 v36, 0
	v_dual_mov_b32 v35, 0 :: v_dual_mov_b32 v38, 0
	;; [unrolled: 1-line block ×17, first 2 shown]
	s_mov_b32 s2, 0
                                        ; implicit-def: $sgpr34
	s_and_saveexec_b32 s38, s1
	s_cbranch_execz .LBB1427_63
; %bb.44:
	v_dual_mov_b32 v30, 0 :: v_dual_bitop2_b32 v1, 3, v60 bitop3:0x54
	v_cmp_ne_u32_e64 s1, v12, v13
	v_dual_mov_b32 v32, 0 :: v_dual_mov_b32 v33, 0
	s_delay_alu instid0(VALU_DEP_3)
	v_cmp_gt_u32_e64 s2, s37, v1
	v_dual_mov_b32 v34, 0 :: v_dual_mov_b32 v36, 0
	v_dual_mov_b32 v35, 0 :: v_dual_mov_b32 v38, 0
	;; [unrolled: 1-line block ×15, first 2 shown]
                                        ; implicit-def: $sgpr34
	s_and_saveexec_b32 s39, s2
	s_cbranch_execz .LBB1427_62
; %bb.45:
	ds_load_2addr_b32 v[10:11], v31 offset0:3 offset1:4
	v_dual_mov_b32 v30, 0 :: v_dual_add_nc_u32 v1, 4, v60
	v_cmp_ne_u32_e64 s2, v13, v6
	v_dual_mov_b32 v32, 0 :: v_dual_mov_b32 v33, 0
	s_delay_alu instid0(VALU_DEP_3)
	v_cmp_gt_u32_e64 s3, s37, v1
	v_dual_mov_b32 v34, 0 :: v_dual_mov_b32 v36, 0
	v_dual_mov_b32 v35, 0 :: v_dual_mov_b32 v38, 0
	;; [unrolled: 1-line block ×13, first 2 shown]
	s_mov_b32 s4, 0
                                        ; implicit-def: $sgpr34
	s_and_saveexec_b32 s40, s3
	s_cbranch_execz .LBB1427_61
; %bb.46:
	v_dual_mov_b32 v30, 0 :: v_dual_add_nc_u32 v1, 5, v60
	v_cmp_ne_u32_e64 s3, v6, v7
	v_dual_mov_b32 v32, 0 :: v_dual_mov_b32 v33, 0
	s_delay_alu instid0(VALU_DEP_3)
	v_cmp_gt_u32_e64 s4, s37, v1
	v_dual_mov_b32 v34, 0 :: v_dual_mov_b32 v36, 0
	v_dual_mov_b32 v35, 0 :: v_dual_mov_b32 v38, 0
	v_dual_mov_b32 v37, 0 :: v_dual_mov_b32 v40, 0
	v_dual_mov_b32 v39, 0 :: v_dual_mov_b32 v42, 0
	v_dual_mov_b32 v41, 0 :: v_dual_mov_b32 v21, 0
	v_dual_mov_b32 v16, 0 :: v_dual_mov_b32 v48, 0
	v_dual_mov_b32 v1, 0 :: v_dual_mov_b32 v47, 0
	v_dual_mov_b32 v17, 0 :: v_dual_mov_b32 v24, 0
	v_dual_mov_b32 v18, 0 :: v_dual_mov_b32 v26, 0
	v_dual_mov_b32 v19, 0 :: v_dual_mov_b32 v49, 0
	v_dual_mov_b32 v20, 0 :: v_dual_mov_b32 v50, 0
	s_mov_b32 s5, 0
                                        ; implicit-def: $sgpr34
	s_and_saveexec_b32 s41, s4
	s_cbranch_execz .LBB1427_60
; %bb.47:
	ds_load_2addr_b32 v[12:13], v31 offset0:5 offset1:6
	v_dual_mov_b32 v30, 0 :: v_dual_add_nc_u32 v1, 6, v60
	v_cmp_ne_u32_e64 s4, v7, v8
	v_dual_mov_b32 v32, 0 :: v_dual_mov_b32 v33, 0
	s_delay_alu instid0(VALU_DEP_3)
	v_cmp_gt_u32_e64 s5, s37, v1
	v_dual_mov_b32 v34, 0 :: v_dual_mov_b32 v36, 0
	v_dual_mov_b32 v35, 0 :: v_dual_mov_b32 v38, 0
	;; [unrolled: 1-line block ×9, first 2 shown]
	s_mov_b32 s6, 0
                                        ; implicit-def: $sgpr34
	s_and_saveexec_b32 s42, s5
	s_cbranch_execz .LBB1427_59
; %bb.48:
	v_dual_mov_b32 v30, 0 :: v_dual_add_nc_u32 v1, 7, v60
	v_cmp_ne_u32_e64 s5, v8, v9
	v_dual_mov_b32 v32, 0 :: v_dual_mov_b32 v33, 0
	s_delay_alu instid0(VALU_DEP_3)
	v_cmp_gt_u32_e64 s6, s37, v1
	v_dual_mov_b32 v34, 0 :: v_dual_mov_b32 v36, 0
	v_dual_mov_b32 v35, 0 :: v_dual_mov_b32 v38, 0
	;; [unrolled: 1-line block ×7, first 2 shown]
	s_mov_b32 s7, 0
                                        ; implicit-def: $sgpr34
	s_and_saveexec_b32 s43, s6
	s_cbranch_execz .LBB1427_58
; %bb.49:
	ds_load_2addr_b32 v[6:7], v31 offset0:7 offset1:8
	v_dual_mov_b32 v30, 0 :: v_dual_add_nc_u32 v1, 8, v60
	v_cmp_ne_u32_e64 s6, v9, v2
	v_dual_mov_b32 v32, 0 :: v_dual_mov_b32 v33, 0
	s_delay_alu instid0(VALU_DEP_3)
	v_cmp_gt_u32_e64 s7, s37, v1
	v_dual_mov_b32 v34, 0 :: v_dual_mov_b32 v36, 0
	v_dual_mov_b32 v35, 0 :: v_dual_mov_b32 v21, 0
	;; [unrolled: 1-line block ×5, first 2 shown]
	s_mov_b32 s8, 0
                                        ; implicit-def: $sgpr34
	s_and_saveexec_b32 s44, s7
	s_cbranch_execz .LBB1427_57
; %bb.50:
	v_dual_mov_b32 v30, 0 :: v_dual_add_nc_u32 v1, 9, v60
	v_cmp_ne_u32_e64 s7, v2, v3
	v_dual_mov_b32 v32, 0 :: v_dual_mov_b32 v33, 0
	s_delay_alu instid0(VALU_DEP_3)
	v_cmp_gt_u32_e64 s8, s37, v1
	v_dual_mov_b32 v34, 0 :: v_dual_mov_b32 v21, 0
	v_dual_mov_b32 v1, 0 :: v_dual_mov_b32 v47, 0
	s_mov_b32 s9, 0
                                        ; implicit-def: $sgpr34
	s_and_saveexec_b32 s45, s8
	s_cbranch_execz .LBB1427_56
; %bb.51:
	ds_load_2addr_b32 v[8:9], v31 offset0:9 offset1:10
	v_dual_mov_b32 v30, 0 :: v_dual_add_nc_u32 v1, 10, v60
	v_cmp_ne_u32_e64 s8, v3, v4
	v_dual_mov_b32 v32, 0 :: v_dual_mov_b32 v21, 0
	s_mov_b32 s10, 0
	s_mov_b32 s46, exec_lo
                                        ; implicit-def: $sgpr34
	v_cmpx_gt_u32_e64 s37, v1
	s_cbranch_execz .LBB1427_55
; %bb.52:
	v_dual_add_nc_u32 v1, 11, v60 :: v_dual_mov_b32 v21, 0
	v_cmp_ne_u32_e64 s9, v4, v5
                                        ; implicit-def: $sgpr34
	s_delay_alu instid0(VALU_DEP_2) | instskip(SKIP_2) | instid1(SALU_CYCLE_1)
	v_cmp_gt_u32_e64 s10, s37, v1
	s_mov_b32 s37, 0
	s_and_saveexec_b32 s47, s10
	s_xor_b32 s10, exec_lo, s47
	s_cbranch_execz .LBB1427_54
; %bb.53:
	ds_load_b32 v1, v31 offset:44
	v_cmp_ne_u32_e64 s34, v5, v54
	s_mov_b32 s37, exec_lo
	s_wait_dscnt 0x0
	v_cndmask_b32_e64 v21, v1, s33, s34
.LBB1427_54:
	s_or_b32 exec_lo, exec_lo, s10
	v_cndmask_b32_e64 v30, 0, 1, s9
	s_wait_dscnt 0x0
	v_cndmask_b32_e64 v32, v9, s33, s9
	s_and_b32 s10, s37, exec_lo
.LBB1427_55:
	s_or_b32 exec_lo, exec_lo, s46
	s_wait_dscnt 0x0
	v_cndmask_b32_e64 v33, v8, s33, s8
	v_cndmask_b32_e64 v34, 0, 1, s8
	s_and_b32 s9, s10, exec_lo
	s_delay_alu instid0(VALU_DEP_1)
	v_dual_mov_b32 v1, v33 :: v_dual_mov_b32 v47, v34
.LBB1427_56:
	s_or_b32 exec_lo, exec_lo, s45
	s_wait_dscnt 0x0
	v_cndmask_b32_e64 v36, v7, s33, s7
	v_cndmask_b32_e64 v35, 0, 1, s7
	v_dual_mov_b32 v16, v32 :: v_dual_mov_b32 v48, v30
	s_and_b32 s8, s9, exec_lo
	s_delay_alu instid0(VALU_DEP_2)
	v_dual_mov_b32 v17, v36 :: v_dual_mov_b32 v24, v35
.LBB1427_57:
	s_or_b32 exec_lo, exec_lo, s44
	s_wait_dscnt 0x0
	v_cndmask_b32_e64 v38, v6, s33, s6
	v_cndmask_b32_e64 v37, 0, 1, s6
	s_and_b32 s7, s8, exec_lo
	s_delay_alu instid0(VALU_DEP_1)
	v_dual_mov_b32 v18, v38 :: v_dual_mov_b32 v26, v37
.LBB1427_58:
	s_or_b32 exec_lo, exec_lo, s43
	s_wait_dscnt 0x0
	v_cndmask_b32_e64 v40, v13, s33, s5
	v_cndmask_b32_e64 v39, 0, 1, s5
	s_and_b32 s6, s7, exec_lo
	s_delay_alu instid0(VALU_DEP_1)
	v_dual_mov_b32 v19, v40 :: v_dual_mov_b32 v49, v39
.LBB1427_59:
	s_or_b32 exec_lo, exec_lo, s42
	s_wait_dscnt 0x0
	v_cndmask_b32_e64 v42, v12, s33, s4
	v_cndmask_b32_e64 v41, 0, 1, s4
	s_and_b32 s5, s6, exec_lo
	s_delay_alu instid0(VALU_DEP_1)
	v_dual_mov_b32 v20, v42 :: v_dual_mov_b32 v50, v41
.LBB1427_60:
	s_or_b32 exec_lo, exec_lo, s41
	s_wait_dscnt 0x0
	v_cndmask_b32_e64 v44, v11, s33, s3
	v_cndmask_b32_e64 v43, 0, 1, s3
	s_and_b32 s4, s5, exec_lo
	s_delay_alu instid0(VALU_DEP_1)
	v_dual_mov_b32 v22, v44 :: v_dual_mov_b32 v52, v43
.LBB1427_61:
	s_or_b32 exec_lo, exec_lo, s40
	v_cndmask_b32_e64 v45, 0, 1, s2
	s_wait_dscnt 0x0
	v_cndmask_b32_e64 v46, v10, s33, s2
	s_and_b32 s3, s4, exec_lo
	s_delay_alu instid0(VALU_DEP_1)
	v_dual_mov_b32 v55, v45 :: v_dual_mov_b32 v23, v46
.LBB1427_62:
	s_or_b32 exec_lo, exec_lo, s39
	v_cndmask_b32_e64 v51, 0, 1, s1
	s_wait_dscnt 0x0
	v_cndmask_b32_e64 v53, v15, s33, s1
	s_and_b32 s2, s3, exec_lo
	s_delay_alu instid0(VALU_DEP_1)
	v_dual_mov_b32 v28, v51 :: v_dual_mov_b32 v25, v53
.LBB1427_63:
	s_or_b32 exec_lo, exec_lo, s38
	v_cndmask_b32_e64 v56, 0, 1, s0
	s_wait_dscnt 0x0
	v_cndmask_b32_e64 v57, v14, s33, s0
	s_and_b32 s1, s2, exec_lo
	s_delay_alu instid0(VALU_DEP_1)
	v_dual_mov_b32 v29, v56 :: v_dual_mov_b32 v15, v57
.LBB1427_64:
	s_or_b32 exec_lo, exec_lo, s36
	s_wait_dscnt 0x0
	v_cndmask_b32_e64 v59, v27, s33, vcc_lo
	v_cndmask_b32_e64 v58, 0, 1, vcc_lo
	s_and_b32 s3, s1, exec_lo
	s_delay_alu instid0(VALU_DEP_2)
	v_mov_b32_e32 v27, v59
.LBB1427_65:
	s_or_b32 exec_lo, exec_lo, s35
	v_lshlrev_b32_e32 v14, 2, v0
	s_and_b32 vcc_lo, exec_lo, s11
	s_cbranch_vccnz .LBB1427_67
	s_branch .LBB1427_72
.LBB1427_66:
                                        ; implicit-def: $sgpr34
                                        ; implicit-def: $vgpr58
                                        ; implicit-def: $vgpr32
                                        ; implicit-def: $vgpr30
                                        ; implicit-def: $vgpr59
                                        ; implicit-def: $vgpr33
                                        ; implicit-def: $vgpr34
                                        ; implicit-def: $vgpr56
                                        ; implicit-def: $vgpr36
                                        ; implicit-def: $vgpr35
                                        ; implicit-def: $vgpr57
                                        ; implicit-def: $vgpr38
                                        ; implicit-def: $vgpr37
                                        ; implicit-def: $vgpr51
                                        ; implicit-def: $vgpr40
                                        ; implicit-def: $vgpr39
                                        ; implicit-def: $vgpr53
                                        ; implicit-def: $vgpr42
                                        ; implicit-def: $vgpr41
                                        ; implicit-def: $vgpr45
                                        ; implicit-def: $vgpr44
                                        ; implicit-def: $vgpr43
                                        ; implicit-def: $vgpr46
                                        ; implicit-def: $vgpr21
                                        ; implicit-def: $vgpr16
                                        ; implicit-def: $vgpr48
                                        ; implicit-def: $vgpr27
                                        ; implicit-def: $vgpr1
                                        ; implicit-def: $vgpr47
                                        ; implicit-def: $vgpr29
                                        ; implicit-def: $vgpr17
                                        ; implicit-def: $vgpr24
                                        ; implicit-def: $vgpr15
                                        ; implicit-def: $vgpr18
                                        ; implicit-def: $vgpr26
                                        ; implicit-def: $vgpr28
                                        ; implicit-def: $vgpr19
                                        ; implicit-def: $vgpr49
                                        ; implicit-def: $vgpr25
                                        ; implicit-def: $vgpr20
                                        ; implicit-def: $vgpr50
                                        ; implicit-def: $vgpr55
                                        ; implicit-def: $vgpr22
                                        ; implicit-def: $vgpr52
                                        ; implicit-def: $vgpr23
	v_lshlrev_b32_e32 v14, 2, v0
	s_cbranch_execz .LBB1427_72
.LBB1427_67:
	s_clause 0xb
	flat_load_b32 v1, v0, s[30:31] scale_offset
	flat_load_b32 v2, v0, s[30:31] offset:1024 scale_offset
	flat_load_b32 v3, v0, s[30:31] offset:2048 scale_offset
	;; [unrolled: 1-line block ×11, first 2 shown]
	v_mov_b32_e32 v13, 0
	v_mad_u32_u24 v15, v0, 44, v14
	s_mov_b32 s0, exec_lo
	s_wait_loadcnt_dscnt 0xa0a
	ds_store_2addr_stride64_b32 v14, v1, v2 offset1:4
	s_wait_loadcnt_dscnt 0x809
	ds_store_2addr_stride64_b32 v14, v3, v4 offset0:8 offset1:12
	s_wait_loadcnt_dscnt 0x608
	ds_store_2addr_stride64_b32 v14, v5, v6 offset0:16 offset1:20
	;; [unrolled: 2-line block ×5, first 2 shown]
	s_wait_dscnt 0x0
	s_barrier_signal -1
	s_barrier_wait -1
	flat_load_b32 v1, v13, s[30:31] offset:12288
	s_wait_xcnt 0x0
	ds_load_b128 v[10:13], v15
	ds_load_b128 v[6:9], v15 offset:16
	ds_load_b128 v[2:5], v15 offset:32
	v_mad_i32_i24 v16, 0xffffffd4, v0, v15
	s_wait_dscnt 0x2
	ds_store_b32 v16, v10 offset:13312
	s_wait_loadcnt_dscnt 0x0
	s_barrier_signal -1
	s_barrier_wait -1
	v_cmpx_ne_u32_e32 0xff, v0
; %bb.68:
	v_mul_i32_i24_e32 v1, 0xffffffd4, v0
	s_delay_alu instid0(VALU_DEP_1)
	v_add_nc_u32_e32 v1, v15, v1
	ds_load_b32 v1, v1 offset:13316
; %bb.69:
	s_or_b32 exec_lo, exec_lo, s0
	s_wait_dscnt 0x0
	s_barrier_signal -1
	s_barrier_wait -1
	s_clause 0xb
	flat_load_b32 v16, v0, s[12:13] scale_offset
	flat_load_b32 v17, v0, s[12:13] offset:1024 scale_offset
	flat_load_b32 v18, v0, s[12:13] offset:2048 scale_offset
	;; [unrolled: 1-line block ×11, first 2 shown]
	v_mov_b32_e32 v59, s33
	s_mov_b32 s1, exec_lo
	v_cmp_ne_u32_e32 vcc_lo, v10, v11
	s_wait_loadcnt_dscnt 0xa0a
	ds_store_2addr_stride64_b32 v14, v16, v17 offset1:4
	s_wait_loadcnt_dscnt 0x809
	ds_store_2addr_stride64_b32 v14, v18, v19 offset0:8 offset1:12
	s_wait_loadcnt_dscnt 0x608
	ds_store_2addr_stride64_b32 v14, v20, v21 offset0:16 offset1:20
	;; [unrolled: 2-line block ×5, first 2 shown]
	s_wait_dscnt 0x0
	s_barrier_signal -1
	s_barrier_wait -1
	ds_load_2addr_b32 v[24:25], v15 offset0:1 offset1:2
	ds_load_2addr_b32 v[22:23], v15 offset0:3 offset1:4
	;; [unrolled: 1-line block ×5, first 2 shown]
	ds_load_b32 v26, v15 offset:44
	v_cmpx_eq_u32_e64 v10, v11
; %bb.70:
	ds_load_b32 v59, v15
; %bb.71:
	s_or_b32 exec_lo, exec_lo, s1
	v_cndmask_b32_e64 v58, 0, 1, vcc_lo
	v_cmp_ne_u32_e32 vcc_lo, v11, v12
	v_cmp_ne_u32_e64 s0, v12, v13
	v_cmp_ne_u32_e64 s1, v13, v6
	;; [unrolled: 1-line block ×9, first 2 shown]
	v_cndmask_b32_e64 v56, 0, 1, vcc_lo
	v_cndmask_b32_e64 v51, 0, 1, s0
	v_cndmask_b32_e64 v45, 0, 1, s1
	;; [unrolled: 1-line block ×9, first 2 shown]
	s_wait_dscnt 0x5
	v_cndmask_b32_e64 v57, v24, s33, vcc_lo
	v_cndmask_b32_e64 v53, v25, s33, s0
	s_wait_dscnt 0x4
	v_cndmask_b32_e64 v46, v22, s33, s1
	v_cndmask_b32_e64 v44, v23, s33, s2
	s_wait_dscnt 0x3
	v_cndmask_b32_e64 v42, v20, s33, s3
	;; [unrolled: 3-line block ×3, first 2 shown]
	s_wait_dscnt 0x1
	v_cndmask_b32_e64 v32, v19, s33, s8
	v_cndmask_b32_e64 v36, v17, s33, s6
	;; [unrolled: 1-line block ×3, first 2 shown]
	v_cmp_ne_u32_e64 s34, v5, v1
	s_delay_alu instid0(VALU_DEP_4) | instskip(SKIP_1) | instid1(VALU_DEP_3)
	v_dual_mov_b32 v48, v30 :: v_dual_mov_b32 v16, v32
	s_wait_dscnt 0x0
	v_dual_mov_b32 v27, v59 :: v_dual_mov_b32 v1, v33
	s_delay_alu instid0(VALU_DEP_3)
	v_cndmask_b32_e64 v21, v26, s33, s34
	v_dual_mov_b32 v47, v34 :: v_dual_mov_b32 v29, v56
	v_dual_mov_b32 v17, v36 :: v_dual_mov_b32 v24, v35
	;; [unrolled: 1-line block ×8, first 2 shown]
	v_mov_b32_e32 v23, v46
	s_mov_b32 s3, -1
.LBB1427_72:
	v_mov_b32_e32 v31, 0
	s_and_saveexec_b32 s0, s3
	s_cbranch_execz .LBB1427_74
; %bb.73:
	v_cndmask_b32_e64 v31, 0, 1, s34
	v_dual_mov_b32 v23, v46 :: v_dual_mov_b32 v52, v43
	v_dual_mov_b32 v22, v44 :: v_dual_mov_b32 v55, v45
	;; [unrolled: 1-line block ×10, first 2 shown]
	v_mov_b32_e32 v16, v32
.LBB1427_74:
	s_or_b32 exec_lo, exec_lo, s0
	v_or_b32_e32 v2, v55, v52
	v_and_b32_e32 v32, 1, v31
	v_dual_add_f32 v43, v15, v27 :: v_dual_lshrrev_b32 v34, 2, v0
	v_or_b32_e32 v33, v48, v47
	v_and_b32_e32 v30, 0xff, v58
	v_and_b32_e32 v46, 0xff, v29
	;; [unrolled: 1-line block ×9, first 2 shown]
	v_bitop3_b16 v36, v2, v49, v50 bitop3:0xfe
	v_and_b32_e32 v37, 0xff, v47
	v_and_b32_e32 v35, 0xff, v48
	v_cmp_eq_u16_e64 s10, 0, v31
	v_cmp_eq_u32_e64 s11, 1, v32
	s_cmp_lg_u32 s28, 0
	v_cmp_gt_u32_e32 vcc_lo, 32, v0
	s_barrier_signal -1
	s_barrier_wait -1
	s_cbranch_scc0 .LBB1427_132
; %bb.75:
	v_cmp_eq_u16_e64 s0, 0, v46
	v_cmp_eq_u16_e64 s1, 0, v45
	;; [unrolled: 1-line block ×5, first 2 shown]
	v_dual_cndmask_b32 v2, v15, v43, s0 :: v_dual_bitop2_b32 v4, 56, v34 bitop3:0x40
	v_cmp_eq_u16_e64 s5, 0, v40
	v_cmp_eq_u16_e64 s6, 0, v39
	;; [unrolled: 1-line block ×3, first 2 shown]
	s_delay_alu instid0(VALU_DEP_4)
	v_add_f32_e32 v2, v25, v2
	v_cmp_eq_u16_e64 s8, 0, v37
	v_bitop3_b16 v3, v36, v26, v28 bitop3:0xfe
	v_cmp_eq_u16_e64 s9, 0, v35
	v_lshl_add_u32 v4, v0, 3, v4
	v_cndmask_b32_e64 v2, v25, v2, s1
	s_delay_alu instid0(VALU_DEP_4) | instskip(NEXT) | instid1(VALU_DEP_2)
	v_bitop3_b16 v3, v3, v29, v24 bitop3:0xfe
	v_add_f32_e32 v2, v23, v2
	s_delay_alu instid0(VALU_DEP_2) | instskip(NEXT) | instid1(VALU_DEP_2)
	v_bitop3_b16 v3, v33, 0xff, v3 bitop3:0xc8
	v_cndmask_b32_e64 v2, v23, v2, s2
	s_delay_alu instid0(VALU_DEP_2) | instskip(NEXT) | instid1(VALU_DEP_2)
	v_cmp_eq_u16_e64 s12, 0, v3
	v_add_f32_e32 v2, v22, v2
	s_delay_alu instid0(VALU_DEP_2) | instskip(NEXT) | instid1(VALU_DEP_2)
	v_cndmask_b32_e64 v3, 1, v30, s12
	v_cndmask_b32_e64 v2, v22, v2, s3
	s_delay_alu instid0(VALU_DEP_2) | instskip(NEXT) | instid1(VALU_DEP_2)
	v_cndmask_b32_e64 v13, v3, 1, s11
	v_add_f32_e32 v2, v20, v2
	s_delay_alu instid0(VALU_DEP_1) | instskip(NEXT) | instid1(VALU_DEP_1)
	v_cndmask_b32_e64 v2, v20, v2, s4
	v_add_f32_e32 v2, v19, v2
	s_delay_alu instid0(VALU_DEP_1) | instskip(NEXT) | instid1(VALU_DEP_1)
	;; [unrolled: 3-line block ×6, first 2 shown]
	v_cndmask_b32_e64 v2, v16, v2, s9
	v_add_f32_e32 v2, v21, v2
	s_delay_alu instid0(VALU_DEP_1)
	v_cndmask_b32_e64 v12, v21, v2, s10
	ds_store_b32 v4, v12
	ds_store_b8 v4, v13 offset:4
	s_wait_dscnt 0x0
	s_barrier_signal -1
	s_barrier_wait -1
	s_and_saveexec_b32 s12, vcc_lo
	s_cbranch_execz .LBB1427_87
; %bb.76:
	v_dual_lshlrev_b32 v2, 1, v0 :: v_dual_lshlrev_b32 v3, 6, v0
	s_mov_b32 s13, exec_lo
	s_delay_alu instid0(VALU_DEP_1) | instskip(NEXT) | instid1(VALU_DEP_1)
	v_and_b32_e32 v2, 0x1f8, v2
	v_add_nc_u32_e32 v4, v2, v3
	ds_load_2addr_b32 v[6:7], v4 offset0:2 offset1:4
	ds_load_b64 v[2:3], v4
	ds_load_u8 v5, v4 offset:12
	ds_load_2addr_b32 v[8:9], v4 offset0:6 offset1:8
	ds_load_u8 v10, v4 offset:20
	ds_load_u8 v11, v4 offset:28
	;; [unrolled: 1-line block ×5, first 2 shown]
	ds_load_b32 v50, v4 offset:56
	s_wait_dscnt 0x8
	v_add_f32_e32 v51, v2, v6
	s_wait_dscnt 0x7
	v_cmp_eq_u16_e64 s10, 0, v5
	s_wait_dscnt 0x5
	v_or_b32_e32 v5, v10, v5
	s_delay_alu instid0(VALU_DEP_2) | instskip(SKIP_2) | instid1(VALU_DEP_3)
	v_cndmask_b32_e64 v6, v6, v51, s10
	v_cmp_eq_u16_e64 s10, 0, v10
	s_wait_dscnt 0x3
	v_bitop3_b16 v5, v5, v47, v11 bitop3:0xfe
	s_delay_alu instid0(VALU_DEP_3) | instskip(NEXT) | instid1(VALU_DEP_1)
	v_add_f32_e32 v6, v7, v6
	v_cndmask_b32_e64 v51, v7, v6, s10
	ds_load_2addr_b32 v[6:7], v4 offset0:10 offset1:12
	v_cmp_eq_u16_e64 s10, 0, v11
	v_and_b32_e32 v11, 0xffffff00, v3
	v_add_f32_e32 v51, v8, v51
	s_delay_alu instid0(VALU_DEP_1) | instskip(SKIP_3) | instid1(VALU_DEP_1)
	v_cndmask_b32_e64 v8, v8, v51, s10
	v_cmp_eq_u16_e64 s10, 0, v47
	ds_load_u8 v51, v4 offset:60
	v_add_f32_e32 v8, v9, v8
	v_cndmask_b32_e64 v8, v9, v8, s10
	s_wait_dscnt 0x4
	v_cmp_eq_u16_e64 s10, 0, v48
	s_wait_dscnt 0x1
	s_delay_alu instid0(VALU_DEP_2) | instskip(NEXT) | instid1(VALU_DEP_1)
	v_add_f32_e32 v8, v6, v8
	v_cndmask_b32_e64 v6, v6, v8, s10
	v_bitop3_b16 v8, v5, v49, v48 bitop3:0xfe
	v_and_b32_e32 v5, 1, v3
	s_wait_dscnt 0x0
	v_and_b32_e32 v9, 1, v51
	s_delay_alu instid0(VALU_DEP_3) | instskip(NEXT) | instid1(VALU_DEP_1)
	v_cmp_eq_u16_e64 s10, 0, v8
	v_dual_add_f32 v6, v7, v6 :: v_dual_cndmask_b32 v8, 1, v5, s10
	v_cmp_eq_u16_e64 s10, 0, v49
	s_delay_alu instid0(VALU_DEP_1) | instskip(SKIP_1) | instid1(VALU_DEP_1)
	v_cndmask_b32_e64 v6, v7, v6, s10
	v_cmp_eq_u32_e64 s10, 1, v9
	v_cndmask_b32_e64 v9, v8, 1, s10
	v_cmp_eq_u16_e64 s10, 0, v51
	s_delay_alu instid0(VALU_DEP_2) | instskip(SKIP_1) | instid1(VALU_DEP_2)
	v_dual_add_f32 v7, v50, v6 :: v_dual_bitop2_b32 v8, v9, v11 bitop3:0x54
	v_mbcnt_lo_u32_b32 v6, -1, 0
	v_mov_b32_dpp v48, v8 row_shr:1 row_mask:0xf bank_mask:0xf
	s_delay_alu instid0(VALU_DEP_2) | instskip(NEXT) | instid1(VALU_DEP_1)
	v_dual_cndmask_b32 v7, v50, v7, s10 :: v_dual_bitop2_b32 v10, 15, v6 bitop3:0x40
	v_mov_b32_dpp v47, v7 row_shr:1 row_mask:0xf bank_mask:0xf
	s_delay_alu instid0(VALU_DEP_2)
	v_cmpx_ne_u32_e32 0, v10
	s_cbranch_execz .LBB1427_78
; %bb.77:
	s_delay_alu instid0(VALU_DEP_2) | instskip(SKIP_2) | instid1(VALU_DEP_3)
	v_dual_add_f32 v47, v7, v47 :: v_dual_bitop2_b32 v8, 1, v9 bitop3:0x40
	v_cmp_eq_u32_e64 s10, 0, v9
	v_and_b32_e32 v48, 1, v48
	v_cmp_eq_u32_e64 s11, 1, v8
	s_delay_alu instid0(VALU_DEP_3) | instskip(NEXT) | instid1(VALU_DEP_2)
	v_cndmask_b32_e64 v7, v7, v47, s10
	v_cndmask_b32_e64 v9, v48, 1, s11
	s_delay_alu instid0(VALU_DEP_1)
	v_or_b32_e32 v8, v9, v11
.LBB1427_78:
	s_or_b32 exec_lo, exec_lo, s13
	s_delay_alu instid0(VALU_DEP_3) | instskip(NEXT) | instid1(VALU_DEP_2)
	v_mov_b32_dpp v11, v7 row_shr:2 row_mask:0xf bank_mask:0xf
	v_mov_b32_dpp v47, v8 row_shr:2 row_mask:0xf bank_mask:0xf
	s_mov_b32 s13, exec_lo
	v_cmpx_lt_u32_e32 1, v10
	s_cbranch_execz .LBB1427_80
; %bb.79:
	v_dual_add_f32 v11, v7, v11 :: v_dual_bitop2_b32 v48, 1, v9 bitop3:0x40
	v_and_b32_e32 v47, 1, v47
	v_cmp_eq_u32_e64 s10, 0, v9
	s_delay_alu instid0(VALU_DEP_3) | instskip(NEXT) | instid1(VALU_DEP_2)
	v_cmp_eq_u32_e64 s11, 1, v48
	v_cndmask_b32_e64 v7, v7, v11, s10
	s_delay_alu instid0(VALU_DEP_2) | instskip(NEXT) | instid1(VALU_DEP_1)
	v_cndmask_b32_e64 v9, v47, 1, s11
	v_and_or_b32 v8, 0xffffff00, v8, v9
.LBB1427_80:
	s_or_b32 exec_lo, exec_lo, s13
	s_delay_alu instid0(VALU_DEP_3) | instskip(NEXT) | instid1(VALU_DEP_2)
	v_mov_b32_dpp v11, v7 row_shr:4 row_mask:0xf bank_mask:0xf
	v_mov_b32_dpp v47, v8 row_shr:4 row_mask:0xf bank_mask:0xf
	s_mov_b32 s13, exec_lo
	v_cmpx_lt_u32_e32 3, v10
	s_cbranch_execz .LBB1427_82
; %bb.81:
	v_dual_add_f32 v11, v7, v11 :: v_dual_bitop2_b32 v48, 1, v9 bitop3:0x40
	v_and_b32_e32 v47, 1, v47
	v_cmp_eq_u32_e64 s10, 0, v9
	s_delay_alu instid0(VALU_DEP_3) | instskip(NEXT) | instid1(VALU_DEP_2)
	v_cmp_eq_u32_e64 s11, 1, v48
	v_cndmask_b32_e64 v7, v7, v11, s10
	s_delay_alu instid0(VALU_DEP_2) | instskip(NEXT) | instid1(VALU_DEP_1)
	v_cndmask_b32_e64 v9, v47, 1, s11
	v_and_or_b32 v8, 0xffffff00, v8, v9
.LBB1427_82:
	;; [unrolled: 18-line block ×3, first 2 shown]
	s_or_b32 exec_lo, exec_lo, s13
	ds_swizzle_b32 v10, v7 offset:swizzle(BROADCAST,32,15)
	ds_swizzle_b32 v11, v8 offset:swizzle(BROADCAST,32,15)
	v_and_b32_e32 v47, 16, v6
	s_mov_b32 s11, exec_lo
	s_delay_alu instid0(VALU_DEP_1)
	v_cmpx_ne_u32_e32 0, v47
	s_cbranch_execz .LBB1427_86
; %bb.85:
	s_wait_dscnt 0x1
	v_dual_add_f32 v10, v7, v10 :: v_dual_bitop2_b32 v47, 1, v9 bitop3:0x40
	s_wait_dscnt 0x0
	v_and_b32_e32 v11, 1, v11
	s_delay_alu instid0(VALU_DEP_2) | instskip(NEXT) | instid1(VALU_DEP_1)
	v_cmp_eq_u32_e64 s10, 1, v47
	v_cndmask_b32_e64 v11, v11, 1, s10
	v_cmp_eq_u32_e64 s10, 0, v9
	s_delay_alu instid0(VALU_DEP_2) | instskip(NEXT) | instid1(VALU_DEP_2)
	v_and_or_b32 v8, 0xffffff00, v8, v11
	v_cndmask_b32_e64 v7, v7, v10, s10
.LBB1427_86:
	s_or_b32 exec_lo, exec_lo, s11
	v_add_nc_u32_e32 v9, -1, v6
	v_and_b32_e32 v3, 0xff, v3
	; wave barrier
	s_delay_alu instid0(VALU_DEP_2) | instskip(NEXT) | instid1(VALU_DEP_1)
	v_cmp_gt_i32_e64 s10, 0, v9
	v_cndmask_b32_e64 v6, v9, v6, s10
	s_delay_alu instid0(VALU_DEP_3) | instskip(NEXT) | instid1(VALU_DEP_2)
	v_cmp_eq_u32_e64 s10, 0, v3
	v_lshlrev_b32_e32 v6, 2, v6
	ds_bpermute_b32 v7, v6, v7
	ds_bpermute_b32 v6, v6, v8
	s_wait_dscnt 0x0
	v_dual_add_f32 v7, v2, v7 :: v_dual_bitop2_b32 v6, 1, v6 bitop3:0x40
	s_delay_alu instid0(VALU_DEP_1) | instskip(SKIP_1) | instid1(VALU_DEP_1)
	v_cndmask_b32_e64 v2, v2, v7, s10
	v_cmp_eq_u32_e64 s10, 1, v5
	v_cndmask_b32_e64 v3, v6, 1, s10
	v_cmp_eq_u32_e64 s10, 0, v0
	s_delay_alu instid0(VALU_DEP_1)
	v_dual_cndmask_b32 v5, v2, v12, s10 :: v_dual_cndmask_b32 v8, v3, v13, s10
	ds_store_b32 v4, v5
	ds_store_b8 v4, v8 offset:4
	; wave barrier
	ds_load_2addr_b32 v[2:3], v4 offset0:2 offset1:4
	ds_load_u8 v9, v4 offset:12
	ds_load_u8 v10, v4 offset:20
	ds_load_2addr_b32 v[6:7], v4 offset0:6 offset1:8
	ds_load_u8 v11, v4 offset:28
	ds_load_u8 v47, v4 offset:36
	;; [unrolled: 1-line block ×4, first 2 shown]
	ds_load_b32 v50, v4 offset:56
	ds_load_u8 v51, v4 offset:60
	s_wait_dscnt 0x9
	v_add_f32_e32 v5, v5, v2
	s_wait_dscnt 0x8
	v_cmp_eq_u16_e64 s10, 0, v9
	s_delay_alu instid0(VALU_DEP_1) | instskip(SKIP_2) | instid1(VALU_DEP_2)
	v_cndmask_b32_e64 v5, v2, v5, s10
	s_wait_dscnt 0x7
	v_cmp_eq_u16_e64 s10, 0, v10
	v_add_f32_e32 v2, v5, v3
	s_delay_alu instid0(VALU_DEP_1)
	v_cndmask_b32_e64 v52, v3, v2, s10
	s_wait_dscnt 0x5
	v_cmp_eq_u16_e64 s10, 0, v11
	ds_load_2addr_b32 v[2:3], v4 offset0:10 offset1:12
	v_add_f32_e32 v53, v52, v6
	ds_store_2addr_b32 v4, v5, v52 offset0:2 offset1:4
	v_cndmask_b32_e64 v6, v6, v53, s10
	s_delay_alu instid0(VALU_DEP_1) | instskip(NEXT) | instid1(VALU_DEP_1)
	v_dual_add_f32 v53, v6, v7 :: v_dual_bitop2_b32 v9, 1, v9 bitop3:0x40
	v_cmp_eq_u32_e64 s10, 1, v9
	s_delay_alu instid0(VALU_DEP_1) | instskip(SKIP_2) | instid1(VALU_DEP_1)
	v_cndmask_b32_e64 v8, v8, 1, s10
	s_wait_dscnt 0x6
	v_cmp_eq_u16_e64 s10, 0, v47
	v_dual_cndmask_b32 v7, v7, v53, s10 :: v_dual_bitop2_b32 v10, 1, v10 bitop3:0x40
	v_and_b32_e32 v9, 1, v11
	s_delay_alu instid0(VALU_DEP_2) | instskip(SKIP_1) | instid1(VALU_DEP_3)
	v_cmp_eq_u32_e64 s10, 1, v10
	s_wait_dscnt 0x1
	v_dual_add_f32 v47, v7, v2 :: v_dual_bitop2_b32 v11, 1, v47 bitop3:0x40
	s_delay_alu instid0(VALU_DEP_2) | instskip(SKIP_1) | instid1(VALU_DEP_1)
	v_cndmask_b32_e64 v10, v8, 1, s10
	v_cmp_eq_u32_e64 s10, 1, v9
	v_cndmask_b32_e64 v9, v10, 1, s10
	v_cmp_eq_u16_e64 s10, 0, v48
	s_delay_alu instid0(VALU_DEP_1) | instskip(SKIP_1) | instid1(VALU_DEP_2)
	v_dual_cndmask_b32 v2, v2, v47, s10 :: v_dual_bitop2_b32 v53, 1, v48 bitop3:0x40
	v_cmp_eq_u32_e64 s10, 1, v11
	v_add_f32_e32 v48, v2, v3
	s_delay_alu instid0(VALU_DEP_2) | instskip(NEXT) | instid1(VALU_DEP_4)
	v_cndmask_b32_e64 v11, v9, 1, s10
	v_cmp_eq_u32_e64 s10, 1, v53
	s_delay_alu instid0(VALU_DEP_1) | instskip(SKIP_1) | instid1(VALU_DEP_1)
	v_cndmask_b32_e64 v53, v11, 1, s10
	v_cmp_eq_u16_e64 s10, 0, v49
	v_dual_cndmask_b32 v3, v3, v48, s10 :: v_dual_bitop2_b32 v47, 1, v49 bitop3:0x40
	v_and_b32_e32 v54, 1, v51
	s_delay_alu instid0(VALU_DEP_2)
	v_cmp_eq_u32_e64 s10, 1, v47
	ds_store_2addr_b32 v4, v6, v7 offset0:6 offset1:8
	ds_store_2addr_b32 v4, v2, v3 offset0:10 offset1:12
	v_add_f32_e32 v5, v3, v50
	v_cndmask_b32_e64 v47, v53, 1, s10
	v_cmp_eq_u32_e64 s10, 1, v54
	s_delay_alu instid0(VALU_DEP_1) | instskip(SKIP_1) | instid1(VALU_DEP_1)
	v_cndmask_b32_e64 v48, v47, 1, s10
	v_cmp_eq_u16_e64 s10, 0, v51
	v_cndmask_b32_e64 v2, v50, v5, s10
	ds_store_b8 v4, v8 offset:12
	ds_store_b8 v4, v10 offset:20
	;; [unrolled: 1-line block ×6, first 2 shown]
	ds_store_b32 v4, v2 offset:56
	ds_store_b8 v4, v48 offset:60
.LBB1427_87:
	s_or_b32 exec_lo, exec_lo, s12
	v_cmp_eq_u32_e64 s10, 0, v0
	s_mov_b32 s12, exec_lo
	s_wait_dscnt 0x0
	s_barrier_signal -1
	s_barrier_wait -1
	v_cmpx_ne_u32_e32 0, v0
	s_cbranch_execz .LBB1427_89
; %bb.88:
	v_add_nc_u32_e32 v2, -1, v0
	s_delay_alu instid0(VALU_DEP_1) | instskip(NEXT) | instid1(VALU_DEP_1)
	v_lshrrev_b32_e32 v3, 2, v2
	v_and_b32_e32 v3, 0x3ffffff8, v3
	s_delay_alu instid0(VALU_DEP_1)
	v_lshl_add_u32 v2, v2, 3, v3
	ds_load_b32 v12, v2
	ds_load_u8 v13, v2 offset:4
.LBB1427_89:
	s_or_b32 exec_lo, exec_lo, s12
	s_and_saveexec_b32 s30, vcc_lo
	s_cbranch_execz .LBB1427_177
; %bb.90:
	v_mov_b32_e32 v5, 0
	v_mbcnt_lo_u32_b32 v47, -1, 0
	s_mov_b32 s13, 0
	ds_load_b64 v[2:3], v5 offset:2096
	v_cmp_eq_u32_e64 s11, 0, v47
	s_and_saveexec_b32 s31, s11
	s_cbranch_execz .LBB1427_92
; %bb.91:
	s_add_co_i32 s12, s28, 32
	v_mov_b32_e32 v4, 1
	s_lshl_b64 s[12:13], s[12:13], 4
	s_delay_alu instid0(SALU_CYCLE_1) | instskip(NEXT) | instid1(SALU_CYCLE_1)
	s_add_nc_u64 s[12:13], s[16:17], s[12:13]
	v_mov_b64_e32 v[6:7], s[12:13]
	s_wait_dscnt 0x0
	;;#ASMSTART
	global_store_b128 v[6:7], v[2:5] off scope:SCOPE_DEV	
s_wait_storecnt 0x0
	;;#ASMEND
.LBB1427_92:
	s_or_b32 exec_lo, exec_lo, s31
	v_xad_u32 v8, v47, -1, s28
	s_mov_b32 s12, exec_lo
	s_delay_alu instid0(VALU_DEP_1) | instskip(NEXT) | instid1(VALU_DEP_1)
	v_add_nc_u32_e32 v4, 32, v8
	v_lshl_add_u64 v[10:11], v[4:5], 4, s[16:17]
	;;#ASMSTART
	global_load_b128 v[4:7], v[10:11] off scope:SCOPE_DEV	
s_wait_loadcnt 0x0
	;;#ASMEND
	v_and_b32_e32 v7, 0xff, v6
	s_delay_alu instid0(VALU_DEP_1)
	v_cmpx_eq_u16_e32 0, v7
	s_cbranch_execz .LBB1427_96
; %bb.93:
	s_mov_b32 s13, 0
.LBB1427_94:                            ; =>This Inner Loop Header: Depth=1
	;;#ASMSTART
	global_load_b128 v[4:7], v[10:11] off scope:SCOPE_DEV	
s_wait_loadcnt 0x0
	;;#ASMEND
	v_and_b32_e32 v7, 0xff, v6
	s_delay_alu instid0(VALU_DEP_1) | instskip(SKIP_1) | instid1(SALU_CYCLE_1)
	v_cmp_ne_u16_e32 vcc_lo, 0, v7
	s_or_b32 s13, vcc_lo, s13
	s_and_not1_b32 exec_lo, exec_lo, s13
	s_cbranch_execnz .LBB1427_94
; %bb.95:
	s_or_b32 exec_lo, exec_lo, s13
.LBB1427_96:
	s_delay_alu instid0(SALU_CYCLE_1)
	s_or_b32 exec_lo, exec_lo, s12
	v_cmp_ne_u32_e32 vcc_lo, 31, v47
	v_and_b32_e32 v10, 0xff, v6
	v_and_b32_e32 v9, 0xff, v5
	v_lshlrev_b32_e64 v49, v47, -1
	s_mov_b32 s12, exec_lo
	v_add_co_ci_u32_e64 v7, null, 0, v47, vcc_lo
	v_cmp_eq_u16_e32 vcc_lo, 2, v10
	s_delay_alu instid0(VALU_DEP_2) | instskip(SKIP_4) | instid1(VALU_DEP_1)
	v_lshlrev_b32_e32 v48, 2, v7
	v_and_or_b32 v7, vcc_lo, v49, 0x80000000
	ds_bpermute_b32 v10, v48, v4
	ds_bpermute_b32 v11, v48, v9
	v_ctz_i32_b32_e32 v7, v7
	v_cmpx_lt_u32_e64 v47, v7
	s_cbranch_execz .LBB1427_98
; %bb.97:
	s_wait_dscnt 0x1
	v_dual_add_f32 v10, v4, v10 :: v_dual_bitop2_b32 v9, 1, v5 bitop3:0x40
	s_wait_dscnt 0x0
	v_and_b32_e32 v11, 1, v11
	v_and_b32_e32 v50, 0xff, v5
	s_delay_alu instid0(VALU_DEP_3) | instskip(NEXT) | instid1(VALU_DEP_3)
	v_cmp_eq_u32_e32 vcc_lo, 1, v9
	v_cndmask_b32_e64 v5, v11, 1, vcc_lo
	s_delay_alu instid0(VALU_DEP_3) | instskip(NEXT) | instid1(VALU_DEP_2)
	v_cmp_eq_u16_e32 vcc_lo, 0, v50
	v_and_b32_e32 v9, 0xffff, v5
	v_cndmask_b32_e32 v4, v4, v10, vcc_lo
.LBB1427_98:
	s_or_b32 exec_lo, exec_lo, s12
	v_cmp_gt_u32_e32 vcc_lo, 30, v47
	v_add_nc_u32_e32 v51, 2, v47
	s_mov_b32 s12, exec_lo
	s_wait_dscnt 0x1
	v_cndmask_b32_e64 v10, 0, 2, vcc_lo
	s_delay_alu instid0(VALU_DEP_1)
	v_add_lshl_u32 v50, v10, v47, 2
	ds_bpermute_b32 v10, v50, v4
	s_wait_dscnt 0x1
	ds_bpermute_b32 v11, v50, v9
	v_cmpx_le_u32_e64 v51, v7
	s_cbranch_execz .LBB1427_100
; %bb.99:
	s_wait_dscnt 0x1
	v_dual_add_f32 v10, v4, v10 :: v_dual_bitop2_b32 v9, 1, v5 bitop3:0x40
	s_wait_dscnt 0x0
	v_and_b32_e32 v11, 1, v11
	v_and_b32_e32 v52, 0xff, v5
	s_delay_alu instid0(VALU_DEP_3) | instskip(NEXT) | instid1(VALU_DEP_3)
	v_cmp_eq_u32_e32 vcc_lo, 1, v9
	v_cndmask_b32_e64 v5, v11, 1, vcc_lo
	s_delay_alu instid0(VALU_DEP_3) | instskip(NEXT) | instid1(VALU_DEP_2)
	v_cmp_eq_u16_e32 vcc_lo, 0, v52
	v_and_b32_e32 v9, 0xffff, v5
	v_cndmask_b32_e32 v4, v4, v10, vcc_lo
.LBB1427_100:
	s_or_b32 exec_lo, exec_lo, s12
	v_cmp_gt_u32_e32 vcc_lo, 28, v47
	v_add_nc_u32_e32 v53, 4, v47
	s_mov_b32 s12, exec_lo
	s_wait_dscnt 0x1
	v_cndmask_b32_e64 v10, 0, 4, vcc_lo
	s_delay_alu instid0(VALU_DEP_1)
	v_add_lshl_u32 v52, v10, v47, 2
	ds_bpermute_b32 v10, v52, v4
	s_wait_dscnt 0x1
	ds_bpermute_b32 v11, v52, v9
	v_cmpx_le_u32_e64 v53, v7
	;; [unrolled: 27-line block ×3, first 2 shown]
	s_cbranch_execz .LBB1427_104
; %bb.103:
	s_wait_dscnt 0x1
	v_dual_add_f32 v10, v4, v10 :: v_dual_bitop2_b32 v9, 1, v5 bitop3:0x40
	s_wait_dscnt 0x0
	v_and_b32_e32 v11, 1, v11
	v_and_b32_e32 v56, 0xff, v5
	s_delay_alu instid0(VALU_DEP_3) | instskip(NEXT) | instid1(VALU_DEP_3)
	v_cmp_eq_u32_e32 vcc_lo, 1, v9
	v_cndmask_b32_e64 v5, v11, 1, vcc_lo
	s_delay_alu instid0(VALU_DEP_3) | instskip(NEXT) | instid1(VALU_DEP_2)
	v_cmp_eq_u16_e32 vcc_lo, 0, v56
	v_and_b32_e32 v9, 0xffff, v5
	v_cndmask_b32_e32 v4, v4, v10, vcc_lo
.LBB1427_104:
	s_or_b32 exec_lo, exec_lo, s12
	v_lshl_or_b32 v58, v47, 2, 64
	v_add_nc_u32_e32 v59, 16, v47
	s_mov_b32 s12, exec_lo
	s_wait_dscnt 0x1
	ds_bpermute_b32 v10, v58, v4
	ds_bpermute_b32 v9, v58, v9
	v_cmpx_le_u32_e64 v59, v7
	s_cbranch_execz .LBB1427_106
; %bb.105:
	v_and_b32_e32 v7, 0xff, v5
	s_wait_dscnt 0x1
	v_dual_add_f32 v10, v4, v10 :: v_dual_bitop2_b32 v5, 1, v5 bitop3:0x40
	s_delay_alu instid0(VALU_DEP_2) | instskip(SKIP_1) | instid1(VALU_DEP_2)
	v_cmp_eq_u16_e32 vcc_lo, 0, v7
	s_wait_dscnt 0x0
	v_dual_cndmask_b32 v4, v4, v10, vcc_lo :: v_dual_bitop2_b32 v9, 1, v9 bitop3:0x40
	s_delay_alu instid0(VALU_DEP_3) | instskip(NEXT) | instid1(VALU_DEP_2)
	v_cmp_eq_u32_e32 vcc_lo, 1, v5
	v_cndmask_b32_e64 v5, v9, 1, vcc_lo
.LBB1427_106:
	s_or_b32 exec_lo, exec_lo, s12
	s_wait_dscnt 0x0
	v_mov_b32_e32 v9, 0
	s_branch .LBB1427_109
.LBB1427_107:                           ;   in Loop: Header=BB1427_109 Depth=1
	s_or_b32 exec_lo, exec_lo, s12
	s_wait_dscnt 0x1
	ds_bpermute_b32 v11, v58, v4
	ds_bpermute_b32 v10, v58, v10
	s_wait_dscnt 0x2
	v_and_b32_e32 v60, 1, v5
	v_and_b32_e32 v61, 0xff, v5
	v_subrev_nc_u32_e32 v8, 32, v8
	s_mov_b32 s12, 0
	s_wait_dscnt 0x1
	v_add_f32_e32 v11, v4, v11
	v_cmp_eq_u32_e32 vcc_lo, 1, v60
	s_wait_dscnt 0x0
	v_cndmask_b32_e64 v10, v10, 1, vcc_lo
	v_cmp_eq_u16_e32 vcc_lo, 0, v61
	v_cndmask_b32_e32 v11, v4, v11, vcc_lo
	v_cmp_gt_u32_e32 vcc_lo, v59, v7
	v_and_b32_e32 v7, 0xff, v56
	s_delay_alu instid0(VALU_DEP_3) | instskip(SKIP_1) | instid1(VALU_DEP_3)
	v_dual_cndmask_b32 v5, v10, v5 :: v_dual_cndmask_b32 v4, v11, v4
	v_and_b32_e32 v10, 1, v56
	v_cmp_eq_u16_e32 vcc_lo, 0, v7
	s_delay_alu instid0(VALU_DEP_3) | instskip(NEXT) | instid1(VALU_DEP_1)
	v_dual_add_f32 v4, v57, v4 :: v_dual_bitop2_b32 v5, 1, v5 bitop3:0x40
	v_cndmask_b32_e32 v4, v57, v4, vcc_lo
	s_delay_alu instid0(VALU_DEP_4) | instskip(NEXT) | instid1(VALU_DEP_3)
	v_cmp_eq_u32_e32 vcc_lo, 1, v10
	v_cndmask_b32_e64 v5, v5, 1, vcc_lo
.LBB1427_108:                           ;   in Loop: Header=BB1427_109 Depth=1
	s_and_b32 vcc_lo, exec_lo, s12
	s_cbranch_vccnz .LBB1427_173
.LBB1427_109:                           ; =>This Loop Header: Depth=1
                                        ;     Child Loop BB1427_112 Depth 2
	v_and_b32_e32 v6, 0xff, v6
	s_delay_alu instid0(VALU_DEP_2) | instskip(SKIP_1) | instid1(VALU_DEP_2)
	v_dual_mov_b32 v56, v5 :: v_dual_mov_b32 v57, v4
	s_mov_b32 s12, -1
	v_cmp_ne_u16_e32 vcc_lo, 2, v6
                                        ; implicit-def: $vgpr5
	s_cmp_lg_u32 vcc_lo, exec_lo
	s_cbranch_scc1 .LBB1427_108
; %bb.110:                              ;   in Loop: Header=BB1427_109 Depth=1
	v_lshl_add_u64 v[10:11], v[8:9], 4, s[16:17]
	;;#ASMSTART
	global_load_b128 v[4:7], v[10:11] off scope:SCOPE_DEV	
s_wait_loadcnt 0x0
	;;#ASMEND
	v_and_b32_e32 v7, 0xff, v6
	s_mov_b32 s12, exec_lo
	s_delay_alu instid0(VALU_DEP_1)
	v_cmpx_eq_u16_e32 0, v7
	s_cbranch_execz .LBB1427_114
; %bb.111:                              ;   in Loop: Header=BB1427_109 Depth=1
	s_mov_b32 s13, 0
.LBB1427_112:                           ;   Parent Loop BB1427_109 Depth=1
                                        ; =>  This Inner Loop Header: Depth=2
	;;#ASMSTART
	global_load_b128 v[4:7], v[10:11] off scope:SCOPE_DEV	
s_wait_loadcnt 0x0
	;;#ASMEND
	v_and_b32_e32 v7, 0xff, v6
	s_delay_alu instid0(VALU_DEP_1) | instskip(SKIP_1) | instid1(SALU_CYCLE_1)
	v_cmp_ne_u16_e32 vcc_lo, 0, v7
	s_or_b32 s13, vcc_lo, s13
	s_and_not1_b32 exec_lo, exec_lo, s13
	s_cbranch_execnz .LBB1427_112
; %bb.113:                              ;   in Loop: Header=BB1427_109 Depth=1
	s_or_b32 exec_lo, exec_lo, s13
.LBB1427_114:                           ;   in Loop: Header=BB1427_109 Depth=1
	s_delay_alu instid0(SALU_CYCLE_1)
	s_or_b32 exec_lo, exec_lo, s12
	v_and_b32_e32 v10, 0xff, v5
	v_and_b32_e32 v7, 0xff, v6
	ds_bpermute_b32 v11, v48, v4
	s_mov_b32 s12, exec_lo
	ds_bpermute_b32 v60, v48, v10
	v_cmp_eq_u16_e32 vcc_lo, 2, v7
	v_and_or_b32 v7, vcc_lo, v49, 0x80000000
	s_delay_alu instid0(VALU_DEP_1) | instskip(NEXT) | instid1(VALU_DEP_1)
	v_ctz_i32_b32_e32 v7, v7
	v_cmpx_lt_u32_e64 v47, v7
	s_cbranch_execz .LBB1427_116
; %bb.115:                              ;   in Loop: Header=BB1427_109 Depth=1
	s_wait_dscnt 0x1
	v_dual_add_f32 v11, v4, v11 :: v_dual_bitop2_b32 v10, 1, v5 bitop3:0x40
	s_wait_dscnt 0x0
	v_and_b32_e32 v60, 1, v60
	v_and_b32_e32 v61, 0xff, v5
	s_delay_alu instid0(VALU_DEP_3) | instskip(NEXT) | instid1(VALU_DEP_3)
	v_cmp_eq_u32_e32 vcc_lo, 1, v10
	v_cndmask_b32_e64 v5, v60, 1, vcc_lo
	s_delay_alu instid0(VALU_DEP_3) | instskip(NEXT) | instid1(VALU_DEP_2)
	v_cmp_eq_u16_e32 vcc_lo, 0, v61
	v_and_b32_e32 v10, 0xffff, v5
	v_cndmask_b32_e32 v4, v4, v11, vcc_lo
.LBB1427_116:                           ;   in Loop: Header=BB1427_109 Depth=1
	s_or_b32 exec_lo, exec_lo, s12
	s_wait_dscnt 0x1
	ds_bpermute_b32 v11, v50, v4
	s_wait_dscnt 0x1
	ds_bpermute_b32 v60, v50, v10
	s_mov_b32 s12, exec_lo
	v_cmpx_le_u32_e64 v51, v7
	s_cbranch_execz .LBB1427_118
; %bb.117:                              ;   in Loop: Header=BB1427_109 Depth=1
	s_wait_dscnt 0x1
	v_dual_add_f32 v11, v4, v11 :: v_dual_bitop2_b32 v10, 1, v5 bitop3:0x40
	s_wait_dscnt 0x0
	v_and_b32_e32 v60, 1, v60
	v_and_b32_e32 v61, 0xff, v5
	s_delay_alu instid0(VALU_DEP_3) | instskip(NEXT) | instid1(VALU_DEP_3)
	v_cmp_eq_u32_e32 vcc_lo, 1, v10
	v_cndmask_b32_e64 v5, v60, 1, vcc_lo
	s_delay_alu instid0(VALU_DEP_3) | instskip(NEXT) | instid1(VALU_DEP_2)
	v_cmp_eq_u16_e32 vcc_lo, 0, v61
	v_and_b32_e32 v10, 0xffff, v5
	v_cndmask_b32_e32 v4, v4, v11, vcc_lo
.LBB1427_118:                           ;   in Loop: Header=BB1427_109 Depth=1
	s_or_b32 exec_lo, exec_lo, s12
	s_wait_dscnt 0x1
	ds_bpermute_b32 v11, v52, v4
	s_wait_dscnt 0x1
	ds_bpermute_b32 v60, v52, v10
	s_mov_b32 s12, exec_lo
	v_cmpx_le_u32_e64 v53, v7
	;; [unrolled: 22-line block ×3, first 2 shown]
	s_cbranch_execz .LBB1427_107
; %bb.121:                              ;   in Loop: Header=BB1427_109 Depth=1
	s_wait_dscnt 0x1
	v_dual_add_f32 v11, v4, v11 :: v_dual_bitop2_b32 v10, 1, v5 bitop3:0x40
	s_wait_dscnt 0x0
	v_and_b32_e32 v60, 1, v60
	v_and_b32_e32 v61, 0xff, v5
	s_delay_alu instid0(VALU_DEP_3) | instskip(NEXT) | instid1(VALU_DEP_3)
	v_cmp_eq_u32_e32 vcc_lo, 1, v10
	v_cndmask_b32_e64 v5, v60, 1, vcc_lo
	s_delay_alu instid0(VALU_DEP_3) | instskip(NEXT) | instid1(VALU_DEP_2)
	v_cmp_eq_u16_e32 vcc_lo, 0, v61
	v_and_b32_e32 v10, 0xffff, v5
	v_cndmask_b32_e32 v4, v4, v11, vcc_lo
	s_branch .LBB1427_107
.LBB1427_122:
	s_or_b32 exec_lo, exec_lo, s11
                                        ; implicit-def: $vgpr15
	s_and_saveexec_b32 s11, s0
	s_cbranch_execz .LBB1427_29
.LBB1427_123:
	flat_load_b32 v15, v0, s[12:13] offset:1024 scale_offset
	s_wait_xcnt 0x0
	s_or_b32 exec_lo, exec_lo, s11
                                        ; implicit-def: $vgpr16
	s_and_saveexec_b32 s0, s1
	s_cbranch_execnz .LBB1427_30
.LBB1427_124:
	s_or_b32 exec_lo, exec_lo, s0
                                        ; implicit-def: $vgpr17
	s_and_saveexec_b32 s0, s2
	s_cbranch_execz .LBB1427_31
.LBB1427_125:
	flat_load_b32 v17, v0, s[12:13] offset:3072 scale_offset
	s_wait_xcnt 0x0
	s_or_b32 exec_lo, exec_lo, s0
                                        ; implicit-def: $vgpr18
	s_and_saveexec_b32 s0, s3
	s_cbranch_execnz .LBB1427_32
.LBB1427_126:
	s_or_b32 exec_lo, exec_lo, s0
                                        ; implicit-def: $vgpr19
	s_and_saveexec_b32 s0, s4
	s_cbranch_execz .LBB1427_33
.LBB1427_127:
	flat_load_b32 v19, v0, s[12:13] offset:5120 scale_offset
	s_wait_xcnt 0x0
	s_or_b32 exec_lo, exec_lo, s0
                                        ; implicit-def: $vgpr20
	s_and_saveexec_b32 s0, s5
	s_cbranch_execnz .LBB1427_34
.LBB1427_128:
	s_or_b32 exec_lo, exec_lo, s0
                                        ; implicit-def: $vgpr21
	s_and_saveexec_b32 s0, s6
	s_cbranch_execz .LBB1427_35
.LBB1427_129:
	flat_load_b32 v21, v0, s[12:13] offset:7168 scale_offset
	s_wait_xcnt 0x0
	s_or_b32 exec_lo, exec_lo, s0
                                        ; implicit-def: $vgpr22
	s_and_saveexec_b32 s0, s7
	s_cbranch_execnz .LBB1427_36
.LBB1427_130:
	s_or_b32 exec_lo, exec_lo, s0
                                        ; implicit-def: $vgpr23
	s_and_saveexec_b32 s0, s8
	s_cbranch_execz .LBB1427_37
.LBB1427_131:
	flat_load_b32 v23, v0, s[12:13] offset:9216 scale_offset
	s_wait_xcnt 0x0
	s_or_b32 exec_lo, exec_lo, s0
                                        ; implicit-def: $vgpr24
	s_and_saveexec_b32 s0, s9
	s_cbranch_execz .LBB1427_39
	s_branch .LBB1427_38
.LBB1427_132:
                                        ; implicit-def: $vgpr13
                                        ; implicit-def: $vgpr9
                                        ; implicit-def: $vgpr5
	s_cbranch_execnz .LBB1427_178
.LBB1427_133:
	s_add_nc_u64 s[0:1], s[14:15], s[26:27]
	s_and_b32 vcc_lo, exec_lo, s19
	s_add_nc_u64 s[0:1], s[0:1], s[20:21]
	s_cbranch_vccz .LBB1427_197
.LBB1427_134:
	v_mul_u32_u24_e32 v1, 12, v0
	s_add_co_i32 s29, s29, s18
	s_mov_b32 s2, exec_lo
	s_delay_alu instid0(VALU_DEP_1)
	v_cmpx_gt_u32_e64 s29, v1
	s_cbranch_execz .LBB1427_150
; %bb.135:
	v_or_b32_e32 v15, 1, v1
	s_mov_b32 s3, exec_lo
	s_delay_alu instid0(VALU_DEP_1)
	v_cmpx_gt_u32_e64 s29, v15
	s_cbranch_execz .LBB1427_149
; %bb.136:
	v_or_b32_e32 v15, 2, v1
	;; [unrolled: 6-line block ×3, first 2 shown]
	s_mov_b32 s5, exec_lo
	s_delay_alu instid0(VALU_DEP_1)
	v_cmpx_gt_u32_e64 s29, v15
	s_cbranch_execz .LBB1427_147
; %bb.138:
	v_add_nc_u32_e32 v15, 4, v1
	s_mov_b32 s6, exec_lo
	s_delay_alu instid0(VALU_DEP_1)
	v_cmpx_gt_u32_e64 s29, v15
	s_cbranch_execz .LBB1427_146
; %bb.139:
	v_add_nc_u32_e32 v15, 5, v1
	;; [unrolled: 6-line block ×4, first 2 shown]
	s_mov_b32 s9, exec_lo
	s_delay_alu instid0(VALU_DEP_1)
	v_cmpx_gt_u32_e64 s29, v15
; %bb.142:
	v_add_nc_u32_e32 v15, 8, v1
	s_mov_b32 s10, exec_lo
	s_delay_alu instid0(VALU_DEP_1)
	v_cmpx_gt_u32_e64 s29, v15
	s_or_b32 exec_lo, exec_lo, s10
; %bb.143:
	s_delay_alu instid0(SALU_CYCLE_1)
	s_or_b32 exec_lo, exec_lo, s9
.LBB1427_144:
	s_delay_alu instid0(SALU_CYCLE_1)
	s_or_b32 exec_lo, exec_lo, s8
.LBB1427_145:
	s_delay_alu instid0(SALU_CYCLE_1)
	s_or_b32 exec_lo, exec_lo, s7
.LBB1427_146:
	s_delay_alu instid0(SALU_CYCLE_1)
	s_or_b32 exec_lo, exec_lo, s6
.LBB1427_147:
	s_delay_alu instid0(SALU_CYCLE_1)
	s_or_b32 exec_lo, exec_lo, s5
.LBB1427_148:
	s_delay_alu instid0(SALU_CYCLE_1)
	s_or_b32 exec_lo, exec_lo, s4
.LBB1427_149:
	s_delay_alu instid0(SALU_CYCLE_1)
	s_or_b32 exec_lo, exec_lo, s3
.LBB1427_150:
	s_delay_alu instid0(SALU_CYCLE_1) | instskip(SKIP_3) | instid1(VALU_DEP_1)
	s_or_b32 exec_lo, exec_lo, s2
	v_lshlrev_b32_e32 v1, 2, v1
	s_barrier_signal -1
	s_barrier_wait -1
	v_mad_i32_i24 v15, 0xffffffd4, v0, v1
	ds_store_b128 v1, v[2:5]
	ds_store_b128 v1, v[6:9] offset:16
	ds_store_b128 v1, v[10:13] offset:32
	s_wait_dscnt 0x0
	s_barrier_signal -1
	s_barrier_wait -1
	ds_load_2addr_stride64_b32 v[26:27], v15 offset0:4 offset1:8
	ds_load_2addr_stride64_b32 v[24:25], v15 offset0:12 offset1:16
	;; [unrolled: 1-line block ×5, first 2 shown]
	ds_load_b32 v17, v15 offset:11264
	v_mov_b32_e32 v15, 0
	s_mov_b32 s2, exec_lo
	s_delay_alu instid0(VALU_DEP_1)
	v_add_nc_u64_e32 v[14:15], s[0:1], v[14:15]
	v_cmpx_gt_u32_e64 s29, v0
	s_cbranch_execz .LBB1427_152
; %bb.151:
	v_mul_i32_i24_e32 v16, 0xffffffd4, v0
	s_delay_alu instid0(VALU_DEP_1)
	v_add_nc_u32_e32 v1, v1, v16
	ds_load_b32 v1, v1
	s_wait_dscnt 0x0
	flat_store_b32 v[14:15], v1
.LBB1427_152:
	s_wait_xcnt 0x0
	s_or_b32 exec_lo, exec_lo, s2
	v_or_b32_e32 v1, 0x100, v0
	s_mov_b32 s2, exec_lo
	s_delay_alu instid0(VALU_DEP_1)
	v_cmpx_gt_u32_e64 s29, v1
	s_cbranch_execz .LBB1427_154
; %bb.153:
	s_wait_dscnt 0x5
	flat_store_b32 v[14:15], v26 offset:1024
.LBB1427_154:
	s_wait_xcnt 0x0
	s_or_b32 exec_lo, exec_lo, s2
	v_or_b32_e32 v1, 0x200, v0
	s_mov_b32 s2, exec_lo
	s_delay_alu instid0(VALU_DEP_1)
	v_cmpx_gt_u32_e64 s29, v1
	s_cbranch_execz .LBB1427_156
; %bb.155:
	s_wait_dscnt 0x5
	flat_store_b32 v[14:15], v27 offset:2048
.LBB1427_156:
	s_wait_xcnt 0x0
	s_or_b32 exec_lo, exec_lo, s2
	v_or_b32_e32 v1, 0x300, v0
	s_mov_b32 s2, exec_lo
	s_delay_alu instid0(VALU_DEP_1)
	v_cmpx_gt_u32_e64 s29, v1
	s_cbranch_execz .LBB1427_158
; %bb.157:
	s_wait_dscnt 0x4
	flat_store_b32 v[14:15], v24 offset:3072
.LBB1427_158:
	s_wait_xcnt 0x0
	s_or_b32 exec_lo, exec_lo, s2
	v_or_b32_e32 v1, 0x400, v0
	s_mov_b32 s2, exec_lo
	s_delay_alu instid0(VALU_DEP_1)
	v_cmpx_gt_u32_e64 s29, v1
	s_cbranch_execz .LBB1427_160
; %bb.159:
	s_wait_dscnt 0x4
	flat_store_b32 v[14:15], v25 offset:4096
.LBB1427_160:
	s_wait_xcnt 0x0
	s_or_b32 exec_lo, exec_lo, s2
	v_or_b32_e32 v1, 0x500, v0
	s_mov_b32 s2, exec_lo
	s_delay_alu instid0(VALU_DEP_1)
	v_cmpx_gt_u32_e64 s29, v1
	s_cbranch_execz .LBB1427_162
; %bb.161:
	s_wait_dscnt 0x3
	flat_store_b32 v[14:15], v22 offset:5120
.LBB1427_162:
	s_wait_xcnt 0x0
	s_or_b32 exec_lo, exec_lo, s2
	v_or_b32_e32 v1, 0x600, v0
	s_mov_b32 s2, exec_lo
	s_delay_alu instid0(VALU_DEP_1)
	v_cmpx_gt_u32_e64 s29, v1
	s_cbranch_execz .LBB1427_164
; %bb.163:
	s_wait_dscnt 0x3
	flat_store_b32 v[14:15], v23 offset:6144
.LBB1427_164:
	s_wait_xcnt 0x0
	s_or_b32 exec_lo, exec_lo, s2
	v_or_b32_e32 v1, 0x700, v0
	s_mov_b32 s2, exec_lo
	s_delay_alu instid0(VALU_DEP_1)
	v_cmpx_gt_u32_e64 s29, v1
	s_cbranch_execz .LBB1427_166
; %bb.165:
	s_wait_dscnt 0x2
	flat_store_b32 v[14:15], v20 offset:7168
.LBB1427_166:
	s_wait_xcnt 0x0
	s_or_b32 exec_lo, exec_lo, s2
	v_or_b32_e32 v1, 0x800, v0
	s_mov_b32 s2, exec_lo
	s_delay_alu instid0(VALU_DEP_1)
	v_cmpx_gt_u32_e64 s29, v1
	s_cbranch_execz .LBB1427_168
; %bb.167:
	s_wait_dscnt 0x2
	flat_store_b32 v[14:15], v21 offset:8192
.LBB1427_168:
	s_wait_xcnt 0x0
	s_or_b32 exec_lo, exec_lo, s2
	v_or_b32_e32 v1, 0x900, v0
	s_mov_b32 s2, exec_lo
	s_delay_alu instid0(VALU_DEP_1)
	v_cmpx_gt_u32_e64 s29, v1
	s_cbranch_execz .LBB1427_170
; %bb.169:
	s_wait_dscnt 0x1
	flat_store_b32 v[14:15], v18 offset:9216
.LBB1427_170:
	s_wait_xcnt 0x0
	s_or_b32 exec_lo, exec_lo, s2
	v_or_b32_e32 v1, 0xa00, v0
	s_mov_b32 s2, exec_lo
	s_delay_alu instid0(VALU_DEP_1)
	v_cmpx_gt_u32_e64 s29, v1
	s_cbranch_execz .LBB1427_172
; %bb.171:
	s_wait_dscnt 0x1
	flat_store_b32 v[14:15], v19 offset:10240
.LBB1427_172:
	s_wait_xcnt 0x0
	s_or_b32 exec_lo, exec_lo, s2
	v_or_b32_e32 v1, 0xb00, v0
	s_delay_alu instid0(VALU_DEP_1)
	v_cmp_gt_u32_e64 s2, s29, v1
	s_branch .LBB1427_199
.LBB1427_173:
	s_and_saveexec_b32 s12, s11
	s_cbranch_execz .LBB1427_175
; %bb.174:
	v_and_b32_e32 v4, 0xff, v3
	v_dual_add_f32 v5, v57, v2 :: v_dual_bitop2_b32 v3, 1, v3 bitop3:0x40
	s_mov_b32 s35, 0
	s_add_co_i32 s34, s28, 32
	s_delay_alu instid0(VALU_DEP_2)
	v_cmp_eq_u32_e32 vcc_lo, 0, v4
	v_and_b32_e32 v6, 1, v56
	s_lshl_b64 s[34:35], s[34:35], 4
	v_mov_b32_e32 v4, 2
	s_add_nc_u64 s[34:35], s[16:17], s[34:35]
	v_cndmask_b32_e32 v2, v2, v5, vcc_lo
	v_cmp_eq_u32_e32 vcc_lo, 1, v3
	v_mov_b32_e32 v5, 0
	v_cndmask_b32_e64 v3, v6, 1, vcc_lo
	v_mov_b64_e32 v[6:7], s[34:35]
	;;#ASMSTART
	global_store_b128 v[6:7], v[2:5] off scope:SCOPE_DEV	
s_wait_storecnt 0x0
	;;#ASMEND
.LBB1427_175:
	s_or_b32 exec_lo, exec_lo, s12
	s_delay_alu instid0(SALU_CYCLE_1)
	s_and_b32 exec_lo, exec_lo, s10
	s_cbranch_execz .LBB1427_177
; %bb.176:
	v_mov_b32_e32 v2, 0
	ds_store_b32 v2, v57
	ds_store_b8 v2, v56 offset:4
.LBB1427_177:
	s_or_b32 exec_lo, exec_lo, s30
	s_wait_dscnt 0x0
	v_cmp_eq_u32_e32 vcc_lo, 0, v13
	v_mov_b32_e32 v2, 0
	s_barrier_signal -1
	s_barrier_wait -1
	ds_load_b32 v2, v2
	s_wait_dscnt 0x0
	v_add_f32_e32 v3, v12, v2
	s_delay_alu instid0(VALU_DEP_1) | instskip(SKIP_1) | instid1(VALU_DEP_2)
	v_cndmask_b32_e32 v3, v12, v3, vcc_lo
	v_cmp_eq_u16_e32 vcc_lo, 0, v30
	v_cndmask_b32_e64 v2, v3, v2, s10
	s_delay_alu instid0(VALU_DEP_1) | instskip(NEXT) | instid1(VALU_DEP_1)
	v_add_f32_e32 v3, v27, v2
	v_cndmask_b32_e32 v3, v27, v3, vcc_lo
	s_delay_alu instid0(VALU_DEP_1) | instskip(NEXT) | instid1(VALU_DEP_1)
	v_add_f32_e32 v4, v15, v3
	v_cndmask_b32_e64 v4, v15, v4, s0
	s_delay_alu instid0(VALU_DEP_1) | instskip(NEXT) | instid1(VALU_DEP_1)
	v_add_f32_e32 v5, v25, v4
	v_cndmask_b32_e64 v5, v25, v5, s1
	;; [unrolled: 3-line block ×10, first 2 shown]
	s_branch .LBB1427_133
.LBB1427_178:
	s_cmp_eq_u64 s[24:25], 0
	v_mov_b32_e32 v47, s33
	s_cselect_b32 s0, -1, 0
	s_cmp_eq_u64 s[22:23], 0
	s_cselect_b32 s1, -1, 0
	s_delay_alu instid0(SALU_CYCLE_1) | instskip(NEXT) | instid1(SALU_CYCLE_1)
	s_or_b32 s0, s0, s1
	s_and_b32 vcc_lo, exec_lo, s0
	s_cbranch_vccnz .LBB1427_180
; %bb.179:
	v_mov_b32_e32 v2, 0
	global_load_b32 v47, v2, s[22:23]
.LBB1427_180:
	v_cmp_eq_u16_e32 vcc_lo, 0, v46
	v_cmp_eq_u16_e64 s0, 0, v45
	v_cmp_eq_u16_e64 s1, 0, v44
	;; [unrolled: 1-line block ×4, first 2 shown]
	s_wait_xcnt 0x0
	v_dual_cndmask_b32 v2, v15, v43, vcc_lo :: v_dual_bitop2_b32 v4, 56, v34 bitop3:0x40
	v_cmp_eq_u16_e64 s4, 0, v40
	v_cmp_eq_u16_e64 s5, 0, v39
	v_cmp_eq_u16_e64 s6, 0, v38
	s_delay_alu instid0(VALU_DEP_4)
	v_add_f32_e32 v2, v25, v2
	v_cmp_eq_u16_e64 s7, 0, v37
	v_bitop3_b16 v3, v36, v26, v28 bitop3:0xfe
	v_cmp_eq_u16_e64 s8, 0, v35
	v_lshl_add_u32 v4, v0, 3, v4
	v_cndmask_b32_e64 v2, v25, v2, s0
	s_mov_b32 s11, exec_lo
	v_bitop3_b16 v3, v3, v29, v24 bitop3:0xfe
	s_delay_alu instid0(VALU_DEP_2) | instskip(NEXT) | instid1(VALU_DEP_2)
	v_add_f32_e32 v2, v23, v2
	v_bitop3_b16 v3, v33, 0xff, v3 bitop3:0xc8
	s_delay_alu instid0(VALU_DEP_2) | instskip(NEXT) | instid1(VALU_DEP_2)
	v_cndmask_b32_e64 v2, v23, v2, s1
	v_cmp_eq_u16_e64 s9, 0, v3
	s_delay_alu instid0(VALU_DEP_2) | instskip(NEXT) | instid1(VALU_DEP_2)
	v_add_f32_e32 v2, v22, v2
	v_cndmask_b32_e64 v3, 1, v30, s9
	v_cmp_eq_u16_e64 s9, 0, v31
	s_delay_alu instid0(VALU_DEP_3) | instskip(NEXT) | instid1(VALU_DEP_1)
	v_cndmask_b32_e64 v2, v22, v2, s2
	v_add_f32_e32 v2, v20, v2
	s_delay_alu instid0(VALU_DEP_1) | instskip(NEXT) | instid1(VALU_DEP_1)
	v_cndmask_b32_e64 v2, v20, v2, s3
	v_add_f32_e32 v2, v19, v2
	s_delay_alu instid0(VALU_DEP_1) | instskip(NEXT) | instid1(VALU_DEP_1)
	;; [unrolled: 3-line block ×6, first 2 shown]
	v_cndmask_b32_e64 v2, v16, v2, s8
	v_add_f32_e32 v2, v21, v2
	s_delay_alu instid0(VALU_DEP_1) | instskip(SKIP_1) | instid1(VALU_DEP_1)
	v_cndmask_b32_e64 v5, v21, v2, s9
	v_cmp_eq_u32_e64 s9, 1, v32
	v_cndmask_b32_e64 v6, v3, 1, s9
	ds_store_b32 v4, v5
	ds_store_b8 v4, v6 offset:4
	s_wait_loadcnt_dscnt 0x0
	s_barrier_signal -1
	s_barrier_wait -1
	v_cmpx_gt_u32_e32 32, v0
	s_cbranch_execz .LBB1427_192
; %bb.181:
	v_dual_lshlrev_b32 v2, 1, v0 :: v_dual_lshlrev_b32 v3, 6, v0
	s_mov_b32 s12, exec_lo
	s_delay_alu instid0(VALU_DEP_1) | instskip(NEXT) | instid1(VALU_DEP_1)
	v_and_b32_e32 v2, 0x1f8, v2
	v_add_nc_u32_e32 v4, v2, v3
	ds_load_2addr_b32 v[8:9], v4 offset0:2 offset1:4
	ds_load_b64 v[2:3], v4
	ds_load_u8 v7, v4 offset:12
	ds_load_2addr_b32 v[10:11], v4 offset0:6 offset1:8
	ds_load_u8 v12, v4 offset:20
	ds_load_u8 v13, v4 offset:28
	;; [unrolled: 1-line block ×5, first 2 shown]
	ds_load_b32 v28, v4 offset:56
	s_wait_dscnt 0x8
	v_add_f32_e32 v29, v2, v8
	s_wait_dscnt 0x7
	v_cmp_eq_u16_e64 s9, 0, v7
	s_wait_dscnt 0x5
	v_or_b32_e32 v7, v12, v7
	s_delay_alu instid0(VALU_DEP_2) | instskip(SKIP_2) | instid1(VALU_DEP_3)
	v_cndmask_b32_e64 v8, v8, v29, s9
	v_cmp_eq_u16_e64 s9, 0, v12
	s_wait_dscnt 0x3
	v_bitop3_b16 v7, v7, v21, v13 bitop3:0xfe
	s_delay_alu instid0(VALU_DEP_3) | instskip(NEXT) | instid1(VALU_DEP_1)
	v_add_f32_e32 v8, v9, v8
	v_cndmask_b32_e64 v29, v9, v8, s9
	ds_load_2addr_b32 v[8:9], v4 offset0:10 offset1:12
	v_cmp_eq_u16_e64 s9, 0, v13
	v_and_b32_e32 v13, 0xffffff00, v3
	v_add_f32_e32 v29, v10, v29
	s_delay_alu instid0(VALU_DEP_1) | instskip(SKIP_3) | instid1(VALU_DEP_1)
	v_cndmask_b32_e64 v10, v10, v29, s9
	v_cmp_eq_u16_e64 s9, 0, v21
	ds_load_u8 v29, v4 offset:60
	v_add_f32_e32 v10, v11, v10
	v_cndmask_b32_e64 v10, v11, v10, s9
	s_wait_dscnt 0x4
	v_cmp_eq_u16_e64 s9, 0, v24
	s_wait_dscnt 0x1
	s_delay_alu instid0(VALU_DEP_2) | instskip(NEXT) | instid1(VALU_DEP_1)
	v_add_f32_e32 v10, v8, v10
	v_cndmask_b32_e64 v8, v8, v10, s9
	v_bitop3_b16 v10, v7, v26, v24 bitop3:0xfe
	v_and_b32_e32 v7, 1, v3
	s_wait_dscnt 0x0
	v_and_b32_e32 v11, 1, v29
	s_delay_alu instid0(VALU_DEP_3) | instskip(NEXT) | instid1(VALU_DEP_1)
	v_cmp_eq_u16_e64 s9, 0, v10
	v_dual_add_f32 v8, v9, v8 :: v_dual_cndmask_b32 v10, 1, v7, s9
	v_cmp_eq_u16_e64 s9, 0, v26
	s_delay_alu instid0(VALU_DEP_1) | instskip(SKIP_1) | instid1(VALU_DEP_1)
	v_cndmask_b32_e64 v8, v9, v8, s9
	v_cmp_eq_u32_e64 s9, 1, v11
	v_cndmask_b32_e64 v11, v10, 1, s9
	v_cmp_eq_u16_e64 s9, 0, v29
	s_delay_alu instid0(VALU_DEP_2) | instskip(SKIP_1) | instid1(VALU_DEP_2)
	v_dual_add_f32 v9, v28, v8 :: v_dual_bitop2_b32 v10, v11, v13 bitop3:0x54
	v_mbcnt_lo_u32_b32 v8, -1, 0
	v_mov_b32_dpp v24, v10 row_shr:1 row_mask:0xf bank_mask:0xf
	s_delay_alu instid0(VALU_DEP_2) | instskip(NEXT) | instid1(VALU_DEP_1)
	v_dual_cndmask_b32 v9, v28, v9, s9 :: v_dual_bitop2_b32 v12, 15, v8 bitop3:0x40
	v_mov_b32_dpp v21, v9 row_shr:1 row_mask:0xf bank_mask:0xf
	s_delay_alu instid0(VALU_DEP_2)
	v_cmpx_ne_u32_e32 0, v12
	s_cbranch_execz .LBB1427_183
; %bb.182:
	s_delay_alu instid0(VALU_DEP_2) | instskip(SKIP_2) | instid1(VALU_DEP_3)
	v_dual_add_f32 v21, v9, v21 :: v_dual_bitop2_b32 v10, 1, v11 bitop3:0x40
	v_cmp_eq_u32_e64 s9, 0, v11
	v_and_b32_e32 v24, 1, v24
	v_cmp_eq_u32_e64 s10, 1, v10
	s_delay_alu instid0(VALU_DEP_3) | instskip(NEXT) | instid1(VALU_DEP_2)
	v_cndmask_b32_e64 v9, v9, v21, s9
	v_cndmask_b32_e64 v11, v24, 1, s10
	s_delay_alu instid0(VALU_DEP_1)
	v_or_b32_e32 v10, v11, v13
.LBB1427_183:
	s_or_b32 exec_lo, exec_lo, s12
	s_delay_alu instid0(VALU_DEP_3) | instskip(NEXT) | instid1(VALU_DEP_2)
	v_mov_b32_dpp v13, v9 row_shr:2 row_mask:0xf bank_mask:0xf
	v_mov_b32_dpp v21, v10 row_shr:2 row_mask:0xf bank_mask:0xf
	s_mov_b32 s12, exec_lo
	v_cmpx_lt_u32_e32 1, v12
	s_cbranch_execz .LBB1427_185
; %bb.184:
	v_dual_add_f32 v13, v9, v13 :: v_dual_bitop2_b32 v24, 1, v11 bitop3:0x40
	v_and_b32_e32 v21, 1, v21
	v_cmp_eq_u32_e64 s9, 0, v11
	s_delay_alu instid0(VALU_DEP_3) | instskip(NEXT) | instid1(VALU_DEP_2)
	v_cmp_eq_u32_e64 s10, 1, v24
	v_cndmask_b32_e64 v9, v9, v13, s9
	s_delay_alu instid0(VALU_DEP_2) | instskip(NEXT) | instid1(VALU_DEP_1)
	v_cndmask_b32_e64 v11, v21, 1, s10
	v_and_or_b32 v10, 0xffffff00, v10, v11
.LBB1427_185:
	s_or_b32 exec_lo, exec_lo, s12
	s_delay_alu instid0(VALU_DEP_3) | instskip(NEXT) | instid1(VALU_DEP_2)
	v_mov_b32_dpp v13, v9 row_shr:4 row_mask:0xf bank_mask:0xf
	v_mov_b32_dpp v21, v10 row_shr:4 row_mask:0xf bank_mask:0xf
	s_mov_b32 s12, exec_lo
	v_cmpx_lt_u32_e32 3, v12
	s_cbranch_execz .LBB1427_187
; %bb.186:
	v_dual_add_f32 v13, v9, v13 :: v_dual_bitop2_b32 v24, 1, v11 bitop3:0x40
	v_and_b32_e32 v21, 1, v21
	v_cmp_eq_u32_e64 s9, 0, v11
	s_delay_alu instid0(VALU_DEP_3) | instskip(NEXT) | instid1(VALU_DEP_2)
	v_cmp_eq_u32_e64 s10, 1, v24
	v_cndmask_b32_e64 v9, v9, v13, s9
	s_delay_alu instid0(VALU_DEP_2) | instskip(NEXT) | instid1(VALU_DEP_1)
	v_cndmask_b32_e64 v11, v21, 1, s10
	v_and_or_b32 v10, 0xffffff00, v10, v11
.LBB1427_187:
	;; [unrolled: 18-line block ×3, first 2 shown]
	s_or_b32 exec_lo, exec_lo, s12
	ds_swizzle_b32 v12, v9 offset:swizzle(BROADCAST,32,15)
	ds_swizzle_b32 v13, v10 offset:swizzle(BROADCAST,32,15)
	v_and_b32_e32 v21, 16, v8
	s_mov_b32 s10, exec_lo
	s_delay_alu instid0(VALU_DEP_1)
	v_cmpx_ne_u32_e32 0, v21
	s_cbranch_execz .LBB1427_191
; %bb.190:
	s_wait_dscnt 0x1
	v_dual_add_f32 v12, v9, v12 :: v_dual_bitop2_b32 v21, 1, v11 bitop3:0x40
	s_wait_dscnt 0x0
	v_and_b32_e32 v13, 1, v13
	s_delay_alu instid0(VALU_DEP_2) | instskip(NEXT) | instid1(VALU_DEP_1)
	v_cmp_eq_u32_e64 s9, 1, v21
	v_cndmask_b32_e64 v13, v13, 1, s9
	v_cmp_eq_u32_e64 s9, 0, v11
	s_delay_alu instid0(VALU_DEP_2) | instskip(NEXT) | instid1(VALU_DEP_2)
	v_and_or_b32 v10, 0xffffff00, v10, v13
	v_cndmask_b32_e64 v9, v9, v12, s9
.LBB1427_191:
	s_or_b32 exec_lo, exec_lo, s10
	v_add_nc_u32_e32 v11, -1, v8
	v_and_b32_e32 v3, 0xff, v3
	; wave barrier
	s_delay_alu instid0(VALU_DEP_2) | instskip(NEXT) | instid1(VALU_DEP_1)
	v_cmp_gt_i32_e64 s9, 0, v11
	v_cndmask_b32_e64 v8, v11, v8, s9
	s_delay_alu instid0(VALU_DEP_3) | instskip(NEXT) | instid1(VALU_DEP_2)
	v_cmp_eq_u32_e64 s9, 0, v3
	v_lshlrev_b32_e32 v8, 2, v8
	ds_bpermute_b32 v9, v8, v9
	ds_bpermute_b32 v8, v8, v10
	s_wait_dscnt 0x0
	v_dual_add_f32 v9, v2, v9 :: v_dual_bitop2_b32 v8, 1, v8 bitop3:0x40
	s_delay_alu instid0(VALU_DEP_1) | instskip(SKIP_1) | instid1(VALU_DEP_1)
	v_cndmask_b32_e64 v2, v2, v9, s9
	v_cmp_eq_u32_e64 s9, 1, v7
	v_cndmask_b32_e64 v3, v8, 1, s9
	v_cmp_eq_u32_e64 s9, 0, v0
	s_delay_alu instid0(VALU_DEP_1)
	v_dual_cndmask_b32 v5, v2, v5, s9 :: v_dual_cndmask_b32 v8, v3, v6, s9
	ds_store_b32 v4, v5
	ds_store_b8 v4, v8 offset:4
	; wave barrier
	ds_load_2addr_b32 v[2:3], v4 offset0:2 offset1:4
	ds_load_u8 v9, v4 offset:12
	ds_load_u8 v10, v4 offset:20
	ds_load_2addr_b32 v[6:7], v4 offset0:6 offset1:8
	ds_load_u8 v11, v4 offset:28
	ds_load_u8 v12, v4 offset:36
	;; [unrolled: 1-line block ×4, first 2 shown]
	ds_load_b32 v24, v4 offset:56
	ds_load_u8 v26, v4 offset:60
	s_wait_dscnt 0x9
	v_add_f32_e32 v5, v5, v2
	s_wait_dscnt 0x8
	v_cmp_eq_u16_e64 s9, 0, v9
	s_delay_alu instid0(VALU_DEP_1) | instskip(SKIP_2) | instid1(VALU_DEP_2)
	v_cndmask_b32_e64 v5, v2, v5, s9
	s_wait_dscnt 0x7
	v_cmp_eq_u16_e64 s9, 0, v10
	v_add_f32_e32 v2, v5, v3
	s_delay_alu instid0(VALU_DEP_1)
	v_cndmask_b32_e64 v28, v3, v2, s9
	s_wait_dscnt 0x5
	v_cmp_eq_u16_e64 s9, 0, v11
	ds_load_2addr_b32 v[2:3], v4 offset0:10 offset1:12
	v_add_f32_e32 v29, v28, v6
	ds_store_2addr_b32 v4, v5, v28 offset0:2 offset1:4
	v_cndmask_b32_e64 v6, v6, v29, s9
	s_delay_alu instid0(VALU_DEP_1) | instskip(NEXT) | instid1(VALU_DEP_1)
	v_dual_add_f32 v29, v6, v7 :: v_dual_bitop2_b32 v9, 1, v9 bitop3:0x40
	v_cmp_eq_u32_e64 s9, 1, v9
	s_delay_alu instid0(VALU_DEP_1) | instskip(SKIP_2) | instid1(VALU_DEP_1)
	v_cndmask_b32_e64 v8, v8, 1, s9
	s_wait_dscnt 0x6
	v_cmp_eq_u16_e64 s9, 0, v12
	v_dual_cndmask_b32 v7, v7, v29, s9 :: v_dual_bitop2_b32 v10, 1, v10 bitop3:0x40
	v_and_b32_e32 v9, 1, v11
	s_delay_alu instid0(VALU_DEP_2) | instskip(SKIP_1) | instid1(VALU_DEP_3)
	v_cmp_eq_u32_e64 s9, 1, v10
	s_wait_dscnt 0x1
	v_dual_add_f32 v12, v7, v2 :: v_dual_bitop2_b32 v11, 1, v12 bitop3:0x40
	s_delay_alu instid0(VALU_DEP_2) | instskip(SKIP_1) | instid1(VALU_DEP_1)
	v_cndmask_b32_e64 v10, v8, 1, s9
	v_cmp_eq_u32_e64 s9, 1, v9
	v_cndmask_b32_e64 v9, v10, 1, s9
	v_cmp_eq_u16_e64 s9, 0, v13
	s_delay_alu instid0(VALU_DEP_1) | instskip(SKIP_1) | instid1(VALU_DEP_2)
	v_dual_cndmask_b32 v2, v2, v12, s9 :: v_dual_bitop2_b32 v29, 1, v13 bitop3:0x40
	v_cmp_eq_u32_e64 s9, 1, v11
	v_add_f32_e32 v13, v2, v3
	s_delay_alu instid0(VALU_DEP_2) | instskip(NEXT) | instid1(VALU_DEP_4)
	v_cndmask_b32_e64 v11, v9, 1, s9
	v_cmp_eq_u32_e64 s9, 1, v29
	s_delay_alu instid0(VALU_DEP_1) | instskip(SKIP_1) | instid1(VALU_DEP_1)
	v_cndmask_b32_e64 v29, v11, 1, s9
	v_cmp_eq_u16_e64 s9, 0, v21
	v_dual_cndmask_b32 v3, v3, v13, s9 :: v_dual_bitop2_b32 v31, 1, v26 bitop3:0x40
	v_and_b32_e32 v12, 1, v21
	ds_store_2addr_b32 v4, v6, v7 offset0:6 offset1:8
	ds_store_2addr_b32 v4, v2, v3 offset0:10 offset1:12
	v_add_f32_e32 v5, v3, v24
	v_cmp_eq_u32_e64 s9, 1, v12
	s_delay_alu instid0(VALU_DEP_1) | instskip(SKIP_1) | instid1(VALU_DEP_1)
	v_cndmask_b32_e64 v12, v29, 1, s9
	v_cmp_eq_u32_e64 s9, 1, v31
	v_cndmask_b32_e64 v13, v12, 1, s9
	v_cmp_eq_u16_e64 s9, 0, v26
	s_delay_alu instid0(VALU_DEP_1)
	v_cndmask_b32_e64 v2, v24, v5, s9
	ds_store_b8 v4, v8 offset:12
	ds_store_b8 v4, v10 offset:20
	;; [unrolled: 1-line block ×6, first 2 shown]
	ds_store_b32 v4, v2 offset:56
	ds_store_b8 v4, v13 offset:60
.LBB1427_192:
	s_or_b32 exec_lo, exec_lo, s11
	v_cmp_eq_u32_e64 s9, 0, v0
	v_mov_b32_e32 v2, v47
	s_mov_b32 s11, exec_lo
	s_wait_dscnt 0x0
	s_barrier_signal -1
	s_barrier_wait -1
	v_cmpx_ne_u32_e32 0, v0
	s_cbranch_execz .LBB1427_194
; %bb.193:
	v_add_nc_u32_e32 v2, -1, v0
	s_delay_alu instid0(VALU_DEP_1) | instskip(NEXT) | instid1(VALU_DEP_1)
	v_lshrrev_b32_e32 v3, 2, v2
	v_and_b32_e32 v3, 0x3ffffff8, v3
	s_delay_alu instid0(VALU_DEP_1)
	v_lshl_add_u32 v2, v2, 3, v3
	ds_load_b32 v3, v2
	ds_load_u8 v2, v2 offset:4
	s_wait_dscnt 0x1
	v_add_f32_e32 v4, v47, v3
	s_wait_dscnt 0x0
	v_cmp_eq_u16_e64 s10, 0, v2
	s_delay_alu instid0(VALU_DEP_1)
	v_cndmask_b32_e64 v2, v3, v4, s10
.LBB1427_194:
	s_or_b32 exec_lo, exec_lo, s11
	s_delay_alu instid0(VALU_DEP_1) | instskip(SKIP_1) | instid1(VALU_DEP_1)
	v_add_f32_e32 v3, v27, v2
	v_cmp_eq_u16_e64 s10, 0, v30
	v_cndmask_b32_e64 v3, v27, v3, s10
	s_delay_alu instid0(VALU_DEP_1) | instskip(NEXT) | instid1(VALU_DEP_1)
	v_add_f32_e32 v4, v15, v3
	v_cndmask_b32_e32 v4, v15, v4, vcc_lo
	s_delay_alu instid0(VALU_DEP_1) | instskip(NEXT) | instid1(VALU_DEP_1)
	v_add_f32_e32 v5, v25, v4
	v_cndmask_b32_e64 v5, v25, v5, s0
	s_delay_alu instid0(VALU_DEP_1) | instskip(NEXT) | instid1(VALU_DEP_1)
	v_add_f32_e32 v6, v23, v5
	v_cndmask_b32_e64 v6, v23, v6, s1
	;; [unrolled: 3-line block ×9, first 2 shown]
	s_and_saveexec_b32 s0, s9
	s_cbranch_execz .LBB1427_196
; %bb.195:
	v_mov_b32_e32 v21, 0
	s_add_nc_u64 s[2:3], s[16:17], 0x200
	ds_load_u8 v1, v21 offset:2100
	ds_load_b32 v15, v21 offset:2096
	s_wait_dscnt 0x1
	v_and_b32_e32 v20, 0xffff, v1
	s_wait_dscnt 0x0
	v_dual_add_f32 v1, v47, v15 :: v_dual_mov_b32 v18, 2
	v_mov_b32_e32 v19, v21
	s_delay_alu instid0(VALU_DEP_3)
	v_cmp_eq_u64_e32 vcc_lo, 0, v[20:21]
	v_mov_b32_e32 v17, v20
	v_mov_b64_e32 v[20:21], s[2:3]
	v_cndmask_b32_e32 v16, v15, v1, vcc_lo
	;;#ASMSTART
	global_store_b128 v[20:21], v[16:19] off scope:SCOPE_DEV	
s_wait_storecnt 0x0
	;;#ASMEND
.LBB1427_196:
	s_or_b32 exec_lo, exec_lo, s0
	s_add_nc_u64 s[0:1], s[14:15], s[26:27]
	s_and_b32 vcc_lo, exec_lo, s19
	s_add_nc_u64 s[0:1], s[0:1], s[20:21]
	s_cbranch_vccnz .LBB1427_134
.LBB1427_197:
	s_mov_b32 s2, 0
                                        ; implicit-def: $vgpr17
	s_cbranch_execz .LBB1427_199
; %bb.198:
	v_mul_u32_u24_e32 v1, 48, v0
	v_mul_i32_i24_e32 v14, 0xffffffd4, v0
	s_wait_storecnt_dscnt 0x0
	s_barrier_signal -1
	s_barrier_wait -1
	ds_store_b128 v1, v[2:5]
	ds_store_b128 v1, v[6:9] offset:16
	ds_store_b128 v1, v[10:13] offset:32
	v_mad_u32_u24 v1, v0, 48, v14
	s_wait_dscnt 0x0
	s_barrier_signal -1
	s_barrier_wait -1
	ds_load_2addr_stride64_b32 v[2:3], v1 offset1:4
	ds_load_2addr_stride64_b32 v[4:5], v1 offset0:8 offset1:12
	ds_load_2addr_stride64_b32 v[6:7], v1 offset0:16 offset1:20
	;; [unrolled: 1-line block ×5, first 2 shown]
	s_or_b32 s2, s2, exec_lo
	s_wait_dscnt 0x5
	s_clause 0x1
	flat_store_b32 v0, v2, s[0:1] scale_offset
	flat_store_b32 v0, v3, s[0:1] offset:1024 scale_offset
	s_wait_dscnt 0x6
	s_clause 0x1
	flat_store_b32 v0, v4, s[0:1] offset:2048 scale_offset
	flat_store_b32 v0, v5, s[0:1] offset:3072 scale_offset
	s_wait_dscnt 0x7
	s_clause 0x1
	flat_store_b32 v0, v6, s[0:1] offset:4096 scale_offset
	;; [unrolled: 4-line block ×4, first 2 shown]
	flat_store_b32 v0, v11, s[0:1] offset:9216 scale_offset
	s_wait_dscnt 0xa
	flat_store_b32 v0, v16, s[0:1] offset:10240 scale_offset
.LBB1427_199:
	s_wait_xcnt 0x0
	s_delay_alu instid0(VALU_DEP_1)
	s_and_saveexec_b32 s3, s2
	s_cbranch_execz .LBB1427_201
; %bb.200:
	s_wait_dscnt 0x0
	flat_store_b32 v0, v17, s[0:1] offset:11264 scale_offset
	s_endpgm
.LBB1427_201:
	s_endpgm
	.section	.rodata,"a",@progbits
	.p2align	6, 0x0
	.amdhsa_kernel _ZN7rocprim17ROCPRIM_400000_NS6detail17trampoline_kernelINS0_14default_configENS1_27scan_by_key_config_selectorIifEEZZNS1_16scan_by_key_implILNS1_25lookback_scan_determinismE0ELb1ES3_N6thrust23THRUST_200600_302600_NS6detail15normal_iteratorINS9_10device_ptrIiEEEENSB_INSC_IfEEEESG_fNS9_4plusIvEENS9_8equal_toIvEEfEE10hipError_tPvRmT2_T3_T4_T5_mT6_T7_P12ihipStream_tbENKUlT_T0_E_clISt17integral_constantIbLb0EES11_EEDaSW_SX_EUlSW_E_NS1_11comp_targetILNS1_3genE0ELNS1_11target_archE4294967295ELNS1_3gpuE0ELNS1_3repE0EEENS1_30default_config_static_selectorELNS0_4arch9wavefront6targetE0EEEvT1_
		.amdhsa_group_segment_fixed_size 14336
		.amdhsa_private_segment_fixed_size 0
		.amdhsa_kernarg_size 112
		.amdhsa_user_sgpr_count 2
		.amdhsa_user_sgpr_dispatch_ptr 0
		.amdhsa_user_sgpr_queue_ptr 0
		.amdhsa_user_sgpr_kernarg_segment_ptr 1
		.amdhsa_user_sgpr_dispatch_id 0
		.amdhsa_user_sgpr_kernarg_preload_length 0
		.amdhsa_user_sgpr_kernarg_preload_offset 0
		.amdhsa_user_sgpr_private_segment_size 0
		.amdhsa_wavefront_size32 1
		.amdhsa_uses_dynamic_stack 0
		.amdhsa_enable_private_segment 0
		.amdhsa_system_sgpr_workgroup_id_x 1
		.amdhsa_system_sgpr_workgroup_id_y 0
		.amdhsa_system_sgpr_workgroup_id_z 0
		.amdhsa_system_sgpr_workgroup_info 0
		.amdhsa_system_vgpr_workitem_id 0
		.amdhsa_next_free_vgpr 62
		.amdhsa_next_free_sgpr 48
		.amdhsa_named_barrier_count 0
		.amdhsa_reserve_vcc 1
		.amdhsa_float_round_mode_32 0
		.amdhsa_float_round_mode_16_64 0
		.amdhsa_float_denorm_mode_32 3
		.amdhsa_float_denorm_mode_16_64 3
		.amdhsa_fp16_overflow 0
		.amdhsa_memory_ordered 1
		.amdhsa_forward_progress 1
		.amdhsa_inst_pref_size 103
		.amdhsa_round_robin_scheduling 0
		.amdhsa_exception_fp_ieee_invalid_op 0
		.amdhsa_exception_fp_denorm_src 0
		.amdhsa_exception_fp_ieee_div_zero 0
		.amdhsa_exception_fp_ieee_overflow 0
		.amdhsa_exception_fp_ieee_underflow 0
		.amdhsa_exception_fp_ieee_inexact 0
		.amdhsa_exception_int_div_zero 0
	.end_amdhsa_kernel
	.section	.text._ZN7rocprim17ROCPRIM_400000_NS6detail17trampoline_kernelINS0_14default_configENS1_27scan_by_key_config_selectorIifEEZZNS1_16scan_by_key_implILNS1_25lookback_scan_determinismE0ELb1ES3_N6thrust23THRUST_200600_302600_NS6detail15normal_iteratorINS9_10device_ptrIiEEEENSB_INSC_IfEEEESG_fNS9_4plusIvEENS9_8equal_toIvEEfEE10hipError_tPvRmT2_T3_T4_T5_mT6_T7_P12ihipStream_tbENKUlT_T0_E_clISt17integral_constantIbLb0EES11_EEDaSW_SX_EUlSW_E_NS1_11comp_targetILNS1_3genE0ELNS1_11target_archE4294967295ELNS1_3gpuE0ELNS1_3repE0EEENS1_30default_config_static_selectorELNS0_4arch9wavefront6targetE0EEEvT1_,"axG",@progbits,_ZN7rocprim17ROCPRIM_400000_NS6detail17trampoline_kernelINS0_14default_configENS1_27scan_by_key_config_selectorIifEEZZNS1_16scan_by_key_implILNS1_25lookback_scan_determinismE0ELb1ES3_N6thrust23THRUST_200600_302600_NS6detail15normal_iteratorINS9_10device_ptrIiEEEENSB_INSC_IfEEEESG_fNS9_4plusIvEENS9_8equal_toIvEEfEE10hipError_tPvRmT2_T3_T4_T5_mT6_T7_P12ihipStream_tbENKUlT_T0_E_clISt17integral_constantIbLb0EES11_EEDaSW_SX_EUlSW_E_NS1_11comp_targetILNS1_3genE0ELNS1_11target_archE4294967295ELNS1_3gpuE0ELNS1_3repE0EEENS1_30default_config_static_selectorELNS0_4arch9wavefront6targetE0EEEvT1_,comdat
.Lfunc_end1427:
	.size	_ZN7rocprim17ROCPRIM_400000_NS6detail17trampoline_kernelINS0_14default_configENS1_27scan_by_key_config_selectorIifEEZZNS1_16scan_by_key_implILNS1_25lookback_scan_determinismE0ELb1ES3_N6thrust23THRUST_200600_302600_NS6detail15normal_iteratorINS9_10device_ptrIiEEEENSB_INSC_IfEEEESG_fNS9_4plusIvEENS9_8equal_toIvEEfEE10hipError_tPvRmT2_T3_T4_T5_mT6_T7_P12ihipStream_tbENKUlT_T0_E_clISt17integral_constantIbLb0EES11_EEDaSW_SX_EUlSW_E_NS1_11comp_targetILNS1_3genE0ELNS1_11target_archE4294967295ELNS1_3gpuE0ELNS1_3repE0EEENS1_30default_config_static_selectorELNS0_4arch9wavefront6targetE0EEEvT1_, .Lfunc_end1427-_ZN7rocprim17ROCPRIM_400000_NS6detail17trampoline_kernelINS0_14default_configENS1_27scan_by_key_config_selectorIifEEZZNS1_16scan_by_key_implILNS1_25lookback_scan_determinismE0ELb1ES3_N6thrust23THRUST_200600_302600_NS6detail15normal_iteratorINS9_10device_ptrIiEEEENSB_INSC_IfEEEESG_fNS9_4plusIvEENS9_8equal_toIvEEfEE10hipError_tPvRmT2_T3_T4_T5_mT6_T7_P12ihipStream_tbENKUlT_T0_E_clISt17integral_constantIbLb0EES11_EEDaSW_SX_EUlSW_E_NS1_11comp_targetILNS1_3genE0ELNS1_11target_archE4294967295ELNS1_3gpuE0ELNS1_3repE0EEENS1_30default_config_static_selectorELNS0_4arch9wavefront6targetE0EEEvT1_
                                        ; -- End function
	.set _ZN7rocprim17ROCPRIM_400000_NS6detail17trampoline_kernelINS0_14default_configENS1_27scan_by_key_config_selectorIifEEZZNS1_16scan_by_key_implILNS1_25lookback_scan_determinismE0ELb1ES3_N6thrust23THRUST_200600_302600_NS6detail15normal_iteratorINS9_10device_ptrIiEEEENSB_INSC_IfEEEESG_fNS9_4plusIvEENS9_8equal_toIvEEfEE10hipError_tPvRmT2_T3_T4_T5_mT6_T7_P12ihipStream_tbENKUlT_T0_E_clISt17integral_constantIbLb0EES11_EEDaSW_SX_EUlSW_E_NS1_11comp_targetILNS1_3genE0ELNS1_11target_archE4294967295ELNS1_3gpuE0ELNS1_3repE0EEENS1_30default_config_static_selectorELNS0_4arch9wavefront6targetE0EEEvT1_.num_vgpr, 62
	.set _ZN7rocprim17ROCPRIM_400000_NS6detail17trampoline_kernelINS0_14default_configENS1_27scan_by_key_config_selectorIifEEZZNS1_16scan_by_key_implILNS1_25lookback_scan_determinismE0ELb1ES3_N6thrust23THRUST_200600_302600_NS6detail15normal_iteratorINS9_10device_ptrIiEEEENSB_INSC_IfEEEESG_fNS9_4plusIvEENS9_8equal_toIvEEfEE10hipError_tPvRmT2_T3_T4_T5_mT6_T7_P12ihipStream_tbENKUlT_T0_E_clISt17integral_constantIbLb0EES11_EEDaSW_SX_EUlSW_E_NS1_11comp_targetILNS1_3genE0ELNS1_11target_archE4294967295ELNS1_3gpuE0ELNS1_3repE0EEENS1_30default_config_static_selectorELNS0_4arch9wavefront6targetE0EEEvT1_.num_agpr, 0
	.set _ZN7rocprim17ROCPRIM_400000_NS6detail17trampoline_kernelINS0_14default_configENS1_27scan_by_key_config_selectorIifEEZZNS1_16scan_by_key_implILNS1_25lookback_scan_determinismE0ELb1ES3_N6thrust23THRUST_200600_302600_NS6detail15normal_iteratorINS9_10device_ptrIiEEEENSB_INSC_IfEEEESG_fNS9_4plusIvEENS9_8equal_toIvEEfEE10hipError_tPvRmT2_T3_T4_T5_mT6_T7_P12ihipStream_tbENKUlT_T0_E_clISt17integral_constantIbLb0EES11_EEDaSW_SX_EUlSW_E_NS1_11comp_targetILNS1_3genE0ELNS1_11target_archE4294967295ELNS1_3gpuE0ELNS1_3repE0EEENS1_30default_config_static_selectorELNS0_4arch9wavefront6targetE0EEEvT1_.numbered_sgpr, 48
	.set _ZN7rocprim17ROCPRIM_400000_NS6detail17trampoline_kernelINS0_14default_configENS1_27scan_by_key_config_selectorIifEEZZNS1_16scan_by_key_implILNS1_25lookback_scan_determinismE0ELb1ES3_N6thrust23THRUST_200600_302600_NS6detail15normal_iteratorINS9_10device_ptrIiEEEENSB_INSC_IfEEEESG_fNS9_4plusIvEENS9_8equal_toIvEEfEE10hipError_tPvRmT2_T3_T4_T5_mT6_T7_P12ihipStream_tbENKUlT_T0_E_clISt17integral_constantIbLb0EES11_EEDaSW_SX_EUlSW_E_NS1_11comp_targetILNS1_3genE0ELNS1_11target_archE4294967295ELNS1_3gpuE0ELNS1_3repE0EEENS1_30default_config_static_selectorELNS0_4arch9wavefront6targetE0EEEvT1_.num_named_barrier, 0
	.set _ZN7rocprim17ROCPRIM_400000_NS6detail17trampoline_kernelINS0_14default_configENS1_27scan_by_key_config_selectorIifEEZZNS1_16scan_by_key_implILNS1_25lookback_scan_determinismE0ELb1ES3_N6thrust23THRUST_200600_302600_NS6detail15normal_iteratorINS9_10device_ptrIiEEEENSB_INSC_IfEEEESG_fNS9_4plusIvEENS9_8equal_toIvEEfEE10hipError_tPvRmT2_T3_T4_T5_mT6_T7_P12ihipStream_tbENKUlT_T0_E_clISt17integral_constantIbLb0EES11_EEDaSW_SX_EUlSW_E_NS1_11comp_targetILNS1_3genE0ELNS1_11target_archE4294967295ELNS1_3gpuE0ELNS1_3repE0EEENS1_30default_config_static_selectorELNS0_4arch9wavefront6targetE0EEEvT1_.private_seg_size, 0
	.set _ZN7rocprim17ROCPRIM_400000_NS6detail17trampoline_kernelINS0_14default_configENS1_27scan_by_key_config_selectorIifEEZZNS1_16scan_by_key_implILNS1_25lookback_scan_determinismE0ELb1ES3_N6thrust23THRUST_200600_302600_NS6detail15normal_iteratorINS9_10device_ptrIiEEEENSB_INSC_IfEEEESG_fNS9_4plusIvEENS9_8equal_toIvEEfEE10hipError_tPvRmT2_T3_T4_T5_mT6_T7_P12ihipStream_tbENKUlT_T0_E_clISt17integral_constantIbLb0EES11_EEDaSW_SX_EUlSW_E_NS1_11comp_targetILNS1_3genE0ELNS1_11target_archE4294967295ELNS1_3gpuE0ELNS1_3repE0EEENS1_30default_config_static_selectorELNS0_4arch9wavefront6targetE0EEEvT1_.uses_vcc, 1
	.set _ZN7rocprim17ROCPRIM_400000_NS6detail17trampoline_kernelINS0_14default_configENS1_27scan_by_key_config_selectorIifEEZZNS1_16scan_by_key_implILNS1_25lookback_scan_determinismE0ELb1ES3_N6thrust23THRUST_200600_302600_NS6detail15normal_iteratorINS9_10device_ptrIiEEEENSB_INSC_IfEEEESG_fNS9_4plusIvEENS9_8equal_toIvEEfEE10hipError_tPvRmT2_T3_T4_T5_mT6_T7_P12ihipStream_tbENKUlT_T0_E_clISt17integral_constantIbLb0EES11_EEDaSW_SX_EUlSW_E_NS1_11comp_targetILNS1_3genE0ELNS1_11target_archE4294967295ELNS1_3gpuE0ELNS1_3repE0EEENS1_30default_config_static_selectorELNS0_4arch9wavefront6targetE0EEEvT1_.uses_flat_scratch, 1
	.set _ZN7rocprim17ROCPRIM_400000_NS6detail17trampoline_kernelINS0_14default_configENS1_27scan_by_key_config_selectorIifEEZZNS1_16scan_by_key_implILNS1_25lookback_scan_determinismE0ELb1ES3_N6thrust23THRUST_200600_302600_NS6detail15normal_iteratorINS9_10device_ptrIiEEEENSB_INSC_IfEEEESG_fNS9_4plusIvEENS9_8equal_toIvEEfEE10hipError_tPvRmT2_T3_T4_T5_mT6_T7_P12ihipStream_tbENKUlT_T0_E_clISt17integral_constantIbLb0EES11_EEDaSW_SX_EUlSW_E_NS1_11comp_targetILNS1_3genE0ELNS1_11target_archE4294967295ELNS1_3gpuE0ELNS1_3repE0EEENS1_30default_config_static_selectorELNS0_4arch9wavefront6targetE0EEEvT1_.has_dyn_sized_stack, 0
	.set _ZN7rocprim17ROCPRIM_400000_NS6detail17trampoline_kernelINS0_14default_configENS1_27scan_by_key_config_selectorIifEEZZNS1_16scan_by_key_implILNS1_25lookback_scan_determinismE0ELb1ES3_N6thrust23THRUST_200600_302600_NS6detail15normal_iteratorINS9_10device_ptrIiEEEENSB_INSC_IfEEEESG_fNS9_4plusIvEENS9_8equal_toIvEEfEE10hipError_tPvRmT2_T3_T4_T5_mT6_T7_P12ihipStream_tbENKUlT_T0_E_clISt17integral_constantIbLb0EES11_EEDaSW_SX_EUlSW_E_NS1_11comp_targetILNS1_3genE0ELNS1_11target_archE4294967295ELNS1_3gpuE0ELNS1_3repE0EEENS1_30default_config_static_selectorELNS0_4arch9wavefront6targetE0EEEvT1_.has_recursion, 0
	.set _ZN7rocprim17ROCPRIM_400000_NS6detail17trampoline_kernelINS0_14default_configENS1_27scan_by_key_config_selectorIifEEZZNS1_16scan_by_key_implILNS1_25lookback_scan_determinismE0ELb1ES3_N6thrust23THRUST_200600_302600_NS6detail15normal_iteratorINS9_10device_ptrIiEEEENSB_INSC_IfEEEESG_fNS9_4plusIvEENS9_8equal_toIvEEfEE10hipError_tPvRmT2_T3_T4_T5_mT6_T7_P12ihipStream_tbENKUlT_T0_E_clISt17integral_constantIbLb0EES11_EEDaSW_SX_EUlSW_E_NS1_11comp_targetILNS1_3genE0ELNS1_11target_archE4294967295ELNS1_3gpuE0ELNS1_3repE0EEENS1_30default_config_static_selectorELNS0_4arch9wavefront6targetE0EEEvT1_.has_indirect_call, 0
	.section	.AMDGPU.csdata,"",@progbits
; Kernel info:
; codeLenInByte = 13164
; TotalNumSgprs: 50
; NumVgprs: 62
; ScratchSize: 0
; MemoryBound: 0
; FloatMode: 240
; IeeeMode: 1
; LDSByteSize: 14336 bytes/workgroup (compile time only)
; SGPRBlocks: 0
; VGPRBlocks: 3
; NumSGPRsForWavesPerEU: 50
; NumVGPRsForWavesPerEU: 62
; NamedBarCnt: 0
; Occupancy: 16
; WaveLimiterHint : 1
; COMPUTE_PGM_RSRC2:SCRATCH_EN: 0
; COMPUTE_PGM_RSRC2:USER_SGPR: 2
; COMPUTE_PGM_RSRC2:TRAP_HANDLER: 0
; COMPUTE_PGM_RSRC2:TGID_X_EN: 1
; COMPUTE_PGM_RSRC2:TGID_Y_EN: 0
; COMPUTE_PGM_RSRC2:TGID_Z_EN: 0
; COMPUTE_PGM_RSRC2:TIDIG_COMP_CNT: 0
	.section	.text._ZN7rocprim17ROCPRIM_400000_NS6detail17trampoline_kernelINS0_14default_configENS1_27scan_by_key_config_selectorIifEEZZNS1_16scan_by_key_implILNS1_25lookback_scan_determinismE0ELb1ES3_N6thrust23THRUST_200600_302600_NS6detail15normal_iteratorINS9_10device_ptrIiEEEENSB_INSC_IfEEEESG_fNS9_4plusIvEENS9_8equal_toIvEEfEE10hipError_tPvRmT2_T3_T4_T5_mT6_T7_P12ihipStream_tbENKUlT_T0_E_clISt17integral_constantIbLb0EES11_EEDaSW_SX_EUlSW_E_NS1_11comp_targetILNS1_3genE10ELNS1_11target_archE1201ELNS1_3gpuE5ELNS1_3repE0EEENS1_30default_config_static_selectorELNS0_4arch9wavefront6targetE0EEEvT1_,"axG",@progbits,_ZN7rocprim17ROCPRIM_400000_NS6detail17trampoline_kernelINS0_14default_configENS1_27scan_by_key_config_selectorIifEEZZNS1_16scan_by_key_implILNS1_25lookback_scan_determinismE0ELb1ES3_N6thrust23THRUST_200600_302600_NS6detail15normal_iteratorINS9_10device_ptrIiEEEENSB_INSC_IfEEEESG_fNS9_4plusIvEENS9_8equal_toIvEEfEE10hipError_tPvRmT2_T3_T4_T5_mT6_T7_P12ihipStream_tbENKUlT_T0_E_clISt17integral_constantIbLb0EES11_EEDaSW_SX_EUlSW_E_NS1_11comp_targetILNS1_3genE10ELNS1_11target_archE1201ELNS1_3gpuE5ELNS1_3repE0EEENS1_30default_config_static_selectorELNS0_4arch9wavefront6targetE0EEEvT1_,comdat
	.protected	_ZN7rocprim17ROCPRIM_400000_NS6detail17trampoline_kernelINS0_14default_configENS1_27scan_by_key_config_selectorIifEEZZNS1_16scan_by_key_implILNS1_25lookback_scan_determinismE0ELb1ES3_N6thrust23THRUST_200600_302600_NS6detail15normal_iteratorINS9_10device_ptrIiEEEENSB_INSC_IfEEEESG_fNS9_4plusIvEENS9_8equal_toIvEEfEE10hipError_tPvRmT2_T3_T4_T5_mT6_T7_P12ihipStream_tbENKUlT_T0_E_clISt17integral_constantIbLb0EES11_EEDaSW_SX_EUlSW_E_NS1_11comp_targetILNS1_3genE10ELNS1_11target_archE1201ELNS1_3gpuE5ELNS1_3repE0EEENS1_30default_config_static_selectorELNS0_4arch9wavefront6targetE0EEEvT1_ ; -- Begin function _ZN7rocprim17ROCPRIM_400000_NS6detail17trampoline_kernelINS0_14default_configENS1_27scan_by_key_config_selectorIifEEZZNS1_16scan_by_key_implILNS1_25lookback_scan_determinismE0ELb1ES3_N6thrust23THRUST_200600_302600_NS6detail15normal_iteratorINS9_10device_ptrIiEEEENSB_INSC_IfEEEESG_fNS9_4plusIvEENS9_8equal_toIvEEfEE10hipError_tPvRmT2_T3_T4_T5_mT6_T7_P12ihipStream_tbENKUlT_T0_E_clISt17integral_constantIbLb0EES11_EEDaSW_SX_EUlSW_E_NS1_11comp_targetILNS1_3genE10ELNS1_11target_archE1201ELNS1_3gpuE5ELNS1_3repE0EEENS1_30default_config_static_selectorELNS0_4arch9wavefront6targetE0EEEvT1_
	.globl	_ZN7rocprim17ROCPRIM_400000_NS6detail17trampoline_kernelINS0_14default_configENS1_27scan_by_key_config_selectorIifEEZZNS1_16scan_by_key_implILNS1_25lookback_scan_determinismE0ELb1ES3_N6thrust23THRUST_200600_302600_NS6detail15normal_iteratorINS9_10device_ptrIiEEEENSB_INSC_IfEEEESG_fNS9_4plusIvEENS9_8equal_toIvEEfEE10hipError_tPvRmT2_T3_T4_T5_mT6_T7_P12ihipStream_tbENKUlT_T0_E_clISt17integral_constantIbLb0EES11_EEDaSW_SX_EUlSW_E_NS1_11comp_targetILNS1_3genE10ELNS1_11target_archE1201ELNS1_3gpuE5ELNS1_3repE0EEENS1_30default_config_static_selectorELNS0_4arch9wavefront6targetE0EEEvT1_
	.p2align	8
	.type	_ZN7rocprim17ROCPRIM_400000_NS6detail17trampoline_kernelINS0_14default_configENS1_27scan_by_key_config_selectorIifEEZZNS1_16scan_by_key_implILNS1_25lookback_scan_determinismE0ELb1ES3_N6thrust23THRUST_200600_302600_NS6detail15normal_iteratorINS9_10device_ptrIiEEEENSB_INSC_IfEEEESG_fNS9_4plusIvEENS9_8equal_toIvEEfEE10hipError_tPvRmT2_T3_T4_T5_mT6_T7_P12ihipStream_tbENKUlT_T0_E_clISt17integral_constantIbLb0EES11_EEDaSW_SX_EUlSW_E_NS1_11comp_targetILNS1_3genE10ELNS1_11target_archE1201ELNS1_3gpuE5ELNS1_3repE0EEENS1_30default_config_static_selectorELNS0_4arch9wavefront6targetE0EEEvT1_,@function
_ZN7rocprim17ROCPRIM_400000_NS6detail17trampoline_kernelINS0_14default_configENS1_27scan_by_key_config_selectorIifEEZZNS1_16scan_by_key_implILNS1_25lookback_scan_determinismE0ELb1ES3_N6thrust23THRUST_200600_302600_NS6detail15normal_iteratorINS9_10device_ptrIiEEEENSB_INSC_IfEEEESG_fNS9_4plusIvEENS9_8equal_toIvEEfEE10hipError_tPvRmT2_T3_T4_T5_mT6_T7_P12ihipStream_tbENKUlT_T0_E_clISt17integral_constantIbLb0EES11_EEDaSW_SX_EUlSW_E_NS1_11comp_targetILNS1_3genE10ELNS1_11target_archE1201ELNS1_3gpuE5ELNS1_3repE0EEENS1_30default_config_static_selectorELNS0_4arch9wavefront6targetE0EEEvT1_: ; @_ZN7rocprim17ROCPRIM_400000_NS6detail17trampoline_kernelINS0_14default_configENS1_27scan_by_key_config_selectorIifEEZZNS1_16scan_by_key_implILNS1_25lookback_scan_determinismE0ELb1ES3_N6thrust23THRUST_200600_302600_NS6detail15normal_iteratorINS9_10device_ptrIiEEEENSB_INSC_IfEEEESG_fNS9_4plusIvEENS9_8equal_toIvEEfEE10hipError_tPvRmT2_T3_T4_T5_mT6_T7_P12ihipStream_tbENKUlT_T0_E_clISt17integral_constantIbLb0EES11_EEDaSW_SX_EUlSW_E_NS1_11comp_targetILNS1_3genE10ELNS1_11target_archE1201ELNS1_3gpuE5ELNS1_3repE0EEENS1_30default_config_static_selectorELNS0_4arch9wavefront6targetE0EEEvT1_
; %bb.0:
	.section	.rodata,"a",@progbits
	.p2align	6, 0x0
	.amdhsa_kernel _ZN7rocprim17ROCPRIM_400000_NS6detail17trampoline_kernelINS0_14default_configENS1_27scan_by_key_config_selectorIifEEZZNS1_16scan_by_key_implILNS1_25lookback_scan_determinismE0ELb1ES3_N6thrust23THRUST_200600_302600_NS6detail15normal_iteratorINS9_10device_ptrIiEEEENSB_INSC_IfEEEESG_fNS9_4plusIvEENS9_8equal_toIvEEfEE10hipError_tPvRmT2_T3_T4_T5_mT6_T7_P12ihipStream_tbENKUlT_T0_E_clISt17integral_constantIbLb0EES11_EEDaSW_SX_EUlSW_E_NS1_11comp_targetILNS1_3genE10ELNS1_11target_archE1201ELNS1_3gpuE5ELNS1_3repE0EEENS1_30default_config_static_selectorELNS0_4arch9wavefront6targetE0EEEvT1_
		.amdhsa_group_segment_fixed_size 0
		.amdhsa_private_segment_fixed_size 0
		.amdhsa_kernarg_size 112
		.amdhsa_user_sgpr_count 2
		.amdhsa_user_sgpr_dispatch_ptr 0
		.amdhsa_user_sgpr_queue_ptr 0
		.amdhsa_user_sgpr_kernarg_segment_ptr 1
		.amdhsa_user_sgpr_dispatch_id 0
		.amdhsa_user_sgpr_kernarg_preload_length 0
		.amdhsa_user_sgpr_kernarg_preload_offset 0
		.amdhsa_user_sgpr_private_segment_size 0
		.amdhsa_wavefront_size32 1
		.amdhsa_uses_dynamic_stack 0
		.amdhsa_enable_private_segment 0
		.amdhsa_system_sgpr_workgroup_id_x 1
		.amdhsa_system_sgpr_workgroup_id_y 0
		.amdhsa_system_sgpr_workgroup_id_z 0
		.amdhsa_system_sgpr_workgroup_info 0
		.amdhsa_system_vgpr_workitem_id 0
		.amdhsa_next_free_vgpr 1
		.amdhsa_next_free_sgpr 1
		.amdhsa_named_barrier_count 0
		.amdhsa_reserve_vcc 0
		.amdhsa_float_round_mode_32 0
		.amdhsa_float_round_mode_16_64 0
		.amdhsa_float_denorm_mode_32 3
		.amdhsa_float_denorm_mode_16_64 3
		.amdhsa_fp16_overflow 0
		.amdhsa_memory_ordered 1
		.amdhsa_forward_progress 1
		.amdhsa_inst_pref_size 0
		.amdhsa_round_robin_scheduling 0
		.amdhsa_exception_fp_ieee_invalid_op 0
		.amdhsa_exception_fp_denorm_src 0
		.amdhsa_exception_fp_ieee_div_zero 0
		.amdhsa_exception_fp_ieee_overflow 0
		.amdhsa_exception_fp_ieee_underflow 0
		.amdhsa_exception_fp_ieee_inexact 0
		.amdhsa_exception_int_div_zero 0
	.end_amdhsa_kernel
	.section	.text._ZN7rocprim17ROCPRIM_400000_NS6detail17trampoline_kernelINS0_14default_configENS1_27scan_by_key_config_selectorIifEEZZNS1_16scan_by_key_implILNS1_25lookback_scan_determinismE0ELb1ES3_N6thrust23THRUST_200600_302600_NS6detail15normal_iteratorINS9_10device_ptrIiEEEENSB_INSC_IfEEEESG_fNS9_4plusIvEENS9_8equal_toIvEEfEE10hipError_tPvRmT2_T3_T4_T5_mT6_T7_P12ihipStream_tbENKUlT_T0_E_clISt17integral_constantIbLb0EES11_EEDaSW_SX_EUlSW_E_NS1_11comp_targetILNS1_3genE10ELNS1_11target_archE1201ELNS1_3gpuE5ELNS1_3repE0EEENS1_30default_config_static_selectorELNS0_4arch9wavefront6targetE0EEEvT1_,"axG",@progbits,_ZN7rocprim17ROCPRIM_400000_NS6detail17trampoline_kernelINS0_14default_configENS1_27scan_by_key_config_selectorIifEEZZNS1_16scan_by_key_implILNS1_25lookback_scan_determinismE0ELb1ES3_N6thrust23THRUST_200600_302600_NS6detail15normal_iteratorINS9_10device_ptrIiEEEENSB_INSC_IfEEEESG_fNS9_4plusIvEENS9_8equal_toIvEEfEE10hipError_tPvRmT2_T3_T4_T5_mT6_T7_P12ihipStream_tbENKUlT_T0_E_clISt17integral_constantIbLb0EES11_EEDaSW_SX_EUlSW_E_NS1_11comp_targetILNS1_3genE10ELNS1_11target_archE1201ELNS1_3gpuE5ELNS1_3repE0EEENS1_30default_config_static_selectorELNS0_4arch9wavefront6targetE0EEEvT1_,comdat
.Lfunc_end1428:
	.size	_ZN7rocprim17ROCPRIM_400000_NS6detail17trampoline_kernelINS0_14default_configENS1_27scan_by_key_config_selectorIifEEZZNS1_16scan_by_key_implILNS1_25lookback_scan_determinismE0ELb1ES3_N6thrust23THRUST_200600_302600_NS6detail15normal_iteratorINS9_10device_ptrIiEEEENSB_INSC_IfEEEESG_fNS9_4plusIvEENS9_8equal_toIvEEfEE10hipError_tPvRmT2_T3_T4_T5_mT6_T7_P12ihipStream_tbENKUlT_T0_E_clISt17integral_constantIbLb0EES11_EEDaSW_SX_EUlSW_E_NS1_11comp_targetILNS1_3genE10ELNS1_11target_archE1201ELNS1_3gpuE5ELNS1_3repE0EEENS1_30default_config_static_selectorELNS0_4arch9wavefront6targetE0EEEvT1_, .Lfunc_end1428-_ZN7rocprim17ROCPRIM_400000_NS6detail17trampoline_kernelINS0_14default_configENS1_27scan_by_key_config_selectorIifEEZZNS1_16scan_by_key_implILNS1_25lookback_scan_determinismE0ELb1ES3_N6thrust23THRUST_200600_302600_NS6detail15normal_iteratorINS9_10device_ptrIiEEEENSB_INSC_IfEEEESG_fNS9_4plusIvEENS9_8equal_toIvEEfEE10hipError_tPvRmT2_T3_T4_T5_mT6_T7_P12ihipStream_tbENKUlT_T0_E_clISt17integral_constantIbLb0EES11_EEDaSW_SX_EUlSW_E_NS1_11comp_targetILNS1_3genE10ELNS1_11target_archE1201ELNS1_3gpuE5ELNS1_3repE0EEENS1_30default_config_static_selectorELNS0_4arch9wavefront6targetE0EEEvT1_
                                        ; -- End function
	.set _ZN7rocprim17ROCPRIM_400000_NS6detail17trampoline_kernelINS0_14default_configENS1_27scan_by_key_config_selectorIifEEZZNS1_16scan_by_key_implILNS1_25lookback_scan_determinismE0ELb1ES3_N6thrust23THRUST_200600_302600_NS6detail15normal_iteratorINS9_10device_ptrIiEEEENSB_INSC_IfEEEESG_fNS9_4plusIvEENS9_8equal_toIvEEfEE10hipError_tPvRmT2_T3_T4_T5_mT6_T7_P12ihipStream_tbENKUlT_T0_E_clISt17integral_constantIbLb0EES11_EEDaSW_SX_EUlSW_E_NS1_11comp_targetILNS1_3genE10ELNS1_11target_archE1201ELNS1_3gpuE5ELNS1_3repE0EEENS1_30default_config_static_selectorELNS0_4arch9wavefront6targetE0EEEvT1_.num_vgpr, 0
	.set _ZN7rocprim17ROCPRIM_400000_NS6detail17trampoline_kernelINS0_14default_configENS1_27scan_by_key_config_selectorIifEEZZNS1_16scan_by_key_implILNS1_25lookback_scan_determinismE0ELb1ES3_N6thrust23THRUST_200600_302600_NS6detail15normal_iteratorINS9_10device_ptrIiEEEENSB_INSC_IfEEEESG_fNS9_4plusIvEENS9_8equal_toIvEEfEE10hipError_tPvRmT2_T3_T4_T5_mT6_T7_P12ihipStream_tbENKUlT_T0_E_clISt17integral_constantIbLb0EES11_EEDaSW_SX_EUlSW_E_NS1_11comp_targetILNS1_3genE10ELNS1_11target_archE1201ELNS1_3gpuE5ELNS1_3repE0EEENS1_30default_config_static_selectorELNS0_4arch9wavefront6targetE0EEEvT1_.num_agpr, 0
	.set _ZN7rocprim17ROCPRIM_400000_NS6detail17trampoline_kernelINS0_14default_configENS1_27scan_by_key_config_selectorIifEEZZNS1_16scan_by_key_implILNS1_25lookback_scan_determinismE0ELb1ES3_N6thrust23THRUST_200600_302600_NS6detail15normal_iteratorINS9_10device_ptrIiEEEENSB_INSC_IfEEEESG_fNS9_4plusIvEENS9_8equal_toIvEEfEE10hipError_tPvRmT2_T3_T4_T5_mT6_T7_P12ihipStream_tbENKUlT_T0_E_clISt17integral_constantIbLb0EES11_EEDaSW_SX_EUlSW_E_NS1_11comp_targetILNS1_3genE10ELNS1_11target_archE1201ELNS1_3gpuE5ELNS1_3repE0EEENS1_30default_config_static_selectorELNS0_4arch9wavefront6targetE0EEEvT1_.numbered_sgpr, 0
	.set _ZN7rocprim17ROCPRIM_400000_NS6detail17trampoline_kernelINS0_14default_configENS1_27scan_by_key_config_selectorIifEEZZNS1_16scan_by_key_implILNS1_25lookback_scan_determinismE0ELb1ES3_N6thrust23THRUST_200600_302600_NS6detail15normal_iteratorINS9_10device_ptrIiEEEENSB_INSC_IfEEEESG_fNS9_4plusIvEENS9_8equal_toIvEEfEE10hipError_tPvRmT2_T3_T4_T5_mT6_T7_P12ihipStream_tbENKUlT_T0_E_clISt17integral_constantIbLb0EES11_EEDaSW_SX_EUlSW_E_NS1_11comp_targetILNS1_3genE10ELNS1_11target_archE1201ELNS1_3gpuE5ELNS1_3repE0EEENS1_30default_config_static_selectorELNS0_4arch9wavefront6targetE0EEEvT1_.num_named_barrier, 0
	.set _ZN7rocprim17ROCPRIM_400000_NS6detail17trampoline_kernelINS0_14default_configENS1_27scan_by_key_config_selectorIifEEZZNS1_16scan_by_key_implILNS1_25lookback_scan_determinismE0ELb1ES3_N6thrust23THRUST_200600_302600_NS6detail15normal_iteratorINS9_10device_ptrIiEEEENSB_INSC_IfEEEESG_fNS9_4plusIvEENS9_8equal_toIvEEfEE10hipError_tPvRmT2_T3_T4_T5_mT6_T7_P12ihipStream_tbENKUlT_T0_E_clISt17integral_constantIbLb0EES11_EEDaSW_SX_EUlSW_E_NS1_11comp_targetILNS1_3genE10ELNS1_11target_archE1201ELNS1_3gpuE5ELNS1_3repE0EEENS1_30default_config_static_selectorELNS0_4arch9wavefront6targetE0EEEvT1_.private_seg_size, 0
	.set _ZN7rocprim17ROCPRIM_400000_NS6detail17trampoline_kernelINS0_14default_configENS1_27scan_by_key_config_selectorIifEEZZNS1_16scan_by_key_implILNS1_25lookback_scan_determinismE0ELb1ES3_N6thrust23THRUST_200600_302600_NS6detail15normal_iteratorINS9_10device_ptrIiEEEENSB_INSC_IfEEEESG_fNS9_4plusIvEENS9_8equal_toIvEEfEE10hipError_tPvRmT2_T3_T4_T5_mT6_T7_P12ihipStream_tbENKUlT_T0_E_clISt17integral_constantIbLb0EES11_EEDaSW_SX_EUlSW_E_NS1_11comp_targetILNS1_3genE10ELNS1_11target_archE1201ELNS1_3gpuE5ELNS1_3repE0EEENS1_30default_config_static_selectorELNS0_4arch9wavefront6targetE0EEEvT1_.uses_vcc, 0
	.set _ZN7rocprim17ROCPRIM_400000_NS6detail17trampoline_kernelINS0_14default_configENS1_27scan_by_key_config_selectorIifEEZZNS1_16scan_by_key_implILNS1_25lookback_scan_determinismE0ELb1ES3_N6thrust23THRUST_200600_302600_NS6detail15normal_iteratorINS9_10device_ptrIiEEEENSB_INSC_IfEEEESG_fNS9_4plusIvEENS9_8equal_toIvEEfEE10hipError_tPvRmT2_T3_T4_T5_mT6_T7_P12ihipStream_tbENKUlT_T0_E_clISt17integral_constantIbLb0EES11_EEDaSW_SX_EUlSW_E_NS1_11comp_targetILNS1_3genE10ELNS1_11target_archE1201ELNS1_3gpuE5ELNS1_3repE0EEENS1_30default_config_static_selectorELNS0_4arch9wavefront6targetE0EEEvT1_.uses_flat_scratch, 0
	.set _ZN7rocprim17ROCPRIM_400000_NS6detail17trampoline_kernelINS0_14default_configENS1_27scan_by_key_config_selectorIifEEZZNS1_16scan_by_key_implILNS1_25lookback_scan_determinismE0ELb1ES3_N6thrust23THRUST_200600_302600_NS6detail15normal_iteratorINS9_10device_ptrIiEEEENSB_INSC_IfEEEESG_fNS9_4plusIvEENS9_8equal_toIvEEfEE10hipError_tPvRmT2_T3_T4_T5_mT6_T7_P12ihipStream_tbENKUlT_T0_E_clISt17integral_constantIbLb0EES11_EEDaSW_SX_EUlSW_E_NS1_11comp_targetILNS1_3genE10ELNS1_11target_archE1201ELNS1_3gpuE5ELNS1_3repE0EEENS1_30default_config_static_selectorELNS0_4arch9wavefront6targetE0EEEvT1_.has_dyn_sized_stack, 0
	.set _ZN7rocprim17ROCPRIM_400000_NS6detail17trampoline_kernelINS0_14default_configENS1_27scan_by_key_config_selectorIifEEZZNS1_16scan_by_key_implILNS1_25lookback_scan_determinismE0ELb1ES3_N6thrust23THRUST_200600_302600_NS6detail15normal_iteratorINS9_10device_ptrIiEEEENSB_INSC_IfEEEESG_fNS9_4plusIvEENS9_8equal_toIvEEfEE10hipError_tPvRmT2_T3_T4_T5_mT6_T7_P12ihipStream_tbENKUlT_T0_E_clISt17integral_constantIbLb0EES11_EEDaSW_SX_EUlSW_E_NS1_11comp_targetILNS1_3genE10ELNS1_11target_archE1201ELNS1_3gpuE5ELNS1_3repE0EEENS1_30default_config_static_selectorELNS0_4arch9wavefront6targetE0EEEvT1_.has_recursion, 0
	.set _ZN7rocprim17ROCPRIM_400000_NS6detail17trampoline_kernelINS0_14default_configENS1_27scan_by_key_config_selectorIifEEZZNS1_16scan_by_key_implILNS1_25lookback_scan_determinismE0ELb1ES3_N6thrust23THRUST_200600_302600_NS6detail15normal_iteratorINS9_10device_ptrIiEEEENSB_INSC_IfEEEESG_fNS9_4plusIvEENS9_8equal_toIvEEfEE10hipError_tPvRmT2_T3_T4_T5_mT6_T7_P12ihipStream_tbENKUlT_T0_E_clISt17integral_constantIbLb0EES11_EEDaSW_SX_EUlSW_E_NS1_11comp_targetILNS1_3genE10ELNS1_11target_archE1201ELNS1_3gpuE5ELNS1_3repE0EEENS1_30default_config_static_selectorELNS0_4arch9wavefront6targetE0EEEvT1_.has_indirect_call, 0
	.section	.AMDGPU.csdata,"",@progbits
; Kernel info:
; codeLenInByte = 0
; TotalNumSgprs: 0
; NumVgprs: 0
; ScratchSize: 0
; MemoryBound: 0
; FloatMode: 240
; IeeeMode: 1
; LDSByteSize: 0 bytes/workgroup (compile time only)
; SGPRBlocks: 0
; VGPRBlocks: 0
; NumSGPRsForWavesPerEU: 1
; NumVGPRsForWavesPerEU: 1
; NamedBarCnt: 0
; Occupancy: 16
; WaveLimiterHint : 0
; COMPUTE_PGM_RSRC2:SCRATCH_EN: 0
; COMPUTE_PGM_RSRC2:USER_SGPR: 2
; COMPUTE_PGM_RSRC2:TRAP_HANDLER: 0
; COMPUTE_PGM_RSRC2:TGID_X_EN: 1
; COMPUTE_PGM_RSRC2:TGID_Y_EN: 0
; COMPUTE_PGM_RSRC2:TGID_Z_EN: 0
; COMPUTE_PGM_RSRC2:TIDIG_COMP_CNT: 0
	.section	.text._ZN7rocprim17ROCPRIM_400000_NS6detail17trampoline_kernelINS0_14default_configENS1_27scan_by_key_config_selectorIifEEZZNS1_16scan_by_key_implILNS1_25lookback_scan_determinismE0ELb1ES3_N6thrust23THRUST_200600_302600_NS6detail15normal_iteratorINS9_10device_ptrIiEEEENSB_INSC_IfEEEESG_fNS9_4plusIvEENS9_8equal_toIvEEfEE10hipError_tPvRmT2_T3_T4_T5_mT6_T7_P12ihipStream_tbENKUlT_T0_E_clISt17integral_constantIbLb0EES11_EEDaSW_SX_EUlSW_E_NS1_11comp_targetILNS1_3genE5ELNS1_11target_archE942ELNS1_3gpuE9ELNS1_3repE0EEENS1_30default_config_static_selectorELNS0_4arch9wavefront6targetE0EEEvT1_,"axG",@progbits,_ZN7rocprim17ROCPRIM_400000_NS6detail17trampoline_kernelINS0_14default_configENS1_27scan_by_key_config_selectorIifEEZZNS1_16scan_by_key_implILNS1_25lookback_scan_determinismE0ELb1ES3_N6thrust23THRUST_200600_302600_NS6detail15normal_iteratorINS9_10device_ptrIiEEEENSB_INSC_IfEEEESG_fNS9_4plusIvEENS9_8equal_toIvEEfEE10hipError_tPvRmT2_T3_T4_T5_mT6_T7_P12ihipStream_tbENKUlT_T0_E_clISt17integral_constantIbLb0EES11_EEDaSW_SX_EUlSW_E_NS1_11comp_targetILNS1_3genE5ELNS1_11target_archE942ELNS1_3gpuE9ELNS1_3repE0EEENS1_30default_config_static_selectorELNS0_4arch9wavefront6targetE0EEEvT1_,comdat
	.protected	_ZN7rocprim17ROCPRIM_400000_NS6detail17trampoline_kernelINS0_14default_configENS1_27scan_by_key_config_selectorIifEEZZNS1_16scan_by_key_implILNS1_25lookback_scan_determinismE0ELb1ES3_N6thrust23THRUST_200600_302600_NS6detail15normal_iteratorINS9_10device_ptrIiEEEENSB_INSC_IfEEEESG_fNS9_4plusIvEENS9_8equal_toIvEEfEE10hipError_tPvRmT2_T3_T4_T5_mT6_T7_P12ihipStream_tbENKUlT_T0_E_clISt17integral_constantIbLb0EES11_EEDaSW_SX_EUlSW_E_NS1_11comp_targetILNS1_3genE5ELNS1_11target_archE942ELNS1_3gpuE9ELNS1_3repE0EEENS1_30default_config_static_selectorELNS0_4arch9wavefront6targetE0EEEvT1_ ; -- Begin function _ZN7rocprim17ROCPRIM_400000_NS6detail17trampoline_kernelINS0_14default_configENS1_27scan_by_key_config_selectorIifEEZZNS1_16scan_by_key_implILNS1_25lookback_scan_determinismE0ELb1ES3_N6thrust23THRUST_200600_302600_NS6detail15normal_iteratorINS9_10device_ptrIiEEEENSB_INSC_IfEEEESG_fNS9_4plusIvEENS9_8equal_toIvEEfEE10hipError_tPvRmT2_T3_T4_T5_mT6_T7_P12ihipStream_tbENKUlT_T0_E_clISt17integral_constantIbLb0EES11_EEDaSW_SX_EUlSW_E_NS1_11comp_targetILNS1_3genE5ELNS1_11target_archE942ELNS1_3gpuE9ELNS1_3repE0EEENS1_30default_config_static_selectorELNS0_4arch9wavefront6targetE0EEEvT1_
	.globl	_ZN7rocprim17ROCPRIM_400000_NS6detail17trampoline_kernelINS0_14default_configENS1_27scan_by_key_config_selectorIifEEZZNS1_16scan_by_key_implILNS1_25lookback_scan_determinismE0ELb1ES3_N6thrust23THRUST_200600_302600_NS6detail15normal_iteratorINS9_10device_ptrIiEEEENSB_INSC_IfEEEESG_fNS9_4plusIvEENS9_8equal_toIvEEfEE10hipError_tPvRmT2_T3_T4_T5_mT6_T7_P12ihipStream_tbENKUlT_T0_E_clISt17integral_constantIbLb0EES11_EEDaSW_SX_EUlSW_E_NS1_11comp_targetILNS1_3genE5ELNS1_11target_archE942ELNS1_3gpuE9ELNS1_3repE0EEENS1_30default_config_static_selectorELNS0_4arch9wavefront6targetE0EEEvT1_
	.p2align	8
	.type	_ZN7rocprim17ROCPRIM_400000_NS6detail17trampoline_kernelINS0_14default_configENS1_27scan_by_key_config_selectorIifEEZZNS1_16scan_by_key_implILNS1_25lookback_scan_determinismE0ELb1ES3_N6thrust23THRUST_200600_302600_NS6detail15normal_iteratorINS9_10device_ptrIiEEEENSB_INSC_IfEEEESG_fNS9_4plusIvEENS9_8equal_toIvEEfEE10hipError_tPvRmT2_T3_T4_T5_mT6_T7_P12ihipStream_tbENKUlT_T0_E_clISt17integral_constantIbLb0EES11_EEDaSW_SX_EUlSW_E_NS1_11comp_targetILNS1_3genE5ELNS1_11target_archE942ELNS1_3gpuE9ELNS1_3repE0EEENS1_30default_config_static_selectorELNS0_4arch9wavefront6targetE0EEEvT1_,@function
_ZN7rocprim17ROCPRIM_400000_NS6detail17trampoline_kernelINS0_14default_configENS1_27scan_by_key_config_selectorIifEEZZNS1_16scan_by_key_implILNS1_25lookback_scan_determinismE0ELb1ES3_N6thrust23THRUST_200600_302600_NS6detail15normal_iteratorINS9_10device_ptrIiEEEENSB_INSC_IfEEEESG_fNS9_4plusIvEENS9_8equal_toIvEEfEE10hipError_tPvRmT2_T3_T4_T5_mT6_T7_P12ihipStream_tbENKUlT_T0_E_clISt17integral_constantIbLb0EES11_EEDaSW_SX_EUlSW_E_NS1_11comp_targetILNS1_3genE5ELNS1_11target_archE942ELNS1_3gpuE9ELNS1_3repE0EEENS1_30default_config_static_selectorELNS0_4arch9wavefront6targetE0EEEvT1_: ; @_ZN7rocprim17ROCPRIM_400000_NS6detail17trampoline_kernelINS0_14default_configENS1_27scan_by_key_config_selectorIifEEZZNS1_16scan_by_key_implILNS1_25lookback_scan_determinismE0ELb1ES3_N6thrust23THRUST_200600_302600_NS6detail15normal_iteratorINS9_10device_ptrIiEEEENSB_INSC_IfEEEESG_fNS9_4plusIvEENS9_8equal_toIvEEfEE10hipError_tPvRmT2_T3_T4_T5_mT6_T7_P12ihipStream_tbENKUlT_T0_E_clISt17integral_constantIbLb0EES11_EEDaSW_SX_EUlSW_E_NS1_11comp_targetILNS1_3genE5ELNS1_11target_archE942ELNS1_3gpuE9ELNS1_3repE0EEENS1_30default_config_static_selectorELNS0_4arch9wavefront6targetE0EEEvT1_
; %bb.0:
	.section	.rodata,"a",@progbits
	.p2align	6, 0x0
	.amdhsa_kernel _ZN7rocprim17ROCPRIM_400000_NS6detail17trampoline_kernelINS0_14default_configENS1_27scan_by_key_config_selectorIifEEZZNS1_16scan_by_key_implILNS1_25lookback_scan_determinismE0ELb1ES3_N6thrust23THRUST_200600_302600_NS6detail15normal_iteratorINS9_10device_ptrIiEEEENSB_INSC_IfEEEESG_fNS9_4plusIvEENS9_8equal_toIvEEfEE10hipError_tPvRmT2_T3_T4_T5_mT6_T7_P12ihipStream_tbENKUlT_T0_E_clISt17integral_constantIbLb0EES11_EEDaSW_SX_EUlSW_E_NS1_11comp_targetILNS1_3genE5ELNS1_11target_archE942ELNS1_3gpuE9ELNS1_3repE0EEENS1_30default_config_static_selectorELNS0_4arch9wavefront6targetE0EEEvT1_
		.amdhsa_group_segment_fixed_size 0
		.amdhsa_private_segment_fixed_size 0
		.amdhsa_kernarg_size 112
		.amdhsa_user_sgpr_count 2
		.amdhsa_user_sgpr_dispatch_ptr 0
		.amdhsa_user_sgpr_queue_ptr 0
		.amdhsa_user_sgpr_kernarg_segment_ptr 1
		.amdhsa_user_sgpr_dispatch_id 0
		.amdhsa_user_sgpr_kernarg_preload_length 0
		.amdhsa_user_sgpr_kernarg_preload_offset 0
		.amdhsa_user_sgpr_private_segment_size 0
		.amdhsa_wavefront_size32 1
		.amdhsa_uses_dynamic_stack 0
		.amdhsa_enable_private_segment 0
		.amdhsa_system_sgpr_workgroup_id_x 1
		.amdhsa_system_sgpr_workgroup_id_y 0
		.amdhsa_system_sgpr_workgroup_id_z 0
		.amdhsa_system_sgpr_workgroup_info 0
		.amdhsa_system_vgpr_workitem_id 0
		.amdhsa_next_free_vgpr 1
		.amdhsa_next_free_sgpr 1
		.amdhsa_named_barrier_count 0
		.amdhsa_reserve_vcc 0
		.amdhsa_float_round_mode_32 0
		.amdhsa_float_round_mode_16_64 0
		.amdhsa_float_denorm_mode_32 3
		.amdhsa_float_denorm_mode_16_64 3
		.amdhsa_fp16_overflow 0
		.amdhsa_memory_ordered 1
		.amdhsa_forward_progress 1
		.amdhsa_inst_pref_size 0
		.amdhsa_round_robin_scheduling 0
		.amdhsa_exception_fp_ieee_invalid_op 0
		.amdhsa_exception_fp_denorm_src 0
		.amdhsa_exception_fp_ieee_div_zero 0
		.amdhsa_exception_fp_ieee_overflow 0
		.amdhsa_exception_fp_ieee_underflow 0
		.amdhsa_exception_fp_ieee_inexact 0
		.amdhsa_exception_int_div_zero 0
	.end_amdhsa_kernel
	.section	.text._ZN7rocprim17ROCPRIM_400000_NS6detail17trampoline_kernelINS0_14default_configENS1_27scan_by_key_config_selectorIifEEZZNS1_16scan_by_key_implILNS1_25lookback_scan_determinismE0ELb1ES3_N6thrust23THRUST_200600_302600_NS6detail15normal_iteratorINS9_10device_ptrIiEEEENSB_INSC_IfEEEESG_fNS9_4plusIvEENS9_8equal_toIvEEfEE10hipError_tPvRmT2_T3_T4_T5_mT6_T7_P12ihipStream_tbENKUlT_T0_E_clISt17integral_constantIbLb0EES11_EEDaSW_SX_EUlSW_E_NS1_11comp_targetILNS1_3genE5ELNS1_11target_archE942ELNS1_3gpuE9ELNS1_3repE0EEENS1_30default_config_static_selectorELNS0_4arch9wavefront6targetE0EEEvT1_,"axG",@progbits,_ZN7rocprim17ROCPRIM_400000_NS6detail17trampoline_kernelINS0_14default_configENS1_27scan_by_key_config_selectorIifEEZZNS1_16scan_by_key_implILNS1_25lookback_scan_determinismE0ELb1ES3_N6thrust23THRUST_200600_302600_NS6detail15normal_iteratorINS9_10device_ptrIiEEEENSB_INSC_IfEEEESG_fNS9_4plusIvEENS9_8equal_toIvEEfEE10hipError_tPvRmT2_T3_T4_T5_mT6_T7_P12ihipStream_tbENKUlT_T0_E_clISt17integral_constantIbLb0EES11_EEDaSW_SX_EUlSW_E_NS1_11comp_targetILNS1_3genE5ELNS1_11target_archE942ELNS1_3gpuE9ELNS1_3repE0EEENS1_30default_config_static_selectorELNS0_4arch9wavefront6targetE0EEEvT1_,comdat
.Lfunc_end1429:
	.size	_ZN7rocprim17ROCPRIM_400000_NS6detail17trampoline_kernelINS0_14default_configENS1_27scan_by_key_config_selectorIifEEZZNS1_16scan_by_key_implILNS1_25lookback_scan_determinismE0ELb1ES3_N6thrust23THRUST_200600_302600_NS6detail15normal_iteratorINS9_10device_ptrIiEEEENSB_INSC_IfEEEESG_fNS9_4plusIvEENS9_8equal_toIvEEfEE10hipError_tPvRmT2_T3_T4_T5_mT6_T7_P12ihipStream_tbENKUlT_T0_E_clISt17integral_constantIbLb0EES11_EEDaSW_SX_EUlSW_E_NS1_11comp_targetILNS1_3genE5ELNS1_11target_archE942ELNS1_3gpuE9ELNS1_3repE0EEENS1_30default_config_static_selectorELNS0_4arch9wavefront6targetE0EEEvT1_, .Lfunc_end1429-_ZN7rocprim17ROCPRIM_400000_NS6detail17trampoline_kernelINS0_14default_configENS1_27scan_by_key_config_selectorIifEEZZNS1_16scan_by_key_implILNS1_25lookback_scan_determinismE0ELb1ES3_N6thrust23THRUST_200600_302600_NS6detail15normal_iteratorINS9_10device_ptrIiEEEENSB_INSC_IfEEEESG_fNS9_4plusIvEENS9_8equal_toIvEEfEE10hipError_tPvRmT2_T3_T4_T5_mT6_T7_P12ihipStream_tbENKUlT_T0_E_clISt17integral_constantIbLb0EES11_EEDaSW_SX_EUlSW_E_NS1_11comp_targetILNS1_3genE5ELNS1_11target_archE942ELNS1_3gpuE9ELNS1_3repE0EEENS1_30default_config_static_selectorELNS0_4arch9wavefront6targetE0EEEvT1_
                                        ; -- End function
	.set _ZN7rocprim17ROCPRIM_400000_NS6detail17trampoline_kernelINS0_14default_configENS1_27scan_by_key_config_selectorIifEEZZNS1_16scan_by_key_implILNS1_25lookback_scan_determinismE0ELb1ES3_N6thrust23THRUST_200600_302600_NS6detail15normal_iteratorINS9_10device_ptrIiEEEENSB_INSC_IfEEEESG_fNS9_4plusIvEENS9_8equal_toIvEEfEE10hipError_tPvRmT2_T3_T4_T5_mT6_T7_P12ihipStream_tbENKUlT_T0_E_clISt17integral_constantIbLb0EES11_EEDaSW_SX_EUlSW_E_NS1_11comp_targetILNS1_3genE5ELNS1_11target_archE942ELNS1_3gpuE9ELNS1_3repE0EEENS1_30default_config_static_selectorELNS0_4arch9wavefront6targetE0EEEvT1_.num_vgpr, 0
	.set _ZN7rocprim17ROCPRIM_400000_NS6detail17trampoline_kernelINS0_14default_configENS1_27scan_by_key_config_selectorIifEEZZNS1_16scan_by_key_implILNS1_25lookback_scan_determinismE0ELb1ES3_N6thrust23THRUST_200600_302600_NS6detail15normal_iteratorINS9_10device_ptrIiEEEENSB_INSC_IfEEEESG_fNS9_4plusIvEENS9_8equal_toIvEEfEE10hipError_tPvRmT2_T3_T4_T5_mT6_T7_P12ihipStream_tbENKUlT_T0_E_clISt17integral_constantIbLb0EES11_EEDaSW_SX_EUlSW_E_NS1_11comp_targetILNS1_3genE5ELNS1_11target_archE942ELNS1_3gpuE9ELNS1_3repE0EEENS1_30default_config_static_selectorELNS0_4arch9wavefront6targetE0EEEvT1_.num_agpr, 0
	.set _ZN7rocprim17ROCPRIM_400000_NS6detail17trampoline_kernelINS0_14default_configENS1_27scan_by_key_config_selectorIifEEZZNS1_16scan_by_key_implILNS1_25lookback_scan_determinismE0ELb1ES3_N6thrust23THRUST_200600_302600_NS6detail15normal_iteratorINS9_10device_ptrIiEEEENSB_INSC_IfEEEESG_fNS9_4plusIvEENS9_8equal_toIvEEfEE10hipError_tPvRmT2_T3_T4_T5_mT6_T7_P12ihipStream_tbENKUlT_T0_E_clISt17integral_constantIbLb0EES11_EEDaSW_SX_EUlSW_E_NS1_11comp_targetILNS1_3genE5ELNS1_11target_archE942ELNS1_3gpuE9ELNS1_3repE0EEENS1_30default_config_static_selectorELNS0_4arch9wavefront6targetE0EEEvT1_.numbered_sgpr, 0
	.set _ZN7rocprim17ROCPRIM_400000_NS6detail17trampoline_kernelINS0_14default_configENS1_27scan_by_key_config_selectorIifEEZZNS1_16scan_by_key_implILNS1_25lookback_scan_determinismE0ELb1ES3_N6thrust23THRUST_200600_302600_NS6detail15normal_iteratorINS9_10device_ptrIiEEEENSB_INSC_IfEEEESG_fNS9_4plusIvEENS9_8equal_toIvEEfEE10hipError_tPvRmT2_T3_T4_T5_mT6_T7_P12ihipStream_tbENKUlT_T0_E_clISt17integral_constantIbLb0EES11_EEDaSW_SX_EUlSW_E_NS1_11comp_targetILNS1_3genE5ELNS1_11target_archE942ELNS1_3gpuE9ELNS1_3repE0EEENS1_30default_config_static_selectorELNS0_4arch9wavefront6targetE0EEEvT1_.num_named_barrier, 0
	.set _ZN7rocprim17ROCPRIM_400000_NS6detail17trampoline_kernelINS0_14default_configENS1_27scan_by_key_config_selectorIifEEZZNS1_16scan_by_key_implILNS1_25lookback_scan_determinismE0ELb1ES3_N6thrust23THRUST_200600_302600_NS6detail15normal_iteratorINS9_10device_ptrIiEEEENSB_INSC_IfEEEESG_fNS9_4plusIvEENS9_8equal_toIvEEfEE10hipError_tPvRmT2_T3_T4_T5_mT6_T7_P12ihipStream_tbENKUlT_T0_E_clISt17integral_constantIbLb0EES11_EEDaSW_SX_EUlSW_E_NS1_11comp_targetILNS1_3genE5ELNS1_11target_archE942ELNS1_3gpuE9ELNS1_3repE0EEENS1_30default_config_static_selectorELNS0_4arch9wavefront6targetE0EEEvT1_.private_seg_size, 0
	.set _ZN7rocprim17ROCPRIM_400000_NS6detail17trampoline_kernelINS0_14default_configENS1_27scan_by_key_config_selectorIifEEZZNS1_16scan_by_key_implILNS1_25lookback_scan_determinismE0ELb1ES3_N6thrust23THRUST_200600_302600_NS6detail15normal_iteratorINS9_10device_ptrIiEEEENSB_INSC_IfEEEESG_fNS9_4plusIvEENS9_8equal_toIvEEfEE10hipError_tPvRmT2_T3_T4_T5_mT6_T7_P12ihipStream_tbENKUlT_T0_E_clISt17integral_constantIbLb0EES11_EEDaSW_SX_EUlSW_E_NS1_11comp_targetILNS1_3genE5ELNS1_11target_archE942ELNS1_3gpuE9ELNS1_3repE0EEENS1_30default_config_static_selectorELNS0_4arch9wavefront6targetE0EEEvT1_.uses_vcc, 0
	.set _ZN7rocprim17ROCPRIM_400000_NS6detail17trampoline_kernelINS0_14default_configENS1_27scan_by_key_config_selectorIifEEZZNS1_16scan_by_key_implILNS1_25lookback_scan_determinismE0ELb1ES3_N6thrust23THRUST_200600_302600_NS6detail15normal_iteratorINS9_10device_ptrIiEEEENSB_INSC_IfEEEESG_fNS9_4plusIvEENS9_8equal_toIvEEfEE10hipError_tPvRmT2_T3_T4_T5_mT6_T7_P12ihipStream_tbENKUlT_T0_E_clISt17integral_constantIbLb0EES11_EEDaSW_SX_EUlSW_E_NS1_11comp_targetILNS1_3genE5ELNS1_11target_archE942ELNS1_3gpuE9ELNS1_3repE0EEENS1_30default_config_static_selectorELNS0_4arch9wavefront6targetE0EEEvT1_.uses_flat_scratch, 0
	.set _ZN7rocprim17ROCPRIM_400000_NS6detail17trampoline_kernelINS0_14default_configENS1_27scan_by_key_config_selectorIifEEZZNS1_16scan_by_key_implILNS1_25lookback_scan_determinismE0ELb1ES3_N6thrust23THRUST_200600_302600_NS6detail15normal_iteratorINS9_10device_ptrIiEEEENSB_INSC_IfEEEESG_fNS9_4plusIvEENS9_8equal_toIvEEfEE10hipError_tPvRmT2_T3_T4_T5_mT6_T7_P12ihipStream_tbENKUlT_T0_E_clISt17integral_constantIbLb0EES11_EEDaSW_SX_EUlSW_E_NS1_11comp_targetILNS1_3genE5ELNS1_11target_archE942ELNS1_3gpuE9ELNS1_3repE0EEENS1_30default_config_static_selectorELNS0_4arch9wavefront6targetE0EEEvT1_.has_dyn_sized_stack, 0
	.set _ZN7rocprim17ROCPRIM_400000_NS6detail17trampoline_kernelINS0_14default_configENS1_27scan_by_key_config_selectorIifEEZZNS1_16scan_by_key_implILNS1_25lookback_scan_determinismE0ELb1ES3_N6thrust23THRUST_200600_302600_NS6detail15normal_iteratorINS9_10device_ptrIiEEEENSB_INSC_IfEEEESG_fNS9_4plusIvEENS9_8equal_toIvEEfEE10hipError_tPvRmT2_T3_T4_T5_mT6_T7_P12ihipStream_tbENKUlT_T0_E_clISt17integral_constantIbLb0EES11_EEDaSW_SX_EUlSW_E_NS1_11comp_targetILNS1_3genE5ELNS1_11target_archE942ELNS1_3gpuE9ELNS1_3repE0EEENS1_30default_config_static_selectorELNS0_4arch9wavefront6targetE0EEEvT1_.has_recursion, 0
	.set _ZN7rocprim17ROCPRIM_400000_NS6detail17trampoline_kernelINS0_14default_configENS1_27scan_by_key_config_selectorIifEEZZNS1_16scan_by_key_implILNS1_25lookback_scan_determinismE0ELb1ES3_N6thrust23THRUST_200600_302600_NS6detail15normal_iteratorINS9_10device_ptrIiEEEENSB_INSC_IfEEEESG_fNS9_4plusIvEENS9_8equal_toIvEEfEE10hipError_tPvRmT2_T3_T4_T5_mT6_T7_P12ihipStream_tbENKUlT_T0_E_clISt17integral_constantIbLb0EES11_EEDaSW_SX_EUlSW_E_NS1_11comp_targetILNS1_3genE5ELNS1_11target_archE942ELNS1_3gpuE9ELNS1_3repE0EEENS1_30default_config_static_selectorELNS0_4arch9wavefront6targetE0EEEvT1_.has_indirect_call, 0
	.section	.AMDGPU.csdata,"",@progbits
; Kernel info:
; codeLenInByte = 0
; TotalNumSgprs: 0
; NumVgprs: 0
; ScratchSize: 0
; MemoryBound: 0
; FloatMode: 240
; IeeeMode: 1
; LDSByteSize: 0 bytes/workgroup (compile time only)
; SGPRBlocks: 0
; VGPRBlocks: 0
; NumSGPRsForWavesPerEU: 1
; NumVGPRsForWavesPerEU: 1
; NamedBarCnt: 0
; Occupancy: 16
; WaveLimiterHint : 0
; COMPUTE_PGM_RSRC2:SCRATCH_EN: 0
; COMPUTE_PGM_RSRC2:USER_SGPR: 2
; COMPUTE_PGM_RSRC2:TRAP_HANDLER: 0
; COMPUTE_PGM_RSRC2:TGID_X_EN: 1
; COMPUTE_PGM_RSRC2:TGID_Y_EN: 0
; COMPUTE_PGM_RSRC2:TGID_Z_EN: 0
; COMPUTE_PGM_RSRC2:TIDIG_COMP_CNT: 0
	.section	.text._ZN7rocprim17ROCPRIM_400000_NS6detail17trampoline_kernelINS0_14default_configENS1_27scan_by_key_config_selectorIifEEZZNS1_16scan_by_key_implILNS1_25lookback_scan_determinismE0ELb1ES3_N6thrust23THRUST_200600_302600_NS6detail15normal_iteratorINS9_10device_ptrIiEEEENSB_INSC_IfEEEESG_fNS9_4plusIvEENS9_8equal_toIvEEfEE10hipError_tPvRmT2_T3_T4_T5_mT6_T7_P12ihipStream_tbENKUlT_T0_E_clISt17integral_constantIbLb0EES11_EEDaSW_SX_EUlSW_E_NS1_11comp_targetILNS1_3genE4ELNS1_11target_archE910ELNS1_3gpuE8ELNS1_3repE0EEENS1_30default_config_static_selectorELNS0_4arch9wavefront6targetE0EEEvT1_,"axG",@progbits,_ZN7rocprim17ROCPRIM_400000_NS6detail17trampoline_kernelINS0_14default_configENS1_27scan_by_key_config_selectorIifEEZZNS1_16scan_by_key_implILNS1_25lookback_scan_determinismE0ELb1ES3_N6thrust23THRUST_200600_302600_NS6detail15normal_iteratorINS9_10device_ptrIiEEEENSB_INSC_IfEEEESG_fNS9_4plusIvEENS9_8equal_toIvEEfEE10hipError_tPvRmT2_T3_T4_T5_mT6_T7_P12ihipStream_tbENKUlT_T0_E_clISt17integral_constantIbLb0EES11_EEDaSW_SX_EUlSW_E_NS1_11comp_targetILNS1_3genE4ELNS1_11target_archE910ELNS1_3gpuE8ELNS1_3repE0EEENS1_30default_config_static_selectorELNS0_4arch9wavefront6targetE0EEEvT1_,comdat
	.protected	_ZN7rocprim17ROCPRIM_400000_NS6detail17trampoline_kernelINS0_14default_configENS1_27scan_by_key_config_selectorIifEEZZNS1_16scan_by_key_implILNS1_25lookback_scan_determinismE0ELb1ES3_N6thrust23THRUST_200600_302600_NS6detail15normal_iteratorINS9_10device_ptrIiEEEENSB_INSC_IfEEEESG_fNS9_4plusIvEENS9_8equal_toIvEEfEE10hipError_tPvRmT2_T3_T4_T5_mT6_T7_P12ihipStream_tbENKUlT_T0_E_clISt17integral_constantIbLb0EES11_EEDaSW_SX_EUlSW_E_NS1_11comp_targetILNS1_3genE4ELNS1_11target_archE910ELNS1_3gpuE8ELNS1_3repE0EEENS1_30default_config_static_selectorELNS0_4arch9wavefront6targetE0EEEvT1_ ; -- Begin function _ZN7rocprim17ROCPRIM_400000_NS6detail17trampoline_kernelINS0_14default_configENS1_27scan_by_key_config_selectorIifEEZZNS1_16scan_by_key_implILNS1_25lookback_scan_determinismE0ELb1ES3_N6thrust23THRUST_200600_302600_NS6detail15normal_iteratorINS9_10device_ptrIiEEEENSB_INSC_IfEEEESG_fNS9_4plusIvEENS9_8equal_toIvEEfEE10hipError_tPvRmT2_T3_T4_T5_mT6_T7_P12ihipStream_tbENKUlT_T0_E_clISt17integral_constantIbLb0EES11_EEDaSW_SX_EUlSW_E_NS1_11comp_targetILNS1_3genE4ELNS1_11target_archE910ELNS1_3gpuE8ELNS1_3repE0EEENS1_30default_config_static_selectorELNS0_4arch9wavefront6targetE0EEEvT1_
	.globl	_ZN7rocprim17ROCPRIM_400000_NS6detail17trampoline_kernelINS0_14default_configENS1_27scan_by_key_config_selectorIifEEZZNS1_16scan_by_key_implILNS1_25lookback_scan_determinismE0ELb1ES3_N6thrust23THRUST_200600_302600_NS6detail15normal_iteratorINS9_10device_ptrIiEEEENSB_INSC_IfEEEESG_fNS9_4plusIvEENS9_8equal_toIvEEfEE10hipError_tPvRmT2_T3_T4_T5_mT6_T7_P12ihipStream_tbENKUlT_T0_E_clISt17integral_constantIbLb0EES11_EEDaSW_SX_EUlSW_E_NS1_11comp_targetILNS1_3genE4ELNS1_11target_archE910ELNS1_3gpuE8ELNS1_3repE0EEENS1_30default_config_static_selectorELNS0_4arch9wavefront6targetE0EEEvT1_
	.p2align	8
	.type	_ZN7rocprim17ROCPRIM_400000_NS6detail17trampoline_kernelINS0_14default_configENS1_27scan_by_key_config_selectorIifEEZZNS1_16scan_by_key_implILNS1_25lookback_scan_determinismE0ELb1ES3_N6thrust23THRUST_200600_302600_NS6detail15normal_iteratorINS9_10device_ptrIiEEEENSB_INSC_IfEEEESG_fNS9_4plusIvEENS9_8equal_toIvEEfEE10hipError_tPvRmT2_T3_T4_T5_mT6_T7_P12ihipStream_tbENKUlT_T0_E_clISt17integral_constantIbLb0EES11_EEDaSW_SX_EUlSW_E_NS1_11comp_targetILNS1_3genE4ELNS1_11target_archE910ELNS1_3gpuE8ELNS1_3repE0EEENS1_30default_config_static_selectorELNS0_4arch9wavefront6targetE0EEEvT1_,@function
_ZN7rocprim17ROCPRIM_400000_NS6detail17trampoline_kernelINS0_14default_configENS1_27scan_by_key_config_selectorIifEEZZNS1_16scan_by_key_implILNS1_25lookback_scan_determinismE0ELb1ES3_N6thrust23THRUST_200600_302600_NS6detail15normal_iteratorINS9_10device_ptrIiEEEENSB_INSC_IfEEEESG_fNS9_4plusIvEENS9_8equal_toIvEEfEE10hipError_tPvRmT2_T3_T4_T5_mT6_T7_P12ihipStream_tbENKUlT_T0_E_clISt17integral_constantIbLb0EES11_EEDaSW_SX_EUlSW_E_NS1_11comp_targetILNS1_3genE4ELNS1_11target_archE910ELNS1_3gpuE8ELNS1_3repE0EEENS1_30default_config_static_selectorELNS0_4arch9wavefront6targetE0EEEvT1_: ; @_ZN7rocprim17ROCPRIM_400000_NS6detail17trampoline_kernelINS0_14default_configENS1_27scan_by_key_config_selectorIifEEZZNS1_16scan_by_key_implILNS1_25lookback_scan_determinismE0ELb1ES3_N6thrust23THRUST_200600_302600_NS6detail15normal_iteratorINS9_10device_ptrIiEEEENSB_INSC_IfEEEESG_fNS9_4plusIvEENS9_8equal_toIvEEfEE10hipError_tPvRmT2_T3_T4_T5_mT6_T7_P12ihipStream_tbENKUlT_T0_E_clISt17integral_constantIbLb0EES11_EEDaSW_SX_EUlSW_E_NS1_11comp_targetILNS1_3genE4ELNS1_11target_archE910ELNS1_3gpuE8ELNS1_3repE0EEENS1_30default_config_static_selectorELNS0_4arch9wavefront6targetE0EEEvT1_
; %bb.0:
	.section	.rodata,"a",@progbits
	.p2align	6, 0x0
	.amdhsa_kernel _ZN7rocprim17ROCPRIM_400000_NS6detail17trampoline_kernelINS0_14default_configENS1_27scan_by_key_config_selectorIifEEZZNS1_16scan_by_key_implILNS1_25lookback_scan_determinismE0ELb1ES3_N6thrust23THRUST_200600_302600_NS6detail15normal_iteratorINS9_10device_ptrIiEEEENSB_INSC_IfEEEESG_fNS9_4plusIvEENS9_8equal_toIvEEfEE10hipError_tPvRmT2_T3_T4_T5_mT6_T7_P12ihipStream_tbENKUlT_T0_E_clISt17integral_constantIbLb0EES11_EEDaSW_SX_EUlSW_E_NS1_11comp_targetILNS1_3genE4ELNS1_11target_archE910ELNS1_3gpuE8ELNS1_3repE0EEENS1_30default_config_static_selectorELNS0_4arch9wavefront6targetE0EEEvT1_
		.amdhsa_group_segment_fixed_size 0
		.amdhsa_private_segment_fixed_size 0
		.amdhsa_kernarg_size 112
		.amdhsa_user_sgpr_count 2
		.amdhsa_user_sgpr_dispatch_ptr 0
		.amdhsa_user_sgpr_queue_ptr 0
		.amdhsa_user_sgpr_kernarg_segment_ptr 1
		.amdhsa_user_sgpr_dispatch_id 0
		.amdhsa_user_sgpr_kernarg_preload_length 0
		.amdhsa_user_sgpr_kernarg_preload_offset 0
		.amdhsa_user_sgpr_private_segment_size 0
		.amdhsa_wavefront_size32 1
		.amdhsa_uses_dynamic_stack 0
		.amdhsa_enable_private_segment 0
		.amdhsa_system_sgpr_workgroup_id_x 1
		.amdhsa_system_sgpr_workgroup_id_y 0
		.amdhsa_system_sgpr_workgroup_id_z 0
		.amdhsa_system_sgpr_workgroup_info 0
		.amdhsa_system_vgpr_workitem_id 0
		.amdhsa_next_free_vgpr 1
		.amdhsa_next_free_sgpr 1
		.amdhsa_named_barrier_count 0
		.amdhsa_reserve_vcc 0
		.amdhsa_float_round_mode_32 0
		.amdhsa_float_round_mode_16_64 0
		.amdhsa_float_denorm_mode_32 3
		.amdhsa_float_denorm_mode_16_64 3
		.amdhsa_fp16_overflow 0
		.amdhsa_memory_ordered 1
		.amdhsa_forward_progress 1
		.amdhsa_inst_pref_size 0
		.amdhsa_round_robin_scheduling 0
		.amdhsa_exception_fp_ieee_invalid_op 0
		.amdhsa_exception_fp_denorm_src 0
		.amdhsa_exception_fp_ieee_div_zero 0
		.amdhsa_exception_fp_ieee_overflow 0
		.amdhsa_exception_fp_ieee_underflow 0
		.amdhsa_exception_fp_ieee_inexact 0
		.amdhsa_exception_int_div_zero 0
	.end_amdhsa_kernel
	.section	.text._ZN7rocprim17ROCPRIM_400000_NS6detail17trampoline_kernelINS0_14default_configENS1_27scan_by_key_config_selectorIifEEZZNS1_16scan_by_key_implILNS1_25lookback_scan_determinismE0ELb1ES3_N6thrust23THRUST_200600_302600_NS6detail15normal_iteratorINS9_10device_ptrIiEEEENSB_INSC_IfEEEESG_fNS9_4plusIvEENS9_8equal_toIvEEfEE10hipError_tPvRmT2_T3_T4_T5_mT6_T7_P12ihipStream_tbENKUlT_T0_E_clISt17integral_constantIbLb0EES11_EEDaSW_SX_EUlSW_E_NS1_11comp_targetILNS1_3genE4ELNS1_11target_archE910ELNS1_3gpuE8ELNS1_3repE0EEENS1_30default_config_static_selectorELNS0_4arch9wavefront6targetE0EEEvT1_,"axG",@progbits,_ZN7rocprim17ROCPRIM_400000_NS6detail17trampoline_kernelINS0_14default_configENS1_27scan_by_key_config_selectorIifEEZZNS1_16scan_by_key_implILNS1_25lookback_scan_determinismE0ELb1ES3_N6thrust23THRUST_200600_302600_NS6detail15normal_iteratorINS9_10device_ptrIiEEEENSB_INSC_IfEEEESG_fNS9_4plusIvEENS9_8equal_toIvEEfEE10hipError_tPvRmT2_T3_T4_T5_mT6_T7_P12ihipStream_tbENKUlT_T0_E_clISt17integral_constantIbLb0EES11_EEDaSW_SX_EUlSW_E_NS1_11comp_targetILNS1_3genE4ELNS1_11target_archE910ELNS1_3gpuE8ELNS1_3repE0EEENS1_30default_config_static_selectorELNS0_4arch9wavefront6targetE0EEEvT1_,comdat
.Lfunc_end1430:
	.size	_ZN7rocprim17ROCPRIM_400000_NS6detail17trampoline_kernelINS0_14default_configENS1_27scan_by_key_config_selectorIifEEZZNS1_16scan_by_key_implILNS1_25lookback_scan_determinismE0ELb1ES3_N6thrust23THRUST_200600_302600_NS6detail15normal_iteratorINS9_10device_ptrIiEEEENSB_INSC_IfEEEESG_fNS9_4plusIvEENS9_8equal_toIvEEfEE10hipError_tPvRmT2_T3_T4_T5_mT6_T7_P12ihipStream_tbENKUlT_T0_E_clISt17integral_constantIbLb0EES11_EEDaSW_SX_EUlSW_E_NS1_11comp_targetILNS1_3genE4ELNS1_11target_archE910ELNS1_3gpuE8ELNS1_3repE0EEENS1_30default_config_static_selectorELNS0_4arch9wavefront6targetE0EEEvT1_, .Lfunc_end1430-_ZN7rocprim17ROCPRIM_400000_NS6detail17trampoline_kernelINS0_14default_configENS1_27scan_by_key_config_selectorIifEEZZNS1_16scan_by_key_implILNS1_25lookback_scan_determinismE0ELb1ES3_N6thrust23THRUST_200600_302600_NS6detail15normal_iteratorINS9_10device_ptrIiEEEENSB_INSC_IfEEEESG_fNS9_4plusIvEENS9_8equal_toIvEEfEE10hipError_tPvRmT2_T3_T4_T5_mT6_T7_P12ihipStream_tbENKUlT_T0_E_clISt17integral_constantIbLb0EES11_EEDaSW_SX_EUlSW_E_NS1_11comp_targetILNS1_3genE4ELNS1_11target_archE910ELNS1_3gpuE8ELNS1_3repE0EEENS1_30default_config_static_selectorELNS0_4arch9wavefront6targetE0EEEvT1_
                                        ; -- End function
	.set _ZN7rocprim17ROCPRIM_400000_NS6detail17trampoline_kernelINS0_14default_configENS1_27scan_by_key_config_selectorIifEEZZNS1_16scan_by_key_implILNS1_25lookback_scan_determinismE0ELb1ES3_N6thrust23THRUST_200600_302600_NS6detail15normal_iteratorINS9_10device_ptrIiEEEENSB_INSC_IfEEEESG_fNS9_4plusIvEENS9_8equal_toIvEEfEE10hipError_tPvRmT2_T3_T4_T5_mT6_T7_P12ihipStream_tbENKUlT_T0_E_clISt17integral_constantIbLb0EES11_EEDaSW_SX_EUlSW_E_NS1_11comp_targetILNS1_3genE4ELNS1_11target_archE910ELNS1_3gpuE8ELNS1_3repE0EEENS1_30default_config_static_selectorELNS0_4arch9wavefront6targetE0EEEvT1_.num_vgpr, 0
	.set _ZN7rocprim17ROCPRIM_400000_NS6detail17trampoline_kernelINS0_14default_configENS1_27scan_by_key_config_selectorIifEEZZNS1_16scan_by_key_implILNS1_25lookback_scan_determinismE0ELb1ES3_N6thrust23THRUST_200600_302600_NS6detail15normal_iteratorINS9_10device_ptrIiEEEENSB_INSC_IfEEEESG_fNS9_4plusIvEENS9_8equal_toIvEEfEE10hipError_tPvRmT2_T3_T4_T5_mT6_T7_P12ihipStream_tbENKUlT_T0_E_clISt17integral_constantIbLb0EES11_EEDaSW_SX_EUlSW_E_NS1_11comp_targetILNS1_3genE4ELNS1_11target_archE910ELNS1_3gpuE8ELNS1_3repE0EEENS1_30default_config_static_selectorELNS0_4arch9wavefront6targetE0EEEvT1_.num_agpr, 0
	.set _ZN7rocprim17ROCPRIM_400000_NS6detail17trampoline_kernelINS0_14default_configENS1_27scan_by_key_config_selectorIifEEZZNS1_16scan_by_key_implILNS1_25lookback_scan_determinismE0ELb1ES3_N6thrust23THRUST_200600_302600_NS6detail15normal_iteratorINS9_10device_ptrIiEEEENSB_INSC_IfEEEESG_fNS9_4plusIvEENS9_8equal_toIvEEfEE10hipError_tPvRmT2_T3_T4_T5_mT6_T7_P12ihipStream_tbENKUlT_T0_E_clISt17integral_constantIbLb0EES11_EEDaSW_SX_EUlSW_E_NS1_11comp_targetILNS1_3genE4ELNS1_11target_archE910ELNS1_3gpuE8ELNS1_3repE0EEENS1_30default_config_static_selectorELNS0_4arch9wavefront6targetE0EEEvT1_.numbered_sgpr, 0
	.set _ZN7rocprim17ROCPRIM_400000_NS6detail17trampoline_kernelINS0_14default_configENS1_27scan_by_key_config_selectorIifEEZZNS1_16scan_by_key_implILNS1_25lookback_scan_determinismE0ELb1ES3_N6thrust23THRUST_200600_302600_NS6detail15normal_iteratorINS9_10device_ptrIiEEEENSB_INSC_IfEEEESG_fNS9_4plusIvEENS9_8equal_toIvEEfEE10hipError_tPvRmT2_T3_T4_T5_mT6_T7_P12ihipStream_tbENKUlT_T0_E_clISt17integral_constantIbLb0EES11_EEDaSW_SX_EUlSW_E_NS1_11comp_targetILNS1_3genE4ELNS1_11target_archE910ELNS1_3gpuE8ELNS1_3repE0EEENS1_30default_config_static_selectorELNS0_4arch9wavefront6targetE0EEEvT1_.num_named_barrier, 0
	.set _ZN7rocprim17ROCPRIM_400000_NS6detail17trampoline_kernelINS0_14default_configENS1_27scan_by_key_config_selectorIifEEZZNS1_16scan_by_key_implILNS1_25lookback_scan_determinismE0ELb1ES3_N6thrust23THRUST_200600_302600_NS6detail15normal_iteratorINS9_10device_ptrIiEEEENSB_INSC_IfEEEESG_fNS9_4plusIvEENS9_8equal_toIvEEfEE10hipError_tPvRmT2_T3_T4_T5_mT6_T7_P12ihipStream_tbENKUlT_T0_E_clISt17integral_constantIbLb0EES11_EEDaSW_SX_EUlSW_E_NS1_11comp_targetILNS1_3genE4ELNS1_11target_archE910ELNS1_3gpuE8ELNS1_3repE0EEENS1_30default_config_static_selectorELNS0_4arch9wavefront6targetE0EEEvT1_.private_seg_size, 0
	.set _ZN7rocprim17ROCPRIM_400000_NS6detail17trampoline_kernelINS0_14default_configENS1_27scan_by_key_config_selectorIifEEZZNS1_16scan_by_key_implILNS1_25lookback_scan_determinismE0ELb1ES3_N6thrust23THRUST_200600_302600_NS6detail15normal_iteratorINS9_10device_ptrIiEEEENSB_INSC_IfEEEESG_fNS9_4plusIvEENS9_8equal_toIvEEfEE10hipError_tPvRmT2_T3_T4_T5_mT6_T7_P12ihipStream_tbENKUlT_T0_E_clISt17integral_constantIbLb0EES11_EEDaSW_SX_EUlSW_E_NS1_11comp_targetILNS1_3genE4ELNS1_11target_archE910ELNS1_3gpuE8ELNS1_3repE0EEENS1_30default_config_static_selectorELNS0_4arch9wavefront6targetE0EEEvT1_.uses_vcc, 0
	.set _ZN7rocprim17ROCPRIM_400000_NS6detail17trampoline_kernelINS0_14default_configENS1_27scan_by_key_config_selectorIifEEZZNS1_16scan_by_key_implILNS1_25lookback_scan_determinismE0ELb1ES3_N6thrust23THRUST_200600_302600_NS6detail15normal_iteratorINS9_10device_ptrIiEEEENSB_INSC_IfEEEESG_fNS9_4plusIvEENS9_8equal_toIvEEfEE10hipError_tPvRmT2_T3_T4_T5_mT6_T7_P12ihipStream_tbENKUlT_T0_E_clISt17integral_constantIbLb0EES11_EEDaSW_SX_EUlSW_E_NS1_11comp_targetILNS1_3genE4ELNS1_11target_archE910ELNS1_3gpuE8ELNS1_3repE0EEENS1_30default_config_static_selectorELNS0_4arch9wavefront6targetE0EEEvT1_.uses_flat_scratch, 0
	.set _ZN7rocprim17ROCPRIM_400000_NS6detail17trampoline_kernelINS0_14default_configENS1_27scan_by_key_config_selectorIifEEZZNS1_16scan_by_key_implILNS1_25lookback_scan_determinismE0ELb1ES3_N6thrust23THRUST_200600_302600_NS6detail15normal_iteratorINS9_10device_ptrIiEEEENSB_INSC_IfEEEESG_fNS9_4plusIvEENS9_8equal_toIvEEfEE10hipError_tPvRmT2_T3_T4_T5_mT6_T7_P12ihipStream_tbENKUlT_T0_E_clISt17integral_constantIbLb0EES11_EEDaSW_SX_EUlSW_E_NS1_11comp_targetILNS1_3genE4ELNS1_11target_archE910ELNS1_3gpuE8ELNS1_3repE0EEENS1_30default_config_static_selectorELNS0_4arch9wavefront6targetE0EEEvT1_.has_dyn_sized_stack, 0
	.set _ZN7rocprim17ROCPRIM_400000_NS6detail17trampoline_kernelINS0_14default_configENS1_27scan_by_key_config_selectorIifEEZZNS1_16scan_by_key_implILNS1_25lookback_scan_determinismE0ELb1ES3_N6thrust23THRUST_200600_302600_NS6detail15normal_iteratorINS9_10device_ptrIiEEEENSB_INSC_IfEEEESG_fNS9_4plusIvEENS9_8equal_toIvEEfEE10hipError_tPvRmT2_T3_T4_T5_mT6_T7_P12ihipStream_tbENKUlT_T0_E_clISt17integral_constantIbLb0EES11_EEDaSW_SX_EUlSW_E_NS1_11comp_targetILNS1_3genE4ELNS1_11target_archE910ELNS1_3gpuE8ELNS1_3repE0EEENS1_30default_config_static_selectorELNS0_4arch9wavefront6targetE0EEEvT1_.has_recursion, 0
	.set _ZN7rocprim17ROCPRIM_400000_NS6detail17trampoline_kernelINS0_14default_configENS1_27scan_by_key_config_selectorIifEEZZNS1_16scan_by_key_implILNS1_25lookback_scan_determinismE0ELb1ES3_N6thrust23THRUST_200600_302600_NS6detail15normal_iteratorINS9_10device_ptrIiEEEENSB_INSC_IfEEEESG_fNS9_4plusIvEENS9_8equal_toIvEEfEE10hipError_tPvRmT2_T3_T4_T5_mT6_T7_P12ihipStream_tbENKUlT_T0_E_clISt17integral_constantIbLb0EES11_EEDaSW_SX_EUlSW_E_NS1_11comp_targetILNS1_3genE4ELNS1_11target_archE910ELNS1_3gpuE8ELNS1_3repE0EEENS1_30default_config_static_selectorELNS0_4arch9wavefront6targetE0EEEvT1_.has_indirect_call, 0
	.section	.AMDGPU.csdata,"",@progbits
; Kernel info:
; codeLenInByte = 0
; TotalNumSgprs: 0
; NumVgprs: 0
; ScratchSize: 0
; MemoryBound: 0
; FloatMode: 240
; IeeeMode: 1
; LDSByteSize: 0 bytes/workgroup (compile time only)
; SGPRBlocks: 0
; VGPRBlocks: 0
; NumSGPRsForWavesPerEU: 1
; NumVGPRsForWavesPerEU: 1
; NamedBarCnt: 0
; Occupancy: 16
; WaveLimiterHint : 0
; COMPUTE_PGM_RSRC2:SCRATCH_EN: 0
; COMPUTE_PGM_RSRC2:USER_SGPR: 2
; COMPUTE_PGM_RSRC2:TRAP_HANDLER: 0
; COMPUTE_PGM_RSRC2:TGID_X_EN: 1
; COMPUTE_PGM_RSRC2:TGID_Y_EN: 0
; COMPUTE_PGM_RSRC2:TGID_Z_EN: 0
; COMPUTE_PGM_RSRC2:TIDIG_COMP_CNT: 0
	.section	.text._ZN7rocprim17ROCPRIM_400000_NS6detail17trampoline_kernelINS0_14default_configENS1_27scan_by_key_config_selectorIifEEZZNS1_16scan_by_key_implILNS1_25lookback_scan_determinismE0ELb1ES3_N6thrust23THRUST_200600_302600_NS6detail15normal_iteratorINS9_10device_ptrIiEEEENSB_INSC_IfEEEESG_fNS9_4plusIvEENS9_8equal_toIvEEfEE10hipError_tPvRmT2_T3_T4_T5_mT6_T7_P12ihipStream_tbENKUlT_T0_E_clISt17integral_constantIbLb0EES11_EEDaSW_SX_EUlSW_E_NS1_11comp_targetILNS1_3genE3ELNS1_11target_archE908ELNS1_3gpuE7ELNS1_3repE0EEENS1_30default_config_static_selectorELNS0_4arch9wavefront6targetE0EEEvT1_,"axG",@progbits,_ZN7rocprim17ROCPRIM_400000_NS6detail17trampoline_kernelINS0_14default_configENS1_27scan_by_key_config_selectorIifEEZZNS1_16scan_by_key_implILNS1_25lookback_scan_determinismE0ELb1ES3_N6thrust23THRUST_200600_302600_NS6detail15normal_iteratorINS9_10device_ptrIiEEEENSB_INSC_IfEEEESG_fNS9_4plusIvEENS9_8equal_toIvEEfEE10hipError_tPvRmT2_T3_T4_T5_mT6_T7_P12ihipStream_tbENKUlT_T0_E_clISt17integral_constantIbLb0EES11_EEDaSW_SX_EUlSW_E_NS1_11comp_targetILNS1_3genE3ELNS1_11target_archE908ELNS1_3gpuE7ELNS1_3repE0EEENS1_30default_config_static_selectorELNS0_4arch9wavefront6targetE0EEEvT1_,comdat
	.protected	_ZN7rocprim17ROCPRIM_400000_NS6detail17trampoline_kernelINS0_14default_configENS1_27scan_by_key_config_selectorIifEEZZNS1_16scan_by_key_implILNS1_25lookback_scan_determinismE0ELb1ES3_N6thrust23THRUST_200600_302600_NS6detail15normal_iteratorINS9_10device_ptrIiEEEENSB_INSC_IfEEEESG_fNS9_4plusIvEENS9_8equal_toIvEEfEE10hipError_tPvRmT2_T3_T4_T5_mT6_T7_P12ihipStream_tbENKUlT_T0_E_clISt17integral_constantIbLb0EES11_EEDaSW_SX_EUlSW_E_NS1_11comp_targetILNS1_3genE3ELNS1_11target_archE908ELNS1_3gpuE7ELNS1_3repE0EEENS1_30default_config_static_selectorELNS0_4arch9wavefront6targetE0EEEvT1_ ; -- Begin function _ZN7rocprim17ROCPRIM_400000_NS6detail17trampoline_kernelINS0_14default_configENS1_27scan_by_key_config_selectorIifEEZZNS1_16scan_by_key_implILNS1_25lookback_scan_determinismE0ELb1ES3_N6thrust23THRUST_200600_302600_NS6detail15normal_iteratorINS9_10device_ptrIiEEEENSB_INSC_IfEEEESG_fNS9_4plusIvEENS9_8equal_toIvEEfEE10hipError_tPvRmT2_T3_T4_T5_mT6_T7_P12ihipStream_tbENKUlT_T0_E_clISt17integral_constantIbLb0EES11_EEDaSW_SX_EUlSW_E_NS1_11comp_targetILNS1_3genE3ELNS1_11target_archE908ELNS1_3gpuE7ELNS1_3repE0EEENS1_30default_config_static_selectorELNS0_4arch9wavefront6targetE0EEEvT1_
	.globl	_ZN7rocprim17ROCPRIM_400000_NS6detail17trampoline_kernelINS0_14default_configENS1_27scan_by_key_config_selectorIifEEZZNS1_16scan_by_key_implILNS1_25lookback_scan_determinismE0ELb1ES3_N6thrust23THRUST_200600_302600_NS6detail15normal_iteratorINS9_10device_ptrIiEEEENSB_INSC_IfEEEESG_fNS9_4plusIvEENS9_8equal_toIvEEfEE10hipError_tPvRmT2_T3_T4_T5_mT6_T7_P12ihipStream_tbENKUlT_T0_E_clISt17integral_constantIbLb0EES11_EEDaSW_SX_EUlSW_E_NS1_11comp_targetILNS1_3genE3ELNS1_11target_archE908ELNS1_3gpuE7ELNS1_3repE0EEENS1_30default_config_static_selectorELNS0_4arch9wavefront6targetE0EEEvT1_
	.p2align	8
	.type	_ZN7rocprim17ROCPRIM_400000_NS6detail17trampoline_kernelINS0_14default_configENS1_27scan_by_key_config_selectorIifEEZZNS1_16scan_by_key_implILNS1_25lookback_scan_determinismE0ELb1ES3_N6thrust23THRUST_200600_302600_NS6detail15normal_iteratorINS9_10device_ptrIiEEEENSB_INSC_IfEEEESG_fNS9_4plusIvEENS9_8equal_toIvEEfEE10hipError_tPvRmT2_T3_T4_T5_mT6_T7_P12ihipStream_tbENKUlT_T0_E_clISt17integral_constantIbLb0EES11_EEDaSW_SX_EUlSW_E_NS1_11comp_targetILNS1_3genE3ELNS1_11target_archE908ELNS1_3gpuE7ELNS1_3repE0EEENS1_30default_config_static_selectorELNS0_4arch9wavefront6targetE0EEEvT1_,@function
_ZN7rocprim17ROCPRIM_400000_NS6detail17trampoline_kernelINS0_14default_configENS1_27scan_by_key_config_selectorIifEEZZNS1_16scan_by_key_implILNS1_25lookback_scan_determinismE0ELb1ES3_N6thrust23THRUST_200600_302600_NS6detail15normal_iteratorINS9_10device_ptrIiEEEENSB_INSC_IfEEEESG_fNS9_4plusIvEENS9_8equal_toIvEEfEE10hipError_tPvRmT2_T3_T4_T5_mT6_T7_P12ihipStream_tbENKUlT_T0_E_clISt17integral_constantIbLb0EES11_EEDaSW_SX_EUlSW_E_NS1_11comp_targetILNS1_3genE3ELNS1_11target_archE908ELNS1_3gpuE7ELNS1_3repE0EEENS1_30default_config_static_selectorELNS0_4arch9wavefront6targetE0EEEvT1_: ; @_ZN7rocprim17ROCPRIM_400000_NS6detail17trampoline_kernelINS0_14default_configENS1_27scan_by_key_config_selectorIifEEZZNS1_16scan_by_key_implILNS1_25lookback_scan_determinismE0ELb1ES3_N6thrust23THRUST_200600_302600_NS6detail15normal_iteratorINS9_10device_ptrIiEEEENSB_INSC_IfEEEESG_fNS9_4plusIvEENS9_8equal_toIvEEfEE10hipError_tPvRmT2_T3_T4_T5_mT6_T7_P12ihipStream_tbENKUlT_T0_E_clISt17integral_constantIbLb0EES11_EEDaSW_SX_EUlSW_E_NS1_11comp_targetILNS1_3genE3ELNS1_11target_archE908ELNS1_3gpuE7ELNS1_3repE0EEENS1_30default_config_static_selectorELNS0_4arch9wavefront6targetE0EEEvT1_
; %bb.0:
	.section	.rodata,"a",@progbits
	.p2align	6, 0x0
	.amdhsa_kernel _ZN7rocprim17ROCPRIM_400000_NS6detail17trampoline_kernelINS0_14default_configENS1_27scan_by_key_config_selectorIifEEZZNS1_16scan_by_key_implILNS1_25lookback_scan_determinismE0ELb1ES3_N6thrust23THRUST_200600_302600_NS6detail15normal_iteratorINS9_10device_ptrIiEEEENSB_INSC_IfEEEESG_fNS9_4plusIvEENS9_8equal_toIvEEfEE10hipError_tPvRmT2_T3_T4_T5_mT6_T7_P12ihipStream_tbENKUlT_T0_E_clISt17integral_constantIbLb0EES11_EEDaSW_SX_EUlSW_E_NS1_11comp_targetILNS1_3genE3ELNS1_11target_archE908ELNS1_3gpuE7ELNS1_3repE0EEENS1_30default_config_static_selectorELNS0_4arch9wavefront6targetE0EEEvT1_
		.amdhsa_group_segment_fixed_size 0
		.amdhsa_private_segment_fixed_size 0
		.amdhsa_kernarg_size 112
		.amdhsa_user_sgpr_count 2
		.amdhsa_user_sgpr_dispatch_ptr 0
		.amdhsa_user_sgpr_queue_ptr 0
		.amdhsa_user_sgpr_kernarg_segment_ptr 1
		.amdhsa_user_sgpr_dispatch_id 0
		.amdhsa_user_sgpr_kernarg_preload_length 0
		.amdhsa_user_sgpr_kernarg_preload_offset 0
		.amdhsa_user_sgpr_private_segment_size 0
		.amdhsa_wavefront_size32 1
		.amdhsa_uses_dynamic_stack 0
		.amdhsa_enable_private_segment 0
		.amdhsa_system_sgpr_workgroup_id_x 1
		.amdhsa_system_sgpr_workgroup_id_y 0
		.amdhsa_system_sgpr_workgroup_id_z 0
		.amdhsa_system_sgpr_workgroup_info 0
		.amdhsa_system_vgpr_workitem_id 0
		.amdhsa_next_free_vgpr 1
		.amdhsa_next_free_sgpr 1
		.amdhsa_named_barrier_count 0
		.amdhsa_reserve_vcc 0
		.amdhsa_float_round_mode_32 0
		.amdhsa_float_round_mode_16_64 0
		.amdhsa_float_denorm_mode_32 3
		.amdhsa_float_denorm_mode_16_64 3
		.amdhsa_fp16_overflow 0
		.amdhsa_memory_ordered 1
		.amdhsa_forward_progress 1
		.amdhsa_inst_pref_size 0
		.amdhsa_round_robin_scheduling 0
		.amdhsa_exception_fp_ieee_invalid_op 0
		.amdhsa_exception_fp_denorm_src 0
		.amdhsa_exception_fp_ieee_div_zero 0
		.amdhsa_exception_fp_ieee_overflow 0
		.amdhsa_exception_fp_ieee_underflow 0
		.amdhsa_exception_fp_ieee_inexact 0
		.amdhsa_exception_int_div_zero 0
	.end_amdhsa_kernel
	.section	.text._ZN7rocprim17ROCPRIM_400000_NS6detail17trampoline_kernelINS0_14default_configENS1_27scan_by_key_config_selectorIifEEZZNS1_16scan_by_key_implILNS1_25lookback_scan_determinismE0ELb1ES3_N6thrust23THRUST_200600_302600_NS6detail15normal_iteratorINS9_10device_ptrIiEEEENSB_INSC_IfEEEESG_fNS9_4plusIvEENS9_8equal_toIvEEfEE10hipError_tPvRmT2_T3_T4_T5_mT6_T7_P12ihipStream_tbENKUlT_T0_E_clISt17integral_constantIbLb0EES11_EEDaSW_SX_EUlSW_E_NS1_11comp_targetILNS1_3genE3ELNS1_11target_archE908ELNS1_3gpuE7ELNS1_3repE0EEENS1_30default_config_static_selectorELNS0_4arch9wavefront6targetE0EEEvT1_,"axG",@progbits,_ZN7rocprim17ROCPRIM_400000_NS6detail17trampoline_kernelINS0_14default_configENS1_27scan_by_key_config_selectorIifEEZZNS1_16scan_by_key_implILNS1_25lookback_scan_determinismE0ELb1ES3_N6thrust23THRUST_200600_302600_NS6detail15normal_iteratorINS9_10device_ptrIiEEEENSB_INSC_IfEEEESG_fNS9_4plusIvEENS9_8equal_toIvEEfEE10hipError_tPvRmT2_T3_T4_T5_mT6_T7_P12ihipStream_tbENKUlT_T0_E_clISt17integral_constantIbLb0EES11_EEDaSW_SX_EUlSW_E_NS1_11comp_targetILNS1_3genE3ELNS1_11target_archE908ELNS1_3gpuE7ELNS1_3repE0EEENS1_30default_config_static_selectorELNS0_4arch9wavefront6targetE0EEEvT1_,comdat
.Lfunc_end1431:
	.size	_ZN7rocprim17ROCPRIM_400000_NS6detail17trampoline_kernelINS0_14default_configENS1_27scan_by_key_config_selectorIifEEZZNS1_16scan_by_key_implILNS1_25lookback_scan_determinismE0ELb1ES3_N6thrust23THRUST_200600_302600_NS6detail15normal_iteratorINS9_10device_ptrIiEEEENSB_INSC_IfEEEESG_fNS9_4plusIvEENS9_8equal_toIvEEfEE10hipError_tPvRmT2_T3_T4_T5_mT6_T7_P12ihipStream_tbENKUlT_T0_E_clISt17integral_constantIbLb0EES11_EEDaSW_SX_EUlSW_E_NS1_11comp_targetILNS1_3genE3ELNS1_11target_archE908ELNS1_3gpuE7ELNS1_3repE0EEENS1_30default_config_static_selectorELNS0_4arch9wavefront6targetE0EEEvT1_, .Lfunc_end1431-_ZN7rocprim17ROCPRIM_400000_NS6detail17trampoline_kernelINS0_14default_configENS1_27scan_by_key_config_selectorIifEEZZNS1_16scan_by_key_implILNS1_25lookback_scan_determinismE0ELb1ES3_N6thrust23THRUST_200600_302600_NS6detail15normal_iteratorINS9_10device_ptrIiEEEENSB_INSC_IfEEEESG_fNS9_4plusIvEENS9_8equal_toIvEEfEE10hipError_tPvRmT2_T3_T4_T5_mT6_T7_P12ihipStream_tbENKUlT_T0_E_clISt17integral_constantIbLb0EES11_EEDaSW_SX_EUlSW_E_NS1_11comp_targetILNS1_3genE3ELNS1_11target_archE908ELNS1_3gpuE7ELNS1_3repE0EEENS1_30default_config_static_selectorELNS0_4arch9wavefront6targetE0EEEvT1_
                                        ; -- End function
	.set _ZN7rocprim17ROCPRIM_400000_NS6detail17trampoline_kernelINS0_14default_configENS1_27scan_by_key_config_selectorIifEEZZNS1_16scan_by_key_implILNS1_25lookback_scan_determinismE0ELb1ES3_N6thrust23THRUST_200600_302600_NS6detail15normal_iteratorINS9_10device_ptrIiEEEENSB_INSC_IfEEEESG_fNS9_4plusIvEENS9_8equal_toIvEEfEE10hipError_tPvRmT2_T3_T4_T5_mT6_T7_P12ihipStream_tbENKUlT_T0_E_clISt17integral_constantIbLb0EES11_EEDaSW_SX_EUlSW_E_NS1_11comp_targetILNS1_3genE3ELNS1_11target_archE908ELNS1_3gpuE7ELNS1_3repE0EEENS1_30default_config_static_selectorELNS0_4arch9wavefront6targetE0EEEvT1_.num_vgpr, 0
	.set _ZN7rocprim17ROCPRIM_400000_NS6detail17trampoline_kernelINS0_14default_configENS1_27scan_by_key_config_selectorIifEEZZNS1_16scan_by_key_implILNS1_25lookback_scan_determinismE0ELb1ES3_N6thrust23THRUST_200600_302600_NS6detail15normal_iteratorINS9_10device_ptrIiEEEENSB_INSC_IfEEEESG_fNS9_4plusIvEENS9_8equal_toIvEEfEE10hipError_tPvRmT2_T3_T4_T5_mT6_T7_P12ihipStream_tbENKUlT_T0_E_clISt17integral_constantIbLb0EES11_EEDaSW_SX_EUlSW_E_NS1_11comp_targetILNS1_3genE3ELNS1_11target_archE908ELNS1_3gpuE7ELNS1_3repE0EEENS1_30default_config_static_selectorELNS0_4arch9wavefront6targetE0EEEvT1_.num_agpr, 0
	.set _ZN7rocprim17ROCPRIM_400000_NS6detail17trampoline_kernelINS0_14default_configENS1_27scan_by_key_config_selectorIifEEZZNS1_16scan_by_key_implILNS1_25lookback_scan_determinismE0ELb1ES3_N6thrust23THRUST_200600_302600_NS6detail15normal_iteratorINS9_10device_ptrIiEEEENSB_INSC_IfEEEESG_fNS9_4plusIvEENS9_8equal_toIvEEfEE10hipError_tPvRmT2_T3_T4_T5_mT6_T7_P12ihipStream_tbENKUlT_T0_E_clISt17integral_constantIbLb0EES11_EEDaSW_SX_EUlSW_E_NS1_11comp_targetILNS1_3genE3ELNS1_11target_archE908ELNS1_3gpuE7ELNS1_3repE0EEENS1_30default_config_static_selectorELNS0_4arch9wavefront6targetE0EEEvT1_.numbered_sgpr, 0
	.set _ZN7rocprim17ROCPRIM_400000_NS6detail17trampoline_kernelINS0_14default_configENS1_27scan_by_key_config_selectorIifEEZZNS1_16scan_by_key_implILNS1_25lookback_scan_determinismE0ELb1ES3_N6thrust23THRUST_200600_302600_NS6detail15normal_iteratorINS9_10device_ptrIiEEEENSB_INSC_IfEEEESG_fNS9_4plusIvEENS9_8equal_toIvEEfEE10hipError_tPvRmT2_T3_T4_T5_mT6_T7_P12ihipStream_tbENKUlT_T0_E_clISt17integral_constantIbLb0EES11_EEDaSW_SX_EUlSW_E_NS1_11comp_targetILNS1_3genE3ELNS1_11target_archE908ELNS1_3gpuE7ELNS1_3repE0EEENS1_30default_config_static_selectorELNS0_4arch9wavefront6targetE0EEEvT1_.num_named_barrier, 0
	.set _ZN7rocprim17ROCPRIM_400000_NS6detail17trampoline_kernelINS0_14default_configENS1_27scan_by_key_config_selectorIifEEZZNS1_16scan_by_key_implILNS1_25lookback_scan_determinismE0ELb1ES3_N6thrust23THRUST_200600_302600_NS6detail15normal_iteratorINS9_10device_ptrIiEEEENSB_INSC_IfEEEESG_fNS9_4plusIvEENS9_8equal_toIvEEfEE10hipError_tPvRmT2_T3_T4_T5_mT6_T7_P12ihipStream_tbENKUlT_T0_E_clISt17integral_constantIbLb0EES11_EEDaSW_SX_EUlSW_E_NS1_11comp_targetILNS1_3genE3ELNS1_11target_archE908ELNS1_3gpuE7ELNS1_3repE0EEENS1_30default_config_static_selectorELNS0_4arch9wavefront6targetE0EEEvT1_.private_seg_size, 0
	.set _ZN7rocprim17ROCPRIM_400000_NS6detail17trampoline_kernelINS0_14default_configENS1_27scan_by_key_config_selectorIifEEZZNS1_16scan_by_key_implILNS1_25lookback_scan_determinismE0ELb1ES3_N6thrust23THRUST_200600_302600_NS6detail15normal_iteratorINS9_10device_ptrIiEEEENSB_INSC_IfEEEESG_fNS9_4plusIvEENS9_8equal_toIvEEfEE10hipError_tPvRmT2_T3_T4_T5_mT6_T7_P12ihipStream_tbENKUlT_T0_E_clISt17integral_constantIbLb0EES11_EEDaSW_SX_EUlSW_E_NS1_11comp_targetILNS1_3genE3ELNS1_11target_archE908ELNS1_3gpuE7ELNS1_3repE0EEENS1_30default_config_static_selectorELNS0_4arch9wavefront6targetE0EEEvT1_.uses_vcc, 0
	.set _ZN7rocprim17ROCPRIM_400000_NS6detail17trampoline_kernelINS0_14default_configENS1_27scan_by_key_config_selectorIifEEZZNS1_16scan_by_key_implILNS1_25lookback_scan_determinismE0ELb1ES3_N6thrust23THRUST_200600_302600_NS6detail15normal_iteratorINS9_10device_ptrIiEEEENSB_INSC_IfEEEESG_fNS9_4plusIvEENS9_8equal_toIvEEfEE10hipError_tPvRmT2_T3_T4_T5_mT6_T7_P12ihipStream_tbENKUlT_T0_E_clISt17integral_constantIbLb0EES11_EEDaSW_SX_EUlSW_E_NS1_11comp_targetILNS1_3genE3ELNS1_11target_archE908ELNS1_3gpuE7ELNS1_3repE0EEENS1_30default_config_static_selectorELNS0_4arch9wavefront6targetE0EEEvT1_.uses_flat_scratch, 0
	.set _ZN7rocprim17ROCPRIM_400000_NS6detail17trampoline_kernelINS0_14default_configENS1_27scan_by_key_config_selectorIifEEZZNS1_16scan_by_key_implILNS1_25lookback_scan_determinismE0ELb1ES3_N6thrust23THRUST_200600_302600_NS6detail15normal_iteratorINS9_10device_ptrIiEEEENSB_INSC_IfEEEESG_fNS9_4plusIvEENS9_8equal_toIvEEfEE10hipError_tPvRmT2_T3_T4_T5_mT6_T7_P12ihipStream_tbENKUlT_T0_E_clISt17integral_constantIbLb0EES11_EEDaSW_SX_EUlSW_E_NS1_11comp_targetILNS1_3genE3ELNS1_11target_archE908ELNS1_3gpuE7ELNS1_3repE0EEENS1_30default_config_static_selectorELNS0_4arch9wavefront6targetE0EEEvT1_.has_dyn_sized_stack, 0
	.set _ZN7rocprim17ROCPRIM_400000_NS6detail17trampoline_kernelINS0_14default_configENS1_27scan_by_key_config_selectorIifEEZZNS1_16scan_by_key_implILNS1_25lookback_scan_determinismE0ELb1ES3_N6thrust23THRUST_200600_302600_NS6detail15normal_iteratorINS9_10device_ptrIiEEEENSB_INSC_IfEEEESG_fNS9_4plusIvEENS9_8equal_toIvEEfEE10hipError_tPvRmT2_T3_T4_T5_mT6_T7_P12ihipStream_tbENKUlT_T0_E_clISt17integral_constantIbLb0EES11_EEDaSW_SX_EUlSW_E_NS1_11comp_targetILNS1_3genE3ELNS1_11target_archE908ELNS1_3gpuE7ELNS1_3repE0EEENS1_30default_config_static_selectorELNS0_4arch9wavefront6targetE0EEEvT1_.has_recursion, 0
	.set _ZN7rocprim17ROCPRIM_400000_NS6detail17trampoline_kernelINS0_14default_configENS1_27scan_by_key_config_selectorIifEEZZNS1_16scan_by_key_implILNS1_25lookback_scan_determinismE0ELb1ES3_N6thrust23THRUST_200600_302600_NS6detail15normal_iteratorINS9_10device_ptrIiEEEENSB_INSC_IfEEEESG_fNS9_4plusIvEENS9_8equal_toIvEEfEE10hipError_tPvRmT2_T3_T4_T5_mT6_T7_P12ihipStream_tbENKUlT_T0_E_clISt17integral_constantIbLb0EES11_EEDaSW_SX_EUlSW_E_NS1_11comp_targetILNS1_3genE3ELNS1_11target_archE908ELNS1_3gpuE7ELNS1_3repE0EEENS1_30default_config_static_selectorELNS0_4arch9wavefront6targetE0EEEvT1_.has_indirect_call, 0
	.section	.AMDGPU.csdata,"",@progbits
; Kernel info:
; codeLenInByte = 0
; TotalNumSgprs: 0
; NumVgprs: 0
; ScratchSize: 0
; MemoryBound: 0
; FloatMode: 240
; IeeeMode: 1
; LDSByteSize: 0 bytes/workgroup (compile time only)
; SGPRBlocks: 0
; VGPRBlocks: 0
; NumSGPRsForWavesPerEU: 1
; NumVGPRsForWavesPerEU: 1
; NamedBarCnt: 0
; Occupancy: 16
; WaveLimiterHint : 0
; COMPUTE_PGM_RSRC2:SCRATCH_EN: 0
; COMPUTE_PGM_RSRC2:USER_SGPR: 2
; COMPUTE_PGM_RSRC2:TRAP_HANDLER: 0
; COMPUTE_PGM_RSRC2:TGID_X_EN: 1
; COMPUTE_PGM_RSRC2:TGID_Y_EN: 0
; COMPUTE_PGM_RSRC2:TGID_Z_EN: 0
; COMPUTE_PGM_RSRC2:TIDIG_COMP_CNT: 0
	.section	.text._ZN7rocprim17ROCPRIM_400000_NS6detail17trampoline_kernelINS0_14default_configENS1_27scan_by_key_config_selectorIifEEZZNS1_16scan_by_key_implILNS1_25lookback_scan_determinismE0ELb1ES3_N6thrust23THRUST_200600_302600_NS6detail15normal_iteratorINS9_10device_ptrIiEEEENSB_INSC_IfEEEESG_fNS9_4plusIvEENS9_8equal_toIvEEfEE10hipError_tPvRmT2_T3_T4_T5_mT6_T7_P12ihipStream_tbENKUlT_T0_E_clISt17integral_constantIbLb0EES11_EEDaSW_SX_EUlSW_E_NS1_11comp_targetILNS1_3genE2ELNS1_11target_archE906ELNS1_3gpuE6ELNS1_3repE0EEENS1_30default_config_static_selectorELNS0_4arch9wavefront6targetE0EEEvT1_,"axG",@progbits,_ZN7rocprim17ROCPRIM_400000_NS6detail17trampoline_kernelINS0_14default_configENS1_27scan_by_key_config_selectorIifEEZZNS1_16scan_by_key_implILNS1_25lookback_scan_determinismE0ELb1ES3_N6thrust23THRUST_200600_302600_NS6detail15normal_iteratorINS9_10device_ptrIiEEEENSB_INSC_IfEEEESG_fNS9_4plusIvEENS9_8equal_toIvEEfEE10hipError_tPvRmT2_T3_T4_T5_mT6_T7_P12ihipStream_tbENKUlT_T0_E_clISt17integral_constantIbLb0EES11_EEDaSW_SX_EUlSW_E_NS1_11comp_targetILNS1_3genE2ELNS1_11target_archE906ELNS1_3gpuE6ELNS1_3repE0EEENS1_30default_config_static_selectorELNS0_4arch9wavefront6targetE0EEEvT1_,comdat
	.protected	_ZN7rocprim17ROCPRIM_400000_NS6detail17trampoline_kernelINS0_14default_configENS1_27scan_by_key_config_selectorIifEEZZNS1_16scan_by_key_implILNS1_25lookback_scan_determinismE0ELb1ES3_N6thrust23THRUST_200600_302600_NS6detail15normal_iteratorINS9_10device_ptrIiEEEENSB_INSC_IfEEEESG_fNS9_4plusIvEENS9_8equal_toIvEEfEE10hipError_tPvRmT2_T3_T4_T5_mT6_T7_P12ihipStream_tbENKUlT_T0_E_clISt17integral_constantIbLb0EES11_EEDaSW_SX_EUlSW_E_NS1_11comp_targetILNS1_3genE2ELNS1_11target_archE906ELNS1_3gpuE6ELNS1_3repE0EEENS1_30default_config_static_selectorELNS0_4arch9wavefront6targetE0EEEvT1_ ; -- Begin function _ZN7rocprim17ROCPRIM_400000_NS6detail17trampoline_kernelINS0_14default_configENS1_27scan_by_key_config_selectorIifEEZZNS1_16scan_by_key_implILNS1_25lookback_scan_determinismE0ELb1ES3_N6thrust23THRUST_200600_302600_NS6detail15normal_iteratorINS9_10device_ptrIiEEEENSB_INSC_IfEEEESG_fNS9_4plusIvEENS9_8equal_toIvEEfEE10hipError_tPvRmT2_T3_T4_T5_mT6_T7_P12ihipStream_tbENKUlT_T0_E_clISt17integral_constantIbLb0EES11_EEDaSW_SX_EUlSW_E_NS1_11comp_targetILNS1_3genE2ELNS1_11target_archE906ELNS1_3gpuE6ELNS1_3repE0EEENS1_30default_config_static_selectorELNS0_4arch9wavefront6targetE0EEEvT1_
	.globl	_ZN7rocprim17ROCPRIM_400000_NS6detail17trampoline_kernelINS0_14default_configENS1_27scan_by_key_config_selectorIifEEZZNS1_16scan_by_key_implILNS1_25lookback_scan_determinismE0ELb1ES3_N6thrust23THRUST_200600_302600_NS6detail15normal_iteratorINS9_10device_ptrIiEEEENSB_INSC_IfEEEESG_fNS9_4plusIvEENS9_8equal_toIvEEfEE10hipError_tPvRmT2_T3_T4_T5_mT6_T7_P12ihipStream_tbENKUlT_T0_E_clISt17integral_constantIbLb0EES11_EEDaSW_SX_EUlSW_E_NS1_11comp_targetILNS1_3genE2ELNS1_11target_archE906ELNS1_3gpuE6ELNS1_3repE0EEENS1_30default_config_static_selectorELNS0_4arch9wavefront6targetE0EEEvT1_
	.p2align	8
	.type	_ZN7rocprim17ROCPRIM_400000_NS6detail17trampoline_kernelINS0_14default_configENS1_27scan_by_key_config_selectorIifEEZZNS1_16scan_by_key_implILNS1_25lookback_scan_determinismE0ELb1ES3_N6thrust23THRUST_200600_302600_NS6detail15normal_iteratorINS9_10device_ptrIiEEEENSB_INSC_IfEEEESG_fNS9_4plusIvEENS9_8equal_toIvEEfEE10hipError_tPvRmT2_T3_T4_T5_mT6_T7_P12ihipStream_tbENKUlT_T0_E_clISt17integral_constantIbLb0EES11_EEDaSW_SX_EUlSW_E_NS1_11comp_targetILNS1_3genE2ELNS1_11target_archE906ELNS1_3gpuE6ELNS1_3repE0EEENS1_30default_config_static_selectorELNS0_4arch9wavefront6targetE0EEEvT1_,@function
_ZN7rocprim17ROCPRIM_400000_NS6detail17trampoline_kernelINS0_14default_configENS1_27scan_by_key_config_selectorIifEEZZNS1_16scan_by_key_implILNS1_25lookback_scan_determinismE0ELb1ES3_N6thrust23THRUST_200600_302600_NS6detail15normal_iteratorINS9_10device_ptrIiEEEENSB_INSC_IfEEEESG_fNS9_4plusIvEENS9_8equal_toIvEEfEE10hipError_tPvRmT2_T3_T4_T5_mT6_T7_P12ihipStream_tbENKUlT_T0_E_clISt17integral_constantIbLb0EES11_EEDaSW_SX_EUlSW_E_NS1_11comp_targetILNS1_3genE2ELNS1_11target_archE906ELNS1_3gpuE6ELNS1_3repE0EEENS1_30default_config_static_selectorELNS0_4arch9wavefront6targetE0EEEvT1_: ; @_ZN7rocprim17ROCPRIM_400000_NS6detail17trampoline_kernelINS0_14default_configENS1_27scan_by_key_config_selectorIifEEZZNS1_16scan_by_key_implILNS1_25lookback_scan_determinismE0ELb1ES3_N6thrust23THRUST_200600_302600_NS6detail15normal_iteratorINS9_10device_ptrIiEEEENSB_INSC_IfEEEESG_fNS9_4plusIvEENS9_8equal_toIvEEfEE10hipError_tPvRmT2_T3_T4_T5_mT6_T7_P12ihipStream_tbENKUlT_T0_E_clISt17integral_constantIbLb0EES11_EEDaSW_SX_EUlSW_E_NS1_11comp_targetILNS1_3genE2ELNS1_11target_archE906ELNS1_3gpuE6ELNS1_3repE0EEENS1_30default_config_static_selectorELNS0_4arch9wavefront6targetE0EEEvT1_
; %bb.0:
	.section	.rodata,"a",@progbits
	.p2align	6, 0x0
	.amdhsa_kernel _ZN7rocprim17ROCPRIM_400000_NS6detail17trampoline_kernelINS0_14default_configENS1_27scan_by_key_config_selectorIifEEZZNS1_16scan_by_key_implILNS1_25lookback_scan_determinismE0ELb1ES3_N6thrust23THRUST_200600_302600_NS6detail15normal_iteratorINS9_10device_ptrIiEEEENSB_INSC_IfEEEESG_fNS9_4plusIvEENS9_8equal_toIvEEfEE10hipError_tPvRmT2_T3_T4_T5_mT6_T7_P12ihipStream_tbENKUlT_T0_E_clISt17integral_constantIbLb0EES11_EEDaSW_SX_EUlSW_E_NS1_11comp_targetILNS1_3genE2ELNS1_11target_archE906ELNS1_3gpuE6ELNS1_3repE0EEENS1_30default_config_static_selectorELNS0_4arch9wavefront6targetE0EEEvT1_
		.amdhsa_group_segment_fixed_size 0
		.amdhsa_private_segment_fixed_size 0
		.amdhsa_kernarg_size 112
		.amdhsa_user_sgpr_count 2
		.amdhsa_user_sgpr_dispatch_ptr 0
		.amdhsa_user_sgpr_queue_ptr 0
		.amdhsa_user_sgpr_kernarg_segment_ptr 1
		.amdhsa_user_sgpr_dispatch_id 0
		.amdhsa_user_sgpr_kernarg_preload_length 0
		.amdhsa_user_sgpr_kernarg_preload_offset 0
		.amdhsa_user_sgpr_private_segment_size 0
		.amdhsa_wavefront_size32 1
		.amdhsa_uses_dynamic_stack 0
		.amdhsa_enable_private_segment 0
		.amdhsa_system_sgpr_workgroup_id_x 1
		.amdhsa_system_sgpr_workgroup_id_y 0
		.amdhsa_system_sgpr_workgroup_id_z 0
		.amdhsa_system_sgpr_workgroup_info 0
		.amdhsa_system_vgpr_workitem_id 0
		.amdhsa_next_free_vgpr 1
		.amdhsa_next_free_sgpr 1
		.amdhsa_named_barrier_count 0
		.amdhsa_reserve_vcc 0
		.amdhsa_float_round_mode_32 0
		.amdhsa_float_round_mode_16_64 0
		.amdhsa_float_denorm_mode_32 3
		.amdhsa_float_denorm_mode_16_64 3
		.amdhsa_fp16_overflow 0
		.amdhsa_memory_ordered 1
		.amdhsa_forward_progress 1
		.amdhsa_inst_pref_size 0
		.amdhsa_round_robin_scheduling 0
		.amdhsa_exception_fp_ieee_invalid_op 0
		.amdhsa_exception_fp_denorm_src 0
		.amdhsa_exception_fp_ieee_div_zero 0
		.amdhsa_exception_fp_ieee_overflow 0
		.amdhsa_exception_fp_ieee_underflow 0
		.amdhsa_exception_fp_ieee_inexact 0
		.amdhsa_exception_int_div_zero 0
	.end_amdhsa_kernel
	.section	.text._ZN7rocprim17ROCPRIM_400000_NS6detail17trampoline_kernelINS0_14default_configENS1_27scan_by_key_config_selectorIifEEZZNS1_16scan_by_key_implILNS1_25lookback_scan_determinismE0ELb1ES3_N6thrust23THRUST_200600_302600_NS6detail15normal_iteratorINS9_10device_ptrIiEEEENSB_INSC_IfEEEESG_fNS9_4plusIvEENS9_8equal_toIvEEfEE10hipError_tPvRmT2_T3_T4_T5_mT6_T7_P12ihipStream_tbENKUlT_T0_E_clISt17integral_constantIbLb0EES11_EEDaSW_SX_EUlSW_E_NS1_11comp_targetILNS1_3genE2ELNS1_11target_archE906ELNS1_3gpuE6ELNS1_3repE0EEENS1_30default_config_static_selectorELNS0_4arch9wavefront6targetE0EEEvT1_,"axG",@progbits,_ZN7rocprim17ROCPRIM_400000_NS6detail17trampoline_kernelINS0_14default_configENS1_27scan_by_key_config_selectorIifEEZZNS1_16scan_by_key_implILNS1_25lookback_scan_determinismE0ELb1ES3_N6thrust23THRUST_200600_302600_NS6detail15normal_iteratorINS9_10device_ptrIiEEEENSB_INSC_IfEEEESG_fNS9_4plusIvEENS9_8equal_toIvEEfEE10hipError_tPvRmT2_T3_T4_T5_mT6_T7_P12ihipStream_tbENKUlT_T0_E_clISt17integral_constantIbLb0EES11_EEDaSW_SX_EUlSW_E_NS1_11comp_targetILNS1_3genE2ELNS1_11target_archE906ELNS1_3gpuE6ELNS1_3repE0EEENS1_30default_config_static_selectorELNS0_4arch9wavefront6targetE0EEEvT1_,comdat
.Lfunc_end1432:
	.size	_ZN7rocprim17ROCPRIM_400000_NS6detail17trampoline_kernelINS0_14default_configENS1_27scan_by_key_config_selectorIifEEZZNS1_16scan_by_key_implILNS1_25lookback_scan_determinismE0ELb1ES3_N6thrust23THRUST_200600_302600_NS6detail15normal_iteratorINS9_10device_ptrIiEEEENSB_INSC_IfEEEESG_fNS9_4plusIvEENS9_8equal_toIvEEfEE10hipError_tPvRmT2_T3_T4_T5_mT6_T7_P12ihipStream_tbENKUlT_T0_E_clISt17integral_constantIbLb0EES11_EEDaSW_SX_EUlSW_E_NS1_11comp_targetILNS1_3genE2ELNS1_11target_archE906ELNS1_3gpuE6ELNS1_3repE0EEENS1_30default_config_static_selectorELNS0_4arch9wavefront6targetE0EEEvT1_, .Lfunc_end1432-_ZN7rocprim17ROCPRIM_400000_NS6detail17trampoline_kernelINS0_14default_configENS1_27scan_by_key_config_selectorIifEEZZNS1_16scan_by_key_implILNS1_25lookback_scan_determinismE0ELb1ES3_N6thrust23THRUST_200600_302600_NS6detail15normal_iteratorINS9_10device_ptrIiEEEENSB_INSC_IfEEEESG_fNS9_4plusIvEENS9_8equal_toIvEEfEE10hipError_tPvRmT2_T3_T4_T5_mT6_T7_P12ihipStream_tbENKUlT_T0_E_clISt17integral_constantIbLb0EES11_EEDaSW_SX_EUlSW_E_NS1_11comp_targetILNS1_3genE2ELNS1_11target_archE906ELNS1_3gpuE6ELNS1_3repE0EEENS1_30default_config_static_selectorELNS0_4arch9wavefront6targetE0EEEvT1_
                                        ; -- End function
	.set _ZN7rocprim17ROCPRIM_400000_NS6detail17trampoline_kernelINS0_14default_configENS1_27scan_by_key_config_selectorIifEEZZNS1_16scan_by_key_implILNS1_25lookback_scan_determinismE0ELb1ES3_N6thrust23THRUST_200600_302600_NS6detail15normal_iteratorINS9_10device_ptrIiEEEENSB_INSC_IfEEEESG_fNS9_4plusIvEENS9_8equal_toIvEEfEE10hipError_tPvRmT2_T3_T4_T5_mT6_T7_P12ihipStream_tbENKUlT_T0_E_clISt17integral_constantIbLb0EES11_EEDaSW_SX_EUlSW_E_NS1_11comp_targetILNS1_3genE2ELNS1_11target_archE906ELNS1_3gpuE6ELNS1_3repE0EEENS1_30default_config_static_selectorELNS0_4arch9wavefront6targetE0EEEvT1_.num_vgpr, 0
	.set _ZN7rocprim17ROCPRIM_400000_NS6detail17trampoline_kernelINS0_14default_configENS1_27scan_by_key_config_selectorIifEEZZNS1_16scan_by_key_implILNS1_25lookback_scan_determinismE0ELb1ES3_N6thrust23THRUST_200600_302600_NS6detail15normal_iteratorINS9_10device_ptrIiEEEENSB_INSC_IfEEEESG_fNS9_4plusIvEENS9_8equal_toIvEEfEE10hipError_tPvRmT2_T3_T4_T5_mT6_T7_P12ihipStream_tbENKUlT_T0_E_clISt17integral_constantIbLb0EES11_EEDaSW_SX_EUlSW_E_NS1_11comp_targetILNS1_3genE2ELNS1_11target_archE906ELNS1_3gpuE6ELNS1_3repE0EEENS1_30default_config_static_selectorELNS0_4arch9wavefront6targetE0EEEvT1_.num_agpr, 0
	.set _ZN7rocprim17ROCPRIM_400000_NS6detail17trampoline_kernelINS0_14default_configENS1_27scan_by_key_config_selectorIifEEZZNS1_16scan_by_key_implILNS1_25lookback_scan_determinismE0ELb1ES3_N6thrust23THRUST_200600_302600_NS6detail15normal_iteratorINS9_10device_ptrIiEEEENSB_INSC_IfEEEESG_fNS9_4plusIvEENS9_8equal_toIvEEfEE10hipError_tPvRmT2_T3_T4_T5_mT6_T7_P12ihipStream_tbENKUlT_T0_E_clISt17integral_constantIbLb0EES11_EEDaSW_SX_EUlSW_E_NS1_11comp_targetILNS1_3genE2ELNS1_11target_archE906ELNS1_3gpuE6ELNS1_3repE0EEENS1_30default_config_static_selectorELNS0_4arch9wavefront6targetE0EEEvT1_.numbered_sgpr, 0
	.set _ZN7rocprim17ROCPRIM_400000_NS6detail17trampoline_kernelINS0_14default_configENS1_27scan_by_key_config_selectorIifEEZZNS1_16scan_by_key_implILNS1_25lookback_scan_determinismE0ELb1ES3_N6thrust23THRUST_200600_302600_NS6detail15normal_iteratorINS9_10device_ptrIiEEEENSB_INSC_IfEEEESG_fNS9_4plusIvEENS9_8equal_toIvEEfEE10hipError_tPvRmT2_T3_T4_T5_mT6_T7_P12ihipStream_tbENKUlT_T0_E_clISt17integral_constantIbLb0EES11_EEDaSW_SX_EUlSW_E_NS1_11comp_targetILNS1_3genE2ELNS1_11target_archE906ELNS1_3gpuE6ELNS1_3repE0EEENS1_30default_config_static_selectorELNS0_4arch9wavefront6targetE0EEEvT1_.num_named_barrier, 0
	.set _ZN7rocprim17ROCPRIM_400000_NS6detail17trampoline_kernelINS0_14default_configENS1_27scan_by_key_config_selectorIifEEZZNS1_16scan_by_key_implILNS1_25lookback_scan_determinismE0ELb1ES3_N6thrust23THRUST_200600_302600_NS6detail15normal_iteratorINS9_10device_ptrIiEEEENSB_INSC_IfEEEESG_fNS9_4plusIvEENS9_8equal_toIvEEfEE10hipError_tPvRmT2_T3_T4_T5_mT6_T7_P12ihipStream_tbENKUlT_T0_E_clISt17integral_constantIbLb0EES11_EEDaSW_SX_EUlSW_E_NS1_11comp_targetILNS1_3genE2ELNS1_11target_archE906ELNS1_3gpuE6ELNS1_3repE0EEENS1_30default_config_static_selectorELNS0_4arch9wavefront6targetE0EEEvT1_.private_seg_size, 0
	.set _ZN7rocprim17ROCPRIM_400000_NS6detail17trampoline_kernelINS0_14default_configENS1_27scan_by_key_config_selectorIifEEZZNS1_16scan_by_key_implILNS1_25lookback_scan_determinismE0ELb1ES3_N6thrust23THRUST_200600_302600_NS6detail15normal_iteratorINS9_10device_ptrIiEEEENSB_INSC_IfEEEESG_fNS9_4plusIvEENS9_8equal_toIvEEfEE10hipError_tPvRmT2_T3_T4_T5_mT6_T7_P12ihipStream_tbENKUlT_T0_E_clISt17integral_constantIbLb0EES11_EEDaSW_SX_EUlSW_E_NS1_11comp_targetILNS1_3genE2ELNS1_11target_archE906ELNS1_3gpuE6ELNS1_3repE0EEENS1_30default_config_static_selectorELNS0_4arch9wavefront6targetE0EEEvT1_.uses_vcc, 0
	.set _ZN7rocprim17ROCPRIM_400000_NS6detail17trampoline_kernelINS0_14default_configENS1_27scan_by_key_config_selectorIifEEZZNS1_16scan_by_key_implILNS1_25lookback_scan_determinismE0ELb1ES3_N6thrust23THRUST_200600_302600_NS6detail15normal_iteratorINS9_10device_ptrIiEEEENSB_INSC_IfEEEESG_fNS9_4plusIvEENS9_8equal_toIvEEfEE10hipError_tPvRmT2_T3_T4_T5_mT6_T7_P12ihipStream_tbENKUlT_T0_E_clISt17integral_constantIbLb0EES11_EEDaSW_SX_EUlSW_E_NS1_11comp_targetILNS1_3genE2ELNS1_11target_archE906ELNS1_3gpuE6ELNS1_3repE0EEENS1_30default_config_static_selectorELNS0_4arch9wavefront6targetE0EEEvT1_.uses_flat_scratch, 0
	.set _ZN7rocprim17ROCPRIM_400000_NS6detail17trampoline_kernelINS0_14default_configENS1_27scan_by_key_config_selectorIifEEZZNS1_16scan_by_key_implILNS1_25lookback_scan_determinismE0ELb1ES3_N6thrust23THRUST_200600_302600_NS6detail15normal_iteratorINS9_10device_ptrIiEEEENSB_INSC_IfEEEESG_fNS9_4plusIvEENS9_8equal_toIvEEfEE10hipError_tPvRmT2_T3_T4_T5_mT6_T7_P12ihipStream_tbENKUlT_T0_E_clISt17integral_constantIbLb0EES11_EEDaSW_SX_EUlSW_E_NS1_11comp_targetILNS1_3genE2ELNS1_11target_archE906ELNS1_3gpuE6ELNS1_3repE0EEENS1_30default_config_static_selectorELNS0_4arch9wavefront6targetE0EEEvT1_.has_dyn_sized_stack, 0
	.set _ZN7rocprim17ROCPRIM_400000_NS6detail17trampoline_kernelINS0_14default_configENS1_27scan_by_key_config_selectorIifEEZZNS1_16scan_by_key_implILNS1_25lookback_scan_determinismE0ELb1ES3_N6thrust23THRUST_200600_302600_NS6detail15normal_iteratorINS9_10device_ptrIiEEEENSB_INSC_IfEEEESG_fNS9_4plusIvEENS9_8equal_toIvEEfEE10hipError_tPvRmT2_T3_T4_T5_mT6_T7_P12ihipStream_tbENKUlT_T0_E_clISt17integral_constantIbLb0EES11_EEDaSW_SX_EUlSW_E_NS1_11comp_targetILNS1_3genE2ELNS1_11target_archE906ELNS1_3gpuE6ELNS1_3repE0EEENS1_30default_config_static_selectorELNS0_4arch9wavefront6targetE0EEEvT1_.has_recursion, 0
	.set _ZN7rocprim17ROCPRIM_400000_NS6detail17trampoline_kernelINS0_14default_configENS1_27scan_by_key_config_selectorIifEEZZNS1_16scan_by_key_implILNS1_25lookback_scan_determinismE0ELb1ES3_N6thrust23THRUST_200600_302600_NS6detail15normal_iteratorINS9_10device_ptrIiEEEENSB_INSC_IfEEEESG_fNS9_4plusIvEENS9_8equal_toIvEEfEE10hipError_tPvRmT2_T3_T4_T5_mT6_T7_P12ihipStream_tbENKUlT_T0_E_clISt17integral_constantIbLb0EES11_EEDaSW_SX_EUlSW_E_NS1_11comp_targetILNS1_3genE2ELNS1_11target_archE906ELNS1_3gpuE6ELNS1_3repE0EEENS1_30default_config_static_selectorELNS0_4arch9wavefront6targetE0EEEvT1_.has_indirect_call, 0
	.section	.AMDGPU.csdata,"",@progbits
; Kernel info:
; codeLenInByte = 0
; TotalNumSgprs: 0
; NumVgprs: 0
; ScratchSize: 0
; MemoryBound: 0
; FloatMode: 240
; IeeeMode: 1
; LDSByteSize: 0 bytes/workgroup (compile time only)
; SGPRBlocks: 0
; VGPRBlocks: 0
; NumSGPRsForWavesPerEU: 1
; NumVGPRsForWavesPerEU: 1
; NamedBarCnt: 0
; Occupancy: 16
; WaveLimiterHint : 0
; COMPUTE_PGM_RSRC2:SCRATCH_EN: 0
; COMPUTE_PGM_RSRC2:USER_SGPR: 2
; COMPUTE_PGM_RSRC2:TRAP_HANDLER: 0
; COMPUTE_PGM_RSRC2:TGID_X_EN: 1
; COMPUTE_PGM_RSRC2:TGID_Y_EN: 0
; COMPUTE_PGM_RSRC2:TGID_Z_EN: 0
; COMPUTE_PGM_RSRC2:TIDIG_COMP_CNT: 0
	.section	.text._ZN7rocprim17ROCPRIM_400000_NS6detail17trampoline_kernelINS0_14default_configENS1_27scan_by_key_config_selectorIifEEZZNS1_16scan_by_key_implILNS1_25lookback_scan_determinismE0ELb1ES3_N6thrust23THRUST_200600_302600_NS6detail15normal_iteratorINS9_10device_ptrIiEEEENSB_INSC_IfEEEESG_fNS9_4plusIvEENS9_8equal_toIvEEfEE10hipError_tPvRmT2_T3_T4_T5_mT6_T7_P12ihipStream_tbENKUlT_T0_E_clISt17integral_constantIbLb0EES11_EEDaSW_SX_EUlSW_E_NS1_11comp_targetILNS1_3genE10ELNS1_11target_archE1200ELNS1_3gpuE4ELNS1_3repE0EEENS1_30default_config_static_selectorELNS0_4arch9wavefront6targetE0EEEvT1_,"axG",@progbits,_ZN7rocprim17ROCPRIM_400000_NS6detail17trampoline_kernelINS0_14default_configENS1_27scan_by_key_config_selectorIifEEZZNS1_16scan_by_key_implILNS1_25lookback_scan_determinismE0ELb1ES3_N6thrust23THRUST_200600_302600_NS6detail15normal_iteratorINS9_10device_ptrIiEEEENSB_INSC_IfEEEESG_fNS9_4plusIvEENS9_8equal_toIvEEfEE10hipError_tPvRmT2_T3_T4_T5_mT6_T7_P12ihipStream_tbENKUlT_T0_E_clISt17integral_constantIbLb0EES11_EEDaSW_SX_EUlSW_E_NS1_11comp_targetILNS1_3genE10ELNS1_11target_archE1200ELNS1_3gpuE4ELNS1_3repE0EEENS1_30default_config_static_selectorELNS0_4arch9wavefront6targetE0EEEvT1_,comdat
	.protected	_ZN7rocprim17ROCPRIM_400000_NS6detail17trampoline_kernelINS0_14default_configENS1_27scan_by_key_config_selectorIifEEZZNS1_16scan_by_key_implILNS1_25lookback_scan_determinismE0ELb1ES3_N6thrust23THRUST_200600_302600_NS6detail15normal_iteratorINS9_10device_ptrIiEEEENSB_INSC_IfEEEESG_fNS9_4plusIvEENS9_8equal_toIvEEfEE10hipError_tPvRmT2_T3_T4_T5_mT6_T7_P12ihipStream_tbENKUlT_T0_E_clISt17integral_constantIbLb0EES11_EEDaSW_SX_EUlSW_E_NS1_11comp_targetILNS1_3genE10ELNS1_11target_archE1200ELNS1_3gpuE4ELNS1_3repE0EEENS1_30default_config_static_selectorELNS0_4arch9wavefront6targetE0EEEvT1_ ; -- Begin function _ZN7rocprim17ROCPRIM_400000_NS6detail17trampoline_kernelINS0_14default_configENS1_27scan_by_key_config_selectorIifEEZZNS1_16scan_by_key_implILNS1_25lookback_scan_determinismE0ELb1ES3_N6thrust23THRUST_200600_302600_NS6detail15normal_iteratorINS9_10device_ptrIiEEEENSB_INSC_IfEEEESG_fNS9_4plusIvEENS9_8equal_toIvEEfEE10hipError_tPvRmT2_T3_T4_T5_mT6_T7_P12ihipStream_tbENKUlT_T0_E_clISt17integral_constantIbLb0EES11_EEDaSW_SX_EUlSW_E_NS1_11comp_targetILNS1_3genE10ELNS1_11target_archE1200ELNS1_3gpuE4ELNS1_3repE0EEENS1_30default_config_static_selectorELNS0_4arch9wavefront6targetE0EEEvT1_
	.globl	_ZN7rocprim17ROCPRIM_400000_NS6detail17trampoline_kernelINS0_14default_configENS1_27scan_by_key_config_selectorIifEEZZNS1_16scan_by_key_implILNS1_25lookback_scan_determinismE0ELb1ES3_N6thrust23THRUST_200600_302600_NS6detail15normal_iteratorINS9_10device_ptrIiEEEENSB_INSC_IfEEEESG_fNS9_4plusIvEENS9_8equal_toIvEEfEE10hipError_tPvRmT2_T3_T4_T5_mT6_T7_P12ihipStream_tbENKUlT_T0_E_clISt17integral_constantIbLb0EES11_EEDaSW_SX_EUlSW_E_NS1_11comp_targetILNS1_3genE10ELNS1_11target_archE1200ELNS1_3gpuE4ELNS1_3repE0EEENS1_30default_config_static_selectorELNS0_4arch9wavefront6targetE0EEEvT1_
	.p2align	8
	.type	_ZN7rocprim17ROCPRIM_400000_NS6detail17trampoline_kernelINS0_14default_configENS1_27scan_by_key_config_selectorIifEEZZNS1_16scan_by_key_implILNS1_25lookback_scan_determinismE0ELb1ES3_N6thrust23THRUST_200600_302600_NS6detail15normal_iteratorINS9_10device_ptrIiEEEENSB_INSC_IfEEEESG_fNS9_4plusIvEENS9_8equal_toIvEEfEE10hipError_tPvRmT2_T3_T4_T5_mT6_T7_P12ihipStream_tbENKUlT_T0_E_clISt17integral_constantIbLb0EES11_EEDaSW_SX_EUlSW_E_NS1_11comp_targetILNS1_3genE10ELNS1_11target_archE1200ELNS1_3gpuE4ELNS1_3repE0EEENS1_30default_config_static_selectorELNS0_4arch9wavefront6targetE0EEEvT1_,@function
_ZN7rocprim17ROCPRIM_400000_NS6detail17trampoline_kernelINS0_14default_configENS1_27scan_by_key_config_selectorIifEEZZNS1_16scan_by_key_implILNS1_25lookback_scan_determinismE0ELb1ES3_N6thrust23THRUST_200600_302600_NS6detail15normal_iteratorINS9_10device_ptrIiEEEENSB_INSC_IfEEEESG_fNS9_4plusIvEENS9_8equal_toIvEEfEE10hipError_tPvRmT2_T3_T4_T5_mT6_T7_P12ihipStream_tbENKUlT_T0_E_clISt17integral_constantIbLb0EES11_EEDaSW_SX_EUlSW_E_NS1_11comp_targetILNS1_3genE10ELNS1_11target_archE1200ELNS1_3gpuE4ELNS1_3repE0EEENS1_30default_config_static_selectorELNS0_4arch9wavefront6targetE0EEEvT1_: ; @_ZN7rocprim17ROCPRIM_400000_NS6detail17trampoline_kernelINS0_14default_configENS1_27scan_by_key_config_selectorIifEEZZNS1_16scan_by_key_implILNS1_25lookback_scan_determinismE0ELb1ES3_N6thrust23THRUST_200600_302600_NS6detail15normal_iteratorINS9_10device_ptrIiEEEENSB_INSC_IfEEEESG_fNS9_4plusIvEENS9_8equal_toIvEEfEE10hipError_tPvRmT2_T3_T4_T5_mT6_T7_P12ihipStream_tbENKUlT_T0_E_clISt17integral_constantIbLb0EES11_EEDaSW_SX_EUlSW_E_NS1_11comp_targetILNS1_3genE10ELNS1_11target_archE1200ELNS1_3gpuE4ELNS1_3repE0EEENS1_30default_config_static_selectorELNS0_4arch9wavefront6targetE0EEEvT1_
; %bb.0:
	.section	.rodata,"a",@progbits
	.p2align	6, 0x0
	.amdhsa_kernel _ZN7rocprim17ROCPRIM_400000_NS6detail17trampoline_kernelINS0_14default_configENS1_27scan_by_key_config_selectorIifEEZZNS1_16scan_by_key_implILNS1_25lookback_scan_determinismE0ELb1ES3_N6thrust23THRUST_200600_302600_NS6detail15normal_iteratorINS9_10device_ptrIiEEEENSB_INSC_IfEEEESG_fNS9_4plusIvEENS9_8equal_toIvEEfEE10hipError_tPvRmT2_T3_T4_T5_mT6_T7_P12ihipStream_tbENKUlT_T0_E_clISt17integral_constantIbLb0EES11_EEDaSW_SX_EUlSW_E_NS1_11comp_targetILNS1_3genE10ELNS1_11target_archE1200ELNS1_3gpuE4ELNS1_3repE0EEENS1_30default_config_static_selectorELNS0_4arch9wavefront6targetE0EEEvT1_
		.amdhsa_group_segment_fixed_size 0
		.amdhsa_private_segment_fixed_size 0
		.amdhsa_kernarg_size 112
		.amdhsa_user_sgpr_count 2
		.amdhsa_user_sgpr_dispatch_ptr 0
		.amdhsa_user_sgpr_queue_ptr 0
		.amdhsa_user_sgpr_kernarg_segment_ptr 1
		.amdhsa_user_sgpr_dispatch_id 0
		.amdhsa_user_sgpr_kernarg_preload_length 0
		.amdhsa_user_sgpr_kernarg_preload_offset 0
		.amdhsa_user_sgpr_private_segment_size 0
		.amdhsa_wavefront_size32 1
		.amdhsa_uses_dynamic_stack 0
		.amdhsa_enable_private_segment 0
		.amdhsa_system_sgpr_workgroup_id_x 1
		.amdhsa_system_sgpr_workgroup_id_y 0
		.amdhsa_system_sgpr_workgroup_id_z 0
		.amdhsa_system_sgpr_workgroup_info 0
		.amdhsa_system_vgpr_workitem_id 0
		.amdhsa_next_free_vgpr 1
		.amdhsa_next_free_sgpr 1
		.amdhsa_named_barrier_count 0
		.amdhsa_reserve_vcc 0
		.amdhsa_float_round_mode_32 0
		.amdhsa_float_round_mode_16_64 0
		.amdhsa_float_denorm_mode_32 3
		.amdhsa_float_denorm_mode_16_64 3
		.amdhsa_fp16_overflow 0
		.amdhsa_memory_ordered 1
		.amdhsa_forward_progress 1
		.amdhsa_inst_pref_size 0
		.amdhsa_round_robin_scheduling 0
		.amdhsa_exception_fp_ieee_invalid_op 0
		.amdhsa_exception_fp_denorm_src 0
		.amdhsa_exception_fp_ieee_div_zero 0
		.amdhsa_exception_fp_ieee_overflow 0
		.amdhsa_exception_fp_ieee_underflow 0
		.amdhsa_exception_fp_ieee_inexact 0
		.amdhsa_exception_int_div_zero 0
	.end_amdhsa_kernel
	.section	.text._ZN7rocprim17ROCPRIM_400000_NS6detail17trampoline_kernelINS0_14default_configENS1_27scan_by_key_config_selectorIifEEZZNS1_16scan_by_key_implILNS1_25lookback_scan_determinismE0ELb1ES3_N6thrust23THRUST_200600_302600_NS6detail15normal_iteratorINS9_10device_ptrIiEEEENSB_INSC_IfEEEESG_fNS9_4plusIvEENS9_8equal_toIvEEfEE10hipError_tPvRmT2_T3_T4_T5_mT6_T7_P12ihipStream_tbENKUlT_T0_E_clISt17integral_constantIbLb0EES11_EEDaSW_SX_EUlSW_E_NS1_11comp_targetILNS1_3genE10ELNS1_11target_archE1200ELNS1_3gpuE4ELNS1_3repE0EEENS1_30default_config_static_selectorELNS0_4arch9wavefront6targetE0EEEvT1_,"axG",@progbits,_ZN7rocprim17ROCPRIM_400000_NS6detail17trampoline_kernelINS0_14default_configENS1_27scan_by_key_config_selectorIifEEZZNS1_16scan_by_key_implILNS1_25lookback_scan_determinismE0ELb1ES3_N6thrust23THRUST_200600_302600_NS6detail15normal_iteratorINS9_10device_ptrIiEEEENSB_INSC_IfEEEESG_fNS9_4plusIvEENS9_8equal_toIvEEfEE10hipError_tPvRmT2_T3_T4_T5_mT6_T7_P12ihipStream_tbENKUlT_T0_E_clISt17integral_constantIbLb0EES11_EEDaSW_SX_EUlSW_E_NS1_11comp_targetILNS1_3genE10ELNS1_11target_archE1200ELNS1_3gpuE4ELNS1_3repE0EEENS1_30default_config_static_selectorELNS0_4arch9wavefront6targetE0EEEvT1_,comdat
.Lfunc_end1433:
	.size	_ZN7rocprim17ROCPRIM_400000_NS6detail17trampoline_kernelINS0_14default_configENS1_27scan_by_key_config_selectorIifEEZZNS1_16scan_by_key_implILNS1_25lookback_scan_determinismE0ELb1ES3_N6thrust23THRUST_200600_302600_NS6detail15normal_iteratorINS9_10device_ptrIiEEEENSB_INSC_IfEEEESG_fNS9_4plusIvEENS9_8equal_toIvEEfEE10hipError_tPvRmT2_T3_T4_T5_mT6_T7_P12ihipStream_tbENKUlT_T0_E_clISt17integral_constantIbLb0EES11_EEDaSW_SX_EUlSW_E_NS1_11comp_targetILNS1_3genE10ELNS1_11target_archE1200ELNS1_3gpuE4ELNS1_3repE0EEENS1_30default_config_static_selectorELNS0_4arch9wavefront6targetE0EEEvT1_, .Lfunc_end1433-_ZN7rocprim17ROCPRIM_400000_NS6detail17trampoline_kernelINS0_14default_configENS1_27scan_by_key_config_selectorIifEEZZNS1_16scan_by_key_implILNS1_25lookback_scan_determinismE0ELb1ES3_N6thrust23THRUST_200600_302600_NS6detail15normal_iteratorINS9_10device_ptrIiEEEENSB_INSC_IfEEEESG_fNS9_4plusIvEENS9_8equal_toIvEEfEE10hipError_tPvRmT2_T3_T4_T5_mT6_T7_P12ihipStream_tbENKUlT_T0_E_clISt17integral_constantIbLb0EES11_EEDaSW_SX_EUlSW_E_NS1_11comp_targetILNS1_3genE10ELNS1_11target_archE1200ELNS1_3gpuE4ELNS1_3repE0EEENS1_30default_config_static_selectorELNS0_4arch9wavefront6targetE0EEEvT1_
                                        ; -- End function
	.set _ZN7rocprim17ROCPRIM_400000_NS6detail17trampoline_kernelINS0_14default_configENS1_27scan_by_key_config_selectorIifEEZZNS1_16scan_by_key_implILNS1_25lookback_scan_determinismE0ELb1ES3_N6thrust23THRUST_200600_302600_NS6detail15normal_iteratorINS9_10device_ptrIiEEEENSB_INSC_IfEEEESG_fNS9_4plusIvEENS9_8equal_toIvEEfEE10hipError_tPvRmT2_T3_T4_T5_mT6_T7_P12ihipStream_tbENKUlT_T0_E_clISt17integral_constantIbLb0EES11_EEDaSW_SX_EUlSW_E_NS1_11comp_targetILNS1_3genE10ELNS1_11target_archE1200ELNS1_3gpuE4ELNS1_3repE0EEENS1_30default_config_static_selectorELNS0_4arch9wavefront6targetE0EEEvT1_.num_vgpr, 0
	.set _ZN7rocprim17ROCPRIM_400000_NS6detail17trampoline_kernelINS0_14default_configENS1_27scan_by_key_config_selectorIifEEZZNS1_16scan_by_key_implILNS1_25lookback_scan_determinismE0ELb1ES3_N6thrust23THRUST_200600_302600_NS6detail15normal_iteratorINS9_10device_ptrIiEEEENSB_INSC_IfEEEESG_fNS9_4plusIvEENS9_8equal_toIvEEfEE10hipError_tPvRmT2_T3_T4_T5_mT6_T7_P12ihipStream_tbENKUlT_T0_E_clISt17integral_constantIbLb0EES11_EEDaSW_SX_EUlSW_E_NS1_11comp_targetILNS1_3genE10ELNS1_11target_archE1200ELNS1_3gpuE4ELNS1_3repE0EEENS1_30default_config_static_selectorELNS0_4arch9wavefront6targetE0EEEvT1_.num_agpr, 0
	.set _ZN7rocprim17ROCPRIM_400000_NS6detail17trampoline_kernelINS0_14default_configENS1_27scan_by_key_config_selectorIifEEZZNS1_16scan_by_key_implILNS1_25lookback_scan_determinismE0ELb1ES3_N6thrust23THRUST_200600_302600_NS6detail15normal_iteratorINS9_10device_ptrIiEEEENSB_INSC_IfEEEESG_fNS9_4plusIvEENS9_8equal_toIvEEfEE10hipError_tPvRmT2_T3_T4_T5_mT6_T7_P12ihipStream_tbENKUlT_T0_E_clISt17integral_constantIbLb0EES11_EEDaSW_SX_EUlSW_E_NS1_11comp_targetILNS1_3genE10ELNS1_11target_archE1200ELNS1_3gpuE4ELNS1_3repE0EEENS1_30default_config_static_selectorELNS0_4arch9wavefront6targetE0EEEvT1_.numbered_sgpr, 0
	.set _ZN7rocprim17ROCPRIM_400000_NS6detail17trampoline_kernelINS0_14default_configENS1_27scan_by_key_config_selectorIifEEZZNS1_16scan_by_key_implILNS1_25lookback_scan_determinismE0ELb1ES3_N6thrust23THRUST_200600_302600_NS6detail15normal_iteratorINS9_10device_ptrIiEEEENSB_INSC_IfEEEESG_fNS9_4plusIvEENS9_8equal_toIvEEfEE10hipError_tPvRmT2_T3_T4_T5_mT6_T7_P12ihipStream_tbENKUlT_T0_E_clISt17integral_constantIbLb0EES11_EEDaSW_SX_EUlSW_E_NS1_11comp_targetILNS1_3genE10ELNS1_11target_archE1200ELNS1_3gpuE4ELNS1_3repE0EEENS1_30default_config_static_selectorELNS0_4arch9wavefront6targetE0EEEvT1_.num_named_barrier, 0
	.set _ZN7rocprim17ROCPRIM_400000_NS6detail17trampoline_kernelINS0_14default_configENS1_27scan_by_key_config_selectorIifEEZZNS1_16scan_by_key_implILNS1_25lookback_scan_determinismE0ELb1ES3_N6thrust23THRUST_200600_302600_NS6detail15normal_iteratorINS9_10device_ptrIiEEEENSB_INSC_IfEEEESG_fNS9_4plusIvEENS9_8equal_toIvEEfEE10hipError_tPvRmT2_T3_T4_T5_mT6_T7_P12ihipStream_tbENKUlT_T0_E_clISt17integral_constantIbLb0EES11_EEDaSW_SX_EUlSW_E_NS1_11comp_targetILNS1_3genE10ELNS1_11target_archE1200ELNS1_3gpuE4ELNS1_3repE0EEENS1_30default_config_static_selectorELNS0_4arch9wavefront6targetE0EEEvT1_.private_seg_size, 0
	.set _ZN7rocprim17ROCPRIM_400000_NS6detail17trampoline_kernelINS0_14default_configENS1_27scan_by_key_config_selectorIifEEZZNS1_16scan_by_key_implILNS1_25lookback_scan_determinismE0ELb1ES3_N6thrust23THRUST_200600_302600_NS6detail15normal_iteratorINS9_10device_ptrIiEEEENSB_INSC_IfEEEESG_fNS9_4plusIvEENS9_8equal_toIvEEfEE10hipError_tPvRmT2_T3_T4_T5_mT6_T7_P12ihipStream_tbENKUlT_T0_E_clISt17integral_constantIbLb0EES11_EEDaSW_SX_EUlSW_E_NS1_11comp_targetILNS1_3genE10ELNS1_11target_archE1200ELNS1_3gpuE4ELNS1_3repE0EEENS1_30default_config_static_selectorELNS0_4arch9wavefront6targetE0EEEvT1_.uses_vcc, 0
	.set _ZN7rocprim17ROCPRIM_400000_NS6detail17trampoline_kernelINS0_14default_configENS1_27scan_by_key_config_selectorIifEEZZNS1_16scan_by_key_implILNS1_25lookback_scan_determinismE0ELb1ES3_N6thrust23THRUST_200600_302600_NS6detail15normal_iteratorINS9_10device_ptrIiEEEENSB_INSC_IfEEEESG_fNS9_4plusIvEENS9_8equal_toIvEEfEE10hipError_tPvRmT2_T3_T4_T5_mT6_T7_P12ihipStream_tbENKUlT_T0_E_clISt17integral_constantIbLb0EES11_EEDaSW_SX_EUlSW_E_NS1_11comp_targetILNS1_3genE10ELNS1_11target_archE1200ELNS1_3gpuE4ELNS1_3repE0EEENS1_30default_config_static_selectorELNS0_4arch9wavefront6targetE0EEEvT1_.uses_flat_scratch, 0
	.set _ZN7rocprim17ROCPRIM_400000_NS6detail17trampoline_kernelINS0_14default_configENS1_27scan_by_key_config_selectorIifEEZZNS1_16scan_by_key_implILNS1_25lookback_scan_determinismE0ELb1ES3_N6thrust23THRUST_200600_302600_NS6detail15normal_iteratorINS9_10device_ptrIiEEEENSB_INSC_IfEEEESG_fNS9_4plusIvEENS9_8equal_toIvEEfEE10hipError_tPvRmT2_T3_T4_T5_mT6_T7_P12ihipStream_tbENKUlT_T0_E_clISt17integral_constantIbLb0EES11_EEDaSW_SX_EUlSW_E_NS1_11comp_targetILNS1_3genE10ELNS1_11target_archE1200ELNS1_3gpuE4ELNS1_3repE0EEENS1_30default_config_static_selectorELNS0_4arch9wavefront6targetE0EEEvT1_.has_dyn_sized_stack, 0
	.set _ZN7rocprim17ROCPRIM_400000_NS6detail17trampoline_kernelINS0_14default_configENS1_27scan_by_key_config_selectorIifEEZZNS1_16scan_by_key_implILNS1_25lookback_scan_determinismE0ELb1ES3_N6thrust23THRUST_200600_302600_NS6detail15normal_iteratorINS9_10device_ptrIiEEEENSB_INSC_IfEEEESG_fNS9_4plusIvEENS9_8equal_toIvEEfEE10hipError_tPvRmT2_T3_T4_T5_mT6_T7_P12ihipStream_tbENKUlT_T0_E_clISt17integral_constantIbLb0EES11_EEDaSW_SX_EUlSW_E_NS1_11comp_targetILNS1_3genE10ELNS1_11target_archE1200ELNS1_3gpuE4ELNS1_3repE0EEENS1_30default_config_static_selectorELNS0_4arch9wavefront6targetE0EEEvT1_.has_recursion, 0
	.set _ZN7rocprim17ROCPRIM_400000_NS6detail17trampoline_kernelINS0_14default_configENS1_27scan_by_key_config_selectorIifEEZZNS1_16scan_by_key_implILNS1_25lookback_scan_determinismE0ELb1ES3_N6thrust23THRUST_200600_302600_NS6detail15normal_iteratorINS9_10device_ptrIiEEEENSB_INSC_IfEEEESG_fNS9_4plusIvEENS9_8equal_toIvEEfEE10hipError_tPvRmT2_T3_T4_T5_mT6_T7_P12ihipStream_tbENKUlT_T0_E_clISt17integral_constantIbLb0EES11_EEDaSW_SX_EUlSW_E_NS1_11comp_targetILNS1_3genE10ELNS1_11target_archE1200ELNS1_3gpuE4ELNS1_3repE0EEENS1_30default_config_static_selectorELNS0_4arch9wavefront6targetE0EEEvT1_.has_indirect_call, 0
	.section	.AMDGPU.csdata,"",@progbits
; Kernel info:
; codeLenInByte = 0
; TotalNumSgprs: 0
; NumVgprs: 0
; ScratchSize: 0
; MemoryBound: 0
; FloatMode: 240
; IeeeMode: 1
; LDSByteSize: 0 bytes/workgroup (compile time only)
; SGPRBlocks: 0
; VGPRBlocks: 0
; NumSGPRsForWavesPerEU: 1
; NumVGPRsForWavesPerEU: 1
; NamedBarCnt: 0
; Occupancy: 16
; WaveLimiterHint : 0
; COMPUTE_PGM_RSRC2:SCRATCH_EN: 0
; COMPUTE_PGM_RSRC2:USER_SGPR: 2
; COMPUTE_PGM_RSRC2:TRAP_HANDLER: 0
; COMPUTE_PGM_RSRC2:TGID_X_EN: 1
; COMPUTE_PGM_RSRC2:TGID_Y_EN: 0
; COMPUTE_PGM_RSRC2:TGID_Z_EN: 0
; COMPUTE_PGM_RSRC2:TIDIG_COMP_CNT: 0
	.section	.text._ZN7rocprim17ROCPRIM_400000_NS6detail17trampoline_kernelINS0_14default_configENS1_27scan_by_key_config_selectorIifEEZZNS1_16scan_by_key_implILNS1_25lookback_scan_determinismE0ELb1ES3_N6thrust23THRUST_200600_302600_NS6detail15normal_iteratorINS9_10device_ptrIiEEEENSB_INSC_IfEEEESG_fNS9_4plusIvEENS9_8equal_toIvEEfEE10hipError_tPvRmT2_T3_T4_T5_mT6_T7_P12ihipStream_tbENKUlT_T0_E_clISt17integral_constantIbLb0EES11_EEDaSW_SX_EUlSW_E_NS1_11comp_targetILNS1_3genE9ELNS1_11target_archE1100ELNS1_3gpuE3ELNS1_3repE0EEENS1_30default_config_static_selectorELNS0_4arch9wavefront6targetE0EEEvT1_,"axG",@progbits,_ZN7rocprim17ROCPRIM_400000_NS6detail17trampoline_kernelINS0_14default_configENS1_27scan_by_key_config_selectorIifEEZZNS1_16scan_by_key_implILNS1_25lookback_scan_determinismE0ELb1ES3_N6thrust23THRUST_200600_302600_NS6detail15normal_iteratorINS9_10device_ptrIiEEEENSB_INSC_IfEEEESG_fNS9_4plusIvEENS9_8equal_toIvEEfEE10hipError_tPvRmT2_T3_T4_T5_mT6_T7_P12ihipStream_tbENKUlT_T0_E_clISt17integral_constantIbLb0EES11_EEDaSW_SX_EUlSW_E_NS1_11comp_targetILNS1_3genE9ELNS1_11target_archE1100ELNS1_3gpuE3ELNS1_3repE0EEENS1_30default_config_static_selectorELNS0_4arch9wavefront6targetE0EEEvT1_,comdat
	.protected	_ZN7rocprim17ROCPRIM_400000_NS6detail17trampoline_kernelINS0_14default_configENS1_27scan_by_key_config_selectorIifEEZZNS1_16scan_by_key_implILNS1_25lookback_scan_determinismE0ELb1ES3_N6thrust23THRUST_200600_302600_NS6detail15normal_iteratorINS9_10device_ptrIiEEEENSB_INSC_IfEEEESG_fNS9_4plusIvEENS9_8equal_toIvEEfEE10hipError_tPvRmT2_T3_T4_T5_mT6_T7_P12ihipStream_tbENKUlT_T0_E_clISt17integral_constantIbLb0EES11_EEDaSW_SX_EUlSW_E_NS1_11comp_targetILNS1_3genE9ELNS1_11target_archE1100ELNS1_3gpuE3ELNS1_3repE0EEENS1_30default_config_static_selectorELNS0_4arch9wavefront6targetE0EEEvT1_ ; -- Begin function _ZN7rocprim17ROCPRIM_400000_NS6detail17trampoline_kernelINS0_14default_configENS1_27scan_by_key_config_selectorIifEEZZNS1_16scan_by_key_implILNS1_25lookback_scan_determinismE0ELb1ES3_N6thrust23THRUST_200600_302600_NS6detail15normal_iteratorINS9_10device_ptrIiEEEENSB_INSC_IfEEEESG_fNS9_4plusIvEENS9_8equal_toIvEEfEE10hipError_tPvRmT2_T3_T4_T5_mT6_T7_P12ihipStream_tbENKUlT_T0_E_clISt17integral_constantIbLb0EES11_EEDaSW_SX_EUlSW_E_NS1_11comp_targetILNS1_3genE9ELNS1_11target_archE1100ELNS1_3gpuE3ELNS1_3repE0EEENS1_30default_config_static_selectorELNS0_4arch9wavefront6targetE0EEEvT1_
	.globl	_ZN7rocprim17ROCPRIM_400000_NS6detail17trampoline_kernelINS0_14default_configENS1_27scan_by_key_config_selectorIifEEZZNS1_16scan_by_key_implILNS1_25lookback_scan_determinismE0ELb1ES3_N6thrust23THRUST_200600_302600_NS6detail15normal_iteratorINS9_10device_ptrIiEEEENSB_INSC_IfEEEESG_fNS9_4plusIvEENS9_8equal_toIvEEfEE10hipError_tPvRmT2_T3_T4_T5_mT6_T7_P12ihipStream_tbENKUlT_T0_E_clISt17integral_constantIbLb0EES11_EEDaSW_SX_EUlSW_E_NS1_11comp_targetILNS1_3genE9ELNS1_11target_archE1100ELNS1_3gpuE3ELNS1_3repE0EEENS1_30default_config_static_selectorELNS0_4arch9wavefront6targetE0EEEvT1_
	.p2align	8
	.type	_ZN7rocprim17ROCPRIM_400000_NS6detail17trampoline_kernelINS0_14default_configENS1_27scan_by_key_config_selectorIifEEZZNS1_16scan_by_key_implILNS1_25lookback_scan_determinismE0ELb1ES3_N6thrust23THRUST_200600_302600_NS6detail15normal_iteratorINS9_10device_ptrIiEEEENSB_INSC_IfEEEESG_fNS9_4plusIvEENS9_8equal_toIvEEfEE10hipError_tPvRmT2_T3_T4_T5_mT6_T7_P12ihipStream_tbENKUlT_T0_E_clISt17integral_constantIbLb0EES11_EEDaSW_SX_EUlSW_E_NS1_11comp_targetILNS1_3genE9ELNS1_11target_archE1100ELNS1_3gpuE3ELNS1_3repE0EEENS1_30default_config_static_selectorELNS0_4arch9wavefront6targetE0EEEvT1_,@function
_ZN7rocprim17ROCPRIM_400000_NS6detail17trampoline_kernelINS0_14default_configENS1_27scan_by_key_config_selectorIifEEZZNS1_16scan_by_key_implILNS1_25lookback_scan_determinismE0ELb1ES3_N6thrust23THRUST_200600_302600_NS6detail15normal_iteratorINS9_10device_ptrIiEEEENSB_INSC_IfEEEESG_fNS9_4plusIvEENS9_8equal_toIvEEfEE10hipError_tPvRmT2_T3_T4_T5_mT6_T7_P12ihipStream_tbENKUlT_T0_E_clISt17integral_constantIbLb0EES11_EEDaSW_SX_EUlSW_E_NS1_11comp_targetILNS1_3genE9ELNS1_11target_archE1100ELNS1_3gpuE3ELNS1_3repE0EEENS1_30default_config_static_selectorELNS0_4arch9wavefront6targetE0EEEvT1_: ; @_ZN7rocprim17ROCPRIM_400000_NS6detail17trampoline_kernelINS0_14default_configENS1_27scan_by_key_config_selectorIifEEZZNS1_16scan_by_key_implILNS1_25lookback_scan_determinismE0ELb1ES3_N6thrust23THRUST_200600_302600_NS6detail15normal_iteratorINS9_10device_ptrIiEEEENSB_INSC_IfEEEESG_fNS9_4plusIvEENS9_8equal_toIvEEfEE10hipError_tPvRmT2_T3_T4_T5_mT6_T7_P12ihipStream_tbENKUlT_T0_E_clISt17integral_constantIbLb0EES11_EEDaSW_SX_EUlSW_E_NS1_11comp_targetILNS1_3genE9ELNS1_11target_archE1100ELNS1_3gpuE3ELNS1_3repE0EEENS1_30default_config_static_selectorELNS0_4arch9wavefront6targetE0EEEvT1_
; %bb.0:
	.section	.rodata,"a",@progbits
	.p2align	6, 0x0
	.amdhsa_kernel _ZN7rocprim17ROCPRIM_400000_NS6detail17trampoline_kernelINS0_14default_configENS1_27scan_by_key_config_selectorIifEEZZNS1_16scan_by_key_implILNS1_25lookback_scan_determinismE0ELb1ES3_N6thrust23THRUST_200600_302600_NS6detail15normal_iteratorINS9_10device_ptrIiEEEENSB_INSC_IfEEEESG_fNS9_4plusIvEENS9_8equal_toIvEEfEE10hipError_tPvRmT2_T3_T4_T5_mT6_T7_P12ihipStream_tbENKUlT_T0_E_clISt17integral_constantIbLb0EES11_EEDaSW_SX_EUlSW_E_NS1_11comp_targetILNS1_3genE9ELNS1_11target_archE1100ELNS1_3gpuE3ELNS1_3repE0EEENS1_30default_config_static_selectorELNS0_4arch9wavefront6targetE0EEEvT1_
		.amdhsa_group_segment_fixed_size 0
		.amdhsa_private_segment_fixed_size 0
		.amdhsa_kernarg_size 112
		.amdhsa_user_sgpr_count 2
		.amdhsa_user_sgpr_dispatch_ptr 0
		.amdhsa_user_sgpr_queue_ptr 0
		.amdhsa_user_sgpr_kernarg_segment_ptr 1
		.amdhsa_user_sgpr_dispatch_id 0
		.amdhsa_user_sgpr_kernarg_preload_length 0
		.amdhsa_user_sgpr_kernarg_preload_offset 0
		.amdhsa_user_sgpr_private_segment_size 0
		.amdhsa_wavefront_size32 1
		.amdhsa_uses_dynamic_stack 0
		.amdhsa_enable_private_segment 0
		.amdhsa_system_sgpr_workgroup_id_x 1
		.amdhsa_system_sgpr_workgroup_id_y 0
		.amdhsa_system_sgpr_workgroup_id_z 0
		.amdhsa_system_sgpr_workgroup_info 0
		.amdhsa_system_vgpr_workitem_id 0
		.amdhsa_next_free_vgpr 1
		.amdhsa_next_free_sgpr 1
		.amdhsa_named_barrier_count 0
		.amdhsa_reserve_vcc 0
		.amdhsa_float_round_mode_32 0
		.amdhsa_float_round_mode_16_64 0
		.amdhsa_float_denorm_mode_32 3
		.amdhsa_float_denorm_mode_16_64 3
		.amdhsa_fp16_overflow 0
		.amdhsa_memory_ordered 1
		.amdhsa_forward_progress 1
		.amdhsa_inst_pref_size 0
		.amdhsa_round_robin_scheduling 0
		.amdhsa_exception_fp_ieee_invalid_op 0
		.amdhsa_exception_fp_denorm_src 0
		.amdhsa_exception_fp_ieee_div_zero 0
		.amdhsa_exception_fp_ieee_overflow 0
		.amdhsa_exception_fp_ieee_underflow 0
		.amdhsa_exception_fp_ieee_inexact 0
		.amdhsa_exception_int_div_zero 0
	.end_amdhsa_kernel
	.section	.text._ZN7rocprim17ROCPRIM_400000_NS6detail17trampoline_kernelINS0_14default_configENS1_27scan_by_key_config_selectorIifEEZZNS1_16scan_by_key_implILNS1_25lookback_scan_determinismE0ELb1ES3_N6thrust23THRUST_200600_302600_NS6detail15normal_iteratorINS9_10device_ptrIiEEEENSB_INSC_IfEEEESG_fNS9_4plusIvEENS9_8equal_toIvEEfEE10hipError_tPvRmT2_T3_T4_T5_mT6_T7_P12ihipStream_tbENKUlT_T0_E_clISt17integral_constantIbLb0EES11_EEDaSW_SX_EUlSW_E_NS1_11comp_targetILNS1_3genE9ELNS1_11target_archE1100ELNS1_3gpuE3ELNS1_3repE0EEENS1_30default_config_static_selectorELNS0_4arch9wavefront6targetE0EEEvT1_,"axG",@progbits,_ZN7rocprim17ROCPRIM_400000_NS6detail17trampoline_kernelINS0_14default_configENS1_27scan_by_key_config_selectorIifEEZZNS1_16scan_by_key_implILNS1_25lookback_scan_determinismE0ELb1ES3_N6thrust23THRUST_200600_302600_NS6detail15normal_iteratorINS9_10device_ptrIiEEEENSB_INSC_IfEEEESG_fNS9_4plusIvEENS9_8equal_toIvEEfEE10hipError_tPvRmT2_T3_T4_T5_mT6_T7_P12ihipStream_tbENKUlT_T0_E_clISt17integral_constantIbLb0EES11_EEDaSW_SX_EUlSW_E_NS1_11comp_targetILNS1_3genE9ELNS1_11target_archE1100ELNS1_3gpuE3ELNS1_3repE0EEENS1_30default_config_static_selectorELNS0_4arch9wavefront6targetE0EEEvT1_,comdat
.Lfunc_end1434:
	.size	_ZN7rocprim17ROCPRIM_400000_NS6detail17trampoline_kernelINS0_14default_configENS1_27scan_by_key_config_selectorIifEEZZNS1_16scan_by_key_implILNS1_25lookback_scan_determinismE0ELb1ES3_N6thrust23THRUST_200600_302600_NS6detail15normal_iteratorINS9_10device_ptrIiEEEENSB_INSC_IfEEEESG_fNS9_4plusIvEENS9_8equal_toIvEEfEE10hipError_tPvRmT2_T3_T4_T5_mT6_T7_P12ihipStream_tbENKUlT_T0_E_clISt17integral_constantIbLb0EES11_EEDaSW_SX_EUlSW_E_NS1_11comp_targetILNS1_3genE9ELNS1_11target_archE1100ELNS1_3gpuE3ELNS1_3repE0EEENS1_30default_config_static_selectorELNS0_4arch9wavefront6targetE0EEEvT1_, .Lfunc_end1434-_ZN7rocprim17ROCPRIM_400000_NS6detail17trampoline_kernelINS0_14default_configENS1_27scan_by_key_config_selectorIifEEZZNS1_16scan_by_key_implILNS1_25lookback_scan_determinismE0ELb1ES3_N6thrust23THRUST_200600_302600_NS6detail15normal_iteratorINS9_10device_ptrIiEEEENSB_INSC_IfEEEESG_fNS9_4plusIvEENS9_8equal_toIvEEfEE10hipError_tPvRmT2_T3_T4_T5_mT6_T7_P12ihipStream_tbENKUlT_T0_E_clISt17integral_constantIbLb0EES11_EEDaSW_SX_EUlSW_E_NS1_11comp_targetILNS1_3genE9ELNS1_11target_archE1100ELNS1_3gpuE3ELNS1_3repE0EEENS1_30default_config_static_selectorELNS0_4arch9wavefront6targetE0EEEvT1_
                                        ; -- End function
	.set _ZN7rocprim17ROCPRIM_400000_NS6detail17trampoline_kernelINS0_14default_configENS1_27scan_by_key_config_selectorIifEEZZNS1_16scan_by_key_implILNS1_25lookback_scan_determinismE0ELb1ES3_N6thrust23THRUST_200600_302600_NS6detail15normal_iteratorINS9_10device_ptrIiEEEENSB_INSC_IfEEEESG_fNS9_4plusIvEENS9_8equal_toIvEEfEE10hipError_tPvRmT2_T3_T4_T5_mT6_T7_P12ihipStream_tbENKUlT_T0_E_clISt17integral_constantIbLb0EES11_EEDaSW_SX_EUlSW_E_NS1_11comp_targetILNS1_3genE9ELNS1_11target_archE1100ELNS1_3gpuE3ELNS1_3repE0EEENS1_30default_config_static_selectorELNS0_4arch9wavefront6targetE0EEEvT1_.num_vgpr, 0
	.set _ZN7rocprim17ROCPRIM_400000_NS6detail17trampoline_kernelINS0_14default_configENS1_27scan_by_key_config_selectorIifEEZZNS1_16scan_by_key_implILNS1_25lookback_scan_determinismE0ELb1ES3_N6thrust23THRUST_200600_302600_NS6detail15normal_iteratorINS9_10device_ptrIiEEEENSB_INSC_IfEEEESG_fNS9_4plusIvEENS9_8equal_toIvEEfEE10hipError_tPvRmT2_T3_T4_T5_mT6_T7_P12ihipStream_tbENKUlT_T0_E_clISt17integral_constantIbLb0EES11_EEDaSW_SX_EUlSW_E_NS1_11comp_targetILNS1_3genE9ELNS1_11target_archE1100ELNS1_3gpuE3ELNS1_3repE0EEENS1_30default_config_static_selectorELNS0_4arch9wavefront6targetE0EEEvT1_.num_agpr, 0
	.set _ZN7rocprim17ROCPRIM_400000_NS6detail17trampoline_kernelINS0_14default_configENS1_27scan_by_key_config_selectorIifEEZZNS1_16scan_by_key_implILNS1_25lookback_scan_determinismE0ELb1ES3_N6thrust23THRUST_200600_302600_NS6detail15normal_iteratorINS9_10device_ptrIiEEEENSB_INSC_IfEEEESG_fNS9_4plusIvEENS9_8equal_toIvEEfEE10hipError_tPvRmT2_T3_T4_T5_mT6_T7_P12ihipStream_tbENKUlT_T0_E_clISt17integral_constantIbLb0EES11_EEDaSW_SX_EUlSW_E_NS1_11comp_targetILNS1_3genE9ELNS1_11target_archE1100ELNS1_3gpuE3ELNS1_3repE0EEENS1_30default_config_static_selectorELNS0_4arch9wavefront6targetE0EEEvT1_.numbered_sgpr, 0
	.set _ZN7rocprim17ROCPRIM_400000_NS6detail17trampoline_kernelINS0_14default_configENS1_27scan_by_key_config_selectorIifEEZZNS1_16scan_by_key_implILNS1_25lookback_scan_determinismE0ELb1ES3_N6thrust23THRUST_200600_302600_NS6detail15normal_iteratorINS9_10device_ptrIiEEEENSB_INSC_IfEEEESG_fNS9_4plusIvEENS9_8equal_toIvEEfEE10hipError_tPvRmT2_T3_T4_T5_mT6_T7_P12ihipStream_tbENKUlT_T0_E_clISt17integral_constantIbLb0EES11_EEDaSW_SX_EUlSW_E_NS1_11comp_targetILNS1_3genE9ELNS1_11target_archE1100ELNS1_3gpuE3ELNS1_3repE0EEENS1_30default_config_static_selectorELNS0_4arch9wavefront6targetE0EEEvT1_.num_named_barrier, 0
	.set _ZN7rocprim17ROCPRIM_400000_NS6detail17trampoline_kernelINS0_14default_configENS1_27scan_by_key_config_selectorIifEEZZNS1_16scan_by_key_implILNS1_25lookback_scan_determinismE0ELb1ES3_N6thrust23THRUST_200600_302600_NS6detail15normal_iteratorINS9_10device_ptrIiEEEENSB_INSC_IfEEEESG_fNS9_4plusIvEENS9_8equal_toIvEEfEE10hipError_tPvRmT2_T3_T4_T5_mT6_T7_P12ihipStream_tbENKUlT_T0_E_clISt17integral_constantIbLb0EES11_EEDaSW_SX_EUlSW_E_NS1_11comp_targetILNS1_3genE9ELNS1_11target_archE1100ELNS1_3gpuE3ELNS1_3repE0EEENS1_30default_config_static_selectorELNS0_4arch9wavefront6targetE0EEEvT1_.private_seg_size, 0
	.set _ZN7rocprim17ROCPRIM_400000_NS6detail17trampoline_kernelINS0_14default_configENS1_27scan_by_key_config_selectorIifEEZZNS1_16scan_by_key_implILNS1_25lookback_scan_determinismE0ELb1ES3_N6thrust23THRUST_200600_302600_NS6detail15normal_iteratorINS9_10device_ptrIiEEEENSB_INSC_IfEEEESG_fNS9_4plusIvEENS9_8equal_toIvEEfEE10hipError_tPvRmT2_T3_T4_T5_mT6_T7_P12ihipStream_tbENKUlT_T0_E_clISt17integral_constantIbLb0EES11_EEDaSW_SX_EUlSW_E_NS1_11comp_targetILNS1_3genE9ELNS1_11target_archE1100ELNS1_3gpuE3ELNS1_3repE0EEENS1_30default_config_static_selectorELNS0_4arch9wavefront6targetE0EEEvT1_.uses_vcc, 0
	.set _ZN7rocprim17ROCPRIM_400000_NS6detail17trampoline_kernelINS0_14default_configENS1_27scan_by_key_config_selectorIifEEZZNS1_16scan_by_key_implILNS1_25lookback_scan_determinismE0ELb1ES3_N6thrust23THRUST_200600_302600_NS6detail15normal_iteratorINS9_10device_ptrIiEEEENSB_INSC_IfEEEESG_fNS9_4plusIvEENS9_8equal_toIvEEfEE10hipError_tPvRmT2_T3_T4_T5_mT6_T7_P12ihipStream_tbENKUlT_T0_E_clISt17integral_constantIbLb0EES11_EEDaSW_SX_EUlSW_E_NS1_11comp_targetILNS1_3genE9ELNS1_11target_archE1100ELNS1_3gpuE3ELNS1_3repE0EEENS1_30default_config_static_selectorELNS0_4arch9wavefront6targetE0EEEvT1_.uses_flat_scratch, 0
	.set _ZN7rocprim17ROCPRIM_400000_NS6detail17trampoline_kernelINS0_14default_configENS1_27scan_by_key_config_selectorIifEEZZNS1_16scan_by_key_implILNS1_25lookback_scan_determinismE0ELb1ES3_N6thrust23THRUST_200600_302600_NS6detail15normal_iteratorINS9_10device_ptrIiEEEENSB_INSC_IfEEEESG_fNS9_4plusIvEENS9_8equal_toIvEEfEE10hipError_tPvRmT2_T3_T4_T5_mT6_T7_P12ihipStream_tbENKUlT_T0_E_clISt17integral_constantIbLb0EES11_EEDaSW_SX_EUlSW_E_NS1_11comp_targetILNS1_3genE9ELNS1_11target_archE1100ELNS1_3gpuE3ELNS1_3repE0EEENS1_30default_config_static_selectorELNS0_4arch9wavefront6targetE0EEEvT1_.has_dyn_sized_stack, 0
	.set _ZN7rocprim17ROCPRIM_400000_NS6detail17trampoline_kernelINS0_14default_configENS1_27scan_by_key_config_selectorIifEEZZNS1_16scan_by_key_implILNS1_25lookback_scan_determinismE0ELb1ES3_N6thrust23THRUST_200600_302600_NS6detail15normal_iteratorINS9_10device_ptrIiEEEENSB_INSC_IfEEEESG_fNS9_4plusIvEENS9_8equal_toIvEEfEE10hipError_tPvRmT2_T3_T4_T5_mT6_T7_P12ihipStream_tbENKUlT_T0_E_clISt17integral_constantIbLb0EES11_EEDaSW_SX_EUlSW_E_NS1_11comp_targetILNS1_3genE9ELNS1_11target_archE1100ELNS1_3gpuE3ELNS1_3repE0EEENS1_30default_config_static_selectorELNS0_4arch9wavefront6targetE0EEEvT1_.has_recursion, 0
	.set _ZN7rocprim17ROCPRIM_400000_NS6detail17trampoline_kernelINS0_14default_configENS1_27scan_by_key_config_selectorIifEEZZNS1_16scan_by_key_implILNS1_25lookback_scan_determinismE0ELb1ES3_N6thrust23THRUST_200600_302600_NS6detail15normal_iteratorINS9_10device_ptrIiEEEENSB_INSC_IfEEEESG_fNS9_4plusIvEENS9_8equal_toIvEEfEE10hipError_tPvRmT2_T3_T4_T5_mT6_T7_P12ihipStream_tbENKUlT_T0_E_clISt17integral_constantIbLb0EES11_EEDaSW_SX_EUlSW_E_NS1_11comp_targetILNS1_3genE9ELNS1_11target_archE1100ELNS1_3gpuE3ELNS1_3repE0EEENS1_30default_config_static_selectorELNS0_4arch9wavefront6targetE0EEEvT1_.has_indirect_call, 0
	.section	.AMDGPU.csdata,"",@progbits
; Kernel info:
; codeLenInByte = 0
; TotalNumSgprs: 0
; NumVgprs: 0
; ScratchSize: 0
; MemoryBound: 0
; FloatMode: 240
; IeeeMode: 1
; LDSByteSize: 0 bytes/workgroup (compile time only)
; SGPRBlocks: 0
; VGPRBlocks: 0
; NumSGPRsForWavesPerEU: 1
; NumVGPRsForWavesPerEU: 1
; NamedBarCnt: 0
; Occupancy: 16
; WaveLimiterHint : 0
; COMPUTE_PGM_RSRC2:SCRATCH_EN: 0
; COMPUTE_PGM_RSRC2:USER_SGPR: 2
; COMPUTE_PGM_RSRC2:TRAP_HANDLER: 0
; COMPUTE_PGM_RSRC2:TGID_X_EN: 1
; COMPUTE_PGM_RSRC2:TGID_Y_EN: 0
; COMPUTE_PGM_RSRC2:TGID_Z_EN: 0
; COMPUTE_PGM_RSRC2:TIDIG_COMP_CNT: 0
	.section	.text._ZN7rocprim17ROCPRIM_400000_NS6detail17trampoline_kernelINS0_14default_configENS1_27scan_by_key_config_selectorIifEEZZNS1_16scan_by_key_implILNS1_25lookback_scan_determinismE0ELb1ES3_N6thrust23THRUST_200600_302600_NS6detail15normal_iteratorINS9_10device_ptrIiEEEENSB_INSC_IfEEEESG_fNS9_4plusIvEENS9_8equal_toIvEEfEE10hipError_tPvRmT2_T3_T4_T5_mT6_T7_P12ihipStream_tbENKUlT_T0_E_clISt17integral_constantIbLb0EES11_EEDaSW_SX_EUlSW_E_NS1_11comp_targetILNS1_3genE8ELNS1_11target_archE1030ELNS1_3gpuE2ELNS1_3repE0EEENS1_30default_config_static_selectorELNS0_4arch9wavefront6targetE0EEEvT1_,"axG",@progbits,_ZN7rocprim17ROCPRIM_400000_NS6detail17trampoline_kernelINS0_14default_configENS1_27scan_by_key_config_selectorIifEEZZNS1_16scan_by_key_implILNS1_25lookback_scan_determinismE0ELb1ES3_N6thrust23THRUST_200600_302600_NS6detail15normal_iteratorINS9_10device_ptrIiEEEENSB_INSC_IfEEEESG_fNS9_4plusIvEENS9_8equal_toIvEEfEE10hipError_tPvRmT2_T3_T4_T5_mT6_T7_P12ihipStream_tbENKUlT_T0_E_clISt17integral_constantIbLb0EES11_EEDaSW_SX_EUlSW_E_NS1_11comp_targetILNS1_3genE8ELNS1_11target_archE1030ELNS1_3gpuE2ELNS1_3repE0EEENS1_30default_config_static_selectorELNS0_4arch9wavefront6targetE0EEEvT1_,comdat
	.protected	_ZN7rocprim17ROCPRIM_400000_NS6detail17trampoline_kernelINS0_14default_configENS1_27scan_by_key_config_selectorIifEEZZNS1_16scan_by_key_implILNS1_25lookback_scan_determinismE0ELb1ES3_N6thrust23THRUST_200600_302600_NS6detail15normal_iteratorINS9_10device_ptrIiEEEENSB_INSC_IfEEEESG_fNS9_4plusIvEENS9_8equal_toIvEEfEE10hipError_tPvRmT2_T3_T4_T5_mT6_T7_P12ihipStream_tbENKUlT_T0_E_clISt17integral_constantIbLb0EES11_EEDaSW_SX_EUlSW_E_NS1_11comp_targetILNS1_3genE8ELNS1_11target_archE1030ELNS1_3gpuE2ELNS1_3repE0EEENS1_30default_config_static_selectorELNS0_4arch9wavefront6targetE0EEEvT1_ ; -- Begin function _ZN7rocprim17ROCPRIM_400000_NS6detail17trampoline_kernelINS0_14default_configENS1_27scan_by_key_config_selectorIifEEZZNS1_16scan_by_key_implILNS1_25lookback_scan_determinismE0ELb1ES3_N6thrust23THRUST_200600_302600_NS6detail15normal_iteratorINS9_10device_ptrIiEEEENSB_INSC_IfEEEESG_fNS9_4plusIvEENS9_8equal_toIvEEfEE10hipError_tPvRmT2_T3_T4_T5_mT6_T7_P12ihipStream_tbENKUlT_T0_E_clISt17integral_constantIbLb0EES11_EEDaSW_SX_EUlSW_E_NS1_11comp_targetILNS1_3genE8ELNS1_11target_archE1030ELNS1_3gpuE2ELNS1_3repE0EEENS1_30default_config_static_selectorELNS0_4arch9wavefront6targetE0EEEvT1_
	.globl	_ZN7rocprim17ROCPRIM_400000_NS6detail17trampoline_kernelINS0_14default_configENS1_27scan_by_key_config_selectorIifEEZZNS1_16scan_by_key_implILNS1_25lookback_scan_determinismE0ELb1ES3_N6thrust23THRUST_200600_302600_NS6detail15normal_iteratorINS9_10device_ptrIiEEEENSB_INSC_IfEEEESG_fNS9_4plusIvEENS9_8equal_toIvEEfEE10hipError_tPvRmT2_T3_T4_T5_mT6_T7_P12ihipStream_tbENKUlT_T0_E_clISt17integral_constantIbLb0EES11_EEDaSW_SX_EUlSW_E_NS1_11comp_targetILNS1_3genE8ELNS1_11target_archE1030ELNS1_3gpuE2ELNS1_3repE0EEENS1_30default_config_static_selectorELNS0_4arch9wavefront6targetE0EEEvT1_
	.p2align	8
	.type	_ZN7rocprim17ROCPRIM_400000_NS6detail17trampoline_kernelINS0_14default_configENS1_27scan_by_key_config_selectorIifEEZZNS1_16scan_by_key_implILNS1_25lookback_scan_determinismE0ELb1ES3_N6thrust23THRUST_200600_302600_NS6detail15normal_iteratorINS9_10device_ptrIiEEEENSB_INSC_IfEEEESG_fNS9_4plusIvEENS9_8equal_toIvEEfEE10hipError_tPvRmT2_T3_T4_T5_mT6_T7_P12ihipStream_tbENKUlT_T0_E_clISt17integral_constantIbLb0EES11_EEDaSW_SX_EUlSW_E_NS1_11comp_targetILNS1_3genE8ELNS1_11target_archE1030ELNS1_3gpuE2ELNS1_3repE0EEENS1_30default_config_static_selectorELNS0_4arch9wavefront6targetE0EEEvT1_,@function
_ZN7rocprim17ROCPRIM_400000_NS6detail17trampoline_kernelINS0_14default_configENS1_27scan_by_key_config_selectorIifEEZZNS1_16scan_by_key_implILNS1_25lookback_scan_determinismE0ELb1ES3_N6thrust23THRUST_200600_302600_NS6detail15normal_iteratorINS9_10device_ptrIiEEEENSB_INSC_IfEEEESG_fNS9_4plusIvEENS9_8equal_toIvEEfEE10hipError_tPvRmT2_T3_T4_T5_mT6_T7_P12ihipStream_tbENKUlT_T0_E_clISt17integral_constantIbLb0EES11_EEDaSW_SX_EUlSW_E_NS1_11comp_targetILNS1_3genE8ELNS1_11target_archE1030ELNS1_3gpuE2ELNS1_3repE0EEENS1_30default_config_static_selectorELNS0_4arch9wavefront6targetE0EEEvT1_: ; @_ZN7rocprim17ROCPRIM_400000_NS6detail17trampoline_kernelINS0_14default_configENS1_27scan_by_key_config_selectorIifEEZZNS1_16scan_by_key_implILNS1_25lookback_scan_determinismE0ELb1ES3_N6thrust23THRUST_200600_302600_NS6detail15normal_iteratorINS9_10device_ptrIiEEEENSB_INSC_IfEEEESG_fNS9_4plusIvEENS9_8equal_toIvEEfEE10hipError_tPvRmT2_T3_T4_T5_mT6_T7_P12ihipStream_tbENKUlT_T0_E_clISt17integral_constantIbLb0EES11_EEDaSW_SX_EUlSW_E_NS1_11comp_targetILNS1_3genE8ELNS1_11target_archE1030ELNS1_3gpuE2ELNS1_3repE0EEENS1_30default_config_static_selectorELNS0_4arch9wavefront6targetE0EEEvT1_
; %bb.0:
	.section	.rodata,"a",@progbits
	.p2align	6, 0x0
	.amdhsa_kernel _ZN7rocprim17ROCPRIM_400000_NS6detail17trampoline_kernelINS0_14default_configENS1_27scan_by_key_config_selectorIifEEZZNS1_16scan_by_key_implILNS1_25lookback_scan_determinismE0ELb1ES3_N6thrust23THRUST_200600_302600_NS6detail15normal_iteratorINS9_10device_ptrIiEEEENSB_INSC_IfEEEESG_fNS9_4plusIvEENS9_8equal_toIvEEfEE10hipError_tPvRmT2_T3_T4_T5_mT6_T7_P12ihipStream_tbENKUlT_T0_E_clISt17integral_constantIbLb0EES11_EEDaSW_SX_EUlSW_E_NS1_11comp_targetILNS1_3genE8ELNS1_11target_archE1030ELNS1_3gpuE2ELNS1_3repE0EEENS1_30default_config_static_selectorELNS0_4arch9wavefront6targetE0EEEvT1_
		.amdhsa_group_segment_fixed_size 0
		.amdhsa_private_segment_fixed_size 0
		.amdhsa_kernarg_size 112
		.amdhsa_user_sgpr_count 2
		.amdhsa_user_sgpr_dispatch_ptr 0
		.amdhsa_user_sgpr_queue_ptr 0
		.amdhsa_user_sgpr_kernarg_segment_ptr 1
		.amdhsa_user_sgpr_dispatch_id 0
		.amdhsa_user_sgpr_kernarg_preload_length 0
		.amdhsa_user_sgpr_kernarg_preload_offset 0
		.amdhsa_user_sgpr_private_segment_size 0
		.amdhsa_wavefront_size32 1
		.amdhsa_uses_dynamic_stack 0
		.amdhsa_enable_private_segment 0
		.amdhsa_system_sgpr_workgroup_id_x 1
		.amdhsa_system_sgpr_workgroup_id_y 0
		.amdhsa_system_sgpr_workgroup_id_z 0
		.amdhsa_system_sgpr_workgroup_info 0
		.amdhsa_system_vgpr_workitem_id 0
		.amdhsa_next_free_vgpr 1
		.amdhsa_next_free_sgpr 1
		.amdhsa_named_barrier_count 0
		.amdhsa_reserve_vcc 0
		.amdhsa_float_round_mode_32 0
		.amdhsa_float_round_mode_16_64 0
		.amdhsa_float_denorm_mode_32 3
		.amdhsa_float_denorm_mode_16_64 3
		.amdhsa_fp16_overflow 0
		.amdhsa_memory_ordered 1
		.amdhsa_forward_progress 1
		.amdhsa_inst_pref_size 0
		.amdhsa_round_robin_scheduling 0
		.amdhsa_exception_fp_ieee_invalid_op 0
		.amdhsa_exception_fp_denorm_src 0
		.amdhsa_exception_fp_ieee_div_zero 0
		.amdhsa_exception_fp_ieee_overflow 0
		.amdhsa_exception_fp_ieee_underflow 0
		.amdhsa_exception_fp_ieee_inexact 0
		.amdhsa_exception_int_div_zero 0
	.end_amdhsa_kernel
	.section	.text._ZN7rocprim17ROCPRIM_400000_NS6detail17trampoline_kernelINS0_14default_configENS1_27scan_by_key_config_selectorIifEEZZNS1_16scan_by_key_implILNS1_25lookback_scan_determinismE0ELb1ES3_N6thrust23THRUST_200600_302600_NS6detail15normal_iteratorINS9_10device_ptrIiEEEENSB_INSC_IfEEEESG_fNS9_4plusIvEENS9_8equal_toIvEEfEE10hipError_tPvRmT2_T3_T4_T5_mT6_T7_P12ihipStream_tbENKUlT_T0_E_clISt17integral_constantIbLb0EES11_EEDaSW_SX_EUlSW_E_NS1_11comp_targetILNS1_3genE8ELNS1_11target_archE1030ELNS1_3gpuE2ELNS1_3repE0EEENS1_30default_config_static_selectorELNS0_4arch9wavefront6targetE0EEEvT1_,"axG",@progbits,_ZN7rocprim17ROCPRIM_400000_NS6detail17trampoline_kernelINS0_14default_configENS1_27scan_by_key_config_selectorIifEEZZNS1_16scan_by_key_implILNS1_25lookback_scan_determinismE0ELb1ES3_N6thrust23THRUST_200600_302600_NS6detail15normal_iteratorINS9_10device_ptrIiEEEENSB_INSC_IfEEEESG_fNS9_4plusIvEENS9_8equal_toIvEEfEE10hipError_tPvRmT2_T3_T4_T5_mT6_T7_P12ihipStream_tbENKUlT_T0_E_clISt17integral_constantIbLb0EES11_EEDaSW_SX_EUlSW_E_NS1_11comp_targetILNS1_3genE8ELNS1_11target_archE1030ELNS1_3gpuE2ELNS1_3repE0EEENS1_30default_config_static_selectorELNS0_4arch9wavefront6targetE0EEEvT1_,comdat
.Lfunc_end1435:
	.size	_ZN7rocprim17ROCPRIM_400000_NS6detail17trampoline_kernelINS0_14default_configENS1_27scan_by_key_config_selectorIifEEZZNS1_16scan_by_key_implILNS1_25lookback_scan_determinismE0ELb1ES3_N6thrust23THRUST_200600_302600_NS6detail15normal_iteratorINS9_10device_ptrIiEEEENSB_INSC_IfEEEESG_fNS9_4plusIvEENS9_8equal_toIvEEfEE10hipError_tPvRmT2_T3_T4_T5_mT6_T7_P12ihipStream_tbENKUlT_T0_E_clISt17integral_constantIbLb0EES11_EEDaSW_SX_EUlSW_E_NS1_11comp_targetILNS1_3genE8ELNS1_11target_archE1030ELNS1_3gpuE2ELNS1_3repE0EEENS1_30default_config_static_selectorELNS0_4arch9wavefront6targetE0EEEvT1_, .Lfunc_end1435-_ZN7rocprim17ROCPRIM_400000_NS6detail17trampoline_kernelINS0_14default_configENS1_27scan_by_key_config_selectorIifEEZZNS1_16scan_by_key_implILNS1_25lookback_scan_determinismE0ELb1ES3_N6thrust23THRUST_200600_302600_NS6detail15normal_iteratorINS9_10device_ptrIiEEEENSB_INSC_IfEEEESG_fNS9_4plusIvEENS9_8equal_toIvEEfEE10hipError_tPvRmT2_T3_T4_T5_mT6_T7_P12ihipStream_tbENKUlT_T0_E_clISt17integral_constantIbLb0EES11_EEDaSW_SX_EUlSW_E_NS1_11comp_targetILNS1_3genE8ELNS1_11target_archE1030ELNS1_3gpuE2ELNS1_3repE0EEENS1_30default_config_static_selectorELNS0_4arch9wavefront6targetE0EEEvT1_
                                        ; -- End function
	.set _ZN7rocprim17ROCPRIM_400000_NS6detail17trampoline_kernelINS0_14default_configENS1_27scan_by_key_config_selectorIifEEZZNS1_16scan_by_key_implILNS1_25lookback_scan_determinismE0ELb1ES3_N6thrust23THRUST_200600_302600_NS6detail15normal_iteratorINS9_10device_ptrIiEEEENSB_INSC_IfEEEESG_fNS9_4plusIvEENS9_8equal_toIvEEfEE10hipError_tPvRmT2_T3_T4_T5_mT6_T7_P12ihipStream_tbENKUlT_T0_E_clISt17integral_constantIbLb0EES11_EEDaSW_SX_EUlSW_E_NS1_11comp_targetILNS1_3genE8ELNS1_11target_archE1030ELNS1_3gpuE2ELNS1_3repE0EEENS1_30default_config_static_selectorELNS0_4arch9wavefront6targetE0EEEvT1_.num_vgpr, 0
	.set _ZN7rocprim17ROCPRIM_400000_NS6detail17trampoline_kernelINS0_14default_configENS1_27scan_by_key_config_selectorIifEEZZNS1_16scan_by_key_implILNS1_25lookback_scan_determinismE0ELb1ES3_N6thrust23THRUST_200600_302600_NS6detail15normal_iteratorINS9_10device_ptrIiEEEENSB_INSC_IfEEEESG_fNS9_4plusIvEENS9_8equal_toIvEEfEE10hipError_tPvRmT2_T3_T4_T5_mT6_T7_P12ihipStream_tbENKUlT_T0_E_clISt17integral_constantIbLb0EES11_EEDaSW_SX_EUlSW_E_NS1_11comp_targetILNS1_3genE8ELNS1_11target_archE1030ELNS1_3gpuE2ELNS1_3repE0EEENS1_30default_config_static_selectorELNS0_4arch9wavefront6targetE0EEEvT1_.num_agpr, 0
	.set _ZN7rocprim17ROCPRIM_400000_NS6detail17trampoline_kernelINS0_14default_configENS1_27scan_by_key_config_selectorIifEEZZNS1_16scan_by_key_implILNS1_25lookback_scan_determinismE0ELb1ES3_N6thrust23THRUST_200600_302600_NS6detail15normal_iteratorINS9_10device_ptrIiEEEENSB_INSC_IfEEEESG_fNS9_4plusIvEENS9_8equal_toIvEEfEE10hipError_tPvRmT2_T3_T4_T5_mT6_T7_P12ihipStream_tbENKUlT_T0_E_clISt17integral_constantIbLb0EES11_EEDaSW_SX_EUlSW_E_NS1_11comp_targetILNS1_3genE8ELNS1_11target_archE1030ELNS1_3gpuE2ELNS1_3repE0EEENS1_30default_config_static_selectorELNS0_4arch9wavefront6targetE0EEEvT1_.numbered_sgpr, 0
	.set _ZN7rocprim17ROCPRIM_400000_NS6detail17trampoline_kernelINS0_14default_configENS1_27scan_by_key_config_selectorIifEEZZNS1_16scan_by_key_implILNS1_25lookback_scan_determinismE0ELb1ES3_N6thrust23THRUST_200600_302600_NS6detail15normal_iteratorINS9_10device_ptrIiEEEENSB_INSC_IfEEEESG_fNS9_4plusIvEENS9_8equal_toIvEEfEE10hipError_tPvRmT2_T3_T4_T5_mT6_T7_P12ihipStream_tbENKUlT_T0_E_clISt17integral_constantIbLb0EES11_EEDaSW_SX_EUlSW_E_NS1_11comp_targetILNS1_3genE8ELNS1_11target_archE1030ELNS1_3gpuE2ELNS1_3repE0EEENS1_30default_config_static_selectorELNS0_4arch9wavefront6targetE0EEEvT1_.num_named_barrier, 0
	.set _ZN7rocprim17ROCPRIM_400000_NS6detail17trampoline_kernelINS0_14default_configENS1_27scan_by_key_config_selectorIifEEZZNS1_16scan_by_key_implILNS1_25lookback_scan_determinismE0ELb1ES3_N6thrust23THRUST_200600_302600_NS6detail15normal_iteratorINS9_10device_ptrIiEEEENSB_INSC_IfEEEESG_fNS9_4plusIvEENS9_8equal_toIvEEfEE10hipError_tPvRmT2_T3_T4_T5_mT6_T7_P12ihipStream_tbENKUlT_T0_E_clISt17integral_constantIbLb0EES11_EEDaSW_SX_EUlSW_E_NS1_11comp_targetILNS1_3genE8ELNS1_11target_archE1030ELNS1_3gpuE2ELNS1_3repE0EEENS1_30default_config_static_selectorELNS0_4arch9wavefront6targetE0EEEvT1_.private_seg_size, 0
	.set _ZN7rocprim17ROCPRIM_400000_NS6detail17trampoline_kernelINS0_14default_configENS1_27scan_by_key_config_selectorIifEEZZNS1_16scan_by_key_implILNS1_25lookback_scan_determinismE0ELb1ES3_N6thrust23THRUST_200600_302600_NS6detail15normal_iteratorINS9_10device_ptrIiEEEENSB_INSC_IfEEEESG_fNS9_4plusIvEENS9_8equal_toIvEEfEE10hipError_tPvRmT2_T3_T4_T5_mT6_T7_P12ihipStream_tbENKUlT_T0_E_clISt17integral_constantIbLb0EES11_EEDaSW_SX_EUlSW_E_NS1_11comp_targetILNS1_3genE8ELNS1_11target_archE1030ELNS1_3gpuE2ELNS1_3repE0EEENS1_30default_config_static_selectorELNS0_4arch9wavefront6targetE0EEEvT1_.uses_vcc, 0
	.set _ZN7rocprim17ROCPRIM_400000_NS6detail17trampoline_kernelINS0_14default_configENS1_27scan_by_key_config_selectorIifEEZZNS1_16scan_by_key_implILNS1_25lookback_scan_determinismE0ELb1ES3_N6thrust23THRUST_200600_302600_NS6detail15normal_iteratorINS9_10device_ptrIiEEEENSB_INSC_IfEEEESG_fNS9_4plusIvEENS9_8equal_toIvEEfEE10hipError_tPvRmT2_T3_T4_T5_mT6_T7_P12ihipStream_tbENKUlT_T0_E_clISt17integral_constantIbLb0EES11_EEDaSW_SX_EUlSW_E_NS1_11comp_targetILNS1_3genE8ELNS1_11target_archE1030ELNS1_3gpuE2ELNS1_3repE0EEENS1_30default_config_static_selectorELNS0_4arch9wavefront6targetE0EEEvT1_.uses_flat_scratch, 0
	.set _ZN7rocprim17ROCPRIM_400000_NS6detail17trampoline_kernelINS0_14default_configENS1_27scan_by_key_config_selectorIifEEZZNS1_16scan_by_key_implILNS1_25lookback_scan_determinismE0ELb1ES3_N6thrust23THRUST_200600_302600_NS6detail15normal_iteratorINS9_10device_ptrIiEEEENSB_INSC_IfEEEESG_fNS9_4plusIvEENS9_8equal_toIvEEfEE10hipError_tPvRmT2_T3_T4_T5_mT6_T7_P12ihipStream_tbENKUlT_T0_E_clISt17integral_constantIbLb0EES11_EEDaSW_SX_EUlSW_E_NS1_11comp_targetILNS1_3genE8ELNS1_11target_archE1030ELNS1_3gpuE2ELNS1_3repE0EEENS1_30default_config_static_selectorELNS0_4arch9wavefront6targetE0EEEvT1_.has_dyn_sized_stack, 0
	.set _ZN7rocprim17ROCPRIM_400000_NS6detail17trampoline_kernelINS0_14default_configENS1_27scan_by_key_config_selectorIifEEZZNS1_16scan_by_key_implILNS1_25lookback_scan_determinismE0ELb1ES3_N6thrust23THRUST_200600_302600_NS6detail15normal_iteratorINS9_10device_ptrIiEEEENSB_INSC_IfEEEESG_fNS9_4plusIvEENS9_8equal_toIvEEfEE10hipError_tPvRmT2_T3_T4_T5_mT6_T7_P12ihipStream_tbENKUlT_T0_E_clISt17integral_constantIbLb0EES11_EEDaSW_SX_EUlSW_E_NS1_11comp_targetILNS1_3genE8ELNS1_11target_archE1030ELNS1_3gpuE2ELNS1_3repE0EEENS1_30default_config_static_selectorELNS0_4arch9wavefront6targetE0EEEvT1_.has_recursion, 0
	.set _ZN7rocprim17ROCPRIM_400000_NS6detail17trampoline_kernelINS0_14default_configENS1_27scan_by_key_config_selectorIifEEZZNS1_16scan_by_key_implILNS1_25lookback_scan_determinismE0ELb1ES3_N6thrust23THRUST_200600_302600_NS6detail15normal_iteratorINS9_10device_ptrIiEEEENSB_INSC_IfEEEESG_fNS9_4plusIvEENS9_8equal_toIvEEfEE10hipError_tPvRmT2_T3_T4_T5_mT6_T7_P12ihipStream_tbENKUlT_T0_E_clISt17integral_constantIbLb0EES11_EEDaSW_SX_EUlSW_E_NS1_11comp_targetILNS1_3genE8ELNS1_11target_archE1030ELNS1_3gpuE2ELNS1_3repE0EEENS1_30default_config_static_selectorELNS0_4arch9wavefront6targetE0EEEvT1_.has_indirect_call, 0
	.section	.AMDGPU.csdata,"",@progbits
; Kernel info:
; codeLenInByte = 0
; TotalNumSgprs: 0
; NumVgprs: 0
; ScratchSize: 0
; MemoryBound: 0
; FloatMode: 240
; IeeeMode: 1
; LDSByteSize: 0 bytes/workgroup (compile time only)
; SGPRBlocks: 0
; VGPRBlocks: 0
; NumSGPRsForWavesPerEU: 1
; NumVGPRsForWavesPerEU: 1
; NamedBarCnt: 0
; Occupancy: 16
; WaveLimiterHint : 0
; COMPUTE_PGM_RSRC2:SCRATCH_EN: 0
; COMPUTE_PGM_RSRC2:USER_SGPR: 2
; COMPUTE_PGM_RSRC2:TRAP_HANDLER: 0
; COMPUTE_PGM_RSRC2:TGID_X_EN: 1
; COMPUTE_PGM_RSRC2:TGID_Y_EN: 0
; COMPUTE_PGM_RSRC2:TGID_Z_EN: 0
; COMPUTE_PGM_RSRC2:TIDIG_COMP_CNT: 0
	.section	.text._ZN7rocprim17ROCPRIM_400000_NS6detail17trampoline_kernelINS0_14default_configENS1_27scan_by_key_config_selectorIifEEZZNS1_16scan_by_key_implILNS1_25lookback_scan_determinismE0ELb1ES3_N6thrust23THRUST_200600_302600_NS6detail15normal_iteratorINS9_10device_ptrIiEEEENSB_INSC_IfEEEESG_fNS9_4plusIvEENS9_8equal_toIvEEfEE10hipError_tPvRmT2_T3_T4_T5_mT6_T7_P12ihipStream_tbENKUlT_T0_E_clISt17integral_constantIbLb1EES11_EEDaSW_SX_EUlSW_E_NS1_11comp_targetILNS1_3genE0ELNS1_11target_archE4294967295ELNS1_3gpuE0ELNS1_3repE0EEENS1_30default_config_static_selectorELNS0_4arch9wavefront6targetE0EEEvT1_,"axG",@progbits,_ZN7rocprim17ROCPRIM_400000_NS6detail17trampoline_kernelINS0_14default_configENS1_27scan_by_key_config_selectorIifEEZZNS1_16scan_by_key_implILNS1_25lookback_scan_determinismE0ELb1ES3_N6thrust23THRUST_200600_302600_NS6detail15normal_iteratorINS9_10device_ptrIiEEEENSB_INSC_IfEEEESG_fNS9_4plusIvEENS9_8equal_toIvEEfEE10hipError_tPvRmT2_T3_T4_T5_mT6_T7_P12ihipStream_tbENKUlT_T0_E_clISt17integral_constantIbLb1EES11_EEDaSW_SX_EUlSW_E_NS1_11comp_targetILNS1_3genE0ELNS1_11target_archE4294967295ELNS1_3gpuE0ELNS1_3repE0EEENS1_30default_config_static_selectorELNS0_4arch9wavefront6targetE0EEEvT1_,comdat
	.protected	_ZN7rocprim17ROCPRIM_400000_NS6detail17trampoline_kernelINS0_14default_configENS1_27scan_by_key_config_selectorIifEEZZNS1_16scan_by_key_implILNS1_25lookback_scan_determinismE0ELb1ES3_N6thrust23THRUST_200600_302600_NS6detail15normal_iteratorINS9_10device_ptrIiEEEENSB_INSC_IfEEEESG_fNS9_4plusIvEENS9_8equal_toIvEEfEE10hipError_tPvRmT2_T3_T4_T5_mT6_T7_P12ihipStream_tbENKUlT_T0_E_clISt17integral_constantIbLb1EES11_EEDaSW_SX_EUlSW_E_NS1_11comp_targetILNS1_3genE0ELNS1_11target_archE4294967295ELNS1_3gpuE0ELNS1_3repE0EEENS1_30default_config_static_selectorELNS0_4arch9wavefront6targetE0EEEvT1_ ; -- Begin function _ZN7rocprim17ROCPRIM_400000_NS6detail17trampoline_kernelINS0_14default_configENS1_27scan_by_key_config_selectorIifEEZZNS1_16scan_by_key_implILNS1_25lookback_scan_determinismE0ELb1ES3_N6thrust23THRUST_200600_302600_NS6detail15normal_iteratorINS9_10device_ptrIiEEEENSB_INSC_IfEEEESG_fNS9_4plusIvEENS9_8equal_toIvEEfEE10hipError_tPvRmT2_T3_T4_T5_mT6_T7_P12ihipStream_tbENKUlT_T0_E_clISt17integral_constantIbLb1EES11_EEDaSW_SX_EUlSW_E_NS1_11comp_targetILNS1_3genE0ELNS1_11target_archE4294967295ELNS1_3gpuE0ELNS1_3repE0EEENS1_30default_config_static_selectorELNS0_4arch9wavefront6targetE0EEEvT1_
	.globl	_ZN7rocprim17ROCPRIM_400000_NS6detail17trampoline_kernelINS0_14default_configENS1_27scan_by_key_config_selectorIifEEZZNS1_16scan_by_key_implILNS1_25lookback_scan_determinismE0ELb1ES3_N6thrust23THRUST_200600_302600_NS6detail15normal_iteratorINS9_10device_ptrIiEEEENSB_INSC_IfEEEESG_fNS9_4plusIvEENS9_8equal_toIvEEfEE10hipError_tPvRmT2_T3_T4_T5_mT6_T7_P12ihipStream_tbENKUlT_T0_E_clISt17integral_constantIbLb1EES11_EEDaSW_SX_EUlSW_E_NS1_11comp_targetILNS1_3genE0ELNS1_11target_archE4294967295ELNS1_3gpuE0ELNS1_3repE0EEENS1_30default_config_static_selectorELNS0_4arch9wavefront6targetE0EEEvT1_
	.p2align	8
	.type	_ZN7rocprim17ROCPRIM_400000_NS6detail17trampoline_kernelINS0_14default_configENS1_27scan_by_key_config_selectorIifEEZZNS1_16scan_by_key_implILNS1_25lookback_scan_determinismE0ELb1ES3_N6thrust23THRUST_200600_302600_NS6detail15normal_iteratorINS9_10device_ptrIiEEEENSB_INSC_IfEEEESG_fNS9_4plusIvEENS9_8equal_toIvEEfEE10hipError_tPvRmT2_T3_T4_T5_mT6_T7_P12ihipStream_tbENKUlT_T0_E_clISt17integral_constantIbLb1EES11_EEDaSW_SX_EUlSW_E_NS1_11comp_targetILNS1_3genE0ELNS1_11target_archE4294967295ELNS1_3gpuE0ELNS1_3repE0EEENS1_30default_config_static_selectorELNS0_4arch9wavefront6targetE0EEEvT1_,@function
_ZN7rocprim17ROCPRIM_400000_NS6detail17trampoline_kernelINS0_14default_configENS1_27scan_by_key_config_selectorIifEEZZNS1_16scan_by_key_implILNS1_25lookback_scan_determinismE0ELb1ES3_N6thrust23THRUST_200600_302600_NS6detail15normal_iteratorINS9_10device_ptrIiEEEENSB_INSC_IfEEEESG_fNS9_4plusIvEENS9_8equal_toIvEEfEE10hipError_tPvRmT2_T3_T4_T5_mT6_T7_P12ihipStream_tbENKUlT_T0_E_clISt17integral_constantIbLb1EES11_EEDaSW_SX_EUlSW_E_NS1_11comp_targetILNS1_3genE0ELNS1_11target_archE4294967295ELNS1_3gpuE0ELNS1_3repE0EEENS1_30default_config_static_selectorELNS0_4arch9wavefront6targetE0EEEvT1_: ; @_ZN7rocprim17ROCPRIM_400000_NS6detail17trampoline_kernelINS0_14default_configENS1_27scan_by_key_config_selectorIifEEZZNS1_16scan_by_key_implILNS1_25lookback_scan_determinismE0ELb1ES3_N6thrust23THRUST_200600_302600_NS6detail15normal_iteratorINS9_10device_ptrIiEEEENSB_INSC_IfEEEESG_fNS9_4plusIvEENS9_8equal_toIvEEfEE10hipError_tPvRmT2_T3_T4_T5_mT6_T7_P12ihipStream_tbENKUlT_T0_E_clISt17integral_constantIbLb1EES11_EEDaSW_SX_EUlSW_E_NS1_11comp_targetILNS1_3genE0ELNS1_11target_archE4294967295ELNS1_3gpuE0ELNS1_3repE0EEENS1_30default_config_static_selectorELNS0_4arch9wavefront6targetE0EEEvT1_
; %bb.0:
	s_endpgm
	.section	.rodata,"a",@progbits
	.p2align	6, 0x0
	.amdhsa_kernel _ZN7rocprim17ROCPRIM_400000_NS6detail17trampoline_kernelINS0_14default_configENS1_27scan_by_key_config_selectorIifEEZZNS1_16scan_by_key_implILNS1_25lookback_scan_determinismE0ELb1ES3_N6thrust23THRUST_200600_302600_NS6detail15normal_iteratorINS9_10device_ptrIiEEEENSB_INSC_IfEEEESG_fNS9_4plusIvEENS9_8equal_toIvEEfEE10hipError_tPvRmT2_T3_T4_T5_mT6_T7_P12ihipStream_tbENKUlT_T0_E_clISt17integral_constantIbLb1EES11_EEDaSW_SX_EUlSW_E_NS1_11comp_targetILNS1_3genE0ELNS1_11target_archE4294967295ELNS1_3gpuE0ELNS1_3repE0EEENS1_30default_config_static_selectorELNS0_4arch9wavefront6targetE0EEEvT1_
		.amdhsa_group_segment_fixed_size 0
		.amdhsa_private_segment_fixed_size 0
		.amdhsa_kernarg_size 112
		.amdhsa_user_sgpr_count 2
		.amdhsa_user_sgpr_dispatch_ptr 0
		.amdhsa_user_sgpr_queue_ptr 0
		.amdhsa_user_sgpr_kernarg_segment_ptr 1
		.amdhsa_user_sgpr_dispatch_id 0
		.amdhsa_user_sgpr_kernarg_preload_length 0
		.amdhsa_user_sgpr_kernarg_preload_offset 0
		.amdhsa_user_sgpr_private_segment_size 0
		.amdhsa_wavefront_size32 1
		.amdhsa_uses_dynamic_stack 0
		.amdhsa_enable_private_segment 0
		.amdhsa_system_sgpr_workgroup_id_x 1
		.amdhsa_system_sgpr_workgroup_id_y 0
		.amdhsa_system_sgpr_workgroup_id_z 0
		.amdhsa_system_sgpr_workgroup_info 0
		.amdhsa_system_vgpr_workitem_id 0
		.amdhsa_next_free_vgpr 1
		.amdhsa_next_free_sgpr 1
		.amdhsa_named_barrier_count 0
		.amdhsa_reserve_vcc 0
		.amdhsa_float_round_mode_32 0
		.amdhsa_float_round_mode_16_64 0
		.amdhsa_float_denorm_mode_32 3
		.amdhsa_float_denorm_mode_16_64 3
		.amdhsa_fp16_overflow 0
		.amdhsa_memory_ordered 1
		.amdhsa_forward_progress 1
		.amdhsa_inst_pref_size 1
		.amdhsa_round_robin_scheduling 0
		.amdhsa_exception_fp_ieee_invalid_op 0
		.amdhsa_exception_fp_denorm_src 0
		.amdhsa_exception_fp_ieee_div_zero 0
		.amdhsa_exception_fp_ieee_overflow 0
		.amdhsa_exception_fp_ieee_underflow 0
		.amdhsa_exception_fp_ieee_inexact 0
		.amdhsa_exception_int_div_zero 0
	.end_amdhsa_kernel
	.section	.text._ZN7rocprim17ROCPRIM_400000_NS6detail17trampoline_kernelINS0_14default_configENS1_27scan_by_key_config_selectorIifEEZZNS1_16scan_by_key_implILNS1_25lookback_scan_determinismE0ELb1ES3_N6thrust23THRUST_200600_302600_NS6detail15normal_iteratorINS9_10device_ptrIiEEEENSB_INSC_IfEEEESG_fNS9_4plusIvEENS9_8equal_toIvEEfEE10hipError_tPvRmT2_T3_T4_T5_mT6_T7_P12ihipStream_tbENKUlT_T0_E_clISt17integral_constantIbLb1EES11_EEDaSW_SX_EUlSW_E_NS1_11comp_targetILNS1_3genE0ELNS1_11target_archE4294967295ELNS1_3gpuE0ELNS1_3repE0EEENS1_30default_config_static_selectorELNS0_4arch9wavefront6targetE0EEEvT1_,"axG",@progbits,_ZN7rocprim17ROCPRIM_400000_NS6detail17trampoline_kernelINS0_14default_configENS1_27scan_by_key_config_selectorIifEEZZNS1_16scan_by_key_implILNS1_25lookback_scan_determinismE0ELb1ES3_N6thrust23THRUST_200600_302600_NS6detail15normal_iteratorINS9_10device_ptrIiEEEENSB_INSC_IfEEEESG_fNS9_4plusIvEENS9_8equal_toIvEEfEE10hipError_tPvRmT2_T3_T4_T5_mT6_T7_P12ihipStream_tbENKUlT_T0_E_clISt17integral_constantIbLb1EES11_EEDaSW_SX_EUlSW_E_NS1_11comp_targetILNS1_3genE0ELNS1_11target_archE4294967295ELNS1_3gpuE0ELNS1_3repE0EEENS1_30default_config_static_selectorELNS0_4arch9wavefront6targetE0EEEvT1_,comdat
.Lfunc_end1436:
	.size	_ZN7rocprim17ROCPRIM_400000_NS6detail17trampoline_kernelINS0_14default_configENS1_27scan_by_key_config_selectorIifEEZZNS1_16scan_by_key_implILNS1_25lookback_scan_determinismE0ELb1ES3_N6thrust23THRUST_200600_302600_NS6detail15normal_iteratorINS9_10device_ptrIiEEEENSB_INSC_IfEEEESG_fNS9_4plusIvEENS9_8equal_toIvEEfEE10hipError_tPvRmT2_T3_T4_T5_mT6_T7_P12ihipStream_tbENKUlT_T0_E_clISt17integral_constantIbLb1EES11_EEDaSW_SX_EUlSW_E_NS1_11comp_targetILNS1_3genE0ELNS1_11target_archE4294967295ELNS1_3gpuE0ELNS1_3repE0EEENS1_30default_config_static_selectorELNS0_4arch9wavefront6targetE0EEEvT1_, .Lfunc_end1436-_ZN7rocprim17ROCPRIM_400000_NS6detail17trampoline_kernelINS0_14default_configENS1_27scan_by_key_config_selectorIifEEZZNS1_16scan_by_key_implILNS1_25lookback_scan_determinismE0ELb1ES3_N6thrust23THRUST_200600_302600_NS6detail15normal_iteratorINS9_10device_ptrIiEEEENSB_INSC_IfEEEESG_fNS9_4plusIvEENS9_8equal_toIvEEfEE10hipError_tPvRmT2_T3_T4_T5_mT6_T7_P12ihipStream_tbENKUlT_T0_E_clISt17integral_constantIbLb1EES11_EEDaSW_SX_EUlSW_E_NS1_11comp_targetILNS1_3genE0ELNS1_11target_archE4294967295ELNS1_3gpuE0ELNS1_3repE0EEENS1_30default_config_static_selectorELNS0_4arch9wavefront6targetE0EEEvT1_
                                        ; -- End function
	.set _ZN7rocprim17ROCPRIM_400000_NS6detail17trampoline_kernelINS0_14default_configENS1_27scan_by_key_config_selectorIifEEZZNS1_16scan_by_key_implILNS1_25lookback_scan_determinismE0ELb1ES3_N6thrust23THRUST_200600_302600_NS6detail15normal_iteratorINS9_10device_ptrIiEEEENSB_INSC_IfEEEESG_fNS9_4plusIvEENS9_8equal_toIvEEfEE10hipError_tPvRmT2_T3_T4_T5_mT6_T7_P12ihipStream_tbENKUlT_T0_E_clISt17integral_constantIbLb1EES11_EEDaSW_SX_EUlSW_E_NS1_11comp_targetILNS1_3genE0ELNS1_11target_archE4294967295ELNS1_3gpuE0ELNS1_3repE0EEENS1_30default_config_static_selectorELNS0_4arch9wavefront6targetE0EEEvT1_.num_vgpr, 0
	.set _ZN7rocprim17ROCPRIM_400000_NS6detail17trampoline_kernelINS0_14default_configENS1_27scan_by_key_config_selectorIifEEZZNS1_16scan_by_key_implILNS1_25lookback_scan_determinismE0ELb1ES3_N6thrust23THRUST_200600_302600_NS6detail15normal_iteratorINS9_10device_ptrIiEEEENSB_INSC_IfEEEESG_fNS9_4plusIvEENS9_8equal_toIvEEfEE10hipError_tPvRmT2_T3_T4_T5_mT6_T7_P12ihipStream_tbENKUlT_T0_E_clISt17integral_constantIbLb1EES11_EEDaSW_SX_EUlSW_E_NS1_11comp_targetILNS1_3genE0ELNS1_11target_archE4294967295ELNS1_3gpuE0ELNS1_3repE0EEENS1_30default_config_static_selectorELNS0_4arch9wavefront6targetE0EEEvT1_.num_agpr, 0
	.set _ZN7rocprim17ROCPRIM_400000_NS6detail17trampoline_kernelINS0_14default_configENS1_27scan_by_key_config_selectorIifEEZZNS1_16scan_by_key_implILNS1_25lookback_scan_determinismE0ELb1ES3_N6thrust23THRUST_200600_302600_NS6detail15normal_iteratorINS9_10device_ptrIiEEEENSB_INSC_IfEEEESG_fNS9_4plusIvEENS9_8equal_toIvEEfEE10hipError_tPvRmT2_T3_T4_T5_mT6_T7_P12ihipStream_tbENKUlT_T0_E_clISt17integral_constantIbLb1EES11_EEDaSW_SX_EUlSW_E_NS1_11comp_targetILNS1_3genE0ELNS1_11target_archE4294967295ELNS1_3gpuE0ELNS1_3repE0EEENS1_30default_config_static_selectorELNS0_4arch9wavefront6targetE0EEEvT1_.numbered_sgpr, 0
	.set _ZN7rocprim17ROCPRIM_400000_NS6detail17trampoline_kernelINS0_14default_configENS1_27scan_by_key_config_selectorIifEEZZNS1_16scan_by_key_implILNS1_25lookback_scan_determinismE0ELb1ES3_N6thrust23THRUST_200600_302600_NS6detail15normal_iteratorINS9_10device_ptrIiEEEENSB_INSC_IfEEEESG_fNS9_4plusIvEENS9_8equal_toIvEEfEE10hipError_tPvRmT2_T3_T4_T5_mT6_T7_P12ihipStream_tbENKUlT_T0_E_clISt17integral_constantIbLb1EES11_EEDaSW_SX_EUlSW_E_NS1_11comp_targetILNS1_3genE0ELNS1_11target_archE4294967295ELNS1_3gpuE0ELNS1_3repE0EEENS1_30default_config_static_selectorELNS0_4arch9wavefront6targetE0EEEvT1_.num_named_barrier, 0
	.set _ZN7rocprim17ROCPRIM_400000_NS6detail17trampoline_kernelINS0_14default_configENS1_27scan_by_key_config_selectorIifEEZZNS1_16scan_by_key_implILNS1_25lookback_scan_determinismE0ELb1ES3_N6thrust23THRUST_200600_302600_NS6detail15normal_iteratorINS9_10device_ptrIiEEEENSB_INSC_IfEEEESG_fNS9_4plusIvEENS9_8equal_toIvEEfEE10hipError_tPvRmT2_T3_T4_T5_mT6_T7_P12ihipStream_tbENKUlT_T0_E_clISt17integral_constantIbLb1EES11_EEDaSW_SX_EUlSW_E_NS1_11comp_targetILNS1_3genE0ELNS1_11target_archE4294967295ELNS1_3gpuE0ELNS1_3repE0EEENS1_30default_config_static_selectorELNS0_4arch9wavefront6targetE0EEEvT1_.private_seg_size, 0
	.set _ZN7rocprim17ROCPRIM_400000_NS6detail17trampoline_kernelINS0_14default_configENS1_27scan_by_key_config_selectorIifEEZZNS1_16scan_by_key_implILNS1_25lookback_scan_determinismE0ELb1ES3_N6thrust23THRUST_200600_302600_NS6detail15normal_iteratorINS9_10device_ptrIiEEEENSB_INSC_IfEEEESG_fNS9_4plusIvEENS9_8equal_toIvEEfEE10hipError_tPvRmT2_T3_T4_T5_mT6_T7_P12ihipStream_tbENKUlT_T0_E_clISt17integral_constantIbLb1EES11_EEDaSW_SX_EUlSW_E_NS1_11comp_targetILNS1_3genE0ELNS1_11target_archE4294967295ELNS1_3gpuE0ELNS1_3repE0EEENS1_30default_config_static_selectorELNS0_4arch9wavefront6targetE0EEEvT1_.uses_vcc, 0
	.set _ZN7rocprim17ROCPRIM_400000_NS6detail17trampoline_kernelINS0_14default_configENS1_27scan_by_key_config_selectorIifEEZZNS1_16scan_by_key_implILNS1_25lookback_scan_determinismE0ELb1ES3_N6thrust23THRUST_200600_302600_NS6detail15normal_iteratorINS9_10device_ptrIiEEEENSB_INSC_IfEEEESG_fNS9_4plusIvEENS9_8equal_toIvEEfEE10hipError_tPvRmT2_T3_T4_T5_mT6_T7_P12ihipStream_tbENKUlT_T0_E_clISt17integral_constantIbLb1EES11_EEDaSW_SX_EUlSW_E_NS1_11comp_targetILNS1_3genE0ELNS1_11target_archE4294967295ELNS1_3gpuE0ELNS1_3repE0EEENS1_30default_config_static_selectorELNS0_4arch9wavefront6targetE0EEEvT1_.uses_flat_scratch, 0
	.set _ZN7rocprim17ROCPRIM_400000_NS6detail17trampoline_kernelINS0_14default_configENS1_27scan_by_key_config_selectorIifEEZZNS1_16scan_by_key_implILNS1_25lookback_scan_determinismE0ELb1ES3_N6thrust23THRUST_200600_302600_NS6detail15normal_iteratorINS9_10device_ptrIiEEEENSB_INSC_IfEEEESG_fNS9_4plusIvEENS9_8equal_toIvEEfEE10hipError_tPvRmT2_T3_T4_T5_mT6_T7_P12ihipStream_tbENKUlT_T0_E_clISt17integral_constantIbLb1EES11_EEDaSW_SX_EUlSW_E_NS1_11comp_targetILNS1_3genE0ELNS1_11target_archE4294967295ELNS1_3gpuE0ELNS1_3repE0EEENS1_30default_config_static_selectorELNS0_4arch9wavefront6targetE0EEEvT1_.has_dyn_sized_stack, 0
	.set _ZN7rocprim17ROCPRIM_400000_NS6detail17trampoline_kernelINS0_14default_configENS1_27scan_by_key_config_selectorIifEEZZNS1_16scan_by_key_implILNS1_25lookback_scan_determinismE0ELb1ES3_N6thrust23THRUST_200600_302600_NS6detail15normal_iteratorINS9_10device_ptrIiEEEENSB_INSC_IfEEEESG_fNS9_4plusIvEENS9_8equal_toIvEEfEE10hipError_tPvRmT2_T3_T4_T5_mT6_T7_P12ihipStream_tbENKUlT_T0_E_clISt17integral_constantIbLb1EES11_EEDaSW_SX_EUlSW_E_NS1_11comp_targetILNS1_3genE0ELNS1_11target_archE4294967295ELNS1_3gpuE0ELNS1_3repE0EEENS1_30default_config_static_selectorELNS0_4arch9wavefront6targetE0EEEvT1_.has_recursion, 0
	.set _ZN7rocprim17ROCPRIM_400000_NS6detail17trampoline_kernelINS0_14default_configENS1_27scan_by_key_config_selectorIifEEZZNS1_16scan_by_key_implILNS1_25lookback_scan_determinismE0ELb1ES3_N6thrust23THRUST_200600_302600_NS6detail15normal_iteratorINS9_10device_ptrIiEEEENSB_INSC_IfEEEESG_fNS9_4plusIvEENS9_8equal_toIvEEfEE10hipError_tPvRmT2_T3_T4_T5_mT6_T7_P12ihipStream_tbENKUlT_T0_E_clISt17integral_constantIbLb1EES11_EEDaSW_SX_EUlSW_E_NS1_11comp_targetILNS1_3genE0ELNS1_11target_archE4294967295ELNS1_3gpuE0ELNS1_3repE0EEENS1_30default_config_static_selectorELNS0_4arch9wavefront6targetE0EEEvT1_.has_indirect_call, 0
	.section	.AMDGPU.csdata,"",@progbits
; Kernel info:
; codeLenInByte = 4
; TotalNumSgprs: 0
; NumVgprs: 0
; ScratchSize: 0
; MemoryBound: 0
; FloatMode: 240
; IeeeMode: 1
; LDSByteSize: 0 bytes/workgroup (compile time only)
; SGPRBlocks: 0
; VGPRBlocks: 0
; NumSGPRsForWavesPerEU: 1
; NumVGPRsForWavesPerEU: 1
; NamedBarCnt: 0
; Occupancy: 16
; WaveLimiterHint : 0
; COMPUTE_PGM_RSRC2:SCRATCH_EN: 0
; COMPUTE_PGM_RSRC2:USER_SGPR: 2
; COMPUTE_PGM_RSRC2:TRAP_HANDLER: 0
; COMPUTE_PGM_RSRC2:TGID_X_EN: 1
; COMPUTE_PGM_RSRC2:TGID_Y_EN: 0
; COMPUTE_PGM_RSRC2:TGID_Z_EN: 0
; COMPUTE_PGM_RSRC2:TIDIG_COMP_CNT: 0
	.section	.text._ZN7rocprim17ROCPRIM_400000_NS6detail17trampoline_kernelINS0_14default_configENS1_27scan_by_key_config_selectorIifEEZZNS1_16scan_by_key_implILNS1_25lookback_scan_determinismE0ELb1ES3_N6thrust23THRUST_200600_302600_NS6detail15normal_iteratorINS9_10device_ptrIiEEEENSB_INSC_IfEEEESG_fNS9_4plusIvEENS9_8equal_toIvEEfEE10hipError_tPvRmT2_T3_T4_T5_mT6_T7_P12ihipStream_tbENKUlT_T0_E_clISt17integral_constantIbLb1EES11_EEDaSW_SX_EUlSW_E_NS1_11comp_targetILNS1_3genE10ELNS1_11target_archE1201ELNS1_3gpuE5ELNS1_3repE0EEENS1_30default_config_static_selectorELNS0_4arch9wavefront6targetE0EEEvT1_,"axG",@progbits,_ZN7rocprim17ROCPRIM_400000_NS6detail17trampoline_kernelINS0_14default_configENS1_27scan_by_key_config_selectorIifEEZZNS1_16scan_by_key_implILNS1_25lookback_scan_determinismE0ELb1ES3_N6thrust23THRUST_200600_302600_NS6detail15normal_iteratorINS9_10device_ptrIiEEEENSB_INSC_IfEEEESG_fNS9_4plusIvEENS9_8equal_toIvEEfEE10hipError_tPvRmT2_T3_T4_T5_mT6_T7_P12ihipStream_tbENKUlT_T0_E_clISt17integral_constantIbLb1EES11_EEDaSW_SX_EUlSW_E_NS1_11comp_targetILNS1_3genE10ELNS1_11target_archE1201ELNS1_3gpuE5ELNS1_3repE0EEENS1_30default_config_static_selectorELNS0_4arch9wavefront6targetE0EEEvT1_,comdat
	.protected	_ZN7rocprim17ROCPRIM_400000_NS6detail17trampoline_kernelINS0_14default_configENS1_27scan_by_key_config_selectorIifEEZZNS1_16scan_by_key_implILNS1_25lookback_scan_determinismE0ELb1ES3_N6thrust23THRUST_200600_302600_NS6detail15normal_iteratorINS9_10device_ptrIiEEEENSB_INSC_IfEEEESG_fNS9_4plusIvEENS9_8equal_toIvEEfEE10hipError_tPvRmT2_T3_T4_T5_mT6_T7_P12ihipStream_tbENKUlT_T0_E_clISt17integral_constantIbLb1EES11_EEDaSW_SX_EUlSW_E_NS1_11comp_targetILNS1_3genE10ELNS1_11target_archE1201ELNS1_3gpuE5ELNS1_3repE0EEENS1_30default_config_static_selectorELNS0_4arch9wavefront6targetE0EEEvT1_ ; -- Begin function _ZN7rocprim17ROCPRIM_400000_NS6detail17trampoline_kernelINS0_14default_configENS1_27scan_by_key_config_selectorIifEEZZNS1_16scan_by_key_implILNS1_25lookback_scan_determinismE0ELb1ES3_N6thrust23THRUST_200600_302600_NS6detail15normal_iteratorINS9_10device_ptrIiEEEENSB_INSC_IfEEEESG_fNS9_4plusIvEENS9_8equal_toIvEEfEE10hipError_tPvRmT2_T3_T4_T5_mT6_T7_P12ihipStream_tbENKUlT_T0_E_clISt17integral_constantIbLb1EES11_EEDaSW_SX_EUlSW_E_NS1_11comp_targetILNS1_3genE10ELNS1_11target_archE1201ELNS1_3gpuE5ELNS1_3repE0EEENS1_30default_config_static_selectorELNS0_4arch9wavefront6targetE0EEEvT1_
	.globl	_ZN7rocprim17ROCPRIM_400000_NS6detail17trampoline_kernelINS0_14default_configENS1_27scan_by_key_config_selectorIifEEZZNS1_16scan_by_key_implILNS1_25lookback_scan_determinismE0ELb1ES3_N6thrust23THRUST_200600_302600_NS6detail15normal_iteratorINS9_10device_ptrIiEEEENSB_INSC_IfEEEESG_fNS9_4plusIvEENS9_8equal_toIvEEfEE10hipError_tPvRmT2_T3_T4_T5_mT6_T7_P12ihipStream_tbENKUlT_T0_E_clISt17integral_constantIbLb1EES11_EEDaSW_SX_EUlSW_E_NS1_11comp_targetILNS1_3genE10ELNS1_11target_archE1201ELNS1_3gpuE5ELNS1_3repE0EEENS1_30default_config_static_selectorELNS0_4arch9wavefront6targetE0EEEvT1_
	.p2align	8
	.type	_ZN7rocprim17ROCPRIM_400000_NS6detail17trampoline_kernelINS0_14default_configENS1_27scan_by_key_config_selectorIifEEZZNS1_16scan_by_key_implILNS1_25lookback_scan_determinismE0ELb1ES3_N6thrust23THRUST_200600_302600_NS6detail15normal_iteratorINS9_10device_ptrIiEEEENSB_INSC_IfEEEESG_fNS9_4plusIvEENS9_8equal_toIvEEfEE10hipError_tPvRmT2_T3_T4_T5_mT6_T7_P12ihipStream_tbENKUlT_T0_E_clISt17integral_constantIbLb1EES11_EEDaSW_SX_EUlSW_E_NS1_11comp_targetILNS1_3genE10ELNS1_11target_archE1201ELNS1_3gpuE5ELNS1_3repE0EEENS1_30default_config_static_selectorELNS0_4arch9wavefront6targetE0EEEvT1_,@function
_ZN7rocprim17ROCPRIM_400000_NS6detail17trampoline_kernelINS0_14default_configENS1_27scan_by_key_config_selectorIifEEZZNS1_16scan_by_key_implILNS1_25lookback_scan_determinismE0ELb1ES3_N6thrust23THRUST_200600_302600_NS6detail15normal_iteratorINS9_10device_ptrIiEEEENSB_INSC_IfEEEESG_fNS9_4plusIvEENS9_8equal_toIvEEfEE10hipError_tPvRmT2_T3_T4_T5_mT6_T7_P12ihipStream_tbENKUlT_T0_E_clISt17integral_constantIbLb1EES11_EEDaSW_SX_EUlSW_E_NS1_11comp_targetILNS1_3genE10ELNS1_11target_archE1201ELNS1_3gpuE5ELNS1_3repE0EEENS1_30default_config_static_selectorELNS0_4arch9wavefront6targetE0EEEvT1_: ; @_ZN7rocprim17ROCPRIM_400000_NS6detail17trampoline_kernelINS0_14default_configENS1_27scan_by_key_config_selectorIifEEZZNS1_16scan_by_key_implILNS1_25lookback_scan_determinismE0ELb1ES3_N6thrust23THRUST_200600_302600_NS6detail15normal_iteratorINS9_10device_ptrIiEEEENSB_INSC_IfEEEESG_fNS9_4plusIvEENS9_8equal_toIvEEfEE10hipError_tPvRmT2_T3_T4_T5_mT6_T7_P12ihipStream_tbENKUlT_T0_E_clISt17integral_constantIbLb1EES11_EEDaSW_SX_EUlSW_E_NS1_11comp_targetILNS1_3genE10ELNS1_11target_archE1201ELNS1_3gpuE5ELNS1_3repE0EEENS1_30default_config_static_selectorELNS0_4arch9wavefront6targetE0EEEvT1_
; %bb.0:
	.section	.rodata,"a",@progbits
	.p2align	6, 0x0
	.amdhsa_kernel _ZN7rocprim17ROCPRIM_400000_NS6detail17trampoline_kernelINS0_14default_configENS1_27scan_by_key_config_selectorIifEEZZNS1_16scan_by_key_implILNS1_25lookback_scan_determinismE0ELb1ES3_N6thrust23THRUST_200600_302600_NS6detail15normal_iteratorINS9_10device_ptrIiEEEENSB_INSC_IfEEEESG_fNS9_4plusIvEENS9_8equal_toIvEEfEE10hipError_tPvRmT2_T3_T4_T5_mT6_T7_P12ihipStream_tbENKUlT_T0_E_clISt17integral_constantIbLb1EES11_EEDaSW_SX_EUlSW_E_NS1_11comp_targetILNS1_3genE10ELNS1_11target_archE1201ELNS1_3gpuE5ELNS1_3repE0EEENS1_30default_config_static_selectorELNS0_4arch9wavefront6targetE0EEEvT1_
		.amdhsa_group_segment_fixed_size 0
		.amdhsa_private_segment_fixed_size 0
		.amdhsa_kernarg_size 112
		.amdhsa_user_sgpr_count 2
		.amdhsa_user_sgpr_dispatch_ptr 0
		.amdhsa_user_sgpr_queue_ptr 0
		.amdhsa_user_sgpr_kernarg_segment_ptr 1
		.amdhsa_user_sgpr_dispatch_id 0
		.amdhsa_user_sgpr_kernarg_preload_length 0
		.amdhsa_user_sgpr_kernarg_preload_offset 0
		.amdhsa_user_sgpr_private_segment_size 0
		.amdhsa_wavefront_size32 1
		.amdhsa_uses_dynamic_stack 0
		.amdhsa_enable_private_segment 0
		.amdhsa_system_sgpr_workgroup_id_x 1
		.amdhsa_system_sgpr_workgroup_id_y 0
		.amdhsa_system_sgpr_workgroup_id_z 0
		.amdhsa_system_sgpr_workgroup_info 0
		.amdhsa_system_vgpr_workitem_id 0
		.amdhsa_next_free_vgpr 1
		.amdhsa_next_free_sgpr 1
		.amdhsa_named_barrier_count 0
		.amdhsa_reserve_vcc 0
		.amdhsa_float_round_mode_32 0
		.amdhsa_float_round_mode_16_64 0
		.amdhsa_float_denorm_mode_32 3
		.amdhsa_float_denorm_mode_16_64 3
		.amdhsa_fp16_overflow 0
		.amdhsa_memory_ordered 1
		.amdhsa_forward_progress 1
		.amdhsa_inst_pref_size 0
		.amdhsa_round_robin_scheduling 0
		.amdhsa_exception_fp_ieee_invalid_op 0
		.amdhsa_exception_fp_denorm_src 0
		.amdhsa_exception_fp_ieee_div_zero 0
		.amdhsa_exception_fp_ieee_overflow 0
		.amdhsa_exception_fp_ieee_underflow 0
		.amdhsa_exception_fp_ieee_inexact 0
		.amdhsa_exception_int_div_zero 0
	.end_amdhsa_kernel
	.section	.text._ZN7rocprim17ROCPRIM_400000_NS6detail17trampoline_kernelINS0_14default_configENS1_27scan_by_key_config_selectorIifEEZZNS1_16scan_by_key_implILNS1_25lookback_scan_determinismE0ELb1ES3_N6thrust23THRUST_200600_302600_NS6detail15normal_iteratorINS9_10device_ptrIiEEEENSB_INSC_IfEEEESG_fNS9_4plusIvEENS9_8equal_toIvEEfEE10hipError_tPvRmT2_T3_T4_T5_mT6_T7_P12ihipStream_tbENKUlT_T0_E_clISt17integral_constantIbLb1EES11_EEDaSW_SX_EUlSW_E_NS1_11comp_targetILNS1_3genE10ELNS1_11target_archE1201ELNS1_3gpuE5ELNS1_3repE0EEENS1_30default_config_static_selectorELNS0_4arch9wavefront6targetE0EEEvT1_,"axG",@progbits,_ZN7rocprim17ROCPRIM_400000_NS6detail17trampoline_kernelINS0_14default_configENS1_27scan_by_key_config_selectorIifEEZZNS1_16scan_by_key_implILNS1_25lookback_scan_determinismE0ELb1ES3_N6thrust23THRUST_200600_302600_NS6detail15normal_iteratorINS9_10device_ptrIiEEEENSB_INSC_IfEEEESG_fNS9_4plusIvEENS9_8equal_toIvEEfEE10hipError_tPvRmT2_T3_T4_T5_mT6_T7_P12ihipStream_tbENKUlT_T0_E_clISt17integral_constantIbLb1EES11_EEDaSW_SX_EUlSW_E_NS1_11comp_targetILNS1_3genE10ELNS1_11target_archE1201ELNS1_3gpuE5ELNS1_3repE0EEENS1_30default_config_static_selectorELNS0_4arch9wavefront6targetE0EEEvT1_,comdat
.Lfunc_end1437:
	.size	_ZN7rocprim17ROCPRIM_400000_NS6detail17trampoline_kernelINS0_14default_configENS1_27scan_by_key_config_selectorIifEEZZNS1_16scan_by_key_implILNS1_25lookback_scan_determinismE0ELb1ES3_N6thrust23THRUST_200600_302600_NS6detail15normal_iteratorINS9_10device_ptrIiEEEENSB_INSC_IfEEEESG_fNS9_4plusIvEENS9_8equal_toIvEEfEE10hipError_tPvRmT2_T3_T4_T5_mT6_T7_P12ihipStream_tbENKUlT_T0_E_clISt17integral_constantIbLb1EES11_EEDaSW_SX_EUlSW_E_NS1_11comp_targetILNS1_3genE10ELNS1_11target_archE1201ELNS1_3gpuE5ELNS1_3repE0EEENS1_30default_config_static_selectorELNS0_4arch9wavefront6targetE0EEEvT1_, .Lfunc_end1437-_ZN7rocprim17ROCPRIM_400000_NS6detail17trampoline_kernelINS0_14default_configENS1_27scan_by_key_config_selectorIifEEZZNS1_16scan_by_key_implILNS1_25lookback_scan_determinismE0ELb1ES3_N6thrust23THRUST_200600_302600_NS6detail15normal_iteratorINS9_10device_ptrIiEEEENSB_INSC_IfEEEESG_fNS9_4plusIvEENS9_8equal_toIvEEfEE10hipError_tPvRmT2_T3_T4_T5_mT6_T7_P12ihipStream_tbENKUlT_T0_E_clISt17integral_constantIbLb1EES11_EEDaSW_SX_EUlSW_E_NS1_11comp_targetILNS1_3genE10ELNS1_11target_archE1201ELNS1_3gpuE5ELNS1_3repE0EEENS1_30default_config_static_selectorELNS0_4arch9wavefront6targetE0EEEvT1_
                                        ; -- End function
	.set _ZN7rocprim17ROCPRIM_400000_NS6detail17trampoline_kernelINS0_14default_configENS1_27scan_by_key_config_selectorIifEEZZNS1_16scan_by_key_implILNS1_25lookback_scan_determinismE0ELb1ES3_N6thrust23THRUST_200600_302600_NS6detail15normal_iteratorINS9_10device_ptrIiEEEENSB_INSC_IfEEEESG_fNS9_4plusIvEENS9_8equal_toIvEEfEE10hipError_tPvRmT2_T3_T4_T5_mT6_T7_P12ihipStream_tbENKUlT_T0_E_clISt17integral_constantIbLb1EES11_EEDaSW_SX_EUlSW_E_NS1_11comp_targetILNS1_3genE10ELNS1_11target_archE1201ELNS1_3gpuE5ELNS1_3repE0EEENS1_30default_config_static_selectorELNS0_4arch9wavefront6targetE0EEEvT1_.num_vgpr, 0
	.set _ZN7rocprim17ROCPRIM_400000_NS6detail17trampoline_kernelINS0_14default_configENS1_27scan_by_key_config_selectorIifEEZZNS1_16scan_by_key_implILNS1_25lookback_scan_determinismE0ELb1ES3_N6thrust23THRUST_200600_302600_NS6detail15normal_iteratorINS9_10device_ptrIiEEEENSB_INSC_IfEEEESG_fNS9_4plusIvEENS9_8equal_toIvEEfEE10hipError_tPvRmT2_T3_T4_T5_mT6_T7_P12ihipStream_tbENKUlT_T0_E_clISt17integral_constantIbLb1EES11_EEDaSW_SX_EUlSW_E_NS1_11comp_targetILNS1_3genE10ELNS1_11target_archE1201ELNS1_3gpuE5ELNS1_3repE0EEENS1_30default_config_static_selectorELNS0_4arch9wavefront6targetE0EEEvT1_.num_agpr, 0
	.set _ZN7rocprim17ROCPRIM_400000_NS6detail17trampoline_kernelINS0_14default_configENS1_27scan_by_key_config_selectorIifEEZZNS1_16scan_by_key_implILNS1_25lookback_scan_determinismE0ELb1ES3_N6thrust23THRUST_200600_302600_NS6detail15normal_iteratorINS9_10device_ptrIiEEEENSB_INSC_IfEEEESG_fNS9_4plusIvEENS9_8equal_toIvEEfEE10hipError_tPvRmT2_T3_T4_T5_mT6_T7_P12ihipStream_tbENKUlT_T0_E_clISt17integral_constantIbLb1EES11_EEDaSW_SX_EUlSW_E_NS1_11comp_targetILNS1_3genE10ELNS1_11target_archE1201ELNS1_3gpuE5ELNS1_3repE0EEENS1_30default_config_static_selectorELNS0_4arch9wavefront6targetE0EEEvT1_.numbered_sgpr, 0
	.set _ZN7rocprim17ROCPRIM_400000_NS6detail17trampoline_kernelINS0_14default_configENS1_27scan_by_key_config_selectorIifEEZZNS1_16scan_by_key_implILNS1_25lookback_scan_determinismE0ELb1ES3_N6thrust23THRUST_200600_302600_NS6detail15normal_iteratorINS9_10device_ptrIiEEEENSB_INSC_IfEEEESG_fNS9_4plusIvEENS9_8equal_toIvEEfEE10hipError_tPvRmT2_T3_T4_T5_mT6_T7_P12ihipStream_tbENKUlT_T0_E_clISt17integral_constantIbLb1EES11_EEDaSW_SX_EUlSW_E_NS1_11comp_targetILNS1_3genE10ELNS1_11target_archE1201ELNS1_3gpuE5ELNS1_3repE0EEENS1_30default_config_static_selectorELNS0_4arch9wavefront6targetE0EEEvT1_.num_named_barrier, 0
	.set _ZN7rocprim17ROCPRIM_400000_NS6detail17trampoline_kernelINS0_14default_configENS1_27scan_by_key_config_selectorIifEEZZNS1_16scan_by_key_implILNS1_25lookback_scan_determinismE0ELb1ES3_N6thrust23THRUST_200600_302600_NS6detail15normal_iteratorINS9_10device_ptrIiEEEENSB_INSC_IfEEEESG_fNS9_4plusIvEENS9_8equal_toIvEEfEE10hipError_tPvRmT2_T3_T4_T5_mT6_T7_P12ihipStream_tbENKUlT_T0_E_clISt17integral_constantIbLb1EES11_EEDaSW_SX_EUlSW_E_NS1_11comp_targetILNS1_3genE10ELNS1_11target_archE1201ELNS1_3gpuE5ELNS1_3repE0EEENS1_30default_config_static_selectorELNS0_4arch9wavefront6targetE0EEEvT1_.private_seg_size, 0
	.set _ZN7rocprim17ROCPRIM_400000_NS6detail17trampoline_kernelINS0_14default_configENS1_27scan_by_key_config_selectorIifEEZZNS1_16scan_by_key_implILNS1_25lookback_scan_determinismE0ELb1ES3_N6thrust23THRUST_200600_302600_NS6detail15normal_iteratorINS9_10device_ptrIiEEEENSB_INSC_IfEEEESG_fNS9_4plusIvEENS9_8equal_toIvEEfEE10hipError_tPvRmT2_T3_T4_T5_mT6_T7_P12ihipStream_tbENKUlT_T0_E_clISt17integral_constantIbLb1EES11_EEDaSW_SX_EUlSW_E_NS1_11comp_targetILNS1_3genE10ELNS1_11target_archE1201ELNS1_3gpuE5ELNS1_3repE0EEENS1_30default_config_static_selectorELNS0_4arch9wavefront6targetE0EEEvT1_.uses_vcc, 0
	.set _ZN7rocprim17ROCPRIM_400000_NS6detail17trampoline_kernelINS0_14default_configENS1_27scan_by_key_config_selectorIifEEZZNS1_16scan_by_key_implILNS1_25lookback_scan_determinismE0ELb1ES3_N6thrust23THRUST_200600_302600_NS6detail15normal_iteratorINS9_10device_ptrIiEEEENSB_INSC_IfEEEESG_fNS9_4plusIvEENS9_8equal_toIvEEfEE10hipError_tPvRmT2_T3_T4_T5_mT6_T7_P12ihipStream_tbENKUlT_T0_E_clISt17integral_constantIbLb1EES11_EEDaSW_SX_EUlSW_E_NS1_11comp_targetILNS1_3genE10ELNS1_11target_archE1201ELNS1_3gpuE5ELNS1_3repE0EEENS1_30default_config_static_selectorELNS0_4arch9wavefront6targetE0EEEvT1_.uses_flat_scratch, 0
	.set _ZN7rocprim17ROCPRIM_400000_NS6detail17trampoline_kernelINS0_14default_configENS1_27scan_by_key_config_selectorIifEEZZNS1_16scan_by_key_implILNS1_25lookback_scan_determinismE0ELb1ES3_N6thrust23THRUST_200600_302600_NS6detail15normal_iteratorINS9_10device_ptrIiEEEENSB_INSC_IfEEEESG_fNS9_4plusIvEENS9_8equal_toIvEEfEE10hipError_tPvRmT2_T3_T4_T5_mT6_T7_P12ihipStream_tbENKUlT_T0_E_clISt17integral_constantIbLb1EES11_EEDaSW_SX_EUlSW_E_NS1_11comp_targetILNS1_3genE10ELNS1_11target_archE1201ELNS1_3gpuE5ELNS1_3repE0EEENS1_30default_config_static_selectorELNS0_4arch9wavefront6targetE0EEEvT1_.has_dyn_sized_stack, 0
	.set _ZN7rocprim17ROCPRIM_400000_NS6detail17trampoline_kernelINS0_14default_configENS1_27scan_by_key_config_selectorIifEEZZNS1_16scan_by_key_implILNS1_25lookback_scan_determinismE0ELb1ES3_N6thrust23THRUST_200600_302600_NS6detail15normal_iteratorINS9_10device_ptrIiEEEENSB_INSC_IfEEEESG_fNS9_4plusIvEENS9_8equal_toIvEEfEE10hipError_tPvRmT2_T3_T4_T5_mT6_T7_P12ihipStream_tbENKUlT_T0_E_clISt17integral_constantIbLb1EES11_EEDaSW_SX_EUlSW_E_NS1_11comp_targetILNS1_3genE10ELNS1_11target_archE1201ELNS1_3gpuE5ELNS1_3repE0EEENS1_30default_config_static_selectorELNS0_4arch9wavefront6targetE0EEEvT1_.has_recursion, 0
	.set _ZN7rocprim17ROCPRIM_400000_NS6detail17trampoline_kernelINS0_14default_configENS1_27scan_by_key_config_selectorIifEEZZNS1_16scan_by_key_implILNS1_25lookback_scan_determinismE0ELb1ES3_N6thrust23THRUST_200600_302600_NS6detail15normal_iteratorINS9_10device_ptrIiEEEENSB_INSC_IfEEEESG_fNS9_4plusIvEENS9_8equal_toIvEEfEE10hipError_tPvRmT2_T3_T4_T5_mT6_T7_P12ihipStream_tbENKUlT_T0_E_clISt17integral_constantIbLb1EES11_EEDaSW_SX_EUlSW_E_NS1_11comp_targetILNS1_3genE10ELNS1_11target_archE1201ELNS1_3gpuE5ELNS1_3repE0EEENS1_30default_config_static_selectorELNS0_4arch9wavefront6targetE0EEEvT1_.has_indirect_call, 0
	.section	.AMDGPU.csdata,"",@progbits
; Kernel info:
; codeLenInByte = 0
; TotalNumSgprs: 0
; NumVgprs: 0
; ScratchSize: 0
; MemoryBound: 0
; FloatMode: 240
; IeeeMode: 1
; LDSByteSize: 0 bytes/workgroup (compile time only)
; SGPRBlocks: 0
; VGPRBlocks: 0
; NumSGPRsForWavesPerEU: 1
; NumVGPRsForWavesPerEU: 1
; NamedBarCnt: 0
; Occupancy: 16
; WaveLimiterHint : 0
; COMPUTE_PGM_RSRC2:SCRATCH_EN: 0
; COMPUTE_PGM_RSRC2:USER_SGPR: 2
; COMPUTE_PGM_RSRC2:TRAP_HANDLER: 0
; COMPUTE_PGM_RSRC2:TGID_X_EN: 1
; COMPUTE_PGM_RSRC2:TGID_Y_EN: 0
; COMPUTE_PGM_RSRC2:TGID_Z_EN: 0
; COMPUTE_PGM_RSRC2:TIDIG_COMP_CNT: 0
	.section	.text._ZN7rocprim17ROCPRIM_400000_NS6detail17trampoline_kernelINS0_14default_configENS1_27scan_by_key_config_selectorIifEEZZNS1_16scan_by_key_implILNS1_25lookback_scan_determinismE0ELb1ES3_N6thrust23THRUST_200600_302600_NS6detail15normal_iteratorINS9_10device_ptrIiEEEENSB_INSC_IfEEEESG_fNS9_4plusIvEENS9_8equal_toIvEEfEE10hipError_tPvRmT2_T3_T4_T5_mT6_T7_P12ihipStream_tbENKUlT_T0_E_clISt17integral_constantIbLb1EES11_EEDaSW_SX_EUlSW_E_NS1_11comp_targetILNS1_3genE5ELNS1_11target_archE942ELNS1_3gpuE9ELNS1_3repE0EEENS1_30default_config_static_selectorELNS0_4arch9wavefront6targetE0EEEvT1_,"axG",@progbits,_ZN7rocprim17ROCPRIM_400000_NS6detail17trampoline_kernelINS0_14default_configENS1_27scan_by_key_config_selectorIifEEZZNS1_16scan_by_key_implILNS1_25lookback_scan_determinismE0ELb1ES3_N6thrust23THRUST_200600_302600_NS6detail15normal_iteratorINS9_10device_ptrIiEEEENSB_INSC_IfEEEESG_fNS9_4plusIvEENS9_8equal_toIvEEfEE10hipError_tPvRmT2_T3_T4_T5_mT6_T7_P12ihipStream_tbENKUlT_T0_E_clISt17integral_constantIbLb1EES11_EEDaSW_SX_EUlSW_E_NS1_11comp_targetILNS1_3genE5ELNS1_11target_archE942ELNS1_3gpuE9ELNS1_3repE0EEENS1_30default_config_static_selectorELNS0_4arch9wavefront6targetE0EEEvT1_,comdat
	.protected	_ZN7rocprim17ROCPRIM_400000_NS6detail17trampoline_kernelINS0_14default_configENS1_27scan_by_key_config_selectorIifEEZZNS1_16scan_by_key_implILNS1_25lookback_scan_determinismE0ELb1ES3_N6thrust23THRUST_200600_302600_NS6detail15normal_iteratorINS9_10device_ptrIiEEEENSB_INSC_IfEEEESG_fNS9_4plusIvEENS9_8equal_toIvEEfEE10hipError_tPvRmT2_T3_T4_T5_mT6_T7_P12ihipStream_tbENKUlT_T0_E_clISt17integral_constantIbLb1EES11_EEDaSW_SX_EUlSW_E_NS1_11comp_targetILNS1_3genE5ELNS1_11target_archE942ELNS1_3gpuE9ELNS1_3repE0EEENS1_30default_config_static_selectorELNS0_4arch9wavefront6targetE0EEEvT1_ ; -- Begin function _ZN7rocprim17ROCPRIM_400000_NS6detail17trampoline_kernelINS0_14default_configENS1_27scan_by_key_config_selectorIifEEZZNS1_16scan_by_key_implILNS1_25lookback_scan_determinismE0ELb1ES3_N6thrust23THRUST_200600_302600_NS6detail15normal_iteratorINS9_10device_ptrIiEEEENSB_INSC_IfEEEESG_fNS9_4plusIvEENS9_8equal_toIvEEfEE10hipError_tPvRmT2_T3_T4_T5_mT6_T7_P12ihipStream_tbENKUlT_T0_E_clISt17integral_constantIbLb1EES11_EEDaSW_SX_EUlSW_E_NS1_11comp_targetILNS1_3genE5ELNS1_11target_archE942ELNS1_3gpuE9ELNS1_3repE0EEENS1_30default_config_static_selectorELNS0_4arch9wavefront6targetE0EEEvT1_
	.globl	_ZN7rocprim17ROCPRIM_400000_NS6detail17trampoline_kernelINS0_14default_configENS1_27scan_by_key_config_selectorIifEEZZNS1_16scan_by_key_implILNS1_25lookback_scan_determinismE0ELb1ES3_N6thrust23THRUST_200600_302600_NS6detail15normal_iteratorINS9_10device_ptrIiEEEENSB_INSC_IfEEEESG_fNS9_4plusIvEENS9_8equal_toIvEEfEE10hipError_tPvRmT2_T3_T4_T5_mT6_T7_P12ihipStream_tbENKUlT_T0_E_clISt17integral_constantIbLb1EES11_EEDaSW_SX_EUlSW_E_NS1_11comp_targetILNS1_3genE5ELNS1_11target_archE942ELNS1_3gpuE9ELNS1_3repE0EEENS1_30default_config_static_selectorELNS0_4arch9wavefront6targetE0EEEvT1_
	.p2align	8
	.type	_ZN7rocprim17ROCPRIM_400000_NS6detail17trampoline_kernelINS0_14default_configENS1_27scan_by_key_config_selectorIifEEZZNS1_16scan_by_key_implILNS1_25lookback_scan_determinismE0ELb1ES3_N6thrust23THRUST_200600_302600_NS6detail15normal_iteratorINS9_10device_ptrIiEEEENSB_INSC_IfEEEESG_fNS9_4plusIvEENS9_8equal_toIvEEfEE10hipError_tPvRmT2_T3_T4_T5_mT6_T7_P12ihipStream_tbENKUlT_T0_E_clISt17integral_constantIbLb1EES11_EEDaSW_SX_EUlSW_E_NS1_11comp_targetILNS1_3genE5ELNS1_11target_archE942ELNS1_3gpuE9ELNS1_3repE0EEENS1_30default_config_static_selectorELNS0_4arch9wavefront6targetE0EEEvT1_,@function
_ZN7rocprim17ROCPRIM_400000_NS6detail17trampoline_kernelINS0_14default_configENS1_27scan_by_key_config_selectorIifEEZZNS1_16scan_by_key_implILNS1_25lookback_scan_determinismE0ELb1ES3_N6thrust23THRUST_200600_302600_NS6detail15normal_iteratorINS9_10device_ptrIiEEEENSB_INSC_IfEEEESG_fNS9_4plusIvEENS9_8equal_toIvEEfEE10hipError_tPvRmT2_T3_T4_T5_mT6_T7_P12ihipStream_tbENKUlT_T0_E_clISt17integral_constantIbLb1EES11_EEDaSW_SX_EUlSW_E_NS1_11comp_targetILNS1_3genE5ELNS1_11target_archE942ELNS1_3gpuE9ELNS1_3repE0EEENS1_30default_config_static_selectorELNS0_4arch9wavefront6targetE0EEEvT1_: ; @_ZN7rocprim17ROCPRIM_400000_NS6detail17trampoline_kernelINS0_14default_configENS1_27scan_by_key_config_selectorIifEEZZNS1_16scan_by_key_implILNS1_25lookback_scan_determinismE0ELb1ES3_N6thrust23THRUST_200600_302600_NS6detail15normal_iteratorINS9_10device_ptrIiEEEENSB_INSC_IfEEEESG_fNS9_4plusIvEENS9_8equal_toIvEEfEE10hipError_tPvRmT2_T3_T4_T5_mT6_T7_P12ihipStream_tbENKUlT_T0_E_clISt17integral_constantIbLb1EES11_EEDaSW_SX_EUlSW_E_NS1_11comp_targetILNS1_3genE5ELNS1_11target_archE942ELNS1_3gpuE9ELNS1_3repE0EEENS1_30default_config_static_selectorELNS0_4arch9wavefront6targetE0EEEvT1_
; %bb.0:
	.section	.rodata,"a",@progbits
	.p2align	6, 0x0
	.amdhsa_kernel _ZN7rocprim17ROCPRIM_400000_NS6detail17trampoline_kernelINS0_14default_configENS1_27scan_by_key_config_selectorIifEEZZNS1_16scan_by_key_implILNS1_25lookback_scan_determinismE0ELb1ES3_N6thrust23THRUST_200600_302600_NS6detail15normal_iteratorINS9_10device_ptrIiEEEENSB_INSC_IfEEEESG_fNS9_4plusIvEENS9_8equal_toIvEEfEE10hipError_tPvRmT2_T3_T4_T5_mT6_T7_P12ihipStream_tbENKUlT_T0_E_clISt17integral_constantIbLb1EES11_EEDaSW_SX_EUlSW_E_NS1_11comp_targetILNS1_3genE5ELNS1_11target_archE942ELNS1_3gpuE9ELNS1_3repE0EEENS1_30default_config_static_selectorELNS0_4arch9wavefront6targetE0EEEvT1_
		.amdhsa_group_segment_fixed_size 0
		.amdhsa_private_segment_fixed_size 0
		.amdhsa_kernarg_size 112
		.amdhsa_user_sgpr_count 2
		.amdhsa_user_sgpr_dispatch_ptr 0
		.amdhsa_user_sgpr_queue_ptr 0
		.amdhsa_user_sgpr_kernarg_segment_ptr 1
		.amdhsa_user_sgpr_dispatch_id 0
		.amdhsa_user_sgpr_kernarg_preload_length 0
		.amdhsa_user_sgpr_kernarg_preload_offset 0
		.amdhsa_user_sgpr_private_segment_size 0
		.amdhsa_wavefront_size32 1
		.amdhsa_uses_dynamic_stack 0
		.amdhsa_enable_private_segment 0
		.amdhsa_system_sgpr_workgroup_id_x 1
		.amdhsa_system_sgpr_workgroup_id_y 0
		.amdhsa_system_sgpr_workgroup_id_z 0
		.amdhsa_system_sgpr_workgroup_info 0
		.amdhsa_system_vgpr_workitem_id 0
		.amdhsa_next_free_vgpr 1
		.amdhsa_next_free_sgpr 1
		.amdhsa_named_barrier_count 0
		.amdhsa_reserve_vcc 0
		.amdhsa_float_round_mode_32 0
		.amdhsa_float_round_mode_16_64 0
		.amdhsa_float_denorm_mode_32 3
		.amdhsa_float_denorm_mode_16_64 3
		.amdhsa_fp16_overflow 0
		.amdhsa_memory_ordered 1
		.amdhsa_forward_progress 1
		.amdhsa_inst_pref_size 0
		.amdhsa_round_robin_scheduling 0
		.amdhsa_exception_fp_ieee_invalid_op 0
		.amdhsa_exception_fp_denorm_src 0
		.amdhsa_exception_fp_ieee_div_zero 0
		.amdhsa_exception_fp_ieee_overflow 0
		.amdhsa_exception_fp_ieee_underflow 0
		.amdhsa_exception_fp_ieee_inexact 0
		.amdhsa_exception_int_div_zero 0
	.end_amdhsa_kernel
	.section	.text._ZN7rocprim17ROCPRIM_400000_NS6detail17trampoline_kernelINS0_14default_configENS1_27scan_by_key_config_selectorIifEEZZNS1_16scan_by_key_implILNS1_25lookback_scan_determinismE0ELb1ES3_N6thrust23THRUST_200600_302600_NS6detail15normal_iteratorINS9_10device_ptrIiEEEENSB_INSC_IfEEEESG_fNS9_4plusIvEENS9_8equal_toIvEEfEE10hipError_tPvRmT2_T3_T4_T5_mT6_T7_P12ihipStream_tbENKUlT_T0_E_clISt17integral_constantIbLb1EES11_EEDaSW_SX_EUlSW_E_NS1_11comp_targetILNS1_3genE5ELNS1_11target_archE942ELNS1_3gpuE9ELNS1_3repE0EEENS1_30default_config_static_selectorELNS0_4arch9wavefront6targetE0EEEvT1_,"axG",@progbits,_ZN7rocprim17ROCPRIM_400000_NS6detail17trampoline_kernelINS0_14default_configENS1_27scan_by_key_config_selectorIifEEZZNS1_16scan_by_key_implILNS1_25lookback_scan_determinismE0ELb1ES3_N6thrust23THRUST_200600_302600_NS6detail15normal_iteratorINS9_10device_ptrIiEEEENSB_INSC_IfEEEESG_fNS9_4plusIvEENS9_8equal_toIvEEfEE10hipError_tPvRmT2_T3_T4_T5_mT6_T7_P12ihipStream_tbENKUlT_T0_E_clISt17integral_constantIbLb1EES11_EEDaSW_SX_EUlSW_E_NS1_11comp_targetILNS1_3genE5ELNS1_11target_archE942ELNS1_3gpuE9ELNS1_3repE0EEENS1_30default_config_static_selectorELNS0_4arch9wavefront6targetE0EEEvT1_,comdat
.Lfunc_end1438:
	.size	_ZN7rocprim17ROCPRIM_400000_NS6detail17trampoline_kernelINS0_14default_configENS1_27scan_by_key_config_selectorIifEEZZNS1_16scan_by_key_implILNS1_25lookback_scan_determinismE0ELb1ES3_N6thrust23THRUST_200600_302600_NS6detail15normal_iteratorINS9_10device_ptrIiEEEENSB_INSC_IfEEEESG_fNS9_4plusIvEENS9_8equal_toIvEEfEE10hipError_tPvRmT2_T3_T4_T5_mT6_T7_P12ihipStream_tbENKUlT_T0_E_clISt17integral_constantIbLb1EES11_EEDaSW_SX_EUlSW_E_NS1_11comp_targetILNS1_3genE5ELNS1_11target_archE942ELNS1_3gpuE9ELNS1_3repE0EEENS1_30default_config_static_selectorELNS0_4arch9wavefront6targetE0EEEvT1_, .Lfunc_end1438-_ZN7rocprim17ROCPRIM_400000_NS6detail17trampoline_kernelINS0_14default_configENS1_27scan_by_key_config_selectorIifEEZZNS1_16scan_by_key_implILNS1_25lookback_scan_determinismE0ELb1ES3_N6thrust23THRUST_200600_302600_NS6detail15normal_iteratorINS9_10device_ptrIiEEEENSB_INSC_IfEEEESG_fNS9_4plusIvEENS9_8equal_toIvEEfEE10hipError_tPvRmT2_T3_T4_T5_mT6_T7_P12ihipStream_tbENKUlT_T0_E_clISt17integral_constantIbLb1EES11_EEDaSW_SX_EUlSW_E_NS1_11comp_targetILNS1_3genE5ELNS1_11target_archE942ELNS1_3gpuE9ELNS1_3repE0EEENS1_30default_config_static_selectorELNS0_4arch9wavefront6targetE0EEEvT1_
                                        ; -- End function
	.set _ZN7rocprim17ROCPRIM_400000_NS6detail17trampoline_kernelINS0_14default_configENS1_27scan_by_key_config_selectorIifEEZZNS1_16scan_by_key_implILNS1_25lookback_scan_determinismE0ELb1ES3_N6thrust23THRUST_200600_302600_NS6detail15normal_iteratorINS9_10device_ptrIiEEEENSB_INSC_IfEEEESG_fNS9_4plusIvEENS9_8equal_toIvEEfEE10hipError_tPvRmT2_T3_T4_T5_mT6_T7_P12ihipStream_tbENKUlT_T0_E_clISt17integral_constantIbLb1EES11_EEDaSW_SX_EUlSW_E_NS1_11comp_targetILNS1_3genE5ELNS1_11target_archE942ELNS1_3gpuE9ELNS1_3repE0EEENS1_30default_config_static_selectorELNS0_4arch9wavefront6targetE0EEEvT1_.num_vgpr, 0
	.set _ZN7rocprim17ROCPRIM_400000_NS6detail17trampoline_kernelINS0_14default_configENS1_27scan_by_key_config_selectorIifEEZZNS1_16scan_by_key_implILNS1_25lookback_scan_determinismE0ELb1ES3_N6thrust23THRUST_200600_302600_NS6detail15normal_iteratorINS9_10device_ptrIiEEEENSB_INSC_IfEEEESG_fNS9_4plusIvEENS9_8equal_toIvEEfEE10hipError_tPvRmT2_T3_T4_T5_mT6_T7_P12ihipStream_tbENKUlT_T0_E_clISt17integral_constantIbLb1EES11_EEDaSW_SX_EUlSW_E_NS1_11comp_targetILNS1_3genE5ELNS1_11target_archE942ELNS1_3gpuE9ELNS1_3repE0EEENS1_30default_config_static_selectorELNS0_4arch9wavefront6targetE0EEEvT1_.num_agpr, 0
	.set _ZN7rocprim17ROCPRIM_400000_NS6detail17trampoline_kernelINS0_14default_configENS1_27scan_by_key_config_selectorIifEEZZNS1_16scan_by_key_implILNS1_25lookback_scan_determinismE0ELb1ES3_N6thrust23THRUST_200600_302600_NS6detail15normal_iteratorINS9_10device_ptrIiEEEENSB_INSC_IfEEEESG_fNS9_4plusIvEENS9_8equal_toIvEEfEE10hipError_tPvRmT2_T3_T4_T5_mT6_T7_P12ihipStream_tbENKUlT_T0_E_clISt17integral_constantIbLb1EES11_EEDaSW_SX_EUlSW_E_NS1_11comp_targetILNS1_3genE5ELNS1_11target_archE942ELNS1_3gpuE9ELNS1_3repE0EEENS1_30default_config_static_selectorELNS0_4arch9wavefront6targetE0EEEvT1_.numbered_sgpr, 0
	.set _ZN7rocprim17ROCPRIM_400000_NS6detail17trampoline_kernelINS0_14default_configENS1_27scan_by_key_config_selectorIifEEZZNS1_16scan_by_key_implILNS1_25lookback_scan_determinismE0ELb1ES3_N6thrust23THRUST_200600_302600_NS6detail15normal_iteratorINS9_10device_ptrIiEEEENSB_INSC_IfEEEESG_fNS9_4plusIvEENS9_8equal_toIvEEfEE10hipError_tPvRmT2_T3_T4_T5_mT6_T7_P12ihipStream_tbENKUlT_T0_E_clISt17integral_constantIbLb1EES11_EEDaSW_SX_EUlSW_E_NS1_11comp_targetILNS1_3genE5ELNS1_11target_archE942ELNS1_3gpuE9ELNS1_3repE0EEENS1_30default_config_static_selectorELNS0_4arch9wavefront6targetE0EEEvT1_.num_named_barrier, 0
	.set _ZN7rocprim17ROCPRIM_400000_NS6detail17trampoline_kernelINS0_14default_configENS1_27scan_by_key_config_selectorIifEEZZNS1_16scan_by_key_implILNS1_25lookback_scan_determinismE0ELb1ES3_N6thrust23THRUST_200600_302600_NS6detail15normal_iteratorINS9_10device_ptrIiEEEENSB_INSC_IfEEEESG_fNS9_4plusIvEENS9_8equal_toIvEEfEE10hipError_tPvRmT2_T3_T4_T5_mT6_T7_P12ihipStream_tbENKUlT_T0_E_clISt17integral_constantIbLb1EES11_EEDaSW_SX_EUlSW_E_NS1_11comp_targetILNS1_3genE5ELNS1_11target_archE942ELNS1_3gpuE9ELNS1_3repE0EEENS1_30default_config_static_selectorELNS0_4arch9wavefront6targetE0EEEvT1_.private_seg_size, 0
	.set _ZN7rocprim17ROCPRIM_400000_NS6detail17trampoline_kernelINS0_14default_configENS1_27scan_by_key_config_selectorIifEEZZNS1_16scan_by_key_implILNS1_25lookback_scan_determinismE0ELb1ES3_N6thrust23THRUST_200600_302600_NS6detail15normal_iteratorINS9_10device_ptrIiEEEENSB_INSC_IfEEEESG_fNS9_4plusIvEENS9_8equal_toIvEEfEE10hipError_tPvRmT2_T3_T4_T5_mT6_T7_P12ihipStream_tbENKUlT_T0_E_clISt17integral_constantIbLb1EES11_EEDaSW_SX_EUlSW_E_NS1_11comp_targetILNS1_3genE5ELNS1_11target_archE942ELNS1_3gpuE9ELNS1_3repE0EEENS1_30default_config_static_selectorELNS0_4arch9wavefront6targetE0EEEvT1_.uses_vcc, 0
	.set _ZN7rocprim17ROCPRIM_400000_NS6detail17trampoline_kernelINS0_14default_configENS1_27scan_by_key_config_selectorIifEEZZNS1_16scan_by_key_implILNS1_25lookback_scan_determinismE0ELb1ES3_N6thrust23THRUST_200600_302600_NS6detail15normal_iteratorINS9_10device_ptrIiEEEENSB_INSC_IfEEEESG_fNS9_4plusIvEENS9_8equal_toIvEEfEE10hipError_tPvRmT2_T3_T4_T5_mT6_T7_P12ihipStream_tbENKUlT_T0_E_clISt17integral_constantIbLb1EES11_EEDaSW_SX_EUlSW_E_NS1_11comp_targetILNS1_3genE5ELNS1_11target_archE942ELNS1_3gpuE9ELNS1_3repE0EEENS1_30default_config_static_selectorELNS0_4arch9wavefront6targetE0EEEvT1_.uses_flat_scratch, 0
	.set _ZN7rocprim17ROCPRIM_400000_NS6detail17trampoline_kernelINS0_14default_configENS1_27scan_by_key_config_selectorIifEEZZNS1_16scan_by_key_implILNS1_25lookback_scan_determinismE0ELb1ES3_N6thrust23THRUST_200600_302600_NS6detail15normal_iteratorINS9_10device_ptrIiEEEENSB_INSC_IfEEEESG_fNS9_4plusIvEENS9_8equal_toIvEEfEE10hipError_tPvRmT2_T3_T4_T5_mT6_T7_P12ihipStream_tbENKUlT_T0_E_clISt17integral_constantIbLb1EES11_EEDaSW_SX_EUlSW_E_NS1_11comp_targetILNS1_3genE5ELNS1_11target_archE942ELNS1_3gpuE9ELNS1_3repE0EEENS1_30default_config_static_selectorELNS0_4arch9wavefront6targetE0EEEvT1_.has_dyn_sized_stack, 0
	.set _ZN7rocprim17ROCPRIM_400000_NS6detail17trampoline_kernelINS0_14default_configENS1_27scan_by_key_config_selectorIifEEZZNS1_16scan_by_key_implILNS1_25lookback_scan_determinismE0ELb1ES3_N6thrust23THRUST_200600_302600_NS6detail15normal_iteratorINS9_10device_ptrIiEEEENSB_INSC_IfEEEESG_fNS9_4plusIvEENS9_8equal_toIvEEfEE10hipError_tPvRmT2_T3_T4_T5_mT6_T7_P12ihipStream_tbENKUlT_T0_E_clISt17integral_constantIbLb1EES11_EEDaSW_SX_EUlSW_E_NS1_11comp_targetILNS1_3genE5ELNS1_11target_archE942ELNS1_3gpuE9ELNS1_3repE0EEENS1_30default_config_static_selectorELNS0_4arch9wavefront6targetE0EEEvT1_.has_recursion, 0
	.set _ZN7rocprim17ROCPRIM_400000_NS6detail17trampoline_kernelINS0_14default_configENS1_27scan_by_key_config_selectorIifEEZZNS1_16scan_by_key_implILNS1_25lookback_scan_determinismE0ELb1ES3_N6thrust23THRUST_200600_302600_NS6detail15normal_iteratorINS9_10device_ptrIiEEEENSB_INSC_IfEEEESG_fNS9_4plusIvEENS9_8equal_toIvEEfEE10hipError_tPvRmT2_T3_T4_T5_mT6_T7_P12ihipStream_tbENKUlT_T0_E_clISt17integral_constantIbLb1EES11_EEDaSW_SX_EUlSW_E_NS1_11comp_targetILNS1_3genE5ELNS1_11target_archE942ELNS1_3gpuE9ELNS1_3repE0EEENS1_30default_config_static_selectorELNS0_4arch9wavefront6targetE0EEEvT1_.has_indirect_call, 0
	.section	.AMDGPU.csdata,"",@progbits
; Kernel info:
; codeLenInByte = 0
; TotalNumSgprs: 0
; NumVgprs: 0
; ScratchSize: 0
; MemoryBound: 0
; FloatMode: 240
; IeeeMode: 1
; LDSByteSize: 0 bytes/workgroup (compile time only)
; SGPRBlocks: 0
; VGPRBlocks: 0
; NumSGPRsForWavesPerEU: 1
; NumVGPRsForWavesPerEU: 1
; NamedBarCnt: 0
; Occupancy: 16
; WaveLimiterHint : 0
; COMPUTE_PGM_RSRC2:SCRATCH_EN: 0
; COMPUTE_PGM_RSRC2:USER_SGPR: 2
; COMPUTE_PGM_RSRC2:TRAP_HANDLER: 0
; COMPUTE_PGM_RSRC2:TGID_X_EN: 1
; COMPUTE_PGM_RSRC2:TGID_Y_EN: 0
; COMPUTE_PGM_RSRC2:TGID_Z_EN: 0
; COMPUTE_PGM_RSRC2:TIDIG_COMP_CNT: 0
	.section	.text._ZN7rocprim17ROCPRIM_400000_NS6detail17trampoline_kernelINS0_14default_configENS1_27scan_by_key_config_selectorIifEEZZNS1_16scan_by_key_implILNS1_25lookback_scan_determinismE0ELb1ES3_N6thrust23THRUST_200600_302600_NS6detail15normal_iteratorINS9_10device_ptrIiEEEENSB_INSC_IfEEEESG_fNS9_4plusIvEENS9_8equal_toIvEEfEE10hipError_tPvRmT2_T3_T4_T5_mT6_T7_P12ihipStream_tbENKUlT_T0_E_clISt17integral_constantIbLb1EES11_EEDaSW_SX_EUlSW_E_NS1_11comp_targetILNS1_3genE4ELNS1_11target_archE910ELNS1_3gpuE8ELNS1_3repE0EEENS1_30default_config_static_selectorELNS0_4arch9wavefront6targetE0EEEvT1_,"axG",@progbits,_ZN7rocprim17ROCPRIM_400000_NS6detail17trampoline_kernelINS0_14default_configENS1_27scan_by_key_config_selectorIifEEZZNS1_16scan_by_key_implILNS1_25lookback_scan_determinismE0ELb1ES3_N6thrust23THRUST_200600_302600_NS6detail15normal_iteratorINS9_10device_ptrIiEEEENSB_INSC_IfEEEESG_fNS9_4plusIvEENS9_8equal_toIvEEfEE10hipError_tPvRmT2_T3_T4_T5_mT6_T7_P12ihipStream_tbENKUlT_T0_E_clISt17integral_constantIbLb1EES11_EEDaSW_SX_EUlSW_E_NS1_11comp_targetILNS1_3genE4ELNS1_11target_archE910ELNS1_3gpuE8ELNS1_3repE0EEENS1_30default_config_static_selectorELNS0_4arch9wavefront6targetE0EEEvT1_,comdat
	.protected	_ZN7rocprim17ROCPRIM_400000_NS6detail17trampoline_kernelINS0_14default_configENS1_27scan_by_key_config_selectorIifEEZZNS1_16scan_by_key_implILNS1_25lookback_scan_determinismE0ELb1ES3_N6thrust23THRUST_200600_302600_NS6detail15normal_iteratorINS9_10device_ptrIiEEEENSB_INSC_IfEEEESG_fNS9_4plusIvEENS9_8equal_toIvEEfEE10hipError_tPvRmT2_T3_T4_T5_mT6_T7_P12ihipStream_tbENKUlT_T0_E_clISt17integral_constantIbLb1EES11_EEDaSW_SX_EUlSW_E_NS1_11comp_targetILNS1_3genE4ELNS1_11target_archE910ELNS1_3gpuE8ELNS1_3repE0EEENS1_30default_config_static_selectorELNS0_4arch9wavefront6targetE0EEEvT1_ ; -- Begin function _ZN7rocprim17ROCPRIM_400000_NS6detail17trampoline_kernelINS0_14default_configENS1_27scan_by_key_config_selectorIifEEZZNS1_16scan_by_key_implILNS1_25lookback_scan_determinismE0ELb1ES3_N6thrust23THRUST_200600_302600_NS6detail15normal_iteratorINS9_10device_ptrIiEEEENSB_INSC_IfEEEESG_fNS9_4plusIvEENS9_8equal_toIvEEfEE10hipError_tPvRmT2_T3_T4_T5_mT6_T7_P12ihipStream_tbENKUlT_T0_E_clISt17integral_constantIbLb1EES11_EEDaSW_SX_EUlSW_E_NS1_11comp_targetILNS1_3genE4ELNS1_11target_archE910ELNS1_3gpuE8ELNS1_3repE0EEENS1_30default_config_static_selectorELNS0_4arch9wavefront6targetE0EEEvT1_
	.globl	_ZN7rocprim17ROCPRIM_400000_NS6detail17trampoline_kernelINS0_14default_configENS1_27scan_by_key_config_selectorIifEEZZNS1_16scan_by_key_implILNS1_25lookback_scan_determinismE0ELb1ES3_N6thrust23THRUST_200600_302600_NS6detail15normal_iteratorINS9_10device_ptrIiEEEENSB_INSC_IfEEEESG_fNS9_4plusIvEENS9_8equal_toIvEEfEE10hipError_tPvRmT2_T3_T4_T5_mT6_T7_P12ihipStream_tbENKUlT_T0_E_clISt17integral_constantIbLb1EES11_EEDaSW_SX_EUlSW_E_NS1_11comp_targetILNS1_3genE4ELNS1_11target_archE910ELNS1_3gpuE8ELNS1_3repE0EEENS1_30default_config_static_selectorELNS0_4arch9wavefront6targetE0EEEvT1_
	.p2align	8
	.type	_ZN7rocprim17ROCPRIM_400000_NS6detail17trampoline_kernelINS0_14default_configENS1_27scan_by_key_config_selectorIifEEZZNS1_16scan_by_key_implILNS1_25lookback_scan_determinismE0ELb1ES3_N6thrust23THRUST_200600_302600_NS6detail15normal_iteratorINS9_10device_ptrIiEEEENSB_INSC_IfEEEESG_fNS9_4plusIvEENS9_8equal_toIvEEfEE10hipError_tPvRmT2_T3_T4_T5_mT6_T7_P12ihipStream_tbENKUlT_T0_E_clISt17integral_constantIbLb1EES11_EEDaSW_SX_EUlSW_E_NS1_11comp_targetILNS1_3genE4ELNS1_11target_archE910ELNS1_3gpuE8ELNS1_3repE0EEENS1_30default_config_static_selectorELNS0_4arch9wavefront6targetE0EEEvT1_,@function
_ZN7rocprim17ROCPRIM_400000_NS6detail17trampoline_kernelINS0_14default_configENS1_27scan_by_key_config_selectorIifEEZZNS1_16scan_by_key_implILNS1_25lookback_scan_determinismE0ELb1ES3_N6thrust23THRUST_200600_302600_NS6detail15normal_iteratorINS9_10device_ptrIiEEEENSB_INSC_IfEEEESG_fNS9_4plusIvEENS9_8equal_toIvEEfEE10hipError_tPvRmT2_T3_T4_T5_mT6_T7_P12ihipStream_tbENKUlT_T0_E_clISt17integral_constantIbLb1EES11_EEDaSW_SX_EUlSW_E_NS1_11comp_targetILNS1_3genE4ELNS1_11target_archE910ELNS1_3gpuE8ELNS1_3repE0EEENS1_30default_config_static_selectorELNS0_4arch9wavefront6targetE0EEEvT1_: ; @_ZN7rocprim17ROCPRIM_400000_NS6detail17trampoline_kernelINS0_14default_configENS1_27scan_by_key_config_selectorIifEEZZNS1_16scan_by_key_implILNS1_25lookback_scan_determinismE0ELb1ES3_N6thrust23THRUST_200600_302600_NS6detail15normal_iteratorINS9_10device_ptrIiEEEENSB_INSC_IfEEEESG_fNS9_4plusIvEENS9_8equal_toIvEEfEE10hipError_tPvRmT2_T3_T4_T5_mT6_T7_P12ihipStream_tbENKUlT_T0_E_clISt17integral_constantIbLb1EES11_EEDaSW_SX_EUlSW_E_NS1_11comp_targetILNS1_3genE4ELNS1_11target_archE910ELNS1_3gpuE8ELNS1_3repE0EEENS1_30default_config_static_selectorELNS0_4arch9wavefront6targetE0EEEvT1_
; %bb.0:
	.section	.rodata,"a",@progbits
	.p2align	6, 0x0
	.amdhsa_kernel _ZN7rocprim17ROCPRIM_400000_NS6detail17trampoline_kernelINS0_14default_configENS1_27scan_by_key_config_selectorIifEEZZNS1_16scan_by_key_implILNS1_25lookback_scan_determinismE0ELb1ES3_N6thrust23THRUST_200600_302600_NS6detail15normal_iteratorINS9_10device_ptrIiEEEENSB_INSC_IfEEEESG_fNS9_4plusIvEENS9_8equal_toIvEEfEE10hipError_tPvRmT2_T3_T4_T5_mT6_T7_P12ihipStream_tbENKUlT_T0_E_clISt17integral_constantIbLb1EES11_EEDaSW_SX_EUlSW_E_NS1_11comp_targetILNS1_3genE4ELNS1_11target_archE910ELNS1_3gpuE8ELNS1_3repE0EEENS1_30default_config_static_selectorELNS0_4arch9wavefront6targetE0EEEvT1_
		.amdhsa_group_segment_fixed_size 0
		.amdhsa_private_segment_fixed_size 0
		.amdhsa_kernarg_size 112
		.amdhsa_user_sgpr_count 2
		.amdhsa_user_sgpr_dispatch_ptr 0
		.amdhsa_user_sgpr_queue_ptr 0
		.amdhsa_user_sgpr_kernarg_segment_ptr 1
		.amdhsa_user_sgpr_dispatch_id 0
		.amdhsa_user_sgpr_kernarg_preload_length 0
		.amdhsa_user_sgpr_kernarg_preload_offset 0
		.amdhsa_user_sgpr_private_segment_size 0
		.amdhsa_wavefront_size32 1
		.amdhsa_uses_dynamic_stack 0
		.amdhsa_enable_private_segment 0
		.amdhsa_system_sgpr_workgroup_id_x 1
		.amdhsa_system_sgpr_workgroup_id_y 0
		.amdhsa_system_sgpr_workgroup_id_z 0
		.amdhsa_system_sgpr_workgroup_info 0
		.amdhsa_system_vgpr_workitem_id 0
		.amdhsa_next_free_vgpr 1
		.amdhsa_next_free_sgpr 1
		.amdhsa_named_barrier_count 0
		.amdhsa_reserve_vcc 0
		.amdhsa_float_round_mode_32 0
		.amdhsa_float_round_mode_16_64 0
		.amdhsa_float_denorm_mode_32 3
		.amdhsa_float_denorm_mode_16_64 3
		.amdhsa_fp16_overflow 0
		.amdhsa_memory_ordered 1
		.amdhsa_forward_progress 1
		.amdhsa_inst_pref_size 0
		.amdhsa_round_robin_scheduling 0
		.amdhsa_exception_fp_ieee_invalid_op 0
		.amdhsa_exception_fp_denorm_src 0
		.amdhsa_exception_fp_ieee_div_zero 0
		.amdhsa_exception_fp_ieee_overflow 0
		.amdhsa_exception_fp_ieee_underflow 0
		.amdhsa_exception_fp_ieee_inexact 0
		.amdhsa_exception_int_div_zero 0
	.end_amdhsa_kernel
	.section	.text._ZN7rocprim17ROCPRIM_400000_NS6detail17trampoline_kernelINS0_14default_configENS1_27scan_by_key_config_selectorIifEEZZNS1_16scan_by_key_implILNS1_25lookback_scan_determinismE0ELb1ES3_N6thrust23THRUST_200600_302600_NS6detail15normal_iteratorINS9_10device_ptrIiEEEENSB_INSC_IfEEEESG_fNS9_4plusIvEENS9_8equal_toIvEEfEE10hipError_tPvRmT2_T3_T4_T5_mT6_T7_P12ihipStream_tbENKUlT_T0_E_clISt17integral_constantIbLb1EES11_EEDaSW_SX_EUlSW_E_NS1_11comp_targetILNS1_3genE4ELNS1_11target_archE910ELNS1_3gpuE8ELNS1_3repE0EEENS1_30default_config_static_selectorELNS0_4arch9wavefront6targetE0EEEvT1_,"axG",@progbits,_ZN7rocprim17ROCPRIM_400000_NS6detail17trampoline_kernelINS0_14default_configENS1_27scan_by_key_config_selectorIifEEZZNS1_16scan_by_key_implILNS1_25lookback_scan_determinismE0ELb1ES3_N6thrust23THRUST_200600_302600_NS6detail15normal_iteratorINS9_10device_ptrIiEEEENSB_INSC_IfEEEESG_fNS9_4plusIvEENS9_8equal_toIvEEfEE10hipError_tPvRmT2_T3_T4_T5_mT6_T7_P12ihipStream_tbENKUlT_T0_E_clISt17integral_constantIbLb1EES11_EEDaSW_SX_EUlSW_E_NS1_11comp_targetILNS1_3genE4ELNS1_11target_archE910ELNS1_3gpuE8ELNS1_3repE0EEENS1_30default_config_static_selectorELNS0_4arch9wavefront6targetE0EEEvT1_,comdat
.Lfunc_end1439:
	.size	_ZN7rocprim17ROCPRIM_400000_NS6detail17trampoline_kernelINS0_14default_configENS1_27scan_by_key_config_selectorIifEEZZNS1_16scan_by_key_implILNS1_25lookback_scan_determinismE0ELb1ES3_N6thrust23THRUST_200600_302600_NS6detail15normal_iteratorINS9_10device_ptrIiEEEENSB_INSC_IfEEEESG_fNS9_4plusIvEENS9_8equal_toIvEEfEE10hipError_tPvRmT2_T3_T4_T5_mT6_T7_P12ihipStream_tbENKUlT_T0_E_clISt17integral_constantIbLb1EES11_EEDaSW_SX_EUlSW_E_NS1_11comp_targetILNS1_3genE4ELNS1_11target_archE910ELNS1_3gpuE8ELNS1_3repE0EEENS1_30default_config_static_selectorELNS0_4arch9wavefront6targetE0EEEvT1_, .Lfunc_end1439-_ZN7rocprim17ROCPRIM_400000_NS6detail17trampoline_kernelINS0_14default_configENS1_27scan_by_key_config_selectorIifEEZZNS1_16scan_by_key_implILNS1_25lookback_scan_determinismE0ELb1ES3_N6thrust23THRUST_200600_302600_NS6detail15normal_iteratorINS9_10device_ptrIiEEEENSB_INSC_IfEEEESG_fNS9_4plusIvEENS9_8equal_toIvEEfEE10hipError_tPvRmT2_T3_T4_T5_mT6_T7_P12ihipStream_tbENKUlT_T0_E_clISt17integral_constantIbLb1EES11_EEDaSW_SX_EUlSW_E_NS1_11comp_targetILNS1_3genE4ELNS1_11target_archE910ELNS1_3gpuE8ELNS1_3repE0EEENS1_30default_config_static_selectorELNS0_4arch9wavefront6targetE0EEEvT1_
                                        ; -- End function
	.set _ZN7rocprim17ROCPRIM_400000_NS6detail17trampoline_kernelINS0_14default_configENS1_27scan_by_key_config_selectorIifEEZZNS1_16scan_by_key_implILNS1_25lookback_scan_determinismE0ELb1ES3_N6thrust23THRUST_200600_302600_NS6detail15normal_iteratorINS9_10device_ptrIiEEEENSB_INSC_IfEEEESG_fNS9_4plusIvEENS9_8equal_toIvEEfEE10hipError_tPvRmT2_T3_T4_T5_mT6_T7_P12ihipStream_tbENKUlT_T0_E_clISt17integral_constantIbLb1EES11_EEDaSW_SX_EUlSW_E_NS1_11comp_targetILNS1_3genE4ELNS1_11target_archE910ELNS1_3gpuE8ELNS1_3repE0EEENS1_30default_config_static_selectorELNS0_4arch9wavefront6targetE0EEEvT1_.num_vgpr, 0
	.set _ZN7rocprim17ROCPRIM_400000_NS6detail17trampoline_kernelINS0_14default_configENS1_27scan_by_key_config_selectorIifEEZZNS1_16scan_by_key_implILNS1_25lookback_scan_determinismE0ELb1ES3_N6thrust23THRUST_200600_302600_NS6detail15normal_iteratorINS9_10device_ptrIiEEEENSB_INSC_IfEEEESG_fNS9_4plusIvEENS9_8equal_toIvEEfEE10hipError_tPvRmT2_T3_T4_T5_mT6_T7_P12ihipStream_tbENKUlT_T0_E_clISt17integral_constantIbLb1EES11_EEDaSW_SX_EUlSW_E_NS1_11comp_targetILNS1_3genE4ELNS1_11target_archE910ELNS1_3gpuE8ELNS1_3repE0EEENS1_30default_config_static_selectorELNS0_4arch9wavefront6targetE0EEEvT1_.num_agpr, 0
	.set _ZN7rocprim17ROCPRIM_400000_NS6detail17trampoline_kernelINS0_14default_configENS1_27scan_by_key_config_selectorIifEEZZNS1_16scan_by_key_implILNS1_25lookback_scan_determinismE0ELb1ES3_N6thrust23THRUST_200600_302600_NS6detail15normal_iteratorINS9_10device_ptrIiEEEENSB_INSC_IfEEEESG_fNS9_4plusIvEENS9_8equal_toIvEEfEE10hipError_tPvRmT2_T3_T4_T5_mT6_T7_P12ihipStream_tbENKUlT_T0_E_clISt17integral_constantIbLb1EES11_EEDaSW_SX_EUlSW_E_NS1_11comp_targetILNS1_3genE4ELNS1_11target_archE910ELNS1_3gpuE8ELNS1_3repE0EEENS1_30default_config_static_selectorELNS0_4arch9wavefront6targetE0EEEvT1_.numbered_sgpr, 0
	.set _ZN7rocprim17ROCPRIM_400000_NS6detail17trampoline_kernelINS0_14default_configENS1_27scan_by_key_config_selectorIifEEZZNS1_16scan_by_key_implILNS1_25lookback_scan_determinismE0ELb1ES3_N6thrust23THRUST_200600_302600_NS6detail15normal_iteratorINS9_10device_ptrIiEEEENSB_INSC_IfEEEESG_fNS9_4plusIvEENS9_8equal_toIvEEfEE10hipError_tPvRmT2_T3_T4_T5_mT6_T7_P12ihipStream_tbENKUlT_T0_E_clISt17integral_constantIbLb1EES11_EEDaSW_SX_EUlSW_E_NS1_11comp_targetILNS1_3genE4ELNS1_11target_archE910ELNS1_3gpuE8ELNS1_3repE0EEENS1_30default_config_static_selectorELNS0_4arch9wavefront6targetE0EEEvT1_.num_named_barrier, 0
	.set _ZN7rocprim17ROCPRIM_400000_NS6detail17trampoline_kernelINS0_14default_configENS1_27scan_by_key_config_selectorIifEEZZNS1_16scan_by_key_implILNS1_25lookback_scan_determinismE0ELb1ES3_N6thrust23THRUST_200600_302600_NS6detail15normal_iteratorINS9_10device_ptrIiEEEENSB_INSC_IfEEEESG_fNS9_4plusIvEENS9_8equal_toIvEEfEE10hipError_tPvRmT2_T3_T4_T5_mT6_T7_P12ihipStream_tbENKUlT_T0_E_clISt17integral_constantIbLb1EES11_EEDaSW_SX_EUlSW_E_NS1_11comp_targetILNS1_3genE4ELNS1_11target_archE910ELNS1_3gpuE8ELNS1_3repE0EEENS1_30default_config_static_selectorELNS0_4arch9wavefront6targetE0EEEvT1_.private_seg_size, 0
	.set _ZN7rocprim17ROCPRIM_400000_NS6detail17trampoline_kernelINS0_14default_configENS1_27scan_by_key_config_selectorIifEEZZNS1_16scan_by_key_implILNS1_25lookback_scan_determinismE0ELb1ES3_N6thrust23THRUST_200600_302600_NS6detail15normal_iteratorINS9_10device_ptrIiEEEENSB_INSC_IfEEEESG_fNS9_4plusIvEENS9_8equal_toIvEEfEE10hipError_tPvRmT2_T3_T4_T5_mT6_T7_P12ihipStream_tbENKUlT_T0_E_clISt17integral_constantIbLb1EES11_EEDaSW_SX_EUlSW_E_NS1_11comp_targetILNS1_3genE4ELNS1_11target_archE910ELNS1_3gpuE8ELNS1_3repE0EEENS1_30default_config_static_selectorELNS0_4arch9wavefront6targetE0EEEvT1_.uses_vcc, 0
	.set _ZN7rocprim17ROCPRIM_400000_NS6detail17trampoline_kernelINS0_14default_configENS1_27scan_by_key_config_selectorIifEEZZNS1_16scan_by_key_implILNS1_25lookback_scan_determinismE0ELb1ES3_N6thrust23THRUST_200600_302600_NS6detail15normal_iteratorINS9_10device_ptrIiEEEENSB_INSC_IfEEEESG_fNS9_4plusIvEENS9_8equal_toIvEEfEE10hipError_tPvRmT2_T3_T4_T5_mT6_T7_P12ihipStream_tbENKUlT_T0_E_clISt17integral_constantIbLb1EES11_EEDaSW_SX_EUlSW_E_NS1_11comp_targetILNS1_3genE4ELNS1_11target_archE910ELNS1_3gpuE8ELNS1_3repE0EEENS1_30default_config_static_selectorELNS0_4arch9wavefront6targetE0EEEvT1_.uses_flat_scratch, 0
	.set _ZN7rocprim17ROCPRIM_400000_NS6detail17trampoline_kernelINS0_14default_configENS1_27scan_by_key_config_selectorIifEEZZNS1_16scan_by_key_implILNS1_25lookback_scan_determinismE0ELb1ES3_N6thrust23THRUST_200600_302600_NS6detail15normal_iteratorINS9_10device_ptrIiEEEENSB_INSC_IfEEEESG_fNS9_4plusIvEENS9_8equal_toIvEEfEE10hipError_tPvRmT2_T3_T4_T5_mT6_T7_P12ihipStream_tbENKUlT_T0_E_clISt17integral_constantIbLb1EES11_EEDaSW_SX_EUlSW_E_NS1_11comp_targetILNS1_3genE4ELNS1_11target_archE910ELNS1_3gpuE8ELNS1_3repE0EEENS1_30default_config_static_selectorELNS0_4arch9wavefront6targetE0EEEvT1_.has_dyn_sized_stack, 0
	.set _ZN7rocprim17ROCPRIM_400000_NS6detail17trampoline_kernelINS0_14default_configENS1_27scan_by_key_config_selectorIifEEZZNS1_16scan_by_key_implILNS1_25lookback_scan_determinismE0ELb1ES3_N6thrust23THRUST_200600_302600_NS6detail15normal_iteratorINS9_10device_ptrIiEEEENSB_INSC_IfEEEESG_fNS9_4plusIvEENS9_8equal_toIvEEfEE10hipError_tPvRmT2_T3_T4_T5_mT6_T7_P12ihipStream_tbENKUlT_T0_E_clISt17integral_constantIbLb1EES11_EEDaSW_SX_EUlSW_E_NS1_11comp_targetILNS1_3genE4ELNS1_11target_archE910ELNS1_3gpuE8ELNS1_3repE0EEENS1_30default_config_static_selectorELNS0_4arch9wavefront6targetE0EEEvT1_.has_recursion, 0
	.set _ZN7rocprim17ROCPRIM_400000_NS6detail17trampoline_kernelINS0_14default_configENS1_27scan_by_key_config_selectorIifEEZZNS1_16scan_by_key_implILNS1_25lookback_scan_determinismE0ELb1ES3_N6thrust23THRUST_200600_302600_NS6detail15normal_iteratorINS9_10device_ptrIiEEEENSB_INSC_IfEEEESG_fNS9_4plusIvEENS9_8equal_toIvEEfEE10hipError_tPvRmT2_T3_T4_T5_mT6_T7_P12ihipStream_tbENKUlT_T0_E_clISt17integral_constantIbLb1EES11_EEDaSW_SX_EUlSW_E_NS1_11comp_targetILNS1_3genE4ELNS1_11target_archE910ELNS1_3gpuE8ELNS1_3repE0EEENS1_30default_config_static_selectorELNS0_4arch9wavefront6targetE0EEEvT1_.has_indirect_call, 0
	.section	.AMDGPU.csdata,"",@progbits
; Kernel info:
; codeLenInByte = 0
; TotalNumSgprs: 0
; NumVgprs: 0
; ScratchSize: 0
; MemoryBound: 0
; FloatMode: 240
; IeeeMode: 1
; LDSByteSize: 0 bytes/workgroup (compile time only)
; SGPRBlocks: 0
; VGPRBlocks: 0
; NumSGPRsForWavesPerEU: 1
; NumVGPRsForWavesPerEU: 1
; NamedBarCnt: 0
; Occupancy: 16
; WaveLimiterHint : 0
; COMPUTE_PGM_RSRC2:SCRATCH_EN: 0
; COMPUTE_PGM_RSRC2:USER_SGPR: 2
; COMPUTE_PGM_RSRC2:TRAP_HANDLER: 0
; COMPUTE_PGM_RSRC2:TGID_X_EN: 1
; COMPUTE_PGM_RSRC2:TGID_Y_EN: 0
; COMPUTE_PGM_RSRC2:TGID_Z_EN: 0
; COMPUTE_PGM_RSRC2:TIDIG_COMP_CNT: 0
	.section	.text._ZN7rocprim17ROCPRIM_400000_NS6detail17trampoline_kernelINS0_14default_configENS1_27scan_by_key_config_selectorIifEEZZNS1_16scan_by_key_implILNS1_25lookback_scan_determinismE0ELb1ES3_N6thrust23THRUST_200600_302600_NS6detail15normal_iteratorINS9_10device_ptrIiEEEENSB_INSC_IfEEEESG_fNS9_4plusIvEENS9_8equal_toIvEEfEE10hipError_tPvRmT2_T3_T4_T5_mT6_T7_P12ihipStream_tbENKUlT_T0_E_clISt17integral_constantIbLb1EES11_EEDaSW_SX_EUlSW_E_NS1_11comp_targetILNS1_3genE3ELNS1_11target_archE908ELNS1_3gpuE7ELNS1_3repE0EEENS1_30default_config_static_selectorELNS0_4arch9wavefront6targetE0EEEvT1_,"axG",@progbits,_ZN7rocprim17ROCPRIM_400000_NS6detail17trampoline_kernelINS0_14default_configENS1_27scan_by_key_config_selectorIifEEZZNS1_16scan_by_key_implILNS1_25lookback_scan_determinismE0ELb1ES3_N6thrust23THRUST_200600_302600_NS6detail15normal_iteratorINS9_10device_ptrIiEEEENSB_INSC_IfEEEESG_fNS9_4plusIvEENS9_8equal_toIvEEfEE10hipError_tPvRmT2_T3_T4_T5_mT6_T7_P12ihipStream_tbENKUlT_T0_E_clISt17integral_constantIbLb1EES11_EEDaSW_SX_EUlSW_E_NS1_11comp_targetILNS1_3genE3ELNS1_11target_archE908ELNS1_3gpuE7ELNS1_3repE0EEENS1_30default_config_static_selectorELNS0_4arch9wavefront6targetE0EEEvT1_,comdat
	.protected	_ZN7rocprim17ROCPRIM_400000_NS6detail17trampoline_kernelINS0_14default_configENS1_27scan_by_key_config_selectorIifEEZZNS1_16scan_by_key_implILNS1_25lookback_scan_determinismE0ELb1ES3_N6thrust23THRUST_200600_302600_NS6detail15normal_iteratorINS9_10device_ptrIiEEEENSB_INSC_IfEEEESG_fNS9_4plusIvEENS9_8equal_toIvEEfEE10hipError_tPvRmT2_T3_T4_T5_mT6_T7_P12ihipStream_tbENKUlT_T0_E_clISt17integral_constantIbLb1EES11_EEDaSW_SX_EUlSW_E_NS1_11comp_targetILNS1_3genE3ELNS1_11target_archE908ELNS1_3gpuE7ELNS1_3repE0EEENS1_30default_config_static_selectorELNS0_4arch9wavefront6targetE0EEEvT1_ ; -- Begin function _ZN7rocprim17ROCPRIM_400000_NS6detail17trampoline_kernelINS0_14default_configENS1_27scan_by_key_config_selectorIifEEZZNS1_16scan_by_key_implILNS1_25lookback_scan_determinismE0ELb1ES3_N6thrust23THRUST_200600_302600_NS6detail15normal_iteratorINS9_10device_ptrIiEEEENSB_INSC_IfEEEESG_fNS9_4plusIvEENS9_8equal_toIvEEfEE10hipError_tPvRmT2_T3_T4_T5_mT6_T7_P12ihipStream_tbENKUlT_T0_E_clISt17integral_constantIbLb1EES11_EEDaSW_SX_EUlSW_E_NS1_11comp_targetILNS1_3genE3ELNS1_11target_archE908ELNS1_3gpuE7ELNS1_3repE0EEENS1_30default_config_static_selectorELNS0_4arch9wavefront6targetE0EEEvT1_
	.globl	_ZN7rocprim17ROCPRIM_400000_NS6detail17trampoline_kernelINS0_14default_configENS1_27scan_by_key_config_selectorIifEEZZNS1_16scan_by_key_implILNS1_25lookback_scan_determinismE0ELb1ES3_N6thrust23THRUST_200600_302600_NS6detail15normal_iteratorINS9_10device_ptrIiEEEENSB_INSC_IfEEEESG_fNS9_4plusIvEENS9_8equal_toIvEEfEE10hipError_tPvRmT2_T3_T4_T5_mT6_T7_P12ihipStream_tbENKUlT_T0_E_clISt17integral_constantIbLb1EES11_EEDaSW_SX_EUlSW_E_NS1_11comp_targetILNS1_3genE3ELNS1_11target_archE908ELNS1_3gpuE7ELNS1_3repE0EEENS1_30default_config_static_selectorELNS0_4arch9wavefront6targetE0EEEvT1_
	.p2align	8
	.type	_ZN7rocprim17ROCPRIM_400000_NS6detail17trampoline_kernelINS0_14default_configENS1_27scan_by_key_config_selectorIifEEZZNS1_16scan_by_key_implILNS1_25lookback_scan_determinismE0ELb1ES3_N6thrust23THRUST_200600_302600_NS6detail15normal_iteratorINS9_10device_ptrIiEEEENSB_INSC_IfEEEESG_fNS9_4plusIvEENS9_8equal_toIvEEfEE10hipError_tPvRmT2_T3_T4_T5_mT6_T7_P12ihipStream_tbENKUlT_T0_E_clISt17integral_constantIbLb1EES11_EEDaSW_SX_EUlSW_E_NS1_11comp_targetILNS1_3genE3ELNS1_11target_archE908ELNS1_3gpuE7ELNS1_3repE0EEENS1_30default_config_static_selectorELNS0_4arch9wavefront6targetE0EEEvT1_,@function
_ZN7rocprim17ROCPRIM_400000_NS6detail17trampoline_kernelINS0_14default_configENS1_27scan_by_key_config_selectorIifEEZZNS1_16scan_by_key_implILNS1_25lookback_scan_determinismE0ELb1ES3_N6thrust23THRUST_200600_302600_NS6detail15normal_iteratorINS9_10device_ptrIiEEEENSB_INSC_IfEEEESG_fNS9_4plusIvEENS9_8equal_toIvEEfEE10hipError_tPvRmT2_T3_T4_T5_mT6_T7_P12ihipStream_tbENKUlT_T0_E_clISt17integral_constantIbLb1EES11_EEDaSW_SX_EUlSW_E_NS1_11comp_targetILNS1_3genE3ELNS1_11target_archE908ELNS1_3gpuE7ELNS1_3repE0EEENS1_30default_config_static_selectorELNS0_4arch9wavefront6targetE0EEEvT1_: ; @_ZN7rocprim17ROCPRIM_400000_NS6detail17trampoline_kernelINS0_14default_configENS1_27scan_by_key_config_selectorIifEEZZNS1_16scan_by_key_implILNS1_25lookback_scan_determinismE0ELb1ES3_N6thrust23THRUST_200600_302600_NS6detail15normal_iteratorINS9_10device_ptrIiEEEENSB_INSC_IfEEEESG_fNS9_4plusIvEENS9_8equal_toIvEEfEE10hipError_tPvRmT2_T3_T4_T5_mT6_T7_P12ihipStream_tbENKUlT_T0_E_clISt17integral_constantIbLb1EES11_EEDaSW_SX_EUlSW_E_NS1_11comp_targetILNS1_3genE3ELNS1_11target_archE908ELNS1_3gpuE7ELNS1_3repE0EEENS1_30default_config_static_selectorELNS0_4arch9wavefront6targetE0EEEvT1_
; %bb.0:
	.section	.rodata,"a",@progbits
	.p2align	6, 0x0
	.amdhsa_kernel _ZN7rocprim17ROCPRIM_400000_NS6detail17trampoline_kernelINS0_14default_configENS1_27scan_by_key_config_selectorIifEEZZNS1_16scan_by_key_implILNS1_25lookback_scan_determinismE0ELb1ES3_N6thrust23THRUST_200600_302600_NS6detail15normal_iteratorINS9_10device_ptrIiEEEENSB_INSC_IfEEEESG_fNS9_4plusIvEENS9_8equal_toIvEEfEE10hipError_tPvRmT2_T3_T4_T5_mT6_T7_P12ihipStream_tbENKUlT_T0_E_clISt17integral_constantIbLb1EES11_EEDaSW_SX_EUlSW_E_NS1_11comp_targetILNS1_3genE3ELNS1_11target_archE908ELNS1_3gpuE7ELNS1_3repE0EEENS1_30default_config_static_selectorELNS0_4arch9wavefront6targetE0EEEvT1_
		.amdhsa_group_segment_fixed_size 0
		.amdhsa_private_segment_fixed_size 0
		.amdhsa_kernarg_size 112
		.amdhsa_user_sgpr_count 2
		.amdhsa_user_sgpr_dispatch_ptr 0
		.amdhsa_user_sgpr_queue_ptr 0
		.amdhsa_user_sgpr_kernarg_segment_ptr 1
		.amdhsa_user_sgpr_dispatch_id 0
		.amdhsa_user_sgpr_kernarg_preload_length 0
		.amdhsa_user_sgpr_kernarg_preload_offset 0
		.amdhsa_user_sgpr_private_segment_size 0
		.amdhsa_wavefront_size32 1
		.amdhsa_uses_dynamic_stack 0
		.amdhsa_enable_private_segment 0
		.amdhsa_system_sgpr_workgroup_id_x 1
		.amdhsa_system_sgpr_workgroup_id_y 0
		.amdhsa_system_sgpr_workgroup_id_z 0
		.amdhsa_system_sgpr_workgroup_info 0
		.amdhsa_system_vgpr_workitem_id 0
		.amdhsa_next_free_vgpr 1
		.amdhsa_next_free_sgpr 1
		.amdhsa_named_barrier_count 0
		.amdhsa_reserve_vcc 0
		.amdhsa_float_round_mode_32 0
		.amdhsa_float_round_mode_16_64 0
		.amdhsa_float_denorm_mode_32 3
		.amdhsa_float_denorm_mode_16_64 3
		.amdhsa_fp16_overflow 0
		.amdhsa_memory_ordered 1
		.amdhsa_forward_progress 1
		.amdhsa_inst_pref_size 0
		.amdhsa_round_robin_scheduling 0
		.amdhsa_exception_fp_ieee_invalid_op 0
		.amdhsa_exception_fp_denorm_src 0
		.amdhsa_exception_fp_ieee_div_zero 0
		.amdhsa_exception_fp_ieee_overflow 0
		.amdhsa_exception_fp_ieee_underflow 0
		.amdhsa_exception_fp_ieee_inexact 0
		.amdhsa_exception_int_div_zero 0
	.end_amdhsa_kernel
	.section	.text._ZN7rocprim17ROCPRIM_400000_NS6detail17trampoline_kernelINS0_14default_configENS1_27scan_by_key_config_selectorIifEEZZNS1_16scan_by_key_implILNS1_25lookback_scan_determinismE0ELb1ES3_N6thrust23THRUST_200600_302600_NS6detail15normal_iteratorINS9_10device_ptrIiEEEENSB_INSC_IfEEEESG_fNS9_4plusIvEENS9_8equal_toIvEEfEE10hipError_tPvRmT2_T3_T4_T5_mT6_T7_P12ihipStream_tbENKUlT_T0_E_clISt17integral_constantIbLb1EES11_EEDaSW_SX_EUlSW_E_NS1_11comp_targetILNS1_3genE3ELNS1_11target_archE908ELNS1_3gpuE7ELNS1_3repE0EEENS1_30default_config_static_selectorELNS0_4arch9wavefront6targetE0EEEvT1_,"axG",@progbits,_ZN7rocprim17ROCPRIM_400000_NS6detail17trampoline_kernelINS0_14default_configENS1_27scan_by_key_config_selectorIifEEZZNS1_16scan_by_key_implILNS1_25lookback_scan_determinismE0ELb1ES3_N6thrust23THRUST_200600_302600_NS6detail15normal_iteratorINS9_10device_ptrIiEEEENSB_INSC_IfEEEESG_fNS9_4plusIvEENS9_8equal_toIvEEfEE10hipError_tPvRmT2_T3_T4_T5_mT6_T7_P12ihipStream_tbENKUlT_T0_E_clISt17integral_constantIbLb1EES11_EEDaSW_SX_EUlSW_E_NS1_11comp_targetILNS1_3genE3ELNS1_11target_archE908ELNS1_3gpuE7ELNS1_3repE0EEENS1_30default_config_static_selectorELNS0_4arch9wavefront6targetE0EEEvT1_,comdat
.Lfunc_end1440:
	.size	_ZN7rocprim17ROCPRIM_400000_NS6detail17trampoline_kernelINS0_14default_configENS1_27scan_by_key_config_selectorIifEEZZNS1_16scan_by_key_implILNS1_25lookback_scan_determinismE0ELb1ES3_N6thrust23THRUST_200600_302600_NS6detail15normal_iteratorINS9_10device_ptrIiEEEENSB_INSC_IfEEEESG_fNS9_4plusIvEENS9_8equal_toIvEEfEE10hipError_tPvRmT2_T3_T4_T5_mT6_T7_P12ihipStream_tbENKUlT_T0_E_clISt17integral_constantIbLb1EES11_EEDaSW_SX_EUlSW_E_NS1_11comp_targetILNS1_3genE3ELNS1_11target_archE908ELNS1_3gpuE7ELNS1_3repE0EEENS1_30default_config_static_selectorELNS0_4arch9wavefront6targetE0EEEvT1_, .Lfunc_end1440-_ZN7rocprim17ROCPRIM_400000_NS6detail17trampoline_kernelINS0_14default_configENS1_27scan_by_key_config_selectorIifEEZZNS1_16scan_by_key_implILNS1_25lookback_scan_determinismE0ELb1ES3_N6thrust23THRUST_200600_302600_NS6detail15normal_iteratorINS9_10device_ptrIiEEEENSB_INSC_IfEEEESG_fNS9_4plusIvEENS9_8equal_toIvEEfEE10hipError_tPvRmT2_T3_T4_T5_mT6_T7_P12ihipStream_tbENKUlT_T0_E_clISt17integral_constantIbLb1EES11_EEDaSW_SX_EUlSW_E_NS1_11comp_targetILNS1_3genE3ELNS1_11target_archE908ELNS1_3gpuE7ELNS1_3repE0EEENS1_30default_config_static_selectorELNS0_4arch9wavefront6targetE0EEEvT1_
                                        ; -- End function
	.set _ZN7rocprim17ROCPRIM_400000_NS6detail17trampoline_kernelINS0_14default_configENS1_27scan_by_key_config_selectorIifEEZZNS1_16scan_by_key_implILNS1_25lookback_scan_determinismE0ELb1ES3_N6thrust23THRUST_200600_302600_NS6detail15normal_iteratorINS9_10device_ptrIiEEEENSB_INSC_IfEEEESG_fNS9_4plusIvEENS9_8equal_toIvEEfEE10hipError_tPvRmT2_T3_T4_T5_mT6_T7_P12ihipStream_tbENKUlT_T0_E_clISt17integral_constantIbLb1EES11_EEDaSW_SX_EUlSW_E_NS1_11comp_targetILNS1_3genE3ELNS1_11target_archE908ELNS1_3gpuE7ELNS1_3repE0EEENS1_30default_config_static_selectorELNS0_4arch9wavefront6targetE0EEEvT1_.num_vgpr, 0
	.set _ZN7rocprim17ROCPRIM_400000_NS6detail17trampoline_kernelINS0_14default_configENS1_27scan_by_key_config_selectorIifEEZZNS1_16scan_by_key_implILNS1_25lookback_scan_determinismE0ELb1ES3_N6thrust23THRUST_200600_302600_NS6detail15normal_iteratorINS9_10device_ptrIiEEEENSB_INSC_IfEEEESG_fNS9_4plusIvEENS9_8equal_toIvEEfEE10hipError_tPvRmT2_T3_T4_T5_mT6_T7_P12ihipStream_tbENKUlT_T0_E_clISt17integral_constantIbLb1EES11_EEDaSW_SX_EUlSW_E_NS1_11comp_targetILNS1_3genE3ELNS1_11target_archE908ELNS1_3gpuE7ELNS1_3repE0EEENS1_30default_config_static_selectorELNS0_4arch9wavefront6targetE0EEEvT1_.num_agpr, 0
	.set _ZN7rocprim17ROCPRIM_400000_NS6detail17trampoline_kernelINS0_14default_configENS1_27scan_by_key_config_selectorIifEEZZNS1_16scan_by_key_implILNS1_25lookback_scan_determinismE0ELb1ES3_N6thrust23THRUST_200600_302600_NS6detail15normal_iteratorINS9_10device_ptrIiEEEENSB_INSC_IfEEEESG_fNS9_4plusIvEENS9_8equal_toIvEEfEE10hipError_tPvRmT2_T3_T4_T5_mT6_T7_P12ihipStream_tbENKUlT_T0_E_clISt17integral_constantIbLb1EES11_EEDaSW_SX_EUlSW_E_NS1_11comp_targetILNS1_3genE3ELNS1_11target_archE908ELNS1_3gpuE7ELNS1_3repE0EEENS1_30default_config_static_selectorELNS0_4arch9wavefront6targetE0EEEvT1_.numbered_sgpr, 0
	.set _ZN7rocprim17ROCPRIM_400000_NS6detail17trampoline_kernelINS0_14default_configENS1_27scan_by_key_config_selectorIifEEZZNS1_16scan_by_key_implILNS1_25lookback_scan_determinismE0ELb1ES3_N6thrust23THRUST_200600_302600_NS6detail15normal_iteratorINS9_10device_ptrIiEEEENSB_INSC_IfEEEESG_fNS9_4plusIvEENS9_8equal_toIvEEfEE10hipError_tPvRmT2_T3_T4_T5_mT6_T7_P12ihipStream_tbENKUlT_T0_E_clISt17integral_constantIbLb1EES11_EEDaSW_SX_EUlSW_E_NS1_11comp_targetILNS1_3genE3ELNS1_11target_archE908ELNS1_3gpuE7ELNS1_3repE0EEENS1_30default_config_static_selectorELNS0_4arch9wavefront6targetE0EEEvT1_.num_named_barrier, 0
	.set _ZN7rocprim17ROCPRIM_400000_NS6detail17trampoline_kernelINS0_14default_configENS1_27scan_by_key_config_selectorIifEEZZNS1_16scan_by_key_implILNS1_25lookback_scan_determinismE0ELb1ES3_N6thrust23THRUST_200600_302600_NS6detail15normal_iteratorINS9_10device_ptrIiEEEENSB_INSC_IfEEEESG_fNS9_4plusIvEENS9_8equal_toIvEEfEE10hipError_tPvRmT2_T3_T4_T5_mT6_T7_P12ihipStream_tbENKUlT_T0_E_clISt17integral_constantIbLb1EES11_EEDaSW_SX_EUlSW_E_NS1_11comp_targetILNS1_3genE3ELNS1_11target_archE908ELNS1_3gpuE7ELNS1_3repE0EEENS1_30default_config_static_selectorELNS0_4arch9wavefront6targetE0EEEvT1_.private_seg_size, 0
	.set _ZN7rocprim17ROCPRIM_400000_NS6detail17trampoline_kernelINS0_14default_configENS1_27scan_by_key_config_selectorIifEEZZNS1_16scan_by_key_implILNS1_25lookback_scan_determinismE0ELb1ES3_N6thrust23THRUST_200600_302600_NS6detail15normal_iteratorINS9_10device_ptrIiEEEENSB_INSC_IfEEEESG_fNS9_4plusIvEENS9_8equal_toIvEEfEE10hipError_tPvRmT2_T3_T4_T5_mT6_T7_P12ihipStream_tbENKUlT_T0_E_clISt17integral_constantIbLb1EES11_EEDaSW_SX_EUlSW_E_NS1_11comp_targetILNS1_3genE3ELNS1_11target_archE908ELNS1_3gpuE7ELNS1_3repE0EEENS1_30default_config_static_selectorELNS0_4arch9wavefront6targetE0EEEvT1_.uses_vcc, 0
	.set _ZN7rocprim17ROCPRIM_400000_NS6detail17trampoline_kernelINS0_14default_configENS1_27scan_by_key_config_selectorIifEEZZNS1_16scan_by_key_implILNS1_25lookback_scan_determinismE0ELb1ES3_N6thrust23THRUST_200600_302600_NS6detail15normal_iteratorINS9_10device_ptrIiEEEENSB_INSC_IfEEEESG_fNS9_4plusIvEENS9_8equal_toIvEEfEE10hipError_tPvRmT2_T3_T4_T5_mT6_T7_P12ihipStream_tbENKUlT_T0_E_clISt17integral_constantIbLb1EES11_EEDaSW_SX_EUlSW_E_NS1_11comp_targetILNS1_3genE3ELNS1_11target_archE908ELNS1_3gpuE7ELNS1_3repE0EEENS1_30default_config_static_selectorELNS0_4arch9wavefront6targetE0EEEvT1_.uses_flat_scratch, 0
	.set _ZN7rocprim17ROCPRIM_400000_NS6detail17trampoline_kernelINS0_14default_configENS1_27scan_by_key_config_selectorIifEEZZNS1_16scan_by_key_implILNS1_25lookback_scan_determinismE0ELb1ES3_N6thrust23THRUST_200600_302600_NS6detail15normal_iteratorINS9_10device_ptrIiEEEENSB_INSC_IfEEEESG_fNS9_4plusIvEENS9_8equal_toIvEEfEE10hipError_tPvRmT2_T3_T4_T5_mT6_T7_P12ihipStream_tbENKUlT_T0_E_clISt17integral_constantIbLb1EES11_EEDaSW_SX_EUlSW_E_NS1_11comp_targetILNS1_3genE3ELNS1_11target_archE908ELNS1_3gpuE7ELNS1_3repE0EEENS1_30default_config_static_selectorELNS0_4arch9wavefront6targetE0EEEvT1_.has_dyn_sized_stack, 0
	.set _ZN7rocprim17ROCPRIM_400000_NS6detail17trampoline_kernelINS0_14default_configENS1_27scan_by_key_config_selectorIifEEZZNS1_16scan_by_key_implILNS1_25lookback_scan_determinismE0ELb1ES3_N6thrust23THRUST_200600_302600_NS6detail15normal_iteratorINS9_10device_ptrIiEEEENSB_INSC_IfEEEESG_fNS9_4plusIvEENS9_8equal_toIvEEfEE10hipError_tPvRmT2_T3_T4_T5_mT6_T7_P12ihipStream_tbENKUlT_T0_E_clISt17integral_constantIbLb1EES11_EEDaSW_SX_EUlSW_E_NS1_11comp_targetILNS1_3genE3ELNS1_11target_archE908ELNS1_3gpuE7ELNS1_3repE0EEENS1_30default_config_static_selectorELNS0_4arch9wavefront6targetE0EEEvT1_.has_recursion, 0
	.set _ZN7rocprim17ROCPRIM_400000_NS6detail17trampoline_kernelINS0_14default_configENS1_27scan_by_key_config_selectorIifEEZZNS1_16scan_by_key_implILNS1_25lookback_scan_determinismE0ELb1ES3_N6thrust23THRUST_200600_302600_NS6detail15normal_iteratorINS9_10device_ptrIiEEEENSB_INSC_IfEEEESG_fNS9_4plusIvEENS9_8equal_toIvEEfEE10hipError_tPvRmT2_T3_T4_T5_mT6_T7_P12ihipStream_tbENKUlT_T0_E_clISt17integral_constantIbLb1EES11_EEDaSW_SX_EUlSW_E_NS1_11comp_targetILNS1_3genE3ELNS1_11target_archE908ELNS1_3gpuE7ELNS1_3repE0EEENS1_30default_config_static_selectorELNS0_4arch9wavefront6targetE0EEEvT1_.has_indirect_call, 0
	.section	.AMDGPU.csdata,"",@progbits
; Kernel info:
; codeLenInByte = 0
; TotalNumSgprs: 0
; NumVgprs: 0
; ScratchSize: 0
; MemoryBound: 0
; FloatMode: 240
; IeeeMode: 1
; LDSByteSize: 0 bytes/workgroup (compile time only)
; SGPRBlocks: 0
; VGPRBlocks: 0
; NumSGPRsForWavesPerEU: 1
; NumVGPRsForWavesPerEU: 1
; NamedBarCnt: 0
; Occupancy: 16
; WaveLimiterHint : 0
; COMPUTE_PGM_RSRC2:SCRATCH_EN: 0
; COMPUTE_PGM_RSRC2:USER_SGPR: 2
; COMPUTE_PGM_RSRC2:TRAP_HANDLER: 0
; COMPUTE_PGM_RSRC2:TGID_X_EN: 1
; COMPUTE_PGM_RSRC2:TGID_Y_EN: 0
; COMPUTE_PGM_RSRC2:TGID_Z_EN: 0
; COMPUTE_PGM_RSRC2:TIDIG_COMP_CNT: 0
	.section	.text._ZN7rocprim17ROCPRIM_400000_NS6detail17trampoline_kernelINS0_14default_configENS1_27scan_by_key_config_selectorIifEEZZNS1_16scan_by_key_implILNS1_25lookback_scan_determinismE0ELb1ES3_N6thrust23THRUST_200600_302600_NS6detail15normal_iteratorINS9_10device_ptrIiEEEENSB_INSC_IfEEEESG_fNS9_4plusIvEENS9_8equal_toIvEEfEE10hipError_tPvRmT2_T3_T4_T5_mT6_T7_P12ihipStream_tbENKUlT_T0_E_clISt17integral_constantIbLb1EES11_EEDaSW_SX_EUlSW_E_NS1_11comp_targetILNS1_3genE2ELNS1_11target_archE906ELNS1_3gpuE6ELNS1_3repE0EEENS1_30default_config_static_selectorELNS0_4arch9wavefront6targetE0EEEvT1_,"axG",@progbits,_ZN7rocprim17ROCPRIM_400000_NS6detail17trampoline_kernelINS0_14default_configENS1_27scan_by_key_config_selectorIifEEZZNS1_16scan_by_key_implILNS1_25lookback_scan_determinismE0ELb1ES3_N6thrust23THRUST_200600_302600_NS6detail15normal_iteratorINS9_10device_ptrIiEEEENSB_INSC_IfEEEESG_fNS9_4plusIvEENS9_8equal_toIvEEfEE10hipError_tPvRmT2_T3_T4_T5_mT6_T7_P12ihipStream_tbENKUlT_T0_E_clISt17integral_constantIbLb1EES11_EEDaSW_SX_EUlSW_E_NS1_11comp_targetILNS1_3genE2ELNS1_11target_archE906ELNS1_3gpuE6ELNS1_3repE0EEENS1_30default_config_static_selectorELNS0_4arch9wavefront6targetE0EEEvT1_,comdat
	.protected	_ZN7rocprim17ROCPRIM_400000_NS6detail17trampoline_kernelINS0_14default_configENS1_27scan_by_key_config_selectorIifEEZZNS1_16scan_by_key_implILNS1_25lookback_scan_determinismE0ELb1ES3_N6thrust23THRUST_200600_302600_NS6detail15normal_iteratorINS9_10device_ptrIiEEEENSB_INSC_IfEEEESG_fNS9_4plusIvEENS9_8equal_toIvEEfEE10hipError_tPvRmT2_T3_T4_T5_mT6_T7_P12ihipStream_tbENKUlT_T0_E_clISt17integral_constantIbLb1EES11_EEDaSW_SX_EUlSW_E_NS1_11comp_targetILNS1_3genE2ELNS1_11target_archE906ELNS1_3gpuE6ELNS1_3repE0EEENS1_30default_config_static_selectorELNS0_4arch9wavefront6targetE0EEEvT1_ ; -- Begin function _ZN7rocprim17ROCPRIM_400000_NS6detail17trampoline_kernelINS0_14default_configENS1_27scan_by_key_config_selectorIifEEZZNS1_16scan_by_key_implILNS1_25lookback_scan_determinismE0ELb1ES3_N6thrust23THRUST_200600_302600_NS6detail15normal_iteratorINS9_10device_ptrIiEEEENSB_INSC_IfEEEESG_fNS9_4plusIvEENS9_8equal_toIvEEfEE10hipError_tPvRmT2_T3_T4_T5_mT6_T7_P12ihipStream_tbENKUlT_T0_E_clISt17integral_constantIbLb1EES11_EEDaSW_SX_EUlSW_E_NS1_11comp_targetILNS1_3genE2ELNS1_11target_archE906ELNS1_3gpuE6ELNS1_3repE0EEENS1_30default_config_static_selectorELNS0_4arch9wavefront6targetE0EEEvT1_
	.globl	_ZN7rocprim17ROCPRIM_400000_NS6detail17trampoline_kernelINS0_14default_configENS1_27scan_by_key_config_selectorIifEEZZNS1_16scan_by_key_implILNS1_25lookback_scan_determinismE0ELb1ES3_N6thrust23THRUST_200600_302600_NS6detail15normal_iteratorINS9_10device_ptrIiEEEENSB_INSC_IfEEEESG_fNS9_4plusIvEENS9_8equal_toIvEEfEE10hipError_tPvRmT2_T3_T4_T5_mT6_T7_P12ihipStream_tbENKUlT_T0_E_clISt17integral_constantIbLb1EES11_EEDaSW_SX_EUlSW_E_NS1_11comp_targetILNS1_3genE2ELNS1_11target_archE906ELNS1_3gpuE6ELNS1_3repE0EEENS1_30default_config_static_selectorELNS0_4arch9wavefront6targetE0EEEvT1_
	.p2align	8
	.type	_ZN7rocprim17ROCPRIM_400000_NS6detail17trampoline_kernelINS0_14default_configENS1_27scan_by_key_config_selectorIifEEZZNS1_16scan_by_key_implILNS1_25lookback_scan_determinismE0ELb1ES3_N6thrust23THRUST_200600_302600_NS6detail15normal_iteratorINS9_10device_ptrIiEEEENSB_INSC_IfEEEESG_fNS9_4plusIvEENS9_8equal_toIvEEfEE10hipError_tPvRmT2_T3_T4_T5_mT6_T7_P12ihipStream_tbENKUlT_T0_E_clISt17integral_constantIbLb1EES11_EEDaSW_SX_EUlSW_E_NS1_11comp_targetILNS1_3genE2ELNS1_11target_archE906ELNS1_3gpuE6ELNS1_3repE0EEENS1_30default_config_static_selectorELNS0_4arch9wavefront6targetE0EEEvT1_,@function
_ZN7rocprim17ROCPRIM_400000_NS6detail17trampoline_kernelINS0_14default_configENS1_27scan_by_key_config_selectorIifEEZZNS1_16scan_by_key_implILNS1_25lookback_scan_determinismE0ELb1ES3_N6thrust23THRUST_200600_302600_NS6detail15normal_iteratorINS9_10device_ptrIiEEEENSB_INSC_IfEEEESG_fNS9_4plusIvEENS9_8equal_toIvEEfEE10hipError_tPvRmT2_T3_T4_T5_mT6_T7_P12ihipStream_tbENKUlT_T0_E_clISt17integral_constantIbLb1EES11_EEDaSW_SX_EUlSW_E_NS1_11comp_targetILNS1_3genE2ELNS1_11target_archE906ELNS1_3gpuE6ELNS1_3repE0EEENS1_30default_config_static_selectorELNS0_4arch9wavefront6targetE0EEEvT1_: ; @_ZN7rocprim17ROCPRIM_400000_NS6detail17trampoline_kernelINS0_14default_configENS1_27scan_by_key_config_selectorIifEEZZNS1_16scan_by_key_implILNS1_25lookback_scan_determinismE0ELb1ES3_N6thrust23THRUST_200600_302600_NS6detail15normal_iteratorINS9_10device_ptrIiEEEENSB_INSC_IfEEEESG_fNS9_4plusIvEENS9_8equal_toIvEEfEE10hipError_tPvRmT2_T3_T4_T5_mT6_T7_P12ihipStream_tbENKUlT_T0_E_clISt17integral_constantIbLb1EES11_EEDaSW_SX_EUlSW_E_NS1_11comp_targetILNS1_3genE2ELNS1_11target_archE906ELNS1_3gpuE6ELNS1_3repE0EEENS1_30default_config_static_selectorELNS0_4arch9wavefront6targetE0EEEvT1_
; %bb.0:
	.section	.rodata,"a",@progbits
	.p2align	6, 0x0
	.amdhsa_kernel _ZN7rocprim17ROCPRIM_400000_NS6detail17trampoline_kernelINS0_14default_configENS1_27scan_by_key_config_selectorIifEEZZNS1_16scan_by_key_implILNS1_25lookback_scan_determinismE0ELb1ES3_N6thrust23THRUST_200600_302600_NS6detail15normal_iteratorINS9_10device_ptrIiEEEENSB_INSC_IfEEEESG_fNS9_4plusIvEENS9_8equal_toIvEEfEE10hipError_tPvRmT2_T3_T4_T5_mT6_T7_P12ihipStream_tbENKUlT_T0_E_clISt17integral_constantIbLb1EES11_EEDaSW_SX_EUlSW_E_NS1_11comp_targetILNS1_3genE2ELNS1_11target_archE906ELNS1_3gpuE6ELNS1_3repE0EEENS1_30default_config_static_selectorELNS0_4arch9wavefront6targetE0EEEvT1_
		.amdhsa_group_segment_fixed_size 0
		.amdhsa_private_segment_fixed_size 0
		.amdhsa_kernarg_size 112
		.amdhsa_user_sgpr_count 2
		.amdhsa_user_sgpr_dispatch_ptr 0
		.amdhsa_user_sgpr_queue_ptr 0
		.amdhsa_user_sgpr_kernarg_segment_ptr 1
		.amdhsa_user_sgpr_dispatch_id 0
		.amdhsa_user_sgpr_kernarg_preload_length 0
		.amdhsa_user_sgpr_kernarg_preload_offset 0
		.amdhsa_user_sgpr_private_segment_size 0
		.amdhsa_wavefront_size32 1
		.amdhsa_uses_dynamic_stack 0
		.amdhsa_enable_private_segment 0
		.amdhsa_system_sgpr_workgroup_id_x 1
		.amdhsa_system_sgpr_workgroup_id_y 0
		.amdhsa_system_sgpr_workgroup_id_z 0
		.amdhsa_system_sgpr_workgroup_info 0
		.amdhsa_system_vgpr_workitem_id 0
		.amdhsa_next_free_vgpr 1
		.amdhsa_next_free_sgpr 1
		.amdhsa_named_barrier_count 0
		.amdhsa_reserve_vcc 0
		.amdhsa_float_round_mode_32 0
		.amdhsa_float_round_mode_16_64 0
		.amdhsa_float_denorm_mode_32 3
		.amdhsa_float_denorm_mode_16_64 3
		.amdhsa_fp16_overflow 0
		.amdhsa_memory_ordered 1
		.amdhsa_forward_progress 1
		.amdhsa_inst_pref_size 0
		.amdhsa_round_robin_scheduling 0
		.amdhsa_exception_fp_ieee_invalid_op 0
		.amdhsa_exception_fp_denorm_src 0
		.amdhsa_exception_fp_ieee_div_zero 0
		.amdhsa_exception_fp_ieee_overflow 0
		.amdhsa_exception_fp_ieee_underflow 0
		.amdhsa_exception_fp_ieee_inexact 0
		.amdhsa_exception_int_div_zero 0
	.end_amdhsa_kernel
	.section	.text._ZN7rocprim17ROCPRIM_400000_NS6detail17trampoline_kernelINS0_14default_configENS1_27scan_by_key_config_selectorIifEEZZNS1_16scan_by_key_implILNS1_25lookback_scan_determinismE0ELb1ES3_N6thrust23THRUST_200600_302600_NS6detail15normal_iteratorINS9_10device_ptrIiEEEENSB_INSC_IfEEEESG_fNS9_4plusIvEENS9_8equal_toIvEEfEE10hipError_tPvRmT2_T3_T4_T5_mT6_T7_P12ihipStream_tbENKUlT_T0_E_clISt17integral_constantIbLb1EES11_EEDaSW_SX_EUlSW_E_NS1_11comp_targetILNS1_3genE2ELNS1_11target_archE906ELNS1_3gpuE6ELNS1_3repE0EEENS1_30default_config_static_selectorELNS0_4arch9wavefront6targetE0EEEvT1_,"axG",@progbits,_ZN7rocprim17ROCPRIM_400000_NS6detail17trampoline_kernelINS0_14default_configENS1_27scan_by_key_config_selectorIifEEZZNS1_16scan_by_key_implILNS1_25lookback_scan_determinismE0ELb1ES3_N6thrust23THRUST_200600_302600_NS6detail15normal_iteratorINS9_10device_ptrIiEEEENSB_INSC_IfEEEESG_fNS9_4plusIvEENS9_8equal_toIvEEfEE10hipError_tPvRmT2_T3_T4_T5_mT6_T7_P12ihipStream_tbENKUlT_T0_E_clISt17integral_constantIbLb1EES11_EEDaSW_SX_EUlSW_E_NS1_11comp_targetILNS1_3genE2ELNS1_11target_archE906ELNS1_3gpuE6ELNS1_3repE0EEENS1_30default_config_static_selectorELNS0_4arch9wavefront6targetE0EEEvT1_,comdat
.Lfunc_end1441:
	.size	_ZN7rocprim17ROCPRIM_400000_NS6detail17trampoline_kernelINS0_14default_configENS1_27scan_by_key_config_selectorIifEEZZNS1_16scan_by_key_implILNS1_25lookback_scan_determinismE0ELb1ES3_N6thrust23THRUST_200600_302600_NS6detail15normal_iteratorINS9_10device_ptrIiEEEENSB_INSC_IfEEEESG_fNS9_4plusIvEENS9_8equal_toIvEEfEE10hipError_tPvRmT2_T3_T4_T5_mT6_T7_P12ihipStream_tbENKUlT_T0_E_clISt17integral_constantIbLb1EES11_EEDaSW_SX_EUlSW_E_NS1_11comp_targetILNS1_3genE2ELNS1_11target_archE906ELNS1_3gpuE6ELNS1_3repE0EEENS1_30default_config_static_selectorELNS0_4arch9wavefront6targetE0EEEvT1_, .Lfunc_end1441-_ZN7rocprim17ROCPRIM_400000_NS6detail17trampoline_kernelINS0_14default_configENS1_27scan_by_key_config_selectorIifEEZZNS1_16scan_by_key_implILNS1_25lookback_scan_determinismE0ELb1ES3_N6thrust23THRUST_200600_302600_NS6detail15normal_iteratorINS9_10device_ptrIiEEEENSB_INSC_IfEEEESG_fNS9_4plusIvEENS9_8equal_toIvEEfEE10hipError_tPvRmT2_T3_T4_T5_mT6_T7_P12ihipStream_tbENKUlT_T0_E_clISt17integral_constantIbLb1EES11_EEDaSW_SX_EUlSW_E_NS1_11comp_targetILNS1_3genE2ELNS1_11target_archE906ELNS1_3gpuE6ELNS1_3repE0EEENS1_30default_config_static_selectorELNS0_4arch9wavefront6targetE0EEEvT1_
                                        ; -- End function
	.set _ZN7rocprim17ROCPRIM_400000_NS6detail17trampoline_kernelINS0_14default_configENS1_27scan_by_key_config_selectorIifEEZZNS1_16scan_by_key_implILNS1_25lookback_scan_determinismE0ELb1ES3_N6thrust23THRUST_200600_302600_NS6detail15normal_iteratorINS9_10device_ptrIiEEEENSB_INSC_IfEEEESG_fNS9_4plusIvEENS9_8equal_toIvEEfEE10hipError_tPvRmT2_T3_T4_T5_mT6_T7_P12ihipStream_tbENKUlT_T0_E_clISt17integral_constantIbLb1EES11_EEDaSW_SX_EUlSW_E_NS1_11comp_targetILNS1_3genE2ELNS1_11target_archE906ELNS1_3gpuE6ELNS1_3repE0EEENS1_30default_config_static_selectorELNS0_4arch9wavefront6targetE0EEEvT1_.num_vgpr, 0
	.set _ZN7rocprim17ROCPRIM_400000_NS6detail17trampoline_kernelINS0_14default_configENS1_27scan_by_key_config_selectorIifEEZZNS1_16scan_by_key_implILNS1_25lookback_scan_determinismE0ELb1ES3_N6thrust23THRUST_200600_302600_NS6detail15normal_iteratorINS9_10device_ptrIiEEEENSB_INSC_IfEEEESG_fNS9_4plusIvEENS9_8equal_toIvEEfEE10hipError_tPvRmT2_T3_T4_T5_mT6_T7_P12ihipStream_tbENKUlT_T0_E_clISt17integral_constantIbLb1EES11_EEDaSW_SX_EUlSW_E_NS1_11comp_targetILNS1_3genE2ELNS1_11target_archE906ELNS1_3gpuE6ELNS1_3repE0EEENS1_30default_config_static_selectorELNS0_4arch9wavefront6targetE0EEEvT1_.num_agpr, 0
	.set _ZN7rocprim17ROCPRIM_400000_NS6detail17trampoline_kernelINS0_14default_configENS1_27scan_by_key_config_selectorIifEEZZNS1_16scan_by_key_implILNS1_25lookback_scan_determinismE0ELb1ES3_N6thrust23THRUST_200600_302600_NS6detail15normal_iteratorINS9_10device_ptrIiEEEENSB_INSC_IfEEEESG_fNS9_4plusIvEENS9_8equal_toIvEEfEE10hipError_tPvRmT2_T3_T4_T5_mT6_T7_P12ihipStream_tbENKUlT_T0_E_clISt17integral_constantIbLb1EES11_EEDaSW_SX_EUlSW_E_NS1_11comp_targetILNS1_3genE2ELNS1_11target_archE906ELNS1_3gpuE6ELNS1_3repE0EEENS1_30default_config_static_selectorELNS0_4arch9wavefront6targetE0EEEvT1_.numbered_sgpr, 0
	.set _ZN7rocprim17ROCPRIM_400000_NS6detail17trampoline_kernelINS0_14default_configENS1_27scan_by_key_config_selectorIifEEZZNS1_16scan_by_key_implILNS1_25lookback_scan_determinismE0ELb1ES3_N6thrust23THRUST_200600_302600_NS6detail15normal_iteratorINS9_10device_ptrIiEEEENSB_INSC_IfEEEESG_fNS9_4plusIvEENS9_8equal_toIvEEfEE10hipError_tPvRmT2_T3_T4_T5_mT6_T7_P12ihipStream_tbENKUlT_T0_E_clISt17integral_constantIbLb1EES11_EEDaSW_SX_EUlSW_E_NS1_11comp_targetILNS1_3genE2ELNS1_11target_archE906ELNS1_3gpuE6ELNS1_3repE0EEENS1_30default_config_static_selectorELNS0_4arch9wavefront6targetE0EEEvT1_.num_named_barrier, 0
	.set _ZN7rocprim17ROCPRIM_400000_NS6detail17trampoline_kernelINS0_14default_configENS1_27scan_by_key_config_selectorIifEEZZNS1_16scan_by_key_implILNS1_25lookback_scan_determinismE0ELb1ES3_N6thrust23THRUST_200600_302600_NS6detail15normal_iteratorINS9_10device_ptrIiEEEENSB_INSC_IfEEEESG_fNS9_4plusIvEENS9_8equal_toIvEEfEE10hipError_tPvRmT2_T3_T4_T5_mT6_T7_P12ihipStream_tbENKUlT_T0_E_clISt17integral_constantIbLb1EES11_EEDaSW_SX_EUlSW_E_NS1_11comp_targetILNS1_3genE2ELNS1_11target_archE906ELNS1_3gpuE6ELNS1_3repE0EEENS1_30default_config_static_selectorELNS0_4arch9wavefront6targetE0EEEvT1_.private_seg_size, 0
	.set _ZN7rocprim17ROCPRIM_400000_NS6detail17trampoline_kernelINS0_14default_configENS1_27scan_by_key_config_selectorIifEEZZNS1_16scan_by_key_implILNS1_25lookback_scan_determinismE0ELb1ES3_N6thrust23THRUST_200600_302600_NS6detail15normal_iteratorINS9_10device_ptrIiEEEENSB_INSC_IfEEEESG_fNS9_4plusIvEENS9_8equal_toIvEEfEE10hipError_tPvRmT2_T3_T4_T5_mT6_T7_P12ihipStream_tbENKUlT_T0_E_clISt17integral_constantIbLb1EES11_EEDaSW_SX_EUlSW_E_NS1_11comp_targetILNS1_3genE2ELNS1_11target_archE906ELNS1_3gpuE6ELNS1_3repE0EEENS1_30default_config_static_selectorELNS0_4arch9wavefront6targetE0EEEvT1_.uses_vcc, 0
	.set _ZN7rocprim17ROCPRIM_400000_NS6detail17trampoline_kernelINS0_14default_configENS1_27scan_by_key_config_selectorIifEEZZNS1_16scan_by_key_implILNS1_25lookback_scan_determinismE0ELb1ES3_N6thrust23THRUST_200600_302600_NS6detail15normal_iteratorINS9_10device_ptrIiEEEENSB_INSC_IfEEEESG_fNS9_4plusIvEENS9_8equal_toIvEEfEE10hipError_tPvRmT2_T3_T4_T5_mT6_T7_P12ihipStream_tbENKUlT_T0_E_clISt17integral_constantIbLb1EES11_EEDaSW_SX_EUlSW_E_NS1_11comp_targetILNS1_3genE2ELNS1_11target_archE906ELNS1_3gpuE6ELNS1_3repE0EEENS1_30default_config_static_selectorELNS0_4arch9wavefront6targetE0EEEvT1_.uses_flat_scratch, 0
	.set _ZN7rocprim17ROCPRIM_400000_NS6detail17trampoline_kernelINS0_14default_configENS1_27scan_by_key_config_selectorIifEEZZNS1_16scan_by_key_implILNS1_25lookback_scan_determinismE0ELb1ES3_N6thrust23THRUST_200600_302600_NS6detail15normal_iteratorINS9_10device_ptrIiEEEENSB_INSC_IfEEEESG_fNS9_4plusIvEENS9_8equal_toIvEEfEE10hipError_tPvRmT2_T3_T4_T5_mT6_T7_P12ihipStream_tbENKUlT_T0_E_clISt17integral_constantIbLb1EES11_EEDaSW_SX_EUlSW_E_NS1_11comp_targetILNS1_3genE2ELNS1_11target_archE906ELNS1_3gpuE6ELNS1_3repE0EEENS1_30default_config_static_selectorELNS0_4arch9wavefront6targetE0EEEvT1_.has_dyn_sized_stack, 0
	.set _ZN7rocprim17ROCPRIM_400000_NS6detail17trampoline_kernelINS0_14default_configENS1_27scan_by_key_config_selectorIifEEZZNS1_16scan_by_key_implILNS1_25lookback_scan_determinismE0ELb1ES3_N6thrust23THRUST_200600_302600_NS6detail15normal_iteratorINS9_10device_ptrIiEEEENSB_INSC_IfEEEESG_fNS9_4plusIvEENS9_8equal_toIvEEfEE10hipError_tPvRmT2_T3_T4_T5_mT6_T7_P12ihipStream_tbENKUlT_T0_E_clISt17integral_constantIbLb1EES11_EEDaSW_SX_EUlSW_E_NS1_11comp_targetILNS1_3genE2ELNS1_11target_archE906ELNS1_3gpuE6ELNS1_3repE0EEENS1_30default_config_static_selectorELNS0_4arch9wavefront6targetE0EEEvT1_.has_recursion, 0
	.set _ZN7rocprim17ROCPRIM_400000_NS6detail17trampoline_kernelINS0_14default_configENS1_27scan_by_key_config_selectorIifEEZZNS1_16scan_by_key_implILNS1_25lookback_scan_determinismE0ELb1ES3_N6thrust23THRUST_200600_302600_NS6detail15normal_iteratorINS9_10device_ptrIiEEEENSB_INSC_IfEEEESG_fNS9_4plusIvEENS9_8equal_toIvEEfEE10hipError_tPvRmT2_T3_T4_T5_mT6_T7_P12ihipStream_tbENKUlT_T0_E_clISt17integral_constantIbLb1EES11_EEDaSW_SX_EUlSW_E_NS1_11comp_targetILNS1_3genE2ELNS1_11target_archE906ELNS1_3gpuE6ELNS1_3repE0EEENS1_30default_config_static_selectorELNS0_4arch9wavefront6targetE0EEEvT1_.has_indirect_call, 0
	.section	.AMDGPU.csdata,"",@progbits
; Kernel info:
; codeLenInByte = 0
; TotalNumSgprs: 0
; NumVgprs: 0
; ScratchSize: 0
; MemoryBound: 0
; FloatMode: 240
; IeeeMode: 1
; LDSByteSize: 0 bytes/workgroup (compile time only)
; SGPRBlocks: 0
; VGPRBlocks: 0
; NumSGPRsForWavesPerEU: 1
; NumVGPRsForWavesPerEU: 1
; NamedBarCnt: 0
; Occupancy: 16
; WaveLimiterHint : 0
; COMPUTE_PGM_RSRC2:SCRATCH_EN: 0
; COMPUTE_PGM_RSRC2:USER_SGPR: 2
; COMPUTE_PGM_RSRC2:TRAP_HANDLER: 0
; COMPUTE_PGM_RSRC2:TGID_X_EN: 1
; COMPUTE_PGM_RSRC2:TGID_Y_EN: 0
; COMPUTE_PGM_RSRC2:TGID_Z_EN: 0
; COMPUTE_PGM_RSRC2:TIDIG_COMP_CNT: 0
	.section	.text._ZN7rocprim17ROCPRIM_400000_NS6detail17trampoline_kernelINS0_14default_configENS1_27scan_by_key_config_selectorIifEEZZNS1_16scan_by_key_implILNS1_25lookback_scan_determinismE0ELb1ES3_N6thrust23THRUST_200600_302600_NS6detail15normal_iteratorINS9_10device_ptrIiEEEENSB_INSC_IfEEEESG_fNS9_4plusIvEENS9_8equal_toIvEEfEE10hipError_tPvRmT2_T3_T4_T5_mT6_T7_P12ihipStream_tbENKUlT_T0_E_clISt17integral_constantIbLb1EES11_EEDaSW_SX_EUlSW_E_NS1_11comp_targetILNS1_3genE10ELNS1_11target_archE1200ELNS1_3gpuE4ELNS1_3repE0EEENS1_30default_config_static_selectorELNS0_4arch9wavefront6targetE0EEEvT1_,"axG",@progbits,_ZN7rocprim17ROCPRIM_400000_NS6detail17trampoline_kernelINS0_14default_configENS1_27scan_by_key_config_selectorIifEEZZNS1_16scan_by_key_implILNS1_25lookback_scan_determinismE0ELb1ES3_N6thrust23THRUST_200600_302600_NS6detail15normal_iteratorINS9_10device_ptrIiEEEENSB_INSC_IfEEEESG_fNS9_4plusIvEENS9_8equal_toIvEEfEE10hipError_tPvRmT2_T3_T4_T5_mT6_T7_P12ihipStream_tbENKUlT_T0_E_clISt17integral_constantIbLb1EES11_EEDaSW_SX_EUlSW_E_NS1_11comp_targetILNS1_3genE10ELNS1_11target_archE1200ELNS1_3gpuE4ELNS1_3repE0EEENS1_30default_config_static_selectorELNS0_4arch9wavefront6targetE0EEEvT1_,comdat
	.protected	_ZN7rocprim17ROCPRIM_400000_NS6detail17trampoline_kernelINS0_14default_configENS1_27scan_by_key_config_selectorIifEEZZNS1_16scan_by_key_implILNS1_25lookback_scan_determinismE0ELb1ES3_N6thrust23THRUST_200600_302600_NS6detail15normal_iteratorINS9_10device_ptrIiEEEENSB_INSC_IfEEEESG_fNS9_4plusIvEENS9_8equal_toIvEEfEE10hipError_tPvRmT2_T3_T4_T5_mT6_T7_P12ihipStream_tbENKUlT_T0_E_clISt17integral_constantIbLb1EES11_EEDaSW_SX_EUlSW_E_NS1_11comp_targetILNS1_3genE10ELNS1_11target_archE1200ELNS1_3gpuE4ELNS1_3repE0EEENS1_30default_config_static_selectorELNS0_4arch9wavefront6targetE0EEEvT1_ ; -- Begin function _ZN7rocprim17ROCPRIM_400000_NS6detail17trampoline_kernelINS0_14default_configENS1_27scan_by_key_config_selectorIifEEZZNS1_16scan_by_key_implILNS1_25lookback_scan_determinismE0ELb1ES3_N6thrust23THRUST_200600_302600_NS6detail15normal_iteratorINS9_10device_ptrIiEEEENSB_INSC_IfEEEESG_fNS9_4plusIvEENS9_8equal_toIvEEfEE10hipError_tPvRmT2_T3_T4_T5_mT6_T7_P12ihipStream_tbENKUlT_T0_E_clISt17integral_constantIbLb1EES11_EEDaSW_SX_EUlSW_E_NS1_11comp_targetILNS1_3genE10ELNS1_11target_archE1200ELNS1_3gpuE4ELNS1_3repE0EEENS1_30default_config_static_selectorELNS0_4arch9wavefront6targetE0EEEvT1_
	.globl	_ZN7rocprim17ROCPRIM_400000_NS6detail17trampoline_kernelINS0_14default_configENS1_27scan_by_key_config_selectorIifEEZZNS1_16scan_by_key_implILNS1_25lookback_scan_determinismE0ELb1ES3_N6thrust23THRUST_200600_302600_NS6detail15normal_iteratorINS9_10device_ptrIiEEEENSB_INSC_IfEEEESG_fNS9_4plusIvEENS9_8equal_toIvEEfEE10hipError_tPvRmT2_T3_T4_T5_mT6_T7_P12ihipStream_tbENKUlT_T0_E_clISt17integral_constantIbLb1EES11_EEDaSW_SX_EUlSW_E_NS1_11comp_targetILNS1_3genE10ELNS1_11target_archE1200ELNS1_3gpuE4ELNS1_3repE0EEENS1_30default_config_static_selectorELNS0_4arch9wavefront6targetE0EEEvT1_
	.p2align	8
	.type	_ZN7rocprim17ROCPRIM_400000_NS6detail17trampoline_kernelINS0_14default_configENS1_27scan_by_key_config_selectorIifEEZZNS1_16scan_by_key_implILNS1_25lookback_scan_determinismE0ELb1ES3_N6thrust23THRUST_200600_302600_NS6detail15normal_iteratorINS9_10device_ptrIiEEEENSB_INSC_IfEEEESG_fNS9_4plusIvEENS9_8equal_toIvEEfEE10hipError_tPvRmT2_T3_T4_T5_mT6_T7_P12ihipStream_tbENKUlT_T0_E_clISt17integral_constantIbLb1EES11_EEDaSW_SX_EUlSW_E_NS1_11comp_targetILNS1_3genE10ELNS1_11target_archE1200ELNS1_3gpuE4ELNS1_3repE0EEENS1_30default_config_static_selectorELNS0_4arch9wavefront6targetE0EEEvT1_,@function
_ZN7rocprim17ROCPRIM_400000_NS6detail17trampoline_kernelINS0_14default_configENS1_27scan_by_key_config_selectorIifEEZZNS1_16scan_by_key_implILNS1_25lookback_scan_determinismE0ELb1ES3_N6thrust23THRUST_200600_302600_NS6detail15normal_iteratorINS9_10device_ptrIiEEEENSB_INSC_IfEEEESG_fNS9_4plusIvEENS9_8equal_toIvEEfEE10hipError_tPvRmT2_T3_T4_T5_mT6_T7_P12ihipStream_tbENKUlT_T0_E_clISt17integral_constantIbLb1EES11_EEDaSW_SX_EUlSW_E_NS1_11comp_targetILNS1_3genE10ELNS1_11target_archE1200ELNS1_3gpuE4ELNS1_3repE0EEENS1_30default_config_static_selectorELNS0_4arch9wavefront6targetE0EEEvT1_: ; @_ZN7rocprim17ROCPRIM_400000_NS6detail17trampoline_kernelINS0_14default_configENS1_27scan_by_key_config_selectorIifEEZZNS1_16scan_by_key_implILNS1_25lookback_scan_determinismE0ELb1ES3_N6thrust23THRUST_200600_302600_NS6detail15normal_iteratorINS9_10device_ptrIiEEEENSB_INSC_IfEEEESG_fNS9_4plusIvEENS9_8equal_toIvEEfEE10hipError_tPvRmT2_T3_T4_T5_mT6_T7_P12ihipStream_tbENKUlT_T0_E_clISt17integral_constantIbLb1EES11_EEDaSW_SX_EUlSW_E_NS1_11comp_targetILNS1_3genE10ELNS1_11target_archE1200ELNS1_3gpuE4ELNS1_3repE0EEENS1_30default_config_static_selectorELNS0_4arch9wavefront6targetE0EEEvT1_
; %bb.0:
	.section	.rodata,"a",@progbits
	.p2align	6, 0x0
	.amdhsa_kernel _ZN7rocprim17ROCPRIM_400000_NS6detail17trampoline_kernelINS0_14default_configENS1_27scan_by_key_config_selectorIifEEZZNS1_16scan_by_key_implILNS1_25lookback_scan_determinismE0ELb1ES3_N6thrust23THRUST_200600_302600_NS6detail15normal_iteratorINS9_10device_ptrIiEEEENSB_INSC_IfEEEESG_fNS9_4plusIvEENS9_8equal_toIvEEfEE10hipError_tPvRmT2_T3_T4_T5_mT6_T7_P12ihipStream_tbENKUlT_T0_E_clISt17integral_constantIbLb1EES11_EEDaSW_SX_EUlSW_E_NS1_11comp_targetILNS1_3genE10ELNS1_11target_archE1200ELNS1_3gpuE4ELNS1_3repE0EEENS1_30default_config_static_selectorELNS0_4arch9wavefront6targetE0EEEvT1_
		.amdhsa_group_segment_fixed_size 0
		.amdhsa_private_segment_fixed_size 0
		.amdhsa_kernarg_size 112
		.amdhsa_user_sgpr_count 2
		.amdhsa_user_sgpr_dispatch_ptr 0
		.amdhsa_user_sgpr_queue_ptr 0
		.amdhsa_user_sgpr_kernarg_segment_ptr 1
		.amdhsa_user_sgpr_dispatch_id 0
		.amdhsa_user_sgpr_kernarg_preload_length 0
		.amdhsa_user_sgpr_kernarg_preload_offset 0
		.amdhsa_user_sgpr_private_segment_size 0
		.amdhsa_wavefront_size32 1
		.amdhsa_uses_dynamic_stack 0
		.amdhsa_enable_private_segment 0
		.amdhsa_system_sgpr_workgroup_id_x 1
		.amdhsa_system_sgpr_workgroup_id_y 0
		.amdhsa_system_sgpr_workgroup_id_z 0
		.amdhsa_system_sgpr_workgroup_info 0
		.amdhsa_system_vgpr_workitem_id 0
		.amdhsa_next_free_vgpr 1
		.amdhsa_next_free_sgpr 1
		.amdhsa_named_barrier_count 0
		.amdhsa_reserve_vcc 0
		.amdhsa_float_round_mode_32 0
		.amdhsa_float_round_mode_16_64 0
		.amdhsa_float_denorm_mode_32 3
		.amdhsa_float_denorm_mode_16_64 3
		.amdhsa_fp16_overflow 0
		.amdhsa_memory_ordered 1
		.amdhsa_forward_progress 1
		.amdhsa_inst_pref_size 0
		.amdhsa_round_robin_scheduling 0
		.amdhsa_exception_fp_ieee_invalid_op 0
		.amdhsa_exception_fp_denorm_src 0
		.amdhsa_exception_fp_ieee_div_zero 0
		.amdhsa_exception_fp_ieee_overflow 0
		.amdhsa_exception_fp_ieee_underflow 0
		.amdhsa_exception_fp_ieee_inexact 0
		.amdhsa_exception_int_div_zero 0
	.end_amdhsa_kernel
	.section	.text._ZN7rocprim17ROCPRIM_400000_NS6detail17trampoline_kernelINS0_14default_configENS1_27scan_by_key_config_selectorIifEEZZNS1_16scan_by_key_implILNS1_25lookback_scan_determinismE0ELb1ES3_N6thrust23THRUST_200600_302600_NS6detail15normal_iteratorINS9_10device_ptrIiEEEENSB_INSC_IfEEEESG_fNS9_4plusIvEENS9_8equal_toIvEEfEE10hipError_tPvRmT2_T3_T4_T5_mT6_T7_P12ihipStream_tbENKUlT_T0_E_clISt17integral_constantIbLb1EES11_EEDaSW_SX_EUlSW_E_NS1_11comp_targetILNS1_3genE10ELNS1_11target_archE1200ELNS1_3gpuE4ELNS1_3repE0EEENS1_30default_config_static_selectorELNS0_4arch9wavefront6targetE0EEEvT1_,"axG",@progbits,_ZN7rocprim17ROCPRIM_400000_NS6detail17trampoline_kernelINS0_14default_configENS1_27scan_by_key_config_selectorIifEEZZNS1_16scan_by_key_implILNS1_25lookback_scan_determinismE0ELb1ES3_N6thrust23THRUST_200600_302600_NS6detail15normal_iteratorINS9_10device_ptrIiEEEENSB_INSC_IfEEEESG_fNS9_4plusIvEENS9_8equal_toIvEEfEE10hipError_tPvRmT2_T3_T4_T5_mT6_T7_P12ihipStream_tbENKUlT_T0_E_clISt17integral_constantIbLb1EES11_EEDaSW_SX_EUlSW_E_NS1_11comp_targetILNS1_3genE10ELNS1_11target_archE1200ELNS1_3gpuE4ELNS1_3repE0EEENS1_30default_config_static_selectorELNS0_4arch9wavefront6targetE0EEEvT1_,comdat
.Lfunc_end1442:
	.size	_ZN7rocprim17ROCPRIM_400000_NS6detail17trampoline_kernelINS0_14default_configENS1_27scan_by_key_config_selectorIifEEZZNS1_16scan_by_key_implILNS1_25lookback_scan_determinismE0ELb1ES3_N6thrust23THRUST_200600_302600_NS6detail15normal_iteratorINS9_10device_ptrIiEEEENSB_INSC_IfEEEESG_fNS9_4plusIvEENS9_8equal_toIvEEfEE10hipError_tPvRmT2_T3_T4_T5_mT6_T7_P12ihipStream_tbENKUlT_T0_E_clISt17integral_constantIbLb1EES11_EEDaSW_SX_EUlSW_E_NS1_11comp_targetILNS1_3genE10ELNS1_11target_archE1200ELNS1_3gpuE4ELNS1_3repE0EEENS1_30default_config_static_selectorELNS0_4arch9wavefront6targetE0EEEvT1_, .Lfunc_end1442-_ZN7rocprim17ROCPRIM_400000_NS6detail17trampoline_kernelINS0_14default_configENS1_27scan_by_key_config_selectorIifEEZZNS1_16scan_by_key_implILNS1_25lookback_scan_determinismE0ELb1ES3_N6thrust23THRUST_200600_302600_NS6detail15normal_iteratorINS9_10device_ptrIiEEEENSB_INSC_IfEEEESG_fNS9_4plusIvEENS9_8equal_toIvEEfEE10hipError_tPvRmT2_T3_T4_T5_mT6_T7_P12ihipStream_tbENKUlT_T0_E_clISt17integral_constantIbLb1EES11_EEDaSW_SX_EUlSW_E_NS1_11comp_targetILNS1_3genE10ELNS1_11target_archE1200ELNS1_3gpuE4ELNS1_3repE0EEENS1_30default_config_static_selectorELNS0_4arch9wavefront6targetE0EEEvT1_
                                        ; -- End function
	.set _ZN7rocprim17ROCPRIM_400000_NS6detail17trampoline_kernelINS0_14default_configENS1_27scan_by_key_config_selectorIifEEZZNS1_16scan_by_key_implILNS1_25lookback_scan_determinismE0ELb1ES3_N6thrust23THRUST_200600_302600_NS6detail15normal_iteratorINS9_10device_ptrIiEEEENSB_INSC_IfEEEESG_fNS9_4plusIvEENS9_8equal_toIvEEfEE10hipError_tPvRmT2_T3_T4_T5_mT6_T7_P12ihipStream_tbENKUlT_T0_E_clISt17integral_constantIbLb1EES11_EEDaSW_SX_EUlSW_E_NS1_11comp_targetILNS1_3genE10ELNS1_11target_archE1200ELNS1_3gpuE4ELNS1_3repE0EEENS1_30default_config_static_selectorELNS0_4arch9wavefront6targetE0EEEvT1_.num_vgpr, 0
	.set _ZN7rocprim17ROCPRIM_400000_NS6detail17trampoline_kernelINS0_14default_configENS1_27scan_by_key_config_selectorIifEEZZNS1_16scan_by_key_implILNS1_25lookback_scan_determinismE0ELb1ES3_N6thrust23THRUST_200600_302600_NS6detail15normal_iteratorINS9_10device_ptrIiEEEENSB_INSC_IfEEEESG_fNS9_4plusIvEENS9_8equal_toIvEEfEE10hipError_tPvRmT2_T3_T4_T5_mT6_T7_P12ihipStream_tbENKUlT_T0_E_clISt17integral_constantIbLb1EES11_EEDaSW_SX_EUlSW_E_NS1_11comp_targetILNS1_3genE10ELNS1_11target_archE1200ELNS1_3gpuE4ELNS1_3repE0EEENS1_30default_config_static_selectorELNS0_4arch9wavefront6targetE0EEEvT1_.num_agpr, 0
	.set _ZN7rocprim17ROCPRIM_400000_NS6detail17trampoline_kernelINS0_14default_configENS1_27scan_by_key_config_selectorIifEEZZNS1_16scan_by_key_implILNS1_25lookback_scan_determinismE0ELb1ES3_N6thrust23THRUST_200600_302600_NS6detail15normal_iteratorINS9_10device_ptrIiEEEENSB_INSC_IfEEEESG_fNS9_4plusIvEENS9_8equal_toIvEEfEE10hipError_tPvRmT2_T3_T4_T5_mT6_T7_P12ihipStream_tbENKUlT_T0_E_clISt17integral_constantIbLb1EES11_EEDaSW_SX_EUlSW_E_NS1_11comp_targetILNS1_3genE10ELNS1_11target_archE1200ELNS1_3gpuE4ELNS1_3repE0EEENS1_30default_config_static_selectorELNS0_4arch9wavefront6targetE0EEEvT1_.numbered_sgpr, 0
	.set _ZN7rocprim17ROCPRIM_400000_NS6detail17trampoline_kernelINS0_14default_configENS1_27scan_by_key_config_selectorIifEEZZNS1_16scan_by_key_implILNS1_25lookback_scan_determinismE0ELb1ES3_N6thrust23THRUST_200600_302600_NS6detail15normal_iteratorINS9_10device_ptrIiEEEENSB_INSC_IfEEEESG_fNS9_4plusIvEENS9_8equal_toIvEEfEE10hipError_tPvRmT2_T3_T4_T5_mT6_T7_P12ihipStream_tbENKUlT_T0_E_clISt17integral_constantIbLb1EES11_EEDaSW_SX_EUlSW_E_NS1_11comp_targetILNS1_3genE10ELNS1_11target_archE1200ELNS1_3gpuE4ELNS1_3repE0EEENS1_30default_config_static_selectorELNS0_4arch9wavefront6targetE0EEEvT1_.num_named_barrier, 0
	.set _ZN7rocprim17ROCPRIM_400000_NS6detail17trampoline_kernelINS0_14default_configENS1_27scan_by_key_config_selectorIifEEZZNS1_16scan_by_key_implILNS1_25lookback_scan_determinismE0ELb1ES3_N6thrust23THRUST_200600_302600_NS6detail15normal_iteratorINS9_10device_ptrIiEEEENSB_INSC_IfEEEESG_fNS9_4plusIvEENS9_8equal_toIvEEfEE10hipError_tPvRmT2_T3_T4_T5_mT6_T7_P12ihipStream_tbENKUlT_T0_E_clISt17integral_constantIbLb1EES11_EEDaSW_SX_EUlSW_E_NS1_11comp_targetILNS1_3genE10ELNS1_11target_archE1200ELNS1_3gpuE4ELNS1_3repE0EEENS1_30default_config_static_selectorELNS0_4arch9wavefront6targetE0EEEvT1_.private_seg_size, 0
	.set _ZN7rocprim17ROCPRIM_400000_NS6detail17trampoline_kernelINS0_14default_configENS1_27scan_by_key_config_selectorIifEEZZNS1_16scan_by_key_implILNS1_25lookback_scan_determinismE0ELb1ES3_N6thrust23THRUST_200600_302600_NS6detail15normal_iteratorINS9_10device_ptrIiEEEENSB_INSC_IfEEEESG_fNS9_4plusIvEENS9_8equal_toIvEEfEE10hipError_tPvRmT2_T3_T4_T5_mT6_T7_P12ihipStream_tbENKUlT_T0_E_clISt17integral_constantIbLb1EES11_EEDaSW_SX_EUlSW_E_NS1_11comp_targetILNS1_3genE10ELNS1_11target_archE1200ELNS1_3gpuE4ELNS1_3repE0EEENS1_30default_config_static_selectorELNS0_4arch9wavefront6targetE0EEEvT1_.uses_vcc, 0
	.set _ZN7rocprim17ROCPRIM_400000_NS6detail17trampoline_kernelINS0_14default_configENS1_27scan_by_key_config_selectorIifEEZZNS1_16scan_by_key_implILNS1_25lookback_scan_determinismE0ELb1ES3_N6thrust23THRUST_200600_302600_NS6detail15normal_iteratorINS9_10device_ptrIiEEEENSB_INSC_IfEEEESG_fNS9_4plusIvEENS9_8equal_toIvEEfEE10hipError_tPvRmT2_T3_T4_T5_mT6_T7_P12ihipStream_tbENKUlT_T0_E_clISt17integral_constantIbLb1EES11_EEDaSW_SX_EUlSW_E_NS1_11comp_targetILNS1_3genE10ELNS1_11target_archE1200ELNS1_3gpuE4ELNS1_3repE0EEENS1_30default_config_static_selectorELNS0_4arch9wavefront6targetE0EEEvT1_.uses_flat_scratch, 0
	.set _ZN7rocprim17ROCPRIM_400000_NS6detail17trampoline_kernelINS0_14default_configENS1_27scan_by_key_config_selectorIifEEZZNS1_16scan_by_key_implILNS1_25lookback_scan_determinismE0ELb1ES3_N6thrust23THRUST_200600_302600_NS6detail15normal_iteratorINS9_10device_ptrIiEEEENSB_INSC_IfEEEESG_fNS9_4plusIvEENS9_8equal_toIvEEfEE10hipError_tPvRmT2_T3_T4_T5_mT6_T7_P12ihipStream_tbENKUlT_T0_E_clISt17integral_constantIbLb1EES11_EEDaSW_SX_EUlSW_E_NS1_11comp_targetILNS1_3genE10ELNS1_11target_archE1200ELNS1_3gpuE4ELNS1_3repE0EEENS1_30default_config_static_selectorELNS0_4arch9wavefront6targetE0EEEvT1_.has_dyn_sized_stack, 0
	.set _ZN7rocprim17ROCPRIM_400000_NS6detail17trampoline_kernelINS0_14default_configENS1_27scan_by_key_config_selectorIifEEZZNS1_16scan_by_key_implILNS1_25lookback_scan_determinismE0ELb1ES3_N6thrust23THRUST_200600_302600_NS6detail15normal_iteratorINS9_10device_ptrIiEEEENSB_INSC_IfEEEESG_fNS9_4plusIvEENS9_8equal_toIvEEfEE10hipError_tPvRmT2_T3_T4_T5_mT6_T7_P12ihipStream_tbENKUlT_T0_E_clISt17integral_constantIbLb1EES11_EEDaSW_SX_EUlSW_E_NS1_11comp_targetILNS1_3genE10ELNS1_11target_archE1200ELNS1_3gpuE4ELNS1_3repE0EEENS1_30default_config_static_selectorELNS0_4arch9wavefront6targetE0EEEvT1_.has_recursion, 0
	.set _ZN7rocprim17ROCPRIM_400000_NS6detail17trampoline_kernelINS0_14default_configENS1_27scan_by_key_config_selectorIifEEZZNS1_16scan_by_key_implILNS1_25lookback_scan_determinismE0ELb1ES3_N6thrust23THRUST_200600_302600_NS6detail15normal_iteratorINS9_10device_ptrIiEEEENSB_INSC_IfEEEESG_fNS9_4plusIvEENS9_8equal_toIvEEfEE10hipError_tPvRmT2_T3_T4_T5_mT6_T7_P12ihipStream_tbENKUlT_T0_E_clISt17integral_constantIbLb1EES11_EEDaSW_SX_EUlSW_E_NS1_11comp_targetILNS1_3genE10ELNS1_11target_archE1200ELNS1_3gpuE4ELNS1_3repE0EEENS1_30default_config_static_selectorELNS0_4arch9wavefront6targetE0EEEvT1_.has_indirect_call, 0
	.section	.AMDGPU.csdata,"",@progbits
; Kernel info:
; codeLenInByte = 0
; TotalNumSgprs: 0
; NumVgprs: 0
; ScratchSize: 0
; MemoryBound: 0
; FloatMode: 240
; IeeeMode: 1
; LDSByteSize: 0 bytes/workgroup (compile time only)
; SGPRBlocks: 0
; VGPRBlocks: 0
; NumSGPRsForWavesPerEU: 1
; NumVGPRsForWavesPerEU: 1
; NamedBarCnt: 0
; Occupancy: 16
; WaveLimiterHint : 0
; COMPUTE_PGM_RSRC2:SCRATCH_EN: 0
; COMPUTE_PGM_RSRC2:USER_SGPR: 2
; COMPUTE_PGM_RSRC2:TRAP_HANDLER: 0
; COMPUTE_PGM_RSRC2:TGID_X_EN: 1
; COMPUTE_PGM_RSRC2:TGID_Y_EN: 0
; COMPUTE_PGM_RSRC2:TGID_Z_EN: 0
; COMPUTE_PGM_RSRC2:TIDIG_COMP_CNT: 0
	.section	.text._ZN7rocprim17ROCPRIM_400000_NS6detail17trampoline_kernelINS0_14default_configENS1_27scan_by_key_config_selectorIifEEZZNS1_16scan_by_key_implILNS1_25lookback_scan_determinismE0ELb1ES3_N6thrust23THRUST_200600_302600_NS6detail15normal_iteratorINS9_10device_ptrIiEEEENSB_INSC_IfEEEESG_fNS9_4plusIvEENS9_8equal_toIvEEfEE10hipError_tPvRmT2_T3_T4_T5_mT6_T7_P12ihipStream_tbENKUlT_T0_E_clISt17integral_constantIbLb1EES11_EEDaSW_SX_EUlSW_E_NS1_11comp_targetILNS1_3genE9ELNS1_11target_archE1100ELNS1_3gpuE3ELNS1_3repE0EEENS1_30default_config_static_selectorELNS0_4arch9wavefront6targetE0EEEvT1_,"axG",@progbits,_ZN7rocprim17ROCPRIM_400000_NS6detail17trampoline_kernelINS0_14default_configENS1_27scan_by_key_config_selectorIifEEZZNS1_16scan_by_key_implILNS1_25lookback_scan_determinismE0ELb1ES3_N6thrust23THRUST_200600_302600_NS6detail15normal_iteratorINS9_10device_ptrIiEEEENSB_INSC_IfEEEESG_fNS9_4plusIvEENS9_8equal_toIvEEfEE10hipError_tPvRmT2_T3_T4_T5_mT6_T7_P12ihipStream_tbENKUlT_T0_E_clISt17integral_constantIbLb1EES11_EEDaSW_SX_EUlSW_E_NS1_11comp_targetILNS1_3genE9ELNS1_11target_archE1100ELNS1_3gpuE3ELNS1_3repE0EEENS1_30default_config_static_selectorELNS0_4arch9wavefront6targetE0EEEvT1_,comdat
	.protected	_ZN7rocprim17ROCPRIM_400000_NS6detail17trampoline_kernelINS0_14default_configENS1_27scan_by_key_config_selectorIifEEZZNS1_16scan_by_key_implILNS1_25lookback_scan_determinismE0ELb1ES3_N6thrust23THRUST_200600_302600_NS6detail15normal_iteratorINS9_10device_ptrIiEEEENSB_INSC_IfEEEESG_fNS9_4plusIvEENS9_8equal_toIvEEfEE10hipError_tPvRmT2_T3_T4_T5_mT6_T7_P12ihipStream_tbENKUlT_T0_E_clISt17integral_constantIbLb1EES11_EEDaSW_SX_EUlSW_E_NS1_11comp_targetILNS1_3genE9ELNS1_11target_archE1100ELNS1_3gpuE3ELNS1_3repE0EEENS1_30default_config_static_selectorELNS0_4arch9wavefront6targetE0EEEvT1_ ; -- Begin function _ZN7rocprim17ROCPRIM_400000_NS6detail17trampoline_kernelINS0_14default_configENS1_27scan_by_key_config_selectorIifEEZZNS1_16scan_by_key_implILNS1_25lookback_scan_determinismE0ELb1ES3_N6thrust23THRUST_200600_302600_NS6detail15normal_iteratorINS9_10device_ptrIiEEEENSB_INSC_IfEEEESG_fNS9_4plusIvEENS9_8equal_toIvEEfEE10hipError_tPvRmT2_T3_T4_T5_mT6_T7_P12ihipStream_tbENKUlT_T0_E_clISt17integral_constantIbLb1EES11_EEDaSW_SX_EUlSW_E_NS1_11comp_targetILNS1_3genE9ELNS1_11target_archE1100ELNS1_3gpuE3ELNS1_3repE0EEENS1_30default_config_static_selectorELNS0_4arch9wavefront6targetE0EEEvT1_
	.globl	_ZN7rocprim17ROCPRIM_400000_NS6detail17trampoline_kernelINS0_14default_configENS1_27scan_by_key_config_selectorIifEEZZNS1_16scan_by_key_implILNS1_25lookback_scan_determinismE0ELb1ES3_N6thrust23THRUST_200600_302600_NS6detail15normal_iteratorINS9_10device_ptrIiEEEENSB_INSC_IfEEEESG_fNS9_4plusIvEENS9_8equal_toIvEEfEE10hipError_tPvRmT2_T3_T4_T5_mT6_T7_P12ihipStream_tbENKUlT_T0_E_clISt17integral_constantIbLb1EES11_EEDaSW_SX_EUlSW_E_NS1_11comp_targetILNS1_3genE9ELNS1_11target_archE1100ELNS1_3gpuE3ELNS1_3repE0EEENS1_30default_config_static_selectorELNS0_4arch9wavefront6targetE0EEEvT1_
	.p2align	8
	.type	_ZN7rocprim17ROCPRIM_400000_NS6detail17trampoline_kernelINS0_14default_configENS1_27scan_by_key_config_selectorIifEEZZNS1_16scan_by_key_implILNS1_25lookback_scan_determinismE0ELb1ES3_N6thrust23THRUST_200600_302600_NS6detail15normal_iteratorINS9_10device_ptrIiEEEENSB_INSC_IfEEEESG_fNS9_4plusIvEENS9_8equal_toIvEEfEE10hipError_tPvRmT2_T3_T4_T5_mT6_T7_P12ihipStream_tbENKUlT_T0_E_clISt17integral_constantIbLb1EES11_EEDaSW_SX_EUlSW_E_NS1_11comp_targetILNS1_3genE9ELNS1_11target_archE1100ELNS1_3gpuE3ELNS1_3repE0EEENS1_30default_config_static_selectorELNS0_4arch9wavefront6targetE0EEEvT1_,@function
_ZN7rocprim17ROCPRIM_400000_NS6detail17trampoline_kernelINS0_14default_configENS1_27scan_by_key_config_selectorIifEEZZNS1_16scan_by_key_implILNS1_25lookback_scan_determinismE0ELb1ES3_N6thrust23THRUST_200600_302600_NS6detail15normal_iteratorINS9_10device_ptrIiEEEENSB_INSC_IfEEEESG_fNS9_4plusIvEENS9_8equal_toIvEEfEE10hipError_tPvRmT2_T3_T4_T5_mT6_T7_P12ihipStream_tbENKUlT_T0_E_clISt17integral_constantIbLb1EES11_EEDaSW_SX_EUlSW_E_NS1_11comp_targetILNS1_3genE9ELNS1_11target_archE1100ELNS1_3gpuE3ELNS1_3repE0EEENS1_30default_config_static_selectorELNS0_4arch9wavefront6targetE0EEEvT1_: ; @_ZN7rocprim17ROCPRIM_400000_NS6detail17trampoline_kernelINS0_14default_configENS1_27scan_by_key_config_selectorIifEEZZNS1_16scan_by_key_implILNS1_25lookback_scan_determinismE0ELb1ES3_N6thrust23THRUST_200600_302600_NS6detail15normal_iteratorINS9_10device_ptrIiEEEENSB_INSC_IfEEEESG_fNS9_4plusIvEENS9_8equal_toIvEEfEE10hipError_tPvRmT2_T3_T4_T5_mT6_T7_P12ihipStream_tbENKUlT_T0_E_clISt17integral_constantIbLb1EES11_EEDaSW_SX_EUlSW_E_NS1_11comp_targetILNS1_3genE9ELNS1_11target_archE1100ELNS1_3gpuE3ELNS1_3repE0EEENS1_30default_config_static_selectorELNS0_4arch9wavefront6targetE0EEEvT1_
; %bb.0:
	.section	.rodata,"a",@progbits
	.p2align	6, 0x0
	.amdhsa_kernel _ZN7rocprim17ROCPRIM_400000_NS6detail17trampoline_kernelINS0_14default_configENS1_27scan_by_key_config_selectorIifEEZZNS1_16scan_by_key_implILNS1_25lookback_scan_determinismE0ELb1ES3_N6thrust23THRUST_200600_302600_NS6detail15normal_iteratorINS9_10device_ptrIiEEEENSB_INSC_IfEEEESG_fNS9_4plusIvEENS9_8equal_toIvEEfEE10hipError_tPvRmT2_T3_T4_T5_mT6_T7_P12ihipStream_tbENKUlT_T0_E_clISt17integral_constantIbLb1EES11_EEDaSW_SX_EUlSW_E_NS1_11comp_targetILNS1_3genE9ELNS1_11target_archE1100ELNS1_3gpuE3ELNS1_3repE0EEENS1_30default_config_static_selectorELNS0_4arch9wavefront6targetE0EEEvT1_
		.amdhsa_group_segment_fixed_size 0
		.amdhsa_private_segment_fixed_size 0
		.amdhsa_kernarg_size 112
		.amdhsa_user_sgpr_count 2
		.amdhsa_user_sgpr_dispatch_ptr 0
		.amdhsa_user_sgpr_queue_ptr 0
		.amdhsa_user_sgpr_kernarg_segment_ptr 1
		.amdhsa_user_sgpr_dispatch_id 0
		.amdhsa_user_sgpr_kernarg_preload_length 0
		.amdhsa_user_sgpr_kernarg_preload_offset 0
		.amdhsa_user_sgpr_private_segment_size 0
		.amdhsa_wavefront_size32 1
		.amdhsa_uses_dynamic_stack 0
		.amdhsa_enable_private_segment 0
		.amdhsa_system_sgpr_workgroup_id_x 1
		.amdhsa_system_sgpr_workgroup_id_y 0
		.amdhsa_system_sgpr_workgroup_id_z 0
		.amdhsa_system_sgpr_workgroup_info 0
		.amdhsa_system_vgpr_workitem_id 0
		.amdhsa_next_free_vgpr 1
		.amdhsa_next_free_sgpr 1
		.amdhsa_named_barrier_count 0
		.amdhsa_reserve_vcc 0
		.amdhsa_float_round_mode_32 0
		.amdhsa_float_round_mode_16_64 0
		.amdhsa_float_denorm_mode_32 3
		.amdhsa_float_denorm_mode_16_64 3
		.amdhsa_fp16_overflow 0
		.amdhsa_memory_ordered 1
		.amdhsa_forward_progress 1
		.amdhsa_inst_pref_size 0
		.amdhsa_round_robin_scheduling 0
		.amdhsa_exception_fp_ieee_invalid_op 0
		.amdhsa_exception_fp_denorm_src 0
		.amdhsa_exception_fp_ieee_div_zero 0
		.amdhsa_exception_fp_ieee_overflow 0
		.amdhsa_exception_fp_ieee_underflow 0
		.amdhsa_exception_fp_ieee_inexact 0
		.amdhsa_exception_int_div_zero 0
	.end_amdhsa_kernel
	.section	.text._ZN7rocprim17ROCPRIM_400000_NS6detail17trampoline_kernelINS0_14default_configENS1_27scan_by_key_config_selectorIifEEZZNS1_16scan_by_key_implILNS1_25lookback_scan_determinismE0ELb1ES3_N6thrust23THRUST_200600_302600_NS6detail15normal_iteratorINS9_10device_ptrIiEEEENSB_INSC_IfEEEESG_fNS9_4plusIvEENS9_8equal_toIvEEfEE10hipError_tPvRmT2_T3_T4_T5_mT6_T7_P12ihipStream_tbENKUlT_T0_E_clISt17integral_constantIbLb1EES11_EEDaSW_SX_EUlSW_E_NS1_11comp_targetILNS1_3genE9ELNS1_11target_archE1100ELNS1_3gpuE3ELNS1_3repE0EEENS1_30default_config_static_selectorELNS0_4arch9wavefront6targetE0EEEvT1_,"axG",@progbits,_ZN7rocprim17ROCPRIM_400000_NS6detail17trampoline_kernelINS0_14default_configENS1_27scan_by_key_config_selectorIifEEZZNS1_16scan_by_key_implILNS1_25lookback_scan_determinismE0ELb1ES3_N6thrust23THRUST_200600_302600_NS6detail15normal_iteratorINS9_10device_ptrIiEEEENSB_INSC_IfEEEESG_fNS9_4plusIvEENS9_8equal_toIvEEfEE10hipError_tPvRmT2_T3_T4_T5_mT6_T7_P12ihipStream_tbENKUlT_T0_E_clISt17integral_constantIbLb1EES11_EEDaSW_SX_EUlSW_E_NS1_11comp_targetILNS1_3genE9ELNS1_11target_archE1100ELNS1_3gpuE3ELNS1_3repE0EEENS1_30default_config_static_selectorELNS0_4arch9wavefront6targetE0EEEvT1_,comdat
.Lfunc_end1443:
	.size	_ZN7rocprim17ROCPRIM_400000_NS6detail17trampoline_kernelINS0_14default_configENS1_27scan_by_key_config_selectorIifEEZZNS1_16scan_by_key_implILNS1_25lookback_scan_determinismE0ELb1ES3_N6thrust23THRUST_200600_302600_NS6detail15normal_iteratorINS9_10device_ptrIiEEEENSB_INSC_IfEEEESG_fNS9_4plusIvEENS9_8equal_toIvEEfEE10hipError_tPvRmT2_T3_T4_T5_mT6_T7_P12ihipStream_tbENKUlT_T0_E_clISt17integral_constantIbLb1EES11_EEDaSW_SX_EUlSW_E_NS1_11comp_targetILNS1_3genE9ELNS1_11target_archE1100ELNS1_3gpuE3ELNS1_3repE0EEENS1_30default_config_static_selectorELNS0_4arch9wavefront6targetE0EEEvT1_, .Lfunc_end1443-_ZN7rocprim17ROCPRIM_400000_NS6detail17trampoline_kernelINS0_14default_configENS1_27scan_by_key_config_selectorIifEEZZNS1_16scan_by_key_implILNS1_25lookback_scan_determinismE0ELb1ES3_N6thrust23THRUST_200600_302600_NS6detail15normal_iteratorINS9_10device_ptrIiEEEENSB_INSC_IfEEEESG_fNS9_4plusIvEENS9_8equal_toIvEEfEE10hipError_tPvRmT2_T3_T4_T5_mT6_T7_P12ihipStream_tbENKUlT_T0_E_clISt17integral_constantIbLb1EES11_EEDaSW_SX_EUlSW_E_NS1_11comp_targetILNS1_3genE9ELNS1_11target_archE1100ELNS1_3gpuE3ELNS1_3repE0EEENS1_30default_config_static_selectorELNS0_4arch9wavefront6targetE0EEEvT1_
                                        ; -- End function
	.set _ZN7rocprim17ROCPRIM_400000_NS6detail17trampoline_kernelINS0_14default_configENS1_27scan_by_key_config_selectorIifEEZZNS1_16scan_by_key_implILNS1_25lookback_scan_determinismE0ELb1ES3_N6thrust23THRUST_200600_302600_NS6detail15normal_iteratorINS9_10device_ptrIiEEEENSB_INSC_IfEEEESG_fNS9_4plusIvEENS9_8equal_toIvEEfEE10hipError_tPvRmT2_T3_T4_T5_mT6_T7_P12ihipStream_tbENKUlT_T0_E_clISt17integral_constantIbLb1EES11_EEDaSW_SX_EUlSW_E_NS1_11comp_targetILNS1_3genE9ELNS1_11target_archE1100ELNS1_3gpuE3ELNS1_3repE0EEENS1_30default_config_static_selectorELNS0_4arch9wavefront6targetE0EEEvT1_.num_vgpr, 0
	.set _ZN7rocprim17ROCPRIM_400000_NS6detail17trampoline_kernelINS0_14default_configENS1_27scan_by_key_config_selectorIifEEZZNS1_16scan_by_key_implILNS1_25lookback_scan_determinismE0ELb1ES3_N6thrust23THRUST_200600_302600_NS6detail15normal_iteratorINS9_10device_ptrIiEEEENSB_INSC_IfEEEESG_fNS9_4plusIvEENS9_8equal_toIvEEfEE10hipError_tPvRmT2_T3_T4_T5_mT6_T7_P12ihipStream_tbENKUlT_T0_E_clISt17integral_constantIbLb1EES11_EEDaSW_SX_EUlSW_E_NS1_11comp_targetILNS1_3genE9ELNS1_11target_archE1100ELNS1_3gpuE3ELNS1_3repE0EEENS1_30default_config_static_selectorELNS0_4arch9wavefront6targetE0EEEvT1_.num_agpr, 0
	.set _ZN7rocprim17ROCPRIM_400000_NS6detail17trampoline_kernelINS0_14default_configENS1_27scan_by_key_config_selectorIifEEZZNS1_16scan_by_key_implILNS1_25lookback_scan_determinismE0ELb1ES3_N6thrust23THRUST_200600_302600_NS6detail15normal_iteratorINS9_10device_ptrIiEEEENSB_INSC_IfEEEESG_fNS9_4plusIvEENS9_8equal_toIvEEfEE10hipError_tPvRmT2_T3_T4_T5_mT6_T7_P12ihipStream_tbENKUlT_T0_E_clISt17integral_constantIbLb1EES11_EEDaSW_SX_EUlSW_E_NS1_11comp_targetILNS1_3genE9ELNS1_11target_archE1100ELNS1_3gpuE3ELNS1_3repE0EEENS1_30default_config_static_selectorELNS0_4arch9wavefront6targetE0EEEvT1_.numbered_sgpr, 0
	.set _ZN7rocprim17ROCPRIM_400000_NS6detail17trampoline_kernelINS0_14default_configENS1_27scan_by_key_config_selectorIifEEZZNS1_16scan_by_key_implILNS1_25lookback_scan_determinismE0ELb1ES3_N6thrust23THRUST_200600_302600_NS6detail15normal_iteratorINS9_10device_ptrIiEEEENSB_INSC_IfEEEESG_fNS9_4plusIvEENS9_8equal_toIvEEfEE10hipError_tPvRmT2_T3_T4_T5_mT6_T7_P12ihipStream_tbENKUlT_T0_E_clISt17integral_constantIbLb1EES11_EEDaSW_SX_EUlSW_E_NS1_11comp_targetILNS1_3genE9ELNS1_11target_archE1100ELNS1_3gpuE3ELNS1_3repE0EEENS1_30default_config_static_selectorELNS0_4arch9wavefront6targetE0EEEvT1_.num_named_barrier, 0
	.set _ZN7rocprim17ROCPRIM_400000_NS6detail17trampoline_kernelINS0_14default_configENS1_27scan_by_key_config_selectorIifEEZZNS1_16scan_by_key_implILNS1_25lookback_scan_determinismE0ELb1ES3_N6thrust23THRUST_200600_302600_NS6detail15normal_iteratorINS9_10device_ptrIiEEEENSB_INSC_IfEEEESG_fNS9_4plusIvEENS9_8equal_toIvEEfEE10hipError_tPvRmT2_T3_T4_T5_mT6_T7_P12ihipStream_tbENKUlT_T0_E_clISt17integral_constantIbLb1EES11_EEDaSW_SX_EUlSW_E_NS1_11comp_targetILNS1_3genE9ELNS1_11target_archE1100ELNS1_3gpuE3ELNS1_3repE0EEENS1_30default_config_static_selectorELNS0_4arch9wavefront6targetE0EEEvT1_.private_seg_size, 0
	.set _ZN7rocprim17ROCPRIM_400000_NS6detail17trampoline_kernelINS0_14default_configENS1_27scan_by_key_config_selectorIifEEZZNS1_16scan_by_key_implILNS1_25lookback_scan_determinismE0ELb1ES3_N6thrust23THRUST_200600_302600_NS6detail15normal_iteratorINS9_10device_ptrIiEEEENSB_INSC_IfEEEESG_fNS9_4plusIvEENS9_8equal_toIvEEfEE10hipError_tPvRmT2_T3_T4_T5_mT6_T7_P12ihipStream_tbENKUlT_T0_E_clISt17integral_constantIbLb1EES11_EEDaSW_SX_EUlSW_E_NS1_11comp_targetILNS1_3genE9ELNS1_11target_archE1100ELNS1_3gpuE3ELNS1_3repE0EEENS1_30default_config_static_selectorELNS0_4arch9wavefront6targetE0EEEvT1_.uses_vcc, 0
	.set _ZN7rocprim17ROCPRIM_400000_NS6detail17trampoline_kernelINS0_14default_configENS1_27scan_by_key_config_selectorIifEEZZNS1_16scan_by_key_implILNS1_25lookback_scan_determinismE0ELb1ES3_N6thrust23THRUST_200600_302600_NS6detail15normal_iteratorINS9_10device_ptrIiEEEENSB_INSC_IfEEEESG_fNS9_4plusIvEENS9_8equal_toIvEEfEE10hipError_tPvRmT2_T3_T4_T5_mT6_T7_P12ihipStream_tbENKUlT_T0_E_clISt17integral_constantIbLb1EES11_EEDaSW_SX_EUlSW_E_NS1_11comp_targetILNS1_3genE9ELNS1_11target_archE1100ELNS1_3gpuE3ELNS1_3repE0EEENS1_30default_config_static_selectorELNS0_4arch9wavefront6targetE0EEEvT1_.uses_flat_scratch, 0
	.set _ZN7rocprim17ROCPRIM_400000_NS6detail17trampoline_kernelINS0_14default_configENS1_27scan_by_key_config_selectorIifEEZZNS1_16scan_by_key_implILNS1_25lookback_scan_determinismE0ELb1ES3_N6thrust23THRUST_200600_302600_NS6detail15normal_iteratorINS9_10device_ptrIiEEEENSB_INSC_IfEEEESG_fNS9_4plusIvEENS9_8equal_toIvEEfEE10hipError_tPvRmT2_T3_T4_T5_mT6_T7_P12ihipStream_tbENKUlT_T0_E_clISt17integral_constantIbLb1EES11_EEDaSW_SX_EUlSW_E_NS1_11comp_targetILNS1_3genE9ELNS1_11target_archE1100ELNS1_3gpuE3ELNS1_3repE0EEENS1_30default_config_static_selectorELNS0_4arch9wavefront6targetE0EEEvT1_.has_dyn_sized_stack, 0
	.set _ZN7rocprim17ROCPRIM_400000_NS6detail17trampoline_kernelINS0_14default_configENS1_27scan_by_key_config_selectorIifEEZZNS1_16scan_by_key_implILNS1_25lookback_scan_determinismE0ELb1ES3_N6thrust23THRUST_200600_302600_NS6detail15normal_iteratorINS9_10device_ptrIiEEEENSB_INSC_IfEEEESG_fNS9_4plusIvEENS9_8equal_toIvEEfEE10hipError_tPvRmT2_T3_T4_T5_mT6_T7_P12ihipStream_tbENKUlT_T0_E_clISt17integral_constantIbLb1EES11_EEDaSW_SX_EUlSW_E_NS1_11comp_targetILNS1_3genE9ELNS1_11target_archE1100ELNS1_3gpuE3ELNS1_3repE0EEENS1_30default_config_static_selectorELNS0_4arch9wavefront6targetE0EEEvT1_.has_recursion, 0
	.set _ZN7rocprim17ROCPRIM_400000_NS6detail17trampoline_kernelINS0_14default_configENS1_27scan_by_key_config_selectorIifEEZZNS1_16scan_by_key_implILNS1_25lookback_scan_determinismE0ELb1ES3_N6thrust23THRUST_200600_302600_NS6detail15normal_iteratorINS9_10device_ptrIiEEEENSB_INSC_IfEEEESG_fNS9_4plusIvEENS9_8equal_toIvEEfEE10hipError_tPvRmT2_T3_T4_T5_mT6_T7_P12ihipStream_tbENKUlT_T0_E_clISt17integral_constantIbLb1EES11_EEDaSW_SX_EUlSW_E_NS1_11comp_targetILNS1_3genE9ELNS1_11target_archE1100ELNS1_3gpuE3ELNS1_3repE0EEENS1_30default_config_static_selectorELNS0_4arch9wavefront6targetE0EEEvT1_.has_indirect_call, 0
	.section	.AMDGPU.csdata,"",@progbits
; Kernel info:
; codeLenInByte = 0
; TotalNumSgprs: 0
; NumVgprs: 0
; ScratchSize: 0
; MemoryBound: 0
; FloatMode: 240
; IeeeMode: 1
; LDSByteSize: 0 bytes/workgroup (compile time only)
; SGPRBlocks: 0
; VGPRBlocks: 0
; NumSGPRsForWavesPerEU: 1
; NumVGPRsForWavesPerEU: 1
; NamedBarCnt: 0
; Occupancy: 16
; WaveLimiterHint : 0
; COMPUTE_PGM_RSRC2:SCRATCH_EN: 0
; COMPUTE_PGM_RSRC2:USER_SGPR: 2
; COMPUTE_PGM_RSRC2:TRAP_HANDLER: 0
; COMPUTE_PGM_RSRC2:TGID_X_EN: 1
; COMPUTE_PGM_RSRC2:TGID_Y_EN: 0
; COMPUTE_PGM_RSRC2:TGID_Z_EN: 0
; COMPUTE_PGM_RSRC2:TIDIG_COMP_CNT: 0
	.section	.text._ZN7rocprim17ROCPRIM_400000_NS6detail17trampoline_kernelINS0_14default_configENS1_27scan_by_key_config_selectorIifEEZZNS1_16scan_by_key_implILNS1_25lookback_scan_determinismE0ELb1ES3_N6thrust23THRUST_200600_302600_NS6detail15normal_iteratorINS9_10device_ptrIiEEEENSB_INSC_IfEEEESG_fNS9_4plusIvEENS9_8equal_toIvEEfEE10hipError_tPvRmT2_T3_T4_T5_mT6_T7_P12ihipStream_tbENKUlT_T0_E_clISt17integral_constantIbLb1EES11_EEDaSW_SX_EUlSW_E_NS1_11comp_targetILNS1_3genE8ELNS1_11target_archE1030ELNS1_3gpuE2ELNS1_3repE0EEENS1_30default_config_static_selectorELNS0_4arch9wavefront6targetE0EEEvT1_,"axG",@progbits,_ZN7rocprim17ROCPRIM_400000_NS6detail17trampoline_kernelINS0_14default_configENS1_27scan_by_key_config_selectorIifEEZZNS1_16scan_by_key_implILNS1_25lookback_scan_determinismE0ELb1ES3_N6thrust23THRUST_200600_302600_NS6detail15normal_iteratorINS9_10device_ptrIiEEEENSB_INSC_IfEEEESG_fNS9_4plusIvEENS9_8equal_toIvEEfEE10hipError_tPvRmT2_T3_T4_T5_mT6_T7_P12ihipStream_tbENKUlT_T0_E_clISt17integral_constantIbLb1EES11_EEDaSW_SX_EUlSW_E_NS1_11comp_targetILNS1_3genE8ELNS1_11target_archE1030ELNS1_3gpuE2ELNS1_3repE0EEENS1_30default_config_static_selectorELNS0_4arch9wavefront6targetE0EEEvT1_,comdat
	.protected	_ZN7rocprim17ROCPRIM_400000_NS6detail17trampoline_kernelINS0_14default_configENS1_27scan_by_key_config_selectorIifEEZZNS1_16scan_by_key_implILNS1_25lookback_scan_determinismE0ELb1ES3_N6thrust23THRUST_200600_302600_NS6detail15normal_iteratorINS9_10device_ptrIiEEEENSB_INSC_IfEEEESG_fNS9_4plusIvEENS9_8equal_toIvEEfEE10hipError_tPvRmT2_T3_T4_T5_mT6_T7_P12ihipStream_tbENKUlT_T0_E_clISt17integral_constantIbLb1EES11_EEDaSW_SX_EUlSW_E_NS1_11comp_targetILNS1_3genE8ELNS1_11target_archE1030ELNS1_3gpuE2ELNS1_3repE0EEENS1_30default_config_static_selectorELNS0_4arch9wavefront6targetE0EEEvT1_ ; -- Begin function _ZN7rocprim17ROCPRIM_400000_NS6detail17trampoline_kernelINS0_14default_configENS1_27scan_by_key_config_selectorIifEEZZNS1_16scan_by_key_implILNS1_25lookback_scan_determinismE0ELb1ES3_N6thrust23THRUST_200600_302600_NS6detail15normal_iteratorINS9_10device_ptrIiEEEENSB_INSC_IfEEEESG_fNS9_4plusIvEENS9_8equal_toIvEEfEE10hipError_tPvRmT2_T3_T4_T5_mT6_T7_P12ihipStream_tbENKUlT_T0_E_clISt17integral_constantIbLb1EES11_EEDaSW_SX_EUlSW_E_NS1_11comp_targetILNS1_3genE8ELNS1_11target_archE1030ELNS1_3gpuE2ELNS1_3repE0EEENS1_30default_config_static_selectorELNS0_4arch9wavefront6targetE0EEEvT1_
	.globl	_ZN7rocprim17ROCPRIM_400000_NS6detail17trampoline_kernelINS0_14default_configENS1_27scan_by_key_config_selectorIifEEZZNS1_16scan_by_key_implILNS1_25lookback_scan_determinismE0ELb1ES3_N6thrust23THRUST_200600_302600_NS6detail15normal_iteratorINS9_10device_ptrIiEEEENSB_INSC_IfEEEESG_fNS9_4plusIvEENS9_8equal_toIvEEfEE10hipError_tPvRmT2_T3_T4_T5_mT6_T7_P12ihipStream_tbENKUlT_T0_E_clISt17integral_constantIbLb1EES11_EEDaSW_SX_EUlSW_E_NS1_11comp_targetILNS1_3genE8ELNS1_11target_archE1030ELNS1_3gpuE2ELNS1_3repE0EEENS1_30default_config_static_selectorELNS0_4arch9wavefront6targetE0EEEvT1_
	.p2align	8
	.type	_ZN7rocprim17ROCPRIM_400000_NS6detail17trampoline_kernelINS0_14default_configENS1_27scan_by_key_config_selectorIifEEZZNS1_16scan_by_key_implILNS1_25lookback_scan_determinismE0ELb1ES3_N6thrust23THRUST_200600_302600_NS6detail15normal_iteratorINS9_10device_ptrIiEEEENSB_INSC_IfEEEESG_fNS9_4plusIvEENS9_8equal_toIvEEfEE10hipError_tPvRmT2_T3_T4_T5_mT6_T7_P12ihipStream_tbENKUlT_T0_E_clISt17integral_constantIbLb1EES11_EEDaSW_SX_EUlSW_E_NS1_11comp_targetILNS1_3genE8ELNS1_11target_archE1030ELNS1_3gpuE2ELNS1_3repE0EEENS1_30default_config_static_selectorELNS0_4arch9wavefront6targetE0EEEvT1_,@function
_ZN7rocprim17ROCPRIM_400000_NS6detail17trampoline_kernelINS0_14default_configENS1_27scan_by_key_config_selectorIifEEZZNS1_16scan_by_key_implILNS1_25lookback_scan_determinismE0ELb1ES3_N6thrust23THRUST_200600_302600_NS6detail15normal_iteratorINS9_10device_ptrIiEEEENSB_INSC_IfEEEESG_fNS9_4plusIvEENS9_8equal_toIvEEfEE10hipError_tPvRmT2_T3_T4_T5_mT6_T7_P12ihipStream_tbENKUlT_T0_E_clISt17integral_constantIbLb1EES11_EEDaSW_SX_EUlSW_E_NS1_11comp_targetILNS1_3genE8ELNS1_11target_archE1030ELNS1_3gpuE2ELNS1_3repE0EEENS1_30default_config_static_selectorELNS0_4arch9wavefront6targetE0EEEvT1_: ; @_ZN7rocprim17ROCPRIM_400000_NS6detail17trampoline_kernelINS0_14default_configENS1_27scan_by_key_config_selectorIifEEZZNS1_16scan_by_key_implILNS1_25lookback_scan_determinismE0ELb1ES3_N6thrust23THRUST_200600_302600_NS6detail15normal_iteratorINS9_10device_ptrIiEEEENSB_INSC_IfEEEESG_fNS9_4plusIvEENS9_8equal_toIvEEfEE10hipError_tPvRmT2_T3_T4_T5_mT6_T7_P12ihipStream_tbENKUlT_T0_E_clISt17integral_constantIbLb1EES11_EEDaSW_SX_EUlSW_E_NS1_11comp_targetILNS1_3genE8ELNS1_11target_archE1030ELNS1_3gpuE2ELNS1_3repE0EEENS1_30default_config_static_selectorELNS0_4arch9wavefront6targetE0EEEvT1_
; %bb.0:
	.section	.rodata,"a",@progbits
	.p2align	6, 0x0
	.amdhsa_kernel _ZN7rocprim17ROCPRIM_400000_NS6detail17trampoline_kernelINS0_14default_configENS1_27scan_by_key_config_selectorIifEEZZNS1_16scan_by_key_implILNS1_25lookback_scan_determinismE0ELb1ES3_N6thrust23THRUST_200600_302600_NS6detail15normal_iteratorINS9_10device_ptrIiEEEENSB_INSC_IfEEEESG_fNS9_4plusIvEENS9_8equal_toIvEEfEE10hipError_tPvRmT2_T3_T4_T5_mT6_T7_P12ihipStream_tbENKUlT_T0_E_clISt17integral_constantIbLb1EES11_EEDaSW_SX_EUlSW_E_NS1_11comp_targetILNS1_3genE8ELNS1_11target_archE1030ELNS1_3gpuE2ELNS1_3repE0EEENS1_30default_config_static_selectorELNS0_4arch9wavefront6targetE0EEEvT1_
		.amdhsa_group_segment_fixed_size 0
		.amdhsa_private_segment_fixed_size 0
		.amdhsa_kernarg_size 112
		.amdhsa_user_sgpr_count 2
		.amdhsa_user_sgpr_dispatch_ptr 0
		.amdhsa_user_sgpr_queue_ptr 0
		.amdhsa_user_sgpr_kernarg_segment_ptr 1
		.amdhsa_user_sgpr_dispatch_id 0
		.amdhsa_user_sgpr_kernarg_preload_length 0
		.amdhsa_user_sgpr_kernarg_preload_offset 0
		.amdhsa_user_sgpr_private_segment_size 0
		.amdhsa_wavefront_size32 1
		.amdhsa_uses_dynamic_stack 0
		.amdhsa_enable_private_segment 0
		.amdhsa_system_sgpr_workgroup_id_x 1
		.amdhsa_system_sgpr_workgroup_id_y 0
		.amdhsa_system_sgpr_workgroup_id_z 0
		.amdhsa_system_sgpr_workgroup_info 0
		.amdhsa_system_vgpr_workitem_id 0
		.amdhsa_next_free_vgpr 1
		.amdhsa_next_free_sgpr 1
		.amdhsa_named_barrier_count 0
		.amdhsa_reserve_vcc 0
		.amdhsa_float_round_mode_32 0
		.amdhsa_float_round_mode_16_64 0
		.amdhsa_float_denorm_mode_32 3
		.amdhsa_float_denorm_mode_16_64 3
		.amdhsa_fp16_overflow 0
		.amdhsa_memory_ordered 1
		.amdhsa_forward_progress 1
		.amdhsa_inst_pref_size 0
		.amdhsa_round_robin_scheduling 0
		.amdhsa_exception_fp_ieee_invalid_op 0
		.amdhsa_exception_fp_denorm_src 0
		.amdhsa_exception_fp_ieee_div_zero 0
		.amdhsa_exception_fp_ieee_overflow 0
		.amdhsa_exception_fp_ieee_underflow 0
		.amdhsa_exception_fp_ieee_inexact 0
		.amdhsa_exception_int_div_zero 0
	.end_amdhsa_kernel
	.section	.text._ZN7rocprim17ROCPRIM_400000_NS6detail17trampoline_kernelINS0_14default_configENS1_27scan_by_key_config_selectorIifEEZZNS1_16scan_by_key_implILNS1_25lookback_scan_determinismE0ELb1ES3_N6thrust23THRUST_200600_302600_NS6detail15normal_iteratorINS9_10device_ptrIiEEEENSB_INSC_IfEEEESG_fNS9_4plusIvEENS9_8equal_toIvEEfEE10hipError_tPvRmT2_T3_T4_T5_mT6_T7_P12ihipStream_tbENKUlT_T0_E_clISt17integral_constantIbLb1EES11_EEDaSW_SX_EUlSW_E_NS1_11comp_targetILNS1_3genE8ELNS1_11target_archE1030ELNS1_3gpuE2ELNS1_3repE0EEENS1_30default_config_static_selectorELNS0_4arch9wavefront6targetE0EEEvT1_,"axG",@progbits,_ZN7rocprim17ROCPRIM_400000_NS6detail17trampoline_kernelINS0_14default_configENS1_27scan_by_key_config_selectorIifEEZZNS1_16scan_by_key_implILNS1_25lookback_scan_determinismE0ELb1ES3_N6thrust23THRUST_200600_302600_NS6detail15normal_iteratorINS9_10device_ptrIiEEEENSB_INSC_IfEEEESG_fNS9_4plusIvEENS9_8equal_toIvEEfEE10hipError_tPvRmT2_T3_T4_T5_mT6_T7_P12ihipStream_tbENKUlT_T0_E_clISt17integral_constantIbLb1EES11_EEDaSW_SX_EUlSW_E_NS1_11comp_targetILNS1_3genE8ELNS1_11target_archE1030ELNS1_3gpuE2ELNS1_3repE0EEENS1_30default_config_static_selectorELNS0_4arch9wavefront6targetE0EEEvT1_,comdat
.Lfunc_end1444:
	.size	_ZN7rocprim17ROCPRIM_400000_NS6detail17trampoline_kernelINS0_14default_configENS1_27scan_by_key_config_selectorIifEEZZNS1_16scan_by_key_implILNS1_25lookback_scan_determinismE0ELb1ES3_N6thrust23THRUST_200600_302600_NS6detail15normal_iteratorINS9_10device_ptrIiEEEENSB_INSC_IfEEEESG_fNS9_4plusIvEENS9_8equal_toIvEEfEE10hipError_tPvRmT2_T3_T4_T5_mT6_T7_P12ihipStream_tbENKUlT_T0_E_clISt17integral_constantIbLb1EES11_EEDaSW_SX_EUlSW_E_NS1_11comp_targetILNS1_3genE8ELNS1_11target_archE1030ELNS1_3gpuE2ELNS1_3repE0EEENS1_30default_config_static_selectorELNS0_4arch9wavefront6targetE0EEEvT1_, .Lfunc_end1444-_ZN7rocprim17ROCPRIM_400000_NS6detail17trampoline_kernelINS0_14default_configENS1_27scan_by_key_config_selectorIifEEZZNS1_16scan_by_key_implILNS1_25lookback_scan_determinismE0ELb1ES3_N6thrust23THRUST_200600_302600_NS6detail15normal_iteratorINS9_10device_ptrIiEEEENSB_INSC_IfEEEESG_fNS9_4plusIvEENS9_8equal_toIvEEfEE10hipError_tPvRmT2_T3_T4_T5_mT6_T7_P12ihipStream_tbENKUlT_T0_E_clISt17integral_constantIbLb1EES11_EEDaSW_SX_EUlSW_E_NS1_11comp_targetILNS1_3genE8ELNS1_11target_archE1030ELNS1_3gpuE2ELNS1_3repE0EEENS1_30default_config_static_selectorELNS0_4arch9wavefront6targetE0EEEvT1_
                                        ; -- End function
	.set _ZN7rocprim17ROCPRIM_400000_NS6detail17trampoline_kernelINS0_14default_configENS1_27scan_by_key_config_selectorIifEEZZNS1_16scan_by_key_implILNS1_25lookback_scan_determinismE0ELb1ES3_N6thrust23THRUST_200600_302600_NS6detail15normal_iteratorINS9_10device_ptrIiEEEENSB_INSC_IfEEEESG_fNS9_4plusIvEENS9_8equal_toIvEEfEE10hipError_tPvRmT2_T3_T4_T5_mT6_T7_P12ihipStream_tbENKUlT_T0_E_clISt17integral_constantIbLb1EES11_EEDaSW_SX_EUlSW_E_NS1_11comp_targetILNS1_3genE8ELNS1_11target_archE1030ELNS1_3gpuE2ELNS1_3repE0EEENS1_30default_config_static_selectorELNS0_4arch9wavefront6targetE0EEEvT1_.num_vgpr, 0
	.set _ZN7rocprim17ROCPRIM_400000_NS6detail17trampoline_kernelINS0_14default_configENS1_27scan_by_key_config_selectorIifEEZZNS1_16scan_by_key_implILNS1_25lookback_scan_determinismE0ELb1ES3_N6thrust23THRUST_200600_302600_NS6detail15normal_iteratorINS9_10device_ptrIiEEEENSB_INSC_IfEEEESG_fNS9_4plusIvEENS9_8equal_toIvEEfEE10hipError_tPvRmT2_T3_T4_T5_mT6_T7_P12ihipStream_tbENKUlT_T0_E_clISt17integral_constantIbLb1EES11_EEDaSW_SX_EUlSW_E_NS1_11comp_targetILNS1_3genE8ELNS1_11target_archE1030ELNS1_3gpuE2ELNS1_3repE0EEENS1_30default_config_static_selectorELNS0_4arch9wavefront6targetE0EEEvT1_.num_agpr, 0
	.set _ZN7rocprim17ROCPRIM_400000_NS6detail17trampoline_kernelINS0_14default_configENS1_27scan_by_key_config_selectorIifEEZZNS1_16scan_by_key_implILNS1_25lookback_scan_determinismE0ELb1ES3_N6thrust23THRUST_200600_302600_NS6detail15normal_iteratorINS9_10device_ptrIiEEEENSB_INSC_IfEEEESG_fNS9_4plusIvEENS9_8equal_toIvEEfEE10hipError_tPvRmT2_T3_T4_T5_mT6_T7_P12ihipStream_tbENKUlT_T0_E_clISt17integral_constantIbLb1EES11_EEDaSW_SX_EUlSW_E_NS1_11comp_targetILNS1_3genE8ELNS1_11target_archE1030ELNS1_3gpuE2ELNS1_3repE0EEENS1_30default_config_static_selectorELNS0_4arch9wavefront6targetE0EEEvT1_.numbered_sgpr, 0
	.set _ZN7rocprim17ROCPRIM_400000_NS6detail17trampoline_kernelINS0_14default_configENS1_27scan_by_key_config_selectorIifEEZZNS1_16scan_by_key_implILNS1_25lookback_scan_determinismE0ELb1ES3_N6thrust23THRUST_200600_302600_NS6detail15normal_iteratorINS9_10device_ptrIiEEEENSB_INSC_IfEEEESG_fNS9_4plusIvEENS9_8equal_toIvEEfEE10hipError_tPvRmT2_T3_T4_T5_mT6_T7_P12ihipStream_tbENKUlT_T0_E_clISt17integral_constantIbLb1EES11_EEDaSW_SX_EUlSW_E_NS1_11comp_targetILNS1_3genE8ELNS1_11target_archE1030ELNS1_3gpuE2ELNS1_3repE0EEENS1_30default_config_static_selectorELNS0_4arch9wavefront6targetE0EEEvT1_.num_named_barrier, 0
	.set _ZN7rocprim17ROCPRIM_400000_NS6detail17trampoline_kernelINS0_14default_configENS1_27scan_by_key_config_selectorIifEEZZNS1_16scan_by_key_implILNS1_25lookback_scan_determinismE0ELb1ES3_N6thrust23THRUST_200600_302600_NS6detail15normal_iteratorINS9_10device_ptrIiEEEENSB_INSC_IfEEEESG_fNS9_4plusIvEENS9_8equal_toIvEEfEE10hipError_tPvRmT2_T3_T4_T5_mT6_T7_P12ihipStream_tbENKUlT_T0_E_clISt17integral_constantIbLb1EES11_EEDaSW_SX_EUlSW_E_NS1_11comp_targetILNS1_3genE8ELNS1_11target_archE1030ELNS1_3gpuE2ELNS1_3repE0EEENS1_30default_config_static_selectorELNS0_4arch9wavefront6targetE0EEEvT1_.private_seg_size, 0
	.set _ZN7rocprim17ROCPRIM_400000_NS6detail17trampoline_kernelINS0_14default_configENS1_27scan_by_key_config_selectorIifEEZZNS1_16scan_by_key_implILNS1_25lookback_scan_determinismE0ELb1ES3_N6thrust23THRUST_200600_302600_NS6detail15normal_iteratorINS9_10device_ptrIiEEEENSB_INSC_IfEEEESG_fNS9_4plusIvEENS9_8equal_toIvEEfEE10hipError_tPvRmT2_T3_T4_T5_mT6_T7_P12ihipStream_tbENKUlT_T0_E_clISt17integral_constantIbLb1EES11_EEDaSW_SX_EUlSW_E_NS1_11comp_targetILNS1_3genE8ELNS1_11target_archE1030ELNS1_3gpuE2ELNS1_3repE0EEENS1_30default_config_static_selectorELNS0_4arch9wavefront6targetE0EEEvT1_.uses_vcc, 0
	.set _ZN7rocprim17ROCPRIM_400000_NS6detail17trampoline_kernelINS0_14default_configENS1_27scan_by_key_config_selectorIifEEZZNS1_16scan_by_key_implILNS1_25lookback_scan_determinismE0ELb1ES3_N6thrust23THRUST_200600_302600_NS6detail15normal_iteratorINS9_10device_ptrIiEEEENSB_INSC_IfEEEESG_fNS9_4plusIvEENS9_8equal_toIvEEfEE10hipError_tPvRmT2_T3_T4_T5_mT6_T7_P12ihipStream_tbENKUlT_T0_E_clISt17integral_constantIbLb1EES11_EEDaSW_SX_EUlSW_E_NS1_11comp_targetILNS1_3genE8ELNS1_11target_archE1030ELNS1_3gpuE2ELNS1_3repE0EEENS1_30default_config_static_selectorELNS0_4arch9wavefront6targetE0EEEvT1_.uses_flat_scratch, 0
	.set _ZN7rocprim17ROCPRIM_400000_NS6detail17trampoline_kernelINS0_14default_configENS1_27scan_by_key_config_selectorIifEEZZNS1_16scan_by_key_implILNS1_25lookback_scan_determinismE0ELb1ES3_N6thrust23THRUST_200600_302600_NS6detail15normal_iteratorINS9_10device_ptrIiEEEENSB_INSC_IfEEEESG_fNS9_4plusIvEENS9_8equal_toIvEEfEE10hipError_tPvRmT2_T3_T4_T5_mT6_T7_P12ihipStream_tbENKUlT_T0_E_clISt17integral_constantIbLb1EES11_EEDaSW_SX_EUlSW_E_NS1_11comp_targetILNS1_3genE8ELNS1_11target_archE1030ELNS1_3gpuE2ELNS1_3repE0EEENS1_30default_config_static_selectorELNS0_4arch9wavefront6targetE0EEEvT1_.has_dyn_sized_stack, 0
	.set _ZN7rocprim17ROCPRIM_400000_NS6detail17trampoline_kernelINS0_14default_configENS1_27scan_by_key_config_selectorIifEEZZNS1_16scan_by_key_implILNS1_25lookback_scan_determinismE0ELb1ES3_N6thrust23THRUST_200600_302600_NS6detail15normal_iteratorINS9_10device_ptrIiEEEENSB_INSC_IfEEEESG_fNS9_4plusIvEENS9_8equal_toIvEEfEE10hipError_tPvRmT2_T3_T4_T5_mT6_T7_P12ihipStream_tbENKUlT_T0_E_clISt17integral_constantIbLb1EES11_EEDaSW_SX_EUlSW_E_NS1_11comp_targetILNS1_3genE8ELNS1_11target_archE1030ELNS1_3gpuE2ELNS1_3repE0EEENS1_30default_config_static_selectorELNS0_4arch9wavefront6targetE0EEEvT1_.has_recursion, 0
	.set _ZN7rocprim17ROCPRIM_400000_NS6detail17trampoline_kernelINS0_14default_configENS1_27scan_by_key_config_selectorIifEEZZNS1_16scan_by_key_implILNS1_25lookback_scan_determinismE0ELb1ES3_N6thrust23THRUST_200600_302600_NS6detail15normal_iteratorINS9_10device_ptrIiEEEENSB_INSC_IfEEEESG_fNS9_4plusIvEENS9_8equal_toIvEEfEE10hipError_tPvRmT2_T3_T4_T5_mT6_T7_P12ihipStream_tbENKUlT_T0_E_clISt17integral_constantIbLb1EES11_EEDaSW_SX_EUlSW_E_NS1_11comp_targetILNS1_3genE8ELNS1_11target_archE1030ELNS1_3gpuE2ELNS1_3repE0EEENS1_30default_config_static_selectorELNS0_4arch9wavefront6targetE0EEEvT1_.has_indirect_call, 0
	.section	.AMDGPU.csdata,"",@progbits
; Kernel info:
; codeLenInByte = 0
; TotalNumSgprs: 0
; NumVgprs: 0
; ScratchSize: 0
; MemoryBound: 0
; FloatMode: 240
; IeeeMode: 1
; LDSByteSize: 0 bytes/workgroup (compile time only)
; SGPRBlocks: 0
; VGPRBlocks: 0
; NumSGPRsForWavesPerEU: 1
; NumVGPRsForWavesPerEU: 1
; NamedBarCnt: 0
; Occupancy: 16
; WaveLimiterHint : 0
; COMPUTE_PGM_RSRC2:SCRATCH_EN: 0
; COMPUTE_PGM_RSRC2:USER_SGPR: 2
; COMPUTE_PGM_RSRC2:TRAP_HANDLER: 0
; COMPUTE_PGM_RSRC2:TGID_X_EN: 1
; COMPUTE_PGM_RSRC2:TGID_Y_EN: 0
; COMPUTE_PGM_RSRC2:TGID_Z_EN: 0
; COMPUTE_PGM_RSRC2:TIDIG_COMP_CNT: 0
	.section	.text._ZN7rocprim17ROCPRIM_400000_NS6detail17trampoline_kernelINS0_14default_configENS1_27scan_by_key_config_selectorIifEEZZNS1_16scan_by_key_implILNS1_25lookback_scan_determinismE0ELb1ES3_N6thrust23THRUST_200600_302600_NS6detail15normal_iteratorINS9_10device_ptrIiEEEENSB_INSC_IfEEEESG_fNS9_4plusIvEENS9_8equal_toIvEEfEE10hipError_tPvRmT2_T3_T4_T5_mT6_T7_P12ihipStream_tbENKUlT_T0_E_clISt17integral_constantIbLb1EES10_IbLb0EEEEDaSW_SX_EUlSW_E_NS1_11comp_targetILNS1_3genE0ELNS1_11target_archE4294967295ELNS1_3gpuE0ELNS1_3repE0EEENS1_30default_config_static_selectorELNS0_4arch9wavefront6targetE0EEEvT1_,"axG",@progbits,_ZN7rocprim17ROCPRIM_400000_NS6detail17trampoline_kernelINS0_14default_configENS1_27scan_by_key_config_selectorIifEEZZNS1_16scan_by_key_implILNS1_25lookback_scan_determinismE0ELb1ES3_N6thrust23THRUST_200600_302600_NS6detail15normal_iteratorINS9_10device_ptrIiEEEENSB_INSC_IfEEEESG_fNS9_4plusIvEENS9_8equal_toIvEEfEE10hipError_tPvRmT2_T3_T4_T5_mT6_T7_P12ihipStream_tbENKUlT_T0_E_clISt17integral_constantIbLb1EES10_IbLb0EEEEDaSW_SX_EUlSW_E_NS1_11comp_targetILNS1_3genE0ELNS1_11target_archE4294967295ELNS1_3gpuE0ELNS1_3repE0EEENS1_30default_config_static_selectorELNS0_4arch9wavefront6targetE0EEEvT1_,comdat
	.protected	_ZN7rocprim17ROCPRIM_400000_NS6detail17trampoline_kernelINS0_14default_configENS1_27scan_by_key_config_selectorIifEEZZNS1_16scan_by_key_implILNS1_25lookback_scan_determinismE0ELb1ES3_N6thrust23THRUST_200600_302600_NS6detail15normal_iteratorINS9_10device_ptrIiEEEENSB_INSC_IfEEEESG_fNS9_4plusIvEENS9_8equal_toIvEEfEE10hipError_tPvRmT2_T3_T4_T5_mT6_T7_P12ihipStream_tbENKUlT_T0_E_clISt17integral_constantIbLb1EES10_IbLb0EEEEDaSW_SX_EUlSW_E_NS1_11comp_targetILNS1_3genE0ELNS1_11target_archE4294967295ELNS1_3gpuE0ELNS1_3repE0EEENS1_30default_config_static_selectorELNS0_4arch9wavefront6targetE0EEEvT1_ ; -- Begin function _ZN7rocprim17ROCPRIM_400000_NS6detail17trampoline_kernelINS0_14default_configENS1_27scan_by_key_config_selectorIifEEZZNS1_16scan_by_key_implILNS1_25lookback_scan_determinismE0ELb1ES3_N6thrust23THRUST_200600_302600_NS6detail15normal_iteratorINS9_10device_ptrIiEEEENSB_INSC_IfEEEESG_fNS9_4plusIvEENS9_8equal_toIvEEfEE10hipError_tPvRmT2_T3_T4_T5_mT6_T7_P12ihipStream_tbENKUlT_T0_E_clISt17integral_constantIbLb1EES10_IbLb0EEEEDaSW_SX_EUlSW_E_NS1_11comp_targetILNS1_3genE0ELNS1_11target_archE4294967295ELNS1_3gpuE0ELNS1_3repE0EEENS1_30default_config_static_selectorELNS0_4arch9wavefront6targetE0EEEvT1_
	.globl	_ZN7rocprim17ROCPRIM_400000_NS6detail17trampoline_kernelINS0_14default_configENS1_27scan_by_key_config_selectorIifEEZZNS1_16scan_by_key_implILNS1_25lookback_scan_determinismE0ELb1ES3_N6thrust23THRUST_200600_302600_NS6detail15normal_iteratorINS9_10device_ptrIiEEEENSB_INSC_IfEEEESG_fNS9_4plusIvEENS9_8equal_toIvEEfEE10hipError_tPvRmT2_T3_T4_T5_mT6_T7_P12ihipStream_tbENKUlT_T0_E_clISt17integral_constantIbLb1EES10_IbLb0EEEEDaSW_SX_EUlSW_E_NS1_11comp_targetILNS1_3genE0ELNS1_11target_archE4294967295ELNS1_3gpuE0ELNS1_3repE0EEENS1_30default_config_static_selectorELNS0_4arch9wavefront6targetE0EEEvT1_
	.p2align	8
	.type	_ZN7rocprim17ROCPRIM_400000_NS6detail17trampoline_kernelINS0_14default_configENS1_27scan_by_key_config_selectorIifEEZZNS1_16scan_by_key_implILNS1_25lookback_scan_determinismE0ELb1ES3_N6thrust23THRUST_200600_302600_NS6detail15normal_iteratorINS9_10device_ptrIiEEEENSB_INSC_IfEEEESG_fNS9_4plusIvEENS9_8equal_toIvEEfEE10hipError_tPvRmT2_T3_T4_T5_mT6_T7_P12ihipStream_tbENKUlT_T0_E_clISt17integral_constantIbLb1EES10_IbLb0EEEEDaSW_SX_EUlSW_E_NS1_11comp_targetILNS1_3genE0ELNS1_11target_archE4294967295ELNS1_3gpuE0ELNS1_3repE0EEENS1_30default_config_static_selectorELNS0_4arch9wavefront6targetE0EEEvT1_,@function
_ZN7rocprim17ROCPRIM_400000_NS6detail17trampoline_kernelINS0_14default_configENS1_27scan_by_key_config_selectorIifEEZZNS1_16scan_by_key_implILNS1_25lookback_scan_determinismE0ELb1ES3_N6thrust23THRUST_200600_302600_NS6detail15normal_iteratorINS9_10device_ptrIiEEEENSB_INSC_IfEEEESG_fNS9_4plusIvEENS9_8equal_toIvEEfEE10hipError_tPvRmT2_T3_T4_T5_mT6_T7_P12ihipStream_tbENKUlT_T0_E_clISt17integral_constantIbLb1EES10_IbLb0EEEEDaSW_SX_EUlSW_E_NS1_11comp_targetILNS1_3genE0ELNS1_11target_archE4294967295ELNS1_3gpuE0ELNS1_3repE0EEENS1_30default_config_static_selectorELNS0_4arch9wavefront6targetE0EEEvT1_: ; @_ZN7rocprim17ROCPRIM_400000_NS6detail17trampoline_kernelINS0_14default_configENS1_27scan_by_key_config_selectorIifEEZZNS1_16scan_by_key_implILNS1_25lookback_scan_determinismE0ELb1ES3_N6thrust23THRUST_200600_302600_NS6detail15normal_iteratorINS9_10device_ptrIiEEEENSB_INSC_IfEEEESG_fNS9_4plusIvEENS9_8equal_toIvEEfEE10hipError_tPvRmT2_T3_T4_T5_mT6_T7_P12ihipStream_tbENKUlT_T0_E_clISt17integral_constantIbLb1EES10_IbLb0EEEEDaSW_SX_EUlSW_E_NS1_11comp_targetILNS1_3genE0ELNS1_11target_archE4294967295ELNS1_3gpuE0ELNS1_3repE0EEENS1_30default_config_static_selectorELNS0_4arch9wavefront6targetE0EEEvT1_
; %bb.0:
	s_endpgm
	.section	.rodata,"a",@progbits
	.p2align	6, 0x0
	.amdhsa_kernel _ZN7rocprim17ROCPRIM_400000_NS6detail17trampoline_kernelINS0_14default_configENS1_27scan_by_key_config_selectorIifEEZZNS1_16scan_by_key_implILNS1_25lookback_scan_determinismE0ELb1ES3_N6thrust23THRUST_200600_302600_NS6detail15normal_iteratorINS9_10device_ptrIiEEEENSB_INSC_IfEEEESG_fNS9_4plusIvEENS9_8equal_toIvEEfEE10hipError_tPvRmT2_T3_T4_T5_mT6_T7_P12ihipStream_tbENKUlT_T0_E_clISt17integral_constantIbLb1EES10_IbLb0EEEEDaSW_SX_EUlSW_E_NS1_11comp_targetILNS1_3genE0ELNS1_11target_archE4294967295ELNS1_3gpuE0ELNS1_3repE0EEENS1_30default_config_static_selectorELNS0_4arch9wavefront6targetE0EEEvT1_
		.amdhsa_group_segment_fixed_size 0
		.amdhsa_private_segment_fixed_size 0
		.amdhsa_kernarg_size 112
		.amdhsa_user_sgpr_count 2
		.amdhsa_user_sgpr_dispatch_ptr 0
		.amdhsa_user_sgpr_queue_ptr 0
		.amdhsa_user_sgpr_kernarg_segment_ptr 1
		.amdhsa_user_sgpr_dispatch_id 0
		.amdhsa_user_sgpr_kernarg_preload_length 0
		.amdhsa_user_sgpr_kernarg_preload_offset 0
		.amdhsa_user_sgpr_private_segment_size 0
		.amdhsa_wavefront_size32 1
		.amdhsa_uses_dynamic_stack 0
		.amdhsa_enable_private_segment 0
		.amdhsa_system_sgpr_workgroup_id_x 1
		.amdhsa_system_sgpr_workgroup_id_y 0
		.amdhsa_system_sgpr_workgroup_id_z 0
		.amdhsa_system_sgpr_workgroup_info 0
		.amdhsa_system_vgpr_workitem_id 0
		.amdhsa_next_free_vgpr 1
		.amdhsa_next_free_sgpr 1
		.amdhsa_named_barrier_count 0
		.amdhsa_reserve_vcc 0
		.amdhsa_float_round_mode_32 0
		.amdhsa_float_round_mode_16_64 0
		.amdhsa_float_denorm_mode_32 3
		.amdhsa_float_denorm_mode_16_64 3
		.amdhsa_fp16_overflow 0
		.amdhsa_memory_ordered 1
		.amdhsa_forward_progress 1
		.amdhsa_inst_pref_size 1
		.amdhsa_round_robin_scheduling 0
		.amdhsa_exception_fp_ieee_invalid_op 0
		.amdhsa_exception_fp_denorm_src 0
		.amdhsa_exception_fp_ieee_div_zero 0
		.amdhsa_exception_fp_ieee_overflow 0
		.amdhsa_exception_fp_ieee_underflow 0
		.amdhsa_exception_fp_ieee_inexact 0
		.amdhsa_exception_int_div_zero 0
	.end_amdhsa_kernel
	.section	.text._ZN7rocprim17ROCPRIM_400000_NS6detail17trampoline_kernelINS0_14default_configENS1_27scan_by_key_config_selectorIifEEZZNS1_16scan_by_key_implILNS1_25lookback_scan_determinismE0ELb1ES3_N6thrust23THRUST_200600_302600_NS6detail15normal_iteratorINS9_10device_ptrIiEEEENSB_INSC_IfEEEESG_fNS9_4plusIvEENS9_8equal_toIvEEfEE10hipError_tPvRmT2_T3_T4_T5_mT6_T7_P12ihipStream_tbENKUlT_T0_E_clISt17integral_constantIbLb1EES10_IbLb0EEEEDaSW_SX_EUlSW_E_NS1_11comp_targetILNS1_3genE0ELNS1_11target_archE4294967295ELNS1_3gpuE0ELNS1_3repE0EEENS1_30default_config_static_selectorELNS0_4arch9wavefront6targetE0EEEvT1_,"axG",@progbits,_ZN7rocprim17ROCPRIM_400000_NS6detail17trampoline_kernelINS0_14default_configENS1_27scan_by_key_config_selectorIifEEZZNS1_16scan_by_key_implILNS1_25lookback_scan_determinismE0ELb1ES3_N6thrust23THRUST_200600_302600_NS6detail15normal_iteratorINS9_10device_ptrIiEEEENSB_INSC_IfEEEESG_fNS9_4plusIvEENS9_8equal_toIvEEfEE10hipError_tPvRmT2_T3_T4_T5_mT6_T7_P12ihipStream_tbENKUlT_T0_E_clISt17integral_constantIbLb1EES10_IbLb0EEEEDaSW_SX_EUlSW_E_NS1_11comp_targetILNS1_3genE0ELNS1_11target_archE4294967295ELNS1_3gpuE0ELNS1_3repE0EEENS1_30default_config_static_selectorELNS0_4arch9wavefront6targetE0EEEvT1_,comdat
.Lfunc_end1445:
	.size	_ZN7rocprim17ROCPRIM_400000_NS6detail17trampoline_kernelINS0_14default_configENS1_27scan_by_key_config_selectorIifEEZZNS1_16scan_by_key_implILNS1_25lookback_scan_determinismE0ELb1ES3_N6thrust23THRUST_200600_302600_NS6detail15normal_iteratorINS9_10device_ptrIiEEEENSB_INSC_IfEEEESG_fNS9_4plusIvEENS9_8equal_toIvEEfEE10hipError_tPvRmT2_T3_T4_T5_mT6_T7_P12ihipStream_tbENKUlT_T0_E_clISt17integral_constantIbLb1EES10_IbLb0EEEEDaSW_SX_EUlSW_E_NS1_11comp_targetILNS1_3genE0ELNS1_11target_archE4294967295ELNS1_3gpuE0ELNS1_3repE0EEENS1_30default_config_static_selectorELNS0_4arch9wavefront6targetE0EEEvT1_, .Lfunc_end1445-_ZN7rocprim17ROCPRIM_400000_NS6detail17trampoline_kernelINS0_14default_configENS1_27scan_by_key_config_selectorIifEEZZNS1_16scan_by_key_implILNS1_25lookback_scan_determinismE0ELb1ES3_N6thrust23THRUST_200600_302600_NS6detail15normal_iteratorINS9_10device_ptrIiEEEENSB_INSC_IfEEEESG_fNS9_4plusIvEENS9_8equal_toIvEEfEE10hipError_tPvRmT2_T3_T4_T5_mT6_T7_P12ihipStream_tbENKUlT_T0_E_clISt17integral_constantIbLb1EES10_IbLb0EEEEDaSW_SX_EUlSW_E_NS1_11comp_targetILNS1_3genE0ELNS1_11target_archE4294967295ELNS1_3gpuE0ELNS1_3repE0EEENS1_30default_config_static_selectorELNS0_4arch9wavefront6targetE0EEEvT1_
                                        ; -- End function
	.set _ZN7rocprim17ROCPRIM_400000_NS6detail17trampoline_kernelINS0_14default_configENS1_27scan_by_key_config_selectorIifEEZZNS1_16scan_by_key_implILNS1_25lookback_scan_determinismE0ELb1ES3_N6thrust23THRUST_200600_302600_NS6detail15normal_iteratorINS9_10device_ptrIiEEEENSB_INSC_IfEEEESG_fNS9_4plusIvEENS9_8equal_toIvEEfEE10hipError_tPvRmT2_T3_T4_T5_mT6_T7_P12ihipStream_tbENKUlT_T0_E_clISt17integral_constantIbLb1EES10_IbLb0EEEEDaSW_SX_EUlSW_E_NS1_11comp_targetILNS1_3genE0ELNS1_11target_archE4294967295ELNS1_3gpuE0ELNS1_3repE0EEENS1_30default_config_static_selectorELNS0_4arch9wavefront6targetE0EEEvT1_.num_vgpr, 0
	.set _ZN7rocprim17ROCPRIM_400000_NS6detail17trampoline_kernelINS0_14default_configENS1_27scan_by_key_config_selectorIifEEZZNS1_16scan_by_key_implILNS1_25lookback_scan_determinismE0ELb1ES3_N6thrust23THRUST_200600_302600_NS6detail15normal_iteratorINS9_10device_ptrIiEEEENSB_INSC_IfEEEESG_fNS9_4plusIvEENS9_8equal_toIvEEfEE10hipError_tPvRmT2_T3_T4_T5_mT6_T7_P12ihipStream_tbENKUlT_T0_E_clISt17integral_constantIbLb1EES10_IbLb0EEEEDaSW_SX_EUlSW_E_NS1_11comp_targetILNS1_3genE0ELNS1_11target_archE4294967295ELNS1_3gpuE0ELNS1_3repE0EEENS1_30default_config_static_selectorELNS0_4arch9wavefront6targetE0EEEvT1_.num_agpr, 0
	.set _ZN7rocprim17ROCPRIM_400000_NS6detail17trampoline_kernelINS0_14default_configENS1_27scan_by_key_config_selectorIifEEZZNS1_16scan_by_key_implILNS1_25lookback_scan_determinismE0ELb1ES3_N6thrust23THRUST_200600_302600_NS6detail15normal_iteratorINS9_10device_ptrIiEEEENSB_INSC_IfEEEESG_fNS9_4plusIvEENS9_8equal_toIvEEfEE10hipError_tPvRmT2_T3_T4_T5_mT6_T7_P12ihipStream_tbENKUlT_T0_E_clISt17integral_constantIbLb1EES10_IbLb0EEEEDaSW_SX_EUlSW_E_NS1_11comp_targetILNS1_3genE0ELNS1_11target_archE4294967295ELNS1_3gpuE0ELNS1_3repE0EEENS1_30default_config_static_selectorELNS0_4arch9wavefront6targetE0EEEvT1_.numbered_sgpr, 0
	.set _ZN7rocprim17ROCPRIM_400000_NS6detail17trampoline_kernelINS0_14default_configENS1_27scan_by_key_config_selectorIifEEZZNS1_16scan_by_key_implILNS1_25lookback_scan_determinismE0ELb1ES3_N6thrust23THRUST_200600_302600_NS6detail15normal_iteratorINS9_10device_ptrIiEEEENSB_INSC_IfEEEESG_fNS9_4plusIvEENS9_8equal_toIvEEfEE10hipError_tPvRmT2_T3_T4_T5_mT6_T7_P12ihipStream_tbENKUlT_T0_E_clISt17integral_constantIbLb1EES10_IbLb0EEEEDaSW_SX_EUlSW_E_NS1_11comp_targetILNS1_3genE0ELNS1_11target_archE4294967295ELNS1_3gpuE0ELNS1_3repE0EEENS1_30default_config_static_selectorELNS0_4arch9wavefront6targetE0EEEvT1_.num_named_barrier, 0
	.set _ZN7rocprim17ROCPRIM_400000_NS6detail17trampoline_kernelINS0_14default_configENS1_27scan_by_key_config_selectorIifEEZZNS1_16scan_by_key_implILNS1_25lookback_scan_determinismE0ELb1ES3_N6thrust23THRUST_200600_302600_NS6detail15normal_iteratorINS9_10device_ptrIiEEEENSB_INSC_IfEEEESG_fNS9_4plusIvEENS9_8equal_toIvEEfEE10hipError_tPvRmT2_T3_T4_T5_mT6_T7_P12ihipStream_tbENKUlT_T0_E_clISt17integral_constantIbLb1EES10_IbLb0EEEEDaSW_SX_EUlSW_E_NS1_11comp_targetILNS1_3genE0ELNS1_11target_archE4294967295ELNS1_3gpuE0ELNS1_3repE0EEENS1_30default_config_static_selectorELNS0_4arch9wavefront6targetE0EEEvT1_.private_seg_size, 0
	.set _ZN7rocprim17ROCPRIM_400000_NS6detail17trampoline_kernelINS0_14default_configENS1_27scan_by_key_config_selectorIifEEZZNS1_16scan_by_key_implILNS1_25lookback_scan_determinismE0ELb1ES3_N6thrust23THRUST_200600_302600_NS6detail15normal_iteratorINS9_10device_ptrIiEEEENSB_INSC_IfEEEESG_fNS9_4plusIvEENS9_8equal_toIvEEfEE10hipError_tPvRmT2_T3_T4_T5_mT6_T7_P12ihipStream_tbENKUlT_T0_E_clISt17integral_constantIbLb1EES10_IbLb0EEEEDaSW_SX_EUlSW_E_NS1_11comp_targetILNS1_3genE0ELNS1_11target_archE4294967295ELNS1_3gpuE0ELNS1_3repE0EEENS1_30default_config_static_selectorELNS0_4arch9wavefront6targetE0EEEvT1_.uses_vcc, 0
	.set _ZN7rocprim17ROCPRIM_400000_NS6detail17trampoline_kernelINS0_14default_configENS1_27scan_by_key_config_selectorIifEEZZNS1_16scan_by_key_implILNS1_25lookback_scan_determinismE0ELb1ES3_N6thrust23THRUST_200600_302600_NS6detail15normal_iteratorINS9_10device_ptrIiEEEENSB_INSC_IfEEEESG_fNS9_4plusIvEENS9_8equal_toIvEEfEE10hipError_tPvRmT2_T3_T4_T5_mT6_T7_P12ihipStream_tbENKUlT_T0_E_clISt17integral_constantIbLb1EES10_IbLb0EEEEDaSW_SX_EUlSW_E_NS1_11comp_targetILNS1_3genE0ELNS1_11target_archE4294967295ELNS1_3gpuE0ELNS1_3repE0EEENS1_30default_config_static_selectorELNS0_4arch9wavefront6targetE0EEEvT1_.uses_flat_scratch, 0
	.set _ZN7rocprim17ROCPRIM_400000_NS6detail17trampoline_kernelINS0_14default_configENS1_27scan_by_key_config_selectorIifEEZZNS1_16scan_by_key_implILNS1_25lookback_scan_determinismE0ELb1ES3_N6thrust23THRUST_200600_302600_NS6detail15normal_iteratorINS9_10device_ptrIiEEEENSB_INSC_IfEEEESG_fNS9_4plusIvEENS9_8equal_toIvEEfEE10hipError_tPvRmT2_T3_T4_T5_mT6_T7_P12ihipStream_tbENKUlT_T0_E_clISt17integral_constantIbLb1EES10_IbLb0EEEEDaSW_SX_EUlSW_E_NS1_11comp_targetILNS1_3genE0ELNS1_11target_archE4294967295ELNS1_3gpuE0ELNS1_3repE0EEENS1_30default_config_static_selectorELNS0_4arch9wavefront6targetE0EEEvT1_.has_dyn_sized_stack, 0
	.set _ZN7rocprim17ROCPRIM_400000_NS6detail17trampoline_kernelINS0_14default_configENS1_27scan_by_key_config_selectorIifEEZZNS1_16scan_by_key_implILNS1_25lookback_scan_determinismE0ELb1ES3_N6thrust23THRUST_200600_302600_NS6detail15normal_iteratorINS9_10device_ptrIiEEEENSB_INSC_IfEEEESG_fNS9_4plusIvEENS9_8equal_toIvEEfEE10hipError_tPvRmT2_T3_T4_T5_mT6_T7_P12ihipStream_tbENKUlT_T0_E_clISt17integral_constantIbLb1EES10_IbLb0EEEEDaSW_SX_EUlSW_E_NS1_11comp_targetILNS1_3genE0ELNS1_11target_archE4294967295ELNS1_3gpuE0ELNS1_3repE0EEENS1_30default_config_static_selectorELNS0_4arch9wavefront6targetE0EEEvT1_.has_recursion, 0
	.set _ZN7rocprim17ROCPRIM_400000_NS6detail17trampoline_kernelINS0_14default_configENS1_27scan_by_key_config_selectorIifEEZZNS1_16scan_by_key_implILNS1_25lookback_scan_determinismE0ELb1ES3_N6thrust23THRUST_200600_302600_NS6detail15normal_iteratorINS9_10device_ptrIiEEEENSB_INSC_IfEEEESG_fNS9_4plusIvEENS9_8equal_toIvEEfEE10hipError_tPvRmT2_T3_T4_T5_mT6_T7_P12ihipStream_tbENKUlT_T0_E_clISt17integral_constantIbLb1EES10_IbLb0EEEEDaSW_SX_EUlSW_E_NS1_11comp_targetILNS1_3genE0ELNS1_11target_archE4294967295ELNS1_3gpuE0ELNS1_3repE0EEENS1_30default_config_static_selectorELNS0_4arch9wavefront6targetE0EEEvT1_.has_indirect_call, 0
	.section	.AMDGPU.csdata,"",@progbits
; Kernel info:
; codeLenInByte = 4
; TotalNumSgprs: 0
; NumVgprs: 0
; ScratchSize: 0
; MemoryBound: 0
; FloatMode: 240
; IeeeMode: 1
; LDSByteSize: 0 bytes/workgroup (compile time only)
; SGPRBlocks: 0
; VGPRBlocks: 0
; NumSGPRsForWavesPerEU: 1
; NumVGPRsForWavesPerEU: 1
; NamedBarCnt: 0
; Occupancy: 16
; WaveLimiterHint : 0
; COMPUTE_PGM_RSRC2:SCRATCH_EN: 0
; COMPUTE_PGM_RSRC2:USER_SGPR: 2
; COMPUTE_PGM_RSRC2:TRAP_HANDLER: 0
; COMPUTE_PGM_RSRC2:TGID_X_EN: 1
; COMPUTE_PGM_RSRC2:TGID_Y_EN: 0
; COMPUTE_PGM_RSRC2:TGID_Z_EN: 0
; COMPUTE_PGM_RSRC2:TIDIG_COMP_CNT: 0
	.section	.text._ZN7rocprim17ROCPRIM_400000_NS6detail17trampoline_kernelINS0_14default_configENS1_27scan_by_key_config_selectorIifEEZZNS1_16scan_by_key_implILNS1_25lookback_scan_determinismE0ELb1ES3_N6thrust23THRUST_200600_302600_NS6detail15normal_iteratorINS9_10device_ptrIiEEEENSB_INSC_IfEEEESG_fNS9_4plusIvEENS9_8equal_toIvEEfEE10hipError_tPvRmT2_T3_T4_T5_mT6_T7_P12ihipStream_tbENKUlT_T0_E_clISt17integral_constantIbLb1EES10_IbLb0EEEEDaSW_SX_EUlSW_E_NS1_11comp_targetILNS1_3genE10ELNS1_11target_archE1201ELNS1_3gpuE5ELNS1_3repE0EEENS1_30default_config_static_selectorELNS0_4arch9wavefront6targetE0EEEvT1_,"axG",@progbits,_ZN7rocprim17ROCPRIM_400000_NS6detail17trampoline_kernelINS0_14default_configENS1_27scan_by_key_config_selectorIifEEZZNS1_16scan_by_key_implILNS1_25lookback_scan_determinismE0ELb1ES3_N6thrust23THRUST_200600_302600_NS6detail15normal_iteratorINS9_10device_ptrIiEEEENSB_INSC_IfEEEESG_fNS9_4plusIvEENS9_8equal_toIvEEfEE10hipError_tPvRmT2_T3_T4_T5_mT6_T7_P12ihipStream_tbENKUlT_T0_E_clISt17integral_constantIbLb1EES10_IbLb0EEEEDaSW_SX_EUlSW_E_NS1_11comp_targetILNS1_3genE10ELNS1_11target_archE1201ELNS1_3gpuE5ELNS1_3repE0EEENS1_30default_config_static_selectorELNS0_4arch9wavefront6targetE0EEEvT1_,comdat
	.protected	_ZN7rocprim17ROCPRIM_400000_NS6detail17trampoline_kernelINS0_14default_configENS1_27scan_by_key_config_selectorIifEEZZNS1_16scan_by_key_implILNS1_25lookback_scan_determinismE0ELb1ES3_N6thrust23THRUST_200600_302600_NS6detail15normal_iteratorINS9_10device_ptrIiEEEENSB_INSC_IfEEEESG_fNS9_4plusIvEENS9_8equal_toIvEEfEE10hipError_tPvRmT2_T3_T4_T5_mT6_T7_P12ihipStream_tbENKUlT_T0_E_clISt17integral_constantIbLb1EES10_IbLb0EEEEDaSW_SX_EUlSW_E_NS1_11comp_targetILNS1_3genE10ELNS1_11target_archE1201ELNS1_3gpuE5ELNS1_3repE0EEENS1_30default_config_static_selectorELNS0_4arch9wavefront6targetE0EEEvT1_ ; -- Begin function _ZN7rocprim17ROCPRIM_400000_NS6detail17trampoline_kernelINS0_14default_configENS1_27scan_by_key_config_selectorIifEEZZNS1_16scan_by_key_implILNS1_25lookback_scan_determinismE0ELb1ES3_N6thrust23THRUST_200600_302600_NS6detail15normal_iteratorINS9_10device_ptrIiEEEENSB_INSC_IfEEEESG_fNS9_4plusIvEENS9_8equal_toIvEEfEE10hipError_tPvRmT2_T3_T4_T5_mT6_T7_P12ihipStream_tbENKUlT_T0_E_clISt17integral_constantIbLb1EES10_IbLb0EEEEDaSW_SX_EUlSW_E_NS1_11comp_targetILNS1_3genE10ELNS1_11target_archE1201ELNS1_3gpuE5ELNS1_3repE0EEENS1_30default_config_static_selectorELNS0_4arch9wavefront6targetE0EEEvT1_
	.globl	_ZN7rocprim17ROCPRIM_400000_NS6detail17trampoline_kernelINS0_14default_configENS1_27scan_by_key_config_selectorIifEEZZNS1_16scan_by_key_implILNS1_25lookback_scan_determinismE0ELb1ES3_N6thrust23THRUST_200600_302600_NS6detail15normal_iteratorINS9_10device_ptrIiEEEENSB_INSC_IfEEEESG_fNS9_4plusIvEENS9_8equal_toIvEEfEE10hipError_tPvRmT2_T3_T4_T5_mT6_T7_P12ihipStream_tbENKUlT_T0_E_clISt17integral_constantIbLb1EES10_IbLb0EEEEDaSW_SX_EUlSW_E_NS1_11comp_targetILNS1_3genE10ELNS1_11target_archE1201ELNS1_3gpuE5ELNS1_3repE0EEENS1_30default_config_static_selectorELNS0_4arch9wavefront6targetE0EEEvT1_
	.p2align	8
	.type	_ZN7rocprim17ROCPRIM_400000_NS6detail17trampoline_kernelINS0_14default_configENS1_27scan_by_key_config_selectorIifEEZZNS1_16scan_by_key_implILNS1_25lookback_scan_determinismE0ELb1ES3_N6thrust23THRUST_200600_302600_NS6detail15normal_iteratorINS9_10device_ptrIiEEEENSB_INSC_IfEEEESG_fNS9_4plusIvEENS9_8equal_toIvEEfEE10hipError_tPvRmT2_T3_T4_T5_mT6_T7_P12ihipStream_tbENKUlT_T0_E_clISt17integral_constantIbLb1EES10_IbLb0EEEEDaSW_SX_EUlSW_E_NS1_11comp_targetILNS1_3genE10ELNS1_11target_archE1201ELNS1_3gpuE5ELNS1_3repE0EEENS1_30default_config_static_selectorELNS0_4arch9wavefront6targetE0EEEvT1_,@function
_ZN7rocprim17ROCPRIM_400000_NS6detail17trampoline_kernelINS0_14default_configENS1_27scan_by_key_config_selectorIifEEZZNS1_16scan_by_key_implILNS1_25lookback_scan_determinismE0ELb1ES3_N6thrust23THRUST_200600_302600_NS6detail15normal_iteratorINS9_10device_ptrIiEEEENSB_INSC_IfEEEESG_fNS9_4plusIvEENS9_8equal_toIvEEfEE10hipError_tPvRmT2_T3_T4_T5_mT6_T7_P12ihipStream_tbENKUlT_T0_E_clISt17integral_constantIbLb1EES10_IbLb0EEEEDaSW_SX_EUlSW_E_NS1_11comp_targetILNS1_3genE10ELNS1_11target_archE1201ELNS1_3gpuE5ELNS1_3repE0EEENS1_30default_config_static_selectorELNS0_4arch9wavefront6targetE0EEEvT1_: ; @_ZN7rocprim17ROCPRIM_400000_NS6detail17trampoline_kernelINS0_14default_configENS1_27scan_by_key_config_selectorIifEEZZNS1_16scan_by_key_implILNS1_25lookback_scan_determinismE0ELb1ES3_N6thrust23THRUST_200600_302600_NS6detail15normal_iteratorINS9_10device_ptrIiEEEENSB_INSC_IfEEEESG_fNS9_4plusIvEENS9_8equal_toIvEEfEE10hipError_tPvRmT2_T3_T4_T5_mT6_T7_P12ihipStream_tbENKUlT_T0_E_clISt17integral_constantIbLb1EES10_IbLb0EEEEDaSW_SX_EUlSW_E_NS1_11comp_targetILNS1_3genE10ELNS1_11target_archE1201ELNS1_3gpuE5ELNS1_3repE0EEENS1_30default_config_static_selectorELNS0_4arch9wavefront6targetE0EEEvT1_
; %bb.0:
	.section	.rodata,"a",@progbits
	.p2align	6, 0x0
	.amdhsa_kernel _ZN7rocprim17ROCPRIM_400000_NS6detail17trampoline_kernelINS0_14default_configENS1_27scan_by_key_config_selectorIifEEZZNS1_16scan_by_key_implILNS1_25lookback_scan_determinismE0ELb1ES3_N6thrust23THRUST_200600_302600_NS6detail15normal_iteratorINS9_10device_ptrIiEEEENSB_INSC_IfEEEESG_fNS9_4plusIvEENS9_8equal_toIvEEfEE10hipError_tPvRmT2_T3_T4_T5_mT6_T7_P12ihipStream_tbENKUlT_T0_E_clISt17integral_constantIbLb1EES10_IbLb0EEEEDaSW_SX_EUlSW_E_NS1_11comp_targetILNS1_3genE10ELNS1_11target_archE1201ELNS1_3gpuE5ELNS1_3repE0EEENS1_30default_config_static_selectorELNS0_4arch9wavefront6targetE0EEEvT1_
		.amdhsa_group_segment_fixed_size 0
		.amdhsa_private_segment_fixed_size 0
		.amdhsa_kernarg_size 112
		.amdhsa_user_sgpr_count 2
		.amdhsa_user_sgpr_dispatch_ptr 0
		.amdhsa_user_sgpr_queue_ptr 0
		.amdhsa_user_sgpr_kernarg_segment_ptr 1
		.amdhsa_user_sgpr_dispatch_id 0
		.amdhsa_user_sgpr_kernarg_preload_length 0
		.amdhsa_user_sgpr_kernarg_preload_offset 0
		.amdhsa_user_sgpr_private_segment_size 0
		.amdhsa_wavefront_size32 1
		.amdhsa_uses_dynamic_stack 0
		.amdhsa_enable_private_segment 0
		.amdhsa_system_sgpr_workgroup_id_x 1
		.amdhsa_system_sgpr_workgroup_id_y 0
		.amdhsa_system_sgpr_workgroup_id_z 0
		.amdhsa_system_sgpr_workgroup_info 0
		.amdhsa_system_vgpr_workitem_id 0
		.amdhsa_next_free_vgpr 1
		.amdhsa_next_free_sgpr 1
		.amdhsa_named_barrier_count 0
		.amdhsa_reserve_vcc 0
		.amdhsa_float_round_mode_32 0
		.amdhsa_float_round_mode_16_64 0
		.amdhsa_float_denorm_mode_32 3
		.amdhsa_float_denorm_mode_16_64 3
		.amdhsa_fp16_overflow 0
		.amdhsa_memory_ordered 1
		.amdhsa_forward_progress 1
		.amdhsa_inst_pref_size 0
		.amdhsa_round_robin_scheduling 0
		.amdhsa_exception_fp_ieee_invalid_op 0
		.amdhsa_exception_fp_denorm_src 0
		.amdhsa_exception_fp_ieee_div_zero 0
		.amdhsa_exception_fp_ieee_overflow 0
		.amdhsa_exception_fp_ieee_underflow 0
		.amdhsa_exception_fp_ieee_inexact 0
		.amdhsa_exception_int_div_zero 0
	.end_amdhsa_kernel
	.section	.text._ZN7rocprim17ROCPRIM_400000_NS6detail17trampoline_kernelINS0_14default_configENS1_27scan_by_key_config_selectorIifEEZZNS1_16scan_by_key_implILNS1_25lookback_scan_determinismE0ELb1ES3_N6thrust23THRUST_200600_302600_NS6detail15normal_iteratorINS9_10device_ptrIiEEEENSB_INSC_IfEEEESG_fNS9_4plusIvEENS9_8equal_toIvEEfEE10hipError_tPvRmT2_T3_T4_T5_mT6_T7_P12ihipStream_tbENKUlT_T0_E_clISt17integral_constantIbLb1EES10_IbLb0EEEEDaSW_SX_EUlSW_E_NS1_11comp_targetILNS1_3genE10ELNS1_11target_archE1201ELNS1_3gpuE5ELNS1_3repE0EEENS1_30default_config_static_selectorELNS0_4arch9wavefront6targetE0EEEvT1_,"axG",@progbits,_ZN7rocprim17ROCPRIM_400000_NS6detail17trampoline_kernelINS0_14default_configENS1_27scan_by_key_config_selectorIifEEZZNS1_16scan_by_key_implILNS1_25lookback_scan_determinismE0ELb1ES3_N6thrust23THRUST_200600_302600_NS6detail15normal_iteratorINS9_10device_ptrIiEEEENSB_INSC_IfEEEESG_fNS9_4plusIvEENS9_8equal_toIvEEfEE10hipError_tPvRmT2_T3_T4_T5_mT6_T7_P12ihipStream_tbENKUlT_T0_E_clISt17integral_constantIbLb1EES10_IbLb0EEEEDaSW_SX_EUlSW_E_NS1_11comp_targetILNS1_3genE10ELNS1_11target_archE1201ELNS1_3gpuE5ELNS1_3repE0EEENS1_30default_config_static_selectorELNS0_4arch9wavefront6targetE0EEEvT1_,comdat
.Lfunc_end1446:
	.size	_ZN7rocprim17ROCPRIM_400000_NS6detail17trampoline_kernelINS0_14default_configENS1_27scan_by_key_config_selectorIifEEZZNS1_16scan_by_key_implILNS1_25lookback_scan_determinismE0ELb1ES3_N6thrust23THRUST_200600_302600_NS6detail15normal_iteratorINS9_10device_ptrIiEEEENSB_INSC_IfEEEESG_fNS9_4plusIvEENS9_8equal_toIvEEfEE10hipError_tPvRmT2_T3_T4_T5_mT6_T7_P12ihipStream_tbENKUlT_T0_E_clISt17integral_constantIbLb1EES10_IbLb0EEEEDaSW_SX_EUlSW_E_NS1_11comp_targetILNS1_3genE10ELNS1_11target_archE1201ELNS1_3gpuE5ELNS1_3repE0EEENS1_30default_config_static_selectorELNS0_4arch9wavefront6targetE0EEEvT1_, .Lfunc_end1446-_ZN7rocprim17ROCPRIM_400000_NS6detail17trampoline_kernelINS0_14default_configENS1_27scan_by_key_config_selectorIifEEZZNS1_16scan_by_key_implILNS1_25lookback_scan_determinismE0ELb1ES3_N6thrust23THRUST_200600_302600_NS6detail15normal_iteratorINS9_10device_ptrIiEEEENSB_INSC_IfEEEESG_fNS9_4plusIvEENS9_8equal_toIvEEfEE10hipError_tPvRmT2_T3_T4_T5_mT6_T7_P12ihipStream_tbENKUlT_T0_E_clISt17integral_constantIbLb1EES10_IbLb0EEEEDaSW_SX_EUlSW_E_NS1_11comp_targetILNS1_3genE10ELNS1_11target_archE1201ELNS1_3gpuE5ELNS1_3repE0EEENS1_30default_config_static_selectorELNS0_4arch9wavefront6targetE0EEEvT1_
                                        ; -- End function
	.set _ZN7rocprim17ROCPRIM_400000_NS6detail17trampoline_kernelINS0_14default_configENS1_27scan_by_key_config_selectorIifEEZZNS1_16scan_by_key_implILNS1_25lookback_scan_determinismE0ELb1ES3_N6thrust23THRUST_200600_302600_NS6detail15normal_iteratorINS9_10device_ptrIiEEEENSB_INSC_IfEEEESG_fNS9_4plusIvEENS9_8equal_toIvEEfEE10hipError_tPvRmT2_T3_T4_T5_mT6_T7_P12ihipStream_tbENKUlT_T0_E_clISt17integral_constantIbLb1EES10_IbLb0EEEEDaSW_SX_EUlSW_E_NS1_11comp_targetILNS1_3genE10ELNS1_11target_archE1201ELNS1_3gpuE5ELNS1_3repE0EEENS1_30default_config_static_selectorELNS0_4arch9wavefront6targetE0EEEvT1_.num_vgpr, 0
	.set _ZN7rocprim17ROCPRIM_400000_NS6detail17trampoline_kernelINS0_14default_configENS1_27scan_by_key_config_selectorIifEEZZNS1_16scan_by_key_implILNS1_25lookback_scan_determinismE0ELb1ES3_N6thrust23THRUST_200600_302600_NS6detail15normal_iteratorINS9_10device_ptrIiEEEENSB_INSC_IfEEEESG_fNS9_4plusIvEENS9_8equal_toIvEEfEE10hipError_tPvRmT2_T3_T4_T5_mT6_T7_P12ihipStream_tbENKUlT_T0_E_clISt17integral_constantIbLb1EES10_IbLb0EEEEDaSW_SX_EUlSW_E_NS1_11comp_targetILNS1_3genE10ELNS1_11target_archE1201ELNS1_3gpuE5ELNS1_3repE0EEENS1_30default_config_static_selectorELNS0_4arch9wavefront6targetE0EEEvT1_.num_agpr, 0
	.set _ZN7rocprim17ROCPRIM_400000_NS6detail17trampoline_kernelINS0_14default_configENS1_27scan_by_key_config_selectorIifEEZZNS1_16scan_by_key_implILNS1_25lookback_scan_determinismE0ELb1ES3_N6thrust23THRUST_200600_302600_NS6detail15normal_iteratorINS9_10device_ptrIiEEEENSB_INSC_IfEEEESG_fNS9_4plusIvEENS9_8equal_toIvEEfEE10hipError_tPvRmT2_T3_T4_T5_mT6_T7_P12ihipStream_tbENKUlT_T0_E_clISt17integral_constantIbLb1EES10_IbLb0EEEEDaSW_SX_EUlSW_E_NS1_11comp_targetILNS1_3genE10ELNS1_11target_archE1201ELNS1_3gpuE5ELNS1_3repE0EEENS1_30default_config_static_selectorELNS0_4arch9wavefront6targetE0EEEvT1_.numbered_sgpr, 0
	.set _ZN7rocprim17ROCPRIM_400000_NS6detail17trampoline_kernelINS0_14default_configENS1_27scan_by_key_config_selectorIifEEZZNS1_16scan_by_key_implILNS1_25lookback_scan_determinismE0ELb1ES3_N6thrust23THRUST_200600_302600_NS6detail15normal_iteratorINS9_10device_ptrIiEEEENSB_INSC_IfEEEESG_fNS9_4plusIvEENS9_8equal_toIvEEfEE10hipError_tPvRmT2_T3_T4_T5_mT6_T7_P12ihipStream_tbENKUlT_T0_E_clISt17integral_constantIbLb1EES10_IbLb0EEEEDaSW_SX_EUlSW_E_NS1_11comp_targetILNS1_3genE10ELNS1_11target_archE1201ELNS1_3gpuE5ELNS1_3repE0EEENS1_30default_config_static_selectorELNS0_4arch9wavefront6targetE0EEEvT1_.num_named_barrier, 0
	.set _ZN7rocprim17ROCPRIM_400000_NS6detail17trampoline_kernelINS0_14default_configENS1_27scan_by_key_config_selectorIifEEZZNS1_16scan_by_key_implILNS1_25lookback_scan_determinismE0ELb1ES3_N6thrust23THRUST_200600_302600_NS6detail15normal_iteratorINS9_10device_ptrIiEEEENSB_INSC_IfEEEESG_fNS9_4plusIvEENS9_8equal_toIvEEfEE10hipError_tPvRmT2_T3_T4_T5_mT6_T7_P12ihipStream_tbENKUlT_T0_E_clISt17integral_constantIbLb1EES10_IbLb0EEEEDaSW_SX_EUlSW_E_NS1_11comp_targetILNS1_3genE10ELNS1_11target_archE1201ELNS1_3gpuE5ELNS1_3repE0EEENS1_30default_config_static_selectorELNS0_4arch9wavefront6targetE0EEEvT1_.private_seg_size, 0
	.set _ZN7rocprim17ROCPRIM_400000_NS6detail17trampoline_kernelINS0_14default_configENS1_27scan_by_key_config_selectorIifEEZZNS1_16scan_by_key_implILNS1_25lookback_scan_determinismE0ELb1ES3_N6thrust23THRUST_200600_302600_NS6detail15normal_iteratorINS9_10device_ptrIiEEEENSB_INSC_IfEEEESG_fNS9_4plusIvEENS9_8equal_toIvEEfEE10hipError_tPvRmT2_T3_T4_T5_mT6_T7_P12ihipStream_tbENKUlT_T0_E_clISt17integral_constantIbLb1EES10_IbLb0EEEEDaSW_SX_EUlSW_E_NS1_11comp_targetILNS1_3genE10ELNS1_11target_archE1201ELNS1_3gpuE5ELNS1_3repE0EEENS1_30default_config_static_selectorELNS0_4arch9wavefront6targetE0EEEvT1_.uses_vcc, 0
	.set _ZN7rocprim17ROCPRIM_400000_NS6detail17trampoline_kernelINS0_14default_configENS1_27scan_by_key_config_selectorIifEEZZNS1_16scan_by_key_implILNS1_25lookback_scan_determinismE0ELb1ES3_N6thrust23THRUST_200600_302600_NS6detail15normal_iteratorINS9_10device_ptrIiEEEENSB_INSC_IfEEEESG_fNS9_4plusIvEENS9_8equal_toIvEEfEE10hipError_tPvRmT2_T3_T4_T5_mT6_T7_P12ihipStream_tbENKUlT_T0_E_clISt17integral_constantIbLb1EES10_IbLb0EEEEDaSW_SX_EUlSW_E_NS1_11comp_targetILNS1_3genE10ELNS1_11target_archE1201ELNS1_3gpuE5ELNS1_3repE0EEENS1_30default_config_static_selectorELNS0_4arch9wavefront6targetE0EEEvT1_.uses_flat_scratch, 0
	.set _ZN7rocprim17ROCPRIM_400000_NS6detail17trampoline_kernelINS0_14default_configENS1_27scan_by_key_config_selectorIifEEZZNS1_16scan_by_key_implILNS1_25lookback_scan_determinismE0ELb1ES3_N6thrust23THRUST_200600_302600_NS6detail15normal_iteratorINS9_10device_ptrIiEEEENSB_INSC_IfEEEESG_fNS9_4plusIvEENS9_8equal_toIvEEfEE10hipError_tPvRmT2_T3_T4_T5_mT6_T7_P12ihipStream_tbENKUlT_T0_E_clISt17integral_constantIbLb1EES10_IbLb0EEEEDaSW_SX_EUlSW_E_NS1_11comp_targetILNS1_3genE10ELNS1_11target_archE1201ELNS1_3gpuE5ELNS1_3repE0EEENS1_30default_config_static_selectorELNS0_4arch9wavefront6targetE0EEEvT1_.has_dyn_sized_stack, 0
	.set _ZN7rocprim17ROCPRIM_400000_NS6detail17trampoline_kernelINS0_14default_configENS1_27scan_by_key_config_selectorIifEEZZNS1_16scan_by_key_implILNS1_25lookback_scan_determinismE0ELb1ES3_N6thrust23THRUST_200600_302600_NS6detail15normal_iteratorINS9_10device_ptrIiEEEENSB_INSC_IfEEEESG_fNS9_4plusIvEENS9_8equal_toIvEEfEE10hipError_tPvRmT2_T3_T4_T5_mT6_T7_P12ihipStream_tbENKUlT_T0_E_clISt17integral_constantIbLb1EES10_IbLb0EEEEDaSW_SX_EUlSW_E_NS1_11comp_targetILNS1_3genE10ELNS1_11target_archE1201ELNS1_3gpuE5ELNS1_3repE0EEENS1_30default_config_static_selectorELNS0_4arch9wavefront6targetE0EEEvT1_.has_recursion, 0
	.set _ZN7rocprim17ROCPRIM_400000_NS6detail17trampoline_kernelINS0_14default_configENS1_27scan_by_key_config_selectorIifEEZZNS1_16scan_by_key_implILNS1_25lookback_scan_determinismE0ELb1ES3_N6thrust23THRUST_200600_302600_NS6detail15normal_iteratorINS9_10device_ptrIiEEEENSB_INSC_IfEEEESG_fNS9_4plusIvEENS9_8equal_toIvEEfEE10hipError_tPvRmT2_T3_T4_T5_mT6_T7_P12ihipStream_tbENKUlT_T0_E_clISt17integral_constantIbLb1EES10_IbLb0EEEEDaSW_SX_EUlSW_E_NS1_11comp_targetILNS1_3genE10ELNS1_11target_archE1201ELNS1_3gpuE5ELNS1_3repE0EEENS1_30default_config_static_selectorELNS0_4arch9wavefront6targetE0EEEvT1_.has_indirect_call, 0
	.section	.AMDGPU.csdata,"",@progbits
; Kernel info:
; codeLenInByte = 0
; TotalNumSgprs: 0
; NumVgprs: 0
; ScratchSize: 0
; MemoryBound: 0
; FloatMode: 240
; IeeeMode: 1
; LDSByteSize: 0 bytes/workgroup (compile time only)
; SGPRBlocks: 0
; VGPRBlocks: 0
; NumSGPRsForWavesPerEU: 1
; NumVGPRsForWavesPerEU: 1
; NamedBarCnt: 0
; Occupancy: 16
; WaveLimiterHint : 0
; COMPUTE_PGM_RSRC2:SCRATCH_EN: 0
; COMPUTE_PGM_RSRC2:USER_SGPR: 2
; COMPUTE_PGM_RSRC2:TRAP_HANDLER: 0
; COMPUTE_PGM_RSRC2:TGID_X_EN: 1
; COMPUTE_PGM_RSRC2:TGID_Y_EN: 0
; COMPUTE_PGM_RSRC2:TGID_Z_EN: 0
; COMPUTE_PGM_RSRC2:TIDIG_COMP_CNT: 0
	.section	.text._ZN7rocprim17ROCPRIM_400000_NS6detail17trampoline_kernelINS0_14default_configENS1_27scan_by_key_config_selectorIifEEZZNS1_16scan_by_key_implILNS1_25lookback_scan_determinismE0ELb1ES3_N6thrust23THRUST_200600_302600_NS6detail15normal_iteratorINS9_10device_ptrIiEEEENSB_INSC_IfEEEESG_fNS9_4plusIvEENS9_8equal_toIvEEfEE10hipError_tPvRmT2_T3_T4_T5_mT6_T7_P12ihipStream_tbENKUlT_T0_E_clISt17integral_constantIbLb1EES10_IbLb0EEEEDaSW_SX_EUlSW_E_NS1_11comp_targetILNS1_3genE5ELNS1_11target_archE942ELNS1_3gpuE9ELNS1_3repE0EEENS1_30default_config_static_selectorELNS0_4arch9wavefront6targetE0EEEvT1_,"axG",@progbits,_ZN7rocprim17ROCPRIM_400000_NS6detail17trampoline_kernelINS0_14default_configENS1_27scan_by_key_config_selectorIifEEZZNS1_16scan_by_key_implILNS1_25lookback_scan_determinismE0ELb1ES3_N6thrust23THRUST_200600_302600_NS6detail15normal_iteratorINS9_10device_ptrIiEEEENSB_INSC_IfEEEESG_fNS9_4plusIvEENS9_8equal_toIvEEfEE10hipError_tPvRmT2_T3_T4_T5_mT6_T7_P12ihipStream_tbENKUlT_T0_E_clISt17integral_constantIbLb1EES10_IbLb0EEEEDaSW_SX_EUlSW_E_NS1_11comp_targetILNS1_3genE5ELNS1_11target_archE942ELNS1_3gpuE9ELNS1_3repE0EEENS1_30default_config_static_selectorELNS0_4arch9wavefront6targetE0EEEvT1_,comdat
	.protected	_ZN7rocprim17ROCPRIM_400000_NS6detail17trampoline_kernelINS0_14default_configENS1_27scan_by_key_config_selectorIifEEZZNS1_16scan_by_key_implILNS1_25lookback_scan_determinismE0ELb1ES3_N6thrust23THRUST_200600_302600_NS6detail15normal_iteratorINS9_10device_ptrIiEEEENSB_INSC_IfEEEESG_fNS9_4plusIvEENS9_8equal_toIvEEfEE10hipError_tPvRmT2_T3_T4_T5_mT6_T7_P12ihipStream_tbENKUlT_T0_E_clISt17integral_constantIbLb1EES10_IbLb0EEEEDaSW_SX_EUlSW_E_NS1_11comp_targetILNS1_3genE5ELNS1_11target_archE942ELNS1_3gpuE9ELNS1_3repE0EEENS1_30default_config_static_selectorELNS0_4arch9wavefront6targetE0EEEvT1_ ; -- Begin function _ZN7rocprim17ROCPRIM_400000_NS6detail17trampoline_kernelINS0_14default_configENS1_27scan_by_key_config_selectorIifEEZZNS1_16scan_by_key_implILNS1_25lookback_scan_determinismE0ELb1ES3_N6thrust23THRUST_200600_302600_NS6detail15normal_iteratorINS9_10device_ptrIiEEEENSB_INSC_IfEEEESG_fNS9_4plusIvEENS9_8equal_toIvEEfEE10hipError_tPvRmT2_T3_T4_T5_mT6_T7_P12ihipStream_tbENKUlT_T0_E_clISt17integral_constantIbLb1EES10_IbLb0EEEEDaSW_SX_EUlSW_E_NS1_11comp_targetILNS1_3genE5ELNS1_11target_archE942ELNS1_3gpuE9ELNS1_3repE0EEENS1_30default_config_static_selectorELNS0_4arch9wavefront6targetE0EEEvT1_
	.globl	_ZN7rocprim17ROCPRIM_400000_NS6detail17trampoline_kernelINS0_14default_configENS1_27scan_by_key_config_selectorIifEEZZNS1_16scan_by_key_implILNS1_25lookback_scan_determinismE0ELb1ES3_N6thrust23THRUST_200600_302600_NS6detail15normal_iteratorINS9_10device_ptrIiEEEENSB_INSC_IfEEEESG_fNS9_4plusIvEENS9_8equal_toIvEEfEE10hipError_tPvRmT2_T3_T4_T5_mT6_T7_P12ihipStream_tbENKUlT_T0_E_clISt17integral_constantIbLb1EES10_IbLb0EEEEDaSW_SX_EUlSW_E_NS1_11comp_targetILNS1_3genE5ELNS1_11target_archE942ELNS1_3gpuE9ELNS1_3repE0EEENS1_30default_config_static_selectorELNS0_4arch9wavefront6targetE0EEEvT1_
	.p2align	8
	.type	_ZN7rocprim17ROCPRIM_400000_NS6detail17trampoline_kernelINS0_14default_configENS1_27scan_by_key_config_selectorIifEEZZNS1_16scan_by_key_implILNS1_25lookback_scan_determinismE0ELb1ES3_N6thrust23THRUST_200600_302600_NS6detail15normal_iteratorINS9_10device_ptrIiEEEENSB_INSC_IfEEEESG_fNS9_4plusIvEENS9_8equal_toIvEEfEE10hipError_tPvRmT2_T3_T4_T5_mT6_T7_P12ihipStream_tbENKUlT_T0_E_clISt17integral_constantIbLb1EES10_IbLb0EEEEDaSW_SX_EUlSW_E_NS1_11comp_targetILNS1_3genE5ELNS1_11target_archE942ELNS1_3gpuE9ELNS1_3repE0EEENS1_30default_config_static_selectorELNS0_4arch9wavefront6targetE0EEEvT1_,@function
_ZN7rocprim17ROCPRIM_400000_NS6detail17trampoline_kernelINS0_14default_configENS1_27scan_by_key_config_selectorIifEEZZNS1_16scan_by_key_implILNS1_25lookback_scan_determinismE0ELb1ES3_N6thrust23THRUST_200600_302600_NS6detail15normal_iteratorINS9_10device_ptrIiEEEENSB_INSC_IfEEEESG_fNS9_4plusIvEENS9_8equal_toIvEEfEE10hipError_tPvRmT2_T3_T4_T5_mT6_T7_P12ihipStream_tbENKUlT_T0_E_clISt17integral_constantIbLb1EES10_IbLb0EEEEDaSW_SX_EUlSW_E_NS1_11comp_targetILNS1_3genE5ELNS1_11target_archE942ELNS1_3gpuE9ELNS1_3repE0EEENS1_30default_config_static_selectorELNS0_4arch9wavefront6targetE0EEEvT1_: ; @_ZN7rocprim17ROCPRIM_400000_NS6detail17trampoline_kernelINS0_14default_configENS1_27scan_by_key_config_selectorIifEEZZNS1_16scan_by_key_implILNS1_25lookback_scan_determinismE0ELb1ES3_N6thrust23THRUST_200600_302600_NS6detail15normal_iteratorINS9_10device_ptrIiEEEENSB_INSC_IfEEEESG_fNS9_4plusIvEENS9_8equal_toIvEEfEE10hipError_tPvRmT2_T3_T4_T5_mT6_T7_P12ihipStream_tbENKUlT_T0_E_clISt17integral_constantIbLb1EES10_IbLb0EEEEDaSW_SX_EUlSW_E_NS1_11comp_targetILNS1_3genE5ELNS1_11target_archE942ELNS1_3gpuE9ELNS1_3repE0EEENS1_30default_config_static_selectorELNS0_4arch9wavefront6targetE0EEEvT1_
; %bb.0:
	.section	.rodata,"a",@progbits
	.p2align	6, 0x0
	.amdhsa_kernel _ZN7rocprim17ROCPRIM_400000_NS6detail17trampoline_kernelINS0_14default_configENS1_27scan_by_key_config_selectorIifEEZZNS1_16scan_by_key_implILNS1_25lookback_scan_determinismE0ELb1ES3_N6thrust23THRUST_200600_302600_NS6detail15normal_iteratorINS9_10device_ptrIiEEEENSB_INSC_IfEEEESG_fNS9_4plusIvEENS9_8equal_toIvEEfEE10hipError_tPvRmT2_T3_T4_T5_mT6_T7_P12ihipStream_tbENKUlT_T0_E_clISt17integral_constantIbLb1EES10_IbLb0EEEEDaSW_SX_EUlSW_E_NS1_11comp_targetILNS1_3genE5ELNS1_11target_archE942ELNS1_3gpuE9ELNS1_3repE0EEENS1_30default_config_static_selectorELNS0_4arch9wavefront6targetE0EEEvT1_
		.amdhsa_group_segment_fixed_size 0
		.amdhsa_private_segment_fixed_size 0
		.amdhsa_kernarg_size 112
		.amdhsa_user_sgpr_count 2
		.amdhsa_user_sgpr_dispatch_ptr 0
		.amdhsa_user_sgpr_queue_ptr 0
		.amdhsa_user_sgpr_kernarg_segment_ptr 1
		.amdhsa_user_sgpr_dispatch_id 0
		.amdhsa_user_sgpr_kernarg_preload_length 0
		.amdhsa_user_sgpr_kernarg_preload_offset 0
		.amdhsa_user_sgpr_private_segment_size 0
		.amdhsa_wavefront_size32 1
		.amdhsa_uses_dynamic_stack 0
		.amdhsa_enable_private_segment 0
		.amdhsa_system_sgpr_workgroup_id_x 1
		.amdhsa_system_sgpr_workgroup_id_y 0
		.amdhsa_system_sgpr_workgroup_id_z 0
		.amdhsa_system_sgpr_workgroup_info 0
		.amdhsa_system_vgpr_workitem_id 0
		.amdhsa_next_free_vgpr 1
		.amdhsa_next_free_sgpr 1
		.amdhsa_named_barrier_count 0
		.amdhsa_reserve_vcc 0
		.amdhsa_float_round_mode_32 0
		.amdhsa_float_round_mode_16_64 0
		.amdhsa_float_denorm_mode_32 3
		.amdhsa_float_denorm_mode_16_64 3
		.amdhsa_fp16_overflow 0
		.amdhsa_memory_ordered 1
		.amdhsa_forward_progress 1
		.amdhsa_inst_pref_size 0
		.amdhsa_round_robin_scheduling 0
		.amdhsa_exception_fp_ieee_invalid_op 0
		.amdhsa_exception_fp_denorm_src 0
		.amdhsa_exception_fp_ieee_div_zero 0
		.amdhsa_exception_fp_ieee_overflow 0
		.amdhsa_exception_fp_ieee_underflow 0
		.amdhsa_exception_fp_ieee_inexact 0
		.amdhsa_exception_int_div_zero 0
	.end_amdhsa_kernel
	.section	.text._ZN7rocprim17ROCPRIM_400000_NS6detail17trampoline_kernelINS0_14default_configENS1_27scan_by_key_config_selectorIifEEZZNS1_16scan_by_key_implILNS1_25lookback_scan_determinismE0ELb1ES3_N6thrust23THRUST_200600_302600_NS6detail15normal_iteratorINS9_10device_ptrIiEEEENSB_INSC_IfEEEESG_fNS9_4plusIvEENS9_8equal_toIvEEfEE10hipError_tPvRmT2_T3_T4_T5_mT6_T7_P12ihipStream_tbENKUlT_T0_E_clISt17integral_constantIbLb1EES10_IbLb0EEEEDaSW_SX_EUlSW_E_NS1_11comp_targetILNS1_3genE5ELNS1_11target_archE942ELNS1_3gpuE9ELNS1_3repE0EEENS1_30default_config_static_selectorELNS0_4arch9wavefront6targetE0EEEvT1_,"axG",@progbits,_ZN7rocprim17ROCPRIM_400000_NS6detail17trampoline_kernelINS0_14default_configENS1_27scan_by_key_config_selectorIifEEZZNS1_16scan_by_key_implILNS1_25lookback_scan_determinismE0ELb1ES3_N6thrust23THRUST_200600_302600_NS6detail15normal_iteratorINS9_10device_ptrIiEEEENSB_INSC_IfEEEESG_fNS9_4plusIvEENS9_8equal_toIvEEfEE10hipError_tPvRmT2_T3_T4_T5_mT6_T7_P12ihipStream_tbENKUlT_T0_E_clISt17integral_constantIbLb1EES10_IbLb0EEEEDaSW_SX_EUlSW_E_NS1_11comp_targetILNS1_3genE5ELNS1_11target_archE942ELNS1_3gpuE9ELNS1_3repE0EEENS1_30default_config_static_selectorELNS0_4arch9wavefront6targetE0EEEvT1_,comdat
.Lfunc_end1447:
	.size	_ZN7rocprim17ROCPRIM_400000_NS6detail17trampoline_kernelINS0_14default_configENS1_27scan_by_key_config_selectorIifEEZZNS1_16scan_by_key_implILNS1_25lookback_scan_determinismE0ELb1ES3_N6thrust23THRUST_200600_302600_NS6detail15normal_iteratorINS9_10device_ptrIiEEEENSB_INSC_IfEEEESG_fNS9_4plusIvEENS9_8equal_toIvEEfEE10hipError_tPvRmT2_T3_T4_T5_mT6_T7_P12ihipStream_tbENKUlT_T0_E_clISt17integral_constantIbLb1EES10_IbLb0EEEEDaSW_SX_EUlSW_E_NS1_11comp_targetILNS1_3genE5ELNS1_11target_archE942ELNS1_3gpuE9ELNS1_3repE0EEENS1_30default_config_static_selectorELNS0_4arch9wavefront6targetE0EEEvT1_, .Lfunc_end1447-_ZN7rocprim17ROCPRIM_400000_NS6detail17trampoline_kernelINS0_14default_configENS1_27scan_by_key_config_selectorIifEEZZNS1_16scan_by_key_implILNS1_25lookback_scan_determinismE0ELb1ES3_N6thrust23THRUST_200600_302600_NS6detail15normal_iteratorINS9_10device_ptrIiEEEENSB_INSC_IfEEEESG_fNS9_4plusIvEENS9_8equal_toIvEEfEE10hipError_tPvRmT2_T3_T4_T5_mT6_T7_P12ihipStream_tbENKUlT_T0_E_clISt17integral_constantIbLb1EES10_IbLb0EEEEDaSW_SX_EUlSW_E_NS1_11comp_targetILNS1_3genE5ELNS1_11target_archE942ELNS1_3gpuE9ELNS1_3repE0EEENS1_30default_config_static_selectorELNS0_4arch9wavefront6targetE0EEEvT1_
                                        ; -- End function
	.set _ZN7rocprim17ROCPRIM_400000_NS6detail17trampoline_kernelINS0_14default_configENS1_27scan_by_key_config_selectorIifEEZZNS1_16scan_by_key_implILNS1_25lookback_scan_determinismE0ELb1ES3_N6thrust23THRUST_200600_302600_NS6detail15normal_iteratorINS9_10device_ptrIiEEEENSB_INSC_IfEEEESG_fNS9_4plusIvEENS9_8equal_toIvEEfEE10hipError_tPvRmT2_T3_T4_T5_mT6_T7_P12ihipStream_tbENKUlT_T0_E_clISt17integral_constantIbLb1EES10_IbLb0EEEEDaSW_SX_EUlSW_E_NS1_11comp_targetILNS1_3genE5ELNS1_11target_archE942ELNS1_3gpuE9ELNS1_3repE0EEENS1_30default_config_static_selectorELNS0_4arch9wavefront6targetE0EEEvT1_.num_vgpr, 0
	.set _ZN7rocprim17ROCPRIM_400000_NS6detail17trampoline_kernelINS0_14default_configENS1_27scan_by_key_config_selectorIifEEZZNS1_16scan_by_key_implILNS1_25lookback_scan_determinismE0ELb1ES3_N6thrust23THRUST_200600_302600_NS6detail15normal_iteratorINS9_10device_ptrIiEEEENSB_INSC_IfEEEESG_fNS9_4plusIvEENS9_8equal_toIvEEfEE10hipError_tPvRmT2_T3_T4_T5_mT6_T7_P12ihipStream_tbENKUlT_T0_E_clISt17integral_constantIbLb1EES10_IbLb0EEEEDaSW_SX_EUlSW_E_NS1_11comp_targetILNS1_3genE5ELNS1_11target_archE942ELNS1_3gpuE9ELNS1_3repE0EEENS1_30default_config_static_selectorELNS0_4arch9wavefront6targetE0EEEvT1_.num_agpr, 0
	.set _ZN7rocprim17ROCPRIM_400000_NS6detail17trampoline_kernelINS0_14default_configENS1_27scan_by_key_config_selectorIifEEZZNS1_16scan_by_key_implILNS1_25lookback_scan_determinismE0ELb1ES3_N6thrust23THRUST_200600_302600_NS6detail15normal_iteratorINS9_10device_ptrIiEEEENSB_INSC_IfEEEESG_fNS9_4plusIvEENS9_8equal_toIvEEfEE10hipError_tPvRmT2_T3_T4_T5_mT6_T7_P12ihipStream_tbENKUlT_T0_E_clISt17integral_constantIbLb1EES10_IbLb0EEEEDaSW_SX_EUlSW_E_NS1_11comp_targetILNS1_3genE5ELNS1_11target_archE942ELNS1_3gpuE9ELNS1_3repE0EEENS1_30default_config_static_selectorELNS0_4arch9wavefront6targetE0EEEvT1_.numbered_sgpr, 0
	.set _ZN7rocprim17ROCPRIM_400000_NS6detail17trampoline_kernelINS0_14default_configENS1_27scan_by_key_config_selectorIifEEZZNS1_16scan_by_key_implILNS1_25lookback_scan_determinismE0ELb1ES3_N6thrust23THRUST_200600_302600_NS6detail15normal_iteratorINS9_10device_ptrIiEEEENSB_INSC_IfEEEESG_fNS9_4plusIvEENS9_8equal_toIvEEfEE10hipError_tPvRmT2_T3_T4_T5_mT6_T7_P12ihipStream_tbENKUlT_T0_E_clISt17integral_constantIbLb1EES10_IbLb0EEEEDaSW_SX_EUlSW_E_NS1_11comp_targetILNS1_3genE5ELNS1_11target_archE942ELNS1_3gpuE9ELNS1_3repE0EEENS1_30default_config_static_selectorELNS0_4arch9wavefront6targetE0EEEvT1_.num_named_barrier, 0
	.set _ZN7rocprim17ROCPRIM_400000_NS6detail17trampoline_kernelINS0_14default_configENS1_27scan_by_key_config_selectorIifEEZZNS1_16scan_by_key_implILNS1_25lookback_scan_determinismE0ELb1ES3_N6thrust23THRUST_200600_302600_NS6detail15normal_iteratorINS9_10device_ptrIiEEEENSB_INSC_IfEEEESG_fNS9_4plusIvEENS9_8equal_toIvEEfEE10hipError_tPvRmT2_T3_T4_T5_mT6_T7_P12ihipStream_tbENKUlT_T0_E_clISt17integral_constantIbLb1EES10_IbLb0EEEEDaSW_SX_EUlSW_E_NS1_11comp_targetILNS1_3genE5ELNS1_11target_archE942ELNS1_3gpuE9ELNS1_3repE0EEENS1_30default_config_static_selectorELNS0_4arch9wavefront6targetE0EEEvT1_.private_seg_size, 0
	.set _ZN7rocprim17ROCPRIM_400000_NS6detail17trampoline_kernelINS0_14default_configENS1_27scan_by_key_config_selectorIifEEZZNS1_16scan_by_key_implILNS1_25lookback_scan_determinismE0ELb1ES3_N6thrust23THRUST_200600_302600_NS6detail15normal_iteratorINS9_10device_ptrIiEEEENSB_INSC_IfEEEESG_fNS9_4plusIvEENS9_8equal_toIvEEfEE10hipError_tPvRmT2_T3_T4_T5_mT6_T7_P12ihipStream_tbENKUlT_T0_E_clISt17integral_constantIbLb1EES10_IbLb0EEEEDaSW_SX_EUlSW_E_NS1_11comp_targetILNS1_3genE5ELNS1_11target_archE942ELNS1_3gpuE9ELNS1_3repE0EEENS1_30default_config_static_selectorELNS0_4arch9wavefront6targetE0EEEvT1_.uses_vcc, 0
	.set _ZN7rocprim17ROCPRIM_400000_NS6detail17trampoline_kernelINS0_14default_configENS1_27scan_by_key_config_selectorIifEEZZNS1_16scan_by_key_implILNS1_25lookback_scan_determinismE0ELb1ES3_N6thrust23THRUST_200600_302600_NS6detail15normal_iteratorINS9_10device_ptrIiEEEENSB_INSC_IfEEEESG_fNS9_4plusIvEENS9_8equal_toIvEEfEE10hipError_tPvRmT2_T3_T4_T5_mT6_T7_P12ihipStream_tbENKUlT_T0_E_clISt17integral_constantIbLb1EES10_IbLb0EEEEDaSW_SX_EUlSW_E_NS1_11comp_targetILNS1_3genE5ELNS1_11target_archE942ELNS1_3gpuE9ELNS1_3repE0EEENS1_30default_config_static_selectorELNS0_4arch9wavefront6targetE0EEEvT1_.uses_flat_scratch, 0
	.set _ZN7rocprim17ROCPRIM_400000_NS6detail17trampoline_kernelINS0_14default_configENS1_27scan_by_key_config_selectorIifEEZZNS1_16scan_by_key_implILNS1_25lookback_scan_determinismE0ELb1ES3_N6thrust23THRUST_200600_302600_NS6detail15normal_iteratorINS9_10device_ptrIiEEEENSB_INSC_IfEEEESG_fNS9_4plusIvEENS9_8equal_toIvEEfEE10hipError_tPvRmT2_T3_T4_T5_mT6_T7_P12ihipStream_tbENKUlT_T0_E_clISt17integral_constantIbLb1EES10_IbLb0EEEEDaSW_SX_EUlSW_E_NS1_11comp_targetILNS1_3genE5ELNS1_11target_archE942ELNS1_3gpuE9ELNS1_3repE0EEENS1_30default_config_static_selectorELNS0_4arch9wavefront6targetE0EEEvT1_.has_dyn_sized_stack, 0
	.set _ZN7rocprim17ROCPRIM_400000_NS6detail17trampoline_kernelINS0_14default_configENS1_27scan_by_key_config_selectorIifEEZZNS1_16scan_by_key_implILNS1_25lookback_scan_determinismE0ELb1ES3_N6thrust23THRUST_200600_302600_NS6detail15normal_iteratorINS9_10device_ptrIiEEEENSB_INSC_IfEEEESG_fNS9_4plusIvEENS9_8equal_toIvEEfEE10hipError_tPvRmT2_T3_T4_T5_mT6_T7_P12ihipStream_tbENKUlT_T0_E_clISt17integral_constantIbLb1EES10_IbLb0EEEEDaSW_SX_EUlSW_E_NS1_11comp_targetILNS1_3genE5ELNS1_11target_archE942ELNS1_3gpuE9ELNS1_3repE0EEENS1_30default_config_static_selectorELNS0_4arch9wavefront6targetE0EEEvT1_.has_recursion, 0
	.set _ZN7rocprim17ROCPRIM_400000_NS6detail17trampoline_kernelINS0_14default_configENS1_27scan_by_key_config_selectorIifEEZZNS1_16scan_by_key_implILNS1_25lookback_scan_determinismE0ELb1ES3_N6thrust23THRUST_200600_302600_NS6detail15normal_iteratorINS9_10device_ptrIiEEEENSB_INSC_IfEEEESG_fNS9_4plusIvEENS9_8equal_toIvEEfEE10hipError_tPvRmT2_T3_T4_T5_mT6_T7_P12ihipStream_tbENKUlT_T0_E_clISt17integral_constantIbLb1EES10_IbLb0EEEEDaSW_SX_EUlSW_E_NS1_11comp_targetILNS1_3genE5ELNS1_11target_archE942ELNS1_3gpuE9ELNS1_3repE0EEENS1_30default_config_static_selectorELNS0_4arch9wavefront6targetE0EEEvT1_.has_indirect_call, 0
	.section	.AMDGPU.csdata,"",@progbits
; Kernel info:
; codeLenInByte = 0
; TotalNumSgprs: 0
; NumVgprs: 0
; ScratchSize: 0
; MemoryBound: 0
; FloatMode: 240
; IeeeMode: 1
; LDSByteSize: 0 bytes/workgroup (compile time only)
; SGPRBlocks: 0
; VGPRBlocks: 0
; NumSGPRsForWavesPerEU: 1
; NumVGPRsForWavesPerEU: 1
; NamedBarCnt: 0
; Occupancy: 16
; WaveLimiterHint : 0
; COMPUTE_PGM_RSRC2:SCRATCH_EN: 0
; COMPUTE_PGM_RSRC2:USER_SGPR: 2
; COMPUTE_PGM_RSRC2:TRAP_HANDLER: 0
; COMPUTE_PGM_RSRC2:TGID_X_EN: 1
; COMPUTE_PGM_RSRC2:TGID_Y_EN: 0
; COMPUTE_PGM_RSRC2:TGID_Z_EN: 0
; COMPUTE_PGM_RSRC2:TIDIG_COMP_CNT: 0
	.section	.text._ZN7rocprim17ROCPRIM_400000_NS6detail17trampoline_kernelINS0_14default_configENS1_27scan_by_key_config_selectorIifEEZZNS1_16scan_by_key_implILNS1_25lookback_scan_determinismE0ELb1ES3_N6thrust23THRUST_200600_302600_NS6detail15normal_iteratorINS9_10device_ptrIiEEEENSB_INSC_IfEEEESG_fNS9_4plusIvEENS9_8equal_toIvEEfEE10hipError_tPvRmT2_T3_T4_T5_mT6_T7_P12ihipStream_tbENKUlT_T0_E_clISt17integral_constantIbLb1EES10_IbLb0EEEEDaSW_SX_EUlSW_E_NS1_11comp_targetILNS1_3genE4ELNS1_11target_archE910ELNS1_3gpuE8ELNS1_3repE0EEENS1_30default_config_static_selectorELNS0_4arch9wavefront6targetE0EEEvT1_,"axG",@progbits,_ZN7rocprim17ROCPRIM_400000_NS6detail17trampoline_kernelINS0_14default_configENS1_27scan_by_key_config_selectorIifEEZZNS1_16scan_by_key_implILNS1_25lookback_scan_determinismE0ELb1ES3_N6thrust23THRUST_200600_302600_NS6detail15normal_iteratorINS9_10device_ptrIiEEEENSB_INSC_IfEEEESG_fNS9_4plusIvEENS9_8equal_toIvEEfEE10hipError_tPvRmT2_T3_T4_T5_mT6_T7_P12ihipStream_tbENKUlT_T0_E_clISt17integral_constantIbLb1EES10_IbLb0EEEEDaSW_SX_EUlSW_E_NS1_11comp_targetILNS1_3genE4ELNS1_11target_archE910ELNS1_3gpuE8ELNS1_3repE0EEENS1_30default_config_static_selectorELNS0_4arch9wavefront6targetE0EEEvT1_,comdat
	.protected	_ZN7rocprim17ROCPRIM_400000_NS6detail17trampoline_kernelINS0_14default_configENS1_27scan_by_key_config_selectorIifEEZZNS1_16scan_by_key_implILNS1_25lookback_scan_determinismE0ELb1ES3_N6thrust23THRUST_200600_302600_NS6detail15normal_iteratorINS9_10device_ptrIiEEEENSB_INSC_IfEEEESG_fNS9_4plusIvEENS9_8equal_toIvEEfEE10hipError_tPvRmT2_T3_T4_T5_mT6_T7_P12ihipStream_tbENKUlT_T0_E_clISt17integral_constantIbLb1EES10_IbLb0EEEEDaSW_SX_EUlSW_E_NS1_11comp_targetILNS1_3genE4ELNS1_11target_archE910ELNS1_3gpuE8ELNS1_3repE0EEENS1_30default_config_static_selectorELNS0_4arch9wavefront6targetE0EEEvT1_ ; -- Begin function _ZN7rocprim17ROCPRIM_400000_NS6detail17trampoline_kernelINS0_14default_configENS1_27scan_by_key_config_selectorIifEEZZNS1_16scan_by_key_implILNS1_25lookback_scan_determinismE0ELb1ES3_N6thrust23THRUST_200600_302600_NS6detail15normal_iteratorINS9_10device_ptrIiEEEENSB_INSC_IfEEEESG_fNS9_4plusIvEENS9_8equal_toIvEEfEE10hipError_tPvRmT2_T3_T4_T5_mT6_T7_P12ihipStream_tbENKUlT_T0_E_clISt17integral_constantIbLb1EES10_IbLb0EEEEDaSW_SX_EUlSW_E_NS1_11comp_targetILNS1_3genE4ELNS1_11target_archE910ELNS1_3gpuE8ELNS1_3repE0EEENS1_30default_config_static_selectorELNS0_4arch9wavefront6targetE0EEEvT1_
	.globl	_ZN7rocprim17ROCPRIM_400000_NS6detail17trampoline_kernelINS0_14default_configENS1_27scan_by_key_config_selectorIifEEZZNS1_16scan_by_key_implILNS1_25lookback_scan_determinismE0ELb1ES3_N6thrust23THRUST_200600_302600_NS6detail15normal_iteratorINS9_10device_ptrIiEEEENSB_INSC_IfEEEESG_fNS9_4plusIvEENS9_8equal_toIvEEfEE10hipError_tPvRmT2_T3_T4_T5_mT6_T7_P12ihipStream_tbENKUlT_T0_E_clISt17integral_constantIbLb1EES10_IbLb0EEEEDaSW_SX_EUlSW_E_NS1_11comp_targetILNS1_3genE4ELNS1_11target_archE910ELNS1_3gpuE8ELNS1_3repE0EEENS1_30default_config_static_selectorELNS0_4arch9wavefront6targetE0EEEvT1_
	.p2align	8
	.type	_ZN7rocprim17ROCPRIM_400000_NS6detail17trampoline_kernelINS0_14default_configENS1_27scan_by_key_config_selectorIifEEZZNS1_16scan_by_key_implILNS1_25lookback_scan_determinismE0ELb1ES3_N6thrust23THRUST_200600_302600_NS6detail15normal_iteratorINS9_10device_ptrIiEEEENSB_INSC_IfEEEESG_fNS9_4plusIvEENS9_8equal_toIvEEfEE10hipError_tPvRmT2_T3_T4_T5_mT6_T7_P12ihipStream_tbENKUlT_T0_E_clISt17integral_constantIbLb1EES10_IbLb0EEEEDaSW_SX_EUlSW_E_NS1_11comp_targetILNS1_3genE4ELNS1_11target_archE910ELNS1_3gpuE8ELNS1_3repE0EEENS1_30default_config_static_selectorELNS0_4arch9wavefront6targetE0EEEvT1_,@function
_ZN7rocprim17ROCPRIM_400000_NS6detail17trampoline_kernelINS0_14default_configENS1_27scan_by_key_config_selectorIifEEZZNS1_16scan_by_key_implILNS1_25lookback_scan_determinismE0ELb1ES3_N6thrust23THRUST_200600_302600_NS6detail15normal_iteratorINS9_10device_ptrIiEEEENSB_INSC_IfEEEESG_fNS9_4plusIvEENS9_8equal_toIvEEfEE10hipError_tPvRmT2_T3_T4_T5_mT6_T7_P12ihipStream_tbENKUlT_T0_E_clISt17integral_constantIbLb1EES10_IbLb0EEEEDaSW_SX_EUlSW_E_NS1_11comp_targetILNS1_3genE4ELNS1_11target_archE910ELNS1_3gpuE8ELNS1_3repE0EEENS1_30default_config_static_selectorELNS0_4arch9wavefront6targetE0EEEvT1_: ; @_ZN7rocprim17ROCPRIM_400000_NS6detail17trampoline_kernelINS0_14default_configENS1_27scan_by_key_config_selectorIifEEZZNS1_16scan_by_key_implILNS1_25lookback_scan_determinismE0ELb1ES3_N6thrust23THRUST_200600_302600_NS6detail15normal_iteratorINS9_10device_ptrIiEEEENSB_INSC_IfEEEESG_fNS9_4plusIvEENS9_8equal_toIvEEfEE10hipError_tPvRmT2_T3_T4_T5_mT6_T7_P12ihipStream_tbENKUlT_T0_E_clISt17integral_constantIbLb1EES10_IbLb0EEEEDaSW_SX_EUlSW_E_NS1_11comp_targetILNS1_3genE4ELNS1_11target_archE910ELNS1_3gpuE8ELNS1_3repE0EEENS1_30default_config_static_selectorELNS0_4arch9wavefront6targetE0EEEvT1_
; %bb.0:
	.section	.rodata,"a",@progbits
	.p2align	6, 0x0
	.amdhsa_kernel _ZN7rocprim17ROCPRIM_400000_NS6detail17trampoline_kernelINS0_14default_configENS1_27scan_by_key_config_selectorIifEEZZNS1_16scan_by_key_implILNS1_25lookback_scan_determinismE0ELb1ES3_N6thrust23THRUST_200600_302600_NS6detail15normal_iteratorINS9_10device_ptrIiEEEENSB_INSC_IfEEEESG_fNS9_4plusIvEENS9_8equal_toIvEEfEE10hipError_tPvRmT2_T3_T4_T5_mT6_T7_P12ihipStream_tbENKUlT_T0_E_clISt17integral_constantIbLb1EES10_IbLb0EEEEDaSW_SX_EUlSW_E_NS1_11comp_targetILNS1_3genE4ELNS1_11target_archE910ELNS1_3gpuE8ELNS1_3repE0EEENS1_30default_config_static_selectorELNS0_4arch9wavefront6targetE0EEEvT1_
		.amdhsa_group_segment_fixed_size 0
		.amdhsa_private_segment_fixed_size 0
		.amdhsa_kernarg_size 112
		.amdhsa_user_sgpr_count 2
		.amdhsa_user_sgpr_dispatch_ptr 0
		.amdhsa_user_sgpr_queue_ptr 0
		.amdhsa_user_sgpr_kernarg_segment_ptr 1
		.amdhsa_user_sgpr_dispatch_id 0
		.amdhsa_user_sgpr_kernarg_preload_length 0
		.amdhsa_user_sgpr_kernarg_preload_offset 0
		.amdhsa_user_sgpr_private_segment_size 0
		.amdhsa_wavefront_size32 1
		.amdhsa_uses_dynamic_stack 0
		.amdhsa_enable_private_segment 0
		.amdhsa_system_sgpr_workgroup_id_x 1
		.amdhsa_system_sgpr_workgroup_id_y 0
		.amdhsa_system_sgpr_workgroup_id_z 0
		.amdhsa_system_sgpr_workgroup_info 0
		.amdhsa_system_vgpr_workitem_id 0
		.amdhsa_next_free_vgpr 1
		.amdhsa_next_free_sgpr 1
		.amdhsa_named_barrier_count 0
		.amdhsa_reserve_vcc 0
		.amdhsa_float_round_mode_32 0
		.amdhsa_float_round_mode_16_64 0
		.amdhsa_float_denorm_mode_32 3
		.amdhsa_float_denorm_mode_16_64 3
		.amdhsa_fp16_overflow 0
		.amdhsa_memory_ordered 1
		.amdhsa_forward_progress 1
		.amdhsa_inst_pref_size 0
		.amdhsa_round_robin_scheduling 0
		.amdhsa_exception_fp_ieee_invalid_op 0
		.amdhsa_exception_fp_denorm_src 0
		.amdhsa_exception_fp_ieee_div_zero 0
		.amdhsa_exception_fp_ieee_overflow 0
		.amdhsa_exception_fp_ieee_underflow 0
		.amdhsa_exception_fp_ieee_inexact 0
		.amdhsa_exception_int_div_zero 0
	.end_amdhsa_kernel
	.section	.text._ZN7rocprim17ROCPRIM_400000_NS6detail17trampoline_kernelINS0_14default_configENS1_27scan_by_key_config_selectorIifEEZZNS1_16scan_by_key_implILNS1_25lookback_scan_determinismE0ELb1ES3_N6thrust23THRUST_200600_302600_NS6detail15normal_iteratorINS9_10device_ptrIiEEEENSB_INSC_IfEEEESG_fNS9_4plusIvEENS9_8equal_toIvEEfEE10hipError_tPvRmT2_T3_T4_T5_mT6_T7_P12ihipStream_tbENKUlT_T0_E_clISt17integral_constantIbLb1EES10_IbLb0EEEEDaSW_SX_EUlSW_E_NS1_11comp_targetILNS1_3genE4ELNS1_11target_archE910ELNS1_3gpuE8ELNS1_3repE0EEENS1_30default_config_static_selectorELNS0_4arch9wavefront6targetE0EEEvT1_,"axG",@progbits,_ZN7rocprim17ROCPRIM_400000_NS6detail17trampoline_kernelINS0_14default_configENS1_27scan_by_key_config_selectorIifEEZZNS1_16scan_by_key_implILNS1_25lookback_scan_determinismE0ELb1ES3_N6thrust23THRUST_200600_302600_NS6detail15normal_iteratorINS9_10device_ptrIiEEEENSB_INSC_IfEEEESG_fNS9_4plusIvEENS9_8equal_toIvEEfEE10hipError_tPvRmT2_T3_T4_T5_mT6_T7_P12ihipStream_tbENKUlT_T0_E_clISt17integral_constantIbLb1EES10_IbLb0EEEEDaSW_SX_EUlSW_E_NS1_11comp_targetILNS1_3genE4ELNS1_11target_archE910ELNS1_3gpuE8ELNS1_3repE0EEENS1_30default_config_static_selectorELNS0_4arch9wavefront6targetE0EEEvT1_,comdat
.Lfunc_end1448:
	.size	_ZN7rocprim17ROCPRIM_400000_NS6detail17trampoline_kernelINS0_14default_configENS1_27scan_by_key_config_selectorIifEEZZNS1_16scan_by_key_implILNS1_25lookback_scan_determinismE0ELb1ES3_N6thrust23THRUST_200600_302600_NS6detail15normal_iteratorINS9_10device_ptrIiEEEENSB_INSC_IfEEEESG_fNS9_4plusIvEENS9_8equal_toIvEEfEE10hipError_tPvRmT2_T3_T4_T5_mT6_T7_P12ihipStream_tbENKUlT_T0_E_clISt17integral_constantIbLb1EES10_IbLb0EEEEDaSW_SX_EUlSW_E_NS1_11comp_targetILNS1_3genE4ELNS1_11target_archE910ELNS1_3gpuE8ELNS1_3repE0EEENS1_30default_config_static_selectorELNS0_4arch9wavefront6targetE0EEEvT1_, .Lfunc_end1448-_ZN7rocprim17ROCPRIM_400000_NS6detail17trampoline_kernelINS0_14default_configENS1_27scan_by_key_config_selectorIifEEZZNS1_16scan_by_key_implILNS1_25lookback_scan_determinismE0ELb1ES3_N6thrust23THRUST_200600_302600_NS6detail15normal_iteratorINS9_10device_ptrIiEEEENSB_INSC_IfEEEESG_fNS9_4plusIvEENS9_8equal_toIvEEfEE10hipError_tPvRmT2_T3_T4_T5_mT6_T7_P12ihipStream_tbENKUlT_T0_E_clISt17integral_constantIbLb1EES10_IbLb0EEEEDaSW_SX_EUlSW_E_NS1_11comp_targetILNS1_3genE4ELNS1_11target_archE910ELNS1_3gpuE8ELNS1_3repE0EEENS1_30default_config_static_selectorELNS0_4arch9wavefront6targetE0EEEvT1_
                                        ; -- End function
	.set _ZN7rocprim17ROCPRIM_400000_NS6detail17trampoline_kernelINS0_14default_configENS1_27scan_by_key_config_selectorIifEEZZNS1_16scan_by_key_implILNS1_25lookback_scan_determinismE0ELb1ES3_N6thrust23THRUST_200600_302600_NS6detail15normal_iteratorINS9_10device_ptrIiEEEENSB_INSC_IfEEEESG_fNS9_4plusIvEENS9_8equal_toIvEEfEE10hipError_tPvRmT2_T3_T4_T5_mT6_T7_P12ihipStream_tbENKUlT_T0_E_clISt17integral_constantIbLb1EES10_IbLb0EEEEDaSW_SX_EUlSW_E_NS1_11comp_targetILNS1_3genE4ELNS1_11target_archE910ELNS1_3gpuE8ELNS1_3repE0EEENS1_30default_config_static_selectorELNS0_4arch9wavefront6targetE0EEEvT1_.num_vgpr, 0
	.set _ZN7rocprim17ROCPRIM_400000_NS6detail17trampoline_kernelINS0_14default_configENS1_27scan_by_key_config_selectorIifEEZZNS1_16scan_by_key_implILNS1_25lookback_scan_determinismE0ELb1ES3_N6thrust23THRUST_200600_302600_NS6detail15normal_iteratorINS9_10device_ptrIiEEEENSB_INSC_IfEEEESG_fNS9_4plusIvEENS9_8equal_toIvEEfEE10hipError_tPvRmT2_T3_T4_T5_mT6_T7_P12ihipStream_tbENKUlT_T0_E_clISt17integral_constantIbLb1EES10_IbLb0EEEEDaSW_SX_EUlSW_E_NS1_11comp_targetILNS1_3genE4ELNS1_11target_archE910ELNS1_3gpuE8ELNS1_3repE0EEENS1_30default_config_static_selectorELNS0_4arch9wavefront6targetE0EEEvT1_.num_agpr, 0
	.set _ZN7rocprim17ROCPRIM_400000_NS6detail17trampoline_kernelINS0_14default_configENS1_27scan_by_key_config_selectorIifEEZZNS1_16scan_by_key_implILNS1_25lookback_scan_determinismE0ELb1ES3_N6thrust23THRUST_200600_302600_NS6detail15normal_iteratorINS9_10device_ptrIiEEEENSB_INSC_IfEEEESG_fNS9_4plusIvEENS9_8equal_toIvEEfEE10hipError_tPvRmT2_T3_T4_T5_mT6_T7_P12ihipStream_tbENKUlT_T0_E_clISt17integral_constantIbLb1EES10_IbLb0EEEEDaSW_SX_EUlSW_E_NS1_11comp_targetILNS1_3genE4ELNS1_11target_archE910ELNS1_3gpuE8ELNS1_3repE0EEENS1_30default_config_static_selectorELNS0_4arch9wavefront6targetE0EEEvT1_.numbered_sgpr, 0
	.set _ZN7rocprim17ROCPRIM_400000_NS6detail17trampoline_kernelINS0_14default_configENS1_27scan_by_key_config_selectorIifEEZZNS1_16scan_by_key_implILNS1_25lookback_scan_determinismE0ELb1ES3_N6thrust23THRUST_200600_302600_NS6detail15normal_iteratorINS9_10device_ptrIiEEEENSB_INSC_IfEEEESG_fNS9_4plusIvEENS9_8equal_toIvEEfEE10hipError_tPvRmT2_T3_T4_T5_mT6_T7_P12ihipStream_tbENKUlT_T0_E_clISt17integral_constantIbLb1EES10_IbLb0EEEEDaSW_SX_EUlSW_E_NS1_11comp_targetILNS1_3genE4ELNS1_11target_archE910ELNS1_3gpuE8ELNS1_3repE0EEENS1_30default_config_static_selectorELNS0_4arch9wavefront6targetE0EEEvT1_.num_named_barrier, 0
	.set _ZN7rocprim17ROCPRIM_400000_NS6detail17trampoline_kernelINS0_14default_configENS1_27scan_by_key_config_selectorIifEEZZNS1_16scan_by_key_implILNS1_25lookback_scan_determinismE0ELb1ES3_N6thrust23THRUST_200600_302600_NS6detail15normal_iteratorINS9_10device_ptrIiEEEENSB_INSC_IfEEEESG_fNS9_4plusIvEENS9_8equal_toIvEEfEE10hipError_tPvRmT2_T3_T4_T5_mT6_T7_P12ihipStream_tbENKUlT_T0_E_clISt17integral_constantIbLb1EES10_IbLb0EEEEDaSW_SX_EUlSW_E_NS1_11comp_targetILNS1_3genE4ELNS1_11target_archE910ELNS1_3gpuE8ELNS1_3repE0EEENS1_30default_config_static_selectorELNS0_4arch9wavefront6targetE0EEEvT1_.private_seg_size, 0
	.set _ZN7rocprim17ROCPRIM_400000_NS6detail17trampoline_kernelINS0_14default_configENS1_27scan_by_key_config_selectorIifEEZZNS1_16scan_by_key_implILNS1_25lookback_scan_determinismE0ELb1ES3_N6thrust23THRUST_200600_302600_NS6detail15normal_iteratorINS9_10device_ptrIiEEEENSB_INSC_IfEEEESG_fNS9_4plusIvEENS9_8equal_toIvEEfEE10hipError_tPvRmT2_T3_T4_T5_mT6_T7_P12ihipStream_tbENKUlT_T0_E_clISt17integral_constantIbLb1EES10_IbLb0EEEEDaSW_SX_EUlSW_E_NS1_11comp_targetILNS1_3genE4ELNS1_11target_archE910ELNS1_3gpuE8ELNS1_3repE0EEENS1_30default_config_static_selectorELNS0_4arch9wavefront6targetE0EEEvT1_.uses_vcc, 0
	.set _ZN7rocprim17ROCPRIM_400000_NS6detail17trampoline_kernelINS0_14default_configENS1_27scan_by_key_config_selectorIifEEZZNS1_16scan_by_key_implILNS1_25lookback_scan_determinismE0ELb1ES3_N6thrust23THRUST_200600_302600_NS6detail15normal_iteratorINS9_10device_ptrIiEEEENSB_INSC_IfEEEESG_fNS9_4plusIvEENS9_8equal_toIvEEfEE10hipError_tPvRmT2_T3_T4_T5_mT6_T7_P12ihipStream_tbENKUlT_T0_E_clISt17integral_constantIbLb1EES10_IbLb0EEEEDaSW_SX_EUlSW_E_NS1_11comp_targetILNS1_3genE4ELNS1_11target_archE910ELNS1_3gpuE8ELNS1_3repE0EEENS1_30default_config_static_selectorELNS0_4arch9wavefront6targetE0EEEvT1_.uses_flat_scratch, 0
	.set _ZN7rocprim17ROCPRIM_400000_NS6detail17trampoline_kernelINS0_14default_configENS1_27scan_by_key_config_selectorIifEEZZNS1_16scan_by_key_implILNS1_25lookback_scan_determinismE0ELb1ES3_N6thrust23THRUST_200600_302600_NS6detail15normal_iteratorINS9_10device_ptrIiEEEENSB_INSC_IfEEEESG_fNS9_4plusIvEENS9_8equal_toIvEEfEE10hipError_tPvRmT2_T3_T4_T5_mT6_T7_P12ihipStream_tbENKUlT_T0_E_clISt17integral_constantIbLb1EES10_IbLb0EEEEDaSW_SX_EUlSW_E_NS1_11comp_targetILNS1_3genE4ELNS1_11target_archE910ELNS1_3gpuE8ELNS1_3repE0EEENS1_30default_config_static_selectorELNS0_4arch9wavefront6targetE0EEEvT1_.has_dyn_sized_stack, 0
	.set _ZN7rocprim17ROCPRIM_400000_NS6detail17trampoline_kernelINS0_14default_configENS1_27scan_by_key_config_selectorIifEEZZNS1_16scan_by_key_implILNS1_25lookback_scan_determinismE0ELb1ES3_N6thrust23THRUST_200600_302600_NS6detail15normal_iteratorINS9_10device_ptrIiEEEENSB_INSC_IfEEEESG_fNS9_4plusIvEENS9_8equal_toIvEEfEE10hipError_tPvRmT2_T3_T4_T5_mT6_T7_P12ihipStream_tbENKUlT_T0_E_clISt17integral_constantIbLb1EES10_IbLb0EEEEDaSW_SX_EUlSW_E_NS1_11comp_targetILNS1_3genE4ELNS1_11target_archE910ELNS1_3gpuE8ELNS1_3repE0EEENS1_30default_config_static_selectorELNS0_4arch9wavefront6targetE0EEEvT1_.has_recursion, 0
	.set _ZN7rocprim17ROCPRIM_400000_NS6detail17trampoline_kernelINS0_14default_configENS1_27scan_by_key_config_selectorIifEEZZNS1_16scan_by_key_implILNS1_25lookback_scan_determinismE0ELb1ES3_N6thrust23THRUST_200600_302600_NS6detail15normal_iteratorINS9_10device_ptrIiEEEENSB_INSC_IfEEEESG_fNS9_4plusIvEENS9_8equal_toIvEEfEE10hipError_tPvRmT2_T3_T4_T5_mT6_T7_P12ihipStream_tbENKUlT_T0_E_clISt17integral_constantIbLb1EES10_IbLb0EEEEDaSW_SX_EUlSW_E_NS1_11comp_targetILNS1_3genE4ELNS1_11target_archE910ELNS1_3gpuE8ELNS1_3repE0EEENS1_30default_config_static_selectorELNS0_4arch9wavefront6targetE0EEEvT1_.has_indirect_call, 0
	.section	.AMDGPU.csdata,"",@progbits
; Kernel info:
; codeLenInByte = 0
; TotalNumSgprs: 0
; NumVgprs: 0
; ScratchSize: 0
; MemoryBound: 0
; FloatMode: 240
; IeeeMode: 1
; LDSByteSize: 0 bytes/workgroup (compile time only)
; SGPRBlocks: 0
; VGPRBlocks: 0
; NumSGPRsForWavesPerEU: 1
; NumVGPRsForWavesPerEU: 1
; NamedBarCnt: 0
; Occupancy: 16
; WaveLimiterHint : 0
; COMPUTE_PGM_RSRC2:SCRATCH_EN: 0
; COMPUTE_PGM_RSRC2:USER_SGPR: 2
; COMPUTE_PGM_RSRC2:TRAP_HANDLER: 0
; COMPUTE_PGM_RSRC2:TGID_X_EN: 1
; COMPUTE_PGM_RSRC2:TGID_Y_EN: 0
; COMPUTE_PGM_RSRC2:TGID_Z_EN: 0
; COMPUTE_PGM_RSRC2:TIDIG_COMP_CNT: 0
	.section	.text._ZN7rocprim17ROCPRIM_400000_NS6detail17trampoline_kernelINS0_14default_configENS1_27scan_by_key_config_selectorIifEEZZNS1_16scan_by_key_implILNS1_25lookback_scan_determinismE0ELb1ES3_N6thrust23THRUST_200600_302600_NS6detail15normal_iteratorINS9_10device_ptrIiEEEENSB_INSC_IfEEEESG_fNS9_4plusIvEENS9_8equal_toIvEEfEE10hipError_tPvRmT2_T3_T4_T5_mT6_T7_P12ihipStream_tbENKUlT_T0_E_clISt17integral_constantIbLb1EES10_IbLb0EEEEDaSW_SX_EUlSW_E_NS1_11comp_targetILNS1_3genE3ELNS1_11target_archE908ELNS1_3gpuE7ELNS1_3repE0EEENS1_30default_config_static_selectorELNS0_4arch9wavefront6targetE0EEEvT1_,"axG",@progbits,_ZN7rocprim17ROCPRIM_400000_NS6detail17trampoline_kernelINS0_14default_configENS1_27scan_by_key_config_selectorIifEEZZNS1_16scan_by_key_implILNS1_25lookback_scan_determinismE0ELb1ES3_N6thrust23THRUST_200600_302600_NS6detail15normal_iteratorINS9_10device_ptrIiEEEENSB_INSC_IfEEEESG_fNS9_4plusIvEENS9_8equal_toIvEEfEE10hipError_tPvRmT2_T3_T4_T5_mT6_T7_P12ihipStream_tbENKUlT_T0_E_clISt17integral_constantIbLb1EES10_IbLb0EEEEDaSW_SX_EUlSW_E_NS1_11comp_targetILNS1_3genE3ELNS1_11target_archE908ELNS1_3gpuE7ELNS1_3repE0EEENS1_30default_config_static_selectorELNS0_4arch9wavefront6targetE0EEEvT1_,comdat
	.protected	_ZN7rocprim17ROCPRIM_400000_NS6detail17trampoline_kernelINS0_14default_configENS1_27scan_by_key_config_selectorIifEEZZNS1_16scan_by_key_implILNS1_25lookback_scan_determinismE0ELb1ES3_N6thrust23THRUST_200600_302600_NS6detail15normal_iteratorINS9_10device_ptrIiEEEENSB_INSC_IfEEEESG_fNS9_4plusIvEENS9_8equal_toIvEEfEE10hipError_tPvRmT2_T3_T4_T5_mT6_T7_P12ihipStream_tbENKUlT_T0_E_clISt17integral_constantIbLb1EES10_IbLb0EEEEDaSW_SX_EUlSW_E_NS1_11comp_targetILNS1_3genE3ELNS1_11target_archE908ELNS1_3gpuE7ELNS1_3repE0EEENS1_30default_config_static_selectorELNS0_4arch9wavefront6targetE0EEEvT1_ ; -- Begin function _ZN7rocprim17ROCPRIM_400000_NS6detail17trampoline_kernelINS0_14default_configENS1_27scan_by_key_config_selectorIifEEZZNS1_16scan_by_key_implILNS1_25lookback_scan_determinismE0ELb1ES3_N6thrust23THRUST_200600_302600_NS6detail15normal_iteratorINS9_10device_ptrIiEEEENSB_INSC_IfEEEESG_fNS9_4plusIvEENS9_8equal_toIvEEfEE10hipError_tPvRmT2_T3_T4_T5_mT6_T7_P12ihipStream_tbENKUlT_T0_E_clISt17integral_constantIbLb1EES10_IbLb0EEEEDaSW_SX_EUlSW_E_NS1_11comp_targetILNS1_3genE3ELNS1_11target_archE908ELNS1_3gpuE7ELNS1_3repE0EEENS1_30default_config_static_selectorELNS0_4arch9wavefront6targetE0EEEvT1_
	.globl	_ZN7rocprim17ROCPRIM_400000_NS6detail17trampoline_kernelINS0_14default_configENS1_27scan_by_key_config_selectorIifEEZZNS1_16scan_by_key_implILNS1_25lookback_scan_determinismE0ELb1ES3_N6thrust23THRUST_200600_302600_NS6detail15normal_iteratorINS9_10device_ptrIiEEEENSB_INSC_IfEEEESG_fNS9_4plusIvEENS9_8equal_toIvEEfEE10hipError_tPvRmT2_T3_T4_T5_mT6_T7_P12ihipStream_tbENKUlT_T0_E_clISt17integral_constantIbLb1EES10_IbLb0EEEEDaSW_SX_EUlSW_E_NS1_11comp_targetILNS1_3genE3ELNS1_11target_archE908ELNS1_3gpuE7ELNS1_3repE0EEENS1_30default_config_static_selectorELNS0_4arch9wavefront6targetE0EEEvT1_
	.p2align	8
	.type	_ZN7rocprim17ROCPRIM_400000_NS6detail17trampoline_kernelINS0_14default_configENS1_27scan_by_key_config_selectorIifEEZZNS1_16scan_by_key_implILNS1_25lookback_scan_determinismE0ELb1ES3_N6thrust23THRUST_200600_302600_NS6detail15normal_iteratorINS9_10device_ptrIiEEEENSB_INSC_IfEEEESG_fNS9_4plusIvEENS9_8equal_toIvEEfEE10hipError_tPvRmT2_T3_T4_T5_mT6_T7_P12ihipStream_tbENKUlT_T0_E_clISt17integral_constantIbLb1EES10_IbLb0EEEEDaSW_SX_EUlSW_E_NS1_11comp_targetILNS1_3genE3ELNS1_11target_archE908ELNS1_3gpuE7ELNS1_3repE0EEENS1_30default_config_static_selectorELNS0_4arch9wavefront6targetE0EEEvT1_,@function
_ZN7rocprim17ROCPRIM_400000_NS6detail17trampoline_kernelINS0_14default_configENS1_27scan_by_key_config_selectorIifEEZZNS1_16scan_by_key_implILNS1_25lookback_scan_determinismE0ELb1ES3_N6thrust23THRUST_200600_302600_NS6detail15normal_iteratorINS9_10device_ptrIiEEEENSB_INSC_IfEEEESG_fNS9_4plusIvEENS9_8equal_toIvEEfEE10hipError_tPvRmT2_T3_T4_T5_mT6_T7_P12ihipStream_tbENKUlT_T0_E_clISt17integral_constantIbLb1EES10_IbLb0EEEEDaSW_SX_EUlSW_E_NS1_11comp_targetILNS1_3genE3ELNS1_11target_archE908ELNS1_3gpuE7ELNS1_3repE0EEENS1_30default_config_static_selectorELNS0_4arch9wavefront6targetE0EEEvT1_: ; @_ZN7rocprim17ROCPRIM_400000_NS6detail17trampoline_kernelINS0_14default_configENS1_27scan_by_key_config_selectorIifEEZZNS1_16scan_by_key_implILNS1_25lookback_scan_determinismE0ELb1ES3_N6thrust23THRUST_200600_302600_NS6detail15normal_iteratorINS9_10device_ptrIiEEEENSB_INSC_IfEEEESG_fNS9_4plusIvEENS9_8equal_toIvEEfEE10hipError_tPvRmT2_T3_T4_T5_mT6_T7_P12ihipStream_tbENKUlT_T0_E_clISt17integral_constantIbLb1EES10_IbLb0EEEEDaSW_SX_EUlSW_E_NS1_11comp_targetILNS1_3genE3ELNS1_11target_archE908ELNS1_3gpuE7ELNS1_3repE0EEENS1_30default_config_static_selectorELNS0_4arch9wavefront6targetE0EEEvT1_
; %bb.0:
	.section	.rodata,"a",@progbits
	.p2align	6, 0x0
	.amdhsa_kernel _ZN7rocprim17ROCPRIM_400000_NS6detail17trampoline_kernelINS0_14default_configENS1_27scan_by_key_config_selectorIifEEZZNS1_16scan_by_key_implILNS1_25lookback_scan_determinismE0ELb1ES3_N6thrust23THRUST_200600_302600_NS6detail15normal_iteratorINS9_10device_ptrIiEEEENSB_INSC_IfEEEESG_fNS9_4plusIvEENS9_8equal_toIvEEfEE10hipError_tPvRmT2_T3_T4_T5_mT6_T7_P12ihipStream_tbENKUlT_T0_E_clISt17integral_constantIbLb1EES10_IbLb0EEEEDaSW_SX_EUlSW_E_NS1_11comp_targetILNS1_3genE3ELNS1_11target_archE908ELNS1_3gpuE7ELNS1_3repE0EEENS1_30default_config_static_selectorELNS0_4arch9wavefront6targetE0EEEvT1_
		.amdhsa_group_segment_fixed_size 0
		.amdhsa_private_segment_fixed_size 0
		.amdhsa_kernarg_size 112
		.amdhsa_user_sgpr_count 2
		.amdhsa_user_sgpr_dispatch_ptr 0
		.amdhsa_user_sgpr_queue_ptr 0
		.amdhsa_user_sgpr_kernarg_segment_ptr 1
		.amdhsa_user_sgpr_dispatch_id 0
		.amdhsa_user_sgpr_kernarg_preload_length 0
		.amdhsa_user_sgpr_kernarg_preload_offset 0
		.amdhsa_user_sgpr_private_segment_size 0
		.amdhsa_wavefront_size32 1
		.amdhsa_uses_dynamic_stack 0
		.amdhsa_enable_private_segment 0
		.amdhsa_system_sgpr_workgroup_id_x 1
		.amdhsa_system_sgpr_workgroup_id_y 0
		.amdhsa_system_sgpr_workgroup_id_z 0
		.amdhsa_system_sgpr_workgroup_info 0
		.amdhsa_system_vgpr_workitem_id 0
		.amdhsa_next_free_vgpr 1
		.amdhsa_next_free_sgpr 1
		.amdhsa_named_barrier_count 0
		.amdhsa_reserve_vcc 0
		.amdhsa_float_round_mode_32 0
		.amdhsa_float_round_mode_16_64 0
		.amdhsa_float_denorm_mode_32 3
		.amdhsa_float_denorm_mode_16_64 3
		.amdhsa_fp16_overflow 0
		.amdhsa_memory_ordered 1
		.amdhsa_forward_progress 1
		.amdhsa_inst_pref_size 0
		.amdhsa_round_robin_scheduling 0
		.amdhsa_exception_fp_ieee_invalid_op 0
		.amdhsa_exception_fp_denorm_src 0
		.amdhsa_exception_fp_ieee_div_zero 0
		.amdhsa_exception_fp_ieee_overflow 0
		.amdhsa_exception_fp_ieee_underflow 0
		.amdhsa_exception_fp_ieee_inexact 0
		.amdhsa_exception_int_div_zero 0
	.end_amdhsa_kernel
	.section	.text._ZN7rocprim17ROCPRIM_400000_NS6detail17trampoline_kernelINS0_14default_configENS1_27scan_by_key_config_selectorIifEEZZNS1_16scan_by_key_implILNS1_25lookback_scan_determinismE0ELb1ES3_N6thrust23THRUST_200600_302600_NS6detail15normal_iteratorINS9_10device_ptrIiEEEENSB_INSC_IfEEEESG_fNS9_4plusIvEENS9_8equal_toIvEEfEE10hipError_tPvRmT2_T3_T4_T5_mT6_T7_P12ihipStream_tbENKUlT_T0_E_clISt17integral_constantIbLb1EES10_IbLb0EEEEDaSW_SX_EUlSW_E_NS1_11comp_targetILNS1_3genE3ELNS1_11target_archE908ELNS1_3gpuE7ELNS1_3repE0EEENS1_30default_config_static_selectorELNS0_4arch9wavefront6targetE0EEEvT1_,"axG",@progbits,_ZN7rocprim17ROCPRIM_400000_NS6detail17trampoline_kernelINS0_14default_configENS1_27scan_by_key_config_selectorIifEEZZNS1_16scan_by_key_implILNS1_25lookback_scan_determinismE0ELb1ES3_N6thrust23THRUST_200600_302600_NS6detail15normal_iteratorINS9_10device_ptrIiEEEENSB_INSC_IfEEEESG_fNS9_4plusIvEENS9_8equal_toIvEEfEE10hipError_tPvRmT2_T3_T4_T5_mT6_T7_P12ihipStream_tbENKUlT_T0_E_clISt17integral_constantIbLb1EES10_IbLb0EEEEDaSW_SX_EUlSW_E_NS1_11comp_targetILNS1_3genE3ELNS1_11target_archE908ELNS1_3gpuE7ELNS1_3repE0EEENS1_30default_config_static_selectorELNS0_4arch9wavefront6targetE0EEEvT1_,comdat
.Lfunc_end1449:
	.size	_ZN7rocprim17ROCPRIM_400000_NS6detail17trampoline_kernelINS0_14default_configENS1_27scan_by_key_config_selectorIifEEZZNS1_16scan_by_key_implILNS1_25lookback_scan_determinismE0ELb1ES3_N6thrust23THRUST_200600_302600_NS6detail15normal_iteratorINS9_10device_ptrIiEEEENSB_INSC_IfEEEESG_fNS9_4plusIvEENS9_8equal_toIvEEfEE10hipError_tPvRmT2_T3_T4_T5_mT6_T7_P12ihipStream_tbENKUlT_T0_E_clISt17integral_constantIbLb1EES10_IbLb0EEEEDaSW_SX_EUlSW_E_NS1_11comp_targetILNS1_3genE3ELNS1_11target_archE908ELNS1_3gpuE7ELNS1_3repE0EEENS1_30default_config_static_selectorELNS0_4arch9wavefront6targetE0EEEvT1_, .Lfunc_end1449-_ZN7rocprim17ROCPRIM_400000_NS6detail17trampoline_kernelINS0_14default_configENS1_27scan_by_key_config_selectorIifEEZZNS1_16scan_by_key_implILNS1_25lookback_scan_determinismE0ELb1ES3_N6thrust23THRUST_200600_302600_NS6detail15normal_iteratorINS9_10device_ptrIiEEEENSB_INSC_IfEEEESG_fNS9_4plusIvEENS9_8equal_toIvEEfEE10hipError_tPvRmT2_T3_T4_T5_mT6_T7_P12ihipStream_tbENKUlT_T0_E_clISt17integral_constantIbLb1EES10_IbLb0EEEEDaSW_SX_EUlSW_E_NS1_11comp_targetILNS1_3genE3ELNS1_11target_archE908ELNS1_3gpuE7ELNS1_3repE0EEENS1_30default_config_static_selectorELNS0_4arch9wavefront6targetE0EEEvT1_
                                        ; -- End function
	.set _ZN7rocprim17ROCPRIM_400000_NS6detail17trampoline_kernelINS0_14default_configENS1_27scan_by_key_config_selectorIifEEZZNS1_16scan_by_key_implILNS1_25lookback_scan_determinismE0ELb1ES3_N6thrust23THRUST_200600_302600_NS6detail15normal_iteratorINS9_10device_ptrIiEEEENSB_INSC_IfEEEESG_fNS9_4plusIvEENS9_8equal_toIvEEfEE10hipError_tPvRmT2_T3_T4_T5_mT6_T7_P12ihipStream_tbENKUlT_T0_E_clISt17integral_constantIbLb1EES10_IbLb0EEEEDaSW_SX_EUlSW_E_NS1_11comp_targetILNS1_3genE3ELNS1_11target_archE908ELNS1_3gpuE7ELNS1_3repE0EEENS1_30default_config_static_selectorELNS0_4arch9wavefront6targetE0EEEvT1_.num_vgpr, 0
	.set _ZN7rocprim17ROCPRIM_400000_NS6detail17trampoline_kernelINS0_14default_configENS1_27scan_by_key_config_selectorIifEEZZNS1_16scan_by_key_implILNS1_25lookback_scan_determinismE0ELb1ES3_N6thrust23THRUST_200600_302600_NS6detail15normal_iteratorINS9_10device_ptrIiEEEENSB_INSC_IfEEEESG_fNS9_4plusIvEENS9_8equal_toIvEEfEE10hipError_tPvRmT2_T3_T4_T5_mT6_T7_P12ihipStream_tbENKUlT_T0_E_clISt17integral_constantIbLb1EES10_IbLb0EEEEDaSW_SX_EUlSW_E_NS1_11comp_targetILNS1_3genE3ELNS1_11target_archE908ELNS1_3gpuE7ELNS1_3repE0EEENS1_30default_config_static_selectorELNS0_4arch9wavefront6targetE0EEEvT1_.num_agpr, 0
	.set _ZN7rocprim17ROCPRIM_400000_NS6detail17trampoline_kernelINS0_14default_configENS1_27scan_by_key_config_selectorIifEEZZNS1_16scan_by_key_implILNS1_25lookback_scan_determinismE0ELb1ES3_N6thrust23THRUST_200600_302600_NS6detail15normal_iteratorINS9_10device_ptrIiEEEENSB_INSC_IfEEEESG_fNS9_4plusIvEENS9_8equal_toIvEEfEE10hipError_tPvRmT2_T3_T4_T5_mT6_T7_P12ihipStream_tbENKUlT_T0_E_clISt17integral_constantIbLb1EES10_IbLb0EEEEDaSW_SX_EUlSW_E_NS1_11comp_targetILNS1_3genE3ELNS1_11target_archE908ELNS1_3gpuE7ELNS1_3repE0EEENS1_30default_config_static_selectorELNS0_4arch9wavefront6targetE0EEEvT1_.numbered_sgpr, 0
	.set _ZN7rocprim17ROCPRIM_400000_NS6detail17trampoline_kernelINS0_14default_configENS1_27scan_by_key_config_selectorIifEEZZNS1_16scan_by_key_implILNS1_25lookback_scan_determinismE0ELb1ES3_N6thrust23THRUST_200600_302600_NS6detail15normal_iteratorINS9_10device_ptrIiEEEENSB_INSC_IfEEEESG_fNS9_4plusIvEENS9_8equal_toIvEEfEE10hipError_tPvRmT2_T3_T4_T5_mT6_T7_P12ihipStream_tbENKUlT_T0_E_clISt17integral_constantIbLb1EES10_IbLb0EEEEDaSW_SX_EUlSW_E_NS1_11comp_targetILNS1_3genE3ELNS1_11target_archE908ELNS1_3gpuE7ELNS1_3repE0EEENS1_30default_config_static_selectorELNS0_4arch9wavefront6targetE0EEEvT1_.num_named_barrier, 0
	.set _ZN7rocprim17ROCPRIM_400000_NS6detail17trampoline_kernelINS0_14default_configENS1_27scan_by_key_config_selectorIifEEZZNS1_16scan_by_key_implILNS1_25lookback_scan_determinismE0ELb1ES3_N6thrust23THRUST_200600_302600_NS6detail15normal_iteratorINS9_10device_ptrIiEEEENSB_INSC_IfEEEESG_fNS9_4plusIvEENS9_8equal_toIvEEfEE10hipError_tPvRmT2_T3_T4_T5_mT6_T7_P12ihipStream_tbENKUlT_T0_E_clISt17integral_constantIbLb1EES10_IbLb0EEEEDaSW_SX_EUlSW_E_NS1_11comp_targetILNS1_3genE3ELNS1_11target_archE908ELNS1_3gpuE7ELNS1_3repE0EEENS1_30default_config_static_selectorELNS0_4arch9wavefront6targetE0EEEvT1_.private_seg_size, 0
	.set _ZN7rocprim17ROCPRIM_400000_NS6detail17trampoline_kernelINS0_14default_configENS1_27scan_by_key_config_selectorIifEEZZNS1_16scan_by_key_implILNS1_25lookback_scan_determinismE0ELb1ES3_N6thrust23THRUST_200600_302600_NS6detail15normal_iteratorINS9_10device_ptrIiEEEENSB_INSC_IfEEEESG_fNS9_4plusIvEENS9_8equal_toIvEEfEE10hipError_tPvRmT2_T3_T4_T5_mT6_T7_P12ihipStream_tbENKUlT_T0_E_clISt17integral_constantIbLb1EES10_IbLb0EEEEDaSW_SX_EUlSW_E_NS1_11comp_targetILNS1_3genE3ELNS1_11target_archE908ELNS1_3gpuE7ELNS1_3repE0EEENS1_30default_config_static_selectorELNS0_4arch9wavefront6targetE0EEEvT1_.uses_vcc, 0
	.set _ZN7rocprim17ROCPRIM_400000_NS6detail17trampoline_kernelINS0_14default_configENS1_27scan_by_key_config_selectorIifEEZZNS1_16scan_by_key_implILNS1_25lookback_scan_determinismE0ELb1ES3_N6thrust23THRUST_200600_302600_NS6detail15normal_iteratorINS9_10device_ptrIiEEEENSB_INSC_IfEEEESG_fNS9_4plusIvEENS9_8equal_toIvEEfEE10hipError_tPvRmT2_T3_T4_T5_mT6_T7_P12ihipStream_tbENKUlT_T0_E_clISt17integral_constantIbLb1EES10_IbLb0EEEEDaSW_SX_EUlSW_E_NS1_11comp_targetILNS1_3genE3ELNS1_11target_archE908ELNS1_3gpuE7ELNS1_3repE0EEENS1_30default_config_static_selectorELNS0_4arch9wavefront6targetE0EEEvT1_.uses_flat_scratch, 0
	.set _ZN7rocprim17ROCPRIM_400000_NS6detail17trampoline_kernelINS0_14default_configENS1_27scan_by_key_config_selectorIifEEZZNS1_16scan_by_key_implILNS1_25lookback_scan_determinismE0ELb1ES3_N6thrust23THRUST_200600_302600_NS6detail15normal_iteratorINS9_10device_ptrIiEEEENSB_INSC_IfEEEESG_fNS9_4plusIvEENS9_8equal_toIvEEfEE10hipError_tPvRmT2_T3_T4_T5_mT6_T7_P12ihipStream_tbENKUlT_T0_E_clISt17integral_constantIbLb1EES10_IbLb0EEEEDaSW_SX_EUlSW_E_NS1_11comp_targetILNS1_3genE3ELNS1_11target_archE908ELNS1_3gpuE7ELNS1_3repE0EEENS1_30default_config_static_selectorELNS0_4arch9wavefront6targetE0EEEvT1_.has_dyn_sized_stack, 0
	.set _ZN7rocprim17ROCPRIM_400000_NS6detail17trampoline_kernelINS0_14default_configENS1_27scan_by_key_config_selectorIifEEZZNS1_16scan_by_key_implILNS1_25lookback_scan_determinismE0ELb1ES3_N6thrust23THRUST_200600_302600_NS6detail15normal_iteratorINS9_10device_ptrIiEEEENSB_INSC_IfEEEESG_fNS9_4plusIvEENS9_8equal_toIvEEfEE10hipError_tPvRmT2_T3_T4_T5_mT6_T7_P12ihipStream_tbENKUlT_T0_E_clISt17integral_constantIbLb1EES10_IbLb0EEEEDaSW_SX_EUlSW_E_NS1_11comp_targetILNS1_3genE3ELNS1_11target_archE908ELNS1_3gpuE7ELNS1_3repE0EEENS1_30default_config_static_selectorELNS0_4arch9wavefront6targetE0EEEvT1_.has_recursion, 0
	.set _ZN7rocprim17ROCPRIM_400000_NS6detail17trampoline_kernelINS0_14default_configENS1_27scan_by_key_config_selectorIifEEZZNS1_16scan_by_key_implILNS1_25lookback_scan_determinismE0ELb1ES3_N6thrust23THRUST_200600_302600_NS6detail15normal_iteratorINS9_10device_ptrIiEEEENSB_INSC_IfEEEESG_fNS9_4plusIvEENS9_8equal_toIvEEfEE10hipError_tPvRmT2_T3_T4_T5_mT6_T7_P12ihipStream_tbENKUlT_T0_E_clISt17integral_constantIbLb1EES10_IbLb0EEEEDaSW_SX_EUlSW_E_NS1_11comp_targetILNS1_3genE3ELNS1_11target_archE908ELNS1_3gpuE7ELNS1_3repE0EEENS1_30default_config_static_selectorELNS0_4arch9wavefront6targetE0EEEvT1_.has_indirect_call, 0
	.section	.AMDGPU.csdata,"",@progbits
; Kernel info:
; codeLenInByte = 0
; TotalNumSgprs: 0
; NumVgprs: 0
; ScratchSize: 0
; MemoryBound: 0
; FloatMode: 240
; IeeeMode: 1
; LDSByteSize: 0 bytes/workgroup (compile time only)
; SGPRBlocks: 0
; VGPRBlocks: 0
; NumSGPRsForWavesPerEU: 1
; NumVGPRsForWavesPerEU: 1
; NamedBarCnt: 0
; Occupancy: 16
; WaveLimiterHint : 0
; COMPUTE_PGM_RSRC2:SCRATCH_EN: 0
; COMPUTE_PGM_RSRC2:USER_SGPR: 2
; COMPUTE_PGM_RSRC2:TRAP_HANDLER: 0
; COMPUTE_PGM_RSRC2:TGID_X_EN: 1
; COMPUTE_PGM_RSRC2:TGID_Y_EN: 0
; COMPUTE_PGM_RSRC2:TGID_Z_EN: 0
; COMPUTE_PGM_RSRC2:TIDIG_COMP_CNT: 0
	.section	.text._ZN7rocprim17ROCPRIM_400000_NS6detail17trampoline_kernelINS0_14default_configENS1_27scan_by_key_config_selectorIifEEZZNS1_16scan_by_key_implILNS1_25lookback_scan_determinismE0ELb1ES3_N6thrust23THRUST_200600_302600_NS6detail15normal_iteratorINS9_10device_ptrIiEEEENSB_INSC_IfEEEESG_fNS9_4plusIvEENS9_8equal_toIvEEfEE10hipError_tPvRmT2_T3_T4_T5_mT6_T7_P12ihipStream_tbENKUlT_T0_E_clISt17integral_constantIbLb1EES10_IbLb0EEEEDaSW_SX_EUlSW_E_NS1_11comp_targetILNS1_3genE2ELNS1_11target_archE906ELNS1_3gpuE6ELNS1_3repE0EEENS1_30default_config_static_selectorELNS0_4arch9wavefront6targetE0EEEvT1_,"axG",@progbits,_ZN7rocprim17ROCPRIM_400000_NS6detail17trampoline_kernelINS0_14default_configENS1_27scan_by_key_config_selectorIifEEZZNS1_16scan_by_key_implILNS1_25lookback_scan_determinismE0ELb1ES3_N6thrust23THRUST_200600_302600_NS6detail15normal_iteratorINS9_10device_ptrIiEEEENSB_INSC_IfEEEESG_fNS9_4plusIvEENS9_8equal_toIvEEfEE10hipError_tPvRmT2_T3_T4_T5_mT6_T7_P12ihipStream_tbENKUlT_T0_E_clISt17integral_constantIbLb1EES10_IbLb0EEEEDaSW_SX_EUlSW_E_NS1_11comp_targetILNS1_3genE2ELNS1_11target_archE906ELNS1_3gpuE6ELNS1_3repE0EEENS1_30default_config_static_selectorELNS0_4arch9wavefront6targetE0EEEvT1_,comdat
	.protected	_ZN7rocprim17ROCPRIM_400000_NS6detail17trampoline_kernelINS0_14default_configENS1_27scan_by_key_config_selectorIifEEZZNS1_16scan_by_key_implILNS1_25lookback_scan_determinismE0ELb1ES3_N6thrust23THRUST_200600_302600_NS6detail15normal_iteratorINS9_10device_ptrIiEEEENSB_INSC_IfEEEESG_fNS9_4plusIvEENS9_8equal_toIvEEfEE10hipError_tPvRmT2_T3_T4_T5_mT6_T7_P12ihipStream_tbENKUlT_T0_E_clISt17integral_constantIbLb1EES10_IbLb0EEEEDaSW_SX_EUlSW_E_NS1_11comp_targetILNS1_3genE2ELNS1_11target_archE906ELNS1_3gpuE6ELNS1_3repE0EEENS1_30default_config_static_selectorELNS0_4arch9wavefront6targetE0EEEvT1_ ; -- Begin function _ZN7rocprim17ROCPRIM_400000_NS6detail17trampoline_kernelINS0_14default_configENS1_27scan_by_key_config_selectorIifEEZZNS1_16scan_by_key_implILNS1_25lookback_scan_determinismE0ELb1ES3_N6thrust23THRUST_200600_302600_NS6detail15normal_iteratorINS9_10device_ptrIiEEEENSB_INSC_IfEEEESG_fNS9_4plusIvEENS9_8equal_toIvEEfEE10hipError_tPvRmT2_T3_T4_T5_mT6_T7_P12ihipStream_tbENKUlT_T0_E_clISt17integral_constantIbLb1EES10_IbLb0EEEEDaSW_SX_EUlSW_E_NS1_11comp_targetILNS1_3genE2ELNS1_11target_archE906ELNS1_3gpuE6ELNS1_3repE0EEENS1_30default_config_static_selectorELNS0_4arch9wavefront6targetE0EEEvT1_
	.globl	_ZN7rocprim17ROCPRIM_400000_NS6detail17trampoline_kernelINS0_14default_configENS1_27scan_by_key_config_selectorIifEEZZNS1_16scan_by_key_implILNS1_25lookback_scan_determinismE0ELb1ES3_N6thrust23THRUST_200600_302600_NS6detail15normal_iteratorINS9_10device_ptrIiEEEENSB_INSC_IfEEEESG_fNS9_4plusIvEENS9_8equal_toIvEEfEE10hipError_tPvRmT2_T3_T4_T5_mT6_T7_P12ihipStream_tbENKUlT_T0_E_clISt17integral_constantIbLb1EES10_IbLb0EEEEDaSW_SX_EUlSW_E_NS1_11comp_targetILNS1_3genE2ELNS1_11target_archE906ELNS1_3gpuE6ELNS1_3repE0EEENS1_30default_config_static_selectorELNS0_4arch9wavefront6targetE0EEEvT1_
	.p2align	8
	.type	_ZN7rocprim17ROCPRIM_400000_NS6detail17trampoline_kernelINS0_14default_configENS1_27scan_by_key_config_selectorIifEEZZNS1_16scan_by_key_implILNS1_25lookback_scan_determinismE0ELb1ES3_N6thrust23THRUST_200600_302600_NS6detail15normal_iteratorINS9_10device_ptrIiEEEENSB_INSC_IfEEEESG_fNS9_4plusIvEENS9_8equal_toIvEEfEE10hipError_tPvRmT2_T3_T4_T5_mT6_T7_P12ihipStream_tbENKUlT_T0_E_clISt17integral_constantIbLb1EES10_IbLb0EEEEDaSW_SX_EUlSW_E_NS1_11comp_targetILNS1_3genE2ELNS1_11target_archE906ELNS1_3gpuE6ELNS1_3repE0EEENS1_30default_config_static_selectorELNS0_4arch9wavefront6targetE0EEEvT1_,@function
_ZN7rocprim17ROCPRIM_400000_NS6detail17trampoline_kernelINS0_14default_configENS1_27scan_by_key_config_selectorIifEEZZNS1_16scan_by_key_implILNS1_25lookback_scan_determinismE0ELb1ES3_N6thrust23THRUST_200600_302600_NS6detail15normal_iteratorINS9_10device_ptrIiEEEENSB_INSC_IfEEEESG_fNS9_4plusIvEENS9_8equal_toIvEEfEE10hipError_tPvRmT2_T3_T4_T5_mT6_T7_P12ihipStream_tbENKUlT_T0_E_clISt17integral_constantIbLb1EES10_IbLb0EEEEDaSW_SX_EUlSW_E_NS1_11comp_targetILNS1_3genE2ELNS1_11target_archE906ELNS1_3gpuE6ELNS1_3repE0EEENS1_30default_config_static_selectorELNS0_4arch9wavefront6targetE0EEEvT1_: ; @_ZN7rocprim17ROCPRIM_400000_NS6detail17trampoline_kernelINS0_14default_configENS1_27scan_by_key_config_selectorIifEEZZNS1_16scan_by_key_implILNS1_25lookback_scan_determinismE0ELb1ES3_N6thrust23THRUST_200600_302600_NS6detail15normal_iteratorINS9_10device_ptrIiEEEENSB_INSC_IfEEEESG_fNS9_4plusIvEENS9_8equal_toIvEEfEE10hipError_tPvRmT2_T3_T4_T5_mT6_T7_P12ihipStream_tbENKUlT_T0_E_clISt17integral_constantIbLb1EES10_IbLb0EEEEDaSW_SX_EUlSW_E_NS1_11comp_targetILNS1_3genE2ELNS1_11target_archE906ELNS1_3gpuE6ELNS1_3repE0EEENS1_30default_config_static_selectorELNS0_4arch9wavefront6targetE0EEEvT1_
; %bb.0:
	.section	.rodata,"a",@progbits
	.p2align	6, 0x0
	.amdhsa_kernel _ZN7rocprim17ROCPRIM_400000_NS6detail17trampoline_kernelINS0_14default_configENS1_27scan_by_key_config_selectorIifEEZZNS1_16scan_by_key_implILNS1_25lookback_scan_determinismE0ELb1ES3_N6thrust23THRUST_200600_302600_NS6detail15normal_iteratorINS9_10device_ptrIiEEEENSB_INSC_IfEEEESG_fNS9_4plusIvEENS9_8equal_toIvEEfEE10hipError_tPvRmT2_T3_T4_T5_mT6_T7_P12ihipStream_tbENKUlT_T0_E_clISt17integral_constantIbLb1EES10_IbLb0EEEEDaSW_SX_EUlSW_E_NS1_11comp_targetILNS1_3genE2ELNS1_11target_archE906ELNS1_3gpuE6ELNS1_3repE0EEENS1_30default_config_static_selectorELNS0_4arch9wavefront6targetE0EEEvT1_
		.amdhsa_group_segment_fixed_size 0
		.amdhsa_private_segment_fixed_size 0
		.amdhsa_kernarg_size 112
		.amdhsa_user_sgpr_count 2
		.amdhsa_user_sgpr_dispatch_ptr 0
		.amdhsa_user_sgpr_queue_ptr 0
		.amdhsa_user_sgpr_kernarg_segment_ptr 1
		.amdhsa_user_sgpr_dispatch_id 0
		.amdhsa_user_sgpr_kernarg_preload_length 0
		.amdhsa_user_sgpr_kernarg_preload_offset 0
		.amdhsa_user_sgpr_private_segment_size 0
		.amdhsa_wavefront_size32 1
		.amdhsa_uses_dynamic_stack 0
		.amdhsa_enable_private_segment 0
		.amdhsa_system_sgpr_workgroup_id_x 1
		.amdhsa_system_sgpr_workgroup_id_y 0
		.amdhsa_system_sgpr_workgroup_id_z 0
		.amdhsa_system_sgpr_workgroup_info 0
		.amdhsa_system_vgpr_workitem_id 0
		.amdhsa_next_free_vgpr 1
		.amdhsa_next_free_sgpr 1
		.amdhsa_named_barrier_count 0
		.amdhsa_reserve_vcc 0
		.amdhsa_float_round_mode_32 0
		.amdhsa_float_round_mode_16_64 0
		.amdhsa_float_denorm_mode_32 3
		.amdhsa_float_denorm_mode_16_64 3
		.amdhsa_fp16_overflow 0
		.amdhsa_memory_ordered 1
		.amdhsa_forward_progress 1
		.amdhsa_inst_pref_size 0
		.amdhsa_round_robin_scheduling 0
		.amdhsa_exception_fp_ieee_invalid_op 0
		.amdhsa_exception_fp_denorm_src 0
		.amdhsa_exception_fp_ieee_div_zero 0
		.amdhsa_exception_fp_ieee_overflow 0
		.amdhsa_exception_fp_ieee_underflow 0
		.amdhsa_exception_fp_ieee_inexact 0
		.amdhsa_exception_int_div_zero 0
	.end_amdhsa_kernel
	.section	.text._ZN7rocprim17ROCPRIM_400000_NS6detail17trampoline_kernelINS0_14default_configENS1_27scan_by_key_config_selectorIifEEZZNS1_16scan_by_key_implILNS1_25lookback_scan_determinismE0ELb1ES3_N6thrust23THRUST_200600_302600_NS6detail15normal_iteratorINS9_10device_ptrIiEEEENSB_INSC_IfEEEESG_fNS9_4plusIvEENS9_8equal_toIvEEfEE10hipError_tPvRmT2_T3_T4_T5_mT6_T7_P12ihipStream_tbENKUlT_T0_E_clISt17integral_constantIbLb1EES10_IbLb0EEEEDaSW_SX_EUlSW_E_NS1_11comp_targetILNS1_3genE2ELNS1_11target_archE906ELNS1_3gpuE6ELNS1_3repE0EEENS1_30default_config_static_selectorELNS0_4arch9wavefront6targetE0EEEvT1_,"axG",@progbits,_ZN7rocprim17ROCPRIM_400000_NS6detail17trampoline_kernelINS0_14default_configENS1_27scan_by_key_config_selectorIifEEZZNS1_16scan_by_key_implILNS1_25lookback_scan_determinismE0ELb1ES3_N6thrust23THRUST_200600_302600_NS6detail15normal_iteratorINS9_10device_ptrIiEEEENSB_INSC_IfEEEESG_fNS9_4plusIvEENS9_8equal_toIvEEfEE10hipError_tPvRmT2_T3_T4_T5_mT6_T7_P12ihipStream_tbENKUlT_T0_E_clISt17integral_constantIbLb1EES10_IbLb0EEEEDaSW_SX_EUlSW_E_NS1_11comp_targetILNS1_3genE2ELNS1_11target_archE906ELNS1_3gpuE6ELNS1_3repE0EEENS1_30default_config_static_selectorELNS0_4arch9wavefront6targetE0EEEvT1_,comdat
.Lfunc_end1450:
	.size	_ZN7rocprim17ROCPRIM_400000_NS6detail17trampoline_kernelINS0_14default_configENS1_27scan_by_key_config_selectorIifEEZZNS1_16scan_by_key_implILNS1_25lookback_scan_determinismE0ELb1ES3_N6thrust23THRUST_200600_302600_NS6detail15normal_iteratorINS9_10device_ptrIiEEEENSB_INSC_IfEEEESG_fNS9_4plusIvEENS9_8equal_toIvEEfEE10hipError_tPvRmT2_T3_T4_T5_mT6_T7_P12ihipStream_tbENKUlT_T0_E_clISt17integral_constantIbLb1EES10_IbLb0EEEEDaSW_SX_EUlSW_E_NS1_11comp_targetILNS1_3genE2ELNS1_11target_archE906ELNS1_3gpuE6ELNS1_3repE0EEENS1_30default_config_static_selectorELNS0_4arch9wavefront6targetE0EEEvT1_, .Lfunc_end1450-_ZN7rocprim17ROCPRIM_400000_NS6detail17trampoline_kernelINS0_14default_configENS1_27scan_by_key_config_selectorIifEEZZNS1_16scan_by_key_implILNS1_25lookback_scan_determinismE0ELb1ES3_N6thrust23THRUST_200600_302600_NS6detail15normal_iteratorINS9_10device_ptrIiEEEENSB_INSC_IfEEEESG_fNS9_4plusIvEENS9_8equal_toIvEEfEE10hipError_tPvRmT2_T3_T4_T5_mT6_T7_P12ihipStream_tbENKUlT_T0_E_clISt17integral_constantIbLb1EES10_IbLb0EEEEDaSW_SX_EUlSW_E_NS1_11comp_targetILNS1_3genE2ELNS1_11target_archE906ELNS1_3gpuE6ELNS1_3repE0EEENS1_30default_config_static_selectorELNS0_4arch9wavefront6targetE0EEEvT1_
                                        ; -- End function
	.set _ZN7rocprim17ROCPRIM_400000_NS6detail17trampoline_kernelINS0_14default_configENS1_27scan_by_key_config_selectorIifEEZZNS1_16scan_by_key_implILNS1_25lookback_scan_determinismE0ELb1ES3_N6thrust23THRUST_200600_302600_NS6detail15normal_iteratorINS9_10device_ptrIiEEEENSB_INSC_IfEEEESG_fNS9_4plusIvEENS9_8equal_toIvEEfEE10hipError_tPvRmT2_T3_T4_T5_mT6_T7_P12ihipStream_tbENKUlT_T0_E_clISt17integral_constantIbLb1EES10_IbLb0EEEEDaSW_SX_EUlSW_E_NS1_11comp_targetILNS1_3genE2ELNS1_11target_archE906ELNS1_3gpuE6ELNS1_3repE0EEENS1_30default_config_static_selectorELNS0_4arch9wavefront6targetE0EEEvT1_.num_vgpr, 0
	.set _ZN7rocprim17ROCPRIM_400000_NS6detail17trampoline_kernelINS0_14default_configENS1_27scan_by_key_config_selectorIifEEZZNS1_16scan_by_key_implILNS1_25lookback_scan_determinismE0ELb1ES3_N6thrust23THRUST_200600_302600_NS6detail15normal_iteratorINS9_10device_ptrIiEEEENSB_INSC_IfEEEESG_fNS9_4plusIvEENS9_8equal_toIvEEfEE10hipError_tPvRmT2_T3_T4_T5_mT6_T7_P12ihipStream_tbENKUlT_T0_E_clISt17integral_constantIbLb1EES10_IbLb0EEEEDaSW_SX_EUlSW_E_NS1_11comp_targetILNS1_3genE2ELNS1_11target_archE906ELNS1_3gpuE6ELNS1_3repE0EEENS1_30default_config_static_selectorELNS0_4arch9wavefront6targetE0EEEvT1_.num_agpr, 0
	.set _ZN7rocprim17ROCPRIM_400000_NS6detail17trampoline_kernelINS0_14default_configENS1_27scan_by_key_config_selectorIifEEZZNS1_16scan_by_key_implILNS1_25lookback_scan_determinismE0ELb1ES3_N6thrust23THRUST_200600_302600_NS6detail15normal_iteratorINS9_10device_ptrIiEEEENSB_INSC_IfEEEESG_fNS9_4plusIvEENS9_8equal_toIvEEfEE10hipError_tPvRmT2_T3_T4_T5_mT6_T7_P12ihipStream_tbENKUlT_T0_E_clISt17integral_constantIbLb1EES10_IbLb0EEEEDaSW_SX_EUlSW_E_NS1_11comp_targetILNS1_3genE2ELNS1_11target_archE906ELNS1_3gpuE6ELNS1_3repE0EEENS1_30default_config_static_selectorELNS0_4arch9wavefront6targetE0EEEvT1_.numbered_sgpr, 0
	.set _ZN7rocprim17ROCPRIM_400000_NS6detail17trampoline_kernelINS0_14default_configENS1_27scan_by_key_config_selectorIifEEZZNS1_16scan_by_key_implILNS1_25lookback_scan_determinismE0ELb1ES3_N6thrust23THRUST_200600_302600_NS6detail15normal_iteratorINS9_10device_ptrIiEEEENSB_INSC_IfEEEESG_fNS9_4plusIvEENS9_8equal_toIvEEfEE10hipError_tPvRmT2_T3_T4_T5_mT6_T7_P12ihipStream_tbENKUlT_T0_E_clISt17integral_constantIbLb1EES10_IbLb0EEEEDaSW_SX_EUlSW_E_NS1_11comp_targetILNS1_3genE2ELNS1_11target_archE906ELNS1_3gpuE6ELNS1_3repE0EEENS1_30default_config_static_selectorELNS0_4arch9wavefront6targetE0EEEvT1_.num_named_barrier, 0
	.set _ZN7rocprim17ROCPRIM_400000_NS6detail17trampoline_kernelINS0_14default_configENS1_27scan_by_key_config_selectorIifEEZZNS1_16scan_by_key_implILNS1_25lookback_scan_determinismE0ELb1ES3_N6thrust23THRUST_200600_302600_NS6detail15normal_iteratorINS9_10device_ptrIiEEEENSB_INSC_IfEEEESG_fNS9_4plusIvEENS9_8equal_toIvEEfEE10hipError_tPvRmT2_T3_T4_T5_mT6_T7_P12ihipStream_tbENKUlT_T0_E_clISt17integral_constantIbLb1EES10_IbLb0EEEEDaSW_SX_EUlSW_E_NS1_11comp_targetILNS1_3genE2ELNS1_11target_archE906ELNS1_3gpuE6ELNS1_3repE0EEENS1_30default_config_static_selectorELNS0_4arch9wavefront6targetE0EEEvT1_.private_seg_size, 0
	.set _ZN7rocprim17ROCPRIM_400000_NS6detail17trampoline_kernelINS0_14default_configENS1_27scan_by_key_config_selectorIifEEZZNS1_16scan_by_key_implILNS1_25lookback_scan_determinismE0ELb1ES3_N6thrust23THRUST_200600_302600_NS6detail15normal_iteratorINS9_10device_ptrIiEEEENSB_INSC_IfEEEESG_fNS9_4plusIvEENS9_8equal_toIvEEfEE10hipError_tPvRmT2_T3_T4_T5_mT6_T7_P12ihipStream_tbENKUlT_T0_E_clISt17integral_constantIbLb1EES10_IbLb0EEEEDaSW_SX_EUlSW_E_NS1_11comp_targetILNS1_3genE2ELNS1_11target_archE906ELNS1_3gpuE6ELNS1_3repE0EEENS1_30default_config_static_selectorELNS0_4arch9wavefront6targetE0EEEvT1_.uses_vcc, 0
	.set _ZN7rocprim17ROCPRIM_400000_NS6detail17trampoline_kernelINS0_14default_configENS1_27scan_by_key_config_selectorIifEEZZNS1_16scan_by_key_implILNS1_25lookback_scan_determinismE0ELb1ES3_N6thrust23THRUST_200600_302600_NS6detail15normal_iteratorINS9_10device_ptrIiEEEENSB_INSC_IfEEEESG_fNS9_4plusIvEENS9_8equal_toIvEEfEE10hipError_tPvRmT2_T3_T4_T5_mT6_T7_P12ihipStream_tbENKUlT_T0_E_clISt17integral_constantIbLb1EES10_IbLb0EEEEDaSW_SX_EUlSW_E_NS1_11comp_targetILNS1_3genE2ELNS1_11target_archE906ELNS1_3gpuE6ELNS1_3repE0EEENS1_30default_config_static_selectorELNS0_4arch9wavefront6targetE0EEEvT1_.uses_flat_scratch, 0
	.set _ZN7rocprim17ROCPRIM_400000_NS6detail17trampoline_kernelINS0_14default_configENS1_27scan_by_key_config_selectorIifEEZZNS1_16scan_by_key_implILNS1_25lookback_scan_determinismE0ELb1ES3_N6thrust23THRUST_200600_302600_NS6detail15normal_iteratorINS9_10device_ptrIiEEEENSB_INSC_IfEEEESG_fNS9_4plusIvEENS9_8equal_toIvEEfEE10hipError_tPvRmT2_T3_T4_T5_mT6_T7_P12ihipStream_tbENKUlT_T0_E_clISt17integral_constantIbLb1EES10_IbLb0EEEEDaSW_SX_EUlSW_E_NS1_11comp_targetILNS1_3genE2ELNS1_11target_archE906ELNS1_3gpuE6ELNS1_3repE0EEENS1_30default_config_static_selectorELNS0_4arch9wavefront6targetE0EEEvT1_.has_dyn_sized_stack, 0
	.set _ZN7rocprim17ROCPRIM_400000_NS6detail17trampoline_kernelINS0_14default_configENS1_27scan_by_key_config_selectorIifEEZZNS1_16scan_by_key_implILNS1_25lookback_scan_determinismE0ELb1ES3_N6thrust23THRUST_200600_302600_NS6detail15normal_iteratorINS9_10device_ptrIiEEEENSB_INSC_IfEEEESG_fNS9_4plusIvEENS9_8equal_toIvEEfEE10hipError_tPvRmT2_T3_T4_T5_mT6_T7_P12ihipStream_tbENKUlT_T0_E_clISt17integral_constantIbLb1EES10_IbLb0EEEEDaSW_SX_EUlSW_E_NS1_11comp_targetILNS1_3genE2ELNS1_11target_archE906ELNS1_3gpuE6ELNS1_3repE0EEENS1_30default_config_static_selectorELNS0_4arch9wavefront6targetE0EEEvT1_.has_recursion, 0
	.set _ZN7rocprim17ROCPRIM_400000_NS6detail17trampoline_kernelINS0_14default_configENS1_27scan_by_key_config_selectorIifEEZZNS1_16scan_by_key_implILNS1_25lookback_scan_determinismE0ELb1ES3_N6thrust23THRUST_200600_302600_NS6detail15normal_iteratorINS9_10device_ptrIiEEEENSB_INSC_IfEEEESG_fNS9_4plusIvEENS9_8equal_toIvEEfEE10hipError_tPvRmT2_T3_T4_T5_mT6_T7_P12ihipStream_tbENKUlT_T0_E_clISt17integral_constantIbLb1EES10_IbLb0EEEEDaSW_SX_EUlSW_E_NS1_11comp_targetILNS1_3genE2ELNS1_11target_archE906ELNS1_3gpuE6ELNS1_3repE0EEENS1_30default_config_static_selectorELNS0_4arch9wavefront6targetE0EEEvT1_.has_indirect_call, 0
	.section	.AMDGPU.csdata,"",@progbits
; Kernel info:
; codeLenInByte = 0
; TotalNumSgprs: 0
; NumVgprs: 0
; ScratchSize: 0
; MemoryBound: 0
; FloatMode: 240
; IeeeMode: 1
; LDSByteSize: 0 bytes/workgroup (compile time only)
; SGPRBlocks: 0
; VGPRBlocks: 0
; NumSGPRsForWavesPerEU: 1
; NumVGPRsForWavesPerEU: 1
; NamedBarCnt: 0
; Occupancy: 16
; WaveLimiterHint : 0
; COMPUTE_PGM_RSRC2:SCRATCH_EN: 0
; COMPUTE_PGM_RSRC2:USER_SGPR: 2
; COMPUTE_PGM_RSRC2:TRAP_HANDLER: 0
; COMPUTE_PGM_RSRC2:TGID_X_EN: 1
; COMPUTE_PGM_RSRC2:TGID_Y_EN: 0
; COMPUTE_PGM_RSRC2:TGID_Z_EN: 0
; COMPUTE_PGM_RSRC2:TIDIG_COMP_CNT: 0
	.section	.text._ZN7rocprim17ROCPRIM_400000_NS6detail17trampoline_kernelINS0_14default_configENS1_27scan_by_key_config_selectorIifEEZZNS1_16scan_by_key_implILNS1_25lookback_scan_determinismE0ELb1ES3_N6thrust23THRUST_200600_302600_NS6detail15normal_iteratorINS9_10device_ptrIiEEEENSB_INSC_IfEEEESG_fNS9_4plusIvEENS9_8equal_toIvEEfEE10hipError_tPvRmT2_T3_T4_T5_mT6_T7_P12ihipStream_tbENKUlT_T0_E_clISt17integral_constantIbLb1EES10_IbLb0EEEEDaSW_SX_EUlSW_E_NS1_11comp_targetILNS1_3genE10ELNS1_11target_archE1200ELNS1_3gpuE4ELNS1_3repE0EEENS1_30default_config_static_selectorELNS0_4arch9wavefront6targetE0EEEvT1_,"axG",@progbits,_ZN7rocprim17ROCPRIM_400000_NS6detail17trampoline_kernelINS0_14default_configENS1_27scan_by_key_config_selectorIifEEZZNS1_16scan_by_key_implILNS1_25lookback_scan_determinismE0ELb1ES3_N6thrust23THRUST_200600_302600_NS6detail15normal_iteratorINS9_10device_ptrIiEEEENSB_INSC_IfEEEESG_fNS9_4plusIvEENS9_8equal_toIvEEfEE10hipError_tPvRmT2_T3_T4_T5_mT6_T7_P12ihipStream_tbENKUlT_T0_E_clISt17integral_constantIbLb1EES10_IbLb0EEEEDaSW_SX_EUlSW_E_NS1_11comp_targetILNS1_3genE10ELNS1_11target_archE1200ELNS1_3gpuE4ELNS1_3repE0EEENS1_30default_config_static_selectorELNS0_4arch9wavefront6targetE0EEEvT1_,comdat
	.protected	_ZN7rocprim17ROCPRIM_400000_NS6detail17trampoline_kernelINS0_14default_configENS1_27scan_by_key_config_selectorIifEEZZNS1_16scan_by_key_implILNS1_25lookback_scan_determinismE0ELb1ES3_N6thrust23THRUST_200600_302600_NS6detail15normal_iteratorINS9_10device_ptrIiEEEENSB_INSC_IfEEEESG_fNS9_4plusIvEENS9_8equal_toIvEEfEE10hipError_tPvRmT2_T3_T4_T5_mT6_T7_P12ihipStream_tbENKUlT_T0_E_clISt17integral_constantIbLb1EES10_IbLb0EEEEDaSW_SX_EUlSW_E_NS1_11comp_targetILNS1_3genE10ELNS1_11target_archE1200ELNS1_3gpuE4ELNS1_3repE0EEENS1_30default_config_static_selectorELNS0_4arch9wavefront6targetE0EEEvT1_ ; -- Begin function _ZN7rocprim17ROCPRIM_400000_NS6detail17trampoline_kernelINS0_14default_configENS1_27scan_by_key_config_selectorIifEEZZNS1_16scan_by_key_implILNS1_25lookback_scan_determinismE0ELb1ES3_N6thrust23THRUST_200600_302600_NS6detail15normal_iteratorINS9_10device_ptrIiEEEENSB_INSC_IfEEEESG_fNS9_4plusIvEENS9_8equal_toIvEEfEE10hipError_tPvRmT2_T3_T4_T5_mT6_T7_P12ihipStream_tbENKUlT_T0_E_clISt17integral_constantIbLb1EES10_IbLb0EEEEDaSW_SX_EUlSW_E_NS1_11comp_targetILNS1_3genE10ELNS1_11target_archE1200ELNS1_3gpuE4ELNS1_3repE0EEENS1_30default_config_static_selectorELNS0_4arch9wavefront6targetE0EEEvT1_
	.globl	_ZN7rocprim17ROCPRIM_400000_NS6detail17trampoline_kernelINS0_14default_configENS1_27scan_by_key_config_selectorIifEEZZNS1_16scan_by_key_implILNS1_25lookback_scan_determinismE0ELb1ES3_N6thrust23THRUST_200600_302600_NS6detail15normal_iteratorINS9_10device_ptrIiEEEENSB_INSC_IfEEEESG_fNS9_4plusIvEENS9_8equal_toIvEEfEE10hipError_tPvRmT2_T3_T4_T5_mT6_T7_P12ihipStream_tbENKUlT_T0_E_clISt17integral_constantIbLb1EES10_IbLb0EEEEDaSW_SX_EUlSW_E_NS1_11comp_targetILNS1_3genE10ELNS1_11target_archE1200ELNS1_3gpuE4ELNS1_3repE0EEENS1_30default_config_static_selectorELNS0_4arch9wavefront6targetE0EEEvT1_
	.p2align	8
	.type	_ZN7rocprim17ROCPRIM_400000_NS6detail17trampoline_kernelINS0_14default_configENS1_27scan_by_key_config_selectorIifEEZZNS1_16scan_by_key_implILNS1_25lookback_scan_determinismE0ELb1ES3_N6thrust23THRUST_200600_302600_NS6detail15normal_iteratorINS9_10device_ptrIiEEEENSB_INSC_IfEEEESG_fNS9_4plusIvEENS9_8equal_toIvEEfEE10hipError_tPvRmT2_T3_T4_T5_mT6_T7_P12ihipStream_tbENKUlT_T0_E_clISt17integral_constantIbLb1EES10_IbLb0EEEEDaSW_SX_EUlSW_E_NS1_11comp_targetILNS1_3genE10ELNS1_11target_archE1200ELNS1_3gpuE4ELNS1_3repE0EEENS1_30default_config_static_selectorELNS0_4arch9wavefront6targetE0EEEvT1_,@function
_ZN7rocprim17ROCPRIM_400000_NS6detail17trampoline_kernelINS0_14default_configENS1_27scan_by_key_config_selectorIifEEZZNS1_16scan_by_key_implILNS1_25lookback_scan_determinismE0ELb1ES3_N6thrust23THRUST_200600_302600_NS6detail15normal_iteratorINS9_10device_ptrIiEEEENSB_INSC_IfEEEESG_fNS9_4plusIvEENS9_8equal_toIvEEfEE10hipError_tPvRmT2_T3_T4_T5_mT6_T7_P12ihipStream_tbENKUlT_T0_E_clISt17integral_constantIbLb1EES10_IbLb0EEEEDaSW_SX_EUlSW_E_NS1_11comp_targetILNS1_3genE10ELNS1_11target_archE1200ELNS1_3gpuE4ELNS1_3repE0EEENS1_30default_config_static_selectorELNS0_4arch9wavefront6targetE0EEEvT1_: ; @_ZN7rocprim17ROCPRIM_400000_NS6detail17trampoline_kernelINS0_14default_configENS1_27scan_by_key_config_selectorIifEEZZNS1_16scan_by_key_implILNS1_25lookback_scan_determinismE0ELb1ES3_N6thrust23THRUST_200600_302600_NS6detail15normal_iteratorINS9_10device_ptrIiEEEENSB_INSC_IfEEEESG_fNS9_4plusIvEENS9_8equal_toIvEEfEE10hipError_tPvRmT2_T3_T4_T5_mT6_T7_P12ihipStream_tbENKUlT_T0_E_clISt17integral_constantIbLb1EES10_IbLb0EEEEDaSW_SX_EUlSW_E_NS1_11comp_targetILNS1_3genE10ELNS1_11target_archE1200ELNS1_3gpuE4ELNS1_3repE0EEENS1_30default_config_static_selectorELNS0_4arch9wavefront6targetE0EEEvT1_
; %bb.0:
	.section	.rodata,"a",@progbits
	.p2align	6, 0x0
	.amdhsa_kernel _ZN7rocprim17ROCPRIM_400000_NS6detail17trampoline_kernelINS0_14default_configENS1_27scan_by_key_config_selectorIifEEZZNS1_16scan_by_key_implILNS1_25lookback_scan_determinismE0ELb1ES3_N6thrust23THRUST_200600_302600_NS6detail15normal_iteratorINS9_10device_ptrIiEEEENSB_INSC_IfEEEESG_fNS9_4plusIvEENS9_8equal_toIvEEfEE10hipError_tPvRmT2_T3_T4_T5_mT6_T7_P12ihipStream_tbENKUlT_T0_E_clISt17integral_constantIbLb1EES10_IbLb0EEEEDaSW_SX_EUlSW_E_NS1_11comp_targetILNS1_3genE10ELNS1_11target_archE1200ELNS1_3gpuE4ELNS1_3repE0EEENS1_30default_config_static_selectorELNS0_4arch9wavefront6targetE0EEEvT1_
		.amdhsa_group_segment_fixed_size 0
		.amdhsa_private_segment_fixed_size 0
		.amdhsa_kernarg_size 112
		.amdhsa_user_sgpr_count 2
		.amdhsa_user_sgpr_dispatch_ptr 0
		.amdhsa_user_sgpr_queue_ptr 0
		.amdhsa_user_sgpr_kernarg_segment_ptr 1
		.amdhsa_user_sgpr_dispatch_id 0
		.amdhsa_user_sgpr_kernarg_preload_length 0
		.amdhsa_user_sgpr_kernarg_preload_offset 0
		.amdhsa_user_sgpr_private_segment_size 0
		.amdhsa_wavefront_size32 1
		.amdhsa_uses_dynamic_stack 0
		.amdhsa_enable_private_segment 0
		.amdhsa_system_sgpr_workgroup_id_x 1
		.amdhsa_system_sgpr_workgroup_id_y 0
		.amdhsa_system_sgpr_workgroup_id_z 0
		.amdhsa_system_sgpr_workgroup_info 0
		.amdhsa_system_vgpr_workitem_id 0
		.amdhsa_next_free_vgpr 1
		.amdhsa_next_free_sgpr 1
		.amdhsa_named_barrier_count 0
		.amdhsa_reserve_vcc 0
		.amdhsa_float_round_mode_32 0
		.amdhsa_float_round_mode_16_64 0
		.amdhsa_float_denorm_mode_32 3
		.amdhsa_float_denorm_mode_16_64 3
		.amdhsa_fp16_overflow 0
		.amdhsa_memory_ordered 1
		.amdhsa_forward_progress 1
		.amdhsa_inst_pref_size 0
		.amdhsa_round_robin_scheduling 0
		.amdhsa_exception_fp_ieee_invalid_op 0
		.amdhsa_exception_fp_denorm_src 0
		.amdhsa_exception_fp_ieee_div_zero 0
		.amdhsa_exception_fp_ieee_overflow 0
		.amdhsa_exception_fp_ieee_underflow 0
		.amdhsa_exception_fp_ieee_inexact 0
		.amdhsa_exception_int_div_zero 0
	.end_amdhsa_kernel
	.section	.text._ZN7rocprim17ROCPRIM_400000_NS6detail17trampoline_kernelINS0_14default_configENS1_27scan_by_key_config_selectorIifEEZZNS1_16scan_by_key_implILNS1_25lookback_scan_determinismE0ELb1ES3_N6thrust23THRUST_200600_302600_NS6detail15normal_iteratorINS9_10device_ptrIiEEEENSB_INSC_IfEEEESG_fNS9_4plusIvEENS9_8equal_toIvEEfEE10hipError_tPvRmT2_T3_T4_T5_mT6_T7_P12ihipStream_tbENKUlT_T0_E_clISt17integral_constantIbLb1EES10_IbLb0EEEEDaSW_SX_EUlSW_E_NS1_11comp_targetILNS1_3genE10ELNS1_11target_archE1200ELNS1_3gpuE4ELNS1_3repE0EEENS1_30default_config_static_selectorELNS0_4arch9wavefront6targetE0EEEvT1_,"axG",@progbits,_ZN7rocprim17ROCPRIM_400000_NS6detail17trampoline_kernelINS0_14default_configENS1_27scan_by_key_config_selectorIifEEZZNS1_16scan_by_key_implILNS1_25lookback_scan_determinismE0ELb1ES3_N6thrust23THRUST_200600_302600_NS6detail15normal_iteratorINS9_10device_ptrIiEEEENSB_INSC_IfEEEESG_fNS9_4plusIvEENS9_8equal_toIvEEfEE10hipError_tPvRmT2_T3_T4_T5_mT6_T7_P12ihipStream_tbENKUlT_T0_E_clISt17integral_constantIbLb1EES10_IbLb0EEEEDaSW_SX_EUlSW_E_NS1_11comp_targetILNS1_3genE10ELNS1_11target_archE1200ELNS1_3gpuE4ELNS1_3repE0EEENS1_30default_config_static_selectorELNS0_4arch9wavefront6targetE0EEEvT1_,comdat
.Lfunc_end1451:
	.size	_ZN7rocprim17ROCPRIM_400000_NS6detail17trampoline_kernelINS0_14default_configENS1_27scan_by_key_config_selectorIifEEZZNS1_16scan_by_key_implILNS1_25lookback_scan_determinismE0ELb1ES3_N6thrust23THRUST_200600_302600_NS6detail15normal_iteratorINS9_10device_ptrIiEEEENSB_INSC_IfEEEESG_fNS9_4plusIvEENS9_8equal_toIvEEfEE10hipError_tPvRmT2_T3_T4_T5_mT6_T7_P12ihipStream_tbENKUlT_T0_E_clISt17integral_constantIbLb1EES10_IbLb0EEEEDaSW_SX_EUlSW_E_NS1_11comp_targetILNS1_3genE10ELNS1_11target_archE1200ELNS1_3gpuE4ELNS1_3repE0EEENS1_30default_config_static_selectorELNS0_4arch9wavefront6targetE0EEEvT1_, .Lfunc_end1451-_ZN7rocprim17ROCPRIM_400000_NS6detail17trampoline_kernelINS0_14default_configENS1_27scan_by_key_config_selectorIifEEZZNS1_16scan_by_key_implILNS1_25lookback_scan_determinismE0ELb1ES3_N6thrust23THRUST_200600_302600_NS6detail15normal_iteratorINS9_10device_ptrIiEEEENSB_INSC_IfEEEESG_fNS9_4plusIvEENS9_8equal_toIvEEfEE10hipError_tPvRmT2_T3_T4_T5_mT6_T7_P12ihipStream_tbENKUlT_T0_E_clISt17integral_constantIbLb1EES10_IbLb0EEEEDaSW_SX_EUlSW_E_NS1_11comp_targetILNS1_3genE10ELNS1_11target_archE1200ELNS1_3gpuE4ELNS1_3repE0EEENS1_30default_config_static_selectorELNS0_4arch9wavefront6targetE0EEEvT1_
                                        ; -- End function
	.set _ZN7rocprim17ROCPRIM_400000_NS6detail17trampoline_kernelINS0_14default_configENS1_27scan_by_key_config_selectorIifEEZZNS1_16scan_by_key_implILNS1_25lookback_scan_determinismE0ELb1ES3_N6thrust23THRUST_200600_302600_NS6detail15normal_iteratorINS9_10device_ptrIiEEEENSB_INSC_IfEEEESG_fNS9_4plusIvEENS9_8equal_toIvEEfEE10hipError_tPvRmT2_T3_T4_T5_mT6_T7_P12ihipStream_tbENKUlT_T0_E_clISt17integral_constantIbLb1EES10_IbLb0EEEEDaSW_SX_EUlSW_E_NS1_11comp_targetILNS1_3genE10ELNS1_11target_archE1200ELNS1_3gpuE4ELNS1_3repE0EEENS1_30default_config_static_selectorELNS0_4arch9wavefront6targetE0EEEvT1_.num_vgpr, 0
	.set _ZN7rocprim17ROCPRIM_400000_NS6detail17trampoline_kernelINS0_14default_configENS1_27scan_by_key_config_selectorIifEEZZNS1_16scan_by_key_implILNS1_25lookback_scan_determinismE0ELb1ES3_N6thrust23THRUST_200600_302600_NS6detail15normal_iteratorINS9_10device_ptrIiEEEENSB_INSC_IfEEEESG_fNS9_4plusIvEENS9_8equal_toIvEEfEE10hipError_tPvRmT2_T3_T4_T5_mT6_T7_P12ihipStream_tbENKUlT_T0_E_clISt17integral_constantIbLb1EES10_IbLb0EEEEDaSW_SX_EUlSW_E_NS1_11comp_targetILNS1_3genE10ELNS1_11target_archE1200ELNS1_3gpuE4ELNS1_3repE0EEENS1_30default_config_static_selectorELNS0_4arch9wavefront6targetE0EEEvT1_.num_agpr, 0
	.set _ZN7rocprim17ROCPRIM_400000_NS6detail17trampoline_kernelINS0_14default_configENS1_27scan_by_key_config_selectorIifEEZZNS1_16scan_by_key_implILNS1_25lookback_scan_determinismE0ELb1ES3_N6thrust23THRUST_200600_302600_NS6detail15normal_iteratorINS9_10device_ptrIiEEEENSB_INSC_IfEEEESG_fNS9_4plusIvEENS9_8equal_toIvEEfEE10hipError_tPvRmT2_T3_T4_T5_mT6_T7_P12ihipStream_tbENKUlT_T0_E_clISt17integral_constantIbLb1EES10_IbLb0EEEEDaSW_SX_EUlSW_E_NS1_11comp_targetILNS1_3genE10ELNS1_11target_archE1200ELNS1_3gpuE4ELNS1_3repE0EEENS1_30default_config_static_selectorELNS0_4arch9wavefront6targetE0EEEvT1_.numbered_sgpr, 0
	.set _ZN7rocprim17ROCPRIM_400000_NS6detail17trampoline_kernelINS0_14default_configENS1_27scan_by_key_config_selectorIifEEZZNS1_16scan_by_key_implILNS1_25lookback_scan_determinismE0ELb1ES3_N6thrust23THRUST_200600_302600_NS6detail15normal_iteratorINS9_10device_ptrIiEEEENSB_INSC_IfEEEESG_fNS9_4plusIvEENS9_8equal_toIvEEfEE10hipError_tPvRmT2_T3_T4_T5_mT6_T7_P12ihipStream_tbENKUlT_T0_E_clISt17integral_constantIbLb1EES10_IbLb0EEEEDaSW_SX_EUlSW_E_NS1_11comp_targetILNS1_3genE10ELNS1_11target_archE1200ELNS1_3gpuE4ELNS1_3repE0EEENS1_30default_config_static_selectorELNS0_4arch9wavefront6targetE0EEEvT1_.num_named_barrier, 0
	.set _ZN7rocprim17ROCPRIM_400000_NS6detail17trampoline_kernelINS0_14default_configENS1_27scan_by_key_config_selectorIifEEZZNS1_16scan_by_key_implILNS1_25lookback_scan_determinismE0ELb1ES3_N6thrust23THRUST_200600_302600_NS6detail15normal_iteratorINS9_10device_ptrIiEEEENSB_INSC_IfEEEESG_fNS9_4plusIvEENS9_8equal_toIvEEfEE10hipError_tPvRmT2_T3_T4_T5_mT6_T7_P12ihipStream_tbENKUlT_T0_E_clISt17integral_constantIbLb1EES10_IbLb0EEEEDaSW_SX_EUlSW_E_NS1_11comp_targetILNS1_3genE10ELNS1_11target_archE1200ELNS1_3gpuE4ELNS1_3repE0EEENS1_30default_config_static_selectorELNS0_4arch9wavefront6targetE0EEEvT1_.private_seg_size, 0
	.set _ZN7rocprim17ROCPRIM_400000_NS6detail17trampoline_kernelINS0_14default_configENS1_27scan_by_key_config_selectorIifEEZZNS1_16scan_by_key_implILNS1_25lookback_scan_determinismE0ELb1ES3_N6thrust23THRUST_200600_302600_NS6detail15normal_iteratorINS9_10device_ptrIiEEEENSB_INSC_IfEEEESG_fNS9_4plusIvEENS9_8equal_toIvEEfEE10hipError_tPvRmT2_T3_T4_T5_mT6_T7_P12ihipStream_tbENKUlT_T0_E_clISt17integral_constantIbLb1EES10_IbLb0EEEEDaSW_SX_EUlSW_E_NS1_11comp_targetILNS1_3genE10ELNS1_11target_archE1200ELNS1_3gpuE4ELNS1_3repE0EEENS1_30default_config_static_selectorELNS0_4arch9wavefront6targetE0EEEvT1_.uses_vcc, 0
	.set _ZN7rocprim17ROCPRIM_400000_NS6detail17trampoline_kernelINS0_14default_configENS1_27scan_by_key_config_selectorIifEEZZNS1_16scan_by_key_implILNS1_25lookback_scan_determinismE0ELb1ES3_N6thrust23THRUST_200600_302600_NS6detail15normal_iteratorINS9_10device_ptrIiEEEENSB_INSC_IfEEEESG_fNS9_4plusIvEENS9_8equal_toIvEEfEE10hipError_tPvRmT2_T3_T4_T5_mT6_T7_P12ihipStream_tbENKUlT_T0_E_clISt17integral_constantIbLb1EES10_IbLb0EEEEDaSW_SX_EUlSW_E_NS1_11comp_targetILNS1_3genE10ELNS1_11target_archE1200ELNS1_3gpuE4ELNS1_3repE0EEENS1_30default_config_static_selectorELNS0_4arch9wavefront6targetE0EEEvT1_.uses_flat_scratch, 0
	.set _ZN7rocprim17ROCPRIM_400000_NS6detail17trampoline_kernelINS0_14default_configENS1_27scan_by_key_config_selectorIifEEZZNS1_16scan_by_key_implILNS1_25lookback_scan_determinismE0ELb1ES3_N6thrust23THRUST_200600_302600_NS6detail15normal_iteratorINS9_10device_ptrIiEEEENSB_INSC_IfEEEESG_fNS9_4plusIvEENS9_8equal_toIvEEfEE10hipError_tPvRmT2_T3_T4_T5_mT6_T7_P12ihipStream_tbENKUlT_T0_E_clISt17integral_constantIbLb1EES10_IbLb0EEEEDaSW_SX_EUlSW_E_NS1_11comp_targetILNS1_3genE10ELNS1_11target_archE1200ELNS1_3gpuE4ELNS1_3repE0EEENS1_30default_config_static_selectorELNS0_4arch9wavefront6targetE0EEEvT1_.has_dyn_sized_stack, 0
	.set _ZN7rocprim17ROCPRIM_400000_NS6detail17trampoline_kernelINS0_14default_configENS1_27scan_by_key_config_selectorIifEEZZNS1_16scan_by_key_implILNS1_25lookback_scan_determinismE0ELb1ES3_N6thrust23THRUST_200600_302600_NS6detail15normal_iteratorINS9_10device_ptrIiEEEENSB_INSC_IfEEEESG_fNS9_4plusIvEENS9_8equal_toIvEEfEE10hipError_tPvRmT2_T3_T4_T5_mT6_T7_P12ihipStream_tbENKUlT_T0_E_clISt17integral_constantIbLb1EES10_IbLb0EEEEDaSW_SX_EUlSW_E_NS1_11comp_targetILNS1_3genE10ELNS1_11target_archE1200ELNS1_3gpuE4ELNS1_3repE0EEENS1_30default_config_static_selectorELNS0_4arch9wavefront6targetE0EEEvT1_.has_recursion, 0
	.set _ZN7rocprim17ROCPRIM_400000_NS6detail17trampoline_kernelINS0_14default_configENS1_27scan_by_key_config_selectorIifEEZZNS1_16scan_by_key_implILNS1_25lookback_scan_determinismE0ELb1ES3_N6thrust23THRUST_200600_302600_NS6detail15normal_iteratorINS9_10device_ptrIiEEEENSB_INSC_IfEEEESG_fNS9_4plusIvEENS9_8equal_toIvEEfEE10hipError_tPvRmT2_T3_T4_T5_mT6_T7_P12ihipStream_tbENKUlT_T0_E_clISt17integral_constantIbLb1EES10_IbLb0EEEEDaSW_SX_EUlSW_E_NS1_11comp_targetILNS1_3genE10ELNS1_11target_archE1200ELNS1_3gpuE4ELNS1_3repE0EEENS1_30default_config_static_selectorELNS0_4arch9wavefront6targetE0EEEvT1_.has_indirect_call, 0
	.section	.AMDGPU.csdata,"",@progbits
; Kernel info:
; codeLenInByte = 0
; TotalNumSgprs: 0
; NumVgprs: 0
; ScratchSize: 0
; MemoryBound: 0
; FloatMode: 240
; IeeeMode: 1
; LDSByteSize: 0 bytes/workgroup (compile time only)
; SGPRBlocks: 0
; VGPRBlocks: 0
; NumSGPRsForWavesPerEU: 1
; NumVGPRsForWavesPerEU: 1
; NamedBarCnt: 0
; Occupancy: 16
; WaveLimiterHint : 0
; COMPUTE_PGM_RSRC2:SCRATCH_EN: 0
; COMPUTE_PGM_RSRC2:USER_SGPR: 2
; COMPUTE_PGM_RSRC2:TRAP_HANDLER: 0
; COMPUTE_PGM_RSRC2:TGID_X_EN: 1
; COMPUTE_PGM_RSRC2:TGID_Y_EN: 0
; COMPUTE_PGM_RSRC2:TGID_Z_EN: 0
; COMPUTE_PGM_RSRC2:TIDIG_COMP_CNT: 0
	.section	.text._ZN7rocprim17ROCPRIM_400000_NS6detail17trampoline_kernelINS0_14default_configENS1_27scan_by_key_config_selectorIifEEZZNS1_16scan_by_key_implILNS1_25lookback_scan_determinismE0ELb1ES3_N6thrust23THRUST_200600_302600_NS6detail15normal_iteratorINS9_10device_ptrIiEEEENSB_INSC_IfEEEESG_fNS9_4plusIvEENS9_8equal_toIvEEfEE10hipError_tPvRmT2_T3_T4_T5_mT6_T7_P12ihipStream_tbENKUlT_T0_E_clISt17integral_constantIbLb1EES10_IbLb0EEEEDaSW_SX_EUlSW_E_NS1_11comp_targetILNS1_3genE9ELNS1_11target_archE1100ELNS1_3gpuE3ELNS1_3repE0EEENS1_30default_config_static_selectorELNS0_4arch9wavefront6targetE0EEEvT1_,"axG",@progbits,_ZN7rocprim17ROCPRIM_400000_NS6detail17trampoline_kernelINS0_14default_configENS1_27scan_by_key_config_selectorIifEEZZNS1_16scan_by_key_implILNS1_25lookback_scan_determinismE0ELb1ES3_N6thrust23THRUST_200600_302600_NS6detail15normal_iteratorINS9_10device_ptrIiEEEENSB_INSC_IfEEEESG_fNS9_4plusIvEENS9_8equal_toIvEEfEE10hipError_tPvRmT2_T3_T4_T5_mT6_T7_P12ihipStream_tbENKUlT_T0_E_clISt17integral_constantIbLb1EES10_IbLb0EEEEDaSW_SX_EUlSW_E_NS1_11comp_targetILNS1_3genE9ELNS1_11target_archE1100ELNS1_3gpuE3ELNS1_3repE0EEENS1_30default_config_static_selectorELNS0_4arch9wavefront6targetE0EEEvT1_,comdat
	.protected	_ZN7rocprim17ROCPRIM_400000_NS6detail17trampoline_kernelINS0_14default_configENS1_27scan_by_key_config_selectorIifEEZZNS1_16scan_by_key_implILNS1_25lookback_scan_determinismE0ELb1ES3_N6thrust23THRUST_200600_302600_NS6detail15normal_iteratorINS9_10device_ptrIiEEEENSB_INSC_IfEEEESG_fNS9_4plusIvEENS9_8equal_toIvEEfEE10hipError_tPvRmT2_T3_T4_T5_mT6_T7_P12ihipStream_tbENKUlT_T0_E_clISt17integral_constantIbLb1EES10_IbLb0EEEEDaSW_SX_EUlSW_E_NS1_11comp_targetILNS1_3genE9ELNS1_11target_archE1100ELNS1_3gpuE3ELNS1_3repE0EEENS1_30default_config_static_selectorELNS0_4arch9wavefront6targetE0EEEvT1_ ; -- Begin function _ZN7rocprim17ROCPRIM_400000_NS6detail17trampoline_kernelINS0_14default_configENS1_27scan_by_key_config_selectorIifEEZZNS1_16scan_by_key_implILNS1_25lookback_scan_determinismE0ELb1ES3_N6thrust23THRUST_200600_302600_NS6detail15normal_iteratorINS9_10device_ptrIiEEEENSB_INSC_IfEEEESG_fNS9_4plusIvEENS9_8equal_toIvEEfEE10hipError_tPvRmT2_T3_T4_T5_mT6_T7_P12ihipStream_tbENKUlT_T0_E_clISt17integral_constantIbLb1EES10_IbLb0EEEEDaSW_SX_EUlSW_E_NS1_11comp_targetILNS1_3genE9ELNS1_11target_archE1100ELNS1_3gpuE3ELNS1_3repE0EEENS1_30default_config_static_selectorELNS0_4arch9wavefront6targetE0EEEvT1_
	.globl	_ZN7rocprim17ROCPRIM_400000_NS6detail17trampoline_kernelINS0_14default_configENS1_27scan_by_key_config_selectorIifEEZZNS1_16scan_by_key_implILNS1_25lookback_scan_determinismE0ELb1ES3_N6thrust23THRUST_200600_302600_NS6detail15normal_iteratorINS9_10device_ptrIiEEEENSB_INSC_IfEEEESG_fNS9_4plusIvEENS9_8equal_toIvEEfEE10hipError_tPvRmT2_T3_T4_T5_mT6_T7_P12ihipStream_tbENKUlT_T0_E_clISt17integral_constantIbLb1EES10_IbLb0EEEEDaSW_SX_EUlSW_E_NS1_11comp_targetILNS1_3genE9ELNS1_11target_archE1100ELNS1_3gpuE3ELNS1_3repE0EEENS1_30default_config_static_selectorELNS0_4arch9wavefront6targetE0EEEvT1_
	.p2align	8
	.type	_ZN7rocprim17ROCPRIM_400000_NS6detail17trampoline_kernelINS0_14default_configENS1_27scan_by_key_config_selectorIifEEZZNS1_16scan_by_key_implILNS1_25lookback_scan_determinismE0ELb1ES3_N6thrust23THRUST_200600_302600_NS6detail15normal_iteratorINS9_10device_ptrIiEEEENSB_INSC_IfEEEESG_fNS9_4plusIvEENS9_8equal_toIvEEfEE10hipError_tPvRmT2_T3_T4_T5_mT6_T7_P12ihipStream_tbENKUlT_T0_E_clISt17integral_constantIbLb1EES10_IbLb0EEEEDaSW_SX_EUlSW_E_NS1_11comp_targetILNS1_3genE9ELNS1_11target_archE1100ELNS1_3gpuE3ELNS1_3repE0EEENS1_30default_config_static_selectorELNS0_4arch9wavefront6targetE0EEEvT1_,@function
_ZN7rocprim17ROCPRIM_400000_NS6detail17trampoline_kernelINS0_14default_configENS1_27scan_by_key_config_selectorIifEEZZNS1_16scan_by_key_implILNS1_25lookback_scan_determinismE0ELb1ES3_N6thrust23THRUST_200600_302600_NS6detail15normal_iteratorINS9_10device_ptrIiEEEENSB_INSC_IfEEEESG_fNS9_4plusIvEENS9_8equal_toIvEEfEE10hipError_tPvRmT2_T3_T4_T5_mT6_T7_P12ihipStream_tbENKUlT_T0_E_clISt17integral_constantIbLb1EES10_IbLb0EEEEDaSW_SX_EUlSW_E_NS1_11comp_targetILNS1_3genE9ELNS1_11target_archE1100ELNS1_3gpuE3ELNS1_3repE0EEENS1_30default_config_static_selectorELNS0_4arch9wavefront6targetE0EEEvT1_: ; @_ZN7rocprim17ROCPRIM_400000_NS6detail17trampoline_kernelINS0_14default_configENS1_27scan_by_key_config_selectorIifEEZZNS1_16scan_by_key_implILNS1_25lookback_scan_determinismE0ELb1ES3_N6thrust23THRUST_200600_302600_NS6detail15normal_iteratorINS9_10device_ptrIiEEEENSB_INSC_IfEEEESG_fNS9_4plusIvEENS9_8equal_toIvEEfEE10hipError_tPvRmT2_T3_T4_T5_mT6_T7_P12ihipStream_tbENKUlT_T0_E_clISt17integral_constantIbLb1EES10_IbLb0EEEEDaSW_SX_EUlSW_E_NS1_11comp_targetILNS1_3genE9ELNS1_11target_archE1100ELNS1_3gpuE3ELNS1_3repE0EEENS1_30default_config_static_selectorELNS0_4arch9wavefront6targetE0EEEvT1_
; %bb.0:
	.section	.rodata,"a",@progbits
	.p2align	6, 0x0
	.amdhsa_kernel _ZN7rocprim17ROCPRIM_400000_NS6detail17trampoline_kernelINS0_14default_configENS1_27scan_by_key_config_selectorIifEEZZNS1_16scan_by_key_implILNS1_25lookback_scan_determinismE0ELb1ES3_N6thrust23THRUST_200600_302600_NS6detail15normal_iteratorINS9_10device_ptrIiEEEENSB_INSC_IfEEEESG_fNS9_4plusIvEENS9_8equal_toIvEEfEE10hipError_tPvRmT2_T3_T4_T5_mT6_T7_P12ihipStream_tbENKUlT_T0_E_clISt17integral_constantIbLb1EES10_IbLb0EEEEDaSW_SX_EUlSW_E_NS1_11comp_targetILNS1_3genE9ELNS1_11target_archE1100ELNS1_3gpuE3ELNS1_3repE0EEENS1_30default_config_static_selectorELNS0_4arch9wavefront6targetE0EEEvT1_
		.amdhsa_group_segment_fixed_size 0
		.amdhsa_private_segment_fixed_size 0
		.amdhsa_kernarg_size 112
		.amdhsa_user_sgpr_count 2
		.amdhsa_user_sgpr_dispatch_ptr 0
		.amdhsa_user_sgpr_queue_ptr 0
		.amdhsa_user_sgpr_kernarg_segment_ptr 1
		.amdhsa_user_sgpr_dispatch_id 0
		.amdhsa_user_sgpr_kernarg_preload_length 0
		.amdhsa_user_sgpr_kernarg_preload_offset 0
		.amdhsa_user_sgpr_private_segment_size 0
		.amdhsa_wavefront_size32 1
		.amdhsa_uses_dynamic_stack 0
		.amdhsa_enable_private_segment 0
		.amdhsa_system_sgpr_workgroup_id_x 1
		.amdhsa_system_sgpr_workgroup_id_y 0
		.amdhsa_system_sgpr_workgroup_id_z 0
		.amdhsa_system_sgpr_workgroup_info 0
		.amdhsa_system_vgpr_workitem_id 0
		.amdhsa_next_free_vgpr 1
		.amdhsa_next_free_sgpr 1
		.amdhsa_named_barrier_count 0
		.amdhsa_reserve_vcc 0
		.amdhsa_float_round_mode_32 0
		.amdhsa_float_round_mode_16_64 0
		.amdhsa_float_denorm_mode_32 3
		.amdhsa_float_denorm_mode_16_64 3
		.amdhsa_fp16_overflow 0
		.amdhsa_memory_ordered 1
		.amdhsa_forward_progress 1
		.amdhsa_inst_pref_size 0
		.amdhsa_round_robin_scheduling 0
		.amdhsa_exception_fp_ieee_invalid_op 0
		.amdhsa_exception_fp_denorm_src 0
		.amdhsa_exception_fp_ieee_div_zero 0
		.amdhsa_exception_fp_ieee_overflow 0
		.amdhsa_exception_fp_ieee_underflow 0
		.amdhsa_exception_fp_ieee_inexact 0
		.amdhsa_exception_int_div_zero 0
	.end_amdhsa_kernel
	.section	.text._ZN7rocprim17ROCPRIM_400000_NS6detail17trampoline_kernelINS0_14default_configENS1_27scan_by_key_config_selectorIifEEZZNS1_16scan_by_key_implILNS1_25lookback_scan_determinismE0ELb1ES3_N6thrust23THRUST_200600_302600_NS6detail15normal_iteratorINS9_10device_ptrIiEEEENSB_INSC_IfEEEESG_fNS9_4plusIvEENS9_8equal_toIvEEfEE10hipError_tPvRmT2_T3_T4_T5_mT6_T7_P12ihipStream_tbENKUlT_T0_E_clISt17integral_constantIbLb1EES10_IbLb0EEEEDaSW_SX_EUlSW_E_NS1_11comp_targetILNS1_3genE9ELNS1_11target_archE1100ELNS1_3gpuE3ELNS1_3repE0EEENS1_30default_config_static_selectorELNS0_4arch9wavefront6targetE0EEEvT1_,"axG",@progbits,_ZN7rocprim17ROCPRIM_400000_NS6detail17trampoline_kernelINS0_14default_configENS1_27scan_by_key_config_selectorIifEEZZNS1_16scan_by_key_implILNS1_25lookback_scan_determinismE0ELb1ES3_N6thrust23THRUST_200600_302600_NS6detail15normal_iteratorINS9_10device_ptrIiEEEENSB_INSC_IfEEEESG_fNS9_4plusIvEENS9_8equal_toIvEEfEE10hipError_tPvRmT2_T3_T4_T5_mT6_T7_P12ihipStream_tbENKUlT_T0_E_clISt17integral_constantIbLb1EES10_IbLb0EEEEDaSW_SX_EUlSW_E_NS1_11comp_targetILNS1_3genE9ELNS1_11target_archE1100ELNS1_3gpuE3ELNS1_3repE0EEENS1_30default_config_static_selectorELNS0_4arch9wavefront6targetE0EEEvT1_,comdat
.Lfunc_end1452:
	.size	_ZN7rocprim17ROCPRIM_400000_NS6detail17trampoline_kernelINS0_14default_configENS1_27scan_by_key_config_selectorIifEEZZNS1_16scan_by_key_implILNS1_25lookback_scan_determinismE0ELb1ES3_N6thrust23THRUST_200600_302600_NS6detail15normal_iteratorINS9_10device_ptrIiEEEENSB_INSC_IfEEEESG_fNS9_4plusIvEENS9_8equal_toIvEEfEE10hipError_tPvRmT2_T3_T4_T5_mT6_T7_P12ihipStream_tbENKUlT_T0_E_clISt17integral_constantIbLb1EES10_IbLb0EEEEDaSW_SX_EUlSW_E_NS1_11comp_targetILNS1_3genE9ELNS1_11target_archE1100ELNS1_3gpuE3ELNS1_3repE0EEENS1_30default_config_static_selectorELNS0_4arch9wavefront6targetE0EEEvT1_, .Lfunc_end1452-_ZN7rocprim17ROCPRIM_400000_NS6detail17trampoline_kernelINS0_14default_configENS1_27scan_by_key_config_selectorIifEEZZNS1_16scan_by_key_implILNS1_25lookback_scan_determinismE0ELb1ES3_N6thrust23THRUST_200600_302600_NS6detail15normal_iteratorINS9_10device_ptrIiEEEENSB_INSC_IfEEEESG_fNS9_4plusIvEENS9_8equal_toIvEEfEE10hipError_tPvRmT2_T3_T4_T5_mT6_T7_P12ihipStream_tbENKUlT_T0_E_clISt17integral_constantIbLb1EES10_IbLb0EEEEDaSW_SX_EUlSW_E_NS1_11comp_targetILNS1_3genE9ELNS1_11target_archE1100ELNS1_3gpuE3ELNS1_3repE0EEENS1_30default_config_static_selectorELNS0_4arch9wavefront6targetE0EEEvT1_
                                        ; -- End function
	.set _ZN7rocprim17ROCPRIM_400000_NS6detail17trampoline_kernelINS0_14default_configENS1_27scan_by_key_config_selectorIifEEZZNS1_16scan_by_key_implILNS1_25lookback_scan_determinismE0ELb1ES3_N6thrust23THRUST_200600_302600_NS6detail15normal_iteratorINS9_10device_ptrIiEEEENSB_INSC_IfEEEESG_fNS9_4plusIvEENS9_8equal_toIvEEfEE10hipError_tPvRmT2_T3_T4_T5_mT6_T7_P12ihipStream_tbENKUlT_T0_E_clISt17integral_constantIbLb1EES10_IbLb0EEEEDaSW_SX_EUlSW_E_NS1_11comp_targetILNS1_3genE9ELNS1_11target_archE1100ELNS1_3gpuE3ELNS1_3repE0EEENS1_30default_config_static_selectorELNS0_4arch9wavefront6targetE0EEEvT1_.num_vgpr, 0
	.set _ZN7rocprim17ROCPRIM_400000_NS6detail17trampoline_kernelINS0_14default_configENS1_27scan_by_key_config_selectorIifEEZZNS1_16scan_by_key_implILNS1_25lookback_scan_determinismE0ELb1ES3_N6thrust23THRUST_200600_302600_NS6detail15normal_iteratorINS9_10device_ptrIiEEEENSB_INSC_IfEEEESG_fNS9_4plusIvEENS9_8equal_toIvEEfEE10hipError_tPvRmT2_T3_T4_T5_mT6_T7_P12ihipStream_tbENKUlT_T0_E_clISt17integral_constantIbLb1EES10_IbLb0EEEEDaSW_SX_EUlSW_E_NS1_11comp_targetILNS1_3genE9ELNS1_11target_archE1100ELNS1_3gpuE3ELNS1_3repE0EEENS1_30default_config_static_selectorELNS0_4arch9wavefront6targetE0EEEvT1_.num_agpr, 0
	.set _ZN7rocprim17ROCPRIM_400000_NS6detail17trampoline_kernelINS0_14default_configENS1_27scan_by_key_config_selectorIifEEZZNS1_16scan_by_key_implILNS1_25lookback_scan_determinismE0ELb1ES3_N6thrust23THRUST_200600_302600_NS6detail15normal_iteratorINS9_10device_ptrIiEEEENSB_INSC_IfEEEESG_fNS9_4plusIvEENS9_8equal_toIvEEfEE10hipError_tPvRmT2_T3_T4_T5_mT6_T7_P12ihipStream_tbENKUlT_T0_E_clISt17integral_constantIbLb1EES10_IbLb0EEEEDaSW_SX_EUlSW_E_NS1_11comp_targetILNS1_3genE9ELNS1_11target_archE1100ELNS1_3gpuE3ELNS1_3repE0EEENS1_30default_config_static_selectorELNS0_4arch9wavefront6targetE0EEEvT1_.numbered_sgpr, 0
	.set _ZN7rocprim17ROCPRIM_400000_NS6detail17trampoline_kernelINS0_14default_configENS1_27scan_by_key_config_selectorIifEEZZNS1_16scan_by_key_implILNS1_25lookback_scan_determinismE0ELb1ES3_N6thrust23THRUST_200600_302600_NS6detail15normal_iteratorINS9_10device_ptrIiEEEENSB_INSC_IfEEEESG_fNS9_4plusIvEENS9_8equal_toIvEEfEE10hipError_tPvRmT2_T3_T4_T5_mT6_T7_P12ihipStream_tbENKUlT_T0_E_clISt17integral_constantIbLb1EES10_IbLb0EEEEDaSW_SX_EUlSW_E_NS1_11comp_targetILNS1_3genE9ELNS1_11target_archE1100ELNS1_3gpuE3ELNS1_3repE0EEENS1_30default_config_static_selectorELNS0_4arch9wavefront6targetE0EEEvT1_.num_named_barrier, 0
	.set _ZN7rocprim17ROCPRIM_400000_NS6detail17trampoline_kernelINS0_14default_configENS1_27scan_by_key_config_selectorIifEEZZNS1_16scan_by_key_implILNS1_25lookback_scan_determinismE0ELb1ES3_N6thrust23THRUST_200600_302600_NS6detail15normal_iteratorINS9_10device_ptrIiEEEENSB_INSC_IfEEEESG_fNS9_4plusIvEENS9_8equal_toIvEEfEE10hipError_tPvRmT2_T3_T4_T5_mT6_T7_P12ihipStream_tbENKUlT_T0_E_clISt17integral_constantIbLb1EES10_IbLb0EEEEDaSW_SX_EUlSW_E_NS1_11comp_targetILNS1_3genE9ELNS1_11target_archE1100ELNS1_3gpuE3ELNS1_3repE0EEENS1_30default_config_static_selectorELNS0_4arch9wavefront6targetE0EEEvT1_.private_seg_size, 0
	.set _ZN7rocprim17ROCPRIM_400000_NS6detail17trampoline_kernelINS0_14default_configENS1_27scan_by_key_config_selectorIifEEZZNS1_16scan_by_key_implILNS1_25lookback_scan_determinismE0ELb1ES3_N6thrust23THRUST_200600_302600_NS6detail15normal_iteratorINS9_10device_ptrIiEEEENSB_INSC_IfEEEESG_fNS9_4plusIvEENS9_8equal_toIvEEfEE10hipError_tPvRmT2_T3_T4_T5_mT6_T7_P12ihipStream_tbENKUlT_T0_E_clISt17integral_constantIbLb1EES10_IbLb0EEEEDaSW_SX_EUlSW_E_NS1_11comp_targetILNS1_3genE9ELNS1_11target_archE1100ELNS1_3gpuE3ELNS1_3repE0EEENS1_30default_config_static_selectorELNS0_4arch9wavefront6targetE0EEEvT1_.uses_vcc, 0
	.set _ZN7rocprim17ROCPRIM_400000_NS6detail17trampoline_kernelINS0_14default_configENS1_27scan_by_key_config_selectorIifEEZZNS1_16scan_by_key_implILNS1_25lookback_scan_determinismE0ELb1ES3_N6thrust23THRUST_200600_302600_NS6detail15normal_iteratorINS9_10device_ptrIiEEEENSB_INSC_IfEEEESG_fNS9_4plusIvEENS9_8equal_toIvEEfEE10hipError_tPvRmT2_T3_T4_T5_mT6_T7_P12ihipStream_tbENKUlT_T0_E_clISt17integral_constantIbLb1EES10_IbLb0EEEEDaSW_SX_EUlSW_E_NS1_11comp_targetILNS1_3genE9ELNS1_11target_archE1100ELNS1_3gpuE3ELNS1_3repE0EEENS1_30default_config_static_selectorELNS0_4arch9wavefront6targetE0EEEvT1_.uses_flat_scratch, 0
	.set _ZN7rocprim17ROCPRIM_400000_NS6detail17trampoline_kernelINS0_14default_configENS1_27scan_by_key_config_selectorIifEEZZNS1_16scan_by_key_implILNS1_25lookback_scan_determinismE0ELb1ES3_N6thrust23THRUST_200600_302600_NS6detail15normal_iteratorINS9_10device_ptrIiEEEENSB_INSC_IfEEEESG_fNS9_4plusIvEENS9_8equal_toIvEEfEE10hipError_tPvRmT2_T3_T4_T5_mT6_T7_P12ihipStream_tbENKUlT_T0_E_clISt17integral_constantIbLb1EES10_IbLb0EEEEDaSW_SX_EUlSW_E_NS1_11comp_targetILNS1_3genE9ELNS1_11target_archE1100ELNS1_3gpuE3ELNS1_3repE0EEENS1_30default_config_static_selectorELNS0_4arch9wavefront6targetE0EEEvT1_.has_dyn_sized_stack, 0
	.set _ZN7rocprim17ROCPRIM_400000_NS6detail17trampoline_kernelINS0_14default_configENS1_27scan_by_key_config_selectorIifEEZZNS1_16scan_by_key_implILNS1_25lookback_scan_determinismE0ELb1ES3_N6thrust23THRUST_200600_302600_NS6detail15normal_iteratorINS9_10device_ptrIiEEEENSB_INSC_IfEEEESG_fNS9_4plusIvEENS9_8equal_toIvEEfEE10hipError_tPvRmT2_T3_T4_T5_mT6_T7_P12ihipStream_tbENKUlT_T0_E_clISt17integral_constantIbLb1EES10_IbLb0EEEEDaSW_SX_EUlSW_E_NS1_11comp_targetILNS1_3genE9ELNS1_11target_archE1100ELNS1_3gpuE3ELNS1_3repE0EEENS1_30default_config_static_selectorELNS0_4arch9wavefront6targetE0EEEvT1_.has_recursion, 0
	.set _ZN7rocprim17ROCPRIM_400000_NS6detail17trampoline_kernelINS0_14default_configENS1_27scan_by_key_config_selectorIifEEZZNS1_16scan_by_key_implILNS1_25lookback_scan_determinismE0ELb1ES3_N6thrust23THRUST_200600_302600_NS6detail15normal_iteratorINS9_10device_ptrIiEEEENSB_INSC_IfEEEESG_fNS9_4plusIvEENS9_8equal_toIvEEfEE10hipError_tPvRmT2_T3_T4_T5_mT6_T7_P12ihipStream_tbENKUlT_T0_E_clISt17integral_constantIbLb1EES10_IbLb0EEEEDaSW_SX_EUlSW_E_NS1_11comp_targetILNS1_3genE9ELNS1_11target_archE1100ELNS1_3gpuE3ELNS1_3repE0EEENS1_30default_config_static_selectorELNS0_4arch9wavefront6targetE0EEEvT1_.has_indirect_call, 0
	.section	.AMDGPU.csdata,"",@progbits
; Kernel info:
; codeLenInByte = 0
; TotalNumSgprs: 0
; NumVgprs: 0
; ScratchSize: 0
; MemoryBound: 0
; FloatMode: 240
; IeeeMode: 1
; LDSByteSize: 0 bytes/workgroup (compile time only)
; SGPRBlocks: 0
; VGPRBlocks: 0
; NumSGPRsForWavesPerEU: 1
; NumVGPRsForWavesPerEU: 1
; NamedBarCnt: 0
; Occupancy: 16
; WaveLimiterHint : 0
; COMPUTE_PGM_RSRC2:SCRATCH_EN: 0
; COMPUTE_PGM_RSRC2:USER_SGPR: 2
; COMPUTE_PGM_RSRC2:TRAP_HANDLER: 0
; COMPUTE_PGM_RSRC2:TGID_X_EN: 1
; COMPUTE_PGM_RSRC2:TGID_Y_EN: 0
; COMPUTE_PGM_RSRC2:TGID_Z_EN: 0
; COMPUTE_PGM_RSRC2:TIDIG_COMP_CNT: 0
	.section	.text._ZN7rocprim17ROCPRIM_400000_NS6detail17trampoline_kernelINS0_14default_configENS1_27scan_by_key_config_selectorIifEEZZNS1_16scan_by_key_implILNS1_25lookback_scan_determinismE0ELb1ES3_N6thrust23THRUST_200600_302600_NS6detail15normal_iteratorINS9_10device_ptrIiEEEENSB_INSC_IfEEEESG_fNS9_4plusIvEENS9_8equal_toIvEEfEE10hipError_tPvRmT2_T3_T4_T5_mT6_T7_P12ihipStream_tbENKUlT_T0_E_clISt17integral_constantIbLb1EES10_IbLb0EEEEDaSW_SX_EUlSW_E_NS1_11comp_targetILNS1_3genE8ELNS1_11target_archE1030ELNS1_3gpuE2ELNS1_3repE0EEENS1_30default_config_static_selectorELNS0_4arch9wavefront6targetE0EEEvT1_,"axG",@progbits,_ZN7rocprim17ROCPRIM_400000_NS6detail17trampoline_kernelINS0_14default_configENS1_27scan_by_key_config_selectorIifEEZZNS1_16scan_by_key_implILNS1_25lookback_scan_determinismE0ELb1ES3_N6thrust23THRUST_200600_302600_NS6detail15normal_iteratorINS9_10device_ptrIiEEEENSB_INSC_IfEEEESG_fNS9_4plusIvEENS9_8equal_toIvEEfEE10hipError_tPvRmT2_T3_T4_T5_mT6_T7_P12ihipStream_tbENKUlT_T0_E_clISt17integral_constantIbLb1EES10_IbLb0EEEEDaSW_SX_EUlSW_E_NS1_11comp_targetILNS1_3genE8ELNS1_11target_archE1030ELNS1_3gpuE2ELNS1_3repE0EEENS1_30default_config_static_selectorELNS0_4arch9wavefront6targetE0EEEvT1_,comdat
	.protected	_ZN7rocprim17ROCPRIM_400000_NS6detail17trampoline_kernelINS0_14default_configENS1_27scan_by_key_config_selectorIifEEZZNS1_16scan_by_key_implILNS1_25lookback_scan_determinismE0ELb1ES3_N6thrust23THRUST_200600_302600_NS6detail15normal_iteratorINS9_10device_ptrIiEEEENSB_INSC_IfEEEESG_fNS9_4plusIvEENS9_8equal_toIvEEfEE10hipError_tPvRmT2_T3_T4_T5_mT6_T7_P12ihipStream_tbENKUlT_T0_E_clISt17integral_constantIbLb1EES10_IbLb0EEEEDaSW_SX_EUlSW_E_NS1_11comp_targetILNS1_3genE8ELNS1_11target_archE1030ELNS1_3gpuE2ELNS1_3repE0EEENS1_30default_config_static_selectorELNS0_4arch9wavefront6targetE0EEEvT1_ ; -- Begin function _ZN7rocprim17ROCPRIM_400000_NS6detail17trampoline_kernelINS0_14default_configENS1_27scan_by_key_config_selectorIifEEZZNS1_16scan_by_key_implILNS1_25lookback_scan_determinismE0ELb1ES3_N6thrust23THRUST_200600_302600_NS6detail15normal_iteratorINS9_10device_ptrIiEEEENSB_INSC_IfEEEESG_fNS9_4plusIvEENS9_8equal_toIvEEfEE10hipError_tPvRmT2_T3_T4_T5_mT6_T7_P12ihipStream_tbENKUlT_T0_E_clISt17integral_constantIbLb1EES10_IbLb0EEEEDaSW_SX_EUlSW_E_NS1_11comp_targetILNS1_3genE8ELNS1_11target_archE1030ELNS1_3gpuE2ELNS1_3repE0EEENS1_30default_config_static_selectorELNS0_4arch9wavefront6targetE0EEEvT1_
	.globl	_ZN7rocprim17ROCPRIM_400000_NS6detail17trampoline_kernelINS0_14default_configENS1_27scan_by_key_config_selectorIifEEZZNS1_16scan_by_key_implILNS1_25lookback_scan_determinismE0ELb1ES3_N6thrust23THRUST_200600_302600_NS6detail15normal_iteratorINS9_10device_ptrIiEEEENSB_INSC_IfEEEESG_fNS9_4plusIvEENS9_8equal_toIvEEfEE10hipError_tPvRmT2_T3_T4_T5_mT6_T7_P12ihipStream_tbENKUlT_T0_E_clISt17integral_constantIbLb1EES10_IbLb0EEEEDaSW_SX_EUlSW_E_NS1_11comp_targetILNS1_3genE8ELNS1_11target_archE1030ELNS1_3gpuE2ELNS1_3repE0EEENS1_30default_config_static_selectorELNS0_4arch9wavefront6targetE0EEEvT1_
	.p2align	8
	.type	_ZN7rocprim17ROCPRIM_400000_NS6detail17trampoline_kernelINS0_14default_configENS1_27scan_by_key_config_selectorIifEEZZNS1_16scan_by_key_implILNS1_25lookback_scan_determinismE0ELb1ES3_N6thrust23THRUST_200600_302600_NS6detail15normal_iteratorINS9_10device_ptrIiEEEENSB_INSC_IfEEEESG_fNS9_4plusIvEENS9_8equal_toIvEEfEE10hipError_tPvRmT2_T3_T4_T5_mT6_T7_P12ihipStream_tbENKUlT_T0_E_clISt17integral_constantIbLb1EES10_IbLb0EEEEDaSW_SX_EUlSW_E_NS1_11comp_targetILNS1_3genE8ELNS1_11target_archE1030ELNS1_3gpuE2ELNS1_3repE0EEENS1_30default_config_static_selectorELNS0_4arch9wavefront6targetE0EEEvT1_,@function
_ZN7rocprim17ROCPRIM_400000_NS6detail17trampoline_kernelINS0_14default_configENS1_27scan_by_key_config_selectorIifEEZZNS1_16scan_by_key_implILNS1_25lookback_scan_determinismE0ELb1ES3_N6thrust23THRUST_200600_302600_NS6detail15normal_iteratorINS9_10device_ptrIiEEEENSB_INSC_IfEEEESG_fNS9_4plusIvEENS9_8equal_toIvEEfEE10hipError_tPvRmT2_T3_T4_T5_mT6_T7_P12ihipStream_tbENKUlT_T0_E_clISt17integral_constantIbLb1EES10_IbLb0EEEEDaSW_SX_EUlSW_E_NS1_11comp_targetILNS1_3genE8ELNS1_11target_archE1030ELNS1_3gpuE2ELNS1_3repE0EEENS1_30default_config_static_selectorELNS0_4arch9wavefront6targetE0EEEvT1_: ; @_ZN7rocprim17ROCPRIM_400000_NS6detail17trampoline_kernelINS0_14default_configENS1_27scan_by_key_config_selectorIifEEZZNS1_16scan_by_key_implILNS1_25lookback_scan_determinismE0ELb1ES3_N6thrust23THRUST_200600_302600_NS6detail15normal_iteratorINS9_10device_ptrIiEEEENSB_INSC_IfEEEESG_fNS9_4plusIvEENS9_8equal_toIvEEfEE10hipError_tPvRmT2_T3_T4_T5_mT6_T7_P12ihipStream_tbENKUlT_T0_E_clISt17integral_constantIbLb1EES10_IbLb0EEEEDaSW_SX_EUlSW_E_NS1_11comp_targetILNS1_3genE8ELNS1_11target_archE1030ELNS1_3gpuE2ELNS1_3repE0EEENS1_30default_config_static_selectorELNS0_4arch9wavefront6targetE0EEEvT1_
; %bb.0:
	.section	.rodata,"a",@progbits
	.p2align	6, 0x0
	.amdhsa_kernel _ZN7rocprim17ROCPRIM_400000_NS6detail17trampoline_kernelINS0_14default_configENS1_27scan_by_key_config_selectorIifEEZZNS1_16scan_by_key_implILNS1_25lookback_scan_determinismE0ELb1ES3_N6thrust23THRUST_200600_302600_NS6detail15normal_iteratorINS9_10device_ptrIiEEEENSB_INSC_IfEEEESG_fNS9_4plusIvEENS9_8equal_toIvEEfEE10hipError_tPvRmT2_T3_T4_T5_mT6_T7_P12ihipStream_tbENKUlT_T0_E_clISt17integral_constantIbLb1EES10_IbLb0EEEEDaSW_SX_EUlSW_E_NS1_11comp_targetILNS1_3genE8ELNS1_11target_archE1030ELNS1_3gpuE2ELNS1_3repE0EEENS1_30default_config_static_selectorELNS0_4arch9wavefront6targetE0EEEvT1_
		.amdhsa_group_segment_fixed_size 0
		.amdhsa_private_segment_fixed_size 0
		.amdhsa_kernarg_size 112
		.amdhsa_user_sgpr_count 2
		.amdhsa_user_sgpr_dispatch_ptr 0
		.amdhsa_user_sgpr_queue_ptr 0
		.amdhsa_user_sgpr_kernarg_segment_ptr 1
		.amdhsa_user_sgpr_dispatch_id 0
		.amdhsa_user_sgpr_kernarg_preload_length 0
		.amdhsa_user_sgpr_kernarg_preload_offset 0
		.amdhsa_user_sgpr_private_segment_size 0
		.amdhsa_wavefront_size32 1
		.amdhsa_uses_dynamic_stack 0
		.amdhsa_enable_private_segment 0
		.amdhsa_system_sgpr_workgroup_id_x 1
		.amdhsa_system_sgpr_workgroup_id_y 0
		.amdhsa_system_sgpr_workgroup_id_z 0
		.amdhsa_system_sgpr_workgroup_info 0
		.amdhsa_system_vgpr_workitem_id 0
		.amdhsa_next_free_vgpr 1
		.amdhsa_next_free_sgpr 1
		.amdhsa_named_barrier_count 0
		.amdhsa_reserve_vcc 0
		.amdhsa_float_round_mode_32 0
		.amdhsa_float_round_mode_16_64 0
		.amdhsa_float_denorm_mode_32 3
		.amdhsa_float_denorm_mode_16_64 3
		.amdhsa_fp16_overflow 0
		.amdhsa_memory_ordered 1
		.amdhsa_forward_progress 1
		.amdhsa_inst_pref_size 0
		.amdhsa_round_robin_scheduling 0
		.amdhsa_exception_fp_ieee_invalid_op 0
		.amdhsa_exception_fp_denorm_src 0
		.amdhsa_exception_fp_ieee_div_zero 0
		.amdhsa_exception_fp_ieee_overflow 0
		.amdhsa_exception_fp_ieee_underflow 0
		.amdhsa_exception_fp_ieee_inexact 0
		.amdhsa_exception_int_div_zero 0
	.end_amdhsa_kernel
	.section	.text._ZN7rocprim17ROCPRIM_400000_NS6detail17trampoline_kernelINS0_14default_configENS1_27scan_by_key_config_selectorIifEEZZNS1_16scan_by_key_implILNS1_25lookback_scan_determinismE0ELb1ES3_N6thrust23THRUST_200600_302600_NS6detail15normal_iteratorINS9_10device_ptrIiEEEENSB_INSC_IfEEEESG_fNS9_4plusIvEENS9_8equal_toIvEEfEE10hipError_tPvRmT2_T3_T4_T5_mT6_T7_P12ihipStream_tbENKUlT_T0_E_clISt17integral_constantIbLb1EES10_IbLb0EEEEDaSW_SX_EUlSW_E_NS1_11comp_targetILNS1_3genE8ELNS1_11target_archE1030ELNS1_3gpuE2ELNS1_3repE0EEENS1_30default_config_static_selectorELNS0_4arch9wavefront6targetE0EEEvT1_,"axG",@progbits,_ZN7rocprim17ROCPRIM_400000_NS6detail17trampoline_kernelINS0_14default_configENS1_27scan_by_key_config_selectorIifEEZZNS1_16scan_by_key_implILNS1_25lookback_scan_determinismE0ELb1ES3_N6thrust23THRUST_200600_302600_NS6detail15normal_iteratorINS9_10device_ptrIiEEEENSB_INSC_IfEEEESG_fNS9_4plusIvEENS9_8equal_toIvEEfEE10hipError_tPvRmT2_T3_T4_T5_mT6_T7_P12ihipStream_tbENKUlT_T0_E_clISt17integral_constantIbLb1EES10_IbLb0EEEEDaSW_SX_EUlSW_E_NS1_11comp_targetILNS1_3genE8ELNS1_11target_archE1030ELNS1_3gpuE2ELNS1_3repE0EEENS1_30default_config_static_selectorELNS0_4arch9wavefront6targetE0EEEvT1_,comdat
.Lfunc_end1453:
	.size	_ZN7rocprim17ROCPRIM_400000_NS6detail17trampoline_kernelINS0_14default_configENS1_27scan_by_key_config_selectorIifEEZZNS1_16scan_by_key_implILNS1_25lookback_scan_determinismE0ELb1ES3_N6thrust23THRUST_200600_302600_NS6detail15normal_iteratorINS9_10device_ptrIiEEEENSB_INSC_IfEEEESG_fNS9_4plusIvEENS9_8equal_toIvEEfEE10hipError_tPvRmT2_T3_T4_T5_mT6_T7_P12ihipStream_tbENKUlT_T0_E_clISt17integral_constantIbLb1EES10_IbLb0EEEEDaSW_SX_EUlSW_E_NS1_11comp_targetILNS1_3genE8ELNS1_11target_archE1030ELNS1_3gpuE2ELNS1_3repE0EEENS1_30default_config_static_selectorELNS0_4arch9wavefront6targetE0EEEvT1_, .Lfunc_end1453-_ZN7rocprim17ROCPRIM_400000_NS6detail17trampoline_kernelINS0_14default_configENS1_27scan_by_key_config_selectorIifEEZZNS1_16scan_by_key_implILNS1_25lookback_scan_determinismE0ELb1ES3_N6thrust23THRUST_200600_302600_NS6detail15normal_iteratorINS9_10device_ptrIiEEEENSB_INSC_IfEEEESG_fNS9_4plusIvEENS9_8equal_toIvEEfEE10hipError_tPvRmT2_T3_T4_T5_mT6_T7_P12ihipStream_tbENKUlT_T0_E_clISt17integral_constantIbLb1EES10_IbLb0EEEEDaSW_SX_EUlSW_E_NS1_11comp_targetILNS1_3genE8ELNS1_11target_archE1030ELNS1_3gpuE2ELNS1_3repE0EEENS1_30default_config_static_selectorELNS0_4arch9wavefront6targetE0EEEvT1_
                                        ; -- End function
	.set _ZN7rocprim17ROCPRIM_400000_NS6detail17trampoline_kernelINS0_14default_configENS1_27scan_by_key_config_selectorIifEEZZNS1_16scan_by_key_implILNS1_25lookback_scan_determinismE0ELb1ES3_N6thrust23THRUST_200600_302600_NS6detail15normal_iteratorINS9_10device_ptrIiEEEENSB_INSC_IfEEEESG_fNS9_4plusIvEENS9_8equal_toIvEEfEE10hipError_tPvRmT2_T3_T4_T5_mT6_T7_P12ihipStream_tbENKUlT_T0_E_clISt17integral_constantIbLb1EES10_IbLb0EEEEDaSW_SX_EUlSW_E_NS1_11comp_targetILNS1_3genE8ELNS1_11target_archE1030ELNS1_3gpuE2ELNS1_3repE0EEENS1_30default_config_static_selectorELNS0_4arch9wavefront6targetE0EEEvT1_.num_vgpr, 0
	.set _ZN7rocprim17ROCPRIM_400000_NS6detail17trampoline_kernelINS0_14default_configENS1_27scan_by_key_config_selectorIifEEZZNS1_16scan_by_key_implILNS1_25lookback_scan_determinismE0ELb1ES3_N6thrust23THRUST_200600_302600_NS6detail15normal_iteratorINS9_10device_ptrIiEEEENSB_INSC_IfEEEESG_fNS9_4plusIvEENS9_8equal_toIvEEfEE10hipError_tPvRmT2_T3_T4_T5_mT6_T7_P12ihipStream_tbENKUlT_T0_E_clISt17integral_constantIbLb1EES10_IbLb0EEEEDaSW_SX_EUlSW_E_NS1_11comp_targetILNS1_3genE8ELNS1_11target_archE1030ELNS1_3gpuE2ELNS1_3repE0EEENS1_30default_config_static_selectorELNS0_4arch9wavefront6targetE0EEEvT1_.num_agpr, 0
	.set _ZN7rocprim17ROCPRIM_400000_NS6detail17trampoline_kernelINS0_14default_configENS1_27scan_by_key_config_selectorIifEEZZNS1_16scan_by_key_implILNS1_25lookback_scan_determinismE0ELb1ES3_N6thrust23THRUST_200600_302600_NS6detail15normal_iteratorINS9_10device_ptrIiEEEENSB_INSC_IfEEEESG_fNS9_4plusIvEENS9_8equal_toIvEEfEE10hipError_tPvRmT2_T3_T4_T5_mT6_T7_P12ihipStream_tbENKUlT_T0_E_clISt17integral_constantIbLb1EES10_IbLb0EEEEDaSW_SX_EUlSW_E_NS1_11comp_targetILNS1_3genE8ELNS1_11target_archE1030ELNS1_3gpuE2ELNS1_3repE0EEENS1_30default_config_static_selectorELNS0_4arch9wavefront6targetE0EEEvT1_.numbered_sgpr, 0
	.set _ZN7rocprim17ROCPRIM_400000_NS6detail17trampoline_kernelINS0_14default_configENS1_27scan_by_key_config_selectorIifEEZZNS1_16scan_by_key_implILNS1_25lookback_scan_determinismE0ELb1ES3_N6thrust23THRUST_200600_302600_NS6detail15normal_iteratorINS9_10device_ptrIiEEEENSB_INSC_IfEEEESG_fNS9_4plusIvEENS9_8equal_toIvEEfEE10hipError_tPvRmT2_T3_T4_T5_mT6_T7_P12ihipStream_tbENKUlT_T0_E_clISt17integral_constantIbLb1EES10_IbLb0EEEEDaSW_SX_EUlSW_E_NS1_11comp_targetILNS1_3genE8ELNS1_11target_archE1030ELNS1_3gpuE2ELNS1_3repE0EEENS1_30default_config_static_selectorELNS0_4arch9wavefront6targetE0EEEvT1_.num_named_barrier, 0
	.set _ZN7rocprim17ROCPRIM_400000_NS6detail17trampoline_kernelINS0_14default_configENS1_27scan_by_key_config_selectorIifEEZZNS1_16scan_by_key_implILNS1_25lookback_scan_determinismE0ELb1ES3_N6thrust23THRUST_200600_302600_NS6detail15normal_iteratorINS9_10device_ptrIiEEEENSB_INSC_IfEEEESG_fNS9_4plusIvEENS9_8equal_toIvEEfEE10hipError_tPvRmT2_T3_T4_T5_mT6_T7_P12ihipStream_tbENKUlT_T0_E_clISt17integral_constantIbLb1EES10_IbLb0EEEEDaSW_SX_EUlSW_E_NS1_11comp_targetILNS1_3genE8ELNS1_11target_archE1030ELNS1_3gpuE2ELNS1_3repE0EEENS1_30default_config_static_selectorELNS0_4arch9wavefront6targetE0EEEvT1_.private_seg_size, 0
	.set _ZN7rocprim17ROCPRIM_400000_NS6detail17trampoline_kernelINS0_14default_configENS1_27scan_by_key_config_selectorIifEEZZNS1_16scan_by_key_implILNS1_25lookback_scan_determinismE0ELb1ES3_N6thrust23THRUST_200600_302600_NS6detail15normal_iteratorINS9_10device_ptrIiEEEENSB_INSC_IfEEEESG_fNS9_4plusIvEENS9_8equal_toIvEEfEE10hipError_tPvRmT2_T3_T4_T5_mT6_T7_P12ihipStream_tbENKUlT_T0_E_clISt17integral_constantIbLb1EES10_IbLb0EEEEDaSW_SX_EUlSW_E_NS1_11comp_targetILNS1_3genE8ELNS1_11target_archE1030ELNS1_3gpuE2ELNS1_3repE0EEENS1_30default_config_static_selectorELNS0_4arch9wavefront6targetE0EEEvT1_.uses_vcc, 0
	.set _ZN7rocprim17ROCPRIM_400000_NS6detail17trampoline_kernelINS0_14default_configENS1_27scan_by_key_config_selectorIifEEZZNS1_16scan_by_key_implILNS1_25lookback_scan_determinismE0ELb1ES3_N6thrust23THRUST_200600_302600_NS6detail15normal_iteratorINS9_10device_ptrIiEEEENSB_INSC_IfEEEESG_fNS9_4plusIvEENS9_8equal_toIvEEfEE10hipError_tPvRmT2_T3_T4_T5_mT6_T7_P12ihipStream_tbENKUlT_T0_E_clISt17integral_constantIbLb1EES10_IbLb0EEEEDaSW_SX_EUlSW_E_NS1_11comp_targetILNS1_3genE8ELNS1_11target_archE1030ELNS1_3gpuE2ELNS1_3repE0EEENS1_30default_config_static_selectorELNS0_4arch9wavefront6targetE0EEEvT1_.uses_flat_scratch, 0
	.set _ZN7rocprim17ROCPRIM_400000_NS6detail17trampoline_kernelINS0_14default_configENS1_27scan_by_key_config_selectorIifEEZZNS1_16scan_by_key_implILNS1_25lookback_scan_determinismE0ELb1ES3_N6thrust23THRUST_200600_302600_NS6detail15normal_iteratorINS9_10device_ptrIiEEEENSB_INSC_IfEEEESG_fNS9_4plusIvEENS9_8equal_toIvEEfEE10hipError_tPvRmT2_T3_T4_T5_mT6_T7_P12ihipStream_tbENKUlT_T0_E_clISt17integral_constantIbLb1EES10_IbLb0EEEEDaSW_SX_EUlSW_E_NS1_11comp_targetILNS1_3genE8ELNS1_11target_archE1030ELNS1_3gpuE2ELNS1_3repE0EEENS1_30default_config_static_selectorELNS0_4arch9wavefront6targetE0EEEvT1_.has_dyn_sized_stack, 0
	.set _ZN7rocprim17ROCPRIM_400000_NS6detail17trampoline_kernelINS0_14default_configENS1_27scan_by_key_config_selectorIifEEZZNS1_16scan_by_key_implILNS1_25lookback_scan_determinismE0ELb1ES3_N6thrust23THRUST_200600_302600_NS6detail15normal_iteratorINS9_10device_ptrIiEEEENSB_INSC_IfEEEESG_fNS9_4plusIvEENS9_8equal_toIvEEfEE10hipError_tPvRmT2_T3_T4_T5_mT6_T7_P12ihipStream_tbENKUlT_T0_E_clISt17integral_constantIbLb1EES10_IbLb0EEEEDaSW_SX_EUlSW_E_NS1_11comp_targetILNS1_3genE8ELNS1_11target_archE1030ELNS1_3gpuE2ELNS1_3repE0EEENS1_30default_config_static_selectorELNS0_4arch9wavefront6targetE0EEEvT1_.has_recursion, 0
	.set _ZN7rocprim17ROCPRIM_400000_NS6detail17trampoline_kernelINS0_14default_configENS1_27scan_by_key_config_selectorIifEEZZNS1_16scan_by_key_implILNS1_25lookback_scan_determinismE0ELb1ES3_N6thrust23THRUST_200600_302600_NS6detail15normal_iteratorINS9_10device_ptrIiEEEENSB_INSC_IfEEEESG_fNS9_4plusIvEENS9_8equal_toIvEEfEE10hipError_tPvRmT2_T3_T4_T5_mT6_T7_P12ihipStream_tbENKUlT_T0_E_clISt17integral_constantIbLb1EES10_IbLb0EEEEDaSW_SX_EUlSW_E_NS1_11comp_targetILNS1_3genE8ELNS1_11target_archE1030ELNS1_3gpuE2ELNS1_3repE0EEENS1_30default_config_static_selectorELNS0_4arch9wavefront6targetE0EEEvT1_.has_indirect_call, 0
	.section	.AMDGPU.csdata,"",@progbits
; Kernel info:
; codeLenInByte = 0
; TotalNumSgprs: 0
; NumVgprs: 0
; ScratchSize: 0
; MemoryBound: 0
; FloatMode: 240
; IeeeMode: 1
; LDSByteSize: 0 bytes/workgroup (compile time only)
; SGPRBlocks: 0
; VGPRBlocks: 0
; NumSGPRsForWavesPerEU: 1
; NumVGPRsForWavesPerEU: 1
; NamedBarCnt: 0
; Occupancy: 16
; WaveLimiterHint : 0
; COMPUTE_PGM_RSRC2:SCRATCH_EN: 0
; COMPUTE_PGM_RSRC2:USER_SGPR: 2
; COMPUTE_PGM_RSRC2:TRAP_HANDLER: 0
; COMPUTE_PGM_RSRC2:TGID_X_EN: 1
; COMPUTE_PGM_RSRC2:TGID_Y_EN: 0
; COMPUTE_PGM_RSRC2:TGID_Z_EN: 0
; COMPUTE_PGM_RSRC2:TIDIG_COMP_CNT: 0
	.section	.text._ZN7rocprim17ROCPRIM_400000_NS6detail17trampoline_kernelINS0_14default_configENS1_27scan_by_key_config_selectorIifEEZZNS1_16scan_by_key_implILNS1_25lookback_scan_determinismE0ELb1ES3_N6thrust23THRUST_200600_302600_NS6detail15normal_iteratorINS9_10device_ptrIiEEEENSB_INSC_IfEEEESG_fNS9_4plusIvEENS9_8equal_toIvEEfEE10hipError_tPvRmT2_T3_T4_T5_mT6_T7_P12ihipStream_tbENKUlT_T0_E_clISt17integral_constantIbLb0EES10_IbLb1EEEEDaSW_SX_EUlSW_E_NS1_11comp_targetILNS1_3genE0ELNS1_11target_archE4294967295ELNS1_3gpuE0ELNS1_3repE0EEENS1_30default_config_static_selectorELNS0_4arch9wavefront6targetE0EEEvT1_,"axG",@progbits,_ZN7rocprim17ROCPRIM_400000_NS6detail17trampoline_kernelINS0_14default_configENS1_27scan_by_key_config_selectorIifEEZZNS1_16scan_by_key_implILNS1_25lookback_scan_determinismE0ELb1ES3_N6thrust23THRUST_200600_302600_NS6detail15normal_iteratorINS9_10device_ptrIiEEEENSB_INSC_IfEEEESG_fNS9_4plusIvEENS9_8equal_toIvEEfEE10hipError_tPvRmT2_T3_T4_T5_mT6_T7_P12ihipStream_tbENKUlT_T0_E_clISt17integral_constantIbLb0EES10_IbLb1EEEEDaSW_SX_EUlSW_E_NS1_11comp_targetILNS1_3genE0ELNS1_11target_archE4294967295ELNS1_3gpuE0ELNS1_3repE0EEENS1_30default_config_static_selectorELNS0_4arch9wavefront6targetE0EEEvT1_,comdat
	.protected	_ZN7rocprim17ROCPRIM_400000_NS6detail17trampoline_kernelINS0_14default_configENS1_27scan_by_key_config_selectorIifEEZZNS1_16scan_by_key_implILNS1_25lookback_scan_determinismE0ELb1ES3_N6thrust23THRUST_200600_302600_NS6detail15normal_iteratorINS9_10device_ptrIiEEEENSB_INSC_IfEEEESG_fNS9_4plusIvEENS9_8equal_toIvEEfEE10hipError_tPvRmT2_T3_T4_T5_mT6_T7_P12ihipStream_tbENKUlT_T0_E_clISt17integral_constantIbLb0EES10_IbLb1EEEEDaSW_SX_EUlSW_E_NS1_11comp_targetILNS1_3genE0ELNS1_11target_archE4294967295ELNS1_3gpuE0ELNS1_3repE0EEENS1_30default_config_static_selectorELNS0_4arch9wavefront6targetE0EEEvT1_ ; -- Begin function _ZN7rocprim17ROCPRIM_400000_NS6detail17trampoline_kernelINS0_14default_configENS1_27scan_by_key_config_selectorIifEEZZNS1_16scan_by_key_implILNS1_25lookback_scan_determinismE0ELb1ES3_N6thrust23THRUST_200600_302600_NS6detail15normal_iteratorINS9_10device_ptrIiEEEENSB_INSC_IfEEEESG_fNS9_4plusIvEENS9_8equal_toIvEEfEE10hipError_tPvRmT2_T3_T4_T5_mT6_T7_P12ihipStream_tbENKUlT_T0_E_clISt17integral_constantIbLb0EES10_IbLb1EEEEDaSW_SX_EUlSW_E_NS1_11comp_targetILNS1_3genE0ELNS1_11target_archE4294967295ELNS1_3gpuE0ELNS1_3repE0EEENS1_30default_config_static_selectorELNS0_4arch9wavefront6targetE0EEEvT1_
	.globl	_ZN7rocprim17ROCPRIM_400000_NS6detail17trampoline_kernelINS0_14default_configENS1_27scan_by_key_config_selectorIifEEZZNS1_16scan_by_key_implILNS1_25lookback_scan_determinismE0ELb1ES3_N6thrust23THRUST_200600_302600_NS6detail15normal_iteratorINS9_10device_ptrIiEEEENSB_INSC_IfEEEESG_fNS9_4plusIvEENS9_8equal_toIvEEfEE10hipError_tPvRmT2_T3_T4_T5_mT6_T7_P12ihipStream_tbENKUlT_T0_E_clISt17integral_constantIbLb0EES10_IbLb1EEEEDaSW_SX_EUlSW_E_NS1_11comp_targetILNS1_3genE0ELNS1_11target_archE4294967295ELNS1_3gpuE0ELNS1_3repE0EEENS1_30default_config_static_selectorELNS0_4arch9wavefront6targetE0EEEvT1_
	.p2align	8
	.type	_ZN7rocprim17ROCPRIM_400000_NS6detail17trampoline_kernelINS0_14default_configENS1_27scan_by_key_config_selectorIifEEZZNS1_16scan_by_key_implILNS1_25lookback_scan_determinismE0ELb1ES3_N6thrust23THRUST_200600_302600_NS6detail15normal_iteratorINS9_10device_ptrIiEEEENSB_INSC_IfEEEESG_fNS9_4plusIvEENS9_8equal_toIvEEfEE10hipError_tPvRmT2_T3_T4_T5_mT6_T7_P12ihipStream_tbENKUlT_T0_E_clISt17integral_constantIbLb0EES10_IbLb1EEEEDaSW_SX_EUlSW_E_NS1_11comp_targetILNS1_3genE0ELNS1_11target_archE4294967295ELNS1_3gpuE0ELNS1_3repE0EEENS1_30default_config_static_selectorELNS0_4arch9wavefront6targetE0EEEvT1_,@function
_ZN7rocprim17ROCPRIM_400000_NS6detail17trampoline_kernelINS0_14default_configENS1_27scan_by_key_config_selectorIifEEZZNS1_16scan_by_key_implILNS1_25lookback_scan_determinismE0ELb1ES3_N6thrust23THRUST_200600_302600_NS6detail15normal_iteratorINS9_10device_ptrIiEEEENSB_INSC_IfEEEESG_fNS9_4plusIvEENS9_8equal_toIvEEfEE10hipError_tPvRmT2_T3_T4_T5_mT6_T7_P12ihipStream_tbENKUlT_T0_E_clISt17integral_constantIbLb0EES10_IbLb1EEEEDaSW_SX_EUlSW_E_NS1_11comp_targetILNS1_3genE0ELNS1_11target_archE4294967295ELNS1_3gpuE0ELNS1_3repE0EEENS1_30default_config_static_selectorELNS0_4arch9wavefront6targetE0EEEvT1_: ; @_ZN7rocprim17ROCPRIM_400000_NS6detail17trampoline_kernelINS0_14default_configENS1_27scan_by_key_config_selectorIifEEZZNS1_16scan_by_key_implILNS1_25lookback_scan_determinismE0ELb1ES3_N6thrust23THRUST_200600_302600_NS6detail15normal_iteratorINS9_10device_ptrIiEEEENSB_INSC_IfEEEESG_fNS9_4plusIvEENS9_8equal_toIvEEfEE10hipError_tPvRmT2_T3_T4_T5_mT6_T7_P12ihipStream_tbENKUlT_T0_E_clISt17integral_constantIbLb0EES10_IbLb1EEEEDaSW_SX_EUlSW_E_NS1_11comp_targetILNS1_3genE0ELNS1_11target_archE4294967295ELNS1_3gpuE0ELNS1_3repE0EEENS1_30default_config_static_selectorELNS0_4arch9wavefront6targetE0EEEvT1_
; %bb.0:
	s_clause 0x2
	s_load_b32 s33, s[0:1], 0x20
	s_load_b128 s[20:23], s[0:1], 0x28
	s_load_b64 s[30:31], s[0:1], 0x38
	v_cmp_ne_u32_e64 s3, 0, v0
	v_cmp_eq_u32_e64 s2, 0, v0
	s_and_saveexec_b32 s4, s2
	s_cbranch_execz .LBB1454_4
; %bb.1:
	s_mov_b32 s6, exec_lo
	s_mov_b32 s5, exec_lo
	v_mbcnt_lo_u32_b32 v1, s6, 0
                                        ; implicit-def: $vgpr2
	s_delay_alu instid0(VALU_DEP_1)
	v_cmpx_eq_u32_e32 0, v1
	s_cbranch_execz .LBB1454_3
; %bb.2:
	s_load_b64 s[8:9], s[0:1], 0x68
	s_bcnt1_i32_b32 s6, s6
	s_delay_alu instid0(SALU_CYCLE_1)
	v_dual_mov_b32 v2, 0 :: v_dual_mov_b32 v3, s6
	s_wait_xcnt 0x0
	s_wait_kmcnt 0x0
	global_atomic_add_u32 v2, v2, v3, s[8:9] th:TH_ATOMIC_RETURN scope:SCOPE_DEV
.LBB1454_3:
	s_wait_xcnt 0x0
	s_or_b32 exec_lo, exec_lo, s5
	s_wait_loadcnt 0x0
	v_readfirstlane_b32 s5, v2
	s_delay_alu instid0(VALU_DEP_1)
	v_dual_mov_b32 v2, 0 :: v_dual_add_nc_u32 v1, s5, v1
	ds_store_b32 v2, v1
.LBB1454_4:
	s_or_b32 exec_lo, exec_lo, s4
	v_mov_b32_e32 v3, 0
	s_clause 0x2
	s_load_b256 s[12:19], s[0:1], 0x0
	s_load_b32 s4, s[0:1], 0x40
	s_load_b128 s[24:27], s[0:1], 0x48
	s_wait_dscnt 0x0
	s_barrier_signal -1
	s_barrier_wait -1
	ds_load_b32 v2, v3
	s_mov_b32 s5, 0
	s_wait_dscnt 0x0
	s_barrier_signal -1
	s_barrier_wait -1
	s_barrier_signal -1
	s_barrier_wait -1
	s_wait_kmcnt 0x0
	s_lshl_b64 s[28:29], s[14:15], 2
	s_mul_u64 s[0:1], s[30:31], s[4:5]
	s_add_nc_u64 s[10:11], s[24:25], -1
	s_add_nc_u64 s[6:7], s[12:13], s[28:29]
	s_add_nc_u64 s[8:9], s[16:17], s[28:29]
	s_mul_i32 s23, s10, 0xfffff400
	v_add_nc_u64_e32 v[4:5], s[0:1], v[2:3]
	v_readfirstlane_b32 s36, v2
	s_mul_i32 s4, s36, 0xc00
	v_cmp_le_u64_e64 s0, s[10:11], v[4:5]
	s_lshl_b64 s[16:17], s[4:5], 2
	s_delay_alu instid0(SALU_CYCLE_1)
	s_add_nc_u64 s[34:35], s[6:7], s[16:17]
	s_add_nc_u64 s[24:25], s[8:9], s[16:17]
	s_and_b32 vcc_lo, exec_lo, s0
	s_cbranch_vccz .LBB1454_70
; %bb.5:
	flat_load_b32 v2, v3, s[34:35]
	s_add_co_i32 s39, s23, s22
	s_delay_alu instid0(SALU_CYCLE_1)
	v_cmp_gt_u32_e32 vcc_lo, s39, v0
	s_wait_loadcnt_dscnt 0x0
	v_mov_b32_e32 v3, v2
	s_and_saveexec_b32 s1, vcc_lo
	s_cbranch_execz .LBB1454_7
; %bb.6:
	flat_load_b32 v3, v0, s[34:35] scale_offset
.LBB1454_7:
	s_wait_xcnt 0x0
	s_or_b32 exec_lo, exec_lo, s1
	v_or_b32_e32 v1, 0x100, v0
	v_mov_b32_e32 v4, v2
	s_delay_alu instid0(VALU_DEP_2)
	v_cmp_gt_u32_e64 s1, s39, v1
	s_and_saveexec_b32 s4, s1
	s_cbranch_execz .LBB1454_9
; %bb.8:
	flat_load_b32 v4, v0, s[34:35] offset:1024 scale_offset
.LBB1454_9:
	s_wait_xcnt 0x0
	s_or_b32 exec_lo, exec_lo, s4
	v_or_b32_e32 v1, 0x200, v0
	v_mov_b32_e32 v5, v2
	s_delay_alu instid0(VALU_DEP_2)
	v_cmp_gt_u32_e64 s4, s39, v1
	s_and_saveexec_b32 s5, s4
	s_cbranch_execz .LBB1454_11
; %bb.10:
	flat_load_b32 v5, v0, s[34:35] offset:2048 scale_offset
.LBB1454_11:
	;; [unrolled: 11-line block ×10, first 2 shown]
	s_wait_xcnt 0x0
	s_or_b32 exec_lo, exec_lo, s13
	v_or_b32_e32 v1, 0xb00, v0
	s_delay_alu instid0(VALU_DEP_1) | instskip(SKIP_2) | instid1(SALU_CYCLE_1)
	v_cmp_gt_u32_e64 s13, s39, v1
	v_cmp_le_u32_e64 s14, s39, v1
	s_and_saveexec_b32 s15, s14
	s_xor_b32 s14, exec_lo, s15
	s_delay_alu instid0(SALU_CYCLE_1)
	s_and_not1_saveexec_b32 s14, s14
	s_cbranch_execz .LBB1454_29
; %bb.28:
	flat_load_b32 v2, v0, s[34:35] offset:11264 scale_offset
.LBB1454_29:
	s_wait_xcnt 0x0
	s_or_b32 exec_lo, exec_lo, s14
	v_lshlrev_b32_e32 v1, 2, v0
	s_mov_b32 s15, exec_lo
	s_wait_loadcnt_dscnt 0x0
	ds_store_2addr_stride64_b32 v1, v3, v4 offset1:4
	ds_store_2addr_stride64_b32 v1, v5, v6 offset0:8 offset1:12
	ds_store_2addr_stride64_b32 v1, v7, v8 offset0:16 offset1:20
	ds_store_2addr_stride64_b32 v1, v9, v10 offset0:24 offset1:28
	ds_store_2addr_stride64_b32 v1, v11, v12 offset0:32 offset1:36
	ds_store_2addr_stride64_b32 v1, v13, v2 offset0:40 offset1:44
	v_mov_b32_e32 v2, 0
	s_wait_dscnt 0x0
	s_barrier_signal -1
	s_barrier_wait -1
	flat_load_b32 v54, v2, s[34:35]
	v_mad_u32_u24 v31, v0, 44, v1
	ds_load_b128 v[10:13], v31
	ds_load_b128 v[6:9], v31 offset:16
	s_wait_xcnt 0x0
	ds_load_b128 v[2:5], v31 offset:32
	v_mad_i32_i24 v14, 0xffffffd4, v0, v31
	s_wait_dscnt 0x2
	ds_store_b32 v14, v10 offset:13312
	s_wait_loadcnt_dscnt 0x0
	s_barrier_signal -1
	s_barrier_wait -1
	v_cmpx_ne_u32_e32 0xff, v0
; %bb.30:
	v_mul_i32_i24_e32 v14, 0xffffffd4, v0
	s_delay_alu instid0(VALU_DEP_1)
	v_add_nc_u32_e32 v14, v31, v14
	ds_load_b32 v54, v14 offset:13316
; %bb.31:
	s_or_b32 exec_lo, exec_lo, s15
	s_wait_dscnt 0x0
	s_barrier_signal -1
	s_barrier_wait -1
                                        ; implicit-def: $vgpr14
	s_and_saveexec_b32 s14, vcc_lo
	s_cbranch_execz .LBB1454_126
; %bb.32:
	flat_load_b32 v14, v0, s[24:25] scale_offset
	s_wait_xcnt 0x0
	s_or_b32 exec_lo, exec_lo, s14
                                        ; implicit-def: $vgpr15
	s_and_saveexec_b32 s14, s1
	s_cbranch_execnz .LBB1454_127
.LBB1454_33:
	s_or_b32 exec_lo, exec_lo, s14
                                        ; implicit-def: $vgpr16
	s_and_saveexec_b32 s1, s4
	s_cbranch_execz .LBB1454_128
.LBB1454_34:
	flat_load_b32 v16, v0, s[24:25] offset:2048 scale_offset
	s_wait_xcnt 0x0
	s_or_b32 exec_lo, exec_lo, s1
                                        ; implicit-def: $vgpr17
	s_and_saveexec_b32 s1, s5
	s_cbranch_execnz .LBB1454_129
.LBB1454_35:
	s_or_b32 exec_lo, exec_lo, s1
                                        ; implicit-def: $vgpr18
	s_and_saveexec_b32 s1, s6
	s_cbranch_execz .LBB1454_130
.LBB1454_36:
	flat_load_b32 v18, v0, s[24:25] offset:4096 scale_offset
	s_wait_xcnt 0x0
	s_or_b32 exec_lo, exec_lo, s1
                                        ; implicit-def: $vgpr19
	s_and_saveexec_b32 s1, s7
	s_cbranch_execnz .LBB1454_131
.LBB1454_37:
	s_or_b32 exec_lo, exec_lo, s1
                                        ; implicit-def: $vgpr20
	s_and_saveexec_b32 s1, s8
	s_cbranch_execz .LBB1454_132
.LBB1454_38:
	flat_load_b32 v20, v0, s[24:25] offset:6144 scale_offset
	s_wait_xcnt 0x0
	s_or_b32 exec_lo, exec_lo, s1
                                        ; implicit-def: $vgpr21
	s_and_saveexec_b32 s1, s9
	s_cbranch_execnz .LBB1454_133
.LBB1454_39:
	s_or_b32 exec_lo, exec_lo, s1
                                        ; implicit-def: $vgpr22
	s_and_saveexec_b32 s1, s10
	s_cbranch_execz .LBB1454_134
.LBB1454_40:
	flat_load_b32 v22, v0, s[24:25] offset:8192 scale_offset
	s_wait_xcnt 0x0
	s_or_b32 exec_lo, exec_lo, s1
                                        ; implicit-def: $vgpr23
	s_and_saveexec_b32 s1, s11
	s_cbranch_execnz .LBB1454_135
.LBB1454_41:
	s_or_b32 exec_lo, exec_lo, s1
                                        ; implicit-def: $vgpr24
	s_and_saveexec_b32 s1, s12
	s_cbranch_execz .LBB1454_43
.LBB1454_42:
	flat_load_b32 v24, v0, s[24:25] offset:10240 scale_offset
.LBB1454_43:
	s_wait_xcnt 0x0
	s_or_b32 exec_lo, exec_lo, s1
	v_mul_u32_u24_e32 v60, 12, v0
                                        ; implicit-def: $vgpr25
	s_and_saveexec_b32 s1, s13
	s_cbranch_execz .LBB1454_45
; %bb.44:
	flat_load_b32 v25, v0, s[24:25] offset:11264 scale_offset
.LBB1454_45:
	s_wait_xcnt 0x0
	s_or_b32 exec_lo, exec_lo, s1
	s_wait_loadcnt_dscnt 0x0
	ds_store_2addr_stride64_b32 v1, v14, v15 offset1:4
	ds_store_2addr_stride64_b32 v1, v16, v17 offset0:8 offset1:12
	ds_store_2addr_stride64_b32 v1, v18, v19 offset0:16 offset1:20
	;; [unrolled: 1-line block ×5, first 2 shown]
	v_cmp_gt_u32_e32 vcc_lo, s39, v60
	v_dual_mov_b32 v32, 0 :: v_dual_mov_b32 v58, 0
	v_dual_mov_b32 v30, 0 :: v_dual_mov_b32 v59, 0
	v_dual_mov_b32 v33, 0 :: v_dual_mov_b32 v34, 0
	v_dual_mov_b32 v56, 0 :: v_dual_mov_b32 v36, 0
	v_dual_mov_b32 v35, 0 :: v_dual_mov_b32 v57, 0
	v_dual_mov_b32 v38, 0 :: v_dual_mov_b32 v37, 0
	v_dual_mov_b32 v51, 0 :: v_dual_mov_b32 v40, 0
	v_dual_mov_b32 v39, 0 :: v_dual_mov_b32 v53, 0
	v_dual_mov_b32 v42, 0 :: v_dual_mov_b32 v41, 0
	v_dual_mov_b32 v45, 0 :: v_dual_mov_b32 v44, 0
	v_dual_mov_b32 v43, 0 :: v_dual_mov_b32 v46, 0
	v_dual_mov_b32 v21, 0 :: v_dual_mov_b32 v16, 0
	v_dual_mov_b32 v48, 0 :: v_dual_mov_b32 v27, 0
	v_dual_mov_b32 v1, 0 :: v_dual_mov_b32 v47, 0
	v_dual_mov_b32 v29, 0 :: v_dual_mov_b32 v17, 0
	v_dual_mov_b32 v24, 0 :: v_dual_mov_b32 v15, 0
	v_dual_mov_b32 v18, 0 :: v_dual_mov_b32 v26, 0
	v_dual_mov_b32 v28, 0 :: v_dual_mov_b32 v19, 0
	v_dual_mov_b32 v49, 0 :: v_dual_mov_b32 v25, 0
	v_dual_mov_b32 v20, 0 :: v_dual_mov_b32 v50, 0
	v_dual_mov_b32 v55, 0 :: v_dual_mov_b32 v22, 0
	v_dual_mov_b32 v52, 0 :: v_dual_mov_b32 v23, 0
	s_mov_b32 s14, 0
	s_mov_b32 s5, 0
	s_wait_dscnt 0x0
	s_barrier_signal -1
	s_barrier_wait -1
                                        ; implicit-def: $sgpr15
	s_and_saveexec_b32 s37, vcc_lo
	s_cbranch_execz .LBB1454_69
; %bb.46:
	ds_load_b32 v27, v31
	v_dual_mov_b32 v30, 0 :: v_dual_bitop2_b32 v1, 1, v60 bitop3:0x54
	v_dual_mov_b32 v32, 0 :: v_dual_mov_b32 v33, 0
	v_dual_mov_b32 v34, 0 :: v_dual_mov_b32 v56, 0
	s_delay_alu instid0(VALU_DEP_3)
	v_cmp_gt_u32_e64 s1, s39, v1
	v_dual_mov_b32 v36, 0 :: v_dual_mov_b32 v35, 0
	v_dual_mov_b32 v57, 0 :: v_dual_mov_b32 v38, 0
	;; [unrolled: 1-line block ×18, first 2 shown]
	s_mov_b32 s4, 0
	v_cmp_ne_u32_e32 vcc_lo, v10, v11
                                        ; implicit-def: $sgpr15
	s_and_saveexec_b32 s38, s1
	s_cbranch_execz .LBB1454_68
; %bb.47:
	ds_load_2addr_b32 v[14:15], v31 offset0:1 offset1:2
	v_dual_mov_b32 v30, 0 :: v_dual_bitop2_b32 v1, 2, v60 bitop3:0x54
	v_cmp_ne_u32_e64 s1, v11, v12
	v_dual_mov_b32 v32, 0 :: v_dual_mov_b32 v33, 0
	s_delay_alu instid0(VALU_DEP_3)
	v_cmp_gt_u32_e64 s4, s39, v1
	v_dual_mov_b32 v34, 0 :: v_dual_mov_b32 v36, 0
	v_dual_mov_b32 v35, 0 :: v_dual_mov_b32 v38, 0
	v_dual_mov_b32 v37, 0 :: v_dual_mov_b32 v51, 0
	v_dual_mov_b32 v40, 0 :: v_dual_mov_b32 v39, 0
	v_dual_mov_b32 v53, 0 :: v_dual_mov_b32 v42, 0
	v_dual_mov_b32 v41, 0 :: v_dual_mov_b32 v45, 0
	v_dual_mov_b32 v44, 0 :: v_dual_mov_b32 v43, 0
	v_dual_mov_b32 v46, 0 :: v_dual_mov_b32 v21, 0
	v_dual_mov_b32 v16, 0 :: v_dual_mov_b32 v48, 0
	v_dual_mov_b32 v1, 0 :: v_dual_mov_b32 v47, 0
	v_dual_mov_b32 v17, 0 :: v_dual_mov_b32 v24, 0
	v_dual_mov_b32 v18, 0 :: v_dual_mov_b32 v26, 0
	v_dual_mov_b32 v28, 0 :: v_dual_mov_b32 v19, 0
	v_dual_mov_b32 v49, 0 :: v_dual_mov_b32 v25, 0
	v_dual_mov_b32 v20, 0 :: v_dual_mov_b32 v50, 0
	v_dual_mov_b32 v55, 0 :: v_dual_mov_b32 v22, 0
	v_dual_mov_b32 v52, 0 :: v_dual_mov_b32 v23, 0
                                        ; implicit-def: $sgpr15
	s_and_saveexec_b32 s40, s4
	s_cbranch_execz .LBB1454_67
; %bb.48:
	v_dual_mov_b32 v30, 0 :: v_dual_bitop2_b32 v1, 3, v60 bitop3:0x54
	v_cmp_ne_u32_e64 s4, v12, v13
	v_dual_mov_b32 v32, 0 :: v_dual_mov_b32 v33, 0
	s_delay_alu instid0(VALU_DEP_3)
	v_cmp_gt_u32_e64 s5, s39, v1
	v_dual_mov_b32 v34, 0 :: v_dual_mov_b32 v36, 0
	v_dual_mov_b32 v35, 0 :: v_dual_mov_b32 v38, 0
	;; [unrolled: 1-line block ×15, first 2 shown]
	s_mov_b32 s6, 0
                                        ; implicit-def: $sgpr15
	s_and_saveexec_b32 s41, s5
	s_cbranch_execz .LBB1454_66
; %bb.49:
	ds_load_2addr_b32 v[10:11], v31 offset0:3 offset1:4
	v_dual_mov_b32 v30, 0 :: v_dual_add_nc_u32 v1, 4, v60
	v_cmp_ne_u32_e64 s5, v13, v6
	v_dual_mov_b32 v32, 0 :: v_dual_mov_b32 v33, 0
	s_delay_alu instid0(VALU_DEP_3)
	v_cmp_gt_u32_e64 s6, s39, v1
	v_dual_mov_b32 v34, 0 :: v_dual_mov_b32 v36, 0
	v_dual_mov_b32 v35, 0 :: v_dual_mov_b32 v38, 0
	;; [unrolled: 1-line block ×13, first 2 shown]
	s_mov_b32 s7, 0
                                        ; implicit-def: $sgpr15
	s_and_saveexec_b32 s42, s6
	s_cbranch_execz .LBB1454_65
; %bb.50:
	v_dual_mov_b32 v30, 0 :: v_dual_add_nc_u32 v1, 5, v60
	v_cmp_ne_u32_e64 s6, v6, v7
	v_dual_mov_b32 v32, 0 :: v_dual_mov_b32 v33, 0
	s_delay_alu instid0(VALU_DEP_3)
	v_cmp_gt_u32_e64 s7, s39, v1
	v_dual_mov_b32 v34, 0 :: v_dual_mov_b32 v36, 0
	v_dual_mov_b32 v35, 0 :: v_dual_mov_b32 v38, 0
	;; [unrolled: 1-line block ×11, first 2 shown]
	s_mov_b32 s8, 0
                                        ; implicit-def: $sgpr15
	s_and_saveexec_b32 s43, s7
	s_cbranch_execz .LBB1454_64
; %bb.51:
	ds_load_2addr_b32 v[12:13], v31 offset0:5 offset1:6
	v_dual_mov_b32 v30, 0 :: v_dual_add_nc_u32 v1, 6, v60
	v_cmp_ne_u32_e64 s7, v7, v8
	v_dual_mov_b32 v32, 0 :: v_dual_mov_b32 v33, 0
	s_delay_alu instid0(VALU_DEP_3)
	v_cmp_gt_u32_e64 s8, s39, v1
	v_dual_mov_b32 v34, 0 :: v_dual_mov_b32 v36, 0
	v_dual_mov_b32 v35, 0 :: v_dual_mov_b32 v38, 0
	;; [unrolled: 1-line block ×9, first 2 shown]
	s_mov_b32 s9, 0
                                        ; implicit-def: $sgpr15
	s_and_saveexec_b32 s44, s8
	s_cbranch_execz .LBB1454_63
; %bb.52:
	v_dual_mov_b32 v30, 0 :: v_dual_add_nc_u32 v1, 7, v60
	v_cmp_ne_u32_e64 s8, v8, v9
	v_dual_mov_b32 v32, 0 :: v_dual_mov_b32 v33, 0
	s_delay_alu instid0(VALU_DEP_3)
	v_cmp_gt_u32_e64 s9, s39, v1
	v_dual_mov_b32 v34, 0 :: v_dual_mov_b32 v36, 0
	v_dual_mov_b32 v35, 0 :: v_dual_mov_b32 v38, 0
	;; [unrolled: 1-line block ×7, first 2 shown]
	s_mov_b32 s10, 0
                                        ; implicit-def: $sgpr15
	s_and_saveexec_b32 s45, s9
	s_cbranch_execz .LBB1454_62
; %bb.53:
	ds_load_2addr_b32 v[6:7], v31 offset0:7 offset1:8
	v_dual_mov_b32 v30, 0 :: v_dual_add_nc_u32 v1, 8, v60
	v_cmp_ne_u32_e64 s9, v9, v2
	v_dual_mov_b32 v32, 0 :: v_dual_mov_b32 v33, 0
	s_delay_alu instid0(VALU_DEP_3)
	v_cmp_gt_u32_e64 s10, s39, v1
	v_dual_mov_b32 v34, 0 :: v_dual_mov_b32 v36, 0
	v_dual_mov_b32 v35, 0 :: v_dual_mov_b32 v21, 0
	;; [unrolled: 1-line block ×5, first 2 shown]
	s_mov_b32 s11, 0
                                        ; implicit-def: $sgpr15
	s_and_saveexec_b32 s46, s10
	s_cbranch_execz .LBB1454_61
; %bb.54:
	v_dual_mov_b32 v30, 0 :: v_dual_add_nc_u32 v1, 9, v60
	v_cmp_ne_u32_e64 s10, v2, v3
	v_dual_mov_b32 v32, 0 :: v_dual_mov_b32 v33, 0
	s_delay_alu instid0(VALU_DEP_3)
	v_cmp_gt_u32_e64 s11, s39, v1
	v_dual_mov_b32 v34, 0 :: v_dual_mov_b32 v21, 0
	v_dual_mov_b32 v1, 0 :: v_dual_mov_b32 v47, 0
	s_mov_b32 s12, 0
                                        ; implicit-def: $sgpr15
	s_and_saveexec_b32 s47, s11
	s_cbranch_execz .LBB1454_60
; %bb.55:
	ds_load_2addr_b32 v[8:9], v31 offset0:9 offset1:10
	v_dual_mov_b32 v30, 0 :: v_dual_add_nc_u32 v1, 10, v60
	v_cmp_ne_u32_e64 s11, v3, v4
	v_dual_mov_b32 v32, 0 :: v_dual_mov_b32 v21, 0
	s_mov_b32 s13, 0
	s_mov_b32 s48, exec_lo
                                        ; implicit-def: $sgpr15
	v_cmpx_gt_u32_e64 s39, v1
	s_cbranch_execz .LBB1454_59
; %bb.56:
	v_dual_add_nc_u32 v1, 11, v60 :: v_dual_mov_b32 v21, 0
	v_cmp_ne_u32_e64 s12, v4, v5
                                        ; implicit-def: $sgpr15
	s_delay_alu instid0(VALU_DEP_2) | instskip(SKIP_2) | instid1(SALU_CYCLE_1)
	v_cmp_gt_u32_e64 s13, s39, v1
	s_mov_b32 s39, 0
	s_and_saveexec_b32 s49, s13
	s_xor_b32 s13, exec_lo, s49
	s_cbranch_execz .LBB1454_58
; %bb.57:
	ds_load_b32 v1, v31 offset:44
	v_cmp_ne_u32_e64 s15, v5, v54
	s_mov_b32 s39, exec_lo
	s_wait_dscnt 0x0
	v_cndmask_b32_e64 v21, v1, s33, s15
.LBB1454_58:
	s_or_b32 exec_lo, exec_lo, s13
	v_cndmask_b32_e64 v30, 0, 1, s12
	s_wait_dscnt 0x0
	v_cndmask_b32_e64 v32, v9, s33, s12
	s_and_b32 s13, s39, exec_lo
.LBB1454_59:
	s_or_b32 exec_lo, exec_lo, s48
	s_wait_dscnt 0x0
	v_cndmask_b32_e64 v33, v8, s33, s11
	v_cndmask_b32_e64 v34, 0, 1, s11
	s_and_b32 s12, s13, exec_lo
	s_delay_alu instid0(VALU_DEP_1)
	v_dual_mov_b32 v1, v33 :: v_dual_mov_b32 v47, v34
.LBB1454_60:
	s_or_b32 exec_lo, exec_lo, s47
	s_wait_dscnt 0x0
	v_cndmask_b32_e64 v36, v7, s33, s10
	v_cndmask_b32_e64 v35, 0, 1, s10
	v_dual_mov_b32 v16, v32 :: v_dual_mov_b32 v48, v30
	s_and_b32 s11, s12, exec_lo
	s_delay_alu instid0(VALU_DEP_2)
	v_dual_mov_b32 v17, v36 :: v_dual_mov_b32 v24, v35
.LBB1454_61:
	s_or_b32 exec_lo, exec_lo, s46
	s_wait_dscnt 0x0
	v_cndmask_b32_e64 v38, v6, s33, s9
	v_cndmask_b32_e64 v37, 0, 1, s9
	s_and_b32 s10, s11, exec_lo
	s_delay_alu instid0(VALU_DEP_1)
	v_dual_mov_b32 v18, v38 :: v_dual_mov_b32 v26, v37
.LBB1454_62:
	s_or_b32 exec_lo, exec_lo, s45
	s_wait_dscnt 0x0
	v_cndmask_b32_e64 v40, v13, s33, s8
	v_cndmask_b32_e64 v39, 0, 1, s8
	s_and_b32 s9, s10, exec_lo
	s_delay_alu instid0(VALU_DEP_1)
	v_dual_mov_b32 v19, v40 :: v_dual_mov_b32 v49, v39
.LBB1454_63:
	s_or_b32 exec_lo, exec_lo, s44
	s_wait_dscnt 0x0
	v_cndmask_b32_e64 v42, v12, s33, s7
	v_cndmask_b32_e64 v41, 0, 1, s7
	s_and_b32 s8, s9, exec_lo
	s_delay_alu instid0(VALU_DEP_1)
	v_dual_mov_b32 v20, v42 :: v_dual_mov_b32 v50, v41
.LBB1454_64:
	s_or_b32 exec_lo, exec_lo, s43
	s_wait_dscnt 0x0
	v_cndmask_b32_e64 v44, v11, s33, s6
	v_cndmask_b32_e64 v43, 0, 1, s6
	s_and_b32 s7, s8, exec_lo
	s_delay_alu instid0(VALU_DEP_1)
	v_dual_mov_b32 v22, v44 :: v_dual_mov_b32 v52, v43
.LBB1454_65:
	s_or_b32 exec_lo, exec_lo, s42
	v_cndmask_b32_e64 v45, 0, 1, s5
	s_wait_dscnt 0x0
	v_cndmask_b32_e64 v46, v10, s33, s5
	s_and_b32 s6, s7, exec_lo
	s_delay_alu instid0(VALU_DEP_1)
	v_dual_mov_b32 v55, v45 :: v_dual_mov_b32 v23, v46
.LBB1454_66:
	s_or_b32 exec_lo, exec_lo, s41
	v_cndmask_b32_e64 v51, 0, 1, s4
	s_wait_dscnt 0x0
	v_cndmask_b32_e64 v53, v15, s33, s4
	s_and_b32 s5, s6, exec_lo
	s_delay_alu instid0(VALU_DEP_1)
	v_dual_mov_b32 v28, v51 :: v_dual_mov_b32 v25, v53
.LBB1454_67:
	s_or_b32 exec_lo, exec_lo, s40
	v_cndmask_b32_e64 v56, 0, 1, s1
	s_wait_dscnt 0x0
	v_cndmask_b32_e64 v57, v14, s33, s1
	s_and_b32 s4, s5, exec_lo
	s_delay_alu instid0(VALU_DEP_1)
	v_dual_mov_b32 v29, v56 :: v_dual_mov_b32 v15, v57
.LBB1454_68:
	s_or_b32 exec_lo, exec_lo, s38
	s_wait_dscnt 0x0
	v_cndmask_b32_e64 v59, v27, s33, vcc_lo
	v_cndmask_b32_e64 v58, 0, 1, vcc_lo
	s_and_b32 s5, s4, exec_lo
	s_delay_alu instid0(VALU_DEP_2)
	v_mov_b32_e32 v27, v59
.LBB1454_69:
	s_or_b32 exec_lo, exec_lo, s37
	v_lshlrev_b32_e32 v14, 2, v0
	s_and_b32 vcc_lo, exec_lo, s14
	s_cbranch_vccnz .LBB1454_71
	s_branch .LBB1454_76
.LBB1454_70:
                                        ; implicit-def: $sgpr15
                                        ; implicit-def: $vgpr58
                                        ; implicit-def: $vgpr32
                                        ; implicit-def: $vgpr30
                                        ; implicit-def: $vgpr59
                                        ; implicit-def: $vgpr33
                                        ; implicit-def: $vgpr34
                                        ; implicit-def: $vgpr56
                                        ; implicit-def: $vgpr36
                                        ; implicit-def: $vgpr35
                                        ; implicit-def: $vgpr57
                                        ; implicit-def: $vgpr38
                                        ; implicit-def: $vgpr37
                                        ; implicit-def: $vgpr51
                                        ; implicit-def: $vgpr40
                                        ; implicit-def: $vgpr39
                                        ; implicit-def: $vgpr53
                                        ; implicit-def: $vgpr42
                                        ; implicit-def: $vgpr41
                                        ; implicit-def: $vgpr45
                                        ; implicit-def: $vgpr44
                                        ; implicit-def: $vgpr43
                                        ; implicit-def: $vgpr46
                                        ; implicit-def: $vgpr21
                                        ; implicit-def: $vgpr16
                                        ; implicit-def: $vgpr48
                                        ; implicit-def: $vgpr27
                                        ; implicit-def: $vgpr1
                                        ; implicit-def: $vgpr47
                                        ; implicit-def: $vgpr29
                                        ; implicit-def: $vgpr17
                                        ; implicit-def: $vgpr24
                                        ; implicit-def: $vgpr15
                                        ; implicit-def: $vgpr18
                                        ; implicit-def: $vgpr26
                                        ; implicit-def: $vgpr28
                                        ; implicit-def: $vgpr19
                                        ; implicit-def: $vgpr49
                                        ; implicit-def: $vgpr25
                                        ; implicit-def: $vgpr20
                                        ; implicit-def: $vgpr50
                                        ; implicit-def: $vgpr55
                                        ; implicit-def: $vgpr22
                                        ; implicit-def: $vgpr52
                                        ; implicit-def: $vgpr23
	v_lshlrev_b32_e32 v14, 2, v0
	s_cbranch_execz .LBB1454_76
.LBB1454_71:
	s_clause 0xb
	flat_load_b32 v1, v0, s[34:35] scale_offset
	flat_load_b32 v2, v0, s[34:35] offset:1024 scale_offset
	flat_load_b32 v3, v0, s[34:35] offset:2048 scale_offset
	;; [unrolled: 1-line block ×11, first 2 shown]
	v_mov_b32_e32 v13, 0
	v_mad_u32_u24 v15, v0, 44, v14
	s_mov_b32 s1, exec_lo
	s_wait_loadcnt_dscnt 0xa0a
	ds_store_2addr_stride64_b32 v14, v1, v2 offset1:4
	s_wait_loadcnt_dscnt 0x809
	ds_store_2addr_stride64_b32 v14, v3, v4 offset0:8 offset1:12
	s_wait_loadcnt_dscnt 0x608
	ds_store_2addr_stride64_b32 v14, v5, v6 offset0:16 offset1:20
	;; [unrolled: 2-line block ×5, first 2 shown]
	s_wait_dscnt 0x0
	s_barrier_signal -1
	s_barrier_wait -1
	flat_load_b32 v1, v13, s[34:35] offset:12288
	s_wait_xcnt 0x0
	ds_load_b128 v[10:13], v15
	ds_load_b128 v[6:9], v15 offset:16
	ds_load_b128 v[2:5], v15 offset:32
	v_mad_i32_i24 v16, 0xffffffd4, v0, v15
	s_wait_dscnt 0x2
	ds_store_b32 v16, v10 offset:13312
	s_wait_loadcnt_dscnt 0x0
	s_barrier_signal -1
	s_barrier_wait -1
	v_cmpx_ne_u32_e32 0xff, v0
; %bb.72:
	v_mul_i32_i24_e32 v1, 0xffffffd4, v0
	s_delay_alu instid0(VALU_DEP_1)
	v_add_nc_u32_e32 v1, v15, v1
	ds_load_b32 v1, v1 offset:13316
; %bb.73:
	s_or_b32 exec_lo, exec_lo, s1
	s_wait_dscnt 0x0
	s_barrier_signal -1
	s_barrier_wait -1
	s_clause 0xb
	flat_load_b32 v16, v0, s[24:25] scale_offset
	flat_load_b32 v17, v0, s[24:25] offset:1024 scale_offset
	flat_load_b32 v18, v0, s[24:25] offset:2048 scale_offset
	;; [unrolled: 1-line block ×11, first 2 shown]
	v_mov_b32_e32 v59, s33
	s_mov_b32 s4, exec_lo
	v_cmp_ne_u32_e32 vcc_lo, v10, v11
	s_wait_loadcnt_dscnt 0xa0a
	ds_store_2addr_stride64_b32 v14, v16, v17 offset1:4
	s_wait_loadcnt_dscnt 0x809
	ds_store_2addr_stride64_b32 v14, v18, v19 offset0:8 offset1:12
	s_wait_loadcnt_dscnt 0x608
	ds_store_2addr_stride64_b32 v14, v20, v21 offset0:16 offset1:20
	;; [unrolled: 2-line block ×5, first 2 shown]
	s_wait_dscnt 0x0
	s_barrier_signal -1
	s_barrier_wait -1
	ds_load_2addr_b32 v[24:25], v15 offset0:1 offset1:2
	ds_load_2addr_b32 v[22:23], v15 offset0:3 offset1:4
	;; [unrolled: 1-line block ×5, first 2 shown]
	ds_load_b32 v26, v15 offset:44
	v_cmpx_eq_u32_e64 v10, v11
; %bb.74:
	ds_load_b32 v59, v15
; %bb.75:
	s_or_b32 exec_lo, exec_lo, s4
	v_cndmask_b32_e64 v58, 0, 1, vcc_lo
	v_cmp_ne_u32_e32 vcc_lo, v11, v12
	v_cmp_ne_u32_e64 s1, v12, v13
	v_cmp_ne_u32_e64 s4, v13, v6
	v_cmp_ne_u32_e64 s5, v6, v7
	v_cmp_ne_u32_e64 s6, v7, v8
	v_cmp_ne_u32_e64 s7, v8, v9
	v_cmp_ne_u32_e64 s8, v9, v2
	v_cmp_ne_u32_e64 s9, v2, v3
	v_cmp_ne_u32_e64 s10, v3, v4
	v_cmp_ne_u32_e64 s11, v4, v5
	v_cndmask_b32_e64 v56, 0, 1, vcc_lo
	v_cndmask_b32_e64 v51, 0, 1, s1
	v_cndmask_b32_e64 v45, 0, 1, s4
	;; [unrolled: 1-line block ×9, first 2 shown]
	s_wait_dscnt 0x5
	v_cndmask_b32_e64 v57, v24, s33, vcc_lo
	v_cndmask_b32_e64 v53, v25, s33, s1
	s_wait_dscnt 0x4
	v_cndmask_b32_e64 v46, v22, s33, s4
	v_cndmask_b32_e64 v44, v23, s33, s5
	s_wait_dscnt 0x3
	v_cndmask_b32_e64 v42, v20, s33, s6
	;; [unrolled: 3-line block ×3, first 2 shown]
	s_wait_dscnt 0x1
	v_cndmask_b32_e64 v32, v19, s33, s11
	v_cndmask_b32_e64 v36, v17, s33, s9
	;; [unrolled: 1-line block ×3, first 2 shown]
	v_cmp_ne_u32_e64 s15, v5, v1
	s_delay_alu instid0(VALU_DEP_4) | instskip(SKIP_1) | instid1(VALU_DEP_3)
	v_dual_mov_b32 v48, v30 :: v_dual_mov_b32 v16, v32
	s_wait_dscnt 0x0
	v_dual_mov_b32 v27, v59 :: v_dual_mov_b32 v1, v33
	s_delay_alu instid0(VALU_DEP_3)
	v_cndmask_b32_e64 v21, v26, s33, s15
	v_dual_mov_b32 v47, v34 :: v_dual_mov_b32 v29, v56
	v_dual_mov_b32 v17, v36 :: v_dual_mov_b32 v24, v35
	;; [unrolled: 1-line block ×8, first 2 shown]
	v_mov_b32_e32 v23, v46
	s_mov_b32 s5, -1
.LBB1454_76:
	v_mov_b32_e32 v31, 0
	s_and_saveexec_b32 s1, s5
	s_cbranch_execz .LBB1454_78
; %bb.77:
	v_cndmask_b32_e64 v31, 0, 1, s15
	v_dual_mov_b32 v23, v46 :: v_dual_mov_b32 v52, v43
	v_dual_mov_b32 v22, v44 :: v_dual_mov_b32 v55, v45
	;; [unrolled: 1-line block ×10, first 2 shown]
	v_mov_b32_e32 v16, v32
.LBB1454_78:
	s_or_b32 exec_lo, exec_lo, s1
	v_or_b32_e32 v2, v55, v52
	v_and_b32_e32 v32, 1, v31
	v_dual_add_f32 v43, v15, v27 :: v_dual_lshrrev_b32 v34, 2, v0
	v_or_b32_e32 v33, v48, v47
	v_and_b32_e32 v30, 0xff, v58
	v_and_b32_e32 v46, 0xff, v29
	;; [unrolled: 1-line block ×9, first 2 shown]
	v_bitop3_b16 v36, v2, v49, v50 bitop3:0xfe
	v_and_b32_e32 v37, 0xff, v47
	v_and_b32_e32 v35, 0xff, v48
	v_cmp_eq_u16_e64 s13, 0, v31
	v_cmp_eq_u32_e64 s14, 1, v32
	s_cmp_lg_u32 s36, 0
	v_cmp_gt_u32_e32 vcc_lo, 32, v0
	s_barrier_signal -1
	s_barrier_wait -1
	s_cbranch_scc0 .LBB1454_136
; %bb.79:
	v_cmp_eq_u16_e64 s1, 0, v46
	v_cmp_eq_u16_e64 s4, 0, v45
	;; [unrolled: 1-line block ×5, first 2 shown]
	v_dual_cndmask_b32 v2, v15, v43, s1 :: v_dual_bitop2_b32 v4, 56, v34 bitop3:0x40
	v_cmp_eq_u16_e64 s8, 0, v40
	v_cmp_eq_u16_e64 s9, 0, v39
	;; [unrolled: 1-line block ×3, first 2 shown]
	s_delay_alu instid0(VALU_DEP_4)
	v_add_f32_e32 v2, v25, v2
	v_cmp_eq_u16_e64 s11, 0, v37
	v_bitop3_b16 v3, v36, v26, v28 bitop3:0xfe
	v_cmp_eq_u16_e64 s12, 0, v35
	v_lshl_add_u32 v4, v0, 3, v4
	v_cndmask_b32_e64 v2, v25, v2, s4
	s_delay_alu instid0(VALU_DEP_4) | instskip(NEXT) | instid1(VALU_DEP_2)
	v_bitop3_b16 v3, v3, v29, v24 bitop3:0xfe
	v_add_f32_e32 v2, v23, v2
	s_delay_alu instid0(VALU_DEP_2) | instskip(NEXT) | instid1(VALU_DEP_2)
	v_bitop3_b16 v3, v33, 0xff, v3 bitop3:0xc8
	v_cndmask_b32_e64 v2, v23, v2, s5
	s_delay_alu instid0(VALU_DEP_2) | instskip(NEXT) | instid1(VALU_DEP_2)
	v_cmp_eq_u16_e64 s15, 0, v3
	v_add_f32_e32 v2, v22, v2
	s_delay_alu instid0(VALU_DEP_2) | instskip(NEXT) | instid1(VALU_DEP_2)
	v_cndmask_b32_e64 v3, 1, v30, s15
	v_cndmask_b32_e64 v2, v22, v2, s6
	s_delay_alu instid0(VALU_DEP_2) | instskip(NEXT) | instid1(VALU_DEP_2)
	v_cndmask_b32_e64 v13, v3, 1, s14
	v_add_f32_e32 v2, v20, v2
	s_delay_alu instid0(VALU_DEP_1) | instskip(NEXT) | instid1(VALU_DEP_1)
	v_cndmask_b32_e64 v2, v20, v2, s7
	v_add_f32_e32 v2, v19, v2
	s_delay_alu instid0(VALU_DEP_1) | instskip(NEXT) | instid1(VALU_DEP_1)
	;; [unrolled: 3-line block ×6, first 2 shown]
	v_cndmask_b32_e64 v2, v16, v2, s12
	v_add_f32_e32 v2, v21, v2
	s_delay_alu instid0(VALU_DEP_1)
	v_cndmask_b32_e64 v12, v21, v2, s13
	ds_store_b32 v4, v12
	ds_store_b8 v4, v13 offset:4
	s_wait_dscnt 0x0
	s_barrier_signal -1
	s_barrier_wait -1
	s_and_saveexec_b32 s15, vcc_lo
	s_cbranch_execz .LBB1454_91
; %bb.80:
	v_dual_lshlrev_b32 v2, 1, v0 :: v_dual_lshlrev_b32 v3, 6, v0
	s_mov_b32 s24, exec_lo
	s_delay_alu instid0(VALU_DEP_1) | instskip(NEXT) | instid1(VALU_DEP_1)
	v_and_b32_e32 v2, 0x1f8, v2
	v_add_nc_u32_e32 v4, v2, v3
	ds_load_2addr_b32 v[6:7], v4 offset0:2 offset1:4
	ds_load_b64 v[2:3], v4
	ds_load_u8 v5, v4 offset:12
	ds_load_2addr_b32 v[8:9], v4 offset0:6 offset1:8
	ds_load_u8 v10, v4 offset:20
	ds_load_u8 v11, v4 offset:28
	;; [unrolled: 1-line block ×5, first 2 shown]
	ds_load_b32 v50, v4 offset:56
	s_wait_dscnt 0x8
	v_add_f32_e32 v51, v2, v6
	s_wait_dscnt 0x7
	v_cmp_eq_u16_e64 s13, 0, v5
	s_wait_dscnt 0x5
	v_or_b32_e32 v5, v10, v5
	s_delay_alu instid0(VALU_DEP_2) | instskip(SKIP_2) | instid1(VALU_DEP_3)
	v_cndmask_b32_e64 v6, v6, v51, s13
	v_cmp_eq_u16_e64 s13, 0, v10
	s_wait_dscnt 0x3
	v_bitop3_b16 v5, v5, v47, v11 bitop3:0xfe
	s_delay_alu instid0(VALU_DEP_3) | instskip(NEXT) | instid1(VALU_DEP_1)
	v_add_f32_e32 v6, v7, v6
	v_cndmask_b32_e64 v51, v7, v6, s13
	ds_load_2addr_b32 v[6:7], v4 offset0:10 offset1:12
	v_cmp_eq_u16_e64 s13, 0, v11
	v_and_b32_e32 v11, 0xffffff00, v3
	v_add_f32_e32 v51, v8, v51
	s_delay_alu instid0(VALU_DEP_1) | instskip(SKIP_3) | instid1(VALU_DEP_1)
	v_cndmask_b32_e64 v8, v8, v51, s13
	v_cmp_eq_u16_e64 s13, 0, v47
	ds_load_u8 v51, v4 offset:60
	v_add_f32_e32 v8, v9, v8
	v_cndmask_b32_e64 v8, v9, v8, s13
	s_wait_dscnt 0x4
	v_cmp_eq_u16_e64 s13, 0, v48
	s_wait_dscnt 0x1
	s_delay_alu instid0(VALU_DEP_2) | instskip(NEXT) | instid1(VALU_DEP_1)
	v_add_f32_e32 v8, v6, v8
	v_cndmask_b32_e64 v6, v6, v8, s13
	v_bitop3_b16 v8, v5, v49, v48 bitop3:0xfe
	v_and_b32_e32 v5, 1, v3
	s_wait_dscnt 0x0
	v_and_b32_e32 v9, 1, v51
	s_delay_alu instid0(VALU_DEP_3) | instskip(NEXT) | instid1(VALU_DEP_1)
	v_cmp_eq_u16_e64 s13, 0, v8
	v_dual_add_f32 v6, v7, v6 :: v_dual_cndmask_b32 v8, 1, v5, s13
	v_cmp_eq_u16_e64 s13, 0, v49
	s_delay_alu instid0(VALU_DEP_1) | instskip(SKIP_1) | instid1(VALU_DEP_1)
	v_cndmask_b32_e64 v6, v7, v6, s13
	v_cmp_eq_u32_e64 s13, 1, v9
	v_cndmask_b32_e64 v9, v8, 1, s13
	v_cmp_eq_u16_e64 s13, 0, v51
	s_delay_alu instid0(VALU_DEP_2) | instskip(SKIP_1) | instid1(VALU_DEP_2)
	v_dual_add_f32 v7, v50, v6 :: v_dual_bitop2_b32 v8, v9, v11 bitop3:0x54
	v_mbcnt_lo_u32_b32 v6, -1, 0
	v_mov_b32_dpp v48, v8 row_shr:1 row_mask:0xf bank_mask:0xf
	s_delay_alu instid0(VALU_DEP_2) | instskip(NEXT) | instid1(VALU_DEP_1)
	v_dual_cndmask_b32 v7, v50, v7, s13 :: v_dual_bitop2_b32 v10, 15, v6 bitop3:0x40
	v_mov_b32_dpp v47, v7 row_shr:1 row_mask:0xf bank_mask:0xf
	s_delay_alu instid0(VALU_DEP_2)
	v_cmpx_ne_u32_e32 0, v10
	s_cbranch_execz .LBB1454_82
; %bb.81:
	s_delay_alu instid0(VALU_DEP_2) | instskip(SKIP_2) | instid1(VALU_DEP_3)
	v_dual_add_f32 v47, v7, v47 :: v_dual_bitop2_b32 v8, 1, v9 bitop3:0x40
	v_cmp_eq_u32_e64 s13, 0, v9
	v_and_b32_e32 v48, 1, v48
	v_cmp_eq_u32_e64 s14, 1, v8
	s_delay_alu instid0(VALU_DEP_3) | instskip(NEXT) | instid1(VALU_DEP_2)
	v_cndmask_b32_e64 v7, v7, v47, s13
	v_cndmask_b32_e64 v9, v48, 1, s14
	s_delay_alu instid0(VALU_DEP_1)
	v_or_b32_e32 v8, v9, v11
.LBB1454_82:
	s_or_b32 exec_lo, exec_lo, s24
	s_delay_alu instid0(VALU_DEP_3) | instskip(NEXT) | instid1(VALU_DEP_2)
	v_mov_b32_dpp v11, v7 row_shr:2 row_mask:0xf bank_mask:0xf
	v_mov_b32_dpp v47, v8 row_shr:2 row_mask:0xf bank_mask:0xf
	s_mov_b32 s24, exec_lo
	v_cmpx_lt_u32_e32 1, v10
	s_cbranch_execz .LBB1454_84
; %bb.83:
	v_dual_add_f32 v11, v7, v11 :: v_dual_bitop2_b32 v48, 1, v9 bitop3:0x40
	v_and_b32_e32 v47, 1, v47
	v_cmp_eq_u32_e64 s13, 0, v9
	s_delay_alu instid0(VALU_DEP_3) | instskip(NEXT) | instid1(VALU_DEP_2)
	v_cmp_eq_u32_e64 s14, 1, v48
	v_cndmask_b32_e64 v7, v7, v11, s13
	s_delay_alu instid0(VALU_DEP_2) | instskip(NEXT) | instid1(VALU_DEP_1)
	v_cndmask_b32_e64 v9, v47, 1, s14
	v_and_or_b32 v8, 0xffffff00, v8, v9
.LBB1454_84:
	s_or_b32 exec_lo, exec_lo, s24
	s_delay_alu instid0(VALU_DEP_3) | instskip(NEXT) | instid1(VALU_DEP_2)
	v_mov_b32_dpp v11, v7 row_shr:4 row_mask:0xf bank_mask:0xf
	v_mov_b32_dpp v47, v8 row_shr:4 row_mask:0xf bank_mask:0xf
	s_mov_b32 s24, exec_lo
	v_cmpx_lt_u32_e32 3, v10
	s_cbranch_execz .LBB1454_86
; %bb.85:
	v_dual_add_f32 v11, v7, v11 :: v_dual_bitop2_b32 v48, 1, v9 bitop3:0x40
	v_and_b32_e32 v47, 1, v47
	v_cmp_eq_u32_e64 s13, 0, v9
	s_delay_alu instid0(VALU_DEP_3) | instskip(NEXT) | instid1(VALU_DEP_2)
	v_cmp_eq_u32_e64 s14, 1, v48
	v_cndmask_b32_e64 v7, v7, v11, s13
	s_delay_alu instid0(VALU_DEP_2) | instskip(NEXT) | instid1(VALU_DEP_1)
	v_cndmask_b32_e64 v9, v47, 1, s14
	v_and_or_b32 v8, 0xffffff00, v8, v9
.LBB1454_86:
	;; [unrolled: 18-line block ×3, first 2 shown]
	s_or_b32 exec_lo, exec_lo, s24
	ds_swizzle_b32 v10, v7 offset:swizzle(BROADCAST,32,15)
	ds_swizzle_b32 v11, v8 offset:swizzle(BROADCAST,32,15)
	v_and_b32_e32 v47, 16, v6
	s_mov_b32 s14, exec_lo
	s_delay_alu instid0(VALU_DEP_1)
	v_cmpx_ne_u32_e32 0, v47
	s_cbranch_execz .LBB1454_90
; %bb.89:
	s_wait_dscnt 0x1
	v_dual_add_f32 v10, v7, v10 :: v_dual_bitop2_b32 v47, 1, v9 bitop3:0x40
	s_wait_dscnt 0x0
	v_and_b32_e32 v11, 1, v11
	s_delay_alu instid0(VALU_DEP_2) | instskip(NEXT) | instid1(VALU_DEP_1)
	v_cmp_eq_u32_e64 s13, 1, v47
	v_cndmask_b32_e64 v11, v11, 1, s13
	v_cmp_eq_u32_e64 s13, 0, v9
	s_delay_alu instid0(VALU_DEP_2) | instskip(NEXT) | instid1(VALU_DEP_2)
	v_and_or_b32 v8, 0xffffff00, v8, v11
	v_cndmask_b32_e64 v7, v7, v10, s13
.LBB1454_90:
	s_or_b32 exec_lo, exec_lo, s14
	v_add_nc_u32_e32 v9, -1, v6
	v_and_b32_e32 v3, 0xff, v3
	; wave barrier
	s_delay_alu instid0(VALU_DEP_2) | instskip(NEXT) | instid1(VALU_DEP_1)
	v_cmp_gt_i32_e64 s13, 0, v9
	v_cndmask_b32_e64 v6, v9, v6, s13
	s_delay_alu instid0(VALU_DEP_3) | instskip(NEXT) | instid1(VALU_DEP_2)
	v_cmp_eq_u32_e64 s13, 0, v3
	v_lshlrev_b32_e32 v6, 2, v6
	ds_bpermute_b32 v7, v6, v7
	ds_bpermute_b32 v6, v6, v8
	s_wait_dscnt 0x0
	v_dual_add_f32 v7, v2, v7 :: v_dual_bitop2_b32 v6, 1, v6 bitop3:0x40
	s_delay_alu instid0(VALU_DEP_1) | instskip(SKIP_1) | instid1(VALU_DEP_1)
	v_cndmask_b32_e64 v2, v2, v7, s13
	v_cmp_eq_u32_e64 s13, 1, v5
	v_cndmask_b32_e64 v3, v6, 1, s13
	s_delay_alu instid0(VALU_DEP_1)
	v_dual_cndmask_b32 v5, v2, v12, s2 :: v_dual_cndmask_b32 v8, v3, v13, s2
	ds_store_b32 v4, v5
	ds_store_b8 v4, v8 offset:4
	; wave barrier
	ds_load_2addr_b32 v[2:3], v4 offset0:2 offset1:4
	ds_load_u8 v9, v4 offset:12
	ds_load_u8 v10, v4 offset:20
	ds_load_2addr_b32 v[6:7], v4 offset0:6 offset1:8
	ds_load_u8 v11, v4 offset:28
	ds_load_u8 v47, v4 offset:36
	;; [unrolled: 1-line block ×4, first 2 shown]
	ds_load_b32 v50, v4 offset:56
	ds_load_u8 v51, v4 offset:60
	s_wait_dscnt 0x9
	v_add_f32_e32 v5, v5, v2
	s_wait_dscnt 0x8
	v_cmp_eq_u16_e64 s13, 0, v9
	s_delay_alu instid0(VALU_DEP_1) | instskip(SKIP_2) | instid1(VALU_DEP_2)
	v_cndmask_b32_e64 v5, v2, v5, s13
	s_wait_dscnt 0x7
	v_cmp_eq_u16_e64 s13, 0, v10
	v_add_f32_e32 v2, v5, v3
	s_delay_alu instid0(VALU_DEP_1)
	v_cndmask_b32_e64 v52, v3, v2, s13
	s_wait_dscnt 0x5
	v_cmp_eq_u16_e64 s13, 0, v11
	ds_load_2addr_b32 v[2:3], v4 offset0:10 offset1:12
	v_add_f32_e32 v53, v52, v6
	ds_store_2addr_b32 v4, v5, v52 offset0:2 offset1:4
	v_cndmask_b32_e64 v6, v6, v53, s13
	s_delay_alu instid0(VALU_DEP_1) | instskip(NEXT) | instid1(VALU_DEP_1)
	v_dual_add_f32 v53, v6, v7 :: v_dual_bitop2_b32 v9, 1, v9 bitop3:0x40
	v_cmp_eq_u32_e64 s13, 1, v9
	s_delay_alu instid0(VALU_DEP_1) | instskip(SKIP_2) | instid1(VALU_DEP_1)
	v_cndmask_b32_e64 v8, v8, 1, s13
	s_wait_dscnt 0x6
	v_cmp_eq_u16_e64 s13, 0, v47
	v_dual_cndmask_b32 v7, v7, v53, s13 :: v_dual_bitop2_b32 v10, 1, v10 bitop3:0x40
	v_and_b32_e32 v9, 1, v11
	s_delay_alu instid0(VALU_DEP_2) | instskip(SKIP_1) | instid1(VALU_DEP_3)
	v_cmp_eq_u32_e64 s13, 1, v10
	s_wait_dscnt 0x1
	v_dual_add_f32 v47, v7, v2 :: v_dual_bitop2_b32 v11, 1, v47 bitop3:0x40
	s_delay_alu instid0(VALU_DEP_2) | instskip(SKIP_1) | instid1(VALU_DEP_1)
	v_cndmask_b32_e64 v10, v8, 1, s13
	v_cmp_eq_u32_e64 s13, 1, v9
	v_cndmask_b32_e64 v9, v10, 1, s13
	v_cmp_eq_u16_e64 s13, 0, v48
	s_delay_alu instid0(VALU_DEP_1) | instskip(SKIP_1) | instid1(VALU_DEP_2)
	v_dual_cndmask_b32 v2, v2, v47, s13 :: v_dual_bitop2_b32 v53, 1, v48 bitop3:0x40
	v_cmp_eq_u32_e64 s13, 1, v11
	v_add_f32_e32 v48, v2, v3
	s_delay_alu instid0(VALU_DEP_2) | instskip(NEXT) | instid1(VALU_DEP_4)
	v_cndmask_b32_e64 v11, v9, 1, s13
	v_cmp_eq_u32_e64 s13, 1, v53
	s_delay_alu instid0(VALU_DEP_1) | instskip(SKIP_1) | instid1(VALU_DEP_1)
	v_cndmask_b32_e64 v53, v11, 1, s13
	v_cmp_eq_u16_e64 s13, 0, v49
	v_dual_cndmask_b32 v3, v3, v48, s13 :: v_dual_bitop2_b32 v47, 1, v49 bitop3:0x40
	v_and_b32_e32 v54, 1, v51
	s_delay_alu instid0(VALU_DEP_2)
	v_cmp_eq_u32_e64 s13, 1, v47
	ds_store_2addr_b32 v4, v6, v7 offset0:6 offset1:8
	ds_store_2addr_b32 v4, v2, v3 offset0:10 offset1:12
	v_add_f32_e32 v5, v3, v50
	v_cndmask_b32_e64 v47, v53, 1, s13
	v_cmp_eq_u32_e64 s13, 1, v54
	s_delay_alu instid0(VALU_DEP_1) | instskip(SKIP_1) | instid1(VALU_DEP_1)
	v_cndmask_b32_e64 v48, v47, 1, s13
	v_cmp_eq_u16_e64 s13, 0, v51
	v_cndmask_b32_e64 v2, v50, v5, s13
	ds_store_b8 v4, v8 offset:12
	ds_store_b8 v4, v10 offset:20
	;; [unrolled: 1-line block ×6, first 2 shown]
	ds_store_b32 v4, v2 offset:56
	ds_store_b8 v4, v48 offset:60
.LBB1454_91:
	s_or_b32 exec_lo, exec_lo, s15
	s_wait_dscnt 0x0
	s_barrier_signal -1
	s_barrier_wait -1
	s_and_saveexec_b32 s13, s3
	s_cbranch_execz .LBB1454_93
; %bb.92:
	v_add_nc_u32_e32 v2, -1, v0
	s_delay_alu instid0(VALU_DEP_1) | instskip(NEXT) | instid1(VALU_DEP_1)
	v_lshrrev_b32_e32 v3, 2, v2
	v_and_b32_e32 v3, 0x3ffffff8, v3
	s_delay_alu instid0(VALU_DEP_1)
	v_lshl_add_u32 v2, v2, 3, v3
	ds_load_b32 v12, v2
	ds_load_u8 v13, v2 offset:4
.LBB1454_93:
	s_or_b32 exec_lo, exec_lo, s13
	s_and_saveexec_b32 s24, vcc_lo
	s_cbranch_execz .LBB1454_181
; %bb.94:
	v_mov_b32_e32 v5, 0
	v_mbcnt_lo_u32_b32 v47, -1, 0
	s_mov_b32 s15, 0
	ds_load_b64 v[2:3], v5 offset:2096
	v_cmp_eq_u32_e64 s13, 0, v47
	s_and_saveexec_b32 s25, s13
	s_cbranch_execz .LBB1454_96
; %bb.95:
	s_add_co_i32 s14, s36, 32
	v_mov_b32_e32 v4, 1
	s_lshl_b64 s[14:15], s[14:15], 4
	s_delay_alu instid0(SALU_CYCLE_1) | instskip(NEXT) | instid1(SALU_CYCLE_1)
	s_add_nc_u64 s[14:15], s[20:21], s[14:15]
	v_mov_b64_e32 v[6:7], s[14:15]
	s_wait_dscnt 0x0
	;;#ASMSTART
	global_store_b128 v[6:7], v[2:5] off scope:SCOPE_DEV	
s_wait_storecnt 0x0
	;;#ASMEND
.LBB1454_96:
	s_or_b32 exec_lo, exec_lo, s25
	v_xad_u32 v8, v47, -1, s36
	s_mov_b32 s14, exec_lo
	s_delay_alu instid0(VALU_DEP_1) | instskip(NEXT) | instid1(VALU_DEP_1)
	v_add_nc_u32_e32 v4, 32, v8
	v_lshl_add_u64 v[10:11], v[4:5], 4, s[20:21]
	;;#ASMSTART
	global_load_b128 v[4:7], v[10:11] off scope:SCOPE_DEV	
s_wait_loadcnt 0x0
	;;#ASMEND
	v_and_b32_e32 v7, 0xff, v6
	s_delay_alu instid0(VALU_DEP_1)
	v_cmpx_eq_u16_e32 0, v7
	s_cbranch_execz .LBB1454_100
; %bb.97:
	s_mov_b32 s15, 0
.LBB1454_98:                            ; =>This Inner Loop Header: Depth=1
	;;#ASMSTART
	global_load_b128 v[4:7], v[10:11] off scope:SCOPE_DEV	
s_wait_loadcnt 0x0
	;;#ASMEND
	v_and_b32_e32 v7, 0xff, v6
	s_delay_alu instid0(VALU_DEP_1) | instskip(SKIP_1) | instid1(SALU_CYCLE_1)
	v_cmp_ne_u16_e32 vcc_lo, 0, v7
	s_or_b32 s15, vcc_lo, s15
	s_and_not1_b32 exec_lo, exec_lo, s15
	s_cbranch_execnz .LBB1454_98
; %bb.99:
	s_or_b32 exec_lo, exec_lo, s15
.LBB1454_100:
	s_delay_alu instid0(SALU_CYCLE_1)
	s_or_b32 exec_lo, exec_lo, s14
	v_cmp_ne_u32_e32 vcc_lo, 31, v47
	v_and_b32_e32 v10, 0xff, v6
	v_and_b32_e32 v9, 0xff, v5
	v_lshlrev_b32_e64 v49, v47, -1
	s_mov_b32 s14, exec_lo
	v_add_co_ci_u32_e64 v7, null, 0, v47, vcc_lo
	v_cmp_eq_u16_e32 vcc_lo, 2, v10
	s_delay_alu instid0(VALU_DEP_2) | instskip(SKIP_4) | instid1(VALU_DEP_1)
	v_lshlrev_b32_e32 v48, 2, v7
	v_and_or_b32 v7, vcc_lo, v49, 0x80000000
	ds_bpermute_b32 v10, v48, v4
	ds_bpermute_b32 v11, v48, v9
	v_ctz_i32_b32_e32 v7, v7
	v_cmpx_lt_u32_e64 v47, v7
	s_cbranch_execz .LBB1454_102
; %bb.101:
	s_wait_dscnt 0x1
	v_dual_add_f32 v10, v4, v10 :: v_dual_bitop2_b32 v9, 1, v5 bitop3:0x40
	s_wait_dscnt 0x0
	v_and_b32_e32 v11, 1, v11
	v_and_b32_e32 v50, 0xff, v5
	s_delay_alu instid0(VALU_DEP_3) | instskip(NEXT) | instid1(VALU_DEP_3)
	v_cmp_eq_u32_e32 vcc_lo, 1, v9
	v_cndmask_b32_e64 v5, v11, 1, vcc_lo
	s_delay_alu instid0(VALU_DEP_3) | instskip(NEXT) | instid1(VALU_DEP_2)
	v_cmp_eq_u16_e32 vcc_lo, 0, v50
	v_and_b32_e32 v9, 0xffff, v5
	v_cndmask_b32_e32 v4, v4, v10, vcc_lo
.LBB1454_102:
	s_or_b32 exec_lo, exec_lo, s14
	v_cmp_gt_u32_e32 vcc_lo, 30, v47
	v_add_nc_u32_e32 v51, 2, v47
	s_mov_b32 s14, exec_lo
	s_wait_dscnt 0x1
	v_cndmask_b32_e64 v10, 0, 2, vcc_lo
	s_delay_alu instid0(VALU_DEP_1)
	v_add_lshl_u32 v50, v10, v47, 2
	ds_bpermute_b32 v10, v50, v4
	s_wait_dscnt 0x1
	ds_bpermute_b32 v11, v50, v9
	v_cmpx_le_u32_e64 v51, v7
	s_cbranch_execz .LBB1454_104
; %bb.103:
	s_wait_dscnt 0x1
	v_dual_add_f32 v10, v4, v10 :: v_dual_bitop2_b32 v9, 1, v5 bitop3:0x40
	s_wait_dscnt 0x0
	v_and_b32_e32 v11, 1, v11
	v_and_b32_e32 v52, 0xff, v5
	s_delay_alu instid0(VALU_DEP_3) | instskip(NEXT) | instid1(VALU_DEP_3)
	v_cmp_eq_u32_e32 vcc_lo, 1, v9
	v_cndmask_b32_e64 v5, v11, 1, vcc_lo
	s_delay_alu instid0(VALU_DEP_3) | instskip(NEXT) | instid1(VALU_DEP_2)
	v_cmp_eq_u16_e32 vcc_lo, 0, v52
	v_and_b32_e32 v9, 0xffff, v5
	v_cndmask_b32_e32 v4, v4, v10, vcc_lo
.LBB1454_104:
	s_or_b32 exec_lo, exec_lo, s14
	v_cmp_gt_u32_e32 vcc_lo, 28, v47
	v_add_nc_u32_e32 v53, 4, v47
	s_mov_b32 s14, exec_lo
	s_wait_dscnt 0x1
	v_cndmask_b32_e64 v10, 0, 4, vcc_lo
	s_delay_alu instid0(VALU_DEP_1)
	v_add_lshl_u32 v52, v10, v47, 2
	ds_bpermute_b32 v10, v52, v4
	s_wait_dscnt 0x1
	ds_bpermute_b32 v11, v52, v9
	v_cmpx_le_u32_e64 v53, v7
	;; [unrolled: 27-line block ×3, first 2 shown]
	s_cbranch_execz .LBB1454_108
; %bb.107:
	s_wait_dscnt 0x1
	v_dual_add_f32 v10, v4, v10 :: v_dual_bitop2_b32 v9, 1, v5 bitop3:0x40
	s_wait_dscnt 0x0
	v_and_b32_e32 v11, 1, v11
	v_and_b32_e32 v56, 0xff, v5
	s_delay_alu instid0(VALU_DEP_3) | instskip(NEXT) | instid1(VALU_DEP_3)
	v_cmp_eq_u32_e32 vcc_lo, 1, v9
	v_cndmask_b32_e64 v5, v11, 1, vcc_lo
	s_delay_alu instid0(VALU_DEP_3) | instskip(NEXT) | instid1(VALU_DEP_2)
	v_cmp_eq_u16_e32 vcc_lo, 0, v56
	v_and_b32_e32 v9, 0xffff, v5
	v_cndmask_b32_e32 v4, v4, v10, vcc_lo
.LBB1454_108:
	s_or_b32 exec_lo, exec_lo, s14
	v_lshl_or_b32 v58, v47, 2, 64
	v_add_nc_u32_e32 v59, 16, v47
	s_mov_b32 s14, exec_lo
	s_wait_dscnt 0x1
	ds_bpermute_b32 v10, v58, v4
	ds_bpermute_b32 v9, v58, v9
	v_cmpx_le_u32_e64 v59, v7
	s_cbranch_execz .LBB1454_110
; %bb.109:
	v_and_b32_e32 v7, 0xff, v5
	s_wait_dscnt 0x1
	v_dual_add_f32 v10, v4, v10 :: v_dual_bitop2_b32 v5, 1, v5 bitop3:0x40
	s_delay_alu instid0(VALU_DEP_2) | instskip(SKIP_1) | instid1(VALU_DEP_2)
	v_cmp_eq_u16_e32 vcc_lo, 0, v7
	s_wait_dscnt 0x0
	v_dual_cndmask_b32 v4, v4, v10, vcc_lo :: v_dual_bitop2_b32 v9, 1, v9 bitop3:0x40
	s_delay_alu instid0(VALU_DEP_3) | instskip(NEXT) | instid1(VALU_DEP_2)
	v_cmp_eq_u32_e32 vcc_lo, 1, v5
	v_cndmask_b32_e64 v5, v9, 1, vcc_lo
.LBB1454_110:
	s_or_b32 exec_lo, exec_lo, s14
	s_wait_dscnt 0x0
	v_mov_b32_e32 v9, 0
	s_branch .LBB1454_113
.LBB1454_111:                           ;   in Loop: Header=BB1454_113 Depth=1
	s_or_b32 exec_lo, exec_lo, s14
	s_wait_dscnt 0x1
	ds_bpermute_b32 v11, v58, v4
	ds_bpermute_b32 v10, v58, v10
	s_wait_dscnt 0x2
	v_and_b32_e32 v60, 1, v5
	v_and_b32_e32 v61, 0xff, v5
	v_subrev_nc_u32_e32 v8, 32, v8
	s_mov_b32 s14, 0
	s_wait_dscnt 0x1
	v_add_f32_e32 v11, v4, v11
	v_cmp_eq_u32_e32 vcc_lo, 1, v60
	s_wait_dscnt 0x0
	v_cndmask_b32_e64 v10, v10, 1, vcc_lo
	v_cmp_eq_u16_e32 vcc_lo, 0, v61
	v_cndmask_b32_e32 v11, v4, v11, vcc_lo
	v_cmp_gt_u32_e32 vcc_lo, v59, v7
	v_and_b32_e32 v7, 0xff, v56
	s_delay_alu instid0(VALU_DEP_3) | instskip(SKIP_1) | instid1(VALU_DEP_3)
	v_dual_cndmask_b32 v5, v10, v5 :: v_dual_cndmask_b32 v4, v11, v4
	v_and_b32_e32 v10, 1, v56
	v_cmp_eq_u16_e32 vcc_lo, 0, v7
	s_delay_alu instid0(VALU_DEP_3) | instskip(NEXT) | instid1(VALU_DEP_1)
	v_dual_add_f32 v4, v57, v4 :: v_dual_bitop2_b32 v5, 1, v5 bitop3:0x40
	v_cndmask_b32_e32 v4, v57, v4, vcc_lo
	s_delay_alu instid0(VALU_DEP_4) | instskip(NEXT) | instid1(VALU_DEP_3)
	v_cmp_eq_u32_e32 vcc_lo, 1, v10
	v_cndmask_b32_e64 v5, v5, 1, vcc_lo
.LBB1454_112:                           ;   in Loop: Header=BB1454_113 Depth=1
	s_and_b32 vcc_lo, exec_lo, s14
	s_cbranch_vccnz .LBB1454_177
.LBB1454_113:                           ; =>This Loop Header: Depth=1
                                        ;     Child Loop BB1454_116 Depth 2
	v_and_b32_e32 v6, 0xff, v6
	s_delay_alu instid0(VALU_DEP_2) | instskip(SKIP_1) | instid1(VALU_DEP_2)
	v_dual_mov_b32 v56, v5 :: v_dual_mov_b32 v57, v4
	s_mov_b32 s14, -1
	v_cmp_ne_u16_e32 vcc_lo, 2, v6
                                        ; implicit-def: $vgpr5
	s_cmp_lg_u32 vcc_lo, exec_lo
	s_cbranch_scc1 .LBB1454_112
; %bb.114:                              ;   in Loop: Header=BB1454_113 Depth=1
	v_lshl_add_u64 v[10:11], v[8:9], 4, s[20:21]
	;;#ASMSTART
	global_load_b128 v[4:7], v[10:11] off scope:SCOPE_DEV	
s_wait_loadcnt 0x0
	;;#ASMEND
	v_and_b32_e32 v7, 0xff, v6
	s_mov_b32 s14, exec_lo
	s_delay_alu instid0(VALU_DEP_1)
	v_cmpx_eq_u16_e32 0, v7
	s_cbranch_execz .LBB1454_118
; %bb.115:                              ;   in Loop: Header=BB1454_113 Depth=1
	s_mov_b32 s15, 0
.LBB1454_116:                           ;   Parent Loop BB1454_113 Depth=1
                                        ; =>  This Inner Loop Header: Depth=2
	;;#ASMSTART
	global_load_b128 v[4:7], v[10:11] off scope:SCOPE_DEV	
s_wait_loadcnt 0x0
	;;#ASMEND
	v_and_b32_e32 v7, 0xff, v6
	s_delay_alu instid0(VALU_DEP_1) | instskip(SKIP_1) | instid1(SALU_CYCLE_1)
	v_cmp_ne_u16_e32 vcc_lo, 0, v7
	s_or_b32 s15, vcc_lo, s15
	s_and_not1_b32 exec_lo, exec_lo, s15
	s_cbranch_execnz .LBB1454_116
; %bb.117:                              ;   in Loop: Header=BB1454_113 Depth=1
	s_or_b32 exec_lo, exec_lo, s15
.LBB1454_118:                           ;   in Loop: Header=BB1454_113 Depth=1
	s_delay_alu instid0(SALU_CYCLE_1)
	s_or_b32 exec_lo, exec_lo, s14
	v_and_b32_e32 v10, 0xff, v5
	v_and_b32_e32 v7, 0xff, v6
	ds_bpermute_b32 v11, v48, v4
	s_mov_b32 s14, exec_lo
	ds_bpermute_b32 v60, v48, v10
	v_cmp_eq_u16_e32 vcc_lo, 2, v7
	v_and_or_b32 v7, vcc_lo, v49, 0x80000000
	s_delay_alu instid0(VALU_DEP_1) | instskip(NEXT) | instid1(VALU_DEP_1)
	v_ctz_i32_b32_e32 v7, v7
	v_cmpx_lt_u32_e64 v47, v7
	s_cbranch_execz .LBB1454_120
; %bb.119:                              ;   in Loop: Header=BB1454_113 Depth=1
	s_wait_dscnt 0x1
	v_dual_add_f32 v11, v4, v11 :: v_dual_bitop2_b32 v10, 1, v5 bitop3:0x40
	s_wait_dscnt 0x0
	v_and_b32_e32 v60, 1, v60
	v_and_b32_e32 v61, 0xff, v5
	s_delay_alu instid0(VALU_DEP_3) | instskip(NEXT) | instid1(VALU_DEP_3)
	v_cmp_eq_u32_e32 vcc_lo, 1, v10
	v_cndmask_b32_e64 v5, v60, 1, vcc_lo
	s_delay_alu instid0(VALU_DEP_3) | instskip(NEXT) | instid1(VALU_DEP_2)
	v_cmp_eq_u16_e32 vcc_lo, 0, v61
	v_and_b32_e32 v10, 0xffff, v5
	v_cndmask_b32_e32 v4, v4, v11, vcc_lo
.LBB1454_120:                           ;   in Loop: Header=BB1454_113 Depth=1
	s_or_b32 exec_lo, exec_lo, s14
	s_wait_dscnt 0x1
	ds_bpermute_b32 v11, v50, v4
	s_wait_dscnt 0x1
	ds_bpermute_b32 v60, v50, v10
	s_mov_b32 s14, exec_lo
	v_cmpx_le_u32_e64 v51, v7
	s_cbranch_execz .LBB1454_122
; %bb.121:                              ;   in Loop: Header=BB1454_113 Depth=1
	s_wait_dscnt 0x1
	v_dual_add_f32 v11, v4, v11 :: v_dual_bitop2_b32 v10, 1, v5 bitop3:0x40
	s_wait_dscnt 0x0
	v_and_b32_e32 v60, 1, v60
	v_and_b32_e32 v61, 0xff, v5
	s_delay_alu instid0(VALU_DEP_3) | instskip(NEXT) | instid1(VALU_DEP_3)
	v_cmp_eq_u32_e32 vcc_lo, 1, v10
	v_cndmask_b32_e64 v5, v60, 1, vcc_lo
	s_delay_alu instid0(VALU_DEP_3) | instskip(NEXT) | instid1(VALU_DEP_2)
	v_cmp_eq_u16_e32 vcc_lo, 0, v61
	v_and_b32_e32 v10, 0xffff, v5
	v_cndmask_b32_e32 v4, v4, v11, vcc_lo
.LBB1454_122:                           ;   in Loop: Header=BB1454_113 Depth=1
	s_or_b32 exec_lo, exec_lo, s14
	s_wait_dscnt 0x1
	ds_bpermute_b32 v11, v52, v4
	s_wait_dscnt 0x1
	ds_bpermute_b32 v60, v52, v10
	s_mov_b32 s14, exec_lo
	v_cmpx_le_u32_e64 v53, v7
	;; [unrolled: 22-line block ×3, first 2 shown]
	s_cbranch_execz .LBB1454_111
; %bb.125:                              ;   in Loop: Header=BB1454_113 Depth=1
	s_wait_dscnt 0x1
	v_dual_add_f32 v11, v4, v11 :: v_dual_bitop2_b32 v10, 1, v5 bitop3:0x40
	s_wait_dscnt 0x0
	v_and_b32_e32 v60, 1, v60
	v_and_b32_e32 v61, 0xff, v5
	s_delay_alu instid0(VALU_DEP_3) | instskip(NEXT) | instid1(VALU_DEP_3)
	v_cmp_eq_u32_e32 vcc_lo, 1, v10
	v_cndmask_b32_e64 v5, v60, 1, vcc_lo
	s_delay_alu instid0(VALU_DEP_3) | instskip(NEXT) | instid1(VALU_DEP_2)
	v_cmp_eq_u16_e32 vcc_lo, 0, v61
	v_and_b32_e32 v10, 0xffff, v5
	v_cndmask_b32_e32 v4, v4, v11, vcc_lo
	s_branch .LBB1454_111
.LBB1454_126:
	s_or_b32 exec_lo, exec_lo, s14
                                        ; implicit-def: $vgpr15
	s_and_saveexec_b32 s14, s1
	s_cbranch_execz .LBB1454_33
.LBB1454_127:
	flat_load_b32 v15, v0, s[24:25] offset:1024 scale_offset
	s_wait_xcnt 0x0
	s_or_b32 exec_lo, exec_lo, s14
                                        ; implicit-def: $vgpr16
	s_and_saveexec_b32 s1, s4
	s_cbranch_execnz .LBB1454_34
.LBB1454_128:
	s_or_b32 exec_lo, exec_lo, s1
                                        ; implicit-def: $vgpr17
	s_and_saveexec_b32 s1, s5
	s_cbranch_execz .LBB1454_35
.LBB1454_129:
	flat_load_b32 v17, v0, s[24:25] offset:3072 scale_offset
	s_wait_xcnt 0x0
	s_or_b32 exec_lo, exec_lo, s1
                                        ; implicit-def: $vgpr18
	s_and_saveexec_b32 s1, s6
	s_cbranch_execnz .LBB1454_36
.LBB1454_130:
	s_or_b32 exec_lo, exec_lo, s1
                                        ; implicit-def: $vgpr19
	s_and_saveexec_b32 s1, s7
	s_cbranch_execz .LBB1454_37
.LBB1454_131:
	flat_load_b32 v19, v0, s[24:25] offset:5120 scale_offset
	s_wait_xcnt 0x0
	s_or_b32 exec_lo, exec_lo, s1
                                        ; implicit-def: $vgpr20
	s_and_saveexec_b32 s1, s8
	s_cbranch_execnz .LBB1454_38
.LBB1454_132:
	s_or_b32 exec_lo, exec_lo, s1
                                        ; implicit-def: $vgpr21
	s_and_saveexec_b32 s1, s9
	s_cbranch_execz .LBB1454_39
.LBB1454_133:
	flat_load_b32 v21, v0, s[24:25] offset:7168 scale_offset
	s_wait_xcnt 0x0
	s_or_b32 exec_lo, exec_lo, s1
                                        ; implicit-def: $vgpr22
	s_and_saveexec_b32 s1, s10
	s_cbranch_execnz .LBB1454_40
.LBB1454_134:
	s_or_b32 exec_lo, exec_lo, s1
                                        ; implicit-def: $vgpr23
	s_and_saveexec_b32 s1, s11
	s_cbranch_execz .LBB1454_41
.LBB1454_135:
	flat_load_b32 v23, v0, s[24:25] offset:9216 scale_offset
	s_wait_xcnt 0x0
	s_or_b32 exec_lo, exec_lo, s1
                                        ; implicit-def: $vgpr24
	s_and_saveexec_b32 s1, s12
	s_cbranch_execz .LBB1454_43
	s_branch .LBB1454_42
.LBB1454_136:
                                        ; implicit-def: $vgpr13
                                        ; implicit-def: $vgpr9
                                        ; implicit-def: $vgpr5
	s_cbranch_execnz .LBB1454_182
.LBB1454_137:
	s_add_nc_u64 s[2:3], s[18:19], s[28:29]
	s_and_b32 vcc_lo, exec_lo, s0
	s_add_nc_u64 s[0:1], s[2:3], s[16:17]
	s_cbranch_vccz .LBB1454_201
.LBB1454_138:
	v_mul_u32_u24_e32 v1, 12, v0
	s_add_co_i32 s23, s23, s22
	s_mov_b32 s2, exec_lo
	s_delay_alu instid0(VALU_DEP_1)
	v_cmpx_gt_u32_e64 s23, v1
	s_cbranch_execz .LBB1454_154
; %bb.139:
	v_or_b32_e32 v15, 1, v1
	s_mov_b32 s3, exec_lo
	s_delay_alu instid0(VALU_DEP_1)
	v_cmpx_gt_u32_e64 s23, v15
	s_cbranch_execz .LBB1454_153
; %bb.140:
	v_or_b32_e32 v15, 2, v1
	;; [unrolled: 6-line block ×3, first 2 shown]
	s_mov_b32 s5, exec_lo
	s_delay_alu instid0(VALU_DEP_1)
	v_cmpx_gt_u32_e64 s23, v15
	s_cbranch_execz .LBB1454_151
; %bb.142:
	v_add_nc_u32_e32 v15, 4, v1
	s_mov_b32 s6, exec_lo
	s_delay_alu instid0(VALU_DEP_1)
	v_cmpx_gt_u32_e64 s23, v15
	s_cbranch_execz .LBB1454_150
; %bb.143:
	v_add_nc_u32_e32 v15, 5, v1
	;; [unrolled: 6-line block ×4, first 2 shown]
	s_mov_b32 s9, exec_lo
	s_delay_alu instid0(VALU_DEP_1)
	v_cmpx_gt_u32_e64 s23, v15
; %bb.146:
	v_add_nc_u32_e32 v15, 8, v1
	s_mov_b32 s10, exec_lo
	s_delay_alu instid0(VALU_DEP_1)
	v_cmpx_gt_u32_e64 s23, v15
	s_or_b32 exec_lo, exec_lo, s10
; %bb.147:
	s_delay_alu instid0(SALU_CYCLE_1)
	s_or_b32 exec_lo, exec_lo, s9
.LBB1454_148:
	s_delay_alu instid0(SALU_CYCLE_1)
	s_or_b32 exec_lo, exec_lo, s8
.LBB1454_149:
	s_delay_alu instid0(SALU_CYCLE_1)
	s_or_b32 exec_lo, exec_lo, s7
.LBB1454_150:
	s_delay_alu instid0(SALU_CYCLE_1)
	s_or_b32 exec_lo, exec_lo, s6
.LBB1454_151:
	s_delay_alu instid0(SALU_CYCLE_1)
	s_or_b32 exec_lo, exec_lo, s5
.LBB1454_152:
	s_delay_alu instid0(SALU_CYCLE_1)
	s_or_b32 exec_lo, exec_lo, s4
.LBB1454_153:
	s_delay_alu instid0(SALU_CYCLE_1)
	s_or_b32 exec_lo, exec_lo, s3
.LBB1454_154:
	s_delay_alu instid0(SALU_CYCLE_1) | instskip(SKIP_3) | instid1(VALU_DEP_1)
	s_or_b32 exec_lo, exec_lo, s2
	v_lshlrev_b32_e32 v1, 2, v1
	s_barrier_signal -1
	s_barrier_wait -1
	v_mad_i32_i24 v15, 0xffffffd4, v0, v1
	ds_store_b128 v1, v[2:5]
	ds_store_b128 v1, v[6:9] offset:16
	ds_store_b128 v1, v[10:13] offset:32
	s_wait_dscnt 0x0
	s_barrier_signal -1
	s_barrier_wait -1
	ds_load_2addr_stride64_b32 v[26:27], v15 offset0:4 offset1:8
	ds_load_2addr_stride64_b32 v[24:25], v15 offset0:12 offset1:16
	;; [unrolled: 1-line block ×5, first 2 shown]
	ds_load_b32 v17, v15 offset:11264
	v_mov_b32_e32 v15, 0
	s_mov_b32 s2, exec_lo
	s_delay_alu instid0(VALU_DEP_1)
	v_add_nc_u64_e32 v[14:15], s[0:1], v[14:15]
	v_cmpx_gt_u32_e64 s23, v0
	s_cbranch_execz .LBB1454_156
; %bb.155:
	v_mul_i32_i24_e32 v16, 0xffffffd4, v0
	s_delay_alu instid0(VALU_DEP_1)
	v_add_nc_u32_e32 v1, v1, v16
	ds_load_b32 v1, v1
	s_wait_dscnt 0x0
	flat_store_b32 v[14:15], v1
.LBB1454_156:
	s_wait_xcnt 0x0
	s_or_b32 exec_lo, exec_lo, s2
	v_or_b32_e32 v1, 0x100, v0
	s_mov_b32 s2, exec_lo
	s_delay_alu instid0(VALU_DEP_1)
	v_cmpx_gt_u32_e64 s23, v1
	s_cbranch_execz .LBB1454_158
; %bb.157:
	s_wait_dscnt 0x5
	flat_store_b32 v[14:15], v26 offset:1024
.LBB1454_158:
	s_wait_xcnt 0x0
	s_or_b32 exec_lo, exec_lo, s2
	v_or_b32_e32 v1, 0x200, v0
	s_mov_b32 s2, exec_lo
	s_delay_alu instid0(VALU_DEP_1)
	v_cmpx_gt_u32_e64 s23, v1
	s_cbranch_execz .LBB1454_160
; %bb.159:
	s_wait_dscnt 0x5
	flat_store_b32 v[14:15], v27 offset:2048
.LBB1454_160:
	;; [unrolled: 11-line block ×10, first 2 shown]
	s_wait_xcnt 0x0
	s_or_b32 exec_lo, exec_lo, s2
	v_or_b32_e32 v1, 0xb00, v0
	s_delay_alu instid0(VALU_DEP_1)
	v_cmp_gt_u32_e64 s2, s23, v1
	s_branch .LBB1454_203
.LBB1454_177:
	s_and_saveexec_b32 s14, s13
	s_cbranch_execz .LBB1454_179
; %bb.178:
	v_and_b32_e32 v4, 0xff, v3
	v_dual_add_f32 v5, v57, v2 :: v_dual_bitop2_b32 v3, 1, v3 bitop3:0x40
	s_mov_b32 s35, 0
	s_add_co_i32 s34, s36, 32
	s_delay_alu instid0(VALU_DEP_2)
	v_cmp_eq_u32_e32 vcc_lo, 0, v4
	v_and_b32_e32 v6, 1, v56
	s_lshl_b64 s[34:35], s[34:35], 4
	v_mov_b32_e32 v4, 2
	s_add_nc_u64 s[34:35], s[20:21], s[34:35]
	v_cndmask_b32_e32 v2, v2, v5, vcc_lo
	v_cmp_eq_u32_e32 vcc_lo, 1, v3
	v_mov_b32_e32 v5, 0
	v_cndmask_b32_e64 v3, v6, 1, vcc_lo
	v_mov_b64_e32 v[6:7], s[34:35]
	;;#ASMSTART
	global_store_b128 v[6:7], v[2:5] off scope:SCOPE_DEV	
s_wait_storecnt 0x0
	;;#ASMEND
.LBB1454_179:
	s_or_b32 exec_lo, exec_lo, s14
	s_delay_alu instid0(SALU_CYCLE_1)
	s_and_b32 exec_lo, exec_lo, s2
	s_cbranch_execz .LBB1454_181
; %bb.180:
	v_mov_b32_e32 v2, 0
	ds_store_b32 v2, v57
	ds_store_b8 v2, v56 offset:4
.LBB1454_181:
	s_or_b32 exec_lo, exec_lo, s24
	s_wait_dscnt 0x0
	v_cmp_eq_u32_e32 vcc_lo, 0, v13
	v_mov_b32_e32 v2, 0
	s_barrier_signal -1
	s_barrier_wait -1
	ds_load_b32 v2, v2
	s_wait_dscnt 0x0
	v_add_f32_e32 v3, v12, v2
	s_delay_alu instid0(VALU_DEP_1) | instskip(SKIP_1) | instid1(VALU_DEP_2)
	v_cndmask_b32_e32 v3, v12, v3, vcc_lo
	v_cmp_eq_u16_e32 vcc_lo, 0, v30
	v_cndmask_b32_e64 v2, v3, v2, s2
	s_delay_alu instid0(VALU_DEP_1) | instskip(NEXT) | instid1(VALU_DEP_1)
	v_add_f32_e32 v3, v27, v2
	v_cndmask_b32_e32 v3, v27, v3, vcc_lo
	s_delay_alu instid0(VALU_DEP_1) | instskip(NEXT) | instid1(VALU_DEP_1)
	v_add_f32_e32 v4, v15, v3
	v_cndmask_b32_e64 v4, v15, v4, s1
	s_delay_alu instid0(VALU_DEP_1) | instskip(NEXT) | instid1(VALU_DEP_1)
	v_add_f32_e32 v5, v25, v4
	v_cndmask_b32_e64 v5, v25, v5, s4
	s_delay_alu instid0(VALU_DEP_1) | instskip(NEXT) | instid1(VALU_DEP_1)
	v_add_f32_e32 v6, v23, v5
	v_cndmask_b32_e64 v6, v23, v6, s5
	s_delay_alu instid0(VALU_DEP_1) | instskip(NEXT) | instid1(VALU_DEP_1)
	v_add_f32_e32 v7, v22, v6
	v_cndmask_b32_e64 v7, v22, v7, s6
	s_delay_alu instid0(VALU_DEP_1) | instskip(NEXT) | instid1(VALU_DEP_1)
	v_add_f32_e32 v8, v20, v7
	v_cndmask_b32_e64 v8, v20, v8, s7
	s_delay_alu instid0(VALU_DEP_1) | instskip(NEXT) | instid1(VALU_DEP_1)
	v_add_f32_e32 v9, v19, v8
	v_cndmask_b32_e64 v9, v19, v9, s8
	s_delay_alu instid0(VALU_DEP_1) | instskip(NEXT) | instid1(VALU_DEP_1)
	v_add_f32_e32 v10, v18, v9
	v_cndmask_b32_e64 v10, v18, v10, s9
	s_delay_alu instid0(VALU_DEP_1) | instskip(NEXT) | instid1(VALU_DEP_1)
	v_add_f32_e32 v11, v17, v10
	v_cndmask_b32_e64 v11, v17, v11, s10
	s_delay_alu instid0(VALU_DEP_1) | instskip(NEXT) | instid1(VALU_DEP_1)
	v_add_f32_e32 v12, v1, v11
	v_cndmask_b32_e64 v12, v1, v12, s11
	s_delay_alu instid0(VALU_DEP_1) | instskip(NEXT) | instid1(VALU_DEP_1)
	v_add_f32_e32 v13, v16, v12
	v_cndmask_b32_e64 v13, v16, v13, s12
	s_branch .LBB1454_137
.LBB1454_182:
	s_cmp_eq_u64 s[30:31], 0
	v_mov_b32_e32 v47, s33
	s_cselect_b32 s1, -1, 0
	s_cmp_eq_u64 s[26:27], 0
	s_cselect_b32 s4, -1, 0
	s_delay_alu instid0(SALU_CYCLE_1) | instskip(NEXT) | instid1(SALU_CYCLE_1)
	s_or_b32 s1, s1, s4
	s_and_b32 vcc_lo, exec_lo, s1
	s_cbranch_vccnz .LBB1454_184
; %bb.183:
	v_mov_b32_e32 v2, 0
	global_load_b32 v47, v2, s[26:27]
.LBB1454_184:
	v_cmp_eq_u16_e32 vcc_lo, 0, v46
	v_cmp_eq_u16_e64 s1, 0, v45
	v_cmp_eq_u16_e64 s4, 0, v44
	;; [unrolled: 1-line block ×4, first 2 shown]
	s_wait_xcnt 0x0
	v_dual_cndmask_b32 v2, v15, v43, vcc_lo :: v_dual_bitop2_b32 v4, 56, v34 bitop3:0x40
	v_cmp_eq_u16_e64 s7, 0, v40
	v_cmp_eq_u16_e64 s8, 0, v39
	;; [unrolled: 1-line block ×3, first 2 shown]
	s_delay_alu instid0(VALU_DEP_4)
	v_add_f32_e32 v2, v25, v2
	v_cmp_eq_u16_e64 s10, 0, v37
	v_bitop3_b16 v3, v36, v26, v28 bitop3:0xfe
	v_cmp_eq_u16_e64 s11, 0, v35
	v_lshl_add_u32 v4, v0, 3, v4
	v_cndmask_b32_e64 v2, v25, v2, s1
	s_mov_b32 s14, exec_lo
	v_bitop3_b16 v3, v3, v29, v24 bitop3:0xfe
	s_delay_alu instid0(VALU_DEP_2) | instskip(NEXT) | instid1(VALU_DEP_2)
	v_add_f32_e32 v2, v23, v2
	v_bitop3_b16 v3, v33, 0xff, v3 bitop3:0xc8
	s_delay_alu instid0(VALU_DEP_2) | instskip(NEXT) | instid1(VALU_DEP_2)
	v_cndmask_b32_e64 v2, v23, v2, s4
	v_cmp_eq_u16_e64 s12, 0, v3
	s_delay_alu instid0(VALU_DEP_2) | instskip(NEXT) | instid1(VALU_DEP_2)
	v_add_f32_e32 v2, v22, v2
	v_cndmask_b32_e64 v3, 1, v30, s12
	v_cmp_eq_u16_e64 s12, 0, v31
	s_delay_alu instid0(VALU_DEP_3) | instskip(NEXT) | instid1(VALU_DEP_1)
	v_cndmask_b32_e64 v2, v22, v2, s5
	v_add_f32_e32 v2, v20, v2
	s_delay_alu instid0(VALU_DEP_1) | instskip(NEXT) | instid1(VALU_DEP_1)
	v_cndmask_b32_e64 v2, v20, v2, s6
	v_add_f32_e32 v2, v19, v2
	s_delay_alu instid0(VALU_DEP_1) | instskip(NEXT) | instid1(VALU_DEP_1)
	;; [unrolled: 3-line block ×6, first 2 shown]
	v_cndmask_b32_e64 v2, v16, v2, s11
	v_add_f32_e32 v2, v21, v2
	s_delay_alu instid0(VALU_DEP_1) | instskip(SKIP_1) | instid1(VALU_DEP_1)
	v_cndmask_b32_e64 v5, v21, v2, s12
	v_cmp_eq_u32_e64 s12, 1, v32
	v_cndmask_b32_e64 v6, v3, 1, s12
	ds_store_b32 v4, v5
	ds_store_b8 v4, v6 offset:4
	s_wait_loadcnt_dscnt 0x0
	s_barrier_signal -1
	s_barrier_wait -1
	v_cmpx_gt_u32_e32 32, v0
	s_cbranch_execz .LBB1454_196
; %bb.185:
	v_dual_lshlrev_b32 v2, 1, v0 :: v_dual_lshlrev_b32 v3, 6, v0
	s_mov_b32 s15, exec_lo
	s_delay_alu instid0(VALU_DEP_1) | instskip(NEXT) | instid1(VALU_DEP_1)
	v_and_b32_e32 v2, 0x1f8, v2
	v_add_nc_u32_e32 v4, v2, v3
	ds_load_2addr_b32 v[8:9], v4 offset0:2 offset1:4
	ds_load_b64 v[2:3], v4
	ds_load_u8 v7, v4 offset:12
	ds_load_2addr_b32 v[10:11], v4 offset0:6 offset1:8
	ds_load_u8 v12, v4 offset:20
	ds_load_u8 v13, v4 offset:28
	;; [unrolled: 1-line block ×5, first 2 shown]
	ds_load_b32 v28, v4 offset:56
	s_wait_dscnt 0x8
	v_add_f32_e32 v29, v2, v8
	s_wait_dscnt 0x7
	v_cmp_eq_u16_e64 s12, 0, v7
	s_wait_dscnt 0x5
	v_or_b32_e32 v7, v12, v7
	s_delay_alu instid0(VALU_DEP_2) | instskip(SKIP_2) | instid1(VALU_DEP_3)
	v_cndmask_b32_e64 v8, v8, v29, s12
	v_cmp_eq_u16_e64 s12, 0, v12
	s_wait_dscnt 0x3
	v_bitop3_b16 v7, v7, v21, v13 bitop3:0xfe
	s_delay_alu instid0(VALU_DEP_3) | instskip(NEXT) | instid1(VALU_DEP_1)
	v_add_f32_e32 v8, v9, v8
	v_cndmask_b32_e64 v29, v9, v8, s12
	ds_load_2addr_b32 v[8:9], v4 offset0:10 offset1:12
	v_cmp_eq_u16_e64 s12, 0, v13
	v_and_b32_e32 v13, 0xffffff00, v3
	v_add_f32_e32 v29, v10, v29
	s_delay_alu instid0(VALU_DEP_1) | instskip(SKIP_3) | instid1(VALU_DEP_1)
	v_cndmask_b32_e64 v10, v10, v29, s12
	v_cmp_eq_u16_e64 s12, 0, v21
	ds_load_u8 v29, v4 offset:60
	v_add_f32_e32 v10, v11, v10
	v_cndmask_b32_e64 v10, v11, v10, s12
	s_wait_dscnt 0x4
	v_cmp_eq_u16_e64 s12, 0, v24
	s_wait_dscnt 0x1
	s_delay_alu instid0(VALU_DEP_2) | instskip(NEXT) | instid1(VALU_DEP_1)
	v_add_f32_e32 v10, v8, v10
	v_cndmask_b32_e64 v8, v8, v10, s12
	v_bitop3_b16 v10, v7, v26, v24 bitop3:0xfe
	v_and_b32_e32 v7, 1, v3
	s_wait_dscnt 0x0
	v_and_b32_e32 v11, 1, v29
	s_delay_alu instid0(VALU_DEP_3) | instskip(NEXT) | instid1(VALU_DEP_1)
	v_cmp_eq_u16_e64 s12, 0, v10
	v_dual_add_f32 v8, v9, v8 :: v_dual_cndmask_b32 v10, 1, v7, s12
	v_cmp_eq_u16_e64 s12, 0, v26
	s_delay_alu instid0(VALU_DEP_1) | instskip(SKIP_1) | instid1(VALU_DEP_1)
	v_cndmask_b32_e64 v8, v9, v8, s12
	v_cmp_eq_u32_e64 s12, 1, v11
	v_cndmask_b32_e64 v11, v10, 1, s12
	v_cmp_eq_u16_e64 s12, 0, v29
	s_delay_alu instid0(VALU_DEP_2) | instskip(SKIP_1) | instid1(VALU_DEP_2)
	v_dual_add_f32 v9, v28, v8 :: v_dual_bitop2_b32 v10, v11, v13 bitop3:0x54
	v_mbcnt_lo_u32_b32 v8, -1, 0
	v_mov_b32_dpp v24, v10 row_shr:1 row_mask:0xf bank_mask:0xf
	s_delay_alu instid0(VALU_DEP_2) | instskip(NEXT) | instid1(VALU_DEP_1)
	v_dual_cndmask_b32 v9, v28, v9, s12 :: v_dual_bitop2_b32 v12, 15, v8 bitop3:0x40
	v_mov_b32_dpp v21, v9 row_shr:1 row_mask:0xf bank_mask:0xf
	s_delay_alu instid0(VALU_DEP_2)
	v_cmpx_ne_u32_e32 0, v12
	s_cbranch_execz .LBB1454_187
; %bb.186:
	s_delay_alu instid0(VALU_DEP_2) | instskip(SKIP_2) | instid1(VALU_DEP_3)
	v_dual_add_f32 v21, v9, v21 :: v_dual_bitop2_b32 v10, 1, v11 bitop3:0x40
	v_cmp_eq_u32_e64 s12, 0, v11
	v_and_b32_e32 v24, 1, v24
	v_cmp_eq_u32_e64 s13, 1, v10
	s_delay_alu instid0(VALU_DEP_3) | instskip(NEXT) | instid1(VALU_DEP_2)
	v_cndmask_b32_e64 v9, v9, v21, s12
	v_cndmask_b32_e64 v11, v24, 1, s13
	s_delay_alu instid0(VALU_DEP_1)
	v_or_b32_e32 v10, v11, v13
.LBB1454_187:
	s_or_b32 exec_lo, exec_lo, s15
	s_delay_alu instid0(VALU_DEP_3) | instskip(NEXT) | instid1(VALU_DEP_2)
	v_mov_b32_dpp v13, v9 row_shr:2 row_mask:0xf bank_mask:0xf
	v_mov_b32_dpp v21, v10 row_shr:2 row_mask:0xf bank_mask:0xf
	s_mov_b32 s15, exec_lo
	v_cmpx_lt_u32_e32 1, v12
	s_cbranch_execz .LBB1454_189
; %bb.188:
	v_dual_add_f32 v13, v9, v13 :: v_dual_bitop2_b32 v24, 1, v11 bitop3:0x40
	v_and_b32_e32 v21, 1, v21
	v_cmp_eq_u32_e64 s12, 0, v11
	s_delay_alu instid0(VALU_DEP_3) | instskip(NEXT) | instid1(VALU_DEP_2)
	v_cmp_eq_u32_e64 s13, 1, v24
	v_cndmask_b32_e64 v9, v9, v13, s12
	s_delay_alu instid0(VALU_DEP_2) | instskip(NEXT) | instid1(VALU_DEP_1)
	v_cndmask_b32_e64 v11, v21, 1, s13
	v_and_or_b32 v10, 0xffffff00, v10, v11
.LBB1454_189:
	s_or_b32 exec_lo, exec_lo, s15
	s_delay_alu instid0(VALU_DEP_3) | instskip(NEXT) | instid1(VALU_DEP_2)
	v_mov_b32_dpp v13, v9 row_shr:4 row_mask:0xf bank_mask:0xf
	v_mov_b32_dpp v21, v10 row_shr:4 row_mask:0xf bank_mask:0xf
	s_mov_b32 s15, exec_lo
	v_cmpx_lt_u32_e32 3, v12
	s_cbranch_execz .LBB1454_191
; %bb.190:
	v_dual_add_f32 v13, v9, v13 :: v_dual_bitop2_b32 v24, 1, v11 bitop3:0x40
	v_and_b32_e32 v21, 1, v21
	v_cmp_eq_u32_e64 s12, 0, v11
	s_delay_alu instid0(VALU_DEP_3) | instskip(NEXT) | instid1(VALU_DEP_2)
	v_cmp_eq_u32_e64 s13, 1, v24
	v_cndmask_b32_e64 v9, v9, v13, s12
	s_delay_alu instid0(VALU_DEP_2) | instskip(NEXT) | instid1(VALU_DEP_1)
	v_cndmask_b32_e64 v11, v21, 1, s13
	v_and_or_b32 v10, 0xffffff00, v10, v11
.LBB1454_191:
	;; [unrolled: 18-line block ×3, first 2 shown]
	s_or_b32 exec_lo, exec_lo, s15
	ds_swizzle_b32 v12, v9 offset:swizzle(BROADCAST,32,15)
	ds_swizzle_b32 v13, v10 offset:swizzle(BROADCAST,32,15)
	v_and_b32_e32 v21, 16, v8
	s_mov_b32 s13, exec_lo
	s_delay_alu instid0(VALU_DEP_1)
	v_cmpx_ne_u32_e32 0, v21
	s_cbranch_execz .LBB1454_195
; %bb.194:
	s_wait_dscnt 0x1
	v_dual_add_f32 v12, v9, v12 :: v_dual_bitop2_b32 v21, 1, v11 bitop3:0x40
	s_wait_dscnt 0x0
	v_and_b32_e32 v13, 1, v13
	s_delay_alu instid0(VALU_DEP_2) | instskip(NEXT) | instid1(VALU_DEP_1)
	v_cmp_eq_u32_e64 s12, 1, v21
	v_cndmask_b32_e64 v13, v13, 1, s12
	v_cmp_eq_u32_e64 s12, 0, v11
	s_delay_alu instid0(VALU_DEP_2) | instskip(NEXT) | instid1(VALU_DEP_2)
	v_and_or_b32 v10, 0xffffff00, v10, v13
	v_cndmask_b32_e64 v9, v9, v12, s12
.LBB1454_195:
	s_or_b32 exec_lo, exec_lo, s13
	v_add_nc_u32_e32 v11, -1, v8
	v_and_b32_e32 v3, 0xff, v3
	; wave barrier
	s_delay_alu instid0(VALU_DEP_2) | instskip(NEXT) | instid1(VALU_DEP_1)
	v_cmp_gt_i32_e64 s12, 0, v11
	v_cndmask_b32_e64 v8, v11, v8, s12
	s_delay_alu instid0(VALU_DEP_3) | instskip(NEXT) | instid1(VALU_DEP_2)
	v_cmp_eq_u32_e64 s12, 0, v3
	v_lshlrev_b32_e32 v8, 2, v8
	ds_bpermute_b32 v9, v8, v9
	ds_bpermute_b32 v8, v8, v10
	s_wait_dscnt 0x0
	v_dual_add_f32 v9, v2, v9 :: v_dual_bitop2_b32 v8, 1, v8 bitop3:0x40
	s_delay_alu instid0(VALU_DEP_1) | instskip(SKIP_1) | instid1(VALU_DEP_1)
	v_cndmask_b32_e64 v2, v2, v9, s12
	v_cmp_eq_u32_e64 s12, 1, v7
	v_cndmask_b32_e64 v3, v8, 1, s12
	s_delay_alu instid0(VALU_DEP_1)
	v_dual_cndmask_b32 v5, v2, v5, s2 :: v_dual_cndmask_b32 v8, v3, v6, s2
	ds_store_b32 v4, v5
	ds_store_b8 v4, v8 offset:4
	; wave barrier
	ds_load_2addr_b32 v[2:3], v4 offset0:2 offset1:4
	ds_load_u8 v9, v4 offset:12
	ds_load_u8 v10, v4 offset:20
	ds_load_2addr_b32 v[6:7], v4 offset0:6 offset1:8
	ds_load_u8 v11, v4 offset:28
	ds_load_u8 v12, v4 offset:36
	;; [unrolled: 1-line block ×4, first 2 shown]
	ds_load_b32 v24, v4 offset:56
	ds_load_u8 v26, v4 offset:60
	s_wait_dscnt 0x9
	v_add_f32_e32 v5, v5, v2
	s_wait_dscnt 0x8
	v_cmp_eq_u16_e64 s12, 0, v9
	s_delay_alu instid0(VALU_DEP_1) | instskip(SKIP_2) | instid1(VALU_DEP_2)
	v_cndmask_b32_e64 v5, v2, v5, s12
	s_wait_dscnt 0x7
	v_cmp_eq_u16_e64 s12, 0, v10
	v_add_f32_e32 v2, v5, v3
	s_delay_alu instid0(VALU_DEP_1)
	v_cndmask_b32_e64 v28, v3, v2, s12
	s_wait_dscnt 0x5
	v_cmp_eq_u16_e64 s12, 0, v11
	ds_load_2addr_b32 v[2:3], v4 offset0:10 offset1:12
	v_add_f32_e32 v29, v28, v6
	ds_store_2addr_b32 v4, v5, v28 offset0:2 offset1:4
	v_cndmask_b32_e64 v6, v6, v29, s12
	s_delay_alu instid0(VALU_DEP_1) | instskip(NEXT) | instid1(VALU_DEP_1)
	v_dual_add_f32 v29, v6, v7 :: v_dual_bitop2_b32 v9, 1, v9 bitop3:0x40
	v_cmp_eq_u32_e64 s12, 1, v9
	s_delay_alu instid0(VALU_DEP_1) | instskip(SKIP_2) | instid1(VALU_DEP_1)
	v_cndmask_b32_e64 v8, v8, 1, s12
	s_wait_dscnt 0x6
	v_cmp_eq_u16_e64 s12, 0, v12
	v_dual_cndmask_b32 v7, v7, v29, s12 :: v_dual_bitop2_b32 v10, 1, v10 bitop3:0x40
	v_and_b32_e32 v9, 1, v11
	s_delay_alu instid0(VALU_DEP_2) | instskip(SKIP_1) | instid1(VALU_DEP_3)
	v_cmp_eq_u32_e64 s12, 1, v10
	s_wait_dscnt 0x1
	v_dual_add_f32 v12, v7, v2 :: v_dual_bitop2_b32 v11, 1, v12 bitop3:0x40
	s_delay_alu instid0(VALU_DEP_2) | instskip(SKIP_1) | instid1(VALU_DEP_1)
	v_cndmask_b32_e64 v10, v8, 1, s12
	v_cmp_eq_u32_e64 s12, 1, v9
	v_cndmask_b32_e64 v9, v10, 1, s12
	v_cmp_eq_u16_e64 s12, 0, v13
	s_delay_alu instid0(VALU_DEP_1) | instskip(SKIP_1) | instid1(VALU_DEP_2)
	v_dual_cndmask_b32 v2, v2, v12, s12 :: v_dual_bitop2_b32 v29, 1, v13 bitop3:0x40
	v_cmp_eq_u32_e64 s12, 1, v11
	v_add_f32_e32 v13, v2, v3
	s_delay_alu instid0(VALU_DEP_2) | instskip(NEXT) | instid1(VALU_DEP_4)
	v_cndmask_b32_e64 v11, v9, 1, s12
	v_cmp_eq_u32_e64 s12, 1, v29
	s_delay_alu instid0(VALU_DEP_1) | instskip(SKIP_1) | instid1(VALU_DEP_1)
	v_cndmask_b32_e64 v29, v11, 1, s12
	v_cmp_eq_u16_e64 s12, 0, v21
	v_dual_cndmask_b32 v3, v3, v13, s12 :: v_dual_bitop2_b32 v31, 1, v26 bitop3:0x40
	v_and_b32_e32 v12, 1, v21
	ds_store_2addr_b32 v4, v6, v7 offset0:6 offset1:8
	ds_store_2addr_b32 v4, v2, v3 offset0:10 offset1:12
	v_add_f32_e32 v5, v3, v24
	v_cmp_eq_u32_e64 s12, 1, v12
	s_delay_alu instid0(VALU_DEP_1) | instskip(SKIP_1) | instid1(VALU_DEP_1)
	v_cndmask_b32_e64 v12, v29, 1, s12
	v_cmp_eq_u32_e64 s12, 1, v31
	v_cndmask_b32_e64 v13, v12, 1, s12
	v_cmp_eq_u16_e64 s12, 0, v26
	s_delay_alu instid0(VALU_DEP_1)
	v_cndmask_b32_e64 v2, v24, v5, s12
	ds_store_b8 v4, v8 offset:12
	ds_store_b8 v4, v10 offset:20
	ds_store_b8 v4, v9 offset:28
	ds_store_b8 v4, v11 offset:36
	ds_store_b8 v4, v29 offset:44
	ds_store_b8 v4, v12 offset:52
	ds_store_b32 v4, v2 offset:56
	ds_store_b8 v4, v13 offset:60
.LBB1454_196:
	s_or_b32 exec_lo, exec_lo, s14
	v_mov_b32_e32 v2, v47
	s_wait_dscnt 0x0
	s_barrier_signal -1
	s_barrier_wait -1
	s_and_saveexec_b32 s12, s3
	s_cbranch_execz .LBB1454_198
; %bb.197:
	v_add_nc_u32_e32 v2, -1, v0
	s_delay_alu instid0(VALU_DEP_1) | instskip(NEXT) | instid1(VALU_DEP_1)
	v_lshrrev_b32_e32 v3, 2, v2
	v_and_b32_e32 v3, 0x3ffffff8, v3
	s_delay_alu instid0(VALU_DEP_1)
	v_lshl_add_u32 v2, v2, 3, v3
	ds_load_b32 v3, v2
	ds_load_u8 v2, v2 offset:4
	s_wait_dscnt 0x1
	v_add_f32_e32 v4, v47, v3
	s_wait_dscnt 0x0
	v_cmp_eq_u16_e64 s3, 0, v2
	s_delay_alu instid0(VALU_DEP_1)
	v_cndmask_b32_e64 v2, v3, v4, s3
.LBB1454_198:
	s_or_b32 exec_lo, exec_lo, s12
	s_delay_alu instid0(VALU_DEP_1) | instskip(SKIP_1) | instid1(VALU_DEP_1)
	v_add_f32_e32 v3, v27, v2
	v_cmp_eq_u16_e64 s3, 0, v30
	v_cndmask_b32_e64 v3, v27, v3, s3
	s_delay_alu instid0(VALU_DEP_1) | instskip(NEXT) | instid1(VALU_DEP_1)
	v_add_f32_e32 v4, v15, v3
	v_cndmask_b32_e32 v4, v15, v4, vcc_lo
	s_delay_alu instid0(VALU_DEP_1) | instskip(NEXT) | instid1(VALU_DEP_1)
	v_add_f32_e32 v5, v25, v4
	v_cndmask_b32_e64 v5, v25, v5, s1
	s_delay_alu instid0(VALU_DEP_1) | instskip(NEXT) | instid1(VALU_DEP_1)
	v_add_f32_e32 v6, v23, v5
	v_cndmask_b32_e64 v6, v23, v6, s4
	s_delay_alu instid0(VALU_DEP_1) | instskip(NEXT) | instid1(VALU_DEP_1)
	v_add_f32_e32 v7, v22, v6
	v_cndmask_b32_e64 v7, v22, v7, s5
	s_delay_alu instid0(VALU_DEP_1) | instskip(NEXT) | instid1(VALU_DEP_1)
	v_add_f32_e32 v8, v20, v7
	v_cndmask_b32_e64 v8, v20, v8, s6
	s_delay_alu instid0(VALU_DEP_1) | instskip(NEXT) | instid1(VALU_DEP_1)
	v_add_f32_e32 v9, v19, v8
	v_cndmask_b32_e64 v9, v19, v9, s7
	s_delay_alu instid0(VALU_DEP_1) | instskip(NEXT) | instid1(VALU_DEP_1)
	v_add_f32_e32 v10, v18, v9
	v_cndmask_b32_e64 v10, v18, v10, s8
	s_delay_alu instid0(VALU_DEP_1) | instskip(NEXT) | instid1(VALU_DEP_1)
	v_add_f32_e32 v11, v17, v10
	v_cndmask_b32_e64 v11, v17, v11, s9
	s_delay_alu instid0(VALU_DEP_1) | instskip(NEXT) | instid1(VALU_DEP_1)
	v_add_f32_e32 v12, v1, v11
	v_cndmask_b32_e64 v12, v1, v12, s10
	s_delay_alu instid0(VALU_DEP_1) | instskip(NEXT) | instid1(VALU_DEP_1)
	v_add_f32_e32 v1, v16, v12
	v_cndmask_b32_e64 v13, v16, v1, s11
	s_and_saveexec_b32 s1, s2
	s_cbranch_execz .LBB1454_200
; %bb.199:
	v_mov_b32_e32 v21, 0
	s_add_nc_u64 s[2:3], s[20:21], 0x200
	ds_load_u8 v1, v21 offset:2100
	ds_load_b32 v15, v21 offset:2096
	s_wait_dscnt 0x1
	v_and_b32_e32 v20, 0xffff, v1
	s_wait_dscnt 0x0
	v_dual_add_f32 v1, v47, v15 :: v_dual_mov_b32 v18, 2
	v_mov_b32_e32 v19, v21
	s_delay_alu instid0(VALU_DEP_3)
	v_cmp_eq_u64_e32 vcc_lo, 0, v[20:21]
	v_mov_b32_e32 v17, v20
	v_mov_b64_e32 v[20:21], s[2:3]
	v_cndmask_b32_e32 v16, v15, v1, vcc_lo
	;;#ASMSTART
	global_store_b128 v[20:21], v[16:19] off scope:SCOPE_DEV	
s_wait_storecnt 0x0
	;;#ASMEND
.LBB1454_200:
	s_or_b32 exec_lo, exec_lo, s1
	s_add_nc_u64 s[2:3], s[18:19], s[28:29]
	s_and_b32 vcc_lo, exec_lo, s0
	s_add_nc_u64 s[0:1], s[2:3], s[16:17]
	s_cbranch_vccnz .LBB1454_138
.LBB1454_201:
	s_mov_b32 s2, 0
                                        ; implicit-def: $vgpr17
	s_cbranch_execz .LBB1454_203
; %bb.202:
	v_mul_u32_u24_e32 v1, 48, v0
	v_mul_i32_i24_e32 v14, 0xffffffd4, v0
	s_wait_storecnt_dscnt 0x0
	s_barrier_signal -1
	s_barrier_wait -1
	ds_store_b128 v1, v[2:5]
	ds_store_b128 v1, v[6:9] offset:16
	ds_store_b128 v1, v[10:13] offset:32
	v_mad_u32_u24 v1, v0, 48, v14
	s_wait_dscnt 0x0
	s_barrier_signal -1
	s_barrier_wait -1
	ds_load_2addr_stride64_b32 v[2:3], v1 offset1:4
	ds_load_2addr_stride64_b32 v[4:5], v1 offset0:8 offset1:12
	ds_load_2addr_stride64_b32 v[6:7], v1 offset0:16 offset1:20
	;; [unrolled: 1-line block ×5, first 2 shown]
	s_or_b32 s2, s2, exec_lo
	s_wait_dscnt 0x5
	s_clause 0x1
	flat_store_b32 v0, v2, s[0:1] scale_offset
	flat_store_b32 v0, v3, s[0:1] offset:1024 scale_offset
	s_wait_dscnt 0x6
	s_clause 0x1
	flat_store_b32 v0, v4, s[0:1] offset:2048 scale_offset
	flat_store_b32 v0, v5, s[0:1] offset:3072 scale_offset
	s_wait_dscnt 0x7
	s_clause 0x1
	flat_store_b32 v0, v6, s[0:1] offset:4096 scale_offset
	;; [unrolled: 4-line block ×4, first 2 shown]
	flat_store_b32 v0, v11, s[0:1] offset:9216 scale_offset
	s_wait_dscnt 0xa
	flat_store_b32 v0, v16, s[0:1] offset:10240 scale_offset
.LBB1454_203:
	s_wait_xcnt 0x0
	s_delay_alu instid0(VALU_DEP_1)
	s_and_saveexec_b32 s3, s2
	s_cbranch_execz .LBB1454_205
; %bb.204:
	s_wait_dscnt 0x0
	flat_store_b32 v0, v17, s[0:1] offset:11264 scale_offset
	s_endpgm
.LBB1454_205:
	s_endpgm
	.section	.rodata,"a",@progbits
	.p2align	6, 0x0
	.amdhsa_kernel _ZN7rocprim17ROCPRIM_400000_NS6detail17trampoline_kernelINS0_14default_configENS1_27scan_by_key_config_selectorIifEEZZNS1_16scan_by_key_implILNS1_25lookback_scan_determinismE0ELb1ES3_N6thrust23THRUST_200600_302600_NS6detail15normal_iteratorINS9_10device_ptrIiEEEENSB_INSC_IfEEEESG_fNS9_4plusIvEENS9_8equal_toIvEEfEE10hipError_tPvRmT2_T3_T4_T5_mT6_T7_P12ihipStream_tbENKUlT_T0_E_clISt17integral_constantIbLb0EES10_IbLb1EEEEDaSW_SX_EUlSW_E_NS1_11comp_targetILNS1_3genE0ELNS1_11target_archE4294967295ELNS1_3gpuE0ELNS1_3repE0EEENS1_30default_config_static_selectorELNS0_4arch9wavefront6targetE0EEEvT1_
		.amdhsa_group_segment_fixed_size 14336
		.amdhsa_private_segment_fixed_size 0
		.amdhsa_kernarg_size 112
		.amdhsa_user_sgpr_count 2
		.amdhsa_user_sgpr_dispatch_ptr 0
		.amdhsa_user_sgpr_queue_ptr 0
		.amdhsa_user_sgpr_kernarg_segment_ptr 1
		.amdhsa_user_sgpr_dispatch_id 0
		.amdhsa_user_sgpr_kernarg_preload_length 0
		.amdhsa_user_sgpr_kernarg_preload_offset 0
		.amdhsa_user_sgpr_private_segment_size 0
		.amdhsa_wavefront_size32 1
		.amdhsa_uses_dynamic_stack 0
		.amdhsa_enable_private_segment 0
		.amdhsa_system_sgpr_workgroup_id_x 1
		.amdhsa_system_sgpr_workgroup_id_y 0
		.amdhsa_system_sgpr_workgroup_id_z 0
		.amdhsa_system_sgpr_workgroup_info 0
		.amdhsa_system_vgpr_workitem_id 0
		.amdhsa_next_free_vgpr 62
		.amdhsa_next_free_sgpr 50
		.amdhsa_named_barrier_count 0
		.amdhsa_reserve_vcc 1
		.amdhsa_float_round_mode_32 0
		.amdhsa_float_round_mode_16_64 0
		.amdhsa_float_denorm_mode_32 3
		.amdhsa_float_denorm_mode_16_64 3
		.amdhsa_fp16_overflow 0
		.amdhsa_memory_ordered 1
		.amdhsa_forward_progress 1
		.amdhsa_inst_pref_size 104
		.amdhsa_round_robin_scheduling 0
		.amdhsa_exception_fp_ieee_invalid_op 0
		.amdhsa_exception_fp_denorm_src 0
		.amdhsa_exception_fp_ieee_div_zero 0
		.amdhsa_exception_fp_ieee_overflow 0
		.amdhsa_exception_fp_ieee_underflow 0
		.amdhsa_exception_fp_ieee_inexact 0
		.amdhsa_exception_int_div_zero 0
	.end_amdhsa_kernel
	.section	.text._ZN7rocprim17ROCPRIM_400000_NS6detail17trampoline_kernelINS0_14default_configENS1_27scan_by_key_config_selectorIifEEZZNS1_16scan_by_key_implILNS1_25lookback_scan_determinismE0ELb1ES3_N6thrust23THRUST_200600_302600_NS6detail15normal_iteratorINS9_10device_ptrIiEEEENSB_INSC_IfEEEESG_fNS9_4plusIvEENS9_8equal_toIvEEfEE10hipError_tPvRmT2_T3_T4_T5_mT6_T7_P12ihipStream_tbENKUlT_T0_E_clISt17integral_constantIbLb0EES10_IbLb1EEEEDaSW_SX_EUlSW_E_NS1_11comp_targetILNS1_3genE0ELNS1_11target_archE4294967295ELNS1_3gpuE0ELNS1_3repE0EEENS1_30default_config_static_selectorELNS0_4arch9wavefront6targetE0EEEvT1_,"axG",@progbits,_ZN7rocprim17ROCPRIM_400000_NS6detail17trampoline_kernelINS0_14default_configENS1_27scan_by_key_config_selectorIifEEZZNS1_16scan_by_key_implILNS1_25lookback_scan_determinismE0ELb1ES3_N6thrust23THRUST_200600_302600_NS6detail15normal_iteratorINS9_10device_ptrIiEEEENSB_INSC_IfEEEESG_fNS9_4plusIvEENS9_8equal_toIvEEfEE10hipError_tPvRmT2_T3_T4_T5_mT6_T7_P12ihipStream_tbENKUlT_T0_E_clISt17integral_constantIbLb0EES10_IbLb1EEEEDaSW_SX_EUlSW_E_NS1_11comp_targetILNS1_3genE0ELNS1_11target_archE4294967295ELNS1_3gpuE0ELNS1_3repE0EEENS1_30default_config_static_selectorELNS0_4arch9wavefront6targetE0EEEvT1_,comdat
.Lfunc_end1454:
	.size	_ZN7rocprim17ROCPRIM_400000_NS6detail17trampoline_kernelINS0_14default_configENS1_27scan_by_key_config_selectorIifEEZZNS1_16scan_by_key_implILNS1_25lookback_scan_determinismE0ELb1ES3_N6thrust23THRUST_200600_302600_NS6detail15normal_iteratorINS9_10device_ptrIiEEEENSB_INSC_IfEEEESG_fNS9_4plusIvEENS9_8equal_toIvEEfEE10hipError_tPvRmT2_T3_T4_T5_mT6_T7_P12ihipStream_tbENKUlT_T0_E_clISt17integral_constantIbLb0EES10_IbLb1EEEEDaSW_SX_EUlSW_E_NS1_11comp_targetILNS1_3genE0ELNS1_11target_archE4294967295ELNS1_3gpuE0ELNS1_3repE0EEENS1_30default_config_static_selectorELNS0_4arch9wavefront6targetE0EEEvT1_, .Lfunc_end1454-_ZN7rocprim17ROCPRIM_400000_NS6detail17trampoline_kernelINS0_14default_configENS1_27scan_by_key_config_selectorIifEEZZNS1_16scan_by_key_implILNS1_25lookback_scan_determinismE0ELb1ES3_N6thrust23THRUST_200600_302600_NS6detail15normal_iteratorINS9_10device_ptrIiEEEENSB_INSC_IfEEEESG_fNS9_4plusIvEENS9_8equal_toIvEEfEE10hipError_tPvRmT2_T3_T4_T5_mT6_T7_P12ihipStream_tbENKUlT_T0_E_clISt17integral_constantIbLb0EES10_IbLb1EEEEDaSW_SX_EUlSW_E_NS1_11comp_targetILNS1_3genE0ELNS1_11target_archE4294967295ELNS1_3gpuE0ELNS1_3repE0EEENS1_30default_config_static_selectorELNS0_4arch9wavefront6targetE0EEEvT1_
                                        ; -- End function
	.set _ZN7rocprim17ROCPRIM_400000_NS6detail17trampoline_kernelINS0_14default_configENS1_27scan_by_key_config_selectorIifEEZZNS1_16scan_by_key_implILNS1_25lookback_scan_determinismE0ELb1ES3_N6thrust23THRUST_200600_302600_NS6detail15normal_iteratorINS9_10device_ptrIiEEEENSB_INSC_IfEEEESG_fNS9_4plusIvEENS9_8equal_toIvEEfEE10hipError_tPvRmT2_T3_T4_T5_mT6_T7_P12ihipStream_tbENKUlT_T0_E_clISt17integral_constantIbLb0EES10_IbLb1EEEEDaSW_SX_EUlSW_E_NS1_11comp_targetILNS1_3genE0ELNS1_11target_archE4294967295ELNS1_3gpuE0ELNS1_3repE0EEENS1_30default_config_static_selectorELNS0_4arch9wavefront6targetE0EEEvT1_.num_vgpr, 62
	.set _ZN7rocprim17ROCPRIM_400000_NS6detail17trampoline_kernelINS0_14default_configENS1_27scan_by_key_config_selectorIifEEZZNS1_16scan_by_key_implILNS1_25lookback_scan_determinismE0ELb1ES3_N6thrust23THRUST_200600_302600_NS6detail15normal_iteratorINS9_10device_ptrIiEEEENSB_INSC_IfEEEESG_fNS9_4plusIvEENS9_8equal_toIvEEfEE10hipError_tPvRmT2_T3_T4_T5_mT6_T7_P12ihipStream_tbENKUlT_T0_E_clISt17integral_constantIbLb0EES10_IbLb1EEEEDaSW_SX_EUlSW_E_NS1_11comp_targetILNS1_3genE0ELNS1_11target_archE4294967295ELNS1_3gpuE0ELNS1_3repE0EEENS1_30default_config_static_selectorELNS0_4arch9wavefront6targetE0EEEvT1_.num_agpr, 0
	.set _ZN7rocprim17ROCPRIM_400000_NS6detail17trampoline_kernelINS0_14default_configENS1_27scan_by_key_config_selectorIifEEZZNS1_16scan_by_key_implILNS1_25lookback_scan_determinismE0ELb1ES3_N6thrust23THRUST_200600_302600_NS6detail15normal_iteratorINS9_10device_ptrIiEEEENSB_INSC_IfEEEESG_fNS9_4plusIvEENS9_8equal_toIvEEfEE10hipError_tPvRmT2_T3_T4_T5_mT6_T7_P12ihipStream_tbENKUlT_T0_E_clISt17integral_constantIbLb0EES10_IbLb1EEEEDaSW_SX_EUlSW_E_NS1_11comp_targetILNS1_3genE0ELNS1_11target_archE4294967295ELNS1_3gpuE0ELNS1_3repE0EEENS1_30default_config_static_selectorELNS0_4arch9wavefront6targetE0EEEvT1_.numbered_sgpr, 50
	.set _ZN7rocprim17ROCPRIM_400000_NS6detail17trampoline_kernelINS0_14default_configENS1_27scan_by_key_config_selectorIifEEZZNS1_16scan_by_key_implILNS1_25lookback_scan_determinismE0ELb1ES3_N6thrust23THRUST_200600_302600_NS6detail15normal_iteratorINS9_10device_ptrIiEEEENSB_INSC_IfEEEESG_fNS9_4plusIvEENS9_8equal_toIvEEfEE10hipError_tPvRmT2_T3_T4_T5_mT6_T7_P12ihipStream_tbENKUlT_T0_E_clISt17integral_constantIbLb0EES10_IbLb1EEEEDaSW_SX_EUlSW_E_NS1_11comp_targetILNS1_3genE0ELNS1_11target_archE4294967295ELNS1_3gpuE0ELNS1_3repE0EEENS1_30default_config_static_selectorELNS0_4arch9wavefront6targetE0EEEvT1_.num_named_barrier, 0
	.set _ZN7rocprim17ROCPRIM_400000_NS6detail17trampoline_kernelINS0_14default_configENS1_27scan_by_key_config_selectorIifEEZZNS1_16scan_by_key_implILNS1_25lookback_scan_determinismE0ELb1ES3_N6thrust23THRUST_200600_302600_NS6detail15normal_iteratorINS9_10device_ptrIiEEEENSB_INSC_IfEEEESG_fNS9_4plusIvEENS9_8equal_toIvEEfEE10hipError_tPvRmT2_T3_T4_T5_mT6_T7_P12ihipStream_tbENKUlT_T0_E_clISt17integral_constantIbLb0EES10_IbLb1EEEEDaSW_SX_EUlSW_E_NS1_11comp_targetILNS1_3genE0ELNS1_11target_archE4294967295ELNS1_3gpuE0ELNS1_3repE0EEENS1_30default_config_static_selectorELNS0_4arch9wavefront6targetE0EEEvT1_.private_seg_size, 0
	.set _ZN7rocprim17ROCPRIM_400000_NS6detail17trampoline_kernelINS0_14default_configENS1_27scan_by_key_config_selectorIifEEZZNS1_16scan_by_key_implILNS1_25lookback_scan_determinismE0ELb1ES3_N6thrust23THRUST_200600_302600_NS6detail15normal_iteratorINS9_10device_ptrIiEEEENSB_INSC_IfEEEESG_fNS9_4plusIvEENS9_8equal_toIvEEfEE10hipError_tPvRmT2_T3_T4_T5_mT6_T7_P12ihipStream_tbENKUlT_T0_E_clISt17integral_constantIbLb0EES10_IbLb1EEEEDaSW_SX_EUlSW_E_NS1_11comp_targetILNS1_3genE0ELNS1_11target_archE4294967295ELNS1_3gpuE0ELNS1_3repE0EEENS1_30default_config_static_selectorELNS0_4arch9wavefront6targetE0EEEvT1_.uses_vcc, 1
	.set _ZN7rocprim17ROCPRIM_400000_NS6detail17trampoline_kernelINS0_14default_configENS1_27scan_by_key_config_selectorIifEEZZNS1_16scan_by_key_implILNS1_25lookback_scan_determinismE0ELb1ES3_N6thrust23THRUST_200600_302600_NS6detail15normal_iteratorINS9_10device_ptrIiEEEENSB_INSC_IfEEEESG_fNS9_4plusIvEENS9_8equal_toIvEEfEE10hipError_tPvRmT2_T3_T4_T5_mT6_T7_P12ihipStream_tbENKUlT_T0_E_clISt17integral_constantIbLb0EES10_IbLb1EEEEDaSW_SX_EUlSW_E_NS1_11comp_targetILNS1_3genE0ELNS1_11target_archE4294967295ELNS1_3gpuE0ELNS1_3repE0EEENS1_30default_config_static_selectorELNS0_4arch9wavefront6targetE0EEEvT1_.uses_flat_scratch, 1
	.set _ZN7rocprim17ROCPRIM_400000_NS6detail17trampoline_kernelINS0_14default_configENS1_27scan_by_key_config_selectorIifEEZZNS1_16scan_by_key_implILNS1_25lookback_scan_determinismE0ELb1ES3_N6thrust23THRUST_200600_302600_NS6detail15normal_iteratorINS9_10device_ptrIiEEEENSB_INSC_IfEEEESG_fNS9_4plusIvEENS9_8equal_toIvEEfEE10hipError_tPvRmT2_T3_T4_T5_mT6_T7_P12ihipStream_tbENKUlT_T0_E_clISt17integral_constantIbLb0EES10_IbLb1EEEEDaSW_SX_EUlSW_E_NS1_11comp_targetILNS1_3genE0ELNS1_11target_archE4294967295ELNS1_3gpuE0ELNS1_3repE0EEENS1_30default_config_static_selectorELNS0_4arch9wavefront6targetE0EEEvT1_.has_dyn_sized_stack, 0
	.set _ZN7rocprim17ROCPRIM_400000_NS6detail17trampoline_kernelINS0_14default_configENS1_27scan_by_key_config_selectorIifEEZZNS1_16scan_by_key_implILNS1_25lookback_scan_determinismE0ELb1ES3_N6thrust23THRUST_200600_302600_NS6detail15normal_iteratorINS9_10device_ptrIiEEEENSB_INSC_IfEEEESG_fNS9_4plusIvEENS9_8equal_toIvEEfEE10hipError_tPvRmT2_T3_T4_T5_mT6_T7_P12ihipStream_tbENKUlT_T0_E_clISt17integral_constantIbLb0EES10_IbLb1EEEEDaSW_SX_EUlSW_E_NS1_11comp_targetILNS1_3genE0ELNS1_11target_archE4294967295ELNS1_3gpuE0ELNS1_3repE0EEENS1_30default_config_static_selectorELNS0_4arch9wavefront6targetE0EEEvT1_.has_recursion, 0
	.set _ZN7rocprim17ROCPRIM_400000_NS6detail17trampoline_kernelINS0_14default_configENS1_27scan_by_key_config_selectorIifEEZZNS1_16scan_by_key_implILNS1_25lookback_scan_determinismE0ELb1ES3_N6thrust23THRUST_200600_302600_NS6detail15normal_iteratorINS9_10device_ptrIiEEEENSB_INSC_IfEEEESG_fNS9_4plusIvEENS9_8equal_toIvEEfEE10hipError_tPvRmT2_T3_T4_T5_mT6_T7_P12ihipStream_tbENKUlT_T0_E_clISt17integral_constantIbLb0EES10_IbLb1EEEEDaSW_SX_EUlSW_E_NS1_11comp_targetILNS1_3genE0ELNS1_11target_archE4294967295ELNS1_3gpuE0ELNS1_3repE0EEENS1_30default_config_static_selectorELNS0_4arch9wavefront6targetE0EEEvT1_.has_indirect_call, 0
	.section	.AMDGPU.csdata,"",@progbits
; Kernel info:
; codeLenInByte = 13256
; TotalNumSgprs: 52
; NumVgprs: 62
; ScratchSize: 0
; MemoryBound: 0
; FloatMode: 240
; IeeeMode: 1
; LDSByteSize: 14336 bytes/workgroup (compile time only)
; SGPRBlocks: 0
; VGPRBlocks: 3
; NumSGPRsForWavesPerEU: 52
; NumVGPRsForWavesPerEU: 62
; NamedBarCnt: 0
; Occupancy: 16
; WaveLimiterHint : 1
; COMPUTE_PGM_RSRC2:SCRATCH_EN: 0
; COMPUTE_PGM_RSRC2:USER_SGPR: 2
; COMPUTE_PGM_RSRC2:TRAP_HANDLER: 0
; COMPUTE_PGM_RSRC2:TGID_X_EN: 1
; COMPUTE_PGM_RSRC2:TGID_Y_EN: 0
; COMPUTE_PGM_RSRC2:TGID_Z_EN: 0
; COMPUTE_PGM_RSRC2:TIDIG_COMP_CNT: 0
	.section	.text._ZN7rocprim17ROCPRIM_400000_NS6detail17trampoline_kernelINS0_14default_configENS1_27scan_by_key_config_selectorIifEEZZNS1_16scan_by_key_implILNS1_25lookback_scan_determinismE0ELb1ES3_N6thrust23THRUST_200600_302600_NS6detail15normal_iteratorINS9_10device_ptrIiEEEENSB_INSC_IfEEEESG_fNS9_4plusIvEENS9_8equal_toIvEEfEE10hipError_tPvRmT2_T3_T4_T5_mT6_T7_P12ihipStream_tbENKUlT_T0_E_clISt17integral_constantIbLb0EES10_IbLb1EEEEDaSW_SX_EUlSW_E_NS1_11comp_targetILNS1_3genE10ELNS1_11target_archE1201ELNS1_3gpuE5ELNS1_3repE0EEENS1_30default_config_static_selectorELNS0_4arch9wavefront6targetE0EEEvT1_,"axG",@progbits,_ZN7rocprim17ROCPRIM_400000_NS6detail17trampoline_kernelINS0_14default_configENS1_27scan_by_key_config_selectorIifEEZZNS1_16scan_by_key_implILNS1_25lookback_scan_determinismE0ELb1ES3_N6thrust23THRUST_200600_302600_NS6detail15normal_iteratorINS9_10device_ptrIiEEEENSB_INSC_IfEEEESG_fNS9_4plusIvEENS9_8equal_toIvEEfEE10hipError_tPvRmT2_T3_T4_T5_mT6_T7_P12ihipStream_tbENKUlT_T0_E_clISt17integral_constantIbLb0EES10_IbLb1EEEEDaSW_SX_EUlSW_E_NS1_11comp_targetILNS1_3genE10ELNS1_11target_archE1201ELNS1_3gpuE5ELNS1_3repE0EEENS1_30default_config_static_selectorELNS0_4arch9wavefront6targetE0EEEvT1_,comdat
	.protected	_ZN7rocprim17ROCPRIM_400000_NS6detail17trampoline_kernelINS0_14default_configENS1_27scan_by_key_config_selectorIifEEZZNS1_16scan_by_key_implILNS1_25lookback_scan_determinismE0ELb1ES3_N6thrust23THRUST_200600_302600_NS6detail15normal_iteratorINS9_10device_ptrIiEEEENSB_INSC_IfEEEESG_fNS9_4plusIvEENS9_8equal_toIvEEfEE10hipError_tPvRmT2_T3_T4_T5_mT6_T7_P12ihipStream_tbENKUlT_T0_E_clISt17integral_constantIbLb0EES10_IbLb1EEEEDaSW_SX_EUlSW_E_NS1_11comp_targetILNS1_3genE10ELNS1_11target_archE1201ELNS1_3gpuE5ELNS1_3repE0EEENS1_30default_config_static_selectorELNS0_4arch9wavefront6targetE0EEEvT1_ ; -- Begin function _ZN7rocprim17ROCPRIM_400000_NS6detail17trampoline_kernelINS0_14default_configENS1_27scan_by_key_config_selectorIifEEZZNS1_16scan_by_key_implILNS1_25lookback_scan_determinismE0ELb1ES3_N6thrust23THRUST_200600_302600_NS6detail15normal_iteratorINS9_10device_ptrIiEEEENSB_INSC_IfEEEESG_fNS9_4plusIvEENS9_8equal_toIvEEfEE10hipError_tPvRmT2_T3_T4_T5_mT6_T7_P12ihipStream_tbENKUlT_T0_E_clISt17integral_constantIbLb0EES10_IbLb1EEEEDaSW_SX_EUlSW_E_NS1_11comp_targetILNS1_3genE10ELNS1_11target_archE1201ELNS1_3gpuE5ELNS1_3repE0EEENS1_30default_config_static_selectorELNS0_4arch9wavefront6targetE0EEEvT1_
	.globl	_ZN7rocprim17ROCPRIM_400000_NS6detail17trampoline_kernelINS0_14default_configENS1_27scan_by_key_config_selectorIifEEZZNS1_16scan_by_key_implILNS1_25lookback_scan_determinismE0ELb1ES3_N6thrust23THRUST_200600_302600_NS6detail15normal_iteratorINS9_10device_ptrIiEEEENSB_INSC_IfEEEESG_fNS9_4plusIvEENS9_8equal_toIvEEfEE10hipError_tPvRmT2_T3_T4_T5_mT6_T7_P12ihipStream_tbENKUlT_T0_E_clISt17integral_constantIbLb0EES10_IbLb1EEEEDaSW_SX_EUlSW_E_NS1_11comp_targetILNS1_3genE10ELNS1_11target_archE1201ELNS1_3gpuE5ELNS1_3repE0EEENS1_30default_config_static_selectorELNS0_4arch9wavefront6targetE0EEEvT1_
	.p2align	8
	.type	_ZN7rocprim17ROCPRIM_400000_NS6detail17trampoline_kernelINS0_14default_configENS1_27scan_by_key_config_selectorIifEEZZNS1_16scan_by_key_implILNS1_25lookback_scan_determinismE0ELb1ES3_N6thrust23THRUST_200600_302600_NS6detail15normal_iteratorINS9_10device_ptrIiEEEENSB_INSC_IfEEEESG_fNS9_4plusIvEENS9_8equal_toIvEEfEE10hipError_tPvRmT2_T3_T4_T5_mT6_T7_P12ihipStream_tbENKUlT_T0_E_clISt17integral_constantIbLb0EES10_IbLb1EEEEDaSW_SX_EUlSW_E_NS1_11comp_targetILNS1_3genE10ELNS1_11target_archE1201ELNS1_3gpuE5ELNS1_3repE0EEENS1_30default_config_static_selectorELNS0_4arch9wavefront6targetE0EEEvT1_,@function
_ZN7rocprim17ROCPRIM_400000_NS6detail17trampoline_kernelINS0_14default_configENS1_27scan_by_key_config_selectorIifEEZZNS1_16scan_by_key_implILNS1_25lookback_scan_determinismE0ELb1ES3_N6thrust23THRUST_200600_302600_NS6detail15normal_iteratorINS9_10device_ptrIiEEEENSB_INSC_IfEEEESG_fNS9_4plusIvEENS9_8equal_toIvEEfEE10hipError_tPvRmT2_T3_T4_T5_mT6_T7_P12ihipStream_tbENKUlT_T0_E_clISt17integral_constantIbLb0EES10_IbLb1EEEEDaSW_SX_EUlSW_E_NS1_11comp_targetILNS1_3genE10ELNS1_11target_archE1201ELNS1_3gpuE5ELNS1_3repE0EEENS1_30default_config_static_selectorELNS0_4arch9wavefront6targetE0EEEvT1_: ; @_ZN7rocprim17ROCPRIM_400000_NS6detail17trampoline_kernelINS0_14default_configENS1_27scan_by_key_config_selectorIifEEZZNS1_16scan_by_key_implILNS1_25lookback_scan_determinismE0ELb1ES3_N6thrust23THRUST_200600_302600_NS6detail15normal_iteratorINS9_10device_ptrIiEEEENSB_INSC_IfEEEESG_fNS9_4plusIvEENS9_8equal_toIvEEfEE10hipError_tPvRmT2_T3_T4_T5_mT6_T7_P12ihipStream_tbENKUlT_T0_E_clISt17integral_constantIbLb0EES10_IbLb1EEEEDaSW_SX_EUlSW_E_NS1_11comp_targetILNS1_3genE10ELNS1_11target_archE1201ELNS1_3gpuE5ELNS1_3repE0EEENS1_30default_config_static_selectorELNS0_4arch9wavefront6targetE0EEEvT1_
; %bb.0:
	.section	.rodata,"a",@progbits
	.p2align	6, 0x0
	.amdhsa_kernel _ZN7rocprim17ROCPRIM_400000_NS6detail17trampoline_kernelINS0_14default_configENS1_27scan_by_key_config_selectorIifEEZZNS1_16scan_by_key_implILNS1_25lookback_scan_determinismE0ELb1ES3_N6thrust23THRUST_200600_302600_NS6detail15normal_iteratorINS9_10device_ptrIiEEEENSB_INSC_IfEEEESG_fNS9_4plusIvEENS9_8equal_toIvEEfEE10hipError_tPvRmT2_T3_T4_T5_mT6_T7_P12ihipStream_tbENKUlT_T0_E_clISt17integral_constantIbLb0EES10_IbLb1EEEEDaSW_SX_EUlSW_E_NS1_11comp_targetILNS1_3genE10ELNS1_11target_archE1201ELNS1_3gpuE5ELNS1_3repE0EEENS1_30default_config_static_selectorELNS0_4arch9wavefront6targetE0EEEvT1_
		.amdhsa_group_segment_fixed_size 0
		.amdhsa_private_segment_fixed_size 0
		.amdhsa_kernarg_size 112
		.amdhsa_user_sgpr_count 2
		.amdhsa_user_sgpr_dispatch_ptr 0
		.amdhsa_user_sgpr_queue_ptr 0
		.amdhsa_user_sgpr_kernarg_segment_ptr 1
		.amdhsa_user_sgpr_dispatch_id 0
		.amdhsa_user_sgpr_kernarg_preload_length 0
		.amdhsa_user_sgpr_kernarg_preload_offset 0
		.amdhsa_user_sgpr_private_segment_size 0
		.amdhsa_wavefront_size32 1
		.amdhsa_uses_dynamic_stack 0
		.amdhsa_enable_private_segment 0
		.amdhsa_system_sgpr_workgroup_id_x 1
		.amdhsa_system_sgpr_workgroup_id_y 0
		.amdhsa_system_sgpr_workgroup_id_z 0
		.amdhsa_system_sgpr_workgroup_info 0
		.amdhsa_system_vgpr_workitem_id 0
		.amdhsa_next_free_vgpr 1
		.amdhsa_next_free_sgpr 1
		.amdhsa_named_barrier_count 0
		.amdhsa_reserve_vcc 0
		.amdhsa_float_round_mode_32 0
		.amdhsa_float_round_mode_16_64 0
		.amdhsa_float_denorm_mode_32 3
		.amdhsa_float_denorm_mode_16_64 3
		.amdhsa_fp16_overflow 0
		.amdhsa_memory_ordered 1
		.amdhsa_forward_progress 1
		.amdhsa_inst_pref_size 0
		.amdhsa_round_robin_scheduling 0
		.amdhsa_exception_fp_ieee_invalid_op 0
		.amdhsa_exception_fp_denorm_src 0
		.amdhsa_exception_fp_ieee_div_zero 0
		.amdhsa_exception_fp_ieee_overflow 0
		.amdhsa_exception_fp_ieee_underflow 0
		.amdhsa_exception_fp_ieee_inexact 0
		.amdhsa_exception_int_div_zero 0
	.end_amdhsa_kernel
	.section	.text._ZN7rocprim17ROCPRIM_400000_NS6detail17trampoline_kernelINS0_14default_configENS1_27scan_by_key_config_selectorIifEEZZNS1_16scan_by_key_implILNS1_25lookback_scan_determinismE0ELb1ES3_N6thrust23THRUST_200600_302600_NS6detail15normal_iteratorINS9_10device_ptrIiEEEENSB_INSC_IfEEEESG_fNS9_4plusIvEENS9_8equal_toIvEEfEE10hipError_tPvRmT2_T3_T4_T5_mT6_T7_P12ihipStream_tbENKUlT_T0_E_clISt17integral_constantIbLb0EES10_IbLb1EEEEDaSW_SX_EUlSW_E_NS1_11comp_targetILNS1_3genE10ELNS1_11target_archE1201ELNS1_3gpuE5ELNS1_3repE0EEENS1_30default_config_static_selectorELNS0_4arch9wavefront6targetE0EEEvT1_,"axG",@progbits,_ZN7rocprim17ROCPRIM_400000_NS6detail17trampoline_kernelINS0_14default_configENS1_27scan_by_key_config_selectorIifEEZZNS1_16scan_by_key_implILNS1_25lookback_scan_determinismE0ELb1ES3_N6thrust23THRUST_200600_302600_NS6detail15normal_iteratorINS9_10device_ptrIiEEEENSB_INSC_IfEEEESG_fNS9_4plusIvEENS9_8equal_toIvEEfEE10hipError_tPvRmT2_T3_T4_T5_mT6_T7_P12ihipStream_tbENKUlT_T0_E_clISt17integral_constantIbLb0EES10_IbLb1EEEEDaSW_SX_EUlSW_E_NS1_11comp_targetILNS1_3genE10ELNS1_11target_archE1201ELNS1_3gpuE5ELNS1_3repE0EEENS1_30default_config_static_selectorELNS0_4arch9wavefront6targetE0EEEvT1_,comdat
.Lfunc_end1455:
	.size	_ZN7rocprim17ROCPRIM_400000_NS6detail17trampoline_kernelINS0_14default_configENS1_27scan_by_key_config_selectorIifEEZZNS1_16scan_by_key_implILNS1_25lookback_scan_determinismE0ELb1ES3_N6thrust23THRUST_200600_302600_NS6detail15normal_iteratorINS9_10device_ptrIiEEEENSB_INSC_IfEEEESG_fNS9_4plusIvEENS9_8equal_toIvEEfEE10hipError_tPvRmT2_T3_T4_T5_mT6_T7_P12ihipStream_tbENKUlT_T0_E_clISt17integral_constantIbLb0EES10_IbLb1EEEEDaSW_SX_EUlSW_E_NS1_11comp_targetILNS1_3genE10ELNS1_11target_archE1201ELNS1_3gpuE5ELNS1_3repE0EEENS1_30default_config_static_selectorELNS0_4arch9wavefront6targetE0EEEvT1_, .Lfunc_end1455-_ZN7rocprim17ROCPRIM_400000_NS6detail17trampoline_kernelINS0_14default_configENS1_27scan_by_key_config_selectorIifEEZZNS1_16scan_by_key_implILNS1_25lookback_scan_determinismE0ELb1ES3_N6thrust23THRUST_200600_302600_NS6detail15normal_iteratorINS9_10device_ptrIiEEEENSB_INSC_IfEEEESG_fNS9_4plusIvEENS9_8equal_toIvEEfEE10hipError_tPvRmT2_T3_T4_T5_mT6_T7_P12ihipStream_tbENKUlT_T0_E_clISt17integral_constantIbLb0EES10_IbLb1EEEEDaSW_SX_EUlSW_E_NS1_11comp_targetILNS1_3genE10ELNS1_11target_archE1201ELNS1_3gpuE5ELNS1_3repE0EEENS1_30default_config_static_selectorELNS0_4arch9wavefront6targetE0EEEvT1_
                                        ; -- End function
	.set _ZN7rocprim17ROCPRIM_400000_NS6detail17trampoline_kernelINS0_14default_configENS1_27scan_by_key_config_selectorIifEEZZNS1_16scan_by_key_implILNS1_25lookback_scan_determinismE0ELb1ES3_N6thrust23THRUST_200600_302600_NS6detail15normal_iteratorINS9_10device_ptrIiEEEENSB_INSC_IfEEEESG_fNS9_4plusIvEENS9_8equal_toIvEEfEE10hipError_tPvRmT2_T3_T4_T5_mT6_T7_P12ihipStream_tbENKUlT_T0_E_clISt17integral_constantIbLb0EES10_IbLb1EEEEDaSW_SX_EUlSW_E_NS1_11comp_targetILNS1_3genE10ELNS1_11target_archE1201ELNS1_3gpuE5ELNS1_3repE0EEENS1_30default_config_static_selectorELNS0_4arch9wavefront6targetE0EEEvT1_.num_vgpr, 0
	.set _ZN7rocprim17ROCPRIM_400000_NS6detail17trampoline_kernelINS0_14default_configENS1_27scan_by_key_config_selectorIifEEZZNS1_16scan_by_key_implILNS1_25lookback_scan_determinismE0ELb1ES3_N6thrust23THRUST_200600_302600_NS6detail15normal_iteratorINS9_10device_ptrIiEEEENSB_INSC_IfEEEESG_fNS9_4plusIvEENS9_8equal_toIvEEfEE10hipError_tPvRmT2_T3_T4_T5_mT6_T7_P12ihipStream_tbENKUlT_T0_E_clISt17integral_constantIbLb0EES10_IbLb1EEEEDaSW_SX_EUlSW_E_NS1_11comp_targetILNS1_3genE10ELNS1_11target_archE1201ELNS1_3gpuE5ELNS1_3repE0EEENS1_30default_config_static_selectorELNS0_4arch9wavefront6targetE0EEEvT1_.num_agpr, 0
	.set _ZN7rocprim17ROCPRIM_400000_NS6detail17trampoline_kernelINS0_14default_configENS1_27scan_by_key_config_selectorIifEEZZNS1_16scan_by_key_implILNS1_25lookback_scan_determinismE0ELb1ES3_N6thrust23THRUST_200600_302600_NS6detail15normal_iteratorINS9_10device_ptrIiEEEENSB_INSC_IfEEEESG_fNS9_4plusIvEENS9_8equal_toIvEEfEE10hipError_tPvRmT2_T3_T4_T5_mT6_T7_P12ihipStream_tbENKUlT_T0_E_clISt17integral_constantIbLb0EES10_IbLb1EEEEDaSW_SX_EUlSW_E_NS1_11comp_targetILNS1_3genE10ELNS1_11target_archE1201ELNS1_3gpuE5ELNS1_3repE0EEENS1_30default_config_static_selectorELNS0_4arch9wavefront6targetE0EEEvT1_.numbered_sgpr, 0
	.set _ZN7rocprim17ROCPRIM_400000_NS6detail17trampoline_kernelINS0_14default_configENS1_27scan_by_key_config_selectorIifEEZZNS1_16scan_by_key_implILNS1_25lookback_scan_determinismE0ELb1ES3_N6thrust23THRUST_200600_302600_NS6detail15normal_iteratorINS9_10device_ptrIiEEEENSB_INSC_IfEEEESG_fNS9_4plusIvEENS9_8equal_toIvEEfEE10hipError_tPvRmT2_T3_T4_T5_mT6_T7_P12ihipStream_tbENKUlT_T0_E_clISt17integral_constantIbLb0EES10_IbLb1EEEEDaSW_SX_EUlSW_E_NS1_11comp_targetILNS1_3genE10ELNS1_11target_archE1201ELNS1_3gpuE5ELNS1_3repE0EEENS1_30default_config_static_selectorELNS0_4arch9wavefront6targetE0EEEvT1_.num_named_barrier, 0
	.set _ZN7rocprim17ROCPRIM_400000_NS6detail17trampoline_kernelINS0_14default_configENS1_27scan_by_key_config_selectorIifEEZZNS1_16scan_by_key_implILNS1_25lookback_scan_determinismE0ELb1ES3_N6thrust23THRUST_200600_302600_NS6detail15normal_iteratorINS9_10device_ptrIiEEEENSB_INSC_IfEEEESG_fNS9_4plusIvEENS9_8equal_toIvEEfEE10hipError_tPvRmT2_T3_T4_T5_mT6_T7_P12ihipStream_tbENKUlT_T0_E_clISt17integral_constantIbLb0EES10_IbLb1EEEEDaSW_SX_EUlSW_E_NS1_11comp_targetILNS1_3genE10ELNS1_11target_archE1201ELNS1_3gpuE5ELNS1_3repE0EEENS1_30default_config_static_selectorELNS0_4arch9wavefront6targetE0EEEvT1_.private_seg_size, 0
	.set _ZN7rocprim17ROCPRIM_400000_NS6detail17trampoline_kernelINS0_14default_configENS1_27scan_by_key_config_selectorIifEEZZNS1_16scan_by_key_implILNS1_25lookback_scan_determinismE0ELb1ES3_N6thrust23THRUST_200600_302600_NS6detail15normal_iteratorINS9_10device_ptrIiEEEENSB_INSC_IfEEEESG_fNS9_4plusIvEENS9_8equal_toIvEEfEE10hipError_tPvRmT2_T3_T4_T5_mT6_T7_P12ihipStream_tbENKUlT_T0_E_clISt17integral_constantIbLb0EES10_IbLb1EEEEDaSW_SX_EUlSW_E_NS1_11comp_targetILNS1_3genE10ELNS1_11target_archE1201ELNS1_3gpuE5ELNS1_3repE0EEENS1_30default_config_static_selectorELNS0_4arch9wavefront6targetE0EEEvT1_.uses_vcc, 0
	.set _ZN7rocprim17ROCPRIM_400000_NS6detail17trampoline_kernelINS0_14default_configENS1_27scan_by_key_config_selectorIifEEZZNS1_16scan_by_key_implILNS1_25lookback_scan_determinismE0ELb1ES3_N6thrust23THRUST_200600_302600_NS6detail15normal_iteratorINS9_10device_ptrIiEEEENSB_INSC_IfEEEESG_fNS9_4plusIvEENS9_8equal_toIvEEfEE10hipError_tPvRmT2_T3_T4_T5_mT6_T7_P12ihipStream_tbENKUlT_T0_E_clISt17integral_constantIbLb0EES10_IbLb1EEEEDaSW_SX_EUlSW_E_NS1_11comp_targetILNS1_3genE10ELNS1_11target_archE1201ELNS1_3gpuE5ELNS1_3repE0EEENS1_30default_config_static_selectorELNS0_4arch9wavefront6targetE0EEEvT1_.uses_flat_scratch, 0
	.set _ZN7rocprim17ROCPRIM_400000_NS6detail17trampoline_kernelINS0_14default_configENS1_27scan_by_key_config_selectorIifEEZZNS1_16scan_by_key_implILNS1_25lookback_scan_determinismE0ELb1ES3_N6thrust23THRUST_200600_302600_NS6detail15normal_iteratorINS9_10device_ptrIiEEEENSB_INSC_IfEEEESG_fNS9_4plusIvEENS9_8equal_toIvEEfEE10hipError_tPvRmT2_T3_T4_T5_mT6_T7_P12ihipStream_tbENKUlT_T0_E_clISt17integral_constantIbLb0EES10_IbLb1EEEEDaSW_SX_EUlSW_E_NS1_11comp_targetILNS1_3genE10ELNS1_11target_archE1201ELNS1_3gpuE5ELNS1_3repE0EEENS1_30default_config_static_selectorELNS0_4arch9wavefront6targetE0EEEvT1_.has_dyn_sized_stack, 0
	.set _ZN7rocprim17ROCPRIM_400000_NS6detail17trampoline_kernelINS0_14default_configENS1_27scan_by_key_config_selectorIifEEZZNS1_16scan_by_key_implILNS1_25lookback_scan_determinismE0ELb1ES3_N6thrust23THRUST_200600_302600_NS6detail15normal_iteratorINS9_10device_ptrIiEEEENSB_INSC_IfEEEESG_fNS9_4plusIvEENS9_8equal_toIvEEfEE10hipError_tPvRmT2_T3_T4_T5_mT6_T7_P12ihipStream_tbENKUlT_T0_E_clISt17integral_constantIbLb0EES10_IbLb1EEEEDaSW_SX_EUlSW_E_NS1_11comp_targetILNS1_3genE10ELNS1_11target_archE1201ELNS1_3gpuE5ELNS1_3repE0EEENS1_30default_config_static_selectorELNS0_4arch9wavefront6targetE0EEEvT1_.has_recursion, 0
	.set _ZN7rocprim17ROCPRIM_400000_NS6detail17trampoline_kernelINS0_14default_configENS1_27scan_by_key_config_selectorIifEEZZNS1_16scan_by_key_implILNS1_25lookback_scan_determinismE0ELb1ES3_N6thrust23THRUST_200600_302600_NS6detail15normal_iteratorINS9_10device_ptrIiEEEENSB_INSC_IfEEEESG_fNS9_4plusIvEENS9_8equal_toIvEEfEE10hipError_tPvRmT2_T3_T4_T5_mT6_T7_P12ihipStream_tbENKUlT_T0_E_clISt17integral_constantIbLb0EES10_IbLb1EEEEDaSW_SX_EUlSW_E_NS1_11comp_targetILNS1_3genE10ELNS1_11target_archE1201ELNS1_3gpuE5ELNS1_3repE0EEENS1_30default_config_static_selectorELNS0_4arch9wavefront6targetE0EEEvT1_.has_indirect_call, 0
	.section	.AMDGPU.csdata,"",@progbits
; Kernel info:
; codeLenInByte = 0
; TotalNumSgprs: 0
; NumVgprs: 0
; ScratchSize: 0
; MemoryBound: 0
; FloatMode: 240
; IeeeMode: 1
; LDSByteSize: 0 bytes/workgroup (compile time only)
; SGPRBlocks: 0
; VGPRBlocks: 0
; NumSGPRsForWavesPerEU: 1
; NumVGPRsForWavesPerEU: 1
; NamedBarCnt: 0
; Occupancy: 16
; WaveLimiterHint : 0
; COMPUTE_PGM_RSRC2:SCRATCH_EN: 0
; COMPUTE_PGM_RSRC2:USER_SGPR: 2
; COMPUTE_PGM_RSRC2:TRAP_HANDLER: 0
; COMPUTE_PGM_RSRC2:TGID_X_EN: 1
; COMPUTE_PGM_RSRC2:TGID_Y_EN: 0
; COMPUTE_PGM_RSRC2:TGID_Z_EN: 0
; COMPUTE_PGM_RSRC2:TIDIG_COMP_CNT: 0
	.section	.text._ZN7rocprim17ROCPRIM_400000_NS6detail17trampoline_kernelINS0_14default_configENS1_27scan_by_key_config_selectorIifEEZZNS1_16scan_by_key_implILNS1_25lookback_scan_determinismE0ELb1ES3_N6thrust23THRUST_200600_302600_NS6detail15normal_iteratorINS9_10device_ptrIiEEEENSB_INSC_IfEEEESG_fNS9_4plusIvEENS9_8equal_toIvEEfEE10hipError_tPvRmT2_T3_T4_T5_mT6_T7_P12ihipStream_tbENKUlT_T0_E_clISt17integral_constantIbLb0EES10_IbLb1EEEEDaSW_SX_EUlSW_E_NS1_11comp_targetILNS1_3genE5ELNS1_11target_archE942ELNS1_3gpuE9ELNS1_3repE0EEENS1_30default_config_static_selectorELNS0_4arch9wavefront6targetE0EEEvT1_,"axG",@progbits,_ZN7rocprim17ROCPRIM_400000_NS6detail17trampoline_kernelINS0_14default_configENS1_27scan_by_key_config_selectorIifEEZZNS1_16scan_by_key_implILNS1_25lookback_scan_determinismE0ELb1ES3_N6thrust23THRUST_200600_302600_NS6detail15normal_iteratorINS9_10device_ptrIiEEEENSB_INSC_IfEEEESG_fNS9_4plusIvEENS9_8equal_toIvEEfEE10hipError_tPvRmT2_T3_T4_T5_mT6_T7_P12ihipStream_tbENKUlT_T0_E_clISt17integral_constantIbLb0EES10_IbLb1EEEEDaSW_SX_EUlSW_E_NS1_11comp_targetILNS1_3genE5ELNS1_11target_archE942ELNS1_3gpuE9ELNS1_3repE0EEENS1_30default_config_static_selectorELNS0_4arch9wavefront6targetE0EEEvT1_,comdat
	.protected	_ZN7rocprim17ROCPRIM_400000_NS6detail17trampoline_kernelINS0_14default_configENS1_27scan_by_key_config_selectorIifEEZZNS1_16scan_by_key_implILNS1_25lookback_scan_determinismE0ELb1ES3_N6thrust23THRUST_200600_302600_NS6detail15normal_iteratorINS9_10device_ptrIiEEEENSB_INSC_IfEEEESG_fNS9_4plusIvEENS9_8equal_toIvEEfEE10hipError_tPvRmT2_T3_T4_T5_mT6_T7_P12ihipStream_tbENKUlT_T0_E_clISt17integral_constantIbLb0EES10_IbLb1EEEEDaSW_SX_EUlSW_E_NS1_11comp_targetILNS1_3genE5ELNS1_11target_archE942ELNS1_3gpuE9ELNS1_3repE0EEENS1_30default_config_static_selectorELNS0_4arch9wavefront6targetE0EEEvT1_ ; -- Begin function _ZN7rocprim17ROCPRIM_400000_NS6detail17trampoline_kernelINS0_14default_configENS1_27scan_by_key_config_selectorIifEEZZNS1_16scan_by_key_implILNS1_25lookback_scan_determinismE0ELb1ES3_N6thrust23THRUST_200600_302600_NS6detail15normal_iteratorINS9_10device_ptrIiEEEENSB_INSC_IfEEEESG_fNS9_4plusIvEENS9_8equal_toIvEEfEE10hipError_tPvRmT2_T3_T4_T5_mT6_T7_P12ihipStream_tbENKUlT_T0_E_clISt17integral_constantIbLb0EES10_IbLb1EEEEDaSW_SX_EUlSW_E_NS1_11comp_targetILNS1_3genE5ELNS1_11target_archE942ELNS1_3gpuE9ELNS1_3repE0EEENS1_30default_config_static_selectorELNS0_4arch9wavefront6targetE0EEEvT1_
	.globl	_ZN7rocprim17ROCPRIM_400000_NS6detail17trampoline_kernelINS0_14default_configENS1_27scan_by_key_config_selectorIifEEZZNS1_16scan_by_key_implILNS1_25lookback_scan_determinismE0ELb1ES3_N6thrust23THRUST_200600_302600_NS6detail15normal_iteratorINS9_10device_ptrIiEEEENSB_INSC_IfEEEESG_fNS9_4plusIvEENS9_8equal_toIvEEfEE10hipError_tPvRmT2_T3_T4_T5_mT6_T7_P12ihipStream_tbENKUlT_T0_E_clISt17integral_constantIbLb0EES10_IbLb1EEEEDaSW_SX_EUlSW_E_NS1_11comp_targetILNS1_3genE5ELNS1_11target_archE942ELNS1_3gpuE9ELNS1_3repE0EEENS1_30default_config_static_selectorELNS0_4arch9wavefront6targetE0EEEvT1_
	.p2align	8
	.type	_ZN7rocprim17ROCPRIM_400000_NS6detail17trampoline_kernelINS0_14default_configENS1_27scan_by_key_config_selectorIifEEZZNS1_16scan_by_key_implILNS1_25lookback_scan_determinismE0ELb1ES3_N6thrust23THRUST_200600_302600_NS6detail15normal_iteratorINS9_10device_ptrIiEEEENSB_INSC_IfEEEESG_fNS9_4plusIvEENS9_8equal_toIvEEfEE10hipError_tPvRmT2_T3_T4_T5_mT6_T7_P12ihipStream_tbENKUlT_T0_E_clISt17integral_constantIbLb0EES10_IbLb1EEEEDaSW_SX_EUlSW_E_NS1_11comp_targetILNS1_3genE5ELNS1_11target_archE942ELNS1_3gpuE9ELNS1_3repE0EEENS1_30default_config_static_selectorELNS0_4arch9wavefront6targetE0EEEvT1_,@function
_ZN7rocprim17ROCPRIM_400000_NS6detail17trampoline_kernelINS0_14default_configENS1_27scan_by_key_config_selectorIifEEZZNS1_16scan_by_key_implILNS1_25lookback_scan_determinismE0ELb1ES3_N6thrust23THRUST_200600_302600_NS6detail15normal_iteratorINS9_10device_ptrIiEEEENSB_INSC_IfEEEESG_fNS9_4plusIvEENS9_8equal_toIvEEfEE10hipError_tPvRmT2_T3_T4_T5_mT6_T7_P12ihipStream_tbENKUlT_T0_E_clISt17integral_constantIbLb0EES10_IbLb1EEEEDaSW_SX_EUlSW_E_NS1_11comp_targetILNS1_3genE5ELNS1_11target_archE942ELNS1_3gpuE9ELNS1_3repE0EEENS1_30default_config_static_selectorELNS0_4arch9wavefront6targetE0EEEvT1_: ; @_ZN7rocprim17ROCPRIM_400000_NS6detail17trampoline_kernelINS0_14default_configENS1_27scan_by_key_config_selectorIifEEZZNS1_16scan_by_key_implILNS1_25lookback_scan_determinismE0ELb1ES3_N6thrust23THRUST_200600_302600_NS6detail15normal_iteratorINS9_10device_ptrIiEEEENSB_INSC_IfEEEESG_fNS9_4plusIvEENS9_8equal_toIvEEfEE10hipError_tPvRmT2_T3_T4_T5_mT6_T7_P12ihipStream_tbENKUlT_T0_E_clISt17integral_constantIbLb0EES10_IbLb1EEEEDaSW_SX_EUlSW_E_NS1_11comp_targetILNS1_3genE5ELNS1_11target_archE942ELNS1_3gpuE9ELNS1_3repE0EEENS1_30default_config_static_selectorELNS0_4arch9wavefront6targetE0EEEvT1_
; %bb.0:
	.section	.rodata,"a",@progbits
	.p2align	6, 0x0
	.amdhsa_kernel _ZN7rocprim17ROCPRIM_400000_NS6detail17trampoline_kernelINS0_14default_configENS1_27scan_by_key_config_selectorIifEEZZNS1_16scan_by_key_implILNS1_25lookback_scan_determinismE0ELb1ES3_N6thrust23THRUST_200600_302600_NS6detail15normal_iteratorINS9_10device_ptrIiEEEENSB_INSC_IfEEEESG_fNS9_4plusIvEENS9_8equal_toIvEEfEE10hipError_tPvRmT2_T3_T4_T5_mT6_T7_P12ihipStream_tbENKUlT_T0_E_clISt17integral_constantIbLb0EES10_IbLb1EEEEDaSW_SX_EUlSW_E_NS1_11comp_targetILNS1_3genE5ELNS1_11target_archE942ELNS1_3gpuE9ELNS1_3repE0EEENS1_30default_config_static_selectorELNS0_4arch9wavefront6targetE0EEEvT1_
		.amdhsa_group_segment_fixed_size 0
		.amdhsa_private_segment_fixed_size 0
		.amdhsa_kernarg_size 112
		.amdhsa_user_sgpr_count 2
		.amdhsa_user_sgpr_dispatch_ptr 0
		.amdhsa_user_sgpr_queue_ptr 0
		.amdhsa_user_sgpr_kernarg_segment_ptr 1
		.amdhsa_user_sgpr_dispatch_id 0
		.amdhsa_user_sgpr_kernarg_preload_length 0
		.amdhsa_user_sgpr_kernarg_preload_offset 0
		.amdhsa_user_sgpr_private_segment_size 0
		.amdhsa_wavefront_size32 1
		.amdhsa_uses_dynamic_stack 0
		.amdhsa_enable_private_segment 0
		.amdhsa_system_sgpr_workgroup_id_x 1
		.amdhsa_system_sgpr_workgroup_id_y 0
		.amdhsa_system_sgpr_workgroup_id_z 0
		.amdhsa_system_sgpr_workgroup_info 0
		.amdhsa_system_vgpr_workitem_id 0
		.amdhsa_next_free_vgpr 1
		.amdhsa_next_free_sgpr 1
		.amdhsa_named_barrier_count 0
		.amdhsa_reserve_vcc 0
		.amdhsa_float_round_mode_32 0
		.amdhsa_float_round_mode_16_64 0
		.amdhsa_float_denorm_mode_32 3
		.amdhsa_float_denorm_mode_16_64 3
		.amdhsa_fp16_overflow 0
		.amdhsa_memory_ordered 1
		.amdhsa_forward_progress 1
		.amdhsa_inst_pref_size 0
		.amdhsa_round_robin_scheduling 0
		.amdhsa_exception_fp_ieee_invalid_op 0
		.amdhsa_exception_fp_denorm_src 0
		.amdhsa_exception_fp_ieee_div_zero 0
		.amdhsa_exception_fp_ieee_overflow 0
		.amdhsa_exception_fp_ieee_underflow 0
		.amdhsa_exception_fp_ieee_inexact 0
		.amdhsa_exception_int_div_zero 0
	.end_amdhsa_kernel
	.section	.text._ZN7rocprim17ROCPRIM_400000_NS6detail17trampoline_kernelINS0_14default_configENS1_27scan_by_key_config_selectorIifEEZZNS1_16scan_by_key_implILNS1_25lookback_scan_determinismE0ELb1ES3_N6thrust23THRUST_200600_302600_NS6detail15normal_iteratorINS9_10device_ptrIiEEEENSB_INSC_IfEEEESG_fNS9_4plusIvEENS9_8equal_toIvEEfEE10hipError_tPvRmT2_T3_T4_T5_mT6_T7_P12ihipStream_tbENKUlT_T0_E_clISt17integral_constantIbLb0EES10_IbLb1EEEEDaSW_SX_EUlSW_E_NS1_11comp_targetILNS1_3genE5ELNS1_11target_archE942ELNS1_3gpuE9ELNS1_3repE0EEENS1_30default_config_static_selectorELNS0_4arch9wavefront6targetE0EEEvT1_,"axG",@progbits,_ZN7rocprim17ROCPRIM_400000_NS6detail17trampoline_kernelINS0_14default_configENS1_27scan_by_key_config_selectorIifEEZZNS1_16scan_by_key_implILNS1_25lookback_scan_determinismE0ELb1ES3_N6thrust23THRUST_200600_302600_NS6detail15normal_iteratorINS9_10device_ptrIiEEEENSB_INSC_IfEEEESG_fNS9_4plusIvEENS9_8equal_toIvEEfEE10hipError_tPvRmT2_T3_T4_T5_mT6_T7_P12ihipStream_tbENKUlT_T0_E_clISt17integral_constantIbLb0EES10_IbLb1EEEEDaSW_SX_EUlSW_E_NS1_11comp_targetILNS1_3genE5ELNS1_11target_archE942ELNS1_3gpuE9ELNS1_3repE0EEENS1_30default_config_static_selectorELNS0_4arch9wavefront6targetE0EEEvT1_,comdat
.Lfunc_end1456:
	.size	_ZN7rocprim17ROCPRIM_400000_NS6detail17trampoline_kernelINS0_14default_configENS1_27scan_by_key_config_selectorIifEEZZNS1_16scan_by_key_implILNS1_25lookback_scan_determinismE0ELb1ES3_N6thrust23THRUST_200600_302600_NS6detail15normal_iteratorINS9_10device_ptrIiEEEENSB_INSC_IfEEEESG_fNS9_4plusIvEENS9_8equal_toIvEEfEE10hipError_tPvRmT2_T3_T4_T5_mT6_T7_P12ihipStream_tbENKUlT_T0_E_clISt17integral_constantIbLb0EES10_IbLb1EEEEDaSW_SX_EUlSW_E_NS1_11comp_targetILNS1_3genE5ELNS1_11target_archE942ELNS1_3gpuE9ELNS1_3repE0EEENS1_30default_config_static_selectorELNS0_4arch9wavefront6targetE0EEEvT1_, .Lfunc_end1456-_ZN7rocprim17ROCPRIM_400000_NS6detail17trampoline_kernelINS0_14default_configENS1_27scan_by_key_config_selectorIifEEZZNS1_16scan_by_key_implILNS1_25lookback_scan_determinismE0ELb1ES3_N6thrust23THRUST_200600_302600_NS6detail15normal_iteratorINS9_10device_ptrIiEEEENSB_INSC_IfEEEESG_fNS9_4plusIvEENS9_8equal_toIvEEfEE10hipError_tPvRmT2_T3_T4_T5_mT6_T7_P12ihipStream_tbENKUlT_T0_E_clISt17integral_constantIbLb0EES10_IbLb1EEEEDaSW_SX_EUlSW_E_NS1_11comp_targetILNS1_3genE5ELNS1_11target_archE942ELNS1_3gpuE9ELNS1_3repE0EEENS1_30default_config_static_selectorELNS0_4arch9wavefront6targetE0EEEvT1_
                                        ; -- End function
	.set _ZN7rocprim17ROCPRIM_400000_NS6detail17trampoline_kernelINS0_14default_configENS1_27scan_by_key_config_selectorIifEEZZNS1_16scan_by_key_implILNS1_25lookback_scan_determinismE0ELb1ES3_N6thrust23THRUST_200600_302600_NS6detail15normal_iteratorINS9_10device_ptrIiEEEENSB_INSC_IfEEEESG_fNS9_4plusIvEENS9_8equal_toIvEEfEE10hipError_tPvRmT2_T3_T4_T5_mT6_T7_P12ihipStream_tbENKUlT_T0_E_clISt17integral_constantIbLb0EES10_IbLb1EEEEDaSW_SX_EUlSW_E_NS1_11comp_targetILNS1_3genE5ELNS1_11target_archE942ELNS1_3gpuE9ELNS1_3repE0EEENS1_30default_config_static_selectorELNS0_4arch9wavefront6targetE0EEEvT1_.num_vgpr, 0
	.set _ZN7rocprim17ROCPRIM_400000_NS6detail17trampoline_kernelINS0_14default_configENS1_27scan_by_key_config_selectorIifEEZZNS1_16scan_by_key_implILNS1_25lookback_scan_determinismE0ELb1ES3_N6thrust23THRUST_200600_302600_NS6detail15normal_iteratorINS9_10device_ptrIiEEEENSB_INSC_IfEEEESG_fNS9_4plusIvEENS9_8equal_toIvEEfEE10hipError_tPvRmT2_T3_T4_T5_mT6_T7_P12ihipStream_tbENKUlT_T0_E_clISt17integral_constantIbLb0EES10_IbLb1EEEEDaSW_SX_EUlSW_E_NS1_11comp_targetILNS1_3genE5ELNS1_11target_archE942ELNS1_3gpuE9ELNS1_3repE0EEENS1_30default_config_static_selectorELNS0_4arch9wavefront6targetE0EEEvT1_.num_agpr, 0
	.set _ZN7rocprim17ROCPRIM_400000_NS6detail17trampoline_kernelINS0_14default_configENS1_27scan_by_key_config_selectorIifEEZZNS1_16scan_by_key_implILNS1_25lookback_scan_determinismE0ELb1ES3_N6thrust23THRUST_200600_302600_NS6detail15normal_iteratorINS9_10device_ptrIiEEEENSB_INSC_IfEEEESG_fNS9_4plusIvEENS9_8equal_toIvEEfEE10hipError_tPvRmT2_T3_T4_T5_mT6_T7_P12ihipStream_tbENKUlT_T0_E_clISt17integral_constantIbLb0EES10_IbLb1EEEEDaSW_SX_EUlSW_E_NS1_11comp_targetILNS1_3genE5ELNS1_11target_archE942ELNS1_3gpuE9ELNS1_3repE0EEENS1_30default_config_static_selectorELNS0_4arch9wavefront6targetE0EEEvT1_.numbered_sgpr, 0
	.set _ZN7rocprim17ROCPRIM_400000_NS6detail17trampoline_kernelINS0_14default_configENS1_27scan_by_key_config_selectorIifEEZZNS1_16scan_by_key_implILNS1_25lookback_scan_determinismE0ELb1ES3_N6thrust23THRUST_200600_302600_NS6detail15normal_iteratorINS9_10device_ptrIiEEEENSB_INSC_IfEEEESG_fNS9_4plusIvEENS9_8equal_toIvEEfEE10hipError_tPvRmT2_T3_T4_T5_mT6_T7_P12ihipStream_tbENKUlT_T0_E_clISt17integral_constantIbLb0EES10_IbLb1EEEEDaSW_SX_EUlSW_E_NS1_11comp_targetILNS1_3genE5ELNS1_11target_archE942ELNS1_3gpuE9ELNS1_3repE0EEENS1_30default_config_static_selectorELNS0_4arch9wavefront6targetE0EEEvT1_.num_named_barrier, 0
	.set _ZN7rocprim17ROCPRIM_400000_NS6detail17trampoline_kernelINS0_14default_configENS1_27scan_by_key_config_selectorIifEEZZNS1_16scan_by_key_implILNS1_25lookback_scan_determinismE0ELb1ES3_N6thrust23THRUST_200600_302600_NS6detail15normal_iteratorINS9_10device_ptrIiEEEENSB_INSC_IfEEEESG_fNS9_4plusIvEENS9_8equal_toIvEEfEE10hipError_tPvRmT2_T3_T4_T5_mT6_T7_P12ihipStream_tbENKUlT_T0_E_clISt17integral_constantIbLb0EES10_IbLb1EEEEDaSW_SX_EUlSW_E_NS1_11comp_targetILNS1_3genE5ELNS1_11target_archE942ELNS1_3gpuE9ELNS1_3repE0EEENS1_30default_config_static_selectorELNS0_4arch9wavefront6targetE0EEEvT1_.private_seg_size, 0
	.set _ZN7rocprim17ROCPRIM_400000_NS6detail17trampoline_kernelINS0_14default_configENS1_27scan_by_key_config_selectorIifEEZZNS1_16scan_by_key_implILNS1_25lookback_scan_determinismE0ELb1ES3_N6thrust23THRUST_200600_302600_NS6detail15normal_iteratorINS9_10device_ptrIiEEEENSB_INSC_IfEEEESG_fNS9_4plusIvEENS9_8equal_toIvEEfEE10hipError_tPvRmT2_T3_T4_T5_mT6_T7_P12ihipStream_tbENKUlT_T0_E_clISt17integral_constantIbLb0EES10_IbLb1EEEEDaSW_SX_EUlSW_E_NS1_11comp_targetILNS1_3genE5ELNS1_11target_archE942ELNS1_3gpuE9ELNS1_3repE0EEENS1_30default_config_static_selectorELNS0_4arch9wavefront6targetE0EEEvT1_.uses_vcc, 0
	.set _ZN7rocprim17ROCPRIM_400000_NS6detail17trampoline_kernelINS0_14default_configENS1_27scan_by_key_config_selectorIifEEZZNS1_16scan_by_key_implILNS1_25lookback_scan_determinismE0ELb1ES3_N6thrust23THRUST_200600_302600_NS6detail15normal_iteratorINS9_10device_ptrIiEEEENSB_INSC_IfEEEESG_fNS9_4plusIvEENS9_8equal_toIvEEfEE10hipError_tPvRmT2_T3_T4_T5_mT6_T7_P12ihipStream_tbENKUlT_T0_E_clISt17integral_constantIbLb0EES10_IbLb1EEEEDaSW_SX_EUlSW_E_NS1_11comp_targetILNS1_3genE5ELNS1_11target_archE942ELNS1_3gpuE9ELNS1_3repE0EEENS1_30default_config_static_selectorELNS0_4arch9wavefront6targetE0EEEvT1_.uses_flat_scratch, 0
	.set _ZN7rocprim17ROCPRIM_400000_NS6detail17trampoline_kernelINS0_14default_configENS1_27scan_by_key_config_selectorIifEEZZNS1_16scan_by_key_implILNS1_25lookback_scan_determinismE0ELb1ES3_N6thrust23THRUST_200600_302600_NS6detail15normal_iteratorINS9_10device_ptrIiEEEENSB_INSC_IfEEEESG_fNS9_4plusIvEENS9_8equal_toIvEEfEE10hipError_tPvRmT2_T3_T4_T5_mT6_T7_P12ihipStream_tbENKUlT_T0_E_clISt17integral_constantIbLb0EES10_IbLb1EEEEDaSW_SX_EUlSW_E_NS1_11comp_targetILNS1_3genE5ELNS1_11target_archE942ELNS1_3gpuE9ELNS1_3repE0EEENS1_30default_config_static_selectorELNS0_4arch9wavefront6targetE0EEEvT1_.has_dyn_sized_stack, 0
	.set _ZN7rocprim17ROCPRIM_400000_NS6detail17trampoline_kernelINS0_14default_configENS1_27scan_by_key_config_selectorIifEEZZNS1_16scan_by_key_implILNS1_25lookback_scan_determinismE0ELb1ES3_N6thrust23THRUST_200600_302600_NS6detail15normal_iteratorINS9_10device_ptrIiEEEENSB_INSC_IfEEEESG_fNS9_4plusIvEENS9_8equal_toIvEEfEE10hipError_tPvRmT2_T3_T4_T5_mT6_T7_P12ihipStream_tbENKUlT_T0_E_clISt17integral_constantIbLb0EES10_IbLb1EEEEDaSW_SX_EUlSW_E_NS1_11comp_targetILNS1_3genE5ELNS1_11target_archE942ELNS1_3gpuE9ELNS1_3repE0EEENS1_30default_config_static_selectorELNS0_4arch9wavefront6targetE0EEEvT1_.has_recursion, 0
	.set _ZN7rocprim17ROCPRIM_400000_NS6detail17trampoline_kernelINS0_14default_configENS1_27scan_by_key_config_selectorIifEEZZNS1_16scan_by_key_implILNS1_25lookback_scan_determinismE0ELb1ES3_N6thrust23THRUST_200600_302600_NS6detail15normal_iteratorINS9_10device_ptrIiEEEENSB_INSC_IfEEEESG_fNS9_4plusIvEENS9_8equal_toIvEEfEE10hipError_tPvRmT2_T3_T4_T5_mT6_T7_P12ihipStream_tbENKUlT_T0_E_clISt17integral_constantIbLb0EES10_IbLb1EEEEDaSW_SX_EUlSW_E_NS1_11comp_targetILNS1_3genE5ELNS1_11target_archE942ELNS1_3gpuE9ELNS1_3repE0EEENS1_30default_config_static_selectorELNS0_4arch9wavefront6targetE0EEEvT1_.has_indirect_call, 0
	.section	.AMDGPU.csdata,"",@progbits
; Kernel info:
; codeLenInByte = 0
; TotalNumSgprs: 0
; NumVgprs: 0
; ScratchSize: 0
; MemoryBound: 0
; FloatMode: 240
; IeeeMode: 1
; LDSByteSize: 0 bytes/workgroup (compile time only)
; SGPRBlocks: 0
; VGPRBlocks: 0
; NumSGPRsForWavesPerEU: 1
; NumVGPRsForWavesPerEU: 1
; NamedBarCnt: 0
; Occupancy: 16
; WaveLimiterHint : 0
; COMPUTE_PGM_RSRC2:SCRATCH_EN: 0
; COMPUTE_PGM_RSRC2:USER_SGPR: 2
; COMPUTE_PGM_RSRC2:TRAP_HANDLER: 0
; COMPUTE_PGM_RSRC2:TGID_X_EN: 1
; COMPUTE_PGM_RSRC2:TGID_Y_EN: 0
; COMPUTE_PGM_RSRC2:TGID_Z_EN: 0
; COMPUTE_PGM_RSRC2:TIDIG_COMP_CNT: 0
	.section	.text._ZN7rocprim17ROCPRIM_400000_NS6detail17trampoline_kernelINS0_14default_configENS1_27scan_by_key_config_selectorIifEEZZNS1_16scan_by_key_implILNS1_25lookback_scan_determinismE0ELb1ES3_N6thrust23THRUST_200600_302600_NS6detail15normal_iteratorINS9_10device_ptrIiEEEENSB_INSC_IfEEEESG_fNS9_4plusIvEENS9_8equal_toIvEEfEE10hipError_tPvRmT2_T3_T4_T5_mT6_T7_P12ihipStream_tbENKUlT_T0_E_clISt17integral_constantIbLb0EES10_IbLb1EEEEDaSW_SX_EUlSW_E_NS1_11comp_targetILNS1_3genE4ELNS1_11target_archE910ELNS1_3gpuE8ELNS1_3repE0EEENS1_30default_config_static_selectorELNS0_4arch9wavefront6targetE0EEEvT1_,"axG",@progbits,_ZN7rocprim17ROCPRIM_400000_NS6detail17trampoline_kernelINS0_14default_configENS1_27scan_by_key_config_selectorIifEEZZNS1_16scan_by_key_implILNS1_25lookback_scan_determinismE0ELb1ES3_N6thrust23THRUST_200600_302600_NS6detail15normal_iteratorINS9_10device_ptrIiEEEENSB_INSC_IfEEEESG_fNS9_4plusIvEENS9_8equal_toIvEEfEE10hipError_tPvRmT2_T3_T4_T5_mT6_T7_P12ihipStream_tbENKUlT_T0_E_clISt17integral_constantIbLb0EES10_IbLb1EEEEDaSW_SX_EUlSW_E_NS1_11comp_targetILNS1_3genE4ELNS1_11target_archE910ELNS1_3gpuE8ELNS1_3repE0EEENS1_30default_config_static_selectorELNS0_4arch9wavefront6targetE0EEEvT1_,comdat
	.protected	_ZN7rocprim17ROCPRIM_400000_NS6detail17trampoline_kernelINS0_14default_configENS1_27scan_by_key_config_selectorIifEEZZNS1_16scan_by_key_implILNS1_25lookback_scan_determinismE0ELb1ES3_N6thrust23THRUST_200600_302600_NS6detail15normal_iteratorINS9_10device_ptrIiEEEENSB_INSC_IfEEEESG_fNS9_4plusIvEENS9_8equal_toIvEEfEE10hipError_tPvRmT2_T3_T4_T5_mT6_T7_P12ihipStream_tbENKUlT_T0_E_clISt17integral_constantIbLb0EES10_IbLb1EEEEDaSW_SX_EUlSW_E_NS1_11comp_targetILNS1_3genE4ELNS1_11target_archE910ELNS1_3gpuE8ELNS1_3repE0EEENS1_30default_config_static_selectorELNS0_4arch9wavefront6targetE0EEEvT1_ ; -- Begin function _ZN7rocprim17ROCPRIM_400000_NS6detail17trampoline_kernelINS0_14default_configENS1_27scan_by_key_config_selectorIifEEZZNS1_16scan_by_key_implILNS1_25lookback_scan_determinismE0ELb1ES3_N6thrust23THRUST_200600_302600_NS6detail15normal_iteratorINS9_10device_ptrIiEEEENSB_INSC_IfEEEESG_fNS9_4plusIvEENS9_8equal_toIvEEfEE10hipError_tPvRmT2_T3_T4_T5_mT6_T7_P12ihipStream_tbENKUlT_T0_E_clISt17integral_constantIbLb0EES10_IbLb1EEEEDaSW_SX_EUlSW_E_NS1_11comp_targetILNS1_3genE4ELNS1_11target_archE910ELNS1_3gpuE8ELNS1_3repE0EEENS1_30default_config_static_selectorELNS0_4arch9wavefront6targetE0EEEvT1_
	.globl	_ZN7rocprim17ROCPRIM_400000_NS6detail17trampoline_kernelINS0_14default_configENS1_27scan_by_key_config_selectorIifEEZZNS1_16scan_by_key_implILNS1_25lookback_scan_determinismE0ELb1ES3_N6thrust23THRUST_200600_302600_NS6detail15normal_iteratorINS9_10device_ptrIiEEEENSB_INSC_IfEEEESG_fNS9_4plusIvEENS9_8equal_toIvEEfEE10hipError_tPvRmT2_T3_T4_T5_mT6_T7_P12ihipStream_tbENKUlT_T0_E_clISt17integral_constantIbLb0EES10_IbLb1EEEEDaSW_SX_EUlSW_E_NS1_11comp_targetILNS1_3genE4ELNS1_11target_archE910ELNS1_3gpuE8ELNS1_3repE0EEENS1_30default_config_static_selectorELNS0_4arch9wavefront6targetE0EEEvT1_
	.p2align	8
	.type	_ZN7rocprim17ROCPRIM_400000_NS6detail17trampoline_kernelINS0_14default_configENS1_27scan_by_key_config_selectorIifEEZZNS1_16scan_by_key_implILNS1_25lookback_scan_determinismE0ELb1ES3_N6thrust23THRUST_200600_302600_NS6detail15normal_iteratorINS9_10device_ptrIiEEEENSB_INSC_IfEEEESG_fNS9_4plusIvEENS9_8equal_toIvEEfEE10hipError_tPvRmT2_T3_T4_T5_mT6_T7_P12ihipStream_tbENKUlT_T0_E_clISt17integral_constantIbLb0EES10_IbLb1EEEEDaSW_SX_EUlSW_E_NS1_11comp_targetILNS1_3genE4ELNS1_11target_archE910ELNS1_3gpuE8ELNS1_3repE0EEENS1_30default_config_static_selectorELNS0_4arch9wavefront6targetE0EEEvT1_,@function
_ZN7rocprim17ROCPRIM_400000_NS6detail17trampoline_kernelINS0_14default_configENS1_27scan_by_key_config_selectorIifEEZZNS1_16scan_by_key_implILNS1_25lookback_scan_determinismE0ELb1ES3_N6thrust23THRUST_200600_302600_NS6detail15normal_iteratorINS9_10device_ptrIiEEEENSB_INSC_IfEEEESG_fNS9_4plusIvEENS9_8equal_toIvEEfEE10hipError_tPvRmT2_T3_T4_T5_mT6_T7_P12ihipStream_tbENKUlT_T0_E_clISt17integral_constantIbLb0EES10_IbLb1EEEEDaSW_SX_EUlSW_E_NS1_11comp_targetILNS1_3genE4ELNS1_11target_archE910ELNS1_3gpuE8ELNS1_3repE0EEENS1_30default_config_static_selectorELNS0_4arch9wavefront6targetE0EEEvT1_: ; @_ZN7rocprim17ROCPRIM_400000_NS6detail17trampoline_kernelINS0_14default_configENS1_27scan_by_key_config_selectorIifEEZZNS1_16scan_by_key_implILNS1_25lookback_scan_determinismE0ELb1ES3_N6thrust23THRUST_200600_302600_NS6detail15normal_iteratorINS9_10device_ptrIiEEEENSB_INSC_IfEEEESG_fNS9_4plusIvEENS9_8equal_toIvEEfEE10hipError_tPvRmT2_T3_T4_T5_mT6_T7_P12ihipStream_tbENKUlT_T0_E_clISt17integral_constantIbLb0EES10_IbLb1EEEEDaSW_SX_EUlSW_E_NS1_11comp_targetILNS1_3genE4ELNS1_11target_archE910ELNS1_3gpuE8ELNS1_3repE0EEENS1_30default_config_static_selectorELNS0_4arch9wavefront6targetE0EEEvT1_
; %bb.0:
	.section	.rodata,"a",@progbits
	.p2align	6, 0x0
	.amdhsa_kernel _ZN7rocprim17ROCPRIM_400000_NS6detail17trampoline_kernelINS0_14default_configENS1_27scan_by_key_config_selectorIifEEZZNS1_16scan_by_key_implILNS1_25lookback_scan_determinismE0ELb1ES3_N6thrust23THRUST_200600_302600_NS6detail15normal_iteratorINS9_10device_ptrIiEEEENSB_INSC_IfEEEESG_fNS9_4plusIvEENS9_8equal_toIvEEfEE10hipError_tPvRmT2_T3_T4_T5_mT6_T7_P12ihipStream_tbENKUlT_T0_E_clISt17integral_constantIbLb0EES10_IbLb1EEEEDaSW_SX_EUlSW_E_NS1_11comp_targetILNS1_3genE4ELNS1_11target_archE910ELNS1_3gpuE8ELNS1_3repE0EEENS1_30default_config_static_selectorELNS0_4arch9wavefront6targetE0EEEvT1_
		.amdhsa_group_segment_fixed_size 0
		.amdhsa_private_segment_fixed_size 0
		.amdhsa_kernarg_size 112
		.amdhsa_user_sgpr_count 2
		.amdhsa_user_sgpr_dispatch_ptr 0
		.amdhsa_user_sgpr_queue_ptr 0
		.amdhsa_user_sgpr_kernarg_segment_ptr 1
		.amdhsa_user_sgpr_dispatch_id 0
		.amdhsa_user_sgpr_kernarg_preload_length 0
		.amdhsa_user_sgpr_kernarg_preload_offset 0
		.amdhsa_user_sgpr_private_segment_size 0
		.amdhsa_wavefront_size32 1
		.amdhsa_uses_dynamic_stack 0
		.amdhsa_enable_private_segment 0
		.amdhsa_system_sgpr_workgroup_id_x 1
		.amdhsa_system_sgpr_workgroup_id_y 0
		.amdhsa_system_sgpr_workgroup_id_z 0
		.amdhsa_system_sgpr_workgroup_info 0
		.amdhsa_system_vgpr_workitem_id 0
		.amdhsa_next_free_vgpr 1
		.amdhsa_next_free_sgpr 1
		.amdhsa_named_barrier_count 0
		.amdhsa_reserve_vcc 0
		.amdhsa_float_round_mode_32 0
		.amdhsa_float_round_mode_16_64 0
		.amdhsa_float_denorm_mode_32 3
		.amdhsa_float_denorm_mode_16_64 3
		.amdhsa_fp16_overflow 0
		.amdhsa_memory_ordered 1
		.amdhsa_forward_progress 1
		.amdhsa_inst_pref_size 0
		.amdhsa_round_robin_scheduling 0
		.amdhsa_exception_fp_ieee_invalid_op 0
		.amdhsa_exception_fp_denorm_src 0
		.amdhsa_exception_fp_ieee_div_zero 0
		.amdhsa_exception_fp_ieee_overflow 0
		.amdhsa_exception_fp_ieee_underflow 0
		.amdhsa_exception_fp_ieee_inexact 0
		.amdhsa_exception_int_div_zero 0
	.end_amdhsa_kernel
	.section	.text._ZN7rocprim17ROCPRIM_400000_NS6detail17trampoline_kernelINS0_14default_configENS1_27scan_by_key_config_selectorIifEEZZNS1_16scan_by_key_implILNS1_25lookback_scan_determinismE0ELb1ES3_N6thrust23THRUST_200600_302600_NS6detail15normal_iteratorINS9_10device_ptrIiEEEENSB_INSC_IfEEEESG_fNS9_4plusIvEENS9_8equal_toIvEEfEE10hipError_tPvRmT2_T3_T4_T5_mT6_T7_P12ihipStream_tbENKUlT_T0_E_clISt17integral_constantIbLb0EES10_IbLb1EEEEDaSW_SX_EUlSW_E_NS1_11comp_targetILNS1_3genE4ELNS1_11target_archE910ELNS1_3gpuE8ELNS1_3repE0EEENS1_30default_config_static_selectorELNS0_4arch9wavefront6targetE0EEEvT1_,"axG",@progbits,_ZN7rocprim17ROCPRIM_400000_NS6detail17trampoline_kernelINS0_14default_configENS1_27scan_by_key_config_selectorIifEEZZNS1_16scan_by_key_implILNS1_25lookback_scan_determinismE0ELb1ES3_N6thrust23THRUST_200600_302600_NS6detail15normal_iteratorINS9_10device_ptrIiEEEENSB_INSC_IfEEEESG_fNS9_4plusIvEENS9_8equal_toIvEEfEE10hipError_tPvRmT2_T3_T4_T5_mT6_T7_P12ihipStream_tbENKUlT_T0_E_clISt17integral_constantIbLb0EES10_IbLb1EEEEDaSW_SX_EUlSW_E_NS1_11comp_targetILNS1_3genE4ELNS1_11target_archE910ELNS1_3gpuE8ELNS1_3repE0EEENS1_30default_config_static_selectorELNS0_4arch9wavefront6targetE0EEEvT1_,comdat
.Lfunc_end1457:
	.size	_ZN7rocprim17ROCPRIM_400000_NS6detail17trampoline_kernelINS0_14default_configENS1_27scan_by_key_config_selectorIifEEZZNS1_16scan_by_key_implILNS1_25lookback_scan_determinismE0ELb1ES3_N6thrust23THRUST_200600_302600_NS6detail15normal_iteratorINS9_10device_ptrIiEEEENSB_INSC_IfEEEESG_fNS9_4plusIvEENS9_8equal_toIvEEfEE10hipError_tPvRmT2_T3_T4_T5_mT6_T7_P12ihipStream_tbENKUlT_T0_E_clISt17integral_constantIbLb0EES10_IbLb1EEEEDaSW_SX_EUlSW_E_NS1_11comp_targetILNS1_3genE4ELNS1_11target_archE910ELNS1_3gpuE8ELNS1_3repE0EEENS1_30default_config_static_selectorELNS0_4arch9wavefront6targetE0EEEvT1_, .Lfunc_end1457-_ZN7rocprim17ROCPRIM_400000_NS6detail17trampoline_kernelINS0_14default_configENS1_27scan_by_key_config_selectorIifEEZZNS1_16scan_by_key_implILNS1_25lookback_scan_determinismE0ELb1ES3_N6thrust23THRUST_200600_302600_NS6detail15normal_iteratorINS9_10device_ptrIiEEEENSB_INSC_IfEEEESG_fNS9_4plusIvEENS9_8equal_toIvEEfEE10hipError_tPvRmT2_T3_T4_T5_mT6_T7_P12ihipStream_tbENKUlT_T0_E_clISt17integral_constantIbLb0EES10_IbLb1EEEEDaSW_SX_EUlSW_E_NS1_11comp_targetILNS1_3genE4ELNS1_11target_archE910ELNS1_3gpuE8ELNS1_3repE0EEENS1_30default_config_static_selectorELNS0_4arch9wavefront6targetE0EEEvT1_
                                        ; -- End function
	.set _ZN7rocprim17ROCPRIM_400000_NS6detail17trampoline_kernelINS0_14default_configENS1_27scan_by_key_config_selectorIifEEZZNS1_16scan_by_key_implILNS1_25lookback_scan_determinismE0ELb1ES3_N6thrust23THRUST_200600_302600_NS6detail15normal_iteratorINS9_10device_ptrIiEEEENSB_INSC_IfEEEESG_fNS9_4plusIvEENS9_8equal_toIvEEfEE10hipError_tPvRmT2_T3_T4_T5_mT6_T7_P12ihipStream_tbENKUlT_T0_E_clISt17integral_constantIbLb0EES10_IbLb1EEEEDaSW_SX_EUlSW_E_NS1_11comp_targetILNS1_3genE4ELNS1_11target_archE910ELNS1_3gpuE8ELNS1_3repE0EEENS1_30default_config_static_selectorELNS0_4arch9wavefront6targetE0EEEvT1_.num_vgpr, 0
	.set _ZN7rocprim17ROCPRIM_400000_NS6detail17trampoline_kernelINS0_14default_configENS1_27scan_by_key_config_selectorIifEEZZNS1_16scan_by_key_implILNS1_25lookback_scan_determinismE0ELb1ES3_N6thrust23THRUST_200600_302600_NS6detail15normal_iteratorINS9_10device_ptrIiEEEENSB_INSC_IfEEEESG_fNS9_4plusIvEENS9_8equal_toIvEEfEE10hipError_tPvRmT2_T3_T4_T5_mT6_T7_P12ihipStream_tbENKUlT_T0_E_clISt17integral_constantIbLb0EES10_IbLb1EEEEDaSW_SX_EUlSW_E_NS1_11comp_targetILNS1_3genE4ELNS1_11target_archE910ELNS1_3gpuE8ELNS1_3repE0EEENS1_30default_config_static_selectorELNS0_4arch9wavefront6targetE0EEEvT1_.num_agpr, 0
	.set _ZN7rocprim17ROCPRIM_400000_NS6detail17trampoline_kernelINS0_14default_configENS1_27scan_by_key_config_selectorIifEEZZNS1_16scan_by_key_implILNS1_25lookback_scan_determinismE0ELb1ES3_N6thrust23THRUST_200600_302600_NS6detail15normal_iteratorINS9_10device_ptrIiEEEENSB_INSC_IfEEEESG_fNS9_4plusIvEENS9_8equal_toIvEEfEE10hipError_tPvRmT2_T3_T4_T5_mT6_T7_P12ihipStream_tbENKUlT_T0_E_clISt17integral_constantIbLb0EES10_IbLb1EEEEDaSW_SX_EUlSW_E_NS1_11comp_targetILNS1_3genE4ELNS1_11target_archE910ELNS1_3gpuE8ELNS1_3repE0EEENS1_30default_config_static_selectorELNS0_4arch9wavefront6targetE0EEEvT1_.numbered_sgpr, 0
	.set _ZN7rocprim17ROCPRIM_400000_NS6detail17trampoline_kernelINS0_14default_configENS1_27scan_by_key_config_selectorIifEEZZNS1_16scan_by_key_implILNS1_25lookback_scan_determinismE0ELb1ES3_N6thrust23THRUST_200600_302600_NS6detail15normal_iteratorINS9_10device_ptrIiEEEENSB_INSC_IfEEEESG_fNS9_4plusIvEENS9_8equal_toIvEEfEE10hipError_tPvRmT2_T3_T4_T5_mT6_T7_P12ihipStream_tbENKUlT_T0_E_clISt17integral_constantIbLb0EES10_IbLb1EEEEDaSW_SX_EUlSW_E_NS1_11comp_targetILNS1_3genE4ELNS1_11target_archE910ELNS1_3gpuE8ELNS1_3repE0EEENS1_30default_config_static_selectorELNS0_4arch9wavefront6targetE0EEEvT1_.num_named_barrier, 0
	.set _ZN7rocprim17ROCPRIM_400000_NS6detail17trampoline_kernelINS0_14default_configENS1_27scan_by_key_config_selectorIifEEZZNS1_16scan_by_key_implILNS1_25lookback_scan_determinismE0ELb1ES3_N6thrust23THRUST_200600_302600_NS6detail15normal_iteratorINS9_10device_ptrIiEEEENSB_INSC_IfEEEESG_fNS9_4plusIvEENS9_8equal_toIvEEfEE10hipError_tPvRmT2_T3_T4_T5_mT6_T7_P12ihipStream_tbENKUlT_T0_E_clISt17integral_constantIbLb0EES10_IbLb1EEEEDaSW_SX_EUlSW_E_NS1_11comp_targetILNS1_3genE4ELNS1_11target_archE910ELNS1_3gpuE8ELNS1_3repE0EEENS1_30default_config_static_selectorELNS0_4arch9wavefront6targetE0EEEvT1_.private_seg_size, 0
	.set _ZN7rocprim17ROCPRIM_400000_NS6detail17trampoline_kernelINS0_14default_configENS1_27scan_by_key_config_selectorIifEEZZNS1_16scan_by_key_implILNS1_25lookback_scan_determinismE0ELb1ES3_N6thrust23THRUST_200600_302600_NS6detail15normal_iteratorINS9_10device_ptrIiEEEENSB_INSC_IfEEEESG_fNS9_4plusIvEENS9_8equal_toIvEEfEE10hipError_tPvRmT2_T3_T4_T5_mT6_T7_P12ihipStream_tbENKUlT_T0_E_clISt17integral_constantIbLb0EES10_IbLb1EEEEDaSW_SX_EUlSW_E_NS1_11comp_targetILNS1_3genE4ELNS1_11target_archE910ELNS1_3gpuE8ELNS1_3repE0EEENS1_30default_config_static_selectorELNS0_4arch9wavefront6targetE0EEEvT1_.uses_vcc, 0
	.set _ZN7rocprim17ROCPRIM_400000_NS6detail17trampoline_kernelINS0_14default_configENS1_27scan_by_key_config_selectorIifEEZZNS1_16scan_by_key_implILNS1_25lookback_scan_determinismE0ELb1ES3_N6thrust23THRUST_200600_302600_NS6detail15normal_iteratorINS9_10device_ptrIiEEEENSB_INSC_IfEEEESG_fNS9_4plusIvEENS9_8equal_toIvEEfEE10hipError_tPvRmT2_T3_T4_T5_mT6_T7_P12ihipStream_tbENKUlT_T0_E_clISt17integral_constantIbLb0EES10_IbLb1EEEEDaSW_SX_EUlSW_E_NS1_11comp_targetILNS1_3genE4ELNS1_11target_archE910ELNS1_3gpuE8ELNS1_3repE0EEENS1_30default_config_static_selectorELNS0_4arch9wavefront6targetE0EEEvT1_.uses_flat_scratch, 0
	.set _ZN7rocprim17ROCPRIM_400000_NS6detail17trampoline_kernelINS0_14default_configENS1_27scan_by_key_config_selectorIifEEZZNS1_16scan_by_key_implILNS1_25lookback_scan_determinismE0ELb1ES3_N6thrust23THRUST_200600_302600_NS6detail15normal_iteratorINS9_10device_ptrIiEEEENSB_INSC_IfEEEESG_fNS9_4plusIvEENS9_8equal_toIvEEfEE10hipError_tPvRmT2_T3_T4_T5_mT6_T7_P12ihipStream_tbENKUlT_T0_E_clISt17integral_constantIbLb0EES10_IbLb1EEEEDaSW_SX_EUlSW_E_NS1_11comp_targetILNS1_3genE4ELNS1_11target_archE910ELNS1_3gpuE8ELNS1_3repE0EEENS1_30default_config_static_selectorELNS0_4arch9wavefront6targetE0EEEvT1_.has_dyn_sized_stack, 0
	.set _ZN7rocprim17ROCPRIM_400000_NS6detail17trampoline_kernelINS0_14default_configENS1_27scan_by_key_config_selectorIifEEZZNS1_16scan_by_key_implILNS1_25lookback_scan_determinismE0ELb1ES3_N6thrust23THRUST_200600_302600_NS6detail15normal_iteratorINS9_10device_ptrIiEEEENSB_INSC_IfEEEESG_fNS9_4plusIvEENS9_8equal_toIvEEfEE10hipError_tPvRmT2_T3_T4_T5_mT6_T7_P12ihipStream_tbENKUlT_T0_E_clISt17integral_constantIbLb0EES10_IbLb1EEEEDaSW_SX_EUlSW_E_NS1_11comp_targetILNS1_3genE4ELNS1_11target_archE910ELNS1_3gpuE8ELNS1_3repE0EEENS1_30default_config_static_selectorELNS0_4arch9wavefront6targetE0EEEvT1_.has_recursion, 0
	.set _ZN7rocprim17ROCPRIM_400000_NS6detail17trampoline_kernelINS0_14default_configENS1_27scan_by_key_config_selectorIifEEZZNS1_16scan_by_key_implILNS1_25lookback_scan_determinismE0ELb1ES3_N6thrust23THRUST_200600_302600_NS6detail15normal_iteratorINS9_10device_ptrIiEEEENSB_INSC_IfEEEESG_fNS9_4plusIvEENS9_8equal_toIvEEfEE10hipError_tPvRmT2_T3_T4_T5_mT6_T7_P12ihipStream_tbENKUlT_T0_E_clISt17integral_constantIbLb0EES10_IbLb1EEEEDaSW_SX_EUlSW_E_NS1_11comp_targetILNS1_3genE4ELNS1_11target_archE910ELNS1_3gpuE8ELNS1_3repE0EEENS1_30default_config_static_selectorELNS0_4arch9wavefront6targetE0EEEvT1_.has_indirect_call, 0
	.section	.AMDGPU.csdata,"",@progbits
; Kernel info:
; codeLenInByte = 0
; TotalNumSgprs: 0
; NumVgprs: 0
; ScratchSize: 0
; MemoryBound: 0
; FloatMode: 240
; IeeeMode: 1
; LDSByteSize: 0 bytes/workgroup (compile time only)
; SGPRBlocks: 0
; VGPRBlocks: 0
; NumSGPRsForWavesPerEU: 1
; NumVGPRsForWavesPerEU: 1
; NamedBarCnt: 0
; Occupancy: 16
; WaveLimiterHint : 0
; COMPUTE_PGM_RSRC2:SCRATCH_EN: 0
; COMPUTE_PGM_RSRC2:USER_SGPR: 2
; COMPUTE_PGM_RSRC2:TRAP_HANDLER: 0
; COMPUTE_PGM_RSRC2:TGID_X_EN: 1
; COMPUTE_PGM_RSRC2:TGID_Y_EN: 0
; COMPUTE_PGM_RSRC2:TGID_Z_EN: 0
; COMPUTE_PGM_RSRC2:TIDIG_COMP_CNT: 0
	.section	.text._ZN7rocprim17ROCPRIM_400000_NS6detail17trampoline_kernelINS0_14default_configENS1_27scan_by_key_config_selectorIifEEZZNS1_16scan_by_key_implILNS1_25lookback_scan_determinismE0ELb1ES3_N6thrust23THRUST_200600_302600_NS6detail15normal_iteratorINS9_10device_ptrIiEEEENSB_INSC_IfEEEESG_fNS9_4plusIvEENS9_8equal_toIvEEfEE10hipError_tPvRmT2_T3_T4_T5_mT6_T7_P12ihipStream_tbENKUlT_T0_E_clISt17integral_constantIbLb0EES10_IbLb1EEEEDaSW_SX_EUlSW_E_NS1_11comp_targetILNS1_3genE3ELNS1_11target_archE908ELNS1_3gpuE7ELNS1_3repE0EEENS1_30default_config_static_selectorELNS0_4arch9wavefront6targetE0EEEvT1_,"axG",@progbits,_ZN7rocprim17ROCPRIM_400000_NS6detail17trampoline_kernelINS0_14default_configENS1_27scan_by_key_config_selectorIifEEZZNS1_16scan_by_key_implILNS1_25lookback_scan_determinismE0ELb1ES3_N6thrust23THRUST_200600_302600_NS6detail15normal_iteratorINS9_10device_ptrIiEEEENSB_INSC_IfEEEESG_fNS9_4plusIvEENS9_8equal_toIvEEfEE10hipError_tPvRmT2_T3_T4_T5_mT6_T7_P12ihipStream_tbENKUlT_T0_E_clISt17integral_constantIbLb0EES10_IbLb1EEEEDaSW_SX_EUlSW_E_NS1_11comp_targetILNS1_3genE3ELNS1_11target_archE908ELNS1_3gpuE7ELNS1_3repE0EEENS1_30default_config_static_selectorELNS0_4arch9wavefront6targetE0EEEvT1_,comdat
	.protected	_ZN7rocprim17ROCPRIM_400000_NS6detail17trampoline_kernelINS0_14default_configENS1_27scan_by_key_config_selectorIifEEZZNS1_16scan_by_key_implILNS1_25lookback_scan_determinismE0ELb1ES3_N6thrust23THRUST_200600_302600_NS6detail15normal_iteratorINS9_10device_ptrIiEEEENSB_INSC_IfEEEESG_fNS9_4plusIvEENS9_8equal_toIvEEfEE10hipError_tPvRmT2_T3_T4_T5_mT6_T7_P12ihipStream_tbENKUlT_T0_E_clISt17integral_constantIbLb0EES10_IbLb1EEEEDaSW_SX_EUlSW_E_NS1_11comp_targetILNS1_3genE3ELNS1_11target_archE908ELNS1_3gpuE7ELNS1_3repE0EEENS1_30default_config_static_selectorELNS0_4arch9wavefront6targetE0EEEvT1_ ; -- Begin function _ZN7rocprim17ROCPRIM_400000_NS6detail17trampoline_kernelINS0_14default_configENS1_27scan_by_key_config_selectorIifEEZZNS1_16scan_by_key_implILNS1_25lookback_scan_determinismE0ELb1ES3_N6thrust23THRUST_200600_302600_NS6detail15normal_iteratorINS9_10device_ptrIiEEEENSB_INSC_IfEEEESG_fNS9_4plusIvEENS9_8equal_toIvEEfEE10hipError_tPvRmT2_T3_T4_T5_mT6_T7_P12ihipStream_tbENKUlT_T0_E_clISt17integral_constantIbLb0EES10_IbLb1EEEEDaSW_SX_EUlSW_E_NS1_11comp_targetILNS1_3genE3ELNS1_11target_archE908ELNS1_3gpuE7ELNS1_3repE0EEENS1_30default_config_static_selectorELNS0_4arch9wavefront6targetE0EEEvT1_
	.globl	_ZN7rocprim17ROCPRIM_400000_NS6detail17trampoline_kernelINS0_14default_configENS1_27scan_by_key_config_selectorIifEEZZNS1_16scan_by_key_implILNS1_25lookback_scan_determinismE0ELb1ES3_N6thrust23THRUST_200600_302600_NS6detail15normal_iteratorINS9_10device_ptrIiEEEENSB_INSC_IfEEEESG_fNS9_4plusIvEENS9_8equal_toIvEEfEE10hipError_tPvRmT2_T3_T4_T5_mT6_T7_P12ihipStream_tbENKUlT_T0_E_clISt17integral_constantIbLb0EES10_IbLb1EEEEDaSW_SX_EUlSW_E_NS1_11comp_targetILNS1_3genE3ELNS1_11target_archE908ELNS1_3gpuE7ELNS1_3repE0EEENS1_30default_config_static_selectorELNS0_4arch9wavefront6targetE0EEEvT1_
	.p2align	8
	.type	_ZN7rocprim17ROCPRIM_400000_NS6detail17trampoline_kernelINS0_14default_configENS1_27scan_by_key_config_selectorIifEEZZNS1_16scan_by_key_implILNS1_25lookback_scan_determinismE0ELb1ES3_N6thrust23THRUST_200600_302600_NS6detail15normal_iteratorINS9_10device_ptrIiEEEENSB_INSC_IfEEEESG_fNS9_4plusIvEENS9_8equal_toIvEEfEE10hipError_tPvRmT2_T3_T4_T5_mT6_T7_P12ihipStream_tbENKUlT_T0_E_clISt17integral_constantIbLb0EES10_IbLb1EEEEDaSW_SX_EUlSW_E_NS1_11comp_targetILNS1_3genE3ELNS1_11target_archE908ELNS1_3gpuE7ELNS1_3repE0EEENS1_30default_config_static_selectorELNS0_4arch9wavefront6targetE0EEEvT1_,@function
_ZN7rocprim17ROCPRIM_400000_NS6detail17trampoline_kernelINS0_14default_configENS1_27scan_by_key_config_selectorIifEEZZNS1_16scan_by_key_implILNS1_25lookback_scan_determinismE0ELb1ES3_N6thrust23THRUST_200600_302600_NS6detail15normal_iteratorINS9_10device_ptrIiEEEENSB_INSC_IfEEEESG_fNS9_4plusIvEENS9_8equal_toIvEEfEE10hipError_tPvRmT2_T3_T4_T5_mT6_T7_P12ihipStream_tbENKUlT_T0_E_clISt17integral_constantIbLb0EES10_IbLb1EEEEDaSW_SX_EUlSW_E_NS1_11comp_targetILNS1_3genE3ELNS1_11target_archE908ELNS1_3gpuE7ELNS1_3repE0EEENS1_30default_config_static_selectorELNS0_4arch9wavefront6targetE0EEEvT1_: ; @_ZN7rocprim17ROCPRIM_400000_NS6detail17trampoline_kernelINS0_14default_configENS1_27scan_by_key_config_selectorIifEEZZNS1_16scan_by_key_implILNS1_25lookback_scan_determinismE0ELb1ES3_N6thrust23THRUST_200600_302600_NS6detail15normal_iteratorINS9_10device_ptrIiEEEENSB_INSC_IfEEEESG_fNS9_4plusIvEENS9_8equal_toIvEEfEE10hipError_tPvRmT2_T3_T4_T5_mT6_T7_P12ihipStream_tbENKUlT_T0_E_clISt17integral_constantIbLb0EES10_IbLb1EEEEDaSW_SX_EUlSW_E_NS1_11comp_targetILNS1_3genE3ELNS1_11target_archE908ELNS1_3gpuE7ELNS1_3repE0EEENS1_30default_config_static_selectorELNS0_4arch9wavefront6targetE0EEEvT1_
; %bb.0:
	.section	.rodata,"a",@progbits
	.p2align	6, 0x0
	.amdhsa_kernel _ZN7rocprim17ROCPRIM_400000_NS6detail17trampoline_kernelINS0_14default_configENS1_27scan_by_key_config_selectorIifEEZZNS1_16scan_by_key_implILNS1_25lookback_scan_determinismE0ELb1ES3_N6thrust23THRUST_200600_302600_NS6detail15normal_iteratorINS9_10device_ptrIiEEEENSB_INSC_IfEEEESG_fNS9_4plusIvEENS9_8equal_toIvEEfEE10hipError_tPvRmT2_T3_T4_T5_mT6_T7_P12ihipStream_tbENKUlT_T0_E_clISt17integral_constantIbLb0EES10_IbLb1EEEEDaSW_SX_EUlSW_E_NS1_11comp_targetILNS1_3genE3ELNS1_11target_archE908ELNS1_3gpuE7ELNS1_3repE0EEENS1_30default_config_static_selectorELNS0_4arch9wavefront6targetE0EEEvT1_
		.amdhsa_group_segment_fixed_size 0
		.amdhsa_private_segment_fixed_size 0
		.amdhsa_kernarg_size 112
		.amdhsa_user_sgpr_count 2
		.amdhsa_user_sgpr_dispatch_ptr 0
		.amdhsa_user_sgpr_queue_ptr 0
		.amdhsa_user_sgpr_kernarg_segment_ptr 1
		.amdhsa_user_sgpr_dispatch_id 0
		.amdhsa_user_sgpr_kernarg_preload_length 0
		.amdhsa_user_sgpr_kernarg_preload_offset 0
		.amdhsa_user_sgpr_private_segment_size 0
		.amdhsa_wavefront_size32 1
		.amdhsa_uses_dynamic_stack 0
		.amdhsa_enable_private_segment 0
		.amdhsa_system_sgpr_workgroup_id_x 1
		.amdhsa_system_sgpr_workgroup_id_y 0
		.amdhsa_system_sgpr_workgroup_id_z 0
		.amdhsa_system_sgpr_workgroup_info 0
		.amdhsa_system_vgpr_workitem_id 0
		.amdhsa_next_free_vgpr 1
		.amdhsa_next_free_sgpr 1
		.amdhsa_named_barrier_count 0
		.amdhsa_reserve_vcc 0
		.amdhsa_float_round_mode_32 0
		.amdhsa_float_round_mode_16_64 0
		.amdhsa_float_denorm_mode_32 3
		.amdhsa_float_denorm_mode_16_64 3
		.amdhsa_fp16_overflow 0
		.amdhsa_memory_ordered 1
		.amdhsa_forward_progress 1
		.amdhsa_inst_pref_size 0
		.amdhsa_round_robin_scheduling 0
		.amdhsa_exception_fp_ieee_invalid_op 0
		.amdhsa_exception_fp_denorm_src 0
		.amdhsa_exception_fp_ieee_div_zero 0
		.amdhsa_exception_fp_ieee_overflow 0
		.amdhsa_exception_fp_ieee_underflow 0
		.amdhsa_exception_fp_ieee_inexact 0
		.amdhsa_exception_int_div_zero 0
	.end_amdhsa_kernel
	.section	.text._ZN7rocprim17ROCPRIM_400000_NS6detail17trampoline_kernelINS0_14default_configENS1_27scan_by_key_config_selectorIifEEZZNS1_16scan_by_key_implILNS1_25lookback_scan_determinismE0ELb1ES3_N6thrust23THRUST_200600_302600_NS6detail15normal_iteratorINS9_10device_ptrIiEEEENSB_INSC_IfEEEESG_fNS9_4plusIvEENS9_8equal_toIvEEfEE10hipError_tPvRmT2_T3_T4_T5_mT6_T7_P12ihipStream_tbENKUlT_T0_E_clISt17integral_constantIbLb0EES10_IbLb1EEEEDaSW_SX_EUlSW_E_NS1_11comp_targetILNS1_3genE3ELNS1_11target_archE908ELNS1_3gpuE7ELNS1_3repE0EEENS1_30default_config_static_selectorELNS0_4arch9wavefront6targetE0EEEvT1_,"axG",@progbits,_ZN7rocprim17ROCPRIM_400000_NS6detail17trampoline_kernelINS0_14default_configENS1_27scan_by_key_config_selectorIifEEZZNS1_16scan_by_key_implILNS1_25lookback_scan_determinismE0ELb1ES3_N6thrust23THRUST_200600_302600_NS6detail15normal_iteratorINS9_10device_ptrIiEEEENSB_INSC_IfEEEESG_fNS9_4plusIvEENS9_8equal_toIvEEfEE10hipError_tPvRmT2_T3_T4_T5_mT6_T7_P12ihipStream_tbENKUlT_T0_E_clISt17integral_constantIbLb0EES10_IbLb1EEEEDaSW_SX_EUlSW_E_NS1_11comp_targetILNS1_3genE3ELNS1_11target_archE908ELNS1_3gpuE7ELNS1_3repE0EEENS1_30default_config_static_selectorELNS0_4arch9wavefront6targetE0EEEvT1_,comdat
.Lfunc_end1458:
	.size	_ZN7rocprim17ROCPRIM_400000_NS6detail17trampoline_kernelINS0_14default_configENS1_27scan_by_key_config_selectorIifEEZZNS1_16scan_by_key_implILNS1_25lookback_scan_determinismE0ELb1ES3_N6thrust23THRUST_200600_302600_NS6detail15normal_iteratorINS9_10device_ptrIiEEEENSB_INSC_IfEEEESG_fNS9_4plusIvEENS9_8equal_toIvEEfEE10hipError_tPvRmT2_T3_T4_T5_mT6_T7_P12ihipStream_tbENKUlT_T0_E_clISt17integral_constantIbLb0EES10_IbLb1EEEEDaSW_SX_EUlSW_E_NS1_11comp_targetILNS1_3genE3ELNS1_11target_archE908ELNS1_3gpuE7ELNS1_3repE0EEENS1_30default_config_static_selectorELNS0_4arch9wavefront6targetE0EEEvT1_, .Lfunc_end1458-_ZN7rocprim17ROCPRIM_400000_NS6detail17trampoline_kernelINS0_14default_configENS1_27scan_by_key_config_selectorIifEEZZNS1_16scan_by_key_implILNS1_25lookback_scan_determinismE0ELb1ES3_N6thrust23THRUST_200600_302600_NS6detail15normal_iteratorINS9_10device_ptrIiEEEENSB_INSC_IfEEEESG_fNS9_4plusIvEENS9_8equal_toIvEEfEE10hipError_tPvRmT2_T3_T4_T5_mT6_T7_P12ihipStream_tbENKUlT_T0_E_clISt17integral_constantIbLb0EES10_IbLb1EEEEDaSW_SX_EUlSW_E_NS1_11comp_targetILNS1_3genE3ELNS1_11target_archE908ELNS1_3gpuE7ELNS1_3repE0EEENS1_30default_config_static_selectorELNS0_4arch9wavefront6targetE0EEEvT1_
                                        ; -- End function
	.set _ZN7rocprim17ROCPRIM_400000_NS6detail17trampoline_kernelINS0_14default_configENS1_27scan_by_key_config_selectorIifEEZZNS1_16scan_by_key_implILNS1_25lookback_scan_determinismE0ELb1ES3_N6thrust23THRUST_200600_302600_NS6detail15normal_iteratorINS9_10device_ptrIiEEEENSB_INSC_IfEEEESG_fNS9_4plusIvEENS9_8equal_toIvEEfEE10hipError_tPvRmT2_T3_T4_T5_mT6_T7_P12ihipStream_tbENKUlT_T0_E_clISt17integral_constantIbLb0EES10_IbLb1EEEEDaSW_SX_EUlSW_E_NS1_11comp_targetILNS1_3genE3ELNS1_11target_archE908ELNS1_3gpuE7ELNS1_3repE0EEENS1_30default_config_static_selectorELNS0_4arch9wavefront6targetE0EEEvT1_.num_vgpr, 0
	.set _ZN7rocprim17ROCPRIM_400000_NS6detail17trampoline_kernelINS0_14default_configENS1_27scan_by_key_config_selectorIifEEZZNS1_16scan_by_key_implILNS1_25lookback_scan_determinismE0ELb1ES3_N6thrust23THRUST_200600_302600_NS6detail15normal_iteratorINS9_10device_ptrIiEEEENSB_INSC_IfEEEESG_fNS9_4plusIvEENS9_8equal_toIvEEfEE10hipError_tPvRmT2_T3_T4_T5_mT6_T7_P12ihipStream_tbENKUlT_T0_E_clISt17integral_constantIbLb0EES10_IbLb1EEEEDaSW_SX_EUlSW_E_NS1_11comp_targetILNS1_3genE3ELNS1_11target_archE908ELNS1_3gpuE7ELNS1_3repE0EEENS1_30default_config_static_selectorELNS0_4arch9wavefront6targetE0EEEvT1_.num_agpr, 0
	.set _ZN7rocprim17ROCPRIM_400000_NS6detail17trampoline_kernelINS0_14default_configENS1_27scan_by_key_config_selectorIifEEZZNS1_16scan_by_key_implILNS1_25lookback_scan_determinismE0ELb1ES3_N6thrust23THRUST_200600_302600_NS6detail15normal_iteratorINS9_10device_ptrIiEEEENSB_INSC_IfEEEESG_fNS9_4plusIvEENS9_8equal_toIvEEfEE10hipError_tPvRmT2_T3_T4_T5_mT6_T7_P12ihipStream_tbENKUlT_T0_E_clISt17integral_constantIbLb0EES10_IbLb1EEEEDaSW_SX_EUlSW_E_NS1_11comp_targetILNS1_3genE3ELNS1_11target_archE908ELNS1_3gpuE7ELNS1_3repE0EEENS1_30default_config_static_selectorELNS0_4arch9wavefront6targetE0EEEvT1_.numbered_sgpr, 0
	.set _ZN7rocprim17ROCPRIM_400000_NS6detail17trampoline_kernelINS0_14default_configENS1_27scan_by_key_config_selectorIifEEZZNS1_16scan_by_key_implILNS1_25lookback_scan_determinismE0ELb1ES3_N6thrust23THRUST_200600_302600_NS6detail15normal_iteratorINS9_10device_ptrIiEEEENSB_INSC_IfEEEESG_fNS9_4plusIvEENS9_8equal_toIvEEfEE10hipError_tPvRmT2_T3_T4_T5_mT6_T7_P12ihipStream_tbENKUlT_T0_E_clISt17integral_constantIbLb0EES10_IbLb1EEEEDaSW_SX_EUlSW_E_NS1_11comp_targetILNS1_3genE3ELNS1_11target_archE908ELNS1_3gpuE7ELNS1_3repE0EEENS1_30default_config_static_selectorELNS0_4arch9wavefront6targetE0EEEvT1_.num_named_barrier, 0
	.set _ZN7rocprim17ROCPRIM_400000_NS6detail17trampoline_kernelINS0_14default_configENS1_27scan_by_key_config_selectorIifEEZZNS1_16scan_by_key_implILNS1_25lookback_scan_determinismE0ELb1ES3_N6thrust23THRUST_200600_302600_NS6detail15normal_iteratorINS9_10device_ptrIiEEEENSB_INSC_IfEEEESG_fNS9_4plusIvEENS9_8equal_toIvEEfEE10hipError_tPvRmT2_T3_T4_T5_mT6_T7_P12ihipStream_tbENKUlT_T0_E_clISt17integral_constantIbLb0EES10_IbLb1EEEEDaSW_SX_EUlSW_E_NS1_11comp_targetILNS1_3genE3ELNS1_11target_archE908ELNS1_3gpuE7ELNS1_3repE0EEENS1_30default_config_static_selectorELNS0_4arch9wavefront6targetE0EEEvT1_.private_seg_size, 0
	.set _ZN7rocprim17ROCPRIM_400000_NS6detail17trampoline_kernelINS0_14default_configENS1_27scan_by_key_config_selectorIifEEZZNS1_16scan_by_key_implILNS1_25lookback_scan_determinismE0ELb1ES3_N6thrust23THRUST_200600_302600_NS6detail15normal_iteratorINS9_10device_ptrIiEEEENSB_INSC_IfEEEESG_fNS9_4plusIvEENS9_8equal_toIvEEfEE10hipError_tPvRmT2_T3_T4_T5_mT6_T7_P12ihipStream_tbENKUlT_T0_E_clISt17integral_constantIbLb0EES10_IbLb1EEEEDaSW_SX_EUlSW_E_NS1_11comp_targetILNS1_3genE3ELNS1_11target_archE908ELNS1_3gpuE7ELNS1_3repE0EEENS1_30default_config_static_selectorELNS0_4arch9wavefront6targetE0EEEvT1_.uses_vcc, 0
	.set _ZN7rocprim17ROCPRIM_400000_NS6detail17trampoline_kernelINS0_14default_configENS1_27scan_by_key_config_selectorIifEEZZNS1_16scan_by_key_implILNS1_25lookback_scan_determinismE0ELb1ES3_N6thrust23THRUST_200600_302600_NS6detail15normal_iteratorINS9_10device_ptrIiEEEENSB_INSC_IfEEEESG_fNS9_4plusIvEENS9_8equal_toIvEEfEE10hipError_tPvRmT2_T3_T4_T5_mT6_T7_P12ihipStream_tbENKUlT_T0_E_clISt17integral_constantIbLb0EES10_IbLb1EEEEDaSW_SX_EUlSW_E_NS1_11comp_targetILNS1_3genE3ELNS1_11target_archE908ELNS1_3gpuE7ELNS1_3repE0EEENS1_30default_config_static_selectorELNS0_4arch9wavefront6targetE0EEEvT1_.uses_flat_scratch, 0
	.set _ZN7rocprim17ROCPRIM_400000_NS6detail17trampoline_kernelINS0_14default_configENS1_27scan_by_key_config_selectorIifEEZZNS1_16scan_by_key_implILNS1_25lookback_scan_determinismE0ELb1ES3_N6thrust23THRUST_200600_302600_NS6detail15normal_iteratorINS9_10device_ptrIiEEEENSB_INSC_IfEEEESG_fNS9_4plusIvEENS9_8equal_toIvEEfEE10hipError_tPvRmT2_T3_T4_T5_mT6_T7_P12ihipStream_tbENKUlT_T0_E_clISt17integral_constantIbLb0EES10_IbLb1EEEEDaSW_SX_EUlSW_E_NS1_11comp_targetILNS1_3genE3ELNS1_11target_archE908ELNS1_3gpuE7ELNS1_3repE0EEENS1_30default_config_static_selectorELNS0_4arch9wavefront6targetE0EEEvT1_.has_dyn_sized_stack, 0
	.set _ZN7rocprim17ROCPRIM_400000_NS6detail17trampoline_kernelINS0_14default_configENS1_27scan_by_key_config_selectorIifEEZZNS1_16scan_by_key_implILNS1_25lookback_scan_determinismE0ELb1ES3_N6thrust23THRUST_200600_302600_NS6detail15normal_iteratorINS9_10device_ptrIiEEEENSB_INSC_IfEEEESG_fNS9_4plusIvEENS9_8equal_toIvEEfEE10hipError_tPvRmT2_T3_T4_T5_mT6_T7_P12ihipStream_tbENKUlT_T0_E_clISt17integral_constantIbLb0EES10_IbLb1EEEEDaSW_SX_EUlSW_E_NS1_11comp_targetILNS1_3genE3ELNS1_11target_archE908ELNS1_3gpuE7ELNS1_3repE0EEENS1_30default_config_static_selectorELNS0_4arch9wavefront6targetE0EEEvT1_.has_recursion, 0
	.set _ZN7rocprim17ROCPRIM_400000_NS6detail17trampoline_kernelINS0_14default_configENS1_27scan_by_key_config_selectorIifEEZZNS1_16scan_by_key_implILNS1_25lookback_scan_determinismE0ELb1ES3_N6thrust23THRUST_200600_302600_NS6detail15normal_iteratorINS9_10device_ptrIiEEEENSB_INSC_IfEEEESG_fNS9_4plusIvEENS9_8equal_toIvEEfEE10hipError_tPvRmT2_T3_T4_T5_mT6_T7_P12ihipStream_tbENKUlT_T0_E_clISt17integral_constantIbLb0EES10_IbLb1EEEEDaSW_SX_EUlSW_E_NS1_11comp_targetILNS1_3genE3ELNS1_11target_archE908ELNS1_3gpuE7ELNS1_3repE0EEENS1_30default_config_static_selectorELNS0_4arch9wavefront6targetE0EEEvT1_.has_indirect_call, 0
	.section	.AMDGPU.csdata,"",@progbits
; Kernel info:
; codeLenInByte = 0
; TotalNumSgprs: 0
; NumVgprs: 0
; ScratchSize: 0
; MemoryBound: 0
; FloatMode: 240
; IeeeMode: 1
; LDSByteSize: 0 bytes/workgroup (compile time only)
; SGPRBlocks: 0
; VGPRBlocks: 0
; NumSGPRsForWavesPerEU: 1
; NumVGPRsForWavesPerEU: 1
; NamedBarCnt: 0
; Occupancy: 16
; WaveLimiterHint : 0
; COMPUTE_PGM_RSRC2:SCRATCH_EN: 0
; COMPUTE_PGM_RSRC2:USER_SGPR: 2
; COMPUTE_PGM_RSRC2:TRAP_HANDLER: 0
; COMPUTE_PGM_RSRC2:TGID_X_EN: 1
; COMPUTE_PGM_RSRC2:TGID_Y_EN: 0
; COMPUTE_PGM_RSRC2:TGID_Z_EN: 0
; COMPUTE_PGM_RSRC2:TIDIG_COMP_CNT: 0
	.section	.text._ZN7rocprim17ROCPRIM_400000_NS6detail17trampoline_kernelINS0_14default_configENS1_27scan_by_key_config_selectorIifEEZZNS1_16scan_by_key_implILNS1_25lookback_scan_determinismE0ELb1ES3_N6thrust23THRUST_200600_302600_NS6detail15normal_iteratorINS9_10device_ptrIiEEEENSB_INSC_IfEEEESG_fNS9_4plusIvEENS9_8equal_toIvEEfEE10hipError_tPvRmT2_T3_T4_T5_mT6_T7_P12ihipStream_tbENKUlT_T0_E_clISt17integral_constantIbLb0EES10_IbLb1EEEEDaSW_SX_EUlSW_E_NS1_11comp_targetILNS1_3genE2ELNS1_11target_archE906ELNS1_3gpuE6ELNS1_3repE0EEENS1_30default_config_static_selectorELNS0_4arch9wavefront6targetE0EEEvT1_,"axG",@progbits,_ZN7rocprim17ROCPRIM_400000_NS6detail17trampoline_kernelINS0_14default_configENS1_27scan_by_key_config_selectorIifEEZZNS1_16scan_by_key_implILNS1_25lookback_scan_determinismE0ELb1ES3_N6thrust23THRUST_200600_302600_NS6detail15normal_iteratorINS9_10device_ptrIiEEEENSB_INSC_IfEEEESG_fNS9_4plusIvEENS9_8equal_toIvEEfEE10hipError_tPvRmT2_T3_T4_T5_mT6_T7_P12ihipStream_tbENKUlT_T0_E_clISt17integral_constantIbLb0EES10_IbLb1EEEEDaSW_SX_EUlSW_E_NS1_11comp_targetILNS1_3genE2ELNS1_11target_archE906ELNS1_3gpuE6ELNS1_3repE0EEENS1_30default_config_static_selectorELNS0_4arch9wavefront6targetE0EEEvT1_,comdat
	.protected	_ZN7rocprim17ROCPRIM_400000_NS6detail17trampoline_kernelINS0_14default_configENS1_27scan_by_key_config_selectorIifEEZZNS1_16scan_by_key_implILNS1_25lookback_scan_determinismE0ELb1ES3_N6thrust23THRUST_200600_302600_NS6detail15normal_iteratorINS9_10device_ptrIiEEEENSB_INSC_IfEEEESG_fNS9_4plusIvEENS9_8equal_toIvEEfEE10hipError_tPvRmT2_T3_T4_T5_mT6_T7_P12ihipStream_tbENKUlT_T0_E_clISt17integral_constantIbLb0EES10_IbLb1EEEEDaSW_SX_EUlSW_E_NS1_11comp_targetILNS1_3genE2ELNS1_11target_archE906ELNS1_3gpuE6ELNS1_3repE0EEENS1_30default_config_static_selectorELNS0_4arch9wavefront6targetE0EEEvT1_ ; -- Begin function _ZN7rocprim17ROCPRIM_400000_NS6detail17trampoline_kernelINS0_14default_configENS1_27scan_by_key_config_selectorIifEEZZNS1_16scan_by_key_implILNS1_25lookback_scan_determinismE0ELb1ES3_N6thrust23THRUST_200600_302600_NS6detail15normal_iteratorINS9_10device_ptrIiEEEENSB_INSC_IfEEEESG_fNS9_4plusIvEENS9_8equal_toIvEEfEE10hipError_tPvRmT2_T3_T4_T5_mT6_T7_P12ihipStream_tbENKUlT_T0_E_clISt17integral_constantIbLb0EES10_IbLb1EEEEDaSW_SX_EUlSW_E_NS1_11comp_targetILNS1_3genE2ELNS1_11target_archE906ELNS1_3gpuE6ELNS1_3repE0EEENS1_30default_config_static_selectorELNS0_4arch9wavefront6targetE0EEEvT1_
	.globl	_ZN7rocprim17ROCPRIM_400000_NS6detail17trampoline_kernelINS0_14default_configENS1_27scan_by_key_config_selectorIifEEZZNS1_16scan_by_key_implILNS1_25lookback_scan_determinismE0ELb1ES3_N6thrust23THRUST_200600_302600_NS6detail15normal_iteratorINS9_10device_ptrIiEEEENSB_INSC_IfEEEESG_fNS9_4plusIvEENS9_8equal_toIvEEfEE10hipError_tPvRmT2_T3_T4_T5_mT6_T7_P12ihipStream_tbENKUlT_T0_E_clISt17integral_constantIbLb0EES10_IbLb1EEEEDaSW_SX_EUlSW_E_NS1_11comp_targetILNS1_3genE2ELNS1_11target_archE906ELNS1_3gpuE6ELNS1_3repE0EEENS1_30default_config_static_selectorELNS0_4arch9wavefront6targetE0EEEvT1_
	.p2align	8
	.type	_ZN7rocprim17ROCPRIM_400000_NS6detail17trampoline_kernelINS0_14default_configENS1_27scan_by_key_config_selectorIifEEZZNS1_16scan_by_key_implILNS1_25lookback_scan_determinismE0ELb1ES3_N6thrust23THRUST_200600_302600_NS6detail15normal_iteratorINS9_10device_ptrIiEEEENSB_INSC_IfEEEESG_fNS9_4plusIvEENS9_8equal_toIvEEfEE10hipError_tPvRmT2_T3_T4_T5_mT6_T7_P12ihipStream_tbENKUlT_T0_E_clISt17integral_constantIbLb0EES10_IbLb1EEEEDaSW_SX_EUlSW_E_NS1_11comp_targetILNS1_3genE2ELNS1_11target_archE906ELNS1_3gpuE6ELNS1_3repE0EEENS1_30default_config_static_selectorELNS0_4arch9wavefront6targetE0EEEvT1_,@function
_ZN7rocprim17ROCPRIM_400000_NS6detail17trampoline_kernelINS0_14default_configENS1_27scan_by_key_config_selectorIifEEZZNS1_16scan_by_key_implILNS1_25lookback_scan_determinismE0ELb1ES3_N6thrust23THRUST_200600_302600_NS6detail15normal_iteratorINS9_10device_ptrIiEEEENSB_INSC_IfEEEESG_fNS9_4plusIvEENS9_8equal_toIvEEfEE10hipError_tPvRmT2_T3_T4_T5_mT6_T7_P12ihipStream_tbENKUlT_T0_E_clISt17integral_constantIbLb0EES10_IbLb1EEEEDaSW_SX_EUlSW_E_NS1_11comp_targetILNS1_3genE2ELNS1_11target_archE906ELNS1_3gpuE6ELNS1_3repE0EEENS1_30default_config_static_selectorELNS0_4arch9wavefront6targetE0EEEvT1_: ; @_ZN7rocprim17ROCPRIM_400000_NS6detail17trampoline_kernelINS0_14default_configENS1_27scan_by_key_config_selectorIifEEZZNS1_16scan_by_key_implILNS1_25lookback_scan_determinismE0ELb1ES3_N6thrust23THRUST_200600_302600_NS6detail15normal_iteratorINS9_10device_ptrIiEEEENSB_INSC_IfEEEESG_fNS9_4plusIvEENS9_8equal_toIvEEfEE10hipError_tPvRmT2_T3_T4_T5_mT6_T7_P12ihipStream_tbENKUlT_T0_E_clISt17integral_constantIbLb0EES10_IbLb1EEEEDaSW_SX_EUlSW_E_NS1_11comp_targetILNS1_3genE2ELNS1_11target_archE906ELNS1_3gpuE6ELNS1_3repE0EEENS1_30default_config_static_selectorELNS0_4arch9wavefront6targetE0EEEvT1_
; %bb.0:
	.section	.rodata,"a",@progbits
	.p2align	6, 0x0
	.amdhsa_kernel _ZN7rocprim17ROCPRIM_400000_NS6detail17trampoline_kernelINS0_14default_configENS1_27scan_by_key_config_selectorIifEEZZNS1_16scan_by_key_implILNS1_25lookback_scan_determinismE0ELb1ES3_N6thrust23THRUST_200600_302600_NS6detail15normal_iteratorINS9_10device_ptrIiEEEENSB_INSC_IfEEEESG_fNS9_4plusIvEENS9_8equal_toIvEEfEE10hipError_tPvRmT2_T3_T4_T5_mT6_T7_P12ihipStream_tbENKUlT_T0_E_clISt17integral_constantIbLb0EES10_IbLb1EEEEDaSW_SX_EUlSW_E_NS1_11comp_targetILNS1_3genE2ELNS1_11target_archE906ELNS1_3gpuE6ELNS1_3repE0EEENS1_30default_config_static_selectorELNS0_4arch9wavefront6targetE0EEEvT1_
		.amdhsa_group_segment_fixed_size 0
		.amdhsa_private_segment_fixed_size 0
		.amdhsa_kernarg_size 112
		.amdhsa_user_sgpr_count 2
		.amdhsa_user_sgpr_dispatch_ptr 0
		.amdhsa_user_sgpr_queue_ptr 0
		.amdhsa_user_sgpr_kernarg_segment_ptr 1
		.amdhsa_user_sgpr_dispatch_id 0
		.amdhsa_user_sgpr_kernarg_preload_length 0
		.amdhsa_user_sgpr_kernarg_preload_offset 0
		.amdhsa_user_sgpr_private_segment_size 0
		.amdhsa_wavefront_size32 1
		.amdhsa_uses_dynamic_stack 0
		.amdhsa_enable_private_segment 0
		.amdhsa_system_sgpr_workgroup_id_x 1
		.amdhsa_system_sgpr_workgroup_id_y 0
		.amdhsa_system_sgpr_workgroup_id_z 0
		.amdhsa_system_sgpr_workgroup_info 0
		.amdhsa_system_vgpr_workitem_id 0
		.amdhsa_next_free_vgpr 1
		.amdhsa_next_free_sgpr 1
		.amdhsa_named_barrier_count 0
		.amdhsa_reserve_vcc 0
		.amdhsa_float_round_mode_32 0
		.amdhsa_float_round_mode_16_64 0
		.amdhsa_float_denorm_mode_32 3
		.amdhsa_float_denorm_mode_16_64 3
		.amdhsa_fp16_overflow 0
		.amdhsa_memory_ordered 1
		.amdhsa_forward_progress 1
		.amdhsa_inst_pref_size 0
		.amdhsa_round_robin_scheduling 0
		.amdhsa_exception_fp_ieee_invalid_op 0
		.amdhsa_exception_fp_denorm_src 0
		.amdhsa_exception_fp_ieee_div_zero 0
		.amdhsa_exception_fp_ieee_overflow 0
		.amdhsa_exception_fp_ieee_underflow 0
		.amdhsa_exception_fp_ieee_inexact 0
		.amdhsa_exception_int_div_zero 0
	.end_amdhsa_kernel
	.section	.text._ZN7rocprim17ROCPRIM_400000_NS6detail17trampoline_kernelINS0_14default_configENS1_27scan_by_key_config_selectorIifEEZZNS1_16scan_by_key_implILNS1_25lookback_scan_determinismE0ELb1ES3_N6thrust23THRUST_200600_302600_NS6detail15normal_iteratorINS9_10device_ptrIiEEEENSB_INSC_IfEEEESG_fNS9_4plusIvEENS9_8equal_toIvEEfEE10hipError_tPvRmT2_T3_T4_T5_mT6_T7_P12ihipStream_tbENKUlT_T0_E_clISt17integral_constantIbLb0EES10_IbLb1EEEEDaSW_SX_EUlSW_E_NS1_11comp_targetILNS1_3genE2ELNS1_11target_archE906ELNS1_3gpuE6ELNS1_3repE0EEENS1_30default_config_static_selectorELNS0_4arch9wavefront6targetE0EEEvT1_,"axG",@progbits,_ZN7rocprim17ROCPRIM_400000_NS6detail17trampoline_kernelINS0_14default_configENS1_27scan_by_key_config_selectorIifEEZZNS1_16scan_by_key_implILNS1_25lookback_scan_determinismE0ELb1ES3_N6thrust23THRUST_200600_302600_NS6detail15normal_iteratorINS9_10device_ptrIiEEEENSB_INSC_IfEEEESG_fNS9_4plusIvEENS9_8equal_toIvEEfEE10hipError_tPvRmT2_T3_T4_T5_mT6_T7_P12ihipStream_tbENKUlT_T0_E_clISt17integral_constantIbLb0EES10_IbLb1EEEEDaSW_SX_EUlSW_E_NS1_11comp_targetILNS1_3genE2ELNS1_11target_archE906ELNS1_3gpuE6ELNS1_3repE0EEENS1_30default_config_static_selectorELNS0_4arch9wavefront6targetE0EEEvT1_,comdat
.Lfunc_end1459:
	.size	_ZN7rocprim17ROCPRIM_400000_NS6detail17trampoline_kernelINS0_14default_configENS1_27scan_by_key_config_selectorIifEEZZNS1_16scan_by_key_implILNS1_25lookback_scan_determinismE0ELb1ES3_N6thrust23THRUST_200600_302600_NS6detail15normal_iteratorINS9_10device_ptrIiEEEENSB_INSC_IfEEEESG_fNS9_4plusIvEENS9_8equal_toIvEEfEE10hipError_tPvRmT2_T3_T4_T5_mT6_T7_P12ihipStream_tbENKUlT_T0_E_clISt17integral_constantIbLb0EES10_IbLb1EEEEDaSW_SX_EUlSW_E_NS1_11comp_targetILNS1_3genE2ELNS1_11target_archE906ELNS1_3gpuE6ELNS1_3repE0EEENS1_30default_config_static_selectorELNS0_4arch9wavefront6targetE0EEEvT1_, .Lfunc_end1459-_ZN7rocprim17ROCPRIM_400000_NS6detail17trampoline_kernelINS0_14default_configENS1_27scan_by_key_config_selectorIifEEZZNS1_16scan_by_key_implILNS1_25lookback_scan_determinismE0ELb1ES3_N6thrust23THRUST_200600_302600_NS6detail15normal_iteratorINS9_10device_ptrIiEEEENSB_INSC_IfEEEESG_fNS9_4plusIvEENS9_8equal_toIvEEfEE10hipError_tPvRmT2_T3_T4_T5_mT6_T7_P12ihipStream_tbENKUlT_T0_E_clISt17integral_constantIbLb0EES10_IbLb1EEEEDaSW_SX_EUlSW_E_NS1_11comp_targetILNS1_3genE2ELNS1_11target_archE906ELNS1_3gpuE6ELNS1_3repE0EEENS1_30default_config_static_selectorELNS0_4arch9wavefront6targetE0EEEvT1_
                                        ; -- End function
	.set _ZN7rocprim17ROCPRIM_400000_NS6detail17trampoline_kernelINS0_14default_configENS1_27scan_by_key_config_selectorIifEEZZNS1_16scan_by_key_implILNS1_25lookback_scan_determinismE0ELb1ES3_N6thrust23THRUST_200600_302600_NS6detail15normal_iteratorINS9_10device_ptrIiEEEENSB_INSC_IfEEEESG_fNS9_4plusIvEENS9_8equal_toIvEEfEE10hipError_tPvRmT2_T3_T4_T5_mT6_T7_P12ihipStream_tbENKUlT_T0_E_clISt17integral_constantIbLb0EES10_IbLb1EEEEDaSW_SX_EUlSW_E_NS1_11comp_targetILNS1_3genE2ELNS1_11target_archE906ELNS1_3gpuE6ELNS1_3repE0EEENS1_30default_config_static_selectorELNS0_4arch9wavefront6targetE0EEEvT1_.num_vgpr, 0
	.set _ZN7rocprim17ROCPRIM_400000_NS6detail17trampoline_kernelINS0_14default_configENS1_27scan_by_key_config_selectorIifEEZZNS1_16scan_by_key_implILNS1_25lookback_scan_determinismE0ELb1ES3_N6thrust23THRUST_200600_302600_NS6detail15normal_iteratorINS9_10device_ptrIiEEEENSB_INSC_IfEEEESG_fNS9_4plusIvEENS9_8equal_toIvEEfEE10hipError_tPvRmT2_T3_T4_T5_mT6_T7_P12ihipStream_tbENKUlT_T0_E_clISt17integral_constantIbLb0EES10_IbLb1EEEEDaSW_SX_EUlSW_E_NS1_11comp_targetILNS1_3genE2ELNS1_11target_archE906ELNS1_3gpuE6ELNS1_3repE0EEENS1_30default_config_static_selectorELNS0_4arch9wavefront6targetE0EEEvT1_.num_agpr, 0
	.set _ZN7rocprim17ROCPRIM_400000_NS6detail17trampoline_kernelINS0_14default_configENS1_27scan_by_key_config_selectorIifEEZZNS1_16scan_by_key_implILNS1_25lookback_scan_determinismE0ELb1ES3_N6thrust23THRUST_200600_302600_NS6detail15normal_iteratorINS9_10device_ptrIiEEEENSB_INSC_IfEEEESG_fNS9_4plusIvEENS9_8equal_toIvEEfEE10hipError_tPvRmT2_T3_T4_T5_mT6_T7_P12ihipStream_tbENKUlT_T0_E_clISt17integral_constantIbLb0EES10_IbLb1EEEEDaSW_SX_EUlSW_E_NS1_11comp_targetILNS1_3genE2ELNS1_11target_archE906ELNS1_3gpuE6ELNS1_3repE0EEENS1_30default_config_static_selectorELNS0_4arch9wavefront6targetE0EEEvT1_.numbered_sgpr, 0
	.set _ZN7rocprim17ROCPRIM_400000_NS6detail17trampoline_kernelINS0_14default_configENS1_27scan_by_key_config_selectorIifEEZZNS1_16scan_by_key_implILNS1_25lookback_scan_determinismE0ELb1ES3_N6thrust23THRUST_200600_302600_NS6detail15normal_iteratorINS9_10device_ptrIiEEEENSB_INSC_IfEEEESG_fNS9_4plusIvEENS9_8equal_toIvEEfEE10hipError_tPvRmT2_T3_T4_T5_mT6_T7_P12ihipStream_tbENKUlT_T0_E_clISt17integral_constantIbLb0EES10_IbLb1EEEEDaSW_SX_EUlSW_E_NS1_11comp_targetILNS1_3genE2ELNS1_11target_archE906ELNS1_3gpuE6ELNS1_3repE0EEENS1_30default_config_static_selectorELNS0_4arch9wavefront6targetE0EEEvT1_.num_named_barrier, 0
	.set _ZN7rocprim17ROCPRIM_400000_NS6detail17trampoline_kernelINS0_14default_configENS1_27scan_by_key_config_selectorIifEEZZNS1_16scan_by_key_implILNS1_25lookback_scan_determinismE0ELb1ES3_N6thrust23THRUST_200600_302600_NS6detail15normal_iteratorINS9_10device_ptrIiEEEENSB_INSC_IfEEEESG_fNS9_4plusIvEENS9_8equal_toIvEEfEE10hipError_tPvRmT2_T3_T4_T5_mT6_T7_P12ihipStream_tbENKUlT_T0_E_clISt17integral_constantIbLb0EES10_IbLb1EEEEDaSW_SX_EUlSW_E_NS1_11comp_targetILNS1_3genE2ELNS1_11target_archE906ELNS1_3gpuE6ELNS1_3repE0EEENS1_30default_config_static_selectorELNS0_4arch9wavefront6targetE0EEEvT1_.private_seg_size, 0
	.set _ZN7rocprim17ROCPRIM_400000_NS6detail17trampoline_kernelINS0_14default_configENS1_27scan_by_key_config_selectorIifEEZZNS1_16scan_by_key_implILNS1_25lookback_scan_determinismE0ELb1ES3_N6thrust23THRUST_200600_302600_NS6detail15normal_iteratorINS9_10device_ptrIiEEEENSB_INSC_IfEEEESG_fNS9_4plusIvEENS9_8equal_toIvEEfEE10hipError_tPvRmT2_T3_T4_T5_mT6_T7_P12ihipStream_tbENKUlT_T0_E_clISt17integral_constantIbLb0EES10_IbLb1EEEEDaSW_SX_EUlSW_E_NS1_11comp_targetILNS1_3genE2ELNS1_11target_archE906ELNS1_3gpuE6ELNS1_3repE0EEENS1_30default_config_static_selectorELNS0_4arch9wavefront6targetE0EEEvT1_.uses_vcc, 0
	.set _ZN7rocprim17ROCPRIM_400000_NS6detail17trampoline_kernelINS0_14default_configENS1_27scan_by_key_config_selectorIifEEZZNS1_16scan_by_key_implILNS1_25lookback_scan_determinismE0ELb1ES3_N6thrust23THRUST_200600_302600_NS6detail15normal_iteratorINS9_10device_ptrIiEEEENSB_INSC_IfEEEESG_fNS9_4plusIvEENS9_8equal_toIvEEfEE10hipError_tPvRmT2_T3_T4_T5_mT6_T7_P12ihipStream_tbENKUlT_T0_E_clISt17integral_constantIbLb0EES10_IbLb1EEEEDaSW_SX_EUlSW_E_NS1_11comp_targetILNS1_3genE2ELNS1_11target_archE906ELNS1_3gpuE6ELNS1_3repE0EEENS1_30default_config_static_selectorELNS0_4arch9wavefront6targetE0EEEvT1_.uses_flat_scratch, 0
	.set _ZN7rocprim17ROCPRIM_400000_NS6detail17trampoline_kernelINS0_14default_configENS1_27scan_by_key_config_selectorIifEEZZNS1_16scan_by_key_implILNS1_25lookback_scan_determinismE0ELb1ES3_N6thrust23THRUST_200600_302600_NS6detail15normal_iteratorINS9_10device_ptrIiEEEENSB_INSC_IfEEEESG_fNS9_4plusIvEENS9_8equal_toIvEEfEE10hipError_tPvRmT2_T3_T4_T5_mT6_T7_P12ihipStream_tbENKUlT_T0_E_clISt17integral_constantIbLb0EES10_IbLb1EEEEDaSW_SX_EUlSW_E_NS1_11comp_targetILNS1_3genE2ELNS1_11target_archE906ELNS1_3gpuE6ELNS1_3repE0EEENS1_30default_config_static_selectorELNS0_4arch9wavefront6targetE0EEEvT1_.has_dyn_sized_stack, 0
	.set _ZN7rocprim17ROCPRIM_400000_NS6detail17trampoline_kernelINS0_14default_configENS1_27scan_by_key_config_selectorIifEEZZNS1_16scan_by_key_implILNS1_25lookback_scan_determinismE0ELb1ES3_N6thrust23THRUST_200600_302600_NS6detail15normal_iteratorINS9_10device_ptrIiEEEENSB_INSC_IfEEEESG_fNS9_4plusIvEENS9_8equal_toIvEEfEE10hipError_tPvRmT2_T3_T4_T5_mT6_T7_P12ihipStream_tbENKUlT_T0_E_clISt17integral_constantIbLb0EES10_IbLb1EEEEDaSW_SX_EUlSW_E_NS1_11comp_targetILNS1_3genE2ELNS1_11target_archE906ELNS1_3gpuE6ELNS1_3repE0EEENS1_30default_config_static_selectorELNS0_4arch9wavefront6targetE0EEEvT1_.has_recursion, 0
	.set _ZN7rocprim17ROCPRIM_400000_NS6detail17trampoline_kernelINS0_14default_configENS1_27scan_by_key_config_selectorIifEEZZNS1_16scan_by_key_implILNS1_25lookback_scan_determinismE0ELb1ES3_N6thrust23THRUST_200600_302600_NS6detail15normal_iteratorINS9_10device_ptrIiEEEENSB_INSC_IfEEEESG_fNS9_4plusIvEENS9_8equal_toIvEEfEE10hipError_tPvRmT2_T3_T4_T5_mT6_T7_P12ihipStream_tbENKUlT_T0_E_clISt17integral_constantIbLb0EES10_IbLb1EEEEDaSW_SX_EUlSW_E_NS1_11comp_targetILNS1_3genE2ELNS1_11target_archE906ELNS1_3gpuE6ELNS1_3repE0EEENS1_30default_config_static_selectorELNS0_4arch9wavefront6targetE0EEEvT1_.has_indirect_call, 0
	.section	.AMDGPU.csdata,"",@progbits
; Kernel info:
; codeLenInByte = 0
; TotalNumSgprs: 0
; NumVgprs: 0
; ScratchSize: 0
; MemoryBound: 0
; FloatMode: 240
; IeeeMode: 1
; LDSByteSize: 0 bytes/workgroup (compile time only)
; SGPRBlocks: 0
; VGPRBlocks: 0
; NumSGPRsForWavesPerEU: 1
; NumVGPRsForWavesPerEU: 1
; NamedBarCnt: 0
; Occupancy: 16
; WaveLimiterHint : 0
; COMPUTE_PGM_RSRC2:SCRATCH_EN: 0
; COMPUTE_PGM_RSRC2:USER_SGPR: 2
; COMPUTE_PGM_RSRC2:TRAP_HANDLER: 0
; COMPUTE_PGM_RSRC2:TGID_X_EN: 1
; COMPUTE_PGM_RSRC2:TGID_Y_EN: 0
; COMPUTE_PGM_RSRC2:TGID_Z_EN: 0
; COMPUTE_PGM_RSRC2:TIDIG_COMP_CNT: 0
	.section	.text._ZN7rocprim17ROCPRIM_400000_NS6detail17trampoline_kernelINS0_14default_configENS1_27scan_by_key_config_selectorIifEEZZNS1_16scan_by_key_implILNS1_25lookback_scan_determinismE0ELb1ES3_N6thrust23THRUST_200600_302600_NS6detail15normal_iteratorINS9_10device_ptrIiEEEENSB_INSC_IfEEEESG_fNS9_4plusIvEENS9_8equal_toIvEEfEE10hipError_tPvRmT2_T3_T4_T5_mT6_T7_P12ihipStream_tbENKUlT_T0_E_clISt17integral_constantIbLb0EES10_IbLb1EEEEDaSW_SX_EUlSW_E_NS1_11comp_targetILNS1_3genE10ELNS1_11target_archE1200ELNS1_3gpuE4ELNS1_3repE0EEENS1_30default_config_static_selectorELNS0_4arch9wavefront6targetE0EEEvT1_,"axG",@progbits,_ZN7rocprim17ROCPRIM_400000_NS6detail17trampoline_kernelINS0_14default_configENS1_27scan_by_key_config_selectorIifEEZZNS1_16scan_by_key_implILNS1_25lookback_scan_determinismE0ELb1ES3_N6thrust23THRUST_200600_302600_NS6detail15normal_iteratorINS9_10device_ptrIiEEEENSB_INSC_IfEEEESG_fNS9_4plusIvEENS9_8equal_toIvEEfEE10hipError_tPvRmT2_T3_T4_T5_mT6_T7_P12ihipStream_tbENKUlT_T0_E_clISt17integral_constantIbLb0EES10_IbLb1EEEEDaSW_SX_EUlSW_E_NS1_11comp_targetILNS1_3genE10ELNS1_11target_archE1200ELNS1_3gpuE4ELNS1_3repE0EEENS1_30default_config_static_selectorELNS0_4arch9wavefront6targetE0EEEvT1_,comdat
	.protected	_ZN7rocprim17ROCPRIM_400000_NS6detail17trampoline_kernelINS0_14default_configENS1_27scan_by_key_config_selectorIifEEZZNS1_16scan_by_key_implILNS1_25lookback_scan_determinismE0ELb1ES3_N6thrust23THRUST_200600_302600_NS6detail15normal_iteratorINS9_10device_ptrIiEEEENSB_INSC_IfEEEESG_fNS9_4plusIvEENS9_8equal_toIvEEfEE10hipError_tPvRmT2_T3_T4_T5_mT6_T7_P12ihipStream_tbENKUlT_T0_E_clISt17integral_constantIbLb0EES10_IbLb1EEEEDaSW_SX_EUlSW_E_NS1_11comp_targetILNS1_3genE10ELNS1_11target_archE1200ELNS1_3gpuE4ELNS1_3repE0EEENS1_30default_config_static_selectorELNS0_4arch9wavefront6targetE0EEEvT1_ ; -- Begin function _ZN7rocprim17ROCPRIM_400000_NS6detail17trampoline_kernelINS0_14default_configENS1_27scan_by_key_config_selectorIifEEZZNS1_16scan_by_key_implILNS1_25lookback_scan_determinismE0ELb1ES3_N6thrust23THRUST_200600_302600_NS6detail15normal_iteratorINS9_10device_ptrIiEEEENSB_INSC_IfEEEESG_fNS9_4plusIvEENS9_8equal_toIvEEfEE10hipError_tPvRmT2_T3_T4_T5_mT6_T7_P12ihipStream_tbENKUlT_T0_E_clISt17integral_constantIbLb0EES10_IbLb1EEEEDaSW_SX_EUlSW_E_NS1_11comp_targetILNS1_3genE10ELNS1_11target_archE1200ELNS1_3gpuE4ELNS1_3repE0EEENS1_30default_config_static_selectorELNS0_4arch9wavefront6targetE0EEEvT1_
	.globl	_ZN7rocprim17ROCPRIM_400000_NS6detail17trampoline_kernelINS0_14default_configENS1_27scan_by_key_config_selectorIifEEZZNS1_16scan_by_key_implILNS1_25lookback_scan_determinismE0ELb1ES3_N6thrust23THRUST_200600_302600_NS6detail15normal_iteratorINS9_10device_ptrIiEEEENSB_INSC_IfEEEESG_fNS9_4plusIvEENS9_8equal_toIvEEfEE10hipError_tPvRmT2_T3_T4_T5_mT6_T7_P12ihipStream_tbENKUlT_T0_E_clISt17integral_constantIbLb0EES10_IbLb1EEEEDaSW_SX_EUlSW_E_NS1_11comp_targetILNS1_3genE10ELNS1_11target_archE1200ELNS1_3gpuE4ELNS1_3repE0EEENS1_30default_config_static_selectorELNS0_4arch9wavefront6targetE0EEEvT1_
	.p2align	8
	.type	_ZN7rocprim17ROCPRIM_400000_NS6detail17trampoline_kernelINS0_14default_configENS1_27scan_by_key_config_selectorIifEEZZNS1_16scan_by_key_implILNS1_25lookback_scan_determinismE0ELb1ES3_N6thrust23THRUST_200600_302600_NS6detail15normal_iteratorINS9_10device_ptrIiEEEENSB_INSC_IfEEEESG_fNS9_4plusIvEENS9_8equal_toIvEEfEE10hipError_tPvRmT2_T3_T4_T5_mT6_T7_P12ihipStream_tbENKUlT_T0_E_clISt17integral_constantIbLb0EES10_IbLb1EEEEDaSW_SX_EUlSW_E_NS1_11comp_targetILNS1_3genE10ELNS1_11target_archE1200ELNS1_3gpuE4ELNS1_3repE0EEENS1_30default_config_static_selectorELNS0_4arch9wavefront6targetE0EEEvT1_,@function
_ZN7rocprim17ROCPRIM_400000_NS6detail17trampoline_kernelINS0_14default_configENS1_27scan_by_key_config_selectorIifEEZZNS1_16scan_by_key_implILNS1_25lookback_scan_determinismE0ELb1ES3_N6thrust23THRUST_200600_302600_NS6detail15normal_iteratorINS9_10device_ptrIiEEEENSB_INSC_IfEEEESG_fNS9_4plusIvEENS9_8equal_toIvEEfEE10hipError_tPvRmT2_T3_T4_T5_mT6_T7_P12ihipStream_tbENKUlT_T0_E_clISt17integral_constantIbLb0EES10_IbLb1EEEEDaSW_SX_EUlSW_E_NS1_11comp_targetILNS1_3genE10ELNS1_11target_archE1200ELNS1_3gpuE4ELNS1_3repE0EEENS1_30default_config_static_selectorELNS0_4arch9wavefront6targetE0EEEvT1_: ; @_ZN7rocprim17ROCPRIM_400000_NS6detail17trampoline_kernelINS0_14default_configENS1_27scan_by_key_config_selectorIifEEZZNS1_16scan_by_key_implILNS1_25lookback_scan_determinismE0ELb1ES3_N6thrust23THRUST_200600_302600_NS6detail15normal_iteratorINS9_10device_ptrIiEEEENSB_INSC_IfEEEESG_fNS9_4plusIvEENS9_8equal_toIvEEfEE10hipError_tPvRmT2_T3_T4_T5_mT6_T7_P12ihipStream_tbENKUlT_T0_E_clISt17integral_constantIbLb0EES10_IbLb1EEEEDaSW_SX_EUlSW_E_NS1_11comp_targetILNS1_3genE10ELNS1_11target_archE1200ELNS1_3gpuE4ELNS1_3repE0EEENS1_30default_config_static_selectorELNS0_4arch9wavefront6targetE0EEEvT1_
; %bb.0:
	.section	.rodata,"a",@progbits
	.p2align	6, 0x0
	.amdhsa_kernel _ZN7rocprim17ROCPRIM_400000_NS6detail17trampoline_kernelINS0_14default_configENS1_27scan_by_key_config_selectorIifEEZZNS1_16scan_by_key_implILNS1_25lookback_scan_determinismE0ELb1ES3_N6thrust23THRUST_200600_302600_NS6detail15normal_iteratorINS9_10device_ptrIiEEEENSB_INSC_IfEEEESG_fNS9_4plusIvEENS9_8equal_toIvEEfEE10hipError_tPvRmT2_T3_T4_T5_mT6_T7_P12ihipStream_tbENKUlT_T0_E_clISt17integral_constantIbLb0EES10_IbLb1EEEEDaSW_SX_EUlSW_E_NS1_11comp_targetILNS1_3genE10ELNS1_11target_archE1200ELNS1_3gpuE4ELNS1_3repE0EEENS1_30default_config_static_selectorELNS0_4arch9wavefront6targetE0EEEvT1_
		.amdhsa_group_segment_fixed_size 0
		.amdhsa_private_segment_fixed_size 0
		.amdhsa_kernarg_size 112
		.amdhsa_user_sgpr_count 2
		.amdhsa_user_sgpr_dispatch_ptr 0
		.amdhsa_user_sgpr_queue_ptr 0
		.amdhsa_user_sgpr_kernarg_segment_ptr 1
		.amdhsa_user_sgpr_dispatch_id 0
		.amdhsa_user_sgpr_kernarg_preload_length 0
		.amdhsa_user_sgpr_kernarg_preload_offset 0
		.amdhsa_user_sgpr_private_segment_size 0
		.amdhsa_wavefront_size32 1
		.amdhsa_uses_dynamic_stack 0
		.amdhsa_enable_private_segment 0
		.amdhsa_system_sgpr_workgroup_id_x 1
		.amdhsa_system_sgpr_workgroup_id_y 0
		.amdhsa_system_sgpr_workgroup_id_z 0
		.amdhsa_system_sgpr_workgroup_info 0
		.amdhsa_system_vgpr_workitem_id 0
		.amdhsa_next_free_vgpr 1
		.amdhsa_next_free_sgpr 1
		.amdhsa_named_barrier_count 0
		.amdhsa_reserve_vcc 0
		.amdhsa_float_round_mode_32 0
		.amdhsa_float_round_mode_16_64 0
		.amdhsa_float_denorm_mode_32 3
		.amdhsa_float_denorm_mode_16_64 3
		.amdhsa_fp16_overflow 0
		.amdhsa_memory_ordered 1
		.amdhsa_forward_progress 1
		.amdhsa_inst_pref_size 0
		.amdhsa_round_robin_scheduling 0
		.amdhsa_exception_fp_ieee_invalid_op 0
		.amdhsa_exception_fp_denorm_src 0
		.amdhsa_exception_fp_ieee_div_zero 0
		.amdhsa_exception_fp_ieee_overflow 0
		.amdhsa_exception_fp_ieee_underflow 0
		.amdhsa_exception_fp_ieee_inexact 0
		.amdhsa_exception_int_div_zero 0
	.end_amdhsa_kernel
	.section	.text._ZN7rocprim17ROCPRIM_400000_NS6detail17trampoline_kernelINS0_14default_configENS1_27scan_by_key_config_selectorIifEEZZNS1_16scan_by_key_implILNS1_25lookback_scan_determinismE0ELb1ES3_N6thrust23THRUST_200600_302600_NS6detail15normal_iteratorINS9_10device_ptrIiEEEENSB_INSC_IfEEEESG_fNS9_4plusIvEENS9_8equal_toIvEEfEE10hipError_tPvRmT2_T3_T4_T5_mT6_T7_P12ihipStream_tbENKUlT_T0_E_clISt17integral_constantIbLb0EES10_IbLb1EEEEDaSW_SX_EUlSW_E_NS1_11comp_targetILNS1_3genE10ELNS1_11target_archE1200ELNS1_3gpuE4ELNS1_3repE0EEENS1_30default_config_static_selectorELNS0_4arch9wavefront6targetE0EEEvT1_,"axG",@progbits,_ZN7rocprim17ROCPRIM_400000_NS6detail17trampoline_kernelINS0_14default_configENS1_27scan_by_key_config_selectorIifEEZZNS1_16scan_by_key_implILNS1_25lookback_scan_determinismE0ELb1ES3_N6thrust23THRUST_200600_302600_NS6detail15normal_iteratorINS9_10device_ptrIiEEEENSB_INSC_IfEEEESG_fNS9_4plusIvEENS9_8equal_toIvEEfEE10hipError_tPvRmT2_T3_T4_T5_mT6_T7_P12ihipStream_tbENKUlT_T0_E_clISt17integral_constantIbLb0EES10_IbLb1EEEEDaSW_SX_EUlSW_E_NS1_11comp_targetILNS1_3genE10ELNS1_11target_archE1200ELNS1_3gpuE4ELNS1_3repE0EEENS1_30default_config_static_selectorELNS0_4arch9wavefront6targetE0EEEvT1_,comdat
.Lfunc_end1460:
	.size	_ZN7rocprim17ROCPRIM_400000_NS6detail17trampoline_kernelINS0_14default_configENS1_27scan_by_key_config_selectorIifEEZZNS1_16scan_by_key_implILNS1_25lookback_scan_determinismE0ELb1ES3_N6thrust23THRUST_200600_302600_NS6detail15normal_iteratorINS9_10device_ptrIiEEEENSB_INSC_IfEEEESG_fNS9_4plusIvEENS9_8equal_toIvEEfEE10hipError_tPvRmT2_T3_T4_T5_mT6_T7_P12ihipStream_tbENKUlT_T0_E_clISt17integral_constantIbLb0EES10_IbLb1EEEEDaSW_SX_EUlSW_E_NS1_11comp_targetILNS1_3genE10ELNS1_11target_archE1200ELNS1_3gpuE4ELNS1_3repE0EEENS1_30default_config_static_selectorELNS0_4arch9wavefront6targetE0EEEvT1_, .Lfunc_end1460-_ZN7rocprim17ROCPRIM_400000_NS6detail17trampoline_kernelINS0_14default_configENS1_27scan_by_key_config_selectorIifEEZZNS1_16scan_by_key_implILNS1_25lookback_scan_determinismE0ELb1ES3_N6thrust23THRUST_200600_302600_NS6detail15normal_iteratorINS9_10device_ptrIiEEEENSB_INSC_IfEEEESG_fNS9_4plusIvEENS9_8equal_toIvEEfEE10hipError_tPvRmT2_T3_T4_T5_mT6_T7_P12ihipStream_tbENKUlT_T0_E_clISt17integral_constantIbLb0EES10_IbLb1EEEEDaSW_SX_EUlSW_E_NS1_11comp_targetILNS1_3genE10ELNS1_11target_archE1200ELNS1_3gpuE4ELNS1_3repE0EEENS1_30default_config_static_selectorELNS0_4arch9wavefront6targetE0EEEvT1_
                                        ; -- End function
	.set _ZN7rocprim17ROCPRIM_400000_NS6detail17trampoline_kernelINS0_14default_configENS1_27scan_by_key_config_selectorIifEEZZNS1_16scan_by_key_implILNS1_25lookback_scan_determinismE0ELb1ES3_N6thrust23THRUST_200600_302600_NS6detail15normal_iteratorINS9_10device_ptrIiEEEENSB_INSC_IfEEEESG_fNS9_4plusIvEENS9_8equal_toIvEEfEE10hipError_tPvRmT2_T3_T4_T5_mT6_T7_P12ihipStream_tbENKUlT_T0_E_clISt17integral_constantIbLb0EES10_IbLb1EEEEDaSW_SX_EUlSW_E_NS1_11comp_targetILNS1_3genE10ELNS1_11target_archE1200ELNS1_3gpuE4ELNS1_3repE0EEENS1_30default_config_static_selectorELNS0_4arch9wavefront6targetE0EEEvT1_.num_vgpr, 0
	.set _ZN7rocprim17ROCPRIM_400000_NS6detail17trampoline_kernelINS0_14default_configENS1_27scan_by_key_config_selectorIifEEZZNS1_16scan_by_key_implILNS1_25lookback_scan_determinismE0ELb1ES3_N6thrust23THRUST_200600_302600_NS6detail15normal_iteratorINS9_10device_ptrIiEEEENSB_INSC_IfEEEESG_fNS9_4plusIvEENS9_8equal_toIvEEfEE10hipError_tPvRmT2_T3_T4_T5_mT6_T7_P12ihipStream_tbENKUlT_T0_E_clISt17integral_constantIbLb0EES10_IbLb1EEEEDaSW_SX_EUlSW_E_NS1_11comp_targetILNS1_3genE10ELNS1_11target_archE1200ELNS1_3gpuE4ELNS1_3repE0EEENS1_30default_config_static_selectorELNS0_4arch9wavefront6targetE0EEEvT1_.num_agpr, 0
	.set _ZN7rocprim17ROCPRIM_400000_NS6detail17trampoline_kernelINS0_14default_configENS1_27scan_by_key_config_selectorIifEEZZNS1_16scan_by_key_implILNS1_25lookback_scan_determinismE0ELb1ES3_N6thrust23THRUST_200600_302600_NS6detail15normal_iteratorINS9_10device_ptrIiEEEENSB_INSC_IfEEEESG_fNS9_4plusIvEENS9_8equal_toIvEEfEE10hipError_tPvRmT2_T3_T4_T5_mT6_T7_P12ihipStream_tbENKUlT_T0_E_clISt17integral_constantIbLb0EES10_IbLb1EEEEDaSW_SX_EUlSW_E_NS1_11comp_targetILNS1_3genE10ELNS1_11target_archE1200ELNS1_3gpuE4ELNS1_3repE0EEENS1_30default_config_static_selectorELNS0_4arch9wavefront6targetE0EEEvT1_.numbered_sgpr, 0
	.set _ZN7rocprim17ROCPRIM_400000_NS6detail17trampoline_kernelINS0_14default_configENS1_27scan_by_key_config_selectorIifEEZZNS1_16scan_by_key_implILNS1_25lookback_scan_determinismE0ELb1ES3_N6thrust23THRUST_200600_302600_NS6detail15normal_iteratorINS9_10device_ptrIiEEEENSB_INSC_IfEEEESG_fNS9_4plusIvEENS9_8equal_toIvEEfEE10hipError_tPvRmT2_T3_T4_T5_mT6_T7_P12ihipStream_tbENKUlT_T0_E_clISt17integral_constantIbLb0EES10_IbLb1EEEEDaSW_SX_EUlSW_E_NS1_11comp_targetILNS1_3genE10ELNS1_11target_archE1200ELNS1_3gpuE4ELNS1_3repE0EEENS1_30default_config_static_selectorELNS0_4arch9wavefront6targetE0EEEvT1_.num_named_barrier, 0
	.set _ZN7rocprim17ROCPRIM_400000_NS6detail17trampoline_kernelINS0_14default_configENS1_27scan_by_key_config_selectorIifEEZZNS1_16scan_by_key_implILNS1_25lookback_scan_determinismE0ELb1ES3_N6thrust23THRUST_200600_302600_NS6detail15normal_iteratorINS9_10device_ptrIiEEEENSB_INSC_IfEEEESG_fNS9_4plusIvEENS9_8equal_toIvEEfEE10hipError_tPvRmT2_T3_T4_T5_mT6_T7_P12ihipStream_tbENKUlT_T0_E_clISt17integral_constantIbLb0EES10_IbLb1EEEEDaSW_SX_EUlSW_E_NS1_11comp_targetILNS1_3genE10ELNS1_11target_archE1200ELNS1_3gpuE4ELNS1_3repE0EEENS1_30default_config_static_selectorELNS0_4arch9wavefront6targetE0EEEvT1_.private_seg_size, 0
	.set _ZN7rocprim17ROCPRIM_400000_NS6detail17trampoline_kernelINS0_14default_configENS1_27scan_by_key_config_selectorIifEEZZNS1_16scan_by_key_implILNS1_25lookback_scan_determinismE0ELb1ES3_N6thrust23THRUST_200600_302600_NS6detail15normal_iteratorINS9_10device_ptrIiEEEENSB_INSC_IfEEEESG_fNS9_4plusIvEENS9_8equal_toIvEEfEE10hipError_tPvRmT2_T3_T4_T5_mT6_T7_P12ihipStream_tbENKUlT_T0_E_clISt17integral_constantIbLb0EES10_IbLb1EEEEDaSW_SX_EUlSW_E_NS1_11comp_targetILNS1_3genE10ELNS1_11target_archE1200ELNS1_3gpuE4ELNS1_3repE0EEENS1_30default_config_static_selectorELNS0_4arch9wavefront6targetE0EEEvT1_.uses_vcc, 0
	.set _ZN7rocprim17ROCPRIM_400000_NS6detail17trampoline_kernelINS0_14default_configENS1_27scan_by_key_config_selectorIifEEZZNS1_16scan_by_key_implILNS1_25lookback_scan_determinismE0ELb1ES3_N6thrust23THRUST_200600_302600_NS6detail15normal_iteratorINS9_10device_ptrIiEEEENSB_INSC_IfEEEESG_fNS9_4plusIvEENS9_8equal_toIvEEfEE10hipError_tPvRmT2_T3_T4_T5_mT6_T7_P12ihipStream_tbENKUlT_T0_E_clISt17integral_constantIbLb0EES10_IbLb1EEEEDaSW_SX_EUlSW_E_NS1_11comp_targetILNS1_3genE10ELNS1_11target_archE1200ELNS1_3gpuE4ELNS1_3repE0EEENS1_30default_config_static_selectorELNS0_4arch9wavefront6targetE0EEEvT1_.uses_flat_scratch, 0
	.set _ZN7rocprim17ROCPRIM_400000_NS6detail17trampoline_kernelINS0_14default_configENS1_27scan_by_key_config_selectorIifEEZZNS1_16scan_by_key_implILNS1_25lookback_scan_determinismE0ELb1ES3_N6thrust23THRUST_200600_302600_NS6detail15normal_iteratorINS9_10device_ptrIiEEEENSB_INSC_IfEEEESG_fNS9_4plusIvEENS9_8equal_toIvEEfEE10hipError_tPvRmT2_T3_T4_T5_mT6_T7_P12ihipStream_tbENKUlT_T0_E_clISt17integral_constantIbLb0EES10_IbLb1EEEEDaSW_SX_EUlSW_E_NS1_11comp_targetILNS1_3genE10ELNS1_11target_archE1200ELNS1_3gpuE4ELNS1_3repE0EEENS1_30default_config_static_selectorELNS0_4arch9wavefront6targetE0EEEvT1_.has_dyn_sized_stack, 0
	.set _ZN7rocprim17ROCPRIM_400000_NS6detail17trampoline_kernelINS0_14default_configENS1_27scan_by_key_config_selectorIifEEZZNS1_16scan_by_key_implILNS1_25lookback_scan_determinismE0ELb1ES3_N6thrust23THRUST_200600_302600_NS6detail15normal_iteratorINS9_10device_ptrIiEEEENSB_INSC_IfEEEESG_fNS9_4plusIvEENS9_8equal_toIvEEfEE10hipError_tPvRmT2_T3_T4_T5_mT6_T7_P12ihipStream_tbENKUlT_T0_E_clISt17integral_constantIbLb0EES10_IbLb1EEEEDaSW_SX_EUlSW_E_NS1_11comp_targetILNS1_3genE10ELNS1_11target_archE1200ELNS1_3gpuE4ELNS1_3repE0EEENS1_30default_config_static_selectorELNS0_4arch9wavefront6targetE0EEEvT1_.has_recursion, 0
	.set _ZN7rocprim17ROCPRIM_400000_NS6detail17trampoline_kernelINS0_14default_configENS1_27scan_by_key_config_selectorIifEEZZNS1_16scan_by_key_implILNS1_25lookback_scan_determinismE0ELb1ES3_N6thrust23THRUST_200600_302600_NS6detail15normal_iteratorINS9_10device_ptrIiEEEENSB_INSC_IfEEEESG_fNS9_4plusIvEENS9_8equal_toIvEEfEE10hipError_tPvRmT2_T3_T4_T5_mT6_T7_P12ihipStream_tbENKUlT_T0_E_clISt17integral_constantIbLb0EES10_IbLb1EEEEDaSW_SX_EUlSW_E_NS1_11comp_targetILNS1_3genE10ELNS1_11target_archE1200ELNS1_3gpuE4ELNS1_3repE0EEENS1_30default_config_static_selectorELNS0_4arch9wavefront6targetE0EEEvT1_.has_indirect_call, 0
	.section	.AMDGPU.csdata,"",@progbits
; Kernel info:
; codeLenInByte = 0
; TotalNumSgprs: 0
; NumVgprs: 0
; ScratchSize: 0
; MemoryBound: 0
; FloatMode: 240
; IeeeMode: 1
; LDSByteSize: 0 bytes/workgroup (compile time only)
; SGPRBlocks: 0
; VGPRBlocks: 0
; NumSGPRsForWavesPerEU: 1
; NumVGPRsForWavesPerEU: 1
; NamedBarCnt: 0
; Occupancy: 16
; WaveLimiterHint : 0
; COMPUTE_PGM_RSRC2:SCRATCH_EN: 0
; COMPUTE_PGM_RSRC2:USER_SGPR: 2
; COMPUTE_PGM_RSRC2:TRAP_HANDLER: 0
; COMPUTE_PGM_RSRC2:TGID_X_EN: 1
; COMPUTE_PGM_RSRC2:TGID_Y_EN: 0
; COMPUTE_PGM_RSRC2:TGID_Z_EN: 0
; COMPUTE_PGM_RSRC2:TIDIG_COMP_CNT: 0
	.section	.text._ZN7rocprim17ROCPRIM_400000_NS6detail17trampoline_kernelINS0_14default_configENS1_27scan_by_key_config_selectorIifEEZZNS1_16scan_by_key_implILNS1_25lookback_scan_determinismE0ELb1ES3_N6thrust23THRUST_200600_302600_NS6detail15normal_iteratorINS9_10device_ptrIiEEEENSB_INSC_IfEEEESG_fNS9_4plusIvEENS9_8equal_toIvEEfEE10hipError_tPvRmT2_T3_T4_T5_mT6_T7_P12ihipStream_tbENKUlT_T0_E_clISt17integral_constantIbLb0EES10_IbLb1EEEEDaSW_SX_EUlSW_E_NS1_11comp_targetILNS1_3genE9ELNS1_11target_archE1100ELNS1_3gpuE3ELNS1_3repE0EEENS1_30default_config_static_selectorELNS0_4arch9wavefront6targetE0EEEvT1_,"axG",@progbits,_ZN7rocprim17ROCPRIM_400000_NS6detail17trampoline_kernelINS0_14default_configENS1_27scan_by_key_config_selectorIifEEZZNS1_16scan_by_key_implILNS1_25lookback_scan_determinismE0ELb1ES3_N6thrust23THRUST_200600_302600_NS6detail15normal_iteratorINS9_10device_ptrIiEEEENSB_INSC_IfEEEESG_fNS9_4plusIvEENS9_8equal_toIvEEfEE10hipError_tPvRmT2_T3_T4_T5_mT6_T7_P12ihipStream_tbENKUlT_T0_E_clISt17integral_constantIbLb0EES10_IbLb1EEEEDaSW_SX_EUlSW_E_NS1_11comp_targetILNS1_3genE9ELNS1_11target_archE1100ELNS1_3gpuE3ELNS1_3repE0EEENS1_30default_config_static_selectorELNS0_4arch9wavefront6targetE0EEEvT1_,comdat
	.protected	_ZN7rocprim17ROCPRIM_400000_NS6detail17trampoline_kernelINS0_14default_configENS1_27scan_by_key_config_selectorIifEEZZNS1_16scan_by_key_implILNS1_25lookback_scan_determinismE0ELb1ES3_N6thrust23THRUST_200600_302600_NS6detail15normal_iteratorINS9_10device_ptrIiEEEENSB_INSC_IfEEEESG_fNS9_4plusIvEENS9_8equal_toIvEEfEE10hipError_tPvRmT2_T3_T4_T5_mT6_T7_P12ihipStream_tbENKUlT_T0_E_clISt17integral_constantIbLb0EES10_IbLb1EEEEDaSW_SX_EUlSW_E_NS1_11comp_targetILNS1_3genE9ELNS1_11target_archE1100ELNS1_3gpuE3ELNS1_3repE0EEENS1_30default_config_static_selectorELNS0_4arch9wavefront6targetE0EEEvT1_ ; -- Begin function _ZN7rocprim17ROCPRIM_400000_NS6detail17trampoline_kernelINS0_14default_configENS1_27scan_by_key_config_selectorIifEEZZNS1_16scan_by_key_implILNS1_25lookback_scan_determinismE0ELb1ES3_N6thrust23THRUST_200600_302600_NS6detail15normal_iteratorINS9_10device_ptrIiEEEENSB_INSC_IfEEEESG_fNS9_4plusIvEENS9_8equal_toIvEEfEE10hipError_tPvRmT2_T3_T4_T5_mT6_T7_P12ihipStream_tbENKUlT_T0_E_clISt17integral_constantIbLb0EES10_IbLb1EEEEDaSW_SX_EUlSW_E_NS1_11comp_targetILNS1_3genE9ELNS1_11target_archE1100ELNS1_3gpuE3ELNS1_3repE0EEENS1_30default_config_static_selectorELNS0_4arch9wavefront6targetE0EEEvT1_
	.globl	_ZN7rocprim17ROCPRIM_400000_NS6detail17trampoline_kernelINS0_14default_configENS1_27scan_by_key_config_selectorIifEEZZNS1_16scan_by_key_implILNS1_25lookback_scan_determinismE0ELb1ES3_N6thrust23THRUST_200600_302600_NS6detail15normal_iteratorINS9_10device_ptrIiEEEENSB_INSC_IfEEEESG_fNS9_4plusIvEENS9_8equal_toIvEEfEE10hipError_tPvRmT2_T3_T4_T5_mT6_T7_P12ihipStream_tbENKUlT_T0_E_clISt17integral_constantIbLb0EES10_IbLb1EEEEDaSW_SX_EUlSW_E_NS1_11comp_targetILNS1_3genE9ELNS1_11target_archE1100ELNS1_3gpuE3ELNS1_3repE0EEENS1_30default_config_static_selectorELNS0_4arch9wavefront6targetE0EEEvT1_
	.p2align	8
	.type	_ZN7rocprim17ROCPRIM_400000_NS6detail17trampoline_kernelINS0_14default_configENS1_27scan_by_key_config_selectorIifEEZZNS1_16scan_by_key_implILNS1_25lookback_scan_determinismE0ELb1ES3_N6thrust23THRUST_200600_302600_NS6detail15normal_iteratorINS9_10device_ptrIiEEEENSB_INSC_IfEEEESG_fNS9_4plusIvEENS9_8equal_toIvEEfEE10hipError_tPvRmT2_T3_T4_T5_mT6_T7_P12ihipStream_tbENKUlT_T0_E_clISt17integral_constantIbLb0EES10_IbLb1EEEEDaSW_SX_EUlSW_E_NS1_11comp_targetILNS1_3genE9ELNS1_11target_archE1100ELNS1_3gpuE3ELNS1_3repE0EEENS1_30default_config_static_selectorELNS0_4arch9wavefront6targetE0EEEvT1_,@function
_ZN7rocprim17ROCPRIM_400000_NS6detail17trampoline_kernelINS0_14default_configENS1_27scan_by_key_config_selectorIifEEZZNS1_16scan_by_key_implILNS1_25lookback_scan_determinismE0ELb1ES3_N6thrust23THRUST_200600_302600_NS6detail15normal_iteratorINS9_10device_ptrIiEEEENSB_INSC_IfEEEESG_fNS9_4plusIvEENS9_8equal_toIvEEfEE10hipError_tPvRmT2_T3_T4_T5_mT6_T7_P12ihipStream_tbENKUlT_T0_E_clISt17integral_constantIbLb0EES10_IbLb1EEEEDaSW_SX_EUlSW_E_NS1_11comp_targetILNS1_3genE9ELNS1_11target_archE1100ELNS1_3gpuE3ELNS1_3repE0EEENS1_30default_config_static_selectorELNS0_4arch9wavefront6targetE0EEEvT1_: ; @_ZN7rocprim17ROCPRIM_400000_NS6detail17trampoline_kernelINS0_14default_configENS1_27scan_by_key_config_selectorIifEEZZNS1_16scan_by_key_implILNS1_25lookback_scan_determinismE0ELb1ES3_N6thrust23THRUST_200600_302600_NS6detail15normal_iteratorINS9_10device_ptrIiEEEENSB_INSC_IfEEEESG_fNS9_4plusIvEENS9_8equal_toIvEEfEE10hipError_tPvRmT2_T3_T4_T5_mT6_T7_P12ihipStream_tbENKUlT_T0_E_clISt17integral_constantIbLb0EES10_IbLb1EEEEDaSW_SX_EUlSW_E_NS1_11comp_targetILNS1_3genE9ELNS1_11target_archE1100ELNS1_3gpuE3ELNS1_3repE0EEENS1_30default_config_static_selectorELNS0_4arch9wavefront6targetE0EEEvT1_
; %bb.0:
	.section	.rodata,"a",@progbits
	.p2align	6, 0x0
	.amdhsa_kernel _ZN7rocprim17ROCPRIM_400000_NS6detail17trampoline_kernelINS0_14default_configENS1_27scan_by_key_config_selectorIifEEZZNS1_16scan_by_key_implILNS1_25lookback_scan_determinismE0ELb1ES3_N6thrust23THRUST_200600_302600_NS6detail15normal_iteratorINS9_10device_ptrIiEEEENSB_INSC_IfEEEESG_fNS9_4plusIvEENS9_8equal_toIvEEfEE10hipError_tPvRmT2_T3_T4_T5_mT6_T7_P12ihipStream_tbENKUlT_T0_E_clISt17integral_constantIbLb0EES10_IbLb1EEEEDaSW_SX_EUlSW_E_NS1_11comp_targetILNS1_3genE9ELNS1_11target_archE1100ELNS1_3gpuE3ELNS1_3repE0EEENS1_30default_config_static_selectorELNS0_4arch9wavefront6targetE0EEEvT1_
		.amdhsa_group_segment_fixed_size 0
		.amdhsa_private_segment_fixed_size 0
		.amdhsa_kernarg_size 112
		.amdhsa_user_sgpr_count 2
		.amdhsa_user_sgpr_dispatch_ptr 0
		.amdhsa_user_sgpr_queue_ptr 0
		.amdhsa_user_sgpr_kernarg_segment_ptr 1
		.amdhsa_user_sgpr_dispatch_id 0
		.amdhsa_user_sgpr_kernarg_preload_length 0
		.amdhsa_user_sgpr_kernarg_preload_offset 0
		.amdhsa_user_sgpr_private_segment_size 0
		.amdhsa_wavefront_size32 1
		.amdhsa_uses_dynamic_stack 0
		.amdhsa_enable_private_segment 0
		.amdhsa_system_sgpr_workgroup_id_x 1
		.amdhsa_system_sgpr_workgroup_id_y 0
		.amdhsa_system_sgpr_workgroup_id_z 0
		.amdhsa_system_sgpr_workgroup_info 0
		.amdhsa_system_vgpr_workitem_id 0
		.amdhsa_next_free_vgpr 1
		.amdhsa_next_free_sgpr 1
		.amdhsa_named_barrier_count 0
		.amdhsa_reserve_vcc 0
		.amdhsa_float_round_mode_32 0
		.amdhsa_float_round_mode_16_64 0
		.amdhsa_float_denorm_mode_32 3
		.amdhsa_float_denorm_mode_16_64 3
		.amdhsa_fp16_overflow 0
		.amdhsa_memory_ordered 1
		.amdhsa_forward_progress 1
		.amdhsa_inst_pref_size 0
		.amdhsa_round_robin_scheduling 0
		.amdhsa_exception_fp_ieee_invalid_op 0
		.amdhsa_exception_fp_denorm_src 0
		.amdhsa_exception_fp_ieee_div_zero 0
		.amdhsa_exception_fp_ieee_overflow 0
		.amdhsa_exception_fp_ieee_underflow 0
		.amdhsa_exception_fp_ieee_inexact 0
		.amdhsa_exception_int_div_zero 0
	.end_amdhsa_kernel
	.section	.text._ZN7rocprim17ROCPRIM_400000_NS6detail17trampoline_kernelINS0_14default_configENS1_27scan_by_key_config_selectorIifEEZZNS1_16scan_by_key_implILNS1_25lookback_scan_determinismE0ELb1ES3_N6thrust23THRUST_200600_302600_NS6detail15normal_iteratorINS9_10device_ptrIiEEEENSB_INSC_IfEEEESG_fNS9_4plusIvEENS9_8equal_toIvEEfEE10hipError_tPvRmT2_T3_T4_T5_mT6_T7_P12ihipStream_tbENKUlT_T0_E_clISt17integral_constantIbLb0EES10_IbLb1EEEEDaSW_SX_EUlSW_E_NS1_11comp_targetILNS1_3genE9ELNS1_11target_archE1100ELNS1_3gpuE3ELNS1_3repE0EEENS1_30default_config_static_selectorELNS0_4arch9wavefront6targetE0EEEvT1_,"axG",@progbits,_ZN7rocprim17ROCPRIM_400000_NS6detail17trampoline_kernelINS0_14default_configENS1_27scan_by_key_config_selectorIifEEZZNS1_16scan_by_key_implILNS1_25lookback_scan_determinismE0ELb1ES3_N6thrust23THRUST_200600_302600_NS6detail15normal_iteratorINS9_10device_ptrIiEEEENSB_INSC_IfEEEESG_fNS9_4plusIvEENS9_8equal_toIvEEfEE10hipError_tPvRmT2_T3_T4_T5_mT6_T7_P12ihipStream_tbENKUlT_T0_E_clISt17integral_constantIbLb0EES10_IbLb1EEEEDaSW_SX_EUlSW_E_NS1_11comp_targetILNS1_3genE9ELNS1_11target_archE1100ELNS1_3gpuE3ELNS1_3repE0EEENS1_30default_config_static_selectorELNS0_4arch9wavefront6targetE0EEEvT1_,comdat
.Lfunc_end1461:
	.size	_ZN7rocprim17ROCPRIM_400000_NS6detail17trampoline_kernelINS0_14default_configENS1_27scan_by_key_config_selectorIifEEZZNS1_16scan_by_key_implILNS1_25lookback_scan_determinismE0ELb1ES3_N6thrust23THRUST_200600_302600_NS6detail15normal_iteratorINS9_10device_ptrIiEEEENSB_INSC_IfEEEESG_fNS9_4plusIvEENS9_8equal_toIvEEfEE10hipError_tPvRmT2_T3_T4_T5_mT6_T7_P12ihipStream_tbENKUlT_T0_E_clISt17integral_constantIbLb0EES10_IbLb1EEEEDaSW_SX_EUlSW_E_NS1_11comp_targetILNS1_3genE9ELNS1_11target_archE1100ELNS1_3gpuE3ELNS1_3repE0EEENS1_30default_config_static_selectorELNS0_4arch9wavefront6targetE0EEEvT1_, .Lfunc_end1461-_ZN7rocprim17ROCPRIM_400000_NS6detail17trampoline_kernelINS0_14default_configENS1_27scan_by_key_config_selectorIifEEZZNS1_16scan_by_key_implILNS1_25lookback_scan_determinismE0ELb1ES3_N6thrust23THRUST_200600_302600_NS6detail15normal_iteratorINS9_10device_ptrIiEEEENSB_INSC_IfEEEESG_fNS9_4plusIvEENS9_8equal_toIvEEfEE10hipError_tPvRmT2_T3_T4_T5_mT6_T7_P12ihipStream_tbENKUlT_T0_E_clISt17integral_constantIbLb0EES10_IbLb1EEEEDaSW_SX_EUlSW_E_NS1_11comp_targetILNS1_3genE9ELNS1_11target_archE1100ELNS1_3gpuE3ELNS1_3repE0EEENS1_30default_config_static_selectorELNS0_4arch9wavefront6targetE0EEEvT1_
                                        ; -- End function
	.set _ZN7rocprim17ROCPRIM_400000_NS6detail17trampoline_kernelINS0_14default_configENS1_27scan_by_key_config_selectorIifEEZZNS1_16scan_by_key_implILNS1_25lookback_scan_determinismE0ELb1ES3_N6thrust23THRUST_200600_302600_NS6detail15normal_iteratorINS9_10device_ptrIiEEEENSB_INSC_IfEEEESG_fNS9_4plusIvEENS9_8equal_toIvEEfEE10hipError_tPvRmT2_T3_T4_T5_mT6_T7_P12ihipStream_tbENKUlT_T0_E_clISt17integral_constantIbLb0EES10_IbLb1EEEEDaSW_SX_EUlSW_E_NS1_11comp_targetILNS1_3genE9ELNS1_11target_archE1100ELNS1_3gpuE3ELNS1_3repE0EEENS1_30default_config_static_selectorELNS0_4arch9wavefront6targetE0EEEvT1_.num_vgpr, 0
	.set _ZN7rocprim17ROCPRIM_400000_NS6detail17trampoline_kernelINS0_14default_configENS1_27scan_by_key_config_selectorIifEEZZNS1_16scan_by_key_implILNS1_25lookback_scan_determinismE0ELb1ES3_N6thrust23THRUST_200600_302600_NS6detail15normal_iteratorINS9_10device_ptrIiEEEENSB_INSC_IfEEEESG_fNS9_4plusIvEENS9_8equal_toIvEEfEE10hipError_tPvRmT2_T3_T4_T5_mT6_T7_P12ihipStream_tbENKUlT_T0_E_clISt17integral_constantIbLb0EES10_IbLb1EEEEDaSW_SX_EUlSW_E_NS1_11comp_targetILNS1_3genE9ELNS1_11target_archE1100ELNS1_3gpuE3ELNS1_3repE0EEENS1_30default_config_static_selectorELNS0_4arch9wavefront6targetE0EEEvT1_.num_agpr, 0
	.set _ZN7rocprim17ROCPRIM_400000_NS6detail17trampoline_kernelINS0_14default_configENS1_27scan_by_key_config_selectorIifEEZZNS1_16scan_by_key_implILNS1_25lookback_scan_determinismE0ELb1ES3_N6thrust23THRUST_200600_302600_NS6detail15normal_iteratorINS9_10device_ptrIiEEEENSB_INSC_IfEEEESG_fNS9_4plusIvEENS9_8equal_toIvEEfEE10hipError_tPvRmT2_T3_T4_T5_mT6_T7_P12ihipStream_tbENKUlT_T0_E_clISt17integral_constantIbLb0EES10_IbLb1EEEEDaSW_SX_EUlSW_E_NS1_11comp_targetILNS1_3genE9ELNS1_11target_archE1100ELNS1_3gpuE3ELNS1_3repE0EEENS1_30default_config_static_selectorELNS0_4arch9wavefront6targetE0EEEvT1_.numbered_sgpr, 0
	.set _ZN7rocprim17ROCPRIM_400000_NS6detail17trampoline_kernelINS0_14default_configENS1_27scan_by_key_config_selectorIifEEZZNS1_16scan_by_key_implILNS1_25lookback_scan_determinismE0ELb1ES3_N6thrust23THRUST_200600_302600_NS6detail15normal_iteratorINS9_10device_ptrIiEEEENSB_INSC_IfEEEESG_fNS9_4plusIvEENS9_8equal_toIvEEfEE10hipError_tPvRmT2_T3_T4_T5_mT6_T7_P12ihipStream_tbENKUlT_T0_E_clISt17integral_constantIbLb0EES10_IbLb1EEEEDaSW_SX_EUlSW_E_NS1_11comp_targetILNS1_3genE9ELNS1_11target_archE1100ELNS1_3gpuE3ELNS1_3repE0EEENS1_30default_config_static_selectorELNS0_4arch9wavefront6targetE0EEEvT1_.num_named_barrier, 0
	.set _ZN7rocprim17ROCPRIM_400000_NS6detail17trampoline_kernelINS0_14default_configENS1_27scan_by_key_config_selectorIifEEZZNS1_16scan_by_key_implILNS1_25lookback_scan_determinismE0ELb1ES3_N6thrust23THRUST_200600_302600_NS6detail15normal_iteratorINS9_10device_ptrIiEEEENSB_INSC_IfEEEESG_fNS9_4plusIvEENS9_8equal_toIvEEfEE10hipError_tPvRmT2_T3_T4_T5_mT6_T7_P12ihipStream_tbENKUlT_T0_E_clISt17integral_constantIbLb0EES10_IbLb1EEEEDaSW_SX_EUlSW_E_NS1_11comp_targetILNS1_3genE9ELNS1_11target_archE1100ELNS1_3gpuE3ELNS1_3repE0EEENS1_30default_config_static_selectorELNS0_4arch9wavefront6targetE0EEEvT1_.private_seg_size, 0
	.set _ZN7rocprim17ROCPRIM_400000_NS6detail17trampoline_kernelINS0_14default_configENS1_27scan_by_key_config_selectorIifEEZZNS1_16scan_by_key_implILNS1_25lookback_scan_determinismE0ELb1ES3_N6thrust23THRUST_200600_302600_NS6detail15normal_iteratorINS9_10device_ptrIiEEEENSB_INSC_IfEEEESG_fNS9_4plusIvEENS9_8equal_toIvEEfEE10hipError_tPvRmT2_T3_T4_T5_mT6_T7_P12ihipStream_tbENKUlT_T0_E_clISt17integral_constantIbLb0EES10_IbLb1EEEEDaSW_SX_EUlSW_E_NS1_11comp_targetILNS1_3genE9ELNS1_11target_archE1100ELNS1_3gpuE3ELNS1_3repE0EEENS1_30default_config_static_selectorELNS0_4arch9wavefront6targetE0EEEvT1_.uses_vcc, 0
	.set _ZN7rocprim17ROCPRIM_400000_NS6detail17trampoline_kernelINS0_14default_configENS1_27scan_by_key_config_selectorIifEEZZNS1_16scan_by_key_implILNS1_25lookback_scan_determinismE0ELb1ES3_N6thrust23THRUST_200600_302600_NS6detail15normal_iteratorINS9_10device_ptrIiEEEENSB_INSC_IfEEEESG_fNS9_4plusIvEENS9_8equal_toIvEEfEE10hipError_tPvRmT2_T3_T4_T5_mT6_T7_P12ihipStream_tbENKUlT_T0_E_clISt17integral_constantIbLb0EES10_IbLb1EEEEDaSW_SX_EUlSW_E_NS1_11comp_targetILNS1_3genE9ELNS1_11target_archE1100ELNS1_3gpuE3ELNS1_3repE0EEENS1_30default_config_static_selectorELNS0_4arch9wavefront6targetE0EEEvT1_.uses_flat_scratch, 0
	.set _ZN7rocprim17ROCPRIM_400000_NS6detail17trampoline_kernelINS0_14default_configENS1_27scan_by_key_config_selectorIifEEZZNS1_16scan_by_key_implILNS1_25lookback_scan_determinismE0ELb1ES3_N6thrust23THRUST_200600_302600_NS6detail15normal_iteratorINS9_10device_ptrIiEEEENSB_INSC_IfEEEESG_fNS9_4plusIvEENS9_8equal_toIvEEfEE10hipError_tPvRmT2_T3_T4_T5_mT6_T7_P12ihipStream_tbENKUlT_T0_E_clISt17integral_constantIbLb0EES10_IbLb1EEEEDaSW_SX_EUlSW_E_NS1_11comp_targetILNS1_3genE9ELNS1_11target_archE1100ELNS1_3gpuE3ELNS1_3repE0EEENS1_30default_config_static_selectorELNS0_4arch9wavefront6targetE0EEEvT1_.has_dyn_sized_stack, 0
	.set _ZN7rocprim17ROCPRIM_400000_NS6detail17trampoline_kernelINS0_14default_configENS1_27scan_by_key_config_selectorIifEEZZNS1_16scan_by_key_implILNS1_25lookback_scan_determinismE0ELb1ES3_N6thrust23THRUST_200600_302600_NS6detail15normal_iteratorINS9_10device_ptrIiEEEENSB_INSC_IfEEEESG_fNS9_4plusIvEENS9_8equal_toIvEEfEE10hipError_tPvRmT2_T3_T4_T5_mT6_T7_P12ihipStream_tbENKUlT_T0_E_clISt17integral_constantIbLb0EES10_IbLb1EEEEDaSW_SX_EUlSW_E_NS1_11comp_targetILNS1_3genE9ELNS1_11target_archE1100ELNS1_3gpuE3ELNS1_3repE0EEENS1_30default_config_static_selectorELNS0_4arch9wavefront6targetE0EEEvT1_.has_recursion, 0
	.set _ZN7rocprim17ROCPRIM_400000_NS6detail17trampoline_kernelINS0_14default_configENS1_27scan_by_key_config_selectorIifEEZZNS1_16scan_by_key_implILNS1_25lookback_scan_determinismE0ELb1ES3_N6thrust23THRUST_200600_302600_NS6detail15normal_iteratorINS9_10device_ptrIiEEEENSB_INSC_IfEEEESG_fNS9_4plusIvEENS9_8equal_toIvEEfEE10hipError_tPvRmT2_T3_T4_T5_mT6_T7_P12ihipStream_tbENKUlT_T0_E_clISt17integral_constantIbLb0EES10_IbLb1EEEEDaSW_SX_EUlSW_E_NS1_11comp_targetILNS1_3genE9ELNS1_11target_archE1100ELNS1_3gpuE3ELNS1_3repE0EEENS1_30default_config_static_selectorELNS0_4arch9wavefront6targetE0EEEvT1_.has_indirect_call, 0
	.section	.AMDGPU.csdata,"",@progbits
; Kernel info:
; codeLenInByte = 0
; TotalNumSgprs: 0
; NumVgprs: 0
; ScratchSize: 0
; MemoryBound: 0
; FloatMode: 240
; IeeeMode: 1
; LDSByteSize: 0 bytes/workgroup (compile time only)
; SGPRBlocks: 0
; VGPRBlocks: 0
; NumSGPRsForWavesPerEU: 1
; NumVGPRsForWavesPerEU: 1
; NamedBarCnt: 0
; Occupancy: 16
; WaveLimiterHint : 0
; COMPUTE_PGM_RSRC2:SCRATCH_EN: 0
; COMPUTE_PGM_RSRC2:USER_SGPR: 2
; COMPUTE_PGM_RSRC2:TRAP_HANDLER: 0
; COMPUTE_PGM_RSRC2:TGID_X_EN: 1
; COMPUTE_PGM_RSRC2:TGID_Y_EN: 0
; COMPUTE_PGM_RSRC2:TGID_Z_EN: 0
; COMPUTE_PGM_RSRC2:TIDIG_COMP_CNT: 0
	.section	.text._ZN7rocprim17ROCPRIM_400000_NS6detail17trampoline_kernelINS0_14default_configENS1_27scan_by_key_config_selectorIifEEZZNS1_16scan_by_key_implILNS1_25lookback_scan_determinismE0ELb1ES3_N6thrust23THRUST_200600_302600_NS6detail15normal_iteratorINS9_10device_ptrIiEEEENSB_INSC_IfEEEESG_fNS9_4plusIvEENS9_8equal_toIvEEfEE10hipError_tPvRmT2_T3_T4_T5_mT6_T7_P12ihipStream_tbENKUlT_T0_E_clISt17integral_constantIbLb0EES10_IbLb1EEEEDaSW_SX_EUlSW_E_NS1_11comp_targetILNS1_3genE8ELNS1_11target_archE1030ELNS1_3gpuE2ELNS1_3repE0EEENS1_30default_config_static_selectorELNS0_4arch9wavefront6targetE0EEEvT1_,"axG",@progbits,_ZN7rocprim17ROCPRIM_400000_NS6detail17trampoline_kernelINS0_14default_configENS1_27scan_by_key_config_selectorIifEEZZNS1_16scan_by_key_implILNS1_25lookback_scan_determinismE0ELb1ES3_N6thrust23THRUST_200600_302600_NS6detail15normal_iteratorINS9_10device_ptrIiEEEENSB_INSC_IfEEEESG_fNS9_4plusIvEENS9_8equal_toIvEEfEE10hipError_tPvRmT2_T3_T4_T5_mT6_T7_P12ihipStream_tbENKUlT_T0_E_clISt17integral_constantIbLb0EES10_IbLb1EEEEDaSW_SX_EUlSW_E_NS1_11comp_targetILNS1_3genE8ELNS1_11target_archE1030ELNS1_3gpuE2ELNS1_3repE0EEENS1_30default_config_static_selectorELNS0_4arch9wavefront6targetE0EEEvT1_,comdat
	.protected	_ZN7rocprim17ROCPRIM_400000_NS6detail17trampoline_kernelINS0_14default_configENS1_27scan_by_key_config_selectorIifEEZZNS1_16scan_by_key_implILNS1_25lookback_scan_determinismE0ELb1ES3_N6thrust23THRUST_200600_302600_NS6detail15normal_iteratorINS9_10device_ptrIiEEEENSB_INSC_IfEEEESG_fNS9_4plusIvEENS9_8equal_toIvEEfEE10hipError_tPvRmT2_T3_T4_T5_mT6_T7_P12ihipStream_tbENKUlT_T0_E_clISt17integral_constantIbLb0EES10_IbLb1EEEEDaSW_SX_EUlSW_E_NS1_11comp_targetILNS1_3genE8ELNS1_11target_archE1030ELNS1_3gpuE2ELNS1_3repE0EEENS1_30default_config_static_selectorELNS0_4arch9wavefront6targetE0EEEvT1_ ; -- Begin function _ZN7rocprim17ROCPRIM_400000_NS6detail17trampoline_kernelINS0_14default_configENS1_27scan_by_key_config_selectorIifEEZZNS1_16scan_by_key_implILNS1_25lookback_scan_determinismE0ELb1ES3_N6thrust23THRUST_200600_302600_NS6detail15normal_iteratorINS9_10device_ptrIiEEEENSB_INSC_IfEEEESG_fNS9_4plusIvEENS9_8equal_toIvEEfEE10hipError_tPvRmT2_T3_T4_T5_mT6_T7_P12ihipStream_tbENKUlT_T0_E_clISt17integral_constantIbLb0EES10_IbLb1EEEEDaSW_SX_EUlSW_E_NS1_11comp_targetILNS1_3genE8ELNS1_11target_archE1030ELNS1_3gpuE2ELNS1_3repE0EEENS1_30default_config_static_selectorELNS0_4arch9wavefront6targetE0EEEvT1_
	.globl	_ZN7rocprim17ROCPRIM_400000_NS6detail17trampoline_kernelINS0_14default_configENS1_27scan_by_key_config_selectorIifEEZZNS1_16scan_by_key_implILNS1_25lookback_scan_determinismE0ELb1ES3_N6thrust23THRUST_200600_302600_NS6detail15normal_iteratorINS9_10device_ptrIiEEEENSB_INSC_IfEEEESG_fNS9_4plusIvEENS9_8equal_toIvEEfEE10hipError_tPvRmT2_T3_T4_T5_mT6_T7_P12ihipStream_tbENKUlT_T0_E_clISt17integral_constantIbLb0EES10_IbLb1EEEEDaSW_SX_EUlSW_E_NS1_11comp_targetILNS1_3genE8ELNS1_11target_archE1030ELNS1_3gpuE2ELNS1_3repE0EEENS1_30default_config_static_selectorELNS0_4arch9wavefront6targetE0EEEvT1_
	.p2align	8
	.type	_ZN7rocprim17ROCPRIM_400000_NS6detail17trampoline_kernelINS0_14default_configENS1_27scan_by_key_config_selectorIifEEZZNS1_16scan_by_key_implILNS1_25lookback_scan_determinismE0ELb1ES3_N6thrust23THRUST_200600_302600_NS6detail15normal_iteratorINS9_10device_ptrIiEEEENSB_INSC_IfEEEESG_fNS9_4plusIvEENS9_8equal_toIvEEfEE10hipError_tPvRmT2_T3_T4_T5_mT6_T7_P12ihipStream_tbENKUlT_T0_E_clISt17integral_constantIbLb0EES10_IbLb1EEEEDaSW_SX_EUlSW_E_NS1_11comp_targetILNS1_3genE8ELNS1_11target_archE1030ELNS1_3gpuE2ELNS1_3repE0EEENS1_30default_config_static_selectorELNS0_4arch9wavefront6targetE0EEEvT1_,@function
_ZN7rocprim17ROCPRIM_400000_NS6detail17trampoline_kernelINS0_14default_configENS1_27scan_by_key_config_selectorIifEEZZNS1_16scan_by_key_implILNS1_25lookback_scan_determinismE0ELb1ES3_N6thrust23THRUST_200600_302600_NS6detail15normal_iteratorINS9_10device_ptrIiEEEENSB_INSC_IfEEEESG_fNS9_4plusIvEENS9_8equal_toIvEEfEE10hipError_tPvRmT2_T3_T4_T5_mT6_T7_P12ihipStream_tbENKUlT_T0_E_clISt17integral_constantIbLb0EES10_IbLb1EEEEDaSW_SX_EUlSW_E_NS1_11comp_targetILNS1_3genE8ELNS1_11target_archE1030ELNS1_3gpuE2ELNS1_3repE0EEENS1_30default_config_static_selectorELNS0_4arch9wavefront6targetE0EEEvT1_: ; @_ZN7rocprim17ROCPRIM_400000_NS6detail17trampoline_kernelINS0_14default_configENS1_27scan_by_key_config_selectorIifEEZZNS1_16scan_by_key_implILNS1_25lookback_scan_determinismE0ELb1ES3_N6thrust23THRUST_200600_302600_NS6detail15normal_iteratorINS9_10device_ptrIiEEEENSB_INSC_IfEEEESG_fNS9_4plusIvEENS9_8equal_toIvEEfEE10hipError_tPvRmT2_T3_T4_T5_mT6_T7_P12ihipStream_tbENKUlT_T0_E_clISt17integral_constantIbLb0EES10_IbLb1EEEEDaSW_SX_EUlSW_E_NS1_11comp_targetILNS1_3genE8ELNS1_11target_archE1030ELNS1_3gpuE2ELNS1_3repE0EEENS1_30default_config_static_selectorELNS0_4arch9wavefront6targetE0EEEvT1_
; %bb.0:
	.section	.rodata,"a",@progbits
	.p2align	6, 0x0
	.amdhsa_kernel _ZN7rocprim17ROCPRIM_400000_NS6detail17trampoline_kernelINS0_14default_configENS1_27scan_by_key_config_selectorIifEEZZNS1_16scan_by_key_implILNS1_25lookback_scan_determinismE0ELb1ES3_N6thrust23THRUST_200600_302600_NS6detail15normal_iteratorINS9_10device_ptrIiEEEENSB_INSC_IfEEEESG_fNS9_4plusIvEENS9_8equal_toIvEEfEE10hipError_tPvRmT2_T3_T4_T5_mT6_T7_P12ihipStream_tbENKUlT_T0_E_clISt17integral_constantIbLb0EES10_IbLb1EEEEDaSW_SX_EUlSW_E_NS1_11comp_targetILNS1_3genE8ELNS1_11target_archE1030ELNS1_3gpuE2ELNS1_3repE0EEENS1_30default_config_static_selectorELNS0_4arch9wavefront6targetE0EEEvT1_
		.amdhsa_group_segment_fixed_size 0
		.amdhsa_private_segment_fixed_size 0
		.amdhsa_kernarg_size 112
		.amdhsa_user_sgpr_count 2
		.amdhsa_user_sgpr_dispatch_ptr 0
		.amdhsa_user_sgpr_queue_ptr 0
		.amdhsa_user_sgpr_kernarg_segment_ptr 1
		.amdhsa_user_sgpr_dispatch_id 0
		.amdhsa_user_sgpr_kernarg_preload_length 0
		.amdhsa_user_sgpr_kernarg_preload_offset 0
		.amdhsa_user_sgpr_private_segment_size 0
		.amdhsa_wavefront_size32 1
		.amdhsa_uses_dynamic_stack 0
		.amdhsa_enable_private_segment 0
		.amdhsa_system_sgpr_workgroup_id_x 1
		.amdhsa_system_sgpr_workgroup_id_y 0
		.amdhsa_system_sgpr_workgroup_id_z 0
		.amdhsa_system_sgpr_workgroup_info 0
		.amdhsa_system_vgpr_workitem_id 0
		.amdhsa_next_free_vgpr 1
		.amdhsa_next_free_sgpr 1
		.amdhsa_named_barrier_count 0
		.amdhsa_reserve_vcc 0
		.amdhsa_float_round_mode_32 0
		.amdhsa_float_round_mode_16_64 0
		.amdhsa_float_denorm_mode_32 3
		.amdhsa_float_denorm_mode_16_64 3
		.amdhsa_fp16_overflow 0
		.amdhsa_memory_ordered 1
		.amdhsa_forward_progress 1
		.amdhsa_inst_pref_size 0
		.amdhsa_round_robin_scheduling 0
		.amdhsa_exception_fp_ieee_invalid_op 0
		.amdhsa_exception_fp_denorm_src 0
		.amdhsa_exception_fp_ieee_div_zero 0
		.amdhsa_exception_fp_ieee_overflow 0
		.amdhsa_exception_fp_ieee_underflow 0
		.amdhsa_exception_fp_ieee_inexact 0
		.amdhsa_exception_int_div_zero 0
	.end_amdhsa_kernel
	.section	.text._ZN7rocprim17ROCPRIM_400000_NS6detail17trampoline_kernelINS0_14default_configENS1_27scan_by_key_config_selectorIifEEZZNS1_16scan_by_key_implILNS1_25lookback_scan_determinismE0ELb1ES3_N6thrust23THRUST_200600_302600_NS6detail15normal_iteratorINS9_10device_ptrIiEEEENSB_INSC_IfEEEESG_fNS9_4plusIvEENS9_8equal_toIvEEfEE10hipError_tPvRmT2_T3_T4_T5_mT6_T7_P12ihipStream_tbENKUlT_T0_E_clISt17integral_constantIbLb0EES10_IbLb1EEEEDaSW_SX_EUlSW_E_NS1_11comp_targetILNS1_3genE8ELNS1_11target_archE1030ELNS1_3gpuE2ELNS1_3repE0EEENS1_30default_config_static_selectorELNS0_4arch9wavefront6targetE0EEEvT1_,"axG",@progbits,_ZN7rocprim17ROCPRIM_400000_NS6detail17trampoline_kernelINS0_14default_configENS1_27scan_by_key_config_selectorIifEEZZNS1_16scan_by_key_implILNS1_25lookback_scan_determinismE0ELb1ES3_N6thrust23THRUST_200600_302600_NS6detail15normal_iteratorINS9_10device_ptrIiEEEENSB_INSC_IfEEEESG_fNS9_4plusIvEENS9_8equal_toIvEEfEE10hipError_tPvRmT2_T3_T4_T5_mT6_T7_P12ihipStream_tbENKUlT_T0_E_clISt17integral_constantIbLb0EES10_IbLb1EEEEDaSW_SX_EUlSW_E_NS1_11comp_targetILNS1_3genE8ELNS1_11target_archE1030ELNS1_3gpuE2ELNS1_3repE0EEENS1_30default_config_static_selectorELNS0_4arch9wavefront6targetE0EEEvT1_,comdat
.Lfunc_end1462:
	.size	_ZN7rocprim17ROCPRIM_400000_NS6detail17trampoline_kernelINS0_14default_configENS1_27scan_by_key_config_selectorIifEEZZNS1_16scan_by_key_implILNS1_25lookback_scan_determinismE0ELb1ES3_N6thrust23THRUST_200600_302600_NS6detail15normal_iteratorINS9_10device_ptrIiEEEENSB_INSC_IfEEEESG_fNS9_4plusIvEENS9_8equal_toIvEEfEE10hipError_tPvRmT2_T3_T4_T5_mT6_T7_P12ihipStream_tbENKUlT_T0_E_clISt17integral_constantIbLb0EES10_IbLb1EEEEDaSW_SX_EUlSW_E_NS1_11comp_targetILNS1_3genE8ELNS1_11target_archE1030ELNS1_3gpuE2ELNS1_3repE0EEENS1_30default_config_static_selectorELNS0_4arch9wavefront6targetE0EEEvT1_, .Lfunc_end1462-_ZN7rocprim17ROCPRIM_400000_NS6detail17trampoline_kernelINS0_14default_configENS1_27scan_by_key_config_selectorIifEEZZNS1_16scan_by_key_implILNS1_25lookback_scan_determinismE0ELb1ES3_N6thrust23THRUST_200600_302600_NS6detail15normal_iteratorINS9_10device_ptrIiEEEENSB_INSC_IfEEEESG_fNS9_4plusIvEENS9_8equal_toIvEEfEE10hipError_tPvRmT2_T3_T4_T5_mT6_T7_P12ihipStream_tbENKUlT_T0_E_clISt17integral_constantIbLb0EES10_IbLb1EEEEDaSW_SX_EUlSW_E_NS1_11comp_targetILNS1_3genE8ELNS1_11target_archE1030ELNS1_3gpuE2ELNS1_3repE0EEENS1_30default_config_static_selectorELNS0_4arch9wavefront6targetE0EEEvT1_
                                        ; -- End function
	.set _ZN7rocprim17ROCPRIM_400000_NS6detail17trampoline_kernelINS0_14default_configENS1_27scan_by_key_config_selectorIifEEZZNS1_16scan_by_key_implILNS1_25lookback_scan_determinismE0ELb1ES3_N6thrust23THRUST_200600_302600_NS6detail15normal_iteratorINS9_10device_ptrIiEEEENSB_INSC_IfEEEESG_fNS9_4plusIvEENS9_8equal_toIvEEfEE10hipError_tPvRmT2_T3_T4_T5_mT6_T7_P12ihipStream_tbENKUlT_T0_E_clISt17integral_constantIbLb0EES10_IbLb1EEEEDaSW_SX_EUlSW_E_NS1_11comp_targetILNS1_3genE8ELNS1_11target_archE1030ELNS1_3gpuE2ELNS1_3repE0EEENS1_30default_config_static_selectorELNS0_4arch9wavefront6targetE0EEEvT1_.num_vgpr, 0
	.set _ZN7rocprim17ROCPRIM_400000_NS6detail17trampoline_kernelINS0_14default_configENS1_27scan_by_key_config_selectorIifEEZZNS1_16scan_by_key_implILNS1_25lookback_scan_determinismE0ELb1ES3_N6thrust23THRUST_200600_302600_NS6detail15normal_iteratorINS9_10device_ptrIiEEEENSB_INSC_IfEEEESG_fNS9_4plusIvEENS9_8equal_toIvEEfEE10hipError_tPvRmT2_T3_T4_T5_mT6_T7_P12ihipStream_tbENKUlT_T0_E_clISt17integral_constantIbLb0EES10_IbLb1EEEEDaSW_SX_EUlSW_E_NS1_11comp_targetILNS1_3genE8ELNS1_11target_archE1030ELNS1_3gpuE2ELNS1_3repE0EEENS1_30default_config_static_selectorELNS0_4arch9wavefront6targetE0EEEvT1_.num_agpr, 0
	.set _ZN7rocprim17ROCPRIM_400000_NS6detail17trampoline_kernelINS0_14default_configENS1_27scan_by_key_config_selectorIifEEZZNS1_16scan_by_key_implILNS1_25lookback_scan_determinismE0ELb1ES3_N6thrust23THRUST_200600_302600_NS6detail15normal_iteratorINS9_10device_ptrIiEEEENSB_INSC_IfEEEESG_fNS9_4plusIvEENS9_8equal_toIvEEfEE10hipError_tPvRmT2_T3_T4_T5_mT6_T7_P12ihipStream_tbENKUlT_T0_E_clISt17integral_constantIbLb0EES10_IbLb1EEEEDaSW_SX_EUlSW_E_NS1_11comp_targetILNS1_3genE8ELNS1_11target_archE1030ELNS1_3gpuE2ELNS1_3repE0EEENS1_30default_config_static_selectorELNS0_4arch9wavefront6targetE0EEEvT1_.numbered_sgpr, 0
	.set _ZN7rocprim17ROCPRIM_400000_NS6detail17trampoline_kernelINS0_14default_configENS1_27scan_by_key_config_selectorIifEEZZNS1_16scan_by_key_implILNS1_25lookback_scan_determinismE0ELb1ES3_N6thrust23THRUST_200600_302600_NS6detail15normal_iteratorINS9_10device_ptrIiEEEENSB_INSC_IfEEEESG_fNS9_4plusIvEENS9_8equal_toIvEEfEE10hipError_tPvRmT2_T3_T4_T5_mT6_T7_P12ihipStream_tbENKUlT_T0_E_clISt17integral_constantIbLb0EES10_IbLb1EEEEDaSW_SX_EUlSW_E_NS1_11comp_targetILNS1_3genE8ELNS1_11target_archE1030ELNS1_3gpuE2ELNS1_3repE0EEENS1_30default_config_static_selectorELNS0_4arch9wavefront6targetE0EEEvT1_.num_named_barrier, 0
	.set _ZN7rocprim17ROCPRIM_400000_NS6detail17trampoline_kernelINS0_14default_configENS1_27scan_by_key_config_selectorIifEEZZNS1_16scan_by_key_implILNS1_25lookback_scan_determinismE0ELb1ES3_N6thrust23THRUST_200600_302600_NS6detail15normal_iteratorINS9_10device_ptrIiEEEENSB_INSC_IfEEEESG_fNS9_4plusIvEENS9_8equal_toIvEEfEE10hipError_tPvRmT2_T3_T4_T5_mT6_T7_P12ihipStream_tbENKUlT_T0_E_clISt17integral_constantIbLb0EES10_IbLb1EEEEDaSW_SX_EUlSW_E_NS1_11comp_targetILNS1_3genE8ELNS1_11target_archE1030ELNS1_3gpuE2ELNS1_3repE0EEENS1_30default_config_static_selectorELNS0_4arch9wavefront6targetE0EEEvT1_.private_seg_size, 0
	.set _ZN7rocprim17ROCPRIM_400000_NS6detail17trampoline_kernelINS0_14default_configENS1_27scan_by_key_config_selectorIifEEZZNS1_16scan_by_key_implILNS1_25lookback_scan_determinismE0ELb1ES3_N6thrust23THRUST_200600_302600_NS6detail15normal_iteratorINS9_10device_ptrIiEEEENSB_INSC_IfEEEESG_fNS9_4plusIvEENS9_8equal_toIvEEfEE10hipError_tPvRmT2_T3_T4_T5_mT6_T7_P12ihipStream_tbENKUlT_T0_E_clISt17integral_constantIbLb0EES10_IbLb1EEEEDaSW_SX_EUlSW_E_NS1_11comp_targetILNS1_3genE8ELNS1_11target_archE1030ELNS1_3gpuE2ELNS1_3repE0EEENS1_30default_config_static_selectorELNS0_4arch9wavefront6targetE0EEEvT1_.uses_vcc, 0
	.set _ZN7rocprim17ROCPRIM_400000_NS6detail17trampoline_kernelINS0_14default_configENS1_27scan_by_key_config_selectorIifEEZZNS1_16scan_by_key_implILNS1_25lookback_scan_determinismE0ELb1ES3_N6thrust23THRUST_200600_302600_NS6detail15normal_iteratorINS9_10device_ptrIiEEEENSB_INSC_IfEEEESG_fNS9_4plusIvEENS9_8equal_toIvEEfEE10hipError_tPvRmT2_T3_T4_T5_mT6_T7_P12ihipStream_tbENKUlT_T0_E_clISt17integral_constantIbLb0EES10_IbLb1EEEEDaSW_SX_EUlSW_E_NS1_11comp_targetILNS1_3genE8ELNS1_11target_archE1030ELNS1_3gpuE2ELNS1_3repE0EEENS1_30default_config_static_selectorELNS0_4arch9wavefront6targetE0EEEvT1_.uses_flat_scratch, 0
	.set _ZN7rocprim17ROCPRIM_400000_NS6detail17trampoline_kernelINS0_14default_configENS1_27scan_by_key_config_selectorIifEEZZNS1_16scan_by_key_implILNS1_25lookback_scan_determinismE0ELb1ES3_N6thrust23THRUST_200600_302600_NS6detail15normal_iteratorINS9_10device_ptrIiEEEENSB_INSC_IfEEEESG_fNS9_4plusIvEENS9_8equal_toIvEEfEE10hipError_tPvRmT2_T3_T4_T5_mT6_T7_P12ihipStream_tbENKUlT_T0_E_clISt17integral_constantIbLb0EES10_IbLb1EEEEDaSW_SX_EUlSW_E_NS1_11comp_targetILNS1_3genE8ELNS1_11target_archE1030ELNS1_3gpuE2ELNS1_3repE0EEENS1_30default_config_static_selectorELNS0_4arch9wavefront6targetE0EEEvT1_.has_dyn_sized_stack, 0
	.set _ZN7rocprim17ROCPRIM_400000_NS6detail17trampoline_kernelINS0_14default_configENS1_27scan_by_key_config_selectorIifEEZZNS1_16scan_by_key_implILNS1_25lookback_scan_determinismE0ELb1ES3_N6thrust23THRUST_200600_302600_NS6detail15normal_iteratorINS9_10device_ptrIiEEEENSB_INSC_IfEEEESG_fNS9_4plusIvEENS9_8equal_toIvEEfEE10hipError_tPvRmT2_T3_T4_T5_mT6_T7_P12ihipStream_tbENKUlT_T0_E_clISt17integral_constantIbLb0EES10_IbLb1EEEEDaSW_SX_EUlSW_E_NS1_11comp_targetILNS1_3genE8ELNS1_11target_archE1030ELNS1_3gpuE2ELNS1_3repE0EEENS1_30default_config_static_selectorELNS0_4arch9wavefront6targetE0EEEvT1_.has_recursion, 0
	.set _ZN7rocprim17ROCPRIM_400000_NS6detail17trampoline_kernelINS0_14default_configENS1_27scan_by_key_config_selectorIifEEZZNS1_16scan_by_key_implILNS1_25lookback_scan_determinismE0ELb1ES3_N6thrust23THRUST_200600_302600_NS6detail15normal_iteratorINS9_10device_ptrIiEEEENSB_INSC_IfEEEESG_fNS9_4plusIvEENS9_8equal_toIvEEfEE10hipError_tPvRmT2_T3_T4_T5_mT6_T7_P12ihipStream_tbENKUlT_T0_E_clISt17integral_constantIbLb0EES10_IbLb1EEEEDaSW_SX_EUlSW_E_NS1_11comp_targetILNS1_3genE8ELNS1_11target_archE1030ELNS1_3gpuE2ELNS1_3repE0EEENS1_30default_config_static_selectorELNS0_4arch9wavefront6targetE0EEEvT1_.has_indirect_call, 0
	.section	.AMDGPU.csdata,"",@progbits
; Kernel info:
; codeLenInByte = 0
; TotalNumSgprs: 0
; NumVgprs: 0
; ScratchSize: 0
; MemoryBound: 0
; FloatMode: 240
; IeeeMode: 1
; LDSByteSize: 0 bytes/workgroup (compile time only)
; SGPRBlocks: 0
; VGPRBlocks: 0
; NumSGPRsForWavesPerEU: 1
; NumVGPRsForWavesPerEU: 1
; NamedBarCnt: 0
; Occupancy: 16
; WaveLimiterHint : 0
; COMPUTE_PGM_RSRC2:SCRATCH_EN: 0
; COMPUTE_PGM_RSRC2:USER_SGPR: 2
; COMPUTE_PGM_RSRC2:TRAP_HANDLER: 0
; COMPUTE_PGM_RSRC2:TGID_X_EN: 1
; COMPUTE_PGM_RSRC2:TGID_Y_EN: 0
; COMPUTE_PGM_RSRC2:TGID_Z_EN: 0
; COMPUTE_PGM_RSRC2:TIDIG_COMP_CNT: 0
	.section	.text._ZN7rocprim17ROCPRIM_400000_NS6detail17trampoline_kernelINS0_14default_configENS1_27scan_by_key_config_selectorIiyEEZZNS1_16scan_by_key_implILNS1_25lookback_scan_determinismE0ELb1ES3_N6thrust23THRUST_200600_302600_NS6detail15normal_iteratorINS9_10device_ptrIiEEEENSB_INSC_IyEEEESG_yNS9_4plusIvEENS9_8equal_toIvEEyEE10hipError_tPvRmT2_T3_T4_T5_mT6_T7_P12ihipStream_tbENKUlT_T0_E_clISt17integral_constantIbLb0EES11_EEDaSW_SX_EUlSW_E_NS1_11comp_targetILNS1_3genE0ELNS1_11target_archE4294967295ELNS1_3gpuE0ELNS1_3repE0EEENS1_30default_config_static_selectorELNS0_4arch9wavefront6targetE0EEEvT1_,"axG",@progbits,_ZN7rocprim17ROCPRIM_400000_NS6detail17trampoline_kernelINS0_14default_configENS1_27scan_by_key_config_selectorIiyEEZZNS1_16scan_by_key_implILNS1_25lookback_scan_determinismE0ELb1ES3_N6thrust23THRUST_200600_302600_NS6detail15normal_iteratorINS9_10device_ptrIiEEEENSB_INSC_IyEEEESG_yNS9_4plusIvEENS9_8equal_toIvEEyEE10hipError_tPvRmT2_T3_T4_T5_mT6_T7_P12ihipStream_tbENKUlT_T0_E_clISt17integral_constantIbLb0EES11_EEDaSW_SX_EUlSW_E_NS1_11comp_targetILNS1_3genE0ELNS1_11target_archE4294967295ELNS1_3gpuE0ELNS1_3repE0EEENS1_30default_config_static_selectorELNS0_4arch9wavefront6targetE0EEEvT1_,comdat
	.protected	_ZN7rocprim17ROCPRIM_400000_NS6detail17trampoline_kernelINS0_14default_configENS1_27scan_by_key_config_selectorIiyEEZZNS1_16scan_by_key_implILNS1_25lookback_scan_determinismE0ELb1ES3_N6thrust23THRUST_200600_302600_NS6detail15normal_iteratorINS9_10device_ptrIiEEEENSB_INSC_IyEEEESG_yNS9_4plusIvEENS9_8equal_toIvEEyEE10hipError_tPvRmT2_T3_T4_T5_mT6_T7_P12ihipStream_tbENKUlT_T0_E_clISt17integral_constantIbLb0EES11_EEDaSW_SX_EUlSW_E_NS1_11comp_targetILNS1_3genE0ELNS1_11target_archE4294967295ELNS1_3gpuE0ELNS1_3repE0EEENS1_30default_config_static_selectorELNS0_4arch9wavefront6targetE0EEEvT1_ ; -- Begin function _ZN7rocprim17ROCPRIM_400000_NS6detail17trampoline_kernelINS0_14default_configENS1_27scan_by_key_config_selectorIiyEEZZNS1_16scan_by_key_implILNS1_25lookback_scan_determinismE0ELb1ES3_N6thrust23THRUST_200600_302600_NS6detail15normal_iteratorINS9_10device_ptrIiEEEENSB_INSC_IyEEEESG_yNS9_4plusIvEENS9_8equal_toIvEEyEE10hipError_tPvRmT2_T3_T4_T5_mT6_T7_P12ihipStream_tbENKUlT_T0_E_clISt17integral_constantIbLb0EES11_EEDaSW_SX_EUlSW_E_NS1_11comp_targetILNS1_3genE0ELNS1_11target_archE4294967295ELNS1_3gpuE0ELNS1_3repE0EEENS1_30default_config_static_selectorELNS0_4arch9wavefront6targetE0EEEvT1_
	.globl	_ZN7rocprim17ROCPRIM_400000_NS6detail17trampoline_kernelINS0_14default_configENS1_27scan_by_key_config_selectorIiyEEZZNS1_16scan_by_key_implILNS1_25lookback_scan_determinismE0ELb1ES3_N6thrust23THRUST_200600_302600_NS6detail15normal_iteratorINS9_10device_ptrIiEEEENSB_INSC_IyEEEESG_yNS9_4plusIvEENS9_8equal_toIvEEyEE10hipError_tPvRmT2_T3_T4_T5_mT6_T7_P12ihipStream_tbENKUlT_T0_E_clISt17integral_constantIbLb0EES11_EEDaSW_SX_EUlSW_E_NS1_11comp_targetILNS1_3genE0ELNS1_11target_archE4294967295ELNS1_3gpuE0ELNS1_3repE0EEENS1_30default_config_static_selectorELNS0_4arch9wavefront6targetE0EEEvT1_
	.p2align	8
	.type	_ZN7rocprim17ROCPRIM_400000_NS6detail17trampoline_kernelINS0_14default_configENS1_27scan_by_key_config_selectorIiyEEZZNS1_16scan_by_key_implILNS1_25lookback_scan_determinismE0ELb1ES3_N6thrust23THRUST_200600_302600_NS6detail15normal_iteratorINS9_10device_ptrIiEEEENSB_INSC_IyEEEESG_yNS9_4plusIvEENS9_8equal_toIvEEyEE10hipError_tPvRmT2_T3_T4_T5_mT6_T7_P12ihipStream_tbENKUlT_T0_E_clISt17integral_constantIbLb0EES11_EEDaSW_SX_EUlSW_E_NS1_11comp_targetILNS1_3genE0ELNS1_11target_archE4294967295ELNS1_3gpuE0ELNS1_3repE0EEENS1_30default_config_static_selectorELNS0_4arch9wavefront6targetE0EEEvT1_,@function
_ZN7rocprim17ROCPRIM_400000_NS6detail17trampoline_kernelINS0_14default_configENS1_27scan_by_key_config_selectorIiyEEZZNS1_16scan_by_key_implILNS1_25lookback_scan_determinismE0ELb1ES3_N6thrust23THRUST_200600_302600_NS6detail15normal_iteratorINS9_10device_ptrIiEEEENSB_INSC_IyEEEESG_yNS9_4plusIvEENS9_8equal_toIvEEyEE10hipError_tPvRmT2_T3_T4_T5_mT6_T7_P12ihipStream_tbENKUlT_T0_E_clISt17integral_constantIbLb0EES11_EEDaSW_SX_EUlSW_E_NS1_11comp_targetILNS1_3genE0ELNS1_11target_archE4294967295ELNS1_3gpuE0ELNS1_3repE0EEENS1_30default_config_static_selectorELNS0_4arch9wavefront6targetE0EEEvT1_: ; @_ZN7rocprim17ROCPRIM_400000_NS6detail17trampoline_kernelINS0_14default_configENS1_27scan_by_key_config_selectorIiyEEZZNS1_16scan_by_key_implILNS1_25lookback_scan_determinismE0ELb1ES3_N6thrust23THRUST_200600_302600_NS6detail15normal_iteratorINS9_10device_ptrIiEEEENSB_INSC_IyEEEESG_yNS9_4plusIvEENS9_8equal_toIvEEyEE10hipError_tPvRmT2_T3_T4_T5_mT6_T7_P12ihipStream_tbENKUlT_T0_E_clISt17integral_constantIbLb0EES11_EEDaSW_SX_EUlSW_E_NS1_11comp_targetILNS1_3genE0ELNS1_11target_archE4294967295ELNS1_3gpuE0ELNS1_3repE0EEENS1_30default_config_static_selectorELNS0_4arch9wavefront6targetE0EEEvT1_
; %bb.0:
	s_clause 0x2
	s_load_b96 s[36:38], s[0:1], 0x50
	s_load_b256 s[12:19], s[0:1], 0x0
	s_load_b128 s[28:31], s[0:1], 0x60
	s_bfe_u32 s4, ttmp6, 0x4000c
	s_load_b64 s[40:41], s[0:1], 0x20
	s_add_co_i32 s4, s4, 1
	s_load_b256 s[20:27], s[0:1], 0x30
	s_and_b32 s2, ttmp6, 15
	s_wait_xcnt 0x0
	s_mul_i32 s0, ttmp9, s4
	s_getreg_b32 s5, hwreg(HW_REG_IB_STS2, 6, 4)
	s_add_co_i32 s6, s2, s0
	s_mov_b32 s3, 0
	s_delay_alu instid0(SALU_CYCLE_1)
	s_mov_b32 s39, s3
	s_barrier_signal -1
	s_barrier_wait -1
	s_wait_kmcnt 0x0
	s_mov_b32 s2, s38
	s_lshl_b64 s[0:1], s[14:15], 2
	s_lshl_b64 s[34:35], s[14:15], 3
	s_cmp_eq_u32 s5, 0
	s_mul_u64 s[4:5], s[36:37], s[2:3]
	s_cselect_b32 s38, ttmp9, s6
	s_add_nc_u64 s[8:9], s[28:29], -1
	s_add_nc_u64 s[4:5], s[4:5], s[38:39]
	s_mul_i32 s2, s38, 0x500
	v_cmp_ge_u64_e64 s15, s[4:5], s[8:9]
	s_add_nc_u64 s[0:1], s[12:13], s[0:1]
	s_add_nc_u64 s[6:7], s[16:17], s[34:35]
	s_lshl_b64 s[4:5], s[2:3], 2
	s_lshl_b64 s[16:17], s[2:3], 3
	s_add_nc_u64 s[12:13], s[0:1], s[4:5]
	s_add_nc_u64 s[10:11], s[6:7], s[16:17]
	s_and_b32 vcc_lo, exec_lo, s15
	s_mul_i32 s27, s8, 0xfffffb00
	s_cbranch_vccz .LBB1463_56
; %bb.1:
	v_mov_b32_e32 v1, 0
	s_add_co_i32 s29, s27, s26
	s_delay_alu instid0(SALU_CYCLE_1)
	v_cmp_gt_u32_e32 vcc_lo, s29, v0
	flat_load_b32 v1, v1, s[12:13]
	s_wait_loadcnt_dscnt 0x0
	v_mov_b32_e32 v2, v1
	s_and_saveexec_b32 s0, vcc_lo
	s_cbranch_execz .LBB1463_3
; %bb.2:
	flat_load_b32 v2, v0, s[12:13] scale_offset
.LBB1463_3:
	s_wait_xcnt 0x0
	s_or_b32 exec_lo, exec_lo, s0
	v_or_b32_e32 v3, 0x80, v0
	s_delay_alu instid0(VALU_DEP_1)
	v_cmp_gt_u32_e64 s0, s29, v3
	v_mov_b32_e32 v3, v1
	s_and_saveexec_b32 s1, s0
	s_cbranch_execz .LBB1463_5
; %bb.4:
	flat_load_b32 v3, v0, s[12:13] offset:512 scale_offset
.LBB1463_5:
	s_wait_xcnt 0x0
	s_or_b32 exec_lo, exec_lo, s1
	v_or_b32_e32 v4, 0x100, v0
	s_delay_alu instid0(VALU_DEP_1)
	v_cmp_gt_u32_e64 s1, s29, v4
	v_mov_b32_e32 v4, v1
	s_and_saveexec_b32 s2, s1
	s_cbranch_execz .LBB1463_7
; %bb.6:
	flat_load_b32 v4, v0, s[12:13] offset:1024 scale_offset
.LBB1463_7:
	;; [unrolled: 11-line block ×8, first 2 shown]
	s_wait_xcnt 0x0
	s_or_b32 exec_lo, exec_lo, s8
	v_or_b32_e32 v11, 0x480, v0
	s_delay_alu instid0(VALU_DEP_1) | instskip(SKIP_2) | instid1(SALU_CYCLE_1)
	v_cmp_gt_u32_e64 s8, s29, v11
	v_cmp_le_u32_e64 s9, s29, v11
	s_and_saveexec_b32 s14, s9
	s_xor_b32 s9, exec_lo, s14
	s_delay_alu instid0(SALU_CYCLE_1)
	s_and_not1_saveexec_b32 s9, s9
	s_cbranch_execz .LBB1463_21
; %bb.20:
	flat_load_b32 v1, v0, s[12:13] offset:4608 scale_offset
.LBB1463_21:
	s_wait_xcnt 0x0
	s_or_b32 exec_lo, exec_lo, s9
	v_lshlrev_b32_e32 v11, 2, v0
	s_mov_b32 s14, exec_lo
	s_wait_loadcnt_dscnt 0x0
	ds_store_2addr_stride64_b32 v11, v2, v3 offset1:2
	ds_store_2addr_stride64_b32 v11, v4, v5 offset0:4 offset1:6
	ds_store_2addr_stride64_b32 v11, v6, v7 offset0:8 offset1:10
	ds_store_2addr_stride64_b32 v11, v8, v9 offset0:12 offset1:14
	ds_store_2addr_stride64_b32 v11, v10, v1 offset0:16 offset1:18
	v_mov_b32_e32 v1, 0
	s_wait_dscnt 0x0
	s_barrier_signal -1
	s_barrier_wait -1
	flat_load_b32 v59, v1, s[12:13]
	s_wait_xcnt 0x0
	v_mad_u32_u24 v1, v0, 36, v11
	ds_load_2addr_b64 v[6:9], v1 offset1:1
	ds_load_2addr_b64 v[2:5], v1 offset0:2 offset1:3
	ds_load_b64 v[50:51], v1 offset:32
	v_mad_i32_i24 v1, 0xffffffdc, v0, v1
	s_wait_dscnt 0x2
	ds_store_b32 v1, v6 offset:5632
	s_wait_loadcnt_dscnt 0x0
	s_barrier_signal -1
	s_barrier_wait -1
	v_cmpx_ne_u32_e32 0x7f, v0
; %bb.22:
	ds_load_b32 v59, v1 offset:5636
; %bb.23:
	s_or_b32 exec_lo, exec_lo, s14
	s_wait_dscnt 0x0
	s_barrier_signal -1
	s_barrier_wait -1
                                        ; implicit-def: $vgpr10_vgpr11
	s_and_saveexec_b32 s9, vcc_lo
	s_cbranch_execz .LBB1463_120
; %bb.24:
	flat_load_b64 v[10:11], v0, s[10:11] scale_offset
	s_wait_xcnt 0x0
	s_or_b32 exec_lo, exec_lo, s9
                                        ; implicit-def: $vgpr12_vgpr13
	s_and_saveexec_b32 s9, s0
	s_cbranch_execnz .LBB1463_121
.LBB1463_25:
	s_or_b32 exec_lo, exec_lo, s9
                                        ; implicit-def: $vgpr14_vgpr15
	s_and_saveexec_b32 s0, s1
	s_cbranch_execz .LBB1463_122
.LBB1463_26:
	flat_load_b64 v[14:15], v0, s[10:11] offset:2048 scale_offset
	s_wait_xcnt 0x0
	s_or_b32 exec_lo, exec_lo, s0
                                        ; implicit-def: $vgpr16_vgpr17
	s_and_saveexec_b32 s0, s2
	s_cbranch_execnz .LBB1463_123
.LBB1463_27:
	s_or_b32 exec_lo, exec_lo, s0
                                        ; implicit-def: $vgpr18_vgpr19
	s_and_saveexec_b32 s0, s3
	s_cbranch_execz .LBB1463_124
.LBB1463_28:
	flat_load_b64 v[18:19], v0, s[10:11] offset:4096 scale_offset
	s_wait_xcnt 0x0
	s_or_b32 exec_lo, exec_lo, s0
                                        ; implicit-def: $vgpr20_vgpr21
	s_and_saveexec_b32 s0, s4
	s_cbranch_execnz .LBB1463_125
.LBB1463_29:
	s_or_b32 exec_lo, exec_lo, s0
                                        ; implicit-def: $vgpr22_vgpr23
	s_and_saveexec_b32 s0, s5
	s_cbranch_execz .LBB1463_126
.LBB1463_30:
	flat_load_b64 v[22:23], v0, s[10:11] offset:6144 scale_offset
	s_wait_xcnt 0x0
	s_or_b32 exec_lo, exec_lo, s0
                                        ; implicit-def: $vgpr24_vgpr25
	s_and_saveexec_b32 s0, s6
	s_cbranch_execnz .LBB1463_127
.LBB1463_31:
	s_or_b32 exec_lo, exec_lo, s0
                                        ; implicit-def: $vgpr26_vgpr27
	s_and_saveexec_b32 s0, s7
	s_cbranch_execz .LBB1463_33
.LBB1463_32:
	flat_load_b64 v[26:27], v0, s[10:11] offset:8192 scale_offset
.LBB1463_33:
	s_wait_xcnt 0x0
	s_or_b32 exec_lo, exec_lo, s0
	v_mul_u32_u24_e32 v67, 10, v0
                                        ; implicit-def: $vgpr28_vgpr29
	s_and_saveexec_b32 s0, s8
	s_cbranch_execz .LBB1463_35
; %bb.34:
	flat_load_b64 v[28:29], v0, s[10:11] offset:9216 scale_offset
.LBB1463_35:
	s_wait_xcnt 0x0
	s_or_b32 exec_lo, exec_lo, s0
	v_lshl_add_u32 v68, v0, 2, v1
	v_mov_b64_e32 v[48:49], 0
	v_mov_b64_e32 v[46:47], 0
	;; [unrolled: 1-line block ×4, first 2 shown]
	s_wait_loadcnt_dscnt 0x0
	ds_store_2addr_stride64_b64 v68, v[10:11], v[12:13] offset1:2
	ds_store_2addr_stride64_b64 v68, v[14:15], v[16:17] offset0:4 offset1:6
	ds_store_2addr_stride64_b64 v68, v[18:19], v[20:21] offset0:8 offset1:10
	;; [unrolled: 1-line block ×4, first 2 shown]
	v_mov_b64_e32 v[26:27], 0
	v_mov_b64_e32 v[14:15], 0
	;; [unrolled: 1-line block ×14, first 2 shown]
	v_cmp_gt_u32_e32 vcc_lo, s29, v67
	v_dual_mov_b32 v52, 0 :: v_dual_mov_b32 v53, 0
	v_dual_mov_b32 v54, 0 :: v_dual_mov_b32 v55, 0
	;; [unrolled: 1-line block ×9, first 2 shown]
	s_mov_b32 s9, 0
	s_mov_b32 s3, 0
	s_wait_dscnt 0x0
	s_barrier_signal -1
	s_barrier_wait -1
                                        ; implicit-def: $sgpr14
	s_and_saveexec_b32 s28, vcc_lo
	s_cbranch_execz .LBB1463_55
; %bb.36:
	v_mad_u32_u24 v1, 0x48, v0, v68
	v_dual_mov_b32 v52, 0 :: v_dual_bitop2_b32 v12, 1, v67 bitop3:0x54
	v_cmp_ne_u32_e32 vcc_lo, v6, v7
	v_mov_b64_e32 v[14:15], 0
	ds_load_b64 v[10:11], v1
	v_mov_b64_e32 v[48:49], 0
	v_mov_b64_e32 v[16:17], 0
	;; [unrolled: 1-line block ×16, first 2 shown]
	v_dual_mov_b32 v53, 0 :: v_dual_mov_b32 v54, 0
	v_dual_mov_b32 v55, 0 :: v_dual_mov_b32 v56, 0
	v_dual_mov_b32 v57, 0 :: v_dual_mov_b32 v58, 0
	v_dual_mov_b32 v60, 0 :: v_dual_mov_b32 v62, 0
	v_cmp_gt_u32_e64 s0, s29, v12
	s_wait_dscnt 0x0
	v_cndmask_b32_e64 v27, v11, s41, vcc_lo
	v_cndmask_b32_e64 v26, v10, s40, vcc_lo
	v_dual_mov_b32 v61, 0 :: v_dual_mov_b32 v63, 0
	v_dual_mov_b32 v64, 0 :: v_dual_mov_b32 v10, 0
	;; [unrolled: 1-line block ×3, first 2 shown]
	v_mov_b32_e32 v12, 0
	s_mov_b32 s1, 0
                                        ; implicit-def: $sgpr14
	s_and_saveexec_b32 s33, s0
	s_cbranch_execz .LBB1463_54
; %bb.37:
	v_mul_u32_u24_e32 v1, 0x48, v0
	v_cmp_ne_u32_e64 s0, v7, v8
	v_mov_b64_e32 v[14:15], 0
	v_mov_b64_e32 v[48:49], 0
	;; [unrolled: 1-line block ×3, first 2 shown]
	v_dual_add_nc_u32 v1, v68, v1 :: v_dual_mov_b32 v53, 0
	v_mov_b64_e32 v[46:47], 0
	v_mov_b64_e32 v[18:19], 0
	;; [unrolled: 1-line block ×3, first 2 shown]
	ds_load_2addr_b64 v[10:13], v1 offset0:1 offset1:2
	v_mov_b64_e32 v[40:41], 0
	v_mov_b64_e32 v[32:33], 0
	;; [unrolled: 1-line block ×9, first 2 shown]
	v_dual_add_nc_u32 v6, 2, v67 :: v_dual_mov_b32 v52, 0
	v_dual_mov_b32 v54, 0 :: v_dual_mov_b32 v55, 0
	v_dual_mov_b32 v56, 0 :: v_dual_mov_b32 v57, 0
	;; [unrolled: 1-line block ×4, first 2 shown]
	v_mov_b32_e32 v64, 0
	s_wait_dscnt 0x0
	v_cndmask_b32_e64 v43, v11, s41, s0
	v_cndmask_b32_e64 v42, v10, s40, s0
	v_dual_mov_b32 v10, 0 :: v_dual_mov_b32 v11, 0
	v_mov_b32_e32 v65, 0
	s_mov_b32 s2, 0
	s_mov_b32 s39, exec_lo
                                        ; implicit-def: $sgpr14
	v_cmpx_gt_u32_e64 s29, v6
	s_cbranch_execz .LBB1463_53
; %bb.38:
	v_cmp_ne_u32_e64 s1, v8, v9
	v_dual_add_nc_u32 v6, 3, v67 :: v_dual_mov_b32 v52, 0
	v_mov_b64_e32 v[14:15], 0
	v_mov_b64_e32 v[48:49], 0
	v_mov_b64_e32 v[16:17], 0
	v_mov_b64_e32 v[46:47], 0
	v_mov_b64_e32 v[18:19], 0
	v_mov_b64_e32 v[44:45], 0
	v_mov_b64_e32 v[32:33], 0
	v_mov_b64_e32 v[20:21], 0
	v_mov_b64_e32 v[22:23], 0
	v_mov_b64_e32 v[24:25], 0
	v_mov_b64_e32 v[28:29], 0
	v_mov_b64_e32 v[30:31], 0
	v_mov_b64_e32 v[34:35], 0
	v_cndmask_b32_e64 v41, v13, s41, s1
	v_cndmask_b32_e64 v40, v12, s40, s1
	v_cmp_gt_u32_e64 s2, s29, v6
	v_dual_mov_b32 v53, 0 :: v_dual_mov_b32 v54, 0
	v_dual_mov_b32 v55, 0 :: v_dual_mov_b32 v56, 0
	;; [unrolled: 1-line block ×5, first 2 shown]
	v_mov_b32_e32 v11, 0
                                        ; implicit-def: $sgpr14
	s_and_saveexec_b32 s42, s2
	s_cbranch_execz .LBB1463_52
; %bb.39:
	ds_load_2addr_b64 v[10:13], v1 offset0:3 offset1:4
	v_cmp_ne_u32_e64 s2, v9, v2
	v_mov_b64_e32 v[14:15], 0
	v_mov_b64_e32 v[48:49], 0
	;; [unrolled: 1-line block ×11, first 2 shown]
	v_dual_add_nc_u32 v6, 4, v67 :: v_dual_mov_b32 v52, 0
	v_dual_mov_b32 v53, 0 :: v_dual_mov_b32 v54, 0
	v_dual_mov_b32 v55, 0 :: v_dual_mov_b32 v56, 0
	;; [unrolled: 1-line block ×3, first 2 shown]
	s_wait_dscnt 0x0
	v_cndmask_b32_e64 v45, v11, s41, s2
	v_cndmask_b32_e64 v44, v10, s40, s2
	v_dual_mov_b32 v63, 0 :: v_dual_mov_b32 v64, 0
	v_mov_b32_e32 v10, 0
	s_mov_b32 s4, 0
	s_mov_b32 s43, exec_lo
                                        ; implicit-def: $sgpr14
	v_cmpx_gt_u32_e64 s29, v6
	s_cbranch_execz .LBB1463_51
; %bb.40:
	v_cmp_ne_u32_e64 s3, v2, v3
	v_mov_b64_e32 v[14:15], 0
	v_mov_b64_e32 v[48:49], 0
	;; [unrolled: 1-line block ×9, first 2 shown]
	v_dual_add_nc_u32 v2, 5, v67 :: v_dual_mov_b32 v52, 0
	v_cndmask_b32_e64 v19, v13, s41, s3
	v_cndmask_b32_e64 v18, v12, s40, s3
	v_dual_mov_b32 v53, 0 :: v_dual_mov_b32 v54, 0
	v_dual_mov_b32 v55, 0 :: v_dual_mov_b32 v62, 0
	;; [unrolled: 1-line block ×3, first 2 shown]
	v_mov_b32_e32 v64, 0
	s_mov_b32 s5, 0
	s_mov_b32 s44, exec_lo
                                        ; implicit-def: $sgpr14
	v_cmpx_gt_u32_e64 s29, v2
	s_cbranch_execz .LBB1463_50
; %bb.41:
	ds_load_2addr_b64 v[6:9], v1 offset0:5 offset1:6
	v_cmp_ne_u32_e64 s4, v3, v4
	v_mov_b64_e32 v[14:15], 0
	v_mov_b64_e32 v[48:49], 0
	v_mov_b64_e32 v[16:17], 0
	v_mov_b64_e32 v[32:33], 0
	v_mov_b64_e32 v[20:21], 0
	v_mov_b64_e32 v[22:23], 0
	v_mov_b64_e32 v[24:25], 0
	v_dual_add_nc_u32 v2, 6, v67 :: v_dual_mov_b32 v52, 0
	v_dual_mov_b32 v53, 0 :: v_dual_mov_b32 v54, 0
	v_dual_mov_b32 v62, 0 :: v_dual_mov_b32 v61, 0
	v_mov_b32_e32 v63, 0
	s_mov_b32 s6, 0
	s_mov_b32 s45, exec_lo
                                        ; implicit-def: $sgpr14
	s_wait_dscnt 0x0
	v_cndmask_b32_e64 v47, v7, s41, s4
	v_cndmask_b32_e64 v46, v6, s40, s4
	v_cmpx_gt_u32_e64 s29, v2
	s_cbranch_execz .LBB1463_49
; %bb.42:
	v_cmp_ne_u32_e64 s5, v4, v5
	v_mov_b64_e32 v[14:15], 0
	v_mov_b64_e32 v[48:49], 0
	;; [unrolled: 1-line block ×4, first 2 shown]
	v_dual_add_nc_u32 v2, 7, v67 :: v_dual_mov_b32 v52, 0
	v_cndmask_b32_e64 v17, v9, s41, s5
	v_cndmask_b32_e64 v16, v8, s40, s5
	v_dual_mov_b32 v53, 0 :: v_dual_mov_b32 v61, 0
	s_mov_b32 s7, 0
	s_mov_b32 s46, exec_lo
                                        ; implicit-def: $sgpr14
	v_cmpx_gt_u32_e64 s29, v2
	s_cbranch_execz .LBB1463_48
; %bb.43:
	ds_load_2addr_b64 v[6:9], v1 offset0:7 offset1:8
	v_cmp_ne_u32_e64 s6, v5, v50
	v_mov_b64_e32 v[14:15], 0
	v_mov_b64_e32 v[32:33], 0
	v_dual_add_nc_u32 v2, 8, v67 :: v_dual_mov_b32 v52, 0
	s_mov_b32 s8, 0
	s_mov_b32 s47, exec_lo
                                        ; implicit-def: $sgpr14
	s_wait_dscnt 0x0
	v_cndmask_b32_e64 v49, v7, s41, s6
	v_cndmask_b32_e64 v48, v6, s40, s6
	v_cmpx_gt_u32_e64 s29, v2
	s_cbranch_execz .LBB1463_47
; %bb.44:
	v_cmp_ne_u32_e64 s7, v50, v51
	v_add_nc_u32_e32 v2, 9, v67
	v_mov_b64_e32 v[32:33], 0
                                        ; implicit-def: $sgpr14
	s_delay_alu instid0(VALU_DEP_3) | instskip(SKIP_1) | instid1(VALU_DEP_4)
	v_cndmask_b32_e64 v15, v9, s41, s7
	v_cndmask_b32_e64 v14, v8, s40, s7
	v_cmp_gt_u32_e64 s8, s29, v2
	s_mov_b32 s29, 0
	s_and_saveexec_b32 s48, s8
	s_delay_alu instid0(SALU_CYCLE_1)
	s_xor_b32 s8, exec_lo, s48
	s_cbranch_execz .LBB1463_46
; %bb.45:
	ds_load_b64 v[2:3], v1 offset:72
	v_cmp_ne_u32_e64 s14, v51, v59
	s_mov_b32 s29, exec_lo
	s_wait_dscnt 0x0
	v_cndmask_b32_e64 v33, v3, s41, s14
	v_cndmask_b32_e64 v32, v2, s40, s14
.LBB1463_46:
	s_or_b32 exec_lo, exec_lo, s8
	v_cndmask_b32_e64 v52, 0, 1, s7
	s_and_b32 s8, s29, exec_lo
.LBB1463_47:
	s_or_b32 exec_lo, exec_lo, s47
	v_cndmask_b32_e64 v53, 0, 1, s6
	v_mov_b64_e32 v[22:23], v[48:49]
	s_and_b32 s7, s8, exec_lo
	s_delay_alu instid0(VALU_DEP_2)
	v_mov_b32_e32 v61, v53
.LBB1463_48:
	s_or_b32 exec_lo, exec_lo, s46
	v_cndmask_b32_e64 v54, 0, 1, s5
	v_mov_b64_e32 v[20:21], v[14:15]
	v_mov_b64_e32 v[24:25], v[16:17]
	v_mov_b32_e32 v62, v52
	s_and_b32 s6, s7, exec_lo
	v_mov_b32_e32 v63, v54
.LBB1463_49:
	s_or_b32 exec_lo, exec_lo, s45
	v_cndmask_b32_e64 v55, 0, 1, s4
	v_mov_b64_e32 v[28:29], v[46:47]
	s_and_b32 s5, s6, exec_lo
	s_delay_alu instid0(VALU_DEP_2)
	v_mov_b32_e32 v64, v55
.LBB1463_50:
	s_or_b32 exec_lo, exec_lo, s44
	v_cndmask_b32_e64 v56, 0, 1, s3
	v_mov_b64_e32 v[30:31], v[18:19]
	s_and_b32 s4, s5, exec_lo
	s_delay_alu instid0(VALU_DEP_2)
	v_mov_b32_e32 v10, v56
.LBB1463_51:
	s_or_b32 exec_lo, exec_lo, s43
	v_cndmask_b32_e64 v57, 0, 1, s2
	v_mov_b64_e32 v[34:35], v[44:45]
	s_and_b32 s3, s4, exec_lo
	s_delay_alu instid0(VALU_DEP_2)
	v_mov_b32_e32 v11, v57
.LBB1463_52:
	s_or_b32 exec_lo, exec_lo, s42
	v_cndmask_b32_e64 v58, 0, 1, s1
	v_mov_b64_e32 v[36:37], v[40:41]
	s_and_b32 s2, s3, exec_lo
	s_delay_alu instid0(VALU_DEP_2)
	v_mov_b32_e32 v65, v58
.LBB1463_53:
	s_or_b32 exec_lo, exec_lo, s39
	v_cndmask_b32_e64 v60, 0, 1, s0
	v_mov_b64_e32 v[38:39], v[42:43]
	s_and_b32 s1, s2, exec_lo
	s_delay_alu instid0(VALU_DEP_2)
	v_mov_b32_e32 v12, v60
.LBB1463_54:
	s_or_b32 exec_lo, exec_lo, s33
	v_cndmask_b32_e64 v66, 0, 1, vcc_lo
	s_and_b32 s3, s1, exec_lo
	s_delay_alu instid0(VALU_DEP_1)
	v_mov_b32_e32 v1, v66
.LBB1463_55:
	s_or_b32 exec_lo, exec_lo, s28
	s_delay_alu instid0(SALU_CYCLE_1)
	s_and_b32 vcc_lo, exec_lo, s9
	s_cbranch_vccnz .LBB1463_57
	s_branch .LBB1463_62
.LBB1463_56:
                                        ; implicit-def: $sgpr14
                                        ; implicit-def: $vgpr26_vgpr27
                                        ; implicit-def: $vgpr52
                                        ; implicit-def: $vgpr14_vgpr15
                                        ; implicit-def: $vgpr53
                                        ; implicit-def: $vgpr48_vgpr49
                                        ; implicit-def: $vgpr54
                                        ; implicit-def: $vgpr16_vgpr17
                                        ; implicit-def: $vgpr55
                                        ; implicit-def: $vgpr46_vgpr47
                                        ; implicit-def: $vgpr56
                                        ; implicit-def: $vgpr18_vgpr19
                                        ; implicit-def: $vgpr57
                                        ; implicit-def: $vgpr44_vgpr45
                                        ; implicit-def: $vgpr58
                                        ; implicit-def: $vgpr40_vgpr41
                                        ; implicit-def: $vgpr60
                                        ; implicit-def: $vgpr42_vgpr43
                                        ; implicit-def: $vgpr66
                                        ; implicit-def: $vgpr32_vgpr33
                                        ; implicit-def: $vgpr62
                                        ; implicit-def: $vgpr20_vgpr21
                                        ; implicit-def: $vgpr61
                                        ; implicit-def: $vgpr22_vgpr23
                                        ; implicit-def: $vgpr63
                                        ; implicit-def: $vgpr24_vgpr25
                                        ; implicit-def: $vgpr64
                                        ; implicit-def: $vgpr28_vgpr29
                                        ; implicit-def: $vgpr10
                                        ; implicit-def: $vgpr30_vgpr31
                                        ; implicit-def: $vgpr11
                                        ; implicit-def: $vgpr34_vgpr35
                                        ; implicit-def: $vgpr65
                                        ; implicit-def: $vgpr36_vgpr37
                                        ; implicit-def: $vgpr12
                                        ; implicit-def: $vgpr38_vgpr39
                                        ; implicit-def: $vgpr1
	s_cbranch_execz .LBB1463_62
.LBB1463_57:
	s_clause 0x9
	flat_load_b32 v1, v0, s[12:13] scale_offset
	flat_load_b32 v2, v0, s[12:13] offset:512 scale_offset
	flat_load_b32 v3, v0, s[12:13] offset:1024 scale_offset
	flat_load_b32 v4, v0, s[12:13] offset:1536 scale_offset
	flat_load_b32 v5, v0, s[12:13] offset:2048 scale_offset
	flat_load_b32 v6, v0, s[12:13] offset:2560 scale_offset
	flat_load_b32 v7, v0, s[12:13] offset:3072 scale_offset
	flat_load_b32 v8, v0, s[12:13] offset:3584 scale_offset
	flat_load_b32 v9, v0, s[12:13] offset:4096 scale_offset
	flat_load_b32 v10, v0, s[12:13] offset:4608 scale_offset
	v_dual_mov_b32 v12, 0 :: v_dual_lshlrev_b32 v11, 2, v0
	s_mov_b32 s0, exec_lo
	s_wait_loadcnt_dscnt 0x808
	ds_store_2addr_stride64_b32 v11, v1, v2 offset1:2
	s_wait_loadcnt_dscnt 0x607
	ds_store_2addr_stride64_b32 v11, v3, v4 offset0:4 offset1:6
	s_wait_loadcnt_dscnt 0x406
	ds_store_2addr_stride64_b32 v11, v5, v6 offset0:8 offset1:10
	;; [unrolled: 2-line block ×4, first 2 shown]
	s_wait_dscnt 0x0
	s_barrier_signal -1
	s_barrier_wait -1
	flat_load_b32 v1, v12, s[12:13] offset:5120
	v_mad_u32_u24 v10, v0, 36, v11
	ds_load_2addr_b64 v[6:9], v10 offset1:1
	ds_load_2addr_b64 v[2:5], v10 offset0:2 offset1:3
	ds_load_b64 v[28:29], v10 offset:32
	v_mad_i32_i24 v10, 0xffffffdc, v0, v10
	s_wait_dscnt 0x2
	ds_store_b32 v10, v6 offset:5632
	s_wait_loadcnt_dscnt 0x0
	s_barrier_signal -1
	s_barrier_wait -1
	v_cmpx_ne_u32_e32 0x7f, v0
; %bb.58:
	ds_load_b32 v1, v10 offset:5636
; %bb.59:
	s_or_b32 exec_lo, exec_lo, s0
	s_wait_dscnt 0x0
	s_barrier_signal -1
	s_barrier_wait -1
	s_clause 0x9
	flat_load_b64 v[12:13], v0, s[10:11] scale_offset
	flat_load_b64 v[14:15], v0, s[10:11] offset:1024 scale_offset
	flat_load_b64 v[16:17], v0, s[10:11] offset:2048 scale_offset
	;; [unrolled: 1-line block ×9, first 2 shown]
	v_lshl_add_u32 v32, v0, 2, v10
	s_mov_b32 s1, exec_lo
	v_cmp_ne_u32_e32 vcc_lo, v6, v7
	s_wait_loadcnt_dscnt 0x808
	ds_store_2addr_stride64_b64 v32, v[12:13], v[14:15] offset1:2
	s_wait_loadcnt_dscnt 0x607
	ds_store_2addr_stride64_b64 v32, v[16:17], v[18:19] offset0:4 offset1:6
	s_wait_loadcnt_dscnt 0x406
	ds_store_2addr_stride64_b64 v32, v[20:21], v[22:23] offset0:8 offset1:10
	;; [unrolled: 2-line block ×4, first 2 shown]
	v_mad_u32_u24 v33, 0x48, v0, v32
	s_wait_dscnt 0x0
	s_barrier_signal -1
	s_barrier_wait -1
	ds_load_2addr_b64 v[22:25], v33 offset0:1 offset1:2
	ds_load_2addr_b64 v[18:21], v33 offset0:3 offset1:4
	ds_load_2addr_b64 v[14:17], v33 offset0:5 offset1:6
	ds_load_2addr_b64 v[10:13], v33 offset0:7 offset1:8
	ds_load_b64 v[30:31], v33 offset:72
	v_mov_b64_e32 v[26:27], s[40:41]
	v_cmpx_eq_u32_e64 v6, v7
; %bb.60:
	v_mul_u32_u24_e32 v6, 0x48, v0
	s_delay_alu instid0(VALU_DEP_1)
	v_add_nc_u32_e32 v6, v32, v6
	ds_load_b64 v[26:27], v6
; %bb.61:
	s_or_b32 exec_lo, exec_lo, s1
	v_cndmask_b32_e64 v66, 0, 1, vcc_lo
	v_cmp_ne_u32_e32 vcc_lo, v7, v8
	v_cmp_ne_u32_e64 s0, v8, v9
	v_cmp_ne_u32_e64 s1, v9, v2
	;; [unrolled: 1-line block ×8, first 2 shown]
	s_wait_dscnt 0x4
	v_cndmask_b32_e64 v43, v23, s41, vcc_lo
	v_cndmask_b32_e64 v42, v22, s40, vcc_lo
	v_cndmask_b32_e64 v41, v25, s41, s0
	v_cndmask_b32_e64 v40, v24, s40, s0
	s_wait_dscnt 0x3
	v_cndmask_b32_e64 v45, v19, s41, s1
	v_cndmask_b32_e64 v44, v18, s40, s1
	v_cndmask_b32_e64 v19, v21, s41, s2
	v_cndmask_b32_e64 v18, v20, s40, s2
	s_wait_dscnt 0x2
	v_cndmask_b32_e64 v47, v15, s41, s3
	v_cndmask_b32_e64 v46, v14, s40, s3
	;; [unrolled: 5-line block ×3, first 2 shown]
	v_cndmask_b32_e64 v14, v12, s40, s6
	v_cndmask_b32_e64 v48, v10, s40, s5
	v_cndmask_b32_e64 v60, 0, 1, vcc_lo
	v_cndmask_b32_e64 v58, 0, 1, s0
	v_cndmask_b32_e64 v57, 0, 1, s1
	;; [unrolled: 1-line block ×7, first 2 shown]
	s_wait_dscnt 0x0
	v_cndmask_b32_e64 v33, v31, s41, s14
	v_cndmask_b32_e64 v32, v30, s40, s14
	v_mov_b64_e32 v[20:21], v[14:15]
	v_mov_b64_e32 v[22:23], v[48:49]
	;; [unrolled: 1-line block ×8, first 2 shown]
	v_dual_mov_b32 v62, v52 :: v_dual_mov_b32 v61, v53
	v_dual_mov_b32 v63, v54 :: v_dual_mov_b32 v64, v55
	;; [unrolled: 1-line block ×4, first 2 shown]
	v_mov_b32_e32 v1, v66
	s_mov_b32 s3, -1
.LBB1463_62:
	v_mov_b32_e32 v50, 0
	s_and_saveexec_b32 s0, s3
	s_cbranch_execz .LBB1463_64
; %bb.63:
	v_mov_b64_e32 v[38:39], v[42:43]
	v_mov_b64_e32 v[36:37], v[40:41]
	;; [unrolled: 1-line block ×8, first 2 shown]
	v_cndmask_b32_e64 v50, 0, 1, s14
	v_dual_mov_b32 v1, v66 :: v_dual_mov_b32 v12, v60
	v_dual_mov_b32 v65, v58 :: v_dual_mov_b32 v11, v57
	;; [unrolled: 1-line block ×4, first 2 shown]
	v_mov_b32_e32 v62, v52
.LBB1463_64:
	s_or_b32 exec_lo, exec_lo, s0
	v_and_b32_e32 v47, 1, v11
	s_delay_alu instid0(VALU_DEP_3)
	v_and_b32_e32 v46, 1, v63
	v_and_b32_e32 v45, 1, v1
	v_and_b32_e32 v60, 0xff, v12
	v_and_b32_e32 v59, 0xff, v65
	v_bitop3_b16 v49, v65, 0xff, v12 bitop3:0xc8
	v_and_b32_e32 v58, 0xff, v11
	v_cmp_eq_u32_e64 s8, 1, v47
	v_and_b32_e32 v57, 0xff, v10
	v_and_b32_e32 v56, 0xff, v64
	v_bitop3_b16 v51, v64, 0xff, v10 bitop3:0xc8
	v_and_b32_e32 v55, 0xff, v63
	v_cmp_eq_u32_e64 s10, 1, v46
	v_and_b32_e32 v54, 0xff, v61
	v_and_b32_e32 v53, 0xff, v62
	v_bitop3_b16 v52, v62, 0xff, v61 bitop3:0xc8
	v_cmp_eq_u16_e64 s9, 0, v50
	v_and_b32_e32 v48, 1, v50
	v_mbcnt_lo_u32_b32 v44, -1, 0
	s_cmp_lg_u32 s38, 0
	v_cmp_eq_u32_e32 vcc_lo, 1, v45
	s_barrier_signal -1
	s_barrier_wait -1
	s_cbranch_scc0 .LBB1463_128
; %bb.65:
	v_cmp_eq_u16_e64 s0, 0, v60
	v_cmp_eq_u16_e64 s1, 0, v59
	;; [unrolled: 1-line block ×5, first 2 shown]
	v_dual_cndmask_b32 v3, 0, v27, s0 :: v_dual_cndmask_b32 v2, 0, v26, s0
	v_cmp_eq_u16_e64 s5, 0, v55
	v_cmp_eq_u16_e64 s6, 0, v54
	;; [unrolled: 1-line block ×3, first 2 shown]
	v_cmp_ne_u16_e64 s12, 0, v51
	v_add_nc_u64_e32 v[2:3], v[2:3], v[38:39]
	v_cmp_ne_u16_e64 s13, 0, v52
	v_cmp_eq_u32_e64 s14, 1, v48
	v_cmp_ne_u16_e64 s11, 0, v49
	s_or_b32 s10, s12, s10
	v_dual_cndmask_b32 v3, 0, v3, s1 :: v_dual_bitop2_b32 v4, 15, v44 bitop3:0x40
	v_cndmask_b32_e64 v2, 0, v2, s1
	s_or_b32 s12, s13, s14
	s_or_b32 s8, s11, s8
	;; [unrolled: 1-line block ×3, first 2 shown]
	s_delay_alu instid0(VALU_DEP_1) | instskip(SKIP_1) | instid1(SALU_CYCLE_1)
	v_add_nc_u64_e32 v[2:3], v[2:3], v[36:37]
	s_or_b32 s8, s10, s8
	s_or_b32 s8, s8, vcc_lo
	s_delay_alu instid0(SALU_CYCLE_1) | instskip(SKIP_1) | instid1(VALU_DEP_3)
	v_cndmask_b32_e64 v5, 0, 1, s8
	v_cndmask_b32_e64 v6, 0, 1, s8
	v_dual_cndmask_b32 v3, 0, v3, s2 :: v_dual_cndmask_b32 v2, 0, v2, s2
	s_delay_alu instid0(VALU_DEP_3) | instskip(NEXT) | instid1(VALU_DEP_2)
	v_mov_b32_dpp v7, v5 row_shr:1 row_mask:0xf bank_mask:0xf
	v_add_nc_u64_e32 v[2:3], v[2:3], v[34:35]
	s_delay_alu instid0(VALU_DEP_1) | instskip(NEXT) | instid1(VALU_DEP_1)
	v_dual_cndmask_b32 v3, 0, v3, s3 :: v_dual_cndmask_b32 v2, 0, v2, s3
	v_add_nc_u64_e32 v[2:3], v[2:3], v[30:31]
	s_delay_alu instid0(VALU_DEP_1) | instskip(NEXT) | instid1(VALU_DEP_1)
	v_dual_cndmask_b32 v3, 0, v3, s4 :: v_dual_cndmask_b32 v2, 0, v2, s4
	;; [unrolled: 3-line block ×5, first 2 shown]
	v_add_nc_u64_e32 v[2:3], v[2:3], v[20:21]
	s_delay_alu instid0(VALU_DEP_1) | instskip(SKIP_1) | instid1(VALU_DEP_1)
	v_dual_cndmask_b32 v3, 0, v3, s9 :: v_dual_cndmask_b32 v2, 0, v2, s9
	s_mov_b32 s9, exec_lo
	v_add_nc_u64_e32 v[2:3], v[2:3], v[32:33]
	s_delay_alu instid0(VALU_DEP_1) | instskip(NEXT) | instid1(VALU_DEP_2)
	v_mov_b32_dpp v8, v2 row_shr:1 row_mask:0xf bank_mask:0xf
	v_mov_b32_dpp v9, v3 row_shr:1 row_mask:0xf bank_mask:0xf
	v_cmpx_ne_u32_e32 0, v4
; %bb.66:
	s_delay_alu instid0(VALU_DEP_2) | instskip(NEXT) | instid1(VALU_DEP_4)
	v_cndmask_b32_e64 v9, v9, 0, s8
	v_cndmask_b32_e64 v8, v8, 0, s8
	v_bitop3_b16 v6, v7, v6, 1 bitop3:0xec
	s_delay_alu instid0(VALU_DEP_2) | instskip(NEXT) | instid1(VALU_DEP_2)
	v_add_nc_u64_e32 v[2:3], v[8:9], v[2:3]
	v_and_b32_e32 v5, 0xffff, v6
; %bb.67:
	s_or_b32 exec_lo, exec_lo, s9
	s_delay_alu instid0(VALU_DEP_2) | instskip(NEXT) | instid1(VALU_DEP_3)
	v_mov_b32_dpp v7, v2 row_shr:2 row_mask:0xf bank_mask:0xf
	v_mov_b32_dpp v8, v3 row_shr:2 row_mask:0xf bank_mask:0xf
	s_delay_alu instid0(VALU_DEP_3)
	v_mov_b32_dpp v9, v5 row_shr:2 row_mask:0xf bank_mask:0xf
	s_mov_b32 s9, exec_lo
	v_cmpx_lt_u32_e32 1, v4
	s_cbranch_execz .LBB1463_69
; %bb.68:
	v_cmp_eq_u16_e32 vcc_lo, 0, v6
	v_and_b32_e32 v5, 1, v6
	v_dual_cndmask_b32 v9, 0, v8, vcc_lo :: v_dual_bitop2_b32 v6, 1, v9 bitop3:0x40
	v_cndmask_b32_e32 v8, 0, v7, vcc_lo
	s_delay_alu instid0(VALU_DEP_3) | instskip(NEXT) | instid1(VALU_DEP_3)
	v_cmp_eq_u32_e32 vcc_lo, 1, v5
	v_cmp_eq_u32_e64 s8, 1, v6
	s_delay_alu instid0(VALU_DEP_3) | instskip(SKIP_1) | instid1(SALU_CYCLE_1)
	v_add_nc_u64_e32 v[2:3], v[8:9], v[2:3]
	s_or_b32 s8, vcc_lo, s8
	v_cndmask_b32_e64 v6, 0, 1, s8
	v_cndmask_b32_e64 v5, 0, 1, s8
.LBB1463_69:
	s_or_b32 exec_lo, exec_lo, s9
	s_delay_alu instid0(VALU_DEP_3) | instskip(NEXT) | instid1(VALU_DEP_4)
	v_mov_b32_dpp v7, v2 row_shr:4 row_mask:0xf bank_mask:0xf
	v_mov_b32_dpp v8, v3 row_shr:4 row_mask:0xf bank_mask:0xf
	s_delay_alu instid0(VALU_DEP_3)
	v_mov_b32_dpp v9, v5 row_shr:4 row_mask:0xf bank_mask:0xf
	s_mov_b32 s9, exec_lo
	v_cmpx_lt_u32_e32 3, v4
	s_cbranch_execz .LBB1463_71
; %bb.70:
	v_cmp_eq_u16_e32 vcc_lo, 0, v6
	v_and_b32_e32 v5, 1, v6
	v_dual_cndmask_b32 v9, 0, v8, vcc_lo :: v_dual_bitop2_b32 v6, 1, v9 bitop3:0x40
	v_cndmask_b32_e32 v8, 0, v7, vcc_lo
	s_delay_alu instid0(VALU_DEP_3) | instskip(NEXT) | instid1(VALU_DEP_3)
	v_cmp_eq_u32_e32 vcc_lo, 1, v5
	v_cmp_eq_u32_e64 s8, 1, v6
	s_delay_alu instid0(VALU_DEP_3) | instskip(SKIP_1) | instid1(SALU_CYCLE_1)
	v_add_nc_u64_e32 v[2:3], v[8:9], v[2:3]
	s_or_b32 s8, vcc_lo, s8
	v_cndmask_b32_e64 v6, 0, 1, s8
	v_cndmask_b32_e64 v5, 0, 1, s8
.LBB1463_71:
	s_or_b32 exec_lo, exec_lo, s9
	s_delay_alu instid0(VALU_DEP_3) | instskip(NEXT) | instid1(VALU_DEP_4)
	v_mov_b32_dpp v7, v2 row_shr:8 row_mask:0xf bank_mask:0xf
	v_mov_b32_dpp v8, v3 row_shr:8 row_mask:0xf bank_mask:0xf
	s_delay_alu instid0(VALU_DEP_3)
	v_mov_b32_dpp v9, v5 row_shr:8 row_mask:0xf bank_mask:0xf
	s_mov_b32 s9, exec_lo
	v_cmpx_lt_u32_e32 7, v4
	s_cbranch_execz .LBB1463_73
; %bb.72:
	v_cmp_eq_u16_e32 vcc_lo, 0, v6
	v_and_b32_e32 v6, 1, v6
	v_dual_cndmask_b32 v4, 0, v7, vcc_lo :: v_dual_bitop2_b32 v9, 1, v9 bitop3:0x40
	v_cndmask_b32_e32 v5, 0, v8, vcc_lo
	s_delay_alu instid0(VALU_DEP_3) | instskip(NEXT) | instid1(VALU_DEP_3)
	v_cmp_eq_u32_e32 vcc_lo, 1, v6
	v_cmp_eq_u32_e64 s8, 1, v9
	s_delay_alu instid0(VALU_DEP_3) | instskip(SKIP_1) | instid1(SALU_CYCLE_1)
	v_add_nc_u64_e32 v[2:3], v[4:5], v[2:3]
	s_or_b32 s8, vcc_lo, s8
	v_cndmask_b32_e64 v6, 0, 1, s8
	v_cndmask_b32_e64 v5, 0, 1, s8
.LBB1463_73:
	s_or_b32 exec_lo, exec_lo, s9
	ds_swizzle_b32 v4, v2 offset:swizzle(BROADCAST,32,15)
	ds_swizzle_b32 v7, v3 offset:swizzle(BROADCAST,32,15)
	ds_swizzle_b32 v5, v5 offset:swizzle(BROADCAST,32,15)
	v_and_b32_e32 v8, 16, v44
	s_mov_b32 s9, exec_lo
	s_delay_alu instid0(VALU_DEP_1)
	v_cmpx_ne_u32_e32 0, v8
	s_cbranch_execz .LBB1463_75
; %bb.74:
	v_cmp_eq_u16_e32 vcc_lo, 0, v6
	v_and_b32_e32 v6, 1, v6
	s_wait_dscnt 0x0
	v_dual_cndmask_b32 v4, 0, v4, vcc_lo :: v_dual_bitop2_b32 v8, 1, v5 bitop3:0x40
	v_cndmask_b32_e32 v5, 0, v7, vcc_lo
	s_delay_alu instid0(VALU_DEP_3) | instskip(NEXT) | instid1(VALU_DEP_3)
	v_cmp_eq_u32_e32 vcc_lo, 1, v6
	v_cmp_eq_u32_e64 s8, 1, v8
	s_delay_alu instid0(VALU_DEP_3) | instskip(SKIP_1) | instid1(SALU_CYCLE_1)
	v_add_nc_u64_e32 v[2:3], v[4:5], v[2:3]
	s_or_b32 s8, vcc_lo, s8
	v_cndmask_b32_e64 v6, 0, 1, s8
.LBB1463_75:
	s_or_b32 exec_lo, exec_lo, s9
	s_wait_dscnt 0x0
	v_dual_lshrrev_b32 v5, 5, v0 :: v_dual_bitop2_b32 v4, 31, v0 bitop3:0x54
	s_mov_b32 s8, exec_lo
	s_delay_alu instid0(VALU_DEP_1) | instskip(NEXT) | instid1(VALU_DEP_2)
	v_lshlrev_b32_e32 v7, 4, v5
	v_cmpx_eq_u32_e64 v0, v4
	s_cbranch_execz .LBB1463_77
; %bb.76:
	ds_store_b64 v7, v[2:3]
	ds_store_b8 v7, v6 offset:8
.LBB1463_77:
	s_or_b32 exec_lo, exec_lo, s8
	s_delay_alu instid0(SALU_CYCLE_1)
	s_mov_b32 s9, exec_lo
	s_wait_dscnt 0x0
	s_barrier_signal -1
	s_barrier_wait -1
	v_cmpx_gt_u32_e32 4, v0
	s_cbranch_execz .LBB1463_83
; %bb.78:
	v_lshlrev_b32_e32 v8, 4, v0
	s_mov_b32 s8, exec_lo
	ds_load_b64 v[4:5], v8
	ds_load_b32 v9, v8 offset:8
	v_and_b32_e32 v10, 3, v44
	s_wait_dscnt 0x1
	v_mov_b32_dpp v14, v4 row_shr:1 row_mask:0xf bank_mask:0xf
	v_mov_b32_dpp v15, v5 row_shr:1 row_mask:0xf bank_mask:0xf
	s_wait_dscnt 0x0
	v_mov_b32_dpp v13, v9 row_shr:1 row_mask:0xf bank_mask:0xf
	v_dual_mov_b32 v12, v9 :: v_dual_mov_b32 v11, v9
	v_cmpx_ne_u32_e32 0, v10
	s_cbranch_execz .LBB1463_80
; %bb.79:
	v_and_b32_e32 v11, 0xff, v9
	v_or_b32_e32 v12, v13, v9
	s_delay_alu instid0(VALU_DEP_2) | instskip(SKIP_1) | instid1(VALU_DEP_3)
	v_cmp_eq_u16_e32 vcc_lo, 0, v11
	v_bitop3_b32 v11, v13, 1, v9 bitop3:0xc8
	v_dual_cndmask_b32 v15, 0, v15, vcc_lo :: v_dual_bitop2_b32 v12, 1, v12 bitop3:0x40
	v_cndmask_b32_e32 v14, 0, v14, vcc_lo
	s_delay_alu instid0(VALU_DEP_3) | instskip(NEXT) | instid1(VALU_DEP_2)
	v_and_or_b32 v9, 0xffffff00, v9, v11
	v_add_nc_u64_e32 v[4:5], v[14:15], v[4:5]
.LBB1463_80:
	s_or_b32 exec_lo, exec_lo, s8
	s_delay_alu instid0(VALU_DEP_1) | instskip(NEXT) | instid1(VALU_DEP_2)
	v_mov_b32_dpp v13, v4 row_shr:2 row_mask:0xf bank_mask:0xf
	v_mov_b32_dpp v14, v5 row_shr:2 row_mask:0xf bank_mask:0xf
	;; [unrolled: 1-line block ×3, first 2 shown]
	s_mov_b32 s10, exec_lo
	v_cmpx_lt_u32_e32 1, v10
	s_cbranch_execz .LBB1463_82
; %bb.81:
	v_and_b32_e32 v10, 0xff, v11
	v_and_b32_e32 v9, 1, v9
	s_delay_alu instid0(VALU_DEP_2) | instskip(SKIP_1) | instid1(VALU_DEP_3)
	v_cmp_eq_u16_e32 vcc_lo, 0, v10
	v_and_b32_e32 v12, 1, v11
	v_cmp_eq_u32_e64 s8, 1, v9
	v_dual_cndmask_b32 v11, 0, v14 :: v_dual_cndmask_b32 v10, 0, v13
	s_delay_alu instid0(VALU_DEP_3) | instskip(NEXT) | instid1(VALU_DEP_2)
	v_cmp_eq_u32_e32 vcc_lo, 1, v12
	v_add_nc_u64_e32 v[4:5], v[10:11], v[4:5]
	s_or_b32 s8, vcc_lo, s8
	s_delay_alu instid0(SALU_CYCLE_1)
	v_cndmask_b32_e64 v12, 0, 1, s8
.LBB1463_82:
	s_or_b32 exec_lo, exec_lo, s10
	ds_store_b64 v8, v[4:5]
	ds_store_b8 v8, v12 offset:8
.LBB1463_83:
	s_or_b32 exec_lo, exec_lo, s9
	v_mov_b64_e32 v[4:5], 0
	v_mov_b32_e32 v12, 0
	s_mov_b32 s9, exec_lo
	v_cmp_gt_u32_e32 vcc_lo, 32, v0
	s_wait_dscnt 0x0
	s_barrier_signal -1
	s_barrier_wait -1
	v_cmpx_lt_u32_e32 31, v0
	s_cbranch_execz .LBB1463_85
; %bb.84:
	v_dual_add_nc_u32 v4, -16, v7 :: v_dual_add_nc_u32 v7, -8, v7
	v_cmp_eq_u16_e64 s8, 0, v6
	ds_load_b64 v[4:5], v4
	ds_load_u8 v12, v7
	s_wait_dscnt 0x1
	v_dual_cndmask_b32 v9, 0, v5, s8 :: v_dual_cndmask_b32 v8, 0, v4, s8
	s_wait_dscnt 0x0
	v_or_b32_e32 v6, v12, v6
	s_delay_alu instid0(VALU_DEP_2)
	v_add_nc_u64_e32 v[2:3], v[2:3], v[8:9]
.LBB1463_85:
	s_or_b32 exec_lo, exec_lo, s9
	v_sub_co_u32 v7, s8, v44, 1
	s_delay_alu instid0(VALU_DEP_3) | instskip(NEXT) | instid1(VALU_DEP_2)
	v_and_b32_e32 v6, 0xff, v6
	v_cmp_gt_i32_e64 s9, 0, v7
	s_delay_alu instid0(VALU_DEP_1) | instskip(NEXT) | instid1(VALU_DEP_1)
	v_cndmask_b32_e64 v7, v7, v44, s9
	v_lshlrev_b32_e32 v7, 2, v7
	ds_bpermute_b32 v13, v7, v2
	ds_bpermute_b32 v14, v7, v3
	ds_bpermute_b32 v15, v7, v6
	s_and_saveexec_b32 s10, vcc_lo
	s_cbranch_execz .LBB1463_133
; %bb.86:
	v_mov_b32_e32 v9, 0
	ds_load_b64 v[2:3], v9 offset:48
	ds_load_u8 v16, v9 offset:56
	s_and_saveexec_b32 s9, s8
	s_cbranch_execz .LBB1463_88
; %bb.87:
	s_add_co_i32 s12, s38, 32
	s_mov_b32 s13, 0
	v_dual_mov_b32 v6, 1 :: v_dual_mov_b32 v7, s12
	s_lshl_b64 s[28:29], s[12:13], 4
	s_delay_alu instid0(SALU_CYCLE_1)
	s_add_nc_u64 s[12:13], s[20:21], s[28:29]
	s_wait_dscnt 0x1
	global_store_b64 v9, v[2:3], s[12:13]
	s_wait_dscnt 0x0
	global_store_b8 v9, v16, s[12:13] offset:8
	global_wb scope:SCOPE_DEV
	s_wait_storecnt 0x0
	global_inv scope:SCOPE_DEV
	s_wait_xcnt 0x0
	global_store_b8 v7, v6, s[24:25] scope:SCOPE_DEV
.LBB1463_88:
	s_wait_xcnt 0x0
	s_or_b32 exec_lo, exec_lo, s9
	v_xad_u32 v6, v44, -1, s38
	s_mov_b32 s11, 0
	s_mov_b32 s9, exec_lo
	s_delay_alu instid0(VALU_DEP_1)
	v_add_nc_u32_e32 v8, 32, v6
	global_load_u8 v17, v8, s[24:25] scope:SCOPE_DEV
	s_wait_loadcnt 0x0
	v_cmpx_eq_u16_e32 0, v17
	s_cbranch_execz .LBB1463_92
; %bb.89:
	v_add_nc_u64_e32 v[10:11], s[24:25], v[8:9]
.LBB1463_90:                            ; =>This Inner Loop Header: Depth=1
	global_load_u8 v17, v[10:11], off scope:SCOPE_DEV
	s_wait_loadcnt 0x0
	v_cmp_ne_u16_e32 vcc_lo, 0, v17
	s_or_b32 s11, vcc_lo, s11
	s_wait_xcnt 0x0
	s_and_not1_b32 exec_lo, exec_lo, s11
	s_cbranch_execnz .LBB1463_90
; %bb.91:
	s_or_b32 exec_lo, exec_lo, s11
.LBB1463_92:
	s_delay_alu instid0(SALU_CYCLE_1)
	s_or_b32 exec_lo, exec_lo, s9
	v_dual_mov_b32 v7, s21 :: v_dual_mov_b32 v10, s20
	v_cmp_eq_u16_e32 vcc_lo, 1, v17
	global_wb scope:SCOPE_DEV
	s_wait_storecnt_dscnt 0x0
	global_inv scope:SCOPE_DEV
	v_lshlrev_b32_e64 v19, v44, -1
	s_mov_b32 s9, exec_lo
	v_cndmask_b32_e32 v11, s23, v7, vcc_lo
	v_cndmask_b32_e32 v10, s22, v10, vcc_lo
	v_cmp_ne_u32_e32 vcc_lo, 31, v44
	v_add_co_ci_u32_e64 v7, null, 0, v44, vcc_lo
	v_cmp_eq_u16_e32 vcc_lo, 2, v17
	s_delay_alu instid0(VALU_DEP_2)
	v_lshlrev_b32_e32 v18, 2, v7
	v_lshl_add_u64 v[8:9], v[8:9], 4, v[10:11]
	s_clause 0x1
	global_load_u8 v66, v[8:9], off offset:8
	global_load_b64 v[10:11], v[8:9], off
	v_and_or_b32 v7, vcc_lo, v19, 0x80000000
	s_delay_alu instid0(VALU_DEP_1)
	v_ctz_i32_b32_e32 v7, v7
	s_wait_loadcnt 0x1
	s_wait_xcnt 0x0
	v_and_b32_e32 v8, 1, v66
	s_wait_loadcnt 0x0
	ds_bpermute_b32 v40, v18, v10
	ds_bpermute_b32 v41, v18, v11
	;; [unrolled: 1-line block ×3, first 2 shown]
	v_cmpx_lt_u32_e64 v44, v7
	s_cbranch_execz .LBB1463_94
; %bb.93:
	v_and_b32_e32 v8, 0xff, v66
	s_wait_dscnt 0x0
	v_bitop3_b16 v66, v9, v66, 1 bitop3:0xec
	s_delay_alu instid0(VALU_DEP_2) | instskip(NEXT) | instid1(VALU_DEP_2)
	v_cmp_eq_u16_e32 vcc_lo, 0, v8
	v_and_b32_e32 v8, 0xff, v66
	v_dual_cndmask_b32 v41, 0, v41 :: v_dual_cndmask_b32 v40, 0, v40
	s_delay_alu instid0(VALU_DEP_1)
	v_add_nc_u64_e32 v[10:11], v[40:41], v[10:11]
.LBB1463_94:
	s_or_b32 exec_lo, exec_lo, s9
	v_cmp_gt_u32_e32 vcc_lo, 30, v44
	s_wait_dscnt 0x1
	v_add_nc_u32_e32 v41, 2, v44
	s_mov_b32 s11, exec_lo
	s_wait_dscnt 0x0
	v_cndmask_b32_e64 v9, 0, 2, vcc_lo
	s_delay_alu instid0(VALU_DEP_1)
	v_add_lshl_u32 v40, v9, v44, 2
	ds_bpermute_b32 v9, v40, v10
	ds_bpermute_b32 v42, v40, v11
	;; [unrolled: 1-line block ×3, first 2 shown]
	v_cmpx_le_u32_e64 v41, v7
	s_cbranch_execz .LBB1463_96
; %bb.95:
	v_and_b32_e32 v8, 0xff, v66
	s_delay_alu instid0(VALU_DEP_1) | instskip(SKIP_4) | instid1(VALU_DEP_3)
	v_cmp_eq_u16_e32 vcc_lo, 0, v8
	v_and_b32_e32 v61, 1, v66
	s_wait_dscnt 0x0
	v_dual_cndmask_b32 v43, 0, v42, vcc_lo :: v_dual_bitop2_b32 v8, 1, v43 bitop3:0x40
	v_cndmask_b32_e32 v42, 0, v9, vcc_lo
	v_cmp_eq_u32_e64 s9, 1, v61
	s_delay_alu instid0(VALU_DEP_3) | instskip(NEXT) | instid1(VALU_DEP_3)
	v_cmp_eq_u32_e32 vcc_lo, 1, v8
	v_add_nc_u64_e32 v[10:11], v[42:43], v[10:11]
	s_or_b32 s9, s9, vcc_lo
	s_delay_alu instid0(SALU_CYCLE_1)
	v_cndmask_b32_e64 v66, 0, 1, s9
	v_cndmask_b32_e64 v8, 0, 1, s9
.LBB1463_96:
	s_or_b32 exec_lo, exec_lo, s11
	v_cmp_gt_u32_e32 vcc_lo, 28, v44
	s_wait_dscnt 0x0
	v_add_nc_u32_e32 v43, 4, v44
	s_mov_b32 s11, exec_lo
	v_cndmask_b32_e64 v9, 0, 4, vcc_lo
	s_delay_alu instid0(VALU_DEP_1)
	v_add_lshl_u32 v42, v9, v44, 2
	ds_bpermute_b32 v9, v42, v10
	ds_bpermute_b32 v61, v42, v11
	;; [unrolled: 1-line block ×3, first 2 shown]
	v_cmpx_le_u32_e64 v43, v7
	s_cbranch_execz .LBB1463_98
; %bb.97:
	v_and_b32_e32 v8, 0xff, v66
	s_delay_alu instid0(VALU_DEP_1) | instskip(SKIP_4) | instid1(VALU_DEP_3)
	v_cmp_eq_u16_e32 vcc_lo, 0, v8
	v_and_b32_e32 v64, 1, v66
	s_wait_dscnt 0x0
	v_dual_cndmask_b32 v62, 0, v9, vcc_lo :: v_dual_bitop2_b32 v8, 1, v62 bitop3:0x40
	v_cndmask_b32_e32 v63, 0, v61, vcc_lo
	v_cmp_eq_u32_e64 s9, 1, v64
	s_delay_alu instid0(VALU_DEP_3) | instskip(NEXT) | instid1(VALU_DEP_3)
	v_cmp_eq_u32_e32 vcc_lo, 1, v8
	v_add_nc_u64_e32 v[10:11], v[62:63], v[10:11]
	s_or_b32 s9, s9, vcc_lo
	s_delay_alu instid0(SALU_CYCLE_1)
	v_cndmask_b32_e64 v66, 0, 1, s9
	v_cndmask_b32_e64 v8, 0, 1, s9
.LBB1463_98:
	s_or_b32 exec_lo, exec_lo, s11
	v_cmp_gt_u32_e32 vcc_lo, 24, v44
	s_wait_dscnt 0x0
	v_add_nc_u32_e32 v62, 8, v44
	s_mov_b32 s11, exec_lo
	v_cndmask_b32_e64 v9, 0, 8, vcc_lo
	s_delay_alu instid0(VALU_DEP_1)
	v_add_lshl_u32 v61, v9, v44, 2
	ds_bpermute_b32 v9, v61, v10
	ds_bpermute_b32 v63, v61, v11
	;; [unrolled: 1-line block ×3, first 2 shown]
	v_cmpx_le_u32_e64 v62, v7
	s_cbranch_execz .LBB1463_100
; %bb.99:
	v_and_b32_e32 v8, 0xff, v66
	s_delay_alu instid0(VALU_DEP_1) | instskip(SKIP_4) | instid1(VALU_DEP_3)
	v_cmp_eq_u16_e32 vcc_lo, 0, v8
	v_and_b32_e32 v66, 1, v66
	s_wait_dscnt 0x0
	v_dual_cndmask_b32 v64, 0, v9, vcc_lo :: v_dual_bitop2_b32 v8, 1, v64 bitop3:0x40
	v_cndmask_b32_e32 v65, 0, v63, vcc_lo
	v_cmp_eq_u32_e64 s9, 1, v66
	s_delay_alu instid0(VALU_DEP_3) | instskip(NEXT) | instid1(VALU_DEP_3)
	v_cmp_eq_u32_e32 vcc_lo, 1, v8
	v_add_nc_u64_e32 v[10:11], v[64:65], v[10:11]
	s_or_b32 s9, s9, vcc_lo
	s_delay_alu instid0(SALU_CYCLE_1)
	v_cndmask_b32_e64 v66, 0, 1, s9
	v_cndmask_b32_e64 v8, 0, 1, s9
.LBB1463_100:
	s_or_b32 exec_lo, exec_lo, s11
	s_wait_dscnt 0x1
	v_lshl_or_b32 v63, v44, 2, 64
	v_add_nc_u32_e32 v65, 16, v44
	s_mov_b32 s11, exec_lo
	ds_bpermute_b32 v9, v63, v10
	s_wait_dscnt 0x1
	ds_bpermute_b32 v64, v63, v11
	ds_bpermute_b32 v8, v63, v8
	v_cmpx_le_u32_e64 v65, v7
	s_cbranch_execz .LBB1463_102
; %bb.101:
	v_and_b32_e32 v7, 0xff, v66
	s_delay_alu instid0(VALU_DEP_1) | instskip(SKIP_4) | instid1(VALU_DEP_3)
	v_cmp_eq_u16_e32 vcc_lo, 0, v7
	v_and_b32_e32 v7, 1, v66
	s_wait_dscnt 0x0
	v_dual_cndmask_b32 v66, 0, v9, vcc_lo :: v_dual_bitop2_b32 v8, 1, v8 bitop3:0x40
	v_cndmask_b32_e32 v67, 0, v64, vcc_lo
	v_cmp_eq_u32_e32 vcc_lo, 1, v7
	s_delay_alu instid0(VALU_DEP_3) | instskip(NEXT) | instid1(VALU_DEP_3)
	v_cmp_eq_u32_e64 s9, 1, v8
	v_add_nc_u64_e32 v[10:11], v[66:67], v[10:11]
	s_or_b32 s9, vcc_lo, s9
	s_delay_alu instid0(SALU_CYCLE_1)
	v_cndmask_b32_e64 v66, 0, 1, s9
.LBB1463_102:
	s_or_b32 exec_lo, exec_lo, s11
	v_mov_b32_e32 v7, 0
	s_branch .LBB1463_105
.LBB1463_103:                           ;   in Loop: Header=BB1463_105 Depth=1
	s_or_b32 exec_lo, exec_lo, s12
	v_and_b32_e32 v66, 0xff, v64
	v_subrev_nc_u32_e32 v6, 32, v6
	s_delay_alu instid0(VALU_DEP_2) | instskip(SKIP_2) | instid1(VALU_DEP_2)
	v_cmp_eq_u16_e32 vcc_lo, 0, v66
	v_dual_cndmask_b32 v11, 0, v11, vcc_lo :: v_dual_bitop2_b32 v66, 1, v64 bitop3:0x40
	v_cndmask_b32_e32 v10, 0, v10, vcc_lo
	v_cmp_eq_u32_e32 vcc_lo, 1, v66
	s_delay_alu instid0(VALU_DEP_2) | instskip(SKIP_1) | instid1(SALU_CYCLE_1)
	v_add_nc_u64_e32 v[10:11], v[10:11], v[8:9]
	s_or_b32 s9, vcc_lo, s11
	v_cndmask_b32_e64 v66, 0, 1, s9
	s_mov_b32 s9, 0
.LBB1463_104:                           ;   in Loop: Header=BB1463_105 Depth=1
	s_delay_alu instid0(SALU_CYCLE_1)
	s_and_b32 vcc_lo, exec_lo, s9
	s_cbranch_vccnz .LBB1463_129
.LBB1463_105:                           ; =>This Loop Header: Depth=1
                                        ;     Child Loop BB1463_108 Depth 2
	s_wait_dscnt 0x0
	v_and_b32_e32 v8, 0xff, v17
	v_mov_b32_e32 v64, v66
	s_mov_b32 s9, -1
                                        ; implicit-def: $vgpr66
                                        ; implicit-def: $vgpr17
	s_delay_alu instid0(VALU_DEP_2)
	v_cmp_ne_u16_e32 vcc_lo, 2, v8
	v_mov_b64_e32 v[8:9], v[10:11]
                                        ; implicit-def: $vgpr10_vgpr11
	s_cmp_lg_u32 vcc_lo, exec_lo
	s_cbranch_scc1 .LBB1463_104
; %bb.106:                              ;   in Loop: Header=BB1463_105 Depth=1
	global_load_u8 v17, v6, s[24:25] scope:SCOPE_DEV
	s_mov_b32 s9, exec_lo
	s_wait_loadcnt 0x0
	v_cmpx_eq_u16_e32 0, v17
	s_cbranch_execz .LBB1463_110
; %bb.107:                              ;   in Loop: Header=BB1463_105 Depth=1
	v_add_nc_u64_e32 v[10:11], s[24:25], v[6:7]
	s_mov_b32 s11, 0
.LBB1463_108:                           ;   Parent Loop BB1463_105 Depth=1
                                        ; =>  This Inner Loop Header: Depth=2
	global_load_u8 v17, v[10:11], off scope:SCOPE_DEV
	s_wait_loadcnt 0x0
	v_cmp_ne_u16_e32 vcc_lo, 0, v17
	s_or_b32 s11, vcc_lo, s11
	s_delay_alu instid0(SALU_CYCLE_1)
	s_and_not1_b32 exec_lo, exec_lo, s11
	s_cbranch_execnz .LBB1463_108
; %bb.109:                              ;   in Loop: Header=BB1463_105 Depth=1
	s_or_b32 exec_lo, exec_lo, s11
.LBB1463_110:                           ;   in Loop: Header=BB1463_105 Depth=1
	s_delay_alu instid0(SALU_CYCLE_1)
	s_or_b32 exec_lo, exec_lo, s9
	v_dual_mov_b32 v10, s21 :: v_dual_mov_b32 v66, s20
	v_cmp_eq_u16_e32 vcc_lo, 1, v17
	global_wb scope:SCOPE_DEV
	s_wait_storecnt 0x0
	global_inv scope:SCOPE_DEV
	s_mov_b32 s9, exec_lo
	v_cndmask_b32_e32 v11, s23, v10, vcc_lo
	v_cndmask_b32_e32 v10, s22, v66, vcc_lo
	v_cmp_eq_u16_e32 vcc_lo, 2, v17
	s_delay_alu instid0(VALU_DEP_2)
	v_lshl_add_u64 v[68:69], v[6:7], 4, v[10:11]
	v_and_or_b32 v66, vcc_lo, v19, 0x80000000
	s_clause 0x1
	global_load_u8 v67, v[68:69], off offset:8
	global_load_b64 v[10:11], v[68:69], off
	v_ctz_i32_b32_e32 v66, v66
	s_wait_loadcnt 0x1
	s_wait_xcnt 0x0
	v_and_b32_e32 v68, 1, v67
	s_wait_loadcnt 0x0
	ds_bpermute_b32 v70, v18, v10
	ds_bpermute_b32 v71, v18, v11
	;; [unrolled: 1-line block ×3, first 2 shown]
	v_cmpx_lt_u32_e64 v44, v66
	s_cbranch_execz .LBB1463_112
; %bb.111:                              ;   in Loop: Header=BB1463_105 Depth=1
	v_and_b32_e32 v68, 0xff, v67
	s_wait_dscnt 0x0
	v_bitop3_b16 v67, v69, v67, 1 bitop3:0xec
	s_delay_alu instid0(VALU_DEP_2) | instskip(NEXT) | instid1(VALU_DEP_2)
	v_cmp_eq_u16_e32 vcc_lo, 0, v68
	v_and_b32_e32 v68, 0xff, v67
	v_dual_cndmask_b32 v71, 0, v71 :: v_dual_cndmask_b32 v70, 0, v70
	s_delay_alu instid0(VALU_DEP_1)
	v_add_nc_u64_e32 v[10:11], v[70:71], v[10:11]
.LBB1463_112:                           ;   in Loop: Header=BB1463_105 Depth=1
	s_or_b32 exec_lo, exec_lo, s9
	s_wait_dscnt 0x0
	ds_bpermute_b32 v69, v40, v10
	ds_bpermute_b32 v70, v40, v11
	;; [unrolled: 1-line block ×3, first 2 shown]
	v_and_b32_e32 v72, 1, v67
	s_mov_b32 s9, exec_lo
	s_delay_alu instid0(VALU_DEP_1)
	v_cmp_eq_u32_e64 s11, 1, v72
	v_cmpx_le_u32_e64 v41, v66
	s_cbranch_execz .LBB1463_114
; %bb.113:                              ;   in Loop: Header=BB1463_105 Depth=1
	v_and_b32_e32 v67, 0xff, v67
	s_delay_alu instid0(VALU_DEP_1) | instskip(SKIP_3) | instid1(VALU_DEP_2)
	v_cmp_eq_u16_e32 vcc_lo, 0, v67
	s_wait_dscnt 0x0
	v_dual_cndmask_b32 v71, 0, v70, vcc_lo :: v_dual_bitop2_b32 v67, 1, v71 bitop3:0x40
	v_cndmask_b32_e32 v70, 0, v69, vcc_lo
	v_cmp_eq_u32_e32 vcc_lo, 1, v67
	s_delay_alu instid0(VALU_DEP_2)
	v_add_nc_u64_e32 v[10:11], v[70:71], v[10:11]
	s_or_b32 s12, s11, vcc_lo
	s_and_not1_b32 s11, s11, exec_lo
	v_cndmask_b32_e64 v67, 0, 1, s12
	v_cndmask_b32_e64 v68, 0, 1, s12
	s_and_b32 s12, s12, exec_lo
	s_delay_alu instid0(SALU_CYCLE_1)
	s_or_b32 s11, s11, s12
.LBB1463_114:                           ;   in Loop: Header=BB1463_105 Depth=1
	s_or_b32 exec_lo, exec_lo, s9
	s_wait_dscnt 0x2
	ds_bpermute_b32 v69, v42, v10
	s_wait_dscnt 0x2
	ds_bpermute_b32 v70, v42, v11
	;; [unrolled: 2-line block ×3, first 2 shown]
	s_mov_b32 s12, exec_lo
	v_cmpx_le_u32_e64 v43, v66
	s_cbranch_execz .LBB1463_116
; %bb.115:                              ;   in Loop: Header=BB1463_105 Depth=1
	v_and_b32_e32 v68, 0xff, v67
	s_and_not1_b32 s11, s11, exec_lo
	s_delay_alu instid0(VALU_DEP_1) | instskip(SKIP_3) | instid1(VALU_DEP_2)
	v_cmp_eq_u16_e32 vcc_lo, 0, v68
	v_and_b32_e32 v67, 1, v67
	s_wait_dscnt 0x0
	v_dual_cndmask_b32 v71, 0, v70, vcc_lo :: v_dual_bitop2_b32 v68, 1, v71 bitop3:0x40
	v_cmp_eq_u32_e64 s9, 1, v67
	v_cndmask_b32_e32 v70, 0, v69, vcc_lo
	s_delay_alu instid0(VALU_DEP_3) | instskip(NEXT) | instid1(VALU_DEP_2)
	v_cmp_eq_u32_e32 vcc_lo, 1, v68
	v_add_nc_u64_e32 v[10:11], v[70:71], v[10:11]
	s_or_b32 s9, s9, vcc_lo
	s_delay_alu instid0(SALU_CYCLE_1) | instskip(SKIP_2) | instid1(SALU_CYCLE_1)
	v_cndmask_b32_e64 v67, 0, 1, s9
	v_cndmask_b32_e64 v68, 0, 1, s9
	s_and_b32 s9, s9, exec_lo
	s_or_b32 s11, s11, s9
.LBB1463_116:                           ;   in Loop: Header=BB1463_105 Depth=1
	s_or_b32 exec_lo, exec_lo, s12
	s_wait_dscnt 0x2
	ds_bpermute_b32 v69, v61, v10
	s_wait_dscnt 0x2
	ds_bpermute_b32 v70, v61, v11
	;; [unrolled: 2-line block ×3, first 2 shown]
	s_mov_b32 s12, exec_lo
	v_cmpx_le_u32_e64 v62, v66
	s_cbranch_execz .LBB1463_118
; %bb.117:                              ;   in Loop: Header=BB1463_105 Depth=1
	v_and_b32_e32 v68, 0xff, v67
	s_and_not1_b32 s11, s11, exec_lo
	s_delay_alu instid0(VALU_DEP_1) | instskip(SKIP_3) | instid1(VALU_DEP_2)
	v_cmp_eq_u16_e32 vcc_lo, 0, v68
	v_and_b32_e32 v67, 1, v67
	s_wait_dscnt 0x0
	v_dual_cndmask_b32 v71, 0, v70, vcc_lo :: v_dual_bitop2_b32 v68, 1, v71 bitop3:0x40
	v_cmp_eq_u32_e64 s9, 1, v67
	v_cndmask_b32_e32 v70, 0, v69, vcc_lo
	s_delay_alu instid0(VALU_DEP_3) | instskip(NEXT) | instid1(VALU_DEP_2)
	v_cmp_eq_u32_e32 vcc_lo, 1, v68
	v_add_nc_u64_e32 v[10:11], v[70:71], v[10:11]
	s_or_b32 s9, s9, vcc_lo
	s_delay_alu instid0(SALU_CYCLE_1) | instskip(SKIP_2) | instid1(SALU_CYCLE_1)
	v_cndmask_b32_e64 v67, 0, 1, s9
	v_cndmask_b32_e64 v68, 0, 1, s9
	s_and_b32 s9, s9, exec_lo
	s_or_b32 s11, s11, s9
.LBB1463_118:                           ;   in Loop: Header=BB1463_105 Depth=1
	s_or_b32 exec_lo, exec_lo, s12
	s_wait_dscnt 0x2
	ds_bpermute_b32 v69, v63, v10
	s_wait_dscnt 0x2
	ds_bpermute_b32 v70, v63, v11
	ds_bpermute_b32 v68, v63, v68
	s_mov_b32 s12, exec_lo
	v_cmpx_le_u32_e64 v65, v66
	s_cbranch_execz .LBB1463_103
; %bb.119:                              ;   in Loop: Header=BB1463_105 Depth=1
	v_and_b32_e32 v66, 0xff, v67
	s_and_not1_b32 s11, s11, exec_lo
	s_delay_alu instid0(VALU_DEP_1)
	v_cmp_eq_u16_e32 vcc_lo, 0, v66
	s_wait_dscnt 0x3
	v_and_b32_e32 v71, 1, v67
	s_wait_dscnt 0x0
	v_dual_cndmask_b32 v66, 0, v69, vcc_lo :: v_dual_bitop2_b32 v68, 1, v68 bitop3:0x40
	v_cndmask_b32_e32 v67, 0, v70, vcc_lo
	s_delay_alu instid0(VALU_DEP_3) | instskip(NEXT) | instid1(VALU_DEP_3)
	v_cmp_eq_u32_e32 vcc_lo, 1, v71
	v_cmp_eq_u32_e64 s9, 1, v68
	s_delay_alu instid0(VALU_DEP_3) | instskip(SKIP_1) | instid1(SALU_CYCLE_1)
	v_add_nc_u64_e32 v[10:11], v[66:67], v[10:11]
	s_or_b32 s9, vcc_lo, s9
	s_and_b32 s9, s9, exec_lo
	s_delay_alu instid0(SALU_CYCLE_1)
	s_or_b32 s11, s11, s9
	s_branch .LBB1463_103
.LBB1463_120:
	s_or_b32 exec_lo, exec_lo, s9
                                        ; implicit-def: $vgpr12_vgpr13
	s_and_saveexec_b32 s9, s0
	s_cbranch_execz .LBB1463_25
.LBB1463_121:
	flat_load_b64 v[12:13], v0, s[10:11] offset:1024 scale_offset
	s_wait_xcnt 0x0
	s_or_b32 exec_lo, exec_lo, s9
                                        ; implicit-def: $vgpr14_vgpr15
	s_and_saveexec_b32 s0, s1
	s_cbranch_execnz .LBB1463_26
.LBB1463_122:
	s_or_b32 exec_lo, exec_lo, s0
                                        ; implicit-def: $vgpr16_vgpr17
	s_and_saveexec_b32 s0, s2
	s_cbranch_execz .LBB1463_27
.LBB1463_123:
	flat_load_b64 v[16:17], v0, s[10:11] offset:3072 scale_offset
	s_wait_xcnt 0x0
	s_or_b32 exec_lo, exec_lo, s0
                                        ; implicit-def: $vgpr18_vgpr19
	s_and_saveexec_b32 s0, s3
	s_cbranch_execnz .LBB1463_28
.LBB1463_124:
	s_or_b32 exec_lo, exec_lo, s0
                                        ; implicit-def: $vgpr20_vgpr21
	s_and_saveexec_b32 s0, s4
	s_cbranch_execz .LBB1463_29
.LBB1463_125:
	flat_load_b64 v[20:21], v0, s[10:11] offset:5120 scale_offset
	s_wait_xcnt 0x0
	s_or_b32 exec_lo, exec_lo, s0
                                        ; implicit-def: $vgpr22_vgpr23
	s_and_saveexec_b32 s0, s5
	s_cbranch_execnz .LBB1463_30
.LBB1463_126:
	s_or_b32 exec_lo, exec_lo, s0
                                        ; implicit-def: $vgpr24_vgpr25
	s_and_saveexec_b32 s0, s6
	s_cbranch_execz .LBB1463_31
.LBB1463_127:
	flat_load_b64 v[24:25], v0, s[10:11] offset:7168 scale_offset
	s_wait_xcnt 0x0
	s_or_b32 exec_lo, exec_lo, s0
                                        ; implicit-def: $vgpr26_vgpr27
	s_and_saveexec_b32 s0, s7
	s_cbranch_execz .LBB1463_33
	s_branch .LBB1463_32
.LBB1463_128:
                                        ; implicit-def: $vgpr2_vgpr3
                                        ; implicit-def: $vgpr42_vgpr43
                                        ; implicit-def: $vgpr18_vgpr19
                                        ; implicit-def: $vgpr16_vgpr17
                                        ; implicit-def: $vgpr12_vgpr13
                                        ; implicit-def: $vgpr8_vgpr9
	s_cbranch_execnz .LBB1463_136
	s_branch .LBB1463_161
.LBB1463_129:
	s_and_saveexec_b32 s9, s8
	s_cbranch_execz .LBB1463_131
; %bb.130:
	v_and_b32_e32 v6, 0xff, v16
	s_add_co_i32 s12, s38, 32
	s_mov_b32 s13, 0
	v_mov_b32_e32 v11, s12
	v_bitop3_b16 v10, v16, 1, v64 bitop3:0xc8
	v_cmp_eq_u32_e32 vcc_lo, 0, v6
	s_lshl_b64 s[20:21], s[12:13], 4
	s_delay_alu instid0(SALU_CYCLE_1) | instskip(SKIP_1) | instid1(VALU_DEP_1)
	s_add_nc_u64 s[12:13], s[22:23], s[20:21]
	v_dual_cndmask_b32 v7, 0, v9 :: v_dual_cndmask_b32 v6, 0, v8
	v_add_nc_u64_e32 v[2:3], v[6:7], v[2:3]
	v_dual_mov_b32 v6, 0 :: v_dual_mov_b32 v7, 2
	s_clause 0x1
	global_store_b64 v6, v[2:3], s[12:13]
	global_store_b8 v6, v10, s[12:13] offset:8
	global_wb scope:SCOPE_DEV
	s_wait_storecnt_dscnt 0x0
	global_inv scope:SCOPE_DEV
	s_wait_xcnt 0x0
	global_store_b8 v11, v7, s[24:25] scope:SCOPE_DEV
.LBB1463_131:
	s_wait_xcnt 0x0
	s_or_b32 exec_lo, exec_lo, s9
	v_cmp_eq_u32_e32 vcc_lo, 0, v0
	s_and_b32 exec_lo, exec_lo, vcc_lo
	s_cbranch_execz .LBB1463_133
; %bb.132:
	v_mov_b32_e32 v2, 0
	ds_store_b64 v2, v[8:9] offset:48
	ds_store_b8 v2, v64 offset:56
.LBB1463_133:
	s_or_b32 exec_lo, exec_lo, s10
	v_mov_b32_e32 v2, 0
	s_wait_storecnt 0x0
	s_wait_loadcnt_dscnt 0x0
	s_barrier_signal -1
	s_barrier_wait -1
	ds_load_b64 v[2:3], v2 offset:48
	s_mov_b32 s9, 0
	s_mov_b32 s10, exec_lo
	v_cmpx_ne_u32_e32 0, v0
	s_cbranch_execz .LBB1463_135
; %bb.134:
	v_dual_cndmask_b32 v6, v15, v12, s8 :: v_dual_cndmask_b32 v5, v14, v5, s8
	s_delay_alu instid0(VALU_DEP_1) | instskip(NEXT) | instid1(VALU_DEP_1)
	v_and_b32_e32 v6, 0xff, v6
	v_cmp_eq_u16_e32 vcc_lo, 0, v6
	s_wait_dscnt 0x0
	v_dual_cndmask_b32 v4, v13, v4, s8 :: v_dual_cndmask_b32 v3, 0, v3, vcc_lo
	v_cndmask_b32_e32 v2, 0, v2, vcc_lo
	s_delay_alu instid0(VALU_DEP_1)
	v_add_nc_u64_e32 v[2:3], v[4:5], v[2:3]
.LBB1463_135:
	s_or_b32 exec_lo, exec_lo, s10
	v_and_b32_e32 v4, 0xff, v1
	s_delay_alu instid0(VALU_DEP_1) | instskip(SKIP_1) | instid1(VALU_DEP_3)
	v_cmp_eq_u16_e32 vcc_lo, 0, v4
	s_wait_dscnt 0x0
	v_dual_cndmask_b32 v5, 0, v3 :: v_dual_cndmask_b32 v4, 0, v2
	s_delay_alu instid0(VALU_DEP_1) | instskip(NEXT) | instid1(VALU_DEP_1)
	v_add_nc_u64_e32 v[4:5], v[4:5], v[26:27]
	v_dual_cndmask_b32 v7, 0, v5, s0 :: v_dual_cndmask_b32 v6, 0, v4, s0
	s_delay_alu instid0(VALU_DEP_1) | instskip(NEXT) | instid1(VALU_DEP_1)
	v_add_nc_u64_e32 v[6:7], v[6:7], v[38:39]
	v_dual_cndmask_b32 v9, 0, v7, s1 :: v_dual_cndmask_b32 v8, 0, v6, s1
	;; [unrolled: 3-line block ×8, first 2 shown]
	s_and_b32 vcc_lo, exec_lo, s9
	s_cbranch_vccz .LBB1463_161
.LBB1463_136:
	s_cmp_eq_u64 s[36:37], 0
	v_mov_b64_e32 v[40:41], s[40:41]
	s_cselect_b32 s0, -1, 0
	s_cmp_eq_u64 s[30:31], 0
	s_cselect_b32 s1, -1, 0
	s_delay_alu instid0(SALU_CYCLE_1) | instskip(NEXT) | instid1(SALU_CYCLE_1)
	s_or_b32 s0, s0, s1
	s_and_b32 vcc_lo, exec_lo, s0
	s_cbranch_vccnz .LBB1463_138
; %bb.137:
	v_mov_b32_e32 v2, 0
	global_load_b64 v[40:41], v2, s[30:31]
.LBB1463_138:
	v_cmp_eq_u16_e32 vcc_lo, 0, v60
	v_cmp_eq_u16_e64 s0, 0, v59
	v_cmp_eq_u16_e64 s1, 0, v58
	v_cmp_eq_u16_e64 s2, 0, v57
	v_cmp_eq_u16_e64 s3, 0, v56
	s_wait_xcnt 0x0
	v_dual_cndmask_b32 v3, 0, v27 :: v_dual_cndmask_b32 v2, 0, v26
	v_cmp_eq_u16_e64 s4, 0, v55
	v_cmp_eq_u16_e64 s5, 0, v54
	;; [unrolled: 1-line block ×3, first 2 shown]
	v_cmp_ne_u16_e64 s9, 0, v51
	v_add_nc_u64_e32 v[2:3], v[2:3], v[38:39]
	v_cmp_eq_u32_e64 s10, 1, v46
	v_cmp_ne_u16_e64 s11, 0, v52
	v_cmp_eq_u32_e64 s12, 1, v48
	v_cmp_ne_u16_e64 s7, 0, v49
	v_cmp_eq_u32_e64 s8, 1, v47
	s_or_b32 s10, s9, s10
	v_dual_cndmask_b32 v3, 0, v3, s0 :: v_dual_cndmask_b32 v2, 0, v2, s0
	v_cmp_eq_u16_e64 s9, 0, v50
	s_or_b32 s11, s11, s12
	v_cmp_eq_u32_e64 s13, 1, v45
	s_or_b32 s7, s7, s8
	v_add_nc_u64_e32 v[2:3], v[2:3], v[36:37]
	s_or_b32 s8, s11, s10
	v_and_b32_e32 v4, 15, v44
	s_or_b32 s7, s8, s7
	s_delay_alu instid0(SALU_CYCLE_1) | instskip(NEXT) | instid1(VALU_DEP_2)
	s_or_b32 s8, s7, s13
	v_dual_cndmask_b32 v3, 0, v3, s1 :: v_dual_cndmask_b32 v2, 0, v2, s1
	v_cndmask_b32_e64 v5, 0, 1, s8
	v_cndmask_b32_e64 v6, 0, 1, s8
	s_delay_alu instid0(VALU_DEP_3) | instskip(NEXT) | instid1(VALU_DEP_3)
	v_add_nc_u64_e32 v[2:3], v[2:3], v[34:35]
	v_mov_b32_dpp v7, v5 row_shr:1 row_mask:0xf bank_mask:0xf
	s_delay_alu instid0(VALU_DEP_2) | instskip(NEXT) | instid1(VALU_DEP_1)
	v_dual_cndmask_b32 v3, 0, v3, s2 :: v_dual_cndmask_b32 v2, 0, v2, s2
	v_add_nc_u64_e32 v[2:3], v[2:3], v[30:31]
	s_delay_alu instid0(VALU_DEP_1) | instskip(NEXT) | instid1(VALU_DEP_1)
	v_dual_cndmask_b32 v3, 0, v3, s3 :: v_dual_cndmask_b32 v2, 0, v2, s3
	v_add_nc_u64_e32 v[2:3], v[2:3], v[28:29]
	s_delay_alu instid0(VALU_DEP_1) | instskip(NEXT) | instid1(VALU_DEP_1)
	;; [unrolled: 3-line block ×4, first 2 shown]
	v_dual_cndmask_b32 v3, 0, v3, s6 :: v_dual_cndmask_b32 v2, 0, v2, s6
	v_add_nc_u64_e32 v[2:3], v[2:3], v[20:21]
	s_delay_alu instid0(VALU_DEP_1) | instskip(SKIP_1) | instid1(VALU_DEP_1)
	v_dual_cndmask_b32 v3, 0, v3, s9 :: v_dual_cndmask_b32 v2, 0, v2, s9
	s_mov_b32 s9, exec_lo
	v_add_nc_u64_e32 v[2:3], v[2:3], v[32:33]
	s_delay_alu instid0(VALU_DEP_1) | instskip(NEXT) | instid1(VALU_DEP_2)
	v_mov_b32_dpp v8, v2 row_shr:1 row_mask:0xf bank_mask:0xf
	v_mov_b32_dpp v9, v3 row_shr:1 row_mask:0xf bank_mask:0xf
	v_cmpx_ne_u32_e32 0, v4
; %bb.139:
	s_delay_alu instid0(VALU_DEP_2) | instskip(NEXT) | instid1(VALU_DEP_4)
	v_cndmask_b32_e64 v9, v9, 0, s8
	v_cndmask_b32_e64 v8, v8, 0, s8
	v_bitop3_b16 v6, v7, v6, 1 bitop3:0xec
	s_delay_alu instid0(VALU_DEP_2) | instskip(NEXT) | instid1(VALU_DEP_2)
	v_add_nc_u64_e32 v[2:3], v[8:9], v[2:3]
	v_and_b32_e32 v5, 0xffff, v6
; %bb.140:
	s_or_b32 exec_lo, exec_lo, s9
	s_delay_alu instid0(VALU_DEP_2) | instskip(NEXT) | instid1(VALU_DEP_3)
	v_mov_b32_dpp v7, v2 row_shr:2 row_mask:0xf bank_mask:0xf
	v_mov_b32_dpp v8, v3 row_shr:2 row_mask:0xf bank_mask:0xf
	s_delay_alu instid0(VALU_DEP_3)
	v_mov_b32_dpp v9, v5 row_shr:2 row_mask:0xf bank_mask:0xf
	s_mov_b32 s9, exec_lo
	v_cmpx_lt_u32_e32 1, v4
	s_cbranch_execz .LBB1463_142
; %bb.141:
	v_cmp_eq_u16_e64 s7, 0, v6
	v_and_b32_e32 v5, 1, v6
	s_delay_alu instid0(VALU_DEP_2) | instskip(SKIP_1) | instid1(VALU_DEP_3)
	v_dual_cndmask_b32 v9, 0, v8, s7 :: v_dual_bitop2_b32 v6, 1, v9 bitop3:0x40
	v_cndmask_b32_e64 v8, 0, v7, s7
	v_cmp_eq_u32_e64 s7, 1, v5
	s_delay_alu instid0(VALU_DEP_3) | instskip(NEXT) | instid1(VALU_DEP_3)
	v_cmp_eq_u32_e64 s8, 1, v6
	v_add_nc_u64_e32 v[2:3], v[8:9], v[2:3]
	s_or_b32 s7, s7, s8
	s_delay_alu instid0(SALU_CYCLE_1)
	v_cndmask_b32_e64 v6, 0, 1, s7
	v_cndmask_b32_e64 v5, 0, 1, s7
.LBB1463_142:
	s_or_b32 exec_lo, exec_lo, s9
	s_delay_alu instid0(VALU_DEP_3) | instskip(NEXT) | instid1(VALU_DEP_4)
	v_mov_b32_dpp v7, v2 row_shr:4 row_mask:0xf bank_mask:0xf
	v_mov_b32_dpp v8, v3 row_shr:4 row_mask:0xf bank_mask:0xf
	s_delay_alu instid0(VALU_DEP_3)
	v_mov_b32_dpp v9, v5 row_shr:4 row_mask:0xf bank_mask:0xf
	s_mov_b32 s9, exec_lo
	v_cmpx_lt_u32_e32 3, v4
	s_cbranch_execz .LBB1463_144
; %bb.143:
	v_cmp_eq_u16_e64 s7, 0, v6
	v_and_b32_e32 v5, 1, v6
	s_delay_alu instid0(VALU_DEP_2) | instskip(SKIP_1) | instid1(VALU_DEP_3)
	v_dual_cndmask_b32 v9, 0, v8, s7 :: v_dual_bitop2_b32 v6, 1, v9 bitop3:0x40
	v_cndmask_b32_e64 v8, 0, v7, s7
	v_cmp_eq_u32_e64 s7, 1, v5
	s_delay_alu instid0(VALU_DEP_3) | instskip(NEXT) | instid1(VALU_DEP_3)
	v_cmp_eq_u32_e64 s8, 1, v6
	v_add_nc_u64_e32 v[2:3], v[8:9], v[2:3]
	s_or_b32 s7, s7, s8
	s_delay_alu instid0(SALU_CYCLE_1)
	v_cndmask_b32_e64 v6, 0, 1, s7
	v_cndmask_b32_e64 v5, 0, 1, s7
.LBB1463_144:
	s_or_b32 exec_lo, exec_lo, s9
	s_delay_alu instid0(VALU_DEP_3) | instskip(NEXT) | instid1(VALU_DEP_4)
	v_mov_b32_dpp v7, v2 row_shr:8 row_mask:0xf bank_mask:0xf
	v_mov_b32_dpp v8, v3 row_shr:8 row_mask:0xf bank_mask:0xf
	s_delay_alu instid0(VALU_DEP_3)
	v_mov_b32_dpp v9, v5 row_shr:8 row_mask:0xf bank_mask:0xf
	s_mov_b32 s9, exec_lo
	v_cmpx_lt_u32_e32 7, v4
	s_cbranch_execz .LBB1463_146
; %bb.145:
	v_cmp_eq_u16_e64 s7, 0, v6
	v_and_b32_e32 v6, 1, v6
	s_delay_alu instid0(VALU_DEP_2) | instskip(SKIP_1) | instid1(VALU_DEP_3)
	v_dual_cndmask_b32 v4, 0, v7, s7 :: v_dual_bitop2_b32 v9, 1, v9 bitop3:0x40
	v_cndmask_b32_e64 v5, 0, v8, s7
	v_cmp_eq_u32_e64 s7, 1, v6
	s_delay_alu instid0(VALU_DEP_3) | instskip(NEXT) | instid1(VALU_DEP_3)
	v_cmp_eq_u32_e64 s8, 1, v9
	v_add_nc_u64_e32 v[2:3], v[4:5], v[2:3]
	s_or_b32 s7, s7, s8
	s_delay_alu instid0(SALU_CYCLE_1)
	v_cndmask_b32_e64 v6, 0, 1, s7
	v_cndmask_b32_e64 v5, 0, 1, s7
.LBB1463_146:
	s_or_b32 exec_lo, exec_lo, s9
	ds_swizzle_b32 v4, v2 offset:swizzle(BROADCAST,32,15)
	ds_swizzle_b32 v7, v3 offset:swizzle(BROADCAST,32,15)
	ds_swizzle_b32 v5, v5 offset:swizzle(BROADCAST,32,15)
	v_and_b32_e32 v8, 16, v44
	s_mov_b32 s9, exec_lo
	s_delay_alu instid0(VALU_DEP_1)
	v_cmpx_ne_u32_e32 0, v8
	s_cbranch_execz .LBB1463_148
; %bb.147:
	v_cmp_eq_u16_e64 s7, 0, v6
	v_and_b32_e32 v6, 1, v6
	s_wait_dscnt 0x0
	s_delay_alu instid0(VALU_DEP_2) | instskip(SKIP_1) | instid1(VALU_DEP_3)
	v_dual_cndmask_b32 v4, 0, v4, s7 :: v_dual_bitop2_b32 v8, 1, v5 bitop3:0x40
	v_cndmask_b32_e64 v5, 0, v7, s7
	v_cmp_eq_u32_e64 s7, 1, v6
	s_delay_alu instid0(VALU_DEP_3) | instskip(NEXT) | instid1(VALU_DEP_3)
	v_cmp_eq_u32_e64 s8, 1, v8
	v_add_nc_u64_e32 v[2:3], v[4:5], v[2:3]
	s_or_b32 s7, s7, s8
	s_delay_alu instid0(SALU_CYCLE_1)
	v_cndmask_b32_e64 v6, 0, 1, s7
.LBB1463_148:
	s_or_b32 exec_lo, exec_lo, s9
	s_wait_dscnt 0x0
	v_dual_lshrrev_b32 v5, 5, v0 :: v_dual_bitop2_b32 v4, 31, v0 bitop3:0x54
	s_mov_b32 s8, exec_lo
	s_delay_alu instid0(VALU_DEP_1) | instskip(NEXT) | instid1(VALU_DEP_2)
	v_lshlrev_b32_e32 v7, 4, v5
	v_cmpx_eq_u32_e64 v0, v4
	s_cbranch_execz .LBB1463_150
; %bb.149:
	ds_store_b64 v7, v[2:3]
	ds_store_b8 v7, v6 offset:8
.LBB1463_150:
	s_or_b32 exec_lo, exec_lo, s8
	s_delay_alu instid0(SALU_CYCLE_1)
	s_mov_b32 s9, exec_lo
	s_wait_loadcnt_dscnt 0x0
	s_barrier_signal -1
	s_barrier_wait -1
	v_cmpx_gt_u32_e32 4, v0
	s_cbranch_execz .LBB1463_156
; %bb.151:
	v_lshlrev_b32_e32 v8, 4, v0
	s_mov_b32 s8, exec_lo
	ds_load_b64 v[4:5], v8
	ds_load_b32 v9, v8 offset:8
	v_and_b32_e32 v10, 3, v44
	s_wait_dscnt 0x1
	v_mov_b32_dpp v14, v4 row_shr:1 row_mask:0xf bank_mask:0xf
	v_mov_b32_dpp v15, v5 row_shr:1 row_mask:0xf bank_mask:0xf
	s_wait_dscnt 0x0
	v_mov_b32_dpp v13, v9 row_shr:1 row_mask:0xf bank_mask:0xf
	v_dual_mov_b32 v12, v9 :: v_dual_mov_b32 v11, v9
	v_cmpx_ne_u32_e32 0, v10
	s_cbranch_execz .LBB1463_153
; %bb.152:
	v_and_b32_e32 v11, 0xff, v9
	v_or_b32_e32 v12, v13, v9
	s_delay_alu instid0(VALU_DEP_2) | instskip(SKIP_1) | instid1(VALU_DEP_2)
	v_cmp_eq_u16_e64 s7, 0, v11
	v_bitop3_b32 v11, v13, 1, v9 bitop3:0xc8
	v_dual_cndmask_b32 v15, 0, v15, s7 :: v_dual_bitop2_b32 v12, 1, v12 bitop3:0x40
	v_cndmask_b32_e64 v14, 0, v14, s7
	s_delay_alu instid0(VALU_DEP_3) | instskip(NEXT) | instid1(VALU_DEP_2)
	v_and_or_b32 v9, 0xffffff00, v9, v11
	v_add_nc_u64_e32 v[4:5], v[14:15], v[4:5]
.LBB1463_153:
	s_or_b32 exec_lo, exec_lo, s8
	s_delay_alu instid0(VALU_DEP_1) | instskip(NEXT) | instid1(VALU_DEP_2)
	v_mov_b32_dpp v13, v4 row_shr:2 row_mask:0xf bank_mask:0xf
	v_mov_b32_dpp v14, v5 row_shr:2 row_mask:0xf bank_mask:0xf
	;; [unrolled: 1-line block ×3, first 2 shown]
	s_mov_b32 s10, exec_lo
	v_cmpx_lt_u32_e32 1, v10
	s_cbranch_execz .LBB1463_155
; %bb.154:
	v_and_b32_e32 v10, 0xff, v11
	v_and_b32_e32 v9, 1, v9
	s_delay_alu instid0(VALU_DEP_2) | instskip(SKIP_1) | instid1(VALU_DEP_3)
	v_cmp_eq_u16_e64 s7, 0, v10
	v_and_b32_e32 v12, 1, v11
	v_cmp_eq_u32_e64 s8, 1, v9
	s_delay_alu instid0(VALU_DEP_3) | instskip(NEXT) | instid1(VALU_DEP_3)
	v_dual_cndmask_b32 v11, 0, v14, s7 :: v_dual_cndmask_b32 v10, 0, v13, s7
	v_cmp_eq_u32_e64 s7, 1, v12
	s_delay_alu instid0(VALU_DEP_2) | instskip(SKIP_1) | instid1(SALU_CYCLE_1)
	v_add_nc_u64_e32 v[4:5], v[10:11], v[4:5]
	s_or_b32 s7, s7, s8
	v_cndmask_b32_e64 v12, 0, 1, s7
.LBB1463_155:
	s_or_b32 exec_lo, exec_lo, s10
	ds_store_b64 v8, v[4:5]
	ds_store_b8 v8, v12 offset:8
.LBB1463_156:
	s_or_b32 exec_lo, exec_lo, s9
	v_mov_b64_e32 v[4:5], v[40:41]
	s_mov_b32 s8, exec_lo
	s_wait_dscnt 0x0
	s_barrier_signal -1
	s_barrier_wait -1
	v_cmpx_lt_u32_e32 31, v0
	s_cbranch_execz .LBB1463_158
; %bb.157:
	v_add_nc_u32_e32 v4, -8, v7
	ds_load_u8 v8, v4
	s_wait_dscnt 0x0
	v_cmp_eq_u16_e64 s7, 0, v8
	s_delay_alu instid0(VALU_DEP_1) | instskip(SKIP_3) | instid1(VALU_DEP_1)
	v_dual_add_nc_u32 v4, -16, v7 :: v_dual_cndmask_b32 v8, 0, v40, s7
	ds_load_b64 v[4:5], v4
	v_cndmask_b32_e64 v9, 0, v41, s7
	s_wait_dscnt 0x0
	v_add_nc_u64_e32 v[4:5], v[8:9], v[4:5]
.LBB1463_158:
	s_or_b32 exec_lo, exec_lo, s8
	v_cmp_eq_u16_e64 s7, 0, v6
	v_sub_co_u32 v8, s8, v44, 1
	v_and_b32_e32 v1, 0xff, v1
	s_delay_alu instid0(VALU_DEP_3) | instskip(NEXT) | instid1(VALU_DEP_3)
	v_dual_cndmask_b32 v7, 0, v5, s7 :: v_dual_cndmask_b32 v6, 0, v4, s7
	v_cmp_gt_i32_e64 s7, 0, v8
	s_delay_alu instid0(VALU_DEP_2) | instskip(NEXT) | instid1(VALU_DEP_2)
	v_add_nc_u64_e32 v[2:3], v[6:7], v[2:3]
	v_cndmask_b32_e64 v8, v8, v44, s7
	v_cmp_eq_u32_e64 s7, 0, v0
	s_delay_alu instid0(VALU_DEP_2) | instskip(SKIP_3) | instid1(VALU_DEP_1)
	v_lshlrev_b32_e32 v6, 2, v8
	ds_bpermute_b32 v3, v6, v3
	s_wait_dscnt 0x0
	v_cndmask_b32_e64 v3, v3, v5, s8
	v_cndmask_b32_e64 v5, v3, v41, s7
	ds_bpermute_b32 v2, v6, v2
	s_wait_dscnt 0x0
	v_cndmask_b32_e64 v2, v2, v4, s8
	v_cmp_eq_u16_e64 s8, 0, v1
	s_delay_alu instid0(VALU_DEP_1) | instskip(NEXT) | instid1(VALU_DEP_1)
	v_dual_cndmask_b32 v5, 0, v5, s8 :: v_dual_cndmask_b32 v4, v2, v40, s7
	v_cndmask_b32_e64 v4, 0, v4, s8
	s_delay_alu instid0(VALU_DEP_1) | instskip(NEXT) | instid1(VALU_DEP_1)
	v_add_nc_u64_e32 v[4:5], v[4:5], v[26:27]
	v_dual_cndmask_b32 v7, 0, v5 :: v_dual_cndmask_b32 v6, 0, v4
	s_delay_alu instid0(VALU_DEP_1) | instskip(NEXT) | instid1(VALU_DEP_1)
	v_add_nc_u64_e32 v[6:7], v[6:7], v[38:39]
	v_dual_cndmask_b32 v9, 0, v7, s0 :: v_dual_cndmask_b32 v8, 0, v6, s0
	s_delay_alu instid0(VALU_DEP_1) | instskip(NEXT) | instid1(VALU_DEP_1)
	v_add_nc_u64_e32 v[8:9], v[8:9], v[36:37]
	v_dual_cndmask_b32 v11, 0, v9, s1 :: v_dual_cndmask_b32 v10, 0, v8, s1
	;; [unrolled: 3-line block ×7, first 2 shown]
	s_and_saveexec_b32 s0, s7
	s_cbranch_execz .LBB1463_160
; %bb.159:
	v_mov_b32_e32 v1, 0
	ds_load_u8 v24, v1 offset:56
	ds_load_b64 v[2:3], v1 offset:48
	v_mov_b32_e32 v25, 2
	s_wait_dscnt 0x1
	v_and_b32_e32 v22, 0xffff, v24
	s_delay_alu instid0(VALU_DEP_1) | instskip(SKIP_2) | instid1(VALU_DEP_1)
	v_cmp_eq_u32_e32 vcc_lo, 0, v22
	v_dual_cndmask_b32 v23, 0, v41 :: v_dual_cndmask_b32 v22, 0, v40
	s_wait_dscnt 0x0
	v_add_nc_u64_e32 v[22:23], v[22:23], v[2:3]
	v_mov_b64_e32 v[2:3], v[40:41]
	s_clause 0x1
	global_store_b64 v1, v[22:23], s[22:23] offset:512
	global_store_b8 v1, v24, s[22:23] offset:520
	global_wb scope:SCOPE_DEV
	s_wait_storecnt 0x0
	global_inv scope:SCOPE_DEV
	s_wait_xcnt 0x0
	global_store_b8 v1, v25, s[24:25] offset:32 scope:SCOPE_DEV
.LBB1463_160:
	s_wait_xcnt 0x0
	s_or_b32 exec_lo, exec_lo, s0
.LBB1463_161:
	s_delay_alu instid0(VALU_DEP_1)
	v_add_nc_u64_e32 v[20:21], v[42:43], v[20:21]
	s_add_nc_u64 s[0:1], s[18:19], s[34:35]
	s_and_b32 vcc_lo, exec_lo, s15
	s_add_nc_u64 s[0:1], s[0:1], s[16:17]
	s_cbranch_vccz .LBB1463_193
; %bb.162:
	v_mul_u32_u24_e32 v1, 10, v0
	s_add_co_i32 s27, s27, s26
	s_mov_b32 s2, exec_lo
	s_delay_alu instid0(VALU_DEP_1)
	v_cmpx_gt_u32_e64 s27, v1
	s_cbranch_execz .LBB1463_174
; %bb.163:
	v_or_b32_e32 v22, 1, v1
	s_mov_b32 s3, exec_lo
	s_delay_alu instid0(VALU_DEP_1)
	v_cmpx_gt_u32_e64 s27, v22
	s_cbranch_execz .LBB1463_173
; %bb.164:
	v_add_nc_u32_e32 v22, 2, v1
	s_mov_b32 s4, exec_lo
	s_delay_alu instid0(VALU_DEP_1)
	v_cmpx_gt_u32_e64 s27, v22
	s_cbranch_execz .LBB1463_172
; %bb.165:
	v_add_nc_u32_e32 v22, 3, v1
	;; [unrolled: 6-line block ×4, first 2 shown]
	s_mov_b32 s7, exec_lo
	s_delay_alu instid0(VALU_DEP_1)
	v_cmpx_gt_u32_e64 s27, v22
; %bb.168:
	v_add_nc_u32_e32 v22, 6, v1
	s_mov_b32 s8, exec_lo
	s_delay_alu instid0(VALU_DEP_1)
	v_cmpx_gt_u32_e64 s27, v22
	s_or_b32 exec_lo, exec_lo, s8
; %bb.169:
	s_delay_alu instid0(SALU_CYCLE_1)
	s_or_b32 exec_lo, exec_lo, s7
.LBB1463_170:
	s_delay_alu instid0(SALU_CYCLE_1)
	s_or_b32 exec_lo, exec_lo, s6
.LBB1463_171:
	s_delay_alu instid0(SALU_CYCLE_1)
	s_or_b32 exec_lo, exec_lo, s5
.LBB1463_172:
	s_delay_alu instid0(SALU_CYCLE_1)
	s_or_b32 exec_lo, exec_lo, s4
.LBB1463_173:
	s_delay_alu instid0(SALU_CYCLE_1)
	s_or_b32 exec_lo, exec_lo, s3
.LBB1463_174:
	s_delay_alu instid0(SALU_CYCLE_1)
	s_or_b32 exec_lo, exec_lo, s2
	v_dual_lshlrev_b32 v1, 3, v1 :: v_dual_mov_b32 v41, 0
	s_wait_loadcnt 0x0
	s_wait_storecnt 0x0
	s_barrier_signal -1
	s_barrier_wait -1
	v_mad_i32_i24 v22, 0xffffffb8, v0, v1
	ds_store_b128 v1, v[2:5]
	ds_store_b128 v1, v[6:9] offset:16
	ds_store_b128 v1, v[10:13] offset:32
	;; [unrolled: 1-line block ×4, first 2 shown]
	s_wait_dscnt 0x0
	s_barrier_signal -1
	s_barrier_wait -1
	ds_load_2addr_stride64_b64 v[36:39], v22 offset0:2 offset1:4
	ds_load_2addr_stride64_b64 v[32:35], v22 offset0:6 offset1:8
	;; [unrolled: 1-line block ×4, first 2 shown]
	ds_load_b64 v[22:23], v22 offset:9216
	v_lshlrev_b32_e32 v40, 3, v0
	s_mov_b32 s2, exec_lo
	s_delay_alu instid0(VALU_DEP_1)
	v_add_nc_u64_e32 v[40:41], s[0:1], v[40:41]
	v_cmpx_gt_u32_e64 s27, v0
	s_cbranch_execz .LBB1463_176
; %bb.175:
	v_mul_i32_i24_e32 v42, 0xffffffb8, v0
	s_delay_alu instid0(VALU_DEP_1)
	v_add_nc_u32_e32 v1, v1, v42
	ds_load_b64 v[42:43], v1
	s_wait_dscnt 0x0
	flat_store_b64 v[40:41], v[42:43]
.LBB1463_176:
	s_wait_xcnt 0x0
	s_or_b32 exec_lo, exec_lo, s2
	v_or_b32_e32 v1, 0x80, v0
	s_mov_b32 s2, exec_lo
	s_delay_alu instid0(VALU_DEP_1)
	v_cmpx_gt_u32_e64 s27, v1
	s_cbranch_execz .LBB1463_178
; %bb.177:
	s_wait_dscnt 0x4
	flat_store_b64 v[40:41], v[36:37] offset:1024
.LBB1463_178:
	s_wait_xcnt 0x0
	s_or_b32 exec_lo, exec_lo, s2
	v_or_b32_e32 v1, 0x100, v0
	s_mov_b32 s2, exec_lo
	s_delay_alu instid0(VALU_DEP_1)
	v_cmpx_gt_u32_e64 s27, v1
	s_cbranch_execz .LBB1463_180
; %bb.179:
	s_wait_dscnt 0x4
	flat_store_b64 v[40:41], v[38:39] offset:2048
.LBB1463_180:
	s_wait_xcnt 0x0
	s_or_b32 exec_lo, exec_lo, s2
	v_or_b32_e32 v1, 0x180, v0
	s_mov_b32 s2, exec_lo
	s_delay_alu instid0(VALU_DEP_1)
	v_cmpx_gt_u32_e64 s27, v1
	s_cbranch_execz .LBB1463_182
; %bb.181:
	s_wait_dscnt 0x3
	flat_store_b64 v[40:41], v[32:33] offset:3072
.LBB1463_182:
	s_wait_xcnt 0x0
	s_or_b32 exec_lo, exec_lo, s2
	v_or_b32_e32 v1, 0x200, v0
	s_mov_b32 s2, exec_lo
	s_delay_alu instid0(VALU_DEP_1)
	v_cmpx_gt_u32_e64 s27, v1
	s_cbranch_execz .LBB1463_184
; %bb.183:
	s_wait_dscnt 0x3
	flat_store_b64 v[40:41], v[34:35] offset:4096
.LBB1463_184:
	s_wait_xcnt 0x0
	s_or_b32 exec_lo, exec_lo, s2
	v_or_b32_e32 v1, 0x280, v0
	s_mov_b32 s2, exec_lo
	s_delay_alu instid0(VALU_DEP_1)
	v_cmpx_gt_u32_e64 s27, v1
	s_cbranch_execz .LBB1463_186
; %bb.185:
	s_wait_dscnt 0x2
	flat_store_b64 v[40:41], v[28:29] offset:5120
.LBB1463_186:
	s_wait_xcnt 0x0
	s_or_b32 exec_lo, exec_lo, s2
	v_or_b32_e32 v1, 0x300, v0
	s_mov_b32 s2, exec_lo
	s_delay_alu instid0(VALU_DEP_1)
	v_cmpx_gt_u32_e64 s27, v1
	s_cbranch_execz .LBB1463_188
; %bb.187:
	s_wait_dscnt 0x2
	flat_store_b64 v[40:41], v[30:31] offset:6144
.LBB1463_188:
	s_wait_xcnt 0x0
	s_or_b32 exec_lo, exec_lo, s2
	v_or_b32_e32 v1, 0x380, v0
	s_mov_b32 s2, exec_lo
	s_delay_alu instid0(VALU_DEP_1)
	v_cmpx_gt_u32_e64 s27, v1
	s_cbranch_execz .LBB1463_190
; %bb.189:
	s_wait_dscnt 0x1
	flat_store_b64 v[40:41], v[24:25] offset:7168
.LBB1463_190:
	s_wait_xcnt 0x0
	s_or_b32 exec_lo, exec_lo, s2
	v_or_b32_e32 v1, 0x400, v0
	s_mov_b32 s2, exec_lo
	s_delay_alu instid0(VALU_DEP_1)
	v_cmpx_gt_u32_e64 s27, v1
	s_cbranch_execz .LBB1463_192
; %bb.191:
	s_wait_dscnt 0x1
	flat_store_b64 v[40:41], v[26:27] offset:8192
.LBB1463_192:
	s_wait_xcnt 0x0
	s_or_b32 exec_lo, exec_lo, s2
	v_or_b32_e32 v1, 0x480, v0
	s_delay_alu instid0(VALU_DEP_1)
	v_cmp_gt_u32_e64 s2, s27, v1
	s_branch .LBB1463_195
.LBB1463_193:
	s_mov_b32 s2, 0
                                        ; implicit-def: $vgpr22_vgpr23
	s_cbranch_execz .LBB1463_195
; %bb.194:
	v_mul_u32_u24_e32 v1, 0x50, v0
	s_wait_dscnt 0x0
	v_mul_i32_i24_e32 v22, 0xffffffb8, v0
	s_wait_loadcnt 0x0
	s_wait_storecnt 0x0
	s_barrier_signal -1
	s_barrier_wait -1
	ds_store_b128 v1, v[2:5]
	ds_store_b128 v1, v[6:9] offset:16
	ds_store_b128 v1, v[10:13] offset:32
	;; [unrolled: 1-line block ×4, first 2 shown]
	v_mad_u32_u24 v1, 0x50, v0, v22
	s_wait_dscnt 0x0
	s_barrier_signal -1
	s_barrier_wait -1
	ds_load_2addr_stride64_b64 v[2:5], v1 offset1:2
	ds_load_2addr_stride64_b64 v[6:9], v1 offset0:4 offset1:6
	ds_load_2addr_stride64_b64 v[10:13], v1 offset0:8 offset1:10
	;; [unrolled: 1-line block ×4, first 2 shown]
	s_or_b32 s2, s2, exec_lo
	s_wait_dscnt 0x4
	s_clause 0x1
	flat_store_b64 v0, v[2:3], s[0:1] scale_offset
	flat_store_b64 v0, v[4:5], s[0:1] offset:1024 scale_offset
	s_wait_dscnt 0x5
	s_clause 0x1
	flat_store_b64 v0, v[6:7], s[0:1] offset:2048 scale_offset
	flat_store_b64 v0, v[8:9], s[0:1] offset:3072 scale_offset
	s_wait_dscnt 0x6
	s_clause 0x1
	flat_store_b64 v0, v[10:11], s[0:1] offset:4096 scale_offset
	;; [unrolled: 4-line block ×3, first 2 shown]
	flat_store_b64 v0, v[16:17], s[0:1] offset:7168 scale_offset
	s_wait_dscnt 0x8
	flat_store_b64 v0, v[20:21], s[0:1] offset:8192 scale_offset
.LBB1463_195:
	s_wait_xcnt 0x0
	s_delay_alu instid0(VALU_DEP_1)
	s_and_saveexec_b32 s3, s2
	s_cbranch_execz .LBB1463_197
; %bb.196:
	s_wait_dscnt 0x0
	flat_store_b64 v0, v[22:23], s[0:1] offset:9216 scale_offset
	s_sendmsg sendmsg(MSG_DEALLOC_VGPRS)
	s_endpgm
.LBB1463_197:
	s_sendmsg sendmsg(MSG_DEALLOC_VGPRS)
	s_endpgm
	.section	.rodata,"a",@progbits
	.p2align	6, 0x0
	.amdhsa_kernel _ZN7rocprim17ROCPRIM_400000_NS6detail17trampoline_kernelINS0_14default_configENS1_27scan_by_key_config_selectorIiyEEZZNS1_16scan_by_key_implILNS1_25lookback_scan_determinismE0ELb1ES3_N6thrust23THRUST_200600_302600_NS6detail15normal_iteratorINS9_10device_ptrIiEEEENSB_INSC_IyEEEESG_yNS9_4plusIvEENS9_8equal_toIvEEyEE10hipError_tPvRmT2_T3_T4_T5_mT6_T7_P12ihipStream_tbENKUlT_T0_E_clISt17integral_constantIbLb0EES11_EEDaSW_SX_EUlSW_E_NS1_11comp_targetILNS1_3genE0ELNS1_11target_archE4294967295ELNS1_3gpuE0ELNS1_3repE0EEENS1_30default_config_static_selectorELNS0_4arch9wavefront6targetE0EEEvT1_
		.amdhsa_group_segment_fixed_size 10240
		.amdhsa_private_segment_fixed_size 0
		.amdhsa_kernarg_size 136
		.amdhsa_user_sgpr_count 2
		.amdhsa_user_sgpr_dispatch_ptr 0
		.amdhsa_user_sgpr_queue_ptr 0
		.amdhsa_user_sgpr_kernarg_segment_ptr 1
		.amdhsa_user_sgpr_dispatch_id 0
		.amdhsa_user_sgpr_kernarg_preload_length 0
		.amdhsa_user_sgpr_kernarg_preload_offset 0
		.amdhsa_user_sgpr_private_segment_size 0
		.amdhsa_wavefront_size32 1
		.amdhsa_uses_dynamic_stack 0
		.amdhsa_enable_private_segment 0
		.amdhsa_system_sgpr_workgroup_id_x 1
		.amdhsa_system_sgpr_workgroup_id_y 0
		.amdhsa_system_sgpr_workgroup_id_z 0
		.amdhsa_system_sgpr_workgroup_info 0
		.amdhsa_system_vgpr_workitem_id 0
		.amdhsa_next_free_vgpr 73
		.amdhsa_next_free_sgpr 49
		.amdhsa_named_barrier_count 0
		.amdhsa_reserve_vcc 1
		.amdhsa_float_round_mode_32 0
		.amdhsa_float_round_mode_16_64 0
		.amdhsa_float_denorm_mode_32 3
		.amdhsa_float_denorm_mode_16_64 3
		.amdhsa_fp16_overflow 0
		.amdhsa_memory_ordered 1
		.amdhsa_forward_progress 1
		.amdhsa_inst_pref_size 91
		.amdhsa_round_robin_scheduling 0
		.amdhsa_exception_fp_ieee_invalid_op 0
		.amdhsa_exception_fp_denorm_src 0
		.amdhsa_exception_fp_ieee_div_zero 0
		.amdhsa_exception_fp_ieee_overflow 0
		.amdhsa_exception_fp_ieee_underflow 0
		.amdhsa_exception_fp_ieee_inexact 0
		.amdhsa_exception_int_div_zero 0
	.end_amdhsa_kernel
	.section	.text._ZN7rocprim17ROCPRIM_400000_NS6detail17trampoline_kernelINS0_14default_configENS1_27scan_by_key_config_selectorIiyEEZZNS1_16scan_by_key_implILNS1_25lookback_scan_determinismE0ELb1ES3_N6thrust23THRUST_200600_302600_NS6detail15normal_iteratorINS9_10device_ptrIiEEEENSB_INSC_IyEEEESG_yNS9_4plusIvEENS9_8equal_toIvEEyEE10hipError_tPvRmT2_T3_T4_T5_mT6_T7_P12ihipStream_tbENKUlT_T0_E_clISt17integral_constantIbLb0EES11_EEDaSW_SX_EUlSW_E_NS1_11comp_targetILNS1_3genE0ELNS1_11target_archE4294967295ELNS1_3gpuE0ELNS1_3repE0EEENS1_30default_config_static_selectorELNS0_4arch9wavefront6targetE0EEEvT1_,"axG",@progbits,_ZN7rocprim17ROCPRIM_400000_NS6detail17trampoline_kernelINS0_14default_configENS1_27scan_by_key_config_selectorIiyEEZZNS1_16scan_by_key_implILNS1_25lookback_scan_determinismE0ELb1ES3_N6thrust23THRUST_200600_302600_NS6detail15normal_iteratorINS9_10device_ptrIiEEEENSB_INSC_IyEEEESG_yNS9_4plusIvEENS9_8equal_toIvEEyEE10hipError_tPvRmT2_T3_T4_T5_mT6_T7_P12ihipStream_tbENKUlT_T0_E_clISt17integral_constantIbLb0EES11_EEDaSW_SX_EUlSW_E_NS1_11comp_targetILNS1_3genE0ELNS1_11target_archE4294967295ELNS1_3gpuE0ELNS1_3repE0EEENS1_30default_config_static_selectorELNS0_4arch9wavefront6targetE0EEEvT1_,comdat
.Lfunc_end1463:
	.size	_ZN7rocprim17ROCPRIM_400000_NS6detail17trampoline_kernelINS0_14default_configENS1_27scan_by_key_config_selectorIiyEEZZNS1_16scan_by_key_implILNS1_25lookback_scan_determinismE0ELb1ES3_N6thrust23THRUST_200600_302600_NS6detail15normal_iteratorINS9_10device_ptrIiEEEENSB_INSC_IyEEEESG_yNS9_4plusIvEENS9_8equal_toIvEEyEE10hipError_tPvRmT2_T3_T4_T5_mT6_T7_P12ihipStream_tbENKUlT_T0_E_clISt17integral_constantIbLb0EES11_EEDaSW_SX_EUlSW_E_NS1_11comp_targetILNS1_3genE0ELNS1_11target_archE4294967295ELNS1_3gpuE0ELNS1_3repE0EEENS1_30default_config_static_selectorELNS0_4arch9wavefront6targetE0EEEvT1_, .Lfunc_end1463-_ZN7rocprim17ROCPRIM_400000_NS6detail17trampoline_kernelINS0_14default_configENS1_27scan_by_key_config_selectorIiyEEZZNS1_16scan_by_key_implILNS1_25lookback_scan_determinismE0ELb1ES3_N6thrust23THRUST_200600_302600_NS6detail15normal_iteratorINS9_10device_ptrIiEEEENSB_INSC_IyEEEESG_yNS9_4plusIvEENS9_8equal_toIvEEyEE10hipError_tPvRmT2_T3_T4_T5_mT6_T7_P12ihipStream_tbENKUlT_T0_E_clISt17integral_constantIbLb0EES11_EEDaSW_SX_EUlSW_E_NS1_11comp_targetILNS1_3genE0ELNS1_11target_archE4294967295ELNS1_3gpuE0ELNS1_3repE0EEENS1_30default_config_static_selectorELNS0_4arch9wavefront6targetE0EEEvT1_
                                        ; -- End function
	.set _ZN7rocprim17ROCPRIM_400000_NS6detail17trampoline_kernelINS0_14default_configENS1_27scan_by_key_config_selectorIiyEEZZNS1_16scan_by_key_implILNS1_25lookback_scan_determinismE0ELb1ES3_N6thrust23THRUST_200600_302600_NS6detail15normal_iteratorINS9_10device_ptrIiEEEENSB_INSC_IyEEEESG_yNS9_4plusIvEENS9_8equal_toIvEEyEE10hipError_tPvRmT2_T3_T4_T5_mT6_T7_P12ihipStream_tbENKUlT_T0_E_clISt17integral_constantIbLb0EES11_EEDaSW_SX_EUlSW_E_NS1_11comp_targetILNS1_3genE0ELNS1_11target_archE4294967295ELNS1_3gpuE0ELNS1_3repE0EEENS1_30default_config_static_selectorELNS0_4arch9wavefront6targetE0EEEvT1_.num_vgpr, 73
	.set _ZN7rocprim17ROCPRIM_400000_NS6detail17trampoline_kernelINS0_14default_configENS1_27scan_by_key_config_selectorIiyEEZZNS1_16scan_by_key_implILNS1_25lookback_scan_determinismE0ELb1ES3_N6thrust23THRUST_200600_302600_NS6detail15normal_iteratorINS9_10device_ptrIiEEEENSB_INSC_IyEEEESG_yNS9_4plusIvEENS9_8equal_toIvEEyEE10hipError_tPvRmT2_T3_T4_T5_mT6_T7_P12ihipStream_tbENKUlT_T0_E_clISt17integral_constantIbLb0EES11_EEDaSW_SX_EUlSW_E_NS1_11comp_targetILNS1_3genE0ELNS1_11target_archE4294967295ELNS1_3gpuE0ELNS1_3repE0EEENS1_30default_config_static_selectorELNS0_4arch9wavefront6targetE0EEEvT1_.num_agpr, 0
	.set _ZN7rocprim17ROCPRIM_400000_NS6detail17trampoline_kernelINS0_14default_configENS1_27scan_by_key_config_selectorIiyEEZZNS1_16scan_by_key_implILNS1_25lookback_scan_determinismE0ELb1ES3_N6thrust23THRUST_200600_302600_NS6detail15normal_iteratorINS9_10device_ptrIiEEEENSB_INSC_IyEEEESG_yNS9_4plusIvEENS9_8equal_toIvEEyEE10hipError_tPvRmT2_T3_T4_T5_mT6_T7_P12ihipStream_tbENKUlT_T0_E_clISt17integral_constantIbLb0EES11_EEDaSW_SX_EUlSW_E_NS1_11comp_targetILNS1_3genE0ELNS1_11target_archE4294967295ELNS1_3gpuE0ELNS1_3repE0EEENS1_30default_config_static_selectorELNS0_4arch9wavefront6targetE0EEEvT1_.numbered_sgpr, 49
	.set _ZN7rocprim17ROCPRIM_400000_NS6detail17trampoline_kernelINS0_14default_configENS1_27scan_by_key_config_selectorIiyEEZZNS1_16scan_by_key_implILNS1_25lookback_scan_determinismE0ELb1ES3_N6thrust23THRUST_200600_302600_NS6detail15normal_iteratorINS9_10device_ptrIiEEEENSB_INSC_IyEEEESG_yNS9_4plusIvEENS9_8equal_toIvEEyEE10hipError_tPvRmT2_T3_T4_T5_mT6_T7_P12ihipStream_tbENKUlT_T0_E_clISt17integral_constantIbLb0EES11_EEDaSW_SX_EUlSW_E_NS1_11comp_targetILNS1_3genE0ELNS1_11target_archE4294967295ELNS1_3gpuE0ELNS1_3repE0EEENS1_30default_config_static_selectorELNS0_4arch9wavefront6targetE0EEEvT1_.num_named_barrier, 0
	.set _ZN7rocprim17ROCPRIM_400000_NS6detail17trampoline_kernelINS0_14default_configENS1_27scan_by_key_config_selectorIiyEEZZNS1_16scan_by_key_implILNS1_25lookback_scan_determinismE0ELb1ES3_N6thrust23THRUST_200600_302600_NS6detail15normal_iteratorINS9_10device_ptrIiEEEENSB_INSC_IyEEEESG_yNS9_4plusIvEENS9_8equal_toIvEEyEE10hipError_tPvRmT2_T3_T4_T5_mT6_T7_P12ihipStream_tbENKUlT_T0_E_clISt17integral_constantIbLb0EES11_EEDaSW_SX_EUlSW_E_NS1_11comp_targetILNS1_3genE0ELNS1_11target_archE4294967295ELNS1_3gpuE0ELNS1_3repE0EEENS1_30default_config_static_selectorELNS0_4arch9wavefront6targetE0EEEvT1_.private_seg_size, 0
	.set _ZN7rocprim17ROCPRIM_400000_NS6detail17trampoline_kernelINS0_14default_configENS1_27scan_by_key_config_selectorIiyEEZZNS1_16scan_by_key_implILNS1_25lookback_scan_determinismE0ELb1ES3_N6thrust23THRUST_200600_302600_NS6detail15normal_iteratorINS9_10device_ptrIiEEEENSB_INSC_IyEEEESG_yNS9_4plusIvEENS9_8equal_toIvEEyEE10hipError_tPvRmT2_T3_T4_T5_mT6_T7_P12ihipStream_tbENKUlT_T0_E_clISt17integral_constantIbLb0EES11_EEDaSW_SX_EUlSW_E_NS1_11comp_targetILNS1_3genE0ELNS1_11target_archE4294967295ELNS1_3gpuE0ELNS1_3repE0EEENS1_30default_config_static_selectorELNS0_4arch9wavefront6targetE0EEEvT1_.uses_vcc, 1
	.set _ZN7rocprim17ROCPRIM_400000_NS6detail17trampoline_kernelINS0_14default_configENS1_27scan_by_key_config_selectorIiyEEZZNS1_16scan_by_key_implILNS1_25lookback_scan_determinismE0ELb1ES3_N6thrust23THRUST_200600_302600_NS6detail15normal_iteratorINS9_10device_ptrIiEEEENSB_INSC_IyEEEESG_yNS9_4plusIvEENS9_8equal_toIvEEyEE10hipError_tPvRmT2_T3_T4_T5_mT6_T7_P12ihipStream_tbENKUlT_T0_E_clISt17integral_constantIbLb0EES11_EEDaSW_SX_EUlSW_E_NS1_11comp_targetILNS1_3genE0ELNS1_11target_archE4294967295ELNS1_3gpuE0ELNS1_3repE0EEENS1_30default_config_static_selectorELNS0_4arch9wavefront6targetE0EEEvT1_.uses_flat_scratch, 1
	.set _ZN7rocprim17ROCPRIM_400000_NS6detail17trampoline_kernelINS0_14default_configENS1_27scan_by_key_config_selectorIiyEEZZNS1_16scan_by_key_implILNS1_25lookback_scan_determinismE0ELb1ES3_N6thrust23THRUST_200600_302600_NS6detail15normal_iteratorINS9_10device_ptrIiEEEENSB_INSC_IyEEEESG_yNS9_4plusIvEENS9_8equal_toIvEEyEE10hipError_tPvRmT2_T3_T4_T5_mT6_T7_P12ihipStream_tbENKUlT_T0_E_clISt17integral_constantIbLb0EES11_EEDaSW_SX_EUlSW_E_NS1_11comp_targetILNS1_3genE0ELNS1_11target_archE4294967295ELNS1_3gpuE0ELNS1_3repE0EEENS1_30default_config_static_selectorELNS0_4arch9wavefront6targetE0EEEvT1_.has_dyn_sized_stack, 0
	.set _ZN7rocprim17ROCPRIM_400000_NS6detail17trampoline_kernelINS0_14default_configENS1_27scan_by_key_config_selectorIiyEEZZNS1_16scan_by_key_implILNS1_25lookback_scan_determinismE0ELb1ES3_N6thrust23THRUST_200600_302600_NS6detail15normal_iteratorINS9_10device_ptrIiEEEENSB_INSC_IyEEEESG_yNS9_4plusIvEENS9_8equal_toIvEEyEE10hipError_tPvRmT2_T3_T4_T5_mT6_T7_P12ihipStream_tbENKUlT_T0_E_clISt17integral_constantIbLb0EES11_EEDaSW_SX_EUlSW_E_NS1_11comp_targetILNS1_3genE0ELNS1_11target_archE4294967295ELNS1_3gpuE0ELNS1_3repE0EEENS1_30default_config_static_selectorELNS0_4arch9wavefront6targetE0EEEvT1_.has_recursion, 0
	.set _ZN7rocprim17ROCPRIM_400000_NS6detail17trampoline_kernelINS0_14default_configENS1_27scan_by_key_config_selectorIiyEEZZNS1_16scan_by_key_implILNS1_25lookback_scan_determinismE0ELb1ES3_N6thrust23THRUST_200600_302600_NS6detail15normal_iteratorINS9_10device_ptrIiEEEENSB_INSC_IyEEEESG_yNS9_4plusIvEENS9_8equal_toIvEEyEE10hipError_tPvRmT2_T3_T4_T5_mT6_T7_P12ihipStream_tbENKUlT_T0_E_clISt17integral_constantIbLb0EES11_EEDaSW_SX_EUlSW_E_NS1_11comp_targetILNS1_3genE0ELNS1_11target_archE4294967295ELNS1_3gpuE0ELNS1_3repE0EEENS1_30default_config_static_selectorELNS0_4arch9wavefront6targetE0EEEvT1_.has_indirect_call, 0
	.section	.AMDGPU.csdata,"",@progbits
; Kernel info:
; codeLenInByte = 11560
; TotalNumSgprs: 51
; NumVgprs: 73
; ScratchSize: 0
; MemoryBound: 0
; FloatMode: 240
; IeeeMode: 1
; LDSByteSize: 10240 bytes/workgroup (compile time only)
; SGPRBlocks: 0
; VGPRBlocks: 4
; NumSGPRsForWavesPerEU: 51
; NumVGPRsForWavesPerEU: 73
; NamedBarCnt: 0
; Occupancy: 12
; WaveLimiterHint : 1
; COMPUTE_PGM_RSRC2:SCRATCH_EN: 0
; COMPUTE_PGM_RSRC2:USER_SGPR: 2
; COMPUTE_PGM_RSRC2:TRAP_HANDLER: 0
; COMPUTE_PGM_RSRC2:TGID_X_EN: 1
; COMPUTE_PGM_RSRC2:TGID_Y_EN: 0
; COMPUTE_PGM_RSRC2:TGID_Z_EN: 0
; COMPUTE_PGM_RSRC2:TIDIG_COMP_CNT: 0
	.section	.text._ZN7rocprim17ROCPRIM_400000_NS6detail17trampoline_kernelINS0_14default_configENS1_27scan_by_key_config_selectorIiyEEZZNS1_16scan_by_key_implILNS1_25lookback_scan_determinismE0ELb1ES3_N6thrust23THRUST_200600_302600_NS6detail15normal_iteratorINS9_10device_ptrIiEEEENSB_INSC_IyEEEESG_yNS9_4plusIvEENS9_8equal_toIvEEyEE10hipError_tPvRmT2_T3_T4_T5_mT6_T7_P12ihipStream_tbENKUlT_T0_E_clISt17integral_constantIbLb0EES11_EEDaSW_SX_EUlSW_E_NS1_11comp_targetILNS1_3genE10ELNS1_11target_archE1201ELNS1_3gpuE5ELNS1_3repE0EEENS1_30default_config_static_selectorELNS0_4arch9wavefront6targetE0EEEvT1_,"axG",@progbits,_ZN7rocprim17ROCPRIM_400000_NS6detail17trampoline_kernelINS0_14default_configENS1_27scan_by_key_config_selectorIiyEEZZNS1_16scan_by_key_implILNS1_25lookback_scan_determinismE0ELb1ES3_N6thrust23THRUST_200600_302600_NS6detail15normal_iteratorINS9_10device_ptrIiEEEENSB_INSC_IyEEEESG_yNS9_4plusIvEENS9_8equal_toIvEEyEE10hipError_tPvRmT2_T3_T4_T5_mT6_T7_P12ihipStream_tbENKUlT_T0_E_clISt17integral_constantIbLb0EES11_EEDaSW_SX_EUlSW_E_NS1_11comp_targetILNS1_3genE10ELNS1_11target_archE1201ELNS1_3gpuE5ELNS1_3repE0EEENS1_30default_config_static_selectorELNS0_4arch9wavefront6targetE0EEEvT1_,comdat
	.protected	_ZN7rocprim17ROCPRIM_400000_NS6detail17trampoline_kernelINS0_14default_configENS1_27scan_by_key_config_selectorIiyEEZZNS1_16scan_by_key_implILNS1_25lookback_scan_determinismE0ELb1ES3_N6thrust23THRUST_200600_302600_NS6detail15normal_iteratorINS9_10device_ptrIiEEEENSB_INSC_IyEEEESG_yNS9_4plusIvEENS9_8equal_toIvEEyEE10hipError_tPvRmT2_T3_T4_T5_mT6_T7_P12ihipStream_tbENKUlT_T0_E_clISt17integral_constantIbLb0EES11_EEDaSW_SX_EUlSW_E_NS1_11comp_targetILNS1_3genE10ELNS1_11target_archE1201ELNS1_3gpuE5ELNS1_3repE0EEENS1_30default_config_static_selectorELNS0_4arch9wavefront6targetE0EEEvT1_ ; -- Begin function _ZN7rocprim17ROCPRIM_400000_NS6detail17trampoline_kernelINS0_14default_configENS1_27scan_by_key_config_selectorIiyEEZZNS1_16scan_by_key_implILNS1_25lookback_scan_determinismE0ELb1ES3_N6thrust23THRUST_200600_302600_NS6detail15normal_iteratorINS9_10device_ptrIiEEEENSB_INSC_IyEEEESG_yNS9_4plusIvEENS9_8equal_toIvEEyEE10hipError_tPvRmT2_T3_T4_T5_mT6_T7_P12ihipStream_tbENKUlT_T0_E_clISt17integral_constantIbLb0EES11_EEDaSW_SX_EUlSW_E_NS1_11comp_targetILNS1_3genE10ELNS1_11target_archE1201ELNS1_3gpuE5ELNS1_3repE0EEENS1_30default_config_static_selectorELNS0_4arch9wavefront6targetE0EEEvT1_
	.globl	_ZN7rocprim17ROCPRIM_400000_NS6detail17trampoline_kernelINS0_14default_configENS1_27scan_by_key_config_selectorIiyEEZZNS1_16scan_by_key_implILNS1_25lookback_scan_determinismE0ELb1ES3_N6thrust23THRUST_200600_302600_NS6detail15normal_iteratorINS9_10device_ptrIiEEEENSB_INSC_IyEEEESG_yNS9_4plusIvEENS9_8equal_toIvEEyEE10hipError_tPvRmT2_T3_T4_T5_mT6_T7_P12ihipStream_tbENKUlT_T0_E_clISt17integral_constantIbLb0EES11_EEDaSW_SX_EUlSW_E_NS1_11comp_targetILNS1_3genE10ELNS1_11target_archE1201ELNS1_3gpuE5ELNS1_3repE0EEENS1_30default_config_static_selectorELNS0_4arch9wavefront6targetE0EEEvT1_
	.p2align	8
	.type	_ZN7rocprim17ROCPRIM_400000_NS6detail17trampoline_kernelINS0_14default_configENS1_27scan_by_key_config_selectorIiyEEZZNS1_16scan_by_key_implILNS1_25lookback_scan_determinismE0ELb1ES3_N6thrust23THRUST_200600_302600_NS6detail15normal_iteratorINS9_10device_ptrIiEEEENSB_INSC_IyEEEESG_yNS9_4plusIvEENS9_8equal_toIvEEyEE10hipError_tPvRmT2_T3_T4_T5_mT6_T7_P12ihipStream_tbENKUlT_T0_E_clISt17integral_constantIbLb0EES11_EEDaSW_SX_EUlSW_E_NS1_11comp_targetILNS1_3genE10ELNS1_11target_archE1201ELNS1_3gpuE5ELNS1_3repE0EEENS1_30default_config_static_selectorELNS0_4arch9wavefront6targetE0EEEvT1_,@function
_ZN7rocprim17ROCPRIM_400000_NS6detail17trampoline_kernelINS0_14default_configENS1_27scan_by_key_config_selectorIiyEEZZNS1_16scan_by_key_implILNS1_25lookback_scan_determinismE0ELb1ES3_N6thrust23THRUST_200600_302600_NS6detail15normal_iteratorINS9_10device_ptrIiEEEENSB_INSC_IyEEEESG_yNS9_4plusIvEENS9_8equal_toIvEEyEE10hipError_tPvRmT2_T3_T4_T5_mT6_T7_P12ihipStream_tbENKUlT_T0_E_clISt17integral_constantIbLb0EES11_EEDaSW_SX_EUlSW_E_NS1_11comp_targetILNS1_3genE10ELNS1_11target_archE1201ELNS1_3gpuE5ELNS1_3repE0EEENS1_30default_config_static_selectorELNS0_4arch9wavefront6targetE0EEEvT1_: ; @_ZN7rocprim17ROCPRIM_400000_NS6detail17trampoline_kernelINS0_14default_configENS1_27scan_by_key_config_selectorIiyEEZZNS1_16scan_by_key_implILNS1_25lookback_scan_determinismE0ELb1ES3_N6thrust23THRUST_200600_302600_NS6detail15normal_iteratorINS9_10device_ptrIiEEEENSB_INSC_IyEEEESG_yNS9_4plusIvEENS9_8equal_toIvEEyEE10hipError_tPvRmT2_T3_T4_T5_mT6_T7_P12ihipStream_tbENKUlT_T0_E_clISt17integral_constantIbLb0EES11_EEDaSW_SX_EUlSW_E_NS1_11comp_targetILNS1_3genE10ELNS1_11target_archE1201ELNS1_3gpuE5ELNS1_3repE0EEENS1_30default_config_static_selectorELNS0_4arch9wavefront6targetE0EEEvT1_
; %bb.0:
	.section	.rodata,"a",@progbits
	.p2align	6, 0x0
	.amdhsa_kernel _ZN7rocprim17ROCPRIM_400000_NS6detail17trampoline_kernelINS0_14default_configENS1_27scan_by_key_config_selectorIiyEEZZNS1_16scan_by_key_implILNS1_25lookback_scan_determinismE0ELb1ES3_N6thrust23THRUST_200600_302600_NS6detail15normal_iteratorINS9_10device_ptrIiEEEENSB_INSC_IyEEEESG_yNS9_4plusIvEENS9_8equal_toIvEEyEE10hipError_tPvRmT2_T3_T4_T5_mT6_T7_P12ihipStream_tbENKUlT_T0_E_clISt17integral_constantIbLb0EES11_EEDaSW_SX_EUlSW_E_NS1_11comp_targetILNS1_3genE10ELNS1_11target_archE1201ELNS1_3gpuE5ELNS1_3repE0EEENS1_30default_config_static_selectorELNS0_4arch9wavefront6targetE0EEEvT1_
		.amdhsa_group_segment_fixed_size 0
		.amdhsa_private_segment_fixed_size 0
		.amdhsa_kernarg_size 136
		.amdhsa_user_sgpr_count 2
		.amdhsa_user_sgpr_dispatch_ptr 0
		.amdhsa_user_sgpr_queue_ptr 0
		.amdhsa_user_sgpr_kernarg_segment_ptr 1
		.amdhsa_user_sgpr_dispatch_id 0
		.amdhsa_user_sgpr_kernarg_preload_length 0
		.amdhsa_user_sgpr_kernarg_preload_offset 0
		.amdhsa_user_sgpr_private_segment_size 0
		.amdhsa_wavefront_size32 1
		.amdhsa_uses_dynamic_stack 0
		.amdhsa_enable_private_segment 0
		.amdhsa_system_sgpr_workgroup_id_x 1
		.amdhsa_system_sgpr_workgroup_id_y 0
		.amdhsa_system_sgpr_workgroup_id_z 0
		.amdhsa_system_sgpr_workgroup_info 0
		.amdhsa_system_vgpr_workitem_id 0
		.amdhsa_next_free_vgpr 1
		.amdhsa_next_free_sgpr 1
		.amdhsa_named_barrier_count 0
		.amdhsa_reserve_vcc 0
		.amdhsa_float_round_mode_32 0
		.amdhsa_float_round_mode_16_64 0
		.amdhsa_float_denorm_mode_32 3
		.amdhsa_float_denorm_mode_16_64 3
		.amdhsa_fp16_overflow 0
		.amdhsa_memory_ordered 1
		.amdhsa_forward_progress 1
		.amdhsa_inst_pref_size 0
		.amdhsa_round_robin_scheduling 0
		.amdhsa_exception_fp_ieee_invalid_op 0
		.amdhsa_exception_fp_denorm_src 0
		.amdhsa_exception_fp_ieee_div_zero 0
		.amdhsa_exception_fp_ieee_overflow 0
		.amdhsa_exception_fp_ieee_underflow 0
		.amdhsa_exception_fp_ieee_inexact 0
		.amdhsa_exception_int_div_zero 0
	.end_amdhsa_kernel
	.section	.text._ZN7rocprim17ROCPRIM_400000_NS6detail17trampoline_kernelINS0_14default_configENS1_27scan_by_key_config_selectorIiyEEZZNS1_16scan_by_key_implILNS1_25lookback_scan_determinismE0ELb1ES3_N6thrust23THRUST_200600_302600_NS6detail15normal_iteratorINS9_10device_ptrIiEEEENSB_INSC_IyEEEESG_yNS9_4plusIvEENS9_8equal_toIvEEyEE10hipError_tPvRmT2_T3_T4_T5_mT6_T7_P12ihipStream_tbENKUlT_T0_E_clISt17integral_constantIbLb0EES11_EEDaSW_SX_EUlSW_E_NS1_11comp_targetILNS1_3genE10ELNS1_11target_archE1201ELNS1_3gpuE5ELNS1_3repE0EEENS1_30default_config_static_selectorELNS0_4arch9wavefront6targetE0EEEvT1_,"axG",@progbits,_ZN7rocprim17ROCPRIM_400000_NS6detail17trampoline_kernelINS0_14default_configENS1_27scan_by_key_config_selectorIiyEEZZNS1_16scan_by_key_implILNS1_25lookback_scan_determinismE0ELb1ES3_N6thrust23THRUST_200600_302600_NS6detail15normal_iteratorINS9_10device_ptrIiEEEENSB_INSC_IyEEEESG_yNS9_4plusIvEENS9_8equal_toIvEEyEE10hipError_tPvRmT2_T3_T4_T5_mT6_T7_P12ihipStream_tbENKUlT_T0_E_clISt17integral_constantIbLb0EES11_EEDaSW_SX_EUlSW_E_NS1_11comp_targetILNS1_3genE10ELNS1_11target_archE1201ELNS1_3gpuE5ELNS1_3repE0EEENS1_30default_config_static_selectorELNS0_4arch9wavefront6targetE0EEEvT1_,comdat
.Lfunc_end1464:
	.size	_ZN7rocprim17ROCPRIM_400000_NS6detail17trampoline_kernelINS0_14default_configENS1_27scan_by_key_config_selectorIiyEEZZNS1_16scan_by_key_implILNS1_25lookback_scan_determinismE0ELb1ES3_N6thrust23THRUST_200600_302600_NS6detail15normal_iteratorINS9_10device_ptrIiEEEENSB_INSC_IyEEEESG_yNS9_4plusIvEENS9_8equal_toIvEEyEE10hipError_tPvRmT2_T3_T4_T5_mT6_T7_P12ihipStream_tbENKUlT_T0_E_clISt17integral_constantIbLb0EES11_EEDaSW_SX_EUlSW_E_NS1_11comp_targetILNS1_3genE10ELNS1_11target_archE1201ELNS1_3gpuE5ELNS1_3repE0EEENS1_30default_config_static_selectorELNS0_4arch9wavefront6targetE0EEEvT1_, .Lfunc_end1464-_ZN7rocprim17ROCPRIM_400000_NS6detail17trampoline_kernelINS0_14default_configENS1_27scan_by_key_config_selectorIiyEEZZNS1_16scan_by_key_implILNS1_25lookback_scan_determinismE0ELb1ES3_N6thrust23THRUST_200600_302600_NS6detail15normal_iteratorINS9_10device_ptrIiEEEENSB_INSC_IyEEEESG_yNS9_4plusIvEENS9_8equal_toIvEEyEE10hipError_tPvRmT2_T3_T4_T5_mT6_T7_P12ihipStream_tbENKUlT_T0_E_clISt17integral_constantIbLb0EES11_EEDaSW_SX_EUlSW_E_NS1_11comp_targetILNS1_3genE10ELNS1_11target_archE1201ELNS1_3gpuE5ELNS1_3repE0EEENS1_30default_config_static_selectorELNS0_4arch9wavefront6targetE0EEEvT1_
                                        ; -- End function
	.set _ZN7rocprim17ROCPRIM_400000_NS6detail17trampoline_kernelINS0_14default_configENS1_27scan_by_key_config_selectorIiyEEZZNS1_16scan_by_key_implILNS1_25lookback_scan_determinismE0ELb1ES3_N6thrust23THRUST_200600_302600_NS6detail15normal_iteratorINS9_10device_ptrIiEEEENSB_INSC_IyEEEESG_yNS9_4plusIvEENS9_8equal_toIvEEyEE10hipError_tPvRmT2_T3_T4_T5_mT6_T7_P12ihipStream_tbENKUlT_T0_E_clISt17integral_constantIbLb0EES11_EEDaSW_SX_EUlSW_E_NS1_11comp_targetILNS1_3genE10ELNS1_11target_archE1201ELNS1_3gpuE5ELNS1_3repE0EEENS1_30default_config_static_selectorELNS0_4arch9wavefront6targetE0EEEvT1_.num_vgpr, 0
	.set _ZN7rocprim17ROCPRIM_400000_NS6detail17trampoline_kernelINS0_14default_configENS1_27scan_by_key_config_selectorIiyEEZZNS1_16scan_by_key_implILNS1_25lookback_scan_determinismE0ELb1ES3_N6thrust23THRUST_200600_302600_NS6detail15normal_iteratorINS9_10device_ptrIiEEEENSB_INSC_IyEEEESG_yNS9_4plusIvEENS9_8equal_toIvEEyEE10hipError_tPvRmT2_T3_T4_T5_mT6_T7_P12ihipStream_tbENKUlT_T0_E_clISt17integral_constantIbLb0EES11_EEDaSW_SX_EUlSW_E_NS1_11comp_targetILNS1_3genE10ELNS1_11target_archE1201ELNS1_3gpuE5ELNS1_3repE0EEENS1_30default_config_static_selectorELNS0_4arch9wavefront6targetE0EEEvT1_.num_agpr, 0
	.set _ZN7rocprim17ROCPRIM_400000_NS6detail17trampoline_kernelINS0_14default_configENS1_27scan_by_key_config_selectorIiyEEZZNS1_16scan_by_key_implILNS1_25lookback_scan_determinismE0ELb1ES3_N6thrust23THRUST_200600_302600_NS6detail15normal_iteratorINS9_10device_ptrIiEEEENSB_INSC_IyEEEESG_yNS9_4plusIvEENS9_8equal_toIvEEyEE10hipError_tPvRmT2_T3_T4_T5_mT6_T7_P12ihipStream_tbENKUlT_T0_E_clISt17integral_constantIbLb0EES11_EEDaSW_SX_EUlSW_E_NS1_11comp_targetILNS1_3genE10ELNS1_11target_archE1201ELNS1_3gpuE5ELNS1_3repE0EEENS1_30default_config_static_selectorELNS0_4arch9wavefront6targetE0EEEvT1_.numbered_sgpr, 0
	.set _ZN7rocprim17ROCPRIM_400000_NS6detail17trampoline_kernelINS0_14default_configENS1_27scan_by_key_config_selectorIiyEEZZNS1_16scan_by_key_implILNS1_25lookback_scan_determinismE0ELb1ES3_N6thrust23THRUST_200600_302600_NS6detail15normal_iteratorINS9_10device_ptrIiEEEENSB_INSC_IyEEEESG_yNS9_4plusIvEENS9_8equal_toIvEEyEE10hipError_tPvRmT2_T3_T4_T5_mT6_T7_P12ihipStream_tbENKUlT_T0_E_clISt17integral_constantIbLb0EES11_EEDaSW_SX_EUlSW_E_NS1_11comp_targetILNS1_3genE10ELNS1_11target_archE1201ELNS1_3gpuE5ELNS1_3repE0EEENS1_30default_config_static_selectorELNS0_4arch9wavefront6targetE0EEEvT1_.num_named_barrier, 0
	.set _ZN7rocprim17ROCPRIM_400000_NS6detail17trampoline_kernelINS0_14default_configENS1_27scan_by_key_config_selectorIiyEEZZNS1_16scan_by_key_implILNS1_25lookback_scan_determinismE0ELb1ES3_N6thrust23THRUST_200600_302600_NS6detail15normal_iteratorINS9_10device_ptrIiEEEENSB_INSC_IyEEEESG_yNS9_4plusIvEENS9_8equal_toIvEEyEE10hipError_tPvRmT2_T3_T4_T5_mT6_T7_P12ihipStream_tbENKUlT_T0_E_clISt17integral_constantIbLb0EES11_EEDaSW_SX_EUlSW_E_NS1_11comp_targetILNS1_3genE10ELNS1_11target_archE1201ELNS1_3gpuE5ELNS1_3repE0EEENS1_30default_config_static_selectorELNS0_4arch9wavefront6targetE0EEEvT1_.private_seg_size, 0
	.set _ZN7rocprim17ROCPRIM_400000_NS6detail17trampoline_kernelINS0_14default_configENS1_27scan_by_key_config_selectorIiyEEZZNS1_16scan_by_key_implILNS1_25lookback_scan_determinismE0ELb1ES3_N6thrust23THRUST_200600_302600_NS6detail15normal_iteratorINS9_10device_ptrIiEEEENSB_INSC_IyEEEESG_yNS9_4plusIvEENS9_8equal_toIvEEyEE10hipError_tPvRmT2_T3_T4_T5_mT6_T7_P12ihipStream_tbENKUlT_T0_E_clISt17integral_constantIbLb0EES11_EEDaSW_SX_EUlSW_E_NS1_11comp_targetILNS1_3genE10ELNS1_11target_archE1201ELNS1_3gpuE5ELNS1_3repE0EEENS1_30default_config_static_selectorELNS0_4arch9wavefront6targetE0EEEvT1_.uses_vcc, 0
	.set _ZN7rocprim17ROCPRIM_400000_NS6detail17trampoline_kernelINS0_14default_configENS1_27scan_by_key_config_selectorIiyEEZZNS1_16scan_by_key_implILNS1_25lookback_scan_determinismE0ELb1ES3_N6thrust23THRUST_200600_302600_NS6detail15normal_iteratorINS9_10device_ptrIiEEEENSB_INSC_IyEEEESG_yNS9_4plusIvEENS9_8equal_toIvEEyEE10hipError_tPvRmT2_T3_T4_T5_mT6_T7_P12ihipStream_tbENKUlT_T0_E_clISt17integral_constantIbLb0EES11_EEDaSW_SX_EUlSW_E_NS1_11comp_targetILNS1_3genE10ELNS1_11target_archE1201ELNS1_3gpuE5ELNS1_3repE0EEENS1_30default_config_static_selectorELNS0_4arch9wavefront6targetE0EEEvT1_.uses_flat_scratch, 0
	.set _ZN7rocprim17ROCPRIM_400000_NS6detail17trampoline_kernelINS0_14default_configENS1_27scan_by_key_config_selectorIiyEEZZNS1_16scan_by_key_implILNS1_25lookback_scan_determinismE0ELb1ES3_N6thrust23THRUST_200600_302600_NS6detail15normal_iteratorINS9_10device_ptrIiEEEENSB_INSC_IyEEEESG_yNS9_4plusIvEENS9_8equal_toIvEEyEE10hipError_tPvRmT2_T3_T4_T5_mT6_T7_P12ihipStream_tbENKUlT_T0_E_clISt17integral_constantIbLb0EES11_EEDaSW_SX_EUlSW_E_NS1_11comp_targetILNS1_3genE10ELNS1_11target_archE1201ELNS1_3gpuE5ELNS1_3repE0EEENS1_30default_config_static_selectorELNS0_4arch9wavefront6targetE0EEEvT1_.has_dyn_sized_stack, 0
	.set _ZN7rocprim17ROCPRIM_400000_NS6detail17trampoline_kernelINS0_14default_configENS1_27scan_by_key_config_selectorIiyEEZZNS1_16scan_by_key_implILNS1_25lookback_scan_determinismE0ELb1ES3_N6thrust23THRUST_200600_302600_NS6detail15normal_iteratorINS9_10device_ptrIiEEEENSB_INSC_IyEEEESG_yNS9_4plusIvEENS9_8equal_toIvEEyEE10hipError_tPvRmT2_T3_T4_T5_mT6_T7_P12ihipStream_tbENKUlT_T0_E_clISt17integral_constantIbLb0EES11_EEDaSW_SX_EUlSW_E_NS1_11comp_targetILNS1_3genE10ELNS1_11target_archE1201ELNS1_3gpuE5ELNS1_3repE0EEENS1_30default_config_static_selectorELNS0_4arch9wavefront6targetE0EEEvT1_.has_recursion, 0
	.set _ZN7rocprim17ROCPRIM_400000_NS6detail17trampoline_kernelINS0_14default_configENS1_27scan_by_key_config_selectorIiyEEZZNS1_16scan_by_key_implILNS1_25lookback_scan_determinismE0ELb1ES3_N6thrust23THRUST_200600_302600_NS6detail15normal_iteratorINS9_10device_ptrIiEEEENSB_INSC_IyEEEESG_yNS9_4plusIvEENS9_8equal_toIvEEyEE10hipError_tPvRmT2_T3_T4_T5_mT6_T7_P12ihipStream_tbENKUlT_T0_E_clISt17integral_constantIbLb0EES11_EEDaSW_SX_EUlSW_E_NS1_11comp_targetILNS1_3genE10ELNS1_11target_archE1201ELNS1_3gpuE5ELNS1_3repE0EEENS1_30default_config_static_selectorELNS0_4arch9wavefront6targetE0EEEvT1_.has_indirect_call, 0
	.section	.AMDGPU.csdata,"",@progbits
; Kernel info:
; codeLenInByte = 0
; TotalNumSgprs: 0
; NumVgprs: 0
; ScratchSize: 0
; MemoryBound: 0
; FloatMode: 240
; IeeeMode: 1
; LDSByteSize: 0 bytes/workgroup (compile time only)
; SGPRBlocks: 0
; VGPRBlocks: 0
; NumSGPRsForWavesPerEU: 1
; NumVGPRsForWavesPerEU: 1
; NamedBarCnt: 0
; Occupancy: 16
; WaveLimiterHint : 0
; COMPUTE_PGM_RSRC2:SCRATCH_EN: 0
; COMPUTE_PGM_RSRC2:USER_SGPR: 2
; COMPUTE_PGM_RSRC2:TRAP_HANDLER: 0
; COMPUTE_PGM_RSRC2:TGID_X_EN: 1
; COMPUTE_PGM_RSRC2:TGID_Y_EN: 0
; COMPUTE_PGM_RSRC2:TGID_Z_EN: 0
; COMPUTE_PGM_RSRC2:TIDIG_COMP_CNT: 0
	.section	.text._ZN7rocprim17ROCPRIM_400000_NS6detail17trampoline_kernelINS0_14default_configENS1_27scan_by_key_config_selectorIiyEEZZNS1_16scan_by_key_implILNS1_25lookback_scan_determinismE0ELb1ES3_N6thrust23THRUST_200600_302600_NS6detail15normal_iteratorINS9_10device_ptrIiEEEENSB_INSC_IyEEEESG_yNS9_4plusIvEENS9_8equal_toIvEEyEE10hipError_tPvRmT2_T3_T4_T5_mT6_T7_P12ihipStream_tbENKUlT_T0_E_clISt17integral_constantIbLb0EES11_EEDaSW_SX_EUlSW_E_NS1_11comp_targetILNS1_3genE5ELNS1_11target_archE942ELNS1_3gpuE9ELNS1_3repE0EEENS1_30default_config_static_selectorELNS0_4arch9wavefront6targetE0EEEvT1_,"axG",@progbits,_ZN7rocprim17ROCPRIM_400000_NS6detail17trampoline_kernelINS0_14default_configENS1_27scan_by_key_config_selectorIiyEEZZNS1_16scan_by_key_implILNS1_25lookback_scan_determinismE0ELb1ES3_N6thrust23THRUST_200600_302600_NS6detail15normal_iteratorINS9_10device_ptrIiEEEENSB_INSC_IyEEEESG_yNS9_4plusIvEENS9_8equal_toIvEEyEE10hipError_tPvRmT2_T3_T4_T5_mT6_T7_P12ihipStream_tbENKUlT_T0_E_clISt17integral_constantIbLb0EES11_EEDaSW_SX_EUlSW_E_NS1_11comp_targetILNS1_3genE5ELNS1_11target_archE942ELNS1_3gpuE9ELNS1_3repE0EEENS1_30default_config_static_selectorELNS0_4arch9wavefront6targetE0EEEvT1_,comdat
	.protected	_ZN7rocprim17ROCPRIM_400000_NS6detail17trampoline_kernelINS0_14default_configENS1_27scan_by_key_config_selectorIiyEEZZNS1_16scan_by_key_implILNS1_25lookback_scan_determinismE0ELb1ES3_N6thrust23THRUST_200600_302600_NS6detail15normal_iteratorINS9_10device_ptrIiEEEENSB_INSC_IyEEEESG_yNS9_4plusIvEENS9_8equal_toIvEEyEE10hipError_tPvRmT2_T3_T4_T5_mT6_T7_P12ihipStream_tbENKUlT_T0_E_clISt17integral_constantIbLb0EES11_EEDaSW_SX_EUlSW_E_NS1_11comp_targetILNS1_3genE5ELNS1_11target_archE942ELNS1_3gpuE9ELNS1_3repE0EEENS1_30default_config_static_selectorELNS0_4arch9wavefront6targetE0EEEvT1_ ; -- Begin function _ZN7rocprim17ROCPRIM_400000_NS6detail17trampoline_kernelINS0_14default_configENS1_27scan_by_key_config_selectorIiyEEZZNS1_16scan_by_key_implILNS1_25lookback_scan_determinismE0ELb1ES3_N6thrust23THRUST_200600_302600_NS6detail15normal_iteratorINS9_10device_ptrIiEEEENSB_INSC_IyEEEESG_yNS9_4plusIvEENS9_8equal_toIvEEyEE10hipError_tPvRmT2_T3_T4_T5_mT6_T7_P12ihipStream_tbENKUlT_T0_E_clISt17integral_constantIbLb0EES11_EEDaSW_SX_EUlSW_E_NS1_11comp_targetILNS1_3genE5ELNS1_11target_archE942ELNS1_3gpuE9ELNS1_3repE0EEENS1_30default_config_static_selectorELNS0_4arch9wavefront6targetE0EEEvT1_
	.globl	_ZN7rocprim17ROCPRIM_400000_NS6detail17trampoline_kernelINS0_14default_configENS1_27scan_by_key_config_selectorIiyEEZZNS1_16scan_by_key_implILNS1_25lookback_scan_determinismE0ELb1ES3_N6thrust23THRUST_200600_302600_NS6detail15normal_iteratorINS9_10device_ptrIiEEEENSB_INSC_IyEEEESG_yNS9_4plusIvEENS9_8equal_toIvEEyEE10hipError_tPvRmT2_T3_T4_T5_mT6_T7_P12ihipStream_tbENKUlT_T0_E_clISt17integral_constantIbLb0EES11_EEDaSW_SX_EUlSW_E_NS1_11comp_targetILNS1_3genE5ELNS1_11target_archE942ELNS1_3gpuE9ELNS1_3repE0EEENS1_30default_config_static_selectorELNS0_4arch9wavefront6targetE0EEEvT1_
	.p2align	8
	.type	_ZN7rocprim17ROCPRIM_400000_NS6detail17trampoline_kernelINS0_14default_configENS1_27scan_by_key_config_selectorIiyEEZZNS1_16scan_by_key_implILNS1_25lookback_scan_determinismE0ELb1ES3_N6thrust23THRUST_200600_302600_NS6detail15normal_iteratorINS9_10device_ptrIiEEEENSB_INSC_IyEEEESG_yNS9_4plusIvEENS9_8equal_toIvEEyEE10hipError_tPvRmT2_T3_T4_T5_mT6_T7_P12ihipStream_tbENKUlT_T0_E_clISt17integral_constantIbLb0EES11_EEDaSW_SX_EUlSW_E_NS1_11comp_targetILNS1_3genE5ELNS1_11target_archE942ELNS1_3gpuE9ELNS1_3repE0EEENS1_30default_config_static_selectorELNS0_4arch9wavefront6targetE0EEEvT1_,@function
_ZN7rocprim17ROCPRIM_400000_NS6detail17trampoline_kernelINS0_14default_configENS1_27scan_by_key_config_selectorIiyEEZZNS1_16scan_by_key_implILNS1_25lookback_scan_determinismE0ELb1ES3_N6thrust23THRUST_200600_302600_NS6detail15normal_iteratorINS9_10device_ptrIiEEEENSB_INSC_IyEEEESG_yNS9_4plusIvEENS9_8equal_toIvEEyEE10hipError_tPvRmT2_T3_T4_T5_mT6_T7_P12ihipStream_tbENKUlT_T0_E_clISt17integral_constantIbLb0EES11_EEDaSW_SX_EUlSW_E_NS1_11comp_targetILNS1_3genE5ELNS1_11target_archE942ELNS1_3gpuE9ELNS1_3repE0EEENS1_30default_config_static_selectorELNS0_4arch9wavefront6targetE0EEEvT1_: ; @_ZN7rocprim17ROCPRIM_400000_NS6detail17trampoline_kernelINS0_14default_configENS1_27scan_by_key_config_selectorIiyEEZZNS1_16scan_by_key_implILNS1_25lookback_scan_determinismE0ELb1ES3_N6thrust23THRUST_200600_302600_NS6detail15normal_iteratorINS9_10device_ptrIiEEEENSB_INSC_IyEEEESG_yNS9_4plusIvEENS9_8equal_toIvEEyEE10hipError_tPvRmT2_T3_T4_T5_mT6_T7_P12ihipStream_tbENKUlT_T0_E_clISt17integral_constantIbLb0EES11_EEDaSW_SX_EUlSW_E_NS1_11comp_targetILNS1_3genE5ELNS1_11target_archE942ELNS1_3gpuE9ELNS1_3repE0EEENS1_30default_config_static_selectorELNS0_4arch9wavefront6targetE0EEEvT1_
; %bb.0:
	.section	.rodata,"a",@progbits
	.p2align	6, 0x0
	.amdhsa_kernel _ZN7rocprim17ROCPRIM_400000_NS6detail17trampoline_kernelINS0_14default_configENS1_27scan_by_key_config_selectorIiyEEZZNS1_16scan_by_key_implILNS1_25lookback_scan_determinismE0ELb1ES3_N6thrust23THRUST_200600_302600_NS6detail15normal_iteratorINS9_10device_ptrIiEEEENSB_INSC_IyEEEESG_yNS9_4plusIvEENS9_8equal_toIvEEyEE10hipError_tPvRmT2_T3_T4_T5_mT6_T7_P12ihipStream_tbENKUlT_T0_E_clISt17integral_constantIbLb0EES11_EEDaSW_SX_EUlSW_E_NS1_11comp_targetILNS1_3genE5ELNS1_11target_archE942ELNS1_3gpuE9ELNS1_3repE0EEENS1_30default_config_static_selectorELNS0_4arch9wavefront6targetE0EEEvT1_
		.amdhsa_group_segment_fixed_size 0
		.amdhsa_private_segment_fixed_size 0
		.amdhsa_kernarg_size 136
		.amdhsa_user_sgpr_count 2
		.amdhsa_user_sgpr_dispatch_ptr 0
		.amdhsa_user_sgpr_queue_ptr 0
		.amdhsa_user_sgpr_kernarg_segment_ptr 1
		.amdhsa_user_sgpr_dispatch_id 0
		.amdhsa_user_sgpr_kernarg_preload_length 0
		.amdhsa_user_sgpr_kernarg_preload_offset 0
		.amdhsa_user_sgpr_private_segment_size 0
		.amdhsa_wavefront_size32 1
		.amdhsa_uses_dynamic_stack 0
		.amdhsa_enable_private_segment 0
		.amdhsa_system_sgpr_workgroup_id_x 1
		.amdhsa_system_sgpr_workgroup_id_y 0
		.amdhsa_system_sgpr_workgroup_id_z 0
		.amdhsa_system_sgpr_workgroup_info 0
		.amdhsa_system_vgpr_workitem_id 0
		.amdhsa_next_free_vgpr 1
		.amdhsa_next_free_sgpr 1
		.amdhsa_named_barrier_count 0
		.amdhsa_reserve_vcc 0
		.amdhsa_float_round_mode_32 0
		.amdhsa_float_round_mode_16_64 0
		.amdhsa_float_denorm_mode_32 3
		.amdhsa_float_denorm_mode_16_64 3
		.amdhsa_fp16_overflow 0
		.amdhsa_memory_ordered 1
		.amdhsa_forward_progress 1
		.amdhsa_inst_pref_size 0
		.amdhsa_round_robin_scheduling 0
		.amdhsa_exception_fp_ieee_invalid_op 0
		.amdhsa_exception_fp_denorm_src 0
		.amdhsa_exception_fp_ieee_div_zero 0
		.amdhsa_exception_fp_ieee_overflow 0
		.amdhsa_exception_fp_ieee_underflow 0
		.amdhsa_exception_fp_ieee_inexact 0
		.amdhsa_exception_int_div_zero 0
	.end_amdhsa_kernel
	.section	.text._ZN7rocprim17ROCPRIM_400000_NS6detail17trampoline_kernelINS0_14default_configENS1_27scan_by_key_config_selectorIiyEEZZNS1_16scan_by_key_implILNS1_25lookback_scan_determinismE0ELb1ES3_N6thrust23THRUST_200600_302600_NS6detail15normal_iteratorINS9_10device_ptrIiEEEENSB_INSC_IyEEEESG_yNS9_4plusIvEENS9_8equal_toIvEEyEE10hipError_tPvRmT2_T3_T4_T5_mT6_T7_P12ihipStream_tbENKUlT_T0_E_clISt17integral_constantIbLb0EES11_EEDaSW_SX_EUlSW_E_NS1_11comp_targetILNS1_3genE5ELNS1_11target_archE942ELNS1_3gpuE9ELNS1_3repE0EEENS1_30default_config_static_selectorELNS0_4arch9wavefront6targetE0EEEvT1_,"axG",@progbits,_ZN7rocprim17ROCPRIM_400000_NS6detail17trampoline_kernelINS0_14default_configENS1_27scan_by_key_config_selectorIiyEEZZNS1_16scan_by_key_implILNS1_25lookback_scan_determinismE0ELb1ES3_N6thrust23THRUST_200600_302600_NS6detail15normal_iteratorINS9_10device_ptrIiEEEENSB_INSC_IyEEEESG_yNS9_4plusIvEENS9_8equal_toIvEEyEE10hipError_tPvRmT2_T3_T4_T5_mT6_T7_P12ihipStream_tbENKUlT_T0_E_clISt17integral_constantIbLb0EES11_EEDaSW_SX_EUlSW_E_NS1_11comp_targetILNS1_3genE5ELNS1_11target_archE942ELNS1_3gpuE9ELNS1_3repE0EEENS1_30default_config_static_selectorELNS0_4arch9wavefront6targetE0EEEvT1_,comdat
.Lfunc_end1465:
	.size	_ZN7rocprim17ROCPRIM_400000_NS6detail17trampoline_kernelINS0_14default_configENS1_27scan_by_key_config_selectorIiyEEZZNS1_16scan_by_key_implILNS1_25lookback_scan_determinismE0ELb1ES3_N6thrust23THRUST_200600_302600_NS6detail15normal_iteratorINS9_10device_ptrIiEEEENSB_INSC_IyEEEESG_yNS9_4plusIvEENS9_8equal_toIvEEyEE10hipError_tPvRmT2_T3_T4_T5_mT6_T7_P12ihipStream_tbENKUlT_T0_E_clISt17integral_constantIbLb0EES11_EEDaSW_SX_EUlSW_E_NS1_11comp_targetILNS1_3genE5ELNS1_11target_archE942ELNS1_3gpuE9ELNS1_3repE0EEENS1_30default_config_static_selectorELNS0_4arch9wavefront6targetE0EEEvT1_, .Lfunc_end1465-_ZN7rocprim17ROCPRIM_400000_NS6detail17trampoline_kernelINS0_14default_configENS1_27scan_by_key_config_selectorIiyEEZZNS1_16scan_by_key_implILNS1_25lookback_scan_determinismE0ELb1ES3_N6thrust23THRUST_200600_302600_NS6detail15normal_iteratorINS9_10device_ptrIiEEEENSB_INSC_IyEEEESG_yNS9_4plusIvEENS9_8equal_toIvEEyEE10hipError_tPvRmT2_T3_T4_T5_mT6_T7_P12ihipStream_tbENKUlT_T0_E_clISt17integral_constantIbLb0EES11_EEDaSW_SX_EUlSW_E_NS1_11comp_targetILNS1_3genE5ELNS1_11target_archE942ELNS1_3gpuE9ELNS1_3repE0EEENS1_30default_config_static_selectorELNS0_4arch9wavefront6targetE0EEEvT1_
                                        ; -- End function
	.set _ZN7rocprim17ROCPRIM_400000_NS6detail17trampoline_kernelINS0_14default_configENS1_27scan_by_key_config_selectorIiyEEZZNS1_16scan_by_key_implILNS1_25lookback_scan_determinismE0ELb1ES3_N6thrust23THRUST_200600_302600_NS6detail15normal_iteratorINS9_10device_ptrIiEEEENSB_INSC_IyEEEESG_yNS9_4plusIvEENS9_8equal_toIvEEyEE10hipError_tPvRmT2_T3_T4_T5_mT6_T7_P12ihipStream_tbENKUlT_T0_E_clISt17integral_constantIbLb0EES11_EEDaSW_SX_EUlSW_E_NS1_11comp_targetILNS1_3genE5ELNS1_11target_archE942ELNS1_3gpuE9ELNS1_3repE0EEENS1_30default_config_static_selectorELNS0_4arch9wavefront6targetE0EEEvT1_.num_vgpr, 0
	.set _ZN7rocprim17ROCPRIM_400000_NS6detail17trampoline_kernelINS0_14default_configENS1_27scan_by_key_config_selectorIiyEEZZNS1_16scan_by_key_implILNS1_25lookback_scan_determinismE0ELb1ES3_N6thrust23THRUST_200600_302600_NS6detail15normal_iteratorINS9_10device_ptrIiEEEENSB_INSC_IyEEEESG_yNS9_4plusIvEENS9_8equal_toIvEEyEE10hipError_tPvRmT2_T3_T4_T5_mT6_T7_P12ihipStream_tbENKUlT_T0_E_clISt17integral_constantIbLb0EES11_EEDaSW_SX_EUlSW_E_NS1_11comp_targetILNS1_3genE5ELNS1_11target_archE942ELNS1_3gpuE9ELNS1_3repE0EEENS1_30default_config_static_selectorELNS0_4arch9wavefront6targetE0EEEvT1_.num_agpr, 0
	.set _ZN7rocprim17ROCPRIM_400000_NS6detail17trampoline_kernelINS0_14default_configENS1_27scan_by_key_config_selectorIiyEEZZNS1_16scan_by_key_implILNS1_25lookback_scan_determinismE0ELb1ES3_N6thrust23THRUST_200600_302600_NS6detail15normal_iteratorINS9_10device_ptrIiEEEENSB_INSC_IyEEEESG_yNS9_4plusIvEENS9_8equal_toIvEEyEE10hipError_tPvRmT2_T3_T4_T5_mT6_T7_P12ihipStream_tbENKUlT_T0_E_clISt17integral_constantIbLb0EES11_EEDaSW_SX_EUlSW_E_NS1_11comp_targetILNS1_3genE5ELNS1_11target_archE942ELNS1_3gpuE9ELNS1_3repE0EEENS1_30default_config_static_selectorELNS0_4arch9wavefront6targetE0EEEvT1_.numbered_sgpr, 0
	.set _ZN7rocprim17ROCPRIM_400000_NS6detail17trampoline_kernelINS0_14default_configENS1_27scan_by_key_config_selectorIiyEEZZNS1_16scan_by_key_implILNS1_25lookback_scan_determinismE0ELb1ES3_N6thrust23THRUST_200600_302600_NS6detail15normal_iteratorINS9_10device_ptrIiEEEENSB_INSC_IyEEEESG_yNS9_4plusIvEENS9_8equal_toIvEEyEE10hipError_tPvRmT2_T3_T4_T5_mT6_T7_P12ihipStream_tbENKUlT_T0_E_clISt17integral_constantIbLb0EES11_EEDaSW_SX_EUlSW_E_NS1_11comp_targetILNS1_3genE5ELNS1_11target_archE942ELNS1_3gpuE9ELNS1_3repE0EEENS1_30default_config_static_selectorELNS0_4arch9wavefront6targetE0EEEvT1_.num_named_barrier, 0
	.set _ZN7rocprim17ROCPRIM_400000_NS6detail17trampoline_kernelINS0_14default_configENS1_27scan_by_key_config_selectorIiyEEZZNS1_16scan_by_key_implILNS1_25lookback_scan_determinismE0ELb1ES3_N6thrust23THRUST_200600_302600_NS6detail15normal_iteratorINS9_10device_ptrIiEEEENSB_INSC_IyEEEESG_yNS9_4plusIvEENS9_8equal_toIvEEyEE10hipError_tPvRmT2_T3_T4_T5_mT6_T7_P12ihipStream_tbENKUlT_T0_E_clISt17integral_constantIbLb0EES11_EEDaSW_SX_EUlSW_E_NS1_11comp_targetILNS1_3genE5ELNS1_11target_archE942ELNS1_3gpuE9ELNS1_3repE0EEENS1_30default_config_static_selectorELNS0_4arch9wavefront6targetE0EEEvT1_.private_seg_size, 0
	.set _ZN7rocprim17ROCPRIM_400000_NS6detail17trampoline_kernelINS0_14default_configENS1_27scan_by_key_config_selectorIiyEEZZNS1_16scan_by_key_implILNS1_25lookback_scan_determinismE0ELb1ES3_N6thrust23THRUST_200600_302600_NS6detail15normal_iteratorINS9_10device_ptrIiEEEENSB_INSC_IyEEEESG_yNS9_4plusIvEENS9_8equal_toIvEEyEE10hipError_tPvRmT2_T3_T4_T5_mT6_T7_P12ihipStream_tbENKUlT_T0_E_clISt17integral_constantIbLb0EES11_EEDaSW_SX_EUlSW_E_NS1_11comp_targetILNS1_3genE5ELNS1_11target_archE942ELNS1_3gpuE9ELNS1_3repE0EEENS1_30default_config_static_selectorELNS0_4arch9wavefront6targetE0EEEvT1_.uses_vcc, 0
	.set _ZN7rocprim17ROCPRIM_400000_NS6detail17trampoline_kernelINS0_14default_configENS1_27scan_by_key_config_selectorIiyEEZZNS1_16scan_by_key_implILNS1_25lookback_scan_determinismE0ELb1ES3_N6thrust23THRUST_200600_302600_NS6detail15normal_iteratorINS9_10device_ptrIiEEEENSB_INSC_IyEEEESG_yNS9_4plusIvEENS9_8equal_toIvEEyEE10hipError_tPvRmT2_T3_T4_T5_mT6_T7_P12ihipStream_tbENKUlT_T0_E_clISt17integral_constantIbLb0EES11_EEDaSW_SX_EUlSW_E_NS1_11comp_targetILNS1_3genE5ELNS1_11target_archE942ELNS1_3gpuE9ELNS1_3repE0EEENS1_30default_config_static_selectorELNS0_4arch9wavefront6targetE0EEEvT1_.uses_flat_scratch, 0
	.set _ZN7rocprim17ROCPRIM_400000_NS6detail17trampoline_kernelINS0_14default_configENS1_27scan_by_key_config_selectorIiyEEZZNS1_16scan_by_key_implILNS1_25lookback_scan_determinismE0ELb1ES3_N6thrust23THRUST_200600_302600_NS6detail15normal_iteratorINS9_10device_ptrIiEEEENSB_INSC_IyEEEESG_yNS9_4plusIvEENS9_8equal_toIvEEyEE10hipError_tPvRmT2_T3_T4_T5_mT6_T7_P12ihipStream_tbENKUlT_T0_E_clISt17integral_constantIbLb0EES11_EEDaSW_SX_EUlSW_E_NS1_11comp_targetILNS1_3genE5ELNS1_11target_archE942ELNS1_3gpuE9ELNS1_3repE0EEENS1_30default_config_static_selectorELNS0_4arch9wavefront6targetE0EEEvT1_.has_dyn_sized_stack, 0
	.set _ZN7rocprim17ROCPRIM_400000_NS6detail17trampoline_kernelINS0_14default_configENS1_27scan_by_key_config_selectorIiyEEZZNS1_16scan_by_key_implILNS1_25lookback_scan_determinismE0ELb1ES3_N6thrust23THRUST_200600_302600_NS6detail15normal_iteratorINS9_10device_ptrIiEEEENSB_INSC_IyEEEESG_yNS9_4plusIvEENS9_8equal_toIvEEyEE10hipError_tPvRmT2_T3_T4_T5_mT6_T7_P12ihipStream_tbENKUlT_T0_E_clISt17integral_constantIbLb0EES11_EEDaSW_SX_EUlSW_E_NS1_11comp_targetILNS1_3genE5ELNS1_11target_archE942ELNS1_3gpuE9ELNS1_3repE0EEENS1_30default_config_static_selectorELNS0_4arch9wavefront6targetE0EEEvT1_.has_recursion, 0
	.set _ZN7rocprim17ROCPRIM_400000_NS6detail17trampoline_kernelINS0_14default_configENS1_27scan_by_key_config_selectorIiyEEZZNS1_16scan_by_key_implILNS1_25lookback_scan_determinismE0ELb1ES3_N6thrust23THRUST_200600_302600_NS6detail15normal_iteratorINS9_10device_ptrIiEEEENSB_INSC_IyEEEESG_yNS9_4plusIvEENS9_8equal_toIvEEyEE10hipError_tPvRmT2_T3_T4_T5_mT6_T7_P12ihipStream_tbENKUlT_T0_E_clISt17integral_constantIbLb0EES11_EEDaSW_SX_EUlSW_E_NS1_11comp_targetILNS1_3genE5ELNS1_11target_archE942ELNS1_3gpuE9ELNS1_3repE0EEENS1_30default_config_static_selectorELNS0_4arch9wavefront6targetE0EEEvT1_.has_indirect_call, 0
	.section	.AMDGPU.csdata,"",@progbits
; Kernel info:
; codeLenInByte = 0
; TotalNumSgprs: 0
; NumVgprs: 0
; ScratchSize: 0
; MemoryBound: 0
; FloatMode: 240
; IeeeMode: 1
; LDSByteSize: 0 bytes/workgroup (compile time only)
; SGPRBlocks: 0
; VGPRBlocks: 0
; NumSGPRsForWavesPerEU: 1
; NumVGPRsForWavesPerEU: 1
; NamedBarCnt: 0
; Occupancy: 16
; WaveLimiterHint : 0
; COMPUTE_PGM_RSRC2:SCRATCH_EN: 0
; COMPUTE_PGM_RSRC2:USER_SGPR: 2
; COMPUTE_PGM_RSRC2:TRAP_HANDLER: 0
; COMPUTE_PGM_RSRC2:TGID_X_EN: 1
; COMPUTE_PGM_RSRC2:TGID_Y_EN: 0
; COMPUTE_PGM_RSRC2:TGID_Z_EN: 0
; COMPUTE_PGM_RSRC2:TIDIG_COMP_CNT: 0
	.section	.text._ZN7rocprim17ROCPRIM_400000_NS6detail17trampoline_kernelINS0_14default_configENS1_27scan_by_key_config_selectorIiyEEZZNS1_16scan_by_key_implILNS1_25lookback_scan_determinismE0ELb1ES3_N6thrust23THRUST_200600_302600_NS6detail15normal_iteratorINS9_10device_ptrIiEEEENSB_INSC_IyEEEESG_yNS9_4plusIvEENS9_8equal_toIvEEyEE10hipError_tPvRmT2_T3_T4_T5_mT6_T7_P12ihipStream_tbENKUlT_T0_E_clISt17integral_constantIbLb0EES11_EEDaSW_SX_EUlSW_E_NS1_11comp_targetILNS1_3genE4ELNS1_11target_archE910ELNS1_3gpuE8ELNS1_3repE0EEENS1_30default_config_static_selectorELNS0_4arch9wavefront6targetE0EEEvT1_,"axG",@progbits,_ZN7rocprim17ROCPRIM_400000_NS6detail17trampoline_kernelINS0_14default_configENS1_27scan_by_key_config_selectorIiyEEZZNS1_16scan_by_key_implILNS1_25lookback_scan_determinismE0ELb1ES3_N6thrust23THRUST_200600_302600_NS6detail15normal_iteratorINS9_10device_ptrIiEEEENSB_INSC_IyEEEESG_yNS9_4plusIvEENS9_8equal_toIvEEyEE10hipError_tPvRmT2_T3_T4_T5_mT6_T7_P12ihipStream_tbENKUlT_T0_E_clISt17integral_constantIbLb0EES11_EEDaSW_SX_EUlSW_E_NS1_11comp_targetILNS1_3genE4ELNS1_11target_archE910ELNS1_3gpuE8ELNS1_3repE0EEENS1_30default_config_static_selectorELNS0_4arch9wavefront6targetE0EEEvT1_,comdat
	.protected	_ZN7rocprim17ROCPRIM_400000_NS6detail17trampoline_kernelINS0_14default_configENS1_27scan_by_key_config_selectorIiyEEZZNS1_16scan_by_key_implILNS1_25lookback_scan_determinismE0ELb1ES3_N6thrust23THRUST_200600_302600_NS6detail15normal_iteratorINS9_10device_ptrIiEEEENSB_INSC_IyEEEESG_yNS9_4plusIvEENS9_8equal_toIvEEyEE10hipError_tPvRmT2_T3_T4_T5_mT6_T7_P12ihipStream_tbENKUlT_T0_E_clISt17integral_constantIbLb0EES11_EEDaSW_SX_EUlSW_E_NS1_11comp_targetILNS1_3genE4ELNS1_11target_archE910ELNS1_3gpuE8ELNS1_3repE0EEENS1_30default_config_static_selectorELNS0_4arch9wavefront6targetE0EEEvT1_ ; -- Begin function _ZN7rocprim17ROCPRIM_400000_NS6detail17trampoline_kernelINS0_14default_configENS1_27scan_by_key_config_selectorIiyEEZZNS1_16scan_by_key_implILNS1_25lookback_scan_determinismE0ELb1ES3_N6thrust23THRUST_200600_302600_NS6detail15normal_iteratorINS9_10device_ptrIiEEEENSB_INSC_IyEEEESG_yNS9_4plusIvEENS9_8equal_toIvEEyEE10hipError_tPvRmT2_T3_T4_T5_mT6_T7_P12ihipStream_tbENKUlT_T0_E_clISt17integral_constantIbLb0EES11_EEDaSW_SX_EUlSW_E_NS1_11comp_targetILNS1_3genE4ELNS1_11target_archE910ELNS1_3gpuE8ELNS1_3repE0EEENS1_30default_config_static_selectorELNS0_4arch9wavefront6targetE0EEEvT1_
	.globl	_ZN7rocprim17ROCPRIM_400000_NS6detail17trampoline_kernelINS0_14default_configENS1_27scan_by_key_config_selectorIiyEEZZNS1_16scan_by_key_implILNS1_25lookback_scan_determinismE0ELb1ES3_N6thrust23THRUST_200600_302600_NS6detail15normal_iteratorINS9_10device_ptrIiEEEENSB_INSC_IyEEEESG_yNS9_4plusIvEENS9_8equal_toIvEEyEE10hipError_tPvRmT2_T3_T4_T5_mT6_T7_P12ihipStream_tbENKUlT_T0_E_clISt17integral_constantIbLb0EES11_EEDaSW_SX_EUlSW_E_NS1_11comp_targetILNS1_3genE4ELNS1_11target_archE910ELNS1_3gpuE8ELNS1_3repE0EEENS1_30default_config_static_selectorELNS0_4arch9wavefront6targetE0EEEvT1_
	.p2align	8
	.type	_ZN7rocprim17ROCPRIM_400000_NS6detail17trampoline_kernelINS0_14default_configENS1_27scan_by_key_config_selectorIiyEEZZNS1_16scan_by_key_implILNS1_25lookback_scan_determinismE0ELb1ES3_N6thrust23THRUST_200600_302600_NS6detail15normal_iteratorINS9_10device_ptrIiEEEENSB_INSC_IyEEEESG_yNS9_4plusIvEENS9_8equal_toIvEEyEE10hipError_tPvRmT2_T3_T4_T5_mT6_T7_P12ihipStream_tbENKUlT_T0_E_clISt17integral_constantIbLb0EES11_EEDaSW_SX_EUlSW_E_NS1_11comp_targetILNS1_3genE4ELNS1_11target_archE910ELNS1_3gpuE8ELNS1_3repE0EEENS1_30default_config_static_selectorELNS0_4arch9wavefront6targetE0EEEvT1_,@function
_ZN7rocprim17ROCPRIM_400000_NS6detail17trampoline_kernelINS0_14default_configENS1_27scan_by_key_config_selectorIiyEEZZNS1_16scan_by_key_implILNS1_25lookback_scan_determinismE0ELb1ES3_N6thrust23THRUST_200600_302600_NS6detail15normal_iteratorINS9_10device_ptrIiEEEENSB_INSC_IyEEEESG_yNS9_4plusIvEENS9_8equal_toIvEEyEE10hipError_tPvRmT2_T3_T4_T5_mT6_T7_P12ihipStream_tbENKUlT_T0_E_clISt17integral_constantIbLb0EES11_EEDaSW_SX_EUlSW_E_NS1_11comp_targetILNS1_3genE4ELNS1_11target_archE910ELNS1_3gpuE8ELNS1_3repE0EEENS1_30default_config_static_selectorELNS0_4arch9wavefront6targetE0EEEvT1_: ; @_ZN7rocprim17ROCPRIM_400000_NS6detail17trampoline_kernelINS0_14default_configENS1_27scan_by_key_config_selectorIiyEEZZNS1_16scan_by_key_implILNS1_25lookback_scan_determinismE0ELb1ES3_N6thrust23THRUST_200600_302600_NS6detail15normal_iteratorINS9_10device_ptrIiEEEENSB_INSC_IyEEEESG_yNS9_4plusIvEENS9_8equal_toIvEEyEE10hipError_tPvRmT2_T3_T4_T5_mT6_T7_P12ihipStream_tbENKUlT_T0_E_clISt17integral_constantIbLb0EES11_EEDaSW_SX_EUlSW_E_NS1_11comp_targetILNS1_3genE4ELNS1_11target_archE910ELNS1_3gpuE8ELNS1_3repE0EEENS1_30default_config_static_selectorELNS0_4arch9wavefront6targetE0EEEvT1_
; %bb.0:
	.section	.rodata,"a",@progbits
	.p2align	6, 0x0
	.amdhsa_kernel _ZN7rocprim17ROCPRIM_400000_NS6detail17trampoline_kernelINS0_14default_configENS1_27scan_by_key_config_selectorIiyEEZZNS1_16scan_by_key_implILNS1_25lookback_scan_determinismE0ELb1ES3_N6thrust23THRUST_200600_302600_NS6detail15normal_iteratorINS9_10device_ptrIiEEEENSB_INSC_IyEEEESG_yNS9_4plusIvEENS9_8equal_toIvEEyEE10hipError_tPvRmT2_T3_T4_T5_mT6_T7_P12ihipStream_tbENKUlT_T0_E_clISt17integral_constantIbLb0EES11_EEDaSW_SX_EUlSW_E_NS1_11comp_targetILNS1_3genE4ELNS1_11target_archE910ELNS1_3gpuE8ELNS1_3repE0EEENS1_30default_config_static_selectorELNS0_4arch9wavefront6targetE0EEEvT1_
		.amdhsa_group_segment_fixed_size 0
		.amdhsa_private_segment_fixed_size 0
		.amdhsa_kernarg_size 136
		.amdhsa_user_sgpr_count 2
		.amdhsa_user_sgpr_dispatch_ptr 0
		.amdhsa_user_sgpr_queue_ptr 0
		.amdhsa_user_sgpr_kernarg_segment_ptr 1
		.amdhsa_user_sgpr_dispatch_id 0
		.amdhsa_user_sgpr_kernarg_preload_length 0
		.amdhsa_user_sgpr_kernarg_preload_offset 0
		.amdhsa_user_sgpr_private_segment_size 0
		.amdhsa_wavefront_size32 1
		.amdhsa_uses_dynamic_stack 0
		.amdhsa_enable_private_segment 0
		.amdhsa_system_sgpr_workgroup_id_x 1
		.amdhsa_system_sgpr_workgroup_id_y 0
		.amdhsa_system_sgpr_workgroup_id_z 0
		.amdhsa_system_sgpr_workgroup_info 0
		.amdhsa_system_vgpr_workitem_id 0
		.amdhsa_next_free_vgpr 1
		.amdhsa_next_free_sgpr 1
		.amdhsa_named_barrier_count 0
		.amdhsa_reserve_vcc 0
		.amdhsa_float_round_mode_32 0
		.amdhsa_float_round_mode_16_64 0
		.amdhsa_float_denorm_mode_32 3
		.amdhsa_float_denorm_mode_16_64 3
		.amdhsa_fp16_overflow 0
		.amdhsa_memory_ordered 1
		.amdhsa_forward_progress 1
		.amdhsa_inst_pref_size 0
		.amdhsa_round_robin_scheduling 0
		.amdhsa_exception_fp_ieee_invalid_op 0
		.amdhsa_exception_fp_denorm_src 0
		.amdhsa_exception_fp_ieee_div_zero 0
		.amdhsa_exception_fp_ieee_overflow 0
		.amdhsa_exception_fp_ieee_underflow 0
		.amdhsa_exception_fp_ieee_inexact 0
		.amdhsa_exception_int_div_zero 0
	.end_amdhsa_kernel
	.section	.text._ZN7rocprim17ROCPRIM_400000_NS6detail17trampoline_kernelINS0_14default_configENS1_27scan_by_key_config_selectorIiyEEZZNS1_16scan_by_key_implILNS1_25lookback_scan_determinismE0ELb1ES3_N6thrust23THRUST_200600_302600_NS6detail15normal_iteratorINS9_10device_ptrIiEEEENSB_INSC_IyEEEESG_yNS9_4plusIvEENS9_8equal_toIvEEyEE10hipError_tPvRmT2_T3_T4_T5_mT6_T7_P12ihipStream_tbENKUlT_T0_E_clISt17integral_constantIbLb0EES11_EEDaSW_SX_EUlSW_E_NS1_11comp_targetILNS1_3genE4ELNS1_11target_archE910ELNS1_3gpuE8ELNS1_3repE0EEENS1_30default_config_static_selectorELNS0_4arch9wavefront6targetE0EEEvT1_,"axG",@progbits,_ZN7rocprim17ROCPRIM_400000_NS6detail17trampoline_kernelINS0_14default_configENS1_27scan_by_key_config_selectorIiyEEZZNS1_16scan_by_key_implILNS1_25lookback_scan_determinismE0ELb1ES3_N6thrust23THRUST_200600_302600_NS6detail15normal_iteratorINS9_10device_ptrIiEEEENSB_INSC_IyEEEESG_yNS9_4plusIvEENS9_8equal_toIvEEyEE10hipError_tPvRmT2_T3_T4_T5_mT6_T7_P12ihipStream_tbENKUlT_T0_E_clISt17integral_constantIbLb0EES11_EEDaSW_SX_EUlSW_E_NS1_11comp_targetILNS1_3genE4ELNS1_11target_archE910ELNS1_3gpuE8ELNS1_3repE0EEENS1_30default_config_static_selectorELNS0_4arch9wavefront6targetE0EEEvT1_,comdat
.Lfunc_end1466:
	.size	_ZN7rocprim17ROCPRIM_400000_NS6detail17trampoline_kernelINS0_14default_configENS1_27scan_by_key_config_selectorIiyEEZZNS1_16scan_by_key_implILNS1_25lookback_scan_determinismE0ELb1ES3_N6thrust23THRUST_200600_302600_NS6detail15normal_iteratorINS9_10device_ptrIiEEEENSB_INSC_IyEEEESG_yNS9_4plusIvEENS9_8equal_toIvEEyEE10hipError_tPvRmT2_T3_T4_T5_mT6_T7_P12ihipStream_tbENKUlT_T0_E_clISt17integral_constantIbLb0EES11_EEDaSW_SX_EUlSW_E_NS1_11comp_targetILNS1_3genE4ELNS1_11target_archE910ELNS1_3gpuE8ELNS1_3repE0EEENS1_30default_config_static_selectorELNS0_4arch9wavefront6targetE0EEEvT1_, .Lfunc_end1466-_ZN7rocprim17ROCPRIM_400000_NS6detail17trampoline_kernelINS0_14default_configENS1_27scan_by_key_config_selectorIiyEEZZNS1_16scan_by_key_implILNS1_25lookback_scan_determinismE0ELb1ES3_N6thrust23THRUST_200600_302600_NS6detail15normal_iteratorINS9_10device_ptrIiEEEENSB_INSC_IyEEEESG_yNS9_4plusIvEENS9_8equal_toIvEEyEE10hipError_tPvRmT2_T3_T4_T5_mT6_T7_P12ihipStream_tbENKUlT_T0_E_clISt17integral_constantIbLb0EES11_EEDaSW_SX_EUlSW_E_NS1_11comp_targetILNS1_3genE4ELNS1_11target_archE910ELNS1_3gpuE8ELNS1_3repE0EEENS1_30default_config_static_selectorELNS0_4arch9wavefront6targetE0EEEvT1_
                                        ; -- End function
	.set _ZN7rocprim17ROCPRIM_400000_NS6detail17trampoline_kernelINS0_14default_configENS1_27scan_by_key_config_selectorIiyEEZZNS1_16scan_by_key_implILNS1_25lookback_scan_determinismE0ELb1ES3_N6thrust23THRUST_200600_302600_NS6detail15normal_iteratorINS9_10device_ptrIiEEEENSB_INSC_IyEEEESG_yNS9_4plusIvEENS9_8equal_toIvEEyEE10hipError_tPvRmT2_T3_T4_T5_mT6_T7_P12ihipStream_tbENKUlT_T0_E_clISt17integral_constantIbLb0EES11_EEDaSW_SX_EUlSW_E_NS1_11comp_targetILNS1_3genE4ELNS1_11target_archE910ELNS1_3gpuE8ELNS1_3repE0EEENS1_30default_config_static_selectorELNS0_4arch9wavefront6targetE0EEEvT1_.num_vgpr, 0
	.set _ZN7rocprim17ROCPRIM_400000_NS6detail17trampoline_kernelINS0_14default_configENS1_27scan_by_key_config_selectorIiyEEZZNS1_16scan_by_key_implILNS1_25lookback_scan_determinismE0ELb1ES3_N6thrust23THRUST_200600_302600_NS6detail15normal_iteratorINS9_10device_ptrIiEEEENSB_INSC_IyEEEESG_yNS9_4plusIvEENS9_8equal_toIvEEyEE10hipError_tPvRmT2_T3_T4_T5_mT6_T7_P12ihipStream_tbENKUlT_T0_E_clISt17integral_constantIbLb0EES11_EEDaSW_SX_EUlSW_E_NS1_11comp_targetILNS1_3genE4ELNS1_11target_archE910ELNS1_3gpuE8ELNS1_3repE0EEENS1_30default_config_static_selectorELNS0_4arch9wavefront6targetE0EEEvT1_.num_agpr, 0
	.set _ZN7rocprim17ROCPRIM_400000_NS6detail17trampoline_kernelINS0_14default_configENS1_27scan_by_key_config_selectorIiyEEZZNS1_16scan_by_key_implILNS1_25lookback_scan_determinismE0ELb1ES3_N6thrust23THRUST_200600_302600_NS6detail15normal_iteratorINS9_10device_ptrIiEEEENSB_INSC_IyEEEESG_yNS9_4plusIvEENS9_8equal_toIvEEyEE10hipError_tPvRmT2_T3_T4_T5_mT6_T7_P12ihipStream_tbENKUlT_T0_E_clISt17integral_constantIbLb0EES11_EEDaSW_SX_EUlSW_E_NS1_11comp_targetILNS1_3genE4ELNS1_11target_archE910ELNS1_3gpuE8ELNS1_3repE0EEENS1_30default_config_static_selectorELNS0_4arch9wavefront6targetE0EEEvT1_.numbered_sgpr, 0
	.set _ZN7rocprim17ROCPRIM_400000_NS6detail17trampoline_kernelINS0_14default_configENS1_27scan_by_key_config_selectorIiyEEZZNS1_16scan_by_key_implILNS1_25lookback_scan_determinismE0ELb1ES3_N6thrust23THRUST_200600_302600_NS6detail15normal_iteratorINS9_10device_ptrIiEEEENSB_INSC_IyEEEESG_yNS9_4plusIvEENS9_8equal_toIvEEyEE10hipError_tPvRmT2_T3_T4_T5_mT6_T7_P12ihipStream_tbENKUlT_T0_E_clISt17integral_constantIbLb0EES11_EEDaSW_SX_EUlSW_E_NS1_11comp_targetILNS1_3genE4ELNS1_11target_archE910ELNS1_3gpuE8ELNS1_3repE0EEENS1_30default_config_static_selectorELNS0_4arch9wavefront6targetE0EEEvT1_.num_named_barrier, 0
	.set _ZN7rocprim17ROCPRIM_400000_NS6detail17trampoline_kernelINS0_14default_configENS1_27scan_by_key_config_selectorIiyEEZZNS1_16scan_by_key_implILNS1_25lookback_scan_determinismE0ELb1ES3_N6thrust23THRUST_200600_302600_NS6detail15normal_iteratorINS9_10device_ptrIiEEEENSB_INSC_IyEEEESG_yNS9_4plusIvEENS9_8equal_toIvEEyEE10hipError_tPvRmT2_T3_T4_T5_mT6_T7_P12ihipStream_tbENKUlT_T0_E_clISt17integral_constantIbLb0EES11_EEDaSW_SX_EUlSW_E_NS1_11comp_targetILNS1_3genE4ELNS1_11target_archE910ELNS1_3gpuE8ELNS1_3repE0EEENS1_30default_config_static_selectorELNS0_4arch9wavefront6targetE0EEEvT1_.private_seg_size, 0
	.set _ZN7rocprim17ROCPRIM_400000_NS6detail17trampoline_kernelINS0_14default_configENS1_27scan_by_key_config_selectorIiyEEZZNS1_16scan_by_key_implILNS1_25lookback_scan_determinismE0ELb1ES3_N6thrust23THRUST_200600_302600_NS6detail15normal_iteratorINS9_10device_ptrIiEEEENSB_INSC_IyEEEESG_yNS9_4plusIvEENS9_8equal_toIvEEyEE10hipError_tPvRmT2_T3_T4_T5_mT6_T7_P12ihipStream_tbENKUlT_T0_E_clISt17integral_constantIbLb0EES11_EEDaSW_SX_EUlSW_E_NS1_11comp_targetILNS1_3genE4ELNS1_11target_archE910ELNS1_3gpuE8ELNS1_3repE0EEENS1_30default_config_static_selectorELNS0_4arch9wavefront6targetE0EEEvT1_.uses_vcc, 0
	.set _ZN7rocprim17ROCPRIM_400000_NS6detail17trampoline_kernelINS0_14default_configENS1_27scan_by_key_config_selectorIiyEEZZNS1_16scan_by_key_implILNS1_25lookback_scan_determinismE0ELb1ES3_N6thrust23THRUST_200600_302600_NS6detail15normal_iteratorINS9_10device_ptrIiEEEENSB_INSC_IyEEEESG_yNS9_4plusIvEENS9_8equal_toIvEEyEE10hipError_tPvRmT2_T3_T4_T5_mT6_T7_P12ihipStream_tbENKUlT_T0_E_clISt17integral_constantIbLb0EES11_EEDaSW_SX_EUlSW_E_NS1_11comp_targetILNS1_3genE4ELNS1_11target_archE910ELNS1_3gpuE8ELNS1_3repE0EEENS1_30default_config_static_selectorELNS0_4arch9wavefront6targetE0EEEvT1_.uses_flat_scratch, 0
	.set _ZN7rocprim17ROCPRIM_400000_NS6detail17trampoline_kernelINS0_14default_configENS1_27scan_by_key_config_selectorIiyEEZZNS1_16scan_by_key_implILNS1_25lookback_scan_determinismE0ELb1ES3_N6thrust23THRUST_200600_302600_NS6detail15normal_iteratorINS9_10device_ptrIiEEEENSB_INSC_IyEEEESG_yNS9_4plusIvEENS9_8equal_toIvEEyEE10hipError_tPvRmT2_T3_T4_T5_mT6_T7_P12ihipStream_tbENKUlT_T0_E_clISt17integral_constantIbLb0EES11_EEDaSW_SX_EUlSW_E_NS1_11comp_targetILNS1_3genE4ELNS1_11target_archE910ELNS1_3gpuE8ELNS1_3repE0EEENS1_30default_config_static_selectorELNS0_4arch9wavefront6targetE0EEEvT1_.has_dyn_sized_stack, 0
	.set _ZN7rocprim17ROCPRIM_400000_NS6detail17trampoline_kernelINS0_14default_configENS1_27scan_by_key_config_selectorIiyEEZZNS1_16scan_by_key_implILNS1_25lookback_scan_determinismE0ELb1ES3_N6thrust23THRUST_200600_302600_NS6detail15normal_iteratorINS9_10device_ptrIiEEEENSB_INSC_IyEEEESG_yNS9_4plusIvEENS9_8equal_toIvEEyEE10hipError_tPvRmT2_T3_T4_T5_mT6_T7_P12ihipStream_tbENKUlT_T0_E_clISt17integral_constantIbLb0EES11_EEDaSW_SX_EUlSW_E_NS1_11comp_targetILNS1_3genE4ELNS1_11target_archE910ELNS1_3gpuE8ELNS1_3repE0EEENS1_30default_config_static_selectorELNS0_4arch9wavefront6targetE0EEEvT1_.has_recursion, 0
	.set _ZN7rocprim17ROCPRIM_400000_NS6detail17trampoline_kernelINS0_14default_configENS1_27scan_by_key_config_selectorIiyEEZZNS1_16scan_by_key_implILNS1_25lookback_scan_determinismE0ELb1ES3_N6thrust23THRUST_200600_302600_NS6detail15normal_iteratorINS9_10device_ptrIiEEEENSB_INSC_IyEEEESG_yNS9_4plusIvEENS9_8equal_toIvEEyEE10hipError_tPvRmT2_T3_T4_T5_mT6_T7_P12ihipStream_tbENKUlT_T0_E_clISt17integral_constantIbLb0EES11_EEDaSW_SX_EUlSW_E_NS1_11comp_targetILNS1_3genE4ELNS1_11target_archE910ELNS1_3gpuE8ELNS1_3repE0EEENS1_30default_config_static_selectorELNS0_4arch9wavefront6targetE0EEEvT1_.has_indirect_call, 0
	.section	.AMDGPU.csdata,"",@progbits
; Kernel info:
; codeLenInByte = 0
; TotalNumSgprs: 0
; NumVgprs: 0
; ScratchSize: 0
; MemoryBound: 0
; FloatMode: 240
; IeeeMode: 1
; LDSByteSize: 0 bytes/workgroup (compile time only)
; SGPRBlocks: 0
; VGPRBlocks: 0
; NumSGPRsForWavesPerEU: 1
; NumVGPRsForWavesPerEU: 1
; NamedBarCnt: 0
; Occupancy: 16
; WaveLimiterHint : 0
; COMPUTE_PGM_RSRC2:SCRATCH_EN: 0
; COMPUTE_PGM_RSRC2:USER_SGPR: 2
; COMPUTE_PGM_RSRC2:TRAP_HANDLER: 0
; COMPUTE_PGM_RSRC2:TGID_X_EN: 1
; COMPUTE_PGM_RSRC2:TGID_Y_EN: 0
; COMPUTE_PGM_RSRC2:TGID_Z_EN: 0
; COMPUTE_PGM_RSRC2:TIDIG_COMP_CNT: 0
	.section	.text._ZN7rocprim17ROCPRIM_400000_NS6detail17trampoline_kernelINS0_14default_configENS1_27scan_by_key_config_selectorIiyEEZZNS1_16scan_by_key_implILNS1_25lookback_scan_determinismE0ELb1ES3_N6thrust23THRUST_200600_302600_NS6detail15normal_iteratorINS9_10device_ptrIiEEEENSB_INSC_IyEEEESG_yNS9_4plusIvEENS9_8equal_toIvEEyEE10hipError_tPvRmT2_T3_T4_T5_mT6_T7_P12ihipStream_tbENKUlT_T0_E_clISt17integral_constantIbLb0EES11_EEDaSW_SX_EUlSW_E_NS1_11comp_targetILNS1_3genE3ELNS1_11target_archE908ELNS1_3gpuE7ELNS1_3repE0EEENS1_30default_config_static_selectorELNS0_4arch9wavefront6targetE0EEEvT1_,"axG",@progbits,_ZN7rocprim17ROCPRIM_400000_NS6detail17trampoline_kernelINS0_14default_configENS1_27scan_by_key_config_selectorIiyEEZZNS1_16scan_by_key_implILNS1_25lookback_scan_determinismE0ELb1ES3_N6thrust23THRUST_200600_302600_NS6detail15normal_iteratorINS9_10device_ptrIiEEEENSB_INSC_IyEEEESG_yNS9_4plusIvEENS9_8equal_toIvEEyEE10hipError_tPvRmT2_T3_T4_T5_mT6_T7_P12ihipStream_tbENKUlT_T0_E_clISt17integral_constantIbLb0EES11_EEDaSW_SX_EUlSW_E_NS1_11comp_targetILNS1_3genE3ELNS1_11target_archE908ELNS1_3gpuE7ELNS1_3repE0EEENS1_30default_config_static_selectorELNS0_4arch9wavefront6targetE0EEEvT1_,comdat
	.protected	_ZN7rocprim17ROCPRIM_400000_NS6detail17trampoline_kernelINS0_14default_configENS1_27scan_by_key_config_selectorIiyEEZZNS1_16scan_by_key_implILNS1_25lookback_scan_determinismE0ELb1ES3_N6thrust23THRUST_200600_302600_NS6detail15normal_iteratorINS9_10device_ptrIiEEEENSB_INSC_IyEEEESG_yNS9_4plusIvEENS9_8equal_toIvEEyEE10hipError_tPvRmT2_T3_T4_T5_mT6_T7_P12ihipStream_tbENKUlT_T0_E_clISt17integral_constantIbLb0EES11_EEDaSW_SX_EUlSW_E_NS1_11comp_targetILNS1_3genE3ELNS1_11target_archE908ELNS1_3gpuE7ELNS1_3repE0EEENS1_30default_config_static_selectorELNS0_4arch9wavefront6targetE0EEEvT1_ ; -- Begin function _ZN7rocprim17ROCPRIM_400000_NS6detail17trampoline_kernelINS0_14default_configENS1_27scan_by_key_config_selectorIiyEEZZNS1_16scan_by_key_implILNS1_25lookback_scan_determinismE0ELb1ES3_N6thrust23THRUST_200600_302600_NS6detail15normal_iteratorINS9_10device_ptrIiEEEENSB_INSC_IyEEEESG_yNS9_4plusIvEENS9_8equal_toIvEEyEE10hipError_tPvRmT2_T3_T4_T5_mT6_T7_P12ihipStream_tbENKUlT_T0_E_clISt17integral_constantIbLb0EES11_EEDaSW_SX_EUlSW_E_NS1_11comp_targetILNS1_3genE3ELNS1_11target_archE908ELNS1_3gpuE7ELNS1_3repE0EEENS1_30default_config_static_selectorELNS0_4arch9wavefront6targetE0EEEvT1_
	.globl	_ZN7rocprim17ROCPRIM_400000_NS6detail17trampoline_kernelINS0_14default_configENS1_27scan_by_key_config_selectorIiyEEZZNS1_16scan_by_key_implILNS1_25lookback_scan_determinismE0ELb1ES3_N6thrust23THRUST_200600_302600_NS6detail15normal_iteratorINS9_10device_ptrIiEEEENSB_INSC_IyEEEESG_yNS9_4plusIvEENS9_8equal_toIvEEyEE10hipError_tPvRmT2_T3_T4_T5_mT6_T7_P12ihipStream_tbENKUlT_T0_E_clISt17integral_constantIbLb0EES11_EEDaSW_SX_EUlSW_E_NS1_11comp_targetILNS1_3genE3ELNS1_11target_archE908ELNS1_3gpuE7ELNS1_3repE0EEENS1_30default_config_static_selectorELNS0_4arch9wavefront6targetE0EEEvT1_
	.p2align	8
	.type	_ZN7rocprim17ROCPRIM_400000_NS6detail17trampoline_kernelINS0_14default_configENS1_27scan_by_key_config_selectorIiyEEZZNS1_16scan_by_key_implILNS1_25lookback_scan_determinismE0ELb1ES3_N6thrust23THRUST_200600_302600_NS6detail15normal_iteratorINS9_10device_ptrIiEEEENSB_INSC_IyEEEESG_yNS9_4plusIvEENS9_8equal_toIvEEyEE10hipError_tPvRmT2_T3_T4_T5_mT6_T7_P12ihipStream_tbENKUlT_T0_E_clISt17integral_constantIbLb0EES11_EEDaSW_SX_EUlSW_E_NS1_11comp_targetILNS1_3genE3ELNS1_11target_archE908ELNS1_3gpuE7ELNS1_3repE0EEENS1_30default_config_static_selectorELNS0_4arch9wavefront6targetE0EEEvT1_,@function
_ZN7rocprim17ROCPRIM_400000_NS6detail17trampoline_kernelINS0_14default_configENS1_27scan_by_key_config_selectorIiyEEZZNS1_16scan_by_key_implILNS1_25lookback_scan_determinismE0ELb1ES3_N6thrust23THRUST_200600_302600_NS6detail15normal_iteratorINS9_10device_ptrIiEEEENSB_INSC_IyEEEESG_yNS9_4plusIvEENS9_8equal_toIvEEyEE10hipError_tPvRmT2_T3_T4_T5_mT6_T7_P12ihipStream_tbENKUlT_T0_E_clISt17integral_constantIbLb0EES11_EEDaSW_SX_EUlSW_E_NS1_11comp_targetILNS1_3genE3ELNS1_11target_archE908ELNS1_3gpuE7ELNS1_3repE0EEENS1_30default_config_static_selectorELNS0_4arch9wavefront6targetE0EEEvT1_: ; @_ZN7rocprim17ROCPRIM_400000_NS6detail17trampoline_kernelINS0_14default_configENS1_27scan_by_key_config_selectorIiyEEZZNS1_16scan_by_key_implILNS1_25lookback_scan_determinismE0ELb1ES3_N6thrust23THRUST_200600_302600_NS6detail15normal_iteratorINS9_10device_ptrIiEEEENSB_INSC_IyEEEESG_yNS9_4plusIvEENS9_8equal_toIvEEyEE10hipError_tPvRmT2_T3_T4_T5_mT6_T7_P12ihipStream_tbENKUlT_T0_E_clISt17integral_constantIbLb0EES11_EEDaSW_SX_EUlSW_E_NS1_11comp_targetILNS1_3genE3ELNS1_11target_archE908ELNS1_3gpuE7ELNS1_3repE0EEENS1_30default_config_static_selectorELNS0_4arch9wavefront6targetE0EEEvT1_
; %bb.0:
	.section	.rodata,"a",@progbits
	.p2align	6, 0x0
	.amdhsa_kernel _ZN7rocprim17ROCPRIM_400000_NS6detail17trampoline_kernelINS0_14default_configENS1_27scan_by_key_config_selectorIiyEEZZNS1_16scan_by_key_implILNS1_25lookback_scan_determinismE0ELb1ES3_N6thrust23THRUST_200600_302600_NS6detail15normal_iteratorINS9_10device_ptrIiEEEENSB_INSC_IyEEEESG_yNS9_4plusIvEENS9_8equal_toIvEEyEE10hipError_tPvRmT2_T3_T4_T5_mT6_T7_P12ihipStream_tbENKUlT_T0_E_clISt17integral_constantIbLb0EES11_EEDaSW_SX_EUlSW_E_NS1_11comp_targetILNS1_3genE3ELNS1_11target_archE908ELNS1_3gpuE7ELNS1_3repE0EEENS1_30default_config_static_selectorELNS0_4arch9wavefront6targetE0EEEvT1_
		.amdhsa_group_segment_fixed_size 0
		.amdhsa_private_segment_fixed_size 0
		.amdhsa_kernarg_size 136
		.amdhsa_user_sgpr_count 2
		.amdhsa_user_sgpr_dispatch_ptr 0
		.amdhsa_user_sgpr_queue_ptr 0
		.amdhsa_user_sgpr_kernarg_segment_ptr 1
		.amdhsa_user_sgpr_dispatch_id 0
		.amdhsa_user_sgpr_kernarg_preload_length 0
		.amdhsa_user_sgpr_kernarg_preload_offset 0
		.amdhsa_user_sgpr_private_segment_size 0
		.amdhsa_wavefront_size32 1
		.amdhsa_uses_dynamic_stack 0
		.amdhsa_enable_private_segment 0
		.amdhsa_system_sgpr_workgroup_id_x 1
		.amdhsa_system_sgpr_workgroup_id_y 0
		.amdhsa_system_sgpr_workgroup_id_z 0
		.amdhsa_system_sgpr_workgroup_info 0
		.amdhsa_system_vgpr_workitem_id 0
		.amdhsa_next_free_vgpr 1
		.amdhsa_next_free_sgpr 1
		.amdhsa_named_barrier_count 0
		.amdhsa_reserve_vcc 0
		.amdhsa_float_round_mode_32 0
		.amdhsa_float_round_mode_16_64 0
		.amdhsa_float_denorm_mode_32 3
		.amdhsa_float_denorm_mode_16_64 3
		.amdhsa_fp16_overflow 0
		.amdhsa_memory_ordered 1
		.amdhsa_forward_progress 1
		.amdhsa_inst_pref_size 0
		.amdhsa_round_robin_scheduling 0
		.amdhsa_exception_fp_ieee_invalid_op 0
		.amdhsa_exception_fp_denorm_src 0
		.amdhsa_exception_fp_ieee_div_zero 0
		.amdhsa_exception_fp_ieee_overflow 0
		.amdhsa_exception_fp_ieee_underflow 0
		.amdhsa_exception_fp_ieee_inexact 0
		.amdhsa_exception_int_div_zero 0
	.end_amdhsa_kernel
	.section	.text._ZN7rocprim17ROCPRIM_400000_NS6detail17trampoline_kernelINS0_14default_configENS1_27scan_by_key_config_selectorIiyEEZZNS1_16scan_by_key_implILNS1_25lookback_scan_determinismE0ELb1ES3_N6thrust23THRUST_200600_302600_NS6detail15normal_iteratorINS9_10device_ptrIiEEEENSB_INSC_IyEEEESG_yNS9_4plusIvEENS9_8equal_toIvEEyEE10hipError_tPvRmT2_T3_T4_T5_mT6_T7_P12ihipStream_tbENKUlT_T0_E_clISt17integral_constantIbLb0EES11_EEDaSW_SX_EUlSW_E_NS1_11comp_targetILNS1_3genE3ELNS1_11target_archE908ELNS1_3gpuE7ELNS1_3repE0EEENS1_30default_config_static_selectorELNS0_4arch9wavefront6targetE0EEEvT1_,"axG",@progbits,_ZN7rocprim17ROCPRIM_400000_NS6detail17trampoline_kernelINS0_14default_configENS1_27scan_by_key_config_selectorIiyEEZZNS1_16scan_by_key_implILNS1_25lookback_scan_determinismE0ELb1ES3_N6thrust23THRUST_200600_302600_NS6detail15normal_iteratorINS9_10device_ptrIiEEEENSB_INSC_IyEEEESG_yNS9_4plusIvEENS9_8equal_toIvEEyEE10hipError_tPvRmT2_T3_T4_T5_mT6_T7_P12ihipStream_tbENKUlT_T0_E_clISt17integral_constantIbLb0EES11_EEDaSW_SX_EUlSW_E_NS1_11comp_targetILNS1_3genE3ELNS1_11target_archE908ELNS1_3gpuE7ELNS1_3repE0EEENS1_30default_config_static_selectorELNS0_4arch9wavefront6targetE0EEEvT1_,comdat
.Lfunc_end1467:
	.size	_ZN7rocprim17ROCPRIM_400000_NS6detail17trampoline_kernelINS0_14default_configENS1_27scan_by_key_config_selectorIiyEEZZNS1_16scan_by_key_implILNS1_25lookback_scan_determinismE0ELb1ES3_N6thrust23THRUST_200600_302600_NS6detail15normal_iteratorINS9_10device_ptrIiEEEENSB_INSC_IyEEEESG_yNS9_4plusIvEENS9_8equal_toIvEEyEE10hipError_tPvRmT2_T3_T4_T5_mT6_T7_P12ihipStream_tbENKUlT_T0_E_clISt17integral_constantIbLb0EES11_EEDaSW_SX_EUlSW_E_NS1_11comp_targetILNS1_3genE3ELNS1_11target_archE908ELNS1_3gpuE7ELNS1_3repE0EEENS1_30default_config_static_selectorELNS0_4arch9wavefront6targetE0EEEvT1_, .Lfunc_end1467-_ZN7rocprim17ROCPRIM_400000_NS6detail17trampoline_kernelINS0_14default_configENS1_27scan_by_key_config_selectorIiyEEZZNS1_16scan_by_key_implILNS1_25lookback_scan_determinismE0ELb1ES3_N6thrust23THRUST_200600_302600_NS6detail15normal_iteratorINS9_10device_ptrIiEEEENSB_INSC_IyEEEESG_yNS9_4plusIvEENS9_8equal_toIvEEyEE10hipError_tPvRmT2_T3_T4_T5_mT6_T7_P12ihipStream_tbENKUlT_T0_E_clISt17integral_constantIbLb0EES11_EEDaSW_SX_EUlSW_E_NS1_11comp_targetILNS1_3genE3ELNS1_11target_archE908ELNS1_3gpuE7ELNS1_3repE0EEENS1_30default_config_static_selectorELNS0_4arch9wavefront6targetE0EEEvT1_
                                        ; -- End function
	.set _ZN7rocprim17ROCPRIM_400000_NS6detail17trampoline_kernelINS0_14default_configENS1_27scan_by_key_config_selectorIiyEEZZNS1_16scan_by_key_implILNS1_25lookback_scan_determinismE0ELb1ES3_N6thrust23THRUST_200600_302600_NS6detail15normal_iteratorINS9_10device_ptrIiEEEENSB_INSC_IyEEEESG_yNS9_4plusIvEENS9_8equal_toIvEEyEE10hipError_tPvRmT2_T3_T4_T5_mT6_T7_P12ihipStream_tbENKUlT_T0_E_clISt17integral_constantIbLb0EES11_EEDaSW_SX_EUlSW_E_NS1_11comp_targetILNS1_3genE3ELNS1_11target_archE908ELNS1_3gpuE7ELNS1_3repE0EEENS1_30default_config_static_selectorELNS0_4arch9wavefront6targetE0EEEvT1_.num_vgpr, 0
	.set _ZN7rocprim17ROCPRIM_400000_NS6detail17trampoline_kernelINS0_14default_configENS1_27scan_by_key_config_selectorIiyEEZZNS1_16scan_by_key_implILNS1_25lookback_scan_determinismE0ELb1ES3_N6thrust23THRUST_200600_302600_NS6detail15normal_iteratorINS9_10device_ptrIiEEEENSB_INSC_IyEEEESG_yNS9_4plusIvEENS9_8equal_toIvEEyEE10hipError_tPvRmT2_T3_T4_T5_mT6_T7_P12ihipStream_tbENKUlT_T0_E_clISt17integral_constantIbLb0EES11_EEDaSW_SX_EUlSW_E_NS1_11comp_targetILNS1_3genE3ELNS1_11target_archE908ELNS1_3gpuE7ELNS1_3repE0EEENS1_30default_config_static_selectorELNS0_4arch9wavefront6targetE0EEEvT1_.num_agpr, 0
	.set _ZN7rocprim17ROCPRIM_400000_NS6detail17trampoline_kernelINS0_14default_configENS1_27scan_by_key_config_selectorIiyEEZZNS1_16scan_by_key_implILNS1_25lookback_scan_determinismE0ELb1ES3_N6thrust23THRUST_200600_302600_NS6detail15normal_iteratorINS9_10device_ptrIiEEEENSB_INSC_IyEEEESG_yNS9_4plusIvEENS9_8equal_toIvEEyEE10hipError_tPvRmT2_T3_T4_T5_mT6_T7_P12ihipStream_tbENKUlT_T0_E_clISt17integral_constantIbLb0EES11_EEDaSW_SX_EUlSW_E_NS1_11comp_targetILNS1_3genE3ELNS1_11target_archE908ELNS1_3gpuE7ELNS1_3repE0EEENS1_30default_config_static_selectorELNS0_4arch9wavefront6targetE0EEEvT1_.numbered_sgpr, 0
	.set _ZN7rocprim17ROCPRIM_400000_NS6detail17trampoline_kernelINS0_14default_configENS1_27scan_by_key_config_selectorIiyEEZZNS1_16scan_by_key_implILNS1_25lookback_scan_determinismE0ELb1ES3_N6thrust23THRUST_200600_302600_NS6detail15normal_iteratorINS9_10device_ptrIiEEEENSB_INSC_IyEEEESG_yNS9_4plusIvEENS9_8equal_toIvEEyEE10hipError_tPvRmT2_T3_T4_T5_mT6_T7_P12ihipStream_tbENKUlT_T0_E_clISt17integral_constantIbLb0EES11_EEDaSW_SX_EUlSW_E_NS1_11comp_targetILNS1_3genE3ELNS1_11target_archE908ELNS1_3gpuE7ELNS1_3repE0EEENS1_30default_config_static_selectorELNS0_4arch9wavefront6targetE0EEEvT1_.num_named_barrier, 0
	.set _ZN7rocprim17ROCPRIM_400000_NS6detail17trampoline_kernelINS0_14default_configENS1_27scan_by_key_config_selectorIiyEEZZNS1_16scan_by_key_implILNS1_25lookback_scan_determinismE0ELb1ES3_N6thrust23THRUST_200600_302600_NS6detail15normal_iteratorINS9_10device_ptrIiEEEENSB_INSC_IyEEEESG_yNS9_4plusIvEENS9_8equal_toIvEEyEE10hipError_tPvRmT2_T3_T4_T5_mT6_T7_P12ihipStream_tbENKUlT_T0_E_clISt17integral_constantIbLb0EES11_EEDaSW_SX_EUlSW_E_NS1_11comp_targetILNS1_3genE3ELNS1_11target_archE908ELNS1_3gpuE7ELNS1_3repE0EEENS1_30default_config_static_selectorELNS0_4arch9wavefront6targetE0EEEvT1_.private_seg_size, 0
	.set _ZN7rocprim17ROCPRIM_400000_NS6detail17trampoline_kernelINS0_14default_configENS1_27scan_by_key_config_selectorIiyEEZZNS1_16scan_by_key_implILNS1_25lookback_scan_determinismE0ELb1ES3_N6thrust23THRUST_200600_302600_NS6detail15normal_iteratorINS9_10device_ptrIiEEEENSB_INSC_IyEEEESG_yNS9_4plusIvEENS9_8equal_toIvEEyEE10hipError_tPvRmT2_T3_T4_T5_mT6_T7_P12ihipStream_tbENKUlT_T0_E_clISt17integral_constantIbLb0EES11_EEDaSW_SX_EUlSW_E_NS1_11comp_targetILNS1_3genE3ELNS1_11target_archE908ELNS1_3gpuE7ELNS1_3repE0EEENS1_30default_config_static_selectorELNS0_4arch9wavefront6targetE0EEEvT1_.uses_vcc, 0
	.set _ZN7rocprim17ROCPRIM_400000_NS6detail17trampoline_kernelINS0_14default_configENS1_27scan_by_key_config_selectorIiyEEZZNS1_16scan_by_key_implILNS1_25lookback_scan_determinismE0ELb1ES3_N6thrust23THRUST_200600_302600_NS6detail15normal_iteratorINS9_10device_ptrIiEEEENSB_INSC_IyEEEESG_yNS9_4plusIvEENS9_8equal_toIvEEyEE10hipError_tPvRmT2_T3_T4_T5_mT6_T7_P12ihipStream_tbENKUlT_T0_E_clISt17integral_constantIbLb0EES11_EEDaSW_SX_EUlSW_E_NS1_11comp_targetILNS1_3genE3ELNS1_11target_archE908ELNS1_3gpuE7ELNS1_3repE0EEENS1_30default_config_static_selectorELNS0_4arch9wavefront6targetE0EEEvT1_.uses_flat_scratch, 0
	.set _ZN7rocprim17ROCPRIM_400000_NS6detail17trampoline_kernelINS0_14default_configENS1_27scan_by_key_config_selectorIiyEEZZNS1_16scan_by_key_implILNS1_25lookback_scan_determinismE0ELb1ES3_N6thrust23THRUST_200600_302600_NS6detail15normal_iteratorINS9_10device_ptrIiEEEENSB_INSC_IyEEEESG_yNS9_4plusIvEENS9_8equal_toIvEEyEE10hipError_tPvRmT2_T3_T4_T5_mT6_T7_P12ihipStream_tbENKUlT_T0_E_clISt17integral_constantIbLb0EES11_EEDaSW_SX_EUlSW_E_NS1_11comp_targetILNS1_3genE3ELNS1_11target_archE908ELNS1_3gpuE7ELNS1_3repE0EEENS1_30default_config_static_selectorELNS0_4arch9wavefront6targetE0EEEvT1_.has_dyn_sized_stack, 0
	.set _ZN7rocprim17ROCPRIM_400000_NS6detail17trampoline_kernelINS0_14default_configENS1_27scan_by_key_config_selectorIiyEEZZNS1_16scan_by_key_implILNS1_25lookback_scan_determinismE0ELb1ES3_N6thrust23THRUST_200600_302600_NS6detail15normal_iteratorINS9_10device_ptrIiEEEENSB_INSC_IyEEEESG_yNS9_4plusIvEENS9_8equal_toIvEEyEE10hipError_tPvRmT2_T3_T4_T5_mT6_T7_P12ihipStream_tbENKUlT_T0_E_clISt17integral_constantIbLb0EES11_EEDaSW_SX_EUlSW_E_NS1_11comp_targetILNS1_3genE3ELNS1_11target_archE908ELNS1_3gpuE7ELNS1_3repE0EEENS1_30default_config_static_selectorELNS0_4arch9wavefront6targetE0EEEvT1_.has_recursion, 0
	.set _ZN7rocprim17ROCPRIM_400000_NS6detail17trampoline_kernelINS0_14default_configENS1_27scan_by_key_config_selectorIiyEEZZNS1_16scan_by_key_implILNS1_25lookback_scan_determinismE0ELb1ES3_N6thrust23THRUST_200600_302600_NS6detail15normal_iteratorINS9_10device_ptrIiEEEENSB_INSC_IyEEEESG_yNS9_4plusIvEENS9_8equal_toIvEEyEE10hipError_tPvRmT2_T3_T4_T5_mT6_T7_P12ihipStream_tbENKUlT_T0_E_clISt17integral_constantIbLb0EES11_EEDaSW_SX_EUlSW_E_NS1_11comp_targetILNS1_3genE3ELNS1_11target_archE908ELNS1_3gpuE7ELNS1_3repE0EEENS1_30default_config_static_selectorELNS0_4arch9wavefront6targetE0EEEvT1_.has_indirect_call, 0
	.section	.AMDGPU.csdata,"",@progbits
; Kernel info:
; codeLenInByte = 0
; TotalNumSgprs: 0
; NumVgprs: 0
; ScratchSize: 0
; MemoryBound: 0
; FloatMode: 240
; IeeeMode: 1
; LDSByteSize: 0 bytes/workgroup (compile time only)
; SGPRBlocks: 0
; VGPRBlocks: 0
; NumSGPRsForWavesPerEU: 1
; NumVGPRsForWavesPerEU: 1
; NamedBarCnt: 0
; Occupancy: 16
; WaveLimiterHint : 0
; COMPUTE_PGM_RSRC2:SCRATCH_EN: 0
; COMPUTE_PGM_RSRC2:USER_SGPR: 2
; COMPUTE_PGM_RSRC2:TRAP_HANDLER: 0
; COMPUTE_PGM_RSRC2:TGID_X_EN: 1
; COMPUTE_PGM_RSRC2:TGID_Y_EN: 0
; COMPUTE_PGM_RSRC2:TGID_Z_EN: 0
; COMPUTE_PGM_RSRC2:TIDIG_COMP_CNT: 0
	.section	.text._ZN7rocprim17ROCPRIM_400000_NS6detail17trampoline_kernelINS0_14default_configENS1_27scan_by_key_config_selectorIiyEEZZNS1_16scan_by_key_implILNS1_25lookback_scan_determinismE0ELb1ES3_N6thrust23THRUST_200600_302600_NS6detail15normal_iteratorINS9_10device_ptrIiEEEENSB_INSC_IyEEEESG_yNS9_4plusIvEENS9_8equal_toIvEEyEE10hipError_tPvRmT2_T3_T4_T5_mT6_T7_P12ihipStream_tbENKUlT_T0_E_clISt17integral_constantIbLb0EES11_EEDaSW_SX_EUlSW_E_NS1_11comp_targetILNS1_3genE2ELNS1_11target_archE906ELNS1_3gpuE6ELNS1_3repE0EEENS1_30default_config_static_selectorELNS0_4arch9wavefront6targetE0EEEvT1_,"axG",@progbits,_ZN7rocprim17ROCPRIM_400000_NS6detail17trampoline_kernelINS0_14default_configENS1_27scan_by_key_config_selectorIiyEEZZNS1_16scan_by_key_implILNS1_25lookback_scan_determinismE0ELb1ES3_N6thrust23THRUST_200600_302600_NS6detail15normal_iteratorINS9_10device_ptrIiEEEENSB_INSC_IyEEEESG_yNS9_4plusIvEENS9_8equal_toIvEEyEE10hipError_tPvRmT2_T3_T4_T5_mT6_T7_P12ihipStream_tbENKUlT_T0_E_clISt17integral_constantIbLb0EES11_EEDaSW_SX_EUlSW_E_NS1_11comp_targetILNS1_3genE2ELNS1_11target_archE906ELNS1_3gpuE6ELNS1_3repE0EEENS1_30default_config_static_selectorELNS0_4arch9wavefront6targetE0EEEvT1_,comdat
	.protected	_ZN7rocprim17ROCPRIM_400000_NS6detail17trampoline_kernelINS0_14default_configENS1_27scan_by_key_config_selectorIiyEEZZNS1_16scan_by_key_implILNS1_25lookback_scan_determinismE0ELb1ES3_N6thrust23THRUST_200600_302600_NS6detail15normal_iteratorINS9_10device_ptrIiEEEENSB_INSC_IyEEEESG_yNS9_4plusIvEENS9_8equal_toIvEEyEE10hipError_tPvRmT2_T3_T4_T5_mT6_T7_P12ihipStream_tbENKUlT_T0_E_clISt17integral_constantIbLb0EES11_EEDaSW_SX_EUlSW_E_NS1_11comp_targetILNS1_3genE2ELNS1_11target_archE906ELNS1_3gpuE6ELNS1_3repE0EEENS1_30default_config_static_selectorELNS0_4arch9wavefront6targetE0EEEvT1_ ; -- Begin function _ZN7rocprim17ROCPRIM_400000_NS6detail17trampoline_kernelINS0_14default_configENS1_27scan_by_key_config_selectorIiyEEZZNS1_16scan_by_key_implILNS1_25lookback_scan_determinismE0ELb1ES3_N6thrust23THRUST_200600_302600_NS6detail15normal_iteratorINS9_10device_ptrIiEEEENSB_INSC_IyEEEESG_yNS9_4plusIvEENS9_8equal_toIvEEyEE10hipError_tPvRmT2_T3_T4_T5_mT6_T7_P12ihipStream_tbENKUlT_T0_E_clISt17integral_constantIbLb0EES11_EEDaSW_SX_EUlSW_E_NS1_11comp_targetILNS1_3genE2ELNS1_11target_archE906ELNS1_3gpuE6ELNS1_3repE0EEENS1_30default_config_static_selectorELNS0_4arch9wavefront6targetE0EEEvT1_
	.globl	_ZN7rocprim17ROCPRIM_400000_NS6detail17trampoline_kernelINS0_14default_configENS1_27scan_by_key_config_selectorIiyEEZZNS1_16scan_by_key_implILNS1_25lookback_scan_determinismE0ELb1ES3_N6thrust23THRUST_200600_302600_NS6detail15normal_iteratorINS9_10device_ptrIiEEEENSB_INSC_IyEEEESG_yNS9_4plusIvEENS9_8equal_toIvEEyEE10hipError_tPvRmT2_T3_T4_T5_mT6_T7_P12ihipStream_tbENKUlT_T0_E_clISt17integral_constantIbLb0EES11_EEDaSW_SX_EUlSW_E_NS1_11comp_targetILNS1_3genE2ELNS1_11target_archE906ELNS1_3gpuE6ELNS1_3repE0EEENS1_30default_config_static_selectorELNS0_4arch9wavefront6targetE0EEEvT1_
	.p2align	8
	.type	_ZN7rocprim17ROCPRIM_400000_NS6detail17trampoline_kernelINS0_14default_configENS1_27scan_by_key_config_selectorIiyEEZZNS1_16scan_by_key_implILNS1_25lookback_scan_determinismE0ELb1ES3_N6thrust23THRUST_200600_302600_NS6detail15normal_iteratorINS9_10device_ptrIiEEEENSB_INSC_IyEEEESG_yNS9_4plusIvEENS9_8equal_toIvEEyEE10hipError_tPvRmT2_T3_T4_T5_mT6_T7_P12ihipStream_tbENKUlT_T0_E_clISt17integral_constantIbLb0EES11_EEDaSW_SX_EUlSW_E_NS1_11comp_targetILNS1_3genE2ELNS1_11target_archE906ELNS1_3gpuE6ELNS1_3repE0EEENS1_30default_config_static_selectorELNS0_4arch9wavefront6targetE0EEEvT1_,@function
_ZN7rocprim17ROCPRIM_400000_NS6detail17trampoline_kernelINS0_14default_configENS1_27scan_by_key_config_selectorIiyEEZZNS1_16scan_by_key_implILNS1_25lookback_scan_determinismE0ELb1ES3_N6thrust23THRUST_200600_302600_NS6detail15normal_iteratorINS9_10device_ptrIiEEEENSB_INSC_IyEEEESG_yNS9_4plusIvEENS9_8equal_toIvEEyEE10hipError_tPvRmT2_T3_T4_T5_mT6_T7_P12ihipStream_tbENKUlT_T0_E_clISt17integral_constantIbLb0EES11_EEDaSW_SX_EUlSW_E_NS1_11comp_targetILNS1_3genE2ELNS1_11target_archE906ELNS1_3gpuE6ELNS1_3repE0EEENS1_30default_config_static_selectorELNS0_4arch9wavefront6targetE0EEEvT1_: ; @_ZN7rocprim17ROCPRIM_400000_NS6detail17trampoline_kernelINS0_14default_configENS1_27scan_by_key_config_selectorIiyEEZZNS1_16scan_by_key_implILNS1_25lookback_scan_determinismE0ELb1ES3_N6thrust23THRUST_200600_302600_NS6detail15normal_iteratorINS9_10device_ptrIiEEEENSB_INSC_IyEEEESG_yNS9_4plusIvEENS9_8equal_toIvEEyEE10hipError_tPvRmT2_T3_T4_T5_mT6_T7_P12ihipStream_tbENKUlT_T0_E_clISt17integral_constantIbLb0EES11_EEDaSW_SX_EUlSW_E_NS1_11comp_targetILNS1_3genE2ELNS1_11target_archE906ELNS1_3gpuE6ELNS1_3repE0EEENS1_30default_config_static_selectorELNS0_4arch9wavefront6targetE0EEEvT1_
; %bb.0:
	.section	.rodata,"a",@progbits
	.p2align	6, 0x0
	.amdhsa_kernel _ZN7rocprim17ROCPRIM_400000_NS6detail17trampoline_kernelINS0_14default_configENS1_27scan_by_key_config_selectorIiyEEZZNS1_16scan_by_key_implILNS1_25lookback_scan_determinismE0ELb1ES3_N6thrust23THRUST_200600_302600_NS6detail15normal_iteratorINS9_10device_ptrIiEEEENSB_INSC_IyEEEESG_yNS9_4plusIvEENS9_8equal_toIvEEyEE10hipError_tPvRmT2_T3_T4_T5_mT6_T7_P12ihipStream_tbENKUlT_T0_E_clISt17integral_constantIbLb0EES11_EEDaSW_SX_EUlSW_E_NS1_11comp_targetILNS1_3genE2ELNS1_11target_archE906ELNS1_3gpuE6ELNS1_3repE0EEENS1_30default_config_static_selectorELNS0_4arch9wavefront6targetE0EEEvT1_
		.amdhsa_group_segment_fixed_size 0
		.amdhsa_private_segment_fixed_size 0
		.amdhsa_kernarg_size 136
		.amdhsa_user_sgpr_count 2
		.amdhsa_user_sgpr_dispatch_ptr 0
		.amdhsa_user_sgpr_queue_ptr 0
		.amdhsa_user_sgpr_kernarg_segment_ptr 1
		.amdhsa_user_sgpr_dispatch_id 0
		.amdhsa_user_sgpr_kernarg_preload_length 0
		.amdhsa_user_sgpr_kernarg_preload_offset 0
		.amdhsa_user_sgpr_private_segment_size 0
		.amdhsa_wavefront_size32 1
		.amdhsa_uses_dynamic_stack 0
		.amdhsa_enable_private_segment 0
		.amdhsa_system_sgpr_workgroup_id_x 1
		.amdhsa_system_sgpr_workgroup_id_y 0
		.amdhsa_system_sgpr_workgroup_id_z 0
		.amdhsa_system_sgpr_workgroup_info 0
		.amdhsa_system_vgpr_workitem_id 0
		.amdhsa_next_free_vgpr 1
		.amdhsa_next_free_sgpr 1
		.amdhsa_named_barrier_count 0
		.amdhsa_reserve_vcc 0
		.amdhsa_float_round_mode_32 0
		.amdhsa_float_round_mode_16_64 0
		.amdhsa_float_denorm_mode_32 3
		.amdhsa_float_denorm_mode_16_64 3
		.amdhsa_fp16_overflow 0
		.amdhsa_memory_ordered 1
		.amdhsa_forward_progress 1
		.amdhsa_inst_pref_size 0
		.amdhsa_round_robin_scheduling 0
		.amdhsa_exception_fp_ieee_invalid_op 0
		.amdhsa_exception_fp_denorm_src 0
		.amdhsa_exception_fp_ieee_div_zero 0
		.amdhsa_exception_fp_ieee_overflow 0
		.amdhsa_exception_fp_ieee_underflow 0
		.amdhsa_exception_fp_ieee_inexact 0
		.amdhsa_exception_int_div_zero 0
	.end_amdhsa_kernel
	.section	.text._ZN7rocprim17ROCPRIM_400000_NS6detail17trampoline_kernelINS0_14default_configENS1_27scan_by_key_config_selectorIiyEEZZNS1_16scan_by_key_implILNS1_25lookback_scan_determinismE0ELb1ES3_N6thrust23THRUST_200600_302600_NS6detail15normal_iteratorINS9_10device_ptrIiEEEENSB_INSC_IyEEEESG_yNS9_4plusIvEENS9_8equal_toIvEEyEE10hipError_tPvRmT2_T3_T4_T5_mT6_T7_P12ihipStream_tbENKUlT_T0_E_clISt17integral_constantIbLb0EES11_EEDaSW_SX_EUlSW_E_NS1_11comp_targetILNS1_3genE2ELNS1_11target_archE906ELNS1_3gpuE6ELNS1_3repE0EEENS1_30default_config_static_selectorELNS0_4arch9wavefront6targetE0EEEvT1_,"axG",@progbits,_ZN7rocprim17ROCPRIM_400000_NS6detail17trampoline_kernelINS0_14default_configENS1_27scan_by_key_config_selectorIiyEEZZNS1_16scan_by_key_implILNS1_25lookback_scan_determinismE0ELb1ES3_N6thrust23THRUST_200600_302600_NS6detail15normal_iteratorINS9_10device_ptrIiEEEENSB_INSC_IyEEEESG_yNS9_4plusIvEENS9_8equal_toIvEEyEE10hipError_tPvRmT2_T3_T4_T5_mT6_T7_P12ihipStream_tbENKUlT_T0_E_clISt17integral_constantIbLb0EES11_EEDaSW_SX_EUlSW_E_NS1_11comp_targetILNS1_3genE2ELNS1_11target_archE906ELNS1_3gpuE6ELNS1_3repE0EEENS1_30default_config_static_selectorELNS0_4arch9wavefront6targetE0EEEvT1_,comdat
.Lfunc_end1468:
	.size	_ZN7rocprim17ROCPRIM_400000_NS6detail17trampoline_kernelINS0_14default_configENS1_27scan_by_key_config_selectorIiyEEZZNS1_16scan_by_key_implILNS1_25lookback_scan_determinismE0ELb1ES3_N6thrust23THRUST_200600_302600_NS6detail15normal_iteratorINS9_10device_ptrIiEEEENSB_INSC_IyEEEESG_yNS9_4plusIvEENS9_8equal_toIvEEyEE10hipError_tPvRmT2_T3_T4_T5_mT6_T7_P12ihipStream_tbENKUlT_T0_E_clISt17integral_constantIbLb0EES11_EEDaSW_SX_EUlSW_E_NS1_11comp_targetILNS1_3genE2ELNS1_11target_archE906ELNS1_3gpuE6ELNS1_3repE0EEENS1_30default_config_static_selectorELNS0_4arch9wavefront6targetE0EEEvT1_, .Lfunc_end1468-_ZN7rocprim17ROCPRIM_400000_NS6detail17trampoline_kernelINS0_14default_configENS1_27scan_by_key_config_selectorIiyEEZZNS1_16scan_by_key_implILNS1_25lookback_scan_determinismE0ELb1ES3_N6thrust23THRUST_200600_302600_NS6detail15normal_iteratorINS9_10device_ptrIiEEEENSB_INSC_IyEEEESG_yNS9_4plusIvEENS9_8equal_toIvEEyEE10hipError_tPvRmT2_T3_T4_T5_mT6_T7_P12ihipStream_tbENKUlT_T0_E_clISt17integral_constantIbLb0EES11_EEDaSW_SX_EUlSW_E_NS1_11comp_targetILNS1_3genE2ELNS1_11target_archE906ELNS1_3gpuE6ELNS1_3repE0EEENS1_30default_config_static_selectorELNS0_4arch9wavefront6targetE0EEEvT1_
                                        ; -- End function
	.set _ZN7rocprim17ROCPRIM_400000_NS6detail17trampoline_kernelINS0_14default_configENS1_27scan_by_key_config_selectorIiyEEZZNS1_16scan_by_key_implILNS1_25lookback_scan_determinismE0ELb1ES3_N6thrust23THRUST_200600_302600_NS6detail15normal_iteratorINS9_10device_ptrIiEEEENSB_INSC_IyEEEESG_yNS9_4plusIvEENS9_8equal_toIvEEyEE10hipError_tPvRmT2_T3_T4_T5_mT6_T7_P12ihipStream_tbENKUlT_T0_E_clISt17integral_constantIbLb0EES11_EEDaSW_SX_EUlSW_E_NS1_11comp_targetILNS1_3genE2ELNS1_11target_archE906ELNS1_3gpuE6ELNS1_3repE0EEENS1_30default_config_static_selectorELNS0_4arch9wavefront6targetE0EEEvT1_.num_vgpr, 0
	.set _ZN7rocprim17ROCPRIM_400000_NS6detail17trampoline_kernelINS0_14default_configENS1_27scan_by_key_config_selectorIiyEEZZNS1_16scan_by_key_implILNS1_25lookback_scan_determinismE0ELb1ES3_N6thrust23THRUST_200600_302600_NS6detail15normal_iteratorINS9_10device_ptrIiEEEENSB_INSC_IyEEEESG_yNS9_4plusIvEENS9_8equal_toIvEEyEE10hipError_tPvRmT2_T3_T4_T5_mT6_T7_P12ihipStream_tbENKUlT_T0_E_clISt17integral_constantIbLb0EES11_EEDaSW_SX_EUlSW_E_NS1_11comp_targetILNS1_3genE2ELNS1_11target_archE906ELNS1_3gpuE6ELNS1_3repE0EEENS1_30default_config_static_selectorELNS0_4arch9wavefront6targetE0EEEvT1_.num_agpr, 0
	.set _ZN7rocprim17ROCPRIM_400000_NS6detail17trampoline_kernelINS0_14default_configENS1_27scan_by_key_config_selectorIiyEEZZNS1_16scan_by_key_implILNS1_25lookback_scan_determinismE0ELb1ES3_N6thrust23THRUST_200600_302600_NS6detail15normal_iteratorINS9_10device_ptrIiEEEENSB_INSC_IyEEEESG_yNS9_4plusIvEENS9_8equal_toIvEEyEE10hipError_tPvRmT2_T3_T4_T5_mT6_T7_P12ihipStream_tbENKUlT_T0_E_clISt17integral_constantIbLb0EES11_EEDaSW_SX_EUlSW_E_NS1_11comp_targetILNS1_3genE2ELNS1_11target_archE906ELNS1_3gpuE6ELNS1_3repE0EEENS1_30default_config_static_selectorELNS0_4arch9wavefront6targetE0EEEvT1_.numbered_sgpr, 0
	.set _ZN7rocprim17ROCPRIM_400000_NS6detail17trampoline_kernelINS0_14default_configENS1_27scan_by_key_config_selectorIiyEEZZNS1_16scan_by_key_implILNS1_25lookback_scan_determinismE0ELb1ES3_N6thrust23THRUST_200600_302600_NS6detail15normal_iteratorINS9_10device_ptrIiEEEENSB_INSC_IyEEEESG_yNS9_4plusIvEENS9_8equal_toIvEEyEE10hipError_tPvRmT2_T3_T4_T5_mT6_T7_P12ihipStream_tbENKUlT_T0_E_clISt17integral_constantIbLb0EES11_EEDaSW_SX_EUlSW_E_NS1_11comp_targetILNS1_3genE2ELNS1_11target_archE906ELNS1_3gpuE6ELNS1_3repE0EEENS1_30default_config_static_selectorELNS0_4arch9wavefront6targetE0EEEvT1_.num_named_barrier, 0
	.set _ZN7rocprim17ROCPRIM_400000_NS6detail17trampoline_kernelINS0_14default_configENS1_27scan_by_key_config_selectorIiyEEZZNS1_16scan_by_key_implILNS1_25lookback_scan_determinismE0ELb1ES3_N6thrust23THRUST_200600_302600_NS6detail15normal_iteratorINS9_10device_ptrIiEEEENSB_INSC_IyEEEESG_yNS9_4plusIvEENS9_8equal_toIvEEyEE10hipError_tPvRmT2_T3_T4_T5_mT6_T7_P12ihipStream_tbENKUlT_T0_E_clISt17integral_constantIbLb0EES11_EEDaSW_SX_EUlSW_E_NS1_11comp_targetILNS1_3genE2ELNS1_11target_archE906ELNS1_3gpuE6ELNS1_3repE0EEENS1_30default_config_static_selectorELNS0_4arch9wavefront6targetE0EEEvT1_.private_seg_size, 0
	.set _ZN7rocprim17ROCPRIM_400000_NS6detail17trampoline_kernelINS0_14default_configENS1_27scan_by_key_config_selectorIiyEEZZNS1_16scan_by_key_implILNS1_25lookback_scan_determinismE0ELb1ES3_N6thrust23THRUST_200600_302600_NS6detail15normal_iteratorINS9_10device_ptrIiEEEENSB_INSC_IyEEEESG_yNS9_4plusIvEENS9_8equal_toIvEEyEE10hipError_tPvRmT2_T3_T4_T5_mT6_T7_P12ihipStream_tbENKUlT_T0_E_clISt17integral_constantIbLb0EES11_EEDaSW_SX_EUlSW_E_NS1_11comp_targetILNS1_3genE2ELNS1_11target_archE906ELNS1_3gpuE6ELNS1_3repE0EEENS1_30default_config_static_selectorELNS0_4arch9wavefront6targetE0EEEvT1_.uses_vcc, 0
	.set _ZN7rocprim17ROCPRIM_400000_NS6detail17trampoline_kernelINS0_14default_configENS1_27scan_by_key_config_selectorIiyEEZZNS1_16scan_by_key_implILNS1_25lookback_scan_determinismE0ELb1ES3_N6thrust23THRUST_200600_302600_NS6detail15normal_iteratorINS9_10device_ptrIiEEEENSB_INSC_IyEEEESG_yNS9_4plusIvEENS9_8equal_toIvEEyEE10hipError_tPvRmT2_T3_T4_T5_mT6_T7_P12ihipStream_tbENKUlT_T0_E_clISt17integral_constantIbLb0EES11_EEDaSW_SX_EUlSW_E_NS1_11comp_targetILNS1_3genE2ELNS1_11target_archE906ELNS1_3gpuE6ELNS1_3repE0EEENS1_30default_config_static_selectorELNS0_4arch9wavefront6targetE0EEEvT1_.uses_flat_scratch, 0
	.set _ZN7rocprim17ROCPRIM_400000_NS6detail17trampoline_kernelINS0_14default_configENS1_27scan_by_key_config_selectorIiyEEZZNS1_16scan_by_key_implILNS1_25lookback_scan_determinismE0ELb1ES3_N6thrust23THRUST_200600_302600_NS6detail15normal_iteratorINS9_10device_ptrIiEEEENSB_INSC_IyEEEESG_yNS9_4plusIvEENS9_8equal_toIvEEyEE10hipError_tPvRmT2_T3_T4_T5_mT6_T7_P12ihipStream_tbENKUlT_T0_E_clISt17integral_constantIbLb0EES11_EEDaSW_SX_EUlSW_E_NS1_11comp_targetILNS1_3genE2ELNS1_11target_archE906ELNS1_3gpuE6ELNS1_3repE0EEENS1_30default_config_static_selectorELNS0_4arch9wavefront6targetE0EEEvT1_.has_dyn_sized_stack, 0
	.set _ZN7rocprim17ROCPRIM_400000_NS6detail17trampoline_kernelINS0_14default_configENS1_27scan_by_key_config_selectorIiyEEZZNS1_16scan_by_key_implILNS1_25lookback_scan_determinismE0ELb1ES3_N6thrust23THRUST_200600_302600_NS6detail15normal_iteratorINS9_10device_ptrIiEEEENSB_INSC_IyEEEESG_yNS9_4plusIvEENS9_8equal_toIvEEyEE10hipError_tPvRmT2_T3_T4_T5_mT6_T7_P12ihipStream_tbENKUlT_T0_E_clISt17integral_constantIbLb0EES11_EEDaSW_SX_EUlSW_E_NS1_11comp_targetILNS1_3genE2ELNS1_11target_archE906ELNS1_3gpuE6ELNS1_3repE0EEENS1_30default_config_static_selectorELNS0_4arch9wavefront6targetE0EEEvT1_.has_recursion, 0
	.set _ZN7rocprim17ROCPRIM_400000_NS6detail17trampoline_kernelINS0_14default_configENS1_27scan_by_key_config_selectorIiyEEZZNS1_16scan_by_key_implILNS1_25lookback_scan_determinismE0ELb1ES3_N6thrust23THRUST_200600_302600_NS6detail15normal_iteratorINS9_10device_ptrIiEEEENSB_INSC_IyEEEESG_yNS9_4plusIvEENS9_8equal_toIvEEyEE10hipError_tPvRmT2_T3_T4_T5_mT6_T7_P12ihipStream_tbENKUlT_T0_E_clISt17integral_constantIbLb0EES11_EEDaSW_SX_EUlSW_E_NS1_11comp_targetILNS1_3genE2ELNS1_11target_archE906ELNS1_3gpuE6ELNS1_3repE0EEENS1_30default_config_static_selectorELNS0_4arch9wavefront6targetE0EEEvT1_.has_indirect_call, 0
	.section	.AMDGPU.csdata,"",@progbits
; Kernel info:
; codeLenInByte = 0
; TotalNumSgprs: 0
; NumVgprs: 0
; ScratchSize: 0
; MemoryBound: 0
; FloatMode: 240
; IeeeMode: 1
; LDSByteSize: 0 bytes/workgroup (compile time only)
; SGPRBlocks: 0
; VGPRBlocks: 0
; NumSGPRsForWavesPerEU: 1
; NumVGPRsForWavesPerEU: 1
; NamedBarCnt: 0
; Occupancy: 16
; WaveLimiterHint : 0
; COMPUTE_PGM_RSRC2:SCRATCH_EN: 0
; COMPUTE_PGM_RSRC2:USER_SGPR: 2
; COMPUTE_PGM_RSRC2:TRAP_HANDLER: 0
; COMPUTE_PGM_RSRC2:TGID_X_EN: 1
; COMPUTE_PGM_RSRC2:TGID_Y_EN: 0
; COMPUTE_PGM_RSRC2:TGID_Z_EN: 0
; COMPUTE_PGM_RSRC2:TIDIG_COMP_CNT: 0
	.section	.text._ZN7rocprim17ROCPRIM_400000_NS6detail17trampoline_kernelINS0_14default_configENS1_27scan_by_key_config_selectorIiyEEZZNS1_16scan_by_key_implILNS1_25lookback_scan_determinismE0ELb1ES3_N6thrust23THRUST_200600_302600_NS6detail15normal_iteratorINS9_10device_ptrIiEEEENSB_INSC_IyEEEESG_yNS9_4plusIvEENS9_8equal_toIvEEyEE10hipError_tPvRmT2_T3_T4_T5_mT6_T7_P12ihipStream_tbENKUlT_T0_E_clISt17integral_constantIbLb0EES11_EEDaSW_SX_EUlSW_E_NS1_11comp_targetILNS1_3genE10ELNS1_11target_archE1200ELNS1_3gpuE4ELNS1_3repE0EEENS1_30default_config_static_selectorELNS0_4arch9wavefront6targetE0EEEvT1_,"axG",@progbits,_ZN7rocprim17ROCPRIM_400000_NS6detail17trampoline_kernelINS0_14default_configENS1_27scan_by_key_config_selectorIiyEEZZNS1_16scan_by_key_implILNS1_25lookback_scan_determinismE0ELb1ES3_N6thrust23THRUST_200600_302600_NS6detail15normal_iteratorINS9_10device_ptrIiEEEENSB_INSC_IyEEEESG_yNS9_4plusIvEENS9_8equal_toIvEEyEE10hipError_tPvRmT2_T3_T4_T5_mT6_T7_P12ihipStream_tbENKUlT_T0_E_clISt17integral_constantIbLb0EES11_EEDaSW_SX_EUlSW_E_NS1_11comp_targetILNS1_3genE10ELNS1_11target_archE1200ELNS1_3gpuE4ELNS1_3repE0EEENS1_30default_config_static_selectorELNS0_4arch9wavefront6targetE0EEEvT1_,comdat
	.protected	_ZN7rocprim17ROCPRIM_400000_NS6detail17trampoline_kernelINS0_14default_configENS1_27scan_by_key_config_selectorIiyEEZZNS1_16scan_by_key_implILNS1_25lookback_scan_determinismE0ELb1ES3_N6thrust23THRUST_200600_302600_NS6detail15normal_iteratorINS9_10device_ptrIiEEEENSB_INSC_IyEEEESG_yNS9_4plusIvEENS9_8equal_toIvEEyEE10hipError_tPvRmT2_T3_T4_T5_mT6_T7_P12ihipStream_tbENKUlT_T0_E_clISt17integral_constantIbLb0EES11_EEDaSW_SX_EUlSW_E_NS1_11comp_targetILNS1_3genE10ELNS1_11target_archE1200ELNS1_3gpuE4ELNS1_3repE0EEENS1_30default_config_static_selectorELNS0_4arch9wavefront6targetE0EEEvT1_ ; -- Begin function _ZN7rocprim17ROCPRIM_400000_NS6detail17trampoline_kernelINS0_14default_configENS1_27scan_by_key_config_selectorIiyEEZZNS1_16scan_by_key_implILNS1_25lookback_scan_determinismE0ELb1ES3_N6thrust23THRUST_200600_302600_NS6detail15normal_iteratorINS9_10device_ptrIiEEEENSB_INSC_IyEEEESG_yNS9_4plusIvEENS9_8equal_toIvEEyEE10hipError_tPvRmT2_T3_T4_T5_mT6_T7_P12ihipStream_tbENKUlT_T0_E_clISt17integral_constantIbLb0EES11_EEDaSW_SX_EUlSW_E_NS1_11comp_targetILNS1_3genE10ELNS1_11target_archE1200ELNS1_3gpuE4ELNS1_3repE0EEENS1_30default_config_static_selectorELNS0_4arch9wavefront6targetE0EEEvT1_
	.globl	_ZN7rocprim17ROCPRIM_400000_NS6detail17trampoline_kernelINS0_14default_configENS1_27scan_by_key_config_selectorIiyEEZZNS1_16scan_by_key_implILNS1_25lookback_scan_determinismE0ELb1ES3_N6thrust23THRUST_200600_302600_NS6detail15normal_iteratorINS9_10device_ptrIiEEEENSB_INSC_IyEEEESG_yNS9_4plusIvEENS9_8equal_toIvEEyEE10hipError_tPvRmT2_T3_T4_T5_mT6_T7_P12ihipStream_tbENKUlT_T0_E_clISt17integral_constantIbLb0EES11_EEDaSW_SX_EUlSW_E_NS1_11comp_targetILNS1_3genE10ELNS1_11target_archE1200ELNS1_3gpuE4ELNS1_3repE0EEENS1_30default_config_static_selectorELNS0_4arch9wavefront6targetE0EEEvT1_
	.p2align	8
	.type	_ZN7rocprim17ROCPRIM_400000_NS6detail17trampoline_kernelINS0_14default_configENS1_27scan_by_key_config_selectorIiyEEZZNS1_16scan_by_key_implILNS1_25lookback_scan_determinismE0ELb1ES3_N6thrust23THRUST_200600_302600_NS6detail15normal_iteratorINS9_10device_ptrIiEEEENSB_INSC_IyEEEESG_yNS9_4plusIvEENS9_8equal_toIvEEyEE10hipError_tPvRmT2_T3_T4_T5_mT6_T7_P12ihipStream_tbENKUlT_T0_E_clISt17integral_constantIbLb0EES11_EEDaSW_SX_EUlSW_E_NS1_11comp_targetILNS1_3genE10ELNS1_11target_archE1200ELNS1_3gpuE4ELNS1_3repE0EEENS1_30default_config_static_selectorELNS0_4arch9wavefront6targetE0EEEvT1_,@function
_ZN7rocprim17ROCPRIM_400000_NS6detail17trampoline_kernelINS0_14default_configENS1_27scan_by_key_config_selectorIiyEEZZNS1_16scan_by_key_implILNS1_25lookback_scan_determinismE0ELb1ES3_N6thrust23THRUST_200600_302600_NS6detail15normal_iteratorINS9_10device_ptrIiEEEENSB_INSC_IyEEEESG_yNS9_4plusIvEENS9_8equal_toIvEEyEE10hipError_tPvRmT2_T3_T4_T5_mT6_T7_P12ihipStream_tbENKUlT_T0_E_clISt17integral_constantIbLb0EES11_EEDaSW_SX_EUlSW_E_NS1_11comp_targetILNS1_3genE10ELNS1_11target_archE1200ELNS1_3gpuE4ELNS1_3repE0EEENS1_30default_config_static_selectorELNS0_4arch9wavefront6targetE0EEEvT1_: ; @_ZN7rocprim17ROCPRIM_400000_NS6detail17trampoline_kernelINS0_14default_configENS1_27scan_by_key_config_selectorIiyEEZZNS1_16scan_by_key_implILNS1_25lookback_scan_determinismE0ELb1ES3_N6thrust23THRUST_200600_302600_NS6detail15normal_iteratorINS9_10device_ptrIiEEEENSB_INSC_IyEEEESG_yNS9_4plusIvEENS9_8equal_toIvEEyEE10hipError_tPvRmT2_T3_T4_T5_mT6_T7_P12ihipStream_tbENKUlT_T0_E_clISt17integral_constantIbLb0EES11_EEDaSW_SX_EUlSW_E_NS1_11comp_targetILNS1_3genE10ELNS1_11target_archE1200ELNS1_3gpuE4ELNS1_3repE0EEENS1_30default_config_static_selectorELNS0_4arch9wavefront6targetE0EEEvT1_
; %bb.0:
	.section	.rodata,"a",@progbits
	.p2align	6, 0x0
	.amdhsa_kernel _ZN7rocprim17ROCPRIM_400000_NS6detail17trampoline_kernelINS0_14default_configENS1_27scan_by_key_config_selectorIiyEEZZNS1_16scan_by_key_implILNS1_25lookback_scan_determinismE0ELb1ES3_N6thrust23THRUST_200600_302600_NS6detail15normal_iteratorINS9_10device_ptrIiEEEENSB_INSC_IyEEEESG_yNS9_4plusIvEENS9_8equal_toIvEEyEE10hipError_tPvRmT2_T3_T4_T5_mT6_T7_P12ihipStream_tbENKUlT_T0_E_clISt17integral_constantIbLb0EES11_EEDaSW_SX_EUlSW_E_NS1_11comp_targetILNS1_3genE10ELNS1_11target_archE1200ELNS1_3gpuE4ELNS1_3repE0EEENS1_30default_config_static_selectorELNS0_4arch9wavefront6targetE0EEEvT1_
		.amdhsa_group_segment_fixed_size 0
		.amdhsa_private_segment_fixed_size 0
		.amdhsa_kernarg_size 136
		.amdhsa_user_sgpr_count 2
		.amdhsa_user_sgpr_dispatch_ptr 0
		.amdhsa_user_sgpr_queue_ptr 0
		.amdhsa_user_sgpr_kernarg_segment_ptr 1
		.amdhsa_user_sgpr_dispatch_id 0
		.amdhsa_user_sgpr_kernarg_preload_length 0
		.amdhsa_user_sgpr_kernarg_preload_offset 0
		.amdhsa_user_sgpr_private_segment_size 0
		.amdhsa_wavefront_size32 1
		.amdhsa_uses_dynamic_stack 0
		.amdhsa_enable_private_segment 0
		.amdhsa_system_sgpr_workgroup_id_x 1
		.amdhsa_system_sgpr_workgroup_id_y 0
		.amdhsa_system_sgpr_workgroup_id_z 0
		.amdhsa_system_sgpr_workgroup_info 0
		.amdhsa_system_vgpr_workitem_id 0
		.amdhsa_next_free_vgpr 1
		.amdhsa_next_free_sgpr 1
		.amdhsa_named_barrier_count 0
		.amdhsa_reserve_vcc 0
		.amdhsa_float_round_mode_32 0
		.amdhsa_float_round_mode_16_64 0
		.amdhsa_float_denorm_mode_32 3
		.amdhsa_float_denorm_mode_16_64 3
		.amdhsa_fp16_overflow 0
		.amdhsa_memory_ordered 1
		.amdhsa_forward_progress 1
		.amdhsa_inst_pref_size 0
		.amdhsa_round_robin_scheduling 0
		.amdhsa_exception_fp_ieee_invalid_op 0
		.amdhsa_exception_fp_denorm_src 0
		.amdhsa_exception_fp_ieee_div_zero 0
		.amdhsa_exception_fp_ieee_overflow 0
		.amdhsa_exception_fp_ieee_underflow 0
		.amdhsa_exception_fp_ieee_inexact 0
		.amdhsa_exception_int_div_zero 0
	.end_amdhsa_kernel
	.section	.text._ZN7rocprim17ROCPRIM_400000_NS6detail17trampoline_kernelINS0_14default_configENS1_27scan_by_key_config_selectorIiyEEZZNS1_16scan_by_key_implILNS1_25lookback_scan_determinismE0ELb1ES3_N6thrust23THRUST_200600_302600_NS6detail15normal_iteratorINS9_10device_ptrIiEEEENSB_INSC_IyEEEESG_yNS9_4plusIvEENS9_8equal_toIvEEyEE10hipError_tPvRmT2_T3_T4_T5_mT6_T7_P12ihipStream_tbENKUlT_T0_E_clISt17integral_constantIbLb0EES11_EEDaSW_SX_EUlSW_E_NS1_11comp_targetILNS1_3genE10ELNS1_11target_archE1200ELNS1_3gpuE4ELNS1_3repE0EEENS1_30default_config_static_selectorELNS0_4arch9wavefront6targetE0EEEvT1_,"axG",@progbits,_ZN7rocprim17ROCPRIM_400000_NS6detail17trampoline_kernelINS0_14default_configENS1_27scan_by_key_config_selectorIiyEEZZNS1_16scan_by_key_implILNS1_25lookback_scan_determinismE0ELb1ES3_N6thrust23THRUST_200600_302600_NS6detail15normal_iteratorINS9_10device_ptrIiEEEENSB_INSC_IyEEEESG_yNS9_4plusIvEENS9_8equal_toIvEEyEE10hipError_tPvRmT2_T3_T4_T5_mT6_T7_P12ihipStream_tbENKUlT_T0_E_clISt17integral_constantIbLb0EES11_EEDaSW_SX_EUlSW_E_NS1_11comp_targetILNS1_3genE10ELNS1_11target_archE1200ELNS1_3gpuE4ELNS1_3repE0EEENS1_30default_config_static_selectorELNS0_4arch9wavefront6targetE0EEEvT1_,comdat
.Lfunc_end1469:
	.size	_ZN7rocprim17ROCPRIM_400000_NS6detail17trampoline_kernelINS0_14default_configENS1_27scan_by_key_config_selectorIiyEEZZNS1_16scan_by_key_implILNS1_25lookback_scan_determinismE0ELb1ES3_N6thrust23THRUST_200600_302600_NS6detail15normal_iteratorINS9_10device_ptrIiEEEENSB_INSC_IyEEEESG_yNS9_4plusIvEENS9_8equal_toIvEEyEE10hipError_tPvRmT2_T3_T4_T5_mT6_T7_P12ihipStream_tbENKUlT_T0_E_clISt17integral_constantIbLb0EES11_EEDaSW_SX_EUlSW_E_NS1_11comp_targetILNS1_3genE10ELNS1_11target_archE1200ELNS1_3gpuE4ELNS1_3repE0EEENS1_30default_config_static_selectorELNS0_4arch9wavefront6targetE0EEEvT1_, .Lfunc_end1469-_ZN7rocprim17ROCPRIM_400000_NS6detail17trampoline_kernelINS0_14default_configENS1_27scan_by_key_config_selectorIiyEEZZNS1_16scan_by_key_implILNS1_25lookback_scan_determinismE0ELb1ES3_N6thrust23THRUST_200600_302600_NS6detail15normal_iteratorINS9_10device_ptrIiEEEENSB_INSC_IyEEEESG_yNS9_4plusIvEENS9_8equal_toIvEEyEE10hipError_tPvRmT2_T3_T4_T5_mT6_T7_P12ihipStream_tbENKUlT_T0_E_clISt17integral_constantIbLb0EES11_EEDaSW_SX_EUlSW_E_NS1_11comp_targetILNS1_3genE10ELNS1_11target_archE1200ELNS1_3gpuE4ELNS1_3repE0EEENS1_30default_config_static_selectorELNS0_4arch9wavefront6targetE0EEEvT1_
                                        ; -- End function
	.set _ZN7rocprim17ROCPRIM_400000_NS6detail17trampoline_kernelINS0_14default_configENS1_27scan_by_key_config_selectorIiyEEZZNS1_16scan_by_key_implILNS1_25lookback_scan_determinismE0ELb1ES3_N6thrust23THRUST_200600_302600_NS6detail15normal_iteratorINS9_10device_ptrIiEEEENSB_INSC_IyEEEESG_yNS9_4plusIvEENS9_8equal_toIvEEyEE10hipError_tPvRmT2_T3_T4_T5_mT6_T7_P12ihipStream_tbENKUlT_T0_E_clISt17integral_constantIbLb0EES11_EEDaSW_SX_EUlSW_E_NS1_11comp_targetILNS1_3genE10ELNS1_11target_archE1200ELNS1_3gpuE4ELNS1_3repE0EEENS1_30default_config_static_selectorELNS0_4arch9wavefront6targetE0EEEvT1_.num_vgpr, 0
	.set _ZN7rocprim17ROCPRIM_400000_NS6detail17trampoline_kernelINS0_14default_configENS1_27scan_by_key_config_selectorIiyEEZZNS1_16scan_by_key_implILNS1_25lookback_scan_determinismE0ELb1ES3_N6thrust23THRUST_200600_302600_NS6detail15normal_iteratorINS9_10device_ptrIiEEEENSB_INSC_IyEEEESG_yNS9_4plusIvEENS9_8equal_toIvEEyEE10hipError_tPvRmT2_T3_T4_T5_mT6_T7_P12ihipStream_tbENKUlT_T0_E_clISt17integral_constantIbLb0EES11_EEDaSW_SX_EUlSW_E_NS1_11comp_targetILNS1_3genE10ELNS1_11target_archE1200ELNS1_3gpuE4ELNS1_3repE0EEENS1_30default_config_static_selectorELNS0_4arch9wavefront6targetE0EEEvT1_.num_agpr, 0
	.set _ZN7rocprim17ROCPRIM_400000_NS6detail17trampoline_kernelINS0_14default_configENS1_27scan_by_key_config_selectorIiyEEZZNS1_16scan_by_key_implILNS1_25lookback_scan_determinismE0ELb1ES3_N6thrust23THRUST_200600_302600_NS6detail15normal_iteratorINS9_10device_ptrIiEEEENSB_INSC_IyEEEESG_yNS9_4plusIvEENS9_8equal_toIvEEyEE10hipError_tPvRmT2_T3_T4_T5_mT6_T7_P12ihipStream_tbENKUlT_T0_E_clISt17integral_constantIbLb0EES11_EEDaSW_SX_EUlSW_E_NS1_11comp_targetILNS1_3genE10ELNS1_11target_archE1200ELNS1_3gpuE4ELNS1_3repE0EEENS1_30default_config_static_selectorELNS0_4arch9wavefront6targetE0EEEvT1_.numbered_sgpr, 0
	.set _ZN7rocprim17ROCPRIM_400000_NS6detail17trampoline_kernelINS0_14default_configENS1_27scan_by_key_config_selectorIiyEEZZNS1_16scan_by_key_implILNS1_25lookback_scan_determinismE0ELb1ES3_N6thrust23THRUST_200600_302600_NS6detail15normal_iteratorINS9_10device_ptrIiEEEENSB_INSC_IyEEEESG_yNS9_4plusIvEENS9_8equal_toIvEEyEE10hipError_tPvRmT2_T3_T4_T5_mT6_T7_P12ihipStream_tbENKUlT_T0_E_clISt17integral_constantIbLb0EES11_EEDaSW_SX_EUlSW_E_NS1_11comp_targetILNS1_3genE10ELNS1_11target_archE1200ELNS1_3gpuE4ELNS1_3repE0EEENS1_30default_config_static_selectorELNS0_4arch9wavefront6targetE0EEEvT1_.num_named_barrier, 0
	.set _ZN7rocprim17ROCPRIM_400000_NS6detail17trampoline_kernelINS0_14default_configENS1_27scan_by_key_config_selectorIiyEEZZNS1_16scan_by_key_implILNS1_25lookback_scan_determinismE0ELb1ES3_N6thrust23THRUST_200600_302600_NS6detail15normal_iteratorINS9_10device_ptrIiEEEENSB_INSC_IyEEEESG_yNS9_4plusIvEENS9_8equal_toIvEEyEE10hipError_tPvRmT2_T3_T4_T5_mT6_T7_P12ihipStream_tbENKUlT_T0_E_clISt17integral_constantIbLb0EES11_EEDaSW_SX_EUlSW_E_NS1_11comp_targetILNS1_3genE10ELNS1_11target_archE1200ELNS1_3gpuE4ELNS1_3repE0EEENS1_30default_config_static_selectorELNS0_4arch9wavefront6targetE0EEEvT1_.private_seg_size, 0
	.set _ZN7rocprim17ROCPRIM_400000_NS6detail17trampoline_kernelINS0_14default_configENS1_27scan_by_key_config_selectorIiyEEZZNS1_16scan_by_key_implILNS1_25lookback_scan_determinismE0ELb1ES3_N6thrust23THRUST_200600_302600_NS6detail15normal_iteratorINS9_10device_ptrIiEEEENSB_INSC_IyEEEESG_yNS9_4plusIvEENS9_8equal_toIvEEyEE10hipError_tPvRmT2_T3_T4_T5_mT6_T7_P12ihipStream_tbENKUlT_T0_E_clISt17integral_constantIbLb0EES11_EEDaSW_SX_EUlSW_E_NS1_11comp_targetILNS1_3genE10ELNS1_11target_archE1200ELNS1_3gpuE4ELNS1_3repE0EEENS1_30default_config_static_selectorELNS0_4arch9wavefront6targetE0EEEvT1_.uses_vcc, 0
	.set _ZN7rocprim17ROCPRIM_400000_NS6detail17trampoline_kernelINS0_14default_configENS1_27scan_by_key_config_selectorIiyEEZZNS1_16scan_by_key_implILNS1_25lookback_scan_determinismE0ELb1ES3_N6thrust23THRUST_200600_302600_NS6detail15normal_iteratorINS9_10device_ptrIiEEEENSB_INSC_IyEEEESG_yNS9_4plusIvEENS9_8equal_toIvEEyEE10hipError_tPvRmT2_T3_T4_T5_mT6_T7_P12ihipStream_tbENKUlT_T0_E_clISt17integral_constantIbLb0EES11_EEDaSW_SX_EUlSW_E_NS1_11comp_targetILNS1_3genE10ELNS1_11target_archE1200ELNS1_3gpuE4ELNS1_3repE0EEENS1_30default_config_static_selectorELNS0_4arch9wavefront6targetE0EEEvT1_.uses_flat_scratch, 0
	.set _ZN7rocprim17ROCPRIM_400000_NS6detail17trampoline_kernelINS0_14default_configENS1_27scan_by_key_config_selectorIiyEEZZNS1_16scan_by_key_implILNS1_25lookback_scan_determinismE0ELb1ES3_N6thrust23THRUST_200600_302600_NS6detail15normal_iteratorINS9_10device_ptrIiEEEENSB_INSC_IyEEEESG_yNS9_4plusIvEENS9_8equal_toIvEEyEE10hipError_tPvRmT2_T3_T4_T5_mT6_T7_P12ihipStream_tbENKUlT_T0_E_clISt17integral_constantIbLb0EES11_EEDaSW_SX_EUlSW_E_NS1_11comp_targetILNS1_3genE10ELNS1_11target_archE1200ELNS1_3gpuE4ELNS1_3repE0EEENS1_30default_config_static_selectorELNS0_4arch9wavefront6targetE0EEEvT1_.has_dyn_sized_stack, 0
	.set _ZN7rocprim17ROCPRIM_400000_NS6detail17trampoline_kernelINS0_14default_configENS1_27scan_by_key_config_selectorIiyEEZZNS1_16scan_by_key_implILNS1_25lookback_scan_determinismE0ELb1ES3_N6thrust23THRUST_200600_302600_NS6detail15normal_iteratorINS9_10device_ptrIiEEEENSB_INSC_IyEEEESG_yNS9_4plusIvEENS9_8equal_toIvEEyEE10hipError_tPvRmT2_T3_T4_T5_mT6_T7_P12ihipStream_tbENKUlT_T0_E_clISt17integral_constantIbLb0EES11_EEDaSW_SX_EUlSW_E_NS1_11comp_targetILNS1_3genE10ELNS1_11target_archE1200ELNS1_3gpuE4ELNS1_3repE0EEENS1_30default_config_static_selectorELNS0_4arch9wavefront6targetE0EEEvT1_.has_recursion, 0
	.set _ZN7rocprim17ROCPRIM_400000_NS6detail17trampoline_kernelINS0_14default_configENS1_27scan_by_key_config_selectorIiyEEZZNS1_16scan_by_key_implILNS1_25lookback_scan_determinismE0ELb1ES3_N6thrust23THRUST_200600_302600_NS6detail15normal_iteratorINS9_10device_ptrIiEEEENSB_INSC_IyEEEESG_yNS9_4plusIvEENS9_8equal_toIvEEyEE10hipError_tPvRmT2_T3_T4_T5_mT6_T7_P12ihipStream_tbENKUlT_T0_E_clISt17integral_constantIbLb0EES11_EEDaSW_SX_EUlSW_E_NS1_11comp_targetILNS1_3genE10ELNS1_11target_archE1200ELNS1_3gpuE4ELNS1_3repE0EEENS1_30default_config_static_selectorELNS0_4arch9wavefront6targetE0EEEvT1_.has_indirect_call, 0
	.section	.AMDGPU.csdata,"",@progbits
; Kernel info:
; codeLenInByte = 0
; TotalNumSgprs: 0
; NumVgprs: 0
; ScratchSize: 0
; MemoryBound: 0
; FloatMode: 240
; IeeeMode: 1
; LDSByteSize: 0 bytes/workgroup (compile time only)
; SGPRBlocks: 0
; VGPRBlocks: 0
; NumSGPRsForWavesPerEU: 1
; NumVGPRsForWavesPerEU: 1
; NamedBarCnt: 0
; Occupancy: 16
; WaveLimiterHint : 0
; COMPUTE_PGM_RSRC2:SCRATCH_EN: 0
; COMPUTE_PGM_RSRC2:USER_SGPR: 2
; COMPUTE_PGM_RSRC2:TRAP_HANDLER: 0
; COMPUTE_PGM_RSRC2:TGID_X_EN: 1
; COMPUTE_PGM_RSRC2:TGID_Y_EN: 0
; COMPUTE_PGM_RSRC2:TGID_Z_EN: 0
; COMPUTE_PGM_RSRC2:TIDIG_COMP_CNT: 0
	.section	.text._ZN7rocprim17ROCPRIM_400000_NS6detail17trampoline_kernelINS0_14default_configENS1_27scan_by_key_config_selectorIiyEEZZNS1_16scan_by_key_implILNS1_25lookback_scan_determinismE0ELb1ES3_N6thrust23THRUST_200600_302600_NS6detail15normal_iteratorINS9_10device_ptrIiEEEENSB_INSC_IyEEEESG_yNS9_4plusIvEENS9_8equal_toIvEEyEE10hipError_tPvRmT2_T3_T4_T5_mT6_T7_P12ihipStream_tbENKUlT_T0_E_clISt17integral_constantIbLb0EES11_EEDaSW_SX_EUlSW_E_NS1_11comp_targetILNS1_3genE9ELNS1_11target_archE1100ELNS1_3gpuE3ELNS1_3repE0EEENS1_30default_config_static_selectorELNS0_4arch9wavefront6targetE0EEEvT1_,"axG",@progbits,_ZN7rocprim17ROCPRIM_400000_NS6detail17trampoline_kernelINS0_14default_configENS1_27scan_by_key_config_selectorIiyEEZZNS1_16scan_by_key_implILNS1_25lookback_scan_determinismE0ELb1ES3_N6thrust23THRUST_200600_302600_NS6detail15normal_iteratorINS9_10device_ptrIiEEEENSB_INSC_IyEEEESG_yNS9_4plusIvEENS9_8equal_toIvEEyEE10hipError_tPvRmT2_T3_T4_T5_mT6_T7_P12ihipStream_tbENKUlT_T0_E_clISt17integral_constantIbLb0EES11_EEDaSW_SX_EUlSW_E_NS1_11comp_targetILNS1_3genE9ELNS1_11target_archE1100ELNS1_3gpuE3ELNS1_3repE0EEENS1_30default_config_static_selectorELNS0_4arch9wavefront6targetE0EEEvT1_,comdat
	.protected	_ZN7rocprim17ROCPRIM_400000_NS6detail17trampoline_kernelINS0_14default_configENS1_27scan_by_key_config_selectorIiyEEZZNS1_16scan_by_key_implILNS1_25lookback_scan_determinismE0ELb1ES3_N6thrust23THRUST_200600_302600_NS6detail15normal_iteratorINS9_10device_ptrIiEEEENSB_INSC_IyEEEESG_yNS9_4plusIvEENS9_8equal_toIvEEyEE10hipError_tPvRmT2_T3_T4_T5_mT6_T7_P12ihipStream_tbENKUlT_T0_E_clISt17integral_constantIbLb0EES11_EEDaSW_SX_EUlSW_E_NS1_11comp_targetILNS1_3genE9ELNS1_11target_archE1100ELNS1_3gpuE3ELNS1_3repE0EEENS1_30default_config_static_selectorELNS0_4arch9wavefront6targetE0EEEvT1_ ; -- Begin function _ZN7rocprim17ROCPRIM_400000_NS6detail17trampoline_kernelINS0_14default_configENS1_27scan_by_key_config_selectorIiyEEZZNS1_16scan_by_key_implILNS1_25lookback_scan_determinismE0ELb1ES3_N6thrust23THRUST_200600_302600_NS6detail15normal_iteratorINS9_10device_ptrIiEEEENSB_INSC_IyEEEESG_yNS9_4plusIvEENS9_8equal_toIvEEyEE10hipError_tPvRmT2_T3_T4_T5_mT6_T7_P12ihipStream_tbENKUlT_T0_E_clISt17integral_constantIbLb0EES11_EEDaSW_SX_EUlSW_E_NS1_11comp_targetILNS1_3genE9ELNS1_11target_archE1100ELNS1_3gpuE3ELNS1_3repE0EEENS1_30default_config_static_selectorELNS0_4arch9wavefront6targetE0EEEvT1_
	.globl	_ZN7rocprim17ROCPRIM_400000_NS6detail17trampoline_kernelINS0_14default_configENS1_27scan_by_key_config_selectorIiyEEZZNS1_16scan_by_key_implILNS1_25lookback_scan_determinismE0ELb1ES3_N6thrust23THRUST_200600_302600_NS6detail15normal_iteratorINS9_10device_ptrIiEEEENSB_INSC_IyEEEESG_yNS9_4plusIvEENS9_8equal_toIvEEyEE10hipError_tPvRmT2_T3_T4_T5_mT6_T7_P12ihipStream_tbENKUlT_T0_E_clISt17integral_constantIbLb0EES11_EEDaSW_SX_EUlSW_E_NS1_11comp_targetILNS1_3genE9ELNS1_11target_archE1100ELNS1_3gpuE3ELNS1_3repE0EEENS1_30default_config_static_selectorELNS0_4arch9wavefront6targetE0EEEvT1_
	.p2align	8
	.type	_ZN7rocprim17ROCPRIM_400000_NS6detail17trampoline_kernelINS0_14default_configENS1_27scan_by_key_config_selectorIiyEEZZNS1_16scan_by_key_implILNS1_25lookback_scan_determinismE0ELb1ES3_N6thrust23THRUST_200600_302600_NS6detail15normal_iteratorINS9_10device_ptrIiEEEENSB_INSC_IyEEEESG_yNS9_4plusIvEENS9_8equal_toIvEEyEE10hipError_tPvRmT2_T3_T4_T5_mT6_T7_P12ihipStream_tbENKUlT_T0_E_clISt17integral_constantIbLb0EES11_EEDaSW_SX_EUlSW_E_NS1_11comp_targetILNS1_3genE9ELNS1_11target_archE1100ELNS1_3gpuE3ELNS1_3repE0EEENS1_30default_config_static_selectorELNS0_4arch9wavefront6targetE0EEEvT1_,@function
_ZN7rocprim17ROCPRIM_400000_NS6detail17trampoline_kernelINS0_14default_configENS1_27scan_by_key_config_selectorIiyEEZZNS1_16scan_by_key_implILNS1_25lookback_scan_determinismE0ELb1ES3_N6thrust23THRUST_200600_302600_NS6detail15normal_iteratorINS9_10device_ptrIiEEEENSB_INSC_IyEEEESG_yNS9_4plusIvEENS9_8equal_toIvEEyEE10hipError_tPvRmT2_T3_T4_T5_mT6_T7_P12ihipStream_tbENKUlT_T0_E_clISt17integral_constantIbLb0EES11_EEDaSW_SX_EUlSW_E_NS1_11comp_targetILNS1_3genE9ELNS1_11target_archE1100ELNS1_3gpuE3ELNS1_3repE0EEENS1_30default_config_static_selectorELNS0_4arch9wavefront6targetE0EEEvT1_: ; @_ZN7rocprim17ROCPRIM_400000_NS6detail17trampoline_kernelINS0_14default_configENS1_27scan_by_key_config_selectorIiyEEZZNS1_16scan_by_key_implILNS1_25lookback_scan_determinismE0ELb1ES3_N6thrust23THRUST_200600_302600_NS6detail15normal_iteratorINS9_10device_ptrIiEEEENSB_INSC_IyEEEESG_yNS9_4plusIvEENS9_8equal_toIvEEyEE10hipError_tPvRmT2_T3_T4_T5_mT6_T7_P12ihipStream_tbENKUlT_T0_E_clISt17integral_constantIbLb0EES11_EEDaSW_SX_EUlSW_E_NS1_11comp_targetILNS1_3genE9ELNS1_11target_archE1100ELNS1_3gpuE3ELNS1_3repE0EEENS1_30default_config_static_selectorELNS0_4arch9wavefront6targetE0EEEvT1_
; %bb.0:
	.section	.rodata,"a",@progbits
	.p2align	6, 0x0
	.amdhsa_kernel _ZN7rocprim17ROCPRIM_400000_NS6detail17trampoline_kernelINS0_14default_configENS1_27scan_by_key_config_selectorIiyEEZZNS1_16scan_by_key_implILNS1_25lookback_scan_determinismE0ELb1ES3_N6thrust23THRUST_200600_302600_NS6detail15normal_iteratorINS9_10device_ptrIiEEEENSB_INSC_IyEEEESG_yNS9_4plusIvEENS9_8equal_toIvEEyEE10hipError_tPvRmT2_T3_T4_T5_mT6_T7_P12ihipStream_tbENKUlT_T0_E_clISt17integral_constantIbLb0EES11_EEDaSW_SX_EUlSW_E_NS1_11comp_targetILNS1_3genE9ELNS1_11target_archE1100ELNS1_3gpuE3ELNS1_3repE0EEENS1_30default_config_static_selectorELNS0_4arch9wavefront6targetE0EEEvT1_
		.amdhsa_group_segment_fixed_size 0
		.amdhsa_private_segment_fixed_size 0
		.amdhsa_kernarg_size 136
		.amdhsa_user_sgpr_count 2
		.amdhsa_user_sgpr_dispatch_ptr 0
		.amdhsa_user_sgpr_queue_ptr 0
		.amdhsa_user_sgpr_kernarg_segment_ptr 1
		.amdhsa_user_sgpr_dispatch_id 0
		.amdhsa_user_sgpr_kernarg_preload_length 0
		.amdhsa_user_sgpr_kernarg_preload_offset 0
		.amdhsa_user_sgpr_private_segment_size 0
		.amdhsa_wavefront_size32 1
		.amdhsa_uses_dynamic_stack 0
		.amdhsa_enable_private_segment 0
		.amdhsa_system_sgpr_workgroup_id_x 1
		.amdhsa_system_sgpr_workgroup_id_y 0
		.amdhsa_system_sgpr_workgroup_id_z 0
		.amdhsa_system_sgpr_workgroup_info 0
		.amdhsa_system_vgpr_workitem_id 0
		.amdhsa_next_free_vgpr 1
		.amdhsa_next_free_sgpr 1
		.amdhsa_named_barrier_count 0
		.amdhsa_reserve_vcc 0
		.amdhsa_float_round_mode_32 0
		.amdhsa_float_round_mode_16_64 0
		.amdhsa_float_denorm_mode_32 3
		.amdhsa_float_denorm_mode_16_64 3
		.amdhsa_fp16_overflow 0
		.amdhsa_memory_ordered 1
		.amdhsa_forward_progress 1
		.amdhsa_inst_pref_size 0
		.amdhsa_round_robin_scheduling 0
		.amdhsa_exception_fp_ieee_invalid_op 0
		.amdhsa_exception_fp_denorm_src 0
		.amdhsa_exception_fp_ieee_div_zero 0
		.amdhsa_exception_fp_ieee_overflow 0
		.amdhsa_exception_fp_ieee_underflow 0
		.amdhsa_exception_fp_ieee_inexact 0
		.amdhsa_exception_int_div_zero 0
	.end_amdhsa_kernel
	.section	.text._ZN7rocprim17ROCPRIM_400000_NS6detail17trampoline_kernelINS0_14default_configENS1_27scan_by_key_config_selectorIiyEEZZNS1_16scan_by_key_implILNS1_25lookback_scan_determinismE0ELb1ES3_N6thrust23THRUST_200600_302600_NS6detail15normal_iteratorINS9_10device_ptrIiEEEENSB_INSC_IyEEEESG_yNS9_4plusIvEENS9_8equal_toIvEEyEE10hipError_tPvRmT2_T3_T4_T5_mT6_T7_P12ihipStream_tbENKUlT_T0_E_clISt17integral_constantIbLb0EES11_EEDaSW_SX_EUlSW_E_NS1_11comp_targetILNS1_3genE9ELNS1_11target_archE1100ELNS1_3gpuE3ELNS1_3repE0EEENS1_30default_config_static_selectorELNS0_4arch9wavefront6targetE0EEEvT1_,"axG",@progbits,_ZN7rocprim17ROCPRIM_400000_NS6detail17trampoline_kernelINS0_14default_configENS1_27scan_by_key_config_selectorIiyEEZZNS1_16scan_by_key_implILNS1_25lookback_scan_determinismE0ELb1ES3_N6thrust23THRUST_200600_302600_NS6detail15normal_iteratorINS9_10device_ptrIiEEEENSB_INSC_IyEEEESG_yNS9_4plusIvEENS9_8equal_toIvEEyEE10hipError_tPvRmT2_T3_T4_T5_mT6_T7_P12ihipStream_tbENKUlT_T0_E_clISt17integral_constantIbLb0EES11_EEDaSW_SX_EUlSW_E_NS1_11comp_targetILNS1_3genE9ELNS1_11target_archE1100ELNS1_3gpuE3ELNS1_3repE0EEENS1_30default_config_static_selectorELNS0_4arch9wavefront6targetE0EEEvT1_,comdat
.Lfunc_end1470:
	.size	_ZN7rocprim17ROCPRIM_400000_NS6detail17trampoline_kernelINS0_14default_configENS1_27scan_by_key_config_selectorIiyEEZZNS1_16scan_by_key_implILNS1_25lookback_scan_determinismE0ELb1ES3_N6thrust23THRUST_200600_302600_NS6detail15normal_iteratorINS9_10device_ptrIiEEEENSB_INSC_IyEEEESG_yNS9_4plusIvEENS9_8equal_toIvEEyEE10hipError_tPvRmT2_T3_T4_T5_mT6_T7_P12ihipStream_tbENKUlT_T0_E_clISt17integral_constantIbLb0EES11_EEDaSW_SX_EUlSW_E_NS1_11comp_targetILNS1_3genE9ELNS1_11target_archE1100ELNS1_3gpuE3ELNS1_3repE0EEENS1_30default_config_static_selectorELNS0_4arch9wavefront6targetE0EEEvT1_, .Lfunc_end1470-_ZN7rocprim17ROCPRIM_400000_NS6detail17trampoline_kernelINS0_14default_configENS1_27scan_by_key_config_selectorIiyEEZZNS1_16scan_by_key_implILNS1_25lookback_scan_determinismE0ELb1ES3_N6thrust23THRUST_200600_302600_NS6detail15normal_iteratorINS9_10device_ptrIiEEEENSB_INSC_IyEEEESG_yNS9_4plusIvEENS9_8equal_toIvEEyEE10hipError_tPvRmT2_T3_T4_T5_mT6_T7_P12ihipStream_tbENKUlT_T0_E_clISt17integral_constantIbLb0EES11_EEDaSW_SX_EUlSW_E_NS1_11comp_targetILNS1_3genE9ELNS1_11target_archE1100ELNS1_3gpuE3ELNS1_3repE0EEENS1_30default_config_static_selectorELNS0_4arch9wavefront6targetE0EEEvT1_
                                        ; -- End function
	.set _ZN7rocprim17ROCPRIM_400000_NS6detail17trampoline_kernelINS0_14default_configENS1_27scan_by_key_config_selectorIiyEEZZNS1_16scan_by_key_implILNS1_25lookback_scan_determinismE0ELb1ES3_N6thrust23THRUST_200600_302600_NS6detail15normal_iteratorINS9_10device_ptrIiEEEENSB_INSC_IyEEEESG_yNS9_4plusIvEENS9_8equal_toIvEEyEE10hipError_tPvRmT2_T3_T4_T5_mT6_T7_P12ihipStream_tbENKUlT_T0_E_clISt17integral_constantIbLb0EES11_EEDaSW_SX_EUlSW_E_NS1_11comp_targetILNS1_3genE9ELNS1_11target_archE1100ELNS1_3gpuE3ELNS1_3repE0EEENS1_30default_config_static_selectorELNS0_4arch9wavefront6targetE0EEEvT1_.num_vgpr, 0
	.set _ZN7rocprim17ROCPRIM_400000_NS6detail17trampoline_kernelINS0_14default_configENS1_27scan_by_key_config_selectorIiyEEZZNS1_16scan_by_key_implILNS1_25lookback_scan_determinismE0ELb1ES3_N6thrust23THRUST_200600_302600_NS6detail15normal_iteratorINS9_10device_ptrIiEEEENSB_INSC_IyEEEESG_yNS9_4plusIvEENS9_8equal_toIvEEyEE10hipError_tPvRmT2_T3_T4_T5_mT6_T7_P12ihipStream_tbENKUlT_T0_E_clISt17integral_constantIbLb0EES11_EEDaSW_SX_EUlSW_E_NS1_11comp_targetILNS1_3genE9ELNS1_11target_archE1100ELNS1_3gpuE3ELNS1_3repE0EEENS1_30default_config_static_selectorELNS0_4arch9wavefront6targetE0EEEvT1_.num_agpr, 0
	.set _ZN7rocprim17ROCPRIM_400000_NS6detail17trampoline_kernelINS0_14default_configENS1_27scan_by_key_config_selectorIiyEEZZNS1_16scan_by_key_implILNS1_25lookback_scan_determinismE0ELb1ES3_N6thrust23THRUST_200600_302600_NS6detail15normal_iteratorINS9_10device_ptrIiEEEENSB_INSC_IyEEEESG_yNS9_4plusIvEENS9_8equal_toIvEEyEE10hipError_tPvRmT2_T3_T4_T5_mT6_T7_P12ihipStream_tbENKUlT_T0_E_clISt17integral_constantIbLb0EES11_EEDaSW_SX_EUlSW_E_NS1_11comp_targetILNS1_3genE9ELNS1_11target_archE1100ELNS1_3gpuE3ELNS1_3repE0EEENS1_30default_config_static_selectorELNS0_4arch9wavefront6targetE0EEEvT1_.numbered_sgpr, 0
	.set _ZN7rocprim17ROCPRIM_400000_NS6detail17trampoline_kernelINS0_14default_configENS1_27scan_by_key_config_selectorIiyEEZZNS1_16scan_by_key_implILNS1_25lookback_scan_determinismE0ELb1ES3_N6thrust23THRUST_200600_302600_NS6detail15normal_iteratorINS9_10device_ptrIiEEEENSB_INSC_IyEEEESG_yNS9_4plusIvEENS9_8equal_toIvEEyEE10hipError_tPvRmT2_T3_T4_T5_mT6_T7_P12ihipStream_tbENKUlT_T0_E_clISt17integral_constantIbLb0EES11_EEDaSW_SX_EUlSW_E_NS1_11comp_targetILNS1_3genE9ELNS1_11target_archE1100ELNS1_3gpuE3ELNS1_3repE0EEENS1_30default_config_static_selectorELNS0_4arch9wavefront6targetE0EEEvT1_.num_named_barrier, 0
	.set _ZN7rocprim17ROCPRIM_400000_NS6detail17trampoline_kernelINS0_14default_configENS1_27scan_by_key_config_selectorIiyEEZZNS1_16scan_by_key_implILNS1_25lookback_scan_determinismE0ELb1ES3_N6thrust23THRUST_200600_302600_NS6detail15normal_iteratorINS9_10device_ptrIiEEEENSB_INSC_IyEEEESG_yNS9_4plusIvEENS9_8equal_toIvEEyEE10hipError_tPvRmT2_T3_T4_T5_mT6_T7_P12ihipStream_tbENKUlT_T0_E_clISt17integral_constantIbLb0EES11_EEDaSW_SX_EUlSW_E_NS1_11comp_targetILNS1_3genE9ELNS1_11target_archE1100ELNS1_3gpuE3ELNS1_3repE0EEENS1_30default_config_static_selectorELNS0_4arch9wavefront6targetE0EEEvT1_.private_seg_size, 0
	.set _ZN7rocprim17ROCPRIM_400000_NS6detail17trampoline_kernelINS0_14default_configENS1_27scan_by_key_config_selectorIiyEEZZNS1_16scan_by_key_implILNS1_25lookback_scan_determinismE0ELb1ES3_N6thrust23THRUST_200600_302600_NS6detail15normal_iteratorINS9_10device_ptrIiEEEENSB_INSC_IyEEEESG_yNS9_4plusIvEENS9_8equal_toIvEEyEE10hipError_tPvRmT2_T3_T4_T5_mT6_T7_P12ihipStream_tbENKUlT_T0_E_clISt17integral_constantIbLb0EES11_EEDaSW_SX_EUlSW_E_NS1_11comp_targetILNS1_3genE9ELNS1_11target_archE1100ELNS1_3gpuE3ELNS1_3repE0EEENS1_30default_config_static_selectorELNS0_4arch9wavefront6targetE0EEEvT1_.uses_vcc, 0
	.set _ZN7rocprim17ROCPRIM_400000_NS6detail17trampoline_kernelINS0_14default_configENS1_27scan_by_key_config_selectorIiyEEZZNS1_16scan_by_key_implILNS1_25lookback_scan_determinismE0ELb1ES3_N6thrust23THRUST_200600_302600_NS6detail15normal_iteratorINS9_10device_ptrIiEEEENSB_INSC_IyEEEESG_yNS9_4plusIvEENS9_8equal_toIvEEyEE10hipError_tPvRmT2_T3_T4_T5_mT6_T7_P12ihipStream_tbENKUlT_T0_E_clISt17integral_constantIbLb0EES11_EEDaSW_SX_EUlSW_E_NS1_11comp_targetILNS1_3genE9ELNS1_11target_archE1100ELNS1_3gpuE3ELNS1_3repE0EEENS1_30default_config_static_selectorELNS0_4arch9wavefront6targetE0EEEvT1_.uses_flat_scratch, 0
	.set _ZN7rocprim17ROCPRIM_400000_NS6detail17trampoline_kernelINS0_14default_configENS1_27scan_by_key_config_selectorIiyEEZZNS1_16scan_by_key_implILNS1_25lookback_scan_determinismE0ELb1ES3_N6thrust23THRUST_200600_302600_NS6detail15normal_iteratorINS9_10device_ptrIiEEEENSB_INSC_IyEEEESG_yNS9_4plusIvEENS9_8equal_toIvEEyEE10hipError_tPvRmT2_T3_T4_T5_mT6_T7_P12ihipStream_tbENKUlT_T0_E_clISt17integral_constantIbLb0EES11_EEDaSW_SX_EUlSW_E_NS1_11comp_targetILNS1_3genE9ELNS1_11target_archE1100ELNS1_3gpuE3ELNS1_3repE0EEENS1_30default_config_static_selectorELNS0_4arch9wavefront6targetE0EEEvT1_.has_dyn_sized_stack, 0
	.set _ZN7rocprim17ROCPRIM_400000_NS6detail17trampoline_kernelINS0_14default_configENS1_27scan_by_key_config_selectorIiyEEZZNS1_16scan_by_key_implILNS1_25lookback_scan_determinismE0ELb1ES3_N6thrust23THRUST_200600_302600_NS6detail15normal_iteratorINS9_10device_ptrIiEEEENSB_INSC_IyEEEESG_yNS9_4plusIvEENS9_8equal_toIvEEyEE10hipError_tPvRmT2_T3_T4_T5_mT6_T7_P12ihipStream_tbENKUlT_T0_E_clISt17integral_constantIbLb0EES11_EEDaSW_SX_EUlSW_E_NS1_11comp_targetILNS1_3genE9ELNS1_11target_archE1100ELNS1_3gpuE3ELNS1_3repE0EEENS1_30default_config_static_selectorELNS0_4arch9wavefront6targetE0EEEvT1_.has_recursion, 0
	.set _ZN7rocprim17ROCPRIM_400000_NS6detail17trampoline_kernelINS0_14default_configENS1_27scan_by_key_config_selectorIiyEEZZNS1_16scan_by_key_implILNS1_25lookback_scan_determinismE0ELb1ES3_N6thrust23THRUST_200600_302600_NS6detail15normal_iteratorINS9_10device_ptrIiEEEENSB_INSC_IyEEEESG_yNS9_4plusIvEENS9_8equal_toIvEEyEE10hipError_tPvRmT2_T3_T4_T5_mT6_T7_P12ihipStream_tbENKUlT_T0_E_clISt17integral_constantIbLb0EES11_EEDaSW_SX_EUlSW_E_NS1_11comp_targetILNS1_3genE9ELNS1_11target_archE1100ELNS1_3gpuE3ELNS1_3repE0EEENS1_30default_config_static_selectorELNS0_4arch9wavefront6targetE0EEEvT1_.has_indirect_call, 0
	.section	.AMDGPU.csdata,"",@progbits
; Kernel info:
; codeLenInByte = 0
; TotalNumSgprs: 0
; NumVgprs: 0
; ScratchSize: 0
; MemoryBound: 0
; FloatMode: 240
; IeeeMode: 1
; LDSByteSize: 0 bytes/workgroup (compile time only)
; SGPRBlocks: 0
; VGPRBlocks: 0
; NumSGPRsForWavesPerEU: 1
; NumVGPRsForWavesPerEU: 1
; NamedBarCnt: 0
; Occupancy: 16
; WaveLimiterHint : 0
; COMPUTE_PGM_RSRC2:SCRATCH_EN: 0
; COMPUTE_PGM_RSRC2:USER_SGPR: 2
; COMPUTE_PGM_RSRC2:TRAP_HANDLER: 0
; COMPUTE_PGM_RSRC2:TGID_X_EN: 1
; COMPUTE_PGM_RSRC2:TGID_Y_EN: 0
; COMPUTE_PGM_RSRC2:TGID_Z_EN: 0
; COMPUTE_PGM_RSRC2:TIDIG_COMP_CNT: 0
	.section	.text._ZN7rocprim17ROCPRIM_400000_NS6detail17trampoline_kernelINS0_14default_configENS1_27scan_by_key_config_selectorIiyEEZZNS1_16scan_by_key_implILNS1_25lookback_scan_determinismE0ELb1ES3_N6thrust23THRUST_200600_302600_NS6detail15normal_iteratorINS9_10device_ptrIiEEEENSB_INSC_IyEEEESG_yNS9_4plusIvEENS9_8equal_toIvEEyEE10hipError_tPvRmT2_T3_T4_T5_mT6_T7_P12ihipStream_tbENKUlT_T0_E_clISt17integral_constantIbLb0EES11_EEDaSW_SX_EUlSW_E_NS1_11comp_targetILNS1_3genE8ELNS1_11target_archE1030ELNS1_3gpuE2ELNS1_3repE0EEENS1_30default_config_static_selectorELNS0_4arch9wavefront6targetE0EEEvT1_,"axG",@progbits,_ZN7rocprim17ROCPRIM_400000_NS6detail17trampoline_kernelINS0_14default_configENS1_27scan_by_key_config_selectorIiyEEZZNS1_16scan_by_key_implILNS1_25lookback_scan_determinismE0ELb1ES3_N6thrust23THRUST_200600_302600_NS6detail15normal_iteratorINS9_10device_ptrIiEEEENSB_INSC_IyEEEESG_yNS9_4plusIvEENS9_8equal_toIvEEyEE10hipError_tPvRmT2_T3_T4_T5_mT6_T7_P12ihipStream_tbENKUlT_T0_E_clISt17integral_constantIbLb0EES11_EEDaSW_SX_EUlSW_E_NS1_11comp_targetILNS1_3genE8ELNS1_11target_archE1030ELNS1_3gpuE2ELNS1_3repE0EEENS1_30default_config_static_selectorELNS0_4arch9wavefront6targetE0EEEvT1_,comdat
	.protected	_ZN7rocprim17ROCPRIM_400000_NS6detail17trampoline_kernelINS0_14default_configENS1_27scan_by_key_config_selectorIiyEEZZNS1_16scan_by_key_implILNS1_25lookback_scan_determinismE0ELb1ES3_N6thrust23THRUST_200600_302600_NS6detail15normal_iteratorINS9_10device_ptrIiEEEENSB_INSC_IyEEEESG_yNS9_4plusIvEENS9_8equal_toIvEEyEE10hipError_tPvRmT2_T3_T4_T5_mT6_T7_P12ihipStream_tbENKUlT_T0_E_clISt17integral_constantIbLb0EES11_EEDaSW_SX_EUlSW_E_NS1_11comp_targetILNS1_3genE8ELNS1_11target_archE1030ELNS1_3gpuE2ELNS1_3repE0EEENS1_30default_config_static_selectorELNS0_4arch9wavefront6targetE0EEEvT1_ ; -- Begin function _ZN7rocprim17ROCPRIM_400000_NS6detail17trampoline_kernelINS0_14default_configENS1_27scan_by_key_config_selectorIiyEEZZNS1_16scan_by_key_implILNS1_25lookback_scan_determinismE0ELb1ES3_N6thrust23THRUST_200600_302600_NS6detail15normal_iteratorINS9_10device_ptrIiEEEENSB_INSC_IyEEEESG_yNS9_4plusIvEENS9_8equal_toIvEEyEE10hipError_tPvRmT2_T3_T4_T5_mT6_T7_P12ihipStream_tbENKUlT_T0_E_clISt17integral_constantIbLb0EES11_EEDaSW_SX_EUlSW_E_NS1_11comp_targetILNS1_3genE8ELNS1_11target_archE1030ELNS1_3gpuE2ELNS1_3repE0EEENS1_30default_config_static_selectorELNS0_4arch9wavefront6targetE0EEEvT1_
	.globl	_ZN7rocprim17ROCPRIM_400000_NS6detail17trampoline_kernelINS0_14default_configENS1_27scan_by_key_config_selectorIiyEEZZNS1_16scan_by_key_implILNS1_25lookback_scan_determinismE0ELb1ES3_N6thrust23THRUST_200600_302600_NS6detail15normal_iteratorINS9_10device_ptrIiEEEENSB_INSC_IyEEEESG_yNS9_4plusIvEENS9_8equal_toIvEEyEE10hipError_tPvRmT2_T3_T4_T5_mT6_T7_P12ihipStream_tbENKUlT_T0_E_clISt17integral_constantIbLb0EES11_EEDaSW_SX_EUlSW_E_NS1_11comp_targetILNS1_3genE8ELNS1_11target_archE1030ELNS1_3gpuE2ELNS1_3repE0EEENS1_30default_config_static_selectorELNS0_4arch9wavefront6targetE0EEEvT1_
	.p2align	8
	.type	_ZN7rocprim17ROCPRIM_400000_NS6detail17trampoline_kernelINS0_14default_configENS1_27scan_by_key_config_selectorIiyEEZZNS1_16scan_by_key_implILNS1_25lookback_scan_determinismE0ELb1ES3_N6thrust23THRUST_200600_302600_NS6detail15normal_iteratorINS9_10device_ptrIiEEEENSB_INSC_IyEEEESG_yNS9_4plusIvEENS9_8equal_toIvEEyEE10hipError_tPvRmT2_T3_T4_T5_mT6_T7_P12ihipStream_tbENKUlT_T0_E_clISt17integral_constantIbLb0EES11_EEDaSW_SX_EUlSW_E_NS1_11comp_targetILNS1_3genE8ELNS1_11target_archE1030ELNS1_3gpuE2ELNS1_3repE0EEENS1_30default_config_static_selectorELNS0_4arch9wavefront6targetE0EEEvT1_,@function
_ZN7rocprim17ROCPRIM_400000_NS6detail17trampoline_kernelINS0_14default_configENS1_27scan_by_key_config_selectorIiyEEZZNS1_16scan_by_key_implILNS1_25lookback_scan_determinismE0ELb1ES3_N6thrust23THRUST_200600_302600_NS6detail15normal_iteratorINS9_10device_ptrIiEEEENSB_INSC_IyEEEESG_yNS9_4plusIvEENS9_8equal_toIvEEyEE10hipError_tPvRmT2_T3_T4_T5_mT6_T7_P12ihipStream_tbENKUlT_T0_E_clISt17integral_constantIbLb0EES11_EEDaSW_SX_EUlSW_E_NS1_11comp_targetILNS1_3genE8ELNS1_11target_archE1030ELNS1_3gpuE2ELNS1_3repE0EEENS1_30default_config_static_selectorELNS0_4arch9wavefront6targetE0EEEvT1_: ; @_ZN7rocprim17ROCPRIM_400000_NS6detail17trampoline_kernelINS0_14default_configENS1_27scan_by_key_config_selectorIiyEEZZNS1_16scan_by_key_implILNS1_25lookback_scan_determinismE0ELb1ES3_N6thrust23THRUST_200600_302600_NS6detail15normal_iteratorINS9_10device_ptrIiEEEENSB_INSC_IyEEEESG_yNS9_4plusIvEENS9_8equal_toIvEEyEE10hipError_tPvRmT2_T3_T4_T5_mT6_T7_P12ihipStream_tbENKUlT_T0_E_clISt17integral_constantIbLb0EES11_EEDaSW_SX_EUlSW_E_NS1_11comp_targetILNS1_3genE8ELNS1_11target_archE1030ELNS1_3gpuE2ELNS1_3repE0EEENS1_30default_config_static_selectorELNS0_4arch9wavefront6targetE0EEEvT1_
; %bb.0:
	.section	.rodata,"a",@progbits
	.p2align	6, 0x0
	.amdhsa_kernel _ZN7rocprim17ROCPRIM_400000_NS6detail17trampoline_kernelINS0_14default_configENS1_27scan_by_key_config_selectorIiyEEZZNS1_16scan_by_key_implILNS1_25lookback_scan_determinismE0ELb1ES3_N6thrust23THRUST_200600_302600_NS6detail15normal_iteratorINS9_10device_ptrIiEEEENSB_INSC_IyEEEESG_yNS9_4plusIvEENS9_8equal_toIvEEyEE10hipError_tPvRmT2_T3_T4_T5_mT6_T7_P12ihipStream_tbENKUlT_T0_E_clISt17integral_constantIbLb0EES11_EEDaSW_SX_EUlSW_E_NS1_11comp_targetILNS1_3genE8ELNS1_11target_archE1030ELNS1_3gpuE2ELNS1_3repE0EEENS1_30default_config_static_selectorELNS0_4arch9wavefront6targetE0EEEvT1_
		.amdhsa_group_segment_fixed_size 0
		.amdhsa_private_segment_fixed_size 0
		.amdhsa_kernarg_size 136
		.amdhsa_user_sgpr_count 2
		.amdhsa_user_sgpr_dispatch_ptr 0
		.amdhsa_user_sgpr_queue_ptr 0
		.amdhsa_user_sgpr_kernarg_segment_ptr 1
		.amdhsa_user_sgpr_dispatch_id 0
		.amdhsa_user_sgpr_kernarg_preload_length 0
		.amdhsa_user_sgpr_kernarg_preload_offset 0
		.amdhsa_user_sgpr_private_segment_size 0
		.amdhsa_wavefront_size32 1
		.amdhsa_uses_dynamic_stack 0
		.amdhsa_enable_private_segment 0
		.amdhsa_system_sgpr_workgroup_id_x 1
		.amdhsa_system_sgpr_workgroup_id_y 0
		.amdhsa_system_sgpr_workgroup_id_z 0
		.amdhsa_system_sgpr_workgroup_info 0
		.amdhsa_system_vgpr_workitem_id 0
		.amdhsa_next_free_vgpr 1
		.amdhsa_next_free_sgpr 1
		.amdhsa_named_barrier_count 0
		.amdhsa_reserve_vcc 0
		.amdhsa_float_round_mode_32 0
		.amdhsa_float_round_mode_16_64 0
		.amdhsa_float_denorm_mode_32 3
		.amdhsa_float_denorm_mode_16_64 3
		.amdhsa_fp16_overflow 0
		.amdhsa_memory_ordered 1
		.amdhsa_forward_progress 1
		.amdhsa_inst_pref_size 0
		.amdhsa_round_robin_scheduling 0
		.amdhsa_exception_fp_ieee_invalid_op 0
		.amdhsa_exception_fp_denorm_src 0
		.amdhsa_exception_fp_ieee_div_zero 0
		.amdhsa_exception_fp_ieee_overflow 0
		.amdhsa_exception_fp_ieee_underflow 0
		.amdhsa_exception_fp_ieee_inexact 0
		.amdhsa_exception_int_div_zero 0
	.end_amdhsa_kernel
	.section	.text._ZN7rocprim17ROCPRIM_400000_NS6detail17trampoline_kernelINS0_14default_configENS1_27scan_by_key_config_selectorIiyEEZZNS1_16scan_by_key_implILNS1_25lookback_scan_determinismE0ELb1ES3_N6thrust23THRUST_200600_302600_NS6detail15normal_iteratorINS9_10device_ptrIiEEEENSB_INSC_IyEEEESG_yNS9_4plusIvEENS9_8equal_toIvEEyEE10hipError_tPvRmT2_T3_T4_T5_mT6_T7_P12ihipStream_tbENKUlT_T0_E_clISt17integral_constantIbLb0EES11_EEDaSW_SX_EUlSW_E_NS1_11comp_targetILNS1_3genE8ELNS1_11target_archE1030ELNS1_3gpuE2ELNS1_3repE0EEENS1_30default_config_static_selectorELNS0_4arch9wavefront6targetE0EEEvT1_,"axG",@progbits,_ZN7rocprim17ROCPRIM_400000_NS6detail17trampoline_kernelINS0_14default_configENS1_27scan_by_key_config_selectorIiyEEZZNS1_16scan_by_key_implILNS1_25lookback_scan_determinismE0ELb1ES3_N6thrust23THRUST_200600_302600_NS6detail15normal_iteratorINS9_10device_ptrIiEEEENSB_INSC_IyEEEESG_yNS9_4plusIvEENS9_8equal_toIvEEyEE10hipError_tPvRmT2_T3_T4_T5_mT6_T7_P12ihipStream_tbENKUlT_T0_E_clISt17integral_constantIbLb0EES11_EEDaSW_SX_EUlSW_E_NS1_11comp_targetILNS1_3genE8ELNS1_11target_archE1030ELNS1_3gpuE2ELNS1_3repE0EEENS1_30default_config_static_selectorELNS0_4arch9wavefront6targetE0EEEvT1_,comdat
.Lfunc_end1471:
	.size	_ZN7rocprim17ROCPRIM_400000_NS6detail17trampoline_kernelINS0_14default_configENS1_27scan_by_key_config_selectorIiyEEZZNS1_16scan_by_key_implILNS1_25lookback_scan_determinismE0ELb1ES3_N6thrust23THRUST_200600_302600_NS6detail15normal_iteratorINS9_10device_ptrIiEEEENSB_INSC_IyEEEESG_yNS9_4plusIvEENS9_8equal_toIvEEyEE10hipError_tPvRmT2_T3_T4_T5_mT6_T7_P12ihipStream_tbENKUlT_T0_E_clISt17integral_constantIbLb0EES11_EEDaSW_SX_EUlSW_E_NS1_11comp_targetILNS1_3genE8ELNS1_11target_archE1030ELNS1_3gpuE2ELNS1_3repE0EEENS1_30default_config_static_selectorELNS0_4arch9wavefront6targetE0EEEvT1_, .Lfunc_end1471-_ZN7rocprim17ROCPRIM_400000_NS6detail17trampoline_kernelINS0_14default_configENS1_27scan_by_key_config_selectorIiyEEZZNS1_16scan_by_key_implILNS1_25lookback_scan_determinismE0ELb1ES3_N6thrust23THRUST_200600_302600_NS6detail15normal_iteratorINS9_10device_ptrIiEEEENSB_INSC_IyEEEESG_yNS9_4plusIvEENS9_8equal_toIvEEyEE10hipError_tPvRmT2_T3_T4_T5_mT6_T7_P12ihipStream_tbENKUlT_T0_E_clISt17integral_constantIbLb0EES11_EEDaSW_SX_EUlSW_E_NS1_11comp_targetILNS1_3genE8ELNS1_11target_archE1030ELNS1_3gpuE2ELNS1_3repE0EEENS1_30default_config_static_selectorELNS0_4arch9wavefront6targetE0EEEvT1_
                                        ; -- End function
	.set _ZN7rocprim17ROCPRIM_400000_NS6detail17trampoline_kernelINS0_14default_configENS1_27scan_by_key_config_selectorIiyEEZZNS1_16scan_by_key_implILNS1_25lookback_scan_determinismE0ELb1ES3_N6thrust23THRUST_200600_302600_NS6detail15normal_iteratorINS9_10device_ptrIiEEEENSB_INSC_IyEEEESG_yNS9_4plusIvEENS9_8equal_toIvEEyEE10hipError_tPvRmT2_T3_T4_T5_mT6_T7_P12ihipStream_tbENKUlT_T0_E_clISt17integral_constantIbLb0EES11_EEDaSW_SX_EUlSW_E_NS1_11comp_targetILNS1_3genE8ELNS1_11target_archE1030ELNS1_3gpuE2ELNS1_3repE0EEENS1_30default_config_static_selectorELNS0_4arch9wavefront6targetE0EEEvT1_.num_vgpr, 0
	.set _ZN7rocprim17ROCPRIM_400000_NS6detail17trampoline_kernelINS0_14default_configENS1_27scan_by_key_config_selectorIiyEEZZNS1_16scan_by_key_implILNS1_25lookback_scan_determinismE0ELb1ES3_N6thrust23THRUST_200600_302600_NS6detail15normal_iteratorINS9_10device_ptrIiEEEENSB_INSC_IyEEEESG_yNS9_4plusIvEENS9_8equal_toIvEEyEE10hipError_tPvRmT2_T3_T4_T5_mT6_T7_P12ihipStream_tbENKUlT_T0_E_clISt17integral_constantIbLb0EES11_EEDaSW_SX_EUlSW_E_NS1_11comp_targetILNS1_3genE8ELNS1_11target_archE1030ELNS1_3gpuE2ELNS1_3repE0EEENS1_30default_config_static_selectorELNS0_4arch9wavefront6targetE0EEEvT1_.num_agpr, 0
	.set _ZN7rocprim17ROCPRIM_400000_NS6detail17trampoline_kernelINS0_14default_configENS1_27scan_by_key_config_selectorIiyEEZZNS1_16scan_by_key_implILNS1_25lookback_scan_determinismE0ELb1ES3_N6thrust23THRUST_200600_302600_NS6detail15normal_iteratorINS9_10device_ptrIiEEEENSB_INSC_IyEEEESG_yNS9_4plusIvEENS9_8equal_toIvEEyEE10hipError_tPvRmT2_T3_T4_T5_mT6_T7_P12ihipStream_tbENKUlT_T0_E_clISt17integral_constantIbLb0EES11_EEDaSW_SX_EUlSW_E_NS1_11comp_targetILNS1_3genE8ELNS1_11target_archE1030ELNS1_3gpuE2ELNS1_3repE0EEENS1_30default_config_static_selectorELNS0_4arch9wavefront6targetE0EEEvT1_.numbered_sgpr, 0
	.set _ZN7rocprim17ROCPRIM_400000_NS6detail17trampoline_kernelINS0_14default_configENS1_27scan_by_key_config_selectorIiyEEZZNS1_16scan_by_key_implILNS1_25lookback_scan_determinismE0ELb1ES3_N6thrust23THRUST_200600_302600_NS6detail15normal_iteratorINS9_10device_ptrIiEEEENSB_INSC_IyEEEESG_yNS9_4plusIvEENS9_8equal_toIvEEyEE10hipError_tPvRmT2_T3_T4_T5_mT6_T7_P12ihipStream_tbENKUlT_T0_E_clISt17integral_constantIbLb0EES11_EEDaSW_SX_EUlSW_E_NS1_11comp_targetILNS1_3genE8ELNS1_11target_archE1030ELNS1_3gpuE2ELNS1_3repE0EEENS1_30default_config_static_selectorELNS0_4arch9wavefront6targetE0EEEvT1_.num_named_barrier, 0
	.set _ZN7rocprim17ROCPRIM_400000_NS6detail17trampoline_kernelINS0_14default_configENS1_27scan_by_key_config_selectorIiyEEZZNS1_16scan_by_key_implILNS1_25lookback_scan_determinismE0ELb1ES3_N6thrust23THRUST_200600_302600_NS6detail15normal_iteratorINS9_10device_ptrIiEEEENSB_INSC_IyEEEESG_yNS9_4plusIvEENS9_8equal_toIvEEyEE10hipError_tPvRmT2_T3_T4_T5_mT6_T7_P12ihipStream_tbENKUlT_T0_E_clISt17integral_constantIbLb0EES11_EEDaSW_SX_EUlSW_E_NS1_11comp_targetILNS1_3genE8ELNS1_11target_archE1030ELNS1_3gpuE2ELNS1_3repE0EEENS1_30default_config_static_selectorELNS0_4arch9wavefront6targetE0EEEvT1_.private_seg_size, 0
	.set _ZN7rocprim17ROCPRIM_400000_NS6detail17trampoline_kernelINS0_14default_configENS1_27scan_by_key_config_selectorIiyEEZZNS1_16scan_by_key_implILNS1_25lookback_scan_determinismE0ELb1ES3_N6thrust23THRUST_200600_302600_NS6detail15normal_iteratorINS9_10device_ptrIiEEEENSB_INSC_IyEEEESG_yNS9_4plusIvEENS9_8equal_toIvEEyEE10hipError_tPvRmT2_T3_T4_T5_mT6_T7_P12ihipStream_tbENKUlT_T0_E_clISt17integral_constantIbLb0EES11_EEDaSW_SX_EUlSW_E_NS1_11comp_targetILNS1_3genE8ELNS1_11target_archE1030ELNS1_3gpuE2ELNS1_3repE0EEENS1_30default_config_static_selectorELNS0_4arch9wavefront6targetE0EEEvT1_.uses_vcc, 0
	.set _ZN7rocprim17ROCPRIM_400000_NS6detail17trampoline_kernelINS0_14default_configENS1_27scan_by_key_config_selectorIiyEEZZNS1_16scan_by_key_implILNS1_25lookback_scan_determinismE0ELb1ES3_N6thrust23THRUST_200600_302600_NS6detail15normal_iteratorINS9_10device_ptrIiEEEENSB_INSC_IyEEEESG_yNS9_4plusIvEENS9_8equal_toIvEEyEE10hipError_tPvRmT2_T3_T4_T5_mT6_T7_P12ihipStream_tbENKUlT_T0_E_clISt17integral_constantIbLb0EES11_EEDaSW_SX_EUlSW_E_NS1_11comp_targetILNS1_3genE8ELNS1_11target_archE1030ELNS1_3gpuE2ELNS1_3repE0EEENS1_30default_config_static_selectorELNS0_4arch9wavefront6targetE0EEEvT1_.uses_flat_scratch, 0
	.set _ZN7rocprim17ROCPRIM_400000_NS6detail17trampoline_kernelINS0_14default_configENS1_27scan_by_key_config_selectorIiyEEZZNS1_16scan_by_key_implILNS1_25lookback_scan_determinismE0ELb1ES3_N6thrust23THRUST_200600_302600_NS6detail15normal_iteratorINS9_10device_ptrIiEEEENSB_INSC_IyEEEESG_yNS9_4plusIvEENS9_8equal_toIvEEyEE10hipError_tPvRmT2_T3_T4_T5_mT6_T7_P12ihipStream_tbENKUlT_T0_E_clISt17integral_constantIbLb0EES11_EEDaSW_SX_EUlSW_E_NS1_11comp_targetILNS1_3genE8ELNS1_11target_archE1030ELNS1_3gpuE2ELNS1_3repE0EEENS1_30default_config_static_selectorELNS0_4arch9wavefront6targetE0EEEvT1_.has_dyn_sized_stack, 0
	.set _ZN7rocprim17ROCPRIM_400000_NS6detail17trampoline_kernelINS0_14default_configENS1_27scan_by_key_config_selectorIiyEEZZNS1_16scan_by_key_implILNS1_25lookback_scan_determinismE0ELb1ES3_N6thrust23THRUST_200600_302600_NS6detail15normal_iteratorINS9_10device_ptrIiEEEENSB_INSC_IyEEEESG_yNS9_4plusIvEENS9_8equal_toIvEEyEE10hipError_tPvRmT2_T3_T4_T5_mT6_T7_P12ihipStream_tbENKUlT_T0_E_clISt17integral_constantIbLb0EES11_EEDaSW_SX_EUlSW_E_NS1_11comp_targetILNS1_3genE8ELNS1_11target_archE1030ELNS1_3gpuE2ELNS1_3repE0EEENS1_30default_config_static_selectorELNS0_4arch9wavefront6targetE0EEEvT1_.has_recursion, 0
	.set _ZN7rocprim17ROCPRIM_400000_NS6detail17trampoline_kernelINS0_14default_configENS1_27scan_by_key_config_selectorIiyEEZZNS1_16scan_by_key_implILNS1_25lookback_scan_determinismE0ELb1ES3_N6thrust23THRUST_200600_302600_NS6detail15normal_iteratorINS9_10device_ptrIiEEEENSB_INSC_IyEEEESG_yNS9_4plusIvEENS9_8equal_toIvEEyEE10hipError_tPvRmT2_T3_T4_T5_mT6_T7_P12ihipStream_tbENKUlT_T0_E_clISt17integral_constantIbLb0EES11_EEDaSW_SX_EUlSW_E_NS1_11comp_targetILNS1_3genE8ELNS1_11target_archE1030ELNS1_3gpuE2ELNS1_3repE0EEENS1_30default_config_static_selectorELNS0_4arch9wavefront6targetE0EEEvT1_.has_indirect_call, 0
	.section	.AMDGPU.csdata,"",@progbits
; Kernel info:
; codeLenInByte = 0
; TotalNumSgprs: 0
; NumVgprs: 0
; ScratchSize: 0
; MemoryBound: 0
; FloatMode: 240
; IeeeMode: 1
; LDSByteSize: 0 bytes/workgroup (compile time only)
; SGPRBlocks: 0
; VGPRBlocks: 0
; NumSGPRsForWavesPerEU: 1
; NumVGPRsForWavesPerEU: 1
; NamedBarCnt: 0
; Occupancy: 16
; WaveLimiterHint : 0
; COMPUTE_PGM_RSRC2:SCRATCH_EN: 0
; COMPUTE_PGM_RSRC2:USER_SGPR: 2
; COMPUTE_PGM_RSRC2:TRAP_HANDLER: 0
; COMPUTE_PGM_RSRC2:TGID_X_EN: 1
; COMPUTE_PGM_RSRC2:TGID_Y_EN: 0
; COMPUTE_PGM_RSRC2:TGID_Z_EN: 0
; COMPUTE_PGM_RSRC2:TIDIG_COMP_CNT: 0
	.section	.text._ZN7rocprim17ROCPRIM_400000_NS6detail17trampoline_kernelINS0_14default_configENS1_27scan_by_key_config_selectorIiyEEZZNS1_16scan_by_key_implILNS1_25lookback_scan_determinismE0ELb1ES3_N6thrust23THRUST_200600_302600_NS6detail15normal_iteratorINS9_10device_ptrIiEEEENSB_INSC_IyEEEESG_yNS9_4plusIvEENS9_8equal_toIvEEyEE10hipError_tPvRmT2_T3_T4_T5_mT6_T7_P12ihipStream_tbENKUlT_T0_E_clISt17integral_constantIbLb1EES11_EEDaSW_SX_EUlSW_E_NS1_11comp_targetILNS1_3genE0ELNS1_11target_archE4294967295ELNS1_3gpuE0ELNS1_3repE0EEENS1_30default_config_static_selectorELNS0_4arch9wavefront6targetE0EEEvT1_,"axG",@progbits,_ZN7rocprim17ROCPRIM_400000_NS6detail17trampoline_kernelINS0_14default_configENS1_27scan_by_key_config_selectorIiyEEZZNS1_16scan_by_key_implILNS1_25lookback_scan_determinismE0ELb1ES3_N6thrust23THRUST_200600_302600_NS6detail15normal_iteratorINS9_10device_ptrIiEEEENSB_INSC_IyEEEESG_yNS9_4plusIvEENS9_8equal_toIvEEyEE10hipError_tPvRmT2_T3_T4_T5_mT6_T7_P12ihipStream_tbENKUlT_T0_E_clISt17integral_constantIbLb1EES11_EEDaSW_SX_EUlSW_E_NS1_11comp_targetILNS1_3genE0ELNS1_11target_archE4294967295ELNS1_3gpuE0ELNS1_3repE0EEENS1_30default_config_static_selectorELNS0_4arch9wavefront6targetE0EEEvT1_,comdat
	.protected	_ZN7rocprim17ROCPRIM_400000_NS6detail17trampoline_kernelINS0_14default_configENS1_27scan_by_key_config_selectorIiyEEZZNS1_16scan_by_key_implILNS1_25lookback_scan_determinismE0ELb1ES3_N6thrust23THRUST_200600_302600_NS6detail15normal_iteratorINS9_10device_ptrIiEEEENSB_INSC_IyEEEESG_yNS9_4plusIvEENS9_8equal_toIvEEyEE10hipError_tPvRmT2_T3_T4_T5_mT6_T7_P12ihipStream_tbENKUlT_T0_E_clISt17integral_constantIbLb1EES11_EEDaSW_SX_EUlSW_E_NS1_11comp_targetILNS1_3genE0ELNS1_11target_archE4294967295ELNS1_3gpuE0ELNS1_3repE0EEENS1_30default_config_static_selectorELNS0_4arch9wavefront6targetE0EEEvT1_ ; -- Begin function _ZN7rocprim17ROCPRIM_400000_NS6detail17trampoline_kernelINS0_14default_configENS1_27scan_by_key_config_selectorIiyEEZZNS1_16scan_by_key_implILNS1_25lookback_scan_determinismE0ELb1ES3_N6thrust23THRUST_200600_302600_NS6detail15normal_iteratorINS9_10device_ptrIiEEEENSB_INSC_IyEEEESG_yNS9_4plusIvEENS9_8equal_toIvEEyEE10hipError_tPvRmT2_T3_T4_T5_mT6_T7_P12ihipStream_tbENKUlT_T0_E_clISt17integral_constantIbLb1EES11_EEDaSW_SX_EUlSW_E_NS1_11comp_targetILNS1_3genE0ELNS1_11target_archE4294967295ELNS1_3gpuE0ELNS1_3repE0EEENS1_30default_config_static_selectorELNS0_4arch9wavefront6targetE0EEEvT1_
	.globl	_ZN7rocprim17ROCPRIM_400000_NS6detail17trampoline_kernelINS0_14default_configENS1_27scan_by_key_config_selectorIiyEEZZNS1_16scan_by_key_implILNS1_25lookback_scan_determinismE0ELb1ES3_N6thrust23THRUST_200600_302600_NS6detail15normal_iteratorINS9_10device_ptrIiEEEENSB_INSC_IyEEEESG_yNS9_4plusIvEENS9_8equal_toIvEEyEE10hipError_tPvRmT2_T3_T4_T5_mT6_T7_P12ihipStream_tbENKUlT_T0_E_clISt17integral_constantIbLb1EES11_EEDaSW_SX_EUlSW_E_NS1_11comp_targetILNS1_3genE0ELNS1_11target_archE4294967295ELNS1_3gpuE0ELNS1_3repE0EEENS1_30default_config_static_selectorELNS0_4arch9wavefront6targetE0EEEvT1_
	.p2align	8
	.type	_ZN7rocprim17ROCPRIM_400000_NS6detail17trampoline_kernelINS0_14default_configENS1_27scan_by_key_config_selectorIiyEEZZNS1_16scan_by_key_implILNS1_25lookback_scan_determinismE0ELb1ES3_N6thrust23THRUST_200600_302600_NS6detail15normal_iteratorINS9_10device_ptrIiEEEENSB_INSC_IyEEEESG_yNS9_4plusIvEENS9_8equal_toIvEEyEE10hipError_tPvRmT2_T3_T4_T5_mT6_T7_P12ihipStream_tbENKUlT_T0_E_clISt17integral_constantIbLb1EES11_EEDaSW_SX_EUlSW_E_NS1_11comp_targetILNS1_3genE0ELNS1_11target_archE4294967295ELNS1_3gpuE0ELNS1_3repE0EEENS1_30default_config_static_selectorELNS0_4arch9wavefront6targetE0EEEvT1_,@function
_ZN7rocprim17ROCPRIM_400000_NS6detail17trampoline_kernelINS0_14default_configENS1_27scan_by_key_config_selectorIiyEEZZNS1_16scan_by_key_implILNS1_25lookback_scan_determinismE0ELb1ES3_N6thrust23THRUST_200600_302600_NS6detail15normal_iteratorINS9_10device_ptrIiEEEENSB_INSC_IyEEEESG_yNS9_4plusIvEENS9_8equal_toIvEEyEE10hipError_tPvRmT2_T3_T4_T5_mT6_T7_P12ihipStream_tbENKUlT_T0_E_clISt17integral_constantIbLb1EES11_EEDaSW_SX_EUlSW_E_NS1_11comp_targetILNS1_3genE0ELNS1_11target_archE4294967295ELNS1_3gpuE0ELNS1_3repE0EEENS1_30default_config_static_selectorELNS0_4arch9wavefront6targetE0EEEvT1_: ; @_ZN7rocprim17ROCPRIM_400000_NS6detail17trampoline_kernelINS0_14default_configENS1_27scan_by_key_config_selectorIiyEEZZNS1_16scan_by_key_implILNS1_25lookback_scan_determinismE0ELb1ES3_N6thrust23THRUST_200600_302600_NS6detail15normal_iteratorINS9_10device_ptrIiEEEENSB_INSC_IyEEEESG_yNS9_4plusIvEENS9_8equal_toIvEEyEE10hipError_tPvRmT2_T3_T4_T5_mT6_T7_P12ihipStream_tbENKUlT_T0_E_clISt17integral_constantIbLb1EES11_EEDaSW_SX_EUlSW_E_NS1_11comp_targetILNS1_3genE0ELNS1_11target_archE4294967295ELNS1_3gpuE0ELNS1_3repE0EEENS1_30default_config_static_selectorELNS0_4arch9wavefront6targetE0EEEvT1_
; %bb.0:
	s_endpgm
	.section	.rodata,"a",@progbits
	.p2align	6, 0x0
	.amdhsa_kernel _ZN7rocprim17ROCPRIM_400000_NS6detail17trampoline_kernelINS0_14default_configENS1_27scan_by_key_config_selectorIiyEEZZNS1_16scan_by_key_implILNS1_25lookback_scan_determinismE0ELb1ES3_N6thrust23THRUST_200600_302600_NS6detail15normal_iteratorINS9_10device_ptrIiEEEENSB_INSC_IyEEEESG_yNS9_4plusIvEENS9_8equal_toIvEEyEE10hipError_tPvRmT2_T3_T4_T5_mT6_T7_P12ihipStream_tbENKUlT_T0_E_clISt17integral_constantIbLb1EES11_EEDaSW_SX_EUlSW_E_NS1_11comp_targetILNS1_3genE0ELNS1_11target_archE4294967295ELNS1_3gpuE0ELNS1_3repE0EEENS1_30default_config_static_selectorELNS0_4arch9wavefront6targetE0EEEvT1_
		.amdhsa_group_segment_fixed_size 0
		.amdhsa_private_segment_fixed_size 0
		.amdhsa_kernarg_size 136
		.amdhsa_user_sgpr_count 2
		.amdhsa_user_sgpr_dispatch_ptr 0
		.amdhsa_user_sgpr_queue_ptr 0
		.amdhsa_user_sgpr_kernarg_segment_ptr 1
		.amdhsa_user_sgpr_dispatch_id 0
		.amdhsa_user_sgpr_kernarg_preload_length 0
		.amdhsa_user_sgpr_kernarg_preload_offset 0
		.amdhsa_user_sgpr_private_segment_size 0
		.amdhsa_wavefront_size32 1
		.amdhsa_uses_dynamic_stack 0
		.amdhsa_enable_private_segment 0
		.amdhsa_system_sgpr_workgroup_id_x 1
		.amdhsa_system_sgpr_workgroup_id_y 0
		.amdhsa_system_sgpr_workgroup_id_z 0
		.amdhsa_system_sgpr_workgroup_info 0
		.amdhsa_system_vgpr_workitem_id 0
		.amdhsa_next_free_vgpr 1
		.amdhsa_next_free_sgpr 1
		.amdhsa_named_barrier_count 0
		.amdhsa_reserve_vcc 0
		.amdhsa_float_round_mode_32 0
		.amdhsa_float_round_mode_16_64 0
		.amdhsa_float_denorm_mode_32 3
		.amdhsa_float_denorm_mode_16_64 3
		.amdhsa_fp16_overflow 0
		.amdhsa_memory_ordered 1
		.amdhsa_forward_progress 1
		.amdhsa_inst_pref_size 1
		.amdhsa_round_robin_scheduling 0
		.amdhsa_exception_fp_ieee_invalid_op 0
		.amdhsa_exception_fp_denorm_src 0
		.amdhsa_exception_fp_ieee_div_zero 0
		.amdhsa_exception_fp_ieee_overflow 0
		.amdhsa_exception_fp_ieee_underflow 0
		.amdhsa_exception_fp_ieee_inexact 0
		.amdhsa_exception_int_div_zero 0
	.end_amdhsa_kernel
	.section	.text._ZN7rocprim17ROCPRIM_400000_NS6detail17trampoline_kernelINS0_14default_configENS1_27scan_by_key_config_selectorIiyEEZZNS1_16scan_by_key_implILNS1_25lookback_scan_determinismE0ELb1ES3_N6thrust23THRUST_200600_302600_NS6detail15normal_iteratorINS9_10device_ptrIiEEEENSB_INSC_IyEEEESG_yNS9_4plusIvEENS9_8equal_toIvEEyEE10hipError_tPvRmT2_T3_T4_T5_mT6_T7_P12ihipStream_tbENKUlT_T0_E_clISt17integral_constantIbLb1EES11_EEDaSW_SX_EUlSW_E_NS1_11comp_targetILNS1_3genE0ELNS1_11target_archE4294967295ELNS1_3gpuE0ELNS1_3repE0EEENS1_30default_config_static_selectorELNS0_4arch9wavefront6targetE0EEEvT1_,"axG",@progbits,_ZN7rocprim17ROCPRIM_400000_NS6detail17trampoline_kernelINS0_14default_configENS1_27scan_by_key_config_selectorIiyEEZZNS1_16scan_by_key_implILNS1_25lookback_scan_determinismE0ELb1ES3_N6thrust23THRUST_200600_302600_NS6detail15normal_iteratorINS9_10device_ptrIiEEEENSB_INSC_IyEEEESG_yNS9_4plusIvEENS9_8equal_toIvEEyEE10hipError_tPvRmT2_T3_T4_T5_mT6_T7_P12ihipStream_tbENKUlT_T0_E_clISt17integral_constantIbLb1EES11_EEDaSW_SX_EUlSW_E_NS1_11comp_targetILNS1_3genE0ELNS1_11target_archE4294967295ELNS1_3gpuE0ELNS1_3repE0EEENS1_30default_config_static_selectorELNS0_4arch9wavefront6targetE0EEEvT1_,comdat
.Lfunc_end1472:
	.size	_ZN7rocprim17ROCPRIM_400000_NS6detail17trampoline_kernelINS0_14default_configENS1_27scan_by_key_config_selectorIiyEEZZNS1_16scan_by_key_implILNS1_25lookback_scan_determinismE0ELb1ES3_N6thrust23THRUST_200600_302600_NS6detail15normal_iteratorINS9_10device_ptrIiEEEENSB_INSC_IyEEEESG_yNS9_4plusIvEENS9_8equal_toIvEEyEE10hipError_tPvRmT2_T3_T4_T5_mT6_T7_P12ihipStream_tbENKUlT_T0_E_clISt17integral_constantIbLb1EES11_EEDaSW_SX_EUlSW_E_NS1_11comp_targetILNS1_3genE0ELNS1_11target_archE4294967295ELNS1_3gpuE0ELNS1_3repE0EEENS1_30default_config_static_selectorELNS0_4arch9wavefront6targetE0EEEvT1_, .Lfunc_end1472-_ZN7rocprim17ROCPRIM_400000_NS6detail17trampoline_kernelINS0_14default_configENS1_27scan_by_key_config_selectorIiyEEZZNS1_16scan_by_key_implILNS1_25lookback_scan_determinismE0ELb1ES3_N6thrust23THRUST_200600_302600_NS6detail15normal_iteratorINS9_10device_ptrIiEEEENSB_INSC_IyEEEESG_yNS9_4plusIvEENS9_8equal_toIvEEyEE10hipError_tPvRmT2_T3_T4_T5_mT6_T7_P12ihipStream_tbENKUlT_T0_E_clISt17integral_constantIbLb1EES11_EEDaSW_SX_EUlSW_E_NS1_11comp_targetILNS1_3genE0ELNS1_11target_archE4294967295ELNS1_3gpuE0ELNS1_3repE0EEENS1_30default_config_static_selectorELNS0_4arch9wavefront6targetE0EEEvT1_
                                        ; -- End function
	.set _ZN7rocprim17ROCPRIM_400000_NS6detail17trampoline_kernelINS0_14default_configENS1_27scan_by_key_config_selectorIiyEEZZNS1_16scan_by_key_implILNS1_25lookback_scan_determinismE0ELb1ES3_N6thrust23THRUST_200600_302600_NS6detail15normal_iteratorINS9_10device_ptrIiEEEENSB_INSC_IyEEEESG_yNS9_4plusIvEENS9_8equal_toIvEEyEE10hipError_tPvRmT2_T3_T4_T5_mT6_T7_P12ihipStream_tbENKUlT_T0_E_clISt17integral_constantIbLb1EES11_EEDaSW_SX_EUlSW_E_NS1_11comp_targetILNS1_3genE0ELNS1_11target_archE4294967295ELNS1_3gpuE0ELNS1_3repE0EEENS1_30default_config_static_selectorELNS0_4arch9wavefront6targetE0EEEvT1_.num_vgpr, 0
	.set _ZN7rocprim17ROCPRIM_400000_NS6detail17trampoline_kernelINS0_14default_configENS1_27scan_by_key_config_selectorIiyEEZZNS1_16scan_by_key_implILNS1_25lookback_scan_determinismE0ELb1ES3_N6thrust23THRUST_200600_302600_NS6detail15normal_iteratorINS9_10device_ptrIiEEEENSB_INSC_IyEEEESG_yNS9_4plusIvEENS9_8equal_toIvEEyEE10hipError_tPvRmT2_T3_T4_T5_mT6_T7_P12ihipStream_tbENKUlT_T0_E_clISt17integral_constantIbLb1EES11_EEDaSW_SX_EUlSW_E_NS1_11comp_targetILNS1_3genE0ELNS1_11target_archE4294967295ELNS1_3gpuE0ELNS1_3repE0EEENS1_30default_config_static_selectorELNS0_4arch9wavefront6targetE0EEEvT1_.num_agpr, 0
	.set _ZN7rocprim17ROCPRIM_400000_NS6detail17trampoline_kernelINS0_14default_configENS1_27scan_by_key_config_selectorIiyEEZZNS1_16scan_by_key_implILNS1_25lookback_scan_determinismE0ELb1ES3_N6thrust23THRUST_200600_302600_NS6detail15normal_iteratorINS9_10device_ptrIiEEEENSB_INSC_IyEEEESG_yNS9_4plusIvEENS9_8equal_toIvEEyEE10hipError_tPvRmT2_T3_T4_T5_mT6_T7_P12ihipStream_tbENKUlT_T0_E_clISt17integral_constantIbLb1EES11_EEDaSW_SX_EUlSW_E_NS1_11comp_targetILNS1_3genE0ELNS1_11target_archE4294967295ELNS1_3gpuE0ELNS1_3repE0EEENS1_30default_config_static_selectorELNS0_4arch9wavefront6targetE0EEEvT1_.numbered_sgpr, 0
	.set _ZN7rocprim17ROCPRIM_400000_NS6detail17trampoline_kernelINS0_14default_configENS1_27scan_by_key_config_selectorIiyEEZZNS1_16scan_by_key_implILNS1_25lookback_scan_determinismE0ELb1ES3_N6thrust23THRUST_200600_302600_NS6detail15normal_iteratorINS9_10device_ptrIiEEEENSB_INSC_IyEEEESG_yNS9_4plusIvEENS9_8equal_toIvEEyEE10hipError_tPvRmT2_T3_T4_T5_mT6_T7_P12ihipStream_tbENKUlT_T0_E_clISt17integral_constantIbLb1EES11_EEDaSW_SX_EUlSW_E_NS1_11comp_targetILNS1_3genE0ELNS1_11target_archE4294967295ELNS1_3gpuE0ELNS1_3repE0EEENS1_30default_config_static_selectorELNS0_4arch9wavefront6targetE0EEEvT1_.num_named_barrier, 0
	.set _ZN7rocprim17ROCPRIM_400000_NS6detail17trampoline_kernelINS0_14default_configENS1_27scan_by_key_config_selectorIiyEEZZNS1_16scan_by_key_implILNS1_25lookback_scan_determinismE0ELb1ES3_N6thrust23THRUST_200600_302600_NS6detail15normal_iteratorINS9_10device_ptrIiEEEENSB_INSC_IyEEEESG_yNS9_4plusIvEENS9_8equal_toIvEEyEE10hipError_tPvRmT2_T3_T4_T5_mT6_T7_P12ihipStream_tbENKUlT_T0_E_clISt17integral_constantIbLb1EES11_EEDaSW_SX_EUlSW_E_NS1_11comp_targetILNS1_3genE0ELNS1_11target_archE4294967295ELNS1_3gpuE0ELNS1_3repE0EEENS1_30default_config_static_selectorELNS0_4arch9wavefront6targetE0EEEvT1_.private_seg_size, 0
	.set _ZN7rocprim17ROCPRIM_400000_NS6detail17trampoline_kernelINS0_14default_configENS1_27scan_by_key_config_selectorIiyEEZZNS1_16scan_by_key_implILNS1_25lookback_scan_determinismE0ELb1ES3_N6thrust23THRUST_200600_302600_NS6detail15normal_iteratorINS9_10device_ptrIiEEEENSB_INSC_IyEEEESG_yNS9_4plusIvEENS9_8equal_toIvEEyEE10hipError_tPvRmT2_T3_T4_T5_mT6_T7_P12ihipStream_tbENKUlT_T0_E_clISt17integral_constantIbLb1EES11_EEDaSW_SX_EUlSW_E_NS1_11comp_targetILNS1_3genE0ELNS1_11target_archE4294967295ELNS1_3gpuE0ELNS1_3repE0EEENS1_30default_config_static_selectorELNS0_4arch9wavefront6targetE0EEEvT1_.uses_vcc, 0
	.set _ZN7rocprim17ROCPRIM_400000_NS6detail17trampoline_kernelINS0_14default_configENS1_27scan_by_key_config_selectorIiyEEZZNS1_16scan_by_key_implILNS1_25lookback_scan_determinismE0ELb1ES3_N6thrust23THRUST_200600_302600_NS6detail15normal_iteratorINS9_10device_ptrIiEEEENSB_INSC_IyEEEESG_yNS9_4plusIvEENS9_8equal_toIvEEyEE10hipError_tPvRmT2_T3_T4_T5_mT6_T7_P12ihipStream_tbENKUlT_T0_E_clISt17integral_constantIbLb1EES11_EEDaSW_SX_EUlSW_E_NS1_11comp_targetILNS1_3genE0ELNS1_11target_archE4294967295ELNS1_3gpuE0ELNS1_3repE0EEENS1_30default_config_static_selectorELNS0_4arch9wavefront6targetE0EEEvT1_.uses_flat_scratch, 0
	.set _ZN7rocprim17ROCPRIM_400000_NS6detail17trampoline_kernelINS0_14default_configENS1_27scan_by_key_config_selectorIiyEEZZNS1_16scan_by_key_implILNS1_25lookback_scan_determinismE0ELb1ES3_N6thrust23THRUST_200600_302600_NS6detail15normal_iteratorINS9_10device_ptrIiEEEENSB_INSC_IyEEEESG_yNS9_4plusIvEENS9_8equal_toIvEEyEE10hipError_tPvRmT2_T3_T4_T5_mT6_T7_P12ihipStream_tbENKUlT_T0_E_clISt17integral_constantIbLb1EES11_EEDaSW_SX_EUlSW_E_NS1_11comp_targetILNS1_3genE0ELNS1_11target_archE4294967295ELNS1_3gpuE0ELNS1_3repE0EEENS1_30default_config_static_selectorELNS0_4arch9wavefront6targetE0EEEvT1_.has_dyn_sized_stack, 0
	.set _ZN7rocprim17ROCPRIM_400000_NS6detail17trampoline_kernelINS0_14default_configENS1_27scan_by_key_config_selectorIiyEEZZNS1_16scan_by_key_implILNS1_25lookback_scan_determinismE0ELb1ES3_N6thrust23THRUST_200600_302600_NS6detail15normal_iteratorINS9_10device_ptrIiEEEENSB_INSC_IyEEEESG_yNS9_4plusIvEENS9_8equal_toIvEEyEE10hipError_tPvRmT2_T3_T4_T5_mT6_T7_P12ihipStream_tbENKUlT_T0_E_clISt17integral_constantIbLb1EES11_EEDaSW_SX_EUlSW_E_NS1_11comp_targetILNS1_3genE0ELNS1_11target_archE4294967295ELNS1_3gpuE0ELNS1_3repE0EEENS1_30default_config_static_selectorELNS0_4arch9wavefront6targetE0EEEvT1_.has_recursion, 0
	.set _ZN7rocprim17ROCPRIM_400000_NS6detail17trampoline_kernelINS0_14default_configENS1_27scan_by_key_config_selectorIiyEEZZNS1_16scan_by_key_implILNS1_25lookback_scan_determinismE0ELb1ES3_N6thrust23THRUST_200600_302600_NS6detail15normal_iteratorINS9_10device_ptrIiEEEENSB_INSC_IyEEEESG_yNS9_4plusIvEENS9_8equal_toIvEEyEE10hipError_tPvRmT2_T3_T4_T5_mT6_T7_P12ihipStream_tbENKUlT_T0_E_clISt17integral_constantIbLb1EES11_EEDaSW_SX_EUlSW_E_NS1_11comp_targetILNS1_3genE0ELNS1_11target_archE4294967295ELNS1_3gpuE0ELNS1_3repE0EEENS1_30default_config_static_selectorELNS0_4arch9wavefront6targetE0EEEvT1_.has_indirect_call, 0
	.section	.AMDGPU.csdata,"",@progbits
; Kernel info:
; codeLenInByte = 4
; TotalNumSgprs: 0
; NumVgprs: 0
; ScratchSize: 0
; MemoryBound: 0
; FloatMode: 240
; IeeeMode: 1
; LDSByteSize: 0 bytes/workgroup (compile time only)
; SGPRBlocks: 0
; VGPRBlocks: 0
; NumSGPRsForWavesPerEU: 1
; NumVGPRsForWavesPerEU: 1
; NamedBarCnt: 0
; Occupancy: 16
; WaveLimiterHint : 0
; COMPUTE_PGM_RSRC2:SCRATCH_EN: 0
; COMPUTE_PGM_RSRC2:USER_SGPR: 2
; COMPUTE_PGM_RSRC2:TRAP_HANDLER: 0
; COMPUTE_PGM_RSRC2:TGID_X_EN: 1
; COMPUTE_PGM_RSRC2:TGID_Y_EN: 0
; COMPUTE_PGM_RSRC2:TGID_Z_EN: 0
; COMPUTE_PGM_RSRC2:TIDIG_COMP_CNT: 0
	.section	.text._ZN7rocprim17ROCPRIM_400000_NS6detail17trampoline_kernelINS0_14default_configENS1_27scan_by_key_config_selectorIiyEEZZNS1_16scan_by_key_implILNS1_25lookback_scan_determinismE0ELb1ES3_N6thrust23THRUST_200600_302600_NS6detail15normal_iteratorINS9_10device_ptrIiEEEENSB_INSC_IyEEEESG_yNS9_4plusIvEENS9_8equal_toIvEEyEE10hipError_tPvRmT2_T3_T4_T5_mT6_T7_P12ihipStream_tbENKUlT_T0_E_clISt17integral_constantIbLb1EES11_EEDaSW_SX_EUlSW_E_NS1_11comp_targetILNS1_3genE10ELNS1_11target_archE1201ELNS1_3gpuE5ELNS1_3repE0EEENS1_30default_config_static_selectorELNS0_4arch9wavefront6targetE0EEEvT1_,"axG",@progbits,_ZN7rocprim17ROCPRIM_400000_NS6detail17trampoline_kernelINS0_14default_configENS1_27scan_by_key_config_selectorIiyEEZZNS1_16scan_by_key_implILNS1_25lookback_scan_determinismE0ELb1ES3_N6thrust23THRUST_200600_302600_NS6detail15normal_iteratorINS9_10device_ptrIiEEEENSB_INSC_IyEEEESG_yNS9_4plusIvEENS9_8equal_toIvEEyEE10hipError_tPvRmT2_T3_T4_T5_mT6_T7_P12ihipStream_tbENKUlT_T0_E_clISt17integral_constantIbLb1EES11_EEDaSW_SX_EUlSW_E_NS1_11comp_targetILNS1_3genE10ELNS1_11target_archE1201ELNS1_3gpuE5ELNS1_3repE0EEENS1_30default_config_static_selectorELNS0_4arch9wavefront6targetE0EEEvT1_,comdat
	.protected	_ZN7rocprim17ROCPRIM_400000_NS6detail17trampoline_kernelINS0_14default_configENS1_27scan_by_key_config_selectorIiyEEZZNS1_16scan_by_key_implILNS1_25lookback_scan_determinismE0ELb1ES3_N6thrust23THRUST_200600_302600_NS6detail15normal_iteratorINS9_10device_ptrIiEEEENSB_INSC_IyEEEESG_yNS9_4plusIvEENS9_8equal_toIvEEyEE10hipError_tPvRmT2_T3_T4_T5_mT6_T7_P12ihipStream_tbENKUlT_T0_E_clISt17integral_constantIbLb1EES11_EEDaSW_SX_EUlSW_E_NS1_11comp_targetILNS1_3genE10ELNS1_11target_archE1201ELNS1_3gpuE5ELNS1_3repE0EEENS1_30default_config_static_selectorELNS0_4arch9wavefront6targetE0EEEvT1_ ; -- Begin function _ZN7rocprim17ROCPRIM_400000_NS6detail17trampoline_kernelINS0_14default_configENS1_27scan_by_key_config_selectorIiyEEZZNS1_16scan_by_key_implILNS1_25lookback_scan_determinismE0ELb1ES3_N6thrust23THRUST_200600_302600_NS6detail15normal_iteratorINS9_10device_ptrIiEEEENSB_INSC_IyEEEESG_yNS9_4plusIvEENS9_8equal_toIvEEyEE10hipError_tPvRmT2_T3_T4_T5_mT6_T7_P12ihipStream_tbENKUlT_T0_E_clISt17integral_constantIbLb1EES11_EEDaSW_SX_EUlSW_E_NS1_11comp_targetILNS1_3genE10ELNS1_11target_archE1201ELNS1_3gpuE5ELNS1_3repE0EEENS1_30default_config_static_selectorELNS0_4arch9wavefront6targetE0EEEvT1_
	.globl	_ZN7rocprim17ROCPRIM_400000_NS6detail17trampoline_kernelINS0_14default_configENS1_27scan_by_key_config_selectorIiyEEZZNS1_16scan_by_key_implILNS1_25lookback_scan_determinismE0ELb1ES3_N6thrust23THRUST_200600_302600_NS6detail15normal_iteratorINS9_10device_ptrIiEEEENSB_INSC_IyEEEESG_yNS9_4plusIvEENS9_8equal_toIvEEyEE10hipError_tPvRmT2_T3_T4_T5_mT6_T7_P12ihipStream_tbENKUlT_T0_E_clISt17integral_constantIbLb1EES11_EEDaSW_SX_EUlSW_E_NS1_11comp_targetILNS1_3genE10ELNS1_11target_archE1201ELNS1_3gpuE5ELNS1_3repE0EEENS1_30default_config_static_selectorELNS0_4arch9wavefront6targetE0EEEvT1_
	.p2align	8
	.type	_ZN7rocprim17ROCPRIM_400000_NS6detail17trampoline_kernelINS0_14default_configENS1_27scan_by_key_config_selectorIiyEEZZNS1_16scan_by_key_implILNS1_25lookback_scan_determinismE0ELb1ES3_N6thrust23THRUST_200600_302600_NS6detail15normal_iteratorINS9_10device_ptrIiEEEENSB_INSC_IyEEEESG_yNS9_4plusIvEENS9_8equal_toIvEEyEE10hipError_tPvRmT2_T3_T4_T5_mT6_T7_P12ihipStream_tbENKUlT_T0_E_clISt17integral_constantIbLb1EES11_EEDaSW_SX_EUlSW_E_NS1_11comp_targetILNS1_3genE10ELNS1_11target_archE1201ELNS1_3gpuE5ELNS1_3repE0EEENS1_30default_config_static_selectorELNS0_4arch9wavefront6targetE0EEEvT1_,@function
_ZN7rocprim17ROCPRIM_400000_NS6detail17trampoline_kernelINS0_14default_configENS1_27scan_by_key_config_selectorIiyEEZZNS1_16scan_by_key_implILNS1_25lookback_scan_determinismE0ELb1ES3_N6thrust23THRUST_200600_302600_NS6detail15normal_iteratorINS9_10device_ptrIiEEEENSB_INSC_IyEEEESG_yNS9_4plusIvEENS9_8equal_toIvEEyEE10hipError_tPvRmT2_T3_T4_T5_mT6_T7_P12ihipStream_tbENKUlT_T0_E_clISt17integral_constantIbLb1EES11_EEDaSW_SX_EUlSW_E_NS1_11comp_targetILNS1_3genE10ELNS1_11target_archE1201ELNS1_3gpuE5ELNS1_3repE0EEENS1_30default_config_static_selectorELNS0_4arch9wavefront6targetE0EEEvT1_: ; @_ZN7rocprim17ROCPRIM_400000_NS6detail17trampoline_kernelINS0_14default_configENS1_27scan_by_key_config_selectorIiyEEZZNS1_16scan_by_key_implILNS1_25lookback_scan_determinismE0ELb1ES3_N6thrust23THRUST_200600_302600_NS6detail15normal_iteratorINS9_10device_ptrIiEEEENSB_INSC_IyEEEESG_yNS9_4plusIvEENS9_8equal_toIvEEyEE10hipError_tPvRmT2_T3_T4_T5_mT6_T7_P12ihipStream_tbENKUlT_T0_E_clISt17integral_constantIbLb1EES11_EEDaSW_SX_EUlSW_E_NS1_11comp_targetILNS1_3genE10ELNS1_11target_archE1201ELNS1_3gpuE5ELNS1_3repE0EEENS1_30default_config_static_selectorELNS0_4arch9wavefront6targetE0EEEvT1_
; %bb.0:
	.section	.rodata,"a",@progbits
	.p2align	6, 0x0
	.amdhsa_kernel _ZN7rocprim17ROCPRIM_400000_NS6detail17trampoline_kernelINS0_14default_configENS1_27scan_by_key_config_selectorIiyEEZZNS1_16scan_by_key_implILNS1_25lookback_scan_determinismE0ELb1ES3_N6thrust23THRUST_200600_302600_NS6detail15normal_iteratorINS9_10device_ptrIiEEEENSB_INSC_IyEEEESG_yNS9_4plusIvEENS9_8equal_toIvEEyEE10hipError_tPvRmT2_T3_T4_T5_mT6_T7_P12ihipStream_tbENKUlT_T0_E_clISt17integral_constantIbLb1EES11_EEDaSW_SX_EUlSW_E_NS1_11comp_targetILNS1_3genE10ELNS1_11target_archE1201ELNS1_3gpuE5ELNS1_3repE0EEENS1_30default_config_static_selectorELNS0_4arch9wavefront6targetE0EEEvT1_
		.amdhsa_group_segment_fixed_size 0
		.amdhsa_private_segment_fixed_size 0
		.amdhsa_kernarg_size 136
		.amdhsa_user_sgpr_count 2
		.amdhsa_user_sgpr_dispatch_ptr 0
		.amdhsa_user_sgpr_queue_ptr 0
		.amdhsa_user_sgpr_kernarg_segment_ptr 1
		.amdhsa_user_sgpr_dispatch_id 0
		.amdhsa_user_sgpr_kernarg_preload_length 0
		.amdhsa_user_sgpr_kernarg_preload_offset 0
		.amdhsa_user_sgpr_private_segment_size 0
		.amdhsa_wavefront_size32 1
		.amdhsa_uses_dynamic_stack 0
		.amdhsa_enable_private_segment 0
		.amdhsa_system_sgpr_workgroup_id_x 1
		.amdhsa_system_sgpr_workgroup_id_y 0
		.amdhsa_system_sgpr_workgroup_id_z 0
		.amdhsa_system_sgpr_workgroup_info 0
		.amdhsa_system_vgpr_workitem_id 0
		.amdhsa_next_free_vgpr 1
		.amdhsa_next_free_sgpr 1
		.amdhsa_named_barrier_count 0
		.amdhsa_reserve_vcc 0
		.amdhsa_float_round_mode_32 0
		.amdhsa_float_round_mode_16_64 0
		.amdhsa_float_denorm_mode_32 3
		.amdhsa_float_denorm_mode_16_64 3
		.amdhsa_fp16_overflow 0
		.amdhsa_memory_ordered 1
		.amdhsa_forward_progress 1
		.amdhsa_inst_pref_size 0
		.amdhsa_round_robin_scheduling 0
		.amdhsa_exception_fp_ieee_invalid_op 0
		.amdhsa_exception_fp_denorm_src 0
		.amdhsa_exception_fp_ieee_div_zero 0
		.amdhsa_exception_fp_ieee_overflow 0
		.amdhsa_exception_fp_ieee_underflow 0
		.amdhsa_exception_fp_ieee_inexact 0
		.amdhsa_exception_int_div_zero 0
	.end_amdhsa_kernel
	.section	.text._ZN7rocprim17ROCPRIM_400000_NS6detail17trampoline_kernelINS0_14default_configENS1_27scan_by_key_config_selectorIiyEEZZNS1_16scan_by_key_implILNS1_25lookback_scan_determinismE0ELb1ES3_N6thrust23THRUST_200600_302600_NS6detail15normal_iteratorINS9_10device_ptrIiEEEENSB_INSC_IyEEEESG_yNS9_4plusIvEENS9_8equal_toIvEEyEE10hipError_tPvRmT2_T3_T4_T5_mT6_T7_P12ihipStream_tbENKUlT_T0_E_clISt17integral_constantIbLb1EES11_EEDaSW_SX_EUlSW_E_NS1_11comp_targetILNS1_3genE10ELNS1_11target_archE1201ELNS1_3gpuE5ELNS1_3repE0EEENS1_30default_config_static_selectorELNS0_4arch9wavefront6targetE0EEEvT1_,"axG",@progbits,_ZN7rocprim17ROCPRIM_400000_NS6detail17trampoline_kernelINS0_14default_configENS1_27scan_by_key_config_selectorIiyEEZZNS1_16scan_by_key_implILNS1_25lookback_scan_determinismE0ELb1ES3_N6thrust23THRUST_200600_302600_NS6detail15normal_iteratorINS9_10device_ptrIiEEEENSB_INSC_IyEEEESG_yNS9_4plusIvEENS9_8equal_toIvEEyEE10hipError_tPvRmT2_T3_T4_T5_mT6_T7_P12ihipStream_tbENKUlT_T0_E_clISt17integral_constantIbLb1EES11_EEDaSW_SX_EUlSW_E_NS1_11comp_targetILNS1_3genE10ELNS1_11target_archE1201ELNS1_3gpuE5ELNS1_3repE0EEENS1_30default_config_static_selectorELNS0_4arch9wavefront6targetE0EEEvT1_,comdat
.Lfunc_end1473:
	.size	_ZN7rocprim17ROCPRIM_400000_NS6detail17trampoline_kernelINS0_14default_configENS1_27scan_by_key_config_selectorIiyEEZZNS1_16scan_by_key_implILNS1_25lookback_scan_determinismE0ELb1ES3_N6thrust23THRUST_200600_302600_NS6detail15normal_iteratorINS9_10device_ptrIiEEEENSB_INSC_IyEEEESG_yNS9_4plusIvEENS9_8equal_toIvEEyEE10hipError_tPvRmT2_T3_T4_T5_mT6_T7_P12ihipStream_tbENKUlT_T0_E_clISt17integral_constantIbLb1EES11_EEDaSW_SX_EUlSW_E_NS1_11comp_targetILNS1_3genE10ELNS1_11target_archE1201ELNS1_3gpuE5ELNS1_3repE0EEENS1_30default_config_static_selectorELNS0_4arch9wavefront6targetE0EEEvT1_, .Lfunc_end1473-_ZN7rocprim17ROCPRIM_400000_NS6detail17trampoline_kernelINS0_14default_configENS1_27scan_by_key_config_selectorIiyEEZZNS1_16scan_by_key_implILNS1_25lookback_scan_determinismE0ELb1ES3_N6thrust23THRUST_200600_302600_NS6detail15normal_iteratorINS9_10device_ptrIiEEEENSB_INSC_IyEEEESG_yNS9_4plusIvEENS9_8equal_toIvEEyEE10hipError_tPvRmT2_T3_T4_T5_mT6_T7_P12ihipStream_tbENKUlT_T0_E_clISt17integral_constantIbLb1EES11_EEDaSW_SX_EUlSW_E_NS1_11comp_targetILNS1_3genE10ELNS1_11target_archE1201ELNS1_3gpuE5ELNS1_3repE0EEENS1_30default_config_static_selectorELNS0_4arch9wavefront6targetE0EEEvT1_
                                        ; -- End function
	.set _ZN7rocprim17ROCPRIM_400000_NS6detail17trampoline_kernelINS0_14default_configENS1_27scan_by_key_config_selectorIiyEEZZNS1_16scan_by_key_implILNS1_25lookback_scan_determinismE0ELb1ES3_N6thrust23THRUST_200600_302600_NS6detail15normal_iteratorINS9_10device_ptrIiEEEENSB_INSC_IyEEEESG_yNS9_4plusIvEENS9_8equal_toIvEEyEE10hipError_tPvRmT2_T3_T4_T5_mT6_T7_P12ihipStream_tbENKUlT_T0_E_clISt17integral_constantIbLb1EES11_EEDaSW_SX_EUlSW_E_NS1_11comp_targetILNS1_3genE10ELNS1_11target_archE1201ELNS1_3gpuE5ELNS1_3repE0EEENS1_30default_config_static_selectorELNS0_4arch9wavefront6targetE0EEEvT1_.num_vgpr, 0
	.set _ZN7rocprim17ROCPRIM_400000_NS6detail17trampoline_kernelINS0_14default_configENS1_27scan_by_key_config_selectorIiyEEZZNS1_16scan_by_key_implILNS1_25lookback_scan_determinismE0ELb1ES3_N6thrust23THRUST_200600_302600_NS6detail15normal_iteratorINS9_10device_ptrIiEEEENSB_INSC_IyEEEESG_yNS9_4plusIvEENS9_8equal_toIvEEyEE10hipError_tPvRmT2_T3_T4_T5_mT6_T7_P12ihipStream_tbENKUlT_T0_E_clISt17integral_constantIbLb1EES11_EEDaSW_SX_EUlSW_E_NS1_11comp_targetILNS1_3genE10ELNS1_11target_archE1201ELNS1_3gpuE5ELNS1_3repE0EEENS1_30default_config_static_selectorELNS0_4arch9wavefront6targetE0EEEvT1_.num_agpr, 0
	.set _ZN7rocprim17ROCPRIM_400000_NS6detail17trampoline_kernelINS0_14default_configENS1_27scan_by_key_config_selectorIiyEEZZNS1_16scan_by_key_implILNS1_25lookback_scan_determinismE0ELb1ES3_N6thrust23THRUST_200600_302600_NS6detail15normal_iteratorINS9_10device_ptrIiEEEENSB_INSC_IyEEEESG_yNS9_4plusIvEENS9_8equal_toIvEEyEE10hipError_tPvRmT2_T3_T4_T5_mT6_T7_P12ihipStream_tbENKUlT_T0_E_clISt17integral_constantIbLb1EES11_EEDaSW_SX_EUlSW_E_NS1_11comp_targetILNS1_3genE10ELNS1_11target_archE1201ELNS1_3gpuE5ELNS1_3repE0EEENS1_30default_config_static_selectorELNS0_4arch9wavefront6targetE0EEEvT1_.numbered_sgpr, 0
	.set _ZN7rocprim17ROCPRIM_400000_NS6detail17trampoline_kernelINS0_14default_configENS1_27scan_by_key_config_selectorIiyEEZZNS1_16scan_by_key_implILNS1_25lookback_scan_determinismE0ELb1ES3_N6thrust23THRUST_200600_302600_NS6detail15normal_iteratorINS9_10device_ptrIiEEEENSB_INSC_IyEEEESG_yNS9_4plusIvEENS9_8equal_toIvEEyEE10hipError_tPvRmT2_T3_T4_T5_mT6_T7_P12ihipStream_tbENKUlT_T0_E_clISt17integral_constantIbLb1EES11_EEDaSW_SX_EUlSW_E_NS1_11comp_targetILNS1_3genE10ELNS1_11target_archE1201ELNS1_3gpuE5ELNS1_3repE0EEENS1_30default_config_static_selectorELNS0_4arch9wavefront6targetE0EEEvT1_.num_named_barrier, 0
	.set _ZN7rocprim17ROCPRIM_400000_NS6detail17trampoline_kernelINS0_14default_configENS1_27scan_by_key_config_selectorIiyEEZZNS1_16scan_by_key_implILNS1_25lookback_scan_determinismE0ELb1ES3_N6thrust23THRUST_200600_302600_NS6detail15normal_iteratorINS9_10device_ptrIiEEEENSB_INSC_IyEEEESG_yNS9_4plusIvEENS9_8equal_toIvEEyEE10hipError_tPvRmT2_T3_T4_T5_mT6_T7_P12ihipStream_tbENKUlT_T0_E_clISt17integral_constantIbLb1EES11_EEDaSW_SX_EUlSW_E_NS1_11comp_targetILNS1_3genE10ELNS1_11target_archE1201ELNS1_3gpuE5ELNS1_3repE0EEENS1_30default_config_static_selectorELNS0_4arch9wavefront6targetE0EEEvT1_.private_seg_size, 0
	.set _ZN7rocprim17ROCPRIM_400000_NS6detail17trampoline_kernelINS0_14default_configENS1_27scan_by_key_config_selectorIiyEEZZNS1_16scan_by_key_implILNS1_25lookback_scan_determinismE0ELb1ES3_N6thrust23THRUST_200600_302600_NS6detail15normal_iteratorINS9_10device_ptrIiEEEENSB_INSC_IyEEEESG_yNS9_4plusIvEENS9_8equal_toIvEEyEE10hipError_tPvRmT2_T3_T4_T5_mT6_T7_P12ihipStream_tbENKUlT_T0_E_clISt17integral_constantIbLb1EES11_EEDaSW_SX_EUlSW_E_NS1_11comp_targetILNS1_3genE10ELNS1_11target_archE1201ELNS1_3gpuE5ELNS1_3repE0EEENS1_30default_config_static_selectorELNS0_4arch9wavefront6targetE0EEEvT1_.uses_vcc, 0
	.set _ZN7rocprim17ROCPRIM_400000_NS6detail17trampoline_kernelINS0_14default_configENS1_27scan_by_key_config_selectorIiyEEZZNS1_16scan_by_key_implILNS1_25lookback_scan_determinismE0ELb1ES3_N6thrust23THRUST_200600_302600_NS6detail15normal_iteratorINS9_10device_ptrIiEEEENSB_INSC_IyEEEESG_yNS9_4plusIvEENS9_8equal_toIvEEyEE10hipError_tPvRmT2_T3_T4_T5_mT6_T7_P12ihipStream_tbENKUlT_T0_E_clISt17integral_constantIbLb1EES11_EEDaSW_SX_EUlSW_E_NS1_11comp_targetILNS1_3genE10ELNS1_11target_archE1201ELNS1_3gpuE5ELNS1_3repE0EEENS1_30default_config_static_selectorELNS0_4arch9wavefront6targetE0EEEvT1_.uses_flat_scratch, 0
	.set _ZN7rocprim17ROCPRIM_400000_NS6detail17trampoline_kernelINS0_14default_configENS1_27scan_by_key_config_selectorIiyEEZZNS1_16scan_by_key_implILNS1_25lookback_scan_determinismE0ELb1ES3_N6thrust23THRUST_200600_302600_NS6detail15normal_iteratorINS9_10device_ptrIiEEEENSB_INSC_IyEEEESG_yNS9_4plusIvEENS9_8equal_toIvEEyEE10hipError_tPvRmT2_T3_T4_T5_mT6_T7_P12ihipStream_tbENKUlT_T0_E_clISt17integral_constantIbLb1EES11_EEDaSW_SX_EUlSW_E_NS1_11comp_targetILNS1_3genE10ELNS1_11target_archE1201ELNS1_3gpuE5ELNS1_3repE0EEENS1_30default_config_static_selectorELNS0_4arch9wavefront6targetE0EEEvT1_.has_dyn_sized_stack, 0
	.set _ZN7rocprim17ROCPRIM_400000_NS6detail17trampoline_kernelINS0_14default_configENS1_27scan_by_key_config_selectorIiyEEZZNS1_16scan_by_key_implILNS1_25lookback_scan_determinismE0ELb1ES3_N6thrust23THRUST_200600_302600_NS6detail15normal_iteratorINS9_10device_ptrIiEEEENSB_INSC_IyEEEESG_yNS9_4plusIvEENS9_8equal_toIvEEyEE10hipError_tPvRmT2_T3_T4_T5_mT6_T7_P12ihipStream_tbENKUlT_T0_E_clISt17integral_constantIbLb1EES11_EEDaSW_SX_EUlSW_E_NS1_11comp_targetILNS1_3genE10ELNS1_11target_archE1201ELNS1_3gpuE5ELNS1_3repE0EEENS1_30default_config_static_selectorELNS0_4arch9wavefront6targetE0EEEvT1_.has_recursion, 0
	.set _ZN7rocprim17ROCPRIM_400000_NS6detail17trampoline_kernelINS0_14default_configENS1_27scan_by_key_config_selectorIiyEEZZNS1_16scan_by_key_implILNS1_25lookback_scan_determinismE0ELb1ES3_N6thrust23THRUST_200600_302600_NS6detail15normal_iteratorINS9_10device_ptrIiEEEENSB_INSC_IyEEEESG_yNS9_4plusIvEENS9_8equal_toIvEEyEE10hipError_tPvRmT2_T3_T4_T5_mT6_T7_P12ihipStream_tbENKUlT_T0_E_clISt17integral_constantIbLb1EES11_EEDaSW_SX_EUlSW_E_NS1_11comp_targetILNS1_3genE10ELNS1_11target_archE1201ELNS1_3gpuE5ELNS1_3repE0EEENS1_30default_config_static_selectorELNS0_4arch9wavefront6targetE0EEEvT1_.has_indirect_call, 0
	.section	.AMDGPU.csdata,"",@progbits
; Kernel info:
; codeLenInByte = 0
; TotalNumSgprs: 0
; NumVgprs: 0
; ScratchSize: 0
; MemoryBound: 0
; FloatMode: 240
; IeeeMode: 1
; LDSByteSize: 0 bytes/workgroup (compile time only)
; SGPRBlocks: 0
; VGPRBlocks: 0
; NumSGPRsForWavesPerEU: 1
; NumVGPRsForWavesPerEU: 1
; NamedBarCnt: 0
; Occupancy: 16
; WaveLimiterHint : 0
; COMPUTE_PGM_RSRC2:SCRATCH_EN: 0
; COMPUTE_PGM_RSRC2:USER_SGPR: 2
; COMPUTE_PGM_RSRC2:TRAP_HANDLER: 0
; COMPUTE_PGM_RSRC2:TGID_X_EN: 1
; COMPUTE_PGM_RSRC2:TGID_Y_EN: 0
; COMPUTE_PGM_RSRC2:TGID_Z_EN: 0
; COMPUTE_PGM_RSRC2:TIDIG_COMP_CNT: 0
	.section	.text._ZN7rocprim17ROCPRIM_400000_NS6detail17trampoline_kernelINS0_14default_configENS1_27scan_by_key_config_selectorIiyEEZZNS1_16scan_by_key_implILNS1_25lookback_scan_determinismE0ELb1ES3_N6thrust23THRUST_200600_302600_NS6detail15normal_iteratorINS9_10device_ptrIiEEEENSB_INSC_IyEEEESG_yNS9_4plusIvEENS9_8equal_toIvEEyEE10hipError_tPvRmT2_T3_T4_T5_mT6_T7_P12ihipStream_tbENKUlT_T0_E_clISt17integral_constantIbLb1EES11_EEDaSW_SX_EUlSW_E_NS1_11comp_targetILNS1_3genE5ELNS1_11target_archE942ELNS1_3gpuE9ELNS1_3repE0EEENS1_30default_config_static_selectorELNS0_4arch9wavefront6targetE0EEEvT1_,"axG",@progbits,_ZN7rocprim17ROCPRIM_400000_NS6detail17trampoline_kernelINS0_14default_configENS1_27scan_by_key_config_selectorIiyEEZZNS1_16scan_by_key_implILNS1_25lookback_scan_determinismE0ELb1ES3_N6thrust23THRUST_200600_302600_NS6detail15normal_iteratorINS9_10device_ptrIiEEEENSB_INSC_IyEEEESG_yNS9_4plusIvEENS9_8equal_toIvEEyEE10hipError_tPvRmT2_T3_T4_T5_mT6_T7_P12ihipStream_tbENKUlT_T0_E_clISt17integral_constantIbLb1EES11_EEDaSW_SX_EUlSW_E_NS1_11comp_targetILNS1_3genE5ELNS1_11target_archE942ELNS1_3gpuE9ELNS1_3repE0EEENS1_30default_config_static_selectorELNS0_4arch9wavefront6targetE0EEEvT1_,comdat
	.protected	_ZN7rocprim17ROCPRIM_400000_NS6detail17trampoline_kernelINS0_14default_configENS1_27scan_by_key_config_selectorIiyEEZZNS1_16scan_by_key_implILNS1_25lookback_scan_determinismE0ELb1ES3_N6thrust23THRUST_200600_302600_NS6detail15normal_iteratorINS9_10device_ptrIiEEEENSB_INSC_IyEEEESG_yNS9_4plusIvEENS9_8equal_toIvEEyEE10hipError_tPvRmT2_T3_T4_T5_mT6_T7_P12ihipStream_tbENKUlT_T0_E_clISt17integral_constantIbLb1EES11_EEDaSW_SX_EUlSW_E_NS1_11comp_targetILNS1_3genE5ELNS1_11target_archE942ELNS1_3gpuE9ELNS1_3repE0EEENS1_30default_config_static_selectorELNS0_4arch9wavefront6targetE0EEEvT1_ ; -- Begin function _ZN7rocprim17ROCPRIM_400000_NS6detail17trampoline_kernelINS0_14default_configENS1_27scan_by_key_config_selectorIiyEEZZNS1_16scan_by_key_implILNS1_25lookback_scan_determinismE0ELb1ES3_N6thrust23THRUST_200600_302600_NS6detail15normal_iteratorINS9_10device_ptrIiEEEENSB_INSC_IyEEEESG_yNS9_4plusIvEENS9_8equal_toIvEEyEE10hipError_tPvRmT2_T3_T4_T5_mT6_T7_P12ihipStream_tbENKUlT_T0_E_clISt17integral_constantIbLb1EES11_EEDaSW_SX_EUlSW_E_NS1_11comp_targetILNS1_3genE5ELNS1_11target_archE942ELNS1_3gpuE9ELNS1_3repE0EEENS1_30default_config_static_selectorELNS0_4arch9wavefront6targetE0EEEvT1_
	.globl	_ZN7rocprim17ROCPRIM_400000_NS6detail17trampoline_kernelINS0_14default_configENS1_27scan_by_key_config_selectorIiyEEZZNS1_16scan_by_key_implILNS1_25lookback_scan_determinismE0ELb1ES3_N6thrust23THRUST_200600_302600_NS6detail15normal_iteratorINS9_10device_ptrIiEEEENSB_INSC_IyEEEESG_yNS9_4plusIvEENS9_8equal_toIvEEyEE10hipError_tPvRmT2_T3_T4_T5_mT6_T7_P12ihipStream_tbENKUlT_T0_E_clISt17integral_constantIbLb1EES11_EEDaSW_SX_EUlSW_E_NS1_11comp_targetILNS1_3genE5ELNS1_11target_archE942ELNS1_3gpuE9ELNS1_3repE0EEENS1_30default_config_static_selectorELNS0_4arch9wavefront6targetE0EEEvT1_
	.p2align	8
	.type	_ZN7rocprim17ROCPRIM_400000_NS6detail17trampoline_kernelINS0_14default_configENS1_27scan_by_key_config_selectorIiyEEZZNS1_16scan_by_key_implILNS1_25lookback_scan_determinismE0ELb1ES3_N6thrust23THRUST_200600_302600_NS6detail15normal_iteratorINS9_10device_ptrIiEEEENSB_INSC_IyEEEESG_yNS9_4plusIvEENS9_8equal_toIvEEyEE10hipError_tPvRmT2_T3_T4_T5_mT6_T7_P12ihipStream_tbENKUlT_T0_E_clISt17integral_constantIbLb1EES11_EEDaSW_SX_EUlSW_E_NS1_11comp_targetILNS1_3genE5ELNS1_11target_archE942ELNS1_3gpuE9ELNS1_3repE0EEENS1_30default_config_static_selectorELNS0_4arch9wavefront6targetE0EEEvT1_,@function
_ZN7rocprim17ROCPRIM_400000_NS6detail17trampoline_kernelINS0_14default_configENS1_27scan_by_key_config_selectorIiyEEZZNS1_16scan_by_key_implILNS1_25lookback_scan_determinismE0ELb1ES3_N6thrust23THRUST_200600_302600_NS6detail15normal_iteratorINS9_10device_ptrIiEEEENSB_INSC_IyEEEESG_yNS9_4plusIvEENS9_8equal_toIvEEyEE10hipError_tPvRmT2_T3_T4_T5_mT6_T7_P12ihipStream_tbENKUlT_T0_E_clISt17integral_constantIbLb1EES11_EEDaSW_SX_EUlSW_E_NS1_11comp_targetILNS1_3genE5ELNS1_11target_archE942ELNS1_3gpuE9ELNS1_3repE0EEENS1_30default_config_static_selectorELNS0_4arch9wavefront6targetE0EEEvT1_: ; @_ZN7rocprim17ROCPRIM_400000_NS6detail17trampoline_kernelINS0_14default_configENS1_27scan_by_key_config_selectorIiyEEZZNS1_16scan_by_key_implILNS1_25lookback_scan_determinismE0ELb1ES3_N6thrust23THRUST_200600_302600_NS6detail15normal_iteratorINS9_10device_ptrIiEEEENSB_INSC_IyEEEESG_yNS9_4plusIvEENS9_8equal_toIvEEyEE10hipError_tPvRmT2_T3_T4_T5_mT6_T7_P12ihipStream_tbENKUlT_T0_E_clISt17integral_constantIbLb1EES11_EEDaSW_SX_EUlSW_E_NS1_11comp_targetILNS1_3genE5ELNS1_11target_archE942ELNS1_3gpuE9ELNS1_3repE0EEENS1_30default_config_static_selectorELNS0_4arch9wavefront6targetE0EEEvT1_
; %bb.0:
	.section	.rodata,"a",@progbits
	.p2align	6, 0x0
	.amdhsa_kernel _ZN7rocprim17ROCPRIM_400000_NS6detail17trampoline_kernelINS0_14default_configENS1_27scan_by_key_config_selectorIiyEEZZNS1_16scan_by_key_implILNS1_25lookback_scan_determinismE0ELb1ES3_N6thrust23THRUST_200600_302600_NS6detail15normal_iteratorINS9_10device_ptrIiEEEENSB_INSC_IyEEEESG_yNS9_4plusIvEENS9_8equal_toIvEEyEE10hipError_tPvRmT2_T3_T4_T5_mT6_T7_P12ihipStream_tbENKUlT_T0_E_clISt17integral_constantIbLb1EES11_EEDaSW_SX_EUlSW_E_NS1_11comp_targetILNS1_3genE5ELNS1_11target_archE942ELNS1_3gpuE9ELNS1_3repE0EEENS1_30default_config_static_selectorELNS0_4arch9wavefront6targetE0EEEvT1_
		.amdhsa_group_segment_fixed_size 0
		.amdhsa_private_segment_fixed_size 0
		.amdhsa_kernarg_size 136
		.amdhsa_user_sgpr_count 2
		.amdhsa_user_sgpr_dispatch_ptr 0
		.amdhsa_user_sgpr_queue_ptr 0
		.amdhsa_user_sgpr_kernarg_segment_ptr 1
		.amdhsa_user_sgpr_dispatch_id 0
		.amdhsa_user_sgpr_kernarg_preload_length 0
		.amdhsa_user_sgpr_kernarg_preload_offset 0
		.amdhsa_user_sgpr_private_segment_size 0
		.amdhsa_wavefront_size32 1
		.amdhsa_uses_dynamic_stack 0
		.amdhsa_enable_private_segment 0
		.amdhsa_system_sgpr_workgroup_id_x 1
		.amdhsa_system_sgpr_workgroup_id_y 0
		.amdhsa_system_sgpr_workgroup_id_z 0
		.amdhsa_system_sgpr_workgroup_info 0
		.amdhsa_system_vgpr_workitem_id 0
		.amdhsa_next_free_vgpr 1
		.amdhsa_next_free_sgpr 1
		.amdhsa_named_barrier_count 0
		.amdhsa_reserve_vcc 0
		.amdhsa_float_round_mode_32 0
		.amdhsa_float_round_mode_16_64 0
		.amdhsa_float_denorm_mode_32 3
		.amdhsa_float_denorm_mode_16_64 3
		.amdhsa_fp16_overflow 0
		.amdhsa_memory_ordered 1
		.amdhsa_forward_progress 1
		.amdhsa_inst_pref_size 0
		.amdhsa_round_robin_scheduling 0
		.amdhsa_exception_fp_ieee_invalid_op 0
		.amdhsa_exception_fp_denorm_src 0
		.amdhsa_exception_fp_ieee_div_zero 0
		.amdhsa_exception_fp_ieee_overflow 0
		.amdhsa_exception_fp_ieee_underflow 0
		.amdhsa_exception_fp_ieee_inexact 0
		.amdhsa_exception_int_div_zero 0
	.end_amdhsa_kernel
	.section	.text._ZN7rocprim17ROCPRIM_400000_NS6detail17trampoline_kernelINS0_14default_configENS1_27scan_by_key_config_selectorIiyEEZZNS1_16scan_by_key_implILNS1_25lookback_scan_determinismE0ELb1ES3_N6thrust23THRUST_200600_302600_NS6detail15normal_iteratorINS9_10device_ptrIiEEEENSB_INSC_IyEEEESG_yNS9_4plusIvEENS9_8equal_toIvEEyEE10hipError_tPvRmT2_T3_T4_T5_mT6_T7_P12ihipStream_tbENKUlT_T0_E_clISt17integral_constantIbLb1EES11_EEDaSW_SX_EUlSW_E_NS1_11comp_targetILNS1_3genE5ELNS1_11target_archE942ELNS1_3gpuE9ELNS1_3repE0EEENS1_30default_config_static_selectorELNS0_4arch9wavefront6targetE0EEEvT1_,"axG",@progbits,_ZN7rocprim17ROCPRIM_400000_NS6detail17trampoline_kernelINS0_14default_configENS1_27scan_by_key_config_selectorIiyEEZZNS1_16scan_by_key_implILNS1_25lookback_scan_determinismE0ELb1ES3_N6thrust23THRUST_200600_302600_NS6detail15normal_iteratorINS9_10device_ptrIiEEEENSB_INSC_IyEEEESG_yNS9_4plusIvEENS9_8equal_toIvEEyEE10hipError_tPvRmT2_T3_T4_T5_mT6_T7_P12ihipStream_tbENKUlT_T0_E_clISt17integral_constantIbLb1EES11_EEDaSW_SX_EUlSW_E_NS1_11comp_targetILNS1_3genE5ELNS1_11target_archE942ELNS1_3gpuE9ELNS1_3repE0EEENS1_30default_config_static_selectorELNS0_4arch9wavefront6targetE0EEEvT1_,comdat
.Lfunc_end1474:
	.size	_ZN7rocprim17ROCPRIM_400000_NS6detail17trampoline_kernelINS0_14default_configENS1_27scan_by_key_config_selectorIiyEEZZNS1_16scan_by_key_implILNS1_25lookback_scan_determinismE0ELb1ES3_N6thrust23THRUST_200600_302600_NS6detail15normal_iteratorINS9_10device_ptrIiEEEENSB_INSC_IyEEEESG_yNS9_4plusIvEENS9_8equal_toIvEEyEE10hipError_tPvRmT2_T3_T4_T5_mT6_T7_P12ihipStream_tbENKUlT_T0_E_clISt17integral_constantIbLb1EES11_EEDaSW_SX_EUlSW_E_NS1_11comp_targetILNS1_3genE5ELNS1_11target_archE942ELNS1_3gpuE9ELNS1_3repE0EEENS1_30default_config_static_selectorELNS0_4arch9wavefront6targetE0EEEvT1_, .Lfunc_end1474-_ZN7rocprim17ROCPRIM_400000_NS6detail17trampoline_kernelINS0_14default_configENS1_27scan_by_key_config_selectorIiyEEZZNS1_16scan_by_key_implILNS1_25lookback_scan_determinismE0ELb1ES3_N6thrust23THRUST_200600_302600_NS6detail15normal_iteratorINS9_10device_ptrIiEEEENSB_INSC_IyEEEESG_yNS9_4plusIvEENS9_8equal_toIvEEyEE10hipError_tPvRmT2_T3_T4_T5_mT6_T7_P12ihipStream_tbENKUlT_T0_E_clISt17integral_constantIbLb1EES11_EEDaSW_SX_EUlSW_E_NS1_11comp_targetILNS1_3genE5ELNS1_11target_archE942ELNS1_3gpuE9ELNS1_3repE0EEENS1_30default_config_static_selectorELNS0_4arch9wavefront6targetE0EEEvT1_
                                        ; -- End function
	.set _ZN7rocprim17ROCPRIM_400000_NS6detail17trampoline_kernelINS0_14default_configENS1_27scan_by_key_config_selectorIiyEEZZNS1_16scan_by_key_implILNS1_25lookback_scan_determinismE0ELb1ES3_N6thrust23THRUST_200600_302600_NS6detail15normal_iteratorINS9_10device_ptrIiEEEENSB_INSC_IyEEEESG_yNS9_4plusIvEENS9_8equal_toIvEEyEE10hipError_tPvRmT2_T3_T4_T5_mT6_T7_P12ihipStream_tbENKUlT_T0_E_clISt17integral_constantIbLb1EES11_EEDaSW_SX_EUlSW_E_NS1_11comp_targetILNS1_3genE5ELNS1_11target_archE942ELNS1_3gpuE9ELNS1_3repE0EEENS1_30default_config_static_selectorELNS0_4arch9wavefront6targetE0EEEvT1_.num_vgpr, 0
	.set _ZN7rocprim17ROCPRIM_400000_NS6detail17trampoline_kernelINS0_14default_configENS1_27scan_by_key_config_selectorIiyEEZZNS1_16scan_by_key_implILNS1_25lookback_scan_determinismE0ELb1ES3_N6thrust23THRUST_200600_302600_NS6detail15normal_iteratorINS9_10device_ptrIiEEEENSB_INSC_IyEEEESG_yNS9_4plusIvEENS9_8equal_toIvEEyEE10hipError_tPvRmT2_T3_T4_T5_mT6_T7_P12ihipStream_tbENKUlT_T0_E_clISt17integral_constantIbLb1EES11_EEDaSW_SX_EUlSW_E_NS1_11comp_targetILNS1_3genE5ELNS1_11target_archE942ELNS1_3gpuE9ELNS1_3repE0EEENS1_30default_config_static_selectorELNS0_4arch9wavefront6targetE0EEEvT1_.num_agpr, 0
	.set _ZN7rocprim17ROCPRIM_400000_NS6detail17trampoline_kernelINS0_14default_configENS1_27scan_by_key_config_selectorIiyEEZZNS1_16scan_by_key_implILNS1_25lookback_scan_determinismE0ELb1ES3_N6thrust23THRUST_200600_302600_NS6detail15normal_iteratorINS9_10device_ptrIiEEEENSB_INSC_IyEEEESG_yNS9_4plusIvEENS9_8equal_toIvEEyEE10hipError_tPvRmT2_T3_T4_T5_mT6_T7_P12ihipStream_tbENKUlT_T0_E_clISt17integral_constantIbLb1EES11_EEDaSW_SX_EUlSW_E_NS1_11comp_targetILNS1_3genE5ELNS1_11target_archE942ELNS1_3gpuE9ELNS1_3repE0EEENS1_30default_config_static_selectorELNS0_4arch9wavefront6targetE0EEEvT1_.numbered_sgpr, 0
	.set _ZN7rocprim17ROCPRIM_400000_NS6detail17trampoline_kernelINS0_14default_configENS1_27scan_by_key_config_selectorIiyEEZZNS1_16scan_by_key_implILNS1_25lookback_scan_determinismE0ELb1ES3_N6thrust23THRUST_200600_302600_NS6detail15normal_iteratorINS9_10device_ptrIiEEEENSB_INSC_IyEEEESG_yNS9_4plusIvEENS9_8equal_toIvEEyEE10hipError_tPvRmT2_T3_T4_T5_mT6_T7_P12ihipStream_tbENKUlT_T0_E_clISt17integral_constantIbLb1EES11_EEDaSW_SX_EUlSW_E_NS1_11comp_targetILNS1_3genE5ELNS1_11target_archE942ELNS1_3gpuE9ELNS1_3repE0EEENS1_30default_config_static_selectorELNS0_4arch9wavefront6targetE0EEEvT1_.num_named_barrier, 0
	.set _ZN7rocprim17ROCPRIM_400000_NS6detail17trampoline_kernelINS0_14default_configENS1_27scan_by_key_config_selectorIiyEEZZNS1_16scan_by_key_implILNS1_25lookback_scan_determinismE0ELb1ES3_N6thrust23THRUST_200600_302600_NS6detail15normal_iteratorINS9_10device_ptrIiEEEENSB_INSC_IyEEEESG_yNS9_4plusIvEENS9_8equal_toIvEEyEE10hipError_tPvRmT2_T3_T4_T5_mT6_T7_P12ihipStream_tbENKUlT_T0_E_clISt17integral_constantIbLb1EES11_EEDaSW_SX_EUlSW_E_NS1_11comp_targetILNS1_3genE5ELNS1_11target_archE942ELNS1_3gpuE9ELNS1_3repE0EEENS1_30default_config_static_selectorELNS0_4arch9wavefront6targetE0EEEvT1_.private_seg_size, 0
	.set _ZN7rocprim17ROCPRIM_400000_NS6detail17trampoline_kernelINS0_14default_configENS1_27scan_by_key_config_selectorIiyEEZZNS1_16scan_by_key_implILNS1_25lookback_scan_determinismE0ELb1ES3_N6thrust23THRUST_200600_302600_NS6detail15normal_iteratorINS9_10device_ptrIiEEEENSB_INSC_IyEEEESG_yNS9_4plusIvEENS9_8equal_toIvEEyEE10hipError_tPvRmT2_T3_T4_T5_mT6_T7_P12ihipStream_tbENKUlT_T0_E_clISt17integral_constantIbLb1EES11_EEDaSW_SX_EUlSW_E_NS1_11comp_targetILNS1_3genE5ELNS1_11target_archE942ELNS1_3gpuE9ELNS1_3repE0EEENS1_30default_config_static_selectorELNS0_4arch9wavefront6targetE0EEEvT1_.uses_vcc, 0
	.set _ZN7rocprim17ROCPRIM_400000_NS6detail17trampoline_kernelINS0_14default_configENS1_27scan_by_key_config_selectorIiyEEZZNS1_16scan_by_key_implILNS1_25lookback_scan_determinismE0ELb1ES3_N6thrust23THRUST_200600_302600_NS6detail15normal_iteratorINS9_10device_ptrIiEEEENSB_INSC_IyEEEESG_yNS9_4plusIvEENS9_8equal_toIvEEyEE10hipError_tPvRmT2_T3_T4_T5_mT6_T7_P12ihipStream_tbENKUlT_T0_E_clISt17integral_constantIbLb1EES11_EEDaSW_SX_EUlSW_E_NS1_11comp_targetILNS1_3genE5ELNS1_11target_archE942ELNS1_3gpuE9ELNS1_3repE0EEENS1_30default_config_static_selectorELNS0_4arch9wavefront6targetE0EEEvT1_.uses_flat_scratch, 0
	.set _ZN7rocprim17ROCPRIM_400000_NS6detail17trampoline_kernelINS0_14default_configENS1_27scan_by_key_config_selectorIiyEEZZNS1_16scan_by_key_implILNS1_25lookback_scan_determinismE0ELb1ES3_N6thrust23THRUST_200600_302600_NS6detail15normal_iteratorINS9_10device_ptrIiEEEENSB_INSC_IyEEEESG_yNS9_4plusIvEENS9_8equal_toIvEEyEE10hipError_tPvRmT2_T3_T4_T5_mT6_T7_P12ihipStream_tbENKUlT_T0_E_clISt17integral_constantIbLb1EES11_EEDaSW_SX_EUlSW_E_NS1_11comp_targetILNS1_3genE5ELNS1_11target_archE942ELNS1_3gpuE9ELNS1_3repE0EEENS1_30default_config_static_selectorELNS0_4arch9wavefront6targetE0EEEvT1_.has_dyn_sized_stack, 0
	.set _ZN7rocprim17ROCPRIM_400000_NS6detail17trampoline_kernelINS0_14default_configENS1_27scan_by_key_config_selectorIiyEEZZNS1_16scan_by_key_implILNS1_25lookback_scan_determinismE0ELb1ES3_N6thrust23THRUST_200600_302600_NS6detail15normal_iteratorINS9_10device_ptrIiEEEENSB_INSC_IyEEEESG_yNS9_4plusIvEENS9_8equal_toIvEEyEE10hipError_tPvRmT2_T3_T4_T5_mT6_T7_P12ihipStream_tbENKUlT_T0_E_clISt17integral_constantIbLb1EES11_EEDaSW_SX_EUlSW_E_NS1_11comp_targetILNS1_3genE5ELNS1_11target_archE942ELNS1_3gpuE9ELNS1_3repE0EEENS1_30default_config_static_selectorELNS0_4arch9wavefront6targetE0EEEvT1_.has_recursion, 0
	.set _ZN7rocprim17ROCPRIM_400000_NS6detail17trampoline_kernelINS0_14default_configENS1_27scan_by_key_config_selectorIiyEEZZNS1_16scan_by_key_implILNS1_25lookback_scan_determinismE0ELb1ES3_N6thrust23THRUST_200600_302600_NS6detail15normal_iteratorINS9_10device_ptrIiEEEENSB_INSC_IyEEEESG_yNS9_4plusIvEENS9_8equal_toIvEEyEE10hipError_tPvRmT2_T3_T4_T5_mT6_T7_P12ihipStream_tbENKUlT_T0_E_clISt17integral_constantIbLb1EES11_EEDaSW_SX_EUlSW_E_NS1_11comp_targetILNS1_3genE5ELNS1_11target_archE942ELNS1_3gpuE9ELNS1_3repE0EEENS1_30default_config_static_selectorELNS0_4arch9wavefront6targetE0EEEvT1_.has_indirect_call, 0
	.section	.AMDGPU.csdata,"",@progbits
; Kernel info:
; codeLenInByte = 0
; TotalNumSgprs: 0
; NumVgprs: 0
; ScratchSize: 0
; MemoryBound: 0
; FloatMode: 240
; IeeeMode: 1
; LDSByteSize: 0 bytes/workgroup (compile time only)
; SGPRBlocks: 0
; VGPRBlocks: 0
; NumSGPRsForWavesPerEU: 1
; NumVGPRsForWavesPerEU: 1
; NamedBarCnt: 0
; Occupancy: 16
; WaveLimiterHint : 0
; COMPUTE_PGM_RSRC2:SCRATCH_EN: 0
; COMPUTE_PGM_RSRC2:USER_SGPR: 2
; COMPUTE_PGM_RSRC2:TRAP_HANDLER: 0
; COMPUTE_PGM_RSRC2:TGID_X_EN: 1
; COMPUTE_PGM_RSRC2:TGID_Y_EN: 0
; COMPUTE_PGM_RSRC2:TGID_Z_EN: 0
; COMPUTE_PGM_RSRC2:TIDIG_COMP_CNT: 0
	.section	.text._ZN7rocprim17ROCPRIM_400000_NS6detail17trampoline_kernelINS0_14default_configENS1_27scan_by_key_config_selectorIiyEEZZNS1_16scan_by_key_implILNS1_25lookback_scan_determinismE0ELb1ES3_N6thrust23THRUST_200600_302600_NS6detail15normal_iteratorINS9_10device_ptrIiEEEENSB_INSC_IyEEEESG_yNS9_4plusIvEENS9_8equal_toIvEEyEE10hipError_tPvRmT2_T3_T4_T5_mT6_T7_P12ihipStream_tbENKUlT_T0_E_clISt17integral_constantIbLb1EES11_EEDaSW_SX_EUlSW_E_NS1_11comp_targetILNS1_3genE4ELNS1_11target_archE910ELNS1_3gpuE8ELNS1_3repE0EEENS1_30default_config_static_selectorELNS0_4arch9wavefront6targetE0EEEvT1_,"axG",@progbits,_ZN7rocprim17ROCPRIM_400000_NS6detail17trampoline_kernelINS0_14default_configENS1_27scan_by_key_config_selectorIiyEEZZNS1_16scan_by_key_implILNS1_25lookback_scan_determinismE0ELb1ES3_N6thrust23THRUST_200600_302600_NS6detail15normal_iteratorINS9_10device_ptrIiEEEENSB_INSC_IyEEEESG_yNS9_4plusIvEENS9_8equal_toIvEEyEE10hipError_tPvRmT2_T3_T4_T5_mT6_T7_P12ihipStream_tbENKUlT_T0_E_clISt17integral_constantIbLb1EES11_EEDaSW_SX_EUlSW_E_NS1_11comp_targetILNS1_3genE4ELNS1_11target_archE910ELNS1_3gpuE8ELNS1_3repE0EEENS1_30default_config_static_selectorELNS0_4arch9wavefront6targetE0EEEvT1_,comdat
	.protected	_ZN7rocprim17ROCPRIM_400000_NS6detail17trampoline_kernelINS0_14default_configENS1_27scan_by_key_config_selectorIiyEEZZNS1_16scan_by_key_implILNS1_25lookback_scan_determinismE0ELb1ES3_N6thrust23THRUST_200600_302600_NS6detail15normal_iteratorINS9_10device_ptrIiEEEENSB_INSC_IyEEEESG_yNS9_4plusIvEENS9_8equal_toIvEEyEE10hipError_tPvRmT2_T3_T4_T5_mT6_T7_P12ihipStream_tbENKUlT_T0_E_clISt17integral_constantIbLb1EES11_EEDaSW_SX_EUlSW_E_NS1_11comp_targetILNS1_3genE4ELNS1_11target_archE910ELNS1_3gpuE8ELNS1_3repE0EEENS1_30default_config_static_selectorELNS0_4arch9wavefront6targetE0EEEvT1_ ; -- Begin function _ZN7rocprim17ROCPRIM_400000_NS6detail17trampoline_kernelINS0_14default_configENS1_27scan_by_key_config_selectorIiyEEZZNS1_16scan_by_key_implILNS1_25lookback_scan_determinismE0ELb1ES3_N6thrust23THRUST_200600_302600_NS6detail15normal_iteratorINS9_10device_ptrIiEEEENSB_INSC_IyEEEESG_yNS9_4plusIvEENS9_8equal_toIvEEyEE10hipError_tPvRmT2_T3_T4_T5_mT6_T7_P12ihipStream_tbENKUlT_T0_E_clISt17integral_constantIbLb1EES11_EEDaSW_SX_EUlSW_E_NS1_11comp_targetILNS1_3genE4ELNS1_11target_archE910ELNS1_3gpuE8ELNS1_3repE0EEENS1_30default_config_static_selectorELNS0_4arch9wavefront6targetE0EEEvT1_
	.globl	_ZN7rocprim17ROCPRIM_400000_NS6detail17trampoline_kernelINS0_14default_configENS1_27scan_by_key_config_selectorIiyEEZZNS1_16scan_by_key_implILNS1_25lookback_scan_determinismE0ELb1ES3_N6thrust23THRUST_200600_302600_NS6detail15normal_iteratorINS9_10device_ptrIiEEEENSB_INSC_IyEEEESG_yNS9_4plusIvEENS9_8equal_toIvEEyEE10hipError_tPvRmT2_T3_T4_T5_mT6_T7_P12ihipStream_tbENKUlT_T0_E_clISt17integral_constantIbLb1EES11_EEDaSW_SX_EUlSW_E_NS1_11comp_targetILNS1_3genE4ELNS1_11target_archE910ELNS1_3gpuE8ELNS1_3repE0EEENS1_30default_config_static_selectorELNS0_4arch9wavefront6targetE0EEEvT1_
	.p2align	8
	.type	_ZN7rocprim17ROCPRIM_400000_NS6detail17trampoline_kernelINS0_14default_configENS1_27scan_by_key_config_selectorIiyEEZZNS1_16scan_by_key_implILNS1_25lookback_scan_determinismE0ELb1ES3_N6thrust23THRUST_200600_302600_NS6detail15normal_iteratorINS9_10device_ptrIiEEEENSB_INSC_IyEEEESG_yNS9_4plusIvEENS9_8equal_toIvEEyEE10hipError_tPvRmT2_T3_T4_T5_mT6_T7_P12ihipStream_tbENKUlT_T0_E_clISt17integral_constantIbLb1EES11_EEDaSW_SX_EUlSW_E_NS1_11comp_targetILNS1_3genE4ELNS1_11target_archE910ELNS1_3gpuE8ELNS1_3repE0EEENS1_30default_config_static_selectorELNS0_4arch9wavefront6targetE0EEEvT1_,@function
_ZN7rocprim17ROCPRIM_400000_NS6detail17trampoline_kernelINS0_14default_configENS1_27scan_by_key_config_selectorIiyEEZZNS1_16scan_by_key_implILNS1_25lookback_scan_determinismE0ELb1ES3_N6thrust23THRUST_200600_302600_NS6detail15normal_iteratorINS9_10device_ptrIiEEEENSB_INSC_IyEEEESG_yNS9_4plusIvEENS9_8equal_toIvEEyEE10hipError_tPvRmT2_T3_T4_T5_mT6_T7_P12ihipStream_tbENKUlT_T0_E_clISt17integral_constantIbLb1EES11_EEDaSW_SX_EUlSW_E_NS1_11comp_targetILNS1_3genE4ELNS1_11target_archE910ELNS1_3gpuE8ELNS1_3repE0EEENS1_30default_config_static_selectorELNS0_4arch9wavefront6targetE0EEEvT1_: ; @_ZN7rocprim17ROCPRIM_400000_NS6detail17trampoline_kernelINS0_14default_configENS1_27scan_by_key_config_selectorIiyEEZZNS1_16scan_by_key_implILNS1_25lookback_scan_determinismE0ELb1ES3_N6thrust23THRUST_200600_302600_NS6detail15normal_iteratorINS9_10device_ptrIiEEEENSB_INSC_IyEEEESG_yNS9_4plusIvEENS9_8equal_toIvEEyEE10hipError_tPvRmT2_T3_T4_T5_mT6_T7_P12ihipStream_tbENKUlT_T0_E_clISt17integral_constantIbLb1EES11_EEDaSW_SX_EUlSW_E_NS1_11comp_targetILNS1_3genE4ELNS1_11target_archE910ELNS1_3gpuE8ELNS1_3repE0EEENS1_30default_config_static_selectorELNS0_4arch9wavefront6targetE0EEEvT1_
; %bb.0:
	.section	.rodata,"a",@progbits
	.p2align	6, 0x0
	.amdhsa_kernel _ZN7rocprim17ROCPRIM_400000_NS6detail17trampoline_kernelINS0_14default_configENS1_27scan_by_key_config_selectorIiyEEZZNS1_16scan_by_key_implILNS1_25lookback_scan_determinismE0ELb1ES3_N6thrust23THRUST_200600_302600_NS6detail15normal_iteratorINS9_10device_ptrIiEEEENSB_INSC_IyEEEESG_yNS9_4plusIvEENS9_8equal_toIvEEyEE10hipError_tPvRmT2_T3_T4_T5_mT6_T7_P12ihipStream_tbENKUlT_T0_E_clISt17integral_constantIbLb1EES11_EEDaSW_SX_EUlSW_E_NS1_11comp_targetILNS1_3genE4ELNS1_11target_archE910ELNS1_3gpuE8ELNS1_3repE0EEENS1_30default_config_static_selectorELNS0_4arch9wavefront6targetE0EEEvT1_
		.amdhsa_group_segment_fixed_size 0
		.amdhsa_private_segment_fixed_size 0
		.amdhsa_kernarg_size 136
		.amdhsa_user_sgpr_count 2
		.amdhsa_user_sgpr_dispatch_ptr 0
		.amdhsa_user_sgpr_queue_ptr 0
		.amdhsa_user_sgpr_kernarg_segment_ptr 1
		.amdhsa_user_sgpr_dispatch_id 0
		.amdhsa_user_sgpr_kernarg_preload_length 0
		.amdhsa_user_sgpr_kernarg_preload_offset 0
		.amdhsa_user_sgpr_private_segment_size 0
		.amdhsa_wavefront_size32 1
		.amdhsa_uses_dynamic_stack 0
		.amdhsa_enable_private_segment 0
		.amdhsa_system_sgpr_workgroup_id_x 1
		.amdhsa_system_sgpr_workgroup_id_y 0
		.amdhsa_system_sgpr_workgroup_id_z 0
		.amdhsa_system_sgpr_workgroup_info 0
		.amdhsa_system_vgpr_workitem_id 0
		.amdhsa_next_free_vgpr 1
		.amdhsa_next_free_sgpr 1
		.amdhsa_named_barrier_count 0
		.amdhsa_reserve_vcc 0
		.amdhsa_float_round_mode_32 0
		.amdhsa_float_round_mode_16_64 0
		.amdhsa_float_denorm_mode_32 3
		.amdhsa_float_denorm_mode_16_64 3
		.amdhsa_fp16_overflow 0
		.amdhsa_memory_ordered 1
		.amdhsa_forward_progress 1
		.amdhsa_inst_pref_size 0
		.amdhsa_round_robin_scheduling 0
		.amdhsa_exception_fp_ieee_invalid_op 0
		.amdhsa_exception_fp_denorm_src 0
		.amdhsa_exception_fp_ieee_div_zero 0
		.amdhsa_exception_fp_ieee_overflow 0
		.amdhsa_exception_fp_ieee_underflow 0
		.amdhsa_exception_fp_ieee_inexact 0
		.amdhsa_exception_int_div_zero 0
	.end_amdhsa_kernel
	.section	.text._ZN7rocprim17ROCPRIM_400000_NS6detail17trampoline_kernelINS0_14default_configENS1_27scan_by_key_config_selectorIiyEEZZNS1_16scan_by_key_implILNS1_25lookback_scan_determinismE0ELb1ES3_N6thrust23THRUST_200600_302600_NS6detail15normal_iteratorINS9_10device_ptrIiEEEENSB_INSC_IyEEEESG_yNS9_4plusIvEENS9_8equal_toIvEEyEE10hipError_tPvRmT2_T3_T4_T5_mT6_T7_P12ihipStream_tbENKUlT_T0_E_clISt17integral_constantIbLb1EES11_EEDaSW_SX_EUlSW_E_NS1_11comp_targetILNS1_3genE4ELNS1_11target_archE910ELNS1_3gpuE8ELNS1_3repE0EEENS1_30default_config_static_selectorELNS0_4arch9wavefront6targetE0EEEvT1_,"axG",@progbits,_ZN7rocprim17ROCPRIM_400000_NS6detail17trampoline_kernelINS0_14default_configENS1_27scan_by_key_config_selectorIiyEEZZNS1_16scan_by_key_implILNS1_25lookback_scan_determinismE0ELb1ES3_N6thrust23THRUST_200600_302600_NS6detail15normal_iteratorINS9_10device_ptrIiEEEENSB_INSC_IyEEEESG_yNS9_4plusIvEENS9_8equal_toIvEEyEE10hipError_tPvRmT2_T3_T4_T5_mT6_T7_P12ihipStream_tbENKUlT_T0_E_clISt17integral_constantIbLb1EES11_EEDaSW_SX_EUlSW_E_NS1_11comp_targetILNS1_3genE4ELNS1_11target_archE910ELNS1_3gpuE8ELNS1_3repE0EEENS1_30default_config_static_selectorELNS0_4arch9wavefront6targetE0EEEvT1_,comdat
.Lfunc_end1475:
	.size	_ZN7rocprim17ROCPRIM_400000_NS6detail17trampoline_kernelINS0_14default_configENS1_27scan_by_key_config_selectorIiyEEZZNS1_16scan_by_key_implILNS1_25lookback_scan_determinismE0ELb1ES3_N6thrust23THRUST_200600_302600_NS6detail15normal_iteratorINS9_10device_ptrIiEEEENSB_INSC_IyEEEESG_yNS9_4plusIvEENS9_8equal_toIvEEyEE10hipError_tPvRmT2_T3_T4_T5_mT6_T7_P12ihipStream_tbENKUlT_T0_E_clISt17integral_constantIbLb1EES11_EEDaSW_SX_EUlSW_E_NS1_11comp_targetILNS1_3genE4ELNS1_11target_archE910ELNS1_3gpuE8ELNS1_3repE0EEENS1_30default_config_static_selectorELNS0_4arch9wavefront6targetE0EEEvT1_, .Lfunc_end1475-_ZN7rocprim17ROCPRIM_400000_NS6detail17trampoline_kernelINS0_14default_configENS1_27scan_by_key_config_selectorIiyEEZZNS1_16scan_by_key_implILNS1_25lookback_scan_determinismE0ELb1ES3_N6thrust23THRUST_200600_302600_NS6detail15normal_iteratorINS9_10device_ptrIiEEEENSB_INSC_IyEEEESG_yNS9_4plusIvEENS9_8equal_toIvEEyEE10hipError_tPvRmT2_T3_T4_T5_mT6_T7_P12ihipStream_tbENKUlT_T0_E_clISt17integral_constantIbLb1EES11_EEDaSW_SX_EUlSW_E_NS1_11comp_targetILNS1_3genE4ELNS1_11target_archE910ELNS1_3gpuE8ELNS1_3repE0EEENS1_30default_config_static_selectorELNS0_4arch9wavefront6targetE0EEEvT1_
                                        ; -- End function
	.set _ZN7rocprim17ROCPRIM_400000_NS6detail17trampoline_kernelINS0_14default_configENS1_27scan_by_key_config_selectorIiyEEZZNS1_16scan_by_key_implILNS1_25lookback_scan_determinismE0ELb1ES3_N6thrust23THRUST_200600_302600_NS6detail15normal_iteratorINS9_10device_ptrIiEEEENSB_INSC_IyEEEESG_yNS9_4plusIvEENS9_8equal_toIvEEyEE10hipError_tPvRmT2_T3_T4_T5_mT6_T7_P12ihipStream_tbENKUlT_T0_E_clISt17integral_constantIbLb1EES11_EEDaSW_SX_EUlSW_E_NS1_11comp_targetILNS1_3genE4ELNS1_11target_archE910ELNS1_3gpuE8ELNS1_3repE0EEENS1_30default_config_static_selectorELNS0_4arch9wavefront6targetE0EEEvT1_.num_vgpr, 0
	.set _ZN7rocprim17ROCPRIM_400000_NS6detail17trampoline_kernelINS0_14default_configENS1_27scan_by_key_config_selectorIiyEEZZNS1_16scan_by_key_implILNS1_25lookback_scan_determinismE0ELb1ES3_N6thrust23THRUST_200600_302600_NS6detail15normal_iteratorINS9_10device_ptrIiEEEENSB_INSC_IyEEEESG_yNS9_4plusIvEENS9_8equal_toIvEEyEE10hipError_tPvRmT2_T3_T4_T5_mT6_T7_P12ihipStream_tbENKUlT_T0_E_clISt17integral_constantIbLb1EES11_EEDaSW_SX_EUlSW_E_NS1_11comp_targetILNS1_3genE4ELNS1_11target_archE910ELNS1_3gpuE8ELNS1_3repE0EEENS1_30default_config_static_selectorELNS0_4arch9wavefront6targetE0EEEvT1_.num_agpr, 0
	.set _ZN7rocprim17ROCPRIM_400000_NS6detail17trampoline_kernelINS0_14default_configENS1_27scan_by_key_config_selectorIiyEEZZNS1_16scan_by_key_implILNS1_25lookback_scan_determinismE0ELb1ES3_N6thrust23THRUST_200600_302600_NS6detail15normal_iteratorINS9_10device_ptrIiEEEENSB_INSC_IyEEEESG_yNS9_4plusIvEENS9_8equal_toIvEEyEE10hipError_tPvRmT2_T3_T4_T5_mT6_T7_P12ihipStream_tbENKUlT_T0_E_clISt17integral_constantIbLb1EES11_EEDaSW_SX_EUlSW_E_NS1_11comp_targetILNS1_3genE4ELNS1_11target_archE910ELNS1_3gpuE8ELNS1_3repE0EEENS1_30default_config_static_selectorELNS0_4arch9wavefront6targetE0EEEvT1_.numbered_sgpr, 0
	.set _ZN7rocprim17ROCPRIM_400000_NS6detail17trampoline_kernelINS0_14default_configENS1_27scan_by_key_config_selectorIiyEEZZNS1_16scan_by_key_implILNS1_25lookback_scan_determinismE0ELb1ES3_N6thrust23THRUST_200600_302600_NS6detail15normal_iteratorINS9_10device_ptrIiEEEENSB_INSC_IyEEEESG_yNS9_4plusIvEENS9_8equal_toIvEEyEE10hipError_tPvRmT2_T3_T4_T5_mT6_T7_P12ihipStream_tbENKUlT_T0_E_clISt17integral_constantIbLb1EES11_EEDaSW_SX_EUlSW_E_NS1_11comp_targetILNS1_3genE4ELNS1_11target_archE910ELNS1_3gpuE8ELNS1_3repE0EEENS1_30default_config_static_selectorELNS0_4arch9wavefront6targetE0EEEvT1_.num_named_barrier, 0
	.set _ZN7rocprim17ROCPRIM_400000_NS6detail17trampoline_kernelINS0_14default_configENS1_27scan_by_key_config_selectorIiyEEZZNS1_16scan_by_key_implILNS1_25lookback_scan_determinismE0ELb1ES3_N6thrust23THRUST_200600_302600_NS6detail15normal_iteratorINS9_10device_ptrIiEEEENSB_INSC_IyEEEESG_yNS9_4plusIvEENS9_8equal_toIvEEyEE10hipError_tPvRmT2_T3_T4_T5_mT6_T7_P12ihipStream_tbENKUlT_T0_E_clISt17integral_constantIbLb1EES11_EEDaSW_SX_EUlSW_E_NS1_11comp_targetILNS1_3genE4ELNS1_11target_archE910ELNS1_3gpuE8ELNS1_3repE0EEENS1_30default_config_static_selectorELNS0_4arch9wavefront6targetE0EEEvT1_.private_seg_size, 0
	.set _ZN7rocprim17ROCPRIM_400000_NS6detail17trampoline_kernelINS0_14default_configENS1_27scan_by_key_config_selectorIiyEEZZNS1_16scan_by_key_implILNS1_25lookback_scan_determinismE0ELb1ES3_N6thrust23THRUST_200600_302600_NS6detail15normal_iteratorINS9_10device_ptrIiEEEENSB_INSC_IyEEEESG_yNS9_4plusIvEENS9_8equal_toIvEEyEE10hipError_tPvRmT2_T3_T4_T5_mT6_T7_P12ihipStream_tbENKUlT_T0_E_clISt17integral_constantIbLb1EES11_EEDaSW_SX_EUlSW_E_NS1_11comp_targetILNS1_3genE4ELNS1_11target_archE910ELNS1_3gpuE8ELNS1_3repE0EEENS1_30default_config_static_selectorELNS0_4arch9wavefront6targetE0EEEvT1_.uses_vcc, 0
	.set _ZN7rocprim17ROCPRIM_400000_NS6detail17trampoline_kernelINS0_14default_configENS1_27scan_by_key_config_selectorIiyEEZZNS1_16scan_by_key_implILNS1_25lookback_scan_determinismE0ELb1ES3_N6thrust23THRUST_200600_302600_NS6detail15normal_iteratorINS9_10device_ptrIiEEEENSB_INSC_IyEEEESG_yNS9_4plusIvEENS9_8equal_toIvEEyEE10hipError_tPvRmT2_T3_T4_T5_mT6_T7_P12ihipStream_tbENKUlT_T0_E_clISt17integral_constantIbLb1EES11_EEDaSW_SX_EUlSW_E_NS1_11comp_targetILNS1_3genE4ELNS1_11target_archE910ELNS1_3gpuE8ELNS1_3repE0EEENS1_30default_config_static_selectorELNS0_4arch9wavefront6targetE0EEEvT1_.uses_flat_scratch, 0
	.set _ZN7rocprim17ROCPRIM_400000_NS6detail17trampoline_kernelINS0_14default_configENS1_27scan_by_key_config_selectorIiyEEZZNS1_16scan_by_key_implILNS1_25lookback_scan_determinismE0ELb1ES3_N6thrust23THRUST_200600_302600_NS6detail15normal_iteratorINS9_10device_ptrIiEEEENSB_INSC_IyEEEESG_yNS9_4plusIvEENS9_8equal_toIvEEyEE10hipError_tPvRmT2_T3_T4_T5_mT6_T7_P12ihipStream_tbENKUlT_T0_E_clISt17integral_constantIbLb1EES11_EEDaSW_SX_EUlSW_E_NS1_11comp_targetILNS1_3genE4ELNS1_11target_archE910ELNS1_3gpuE8ELNS1_3repE0EEENS1_30default_config_static_selectorELNS0_4arch9wavefront6targetE0EEEvT1_.has_dyn_sized_stack, 0
	.set _ZN7rocprim17ROCPRIM_400000_NS6detail17trampoline_kernelINS0_14default_configENS1_27scan_by_key_config_selectorIiyEEZZNS1_16scan_by_key_implILNS1_25lookback_scan_determinismE0ELb1ES3_N6thrust23THRUST_200600_302600_NS6detail15normal_iteratorINS9_10device_ptrIiEEEENSB_INSC_IyEEEESG_yNS9_4plusIvEENS9_8equal_toIvEEyEE10hipError_tPvRmT2_T3_T4_T5_mT6_T7_P12ihipStream_tbENKUlT_T0_E_clISt17integral_constantIbLb1EES11_EEDaSW_SX_EUlSW_E_NS1_11comp_targetILNS1_3genE4ELNS1_11target_archE910ELNS1_3gpuE8ELNS1_3repE0EEENS1_30default_config_static_selectorELNS0_4arch9wavefront6targetE0EEEvT1_.has_recursion, 0
	.set _ZN7rocprim17ROCPRIM_400000_NS6detail17trampoline_kernelINS0_14default_configENS1_27scan_by_key_config_selectorIiyEEZZNS1_16scan_by_key_implILNS1_25lookback_scan_determinismE0ELb1ES3_N6thrust23THRUST_200600_302600_NS6detail15normal_iteratorINS9_10device_ptrIiEEEENSB_INSC_IyEEEESG_yNS9_4plusIvEENS9_8equal_toIvEEyEE10hipError_tPvRmT2_T3_T4_T5_mT6_T7_P12ihipStream_tbENKUlT_T0_E_clISt17integral_constantIbLb1EES11_EEDaSW_SX_EUlSW_E_NS1_11comp_targetILNS1_3genE4ELNS1_11target_archE910ELNS1_3gpuE8ELNS1_3repE0EEENS1_30default_config_static_selectorELNS0_4arch9wavefront6targetE0EEEvT1_.has_indirect_call, 0
	.section	.AMDGPU.csdata,"",@progbits
; Kernel info:
; codeLenInByte = 0
; TotalNumSgprs: 0
; NumVgprs: 0
; ScratchSize: 0
; MemoryBound: 0
; FloatMode: 240
; IeeeMode: 1
; LDSByteSize: 0 bytes/workgroup (compile time only)
; SGPRBlocks: 0
; VGPRBlocks: 0
; NumSGPRsForWavesPerEU: 1
; NumVGPRsForWavesPerEU: 1
; NamedBarCnt: 0
; Occupancy: 16
; WaveLimiterHint : 0
; COMPUTE_PGM_RSRC2:SCRATCH_EN: 0
; COMPUTE_PGM_RSRC2:USER_SGPR: 2
; COMPUTE_PGM_RSRC2:TRAP_HANDLER: 0
; COMPUTE_PGM_RSRC2:TGID_X_EN: 1
; COMPUTE_PGM_RSRC2:TGID_Y_EN: 0
; COMPUTE_PGM_RSRC2:TGID_Z_EN: 0
; COMPUTE_PGM_RSRC2:TIDIG_COMP_CNT: 0
	.section	.text._ZN7rocprim17ROCPRIM_400000_NS6detail17trampoline_kernelINS0_14default_configENS1_27scan_by_key_config_selectorIiyEEZZNS1_16scan_by_key_implILNS1_25lookback_scan_determinismE0ELb1ES3_N6thrust23THRUST_200600_302600_NS6detail15normal_iteratorINS9_10device_ptrIiEEEENSB_INSC_IyEEEESG_yNS9_4plusIvEENS9_8equal_toIvEEyEE10hipError_tPvRmT2_T3_T4_T5_mT6_T7_P12ihipStream_tbENKUlT_T0_E_clISt17integral_constantIbLb1EES11_EEDaSW_SX_EUlSW_E_NS1_11comp_targetILNS1_3genE3ELNS1_11target_archE908ELNS1_3gpuE7ELNS1_3repE0EEENS1_30default_config_static_selectorELNS0_4arch9wavefront6targetE0EEEvT1_,"axG",@progbits,_ZN7rocprim17ROCPRIM_400000_NS6detail17trampoline_kernelINS0_14default_configENS1_27scan_by_key_config_selectorIiyEEZZNS1_16scan_by_key_implILNS1_25lookback_scan_determinismE0ELb1ES3_N6thrust23THRUST_200600_302600_NS6detail15normal_iteratorINS9_10device_ptrIiEEEENSB_INSC_IyEEEESG_yNS9_4plusIvEENS9_8equal_toIvEEyEE10hipError_tPvRmT2_T3_T4_T5_mT6_T7_P12ihipStream_tbENKUlT_T0_E_clISt17integral_constantIbLb1EES11_EEDaSW_SX_EUlSW_E_NS1_11comp_targetILNS1_3genE3ELNS1_11target_archE908ELNS1_3gpuE7ELNS1_3repE0EEENS1_30default_config_static_selectorELNS0_4arch9wavefront6targetE0EEEvT1_,comdat
	.protected	_ZN7rocprim17ROCPRIM_400000_NS6detail17trampoline_kernelINS0_14default_configENS1_27scan_by_key_config_selectorIiyEEZZNS1_16scan_by_key_implILNS1_25lookback_scan_determinismE0ELb1ES3_N6thrust23THRUST_200600_302600_NS6detail15normal_iteratorINS9_10device_ptrIiEEEENSB_INSC_IyEEEESG_yNS9_4plusIvEENS9_8equal_toIvEEyEE10hipError_tPvRmT2_T3_T4_T5_mT6_T7_P12ihipStream_tbENKUlT_T0_E_clISt17integral_constantIbLb1EES11_EEDaSW_SX_EUlSW_E_NS1_11comp_targetILNS1_3genE3ELNS1_11target_archE908ELNS1_3gpuE7ELNS1_3repE0EEENS1_30default_config_static_selectorELNS0_4arch9wavefront6targetE0EEEvT1_ ; -- Begin function _ZN7rocprim17ROCPRIM_400000_NS6detail17trampoline_kernelINS0_14default_configENS1_27scan_by_key_config_selectorIiyEEZZNS1_16scan_by_key_implILNS1_25lookback_scan_determinismE0ELb1ES3_N6thrust23THRUST_200600_302600_NS6detail15normal_iteratorINS9_10device_ptrIiEEEENSB_INSC_IyEEEESG_yNS9_4plusIvEENS9_8equal_toIvEEyEE10hipError_tPvRmT2_T3_T4_T5_mT6_T7_P12ihipStream_tbENKUlT_T0_E_clISt17integral_constantIbLb1EES11_EEDaSW_SX_EUlSW_E_NS1_11comp_targetILNS1_3genE3ELNS1_11target_archE908ELNS1_3gpuE7ELNS1_3repE0EEENS1_30default_config_static_selectorELNS0_4arch9wavefront6targetE0EEEvT1_
	.globl	_ZN7rocprim17ROCPRIM_400000_NS6detail17trampoline_kernelINS0_14default_configENS1_27scan_by_key_config_selectorIiyEEZZNS1_16scan_by_key_implILNS1_25lookback_scan_determinismE0ELb1ES3_N6thrust23THRUST_200600_302600_NS6detail15normal_iteratorINS9_10device_ptrIiEEEENSB_INSC_IyEEEESG_yNS9_4plusIvEENS9_8equal_toIvEEyEE10hipError_tPvRmT2_T3_T4_T5_mT6_T7_P12ihipStream_tbENKUlT_T0_E_clISt17integral_constantIbLb1EES11_EEDaSW_SX_EUlSW_E_NS1_11comp_targetILNS1_3genE3ELNS1_11target_archE908ELNS1_3gpuE7ELNS1_3repE0EEENS1_30default_config_static_selectorELNS0_4arch9wavefront6targetE0EEEvT1_
	.p2align	8
	.type	_ZN7rocprim17ROCPRIM_400000_NS6detail17trampoline_kernelINS0_14default_configENS1_27scan_by_key_config_selectorIiyEEZZNS1_16scan_by_key_implILNS1_25lookback_scan_determinismE0ELb1ES3_N6thrust23THRUST_200600_302600_NS6detail15normal_iteratorINS9_10device_ptrIiEEEENSB_INSC_IyEEEESG_yNS9_4plusIvEENS9_8equal_toIvEEyEE10hipError_tPvRmT2_T3_T4_T5_mT6_T7_P12ihipStream_tbENKUlT_T0_E_clISt17integral_constantIbLb1EES11_EEDaSW_SX_EUlSW_E_NS1_11comp_targetILNS1_3genE3ELNS1_11target_archE908ELNS1_3gpuE7ELNS1_3repE0EEENS1_30default_config_static_selectorELNS0_4arch9wavefront6targetE0EEEvT1_,@function
_ZN7rocprim17ROCPRIM_400000_NS6detail17trampoline_kernelINS0_14default_configENS1_27scan_by_key_config_selectorIiyEEZZNS1_16scan_by_key_implILNS1_25lookback_scan_determinismE0ELb1ES3_N6thrust23THRUST_200600_302600_NS6detail15normal_iteratorINS9_10device_ptrIiEEEENSB_INSC_IyEEEESG_yNS9_4plusIvEENS9_8equal_toIvEEyEE10hipError_tPvRmT2_T3_T4_T5_mT6_T7_P12ihipStream_tbENKUlT_T0_E_clISt17integral_constantIbLb1EES11_EEDaSW_SX_EUlSW_E_NS1_11comp_targetILNS1_3genE3ELNS1_11target_archE908ELNS1_3gpuE7ELNS1_3repE0EEENS1_30default_config_static_selectorELNS0_4arch9wavefront6targetE0EEEvT1_: ; @_ZN7rocprim17ROCPRIM_400000_NS6detail17trampoline_kernelINS0_14default_configENS1_27scan_by_key_config_selectorIiyEEZZNS1_16scan_by_key_implILNS1_25lookback_scan_determinismE0ELb1ES3_N6thrust23THRUST_200600_302600_NS6detail15normal_iteratorINS9_10device_ptrIiEEEENSB_INSC_IyEEEESG_yNS9_4plusIvEENS9_8equal_toIvEEyEE10hipError_tPvRmT2_T3_T4_T5_mT6_T7_P12ihipStream_tbENKUlT_T0_E_clISt17integral_constantIbLb1EES11_EEDaSW_SX_EUlSW_E_NS1_11comp_targetILNS1_3genE3ELNS1_11target_archE908ELNS1_3gpuE7ELNS1_3repE0EEENS1_30default_config_static_selectorELNS0_4arch9wavefront6targetE0EEEvT1_
; %bb.0:
	.section	.rodata,"a",@progbits
	.p2align	6, 0x0
	.amdhsa_kernel _ZN7rocprim17ROCPRIM_400000_NS6detail17trampoline_kernelINS0_14default_configENS1_27scan_by_key_config_selectorIiyEEZZNS1_16scan_by_key_implILNS1_25lookback_scan_determinismE0ELb1ES3_N6thrust23THRUST_200600_302600_NS6detail15normal_iteratorINS9_10device_ptrIiEEEENSB_INSC_IyEEEESG_yNS9_4plusIvEENS9_8equal_toIvEEyEE10hipError_tPvRmT2_T3_T4_T5_mT6_T7_P12ihipStream_tbENKUlT_T0_E_clISt17integral_constantIbLb1EES11_EEDaSW_SX_EUlSW_E_NS1_11comp_targetILNS1_3genE3ELNS1_11target_archE908ELNS1_3gpuE7ELNS1_3repE0EEENS1_30default_config_static_selectorELNS0_4arch9wavefront6targetE0EEEvT1_
		.amdhsa_group_segment_fixed_size 0
		.amdhsa_private_segment_fixed_size 0
		.amdhsa_kernarg_size 136
		.amdhsa_user_sgpr_count 2
		.amdhsa_user_sgpr_dispatch_ptr 0
		.amdhsa_user_sgpr_queue_ptr 0
		.amdhsa_user_sgpr_kernarg_segment_ptr 1
		.amdhsa_user_sgpr_dispatch_id 0
		.amdhsa_user_sgpr_kernarg_preload_length 0
		.amdhsa_user_sgpr_kernarg_preload_offset 0
		.amdhsa_user_sgpr_private_segment_size 0
		.amdhsa_wavefront_size32 1
		.amdhsa_uses_dynamic_stack 0
		.amdhsa_enable_private_segment 0
		.amdhsa_system_sgpr_workgroup_id_x 1
		.amdhsa_system_sgpr_workgroup_id_y 0
		.amdhsa_system_sgpr_workgroup_id_z 0
		.amdhsa_system_sgpr_workgroup_info 0
		.amdhsa_system_vgpr_workitem_id 0
		.amdhsa_next_free_vgpr 1
		.amdhsa_next_free_sgpr 1
		.amdhsa_named_barrier_count 0
		.amdhsa_reserve_vcc 0
		.amdhsa_float_round_mode_32 0
		.amdhsa_float_round_mode_16_64 0
		.amdhsa_float_denorm_mode_32 3
		.amdhsa_float_denorm_mode_16_64 3
		.amdhsa_fp16_overflow 0
		.amdhsa_memory_ordered 1
		.amdhsa_forward_progress 1
		.amdhsa_inst_pref_size 0
		.amdhsa_round_robin_scheduling 0
		.amdhsa_exception_fp_ieee_invalid_op 0
		.amdhsa_exception_fp_denorm_src 0
		.amdhsa_exception_fp_ieee_div_zero 0
		.amdhsa_exception_fp_ieee_overflow 0
		.amdhsa_exception_fp_ieee_underflow 0
		.amdhsa_exception_fp_ieee_inexact 0
		.amdhsa_exception_int_div_zero 0
	.end_amdhsa_kernel
	.section	.text._ZN7rocprim17ROCPRIM_400000_NS6detail17trampoline_kernelINS0_14default_configENS1_27scan_by_key_config_selectorIiyEEZZNS1_16scan_by_key_implILNS1_25lookback_scan_determinismE0ELb1ES3_N6thrust23THRUST_200600_302600_NS6detail15normal_iteratorINS9_10device_ptrIiEEEENSB_INSC_IyEEEESG_yNS9_4plusIvEENS9_8equal_toIvEEyEE10hipError_tPvRmT2_T3_T4_T5_mT6_T7_P12ihipStream_tbENKUlT_T0_E_clISt17integral_constantIbLb1EES11_EEDaSW_SX_EUlSW_E_NS1_11comp_targetILNS1_3genE3ELNS1_11target_archE908ELNS1_3gpuE7ELNS1_3repE0EEENS1_30default_config_static_selectorELNS0_4arch9wavefront6targetE0EEEvT1_,"axG",@progbits,_ZN7rocprim17ROCPRIM_400000_NS6detail17trampoline_kernelINS0_14default_configENS1_27scan_by_key_config_selectorIiyEEZZNS1_16scan_by_key_implILNS1_25lookback_scan_determinismE0ELb1ES3_N6thrust23THRUST_200600_302600_NS6detail15normal_iteratorINS9_10device_ptrIiEEEENSB_INSC_IyEEEESG_yNS9_4plusIvEENS9_8equal_toIvEEyEE10hipError_tPvRmT2_T3_T4_T5_mT6_T7_P12ihipStream_tbENKUlT_T0_E_clISt17integral_constantIbLb1EES11_EEDaSW_SX_EUlSW_E_NS1_11comp_targetILNS1_3genE3ELNS1_11target_archE908ELNS1_3gpuE7ELNS1_3repE0EEENS1_30default_config_static_selectorELNS0_4arch9wavefront6targetE0EEEvT1_,comdat
.Lfunc_end1476:
	.size	_ZN7rocprim17ROCPRIM_400000_NS6detail17trampoline_kernelINS0_14default_configENS1_27scan_by_key_config_selectorIiyEEZZNS1_16scan_by_key_implILNS1_25lookback_scan_determinismE0ELb1ES3_N6thrust23THRUST_200600_302600_NS6detail15normal_iteratorINS9_10device_ptrIiEEEENSB_INSC_IyEEEESG_yNS9_4plusIvEENS9_8equal_toIvEEyEE10hipError_tPvRmT2_T3_T4_T5_mT6_T7_P12ihipStream_tbENKUlT_T0_E_clISt17integral_constantIbLb1EES11_EEDaSW_SX_EUlSW_E_NS1_11comp_targetILNS1_3genE3ELNS1_11target_archE908ELNS1_3gpuE7ELNS1_3repE0EEENS1_30default_config_static_selectorELNS0_4arch9wavefront6targetE0EEEvT1_, .Lfunc_end1476-_ZN7rocprim17ROCPRIM_400000_NS6detail17trampoline_kernelINS0_14default_configENS1_27scan_by_key_config_selectorIiyEEZZNS1_16scan_by_key_implILNS1_25lookback_scan_determinismE0ELb1ES3_N6thrust23THRUST_200600_302600_NS6detail15normal_iteratorINS9_10device_ptrIiEEEENSB_INSC_IyEEEESG_yNS9_4plusIvEENS9_8equal_toIvEEyEE10hipError_tPvRmT2_T3_T4_T5_mT6_T7_P12ihipStream_tbENKUlT_T0_E_clISt17integral_constantIbLb1EES11_EEDaSW_SX_EUlSW_E_NS1_11comp_targetILNS1_3genE3ELNS1_11target_archE908ELNS1_3gpuE7ELNS1_3repE0EEENS1_30default_config_static_selectorELNS0_4arch9wavefront6targetE0EEEvT1_
                                        ; -- End function
	.set _ZN7rocprim17ROCPRIM_400000_NS6detail17trampoline_kernelINS0_14default_configENS1_27scan_by_key_config_selectorIiyEEZZNS1_16scan_by_key_implILNS1_25lookback_scan_determinismE0ELb1ES3_N6thrust23THRUST_200600_302600_NS6detail15normal_iteratorINS9_10device_ptrIiEEEENSB_INSC_IyEEEESG_yNS9_4plusIvEENS9_8equal_toIvEEyEE10hipError_tPvRmT2_T3_T4_T5_mT6_T7_P12ihipStream_tbENKUlT_T0_E_clISt17integral_constantIbLb1EES11_EEDaSW_SX_EUlSW_E_NS1_11comp_targetILNS1_3genE3ELNS1_11target_archE908ELNS1_3gpuE7ELNS1_3repE0EEENS1_30default_config_static_selectorELNS0_4arch9wavefront6targetE0EEEvT1_.num_vgpr, 0
	.set _ZN7rocprim17ROCPRIM_400000_NS6detail17trampoline_kernelINS0_14default_configENS1_27scan_by_key_config_selectorIiyEEZZNS1_16scan_by_key_implILNS1_25lookback_scan_determinismE0ELb1ES3_N6thrust23THRUST_200600_302600_NS6detail15normal_iteratorINS9_10device_ptrIiEEEENSB_INSC_IyEEEESG_yNS9_4plusIvEENS9_8equal_toIvEEyEE10hipError_tPvRmT2_T3_T4_T5_mT6_T7_P12ihipStream_tbENKUlT_T0_E_clISt17integral_constantIbLb1EES11_EEDaSW_SX_EUlSW_E_NS1_11comp_targetILNS1_3genE3ELNS1_11target_archE908ELNS1_3gpuE7ELNS1_3repE0EEENS1_30default_config_static_selectorELNS0_4arch9wavefront6targetE0EEEvT1_.num_agpr, 0
	.set _ZN7rocprim17ROCPRIM_400000_NS6detail17trampoline_kernelINS0_14default_configENS1_27scan_by_key_config_selectorIiyEEZZNS1_16scan_by_key_implILNS1_25lookback_scan_determinismE0ELb1ES3_N6thrust23THRUST_200600_302600_NS6detail15normal_iteratorINS9_10device_ptrIiEEEENSB_INSC_IyEEEESG_yNS9_4plusIvEENS9_8equal_toIvEEyEE10hipError_tPvRmT2_T3_T4_T5_mT6_T7_P12ihipStream_tbENKUlT_T0_E_clISt17integral_constantIbLb1EES11_EEDaSW_SX_EUlSW_E_NS1_11comp_targetILNS1_3genE3ELNS1_11target_archE908ELNS1_3gpuE7ELNS1_3repE0EEENS1_30default_config_static_selectorELNS0_4arch9wavefront6targetE0EEEvT1_.numbered_sgpr, 0
	.set _ZN7rocprim17ROCPRIM_400000_NS6detail17trampoline_kernelINS0_14default_configENS1_27scan_by_key_config_selectorIiyEEZZNS1_16scan_by_key_implILNS1_25lookback_scan_determinismE0ELb1ES3_N6thrust23THRUST_200600_302600_NS6detail15normal_iteratorINS9_10device_ptrIiEEEENSB_INSC_IyEEEESG_yNS9_4plusIvEENS9_8equal_toIvEEyEE10hipError_tPvRmT2_T3_T4_T5_mT6_T7_P12ihipStream_tbENKUlT_T0_E_clISt17integral_constantIbLb1EES11_EEDaSW_SX_EUlSW_E_NS1_11comp_targetILNS1_3genE3ELNS1_11target_archE908ELNS1_3gpuE7ELNS1_3repE0EEENS1_30default_config_static_selectorELNS0_4arch9wavefront6targetE0EEEvT1_.num_named_barrier, 0
	.set _ZN7rocprim17ROCPRIM_400000_NS6detail17trampoline_kernelINS0_14default_configENS1_27scan_by_key_config_selectorIiyEEZZNS1_16scan_by_key_implILNS1_25lookback_scan_determinismE0ELb1ES3_N6thrust23THRUST_200600_302600_NS6detail15normal_iteratorINS9_10device_ptrIiEEEENSB_INSC_IyEEEESG_yNS9_4plusIvEENS9_8equal_toIvEEyEE10hipError_tPvRmT2_T3_T4_T5_mT6_T7_P12ihipStream_tbENKUlT_T0_E_clISt17integral_constantIbLb1EES11_EEDaSW_SX_EUlSW_E_NS1_11comp_targetILNS1_3genE3ELNS1_11target_archE908ELNS1_3gpuE7ELNS1_3repE0EEENS1_30default_config_static_selectorELNS0_4arch9wavefront6targetE0EEEvT1_.private_seg_size, 0
	.set _ZN7rocprim17ROCPRIM_400000_NS6detail17trampoline_kernelINS0_14default_configENS1_27scan_by_key_config_selectorIiyEEZZNS1_16scan_by_key_implILNS1_25lookback_scan_determinismE0ELb1ES3_N6thrust23THRUST_200600_302600_NS6detail15normal_iteratorINS9_10device_ptrIiEEEENSB_INSC_IyEEEESG_yNS9_4plusIvEENS9_8equal_toIvEEyEE10hipError_tPvRmT2_T3_T4_T5_mT6_T7_P12ihipStream_tbENKUlT_T0_E_clISt17integral_constantIbLb1EES11_EEDaSW_SX_EUlSW_E_NS1_11comp_targetILNS1_3genE3ELNS1_11target_archE908ELNS1_3gpuE7ELNS1_3repE0EEENS1_30default_config_static_selectorELNS0_4arch9wavefront6targetE0EEEvT1_.uses_vcc, 0
	.set _ZN7rocprim17ROCPRIM_400000_NS6detail17trampoline_kernelINS0_14default_configENS1_27scan_by_key_config_selectorIiyEEZZNS1_16scan_by_key_implILNS1_25lookback_scan_determinismE0ELb1ES3_N6thrust23THRUST_200600_302600_NS6detail15normal_iteratorINS9_10device_ptrIiEEEENSB_INSC_IyEEEESG_yNS9_4plusIvEENS9_8equal_toIvEEyEE10hipError_tPvRmT2_T3_T4_T5_mT6_T7_P12ihipStream_tbENKUlT_T0_E_clISt17integral_constantIbLb1EES11_EEDaSW_SX_EUlSW_E_NS1_11comp_targetILNS1_3genE3ELNS1_11target_archE908ELNS1_3gpuE7ELNS1_3repE0EEENS1_30default_config_static_selectorELNS0_4arch9wavefront6targetE0EEEvT1_.uses_flat_scratch, 0
	.set _ZN7rocprim17ROCPRIM_400000_NS6detail17trampoline_kernelINS0_14default_configENS1_27scan_by_key_config_selectorIiyEEZZNS1_16scan_by_key_implILNS1_25lookback_scan_determinismE0ELb1ES3_N6thrust23THRUST_200600_302600_NS6detail15normal_iteratorINS9_10device_ptrIiEEEENSB_INSC_IyEEEESG_yNS9_4plusIvEENS9_8equal_toIvEEyEE10hipError_tPvRmT2_T3_T4_T5_mT6_T7_P12ihipStream_tbENKUlT_T0_E_clISt17integral_constantIbLb1EES11_EEDaSW_SX_EUlSW_E_NS1_11comp_targetILNS1_3genE3ELNS1_11target_archE908ELNS1_3gpuE7ELNS1_3repE0EEENS1_30default_config_static_selectorELNS0_4arch9wavefront6targetE0EEEvT1_.has_dyn_sized_stack, 0
	.set _ZN7rocprim17ROCPRIM_400000_NS6detail17trampoline_kernelINS0_14default_configENS1_27scan_by_key_config_selectorIiyEEZZNS1_16scan_by_key_implILNS1_25lookback_scan_determinismE0ELb1ES3_N6thrust23THRUST_200600_302600_NS6detail15normal_iteratorINS9_10device_ptrIiEEEENSB_INSC_IyEEEESG_yNS9_4plusIvEENS9_8equal_toIvEEyEE10hipError_tPvRmT2_T3_T4_T5_mT6_T7_P12ihipStream_tbENKUlT_T0_E_clISt17integral_constantIbLb1EES11_EEDaSW_SX_EUlSW_E_NS1_11comp_targetILNS1_3genE3ELNS1_11target_archE908ELNS1_3gpuE7ELNS1_3repE0EEENS1_30default_config_static_selectorELNS0_4arch9wavefront6targetE0EEEvT1_.has_recursion, 0
	.set _ZN7rocprim17ROCPRIM_400000_NS6detail17trampoline_kernelINS0_14default_configENS1_27scan_by_key_config_selectorIiyEEZZNS1_16scan_by_key_implILNS1_25lookback_scan_determinismE0ELb1ES3_N6thrust23THRUST_200600_302600_NS6detail15normal_iteratorINS9_10device_ptrIiEEEENSB_INSC_IyEEEESG_yNS9_4plusIvEENS9_8equal_toIvEEyEE10hipError_tPvRmT2_T3_T4_T5_mT6_T7_P12ihipStream_tbENKUlT_T0_E_clISt17integral_constantIbLb1EES11_EEDaSW_SX_EUlSW_E_NS1_11comp_targetILNS1_3genE3ELNS1_11target_archE908ELNS1_3gpuE7ELNS1_3repE0EEENS1_30default_config_static_selectorELNS0_4arch9wavefront6targetE0EEEvT1_.has_indirect_call, 0
	.section	.AMDGPU.csdata,"",@progbits
; Kernel info:
; codeLenInByte = 0
; TotalNumSgprs: 0
; NumVgprs: 0
; ScratchSize: 0
; MemoryBound: 0
; FloatMode: 240
; IeeeMode: 1
; LDSByteSize: 0 bytes/workgroup (compile time only)
; SGPRBlocks: 0
; VGPRBlocks: 0
; NumSGPRsForWavesPerEU: 1
; NumVGPRsForWavesPerEU: 1
; NamedBarCnt: 0
; Occupancy: 16
; WaveLimiterHint : 0
; COMPUTE_PGM_RSRC2:SCRATCH_EN: 0
; COMPUTE_PGM_RSRC2:USER_SGPR: 2
; COMPUTE_PGM_RSRC2:TRAP_HANDLER: 0
; COMPUTE_PGM_RSRC2:TGID_X_EN: 1
; COMPUTE_PGM_RSRC2:TGID_Y_EN: 0
; COMPUTE_PGM_RSRC2:TGID_Z_EN: 0
; COMPUTE_PGM_RSRC2:TIDIG_COMP_CNT: 0
	.section	.text._ZN7rocprim17ROCPRIM_400000_NS6detail17trampoline_kernelINS0_14default_configENS1_27scan_by_key_config_selectorIiyEEZZNS1_16scan_by_key_implILNS1_25lookback_scan_determinismE0ELb1ES3_N6thrust23THRUST_200600_302600_NS6detail15normal_iteratorINS9_10device_ptrIiEEEENSB_INSC_IyEEEESG_yNS9_4plusIvEENS9_8equal_toIvEEyEE10hipError_tPvRmT2_T3_T4_T5_mT6_T7_P12ihipStream_tbENKUlT_T0_E_clISt17integral_constantIbLb1EES11_EEDaSW_SX_EUlSW_E_NS1_11comp_targetILNS1_3genE2ELNS1_11target_archE906ELNS1_3gpuE6ELNS1_3repE0EEENS1_30default_config_static_selectorELNS0_4arch9wavefront6targetE0EEEvT1_,"axG",@progbits,_ZN7rocprim17ROCPRIM_400000_NS6detail17trampoline_kernelINS0_14default_configENS1_27scan_by_key_config_selectorIiyEEZZNS1_16scan_by_key_implILNS1_25lookback_scan_determinismE0ELb1ES3_N6thrust23THRUST_200600_302600_NS6detail15normal_iteratorINS9_10device_ptrIiEEEENSB_INSC_IyEEEESG_yNS9_4plusIvEENS9_8equal_toIvEEyEE10hipError_tPvRmT2_T3_T4_T5_mT6_T7_P12ihipStream_tbENKUlT_T0_E_clISt17integral_constantIbLb1EES11_EEDaSW_SX_EUlSW_E_NS1_11comp_targetILNS1_3genE2ELNS1_11target_archE906ELNS1_3gpuE6ELNS1_3repE0EEENS1_30default_config_static_selectorELNS0_4arch9wavefront6targetE0EEEvT1_,comdat
	.protected	_ZN7rocprim17ROCPRIM_400000_NS6detail17trampoline_kernelINS0_14default_configENS1_27scan_by_key_config_selectorIiyEEZZNS1_16scan_by_key_implILNS1_25lookback_scan_determinismE0ELb1ES3_N6thrust23THRUST_200600_302600_NS6detail15normal_iteratorINS9_10device_ptrIiEEEENSB_INSC_IyEEEESG_yNS9_4plusIvEENS9_8equal_toIvEEyEE10hipError_tPvRmT2_T3_T4_T5_mT6_T7_P12ihipStream_tbENKUlT_T0_E_clISt17integral_constantIbLb1EES11_EEDaSW_SX_EUlSW_E_NS1_11comp_targetILNS1_3genE2ELNS1_11target_archE906ELNS1_3gpuE6ELNS1_3repE0EEENS1_30default_config_static_selectorELNS0_4arch9wavefront6targetE0EEEvT1_ ; -- Begin function _ZN7rocprim17ROCPRIM_400000_NS6detail17trampoline_kernelINS0_14default_configENS1_27scan_by_key_config_selectorIiyEEZZNS1_16scan_by_key_implILNS1_25lookback_scan_determinismE0ELb1ES3_N6thrust23THRUST_200600_302600_NS6detail15normal_iteratorINS9_10device_ptrIiEEEENSB_INSC_IyEEEESG_yNS9_4plusIvEENS9_8equal_toIvEEyEE10hipError_tPvRmT2_T3_T4_T5_mT6_T7_P12ihipStream_tbENKUlT_T0_E_clISt17integral_constantIbLb1EES11_EEDaSW_SX_EUlSW_E_NS1_11comp_targetILNS1_3genE2ELNS1_11target_archE906ELNS1_3gpuE6ELNS1_3repE0EEENS1_30default_config_static_selectorELNS0_4arch9wavefront6targetE0EEEvT1_
	.globl	_ZN7rocprim17ROCPRIM_400000_NS6detail17trampoline_kernelINS0_14default_configENS1_27scan_by_key_config_selectorIiyEEZZNS1_16scan_by_key_implILNS1_25lookback_scan_determinismE0ELb1ES3_N6thrust23THRUST_200600_302600_NS6detail15normal_iteratorINS9_10device_ptrIiEEEENSB_INSC_IyEEEESG_yNS9_4plusIvEENS9_8equal_toIvEEyEE10hipError_tPvRmT2_T3_T4_T5_mT6_T7_P12ihipStream_tbENKUlT_T0_E_clISt17integral_constantIbLb1EES11_EEDaSW_SX_EUlSW_E_NS1_11comp_targetILNS1_3genE2ELNS1_11target_archE906ELNS1_3gpuE6ELNS1_3repE0EEENS1_30default_config_static_selectorELNS0_4arch9wavefront6targetE0EEEvT1_
	.p2align	8
	.type	_ZN7rocprim17ROCPRIM_400000_NS6detail17trampoline_kernelINS0_14default_configENS1_27scan_by_key_config_selectorIiyEEZZNS1_16scan_by_key_implILNS1_25lookback_scan_determinismE0ELb1ES3_N6thrust23THRUST_200600_302600_NS6detail15normal_iteratorINS9_10device_ptrIiEEEENSB_INSC_IyEEEESG_yNS9_4plusIvEENS9_8equal_toIvEEyEE10hipError_tPvRmT2_T3_T4_T5_mT6_T7_P12ihipStream_tbENKUlT_T0_E_clISt17integral_constantIbLb1EES11_EEDaSW_SX_EUlSW_E_NS1_11comp_targetILNS1_3genE2ELNS1_11target_archE906ELNS1_3gpuE6ELNS1_3repE0EEENS1_30default_config_static_selectorELNS0_4arch9wavefront6targetE0EEEvT1_,@function
_ZN7rocprim17ROCPRIM_400000_NS6detail17trampoline_kernelINS0_14default_configENS1_27scan_by_key_config_selectorIiyEEZZNS1_16scan_by_key_implILNS1_25lookback_scan_determinismE0ELb1ES3_N6thrust23THRUST_200600_302600_NS6detail15normal_iteratorINS9_10device_ptrIiEEEENSB_INSC_IyEEEESG_yNS9_4plusIvEENS9_8equal_toIvEEyEE10hipError_tPvRmT2_T3_T4_T5_mT6_T7_P12ihipStream_tbENKUlT_T0_E_clISt17integral_constantIbLb1EES11_EEDaSW_SX_EUlSW_E_NS1_11comp_targetILNS1_3genE2ELNS1_11target_archE906ELNS1_3gpuE6ELNS1_3repE0EEENS1_30default_config_static_selectorELNS0_4arch9wavefront6targetE0EEEvT1_: ; @_ZN7rocprim17ROCPRIM_400000_NS6detail17trampoline_kernelINS0_14default_configENS1_27scan_by_key_config_selectorIiyEEZZNS1_16scan_by_key_implILNS1_25lookback_scan_determinismE0ELb1ES3_N6thrust23THRUST_200600_302600_NS6detail15normal_iteratorINS9_10device_ptrIiEEEENSB_INSC_IyEEEESG_yNS9_4plusIvEENS9_8equal_toIvEEyEE10hipError_tPvRmT2_T3_T4_T5_mT6_T7_P12ihipStream_tbENKUlT_T0_E_clISt17integral_constantIbLb1EES11_EEDaSW_SX_EUlSW_E_NS1_11comp_targetILNS1_3genE2ELNS1_11target_archE906ELNS1_3gpuE6ELNS1_3repE0EEENS1_30default_config_static_selectorELNS0_4arch9wavefront6targetE0EEEvT1_
; %bb.0:
	.section	.rodata,"a",@progbits
	.p2align	6, 0x0
	.amdhsa_kernel _ZN7rocprim17ROCPRIM_400000_NS6detail17trampoline_kernelINS0_14default_configENS1_27scan_by_key_config_selectorIiyEEZZNS1_16scan_by_key_implILNS1_25lookback_scan_determinismE0ELb1ES3_N6thrust23THRUST_200600_302600_NS6detail15normal_iteratorINS9_10device_ptrIiEEEENSB_INSC_IyEEEESG_yNS9_4plusIvEENS9_8equal_toIvEEyEE10hipError_tPvRmT2_T3_T4_T5_mT6_T7_P12ihipStream_tbENKUlT_T0_E_clISt17integral_constantIbLb1EES11_EEDaSW_SX_EUlSW_E_NS1_11comp_targetILNS1_3genE2ELNS1_11target_archE906ELNS1_3gpuE6ELNS1_3repE0EEENS1_30default_config_static_selectorELNS0_4arch9wavefront6targetE0EEEvT1_
		.amdhsa_group_segment_fixed_size 0
		.amdhsa_private_segment_fixed_size 0
		.amdhsa_kernarg_size 136
		.amdhsa_user_sgpr_count 2
		.amdhsa_user_sgpr_dispatch_ptr 0
		.amdhsa_user_sgpr_queue_ptr 0
		.amdhsa_user_sgpr_kernarg_segment_ptr 1
		.amdhsa_user_sgpr_dispatch_id 0
		.amdhsa_user_sgpr_kernarg_preload_length 0
		.amdhsa_user_sgpr_kernarg_preload_offset 0
		.amdhsa_user_sgpr_private_segment_size 0
		.amdhsa_wavefront_size32 1
		.amdhsa_uses_dynamic_stack 0
		.amdhsa_enable_private_segment 0
		.amdhsa_system_sgpr_workgroup_id_x 1
		.amdhsa_system_sgpr_workgroup_id_y 0
		.amdhsa_system_sgpr_workgroup_id_z 0
		.amdhsa_system_sgpr_workgroup_info 0
		.amdhsa_system_vgpr_workitem_id 0
		.amdhsa_next_free_vgpr 1
		.amdhsa_next_free_sgpr 1
		.amdhsa_named_barrier_count 0
		.amdhsa_reserve_vcc 0
		.amdhsa_float_round_mode_32 0
		.amdhsa_float_round_mode_16_64 0
		.amdhsa_float_denorm_mode_32 3
		.amdhsa_float_denorm_mode_16_64 3
		.amdhsa_fp16_overflow 0
		.amdhsa_memory_ordered 1
		.amdhsa_forward_progress 1
		.amdhsa_inst_pref_size 0
		.amdhsa_round_robin_scheduling 0
		.amdhsa_exception_fp_ieee_invalid_op 0
		.amdhsa_exception_fp_denorm_src 0
		.amdhsa_exception_fp_ieee_div_zero 0
		.amdhsa_exception_fp_ieee_overflow 0
		.amdhsa_exception_fp_ieee_underflow 0
		.amdhsa_exception_fp_ieee_inexact 0
		.amdhsa_exception_int_div_zero 0
	.end_amdhsa_kernel
	.section	.text._ZN7rocprim17ROCPRIM_400000_NS6detail17trampoline_kernelINS0_14default_configENS1_27scan_by_key_config_selectorIiyEEZZNS1_16scan_by_key_implILNS1_25lookback_scan_determinismE0ELb1ES3_N6thrust23THRUST_200600_302600_NS6detail15normal_iteratorINS9_10device_ptrIiEEEENSB_INSC_IyEEEESG_yNS9_4plusIvEENS9_8equal_toIvEEyEE10hipError_tPvRmT2_T3_T4_T5_mT6_T7_P12ihipStream_tbENKUlT_T0_E_clISt17integral_constantIbLb1EES11_EEDaSW_SX_EUlSW_E_NS1_11comp_targetILNS1_3genE2ELNS1_11target_archE906ELNS1_3gpuE6ELNS1_3repE0EEENS1_30default_config_static_selectorELNS0_4arch9wavefront6targetE0EEEvT1_,"axG",@progbits,_ZN7rocprim17ROCPRIM_400000_NS6detail17trampoline_kernelINS0_14default_configENS1_27scan_by_key_config_selectorIiyEEZZNS1_16scan_by_key_implILNS1_25lookback_scan_determinismE0ELb1ES3_N6thrust23THRUST_200600_302600_NS6detail15normal_iteratorINS9_10device_ptrIiEEEENSB_INSC_IyEEEESG_yNS9_4plusIvEENS9_8equal_toIvEEyEE10hipError_tPvRmT2_T3_T4_T5_mT6_T7_P12ihipStream_tbENKUlT_T0_E_clISt17integral_constantIbLb1EES11_EEDaSW_SX_EUlSW_E_NS1_11comp_targetILNS1_3genE2ELNS1_11target_archE906ELNS1_3gpuE6ELNS1_3repE0EEENS1_30default_config_static_selectorELNS0_4arch9wavefront6targetE0EEEvT1_,comdat
.Lfunc_end1477:
	.size	_ZN7rocprim17ROCPRIM_400000_NS6detail17trampoline_kernelINS0_14default_configENS1_27scan_by_key_config_selectorIiyEEZZNS1_16scan_by_key_implILNS1_25lookback_scan_determinismE0ELb1ES3_N6thrust23THRUST_200600_302600_NS6detail15normal_iteratorINS9_10device_ptrIiEEEENSB_INSC_IyEEEESG_yNS9_4plusIvEENS9_8equal_toIvEEyEE10hipError_tPvRmT2_T3_T4_T5_mT6_T7_P12ihipStream_tbENKUlT_T0_E_clISt17integral_constantIbLb1EES11_EEDaSW_SX_EUlSW_E_NS1_11comp_targetILNS1_3genE2ELNS1_11target_archE906ELNS1_3gpuE6ELNS1_3repE0EEENS1_30default_config_static_selectorELNS0_4arch9wavefront6targetE0EEEvT1_, .Lfunc_end1477-_ZN7rocprim17ROCPRIM_400000_NS6detail17trampoline_kernelINS0_14default_configENS1_27scan_by_key_config_selectorIiyEEZZNS1_16scan_by_key_implILNS1_25lookback_scan_determinismE0ELb1ES3_N6thrust23THRUST_200600_302600_NS6detail15normal_iteratorINS9_10device_ptrIiEEEENSB_INSC_IyEEEESG_yNS9_4plusIvEENS9_8equal_toIvEEyEE10hipError_tPvRmT2_T3_T4_T5_mT6_T7_P12ihipStream_tbENKUlT_T0_E_clISt17integral_constantIbLb1EES11_EEDaSW_SX_EUlSW_E_NS1_11comp_targetILNS1_3genE2ELNS1_11target_archE906ELNS1_3gpuE6ELNS1_3repE0EEENS1_30default_config_static_selectorELNS0_4arch9wavefront6targetE0EEEvT1_
                                        ; -- End function
	.set _ZN7rocprim17ROCPRIM_400000_NS6detail17trampoline_kernelINS0_14default_configENS1_27scan_by_key_config_selectorIiyEEZZNS1_16scan_by_key_implILNS1_25lookback_scan_determinismE0ELb1ES3_N6thrust23THRUST_200600_302600_NS6detail15normal_iteratorINS9_10device_ptrIiEEEENSB_INSC_IyEEEESG_yNS9_4plusIvEENS9_8equal_toIvEEyEE10hipError_tPvRmT2_T3_T4_T5_mT6_T7_P12ihipStream_tbENKUlT_T0_E_clISt17integral_constantIbLb1EES11_EEDaSW_SX_EUlSW_E_NS1_11comp_targetILNS1_3genE2ELNS1_11target_archE906ELNS1_3gpuE6ELNS1_3repE0EEENS1_30default_config_static_selectorELNS0_4arch9wavefront6targetE0EEEvT1_.num_vgpr, 0
	.set _ZN7rocprim17ROCPRIM_400000_NS6detail17trampoline_kernelINS0_14default_configENS1_27scan_by_key_config_selectorIiyEEZZNS1_16scan_by_key_implILNS1_25lookback_scan_determinismE0ELb1ES3_N6thrust23THRUST_200600_302600_NS6detail15normal_iteratorINS9_10device_ptrIiEEEENSB_INSC_IyEEEESG_yNS9_4plusIvEENS9_8equal_toIvEEyEE10hipError_tPvRmT2_T3_T4_T5_mT6_T7_P12ihipStream_tbENKUlT_T0_E_clISt17integral_constantIbLb1EES11_EEDaSW_SX_EUlSW_E_NS1_11comp_targetILNS1_3genE2ELNS1_11target_archE906ELNS1_3gpuE6ELNS1_3repE0EEENS1_30default_config_static_selectorELNS0_4arch9wavefront6targetE0EEEvT1_.num_agpr, 0
	.set _ZN7rocprim17ROCPRIM_400000_NS6detail17trampoline_kernelINS0_14default_configENS1_27scan_by_key_config_selectorIiyEEZZNS1_16scan_by_key_implILNS1_25lookback_scan_determinismE0ELb1ES3_N6thrust23THRUST_200600_302600_NS6detail15normal_iteratorINS9_10device_ptrIiEEEENSB_INSC_IyEEEESG_yNS9_4plusIvEENS9_8equal_toIvEEyEE10hipError_tPvRmT2_T3_T4_T5_mT6_T7_P12ihipStream_tbENKUlT_T0_E_clISt17integral_constantIbLb1EES11_EEDaSW_SX_EUlSW_E_NS1_11comp_targetILNS1_3genE2ELNS1_11target_archE906ELNS1_3gpuE6ELNS1_3repE0EEENS1_30default_config_static_selectorELNS0_4arch9wavefront6targetE0EEEvT1_.numbered_sgpr, 0
	.set _ZN7rocprim17ROCPRIM_400000_NS6detail17trampoline_kernelINS0_14default_configENS1_27scan_by_key_config_selectorIiyEEZZNS1_16scan_by_key_implILNS1_25lookback_scan_determinismE0ELb1ES3_N6thrust23THRUST_200600_302600_NS6detail15normal_iteratorINS9_10device_ptrIiEEEENSB_INSC_IyEEEESG_yNS9_4plusIvEENS9_8equal_toIvEEyEE10hipError_tPvRmT2_T3_T4_T5_mT6_T7_P12ihipStream_tbENKUlT_T0_E_clISt17integral_constantIbLb1EES11_EEDaSW_SX_EUlSW_E_NS1_11comp_targetILNS1_3genE2ELNS1_11target_archE906ELNS1_3gpuE6ELNS1_3repE0EEENS1_30default_config_static_selectorELNS0_4arch9wavefront6targetE0EEEvT1_.num_named_barrier, 0
	.set _ZN7rocprim17ROCPRIM_400000_NS6detail17trampoline_kernelINS0_14default_configENS1_27scan_by_key_config_selectorIiyEEZZNS1_16scan_by_key_implILNS1_25lookback_scan_determinismE0ELb1ES3_N6thrust23THRUST_200600_302600_NS6detail15normal_iteratorINS9_10device_ptrIiEEEENSB_INSC_IyEEEESG_yNS9_4plusIvEENS9_8equal_toIvEEyEE10hipError_tPvRmT2_T3_T4_T5_mT6_T7_P12ihipStream_tbENKUlT_T0_E_clISt17integral_constantIbLb1EES11_EEDaSW_SX_EUlSW_E_NS1_11comp_targetILNS1_3genE2ELNS1_11target_archE906ELNS1_3gpuE6ELNS1_3repE0EEENS1_30default_config_static_selectorELNS0_4arch9wavefront6targetE0EEEvT1_.private_seg_size, 0
	.set _ZN7rocprim17ROCPRIM_400000_NS6detail17trampoline_kernelINS0_14default_configENS1_27scan_by_key_config_selectorIiyEEZZNS1_16scan_by_key_implILNS1_25lookback_scan_determinismE0ELb1ES3_N6thrust23THRUST_200600_302600_NS6detail15normal_iteratorINS9_10device_ptrIiEEEENSB_INSC_IyEEEESG_yNS9_4plusIvEENS9_8equal_toIvEEyEE10hipError_tPvRmT2_T3_T4_T5_mT6_T7_P12ihipStream_tbENKUlT_T0_E_clISt17integral_constantIbLb1EES11_EEDaSW_SX_EUlSW_E_NS1_11comp_targetILNS1_3genE2ELNS1_11target_archE906ELNS1_3gpuE6ELNS1_3repE0EEENS1_30default_config_static_selectorELNS0_4arch9wavefront6targetE0EEEvT1_.uses_vcc, 0
	.set _ZN7rocprim17ROCPRIM_400000_NS6detail17trampoline_kernelINS0_14default_configENS1_27scan_by_key_config_selectorIiyEEZZNS1_16scan_by_key_implILNS1_25lookback_scan_determinismE0ELb1ES3_N6thrust23THRUST_200600_302600_NS6detail15normal_iteratorINS9_10device_ptrIiEEEENSB_INSC_IyEEEESG_yNS9_4plusIvEENS9_8equal_toIvEEyEE10hipError_tPvRmT2_T3_T4_T5_mT6_T7_P12ihipStream_tbENKUlT_T0_E_clISt17integral_constantIbLb1EES11_EEDaSW_SX_EUlSW_E_NS1_11comp_targetILNS1_3genE2ELNS1_11target_archE906ELNS1_3gpuE6ELNS1_3repE0EEENS1_30default_config_static_selectorELNS0_4arch9wavefront6targetE0EEEvT1_.uses_flat_scratch, 0
	.set _ZN7rocprim17ROCPRIM_400000_NS6detail17trampoline_kernelINS0_14default_configENS1_27scan_by_key_config_selectorIiyEEZZNS1_16scan_by_key_implILNS1_25lookback_scan_determinismE0ELb1ES3_N6thrust23THRUST_200600_302600_NS6detail15normal_iteratorINS9_10device_ptrIiEEEENSB_INSC_IyEEEESG_yNS9_4plusIvEENS9_8equal_toIvEEyEE10hipError_tPvRmT2_T3_T4_T5_mT6_T7_P12ihipStream_tbENKUlT_T0_E_clISt17integral_constantIbLb1EES11_EEDaSW_SX_EUlSW_E_NS1_11comp_targetILNS1_3genE2ELNS1_11target_archE906ELNS1_3gpuE6ELNS1_3repE0EEENS1_30default_config_static_selectorELNS0_4arch9wavefront6targetE0EEEvT1_.has_dyn_sized_stack, 0
	.set _ZN7rocprim17ROCPRIM_400000_NS6detail17trampoline_kernelINS0_14default_configENS1_27scan_by_key_config_selectorIiyEEZZNS1_16scan_by_key_implILNS1_25lookback_scan_determinismE0ELb1ES3_N6thrust23THRUST_200600_302600_NS6detail15normal_iteratorINS9_10device_ptrIiEEEENSB_INSC_IyEEEESG_yNS9_4plusIvEENS9_8equal_toIvEEyEE10hipError_tPvRmT2_T3_T4_T5_mT6_T7_P12ihipStream_tbENKUlT_T0_E_clISt17integral_constantIbLb1EES11_EEDaSW_SX_EUlSW_E_NS1_11comp_targetILNS1_3genE2ELNS1_11target_archE906ELNS1_3gpuE6ELNS1_3repE0EEENS1_30default_config_static_selectorELNS0_4arch9wavefront6targetE0EEEvT1_.has_recursion, 0
	.set _ZN7rocprim17ROCPRIM_400000_NS6detail17trampoline_kernelINS0_14default_configENS1_27scan_by_key_config_selectorIiyEEZZNS1_16scan_by_key_implILNS1_25lookback_scan_determinismE0ELb1ES3_N6thrust23THRUST_200600_302600_NS6detail15normal_iteratorINS9_10device_ptrIiEEEENSB_INSC_IyEEEESG_yNS9_4plusIvEENS9_8equal_toIvEEyEE10hipError_tPvRmT2_T3_T4_T5_mT6_T7_P12ihipStream_tbENKUlT_T0_E_clISt17integral_constantIbLb1EES11_EEDaSW_SX_EUlSW_E_NS1_11comp_targetILNS1_3genE2ELNS1_11target_archE906ELNS1_3gpuE6ELNS1_3repE0EEENS1_30default_config_static_selectorELNS0_4arch9wavefront6targetE0EEEvT1_.has_indirect_call, 0
	.section	.AMDGPU.csdata,"",@progbits
; Kernel info:
; codeLenInByte = 0
; TotalNumSgprs: 0
; NumVgprs: 0
; ScratchSize: 0
; MemoryBound: 0
; FloatMode: 240
; IeeeMode: 1
; LDSByteSize: 0 bytes/workgroup (compile time only)
; SGPRBlocks: 0
; VGPRBlocks: 0
; NumSGPRsForWavesPerEU: 1
; NumVGPRsForWavesPerEU: 1
; NamedBarCnt: 0
; Occupancy: 16
; WaveLimiterHint : 0
; COMPUTE_PGM_RSRC2:SCRATCH_EN: 0
; COMPUTE_PGM_RSRC2:USER_SGPR: 2
; COMPUTE_PGM_RSRC2:TRAP_HANDLER: 0
; COMPUTE_PGM_RSRC2:TGID_X_EN: 1
; COMPUTE_PGM_RSRC2:TGID_Y_EN: 0
; COMPUTE_PGM_RSRC2:TGID_Z_EN: 0
; COMPUTE_PGM_RSRC2:TIDIG_COMP_CNT: 0
	.section	.text._ZN7rocprim17ROCPRIM_400000_NS6detail17trampoline_kernelINS0_14default_configENS1_27scan_by_key_config_selectorIiyEEZZNS1_16scan_by_key_implILNS1_25lookback_scan_determinismE0ELb1ES3_N6thrust23THRUST_200600_302600_NS6detail15normal_iteratorINS9_10device_ptrIiEEEENSB_INSC_IyEEEESG_yNS9_4plusIvEENS9_8equal_toIvEEyEE10hipError_tPvRmT2_T3_T4_T5_mT6_T7_P12ihipStream_tbENKUlT_T0_E_clISt17integral_constantIbLb1EES11_EEDaSW_SX_EUlSW_E_NS1_11comp_targetILNS1_3genE10ELNS1_11target_archE1200ELNS1_3gpuE4ELNS1_3repE0EEENS1_30default_config_static_selectorELNS0_4arch9wavefront6targetE0EEEvT1_,"axG",@progbits,_ZN7rocprim17ROCPRIM_400000_NS6detail17trampoline_kernelINS0_14default_configENS1_27scan_by_key_config_selectorIiyEEZZNS1_16scan_by_key_implILNS1_25lookback_scan_determinismE0ELb1ES3_N6thrust23THRUST_200600_302600_NS6detail15normal_iteratorINS9_10device_ptrIiEEEENSB_INSC_IyEEEESG_yNS9_4plusIvEENS9_8equal_toIvEEyEE10hipError_tPvRmT2_T3_T4_T5_mT6_T7_P12ihipStream_tbENKUlT_T0_E_clISt17integral_constantIbLb1EES11_EEDaSW_SX_EUlSW_E_NS1_11comp_targetILNS1_3genE10ELNS1_11target_archE1200ELNS1_3gpuE4ELNS1_3repE0EEENS1_30default_config_static_selectorELNS0_4arch9wavefront6targetE0EEEvT1_,comdat
	.protected	_ZN7rocprim17ROCPRIM_400000_NS6detail17trampoline_kernelINS0_14default_configENS1_27scan_by_key_config_selectorIiyEEZZNS1_16scan_by_key_implILNS1_25lookback_scan_determinismE0ELb1ES3_N6thrust23THRUST_200600_302600_NS6detail15normal_iteratorINS9_10device_ptrIiEEEENSB_INSC_IyEEEESG_yNS9_4plusIvEENS9_8equal_toIvEEyEE10hipError_tPvRmT2_T3_T4_T5_mT6_T7_P12ihipStream_tbENKUlT_T0_E_clISt17integral_constantIbLb1EES11_EEDaSW_SX_EUlSW_E_NS1_11comp_targetILNS1_3genE10ELNS1_11target_archE1200ELNS1_3gpuE4ELNS1_3repE0EEENS1_30default_config_static_selectorELNS0_4arch9wavefront6targetE0EEEvT1_ ; -- Begin function _ZN7rocprim17ROCPRIM_400000_NS6detail17trampoline_kernelINS0_14default_configENS1_27scan_by_key_config_selectorIiyEEZZNS1_16scan_by_key_implILNS1_25lookback_scan_determinismE0ELb1ES3_N6thrust23THRUST_200600_302600_NS6detail15normal_iteratorINS9_10device_ptrIiEEEENSB_INSC_IyEEEESG_yNS9_4plusIvEENS9_8equal_toIvEEyEE10hipError_tPvRmT2_T3_T4_T5_mT6_T7_P12ihipStream_tbENKUlT_T0_E_clISt17integral_constantIbLb1EES11_EEDaSW_SX_EUlSW_E_NS1_11comp_targetILNS1_3genE10ELNS1_11target_archE1200ELNS1_3gpuE4ELNS1_3repE0EEENS1_30default_config_static_selectorELNS0_4arch9wavefront6targetE0EEEvT1_
	.globl	_ZN7rocprim17ROCPRIM_400000_NS6detail17trampoline_kernelINS0_14default_configENS1_27scan_by_key_config_selectorIiyEEZZNS1_16scan_by_key_implILNS1_25lookback_scan_determinismE0ELb1ES3_N6thrust23THRUST_200600_302600_NS6detail15normal_iteratorINS9_10device_ptrIiEEEENSB_INSC_IyEEEESG_yNS9_4plusIvEENS9_8equal_toIvEEyEE10hipError_tPvRmT2_T3_T4_T5_mT6_T7_P12ihipStream_tbENKUlT_T0_E_clISt17integral_constantIbLb1EES11_EEDaSW_SX_EUlSW_E_NS1_11comp_targetILNS1_3genE10ELNS1_11target_archE1200ELNS1_3gpuE4ELNS1_3repE0EEENS1_30default_config_static_selectorELNS0_4arch9wavefront6targetE0EEEvT1_
	.p2align	8
	.type	_ZN7rocprim17ROCPRIM_400000_NS6detail17trampoline_kernelINS0_14default_configENS1_27scan_by_key_config_selectorIiyEEZZNS1_16scan_by_key_implILNS1_25lookback_scan_determinismE0ELb1ES3_N6thrust23THRUST_200600_302600_NS6detail15normal_iteratorINS9_10device_ptrIiEEEENSB_INSC_IyEEEESG_yNS9_4plusIvEENS9_8equal_toIvEEyEE10hipError_tPvRmT2_T3_T4_T5_mT6_T7_P12ihipStream_tbENKUlT_T0_E_clISt17integral_constantIbLb1EES11_EEDaSW_SX_EUlSW_E_NS1_11comp_targetILNS1_3genE10ELNS1_11target_archE1200ELNS1_3gpuE4ELNS1_3repE0EEENS1_30default_config_static_selectorELNS0_4arch9wavefront6targetE0EEEvT1_,@function
_ZN7rocprim17ROCPRIM_400000_NS6detail17trampoline_kernelINS0_14default_configENS1_27scan_by_key_config_selectorIiyEEZZNS1_16scan_by_key_implILNS1_25lookback_scan_determinismE0ELb1ES3_N6thrust23THRUST_200600_302600_NS6detail15normal_iteratorINS9_10device_ptrIiEEEENSB_INSC_IyEEEESG_yNS9_4plusIvEENS9_8equal_toIvEEyEE10hipError_tPvRmT2_T3_T4_T5_mT6_T7_P12ihipStream_tbENKUlT_T0_E_clISt17integral_constantIbLb1EES11_EEDaSW_SX_EUlSW_E_NS1_11comp_targetILNS1_3genE10ELNS1_11target_archE1200ELNS1_3gpuE4ELNS1_3repE0EEENS1_30default_config_static_selectorELNS0_4arch9wavefront6targetE0EEEvT1_: ; @_ZN7rocprim17ROCPRIM_400000_NS6detail17trampoline_kernelINS0_14default_configENS1_27scan_by_key_config_selectorIiyEEZZNS1_16scan_by_key_implILNS1_25lookback_scan_determinismE0ELb1ES3_N6thrust23THRUST_200600_302600_NS6detail15normal_iteratorINS9_10device_ptrIiEEEENSB_INSC_IyEEEESG_yNS9_4plusIvEENS9_8equal_toIvEEyEE10hipError_tPvRmT2_T3_T4_T5_mT6_T7_P12ihipStream_tbENKUlT_T0_E_clISt17integral_constantIbLb1EES11_EEDaSW_SX_EUlSW_E_NS1_11comp_targetILNS1_3genE10ELNS1_11target_archE1200ELNS1_3gpuE4ELNS1_3repE0EEENS1_30default_config_static_selectorELNS0_4arch9wavefront6targetE0EEEvT1_
; %bb.0:
	.section	.rodata,"a",@progbits
	.p2align	6, 0x0
	.amdhsa_kernel _ZN7rocprim17ROCPRIM_400000_NS6detail17trampoline_kernelINS0_14default_configENS1_27scan_by_key_config_selectorIiyEEZZNS1_16scan_by_key_implILNS1_25lookback_scan_determinismE0ELb1ES3_N6thrust23THRUST_200600_302600_NS6detail15normal_iteratorINS9_10device_ptrIiEEEENSB_INSC_IyEEEESG_yNS9_4plusIvEENS9_8equal_toIvEEyEE10hipError_tPvRmT2_T3_T4_T5_mT6_T7_P12ihipStream_tbENKUlT_T0_E_clISt17integral_constantIbLb1EES11_EEDaSW_SX_EUlSW_E_NS1_11comp_targetILNS1_3genE10ELNS1_11target_archE1200ELNS1_3gpuE4ELNS1_3repE0EEENS1_30default_config_static_selectorELNS0_4arch9wavefront6targetE0EEEvT1_
		.amdhsa_group_segment_fixed_size 0
		.amdhsa_private_segment_fixed_size 0
		.amdhsa_kernarg_size 136
		.amdhsa_user_sgpr_count 2
		.amdhsa_user_sgpr_dispatch_ptr 0
		.amdhsa_user_sgpr_queue_ptr 0
		.amdhsa_user_sgpr_kernarg_segment_ptr 1
		.amdhsa_user_sgpr_dispatch_id 0
		.amdhsa_user_sgpr_kernarg_preload_length 0
		.amdhsa_user_sgpr_kernarg_preload_offset 0
		.amdhsa_user_sgpr_private_segment_size 0
		.amdhsa_wavefront_size32 1
		.amdhsa_uses_dynamic_stack 0
		.amdhsa_enable_private_segment 0
		.amdhsa_system_sgpr_workgroup_id_x 1
		.amdhsa_system_sgpr_workgroup_id_y 0
		.amdhsa_system_sgpr_workgroup_id_z 0
		.amdhsa_system_sgpr_workgroup_info 0
		.amdhsa_system_vgpr_workitem_id 0
		.amdhsa_next_free_vgpr 1
		.amdhsa_next_free_sgpr 1
		.amdhsa_named_barrier_count 0
		.amdhsa_reserve_vcc 0
		.amdhsa_float_round_mode_32 0
		.amdhsa_float_round_mode_16_64 0
		.amdhsa_float_denorm_mode_32 3
		.amdhsa_float_denorm_mode_16_64 3
		.amdhsa_fp16_overflow 0
		.amdhsa_memory_ordered 1
		.amdhsa_forward_progress 1
		.amdhsa_inst_pref_size 0
		.amdhsa_round_robin_scheduling 0
		.amdhsa_exception_fp_ieee_invalid_op 0
		.amdhsa_exception_fp_denorm_src 0
		.amdhsa_exception_fp_ieee_div_zero 0
		.amdhsa_exception_fp_ieee_overflow 0
		.amdhsa_exception_fp_ieee_underflow 0
		.amdhsa_exception_fp_ieee_inexact 0
		.amdhsa_exception_int_div_zero 0
	.end_amdhsa_kernel
	.section	.text._ZN7rocprim17ROCPRIM_400000_NS6detail17trampoline_kernelINS0_14default_configENS1_27scan_by_key_config_selectorIiyEEZZNS1_16scan_by_key_implILNS1_25lookback_scan_determinismE0ELb1ES3_N6thrust23THRUST_200600_302600_NS6detail15normal_iteratorINS9_10device_ptrIiEEEENSB_INSC_IyEEEESG_yNS9_4plusIvEENS9_8equal_toIvEEyEE10hipError_tPvRmT2_T3_T4_T5_mT6_T7_P12ihipStream_tbENKUlT_T0_E_clISt17integral_constantIbLb1EES11_EEDaSW_SX_EUlSW_E_NS1_11comp_targetILNS1_3genE10ELNS1_11target_archE1200ELNS1_3gpuE4ELNS1_3repE0EEENS1_30default_config_static_selectorELNS0_4arch9wavefront6targetE0EEEvT1_,"axG",@progbits,_ZN7rocprim17ROCPRIM_400000_NS6detail17trampoline_kernelINS0_14default_configENS1_27scan_by_key_config_selectorIiyEEZZNS1_16scan_by_key_implILNS1_25lookback_scan_determinismE0ELb1ES3_N6thrust23THRUST_200600_302600_NS6detail15normal_iteratorINS9_10device_ptrIiEEEENSB_INSC_IyEEEESG_yNS9_4plusIvEENS9_8equal_toIvEEyEE10hipError_tPvRmT2_T3_T4_T5_mT6_T7_P12ihipStream_tbENKUlT_T0_E_clISt17integral_constantIbLb1EES11_EEDaSW_SX_EUlSW_E_NS1_11comp_targetILNS1_3genE10ELNS1_11target_archE1200ELNS1_3gpuE4ELNS1_3repE0EEENS1_30default_config_static_selectorELNS0_4arch9wavefront6targetE0EEEvT1_,comdat
.Lfunc_end1478:
	.size	_ZN7rocprim17ROCPRIM_400000_NS6detail17trampoline_kernelINS0_14default_configENS1_27scan_by_key_config_selectorIiyEEZZNS1_16scan_by_key_implILNS1_25lookback_scan_determinismE0ELb1ES3_N6thrust23THRUST_200600_302600_NS6detail15normal_iteratorINS9_10device_ptrIiEEEENSB_INSC_IyEEEESG_yNS9_4plusIvEENS9_8equal_toIvEEyEE10hipError_tPvRmT2_T3_T4_T5_mT6_T7_P12ihipStream_tbENKUlT_T0_E_clISt17integral_constantIbLb1EES11_EEDaSW_SX_EUlSW_E_NS1_11comp_targetILNS1_3genE10ELNS1_11target_archE1200ELNS1_3gpuE4ELNS1_3repE0EEENS1_30default_config_static_selectorELNS0_4arch9wavefront6targetE0EEEvT1_, .Lfunc_end1478-_ZN7rocprim17ROCPRIM_400000_NS6detail17trampoline_kernelINS0_14default_configENS1_27scan_by_key_config_selectorIiyEEZZNS1_16scan_by_key_implILNS1_25lookback_scan_determinismE0ELb1ES3_N6thrust23THRUST_200600_302600_NS6detail15normal_iteratorINS9_10device_ptrIiEEEENSB_INSC_IyEEEESG_yNS9_4plusIvEENS9_8equal_toIvEEyEE10hipError_tPvRmT2_T3_T4_T5_mT6_T7_P12ihipStream_tbENKUlT_T0_E_clISt17integral_constantIbLb1EES11_EEDaSW_SX_EUlSW_E_NS1_11comp_targetILNS1_3genE10ELNS1_11target_archE1200ELNS1_3gpuE4ELNS1_3repE0EEENS1_30default_config_static_selectorELNS0_4arch9wavefront6targetE0EEEvT1_
                                        ; -- End function
	.set _ZN7rocprim17ROCPRIM_400000_NS6detail17trampoline_kernelINS0_14default_configENS1_27scan_by_key_config_selectorIiyEEZZNS1_16scan_by_key_implILNS1_25lookback_scan_determinismE0ELb1ES3_N6thrust23THRUST_200600_302600_NS6detail15normal_iteratorINS9_10device_ptrIiEEEENSB_INSC_IyEEEESG_yNS9_4plusIvEENS9_8equal_toIvEEyEE10hipError_tPvRmT2_T3_T4_T5_mT6_T7_P12ihipStream_tbENKUlT_T0_E_clISt17integral_constantIbLb1EES11_EEDaSW_SX_EUlSW_E_NS1_11comp_targetILNS1_3genE10ELNS1_11target_archE1200ELNS1_3gpuE4ELNS1_3repE0EEENS1_30default_config_static_selectorELNS0_4arch9wavefront6targetE0EEEvT1_.num_vgpr, 0
	.set _ZN7rocprim17ROCPRIM_400000_NS6detail17trampoline_kernelINS0_14default_configENS1_27scan_by_key_config_selectorIiyEEZZNS1_16scan_by_key_implILNS1_25lookback_scan_determinismE0ELb1ES3_N6thrust23THRUST_200600_302600_NS6detail15normal_iteratorINS9_10device_ptrIiEEEENSB_INSC_IyEEEESG_yNS9_4plusIvEENS9_8equal_toIvEEyEE10hipError_tPvRmT2_T3_T4_T5_mT6_T7_P12ihipStream_tbENKUlT_T0_E_clISt17integral_constantIbLb1EES11_EEDaSW_SX_EUlSW_E_NS1_11comp_targetILNS1_3genE10ELNS1_11target_archE1200ELNS1_3gpuE4ELNS1_3repE0EEENS1_30default_config_static_selectorELNS0_4arch9wavefront6targetE0EEEvT1_.num_agpr, 0
	.set _ZN7rocprim17ROCPRIM_400000_NS6detail17trampoline_kernelINS0_14default_configENS1_27scan_by_key_config_selectorIiyEEZZNS1_16scan_by_key_implILNS1_25lookback_scan_determinismE0ELb1ES3_N6thrust23THRUST_200600_302600_NS6detail15normal_iteratorINS9_10device_ptrIiEEEENSB_INSC_IyEEEESG_yNS9_4plusIvEENS9_8equal_toIvEEyEE10hipError_tPvRmT2_T3_T4_T5_mT6_T7_P12ihipStream_tbENKUlT_T0_E_clISt17integral_constantIbLb1EES11_EEDaSW_SX_EUlSW_E_NS1_11comp_targetILNS1_3genE10ELNS1_11target_archE1200ELNS1_3gpuE4ELNS1_3repE0EEENS1_30default_config_static_selectorELNS0_4arch9wavefront6targetE0EEEvT1_.numbered_sgpr, 0
	.set _ZN7rocprim17ROCPRIM_400000_NS6detail17trampoline_kernelINS0_14default_configENS1_27scan_by_key_config_selectorIiyEEZZNS1_16scan_by_key_implILNS1_25lookback_scan_determinismE0ELb1ES3_N6thrust23THRUST_200600_302600_NS6detail15normal_iteratorINS9_10device_ptrIiEEEENSB_INSC_IyEEEESG_yNS9_4plusIvEENS9_8equal_toIvEEyEE10hipError_tPvRmT2_T3_T4_T5_mT6_T7_P12ihipStream_tbENKUlT_T0_E_clISt17integral_constantIbLb1EES11_EEDaSW_SX_EUlSW_E_NS1_11comp_targetILNS1_3genE10ELNS1_11target_archE1200ELNS1_3gpuE4ELNS1_3repE0EEENS1_30default_config_static_selectorELNS0_4arch9wavefront6targetE0EEEvT1_.num_named_barrier, 0
	.set _ZN7rocprim17ROCPRIM_400000_NS6detail17trampoline_kernelINS0_14default_configENS1_27scan_by_key_config_selectorIiyEEZZNS1_16scan_by_key_implILNS1_25lookback_scan_determinismE0ELb1ES3_N6thrust23THRUST_200600_302600_NS6detail15normal_iteratorINS9_10device_ptrIiEEEENSB_INSC_IyEEEESG_yNS9_4plusIvEENS9_8equal_toIvEEyEE10hipError_tPvRmT2_T3_T4_T5_mT6_T7_P12ihipStream_tbENKUlT_T0_E_clISt17integral_constantIbLb1EES11_EEDaSW_SX_EUlSW_E_NS1_11comp_targetILNS1_3genE10ELNS1_11target_archE1200ELNS1_3gpuE4ELNS1_3repE0EEENS1_30default_config_static_selectorELNS0_4arch9wavefront6targetE0EEEvT1_.private_seg_size, 0
	.set _ZN7rocprim17ROCPRIM_400000_NS6detail17trampoline_kernelINS0_14default_configENS1_27scan_by_key_config_selectorIiyEEZZNS1_16scan_by_key_implILNS1_25lookback_scan_determinismE0ELb1ES3_N6thrust23THRUST_200600_302600_NS6detail15normal_iteratorINS9_10device_ptrIiEEEENSB_INSC_IyEEEESG_yNS9_4plusIvEENS9_8equal_toIvEEyEE10hipError_tPvRmT2_T3_T4_T5_mT6_T7_P12ihipStream_tbENKUlT_T0_E_clISt17integral_constantIbLb1EES11_EEDaSW_SX_EUlSW_E_NS1_11comp_targetILNS1_3genE10ELNS1_11target_archE1200ELNS1_3gpuE4ELNS1_3repE0EEENS1_30default_config_static_selectorELNS0_4arch9wavefront6targetE0EEEvT1_.uses_vcc, 0
	.set _ZN7rocprim17ROCPRIM_400000_NS6detail17trampoline_kernelINS0_14default_configENS1_27scan_by_key_config_selectorIiyEEZZNS1_16scan_by_key_implILNS1_25lookback_scan_determinismE0ELb1ES3_N6thrust23THRUST_200600_302600_NS6detail15normal_iteratorINS9_10device_ptrIiEEEENSB_INSC_IyEEEESG_yNS9_4plusIvEENS9_8equal_toIvEEyEE10hipError_tPvRmT2_T3_T4_T5_mT6_T7_P12ihipStream_tbENKUlT_T0_E_clISt17integral_constantIbLb1EES11_EEDaSW_SX_EUlSW_E_NS1_11comp_targetILNS1_3genE10ELNS1_11target_archE1200ELNS1_3gpuE4ELNS1_3repE0EEENS1_30default_config_static_selectorELNS0_4arch9wavefront6targetE0EEEvT1_.uses_flat_scratch, 0
	.set _ZN7rocprim17ROCPRIM_400000_NS6detail17trampoline_kernelINS0_14default_configENS1_27scan_by_key_config_selectorIiyEEZZNS1_16scan_by_key_implILNS1_25lookback_scan_determinismE0ELb1ES3_N6thrust23THRUST_200600_302600_NS6detail15normal_iteratorINS9_10device_ptrIiEEEENSB_INSC_IyEEEESG_yNS9_4plusIvEENS9_8equal_toIvEEyEE10hipError_tPvRmT2_T3_T4_T5_mT6_T7_P12ihipStream_tbENKUlT_T0_E_clISt17integral_constantIbLb1EES11_EEDaSW_SX_EUlSW_E_NS1_11comp_targetILNS1_3genE10ELNS1_11target_archE1200ELNS1_3gpuE4ELNS1_3repE0EEENS1_30default_config_static_selectorELNS0_4arch9wavefront6targetE0EEEvT1_.has_dyn_sized_stack, 0
	.set _ZN7rocprim17ROCPRIM_400000_NS6detail17trampoline_kernelINS0_14default_configENS1_27scan_by_key_config_selectorIiyEEZZNS1_16scan_by_key_implILNS1_25lookback_scan_determinismE0ELb1ES3_N6thrust23THRUST_200600_302600_NS6detail15normal_iteratorINS9_10device_ptrIiEEEENSB_INSC_IyEEEESG_yNS9_4plusIvEENS9_8equal_toIvEEyEE10hipError_tPvRmT2_T3_T4_T5_mT6_T7_P12ihipStream_tbENKUlT_T0_E_clISt17integral_constantIbLb1EES11_EEDaSW_SX_EUlSW_E_NS1_11comp_targetILNS1_3genE10ELNS1_11target_archE1200ELNS1_3gpuE4ELNS1_3repE0EEENS1_30default_config_static_selectorELNS0_4arch9wavefront6targetE0EEEvT1_.has_recursion, 0
	.set _ZN7rocprim17ROCPRIM_400000_NS6detail17trampoline_kernelINS0_14default_configENS1_27scan_by_key_config_selectorIiyEEZZNS1_16scan_by_key_implILNS1_25lookback_scan_determinismE0ELb1ES3_N6thrust23THRUST_200600_302600_NS6detail15normal_iteratorINS9_10device_ptrIiEEEENSB_INSC_IyEEEESG_yNS9_4plusIvEENS9_8equal_toIvEEyEE10hipError_tPvRmT2_T3_T4_T5_mT6_T7_P12ihipStream_tbENKUlT_T0_E_clISt17integral_constantIbLb1EES11_EEDaSW_SX_EUlSW_E_NS1_11comp_targetILNS1_3genE10ELNS1_11target_archE1200ELNS1_3gpuE4ELNS1_3repE0EEENS1_30default_config_static_selectorELNS0_4arch9wavefront6targetE0EEEvT1_.has_indirect_call, 0
	.section	.AMDGPU.csdata,"",@progbits
; Kernel info:
; codeLenInByte = 0
; TotalNumSgprs: 0
; NumVgprs: 0
; ScratchSize: 0
; MemoryBound: 0
; FloatMode: 240
; IeeeMode: 1
; LDSByteSize: 0 bytes/workgroup (compile time only)
; SGPRBlocks: 0
; VGPRBlocks: 0
; NumSGPRsForWavesPerEU: 1
; NumVGPRsForWavesPerEU: 1
; NamedBarCnt: 0
; Occupancy: 16
; WaveLimiterHint : 0
; COMPUTE_PGM_RSRC2:SCRATCH_EN: 0
; COMPUTE_PGM_RSRC2:USER_SGPR: 2
; COMPUTE_PGM_RSRC2:TRAP_HANDLER: 0
; COMPUTE_PGM_RSRC2:TGID_X_EN: 1
; COMPUTE_PGM_RSRC2:TGID_Y_EN: 0
; COMPUTE_PGM_RSRC2:TGID_Z_EN: 0
; COMPUTE_PGM_RSRC2:TIDIG_COMP_CNT: 0
	.section	.text._ZN7rocprim17ROCPRIM_400000_NS6detail17trampoline_kernelINS0_14default_configENS1_27scan_by_key_config_selectorIiyEEZZNS1_16scan_by_key_implILNS1_25lookback_scan_determinismE0ELb1ES3_N6thrust23THRUST_200600_302600_NS6detail15normal_iteratorINS9_10device_ptrIiEEEENSB_INSC_IyEEEESG_yNS9_4plusIvEENS9_8equal_toIvEEyEE10hipError_tPvRmT2_T3_T4_T5_mT6_T7_P12ihipStream_tbENKUlT_T0_E_clISt17integral_constantIbLb1EES11_EEDaSW_SX_EUlSW_E_NS1_11comp_targetILNS1_3genE9ELNS1_11target_archE1100ELNS1_3gpuE3ELNS1_3repE0EEENS1_30default_config_static_selectorELNS0_4arch9wavefront6targetE0EEEvT1_,"axG",@progbits,_ZN7rocprim17ROCPRIM_400000_NS6detail17trampoline_kernelINS0_14default_configENS1_27scan_by_key_config_selectorIiyEEZZNS1_16scan_by_key_implILNS1_25lookback_scan_determinismE0ELb1ES3_N6thrust23THRUST_200600_302600_NS6detail15normal_iteratorINS9_10device_ptrIiEEEENSB_INSC_IyEEEESG_yNS9_4plusIvEENS9_8equal_toIvEEyEE10hipError_tPvRmT2_T3_T4_T5_mT6_T7_P12ihipStream_tbENKUlT_T0_E_clISt17integral_constantIbLb1EES11_EEDaSW_SX_EUlSW_E_NS1_11comp_targetILNS1_3genE9ELNS1_11target_archE1100ELNS1_3gpuE3ELNS1_3repE0EEENS1_30default_config_static_selectorELNS0_4arch9wavefront6targetE0EEEvT1_,comdat
	.protected	_ZN7rocprim17ROCPRIM_400000_NS6detail17trampoline_kernelINS0_14default_configENS1_27scan_by_key_config_selectorIiyEEZZNS1_16scan_by_key_implILNS1_25lookback_scan_determinismE0ELb1ES3_N6thrust23THRUST_200600_302600_NS6detail15normal_iteratorINS9_10device_ptrIiEEEENSB_INSC_IyEEEESG_yNS9_4plusIvEENS9_8equal_toIvEEyEE10hipError_tPvRmT2_T3_T4_T5_mT6_T7_P12ihipStream_tbENKUlT_T0_E_clISt17integral_constantIbLb1EES11_EEDaSW_SX_EUlSW_E_NS1_11comp_targetILNS1_3genE9ELNS1_11target_archE1100ELNS1_3gpuE3ELNS1_3repE0EEENS1_30default_config_static_selectorELNS0_4arch9wavefront6targetE0EEEvT1_ ; -- Begin function _ZN7rocprim17ROCPRIM_400000_NS6detail17trampoline_kernelINS0_14default_configENS1_27scan_by_key_config_selectorIiyEEZZNS1_16scan_by_key_implILNS1_25lookback_scan_determinismE0ELb1ES3_N6thrust23THRUST_200600_302600_NS6detail15normal_iteratorINS9_10device_ptrIiEEEENSB_INSC_IyEEEESG_yNS9_4plusIvEENS9_8equal_toIvEEyEE10hipError_tPvRmT2_T3_T4_T5_mT6_T7_P12ihipStream_tbENKUlT_T0_E_clISt17integral_constantIbLb1EES11_EEDaSW_SX_EUlSW_E_NS1_11comp_targetILNS1_3genE9ELNS1_11target_archE1100ELNS1_3gpuE3ELNS1_3repE0EEENS1_30default_config_static_selectorELNS0_4arch9wavefront6targetE0EEEvT1_
	.globl	_ZN7rocprim17ROCPRIM_400000_NS6detail17trampoline_kernelINS0_14default_configENS1_27scan_by_key_config_selectorIiyEEZZNS1_16scan_by_key_implILNS1_25lookback_scan_determinismE0ELb1ES3_N6thrust23THRUST_200600_302600_NS6detail15normal_iteratorINS9_10device_ptrIiEEEENSB_INSC_IyEEEESG_yNS9_4plusIvEENS9_8equal_toIvEEyEE10hipError_tPvRmT2_T3_T4_T5_mT6_T7_P12ihipStream_tbENKUlT_T0_E_clISt17integral_constantIbLb1EES11_EEDaSW_SX_EUlSW_E_NS1_11comp_targetILNS1_3genE9ELNS1_11target_archE1100ELNS1_3gpuE3ELNS1_3repE0EEENS1_30default_config_static_selectorELNS0_4arch9wavefront6targetE0EEEvT1_
	.p2align	8
	.type	_ZN7rocprim17ROCPRIM_400000_NS6detail17trampoline_kernelINS0_14default_configENS1_27scan_by_key_config_selectorIiyEEZZNS1_16scan_by_key_implILNS1_25lookback_scan_determinismE0ELb1ES3_N6thrust23THRUST_200600_302600_NS6detail15normal_iteratorINS9_10device_ptrIiEEEENSB_INSC_IyEEEESG_yNS9_4plusIvEENS9_8equal_toIvEEyEE10hipError_tPvRmT2_T3_T4_T5_mT6_T7_P12ihipStream_tbENKUlT_T0_E_clISt17integral_constantIbLb1EES11_EEDaSW_SX_EUlSW_E_NS1_11comp_targetILNS1_3genE9ELNS1_11target_archE1100ELNS1_3gpuE3ELNS1_3repE0EEENS1_30default_config_static_selectorELNS0_4arch9wavefront6targetE0EEEvT1_,@function
_ZN7rocprim17ROCPRIM_400000_NS6detail17trampoline_kernelINS0_14default_configENS1_27scan_by_key_config_selectorIiyEEZZNS1_16scan_by_key_implILNS1_25lookback_scan_determinismE0ELb1ES3_N6thrust23THRUST_200600_302600_NS6detail15normal_iteratorINS9_10device_ptrIiEEEENSB_INSC_IyEEEESG_yNS9_4plusIvEENS9_8equal_toIvEEyEE10hipError_tPvRmT2_T3_T4_T5_mT6_T7_P12ihipStream_tbENKUlT_T0_E_clISt17integral_constantIbLb1EES11_EEDaSW_SX_EUlSW_E_NS1_11comp_targetILNS1_3genE9ELNS1_11target_archE1100ELNS1_3gpuE3ELNS1_3repE0EEENS1_30default_config_static_selectorELNS0_4arch9wavefront6targetE0EEEvT1_: ; @_ZN7rocprim17ROCPRIM_400000_NS6detail17trampoline_kernelINS0_14default_configENS1_27scan_by_key_config_selectorIiyEEZZNS1_16scan_by_key_implILNS1_25lookback_scan_determinismE0ELb1ES3_N6thrust23THRUST_200600_302600_NS6detail15normal_iteratorINS9_10device_ptrIiEEEENSB_INSC_IyEEEESG_yNS9_4plusIvEENS9_8equal_toIvEEyEE10hipError_tPvRmT2_T3_T4_T5_mT6_T7_P12ihipStream_tbENKUlT_T0_E_clISt17integral_constantIbLb1EES11_EEDaSW_SX_EUlSW_E_NS1_11comp_targetILNS1_3genE9ELNS1_11target_archE1100ELNS1_3gpuE3ELNS1_3repE0EEENS1_30default_config_static_selectorELNS0_4arch9wavefront6targetE0EEEvT1_
; %bb.0:
	.section	.rodata,"a",@progbits
	.p2align	6, 0x0
	.amdhsa_kernel _ZN7rocprim17ROCPRIM_400000_NS6detail17trampoline_kernelINS0_14default_configENS1_27scan_by_key_config_selectorIiyEEZZNS1_16scan_by_key_implILNS1_25lookback_scan_determinismE0ELb1ES3_N6thrust23THRUST_200600_302600_NS6detail15normal_iteratorINS9_10device_ptrIiEEEENSB_INSC_IyEEEESG_yNS9_4plusIvEENS9_8equal_toIvEEyEE10hipError_tPvRmT2_T3_T4_T5_mT6_T7_P12ihipStream_tbENKUlT_T0_E_clISt17integral_constantIbLb1EES11_EEDaSW_SX_EUlSW_E_NS1_11comp_targetILNS1_3genE9ELNS1_11target_archE1100ELNS1_3gpuE3ELNS1_3repE0EEENS1_30default_config_static_selectorELNS0_4arch9wavefront6targetE0EEEvT1_
		.amdhsa_group_segment_fixed_size 0
		.amdhsa_private_segment_fixed_size 0
		.amdhsa_kernarg_size 136
		.amdhsa_user_sgpr_count 2
		.amdhsa_user_sgpr_dispatch_ptr 0
		.amdhsa_user_sgpr_queue_ptr 0
		.amdhsa_user_sgpr_kernarg_segment_ptr 1
		.amdhsa_user_sgpr_dispatch_id 0
		.amdhsa_user_sgpr_kernarg_preload_length 0
		.amdhsa_user_sgpr_kernarg_preload_offset 0
		.amdhsa_user_sgpr_private_segment_size 0
		.amdhsa_wavefront_size32 1
		.amdhsa_uses_dynamic_stack 0
		.amdhsa_enable_private_segment 0
		.amdhsa_system_sgpr_workgroup_id_x 1
		.amdhsa_system_sgpr_workgroup_id_y 0
		.amdhsa_system_sgpr_workgroup_id_z 0
		.amdhsa_system_sgpr_workgroup_info 0
		.amdhsa_system_vgpr_workitem_id 0
		.amdhsa_next_free_vgpr 1
		.amdhsa_next_free_sgpr 1
		.amdhsa_named_barrier_count 0
		.amdhsa_reserve_vcc 0
		.amdhsa_float_round_mode_32 0
		.amdhsa_float_round_mode_16_64 0
		.amdhsa_float_denorm_mode_32 3
		.amdhsa_float_denorm_mode_16_64 3
		.amdhsa_fp16_overflow 0
		.amdhsa_memory_ordered 1
		.amdhsa_forward_progress 1
		.amdhsa_inst_pref_size 0
		.amdhsa_round_robin_scheduling 0
		.amdhsa_exception_fp_ieee_invalid_op 0
		.amdhsa_exception_fp_denorm_src 0
		.amdhsa_exception_fp_ieee_div_zero 0
		.amdhsa_exception_fp_ieee_overflow 0
		.amdhsa_exception_fp_ieee_underflow 0
		.amdhsa_exception_fp_ieee_inexact 0
		.amdhsa_exception_int_div_zero 0
	.end_amdhsa_kernel
	.section	.text._ZN7rocprim17ROCPRIM_400000_NS6detail17trampoline_kernelINS0_14default_configENS1_27scan_by_key_config_selectorIiyEEZZNS1_16scan_by_key_implILNS1_25lookback_scan_determinismE0ELb1ES3_N6thrust23THRUST_200600_302600_NS6detail15normal_iteratorINS9_10device_ptrIiEEEENSB_INSC_IyEEEESG_yNS9_4plusIvEENS9_8equal_toIvEEyEE10hipError_tPvRmT2_T3_T4_T5_mT6_T7_P12ihipStream_tbENKUlT_T0_E_clISt17integral_constantIbLb1EES11_EEDaSW_SX_EUlSW_E_NS1_11comp_targetILNS1_3genE9ELNS1_11target_archE1100ELNS1_3gpuE3ELNS1_3repE0EEENS1_30default_config_static_selectorELNS0_4arch9wavefront6targetE0EEEvT1_,"axG",@progbits,_ZN7rocprim17ROCPRIM_400000_NS6detail17trampoline_kernelINS0_14default_configENS1_27scan_by_key_config_selectorIiyEEZZNS1_16scan_by_key_implILNS1_25lookback_scan_determinismE0ELb1ES3_N6thrust23THRUST_200600_302600_NS6detail15normal_iteratorINS9_10device_ptrIiEEEENSB_INSC_IyEEEESG_yNS9_4plusIvEENS9_8equal_toIvEEyEE10hipError_tPvRmT2_T3_T4_T5_mT6_T7_P12ihipStream_tbENKUlT_T0_E_clISt17integral_constantIbLb1EES11_EEDaSW_SX_EUlSW_E_NS1_11comp_targetILNS1_3genE9ELNS1_11target_archE1100ELNS1_3gpuE3ELNS1_3repE0EEENS1_30default_config_static_selectorELNS0_4arch9wavefront6targetE0EEEvT1_,comdat
.Lfunc_end1479:
	.size	_ZN7rocprim17ROCPRIM_400000_NS6detail17trampoline_kernelINS0_14default_configENS1_27scan_by_key_config_selectorIiyEEZZNS1_16scan_by_key_implILNS1_25lookback_scan_determinismE0ELb1ES3_N6thrust23THRUST_200600_302600_NS6detail15normal_iteratorINS9_10device_ptrIiEEEENSB_INSC_IyEEEESG_yNS9_4plusIvEENS9_8equal_toIvEEyEE10hipError_tPvRmT2_T3_T4_T5_mT6_T7_P12ihipStream_tbENKUlT_T0_E_clISt17integral_constantIbLb1EES11_EEDaSW_SX_EUlSW_E_NS1_11comp_targetILNS1_3genE9ELNS1_11target_archE1100ELNS1_3gpuE3ELNS1_3repE0EEENS1_30default_config_static_selectorELNS0_4arch9wavefront6targetE0EEEvT1_, .Lfunc_end1479-_ZN7rocprim17ROCPRIM_400000_NS6detail17trampoline_kernelINS0_14default_configENS1_27scan_by_key_config_selectorIiyEEZZNS1_16scan_by_key_implILNS1_25lookback_scan_determinismE0ELb1ES3_N6thrust23THRUST_200600_302600_NS6detail15normal_iteratorINS9_10device_ptrIiEEEENSB_INSC_IyEEEESG_yNS9_4plusIvEENS9_8equal_toIvEEyEE10hipError_tPvRmT2_T3_T4_T5_mT6_T7_P12ihipStream_tbENKUlT_T0_E_clISt17integral_constantIbLb1EES11_EEDaSW_SX_EUlSW_E_NS1_11comp_targetILNS1_3genE9ELNS1_11target_archE1100ELNS1_3gpuE3ELNS1_3repE0EEENS1_30default_config_static_selectorELNS0_4arch9wavefront6targetE0EEEvT1_
                                        ; -- End function
	.set _ZN7rocprim17ROCPRIM_400000_NS6detail17trampoline_kernelINS0_14default_configENS1_27scan_by_key_config_selectorIiyEEZZNS1_16scan_by_key_implILNS1_25lookback_scan_determinismE0ELb1ES3_N6thrust23THRUST_200600_302600_NS6detail15normal_iteratorINS9_10device_ptrIiEEEENSB_INSC_IyEEEESG_yNS9_4plusIvEENS9_8equal_toIvEEyEE10hipError_tPvRmT2_T3_T4_T5_mT6_T7_P12ihipStream_tbENKUlT_T0_E_clISt17integral_constantIbLb1EES11_EEDaSW_SX_EUlSW_E_NS1_11comp_targetILNS1_3genE9ELNS1_11target_archE1100ELNS1_3gpuE3ELNS1_3repE0EEENS1_30default_config_static_selectorELNS0_4arch9wavefront6targetE0EEEvT1_.num_vgpr, 0
	.set _ZN7rocprim17ROCPRIM_400000_NS6detail17trampoline_kernelINS0_14default_configENS1_27scan_by_key_config_selectorIiyEEZZNS1_16scan_by_key_implILNS1_25lookback_scan_determinismE0ELb1ES3_N6thrust23THRUST_200600_302600_NS6detail15normal_iteratorINS9_10device_ptrIiEEEENSB_INSC_IyEEEESG_yNS9_4plusIvEENS9_8equal_toIvEEyEE10hipError_tPvRmT2_T3_T4_T5_mT6_T7_P12ihipStream_tbENKUlT_T0_E_clISt17integral_constantIbLb1EES11_EEDaSW_SX_EUlSW_E_NS1_11comp_targetILNS1_3genE9ELNS1_11target_archE1100ELNS1_3gpuE3ELNS1_3repE0EEENS1_30default_config_static_selectorELNS0_4arch9wavefront6targetE0EEEvT1_.num_agpr, 0
	.set _ZN7rocprim17ROCPRIM_400000_NS6detail17trampoline_kernelINS0_14default_configENS1_27scan_by_key_config_selectorIiyEEZZNS1_16scan_by_key_implILNS1_25lookback_scan_determinismE0ELb1ES3_N6thrust23THRUST_200600_302600_NS6detail15normal_iteratorINS9_10device_ptrIiEEEENSB_INSC_IyEEEESG_yNS9_4plusIvEENS9_8equal_toIvEEyEE10hipError_tPvRmT2_T3_T4_T5_mT6_T7_P12ihipStream_tbENKUlT_T0_E_clISt17integral_constantIbLb1EES11_EEDaSW_SX_EUlSW_E_NS1_11comp_targetILNS1_3genE9ELNS1_11target_archE1100ELNS1_3gpuE3ELNS1_3repE0EEENS1_30default_config_static_selectorELNS0_4arch9wavefront6targetE0EEEvT1_.numbered_sgpr, 0
	.set _ZN7rocprim17ROCPRIM_400000_NS6detail17trampoline_kernelINS0_14default_configENS1_27scan_by_key_config_selectorIiyEEZZNS1_16scan_by_key_implILNS1_25lookback_scan_determinismE0ELb1ES3_N6thrust23THRUST_200600_302600_NS6detail15normal_iteratorINS9_10device_ptrIiEEEENSB_INSC_IyEEEESG_yNS9_4plusIvEENS9_8equal_toIvEEyEE10hipError_tPvRmT2_T3_T4_T5_mT6_T7_P12ihipStream_tbENKUlT_T0_E_clISt17integral_constantIbLb1EES11_EEDaSW_SX_EUlSW_E_NS1_11comp_targetILNS1_3genE9ELNS1_11target_archE1100ELNS1_3gpuE3ELNS1_3repE0EEENS1_30default_config_static_selectorELNS0_4arch9wavefront6targetE0EEEvT1_.num_named_barrier, 0
	.set _ZN7rocprim17ROCPRIM_400000_NS6detail17trampoline_kernelINS0_14default_configENS1_27scan_by_key_config_selectorIiyEEZZNS1_16scan_by_key_implILNS1_25lookback_scan_determinismE0ELb1ES3_N6thrust23THRUST_200600_302600_NS6detail15normal_iteratorINS9_10device_ptrIiEEEENSB_INSC_IyEEEESG_yNS9_4plusIvEENS9_8equal_toIvEEyEE10hipError_tPvRmT2_T3_T4_T5_mT6_T7_P12ihipStream_tbENKUlT_T0_E_clISt17integral_constantIbLb1EES11_EEDaSW_SX_EUlSW_E_NS1_11comp_targetILNS1_3genE9ELNS1_11target_archE1100ELNS1_3gpuE3ELNS1_3repE0EEENS1_30default_config_static_selectorELNS0_4arch9wavefront6targetE0EEEvT1_.private_seg_size, 0
	.set _ZN7rocprim17ROCPRIM_400000_NS6detail17trampoline_kernelINS0_14default_configENS1_27scan_by_key_config_selectorIiyEEZZNS1_16scan_by_key_implILNS1_25lookback_scan_determinismE0ELb1ES3_N6thrust23THRUST_200600_302600_NS6detail15normal_iteratorINS9_10device_ptrIiEEEENSB_INSC_IyEEEESG_yNS9_4plusIvEENS9_8equal_toIvEEyEE10hipError_tPvRmT2_T3_T4_T5_mT6_T7_P12ihipStream_tbENKUlT_T0_E_clISt17integral_constantIbLb1EES11_EEDaSW_SX_EUlSW_E_NS1_11comp_targetILNS1_3genE9ELNS1_11target_archE1100ELNS1_3gpuE3ELNS1_3repE0EEENS1_30default_config_static_selectorELNS0_4arch9wavefront6targetE0EEEvT1_.uses_vcc, 0
	.set _ZN7rocprim17ROCPRIM_400000_NS6detail17trampoline_kernelINS0_14default_configENS1_27scan_by_key_config_selectorIiyEEZZNS1_16scan_by_key_implILNS1_25lookback_scan_determinismE0ELb1ES3_N6thrust23THRUST_200600_302600_NS6detail15normal_iteratorINS9_10device_ptrIiEEEENSB_INSC_IyEEEESG_yNS9_4plusIvEENS9_8equal_toIvEEyEE10hipError_tPvRmT2_T3_T4_T5_mT6_T7_P12ihipStream_tbENKUlT_T0_E_clISt17integral_constantIbLb1EES11_EEDaSW_SX_EUlSW_E_NS1_11comp_targetILNS1_3genE9ELNS1_11target_archE1100ELNS1_3gpuE3ELNS1_3repE0EEENS1_30default_config_static_selectorELNS0_4arch9wavefront6targetE0EEEvT1_.uses_flat_scratch, 0
	.set _ZN7rocprim17ROCPRIM_400000_NS6detail17trampoline_kernelINS0_14default_configENS1_27scan_by_key_config_selectorIiyEEZZNS1_16scan_by_key_implILNS1_25lookback_scan_determinismE0ELb1ES3_N6thrust23THRUST_200600_302600_NS6detail15normal_iteratorINS9_10device_ptrIiEEEENSB_INSC_IyEEEESG_yNS9_4plusIvEENS9_8equal_toIvEEyEE10hipError_tPvRmT2_T3_T4_T5_mT6_T7_P12ihipStream_tbENKUlT_T0_E_clISt17integral_constantIbLb1EES11_EEDaSW_SX_EUlSW_E_NS1_11comp_targetILNS1_3genE9ELNS1_11target_archE1100ELNS1_3gpuE3ELNS1_3repE0EEENS1_30default_config_static_selectorELNS0_4arch9wavefront6targetE0EEEvT1_.has_dyn_sized_stack, 0
	.set _ZN7rocprim17ROCPRIM_400000_NS6detail17trampoline_kernelINS0_14default_configENS1_27scan_by_key_config_selectorIiyEEZZNS1_16scan_by_key_implILNS1_25lookback_scan_determinismE0ELb1ES3_N6thrust23THRUST_200600_302600_NS6detail15normal_iteratorINS9_10device_ptrIiEEEENSB_INSC_IyEEEESG_yNS9_4plusIvEENS9_8equal_toIvEEyEE10hipError_tPvRmT2_T3_T4_T5_mT6_T7_P12ihipStream_tbENKUlT_T0_E_clISt17integral_constantIbLb1EES11_EEDaSW_SX_EUlSW_E_NS1_11comp_targetILNS1_3genE9ELNS1_11target_archE1100ELNS1_3gpuE3ELNS1_3repE0EEENS1_30default_config_static_selectorELNS0_4arch9wavefront6targetE0EEEvT1_.has_recursion, 0
	.set _ZN7rocprim17ROCPRIM_400000_NS6detail17trampoline_kernelINS0_14default_configENS1_27scan_by_key_config_selectorIiyEEZZNS1_16scan_by_key_implILNS1_25lookback_scan_determinismE0ELb1ES3_N6thrust23THRUST_200600_302600_NS6detail15normal_iteratorINS9_10device_ptrIiEEEENSB_INSC_IyEEEESG_yNS9_4plusIvEENS9_8equal_toIvEEyEE10hipError_tPvRmT2_T3_T4_T5_mT6_T7_P12ihipStream_tbENKUlT_T0_E_clISt17integral_constantIbLb1EES11_EEDaSW_SX_EUlSW_E_NS1_11comp_targetILNS1_3genE9ELNS1_11target_archE1100ELNS1_3gpuE3ELNS1_3repE0EEENS1_30default_config_static_selectorELNS0_4arch9wavefront6targetE0EEEvT1_.has_indirect_call, 0
	.section	.AMDGPU.csdata,"",@progbits
; Kernel info:
; codeLenInByte = 0
; TotalNumSgprs: 0
; NumVgprs: 0
; ScratchSize: 0
; MemoryBound: 0
; FloatMode: 240
; IeeeMode: 1
; LDSByteSize: 0 bytes/workgroup (compile time only)
; SGPRBlocks: 0
; VGPRBlocks: 0
; NumSGPRsForWavesPerEU: 1
; NumVGPRsForWavesPerEU: 1
; NamedBarCnt: 0
; Occupancy: 16
; WaveLimiterHint : 0
; COMPUTE_PGM_RSRC2:SCRATCH_EN: 0
; COMPUTE_PGM_RSRC2:USER_SGPR: 2
; COMPUTE_PGM_RSRC2:TRAP_HANDLER: 0
; COMPUTE_PGM_RSRC2:TGID_X_EN: 1
; COMPUTE_PGM_RSRC2:TGID_Y_EN: 0
; COMPUTE_PGM_RSRC2:TGID_Z_EN: 0
; COMPUTE_PGM_RSRC2:TIDIG_COMP_CNT: 0
	.section	.text._ZN7rocprim17ROCPRIM_400000_NS6detail17trampoline_kernelINS0_14default_configENS1_27scan_by_key_config_selectorIiyEEZZNS1_16scan_by_key_implILNS1_25lookback_scan_determinismE0ELb1ES3_N6thrust23THRUST_200600_302600_NS6detail15normal_iteratorINS9_10device_ptrIiEEEENSB_INSC_IyEEEESG_yNS9_4plusIvEENS9_8equal_toIvEEyEE10hipError_tPvRmT2_T3_T4_T5_mT6_T7_P12ihipStream_tbENKUlT_T0_E_clISt17integral_constantIbLb1EES11_EEDaSW_SX_EUlSW_E_NS1_11comp_targetILNS1_3genE8ELNS1_11target_archE1030ELNS1_3gpuE2ELNS1_3repE0EEENS1_30default_config_static_selectorELNS0_4arch9wavefront6targetE0EEEvT1_,"axG",@progbits,_ZN7rocprim17ROCPRIM_400000_NS6detail17trampoline_kernelINS0_14default_configENS1_27scan_by_key_config_selectorIiyEEZZNS1_16scan_by_key_implILNS1_25lookback_scan_determinismE0ELb1ES3_N6thrust23THRUST_200600_302600_NS6detail15normal_iteratorINS9_10device_ptrIiEEEENSB_INSC_IyEEEESG_yNS9_4plusIvEENS9_8equal_toIvEEyEE10hipError_tPvRmT2_T3_T4_T5_mT6_T7_P12ihipStream_tbENKUlT_T0_E_clISt17integral_constantIbLb1EES11_EEDaSW_SX_EUlSW_E_NS1_11comp_targetILNS1_3genE8ELNS1_11target_archE1030ELNS1_3gpuE2ELNS1_3repE0EEENS1_30default_config_static_selectorELNS0_4arch9wavefront6targetE0EEEvT1_,comdat
	.protected	_ZN7rocprim17ROCPRIM_400000_NS6detail17trampoline_kernelINS0_14default_configENS1_27scan_by_key_config_selectorIiyEEZZNS1_16scan_by_key_implILNS1_25lookback_scan_determinismE0ELb1ES3_N6thrust23THRUST_200600_302600_NS6detail15normal_iteratorINS9_10device_ptrIiEEEENSB_INSC_IyEEEESG_yNS9_4plusIvEENS9_8equal_toIvEEyEE10hipError_tPvRmT2_T3_T4_T5_mT6_T7_P12ihipStream_tbENKUlT_T0_E_clISt17integral_constantIbLb1EES11_EEDaSW_SX_EUlSW_E_NS1_11comp_targetILNS1_3genE8ELNS1_11target_archE1030ELNS1_3gpuE2ELNS1_3repE0EEENS1_30default_config_static_selectorELNS0_4arch9wavefront6targetE0EEEvT1_ ; -- Begin function _ZN7rocprim17ROCPRIM_400000_NS6detail17trampoline_kernelINS0_14default_configENS1_27scan_by_key_config_selectorIiyEEZZNS1_16scan_by_key_implILNS1_25lookback_scan_determinismE0ELb1ES3_N6thrust23THRUST_200600_302600_NS6detail15normal_iteratorINS9_10device_ptrIiEEEENSB_INSC_IyEEEESG_yNS9_4plusIvEENS9_8equal_toIvEEyEE10hipError_tPvRmT2_T3_T4_T5_mT6_T7_P12ihipStream_tbENKUlT_T0_E_clISt17integral_constantIbLb1EES11_EEDaSW_SX_EUlSW_E_NS1_11comp_targetILNS1_3genE8ELNS1_11target_archE1030ELNS1_3gpuE2ELNS1_3repE0EEENS1_30default_config_static_selectorELNS0_4arch9wavefront6targetE0EEEvT1_
	.globl	_ZN7rocprim17ROCPRIM_400000_NS6detail17trampoline_kernelINS0_14default_configENS1_27scan_by_key_config_selectorIiyEEZZNS1_16scan_by_key_implILNS1_25lookback_scan_determinismE0ELb1ES3_N6thrust23THRUST_200600_302600_NS6detail15normal_iteratorINS9_10device_ptrIiEEEENSB_INSC_IyEEEESG_yNS9_4plusIvEENS9_8equal_toIvEEyEE10hipError_tPvRmT2_T3_T4_T5_mT6_T7_P12ihipStream_tbENKUlT_T0_E_clISt17integral_constantIbLb1EES11_EEDaSW_SX_EUlSW_E_NS1_11comp_targetILNS1_3genE8ELNS1_11target_archE1030ELNS1_3gpuE2ELNS1_3repE0EEENS1_30default_config_static_selectorELNS0_4arch9wavefront6targetE0EEEvT1_
	.p2align	8
	.type	_ZN7rocprim17ROCPRIM_400000_NS6detail17trampoline_kernelINS0_14default_configENS1_27scan_by_key_config_selectorIiyEEZZNS1_16scan_by_key_implILNS1_25lookback_scan_determinismE0ELb1ES3_N6thrust23THRUST_200600_302600_NS6detail15normal_iteratorINS9_10device_ptrIiEEEENSB_INSC_IyEEEESG_yNS9_4plusIvEENS9_8equal_toIvEEyEE10hipError_tPvRmT2_T3_T4_T5_mT6_T7_P12ihipStream_tbENKUlT_T0_E_clISt17integral_constantIbLb1EES11_EEDaSW_SX_EUlSW_E_NS1_11comp_targetILNS1_3genE8ELNS1_11target_archE1030ELNS1_3gpuE2ELNS1_3repE0EEENS1_30default_config_static_selectorELNS0_4arch9wavefront6targetE0EEEvT1_,@function
_ZN7rocprim17ROCPRIM_400000_NS6detail17trampoline_kernelINS0_14default_configENS1_27scan_by_key_config_selectorIiyEEZZNS1_16scan_by_key_implILNS1_25lookback_scan_determinismE0ELb1ES3_N6thrust23THRUST_200600_302600_NS6detail15normal_iteratorINS9_10device_ptrIiEEEENSB_INSC_IyEEEESG_yNS9_4plusIvEENS9_8equal_toIvEEyEE10hipError_tPvRmT2_T3_T4_T5_mT6_T7_P12ihipStream_tbENKUlT_T0_E_clISt17integral_constantIbLb1EES11_EEDaSW_SX_EUlSW_E_NS1_11comp_targetILNS1_3genE8ELNS1_11target_archE1030ELNS1_3gpuE2ELNS1_3repE0EEENS1_30default_config_static_selectorELNS0_4arch9wavefront6targetE0EEEvT1_: ; @_ZN7rocprim17ROCPRIM_400000_NS6detail17trampoline_kernelINS0_14default_configENS1_27scan_by_key_config_selectorIiyEEZZNS1_16scan_by_key_implILNS1_25lookback_scan_determinismE0ELb1ES3_N6thrust23THRUST_200600_302600_NS6detail15normal_iteratorINS9_10device_ptrIiEEEENSB_INSC_IyEEEESG_yNS9_4plusIvEENS9_8equal_toIvEEyEE10hipError_tPvRmT2_T3_T4_T5_mT6_T7_P12ihipStream_tbENKUlT_T0_E_clISt17integral_constantIbLb1EES11_EEDaSW_SX_EUlSW_E_NS1_11comp_targetILNS1_3genE8ELNS1_11target_archE1030ELNS1_3gpuE2ELNS1_3repE0EEENS1_30default_config_static_selectorELNS0_4arch9wavefront6targetE0EEEvT1_
; %bb.0:
	.section	.rodata,"a",@progbits
	.p2align	6, 0x0
	.amdhsa_kernel _ZN7rocprim17ROCPRIM_400000_NS6detail17trampoline_kernelINS0_14default_configENS1_27scan_by_key_config_selectorIiyEEZZNS1_16scan_by_key_implILNS1_25lookback_scan_determinismE0ELb1ES3_N6thrust23THRUST_200600_302600_NS6detail15normal_iteratorINS9_10device_ptrIiEEEENSB_INSC_IyEEEESG_yNS9_4plusIvEENS9_8equal_toIvEEyEE10hipError_tPvRmT2_T3_T4_T5_mT6_T7_P12ihipStream_tbENKUlT_T0_E_clISt17integral_constantIbLb1EES11_EEDaSW_SX_EUlSW_E_NS1_11comp_targetILNS1_3genE8ELNS1_11target_archE1030ELNS1_3gpuE2ELNS1_3repE0EEENS1_30default_config_static_selectorELNS0_4arch9wavefront6targetE0EEEvT1_
		.amdhsa_group_segment_fixed_size 0
		.amdhsa_private_segment_fixed_size 0
		.amdhsa_kernarg_size 136
		.amdhsa_user_sgpr_count 2
		.amdhsa_user_sgpr_dispatch_ptr 0
		.amdhsa_user_sgpr_queue_ptr 0
		.amdhsa_user_sgpr_kernarg_segment_ptr 1
		.amdhsa_user_sgpr_dispatch_id 0
		.amdhsa_user_sgpr_kernarg_preload_length 0
		.amdhsa_user_sgpr_kernarg_preload_offset 0
		.amdhsa_user_sgpr_private_segment_size 0
		.amdhsa_wavefront_size32 1
		.amdhsa_uses_dynamic_stack 0
		.amdhsa_enable_private_segment 0
		.amdhsa_system_sgpr_workgroup_id_x 1
		.amdhsa_system_sgpr_workgroup_id_y 0
		.amdhsa_system_sgpr_workgroup_id_z 0
		.amdhsa_system_sgpr_workgroup_info 0
		.amdhsa_system_vgpr_workitem_id 0
		.amdhsa_next_free_vgpr 1
		.amdhsa_next_free_sgpr 1
		.amdhsa_named_barrier_count 0
		.amdhsa_reserve_vcc 0
		.amdhsa_float_round_mode_32 0
		.amdhsa_float_round_mode_16_64 0
		.amdhsa_float_denorm_mode_32 3
		.amdhsa_float_denorm_mode_16_64 3
		.amdhsa_fp16_overflow 0
		.amdhsa_memory_ordered 1
		.amdhsa_forward_progress 1
		.amdhsa_inst_pref_size 0
		.amdhsa_round_robin_scheduling 0
		.amdhsa_exception_fp_ieee_invalid_op 0
		.amdhsa_exception_fp_denorm_src 0
		.amdhsa_exception_fp_ieee_div_zero 0
		.amdhsa_exception_fp_ieee_overflow 0
		.amdhsa_exception_fp_ieee_underflow 0
		.amdhsa_exception_fp_ieee_inexact 0
		.amdhsa_exception_int_div_zero 0
	.end_amdhsa_kernel
	.section	.text._ZN7rocprim17ROCPRIM_400000_NS6detail17trampoline_kernelINS0_14default_configENS1_27scan_by_key_config_selectorIiyEEZZNS1_16scan_by_key_implILNS1_25lookback_scan_determinismE0ELb1ES3_N6thrust23THRUST_200600_302600_NS6detail15normal_iteratorINS9_10device_ptrIiEEEENSB_INSC_IyEEEESG_yNS9_4plusIvEENS9_8equal_toIvEEyEE10hipError_tPvRmT2_T3_T4_T5_mT6_T7_P12ihipStream_tbENKUlT_T0_E_clISt17integral_constantIbLb1EES11_EEDaSW_SX_EUlSW_E_NS1_11comp_targetILNS1_3genE8ELNS1_11target_archE1030ELNS1_3gpuE2ELNS1_3repE0EEENS1_30default_config_static_selectorELNS0_4arch9wavefront6targetE0EEEvT1_,"axG",@progbits,_ZN7rocprim17ROCPRIM_400000_NS6detail17trampoline_kernelINS0_14default_configENS1_27scan_by_key_config_selectorIiyEEZZNS1_16scan_by_key_implILNS1_25lookback_scan_determinismE0ELb1ES3_N6thrust23THRUST_200600_302600_NS6detail15normal_iteratorINS9_10device_ptrIiEEEENSB_INSC_IyEEEESG_yNS9_4plusIvEENS9_8equal_toIvEEyEE10hipError_tPvRmT2_T3_T4_T5_mT6_T7_P12ihipStream_tbENKUlT_T0_E_clISt17integral_constantIbLb1EES11_EEDaSW_SX_EUlSW_E_NS1_11comp_targetILNS1_3genE8ELNS1_11target_archE1030ELNS1_3gpuE2ELNS1_3repE0EEENS1_30default_config_static_selectorELNS0_4arch9wavefront6targetE0EEEvT1_,comdat
.Lfunc_end1480:
	.size	_ZN7rocprim17ROCPRIM_400000_NS6detail17trampoline_kernelINS0_14default_configENS1_27scan_by_key_config_selectorIiyEEZZNS1_16scan_by_key_implILNS1_25lookback_scan_determinismE0ELb1ES3_N6thrust23THRUST_200600_302600_NS6detail15normal_iteratorINS9_10device_ptrIiEEEENSB_INSC_IyEEEESG_yNS9_4plusIvEENS9_8equal_toIvEEyEE10hipError_tPvRmT2_T3_T4_T5_mT6_T7_P12ihipStream_tbENKUlT_T0_E_clISt17integral_constantIbLb1EES11_EEDaSW_SX_EUlSW_E_NS1_11comp_targetILNS1_3genE8ELNS1_11target_archE1030ELNS1_3gpuE2ELNS1_3repE0EEENS1_30default_config_static_selectorELNS0_4arch9wavefront6targetE0EEEvT1_, .Lfunc_end1480-_ZN7rocprim17ROCPRIM_400000_NS6detail17trampoline_kernelINS0_14default_configENS1_27scan_by_key_config_selectorIiyEEZZNS1_16scan_by_key_implILNS1_25lookback_scan_determinismE0ELb1ES3_N6thrust23THRUST_200600_302600_NS6detail15normal_iteratorINS9_10device_ptrIiEEEENSB_INSC_IyEEEESG_yNS9_4plusIvEENS9_8equal_toIvEEyEE10hipError_tPvRmT2_T3_T4_T5_mT6_T7_P12ihipStream_tbENKUlT_T0_E_clISt17integral_constantIbLb1EES11_EEDaSW_SX_EUlSW_E_NS1_11comp_targetILNS1_3genE8ELNS1_11target_archE1030ELNS1_3gpuE2ELNS1_3repE0EEENS1_30default_config_static_selectorELNS0_4arch9wavefront6targetE0EEEvT1_
                                        ; -- End function
	.set _ZN7rocprim17ROCPRIM_400000_NS6detail17trampoline_kernelINS0_14default_configENS1_27scan_by_key_config_selectorIiyEEZZNS1_16scan_by_key_implILNS1_25lookback_scan_determinismE0ELb1ES3_N6thrust23THRUST_200600_302600_NS6detail15normal_iteratorINS9_10device_ptrIiEEEENSB_INSC_IyEEEESG_yNS9_4plusIvEENS9_8equal_toIvEEyEE10hipError_tPvRmT2_T3_T4_T5_mT6_T7_P12ihipStream_tbENKUlT_T0_E_clISt17integral_constantIbLb1EES11_EEDaSW_SX_EUlSW_E_NS1_11comp_targetILNS1_3genE8ELNS1_11target_archE1030ELNS1_3gpuE2ELNS1_3repE0EEENS1_30default_config_static_selectorELNS0_4arch9wavefront6targetE0EEEvT1_.num_vgpr, 0
	.set _ZN7rocprim17ROCPRIM_400000_NS6detail17trampoline_kernelINS0_14default_configENS1_27scan_by_key_config_selectorIiyEEZZNS1_16scan_by_key_implILNS1_25lookback_scan_determinismE0ELb1ES3_N6thrust23THRUST_200600_302600_NS6detail15normal_iteratorINS9_10device_ptrIiEEEENSB_INSC_IyEEEESG_yNS9_4plusIvEENS9_8equal_toIvEEyEE10hipError_tPvRmT2_T3_T4_T5_mT6_T7_P12ihipStream_tbENKUlT_T0_E_clISt17integral_constantIbLb1EES11_EEDaSW_SX_EUlSW_E_NS1_11comp_targetILNS1_3genE8ELNS1_11target_archE1030ELNS1_3gpuE2ELNS1_3repE0EEENS1_30default_config_static_selectorELNS0_4arch9wavefront6targetE0EEEvT1_.num_agpr, 0
	.set _ZN7rocprim17ROCPRIM_400000_NS6detail17trampoline_kernelINS0_14default_configENS1_27scan_by_key_config_selectorIiyEEZZNS1_16scan_by_key_implILNS1_25lookback_scan_determinismE0ELb1ES3_N6thrust23THRUST_200600_302600_NS6detail15normal_iteratorINS9_10device_ptrIiEEEENSB_INSC_IyEEEESG_yNS9_4plusIvEENS9_8equal_toIvEEyEE10hipError_tPvRmT2_T3_T4_T5_mT6_T7_P12ihipStream_tbENKUlT_T0_E_clISt17integral_constantIbLb1EES11_EEDaSW_SX_EUlSW_E_NS1_11comp_targetILNS1_3genE8ELNS1_11target_archE1030ELNS1_3gpuE2ELNS1_3repE0EEENS1_30default_config_static_selectorELNS0_4arch9wavefront6targetE0EEEvT1_.numbered_sgpr, 0
	.set _ZN7rocprim17ROCPRIM_400000_NS6detail17trampoline_kernelINS0_14default_configENS1_27scan_by_key_config_selectorIiyEEZZNS1_16scan_by_key_implILNS1_25lookback_scan_determinismE0ELb1ES3_N6thrust23THRUST_200600_302600_NS6detail15normal_iteratorINS9_10device_ptrIiEEEENSB_INSC_IyEEEESG_yNS9_4plusIvEENS9_8equal_toIvEEyEE10hipError_tPvRmT2_T3_T4_T5_mT6_T7_P12ihipStream_tbENKUlT_T0_E_clISt17integral_constantIbLb1EES11_EEDaSW_SX_EUlSW_E_NS1_11comp_targetILNS1_3genE8ELNS1_11target_archE1030ELNS1_3gpuE2ELNS1_3repE0EEENS1_30default_config_static_selectorELNS0_4arch9wavefront6targetE0EEEvT1_.num_named_barrier, 0
	.set _ZN7rocprim17ROCPRIM_400000_NS6detail17trampoline_kernelINS0_14default_configENS1_27scan_by_key_config_selectorIiyEEZZNS1_16scan_by_key_implILNS1_25lookback_scan_determinismE0ELb1ES3_N6thrust23THRUST_200600_302600_NS6detail15normal_iteratorINS9_10device_ptrIiEEEENSB_INSC_IyEEEESG_yNS9_4plusIvEENS9_8equal_toIvEEyEE10hipError_tPvRmT2_T3_T4_T5_mT6_T7_P12ihipStream_tbENKUlT_T0_E_clISt17integral_constantIbLb1EES11_EEDaSW_SX_EUlSW_E_NS1_11comp_targetILNS1_3genE8ELNS1_11target_archE1030ELNS1_3gpuE2ELNS1_3repE0EEENS1_30default_config_static_selectorELNS0_4arch9wavefront6targetE0EEEvT1_.private_seg_size, 0
	.set _ZN7rocprim17ROCPRIM_400000_NS6detail17trampoline_kernelINS0_14default_configENS1_27scan_by_key_config_selectorIiyEEZZNS1_16scan_by_key_implILNS1_25lookback_scan_determinismE0ELb1ES3_N6thrust23THRUST_200600_302600_NS6detail15normal_iteratorINS9_10device_ptrIiEEEENSB_INSC_IyEEEESG_yNS9_4plusIvEENS9_8equal_toIvEEyEE10hipError_tPvRmT2_T3_T4_T5_mT6_T7_P12ihipStream_tbENKUlT_T0_E_clISt17integral_constantIbLb1EES11_EEDaSW_SX_EUlSW_E_NS1_11comp_targetILNS1_3genE8ELNS1_11target_archE1030ELNS1_3gpuE2ELNS1_3repE0EEENS1_30default_config_static_selectorELNS0_4arch9wavefront6targetE0EEEvT1_.uses_vcc, 0
	.set _ZN7rocprim17ROCPRIM_400000_NS6detail17trampoline_kernelINS0_14default_configENS1_27scan_by_key_config_selectorIiyEEZZNS1_16scan_by_key_implILNS1_25lookback_scan_determinismE0ELb1ES3_N6thrust23THRUST_200600_302600_NS6detail15normal_iteratorINS9_10device_ptrIiEEEENSB_INSC_IyEEEESG_yNS9_4plusIvEENS9_8equal_toIvEEyEE10hipError_tPvRmT2_T3_T4_T5_mT6_T7_P12ihipStream_tbENKUlT_T0_E_clISt17integral_constantIbLb1EES11_EEDaSW_SX_EUlSW_E_NS1_11comp_targetILNS1_3genE8ELNS1_11target_archE1030ELNS1_3gpuE2ELNS1_3repE0EEENS1_30default_config_static_selectorELNS0_4arch9wavefront6targetE0EEEvT1_.uses_flat_scratch, 0
	.set _ZN7rocprim17ROCPRIM_400000_NS6detail17trampoline_kernelINS0_14default_configENS1_27scan_by_key_config_selectorIiyEEZZNS1_16scan_by_key_implILNS1_25lookback_scan_determinismE0ELb1ES3_N6thrust23THRUST_200600_302600_NS6detail15normal_iteratorINS9_10device_ptrIiEEEENSB_INSC_IyEEEESG_yNS9_4plusIvEENS9_8equal_toIvEEyEE10hipError_tPvRmT2_T3_T4_T5_mT6_T7_P12ihipStream_tbENKUlT_T0_E_clISt17integral_constantIbLb1EES11_EEDaSW_SX_EUlSW_E_NS1_11comp_targetILNS1_3genE8ELNS1_11target_archE1030ELNS1_3gpuE2ELNS1_3repE0EEENS1_30default_config_static_selectorELNS0_4arch9wavefront6targetE0EEEvT1_.has_dyn_sized_stack, 0
	.set _ZN7rocprim17ROCPRIM_400000_NS6detail17trampoline_kernelINS0_14default_configENS1_27scan_by_key_config_selectorIiyEEZZNS1_16scan_by_key_implILNS1_25lookback_scan_determinismE0ELb1ES3_N6thrust23THRUST_200600_302600_NS6detail15normal_iteratorINS9_10device_ptrIiEEEENSB_INSC_IyEEEESG_yNS9_4plusIvEENS9_8equal_toIvEEyEE10hipError_tPvRmT2_T3_T4_T5_mT6_T7_P12ihipStream_tbENKUlT_T0_E_clISt17integral_constantIbLb1EES11_EEDaSW_SX_EUlSW_E_NS1_11comp_targetILNS1_3genE8ELNS1_11target_archE1030ELNS1_3gpuE2ELNS1_3repE0EEENS1_30default_config_static_selectorELNS0_4arch9wavefront6targetE0EEEvT1_.has_recursion, 0
	.set _ZN7rocprim17ROCPRIM_400000_NS6detail17trampoline_kernelINS0_14default_configENS1_27scan_by_key_config_selectorIiyEEZZNS1_16scan_by_key_implILNS1_25lookback_scan_determinismE0ELb1ES3_N6thrust23THRUST_200600_302600_NS6detail15normal_iteratorINS9_10device_ptrIiEEEENSB_INSC_IyEEEESG_yNS9_4plusIvEENS9_8equal_toIvEEyEE10hipError_tPvRmT2_T3_T4_T5_mT6_T7_P12ihipStream_tbENKUlT_T0_E_clISt17integral_constantIbLb1EES11_EEDaSW_SX_EUlSW_E_NS1_11comp_targetILNS1_3genE8ELNS1_11target_archE1030ELNS1_3gpuE2ELNS1_3repE0EEENS1_30default_config_static_selectorELNS0_4arch9wavefront6targetE0EEEvT1_.has_indirect_call, 0
	.section	.AMDGPU.csdata,"",@progbits
; Kernel info:
; codeLenInByte = 0
; TotalNumSgprs: 0
; NumVgprs: 0
; ScratchSize: 0
; MemoryBound: 0
; FloatMode: 240
; IeeeMode: 1
; LDSByteSize: 0 bytes/workgroup (compile time only)
; SGPRBlocks: 0
; VGPRBlocks: 0
; NumSGPRsForWavesPerEU: 1
; NumVGPRsForWavesPerEU: 1
; NamedBarCnt: 0
; Occupancy: 16
; WaveLimiterHint : 0
; COMPUTE_PGM_RSRC2:SCRATCH_EN: 0
; COMPUTE_PGM_RSRC2:USER_SGPR: 2
; COMPUTE_PGM_RSRC2:TRAP_HANDLER: 0
; COMPUTE_PGM_RSRC2:TGID_X_EN: 1
; COMPUTE_PGM_RSRC2:TGID_Y_EN: 0
; COMPUTE_PGM_RSRC2:TGID_Z_EN: 0
; COMPUTE_PGM_RSRC2:TIDIG_COMP_CNT: 0
	.section	.text._ZN7rocprim17ROCPRIM_400000_NS6detail17trampoline_kernelINS0_14default_configENS1_27scan_by_key_config_selectorIiyEEZZNS1_16scan_by_key_implILNS1_25lookback_scan_determinismE0ELb1ES3_N6thrust23THRUST_200600_302600_NS6detail15normal_iteratorINS9_10device_ptrIiEEEENSB_INSC_IyEEEESG_yNS9_4plusIvEENS9_8equal_toIvEEyEE10hipError_tPvRmT2_T3_T4_T5_mT6_T7_P12ihipStream_tbENKUlT_T0_E_clISt17integral_constantIbLb1EES10_IbLb0EEEEDaSW_SX_EUlSW_E_NS1_11comp_targetILNS1_3genE0ELNS1_11target_archE4294967295ELNS1_3gpuE0ELNS1_3repE0EEENS1_30default_config_static_selectorELNS0_4arch9wavefront6targetE0EEEvT1_,"axG",@progbits,_ZN7rocprim17ROCPRIM_400000_NS6detail17trampoline_kernelINS0_14default_configENS1_27scan_by_key_config_selectorIiyEEZZNS1_16scan_by_key_implILNS1_25lookback_scan_determinismE0ELb1ES3_N6thrust23THRUST_200600_302600_NS6detail15normal_iteratorINS9_10device_ptrIiEEEENSB_INSC_IyEEEESG_yNS9_4plusIvEENS9_8equal_toIvEEyEE10hipError_tPvRmT2_T3_T4_T5_mT6_T7_P12ihipStream_tbENKUlT_T0_E_clISt17integral_constantIbLb1EES10_IbLb0EEEEDaSW_SX_EUlSW_E_NS1_11comp_targetILNS1_3genE0ELNS1_11target_archE4294967295ELNS1_3gpuE0ELNS1_3repE0EEENS1_30default_config_static_selectorELNS0_4arch9wavefront6targetE0EEEvT1_,comdat
	.protected	_ZN7rocprim17ROCPRIM_400000_NS6detail17trampoline_kernelINS0_14default_configENS1_27scan_by_key_config_selectorIiyEEZZNS1_16scan_by_key_implILNS1_25lookback_scan_determinismE0ELb1ES3_N6thrust23THRUST_200600_302600_NS6detail15normal_iteratorINS9_10device_ptrIiEEEENSB_INSC_IyEEEESG_yNS9_4plusIvEENS9_8equal_toIvEEyEE10hipError_tPvRmT2_T3_T4_T5_mT6_T7_P12ihipStream_tbENKUlT_T0_E_clISt17integral_constantIbLb1EES10_IbLb0EEEEDaSW_SX_EUlSW_E_NS1_11comp_targetILNS1_3genE0ELNS1_11target_archE4294967295ELNS1_3gpuE0ELNS1_3repE0EEENS1_30default_config_static_selectorELNS0_4arch9wavefront6targetE0EEEvT1_ ; -- Begin function _ZN7rocprim17ROCPRIM_400000_NS6detail17trampoline_kernelINS0_14default_configENS1_27scan_by_key_config_selectorIiyEEZZNS1_16scan_by_key_implILNS1_25lookback_scan_determinismE0ELb1ES3_N6thrust23THRUST_200600_302600_NS6detail15normal_iteratorINS9_10device_ptrIiEEEENSB_INSC_IyEEEESG_yNS9_4plusIvEENS9_8equal_toIvEEyEE10hipError_tPvRmT2_T3_T4_T5_mT6_T7_P12ihipStream_tbENKUlT_T0_E_clISt17integral_constantIbLb1EES10_IbLb0EEEEDaSW_SX_EUlSW_E_NS1_11comp_targetILNS1_3genE0ELNS1_11target_archE4294967295ELNS1_3gpuE0ELNS1_3repE0EEENS1_30default_config_static_selectorELNS0_4arch9wavefront6targetE0EEEvT1_
	.globl	_ZN7rocprim17ROCPRIM_400000_NS6detail17trampoline_kernelINS0_14default_configENS1_27scan_by_key_config_selectorIiyEEZZNS1_16scan_by_key_implILNS1_25lookback_scan_determinismE0ELb1ES3_N6thrust23THRUST_200600_302600_NS6detail15normal_iteratorINS9_10device_ptrIiEEEENSB_INSC_IyEEEESG_yNS9_4plusIvEENS9_8equal_toIvEEyEE10hipError_tPvRmT2_T3_T4_T5_mT6_T7_P12ihipStream_tbENKUlT_T0_E_clISt17integral_constantIbLb1EES10_IbLb0EEEEDaSW_SX_EUlSW_E_NS1_11comp_targetILNS1_3genE0ELNS1_11target_archE4294967295ELNS1_3gpuE0ELNS1_3repE0EEENS1_30default_config_static_selectorELNS0_4arch9wavefront6targetE0EEEvT1_
	.p2align	8
	.type	_ZN7rocprim17ROCPRIM_400000_NS6detail17trampoline_kernelINS0_14default_configENS1_27scan_by_key_config_selectorIiyEEZZNS1_16scan_by_key_implILNS1_25lookback_scan_determinismE0ELb1ES3_N6thrust23THRUST_200600_302600_NS6detail15normal_iteratorINS9_10device_ptrIiEEEENSB_INSC_IyEEEESG_yNS9_4plusIvEENS9_8equal_toIvEEyEE10hipError_tPvRmT2_T3_T4_T5_mT6_T7_P12ihipStream_tbENKUlT_T0_E_clISt17integral_constantIbLb1EES10_IbLb0EEEEDaSW_SX_EUlSW_E_NS1_11comp_targetILNS1_3genE0ELNS1_11target_archE4294967295ELNS1_3gpuE0ELNS1_3repE0EEENS1_30default_config_static_selectorELNS0_4arch9wavefront6targetE0EEEvT1_,@function
_ZN7rocprim17ROCPRIM_400000_NS6detail17trampoline_kernelINS0_14default_configENS1_27scan_by_key_config_selectorIiyEEZZNS1_16scan_by_key_implILNS1_25lookback_scan_determinismE0ELb1ES3_N6thrust23THRUST_200600_302600_NS6detail15normal_iteratorINS9_10device_ptrIiEEEENSB_INSC_IyEEEESG_yNS9_4plusIvEENS9_8equal_toIvEEyEE10hipError_tPvRmT2_T3_T4_T5_mT6_T7_P12ihipStream_tbENKUlT_T0_E_clISt17integral_constantIbLb1EES10_IbLb0EEEEDaSW_SX_EUlSW_E_NS1_11comp_targetILNS1_3genE0ELNS1_11target_archE4294967295ELNS1_3gpuE0ELNS1_3repE0EEENS1_30default_config_static_selectorELNS0_4arch9wavefront6targetE0EEEvT1_: ; @_ZN7rocprim17ROCPRIM_400000_NS6detail17trampoline_kernelINS0_14default_configENS1_27scan_by_key_config_selectorIiyEEZZNS1_16scan_by_key_implILNS1_25lookback_scan_determinismE0ELb1ES3_N6thrust23THRUST_200600_302600_NS6detail15normal_iteratorINS9_10device_ptrIiEEEENSB_INSC_IyEEEESG_yNS9_4plusIvEENS9_8equal_toIvEEyEE10hipError_tPvRmT2_T3_T4_T5_mT6_T7_P12ihipStream_tbENKUlT_T0_E_clISt17integral_constantIbLb1EES10_IbLb0EEEEDaSW_SX_EUlSW_E_NS1_11comp_targetILNS1_3genE0ELNS1_11target_archE4294967295ELNS1_3gpuE0ELNS1_3repE0EEENS1_30default_config_static_selectorELNS0_4arch9wavefront6targetE0EEEvT1_
; %bb.0:
	s_endpgm
	.section	.rodata,"a",@progbits
	.p2align	6, 0x0
	.amdhsa_kernel _ZN7rocprim17ROCPRIM_400000_NS6detail17trampoline_kernelINS0_14default_configENS1_27scan_by_key_config_selectorIiyEEZZNS1_16scan_by_key_implILNS1_25lookback_scan_determinismE0ELb1ES3_N6thrust23THRUST_200600_302600_NS6detail15normal_iteratorINS9_10device_ptrIiEEEENSB_INSC_IyEEEESG_yNS9_4plusIvEENS9_8equal_toIvEEyEE10hipError_tPvRmT2_T3_T4_T5_mT6_T7_P12ihipStream_tbENKUlT_T0_E_clISt17integral_constantIbLb1EES10_IbLb0EEEEDaSW_SX_EUlSW_E_NS1_11comp_targetILNS1_3genE0ELNS1_11target_archE4294967295ELNS1_3gpuE0ELNS1_3repE0EEENS1_30default_config_static_selectorELNS0_4arch9wavefront6targetE0EEEvT1_
		.amdhsa_group_segment_fixed_size 0
		.amdhsa_private_segment_fixed_size 0
		.amdhsa_kernarg_size 136
		.amdhsa_user_sgpr_count 2
		.amdhsa_user_sgpr_dispatch_ptr 0
		.amdhsa_user_sgpr_queue_ptr 0
		.amdhsa_user_sgpr_kernarg_segment_ptr 1
		.amdhsa_user_sgpr_dispatch_id 0
		.amdhsa_user_sgpr_kernarg_preload_length 0
		.amdhsa_user_sgpr_kernarg_preload_offset 0
		.amdhsa_user_sgpr_private_segment_size 0
		.amdhsa_wavefront_size32 1
		.amdhsa_uses_dynamic_stack 0
		.amdhsa_enable_private_segment 0
		.amdhsa_system_sgpr_workgroup_id_x 1
		.amdhsa_system_sgpr_workgroup_id_y 0
		.amdhsa_system_sgpr_workgroup_id_z 0
		.amdhsa_system_sgpr_workgroup_info 0
		.amdhsa_system_vgpr_workitem_id 0
		.amdhsa_next_free_vgpr 1
		.amdhsa_next_free_sgpr 1
		.amdhsa_named_barrier_count 0
		.amdhsa_reserve_vcc 0
		.amdhsa_float_round_mode_32 0
		.amdhsa_float_round_mode_16_64 0
		.amdhsa_float_denorm_mode_32 3
		.amdhsa_float_denorm_mode_16_64 3
		.amdhsa_fp16_overflow 0
		.amdhsa_memory_ordered 1
		.amdhsa_forward_progress 1
		.amdhsa_inst_pref_size 1
		.amdhsa_round_robin_scheduling 0
		.amdhsa_exception_fp_ieee_invalid_op 0
		.amdhsa_exception_fp_denorm_src 0
		.amdhsa_exception_fp_ieee_div_zero 0
		.amdhsa_exception_fp_ieee_overflow 0
		.amdhsa_exception_fp_ieee_underflow 0
		.amdhsa_exception_fp_ieee_inexact 0
		.amdhsa_exception_int_div_zero 0
	.end_amdhsa_kernel
	.section	.text._ZN7rocprim17ROCPRIM_400000_NS6detail17trampoline_kernelINS0_14default_configENS1_27scan_by_key_config_selectorIiyEEZZNS1_16scan_by_key_implILNS1_25lookback_scan_determinismE0ELb1ES3_N6thrust23THRUST_200600_302600_NS6detail15normal_iteratorINS9_10device_ptrIiEEEENSB_INSC_IyEEEESG_yNS9_4plusIvEENS9_8equal_toIvEEyEE10hipError_tPvRmT2_T3_T4_T5_mT6_T7_P12ihipStream_tbENKUlT_T0_E_clISt17integral_constantIbLb1EES10_IbLb0EEEEDaSW_SX_EUlSW_E_NS1_11comp_targetILNS1_3genE0ELNS1_11target_archE4294967295ELNS1_3gpuE0ELNS1_3repE0EEENS1_30default_config_static_selectorELNS0_4arch9wavefront6targetE0EEEvT1_,"axG",@progbits,_ZN7rocprim17ROCPRIM_400000_NS6detail17trampoline_kernelINS0_14default_configENS1_27scan_by_key_config_selectorIiyEEZZNS1_16scan_by_key_implILNS1_25lookback_scan_determinismE0ELb1ES3_N6thrust23THRUST_200600_302600_NS6detail15normal_iteratorINS9_10device_ptrIiEEEENSB_INSC_IyEEEESG_yNS9_4plusIvEENS9_8equal_toIvEEyEE10hipError_tPvRmT2_T3_T4_T5_mT6_T7_P12ihipStream_tbENKUlT_T0_E_clISt17integral_constantIbLb1EES10_IbLb0EEEEDaSW_SX_EUlSW_E_NS1_11comp_targetILNS1_3genE0ELNS1_11target_archE4294967295ELNS1_3gpuE0ELNS1_3repE0EEENS1_30default_config_static_selectorELNS0_4arch9wavefront6targetE0EEEvT1_,comdat
.Lfunc_end1481:
	.size	_ZN7rocprim17ROCPRIM_400000_NS6detail17trampoline_kernelINS0_14default_configENS1_27scan_by_key_config_selectorIiyEEZZNS1_16scan_by_key_implILNS1_25lookback_scan_determinismE0ELb1ES3_N6thrust23THRUST_200600_302600_NS6detail15normal_iteratorINS9_10device_ptrIiEEEENSB_INSC_IyEEEESG_yNS9_4plusIvEENS9_8equal_toIvEEyEE10hipError_tPvRmT2_T3_T4_T5_mT6_T7_P12ihipStream_tbENKUlT_T0_E_clISt17integral_constantIbLb1EES10_IbLb0EEEEDaSW_SX_EUlSW_E_NS1_11comp_targetILNS1_3genE0ELNS1_11target_archE4294967295ELNS1_3gpuE0ELNS1_3repE0EEENS1_30default_config_static_selectorELNS0_4arch9wavefront6targetE0EEEvT1_, .Lfunc_end1481-_ZN7rocprim17ROCPRIM_400000_NS6detail17trampoline_kernelINS0_14default_configENS1_27scan_by_key_config_selectorIiyEEZZNS1_16scan_by_key_implILNS1_25lookback_scan_determinismE0ELb1ES3_N6thrust23THRUST_200600_302600_NS6detail15normal_iteratorINS9_10device_ptrIiEEEENSB_INSC_IyEEEESG_yNS9_4plusIvEENS9_8equal_toIvEEyEE10hipError_tPvRmT2_T3_T4_T5_mT6_T7_P12ihipStream_tbENKUlT_T0_E_clISt17integral_constantIbLb1EES10_IbLb0EEEEDaSW_SX_EUlSW_E_NS1_11comp_targetILNS1_3genE0ELNS1_11target_archE4294967295ELNS1_3gpuE0ELNS1_3repE0EEENS1_30default_config_static_selectorELNS0_4arch9wavefront6targetE0EEEvT1_
                                        ; -- End function
	.set _ZN7rocprim17ROCPRIM_400000_NS6detail17trampoline_kernelINS0_14default_configENS1_27scan_by_key_config_selectorIiyEEZZNS1_16scan_by_key_implILNS1_25lookback_scan_determinismE0ELb1ES3_N6thrust23THRUST_200600_302600_NS6detail15normal_iteratorINS9_10device_ptrIiEEEENSB_INSC_IyEEEESG_yNS9_4plusIvEENS9_8equal_toIvEEyEE10hipError_tPvRmT2_T3_T4_T5_mT6_T7_P12ihipStream_tbENKUlT_T0_E_clISt17integral_constantIbLb1EES10_IbLb0EEEEDaSW_SX_EUlSW_E_NS1_11comp_targetILNS1_3genE0ELNS1_11target_archE4294967295ELNS1_3gpuE0ELNS1_3repE0EEENS1_30default_config_static_selectorELNS0_4arch9wavefront6targetE0EEEvT1_.num_vgpr, 0
	.set _ZN7rocprim17ROCPRIM_400000_NS6detail17trampoline_kernelINS0_14default_configENS1_27scan_by_key_config_selectorIiyEEZZNS1_16scan_by_key_implILNS1_25lookback_scan_determinismE0ELb1ES3_N6thrust23THRUST_200600_302600_NS6detail15normal_iteratorINS9_10device_ptrIiEEEENSB_INSC_IyEEEESG_yNS9_4plusIvEENS9_8equal_toIvEEyEE10hipError_tPvRmT2_T3_T4_T5_mT6_T7_P12ihipStream_tbENKUlT_T0_E_clISt17integral_constantIbLb1EES10_IbLb0EEEEDaSW_SX_EUlSW_E_NS1_11comp_targetILNS1_3genE0ELNS1_11target_archE4294967295ELNS1_3gpuE0ELNS1_3repE0EEENS1_30default_config_static_selectorELNS0_4arch9wavefront6targetE0EEEvT1_.num_agpr, 0
	.set _ZN7rocprim17ROCPRIM_400000_NS6detail17trampoline_kernelINS0_14default_configENS1_27scan_by_key_config_selectorIiyEEZZNS1_16scan_by_key_implILNS1_25lookback_scan_determinismE0ELb1ES3_N6thrust23THRUST_200600_302600_NS6detail15normal_iteratorINS9_10device_ptrIiEEEENSB_INSC_IyEEEESG_yNS9_4plusIvEENS9_8equal_toIvEEyEE10hipError_tPvRmT2_T3_T4_T5_mT6_T7_P12ihipStream_tbENKUlT_T0_E_clISt17integral_constantIbLb1EES10_IbLb0EEEEDaSW_SX_EUlSW_E_NS1_11comp_targetILNS1_3genE0ELNS1_11target_archE4294967295ELNS1_3gpuE0ELNS1_3repE0EEENS1_30default_config_static_selectorELNS0_4arch9wavefront6targetE0EEEvT1_.numbered_sgpr, 0
	.set _ZN7rocprim17ROCPRIM_400000_NS6detail17trampoline_kernelINS0_14default_configENS1_27scan_by_key_config_selectorIiyEEZZNS1_16scan_by_key_implILNS1_25lookback_scan_determinismE0ELb1ES3_N6thrust23THRUST_200600_302600_NS6detail15normal_iteratorINS9_10device_ptrIiEEEENSB_INSC_IyEEEESG_yNS9_4plusIvEENS9_8equal_toIvEEyEE10hipError_tPvRmT2_T3_T4_T5_mT6_T7_P12ihipStream_tbENKUlT_T0_E_clISt17integral_constantIbLb1EES10_IbLb0EEEEDaSW_SX_EUlSW_E_NS1_11comp_targetILNS1_3genE0ELNS1_11target_archE4294967295ELNS1_3gpuE0ELNS1_3repE0EEENS1_30default_config_static_selectorELNS0_4arch9wavefront6targetE0EEEvT1_.num_named_barrier, 0
	.set _ZN7rocprim17ROCPRIM_400000_NS6detail17trampoline_kernelINS0_14default_configENS1_27scan_by_key_config_selectorIiyEEZZNS1_16scan_by_key_implILNS1_25lookback_scan_determinismE0ELb1ES3_N6thrust23THRUST_200600_302600_NS6detail15normal_iteratorINS9_10device_ptrIiEEEENSB_INSC_IyEEEESG_yNS9_4plusIvEENS9_8equal_toIvEEyEE10hipError_tPvRmT2_T3_T4_T5_mT6_T7_P12ihipStream_tbENKUlT_T0_E_clISt17integral_constantIbLb1EES10_IbLb0EEEEDaSW_SX_EUlSW_E_NS1_11comp_targetILNS1_3genE0ELNS1_11target_archE4294967295ELNS1_3gpuE0ELNS1_3repE0EEENS1_30default_config_static_selectorELNS0_4arch9wavefront6targetE0EEEvT1_.private_seg_size, 0
	.set _ZN7rocprim17ROCPRIM_400000_NS6detail17trampoline_kernelINS0_14default_configENS1_27scan_by_key_config_selectorIiyEEZZNS1_16scan_by_key_implILNS1_25lookback_scan_determinismE0ELb1ES3_N6thrust23THRUST_200600_302600_NS6detail15normal_iteratorINS9_10device_ptrIiEEEENSB_INSC_IyEEEESG_yNS9_4plusIvEENS9_8equal_toIvEEyEE10hipError_tPvRmT2_T3_T4_T5_mT6_T7_P12ihipStream_tbENKUlT_T0_E_clISt17integral_constantIbLb1EES10_IbLb0EEEEDaSW_SX_EUlSW_E_NS1_11comp_targetILNS1_3genE0ELNS1_11target_archE4294967295ELNS1_3gpuE0ELNS1_3repE0EEENS1_30default_config_static_selectorELNS0_4arch9wavefront6targetE0EEEvT1_.uses_vcc, 0
	.set _ZN7rocprim17ROCPRIM_400000_NS6detail17trampoline_kernelINS0_14default_configENS1_27scan_by_key_config_selectorIiyEEZZNS1_16scan_by_key_implILNS1_25lookback_scan_determinismE0ELb1ES3_N6thrust23THRUST_200600_302600_NS6detail15normal_iteratorINS9_10device_ptrIiEEEENSB_INSC_IyEEEESG_yNS9_4plusIvEENS9_8equal_toIvEEyEE10hipError_tPvRmT2_T3_T4_T5_mT6_T7_P12ihipStream_tbENKUlT_T0_E_clISt17integral_constantIbLb1EES10_IbLb0EEEEDaSW_SX_EUlSW_E_NS1_11comp_targetILNS1_3genE0ELNS1_11target_archE4294967295ELNS1_3gpuE0ELNS1_3repE0EEENS1_30default_config_static_selectorELNS0_4arch9wavefront6targetE0EEEvT1_.uses_flat_scratch, 0
	.set _ZN7rocprim17ROCPRIM_400000_NS6detail17trampoline_kernelINS0_14default_configENS1_27scan_by_key_config_selectorIiyEEZZNS1_16scan_by_key_implILNS1_25lookback_scan_determinismE0ELb1ES3_N6thrust23THRUST_200600_302600_NS6detail15normal_iteratorINS9_10device_ptrIiEEEENSB_INSC_IyEEEESG_yNS9_4plusIvEENS9_8equal_toIvEEyEE10hipError_tPvRmT2_T3_T4_T5_mT6_T7_P12ihipStream_tbENKUlT_T0_E_clISt17integral_constantIbLb1EES10_IbLb0EEEEDaSW_SX_EUlSW_E_NS1_11comp_targetILNS1_3genE0ELNS1_11target_archE4294967295ELNS1_3gpuE0ELNS1_3repE0EEENS1_30default_config_static_selectorELNS0_4arch9wavefront6targetE0EEEvT1_.has_dyn_sized_stack, 0
	.set _ZN7rocprim17ROCPRIM_400000_NS6detail17trampoline_kernelINS0_14default_configENS1_27scan_by_key_config_selectorIiyEEZZNS1_16scan_by_key_implILNS1_25lookback_scan_determinismE0ELb1ES3_N6thrust23THRUST_200600_302600_NS6detail15normal_iteratorINS9_10device_ptrIiEEEENSB_INSC_IyEEEESG_yNS9_4plusIvEENS9_8equal_toIvEEyEE10hipError_tPvRmT2_T3_T4_T5_mT6_T7_P12ihipStream_tbENKUlT_T0_E_clISt17integral_constantIbLb1EES10_IbLb0EEEEDaSW_SX_EUlSW_E_NS1_11comp_targetILNS1_3genE0ELNS1_11target_archE4294967295ELNS1_3gpuE0ELNS1_3repE0EEENS1_30default_config_static_selectorELNS0_4arch9wavefront6targetE0EEEvT1_.has_recursion, 0
	.set _ZN7rocprim17ROCPRIM_400000_NS6detail17trampoline_kernelINS0_14default_configENS1_27scan_by_key_config_selectorIiyEEZZNS1_16scan_by_key_implILNS1_25lookback_scan_determinismE0ELb1ES3_N6thrust23THRUST_200600_302600_NS6detail15normal_iteratorINS9_10device_ptrIiEEEENSB_INSC_IyEEEESG_yNS9_4plusIvEENS9_8equal_toIvEEyEE10hipError_tPvRmT2_T3_T4_T5_mT6_T7_P12ihipStream_tbENKUlT_T0_E_clISt17integral_constantIbLb1EES10_IbLb0EEEEDaSW_SX_EUlSW_E_NS1_11comp_targetILNS1_3genE0ELNS1_11target_archE4294967295ELNS1_3gpuE0ELNS1_3repE0EEENS1_30default_config_static_selectorELNS0_4arch9wavefront6targetE0EEEvT1_.has_indirect_call, 0
	.section	.AMDGPU.csdata,"",@progbits
; Kernel info:
; codeLenInByte = 4
; TotalNumSgprs: 0
; NumVgprs: 0
; ScratchSize: 0
; MemoryBound: 0
; FloatMode: 240
; IeeeMode: 1
; LDSByteSize: 0 bytes/workgroup (compile time only)
; SGPRBlocks: 0
; VGPRBlocks: 0
; NumSGPRsForWavesPerEU: 1
; NumVGPRsForWavesPerEU: 1
; NamedBarCnt: 0
; Occupancy: 16
; WaveLimiterHint : 0
; COMPUTE_PGM_RSRC2:SCRATCH_EN: 0
; COMPUTE_PGM_RSRC2:USER_SGPR: 2
; COMPUTE_PGM_RSRC2:TRAP_HANDLER: 0
; COMPUTE_PGM_RSRC2:TGID_X_EN: 1
; COMPUTE_PGM_RSRC2:TGID_Y_EN: 0
; COMPUTE_PGM_RSRC2:TGID_Z_EN: 0
; COMPUTE_PGM_RSRC2:TIDIG_COMP_CNT: 0
	.section	.text._ZN7rocprim17ROCPRIM_400000_NS6detail17trampoline_kernelINS0_14default_configENS1_27scan_by_key_config_selectorIiyEEZZNS1_16scan_by_key_implILNS1_25lookback_scan_determinismE0ELb1ES3_N6thrust23THRUST_200600_302600_NS6detail15normal_iteratorINS9_10device_ptrIiEEEENSB_INSC_IyEEEESG_yNS9_4plusIvEENS9_8equal_toIvEEyEE10hipError_tPvRmT2_T3_T4_T5_mT6_T7_P12ihipStream_tbENKUlT_T0_E_clISt17integral_constantIbLb1EES10_IbLb0EEEEDaSW_SX_EUlSW_E_NS1_11comp_targetILNS1_3genE10ELNS1_11target_archE1201ELNS1_3gpuE5ELNS1_3repE0EEENS1_30default_config_static_selectorELNS0_4arch9wavefront6targetE0EEEvT1_,"axG",@progbits,_ZN7rocprim17ROCPRIM_400000_NS6detail17trampoline_kernelINS0_14default_configENS1_27scan_by_key_config_selectorIiyEEZZNS1_16scan_by_key_implILNS1_25lookback_scan_determinismE0ELb1ES3_N6thrust23THRUST_200600_302600_NS6detail15normal_iteratorINS9_10device_ptrIiEEEENSB_INSC_IyEEEESG_yNS9_4plusIvEENS9_8equal_toIvEEyEE10hipError_tPvRmT2_T3_T4_T5_mT6_T7_P12ihipStream_tbENKUlT_T0_E_clISt17integral_constantIbLb1EES10_IbLb0EEEEDaSW_SX_EUlSW_E_NS1_11comp_targetILNS1_3genE10ELNS1_11target_archE1201ELNS1_3gpuE5ELNS1_3repE0EEENS1_30default_config_static_selectorELNS0_4arch9wavefront6targetE0EEEvT1_,comdat
	.protected	_ZN7rocprim17ROCPRIM_400000_NS6detail17trampoline_kernelINS0_14default_configENS1_27scan_by_key_config_selectorIiyEEZZNS1_16scan_by_key_implILNS1_25lookback_scan_determinismE0ELb1ES3_N6thrust23THRUST_200600_302600_NS6detail15normal_iteratorINS9_10device_ptrIiEEEENSB_INSC_IyEEEESG_yNS9_4plusIvEENS9_8equal_toIvEEyEE10hipError_tPvRmT2_T3_T4_T5_mT6_T7_P12ihipStream_tbENKUlT_T0_E_clISt17integral_constantIbLb1EES10_IbLb0EEEEDaSW_SX_EUlSW_E_NS1_11comp_targetILNS1_3genE10ELNS1_11target_archE1201ELNS1_3gpuE5ELNS1_3repE0EEENS1_30default_config_static_selectorELNS0_4arch9wavefront6targetE0EEEvT1_ ; -- Begin function _ZN7rocprim17ROCPRIM_400000_NS6detail17trampoline_kernelINS0_14default_configENS1_27scan_by_key_config_selectorIiyEEZZNS1_16scan_by_key_implILNS1_25lookback_scan_determinismE0ELb1ES3_N6thrust23THRUST_200600_302600_NS6detail15normal_iteratorINS9_10device_ptrIiEEEENSB_INSC_IyEEEESG_yNS9_4plusIvEENS9_8equal_toIvEEyEE10hipError_tPvRmT2_T3_T4_T5_mT6_T7_P12ihipStream_tbENKUlT_T0_E_clISt17integral_constantIbLb1EES10_IbLb0EEEEDaSW_SX_EUlSW_E_NS1_11comp_targetILNS1_3genE10ELNS1_11target_archE1201ELNS1_3gpuE5ELNS1_3repE0EEENS1_30default_config_static_selectorELNS0_4arch9wavefront6targetE0EEEvT1_
	.globl	_ZN7rocprim17ROCPRIM_400000_NS6detail17trampoline_kernelINS0_14default_configENS1_27scan_by_key_config_selectorIiyEEZZNS1_16scan_by_key_implILNS1_25lookback_scan_determinismE0ELb1ES3_N6thrust23THRUST_200600_302600_NS6detail15normal_iteratorINS9_10device_ptrIiEEEENSB_INSC_IyEEEESG_yNS9_4plusIvEENS9_8equal_toIvEEyEE10hipError_tPvRmT2_T3_T4_T5_mT6_T7_P12ihipStream_tbENKUlT_T0_E_clISt17integral_constantIbLb1EES10_IbLb0EEEEDaSW_SX_EUlSW_E_NS1_11comp_targetILNS1_3genE10ELNS1_11target_archE1201ELNS1_3gpuE5ELNS1_3repE0EEENS1_30default_config_static_selectorELNS0_4arch9wavefront6targetE0EEEvT1_
	.p2align	8
	.type	_ZN7rocprim17ROCPRIM_400000_NS6detail17trampoline_kernelINS0_14default_configENS1_27scan_by_key_config_selectorIiyEEZZNS1_16scan_by_key_implILNS1_25lookback_scan_determinismE0ELb1ES3_N6thrust23THRUST_200600_302600_NS6detail15normal_iteratorINS9_10device_ptrIiEEEENSB_INSC_IyEEEESG_yNS9_4plusIvEENS9_8equal_toIvEEyEE10hipError_tPvRmT2_T3_T4_T5_mT6_T7_P12ihipStream_tbENKUlT_T0_E_clISt17integral_constantIbLb1EES10_IbLb0EEEEDaSW_SX_EUlSW_E_NS1_11comp_targetILNS1_3genE10ELNS1_11target_archE1201ELNS1_3gpuE5ELNS1_3repE0EEENS1_30default_config_static_selectorELNS0_4arch9wavefront6targetE0EEEvT1_,@function
_ZN7rocprim17ROCPRIM_400000_NS6detail17trampoline_kernelINS0_14default_configENS1_27scan_by_key_config_selectorIiyEEZZNS1_16scan_by_key_implILNS1_25lookback_scan_determinismE0ELb1ES3_N6thrust23THRUST_200600_302600_NS6detail15normal_iteratorINS9_10device_ptrIiEEEENSB_INSC_IyEEEESG_yNS9_4plusIvEENS9_8equal_toIvEEyEE10hipError_tPvRmT2_T3_T4_T5_mT6_T7_P12ihipStream_tbENKUlT_T0_E_clISt17integral_constantIbLb1EES10_IbLb0EEEEDaSW_SX_EUlSW_E_NS1_11comp_targetILNS1_3genE10ELNS1_11target_archE1201ELNS1_3gpuE5ELNS1_3repE0EEENS1_30default_config_static_selectorELNS0_4arch9wavefront6targetE0EEEvT1_: ; @_ZN7rocprim17ROCPRIM_400000_NS6detail17trampoline_kernelINS0_14default_configENS1_27scan_by_key_config_selectorIiyEEZZNS1_16scan_by_key_implILNS1_25lookback_scan_determinismE0ELb1ES3_N6thrust23THRUST_200600_302600_NS6detail15normal_iteratorINS9_10device_ptrIiEEEENSB_INSC_IyEEEESG_yNS9_4plusIvEENS9_8equal_toIvEEyEE10hipError_tPvRmT2_T3_T4_T5_mT6_T7_P12ihipStream_tbENKUlT_T0_E_clISt17integral_constantIbLb1EES10_IbLb0EEEEDaSW_SX_EUlSW_E_NS1_11comp_targetILNS1_3genE10ELNS1_11target_archE1201ELNS1_3gpuE5ELNS1_3repE0EEENS1_30default_config_static_selectorELNS0_4arch9wavefront6targetE0EEEvT1_
; %bb.0:
	.section	.rodata,"a",@progbits
	.p2align	6, 0x0
	.amdhsa_kernel _ZN7rocprim17ROCPRIM_400000_NS6detail17trampoline_kernelINS0_14default_configENS1_27scan_by_key_config_selectorIiyEEZZNS1_16scan_by_key_implILNS1_25lookback_scan_determinismE0ELb1ES3_N6thrust23THRUST_200600_302600_NS6detail15normal_iteratorINS9_10device_ptrIiEEEENSB_INSC_IyEEEESG_yNS9_4plusIvEENS9_8equal_toIvEEyEE10hipError_tPvRmT2_T3_T4_T5_mT6_T7_P12ihipStream_tbENKUlT_T0_E_clISt17integral_constantIbLb1EES10_IbLb0EEEEDaSW_SX_EUlSW_E_NS1_11comp_targetILNS1_3genE10ELNS1_11target_archE1201ELNS1_3gpuE5ELNS1_3repE0EEENS1_30default_config_static_selectorELNS0_4arch9wavefront6targetE0EEEvT1_
		.amdhsa_group_segment_fixed_size 0
		.amdhsa_private_segment_fixed_size 0
		.amdhsa_kernarg_size 136
		.amdhsa_user_sgpr_count 2
		.amdhsa_user_sgpr_dispatch_ptr 0
		.amdhsa_user_sgpr_queue_ptr 0
		.amdhsa_user_sgpr_kernarg_segment_ptr 1
		.amdhsa_user_sgpr_dispatch_id 0
		.amdhsa_user_sgpr_kernarg_preload_length 0
		.amdhsa_user_sgpr_kernarg_preload_offset 0
		.amdhsa_user_sgpr_private_segment_size 0
		.amdhsa_wavefront_size32 1
		.amdhsa_uses_dynamic_stack 0
		.amdhsa_enable_private_segment 0
		.amdhsa_system_sgpr_workgroup_id_x 1
		.amdhsa_system_sgpr_workgroup_id_y 0
		.amdhsa_system_sgpr_workgroup_id_z 0
		.amdhsa_system_sgpr_workgroup_info 0
		.amdhsa_system_vgpr_workitem_id 0
		.amdhsa_next_free_vgpr 1
		.amdhsa_next_free_sgpr 1
		.amdhsa_named_barrier_count 0
		.amdhsa_reserve_vcc 0
		.amdhsa_float_round_mode_32 0
		.amdhsa_float_round_mode_16_64 0
		.amdhsa_float_denorm_mode_32 3
		.amdhsa_float_denorm_mode_16_64 3
		.amdhsa_fp16_overflow 0
		.amdhsa_memory_ordered 1
		.amdhsa_forward_progress 1
		.amdhsa_inst_pref_size 0
		.amdhsa_round_robin_scheduling 0
		.amdhsa_exception_fp_ieee_invalid_op 0
		.amdhsa_exception_fp_denorm_src 0
		.amdhsa_exception_fp_ieee_div_zero 0
		.amdhsa_exception_fp_ieee_overflow 0
		.amdhsa_exception_fp_ieee_underflow 0
		.amdhsa_exception_fp_ieee_inexact 0
		.amdhsa_exception_int_div_zero 0
	.end_amdhsa_kernel
	.section	.text._ZN7rocprim17ROCPRIM_400000_NS6detail17trampoline_kernelINS0_14default_configENS1_27scan_by_key_config_selectorIiyEEZZNS1_16scan_by_key_implILNS1_25lookback_scan_determinismE0ELb1ES3_N6thrust23THRUST_200600_302600_NS6detail15normal_iteratorINS9_10device_ptrIiEEEENSB_INSC_IyEEEESG_yNS9_4plusIvEENS9_8equal_toIvEEyEE10hipError_tPvRmT2_T3_T4_T5_mT6_T7_P12ihipStream_tbENKUlT_T0_E_clISt17integral_constantIbLb1EES10_IbLb0EEEEDaSW_SX_EUlSW_E_NS1_11comp_targetILNS1_3genE10ELNS1_11target_archE1201ELNS1_3gpuE5ELNS1_3repE0EEENS1_30default_config_static_selectorELNS0_4arch9wavefront6targetE0EEEvT1_,"axG",@progbits,_ZN7rocprim17ROCPRIM_400000_NS6detail17trampoline_kernelINS0_14default_configENS1_27scan_by_key_config_selectorIiyEEZZNS1_16scan_by_key_implILNS1_25lookback_scan_determinismE0ELb1ES3_N6thrust23THRUST_200600_302600_NS6detail15normal_iteratorINS9_10device_ptrIiEEEENSB_INSC_IyEEEESG_yNS9_4plusIvEENS9_8equal_toIvEEyEE10hipError_tPvRmT2_T3_T4_T5_mT6_T7_P12ihipStream_tbENKUlT_T0_E_clISt17integral_constantIbLb1EES10_IbLb0EEEEDaSW_SX_EUlSW_E_NS1_11comp_targetILNS1_3genE10ELNS1_11target_archE1201ELNS1_3gpuE5ELNS1_3repE0EEENS1_30default_config_static_selectorELNS0_4arch9wavefront6targetE0EEEvT1_,comdat
.Lfunc_end1482:
	.size	_ZN7rocprim17ROCPRIM_400000_NS6detail17trampoline_kernelINS0_14default_configENS1_27scan_by_key_config_selectorIiyEEZZNS1_16scan_by_key_implILNS1_25lookback_scan_determinismE0ELb1ES3_N6thrust23THRUST_200600_302600_NS6detail15normal_iteratorINS9_10device_ptrIiEEEENSB_INSC_IyEEEESG_yNS9_4plusIvEENS9_8equal_toIvEEyEE10hipError_tPvRmT2_T3_T4_T5_mT6_T7_P12ihipStream_tbENKUlT_T0_E_clISt17integral_constantIbLb1EES10_IbLb0EEEEDaSW_SX_EUlSW_E_NS1_11comp_targetILNS1_3genE10ELNS1_11target_archE1201ELNS1_3gpuE5ELNS1_3repE0EEENS1_30default_config_static_selectorELNS0_4arch9wavefront6targetE0EEEvT1_, .Lfunc_end1482-_ZN7rocprim17ROCPRIM_400000_NS6detail17trampoline_kernelINS0_14default_configENS1_27scan_by_key_config_selectorIiyEEZZNS1_16scan_by_key_implILNS1_25lookback_scan_determinismE0ELb1ES3_N6thrust23THRUST_200600_302600_NS6detail15normal_iteratorINS9_10device_ptrIiEEEENSB_INSC_IyEEEESG_yNS9_4plusIvEENS9_8equal_toIvEEyEE10hipError_tPvRmT2_T3_T4_T5_mT6_T7_P12ihipStream_tbENKUlT_T0_E_clISt17integral_constantIbLb1EES10_IbLb0EEEEDaSW_SX_EUlSW_E_NS1_11comp_targetILNS1_3genE10ELNS1_11target_archE1201ELNS1_3gpuE5ELNS1_3repE0EEENS1_30default_config_static_selectorELNS0_4arch9wavefront6targetE0EEEvT1_
                                        ; -- End function
	.set _ZN7rocprim17ROCPRIM_400000_NS6detail17trampoline_kernelINS0_14default_configENS1_27scan_by_key_config_selectorIiyEEZZNS1_16scan_by_key_implILNS1_25lookback_scan_determinismE0ELb1ES3_N6thrust23THRUST_200600_302600_NS6detail15normal_iteratorINS9_10device_ptrIiEEEENSB_INSC_IyEEEESG_yNS9_4plusIvEENS9_8equal_toIvEEyEE10hipError_tPvRmT2_T3_T4_T5_mT6_T7_P12ihipStream_tbENKUlT_T0_E_clISt17integral_constantIbLb1EES10_IbLb0EEEEDaSW_SX_EUlSW_E_NS1_11comp_targetILNS1_3genE10ELNS1_11target_archE1201ELNS1_3gpuE5ELNS1_3repE0EEENS1_30default_config_static_selectorELNS0_4arch9wavefront6targetE0EEEvT1_.num_vgpr, 0
	.set _ZN7rocprim17ROCPRIM_400000_NS6detail17trampoline_kernelINS0_14default_configENS1_27scan_by_key_config_selectorIiyEEZZNS1_16scan_by_key_implILNS1_25lookback_scan_determinismE0ELb1ES3_N6thrust23THRUST_200600_302600_NS6detail15normal_iteratorINS9_10device_ptrIiEEEENSB_INSC_IyEEEESG_yNS9_4plusIvEENS9_8equal_toIvEEyEE10hipError_tPvRmT2_T3_T4_T5_mT6_T7_P12ihipStream_tbENKUlT_T0_E_clISt17integral_constantIbLb1EES10_IbLb0EEEEDaSW_SX_EUlSW_E_NS1_11comp_targetILNS1_3genE10ELNS1_11target_archE1201ELNS1_3gpuE5ELNS1_3repE0EEENS1_30default_config_static_selectorELNS0_4arch9wavefront6targetE0EEEvT1_.num_agpr, 0
	.set _ZN7rocprim17ROCPRIM_400000_NS6detail17trampoline_kernelINS0_14default_configENS1_27scan_by_key_config_selectorIiyEEZZNS1_16scan_by_key_implILNS1_25lookback_scan_determinismE0ELb1ES3_N6thrust23THRUST_200600_302600_NS6detail15normal_iteratorINS9_10device_ptrIiEEEENSB_INSC_IyEEEESG_yNS9_4plusIvEENS9_8equal_toIvEEyEE10hipError_tPvRmT2_T3_T4_T5_mT6_T7_P12ihipStream_tbENKUlT_T0_E_clISt17integral_constantIbLb1EES10_IbLb0EEEEDaSW_SX_EUlSW_E_NS1_11comp_targetILNS1_3genE10ELNS1_11target_archE1201ELNS1_3gpuE5ELNS1_3repE0EEENS1_30default_config_static_selectorELNS0_4arch9wavefront6targetE0EEEvT1_.numbered_sgpr, 0
	.set _ZN7rocprim17ROCPRIM_400000_NS6detail17trampoline_kernelINS0_14default_configENS1_27scan_by_key_config_selectorIiyEEZZNS1_16scan_by_key_implILNS1_25lookback_scan_determinismE0ELb1ES3_N6thrust23THRUST_200600_302600_NS6detail15normal_iteratorINS9_10device_ptrIiEEEENSB_INSC_IyEEEESG_yNS9_4plusIvEENS9_8equal_toIvEEyEE10hipError_tPvRmT2_T3_T4_T5_mT6_T7_P12ihipStream_tbENKUlT_T0_E_clISt17integral_constantIbLb1EES10_IbLb0EEEEDaSW_SX_EUlSW_E_NS1_11comp_targetILNS1_3genE10ELNS1_11target_archE1201ELNS1_3gpuE5ELNS1_3repE0EEENS1_30default_config_static_selectorELNS0_4arch9wavefront6targetE0EEEvT1_.num_named_barrier, 0
	.set _ZN7rocprim17ROCPRIM_400000_NS6detail17trampoline_kernelINS0_14default_configENS1_27scan_by_key_config_selectorIiyEEZZNS1_16scan_by_key_implILNS1_25lookback_scan_determinismE0ELb1ES3_N6thrust23THRUST_200600_302600_NS6detail15normal_iteratorINS9_10device_ptrIiEEEENSB_INSC_IyEEEESG_yNS9_4plusIvEENS9_8equal_toIvEEyEE10hipError_tPvRmT2_T3_T4_T5_mT6_T7_P12ihipStream_tbENKUlT_T0_E_clISt17integral_constantIbLb1EES10_IbLb0EEEEDaSW_SX_EUlSW_E_NS1_11comp_targetILNS1_3genE10ELNS1_11target_archE1201ELNS1_3gpuE5ELNS1_3repE0EEENS1_30default_config_static_selectorELNS0_4arch9wavefront6targetE0EEEvT1_.private_seg_size, 0
	.set _ZN7rocprim17ROCPRIM_400000_NS6detail17trampoline_kernelINS0_14default_configENS1_27scan_by_key_config_selectorIiyEEZZNS1_16scan_by_key_implILNS1_25lookback_scan_determinismE0ELb1ES3_N6thrust23THRUST_200600_302600_NS6detail15normal_iteratorINS9_10device_ptrIiEEEENSB_INSC_IyEEEESG_yNS9_4plusIvEENS9_8equal_toIvEEyEE10hipError_tPvRmT2_T3_T4_T5_mT6_T7_P12ihipStream_tbENKUlT_T0_E_clISt17integral_constantIbLb1EES10_IbLb0EEEEDaSW_SX_EUlSW_E_NS1_11comp_targetILNS1_3genE10ELNS1_11target_archE1201ELNS1_3gpuE5ELNS1_3repE0EEENS1_30default_config_static_selectorELNS0_4arch9wavefront6targetE0EEEvT1_.uses_vcc, 0
	.set _ZN7rocprim17ROCPRIM_400000_NS6detail17trampoline_kernelINS0_14default_configENS1_27scan_by_key_config_selectorIiyEEZZNS1_16scan_by_key_implILNS1_25lookback_scan_determinismE0ELb1ES3_N6thrust23THRUST_200600_302600_NS6detail15normal_iteratorINS9_10device_ptrIiEEEENSB_INSC_IyEEEESG_yNS9_4plusIvEENS9_8equal_toIvEEyEE10hipError_tPvRmT2_T3_T4_T5_mT6_T7_P12ihipStream_tbENKUlT_T0_E_clISt17integral_constantIbLb1EES10_IbLb0EEEEDaSW_SX_EUlSW_E_NS1_11comp_targetILNS1_3genE10ELNS1_11target_archE1201ELNS1_3gpuE5ELNS1_3repE0EEENS1_30default_config_static_selectorELNS0_4arch9wavefront6targetE0EEEvT1_.uses_flat_scratch, 0
	.set _ZN7rocprim17ROCPRIM_400000_NS6detail17trampoline_kernelINS0_14default_configENS1_27scan_by_key_config_selectorIiyEEZZNS1_16scan_by_key_implILNS1_25lookback_scan_determinismE0ELb1ES3_N6thrust23THRUST_200600_302600_NS6detail15normal_iteratorINS9_10device_ptrIiEEEENSB_INSC_IyEEEESG_yNS9_4plusIvEENS9_8equal_toIvEEyEE10hipError_tPvRmT2_T3_T4_T5_mT6_T7_P12ihipStream_tbENKUlT_T0_E_clISt17integral_constantIbLb1EES10_IbLb0EEEEDaSW_SX_EUlSW_E_NS1_11comp_targetILNS1_3genE10ELNS1_11target_archE1201ELNS1_3gpuE5ELNS1_3repE0EEENS1_30default_config_static_selectorELNS0_4arch9wavefront6targetE0EEEvT1_.has_dyn_sized_stack, 0
	.set _ZN7rocprim17ROCPRIM_400000_NS6detail17trampoline_kernelINS0_14default_configENS1_27scan_by_key_config_selectorIiyEEZZNS1_16scan_by_key_implILNS1_25lookback_scan_determinismE0ELb1ES3_N6thrust23THRUST_200600_302600_NS6detail15normal_iteratorINS9_10device_ptrIiEEEENSB_INSC_IyEEEESG_yNS9_4plusIvEENS9_8equal_toIvEEyEE10hipError_tPvRmT2_T3_T4_T5_mT6_T7_P12ihipStream_tbENKUlT_T0_E_clISt17integral_constantIbLb1EES10_IbLb0EEEEDaSW_SX_EUlSW_E_NS1_11comp_targetILNS1_3genE10ELNS1_11target_archE1201ELNS1_3gpuE5ELNS1_3repE0EEENS1_30default_config_static_selectorELNS0_4arch9wavefront6targetE0EEEvT1_.has_recursion, 0
	.set _ZN7rocprim17ROCPRIM_400000_NS6detail17trampoline_kernelINS0_14default_configENS1_27scan_by_key_config_selectorIiyEEZZNS1_16scan_by_key_implILNS1_25lookback_scan_determinismE0ELb1ES3_N6thrust23THRUST_200600_302600_NS6detail15normal_iteratorINS9_10device_ptrIiEEEENSB_INSC_IyEEEESG_yNS9_4plusIvEENS9_8equal_toIvEEyEE10hipError_tPvRmT2_T3_T4_T5_mT6_T7_P12ihipStream_tbENKUlT_T0_E_clISt17integral_constantIbLb1EES10_IbLb0EEEEDaSW_SX_EUlSW_E_NS1_11comp_targetILNS1_3genE10ELNS1_11target_archE1201ELNS1_3gpuE5ELNS1_3repE0EEENS1_30default_config_static_selectorELNS0_4arch9wavefront6targetE0EEEvT1_.has_indirect_call, 0
	.section	.AMDGPU.csdata,"",@progbits
; Kernel info:
; codeLenInByte = 0
; TotalNumSgprs: 0
; NumVgprs: 0
; ScratchSize: 0
; MemoryBound: 0
; FloatMode: 240
; IeeeMode: 1
; LDSByteSize: 0 bytes/workgroup (compile time only)
; SGPRBlocks: 0
; VGPRBlocks: 0
; NumSGPRsForWavesPerEU: 1
; NumVGPRsForWavesPerEU: 1
; NamedBarCnt: 0
; Occupancy: 16
; WaveLimiterHint : 0
; COMPUTE_PGM_RSRC2:SCRATCH_EN: 0
; COMPUTE_PGM_RSRC2:USER_SGPR: 2
; COMPUTE_PGM_RSRC2:TRAP_HANDLER: 0
; COMPUTE_PGM_RSRC2:TGID_X_EN: 1
; COMPUTE_PGM_RSRC2:TGID_Y_EN: 0
; COMPUTE_PGM_RSRC2:TGID_Z_EN: 0
; COMPUTE_PGM_RSRC2:TIDIG_COMP_CNT: 0
	.section	.text._ZN7rocprim17ROCPRIM_400000_NS6detail17trampoline_kernelINS0_14default_configENS1_27scan_by_key_config_selectorIiyEEZZNS1_16scan_by_key_implILNS1_25lookback_scan_determinismE0ELb1ES3_N6thrust23THRUST_200600_302600_NS6detail15normal_iteratorINS9_10device_ptrIiEEEENSB_INSC_IyEEEESG_yNS9_4plusIvEENS9_8equal_toIvEEyEE10hipError_tPvRmT2_T3_T4_T5_mT6_T7_P12ihipStream_tbENKUlT_T0_E_clISt17integral_constantIbLb1EES10_IbLb0EEEEDaSW_SX_EUlSW_E_NS1_11comp_targetILNS1_3genE5ELNS1_11target_archE942ELNS1_3gpuE9ELNS1_3repE0EEENS1_30default_config_static_selectorELNS0_4arch9wavefront6targetE0EEEvT1_,"axG",@progbits,_ZN7rocprim17ROCPRIM_400000_NS6detail17trampoline_kernelINS0_14default_configENS1_27scan_by_key_config_selectorIiyEEZZNS1_16scan_by_key_implILNS1_25lookback_scan_determinismE0ELb1ES3_N6thrust23THRUST_200600_302600_NS6detail15normal_iteratorINS9_10device_ptrIiEEEENSB_INSC_IyEEEESG_yNS9_4plusIvEENS9_8equal_toIvEEyEE10hipError_tPvRmT2_T3_T4_T5_mT6_T7_P12ihipStream_tbENKUlT_T0_E_clISt17integral_constantIbLb1EES10_IbLb0EEEEDaSW_SX_EUlSW_E_NS1_11comp_targetILNS1_3genE5ELNS1_11target_archE942ELNS1_3gpuE9ELNS1_3repE0EEENS1_30default_config_static_selectorELNS0_4arch9wavefront6targetE0EEEvT1_,comdat
	.protected	_ZN7rocprim17ROCPRIM_400000_NS6detail17trampoline_kernelINS0_14default_configENS1_27scan_by_key_config_selectorIiyEEZZNS1_16scan_by_key_implILNS1_25lookback_scan_determinismE0ELb1ES3_N6thrust23THRUST_200600_302600_NS6detail15normal_iteratorINS9_10device_ptrIiEEEENSB_INSC_IyEEEESG_yNS9_4plusIvEENS9_8equal_toIvEEyEE10hipError_tPvRmT2_T3_T4_T5_mT6_T7_P12ihipStream_tbENKUlT_T0_E_clISt17integral_constantIbLb1EES10_IbLb0EEEEDaSW_SX_EUlSW_E_NS1_11comp_targetILNS1_3genE5ELNS1_11target_archE942ELNS1_3gpuE9ELNS1_3repE0EEENS1_30default_config_static_selectorELNS0_4arch9wavefront6targetE0EEEvT1_ ; -- Begin function _ZN7rocprim17ROCPRIM_400000_NS6detail17trampoline_kernelINS0_14default_configENS1_27scan_by_key_config_selectorIiyEEZZNS1_16scan_by_key_implILNS1_25lookback_scan_determinismE0ELb1ES3_N6thrust23THRUST_200600_302600_NS6detail15normal_iteratorINS9_10device_ptrIiEEEENSB_INSC_IyEEEESG_yNS9_4plusIvEENS9_8equal_toIvEEyEE10hipError_tPvRmT2_T3_T4_T5_mT6_T7_P12ihipStream_tbENKUlT_T0_E_clISt17integral_constantIbLb1EES10_IbLb0EEEEDaSW_SX_EUlSW_E_NS1_11comp_targetILNS1_3genE5ELNS1_11target_archE942ELNS1_3gpuE9ELNS1_3repE0EEENS1_30default_config_static_selectorELNS0_4arch9wavefront6targetE0EEEvT1_
	.globl	_ZN7rocprim17ROCPRIM_400000_NS6detail17trampoline_kernelINS0_14default_configENS1_27scan_by_key_config_selectorIiyEEZZNS1_16scan_by_key_implILNS1_25lookback_scan_determinismE0ELb1ES3_N6thrust23THRUST_200600_302600_NS6detail15normal_iteratorINS9_10device_ptrIiEEEENSB_INSC_IyEEEESG_yNS9_4plusIvEENS9_8equal_toIvEEyEE10hipError_tPvRmT2_T3_T4_T5_mT6_T7_P12ihipStream_tbENKUlT_T0_E_clISt17integral_constantIbLb1EES10_IbLb0EEEEDaSW_SX_EUlSW_E_NS1_11comp_targetILNS1_3genE5ELNS1_11target_archE942ELNS1_3gpuE9ELNS1_3repE0EEENS1_30default_config_static_selectorELNS0_4arch9wavefront6targetE0EEEvT1_
	.p2align	8
	.type	_ZN7rocprim17ROCPRIM_400000_NS6detail17trampoline_kernelINS0_14default_configENS1_27scan_by_key_config_selectorIiyEEZZNS1_16scan_by_key_implILNS1_25lookback_scan_determinismE0ELb1ES3_N6thrust23THRUST_200600_302600_NS6detail15normal_iteratorINS9_10device_ptrIiEEEENSB_INSC_IyEEEESG_yNS9_4plusIvEENS9_8equal_toIvEEyEE10hipError_tPvRmT2_T3_T4_T5_mT6_T7_P12ihipStream_tbENKUlT_T0_E_clISt17integral_constantIbLb1EES10_IbLb0EEEEDaSW_SX_EUlSW_E_NS1_11comp_targetILNS1_3genE5ELNS1_11target_archE942ELNS1_3gpuE9ELNS1_3repE0EEENS1_30default_config_static_selectorELNS0_4arch9wavefront6targetE0EEEvT1_,@function
_ZN7rocprim17ROCPRIM_400000_NS6detail17trampoline_kernelINS0_14default_configENS1_27scan_by_key_config_selectorIiyEEZZNS1_16scan_by_key_implILNS1_25lookback_scan_determinismE0ELb1ES3_N6thrust23THRUST_200600_302600_NS6detail15normal_iteratorINS9_10device_ptrIiEEEENSB_INSC_IyEEEESG_yNS9_4plusIvEENS9_8equal_toIvEEyEE10hipError_tPvRmT2_T3_T4_T5_mT6_T7_P12ihipStream_tbENKUlT_T0_E_clISt17integral_constantIbLb1EES10_IbLb0EEEEDaSW_SX_EUlSW_E_NS1_11comp_targetILNS1_3genE5ELNS1_11target_archE942ELNS1_3gpuE9ELNS1_3repE0EEENS1_30default_config_static_selectorELNS0_4arch9wavefront6targetE0EEEvT1_: ; @_ZN7rocprim17ROCPRIM_400000_NS6detail17trampoline_kernelINS0_14default_configENS1_27scan_by_key_config_selectorIiyEEZZNS1_16scan_by_key_implILNS1_25lookback_scan_determinismE0ELb1ES3_N6thrust23THRUST_200600_302600_NS6detail15normal_iteratorINS9_10device_ptrIiEEEENSB_INSC_IyEEEESG_yNS9_4plusIvEENS9_8equal_toIvEEyEE10hipError_tPvRmT2_T3_T4_T5_mT6_T7_P12ihipStream_tbENKUlT_T0_E_clISt17integral_constantIbLb1EES10_IbLb0EEEEDaSW_SX_EUlSW_E_NS1_11comp_targetILNS1_3genE5ELNS1_11target_archE942ELNS1_3gpuE9ELNS1_3repE0EEENS1_30default_config_static_selectorELNS0_4arch9wavefront6targetE0EEEvT1_
; %bb.0:
	.section	.rodata,"a",@progbits
	.p2align	6, 0x0
	.amdhsa_kernel _ZN7rocprim17ROCPRIM_400000_NS6detail17trampoline_kernelINS0_14default_configENS1_27scan_by_key_config_selectorIiyEEZZNS1_16scan_by_key_implILNS1_25lookback_scan_determinismE0ELb1ES3_N6thrust23THRUST_200600_302600_NS6detail15normal_iteratorINS9_10device_ptrIiEEEENSB_INSC_IyEEEESG_yNS9_4plusIvEENS9_8equal_toIvEEyEE10hipError_tPvRmT2_T3_T4_T5_mT6_T7_P12ihipStream_tbENKUlT_T0_E_clISt17integral_constantIbLb1EES10_IbLb0EEEEDaSW_SX_EUlSW_E_NS1_11comp_targetILNS1_3genE5ELNS1_11target_archE942ELNS1_3gpuE9ELNS1_3repE0EEENS1_30default_config_static_selectorELNS0_4arch9wavefront6targetE0EEEvT1_
		.amdhsa_group_segment_fixed_size 0
		.amdhsa_private_segment_fixed_size 0
		.amdhsa_kernarg_size 136
		.amdhsa_user_sgpr_count 2
		.amdhsa_user_sgpr_dispatch_ptr 0
		.amdhsa_user_sgpr_queue_ptr 0
		.amdhsa_user_sgpr_kernarg_segment_ptr 1
		.amdhsa_user_sgpr_dispatch_id 0
		.amdhsa_user_sgpr_kernarg_preload_length 0
		.amdhsa_user_sgpr_kernarg_preload_offset 0
		.amdhsa_user_sgpr_private_segment_size 0
		.amdhsa_wavefront_size32 1
		.amdhsa_uses_dynamic_stack 0
		.amdhsa_enable_private_segment 0
		.amdhsa_system_sgpr_workgroup_id_x 1
		.amdhsa_system_sgpr_workgroup_id_y 0
		.amdhsa_system_sgpr_workgroup_id_z 0
		.amdhsa_system_sgpr_workgroup_info 0
		.amdhsa_system_vgpr_workitem_id 0
		.amdhsa_next_free_vgpr 1
		.amdhsa_next_free_sgpr 1
		.amdhsa_named_barrier_count 0
		.amdhsa_reserve_vcc 0
		.amdhsa_float_round_mode_32 0
		.amdhsa_float_round_mode_16_64 0
		.amdhsa_float_denorm_mode_32 3
		.amdhsa_float_denorm_mode_16_64 3
		.amdhsa_fp16_overflow 0
		.amdhsa_memory_ordered 1
		.amdhsa_forward_progress 1
		.amdhsa_inst_pref_size 0
		.amdhsa_round_robin_scheduling 0
		.amdhsa_exception_fp_ieee_invalid_op 0
		.amdhsa_exception_fp_denorm_src 0
		.amdhsa_exception_fp_ieee_div_zero 0
		.amdhsa_exception_fp_ieee_overflow 0
		.amdhsa_exception_fp_ieee_underflow 0
		.amdhsa_exception_fp_ieee_inexact 0
		.amdhsa_exception_int_div_zero 0
	.end_amdhsa_kernel
	.section	.text._ZN7rocprim17ROCPRIM_400000_NS6detail17trampoline_kernelINS0_14default_configENS1_27scan_by_key_config_selectorIiyEEZZNS1_16scan_by_key_implILNS1_25lookback_scan_determinismE0ELb1ES3_N6thrust23THRUST_200600_302600_NS6detail15normal_iteratorINS9_10device_ptrIiEEEENSB_INSC_IyEEEESG_yNS9_4plusIvEENS9_8equal_toIvEEyEE10hipError_tPvRmT2_T3_T4_T5_mT6_T7_P12ihipStream_tbENKUlT_T0_E_clISt17integral_constantIbLb1EES10_IbLb0EEEEDaSW_SX_EUlSW_E_NS1_11comp_targetILNS1_3genE5ELNS1_11target_archE942ELNS1_3gpuE9ELNS1_3repE0EEENS1_30default_config_static_selectorELNS0_4arch9wavefront6targetE0EEEvT1_,"axG",@progbits,_ZN7rocprim17ROCPRIM_400000_NS6detail17trampoline_kernelINS0_14default_configENS1_27scan_by_key_config_selectorIiyEEZZNS1_16scan_by_key_implILNS1_25lookback_scan_determinismE0ELb1ES3_N6thrust23THRUST_200600_302600_NS6detail15normal_iteratorINS9_10device_ptrIiEEEENSB_INSC_IyEEEESG_yNS9_4plusIvEENS9_8equal_toIvEEyEE10hipError_tPvRmT2_T3_T4_T5_mT6_T7_P12ihipStream_tbENKUlT_T0_E_clISt17integral_constantIbLb1EES10_IbLb0EEEEDaSW_SX_EUlSW_E_NS1_11comp_targetILNS1_3genE5ELNS1_11target_archE942ELNS1_3gpuE9ELNS1_3repE0EEENS1_30default_config_static_selectorELNS0_4arch9wavefront6targetE0EEEvT1_,comdat
.Lfunc_end1483:
	.size	_ZN7rocprim17ROCPRIM_400000_NS6detail17trampoline_kernelINS0_14default_configENS1_27scan_by_key_config_selectorIiyEEZZNS1_16scan_by_key_implILNS1_25lookback_scan_determinismE0ELb1ES3_N6thrust23THRUST_200600_302600_NS6detail15normal_iteratorINS9_10device_ptrIiEEEENSB_INSC_IyEEEESG_yNS9_4plusIvEENS9_8equal_toIvEEyEE10hipError_tPvRmT2_T3_T4_T5_mT6_T7_P12ihipStream_tbENKUlT_T0_E_clISt17integral_constantIbLb1EES10_IbLb0EEEEDaSW_SX_EUlSW_E_NS1_11comp_targetILNS1_3genE5ELNS1_11target_archE942ELNS1_3gpuE9ELNS1_3repE0EEENS1_30default_config_static_selectorELNS0_4arch9wavefront6targetE0EEEvT1_, .Lfunc_end1483-_ZN7rocprim17ROCPRIM_400000_NS6detail17trampoline_kernelINS0_14default_configENS1_27scan_by_key_config_selectorIiyEEZZNS1_16scan_by_key_implILNS1_25lookback_scan_determinismE0ELb1ES3_N6thrust23THRUST_200600_302600_NS6detail15normal_iteratorINS9_10device_ptrIiEEEENSB_INSC_IyEEEESG_yNS9_4plusIvEENS9_8equal_toIvEEyEE10hipError_tPvRmT2_T3_T4_T5_mT6_T7_P12ihipStream_tbENKUlT_T0_E_clISt17integral_constantIbLb1EES10_IbLb0EEEEDaSW_SX_EUlSW_E_NS1_11comp_targetILNS1_3genE5ELNS1_11target_archE942ELNS1_3gpuE9ELNS1_3repE0EEENS1_30default_config_static_selectorELNS0_4arch9wavefront6targetE0EEEvT1_
                                        ; -- End function
	.set _ZN7rocprim17ROCPRIM_400000_NS6detail17trampoline_kernelINS0_14default_configENS1_27scan_by_key_config_selectorIiyEEZZNS1_16scan_by_key_implILNS1_25lookback_scan_determinismE0ELb1ES3_N6thrust23THRUST_200600_302600_NS6detail15normal_iteratorINS9_10device_ptrIiEEEENSB_INSC_IyEEEESG_yNS9_4plusIvEENS9_8equal_toIvEEyEE10hipError_tPvRmT2_T3_T4_T5_mT6_T7_P12ihipStream_tbENKUlT_T0_E_clISt17integral_constantIbLb1EES10_IbLb0EEEEDaSW_SX_EUlSW_E_NS1_11comp_targetILNS1_3genE5ELNS1_11target_archE942ELNS1_3gpuE9ELNS1_3repE0EEENS1_30default_config_static_selectorELNS0_4arch9wavefront6targetE0EEEvT1_.num_vgpr, 0
	.set _ZN7rocprim17ROCPRIM_400000_NS6detail17trampoline_kernelINS0_14default_configENS1_27scan_by_key_config_selectorIiyEEZZNS1_16scan_by_key_implILNS1_25lookback_scan_determinismE0ELb1ES3_N6thrust23THRUST_200600_302600_NS6detail15normal_iteratorINS9_10device_ptrIiEEEENSB_INSC_IyEEEESG_yNS9_4plusIvEENS9_8equal_toIvEEyEE10hipError_tPvRmT2_T3_T4_T5_mT6_T7_P12ihipStream_tbENKUlT_T0_E_clISt17integral_constantIbLb1EES10_IbLb0EEEEDaSW_SX_EUlSW_E_NS1_11comp_targetILNS1_3genE5ELNS1_11target_archE942ELNS1_3gpuE9ELNS1_3repE0EEENS1_30default_config_static_selectorELNS0_4arch9wavefront6targetE0EEEvT1_.num_agpr, 0
	.set _ZN7rocprim17ROCPRIM_400000_NS6detail17trampoline_kernelINS0_14default_configENS1_27scan_by_key_config_selectorIiyEEZZNS1_16scan_by_key_implILNS1_25lookback_scan_determinismE0ELb1ES3_N6thrust23THRUST_200600_302600_NS6detail15normal_iteratorINS9_10device_ptrIiEEEENSB_INSC_IyEEEESG_yNS9_4plusIvEENS9_8equal_toIvEEyEE10hipError_tPvRmT2_T3_T4_T5_mT6_T7_P12ihipStream_tbENKUlT_T0_E_clISt17integral_constantIbLb1EES10_IbLb0EEEEDaSW_SX_EUlSW_E_NS1_11comp_targetILNS1_3genE5ELNS1_11target_archE942ELNS1_3gpuE9ELNS1_3repE0EEENS1_30default_config_static_selectorELNS0_4arch9wavefront6targetE0EEEvT1_.numbered_sgpr, 0
	.set _ZN7rocprim17ROCPRIM_400000_NS6detail17trampoline_kernelINS0_14default_configENS1_27scan_by_key_config_selectorIiyEEZZNS1_16scan_by_key_implILNS1_25lookback_scan_determinismE0ELb1ES3_N6thrust23THRUST_200600_302600_NS6detail15normal_iteratorINS9_10device_ptrIiEEEENSB_INSC_IyEEEESG_yNS9_4plusIvEENS9_8equal_toIvEEyEE10hipError_tPvRmT2_T3_T4_T5_mT6_T7_P12ihipStream_tbENKUlT_T0_E_clISt17integral_constantIbLb1EES10_IbLb0EEEEDaSW_SX_EUlSW_E_NS1_11comp_targetILNS1_3genE5ELNS1_11target_archE942ELNS1_3gpuE9ELNS1_3repE0EEENS1_30default_config_static_selectorELNS0_4arch9wavefront6targetE0EEEvT1_.num_named_barrier, 0
	.set _ZN7rocprim17ROCPRIM_400000_NS6detail17trampoline_kernelINS0_14default_configENS1_27scan_by_key_config_selectorIiyEEZZNS1_16scan_by_key_implILNS1_25lookback_scan_determinismE0ELb1ES3_N6thrust23THRUST_200600_302600_NS6detail15normal_iteratorINS9_10device_ptrIiEEEENSB_INSC_IyEEEESG_yNS9_4plusIvEENS9_8equal_toIvEEyEE10hipError_tPvRmT2_T3_T4_T5_mT6_T7_P12ihipStream_tbENKUlT_T0_E_clISt17integral_constantIbLb1EES10_IbLb0EEEEDaSW_SX_EUlSW_E_NS1_11comp_targetILNS1_3genE5ELNS1_11target_archE942ELNS1_3gpuE9ELNS1_3repE0EEENS1_30default_config_static_selectorELNS0_4arch9wavefront6targetE0EEEvT1_.private_seg_size, 0
	.set _ZN7rocprim17ROCPRIM_400000_NS6detail17trampoline_kernelINS0_14default_configENS1_27scan_by_key_config_selectorIiyEEZZNS1_16scan_by_key_implILNS1_25lookback_scan_determinismE0ELb1ES3_N6thrust23THRUST_200600_302600_NS6detail15normal_iteratorINS9_10device_ptrIiEEEENSB_INSC_IyEEEESG_yNS9_4plusIvEENS9_8equal_toIvEEyEE10hipError_tPvRmT2_T3_T4_T5_mT6_T7_P12ihipStream_tbENKUlT_T0_E_clISt17integral_constantIbLb1EES10_IbLb0EEEEDaSW_SX_EUlSW_E_NS1_11comp_targetILNS1_3genE5ELNS1_11target_archE942ELNS1_3gpuE9ELNS1_3repE0EEENS1_30default_config_static_selectorELNS0_4arch9wavefront6targetE0EEEvT1_.uses_vcc, 0
	.set _ZN7rocprim17ROCPRIM_400000_NS6detail17trampoline_kernelINS0_14default_configENS1_27scan_by_key_config_selectorIiyEEZZNS1_16scan_by_key_implILNS1_25lookback_scan_determinismE0ELb1ES3_N6thrust23THRUST_200600_302600_NS6detail15normal_iteratorINS9_10device_ptrIiEEEENSB_INSC_IyEEEESG_yNS9_4plusIvEENS9_8equal_toIvEEyEE10hipError_tPvRmT2_T3_T4_T5_mT6_T7_P12ihipStream_tbENKUlT_T0_E_clISt17integral_constantIbLb1EES10_IbLb0EEEEDaSW_SX_EUlSW_E_NS1_11comp_targetILNS1_3genE5ELNS1_11target_archE942ELNS1_3gpuE9ELNS1_3repE0EEENS1_30default_config_static_selectorELNS0_4arch9wavefront6targetE0EEEvT1_.uses_flat_scratch, 0
	.set _ZN7rocprim17ROCPRIM_400000_NS6detail17trampoline_kernelINS0_14default_configENS1_27scan_by_key_config_selectorIiyEEZZNS1_16scan_by_key_implILNS1_25lookback_scan_determinismE0ELb1ES3_N6thrust23THRUST_200600_302600_NS6detail15normal_iteratorINS9_10device_ptrIiEEEENSB_INSC_IyEEEESG_yNS9_4plusIvEENS9_8equal_toIvEEyEE10hipError_tPvRmT2_T3_T4_T5_mT6_T7_P12ihipStream_tbENKUlT_T0_E_clISt17integral_constantIbLb1EES10_IbLb0EEEEDaSW_SX_EUlSW_E_NS1_11comp_targetILNS1_3genE5ELNS1_11target_archE942ELNS1_3gpuE9ELNS1_3repE0EEENS1_30default_config_static_selectorELNS0_4arch9wavefront6targetE0EEEvT1_.has_dyn_sized_stack, 0
	.set _ZN7rocprim17ROCPRIM_400000_NS6detail17trampoline_kernelINS0_14default_configENS1_27scan_by_key_config_selectorIiyEEZZNS1_16scan_by_key_implILNS1_25lookback_scan_determinismE0ELb1ES3_N6thrust23THRUST_200600_302600_NS6detail15normal_iteratorINS9_10device_ptrIiEEEENSB_INSC_IyEEEESG_yNS9_4plusIvEENS9_8equal_toIvEEyEE10hipError_tPvRmT2_T3_T4_T5_mT6_T7_P12ihipStream_tbENKUlT_T0_E_clISt17integral_constantIbLb1EES10_IbLb0EEEEDaSW_SX_EUlSW_E_NS1_11comp_targetILNS1_3genE5ELNS1_11target_archE942ELNS1_3gpuE9ELNS1_3repE0EEENS1_30default_config_static_selectorELNS0_4arch9wavefront6targetE0EEEvT1_.has_recursion, 0
	.set _ZN7rocprim17ROCPRIM_400000_NS6detail17trampoline_kernelINS0_14default_configENS1_27scan_by_key_config_selectorIiyEEZZNS1_16scan_by_key_implILNS1_25lookback_scan_determinismE0ELb1ES3_N6thrust23THRUST_200600_302600_NS6detail15normal_iteratorINS9_10device_ptrIiEEEENSB_INSC_IyEEEESG_yNS9_4plusIvEENS9_8equal_toIvEEyEE10hipError_tPvRmT2_T3_T4_T5_mT6_T7_P12ihipStream_tbENKUlT_T0_E_clISt17integral_constantIbLb1EES10_IbLb0EEEEDaSW_SX_EUlSW_E_NS1_11comp_targetILNS1_3genE5ELNS1_11target_archE942ELNS1_3gpuE9ELNS1_3repE0EEENS1_30default_config_static_selectorELNS0_4arch9wavefront6targetE0EEEvT1_.has_indirect_call, 0
	.section	.AMDGPU.csdata,"",@progbits
; Kernel info:
; codeLenInByte = 0
; TotalNumSgprs: 0
; NumVgprs: 0
; ScratchSize: 0
; MemoryBound: 0
; FloatMode: 240
; IeeeMode: 1
; LDSByteSize: 0 bytes/workgroup (compile time only)
; SGPRBlocks: 0
; VGPRBlocks: 0
; NumSGPRsForWavesPerEU: 1
; NumVGPRsForWavesPerEU: 1
; NamedBarCnt: 0
; Occupancy: 16
; WaveLimiterHint : 0
; COMPUTE_PGM_RSRC2:SCRATCH_EN: 0
; COMPUTE_PGM_RSRC2:USER_SGPR: 2
; COMPUTE_PGM_RSRC2:TRAP_HANDLER: 0
; COMPUTE_PGM_RSRC2:TGID_X_EN: 1
; COMPUTE_PGM_RSRC2:TGID_Y_EN: 0
; COMPUTE_PGM_RSRC2:TGID_Z_EN: 0
; COMPUTE_PGM_RSRC2:TIDIG_COMP_CNT: 0
	.section	.text._ZN7rocprim17ROCPRIM_400000_NS6detail17trampoline_kernelINS0_14default_configENS1_27scan_by_key_config_selectorIiyEEZZNS1_16scan_by_key_implILNS1_25lookback_scan_determinismE0ELb1ES3_N6thrust23THRUST_200600_302600_NS6detail15normal_iteratorINS9_10device_ptrIiEEEENSB_INSC_IyEEEESG_yNS9_4plusIvEENS9_8equal_toIvEEyEE10hipError_tPvRmT2_T3_T4_T5_mT6_T7_P12ihipStream_tbENKUlT_T0_E_clISt17integral_constantIbLb1EES10_IbLb0EEEEDaSW_SX_EUlSW_E_NS1_11comp_targetILNS1_3genE4ELNS1_11target_archE910ELNS1_3gpuE8ELNS1_3repE0EEENS1_30default_config_static_selectorELNS0_4arch9wavefront6targetE0EEEvT1_,"axG",@progbits,_ZN7rocprim17ROCPRIM_400000_NS6detail17trampoline_kernelINS0_14default_configENS1_27scan_by_key_config_selectorIiyEEZZNS1_16scan_by_key_implILNS1_25lookback_scan_determinismE0ELb1ES3_N6thrust23THRUST_200600_302600_NS6detail15normal_iteratorINS9_10device_ptrIiEEEENSB_INSC_IyEEEESG_yNS9_4plusIvEENS9_8equal_toIvEEyEE10hipError_tPvRmT2_T3_T4_T5_mT6_T7_P12ihipStream_tbENKUlT_T0_E_clISt17integral_constantIbLb1EES10_IbLb0EEEEDaSW_SX_EUlSW_E_NS1_11comp_targetILNS1_3genE4ELNS1_11target_archE910ELNS1_3gpuE8ELNS1_3repE0EEENS1_30default_config_static_selectorELNS0_4arch9wavefront6targetE0EEEvT1_,comdat
	.protected	_ZN7rocprim17ROCPRIM_400000_NS6detail17trampoline_kernelINS0_14default_configENS1_27scan_by_key_config_selectorIiyEEZZNS1_16scan_by_key_implILNS1_25lookback_scan_determinismE0ELb1ES3_N6thrust23THRUST_200600_302600_NS6detail15normal_iteratorINS9_10device_ptrIiEEEENSB_INSC_IyEEEESG_yNS9_4plusIvEENS9_8equal_toIvEEyEE10hipError_tPvRmT2_T3_T4_T5_mT6_T7_P12ihipStream_tbENKUlT_T0_E_clISt17integral_constantIbLb1EES10_IbLb0EEEEDaSW_SX_EUlSW_E_NS1_11comp_targetILNS1_3genE4ELNS1_11target_archE910ELNS1_3gpuE8ELNS1_3repE0EEENS1_30default_config_static_selectorELNS0_4arch9wavefront6targetE0EEEvT1_ ; -- Begin function _ZN7rocprim17ROCPRIM_400000_NS6detail17trampoline_kernelINS0_14default_configENS1_27scan_by_key_config_selectorIiyEEZZNS1_16scan_by_key_implILNS1_25lookback_scan_determinismE0ELb1ES3_N6thrust23THRUST_200600_302600_NS6detail15normal_iteratorINS9_10device_ptrIiEEEENSB_INSC_IyEEEESG_yNS9_4plusIvEENS9_8equal_toIvEEyEE10hipError_tPvRmT2_T3_T4_T5_mT6_T7_P12ihipStream_tbENKUlT_T0_E_clISt17integral_constantIbLb1EES10_IbLb0EEEEDaSW_SX_EUlSW_E_NS1_11comp_targetILNS1_3genE4ELNS1_11target_archE910ELNS1_3gpuE8ELNS1_3repE0EEENS1_30default_config_static_selectorELNS0_4arch9wavefront6targetE0EEEvT1_
	.globl	_ZN7rocprim17ROCPRIM_400000_NS6detail17trampoline_kernelINS0_14default_configENS1_27scan_by_key_config_selectorIiyEEZZNS1_16scan_by_key_implILNS1_25lookback_scan_determinismE0ELb1ES3_N6thrust23THRUST_200600_302600_NS6detail15normal_iteratorINS9_10device_ptrIiEEEENSB_INSC_IyEEEESG_yNS9_4plusIvEENS9_8equal_toIvEEyEE10hipError_tPvRmT2_T3_T4_T5_mT6_T7_P12ihipStream_tbENKUlT_T0_E_clISt17integral_constantIbLb1EES10_IbLb0EEEEDaSW_SX_EUlSW_E_NS1_11comp_targetILNS1_3genE4ELNS1_11target_archE910ELNS1_3gpuE8ELNS1_3repE0EEENS1_30default_config_static_selectorELNS0_4arch9wavefront6targetE0EEEvT1_
	.p2align	8
	.type	_ZN7rocprim17ROCPRIM_400000_NS6detail17trampoline_kernelINS0_14default_configENS1_27scan_by_key_config_selectorIiyEEZZNS1_16scan_by_key_implILNS1_25lookback_scan_determinismE0ELb1ES3_N6thrust23THRUST_200600_302600_NS6detail15normal_iteratorINS9_10device_ptrIiEEEENSB_INSC_IyEEEESG_yNS9_4plusIvEENS9_8equal_toIvEEyEE10hipError_tPvRmT2_T3_T4_T5_mT6_T7_P12ihipStream_tbENKUlT_T0_E_clISt17integral_constantIbLb1EES10_IbLb0EEEEDaSW_SX_EUlSW_E_NS1_11comp_targetILNS1_3genE4ELNS1_11target_archE910ELNS1_3gpuE8ELNS1_3repE0EEENS1_30default_config_static_selectorELNS0_4arch9wavefront6targetE0EEEvT1_,@function
_ZN7rocprim17ROCPRIM_400000_NS6detail17trampoline_kernelINS0_14default_configENS1_27scan_by_key_config_selectorIiyEEZZNS1_16scan_by_key_implILNS1_25lookback_scan_determinismE0ELb1ES3_N6thrust23THRUST_200600_302600_NS6detail15normal_iteratorINS9_10device_ptrIiEEEENSB_INSC_IyEEEESG_yNS9_4plusIvEENS9_8equal_toIvEEyEE10hipError_tPvRmT2_T3_T4_T5_mT6_T7_P12ihipStream_tbENKUlT_T0_E_clISt17integral_constantIbLb1EES10_IbLb0EEEEDaSW_SX_EUlSW_E_NS1_11comp_targetILNS1_3genE4ELNS1_11target_archE910ELNS1_3gpuE8ELNS1_3repE0EEENS1_30default_config_static_selectorELNS0_4arch9wavefront6targetE0EEEvT1_: ; @_ZN7rocprim17ROCPRIM_400000_NS6detail17trampoline_kernelINS0_14default_configENS1_27scan_by_key_config_selectorIiyEEZZNS1_16scan_by_key_implILNS1_25lookback_scan_determinismE0ELb1ES3_N6thrust23THRUST_200600_302600_NS6detail15normal_iteratorINS9_10device_ptrIiEEEENSB_INSC_IyEEEESG_yNS9_4plusIvEENS9_8equal_toIvEEyEE10hipError_tPvRmT2_T3_T4_T5_mT6_T7_P12ihipStream_tbENKUlT_T0_E_clISt17integral_constantIbLb1EES10_IbLb0EEEEDaSW_SX_EUlSW_E_NS1_11comp_targetILNS1_3genE4ELNS1_11target_archE910ELNS1_3gpuE8ELNS1_3repE0EEENS1_30default_config_static_selectorELNS0_4arch9wavefront6targetE0EEEvT1_
; %bb.0:
	.section	.rodata,"a",@progbits
	.p2align	6, 0x0
	.amdhsa_kernel _ZN7rocprim17ROCPRIM_400000_NS6detail17trampoline_kernelINS0_14default_configENS1_27scan_by_key_config_selectorIiyEEZZNS1_16scan_by_key_implILNS1_25lookback_scan_determinismE0ELb1ES3_N6thrust23THRUST_200600_302600_NS6detail15normal_iteratorINS9_10device_ptrIiEEEENSB_INSC_IyEEEESG_yNS9_4plusIvEENS9_8equal_toIvEEyEE10hipError_tPvRmT2_T3_T4_T5_mT6_T7_P12ihipStream_tbENKUlT_T0_E_clISt17integral_constantIbLb1EES10_IbLb0EEEEDaSW_SX_EUlSW_E_NS1_11comp_targetILNS1_3genE4ELNS1_11target_archE910ELNS1_3gpuE8ELNS1_3repE0EEENS1_30default_config_static_selectorELNS0_4arch9wavefront6targetE0EEEvT1_
		.amdhsa_group_segment_fixed_size 0
		.amdhsa_private_segment_fixed_size 0
		.amdhsa_kernarg_size 136
		.amdhsa_user_sgpr_count 2
		.amdhsa_user_sgpr_dispatch_ptr 0
		.amdhsa_user_sgpr_queue_ptr 0
		.amdhsa_user_sgpr_kernarg_segment_ptr 1
		.amdhsa_user_sgpr_dispatch_id 0
		.amdhsa_user_sgpr_kernarg_preload_length 0
		.amdhsa_user_sgpr_kernarg_preload_offset 0
		.amdhsa_user_sgpr_private_segment_size 0
		.amdhsa_wavefront_size32 1
		.amdhsa_uses_dynamic_stack 0
		.amdhsa_enable_private_segment 0
		.amdhsa_system_sgpr_workgroup_id_x 1
		.amdhsa_system_sgpr_workgroup_id_y 0
		.amdhsa_system_sgpr_workgroup_id_z 0
		.amdhsa_system_sgpr_workgroup_info 0
		.amdhsa_system_vgpr_workitem_id 0
		.amdhsa_next_free_vgpr 1
		.amdhsa_next_free_sgpr 1
		.amdhsa_named_barrier_count 0
		.amdhsa_reserve_vcc 0
		.amdhsa_float_round_mode_32 0
		.amdhsa_float_round_mode_16_64 0
		.amdhsa_float_denorm_mode_32 3
		.amdhsa_float_denorm_mode_16_64 3
		.amdhsa_fp16_overflow 0
		.amdhsa_memory_ordered 1
		.amdhsa_forward_progress 1
		.amdhsa_inst_pref_size 0
		.amdhsa_round_robin_scheduling 0
		.amdhsa_exception_fp_ieee_invalid_op 0
		.amdhsa_exception_fp_denorm_src 0
		.amdhsa_exception_fp_ieee_div_zero 0
		.amdhsa_exception_fp_ieee_overflow 0
		.amdhsa_exception_fp_ieee_underflow 0
		.amdhsa_exception_fp_ieee_inexact 0
		.amdhsa_exception_int_div_zero 0
	.end_amdhsa_kernel
	.section	.text._ZN7rocprim17ROCPRIM_400000_NS6detail17trampoline_kernelINS0_14default_configENS1_27scan_by_key_config_selectorIiyEEZZNS1_16scan_by_key_implILNS1_25lookback_scan_determinismE0ELb1ES3_N6thrust23THRUST_200600_302600_NS6detail15normal_iteratorINS9_10device_ptrIiEEEENSB_INSC_IyEEEESG_yNS9_4plusIvEENS9_8equal_toIvEEyEE10hipError_tPvRmT2_T3_T4_T5_mT6_T7_P12ihipStream_tbENKUlT_T0_E_clISt17integral_constantIbLb1EES10_IbLb0EEEEDaSW_SX_EUlSW_E_NS1_11comp_targetILNS1_3genE4ELNS1_11target_archE910ELNS1_3gpuE8ELNS1_3repE0EEENS1_30default_config_static_selectorELNS0_4arch9wavefront6targetE0EEEvT1_,"axG",@progbits,_ZN7rocprim17ROCPRIM_400000_NS6detail17trampoline_kernelINS0_14default_configENS1_27scan_by_key_config_selectorIiyEEZZNS1_16scan_by_key_implILNS1_25lookback_scan_determinismE0ELb1ES3_N6thrust23THRUST_200600_302600_NS6detail15normal_iteratorINS9_10device_ptrIiEEEENSB_INSC_IyEEEESG_yNS9_4plusIvEENS9_8equal_toIvEEyEE10hipError_tPvRmT2_T3_T4_T5_mT6_T7_P12ihipStream_tbENKUlT_T0_E_clISt17integral_constantIbLb1EES10_IbLb0EEEEDaSW_SX_EUlSW_E_NS1_11comp_targetILNS1_3genE4ELNS1_11target_archE910ELNS1_3gpuE8ELNS1_3repE0EEENS1_30default_config_static_selectorELNS0_4arch9wavefront6targetE0EEEvT1_,comdat
.Lfunc_end1484:
	.size	_ZN7rocprim17ROCPRIM_400000_NS6detail17trampoline_kernelINS0_14default_configENS1_27scan_by_key_config_selectorIiyEEZZNS1_16scan_by_key_implILNS1_25lookback_scan_determinismE0ELb1ES3_N6thrust23THRUST_200600_302600_NS6detail15normal_iteratorINS9_10device_ptrIiEEEENSB_INSC_IyEEEESG_yNS9_4plusIvEENS9_8equal_toIvEEyEE10hipError_tPvRmT2_T3_T4_T5_mT6_T7_P12ihipStream_tbENKUlT_T0_E_clISt17integral_constantIbLb1EES10_IbLb0EEEEDaSW_SX_EUlSW_E_NS1_11comp_targetILNS1_3genE4ELNS1_11target_archE910ELNS1_3gpuE8ELNS1_3repE0EEENS1_30default_config_static_selectorELNS0_4arch9wavefront6targetE0EEEvT1_, .Lfunc_end1484-_ZN7rocprim17ROCPRIM_400000_NS6detail17trampoline_kernelINS0_14default_configENS1_27scan_by_key_config_selectorIiyEEZZNS1_16scan_by_key_implILNS1_25lookback_scan_determinismE0ELb1ES3_N6thrust23THRUST_200600_302600_NS6detail15normal_iteratorINS9_10device_ptrIiEEEENSB_INSC_IyEEEESG_yNS9_4plusIvEENS9_8equal_toIvEEyEE10hipError_tPvRmT2_T3_T4_T5_mT6_T7_P12ihipStream_tbENKUlT_T0_E_clISt17integral_constantIbLb1EES10_IbLb0EEEEDaSW_SX_EUlSW_E_NS1_11comp_targetILNS1_3genE4ELNS1_11target_archE910ELNS1_3gpuE8ELNS1_3repE0EEENS1_30default_config_static_selectorELNS0_4arch9wavefront6targetE0EEEvT1_
                                        ; -- End function
	.set _ZN7rocprim17ROCPRIM_400000_NS6detail17trampoline_kernelINS0_14default_configENS1_27scan_by_key_config_selectorIiyEEZZNS1_16scan_by_key_implILNS1_25lookback_scan_determinismE0ELb1ES3_N6thrust23THRUST_200600_302600_NS6detail15normal_iteratorINS9_10device_ptrIiEEEENSB_INSC_IyEEEESG_yNS9_4plusIvEENS9_8equal_toIvEEyEE10hipError_tPvRmT2_T3_T4_T5_mT6_T7_P12ihipStream_tbENKUlT_T0_E_clISt17integral_constantIbLb1EES10_IbLb0EEEEDaSW_SX_EUlSW_E_NS1_11comp_targetILNS1_3genE4ELNS1_11target_archE910ELNS1_3gpuE8ELNS1_3repE0EEENS1_30default_config_static_selectorELNS0_4arch9wavefront6targetE0EEEvT1_.num_vgpr, 0
	.set _ZN7rocprim17ROCPRIM_400000_NS6detail17trampoline_kernelINS0_14default_configENS1_27scan_by_key_config_selectorIiyEEZZNS1_16scan_by_key_implILNS1_25lookback_scan_determinismE0ELb1ES3_N6thrust23THRUST_200600_302600_NS6detail15normal_iteratorINS9_10device_ptrIiEEEENSB_INSC_IyEEEESG_yNS9_4plusIvEENS9_8equal_toIvEEyEE10hipError_tPvRmT2_T3_T4_T5_mT6_T7_P12ihipStream_tbENKUlT_T0_E_clISt17integral_constantIbLb1EES10_IbLb0EEEEDaSW_SX_EUlSW_E_NS1_11comp_targetILNS1_3genE4ELNS1_11target_archE910ELNS1_3gpuE8ELNS1_3repE0EEENS1_30default_config_static_selectorELNS0_4arch9wavefront6targetE0EEEvT1_.num_agpr, 0
	.set _ZN7rocprim17ROCPRIM_400000_NS6detail17trampoline_kernelINS0_14default_configENS1_27scan_by_key_config_selectorIiyEEZZNS1_16scan_by_key_implILNS1_25lookback_scan_determinismE0ELb1ES3_N6thrust23THRUST_200600_302600_NS6detail15normal_iteratorINS9_10device_ptrIiEEEENSB_INSC_IyEEEESG_yNS9_4plusIvEENS9_8equal_toIvEEyEE10hipError_tPvRmT2_T3_T4_T5_mT6_T7_P12ihipStream_tbENKUlT_T0_E_clISt17integral_constantIbLb1EES10_IbLb0EEEEDaSW_SX_EUlSW_E_NS1_11comp_targetILNS1_3genE4ELNS1_11target_archE910ELNS1_3gpuE8ELNS1_3repE0EEENS1_30default_config_static_selectorELNS0_4arch9wavefront6targetE0EEEvT1_.numbered_sgpr, 0
	.set _ZN7rocprim17ROCPRIM_400000_NS6detail17trampoline_kernelINS0_14default_configENS1_27scan_by_key_config_selectorIiyEEZZNS1_16scan_by_key_implILNS1_25lookback_scan_determinismE0ELb1ES3_N6thrust23THRUST_200600_302600_NS6detail15normal_iteratorINS9_10device_ptrIiEEEENSB_INSC_IyEEEESG_yNS9_4plusIvEENS9_8equal_toIvEEyEE10hipError_tPvRmT2_T3_T4_T5_mT6_T7_P12ihipStream_tbENKUlT_T0_E_clISt17integral_constantIbLb1EES10_IbLb0EEEEDaSW_SX_EUlSW_E_NS1_11comp_targetILNS1_3genE4ELNS1_11target_archE910ELNS1_3gpuE8ELNS1_3repE0EEENS1_30default_config_static_selectorELNS0_4arch9wavefront6targetE0EEEvT1_.num_named_barrier, 0
	.set _ZN7rocprim17ROCPRIM_400000_NS6detail17trampoline_kernelINS0_14default_configENS1_27scan_by_key_config_selectorIiyEEZZNS1_16scan_by_key_implILNS1_25lookback_scan_determinismE0ELb1ES3_N6thrust23THRUST_200600_302600_NS6detail15normal_iteratorINS9_10device_ptrIiEEEENSB_INSC_IyEEEESG_yNS9_4plusIvEENS9_8equal_toIvEEyEE10hipError_tPvRmT2_T3_T4_T5_mT6_T7_P12ihipStream_tbENKUlT_T0_E_clISt17integral_constantIbLb1EES10_IbLb0EEEEDaSW_SX_EUlSW_E_NS1_11comp_targetILNS1_3genE4ELNS1_11target_archE910ELNS1_3gpuE8ELNS1_3repE0EEENS1_30default_config_static_selectorELNS0_4arch9wavefront6targetE0EEEvT1_.private_seg_size, 0
	.set _ZN7rocprim17ROCPRIM_400000_NS6detail17trampoline_kernelINS0_14default_configENS1_27scan_by_key_config_selectorIiyEEZZNS1_16scan_by_key_implILNS1_25lookback_scan_determinismE0ELb1ES3_N6thrust23THRUST_200600_302600_NS6detail15normal_iteratorINS9_10device_ptrIiEEEENSB_INSC_IyEEEESG_yNS9_4plusIvEENS9_8equal_toIvEEyEE10hipError_tPvRmT2_T3_T4_T5_mT6_T7_P12ihipStream_tbENKUlT_T0_E_clISt17integral_constantIbLb1EES10_IbLb0EEEEDaSW_SX_EUlSW_E_NS1_11comp_targetILNS1_3genE4ELNS1_11target_archE910ELNS1_3gpuE8ELNS1_3repE0EEENS1_30default_config_static_selectorELNS0_4arch9wavefront6targetE0EEEvT1_.uses_vcc, 0
	.set _ZN7rocprim17ROCPRIM_400000_NS6detail17trampoline_kernelINS0_14default_configENS1_27scan_by_key_config_selectorIiyEEZZNS1_16scan_by_key_implILNS1_25lookback_scan_determinismE0ELb1ES3_N6thrust23THRUST_200600_302600_NS6detail15normal_iteratorINS9_10device_ptrIiEEEENSB_INSC_IyEEEESG_yNS9_4plusIvEENS9_8equal_toIvEEyEE10hipError_tPvRmT2_T3_T4_T5_mT6_T7_P12ihipStream_tbENKUlT_T0_E_clISt17integral_constantIbLb1EES10_IbLb0EEEEDaSW_SX_EUlSW_E_NS1_11comp_targetILNS1_3genE4ELNS1_11target_archE910ELNS1_3gpuE8ELNS1_3repE0EEENS1_30default_config_static_selectorELNS0_4arch9wavefront6targetE0EEEvT1_.uses_flat_scratch, 0
	.set _ZN7rocprim17ROCPRIM_400000_NS6detail17trampoline_kernelINS0_14default_configENS1_27scan_by_key_config_selectorIiyEEZZNS1_16scan_by_key_implILNS1_25lookback_scan_determinismE0ELb1ES3_N6thrust23THRUST_200600_302600_NS6detail15normal_iteratorINS9_10device_ptrIiEEEENSB_INSC_IyEEEESG_yNS9_4plusIvEENS9_8equal_toIvEEyEE10hipError_tPvRmT2_T3_T4_T5_mT6_T7_P12ihipStream_tbENKUlT_T0_E_clISt17integral_constantIbLb1EES10_IbLb0EEEEDaSW_SX_EUlSW_E_NS1_11comp_targetILNS1_3genE4ELNS1_11target_archE910ELNS1_3gpuE8ELNS1_3repE0EEENS1_30default_config_static_selectorELNS0_4arch9wavefront6targetE0EEEvT1_.has_dyn_sized_stack, 0
	.set _ZN7rocprim17ROCPRIM_400000_NS6detail17trampoline_kernelINS0_14default_configENS1_27scan_by_key_config_selectorIiyEEZZNS1_16scan_by_key_implILNS1_25lookback_scan_determinismE0ELb1ES3_N6thrust23THRUST_200600_302600_NS6detail15normal_iteratorINS9_10device_ptrIiEEEENSB_INSC_IyEEEESG_yNS9_4plusIvEENS9_8equal_toIvEEyEE10hipError_tPvRmT2_T3_T4_T5_mT6_T7_P12ihipStream_tbENKUlT_T0_E_clISt17integral_constantIbLb1EES10_IbLb0EEEEDaSW_SX_EUlSW_E_NS1_11comp_targetILNS1_3genE4ELNS1_11target_archE910ELNS1_3gpuE8ELNS1_3repE0EEENS1_30default_config_static_selectorELNS0_4arch9wavefront6targetE0EEEvT1_.has_recursion, 0
	.set _ZN7rocprim17ROCPRIM_400000_NS6detail17trampoline_kernelINS0_14default_configENS1_27scan_by_key_config_selectorIiyEEZZNS1_16scan_by_key_implILNS1_25lookback_scan_determinismE0ELb1ES3_N6thrust23THRUST_200600_302600_NS6detail15normal_iteratorINS9_10device_ptrIiEEEENSB_INSC_IyEEEESG_yNS9_4plusIvEENS9_8equal_toIvEEyEE10hipError_tPvRmT2_T3_T4_T5_mT6_T7_P12ihipStream_tbENKUlT_T0_E_clISt17integral_constantIbLb1EES10_IbLb0EEEEDaSW_SX_EUlSW_E_NS1_11comp_targetILNS1_3genE4ELNS1_11target_archE910ELNS1_3gpuE8ELNS1_3repE0EEENS1_30default_config_static_selectorELNS0_4arch9wavefront6targetE0EEEvT1_.has_indirect_call, 0
	.section	.AMDGPU.csdata,"",@progbits
; Kernel info:
; codeLenInByte = 0
; TotalNumSgprs: 0
; NumVgprs: 0
; ScratchSize: 0
; MemoryBound: 0
; FloatMode: 240
; IeeeMode: 1
; LDSByteSize: 0 bytes/workgroup (compile time only)
; SGPRBlocks: 0
; VGPRBlocks: 0
; NumSGPRsForWavesPerEU: 1
; NumVGPRsForWavesPerEU: 1
; NamedBarCnt: 0
; Occupancy: 16
; WaveLimiterHint : 0
; COMPUTE_PGM_RSRC2:SCRATCH_EN: 0
; COMPUTE_PGM_RSRC2:USER_SGPR: 2
; COMPUTE_PGM_RSRC2:TRAP_HANDLER: 0
; COMPUTE_PGM_RSRC2:TGID_X_EN: 1
; COMPUTE_PGM_RSRC2:TGID_Y_EN: 0
; COMPUTE_PGM_RSRC2:TGID_Z_EN: 0
; COMPUTE_PGM_RSRC2:TIDIG_COMP_CNT: 0
	.section	.text._ZN7rocprim17ROCPRIM_400000_NS6detail17trampoline_kernelINS0_14default_configENS1_27scan_by_key_config_selectorIiyEEZZNS1_16scan_by_key_implILNS1_25lookback_scan_determinismE0ELb1ES3_N6thrust23THRUST_200600_302600_NS6detail15normal_iteratorINS9_10device_ptrIiEEEENSB_INSC_IyEEEESG_yNS9_4plusIvEENS9_8equal_toIvEEyEE10hipError_tPvRmT2_T3_T4_T5_mT6_T7_P12ihipStream_tbENKUlT_T0_E_clISt17integral_constantIbLb1EES10_IbLb0EEEEDaSW_SX_EUlSW_E_NS1_11comp_targetILNS1_3genE3ELNS1_11target_archE908ELNS1_3gpuE7ELNS1_3repE0EEENS1_30default_config_static_selectorELNS0_4arch9wavefront6targetE0EEEvT1_,"axG",@progbits,_ZN7rocprim17ROCPRIM_400000_NS6detail17trampoline_kernelINS0_14default_configENS1_27scan_by_key_config_selectorIiyEEZZNS1_16scan_by_key_implILNS1_25lookback_scan_determinismE0ELb1ES3_N6thrust23THRUST_200600_302600_NS6detail15normal_iteratorINS9_10device_ptrIiEEEENSB_INSC_IyEEEESG_yNS9_4plusIvEENS9_8equal_toIvEEyEE10hipError_tPvRmT2_T3_T4_T5_mT6_T7_P12ihipStream_tbENKUlT_T0_E_clISt17integral_constantIbLb1EES10_IbLb0EEEEDaSW_SX_EUlSW_E_NS1_11comp_targetILNS1_3genE3ELNS1_11target_archE908ELNS1_3gpuE7ELNS1_3repE0EEENS1_30default_config_static_selectorELNS0_4arch9wavefront6targetE0EEEvT1_,comdat
	.protected	_ZN7rocprim17ROCPRIM_400000_NS6detail17trampoline_kernelINS0_14default_configENS1_27scan_by_key_config_selectorIiyEEZZNS1_16scan_by_key_implILNS1_25lookback_scan_determinismE0ELb1ES3_N6thrust23THRUST_200600_302600_NS6detail15normal_iteratorINS9_10device_ptrIiEEEENSB_INSC_IyEEEESG_yNS9_4plusIvEENS9_8equal_toIvEEyEE10hipError_tPvRmT2_T3_T4_T5_mT6_T7_P12ihipStream_tbENKUlT_T0_E_clISt17integral_constantIbLb1EES10_IbLb0EEEEDaSW_SX_EUlSW_E_NS1_11comp_targetILNS1_3genE3ELNS1_11target_archE908ELNS1_3gpuE7ELNS1_3repE0EEENS1_30default_config_static_selectorELNS0_4arch9wavefront6targetE0EEEvT1_ ; -- Begin function _ZN7rocprim17ROCPRIM_400000_NS6detail17trampoline_kernelINS0_14default_configENS1_27scan_by_key_config_selectorIiyEEZZNS1_16scan_by_key_implILNS1_25lookback_scan_determinismE0ELb1ES3_N6thrust23THRUST_200600_302600_NS6detail15normal_iteratorINS9_10device_ptrIiEEEENSB_INSC_IyEEEESG_yNS9_4plusIvEENS9_8equal_toIvEEyEE10hipError_tPvRmT2_T3_T4_T5_mT6_T7_P12ihipStream_tbENKUlT_T0_E_clISt17integral_constantIbLb1EES10_IbLb0EEEEDaSW_SX_EUlSW_E_NS1_11comp_targetILNS1_3genE3ELNS1_11target_archE908ELNS1_3gpuE7ELNS1_3repE0EEENS1_30default_config_static_selectorELNS0_4arch9wavefront6targetE0EEEvT1_
	.globl	_ZN7rocprim17ROCPRIM_400000_NS6detail17trampoline_kernelINS0_14default_configENS1_27scan_by_key_config_selectorIiyEEZZNS1_16scan_by_key_implILNS1_25lookback_scan_determinismE0ELb1ES3_N6thrust23THRUST_200600_302600_NS6detail15normal_iteratorINS9_10device_ptrIiEEEENSB_INSC_IyEEEESG_yNS9_4plusIvEENS9_8equal_toIvEEyEE10hipError_tPvRmT2_T3_T4_T5_mT6_T7_P12ihipStream_tbENKUlT_T0_E_clISt17integral_constantIbLb1EES10_IbLb0EEEEDaSW_SX_EUlSW_E_NS1_11comp_targetILNS1_3genE3ELNS1_11target_archE908ELNS1_3gpuE7ELNS1_3repE0EEENS1_30default_config_static_selectorELNS0_4arch9wavefront6targetE0EEEvT1_
	.p2align	8
	.type	_ZN7rocprim17ROCPRIM_400000_NS6detail17trampoline_kernelINS0_14default_configENS1_27scan_by_key_config_selectorIiyEEZZNS1_16scan_by_key_implILNS1_25lookback_scan_determinismE0ELb1ES3_N6thrust23THRUST_200600_302600_NS6detail15normal_iteratorINS9_10device_ptrIiEEEENSB_INSC_IyEEEESG_yNS9_4plusIvEENS9_8equal_toIvEEyEE10hipError_tPvRmT2_T3_T4_T5_mT6_T7_P12ihipStream_tbENKUlT_T0_E_clISt17integral_constantIbLb1EES10_IbLb0EEEEDaSW_SX_EUlSW_E_NS1_11comp_targetILNS1_3genE3ELNS1_11target_archE908ELNS1_3gpuE7ELNS1_3repE0EEENS1_30default_config_static_selectorELNS0_4arch9wavefront6targetE0EEEvT1_,@function
_ZN7rocprim17ROCPRIM_400000_NS6detail17trampoline_kernelINS0_14default_configENS1_27scan_by_key_config_selectorIiyEEZZNS1_16scan_by_key_implILNS1_25lookback_scan_determinismE0ELb1ES3_N6thrust23THRUST_200600_302600_NS6detail15normal_iteratorINS9_10device_ptrIiEEEENSB_INSC_IyEEEESG_yNS9_4plusIvEENS9_8equal_toIvEEyEE10hipError_tPvRmT2_T3_T4_T5_mT6_T7_P12ihipStream_tbENKUlT_T0_E_clISt17integral_constantIbLb1EES10_IbLb0EEEEDaSW_SX_EUlSW_E_NS1_11comp_targetILNS1_3genE3ELNS1_11target_archE908ELNS1_3gpuE7ELNS1_3repE0EEENS1_30default_config_static_selectorELNS0_4arch9wavefront6targetE0EEEvT1_: ; @_ZN7rocprim17ROCPRIM_400000_NS6detail17trampoline_kernelINS0_14default_configENS1_27scan_by_key_config_selectorIiyEEZZNS1_16scan_by_key_implILNS1_25lookback_scan_determinismE0ELb1ES3_N6thrust23THRUST_200600_302600_NS6detail15normal_iteratorINS9_10device_ptrIiEEEENSB_INSC_IyEEEESG_yNS9_4plusIvEENS9_8equal_toIvEEyEE10hipError_tPvRmT2_T3_T4_T5_mT6_T7_P12ihipStream_tbENKUlT_T0_E_clISt17integral_constantIbLb1EES10_IbLb0EEEEDaSW_SX_EUlSW_E_NS1_11comp_targetILNS1_3genE3ELNS1_11target_archE908ELNS1_3gpuE7ELNS1_3repE0EEENS1_30default_config_static_selectorELNS0_4arch9wavefront6targetE0EEEvT1_
; %bb.0:
	.section	.rodata,"a",@progbits
	.p2align	6, 0x0
	.amdhsa_kernel _ZN7rocprim17ROCPRIM_400000_NS6detail17trampoline_kernelINS0_14default_configENS1_27scan_by_key_config_selectorIiyEEZZNS1_16scan_by_key_implILNS1_25lookback_scan_determinismE0ELb1ES3_N6thrust23THRUST_200600_302600_NS6detail15normal_iteratorINS9_10device_ptrIiEEEENSB_INSC_IyEEEESG_yNS9_4plusIvEENS9_8equal_toIvEEyEE10hipError_tPvRmT2_T3_T4_T5_mT6_T7_P12ihipStream_tbENKUlT_T0_E_clISt17integral_constantIbLb1EES10_IbLb0EEEEDaSW_SX_EUlSW_E_NS1_11comp_targetILNS1_3genE3ELNS1_11target_archE908ELNS1_3gpuE7ELNS1_3repE0EEENS1_30default_config_static_selectorELNS0_4arch9wavefront6targetE0EEEvT1_
		.amdhsa_group_segment_fixed_size 0
		.amdhsa_private_segment_fixed_size 0
		.amdhsa_kernarg_size 136
		.amdhsa_user_sgpr_count 2
		.amdhsa_user_sgpr_dispatch_ptr 0
		.amdhsa_user_sgpr_queue_ptr 0
		.amdhsa_user_sgpr_kernarg_segment_ptr 1
		.amdhsa_user_sgpr_dispatch_id 0
		.amdhsa_user_sgpr_kernarg_preload_length 0
		.amdhsa_user_sgpr_kernarg_preload_offset 0
		.amdhsa_user_sgpr_private_segment_size 0
		.amdhsa_wavefront_size32 1
		.amdhsa_uses_dynamic_stack 0
		.amdhsa_enable_private_segment 0
		.amdhsa_system_sgpr_workgroup_id_x 1
		.amdhsa_system_sgpr_workgroup_id_y 0
		.amdhsa_system_sgpr_workgroup_id_z 0
		.amdhsa_system_sgpr_workgroup_info 0
		.amdhsa_system_vgpr_workitem_id 0
		.amdhsa_next_free_vgpr 1
		.amdhsa_next_free_sgpr 1
		.amdhsa_named_barrier_count 0
		.amdhsa_reserve_vcc 0
		.amdhsa_float_round_mode_32 0
		.amdhsa_float_round_mode_16_64 0
		.amdhsa_float_denorm_mode_32 3
		.amdhsa_float_denorm_mode_16_64 3
		.amdhsa_fp16_overflow 0
		.amdhsa_memory_ordered 1
		.amdhsa_forward_progress 1
		.amdhsa_inst_pref_size 0
		.amdhsa_round_robin_scheduling 0
		.amdhsa_exception_fp_ieee_invalid_op 0
		.amdhsa_exception_fp_denorm_src 0
		.amdhsa_exception_fp_ieee_div_zero 0
		.amdhsa_exception_fp_ieee_overflow 0
		.amdhsa_exception_fp_ieee_underflow 0
		.amdhsa_exception_fp_ieee_inexact 0
		.amdhsa_exception_int_div_zero 0
	.end_amdhsa_kernel
	.section	.text._ZN7rocprim17ROCPRIM_400000_NS6detail17trampoline_kernelINS0_14default_configENS1_27scan_by_key_config_selectorIiyEEZZNS1_16scan_by_key_implILNS1_25lookback_scan_determinismE0ELb1ES3_N6thrust23THRUST_200600_302600_NS6detail15normal_iteratorINS9_10device_ptrIiEEEENSB_INSC_IyEEEESG_yNS9_4plusIvEENS9_8equal_toIvEEyEE10hipError_tPvRmT2_T3_T4_T5_mT6_T7_P12ihipStream_tbENKUlT_T0_E_clISt17integral_constantIbLb1EES10_IbLb0EEEEDaSW_SX_EUlSW_E_NS1_11comp_targetILNS1_3genE3ELNS1_11target_archE908ELNS1_3gpuE7ELNS1_3repE0EEENS1_30default_config_static_selectorELNS0_4arch9wavefront6targetE0EEEvT1_,"axG",@progbits,_ZN7rocprim17ROCPRIM_400000_NS6detail17trampoline_kernelINS0_14default_configENS1_27scan_by_key_config_selectorIiyEEZZNS1_16scan_by_key_implILNS1_25lookback_scan_determinismE0ELb1ES3_N6thrust23THRUST_200600_302600_NS6detail15normal_iteratorINS9_10device_ptrIiEEEENSB_INSC_IyEEEESG_yNS9_4plusIvEENS9_8equal_toIvEEyEE10hipError_tPvRmT2_T3_T4_T5_mT6_T7_P12ihipStream_tbENKUlT_T0_E_clISt17integral_constantIbLb1EES10_IbLb0EEEEDaSW_SX_EUlSW_E_NS1_11comp_targetILNS1_3genE3ELNS1_11target_archE908ELNS1_3gpuE7ELNS1_3repE0EEENS1_30default_config_static_selectorELNS0_4arch9wavefront6targetE0EEEvT1_,comdat
.Lfunc_end1485:
	.size	_ZN7rocprim17ROCPRIM_400000_NS6detail17trampoline_kernelINS0_14default_configENS1_27scan_by_key_config_selectorIiyEEZZNS1_16scan_by_key_implILNS1_25lookback_scan_determinismE0ELb1ES3_N6thrust23THRUST_200600_302600_NS6detail15normal_iteratorINS9_10device_ptrIiEEEENSB_INSC_IyEEEESG_yNS9_4plusIvEENS9_8equal_toIvEEyEE10hipError_tPvRmT2_T3_T4_T5_mT6_T7_P12ihipStream_tbENKUlT_T0_E_clISt17integral_constantIbLb1EES10_IbLb0EEEEDaSW_SX_EUlSW_E_NS1_11comp_targetILNS1_3genE3ELNS1_11target_archE908ELNS1_3gpuE7ELNS1_3repE0EEENS1_30default_config_static_selectorELNS0_4arch9wavefront6targetE0EEEvT1_, .Lfunc_end1485-_ZN7rocprim17ROCPRIM_400000_NS6detail17trampoline_kernelINS0_14default_configENS1_27scan_by_key_config_selectorIiyEEZZNS1_16scan_by_key_implILNS1_25lookback_scan_determinismE0ELb1ES3_N6thrust23THRUST_200600_302600_NS6detail15normal_iteratorINS9_10device_ptrIiEEEENSB_INSC_IyEEEESG_yNS9_4plusIvEENS9_8equal_toIvEEyEE10hipError_tPvRmT2_T3_T4_T5_mT6_T7_P12ihipStream_tbENKUlT_T0_E_clISt17integral_constantIbLb1EES10_IbLb0EEEEDaSW_SX_EUlSW_E_NS1_11comp_targetILNS1_3genE3ELNS1_11target_archE908ELNS1_3gpuE7ELNS1_3repE0EEENS1_30default_config_static_selectorELNS0_4arch9wavefront6targetE0EEEvT1_
                                        ; -- End function
	.set _ZN7rocprim17ROCPRIM_400000_NS6detail17trampoline_kernelINS0_14default_configENS1_27scan_by_key_config_selectorIiyEEZZNS1_16scan_by_key_implILNS1_25lookback_scan_determinismE0ELb1ES3_N6thrust23THRUST_200600_302600_NS6detail15normal_iteratorINS9_10device_ptrIiEEEENSB_INSC_IyEEEESG_yNS9_4plusIvEENS9_8equal_toIvEEyEE10hipError_tPvRmT2_T3_T4_T5_mT6_T7_P12ihipStream_tbENKUlT_T0_E_clISt17integral_constantIbLb1EES10_IbLb0EEEEDaSW_SX_EUlSW_E_NS1_11comp_targetILNS1_3genE3ELNS1_11target_archE908ELNS1_3gpuE7ELNS1_3repE0EEENS1_30default_config_static_selectorELNS0_4arch9wavefront6targetE0EEEvT1_.num_vgpr, 0
	.set _ZN7rocprim17ROCPRIM_400000_NS6detail17trampoline_kernelINS0_14default_configENS1_27scan_by_key_config_selectorIiyEEZZNS1_16scan_by_key_implILNS1_25lookback_scan_determinismE0ELb1ES3_N6thrust23THRUST_200600_302600_NS6detail15normal_iteratorINS9_10device_ptrIiEEEENSB_INSC_IyEEEESG_yNS9_4plusIvEENS9_8equal_toIvEEyEE10hipError_tPvRmT2_T3_T4_T5_mT6_T7_P12ihipStream_tbENKUlT_T0_E_clISt17integral_constantIbLb1EES10_IbLb0EEEEDaSW_SX_EUlSW_E_NS1_11comp_targetILNS1_3genE3ELNS1_11target_archE908ELNS1_3gpuE7ELNS1_3repE0EEENS1_30default_config_static_selectorELNS0_4arch9wavefront6targetE0EEEvT1_.num_agpr, 0
	.set _ZN7rocprim17ROCPRIM_400000_NS6detail17trampoline_kernelINS0_14default_configENS1_27scan_by_key_config_selectorIiyEEZZNS1_16scan_by_key_implILNS1_25lookback_scan_determinismE0ELb1ES3_N6thrust23THRUST_200600_302600_NS6detail15normal_iteratorINS9_10device_ptrIiEEEENSB_INSC_IyEEEESG_yNS9_4plusIvEENS9_8equal_toIvEEyEE10hipError_tPvRmT2_T3_T4_T5_mT6_T7_P12ihipStream_tbENKUlT_T0_E_clISt17integral_constantIbLb1EES10_IbLb0EEEEDaSW_SX_EUlSW_E_NS1_11comp_targetILNS1_3genE3ELNS1_11target_archE908ELNS1_3gpuE7ELNS1_3repE0EEENS1_30default_config_static_selectorELNS0_4arch9wavefront6targetE0EEEvT1_.numbered_sgpr, 0
	.set _ZN7rocprim17ROCPRIM_400000_NS6detail17trampoline_kernelINS0_14default_configENS1_27scan_by_key_config_selectorIiyEEZZNS1_16scan_by_key_implILNS1_25lookback_scan_determinismE0ELb1ES3_N6thrust23THRUST_200600_302600_NS6detail15normal_iteratorINS9_10device_ptrIiEEEENSB_INSC_IyEEEESG_yNS9_4plusIvEENS9_8equal_toIvEEyEE10hipError_tPvRmT2_T3_T4_T5_mT6_T7_P12ihipStream_tbENKUlT_T0_E_clISt17integral_constantIbLb1EES10_IbLb0EEEEDaSW_SX_EUlSW_E_NS1_11comp_targetILNS1_3genE3ELNS1_11target_archE908ELNS1_3gpuE7ELNS1_3repE0EEENS1_30default_config_static_selectorELNS0_4arch9wavefront6targetE0EEEvT1_.num_named_barrier, 0
	.set _ZN7rocprim17ROCPRIM_400000_NS6detail17trampoline_kernelINS0_14default_configENS1_27scan_by_key_config_selectorIiyEEZZNS1_16scan_by_key_implILNS1_25lookback_scan_determinismE0ELb1ES3_N6thrust23THRUST_200600_302600_NS6detail15normal_iteratorINS9_10device_ptrIiEEEENSB_INSC_IyEEEESG_yNS9_4plusIvEENS9_8equal_toIvEEyEE10hipError_tPvRmT2_T3_T4_T5_mT6_T7_P12ihipStream_tbENKUlT_T0_E_clISt17integral_constantIbLb1EES10_IbLb0EEEEDaSW_SX_EUlSW_E_NS1_11comp_targetILNS1_3genE3ELNS1_11target_archE908ELNS1_3gpuE7ELNS1_3repE0EEENS1_30default_config_static_selectorELNS0_4arch9wavefront6targetE0EEEvT1_.private_seg_size, 0
	.set _ZN7rocprim17ROCPRIM_400000_NS6detail17trampoline_kernelINS0_14default_configENS1_27scan_by_key_config_selectorIiyEEZZNS1_16scan_by_key_implILNS1_25lookback_scan_determinismE0ELb1ES3_N6thrust23THRUST_200600_302600_NS6detail15normal_iteratorINS9_10device_ptrIiEEEENSB_INSC_IyEEEESG_yNS9_4plusIvEENS9_8equal_toIvEEyEE10hipError_tPvRmT2_T3_T4_T5_mT6_T7_P12ihipStream_tbENKUlT_T0_E_clISt17integral_constantIbLb1EES10_IbLb0EEEEDaSW_SX_EUlSW_E_NS1_11comp_targetILNS1_3genE3ELNS1_11target_archE908ELNS1_3gpuE7ELNS1_3repE0EEENS1_30default_config_static_selectorELNS0_4arch9wavefront6targetE0EEEvT1_.uses_vcc, 0
	.set _ZN7rocprim17ROCPRIM_400000_NS6detail17trampoline_kernelINS0_14default_configENS1_27scan_by_key_config_selectorIiyEEZZNS1_16scan_by_key_implILNS1_25lookback_scan_determinismE0ELb1ES3_N6thrust23THRUST_200600_302600_NS6detail15normal_iteratorINS9_10device_ptrIiEEEENSB_INSC_IyEEEESG_yNS9_4plusIvEENS9_8equal_toIvEEyEE10hipError_tPvRmT2_T3_T4_T5_mT6_T7_P12ihipStream_tbENKUlT_T0_E_clISt17integral_constantIbLb1EES10_IbLb0EEEEDaSW_SX_EUlSW_E_NS1_11comp_targetILNS1_3genE3ELNS1_11target_archE908ELNS1_3gpuE7ELNS1_3repE0EEENS1_30default_config_static_selectorELNS0_4arch9wavefront6targetE0EEEvT1_.uses_flat_scratch, 0
	.set _ZN7rocprim17ROCPRIM_400000_NS6detail17trampoline_kernelINS0_14default_configENS1_27scan_by_key_config_selectorIiyEEZZNS1_16scan_by_key_implILNS1_25lookback_scan_determinismE0ELb1ES3_N6thrust23THRUST_200600_302600_NS6detail15normal_iteratorINS9_10device_ptrIiEEEENSB_INSC_IyEEEESG_yNS9_4plusIvEENS9_8equal_toIvEEyEE10hipError_tPvRmT2_T3_T4_T5_mT6_T7_P12ihipStream_tbENKUlT_T0_E_clISt17integral_constantIbLb1EES10_IbLb0EEEEDaSW_SX_EUlSW_E_NS1_11comp_targetILNS1_3genE3ELNS1_11target_archE908ELNS1_3gpuE7ELNS1_3repE0EEENS1_30default_config_static_selectorELNS0_4arch9wavefront6targetE0EEEvT1_.has_dyn_sized_stack, 0
	.set _ZN7rocprim17ROCPRIM_400000_NS6detail17trampoline_kernelINS0_14default_configENS1_27scan_by_key_config_selectorIiyEEZZNS1_16scan_by_key_implILNS1_25lookback_scan_determinismE0ELb1ES3_N6thrust23THRUST_200600_302600_NS6detail15normal_iteratorINS9_10device_ptrIiEEEENSB_INSC_IyEEEESG_yNS9_4plusIvEENS9_8equal_toIvEEyEE10hipError_tPvRmT2_T3_T4_T5_mT6_T7_P12ihipStream_tbENKUlT_T0_E_clISt17integral_constantIbLb1EES10_IbLb0EEEEDaSW_SX_EUlSW_E_NS1_11comp_targetILNS1_3genE3ELNS1_11target_archE908ELNS1_3gpuE7ELNS1_3repE0EEENS1_30default_config_static_selectorELNS0_4arch9wavefront6targetE0EEEvT1_.has_recursion, 0
	.set _ZN7rocprim17ROCPRIM_400000_NS6detail17trampoline_kernelINS0_14default_configENS1_27scan_by_key_config_selectorIiyEEZZNS1_16scan_by_key_implILNS1_25lookback_scan_determinismE0ELb1ES3_N6thrust23THRUST_200600_302600_NS6detail15normal_iteratorINS9_10device_ptrIiEEEENSB_INSC_IyEEEESG_yNS9_4plusIvEENS9_8equal_toIvEEyEE10hipError_tPvRmT2_T3_T4_T5_mT6_T7_P12ihipStream_tbENKUlT_T0_E_clISt17integral_constantIbLb1EES10_IbLb0EEEEDaSW_SX_EUlSW_E_NS1_11comp_targetILNS1_3genE3ELNS1_11target_archE908ELNS1_3gpuE7ELNS1_3repE0EEENS1_30default_config_static_selectorELNS0_4arch9wavefront6targetE0EEEvT1_.has_indirect_call, 0
	.section	.AMDGPU.csdata,"",@progbits
; Kernel info:
; codeLenInByte = 0
; TotalNumSgprs: 0
; NumVgprs: 0
; ScratchSize: 0
; MemoryBound: 0
; FloatMode: 240
; IeeeMode: 1
; LDSByteSize: 0 bytes/workgroup (compile time only)
; SGPRBlocks: 0
; VGPRBlocks: 0
; NumSGPRsForWavesPerEU: 1
; NumVGPRsForWavesPerEU: 1
; NamedBarCnt: 0
; Occupancy: 16
; WaveLimiterHint : 0
; COMPUTE_PGM_RSRC2:SCRATCH_EN: 0
; COMPUTE_PGM_RSRC2:USER_SGPR: 2
; COMPUTE_PGM_RSRC2:TRAP_HANDLER: 0
; COMPUTE_PGM_RSRC2:TGID_X_EN: 1
; COMPUTE_PGM_RSRC2:TGID_Y_EN: 0
; COMPUTE_PGM_RSRC2:TGID_Z_EN: 0
; COMPUTE_PGM_RSRC2:TIDIG_COMP_CNT: 0
	.section	.text._ZN7rocprim17ROCPRIM_400000_NS6detail17trampoline_kernelINS0_14default_configENS1_27scan_by_key_config_selectorIiyEEZZNS1_16scan_by_key_implILNS1_25lookback_scan_determinismE0ELb1ES3_N6thrust23THRUST_200600_302600_NS6detail15normal_iteratorINS9_10device_ptrIiEEEENSB_INSC_IyEEEESG_yNS9_4plusIvEENS9_8equal_toIvEEyEE10hipError_tPvRmT2_T3_T4_T5_mT6_T7_P12ihipStream_tbENKUlT_T0_E_clISt17integral_constantIbLb1EES10_IbLb0EEEEDaSW_SX_EUlSW_E_NS1_11comp_targetILNS1_3genE2ELNS1_11target_archE906ELNS1_3gpuE6ELNS1_3repE0EEENS1_30default_config_static_selectorELNS0_4arch9wavefront6targetE0EEEvT1_,"axG",@progbits,_ZN7rocprim17ROCPRIM_400000_NS6detail17trampoline_kernelINS0_14default_configENS1_27scan_by_key_config_selectorIiyEEZZNS1_16scan_by_key_implILNS1_25lookback_scan_determinismE0ELb1ES3_N6thrust23THRUST_200600_302600_NS6detail15normal_iteratorINS9_10device_ptrIiEEEENSB_INSC_IyEEEESG_yNS9_4plusIvEENS9_8equal_toIvEEyEE10hipError_tPvRmT2_T3_T4_T5_mT6_T7_P12ihipStream_tbENKUlT_T0_E_clISt17integral_constantIbLb1EES10_IbLb0EEEEDaSW_SX_EUlSW_E_NS1_11comp_targetILNS1_3genE2ELNS1_11target_archE906ELNS1_3gpuE6ELNS1_3repE0EEENS1_30default_config_static_selectorELNS0_4arch9wavefront6targetE0EEEvT1_,comdat
	.protected	_ZN7rocprim17ROCPRIM_400000_NS6detail17trampoline_kernelINS0_14default_configENS1_27scan_by_key_config_selectorIiyEEZZNS1_16scan_by_key_implILNS1_25lookback_scan_determinismE0ELb1ES3_N6thrust23THRUST_200600_302600_NS6detail15normal_iteratorINS9_10device_ptrIiEEEENSB_INSC_IyEEEESG_yNS9_4plusIvEENS9_8equal_toIvEEyEE10hipError_tPvRmT2_T3_T4_T5_mT6_T7_P12ihipStream_tbENKUlT_T0_E_clISt17integral_constantIbLb1EES10_IbLb0EEEEDaSW_SX_EUlSW_E_NS1_11comp_targetILNS1_3genE2ELNS1_11target_archE906ELNS1_3gpuE6ELNS1_3repE0EEENS1_30default_config_static_selectorELNS0_4arch9wavefront6targetE0EEEvT1_ ; -- Begin function _ZN7rocprim17ROCPRIM_400000_NS6detail17trampoline_kernelINS0_14default_configENS1_27scan_by_key_config_selectorIiyEEZZNS1_16scan_by_key_implILNS1_25lookback_scan_determinismE0ELb1ES3_N6thrust23THRUST_200600_302600_NS6detail15normal_iteratorINS9_10device_ptrIiEEEENSB_INSC_IyEEEESG_yNS9_4plusIvEENS9_8equal_toIvEEyEE10hipError_tPvRmT2_T3_T4_T5_mT6_T7_P12ihipStream_tbENKUlT_T0_E_clISt17integral_constantIbLb1EES10_IbLb0EEEEDaSW_SX_EUlSW_E_NS1_11comp_targetILNS1_3genE2ELNS1_11target_archE906ELNS1_3gpuE6ELNS1_3repE0EEENS1_30default_config_static_selectorELNS0_4arch9wavefront6targetE0EEEvT1_
	.globl	_ZN7rocprim17ROCPRIM_400000_NS6detail17trampoline_kernelINS0_14default_configENS1_27scan_by_key_config_selectorIiyEEZZNS1_16scan_by_key_implILNS1_25lookback_scan_determinismE0ELb1ES3_N6thrust23THRUST_200600_302600_NS6detail15normal_iteratorINS9_10device_ptrIiEEEENSB_INSC_IyEEEESG_yNS9_4plusIvEENS9_8equal_toIvEEyEE10hipError_tPvRmT2_T3_T4_T5_mT6_T7_P12ihipStream_tbENKUlT_T0_E_clISt17integral_constantIbLb1EES10_IbLb0EEEEDaSW_SX_EUlSW_E_NS1_11comp_targetILNS1_3genE2ELNS1_11target_archE906ELNS1_3gpuE6ELNS1_3repE0EEENS1_30default_config_static_selectorELNS0_4arch9wavefront6targetE0EEEvT1_
	.p2align	8
	.type	_ZN7rocprim17ROCPRIM_400000_NS6detail17trampoline_kernelINS0_14default_configENS1_27scan_by_key_config_selectorIiyEEZZNS1_16scan_by_key_implILNS1_25lookback_scan_determinismE0ELb1ES3_N6thrust23THRUST_200600_302600_NS6detail15normal_iteratorINS9_10device_ptrIiEEEENSB_INSC_IyEEEESG_yNS9_4plusIvEENS9_8equal_toIvEEyEE10hipError_tPvRmT2_T3_T4_T5_mT6_T7_P12ihipStream_tbENKUlT_T0_E_clISt17integral_constantIbLb1EES10_IbLb0EEEEDaSW_SX_EUlSW_E_NS1_11comp_targetILNS1_3genE2ELNS1_11target_archE906ELNS1_3gpuE6ELNS1_3repE0EEENS1_30default_config_static_selectorELNS0_4arch9wavefront6targetE0EEEvT1_,@function
_ZN7rocprim17ROCPRIM_400000_NS6detail17trampoline_kernelINS0_14default_configENS1_27scan_by_key_config_selectorIiyEEZZNS1_16scan_by_key_implILNS1_25lookback_scan_determinismE0ELb1ES3_N6thrust23THRUST_200600_302600_NS6detail15normal_iteratorINS9_10device_ptrIiEEEENSB_INSC_IyEEEESG_yNS9_4plusIvEENS9_8equal_toIvEEyEE10hipError_tPvRmT2_T3_T4_T5_mT6_T7_P12ihipStream_tbENKUlT_T0_E_clISt17integral_constantIbLb1EES10_IbLb0EEEEDaSW_SX_EUlSW_E_NS1_11comp_targetILNS1_3genE2ELNS1_11target_archE906ELNS1_3gpuE6ELNS1_3repE0EEENS1_30default_config_static_selectorELNS0_4arch9wavefront6targetE0EEEvT1_: ; @_ZN7rocprim17ROCPRIM_400000_NS6detail17trampoline_kernelINS0_14default_configENS1_27scan_by_key_config_selectorIiyEEZZNS1_16scan_by_key_implILNS1_25lookback_scan_determinismE0ELb1ES3_N6thrust23THRUST_200600_302600_NS6detail15normal_iteratorINS9_10device_ptrIiEEEENSB_INSC_IyEEEESG_yNS9_4plusIvEENS9_8equal_toIvEEyEE10hipError_tPvRmT2_T3_T4_T5_mT6_T7_P12ihipStream_tbENKUlT_T0_E_clISt17integral_constantIbLb1EES10_IbLb0EEEEDaSW_SX_EUlSW_E_NS1_11comp_targetILNS1_3genE2ELNS1_11target_archE906ELNS1_3gpuE6ELNS1_3repE0EEENS1_30default_config_static_selectorELNS0_4arch9wavefront6targetE0EEEvT1_
; %bb.0:
	.section	.rodata,"a",@progbits
	.p2align	6, 0x0
	.amdhsa_kernel _ZN7rocprim17ROCPRIM_400000_NS6detail17trampoline_kernelINS0_14default_configENS1_27scan_by_key_config_selectorIiyEEZZNS1_16scan_by_key_implILNS1_25lookback_scan_determinismE0ELb1ES3_N6thrust23THRUST_200600_302600_NS6detail15normal_iteratorINS9_10device_ptrIiEEEENSB_INSC_IyEEEESG_yNS9_4plusIvEENS9_8equal_toIvEEyEE10hipError_tPvRmT2_T3_T4_T5_mT6_T7_P12ihipStream_tbENKUlT_T0_E_clISt17integral_constantIbLb1EES10_IbLb0EEEEDaSW_SX_EUlSW_E_NS1_11comp_targetILNS1_3genE2ELNS1_11target_archE906ELNS1_3gpuE6ELNS1_3repE0EEENS1_30default_config_static_selectorELNS0_4arch9wavefront6targetE0EEEvT1_
		.amdhsa_group_segment_fixed_size 0
		.amdhsa_private_segment_fixed_size 0
		.amdhsa_kernarg_size 136
		.amdhsa_user_sgpr_count 2
		.amdhsa_user_sgpr_dispatch_ptr 0
		.amdhsa_user_sgpr_queue_ptr 0
		.amdhsa_user_sgpr_kernarg_segment_ptr 1
		.amdhsa_user_sgpr_dispatch_id 0
		.amdhsa_user_sgpr_kernarg_preload_length 0
		.amdhsa_user_sgpr_kernarg_preload_offset 0
		.amdhsa_user_sgpr_private_segment_size 0
		.amdhsa_wavefront_size32 1
		.amdhsa_uses_dynamic_stack 0
		.amdhsa_enable_private_segment 0
		.amdhsa_system_sgpr_workgroup_id_x 1
		.amdhsa_system_sgpr_workgroup_id_y 0
		.amdhsa_system_sgpr_workgroup_id_z 0
		.amdhsa_system_sgpr_workgroup_info 0
		.amdhsa_system_vgpr_workitem_id 0
		.amdhsa_next_free_vgpr 1
		.amdhsa_next_free_sgpr 1
		.amdhsa_named_barrier_count 0
		.amdhsa_reserve_vcc 0
		.amdhsa_float_round_mode_32 0
		.amdhsa_float_round_mode_16_64 0
		.amdhsa_float_denorm_mode_32 3
		.amdhsa_float_denorm_mode_16_64 3
		.amdhsa_fp16_overflow 0
		.amdhsa_memory_ordered 1
		.amdhsa_forward_progress 1
		.amdhsa_inst_pref_size 0
		.amdhsa_round_robin_scheduling 0
		.amdhsa_exception_fp_ieee_invalid_op 0
		.amdhsa_exception_fp_denorm_src 0
		.amdhsa_exception_fp_ieee_div_zero 0
		.amdhsa_exception_fp_ieee_overflow 0
		.amdhsa_exception_fp_ieee_underflow 0
		.amdhsa_exception_fp_ieee_inexact 0
		.amdhsa_exception_int_div_zero 0
	.end_amdhsa_kernel
	.section	.text._ZN7rocprim17ROCPRIM_400000_NS6detail17trampoline_kernelINS0_14default_configENS1_27scan_by_key_config_selectorIiyEEZZNS1_16scan_by_key_implILNS1_25lookback_scan_determinismE0ELb1ES3_N6thrust23THRUST_200600_302600_NS6detail15normal_iteratorINS9_10device_ptrIiEEEENSB_INSC_IyEEEESG_yNS9_4plusIvEENS9_8equal_toIvEEyEE10hipError_tPvRmT2_T3_T4_T5_mT6_T7_P12ihipStream_tbENKUlT_T0_E_clISt17integral_constantIbLb1EES10_IbLb0EEEEDaSW_SX_EUlSW_E_NS1_11comp_targetILNS1_3genE2ELNS1_11target_archE906ELNS1_3gpuE6ELNS1_3repE0EEENS1_30default_config_static_selectorELNS0_4arch9wavefront6targetE0EEEvT1_,"axG",@progbits,_ZN7rocprim17ROCPRIM_400000_NS6detail17trampoline_kernelINS0_14default_configENS1_27scan_by_key_config_selectorIiyEEZZNS1_16scan_by_key_implILNS1_25lookback_scan_determinismE0ELb1ES3_N6thrust23THRUST_200600_302600_NS6detail15normal_iteratorINS9_10device_ptrIiEEEENSB_INSC_IyEEEESG_yNS9_4plusIvEENS9_8equal_toIvEEyEE10hipError_tPvRmT2_T3_T4_T5_mT6_T7_P12ihipStream_tbENKUlT_T0_E_clISt17integral_constantIbLb1EES10_IbLb0EEEEDaSW_SX_EUlSW_E_NS1_11comp_targetILNS1_3genE2ELNS1_11target_archE906ELNS1_3gpuE6ELNS1_3repE0EEENS1_30default_config_static_selectorELNS0_4arch9wavefront6targetE0EEEvT1_,comdat
.Lfunc_end1486:
	.size	_ZN7rocprim17ROCPRIM_400000_NS6detail17trampoline_kernelINS0_14default_configENS1_27scan_by_key_config_selectorIiyEEZZNS1_16scan_by_key_implILNS1_25lookback_scan_determinismE0ELb1ES3_N6thrust23THRUST_200600_302600_NS6detail15normal_iteratorINS9_10device_ptrIiEEEENSB_INSC_IyEEEESG_yNS9_4plusIvEENS9_8equal_toIvEEyEE10hipError_tPvRmT2_T3_T4_T5_mT6_T7_P12ihipStream_tbENKUlT_T0_E_clISt17integral_constantIbLb1EES10_IbLb0EEEEDaSW_SX_EUlSW_E_NS1_11comp_targetILNS1_3genE2ELNS1_11target_archE906ELNS1_3gpuE6ELNS1_3repE0EEENS1_30default_config_static_selectorELNS0_4arch9wavefront6targetE0EEEvT1_, .Lfunc_end1486-_ZN7rocprim17ROCPRIM_400000_NS6detail17trampoline_kernelINS0_14default_configENS1_27scan_by_key_config_selectorIiyEEZZNS1_16scan_by_key_implILNS1_25lookback_scan_determinismE0ELb1ES3_N6thrust23THRUST_200600_302600_NS6detail15normal_iteratorINS9_10device_ptrIiEEEENSB_INSC_IyEEEESG_yNS9_4plusIvEENS9_8equal_toIvEEyEE10hipError_tPvRmT2_T3_T4_T5_mT6_T7_P12ihipStream_tbENKUlT_T0_E_clISt17integral_constantIbLb1EES10_IbLb0EEEEDaSW_SX_EUlSW_E_NS1_11comp_targetILNS1_3genE2ELNS1_11target_archE906ELNS1_3gpuE6ELNS1_3repE0EEENS1_30default_config_static_selectorELNS0_4arch9wavefront6targetE0EEEvT1_
                                        ; -- End function
	.set _ZN7rocprim17ROCPRIM_400000_NS6detail17trampoline_kernelINS0_14default_configENS1_27scan_by_key_config_selectorIiyEEZZNS1_16scan_by_key_implILNS1_25lookback_scan_determinismE0ELb1ES3_N6thrust23THRUST_200600_302600_NS6detail15normal_iteratorINS9_10device_ptrIiEEEENSB_INSC_IyEEEESG_yNS9_4plusIvEENS9_8equal_toIvEEyEE10hipError_tPvRmT2_T3_T4_T5_mT6_T7_P12ihipStream_tbENKUlT_T0_E_clISt17integral_constantIbLb1EES10_IbLb0EEEEDaSW_SX_EUlSW_E_NS1_11comp_targetILNS1_3genE2ELNS1_11target_archE906ELNS1_3gpuE6ELNS1_3repE0EEENS1_30default_config_static_selectorELNS0_4arch9wavefront6targetE0EEEvT1_.num_vgpr, 0
	.set _ZN7rocprim17ROCPRIM_400000_NS6detail17trampoline_kernelINS0_14default_configENS1_27scan_by_key_config_selectorIiyEEZZNS1_16scan_by_key_implILNS1_25lookback_scan_determinismE0ELb1ES3_N6thrust23THRUST_200600_302600_NS6detail15normal_iteratorINS9_10device_ptrIiEEEENSB_INSC_IyEEEESG_yNS9_4plusIvEENS9_8equal_toIvEEyEE10hipError_tPvRmT2_T3_T4_T5_mT6_T7_P12ihipStream_tbENKUlT_T0_E_clISt17integral_constantIbLb1EES10_IbLb0EEEEDaSW_SX_EUlSW_E_NS1_11comp_targetILNS1_3genE2ELNS1_11target_archE906ELNS1_3gpuE6ELNS1_3repE0EEENS1_30default_config_static_selectorELNS0_4arch9wavefront6targetE0EEEvT1_.num_agpr, 0
	.set _ZN7rocprim17ROCPRIM_400000_NS6detail17trampoline_kernelINS0_14default_configENS1_27scan_by_key_config_selectorIiyEEZZNS1_16scan_by_key_implILNS1_25lookback_scan_determinismE0ELb1ES3_N6thrust23THRUST_200600_302600_NS6detail15normal_iteratorINS9_10device_ptrIiEEEENSB_INSC_IyEEEESG_yNS9_4plusIvEENS9_8equal_toIvEEyEE10hipError_tPvRmT2_T3_T4_T5_mT6_T7_P12ihipStream_tbENKUlT_T0_E_clISt17integral_constantIbLb1EES10_IbLb0EEEEDaSW_SX_EUlSW_E_NS1_11comp_targetILNS1_3genE2ELNS1_11target_archE906ELNS1_3gpuE6ELNS1_3repE0EEENS1_30default_config_static_selectorELNS0_4arch9wavefront6targetE0EEEvT1_.numbered_sgpr, 0
	.set _ZN7rocprim17ROCPRIM_400000_NS6detail17trampoline_kernelINS0_14default_configENS1_27scan_by_key_config_selectorIiyEEZZNS1_16scan_by_key_implILNS1_25lookback_scan_determinismE0ELb1ES3_N6thrust23THRUST_200600_302600_NS6detail15normal_iteratorINS9_10device_ptrIiEEEENSB_INSC_IyEEEESG_yNS9_4plusIvEENS9_8equal_toIvEEyEE10hipError_tPvRmT2_T3_T4_T5_mT6_T7_P12ihipStream_tbENKUlT_T0_E_clISt17integral_constantIbLb1EES10_IbLb0EEEEDaSW_SX_EUlSW_E_NS1_11comp_targetILNS1_3genE2ELNS1_11target_archE906ELNS1_3gpuE6ELNS1_3repE0EEENS1_30default_config_static_selectorELNS0_4arch9wavefront6targetE0EEEvT1_.num_named_barrier, 0
	.set _ZN7rocprim17ROCPRIM_400000_NS6detail17trampoline_kernelINS0_14default_configENS1_27scan_by_key_config_selectorIiyEEZZNS1_16scan_by_key_implILNS1_25lookback_scan_determinismE0ELb1ES3_N6thrust23THRUST_200600_302600_NS6detail15normal_iteratorINS9_10device_ptrIiEEEENSB_INSC_IyEEEESG_yNS9_4plusIvEENS9_8equal_toIvEEyEE10hipError_tPvRmT2_T3_T4_T5_mT6_T7_P12ihipStream_tbENKUlT_T0_E_clISt17integral_constantIbLb1EES10_IbLb0EEEEDaSW_SX_EUlSW_E_NS1_11comp_targetILNS1_3genE2ELNS1_11target_archE906ELNS1_3gpuE6ELNS1_3repE0EEENS1_30default_config_static_selectorELNS0_4arch9wavefront6targetE0EEEvT1_.private_seg_size, 0
	.set _ZN7rocprim17ROCPRIM_400000_NS6detail17trampoline_kernelINS0_14default_configENS1_27scan_by_key_config_selectorIiyEEZZNS1_16scan_by_key_implILNS1_25lookback_scan_determinismE0ELb1ES3_N6thrust23THRUST_200600_302600_NS6detail15normal_iteratorINS9_10device_ptrIiEEEENSB_INSC_IyEEEESG_yNS9_4plusIvEENS9_8equal_toIvEEyEE10hipError_tPvRmT2_T3_T4_T5_mT6_T7_P12ihipStream_tbENKUlT_T0_E_clISt17integral_constantIbLb1EES10_IbLb0EEEEDaSW_SX_EUlSW_E_NS1_11comp_targetILNS1_3genE2ELNS1_11target_archE906ELNS1_3gpuE6ELNS1_3repE0EEENS1_30default_config_static_selectorELNS0_4arch9wavefront6targetE0EEEvT1_.uses_vcc, 0
	.set _ZN7rocprim17ROCPRIM_400000_NS6detail17trampoline_kernelINS0_14default_configENS1_27scan_by_key_config_selectorIiyEEZZNS1_16scan_by_key_implILNS1_25lookback_scan_determinismE0ELb1ES3_N6thrust23THRUST_200600_302600_NS6detail15normal_iteratorINS9_10device_ptrIiEEEENSB_INSC_IyEEEESG_yNS9_4plusIvEENS9_8equal_toIvEEyEE10hipError_tPvRmT2_T3_T4_T5_mT6_T7_P12ihipStream_tbENKUlT_T0_E_clISt17integral_constantIbLb1EES10_IbLb0EEEEDaSW_SX_EUlSW_E_NS1_11comp_targetILNS1_3genE2ELNS1_11target_archE906ELNS1_3gpuE6ELNS1_3repE0EEENS1_30default_config_static_selectorELNS0_4arch9wavefront6targetE0EEEvT1_.uses_flat_scratch, 0
	.set _ZN7rocprim17ROCPRIM_400000_NS6detail17trampoline_kernelINS0_14default_configENS1_27scan_by_key_config_selectorIiyEEZZNS1_16scan_by_key_implILNS1_25lookback_scan_determinismE0ELb1ES3_N6thrust23THRUST_200600_302600_NS6detail15normal_iteratorINS9_10device_ptrIiEEEENSB_INSC_IyEEEESG_yNS9_4plusIvEENS9_8equal_toIvEEyEE10hipError_tPvRmT2_T3_T4_T5_mT6_T7_P12ihipStream_tbENKUlT_T0_E_clISt17integral_constantIbLb1EES10_IbLb0EEEEDaSW_SX_EUlSW_E_NS1_11comp_targetILNS1_3genE2ELNS1_11target_archE906ELNS1_3gpuE6ELNS1_3repE0EEENS1_30default_config_static_selectorELNS0_4arch9wavefront6targetE0EEEvT1_.has_dyn_sized_stack, 0
	.set _ZN7rocprim17ROCPRIM_400000_NS6detail17trampoline_kernelINS0_14default_configENS1_27scan_by_key_config_selectorIiyEEZZNS1_16scan_by_key_implILNS1_25lookback_scan_determinismE0ELb1ES3_N6thrust23THRUST_200600_302600_NS6detail15normal_iteratorINS9_10device_ptrIiEEEENSB_INSC_IyEEEESG_yNS9_4plusIvEENS9_8equal_toIvEEyEE10hipError_tPvRmT2_T3_T4_T5_mT6_T7_P12ihipStream_tbENKUlT_T0_E_clISt17integral_constantIbLb1EES10_IbLb0EEEEDaSW_SX_EUlSW_E_NS1_11comp_targetILNS1_3genE2ELNS1_11target_archE906ELNS1_3gpuE6ELNS1_3repE0EEENS1_30default_config_static_selectorELNS0_4arch9wavefront6targetE0EEEvT1_.has_recursion, 0
	.set _ZN7rocprim17ROCPRIM_400000_NS6detail17trampoline_kernelINS0_14default_configENS1_27scan_by_key_config_selectorIiyEEZZNS1_16scan_by_key_implILNS1_25lookback_scan_determinismE0ELb1ES3_N6thrust23THRUST_200600_302600_NS6detail15normal_iteratorINS9_10device_ptrIiEEEENSB_INSC_IyEEEESG_yNS9_4plusIvEENS9_8equal_toIvEEyEE10hipError_tPvRmT2_T3_T4_T5_mT6_T7_P12ihipStream_tbENKUlT_T0_E_clISt17integral_constantIbLb1EES10_IbLb0EEEEDaSW_SX_EUlSW_E_NS1_11comp_targetILNS1_3genE2ELNS1_11target_archE906ELNS1_3gpuE6ELNS1_3repE0EEENS1_30default_config_static_selectorELNS0_4arch9wavefront6targetE0EEEvT1_.has_indirect_call, 0
	.section	.AMDGPU.csdata,"",@progbits
; Kernel info:
; codeLenInByte = 0
; TotalNumSgprs: 0
; NumVgprs: 0
; ScratchSize: 0
; MemoryBound: 0
; FloatMode: 240
; IeeeMode: 1
; LDSByteSize: 0 bytes/workgroup (compile time only)
; SGPRBlocks: 0
; VGPRBlocks: 0
; NumSGPRsForWavesPerEU: 1
; NumVGPRsForWavesPerEU: 1
; NamedBarCnt: 0
; Occupancy: 16
; WaveLimiterHint : 0
; COMPUTE_PGM_RSRC2:SCRATCH_EN: 0
; COMPUTE_PGM_RSRC2:USER_SGPR: 2
; COMPUTE_PGM_RSRC2:TRAP_HANDLER: 0
; COMPUTE_PGM_RSRC2:TGID_X_EN: 1
; COMPUTE_PGM_RSRC2:TGID_Y_EN: 0
; COMPUTE_PGM_RSRC2:TGID_Z_EN: 0
; COMPUTE_PGM_RSRC2:TIDIG_COMP_CNT: 0
	.section	.text._ZN7rocprim17ROCPRIM_400000_NS6detail17trampoline_kernelINS0_14default_configENS1_27scan_by_key_config_selectorIiyEEZZNS1_16scan_by_key_implILNS1_25lookback_scan_determinismE0ELb1ES3_N6thrust23THRUST_200600_302600_NS6detail15normal_iteratorINS9_10device_ptrIiEEEENSB_INSC_IyEEEESG_yNS9_4plusIvEENS9_8equal_toIvEEyEE10hipError_tPvRmT2_T3_T4_T5_mT6_T7_P12ihipStream_tbENKUlT_T0_E_clISt17integral_constantIbLb1EES10_IbLb0EEEEDaSW_SX_EUlSW_E_NS1_11comp_targetILNS1_3genE10ELNS1_11target_archE1200ELNS1_3gpuE4ELNS1_3repE0EEENS1_30default_config_static_selectorELNS0_4arch9wavefront6targetE0EEEvT1_,"axG",@progbits,_ZN7rocprim17ROCPRIM_400000_NS6detail17trampoline_kernelINS0_14default_configENS1_27scan_by_key_config_selectorIiyEEZZNS1_16scan_by_key_implILNS1_25lookback_scan_determinismE0ELb1ES3_N6thrust23THRUST_200600_302600_NS6detail15normal_iteratorINS9_10device_ptrIiEEEENSB_INSC_IyEEEESG_yNS9_4plusIvEENS9_8equal_toIvEEyEE10hipError_tPvRmT2_T3_T4_T5_mT6_T7_P12ihipStream_tbENKUlT_T0_E_clISt17integral_constantIbLb1EES10_IbLb0EEEEDaSW_SX_EUlSW_E_NS1_11comp_targetILNS1_3genE10ELNS1_11target_archE1200ELNS1_3gpuE4ELNS1_3repE0EEENS1_30default_config_static_selectorELNS0_4arch9wavefront6targetE0EEEvT1_,comdat
	.protected	_ZN7rocprim17ROCPRIM_400000_NS6detail17trampoline_kernelINS0_14default_configENS1_27scan_by_key_config_selectorIiyEEZZNS1_16scan_by_key_implILNS1_25lookback_scan_determinismE0ELb1ES3_N6thrust23THRUST_200600_302600_NS6detail15normal_iteratorINS9_10device_ptrIiEEEENSB_INSC_IyEEEESG_yNS9_4plusIvEENS9_8equal_toIvEEyEE10hipError_tPvRmT2_T3_T4_T5_mT6_T7_P12ihipStream_tbENKUlT_T0_E_clISt17integral_constantIbLb1EES10_IbLb0EEEEDaSW_SX_EUlSW_E_NS1_11comp_targetILNS1_3genE10ELNS1_11target_archE1200ELNS1_3gpuE4ELNS1_3repE0EEENS1_30default_config_static_selectorELNS0_4arch9wavefront6targetE0EEEvT1_ ; -- Begin function _ZN7rocprim17ROCPRIM_400000_NS6detail17trampoline_kernelINS0_14default_configENS1_27scan_by_key_config_selectorIiyEEZZNS1_16scan_by_key_implILNS1_25lookback_scan_determinismE0ELb1ES3_N6thrust23THRUST_200600_302600_NS6detail15normal_iteratorINS9_10device_ptrIiEEEENSB_INSC_IyEEEESG_yNS9_4plusIvEENS9_8equal_toIvEEyEE10hipError_tPvRmT2_T3_T4_T5_mT6_T7_P12ihipStream_tbENKUlT_T0_E_clISt17integral_constantIbLb1EES10_IbLb0EEEEDaSW_SX_EUlSW_E_NS1_11comp_targetILNS1_3genE10ELNS1_11target_archE1200ELNS1_3gpuE4ELNS1_3repE0EEENS1_30default_config_static_selectorELNS0_4arch9wavefront6targetE0EEEvT1_
	.globl	_ZN7rocprim17ROCPRIM_400000_NS6detail17trampoline_kernelINS0_14default_configENS1_27scan_by_key_config_selectorIiyEEZZNS1_16scan_by_key_implILNS1_25lookback_scan_determinismE0ELb1ES3_N6thrust23THRUST_200600_302600_NS6detail15normal_iteratorINS9_10device_ptrIiEEEENSB_INSC_IyEEEESG_yNS9_4plusIvEENS9_8equal_toIvEEyEE10hipError_tPvRmT2_T3_T4_T5_mT6_T7_P12ihipStream_tbENKUlT_T0_E_clISt17integral_constantIbLb1EES10_IbLb0EEEEDaSW_SX_EUlSW_E_NS1_11comp_targetILNS1_3genE10ELNS1_11target_archE1200ELNS1_3gpuE4ELNS1_3repE0EEENS1_30default_config_static_selectorELNS0_4arch9wavefront6targetE0EEEvT1_
	.p2align	8
	.type	_ZN7rocprim17ROCPRIM_400000_NS6detail17trampoline_kernelINS0_14default_configENS1_27scan_by_key_config_selectorIiyEEZZNS1_16scan_by_key_implILNS1_25lookback_scan_determinismE0ELb1ES3_N6thrust23THRUST_200600_302600_NS6detail15normal_iteratorINS9_10device_ptrIiEEEENSB_INSC_IyEEEESG_yNS9_4plusIvEENS9_8equal_toIvEEyEE10hipError_tPvRmT2_T3_T4_T5_mT6_T7_P12ihipStream_tbENKUlT_T0_E_clISt17integral_constantIbLb1EES10_IbLb0EEEEDaSW_SX_EUlSW_E_NS1_11comp_targetILNS1_3genE10ELNS1_11target_archE1200ELNS1_3gpuE4ELNS1_3repE0EEENS1_30default_config_static_selectorELNS0_4arch9wavefront6targetE0EEEvT1_,@function
_ZN7rocprim17ROCPRIM_400000_NS6detail17trampoline_kernelINS0_14default_configENS1_27scan_by_key_config_selectorIiyEEZZNS1_16scan_by_key_implILNS1_25lookback_scan_determinismE0ELb1ES3_N6thrust23THRUST_200600_302600_NS6detail15normal_iteratorINS9_10device_ptrIiEEEENSB_INSC_IyEEEESG_yNS9_4plusIvEENS9_8equal_toIvEEyEE10hipError_tPvRmT2_T3_T4_T5_mT6_T7_P12ihipStream_tbENKUlT_T0_E_clISt17integral_constantIbLb1EES10_IbLb0EEEEDaSW_SX_EUlSW_E_NS1_11comp_targetILNS1_3genE10ELNS1_11target_archE1200ELNS1_3gpuE4ELNS1_3repE0EEENS1_30default_config_static_selectorELNS0_4arch9wavefront6targetE0EEEvT1_: ; @_ZN7rocprim17ROCPRIM_400000_NS6detail17trampoline_kernelINS0_14default_configENS1_27scan_by_key_config_selectorIiyEEZZNS1_16scan_by_key_implILNS1_25lookback_scan_determinismE0ELb1ES3_N6thrust23THRUST_200600_302600_NS6detail15normal_iteratorINS9_10device_ptrIiEEEENSB_INSC_IyEEEESG_yNS9_4plusIvEENS9_8equal_toIvEEyEE10hipError_tPvRmT2_T3_T4_T5_mT6_T7_P12ihipStream_tbENKUlT_T0_E_clISt17integral_constantIbLb1EES10_IbLb0EEEEDaSW_SX_EUlSW_E_NS1_11comp_targetILNS1_3genE10ELNS1_11target_archE1200ELNS1_3gpuE4ELNS1_3repE0EEENS1_30default_config_static_selectorELNS0_4arch9wavefront6targetE0EEEvT1_
; %bb.0:
	.section	.rodata,"a",@progbits
	.p2align	6, 0x0
	.amdhsa_kernel _ZN7rocprim17ROCPRIM_400000_NS6detail17trampoline_kernelINS0_14default_configENS1_27scan_by_key_config_selectorIiyEEZZNS1_16scan_by_key_implILNS1_25lookback_scan_determinismE0ELb1ES3_N6thrust23THRUST_200600_302600_NS6detail15normal_iteratorINS9_10device_ptrIiEEEENSB_INSC_IyEEEESG_yNS9_4plusIvEENS9_8equal_toIvEEyEE10hipError_tPvRmT2_T3_T4_T5_mT6_T7_P12ihipStream_tbENKUlT_T0_E_clISt17integral_constantIbLb1EES10_IbLb0EEEEDaSW_SX_EUlSW_E_NS1_11comp_targetILNS1_3genE10ELNS1_11target_archE1200ELNS1_3gpuE4ELNS1_3repE0EEENS1_30default_config_static_selectorELNS0_4arch9wavefront6targetE0EEEvT1_
		.amdhsa_group_segment_fixed_size 0
		.amdhsa_private_segment_fixed_size 0
		.amdhsa_kernarg_size 136
		.amdhsa_user_sgpr_count 2
		.amdhsa_user_sgpr_dispatch_ptr 0
		.amdhsa_user_sgpr_queue_ptr 0
		.amdhsa_user_sgpr_kernarg_segment_ptr 1
		.amdhsa_user_sgpr_dispatch_id 0
		.amdhsa_user_sgpr_kernarg_preload_length 0
		.amdhsa_user_sgpr_kernarg_preload_offset 0
		.amdhsa_user_sgpr_private_segment_size 0
		.amdhsa_wavefront_size32 1
		.amdhsa_uses_dynamic_stack 0
		.amdhsa_enable_private_segment 0
		.amdhsa_system_sgpr_workgroup_id_x 1
		.amdhsa_system_sgpr_workgroup_id_y 0
		.amdhsa_system_sgpr_workgroup_id_z 0
		.amdhsa_system_sgpr_workgroup_info 0
		.amdhsa_system_vgpr_workitem_id 0
		.amdhsa_next_free_vgpr 1
		.amdhsa_next_free_sgpr 1
		.amdhsa_named_barrier_count 0
		.amdhsa_reserve_vcc 0
		.amdhsa_float_round_mode_32 0
		.amdhsa_float_round_mode_16_64 0
		.amdhsa_float_denorm_mode_32 3
		.amdhsa_float_denorm_mode_16_64 3
		.amdhsa_fp16_overflow 0
		.amdhsa_memory_ordered 1
		.amdhsa_forward_progress 1
		.amdhsa_inst_pref_size 0
		.amdhsa_round_robin_scheduling 0
		.amdhsa_exception_fp_ieee_invalid_op 0
		.amdhsa_exception_fp_denorm_src 0
		.amdhsa_exception_fp_ieee_div_zero 0
		.amdhsa_exception_fp_ieee_overflow 0
		.amdhsa_exception_fp_ieee_underflow 0
		.amdhsa_exception_fp_ieee_inexact 0
		.amdhsa_exception_int_div_zero 0
	.end_amdhsa_kernel
	.section	.text._ZN7rocprim17ROCPRIM_400000_NS6detail17trampoline_kernelINS0_14default_configENS1_27scan_by_key_config_selectorIiyEEZZNS1_16scan_by_key_implILNS1_25lookback_scan_determinismE0ELb1ES3_N6thrust23THRUST_200600_302600_NS6detail15normal_iteratorINS9_10device_ptrIiEEEENSB_INSC_IyEEEESG_yNS9_4plusIvEENS9_8equal_toIvEEyEE10hipError_tPvRmT2_T3_T4_T5_mT6_T7_P12ihipStream_tbENKUlT_T0_E_clISt17integral_constantIbLb1EES10_IbLb0EEEEDaSW_SX_EUlSW_E_NS1_11comp_targetILNS1_3genE10ELNS1_11target_archE1200ELNS1_3gpuE4ELNS1_3repE0EEENS1_30default_config_static_selectorELNS0_4arch9wavefront6targetE0EEEvT1_,"axG",@progbits,_ZN7rocprim17ROCPRIM_400000_NS6detail17trampoline_kernelINS0_14default_configENS1_27scan_by_key_config_selectorIiyEEZZNS1_16scan_by_key_implILNS1_25lookback_scan_determinismE0ELb1ES3_N6thrust23THRUST_200600_302600_NS6detail15normal_iteratorINS9_10device_ptrIiEEEENSB_INSC_IyEEEESG_yNS9_4plusIvEENS9_8equal_toIvEEyEE10hipError_tPvRmT2_T3_T4_T5_mT6_T7_P12ihipStream_tbENKUlT_T0_E_clISt17integral_constantIbLb1EES10_IbLb0EEEEDaSW_SX_EUlSW_E_NS1_11comp_targetILNS1_3genE10ELNS1_11target_archE1200ELNS1_3gpuE4ELNS1_3repE0EEENS1_30default_config_static_selectorELNS0_4arch9wavefront6targetE0EEEvT1_,comdat
.Lfunc_end1487:
	.size	_ZN7rocprim17ROCPRIM_400000_NS6detail17trampoline_kernelINS0_14default_configENS1_27scan_by_key_config_selectorIiyEEZZNS1_16scan_by_key_implILNS1_25lookback_scan_determinismE0ELb1ES3_N6thrust23THRUST_200600_302600_NS6detail15normal_iteratorINS9_10device_ptrIiEEEENSB_INSC_IyEEEESG_yNS9_4plusIvEENS9_8equal_toIvEEyEE10hipError_tPvRmT2_T3_T4_T5_mT6_T7_P12ihipStream_tbENKUlT_T0_E_clISt17integral_constantIbLb1EES10_IbLb0EEEEDaSW_SX_EUlSW_E_NS1_11comp_targetILNS1_3genE10ELNS1_11target_archE1200ELNS1_3gpuE4ELNS1_3repE0EEENS1_30default_config_static_selectorELNS0_4arch9wavefront6targetE0EEEvT1_, .Lfunc_end1487-_ZN7rocprim17ROCPRIM_400000_NS6detail17trampoline_kernelINS0_14default_configENS1_27scan_by_key_config_selectorIiyEEZZNS1_16scan_by_key_implILNS1_25lookback_scan_determinismE0ELb1ES3_N6thrust23THRUST_200600_302600_NS6detail15normal_iteratorINS9_10device_ptrIiEEEENSB_INSC_IyEEEESG_yNS9_4plusIvEENS9_8equal_toIvEEyEE10hipError_tPvRmT2_T3_T4_T5_mT6_T7_P12ihipStream_tbENKUlT_T0_E_clISt17integral_constantIbLb1EES10_IbLb0EEEEDaSW_SX_EUlSW_E_NS1_11comp_targetILNS1_3genE10ELNS1_11target_archE1200ELNS1_3gpuE4ELNS1_3repE0EEENS1_30default_config_static_selectorELNS0_4arch9wavefront6targetE0EEEvT1_
                                        ; -- End function
	.set _ZN7rocprim17ROCPRIM_400000_NS6detail17trampoline_kernelINS0_14default_configENS1_27scan_by_key_config_selectorIiyEEZZNS1_16scan_by_key_implILNS1_25lookback_scan_determinismE0ELb1ES3_N6thrust23THRUST_200600_302600_NS6detail15normal_iteratorINS9_10device_ptrIiEEEENSB_INSC_IyEEEESG_yNS9_4plusIvEENS9_8equal_toIvEEyEE10hipError_tPvRmT2_T3_T4_T5_mT6_T7_P12ihipStream_tbENKUlT_T0_E_clISt17integral_constantIbLb1EES10_IbLb0EEEEDaSW_SX_EUlSW_E_NS1_11comp_targetILNS1_3genE10ELNS1_11target_archE1200ELNS1_3gpuE4ELNS1_3repE0EEENS1_30default_config_static_selectorELNS0_4arch9wavefront6targetE0EEEvT1_.num_vgpr, 0
	.set _ZN7rocprim17ROCPRIM_400000_NS6detail17trampoline_kernelINS0_14default_configENS1_27scan_by_key_config_selectorIiyEEZZNS1_16scan_by_key_implILNS1_25lookback_scan_determinismE0ELb1ES3_N6thrust23THRUST_200600_302600_NS6detail15normal_iteratorINS9_10device_ptrIiEEEENSB_INSC_IyEEEESG_yNS9_4plusIvEENS9_8equal_toIvEEyEE10hipError_tPvRmT2_T3_T4_T5_mT6_T7_P12ihipStream_tbENKUlT_T0_E_clISt17integral_constantIbLb1EES10_IbLb0EEEEDaSW_SX_EUlSW_E_NS1_11comp_targetILNS1_3genE10ELNS1_11target_archE1200ELNS1_3gpuE4ELNS1_3repE0EEENS1_30default_config_static_selectorELNS0_4arch9wavefront6targetE0EEEvT1_.num_agpr, 0
	.set _ZN7rocprim17ROCPRIM_400000_NS6detail17trampoline_kernelINS0_14default_configENS1_27scan_by_key_config_selectorIiyEEZZNS1_16scan_by_key_implILNS1_25lookback_scan_determinismE0ELb1ES3_N6thrust23THRUST_200600_302600_NS6detail15normal_iteratorINS9_10device_ptrIiEEEENSB_INSC_IyEEEESG_yNS9_4plusIvEENS9_8equal_toIvEEyEE10hipError_tPvRmT2_T3_T4_T5_mT6_T7_P12ihipStream_tbENKUlT_T0_E_clISt17integral_constantIbLb1EES10_IbLb0EEEEDaSW_SX_EUlSW_E_NS1_11comp_targetILNS1_3genE10ELNS1_11target_archE1200ELNS1_3gpuE4ELNS1_3repE0EEENS1_30default_config_static_selectorELNS0_4arch9wavefront6targetE0EEEvT1_.numbered_sgpr, 0
	.set _ZN7rocprim17ROCPRIM_400000_NS6detail17trampoline_kernelINS0_14default_configENS1_27scan_by_key_config_selectorIiyEEZZNS1_16scan_by_key_implILNS1_25lookback_scan_determinismE0ELb1ES3_N6thrust23THRUST_200600_302600_NS6detail15normal_iteratorINS9_10device_ptrIiEEEENSB_INSC_IyEEEESG_yNS9_4plusIvEENS9_8equal_toIvEEyEE10hipError_tPvRmT2_T3_T4_T5_mT6_T7_P12ihipStream_tbENKUlT_T0_E_clISt17integral_constantIbLb1EES10_IbLb0EEEEDaSW_SX_EUlSW_E_NS1_11comp_targetILNS1_3genE10ELNS1_11target_archE1200ELNS1_3gpuE4ELNS1_3repE0EEENS1_30default_config_static_selectorELNS0_4arch9wavefront6targetE0EEEvT1_.num_named_barrier, 0
	.set _ZN7rocprim17ROCPRIM_400000_NS6detail17trampoline_kernelINS0_14default_configENS1_27scan_by_key_config_selectorIiyEEZZNS1_16scan_by_key_implILNS1_25lookback_scan_determinismE0ELb1ES3_N6thrust23THRUST_200600_302600_NS6detail15normal_iteratorINS9_10device_ptrIiEEEENSB_INSC_IyEEEESG_yNS9_4plusIvEENS9_8equal_toIvEEyEE10hipError_tPvRmT2_T3_T4_T5_mT6_T7_P12ihipStream_tbENKUlT_T0_E_clISt17integral_constantIbLb1EES10_IbLb0EEEEDaSW_SX_EUlSW_E_NS1_11comp_targetILNS1_3genE10ELNS1_11target_archE1200ELNS1_3gpuE4ELNS1_3repE0EEENS1_30default_config_static_selectorELNS0_4arch9wavefront6targetE0EEEvT1_.private_seg_size, 0
	.set _ZN7rocprim17ROCPRIM_400000_NS6detail17trampoline_kernelINS0_14default_configENS1_27scan_by_key_config_selectorIiyEEZZNS1_16scan_by_key_implILNS1_25lookback_scan_determinismE0ELb1ES3_N6thrust23THRUST_200600_302600_NS6detail15normal_iteratorINS9_10device_ptrIiEEEENSB_INSC_IyEEEESG_yNS9_4plusIvEENS9_8equal_toIvEEyEE10hipError_tPvRmT2_T3_T4_T5_mT6_T7_P12ihipStream_tbENKUlT_T0_E_clISt17integral_constantIbLb1EES10_IbLb0EEEEDaSW_SX_EUlSW_E_NS1_11comp_targetILNS1_3genE10ELNS1_11target_archE1200ELNS1_3gpuE4ELNS1_3repE0EEENS1_30default_config_static_selectorELNS0_4arch9wavefront6targetE0EEEvT1_.uses_vcc, 0
	.set _ZN7rocprim17ROCPRIM_400000_NS6detail17trampoline_kernelINS0_14default_configENS1_27scan_by_key_config_selectorIiyEEZZNS1_16scan_by_key_implILNS1_25lookback_scan_determinismE0ELb1ES3_N6thrust23THRUST_200600_302600_NS6detail15normal_iteratorINS9_10device_ptrIiEEEENSB_INSC_IyEEEESG_yNS9_4plusIvEENS9_8equal_toIvEEyEE10hipError_tPvRmT2_T3_T4_T5_mT6_T7_P12ihipStream_tbENKUlT_T0_E_clISt17integral_constantIbLb1EES10_IbLb0EEEEDaSW_SX_EUlSW_E_NS1_11comp_targetILNS1_3genE10ELNS1_11target_archE1200ELNS1_3gpuE4ELNS1_3repE0EEENS1_30default_config_static_selectorELNS0_4arch9wavefront6targetE0EEEvT1_.uses_flat_scratch, 0
	.set _ZN7rocprim17ROCPRIM_400000_NS6detail17trampoline_kernelINS0_14default_configENS1_27scan_by_key_config_selectorIiyEEZZNS1_16scan_by_key_implILNS1_25lookback_scan_determinismE0ELb1ES3_N6thrust23THRUST_200600_302600_NS6detail15normal_iteratorINS9_10device_ptrIiEEEENSB_INSC_IyEEEESG_yNS9_4plusIvEENS9_8equal_toIvEEyEE10hipError_tPvRmT2_T3_T4_T5_mT6_T7_P12ihipStream_tbENKUlT_T0_E_clISt17integral_constantIbLb1EES10_IbLb0EEEEDaSW_SX_EUlSW_E_NS1_11comp_targetILNS1_3genE10ELNS1_11target_archE1200ELNS1_3gpuE4ELNS1_3repE0EEENS1_30default_config_static_selectorELNS0_4arch9wavefront6targetE0EEEvT1_.has_dyn_sized_stack, 0
	.set _ZN7rocprim17ROCPRIM_400000_NS6detail17trampoline_kernelINS0_14default_configENS1_27scan_by_key_config_selectorIiyEEZZNS1_16scan_by_key_implILNS1_25lookback_scan_determinismE0ELb1ES3_N6thrust23THRUST_200600_302600_NS6detail15normal_iteratorINS9_10device_ptrIiEEEENSB_INSC_IyEEEESG_yNS9_4plusIvEENS9_8equal_toIvEEyEE10hipError_tPvRmT2_T3_T4_T5_mT6_T7_P12ihipStream_tbENKUlT_T0_E_clISt17integral_constantIbLb1EES10_IbLb0EEEEDaSW_SX_EUlSW_E_NS1_11comp_targetILNS1_3genE10ELNS1_11target_archE1200ELNS1_3gpuE4ELNS1_3repE0EEENS1_30default_config_static_selectorELNS0_4arch9wavefront6targetE0EEEvT1_.has_recursion, 0
	.set _ZN7rocprim17ROCPRIM_400000_NS6detail17trampoline_kernelINS0_14default_configENS1_27scan_by_key_config_selectorIiyEEZZNS1_16scan_by_key_implILNS1_25lookback_scan_determinismE0ELb1ES3_N6thrust23THRUST_200600_302600_NS6detail15normal_iteratorINS9_10device_ptrIiEEEENSB_INSC_IyEEEESG_yNS9_4plusIvEENS9_8equal_toIvEEyEE10hipError_tPvRmT2_T3_T4_T5_mT6_T7_P12ihipStream_tbENKUlT_T0_E_clISt17integral_constantIbLb1EES10_IbLb0EEEEDaSW_SX_EUlSW_E_NS1_11comp_targetILNS1_3genE10ELNS1_11target_archE1200ELNS1_3gpuE4ELNS1_3repE0EEENS1_30default_config_static_selectorELNS0_4arch9wavefront6targetE0EEEvT1_.has_indirect_call, 0
	.section	.AMDGPU.csdata,"",@progbits
; Kernel info:
; codeLenInByte = 0
; TotalNumSgprs: 0
; NumVgprs: 0
; ScratchSize: 0
; MemoryBound: 0
; FloatMode: 240
; IeeeMode: 1
; LDSByteSize: 0 bytes/workgroup (compile time only)
; SGPRBlocks: 0
; VGPRBlocks: 0
; NumSGPRsForWavesPerEU: 1
; NumVGPRsForWavesPerEU: 1
; NamedBarCnt: 0
; Occupancy: 16
; WaveLimiterHint : 0
; COMPUTE_PGM_RSRC2:SCRATCH_EN: 0
; COMPUTE_PGM_RSRC2:USER_SGPR: 2
; COMPUTE_PGM_RSRC2:TRAP_HANDLER: 0
; COMPUTE_PGM_RSRC2:TGID_X_EN: 1
; COMPUTE_PGM_RSRC2:TGID_Y_EN: 0
; COMPUTE_PGM_RSRC2:TGID_Z_EN: 0
; COMPUTE_PGM_RSRC2:TIDIG_COMP_CNT: 0
	.section	.text._ZN7rocprim17ROCPRIM_400000_NS6detail17trampoline_kernelINS0_14default_configENS1_27scan_by_key_config_selectorIiyEEZZNS1_16scan_by_key_implILNS1_25lookback_scan_determinismE0ELb1ES3_N6thrust23THRUST_200600_302600_NS6detail15normal_iteratorINS9_10device_ptrIiEEEENSB_INSC_IyEEEESG_yNS9_4plusIvEENS9_8equal_toIvEEyEE10hipError_tPvRmT2_T3_T4_T5_mT6_T7_P12ihipStream_tbENKUlT_T0_E_clISt17integral_constantIbLb1EES10_IbLb0EEEEDaSW_SX_EUlSW_E_NS1_11comp_targetILNS1_3genE9ELNS1_11target_archE1100ELNS1_3gpuE3ELNS1_3repE0EEENS1_30default_config_static_selectorELNS0_4arch9wavefront6targetE0EEEvT1_,"axG",@progbits,_ZN7rocprim17ROCPRIM_400000_NS6detail17trampoline_kernelINS0_14default_configENS1_27scan_by_key_config_selectorIiyEEZZNS1_16scan_by_key_implILNS1_25lookback_scan_determinismE0ELb1ES3_N6thrust23THRUST_200600_302600_NS6detail15normal_iteratorINS9_10device_ptrIiEEEENSB_INSC_IyEEEESG_yNS9_4plusIvEENS9_8equal_toIvEEyEE10hipError_tPvRmT2_T3_T4_T5_mT6_T7_P12ihipStream_tbENKUlT_T0_E_clISt17integral_constantIbLb1EES10_IbLb0EEEEDaSW_SX_EUlSW_E_NS1_11comp_targetILNS1_3genE9ELNS1_11target_archE1100ELNS1_3gpuE3ELNS1_3repE0EEENS1_30default_config_static_selectorELNS0_4arch9wavefront6targetE0EEEvT1_,comdat
	.protected	_ZN7rocprim17ROCPRIM_400000_NS6detail17trampoline_kernelINS0_14default_configENS1_27scan_by_key_config_selectorIiyEEZZNS1_16scan_by_key_implILNS1_25lookback_scan_determinismE0ELb1ES3_N6thrust23THRUST_200600_302600_NS6detail15normal_iteratorINS9_10device_ptrIiEEEENSB_INSC_IyEEEESG_yNS9_4plusIvEENS9_8equal_toIvEEyEE10hipError_tPvRmT2_T3_T4_T5_mT6_T7_P12ihipStream_tbENKUlT_T0_E_clISt17integral_constantIbLb1EES10_IbLb0EEEEDaSW_SX_EUlSW_E_NS1_11comp_targetILNS1_3genE9ELNS1_11target_archE1100ELNS1_3gpuE3ELNS1_3repE0EEENS1_30default_config_static_selectorELNS0_4arch9wavefront6targetE0EEEvT1_ ; -- Begin function _ZN7rocprim17ROCPRIM_400000_NS6detail17trampoline_kernelINS0_14default_configENS1_27scan_by_key_config_selectorIiyEEZZNS1_16scan_by_key_implILNS1_25lookback_scan_determinismE0ELb1ES3_N6thrust23THRUST_200600_302600_NS6detail15normal_iteratorINS9_10device_ptrIiEEEENSB_INSC_IyEEEESG_yNS9_4plusIvEENS9_8equal_toIvEEyEE10hipError_tPvRmT2_T3_T4_T5_mT6_T7_P12ihipStream_tbENKUlT_T0_E_clISt17integral_constantIbLb1EES10_IbLb0EEEEDaSW_SX_EUlSW_E_NS1_11comp_targetILNS1_3genE9ELNS1_11target_archE1100ELNS1_3gpuE3ELNS1_3repE0EEENS1_30default_config_static_selectorELNS0_4arch9wavefront6targetE0EEEvT1_
	.globl	_ZN7rocprim17ROCPRIM_400000_NS6detail17trampoline_kernelINS0_14default_configENS1_27scan_by_key_config_selectorIiyEEZZNS1_16scan_by_key_implILNS1_25lookback_scan_determinismE0ELb1ES3_N6thrust23THRUST_200600_302600_NS6detail15normal_iteratorINS9_10device_ptrIiEEEENSB_INSC_IyEEEESG_yNS9_4plusIvEENS9_8equal_toIvEEyEE10hipError_tPvRmT2_T3_T4_T5_mT6_T7_P12ihipStream_tbENKUlT_T0_E_clISt17integral_constantIbLb1EES10_IbLb0EEEEDaSW_SX_EUlSW_E_NS1_11comp_targetILNS1_3genE9ELNS1_11target_archE1100ELNS1_3gpuE3ELNS1_3repE0EEENS1_30default_config_static_selectorELNS0_4arch9wavefront6targetE0EEEvT1_
	.p2align	8
	.type	_ZN7rocprim17ROCPRIM_400000_NS6detail17trampoline_kernelINS0_14default_configENS1_27scan_by_key_config_selectorIiyEEZZNS1_16scan_by_key_implILNS1_25lookback_scan_determinismE0ELb1ES3_N6thrust23THRUST_200600_302600_NS6detail15normal_iteratorINS9_10device_ptrIiEEEENSB_INSC_IyEEEESG_yNS9_4plusIvEENS9_8equal_toIvEEyEE10hipError_tPvRmT2_T3_T4_T5_mT6_T7_P12ihipStream_tbENKUlT_T0_E_clISt17integral_constantIbLb1EES10_IbLb0EEEEDaSW_SX_EUlSW_E_NS1_11comp_targetILNS1_3genE9ELNS1_11target_archE1100ELNS1_3gpuE3ELNS1_3repE0EEENS1_30default_config_static_selectorELNS0_4arch9wavefront6targetE0EEEvT1_,@function
_ZN7rocprim17ROCPRIM_400000_NS6detail17trampoline_kernelINS0_14default_configENS1_27scan_by_key_config_selectorIiyEEZZNS1_16scan_by_key_implILNS1_25lookback_scan_determinismE0ELb1ES3_N6thrust23THRUST_200600_302600_NS6detail15normal_iteratorINS9_10device_ptrIiEEEENSB_INSC_IyEEEESG_yNS9_4plusIvEENS9_8equal_toIvEEyEE10hipError_tPvRmT2_T3_T4_T5_mT6_T7_P12ihipStream_tbENKUlT_T0_E_clISt17integral_constantIbLb1EES10_IbLb0EEEEDaSW_SX_EUlSW_E_NS1_11comp_targetILNS1_3genE9ELNS1_11target_archE1100ELNS1_3gpuE3ELNS1_3repE0EEENS1_30default_config_static_selectorELNS0_4arch9wavefront6targetE0EEEvT1_: ; @_ZN7rocprim17ROCPRIM_400000_NS6detail17trampoline_kernelINS0_14default_configENS1_27scan_by_key_config_selectorIiyEEZZNS1_16scan_by_key_implILNS1_25lookback_scan_determinismE0ELb1ES3_N6thrust23THRUST_200600_302600_NS6detail15normal_iteratorINS9_10device_ptrIiEEEENSB_INSC_IyEEEESG_yNS9_4plusIvEENS9_8equal_toIvEEyEE10hipError_tPvRmT2_T3_T4_T5_mT6_T7_P12ihipStream_tbENKUlT_T0_E_clISt17integral_constantIbLb1EES10_IbLb0EEEEDaSW_SX_EUlSW_E_NS1_11comp_targetILNS1_3genE9ELNS1_11target_archE1100ELNS1_3gpuE3ELNS1_3repE0EEENS1_30default_config_static_selectorELNS0_4arch9wavefront6targetE0EEEvT1_
; %bb.0:
	.section	.rodata,"a",@progbits
	.p2align	6, 0x0
	.amdhsa_kernel _ZN7rocprim17ROCPRIM_400000_NS6detail17trampoline_kernelINS0_14default_configENS1_27scan_by_key_config_selectorIiyEEZZNS1_16scan_by_key_implILNS1_25lookback_scan_determinismE0ELb1ES3_N6thrust23THRUST_200600_302600_NS6detail15normal_iteratorINS9_10device_ptrIiEEEENSB_INSC_IyEEEESG_yNS9_4plusIvEENS9_8equal_toIvEEyEE10hipError_tPvRmT2_T3_T4_T5_mT6_T7_P12ihipStream_tbENKUlT_T0_E_clISt17integral_constantIbLb1EES10_IbLb0EEEEDaSW_SX_EUlSW_E_NS1_11comp_targetILNS1_3genE9ELNS1_11target_archE1100ELNS1_3gpuE3ELNS1_3repE0EEENS1_30default_config_static_selectorELNS0_4arch9wavefront6targetE0EEEvT1_
		.amdhsa_group_segment_fixed_size 0
		.amdhsa_private_segment_fixed_size 0
		.amdhsa_kernarg_size 136
		.amdhsa_user_sgpr_count 2
		.amdhsa_user_sgpr_dispatch_ptr 0
		.amdhsa_user_sgpr_queue_ptr 0
		.amdhsa_user_sgpr_kernarg_segment_ptr 1
		.amdhsa_user_sgpr_dispatch_id 0
		.amdhsa_user_sgpr_kernarg_preload_length 0
		.amdhsa_user_sgpr_kernarg_preload_offset 0
		.amdhsa_user_sgpr_private_segment_size 0
		.amdhsa_wavefront_size32 1
		.amdhsa_uses_dynamic_stack 0
		.amdhsa_enable_private_segment 0
		.amdhsa_system_sgpr_workgroup_id_x 1
		.amdhsa_system_sgpr_workgroup_id_y 0
		.amdhsa_system_sgpr_workgroup_id_z 0
		.amdhsa_system_sgpr_workgroup_info 0
		.amdhsa_system_vgpr_workitem_id 0
		.amdhsa_next_free_vgpr 1
		.amdhsa_next_free_sgpr 1
		.amdhsa_named_barrier_count 0
		.amdhsa_reserve_vcc 0
		.amdhsa_float_round_mode_32 0
		.amdhsa_float_round_mode_16_64 0
		.amdhsa_float_denorm_mode_32 3
		.amdhsa_float_denorm_mode_16_64 3
		.amdhsa_fp16_overflow 0
		.amdhsa_memory_ordered 1
		.amdhsa_forward_progress 1
		.amdhsa_inst_pref_size 0
		.amdhsa_round_robin_scheduling 0
		.amdhsa_exception_fp_ieee_invalid_op 0
		.amdhsa_exception_fp_denorm_src 0
		.amdhsa_exception_fp_ieee_div_zero 0
		.amdhsa_exception_fp_ieee_overflow 0
		.amdhsa_exception_fp_ieee_underflow 0
		.amdhsa_exception_fp_ieee_inexact 0
		.amdhsa_exception_int_div_zero 0
	.end_amdhsa_kernel
	.section	.text._ZN7rocprim17ROCPRIM_400000_NS6detail17trampoline_kernelINS0_14default_configENS1_27scan_by_key_config_selectorIiyEEZZNS1_16scan_by_key_implILNS1_25lookback_scan_determinismE0ELb1ES3_N6thrust23THRUST_200600_302600_NS6detail15normal_iteratorINS9_10device_ptrIiEEEENSB_INSC_IyEEEESG_yNS9_4plusIvEENS9_8equal_toIvEEyEE10hipError_tPvRmT2_T3_T4_T5_mT6_T7_P12ihipStream_tbENKUlT_T0_E_clISt17integral_constantIbLb1EES10_IbLb0EEEEDaSW_SX_EUlSW_E_NS1_11comp_targetILNS1_3genE9ELNS1_11target_archE1100ELNS1_3gpuE3ELNS1_3repE0EEENS1_30default_config_static_selectorELNS0_4arch9wavefront6targetE0EEEvT1_,"axG",@progbits,_ZN7rocprim17ROCPRIM_400000_NS6detail17trampoline_kernelINS0_14default_configENS1_27scan_by_key_config_selectorIiyEEZZNS1_16scan_by_key_implILNS1_25lookback_scan_determinismE0ELb1ES3_N6thrust23THRUST_200600_302600_NS6detail15normal_iteratorINS9_10device_ptrIiEEEENSB_INSC_IyEEEESG_yNS9_4plusIvEENS9_8equal_toIvEEyEE10hipError_tPvRmT2_T3_T4_T5_mT6_T7_P12ihipStream_tbENKUlT_T0_E_clISt17integral_constantIbLb1EES10_IbLb0EEEEDaSW_SX_EUlSW_E_NS1_11comp_targetILNS1_3genE9ELNS1_11target_archE1100ELNS1_3gpuE3ELNS1_3repE0EEENS1_30default_config_static_selectorELNS0_4arch9wavefront6targetE0EEEvT1_,comdat
.Lfunc_end1488:
	.size	_ZN7rocprim17ROCPRIM_400000_NS6detail17trampoline_kernelINS0_14default_configENS1_27scan_by_key_config_selectorIiyEEZZNS1_16scan_by_key_implILNS1_25lookback_scan_determinismE0ELb1ES3_N6thrust23THRUST_200600_302600_NS6detail15normal_iteratorINS9_10device_ptrIiEEEENSB_INSC_IyEEEESG_yNS9_4plusIvEENS9_8equal_toIvEEyEE10hipError_tPvRmT2_T3_T4_T5_mT6_T7_P12ihipStream_tbENKUlT_T0_E_clISt17integral_constantIbLb1EES10_IbLb0EEEEDaSW_SX_EUlSW_E_NS1_11comp_targetILNS1_3genE9ELNS1_11target_archE1100ELNS1_3gpuE3ELNS1_3repE0EEENS1_30default_config_static_selectorELNS0_4arch9wavefront6targetE0EEEvT1_, .Lfunc_end1488-_ZN7rocprim17ROCPRIM_400000_NS6detail17trampoline_kernelINS0_14default_configENS1_27scan_by_key_config_selectorIiyEEZZNS1_16scan_by_key_implILNS1_25lookback_scan_determinismE0ELb1ES3_N6thrust23THRUST_200600_302600_NS6detail15normal_iteratorINS9_10device_ptrIiEEEENSB_INSC_IyEEEESG_yNS9_4plusIvEENS9_8equal_toIvEEyEE10hipError_tPvRmT2_T3_T4_T5_mT6_T7_P12ihipStream_tbENKUlT_T0_E_clISt17integral_constantIbLb1EES10_IbLb0EEEEDaSW_SX_EUlSW_E_NS1_11comp_targetILNS1_3genE9ELNS1_11target_archE1100ELNS1_3gpuE3ELNS1_3repE0EEENS1_30default_config_static_selectorELNS0_4arch9wavefront6targetE0EEEvT1_
                                        ; -- End function
	.set _ZN7rocprim17ROCPRIM_400000_NS6detail17trampoline_kernelINS0_14default_configENS1_27scan_by_key_config_selectorIiyEEZZNS1_16scan_by_key_implILNS1_25lookback_scan_determinismE0ELb1ES3_N6thrust23THRUST_200600_302600_NS6detail15normal_iteratorINS9_10device_ptrIiEEEENSB_INSC_IyEEEESG_yNS9_4plusIvEENS9_8equal_toIvEEyEE10hipError_tPvRmT2_T3_T4_T5_mT6_T7_P12ihipStream_tbENKUlT_T0_E_clISt17integral_constantIbLb1EES10_IbLb0EEEEDaSW_SX_EUlSW_E_NS1_11comp_targetILNS1_3genE9ELNS1_11target_archE1100ELNS1_3gpuE3ELNS1_3repE0EEENS1_30default_config_static_selectorELNS0_4arch9wavefront6targetE0EEEvT1_.num_vgpr, 0
	.set _ZN7rocprim17ROCPRIM_400000_NS6detail17trampoline_kernelINS0_14default_configENS1_27scan_by_key_config_selectorIiyEEZZNS1_16scan_by_key_implILNS1_25lookback_scan_determinismE0ELb1ES3_N6thrust23THRUST_200600_302600_NS6detail15normal_iteratorINS9_10device_ptrIiEEEENSB_INSC_IyEEEESG_yNS9_4plusIvEENS9_8equal_toIvEEyEE10hipError_tPvRmT2_T3_T4_T5_mT6_T7_P12ihipStream_tbENKUlT_T0_E_clISt17integral_constantIbLb1EES10_IbLb0EEEEDaSW_SX_EUlSW_E_NS1_11comp_targetILNS1_3genE9ELNS1_11target_archE1100ELNS1_3gpuE3ELNS1_3repE0EEENS1_30default_config_static_selectorELNS0_4arch9wavefront6targetE0EEEvT1_.num_agpr, 0
	.set _ZN7rocprim17ROCPRIM_400000_NS6detail17trampoline_kernelINS0_14default_configENS1_27scan_by_key_config_selectorIiyEEZZNS1_16scan_by_key_implILNS1_25lookback_scan_determinismE0ELb1ES3_N6thrust23THRUST_200600_302600_NS6detail15normal_iteratorINS9_10device_ptrIiEEEENSB_INSC_IyEEEESG_yNS9_4plusIvEENS9_8equal_toIvEEyEE10hipError_tPvRmT2_T3_T4_T5_mT6_T7_P12ihipStream_tbENKUlT_T0_E_clISt17integral_constantIbLb1EES10_IbLb0EEEEDaSW_SX_EUlSW_E_NS1_11comp_targetILNS1_3genE9ELNS1_11target_archE1100ELNS1_3gpuE3ELNS1_3repE0EEENS1_30default_config_static_selectorELNS0_4arch9wavefront6targetE0EEEvT1_.numbered_sgpr, 0
	.set _ZN7rocprim17ROCPRIM_400000_NS6detail17trampoline_kernelINS0_14default_configENS1_27scan_by_key_config_selectorIiyEEZZNS1_16scan_by_key_implILNS1_25lookback_scan_determinismE0ELb1ES3_N6thrust23THRUST_200600_302600_NS6detail15normal_iteratorINS9_10device_ptrIiEEEENSB_INSC_IyEEEESG_yNS9_4plusIvEENS9_8equal_toIvEEyEE10hipError_tPvRmT2_T3_T4_T5_mT6_T7_P12ihipStream_tbENKUlT_T0_E_clISt17integral_constantIbLb1EES10_IbLb0EEEEDaSW_SX_EUlSW_E_NS1_11comp_targetILNS1_3genE9ELNS1_11target_archE1100ELNS1_3gpuE3ELNS1_3repE0EEENS1_30default_config_static_selectorELNS0_4arch9wavefront6targetE0EEEvT1_.num_named_barrier, 0
	.set _ZN7rocprim17ROCPRIM_400000_NS6detail17trampoline_kernelINS0_14default_configENS1_27scan_by_key_config_selectorIiyEEZZNS1_16scan_by_key_implILNS1_25lookback_scan_determinismE0ELb1ES3_N6thrust23THRUST_200600_302600_NS6detail15normal_iteratorINS9_10device_ptrIiEEEENSB_INSC_IyEEEESG_yNS9_4plusIvEENS9_8equal_toIvEEyEE10hipError_tPvRmT2_T3_T4_T5_mT6_T7_P12ihipStream_tbENKUlT_T0_E_clISt17integral_constantIbLb1EES10_IbLb0EEEEDaSW_SX_EUlSW_E_NS1_11comp_targetILNS1_3genE9ELNS1_11target_archE1100ELNS1_3gpuE3ELNS1_3repE0EEENS1_30default_config_static_selectorELNS0_4arch9wavefront6targetE0EEEvT1_.private_seg_size, 0
	.set _ZN7rocprim17ROCPRIM_400000_NS6detail17trampoline_kernelINS0_14default_configENS1_27scan_by_key_config_selectorIiyEEZZNS1_16scan_by_key_implILNS1_25lookback_scan_determinismE0ELb1ES3_N6thrust23THRUST_200600_302600_NS6detail15normal_iteratorINS9_10device_ptrIiEEEENSB_INSC_IyEEEESG_yNS9_4plusIvEENS9_8equal_toIvEEyEE10hipError_tPvRmT2_T3_T4_T5_mT6_T7_P12ihipStream_tbENKUlT_T0_E_clISt17integral_constantIbLb1EES10_IbLb0EEEEDaSW_SX_EUlSW_E_NS1_11comp_targetILNS1_3genE9ELNS1_11target_archE1100ELNS1_3gpuE3ELNS1_3repE0EEENS1_30default_config_static_selectorELNS0_4arch9wavefront6targetE0EEEvT1_.uses_vcc, 0
	.set _ZN7rocprim17ROCPRIM_400000_NS6detail17trampoline_kernelINS0_14default_configENS1_27scan_by_key_config_selectorIiyEEZZNS1_16scan_by_key_implILNS1_25lookback_scan_determinismE0ELb1ES3_N6thrust23THRUST_200600_302600_NS6detail15normal_iteratorINS9_10device_ptrIiEEEENSB_INSC_IyEEEESG_yNS9_4plusIvEENS9_8equal_toIvEEyEE10hipError_tPvRmT2_T3_T4_T5_mT6_T7_P12ihipStream_tbENKUlT_T0_E_clISt17integral_constantIbLb1EES10_IbLb0EEEEDaSW_SX_EUlSW_E_NS1_11comp_targetILNS1_3genE9ELNS1_11target_archE1100ELNS1_3gpuE3ELNS1_3repE0EEENS1_30default_config_static_selectorELNS0_4arch9wavefront6targetE0EEEvT1_.uses_flat_scratch, 0
	.set _ZN7rocprim17ROCPRIM_400000_NS6detail17trampoline_kernelINS0_14default_configENS1_27scan_by_key_config_selectorIiyEEZZNS1_16scan_by_key_implILNS1_25lookback_scan_determinismE0ELb1ES3_N6thrust23THRUST_200600_302600_NS6detail15normal_iteratorINS9_10device_ptrIiEEEENSB_INSC_IyEEEESG_yNS9_4plusIvEENS9_8equal_toIvEEyEE10hipError_tPvRmT2_T3_T4_T5_mT6_T7_P12ihipStream_tbENKUlT_T0_E_clISt17integral_constantIbLb1EES10_IbLb0EEEEDaSW_SX_EUlSW_E_NS1_11comp_targetILNS1_3genE9ELNS1_11target_archE1100ELNS1_3gpuE3ELNS1_3repE0EEENS1_30default_config_static_selectorELNS0_4arch9wavefront6targetE0EEEvT1_.has_dyn_sized_stack, 0
	.set _ZN7rocprim17ROCPRIM_400000_NS6detail17trampoline_kernelINS0_14default_configENS1_27scan_by_key_config_selectorIiyEEZZNS1_16scan_by_key_implILNS1_25lookback_scan_determinismE0ELb1ES3_N6thrust23THRUST_200600_302600_NS6detail15normal_iteratorINS9_10device_ptrIiEEEENSB_INSC_IyEEEESG_yNS9_4plusIvEENS9_8equal_toIvEEyEE10hipError_tPvRmT2_T3_T4_T5_mT6_T7_P12ihipStream_tbENKUlT_T0_E_clISt17integral_constantIbLb1EES10_IbLb0EEEEDaSW_SX_EUlSW_E_NS1_11comp_targetILNS1_3genE9ELNS1_11target_archE1100ELNS1_3gpuE3ELNS1_3repE0EEENS1_30default_config_static_selectorELNS0_4arch9wavefront6targetE0EEEvT1_.has_recursion, 0
	.set _ZN7rocprim17ROCPRIM_400000_NS6detail17trampoline_kernelINS0_14default_configENS1_27scan_by_key_config_selectorIiyEEZZNS1_16scan_by_key_implILNS1_25lookback_scan_determinismE0ELb1ES3_N6thrust23THRUST_200600_302600_NS6detail15normal_iteratorINS9_10device_ptrIiEEEENSB_INSC_IyEEEESG_yNS9_4plusIvEENS9_8equal_toIvEEyEE10hipError_tPvRmT2_T3_T4_T5_mT6_T7_P12ihipStream_tbENKUlT_T0_E_clISt17integral_constantIbLb1EES10_IbLb0EEEEDaSW_SX_EUlSW_E_NS1_11comp_targetILNS1_3genE9ELNS1_11target_archE1100ELNS1_3gpuE3ELNS1_3repE0EEENS1_30default_config_static_selectorELNS0_4arch9wavefront6targetE0EEEvT1_.has_indirect_call, 0
	.section	.AMDGPU.csdata,"",@progbits
; Kernel info:
; codeLenInByte = 0
; TotalNumSgprs: 0
; NumVgprs: 0
; ScratchSize: 0
; MemoryBound: 0
; FloatMode: 240
; IeeeMode: 1
; LDSByteSize: 0 bytes/workgroup (compile time only)
; SGPRBlocks: 0
; VGPRBlocks: 0
; NumSGPRsForWavesPerEU: 1
; NumVGPRsForWavesPerEU: 1
; NamedBarCnt: 0
; Occupancy: 16
; WaveLimiterHint : 0
; COMPUTE_PGM_RSRC2:SCRATCH_EN: 0
; COMPUTE_PGM_RSRC2:USER_SGPR: 2
; COMPUTE_PGM_RSRC2:TRAP_HANDLER: 0
; COMPUTE_PGM_RSRC2:TGID_X_EN: 1
; COMPUTE_PGM_RSRC2:TGID_Y_EN: 0
; COMPUTE_PGM_RSRC2:TGID_Z_EN: 0
; COMPUTE_PGM_RSRC2:TIDIG_COMP_CNT: 0
	.section	.text._ZN7rocprim17ROCPRIM_400000_NS6detail17trampoline_kernelINS0_14default_configENS1_27scan_by_key_config_selectorIiyEEZZNS1_16scan_by_key_implILNS1_25lookback_scan_determinismE0ELb1ES3_N6thrust23THRUST_200600_302600_NS6detail15normal_iteratorINS9_10device_ptrIiEEEENSB_INSC_IyEEEESG_yNS9_4plusIvEENS9_8equal_toIvEEyEE10hipError_tPvRmT2_T3_T4_T5_mT6_T7_P12ihipStream_tbENKUlT_T0_E_clISt17integral_constantIbLb1EES10_IbLb0EEEEDaSW_SX_EUlSW_E_NS1_11comp_targetILNS1_3genE8ELNS1_11target_archE1030ELNS1_3gpuE2ELNS1_3repE0EEENS1_30default_config_static_selectorELNS0_4arch9wavefront6targetE0EEEvT1_,"axG",@progbits,_ZN7rocprim17ROCPRIM_400000_NS6detail17trampoline_kernelINS0_14default_configENS1_27scan_by_key_config_selectorIiyEEZZNS1_16scan_by_key_implILNS1_25lookback_scan_determinismE0ELb1ES3_N6thrust23THRUST_200600_302600_NS6detail15normal_iteratorINS9_10device_ptrIiEEEENSB_INSC_IyEEEESG_yNS9_4plusIvEENS9_8equal_toIvEEyEE10hipError_tPvRmT2_T3_T4_T5_mT6_T7_P12ihipStream_tbENKUlT_T0_E_clISt17integral_constantIbLb1EES10_IbLb0EEEEDaSW_SX_EUlSW_E_NS1_11comp_targetILNS1_3genE8ELNS1_11target_archE1030ELNS1_3gpuE2ELNS1_3repE0EEENS1_30default_config_static_selectorELNS0_4arch9wavefront6targetE0EEEvT1_,comdat
	.protected	_ZN7rocprim17ROCPRIM_400000_NS6detail17trampoline_kernelINS0_14default_configENS1_27scan_by_key_config_selectorIiyEEZZNS1_16scan_by_key_implILNS1_25lookback_scan_determinismE0ELb1ES3_N6thrust23THRUST_200600_302600_NS6detail15normal_iteratorINS9_10device_ptrIiEEEENSB_INSC_IyEEEESG_yNS9_4plusIvEENS9_8equal_toIvEEyEE10hipError_tPvRmT2_T3_T4_T5_mT6_T7_P12ihipStream_tbENKUlT_T0_E_clISt17integral_constantIbLb1EES10_IbLb0EEEEDaSW_SX_EUlSW_E_NS1_11comp_targetILNS1_3genE8ELNS1_11target_archE1030ELNS1_3gpuE2ELNS1_3repE0EEENS1_30default_config_static_selectorELNS0_4arch9wavefront6targetE0EEEvT1_ ; -- Begin function _ZN7rocprim17ROCPRIM_400000_NS6detail17trampoline_kernelINS0_14default_configENS1_27scan_by_key_config_selectorIiyEEZZNS1_16scan_by_key_implILNS1_25lookback_scan_determinismE0ELb1ES3_N6thrust23THRUST_200600_302600_NS6detail15normal_iteratorINS9_10device_ptrIiEEEENSB_INSC_IyEEEESG_yNS9_4plusIvEENS9_8equal_toIvEEyEE10hipError_tPvRmT2_T3_T4_T5_mT6_T7_P12ihipStream_tbENKUlT_T0_E_clISt17integral_constantIbLb1EES10_IbLb0EEEEDaSW_SX_EUlSW_E_NS1_11comp_targetILNS1_3genE8ELNS1_11target_archE1030ELNS1_3gpuE2ELNS1_3repE0EEENS1_30default_config_static_selectorELNS0_4arch9wavefront6targetE0EEEvT1_
	.globl	_ZN7rocprim17ROCPRIM_400000_NS6detail17trampoline_kernelINS0_14default_configENS1_27scan_by_key_config_selectorIiyEEZZNS1_16scan_by_key_implILNS1_25lookback_scan_determinismE0ELb1ES3_N6thrust23THRUST_200600_302600_NS6detail15normal_iteratorINS9_10device_ptrIiEEEENSB_INSC_IyEEEESG_yNS9_4plusIvEENS9_8equal_toIvEEyEE10hipError_tPvRmT2_T3_T4_T5_mT6_T7_P12ihipStream_tbENKUlT_T0_E_clISt17integral_constantIbLb1EES10_IbLb0EEEEDaSW_SX_EUlSW_E_NS1_11comp_targetILNS1_3genE8ELNS1_11target_archE1030ELNS1_3gpuE2ELNS1_3repE0EEENS1_30default_config_static_selectorELNS0_4arch9wavefront6targetE0EEEvT1_
	.p2align	8
	.type	_ZN7rocprim17ROCPRIM_400000_NS6detail17trampoline_kernelINS0_14default_configENS1_27scan_by_key_config_selectorIiyEEZZNS1_16scan_by_key_implILNS1_25lookback_scan_determinismE0ELb1ES3_N6thrust23THRUST_200600_302600_NS6detail15normal_iteratorINS9_10device_ptrIiEEEENSB_INSC_IyEEEESG_yNS9_4plusIvEENS9_8equal_toIvEEyEE10hipError_tPvRmT2_T3_T4_T5_mT6_T7_P12ihipStream_tbENKUlT_T0_E_clISt17integral_constantIbLb1EES10_IbLb0EEEEDaSW_SX_EUlSW_E_NS1_11comp_targetILNS1_3genE8ELNS1_11target_archE1030ELNS1_3gpuE2ELNS1_3repE0EEENS1_30default_config_static_selectorELNS0_4arch9wavefront6targetE0EEEvT1_,@function
_ZN7rocprim17ROCPRIM_400000_NS6detail17trampoline_kernelINS0_14default_configENS1_27scan_by_key_config_selectorIiyEEZZNS1_16scan_by_key_implILNS1_25lookback_scan_determinismE0ELb1ES3_N6thrust23THRUST_200600_302600_NS6detail15normal_iteratorINS9_10device_ptrIiEEEENSB_INSC_IyEEEESG_yNS9_4plusIvEENS9_8equal_toIvEEyEE10hipError_tPvRmT2_T3_T4_T5_mT6_T7_P12ihipStream_tbENKUlT_T0_E_clISt17integral_constantIbLb1EES10_IbLb0EEEEDaSW_SX_EUlSW_E_NS1_11comp_targetILNS1_3genE8ELNS1_11target_archE1030ELNS1_3gpuE2ELNS1_3repE0EEENS1_30default_config_static_selectorELNS0_4arch9wavefront6targetE0EEEvT1_: ; @_ZN7rocprim17ROCPRIM_400000_NS6detail17trampoline_kernelINS0_14default_configENS1_27scan_by_key_config_selectorIiyEEZZNS1_16scan_by_key_implILNS1_25lookback_scan_determinismE0ELb1ES3_N6thrust23THRUST_200600_302600_NS6detail15normal_iteratorINS9_10device_ptrIiEEEENSB_INSC_IyEEEESG_yNS9_4plusIvEENS9_8equal_toIvEEyEE10hipError_tPvRmT2_T3_T4_T5_mT6_T7_P12ihipStream_tbENKUlT_T0_E_clISt17integral_constantIbLb1EES10_IbLb0EEEEDaSW_SX_EUlSW_E_NS1_11comp_targetILNS1_3genE8ELNS1_11target_archE1030ELNS1_3gpuE2ELNS1_3repE0EEENS1_30default_config_static_selectorELNS0_4arch9wavefront6targetE0EEEvT1_
; %bb.0:
	.section	.rodata,"a",@progbits
	.p2align	6, 0x0
	.amdhsa_kernel _ZN7rocprim17ROCPRIM_400000_NS6detail17trampoline_kernelINS0_14default_configENS1_27scan_by_key_config_selectorIiyEEZZNS1_16scan_by_key_implILNS1_25lookback_scan_determinismE0ELb1ES3_N6thrust23THRUST_200600_302600_NS6detail15normal_iteratorINS9_10device_ptrIiEEEENSB_INSC_IyEEEESG_yNS9_4plusIvEENS9_8equal_toIvEEyEE10hipError_tPvRmT2_T3_T4_T5_mT6_T7_P12ihipStream_tbENKUlT_T0_E_clISt17integral_constantIbLb1EES10_IbLb0EEEEDaSW_SX_EUlSW_E_NS1_11comp_targetILNS1_3genE8ELNS1_11target_archE1030ELNS1_3gpuE2ELNS1_3repE0EEENS1_30default_config_static_selectorELNS0_4arch9wavefront6targetE0EEEvT1_
		.amdhsa_group_segment_fixed_size 0
		.amdhsa_private_segment_fixed_size 0
		.amdhsa_kernarg_size 136
		.amdhsa_user_sgpr_count 2
		.amdhsa_user_sgpr_dispatch_ptr 0
		.amdhsa_user_sgpr_queue_ptr 0
		.amdhsa_user_sgpr_kernarg_segment_ptr 1
		.amdhsa_user_sgpr_dispatch_id 0
		.amdhsa_user_sgpr_kernarg_preload_length 0
		.amdhsa_user_sgpr_kernarg_preload_offset 0
		.amdhsa_user_sgpr_private_segment_size 0
		.amdhsa_wavefront_size32 1
		.amdhsa_uses_dynamic_stack 0
		.amdhsa_enable_private_segment 0
		.amdhsa_system_sgpr_workgroup_id_x 1
		.amdhsa_system_sgpr_workgroup_id_y 0
		.amdhsa_system_sgpr_workgroup_id_z 0
		.amdhsa_system_sgpr_workgroup_info 0
		.amdhsa_system_vgpr_workitem_id 0
		.amdhsa_next_free_vgpr 1
		.amdhsa_next_free_sgpr 1
		.amdhsa_named_barrier_count 0
		.amdhsa_reserve_vcc 0
		.amdhsa_float_round_mode_32 0
		.amdhsa_float_round_mode_16_64 0
		.amdhsa_float_denorm_mode_32 3
		.amdhsa_float_denorm_mode_16_64 3
		.amdhsa_fp16_overflow 0
		.amdhsa_memory_ordered 1
		.amdhsa_forward_progress 1
		.amdhsa_inst_pref_size 0
		.amdhsa_round_robin_scheduling 0
		.amdhsa_exception_fp_ieee_invalid_op 0
		.amdhsa_exception_fp_denorm_src 0
		.amdhsa_exception_fp_ieee_div_zero 0
		.amdhsa_exception_fp_ieee_overflow 0
		.amdhsa_exception_fp_ieee_underflow 0
		.amdhsa_exception_fp_ieee_inexact 0
		.amdhsa_exception_int_div_zero 0
	.end_amdhsa_kernel
	.section	.text._ZN7rocprim17ROCPRIM_400000_NS6detail17trampoline_kernelINS0_14default_configENS1_27scan_by_key_config_selectorIiyEEZZNS1_16scan_by_key_implILNS1_25lookback_scan_determinismE0ELb1ES3_N6thrust23THRUST_200600_302600_NS6detail15normal_iteratorINS9_10device_ptrIiEEEENSB_INSC_IyEEEESG_yNS9_4plusIvEENS9_8equal_toIvEEyEE10hipError_tPvRmT2_T3_T4_T5_mT6_T7_P12ihipStream_tbENKUlT_T0_E_clISt17integral_constantIbLb1EES10_IbLb0EEEEDaSW_SX_EUlSW_E_NS1_11comp_targetILNS1_3genE8ELNS1_11target_archE1030ELNS1_3gpuE2ELNS1_3repE0EEENS1_30default_config_static_selectorELNS0_4arch9wavefront6targetE0EEEvT1_,"axG",@progbits,_ZN7rocprim17ROCPRIM_400000_NS6detail17trampoline_kernelINS0_14default_configENS1_27scan_by_key_config_selectorIiyEEZZNS1_16scan_by_key_implILNS1_25lookback_scan_determinismE0ELb1ES3_N6thrust23THRUST_200600_302600_NS6detail15normal_iteratorINS9_10device_ptrIiEEEENSB_INSC_IyEEEESG_yNS9_4plusIvEENS9_8equal_toIvEEyEE10hipError_tPvRmT2_T3_T4_T5_mT6_T7_P12ihipStream_tbENKUlT_T0_E_clISt17integral_constantIbLb1EES10_IbLb0EEEEDaSW_SX_EUlSW_E_NS1_11comp_targetILNS1_3genE8ELNS1_11target_archE1030ELNS1_3gpuE2ELNS1_3repE0EEENS1_30default_config_static_selectorELNS0_4arch9wavefront6targetE0EEEvT1_,comdat
.Lfunc_end1489:
	.size	_ZN7rocprim17ROCPRIM_400000_NS6detail17trampoline_kernelINS0_14default_configENS1_27scan_by_key_config_selectorIiyEEZZNS1_16scan_by_key_implILNS1_25lookback_scan_determinismE0ELb1ES3_N6thrust23THRUST_200600_302600_NS6detail15normal_iteratorINS9_10device_ptrIiEEEENSB_INSC_IyEEEESG_yNS9_4plusIvEENS9_8equal_toIvEEyEE10hipError_tPvRmT2_T3_T4_T5_mT6_T7_P12ihipStream_tbENKUlT_T0_E_clISt17integral_constantIbLb1EES10_IbLb0EEEEDaSW_SX_EUlSW_E_NS1_11comp_targetILNS1_3genE8ELNS1_11target_archE1030ELNS1_3gpuE2ELNS1_3repE0EEENS1_30default_config_static_selectorELNS0_4arch9wavefront6targetE0EEEvT1_, .Lfunc_end1489-_ZN7rocprim17ROCPRIM_400000_NS6detail17trampoline_kernelINS0_14default_configENS1_27scan_by_key_config_selectorIiyEEZZNS1_16scan_by_key_implILNS1_25lookback_scan_determinismE0ELb1ES3_N6thrust23THRUST_200600_302600_NS6detail15normal_iteratorINS9_10device_ptrIiEEEENSB_INSC_IyEEEESG_yNS9_4plusIvEENS9_8equal_toIvEEyEE10hipError_tPvRmT2_T3_T4_T5_mT6_T7_P12ihipStream_tbENKUlT_T0_E_clISt17integral_constantIbLb1EES10_IbLb0EEEEDaSW_SX_EUlSW_E_NS1_11comp_targetILNS1_3genE8ELNS1_11target_archE1030ELNS1_3gpuE2ELNS1_3repE0EEENS1_30default_config_static_selectorELNS0_4arch9wavefront6targetE0EEEvT1_
                                        ; -- End function
	.set _ZN7rocprim17ROCPRIM_400000_NS6detail17trampoline_kernelINS0_14default_configENS1_27scan_by_key_config_selectorIiyEEZZNS1_16scan_by_key_implILNS1_25lookback_scan_determinismE0ELb1ES3_N6thrust23THRUST_200600_302600_NS6detail15normal_iteratorINS9_10device_ptrIiEEEENSB_INSC_IyEEEESG_yNS9_4plusIvEENS9_8equal_toIvEEyEE10hipError_tPvRmT2_T3_T4_T5_mT6_T7_P12ihipStream_tbENKUlT_T0_E_clISt17integral_constantIbLb1EES10_IbLb0EEEEDaSW_SX_EUlSW_E_NS1_11comp_targetILNS1_3genE8ELNS1_11target_archE1030ELNS1_3gpuE2ELNS1_3repE0EEENS1_30default_config_static_selectorELNS0_4arch9wavefront6targetE0EEEvT1_.num_vgpr, 0
	.set _ZN7rocprim17ROCPRIM_400000_NS6detail17trampoline_kernelINS0_14default_configENS1_27scan_by_key_config_selectorIiyEEZZNS1_16scan_by_key_implILNS1_25lookback_scan_determinismE0ELb1ES3_N6thrust23THRUST_200600_302600_NS6detail15normal_iteratorINS9_10device_ptrIiEEEENSB_INSC_IyEEEESG_yNS9_4plusIvEENS9_8equal_toIvEEyEE10hipError_tPvRmT2_T3_T4_T5_mT6_T7_P12ihipStream_tbENKUlT_T0_E_clISt17integral_constantIbLb1EES10_IbLb0EEEEDaSW_SX_EUlSW_E_NS1_11comp_targetILNS1_3genE8ELNS1_11target_archE1030ELNS1_3gpuE2ELNS1_3repE0EEENS1_30default_config_static_selectorELNS0_4arch9wavefront6targetE0EEEvT1_.num_agpr, 0
	.set _ZN7rocprim17ROCPRIM_400000_NS6detail17trampoline_kernelINS0_14default_configENS1_27scan_by_key_config_selectorIiyEEZZNS1_16scan_by_key_implILNS1_25lookback_scan_determinismE0ELb1ES3_N6thrust23THRUST_200600_302600_NS6detail15normal_iteratorINS9_10device_ptrIiEEEENSB_INSC_IyEEEESG_yNS9_4plusIvEENS9_8equal_toIvEEyEE10hipError_tPvRmT2_T3_T4_T5_mT6_T7_P12ihipStream_tbENKUlT_T0_E_clISt17integral_constantIbLb1EES10_IbLb0EEEEDaSW_SX_EUlSW_E_NS1_11comp_targetILNS1_3genE8ELNS1_11target_archE1030ELNS1_3gpuE2ELNS1_3repE0EEENS1_30default_config_static_selectorELNS0_4arch9wavefront6targetE0EEEvT1_.numbered_sgpr, 0
	.set _ZN7rocprim17ROCPRIM_400000_NS6detail17trampoline_kernelINS0_14default_configENS1_27scan_by_key_config_selectorIiyEEZZNS1_16scan_by_key_implILNS1_25lookback_scan_determinismE0ELb1ES3_N6thrust23THRUST_200600_302600_NS6detail15normal_iteratorINS9_10device_ptrIiEEEENSB_INSC_IyEEEESG_yNS9_4plusIvEENS9_8equal_toIvEEyEE10hipError_tPvRmT2_T3_T4_T5_mT6_T7_P12ihipStream_tbENKUlT_T0_E_clISt17integral_constantIbLb1EES10_IbLb0EEEEDaSW_SX_EUlSW_E_NS1_11comp_targetILNS1_3genE8ELNS1_11target_archE1030ELNS1_3gpuE2ELNS1_3repE0EEENS1_30default_config_static_selectorELNS0_4arch9wavefront6targetE0EEEvT1_.num_named_barrier, 0
	.set _ZN7rocprim17ROCPRIM_400000_NS6detail17trampoline_kernelINS0_14default_configENS1_27scan_by_key_config_selectorIiyEEZZNS1_16scan_by_key_implILNS1_25lookback_scan_determinismE0ELb1ES3_N6thrust23THRUST_200600_302600_NS6detail15normal_iteratorINS9_10device_ptrIiEEEENSB_INSC_IyEEEESG_yNS9_4plusIvEENS9_8equal_toIvEEyEE10hipError_tPvRmT2_T3_T4_T5_mT6_T7_P12ihipStream_tbENKUlT_T0_E_clISt17integral_constantIbLb1EES10_IbLb0EEEEDaSW_SX_EUlSW_E_NS1_11comp_targetILNS1_3genE8ELNS1_11target_archE1030ELNS1_3gpuE2ELNS1_3repE0EEENS1_30default_config_static_selectorELNS0_4arch9wavefront6targetE0EEEvT1_.private_seg_size, 0
	.set _ZN7rocprim17ROCPRIM_400000_NS6detail17trampoline_kernelINS0_14default_configENS1_27scan_by_key_config_selectorIiyEEZZNS1_16scan_by_key_implILNS1_25lookback_scan_determinismE0ELb1ES3_N6thrust23THRUST_200600_302600_NS6detail15normal_iteratorINS9_10device_ptrIiEEEENSB_INSC_IyEEEESG_yNS9_4plusIvEENS9_8equal_toIvEEyEE10hipError_tPvRmT2_T3_T4_T5_mT6_T7_P12ihipStream_tbENKUlT_T0_E_clISt17integral_constantIbLb1EES10_IbLb0EEEEDaSW_SX_EUlSW_E_NS1_11comp_targetILNS1_3genE8ELNS1_11target_archE1030ELNS1_3gpuE2ELNS1_3repE0EEENS1_30default_config_static_selectorELNS0_4arch9wavefront6targetE0EEEvT1_.uses_vcc, 0
	.set _ZN7rocprim17ROCPRIM_400000_NS6detail17trampoline_kernelINS0_14default_configENS1_27scan_by_key_config_selectorIiyEEZZNS1_16scan_by_key_implILNS1_25lookback_scan_determinismE0ELb1ES3_N6thrust23THRUST_200600_302600_NS6detail15normal_iteratorINS9_10device_ptrIiEEEENSB_INSC_IyEEEESG_yNS9_4plusIvEENS9_8equal_toIvEEyEE10hipError_tPvRmT2_T3_T4_T5_mT6_T7_P12ihipStream_tbENKUlT_T0_E_clISt17integral_constantIbLb1EES10_IbLb0EEEEDaSW_SX_EUlSW_E_NS1_11comp_targetILNS1_3genE8ELNS1_11target_archE1030ELNS1_3gpuE2ELNS1_3repE0EEENS1_30default_config_static_selectorELNS0_4arch9wavefront6targetE0EEEvT1_.uses_flat_scratch, 0
	.set _ZN7rocprim17ROCPRIM_400000_NS6detail17trampoline_kernelINS0_14default_configENS1_27scan_by_key_config_selectorIiyEEZZNS1_16scan_by_key_implILNS1_25lookback_scan_determinismE0ELb1ES3_N6thrust23THRUST_200600_302600_NS6detail15normal_iteratorINS9_10device_ptrIiEEEENSB_INSC_IyEEEESG_yNS9_4plusIvEENS9_8equal_toIvEEyEE10hipError_tPvRmT2_T3_T4_T5_mT6_T7_P12ihipStream_tbENKUlT_T0_E_clISt17integral_constantIbLb1EES10_IbLb0EEEEDaSW_SX_EUlSW_E_NS1_11comp_targetILNS1_3genE8ELNS1_11target_archE1030ELNS1_3gpuE2ELNS1_3repE0EEENS1_30default_config_static_selectorELNS0_4arch9wavefront6targetE0EEEvT1_.has_dyn_sized_stack, 0
	.set _ZN7rocprim17ROCPRIM_400000_NS6detail17trampoline_kernelINS0_14default_configENS1_27scan_by_key_config_selectorIiyEEZZNS1_16scan_by_key_implILNS1_25lookback_scan_determinismE0ELb1ES3_N6thrust23THRUST_200600_302600_NS6detail15normal_iteratorINS9_10device_ptrIiEEEENSB_INSC_IyEEEESG_yNS9_4plusIvEENS9_8equal_toIvEEyEE10hipError_tPvRmT2_T3_T4_T5_mT6_T7_P12ihipStream_tbENKUlT_T0_E_clISt17integral_constantIbLb1EES10_IbLb0EEEEDaSW_SX_EUlSW_E_NS1_11comp_targetILNS1_3genE8ELNS1_11target_archE1030ELNS1_3gpuE2ELNS1_3repE0EEENS1_30default_config_static_selectorELNS0_4arch9wavefront6targetE0EEEvT1_.has_recursion, 0
	.set _ZN7rocprim17ROCPRIM_400000_NS6detail17trampoline_kernelINS0_14default_configENS1_27scan_by_key_config_selectorIiyEEZZNS1_16scan_by_key_implILNS1_25lookback_scan_determinismE0ELb1ES3_N6thrust23THRUST_200600_302600_NS6detail15normal_iteratorINS9_10device_ptrIiEEEENSB_INSC_IyEEEESG_yNS9_4plusIvEENS9_8equal_toIvEEyEE10hipError_tPvRmT2_T3_T4_T5_mT6_T7_P12ihipStream_tbENKUlT_T0_E_clISt17integral_constantIbLb1EES10_IbLb0EEEEDaSW_SX_EUlSW_E_NS1_11comp_targetILNS1_3genE8ELNS1_11target_archE1030ELNS1_3gpuE2ELNS1_3repE0EEENS1_30default_config_static_selectorELNS0_4arch9wavefront6targetE0EEEvT1_.has_indirect_call, 0
	.section	.AMDGPU.csdata,"",@progbits
; Kernel info:
; codeLenInByte = 0
; TotalNumSgprs: 0
; NumVgprs: 0
; ScratchSize: 0
; MemoryBound: 0
; FloatMode: 240
; IeeeMode: 1
; LDSByteSize: 0 bytes/workgroup (compile time only)
; SGPRBlocks: 0
; VGPRBlocks: 0
; NumSGPRsForWavesPerEU: 1
; NumVGPRsForWavesPerEU: 1
; NamedBarCnt: 0
; Occupancy: 16
; WaveLimiterHint : 0
; COMPUTE_PGM_RSRC2:SCRATCH_EN: 0
; COMPUTE_PGM_RSRC2:USER_SGPR: 2
; COMPUTE_PGM_RSRC2:TRAP_HANDLER: 0
; COMPUTE_PGM_RSRC2:TGID_X_EN: 1
; COMPUTE_PGM_RSRC2:TGID_Y_EN: 0
; COMPUTE_PGM_RSRC2:TGID_Z_EN: 0
; COMPUTE_PGM_RSRC2:TIDIG_COMP_CNT: 0
	.section	.text._ZN7rocprim17ROCPRIM_400000_NS6detail17trampoline_kernelINS0_14default_configENS1_27scan_by_key_config_selectorIiyEEZZNS1_16scan_by_key_implILNS1_25lookback_scan_determinismE0ELb1ES3_N6thrust23THRUST_200600_302600_NS6detail15normal_iteratorINS9_10device_ptrIiEEEENSB_INSC_IyEEEESG_yNS9_4plusIvEENS9_8equal_toIvEEyEE10hipError_tPvRmT2_T3_T4_T5_mT6_T7_P12ihipStream_tbENKUlT_T0_E_clISt17integral_constantIbLb0EES10_IbLb1EEEEDaSW_SX_EUlSW_E_NS1_11comp_targetILNS1_3genE0ELNS1_11target_archE4294967295ELNS1_3gpuE0ELNS1_3repE0EEENS1_30default_config_static_selectorELNS0_4arch9wavefront6targetE0EEEvT1_,"axG",@progbits,_ZN7rocprim17ROCPRIM_400000_NS6detail17trampoline_kernelINS0_14default_configENS1_27scan_by_key_config_selectorIiyEEZZNS1_16scan_by_key_implILNS1_25lookback_scan_determinismE0ELb1ES3_N6thrust23THRUST_200600_302600_NS6detail15normal_iteratorINS9_10device_ptrIiEEEENSB_INSC_IyEEEESG_yNS9_4plusIvEENS9_8equal_toIvEEyEE10hipError_tPvRmT2_T3_T4_T5_mT6_T7_P12ihipStream_tbENKUlT_T0_E_clISt17integral_constantIbLb0EES10_IbLb1EEEEDaSW_SX_EUlSW_E_NS1_11comp_targetILNS1_3genE0ELNS1_11target_archE4294967295ELNS1_3gpuE0ELNS1_3repE0EEENS1_30default_config_static_selectorELNS0_4arch9wavefront6targetE0EEEvT1_,comdat
	.protected	_ZN7rocprim17ROCPRIM_400000_NS6detail17trampoline_kernelINS0_14default_configENS1_27scan_by_key_config_selectorIiyEEZZNS1_16scan_by_key_implILNS1_25lookback_scan_determinismE0ELb1ES3_N6thrust23THRUST_200600_302600_NS6detail15normal_iteratorINS9_10device_ptrIiEEEENSB_INSC_IyEEEESG_yNS9_4plusIvEENS9_8equal_toIvEEyEE10hipError_tPvRmT2_T3_T4_T5_mT6_T7_P12ihipStream_tbENKUlT_T0_E_clISt17integral_constantIbLb0EES10_IbLb1EEEEDaSW_SX_EUlSW_E_NS1_11comp_targetILNS1_3genE0ELNS1_11target_archE4294967295ELNS1_3gpuE0ELNS1_3repE0EEENS1_30default_config_static_selectorELNS0_4arch9wavefront6targetE0EEEvT1_ ; -- Begin function _ZN7rocprim17ROCPRIM_400000_NS6detail17trampoline_kernelINS0_14default_configENS1_27scan_by_key_config_selectorIiyEEZZNS1_16scan_by_key_implILNS1_25lookback_scan_determinismE0ELb1ES3_N6thrust23THRUST_200600_302600_NS6detail15normal_iteratorINS9_10device_ptrIiEEEENSB_INSC_IyEEEESG_yNS9_4plusIvEENS9_8equal_toIvEEyEE10hipError_tPvRmT2_T3_T4_T5_mT6_T7_P12ihipStream_tbENKUlT_T0_E_clISt17integral_constantIbLb0EES10_IbLb1EEEEDaSW_SX_EUlSW_E_NS1_11comp_targetILNS1_3genE0ELNS1_11target_archE4294967295ELNS1_3gpuE0ELNS1_3repE0EEENS1_30default_config_static_selectorELNS0_4arch9wavefront6targetE0EEEvT1_
	.globl	_ZN7rocprim17ROCPRIM_400000_NS6detail17trampoline_kernelINS0_14default_configENS1_27scan_by_key_config_selectorIiyEEZZNS1_16scan_by_key_implILNS1_25lookback_scan_determinismE0ELb1ES3_N6thrust23THRUST_200600_302600_NS6detail15normal_iteratorINS9_10device_ptrIiEEEENSB_INSC_IyEEEESG_yNS9_4plusIvEENS9_8equal_toIvEEyEE10hipError_tPvRmT2_T3_T4_T5_mT6_T7_P12ihipStream_tbENKUlT_T0_E_clISt17integral_constantIbLb0EES10_IbLb1EEEEDaSW_SX_EUlSW_E_NS1_11comp_targetILNS1_3genE0ELNS1_11target_archE4294967295ELNS1_3gpuE0ELNS1_3repE0EEENS1_30default_config_static_selectorELNS0_4arch9wavefront6targetE0EEEvT1_
	.p2align	8
	.type	_ZN7rocprim17ROCPRIM_400000_NS6detail17trampoline_kernelINS0_14default_configENS1_27scan_by_key_config_selectorIiyEEZZNS1_16scan_by_key_implILNS1_25lookback_scan_determinismE0ELb1ES3_N6thrust23THRUST_200600_302600_NS6detail15normal_iteratorINS9_10device_ptrIiEEEENSB_INSC_IyEEEESG_yNS9_4plusIvEENS9_8equal_toIvEEyEE10hipError_tPvRmT2_T3_T4_T5_mT6_T7_P12ihipStream_tbENKUlT_T0_E_clISt17integral_constantIbLb0EES10_IbLb1EEEEDaSW_SX_EUlSW_E_NS1_11comp_targetILNS1_3genE0ELNS1_11target_archE4294967295ELNS1_3gpuE0ELNS1_3repE0EEENS1_30default_config_static_selectorELNS0_4arch9wavefront6targetE0EEEvT1_,@function
_ZN7rocprim17ROCPRIM_400000_NS6detail17trampoline_kernelINS0_14default_configENS1_27scan_by_key_config_selectorIiyEEZZNS1_16scan_by_key_implILNS1_25lookback_scan_determinismE0ELb1ES3_N6thrust23THRUST_200600_302600_NS6detail15normal_iteratorINS9_10device_ptrIiEEEENSB_INSC_IyEEEESG_yNS9_4plusIvEENS9_8equal_toIvEEyEE10hipError_tPvRmT2_T3_T4_T5_mT6_T7_P12ihipStream_tbENKUlT_T0_E_clISt17integral_constantIbLb0EES10_IbLb1EEEEDaSW_SX_EUlSW_E_NS1_11comp_targetILNS1_3genE0ELNS1_11target_archE4294967295ELNS1_3gpuE0ELNS1_3repE0EEENS1_30default_config_static_selectorELNS0_4arch9wavefront6targetE0EEEvT1_: ; @_ZN7rocprim17ROCPRIM_400000_NS6detail17trampoline_kernelINS0_14default_configENS1_27scan_by_key_config_selectorIiyEEZZNS1_16scan_by_key_implILNS1_25lookback_scan_determinismE0ELb1ES3_N6thrust23THRUST_200600_302600_NS6detail15normal_iteratorINS9_10device_ptrIiEEEENSB_INSC_IyEEEESG_yNS9_4plusIvEENS9_8equal_toIvEEyEE10hipError_tPvRmT2_T3_T4_T5_mT6_T7_P12ihipStream_tbENKUlT_T0_E_clISt17integral_constantIbLb0EES10_IbLb1EEEEDaSW_SX_EUlSW_E_NS1_11comp_targetILNS1_3genE0ELNS1_11target_archE4294967295ELNS1_3gpuE0ELNS1_3repE0EEENS1_30default_config_static_selectorELNS0_4arch9wavefront6targetE0EEEvT1_
; %bb.0:
	s_clause 0x3
	s_load_b256 s[12:19], s[0:1], 0x0
	s_load_b64 s[36:37], s[0:1], 0x20
	s_load_b256 s[20:27], s[0:1], 0x30
	s_load_b64 s[38:39], s[0:1], 0x50
	v_cmp_ne_u32_e64 s3, 0, v0
	v_cmp_eq_u32_e64 s2, 0, v0
	s_and_saveexec_b32 s4, s2
	s_cbranch_execz .LBB1490_4
; %bb.1:
	s_mov_b32 s6, exec_lo
	s_mov_b32 s5, exec_lo
	v_mbcnt_lo_u32_b32 v1, s6, 0
                                        ; implicit-def: $vgpr2
	s_delay_alu instid0(VALU_DEP_1)
	v_cmpx_eq_u32_e32 0, v1
	s_cbranch_execz .LBB1490_3
; %bb.2:
	s_load_b64 s[8:9], s[0:1], 0x80
	s_bcnt1_i32_b32 s6, s6
	s_delay_alu instid0(SALU_CYCLE_1)
	v_dual_mov_b32 v2, 0 :: v_dual_mov_b32 v3, s6
	s_wait_xcnt 0x0
	s_wait_kmcnt 0x0
	global_atomic_add_u32 v2, v2, v3, s[8:9] th:TH_ATOMIC_RETURN scope:SCOPE_DEV
.LBB1490_3:
	s_wait_xcnt 0x0
	s_or_b32 exec_lo, exec_lo, s5
	s_wait_loadcnt 0x0
	v_readfirstlane_b32 s5, v2
	s_delay_alu instid0(VALU_DEP_1)
	v_dual_mov_b32 v2, 0 :: v_dual_add_nc_u32 v1, s5, v1
	ds_store_b32 v2, v1
.LBB1490_4:
	s_or_b32 exec_lo, exec_lo, s4
	v_mov_b32_e32 v3, 0
	s_clause 0x1
	s_load_b32 s4, s[0:1], 0x58
	s_load_b128 s[28:31], s[0:1], 0x60
	s_wait_dscnt 0x0
	s_barrier_signal -1
	s_barrier_wait -1
	ds_load_b32 v2, v3
	s_wait_kmcnt 0x0
	s_lshl_b64 s[0:1], s[14:15], 2
	s_mov_b32 s5, 0
	s_add_nc_u64 s[6:7], s[12:13], s[0:1]
	s_lshl_b64 s[34:35], s[14:15], 3
	s_wait_dscnt 0x0
	s_add_nc_u64 s[8:9], s[16:17], s[34:35]
	s_barrier_signal -1
	s_barrier_wait -1
	s_barrier_signal -1
	s_barrier_wait -1
	s_mul_u64 s[0:1], s[38:39], s[4:5]
	s_add_nc_u64 s[10:11], s[28:29], -1
	s_delay_alu instid0(SALU_CYCLE_1)
	s_mul_i32 s27, s10, 0xfffffb00
	v_add_nc_u64_e32 v[4:5], s[0:1], v[2:3]
	v_readfirstlane_b32 s33, v2
	s_mul_i32 s4, s33, 0x500
	v_cmp_le_u64_e64 s0, s[10:11], v[4:5]
	s_lshl_b64 s[12:13], s[4:5], 2
	s_lshl_b64 s[28:29], s[4:5], 3
	s_add_nc_u64 s[16:17], s[6:7], s[12:13]
	s_add_nc_u64 s[14:15], s[8:9], s[28:29]
	s_and_b32 vcc_lo, exec_lo, s0
	s_cbranch_vccz .LBB1490_60
; %bb.5:
	flat_load_b32 v1, v3, s[16:17]
	s_add_co_i32 s41, s27, s26
	s_delay_alu instid0(SALU_CYCLE_1)
	v_cmp_gt_u32_e32 vcc_lo, s41, v0
	s_wait_loadcnt_dscnt 0x0
	v_mov_b32_e32 v2, v1
	s_and_saveexec_b32 s1, vcc_lo
	s_cbranch_execz .LBB1490_7
; %bb.6:
	flat_load_b32 v2, v0, s[16:17] scale_offset
.LBB1490_7:
	s_wait_xcnt 0x0
	s_or_b32 exec_lo, exec_lo, s1
	v_or_b32_e32 v3, 0x80, v0
	s_delay_alu instid0(VALU_DEP_1)
	v_cmp_gt_u32_e64 s1, s41, v3
	v_mov_b32_e32 v3, v1
	s_and_saveexec_b32 s4, s1
	s_cbranch_execz .LBB1490_9
; %bb.8:
	flat_load_b32 v3, v0, s[16:17] offset:512 scale_offset
.LBB1490_9:
	s_wait_xcnt 0x0
	s_or_b32 exec_lo, exec_lo, s4
	v_or_b32_e32 v4, 0x100, v0
	s_delay_alu instid0(VALU_DEP_1)
	v_cmp_gt_u32_e64 s4, s41, v4
	v_mov_b32_e32 v4, v1
	s_and_saveexec_b32 s5, s4
	s_cbranch_execz .LBB1490_11
; %bb.10:
	flat_load_b32 v4, v0, s[16:17] offset:1024 scale_offset
.LBB1490_11:
	;; [unrolled: 11-line block ×8, first 2 shown]
	s_wait_xcnt 0x0
	s_or_b32 exec_lo, exec_lo, s11
	v_or_b32_e32 v11, 0x480, v0
	s_delay_alu instid0(VALU_DEP_1) | instskip(SKIP_2) | instid1(SALU_CYCLE_1)
	v_cmp_gt_u32_e64 s11, s41, v11
	v_cmp_le_u32_e64 s12, s41, v11
	s_and_saveexec_b32 s13, s12
	s_xor_b32 s12, exec_lo, s13
	s_delay_alu instid0(SALU_CYCLE_1)
	s_and_not1_saveexec_b32 s12, s12
	s_cbranch_execz .LBB1490_25
; %bb.24:
	flat_load_b32 v1, v0, s[16:17] offset:4608 scale_offset
.LBB1490_25:
	s_wait_xcnt 0x0
	s_or_b32 exec_lo, exec_lo, s12
	v_lshlrev_b32_e32 v11, 2, v0
	s_mov_b32 s13, exec_lo
	s_wait_loadcnt_dscnt 0x0
	ds_store_2addr_stride64_b32 v11, v2, v3 offset1:2
	ds_store_2addr_stride64_b32 v11, v4, v5 offset0:4 offset1:6
	ds_store_2addr_stride64_b32 v11, v6, v7 offset0:8 offset1:10
	;; [unrolled: 1-line block ×4, first 2 shown]
	v_mov_b32_e32 v1, 0
	s_wait_dscnt 0x0
	s_barrier_signal -1
	s_barrier_wait -1
	flat_load_b32 v59, v1, s[16:17]
	s_wait_xcnt 0x0
	v_mad_u32_u24 v1, v0, 36, v11
	ds_load_2addr_b64 v[6:9], v1 offset1:1
	ds_load_2addr_b64 v[2:5], v1 offset0:2 offset1:3
	ds_load_b64 v[50:51], v1 offset:32
	v_mad_i32_i24 v1, 0xffffffdc, v0, v1
	s_wait_dscnt 0x2
	ds_store_b32 v1, v6 offset:5632
	s_wait_loadcnt_dscnt 0x0
	s_barrier_signal -1
	s_barrier_wait -1
	v_cmpx_ne_u32_e32 0x7f, v0
; %bb.26:
	ds_load_b32 v59, v1 offset:5636
; %bb.27:
	s_or_b32 exec_lo, exec_lo, s13
	s_wait_dscnt 0x0
	s_barrier_signal -1
	s_barrier_wait -1
                                        ; implicit-def: $vgpr10_vgpr11
	s_and_saveexec_b32 s12, vcc_lo
	s_cbranch_execz .LBB1490_124
; %bb.28:
	flat_load_b64 v[10:11], v0, s[14:15] scale_offset
	s_wait_xcnt 0x0
	s_or_b32 exec_lo, exec_lo, s12
                                        ; implicit-def: $vgpr12_vgpr13
	s_and_saveexec_b32 s12, s1
	s_cbranch_execnz .LBB1490_125
.LBB1490_29:
	s_or_b32 exec_lo, exec_lo, s12
                                        ; implicit-def: $vgpr14_vgpr15
	s_and_saveexec_b32 s1, s4
	s_cbranch_execz .LBB1490_126
.LBB1490_30:
	flat_load_b64 v[14:15], v0, s[14:15] offset:2048 scale_offset
	s_wait_xcnt 0x0
	s_or_b32 exec_lo, exec_lo, s1
                                        ; implicit-def: $vgpr16_vgpr17
	s_and_saveexec_b32 s1, s5
	s_cbranch_execnz .LBB1490_127
.LBB1490_31:
	s_or_b32 exec_lo, exec_lo, s1
                                        ; implicit-def: $vgpr18_vgpr19
	s_and_saveexec_b32 s1, s6
	s_cbranch_execz .LBB1490_128
.LBB1490_32:
	flat_load_b64 v[18:19], v0, s[14:15] offset:4096 scale_offset
	s_wait_xcnt 0x0
	s_or_b32 exec_lo, exec_lo, s1
                                        ; implicit-def: $vgpr20_vgpr21
	s_and_saveexec_b32 s1, s7
	s_cbranch_execnz .LBB1490_129
.LBB1490_33:
	s_or_b32 exec_lo, exec_lo, s1
                                        ; implicit-def: $vgpr22_vgpr23
	s_and_saveexec_b32 s1, s8
	s_cbranch_execz .LBB1490_130
.LBB1490_34:
	flat_load_b64 v[22:23], v0, s[14:15] offset:6144 scale_offset
	s_wait_xcnt 0x0
	s_or_b32 exec_lo, exec_lo, s1
                                        ; implicit-def: $vgpr24_vgpr25
	s_and_saveexec_b32 s1, s9
	s_cbranch_execnz .LBB1490_131
.LBB1490_35:
	s_or_b32 exec_lo, exec_lo, s1
                                        ; implicit-def: $vgpr26_vgpr27
	s_and_saveexec_b32 s1, s10
	s_cbranch_execz .LBB1490_37
.LBB1490_36:
	flat_load_b64 v[26:27], v0, s[14:15] offset:8192 scale_offset
.LBB1490_37:
	s_wait_xcnt 0x0
	s_or_b32 exec_lo, exec_lo, s1
	v_mul_u32_u24_e32 v67, 10, v0
                                        ; implicit-def: $vgpr28_vgpr29
	s_and_saveexec_b32 s1, s11
	s_cbranch_execz .LBB1490_39
; %bb.38:
	flat_load_b64 v[28:29], v0, s[14:15] offset:9216 scale_offset
.LBB1490_39:
	s_wait_xcnt 0x0
	s_or_b32 exec_lo, exec_lo, s1
	v_lshl_add_u32 v68, v0, 2, v1
	v_mov_b64_e32 v[48:49], 0
	v_mov_b64_e32 v[46:47], 0
	;; [unrolled: 1-line block ×4, first 2 shown]
	s_wait_loadcnt_dscnt 0x0
	ds_store_2addr_stride64_b64 v68, v[10:11], v[12:13] offset1:2
	ds_store_2addr_stride64_b64 v68, v[14:15], v[16:17] offset0:4 offset1:6
	ds_store_2addr_stride64_b64 v68, v[18:19], v[20:21] offset0:8 offset1:10
	;; [unrolled: 1-line block ×4, first 2 shown]
	v_mov_b64_e32 v[26:27], 0
	v_mov_b64_e32 v[14:15], 0
	;; [unrolled: 1-line block ×14, first 2 shown]
	v_cmp_gt_u32_e32 vcc_lo, s41, v67
	v_dual_mov_b32 v52, 0 :: v_dual_mov_b32 v53, 0
	v_dual_mov_b32 v54, 0 :: v_dual_mov_b32 v55, 0
	;; [unrolled: 1-line block ×9, first 2 shown]
	s_mov_b32 s12, 0
	s_mov_b32 s5, 0
	s_wait_dscnt 0x0
	s_barrier_signal -1
	s_barrier_wait -1
                                        ; implicit-def: $sgpr13
	s_and_saveexec_b32 s40, vcc_lo
	s_cbranch_execz .LBB1490_59
; %bb.40:
	v_mad_u32_u24 v1, 0x48, v0, v68
	v_dual_mov_b32 v52, 0 :: v_dual_bitop2_b32 v12, 1, v67 bitop3:0x54
	v_cmp_ne_u32_e32 vcc_lo, v6, v7
	v_mov_b64_e32 v[14:15], 0
	ds_load_b64 v[10:11], v1
	v_mov_b64_e32 v[48:49], 0
	v_mov_b64_e32 v[16:17], 0
	;; [unrolled: 1-line block ×16, first 2 shown]
	v_dual_mov_b32 v53, 0 :: v_dual_mov_b32 v54, 0
	v_dual_mov_b32 v55, 0 :: v_dual_mov_b32 v56, 0
	;; [unrolled: 1-line block ×4, first 2 shown]
	v_cmp_gt_u32_e64 s1, s41, v12
	s_wait_dscnt 0x0
	v_cndmask_b32_e64 v27, v11, s37, vcc_lo
	v_cndmask_b32_e64 v26, v10, s36, vcc_lo
	v_dual_mov_b32 v61, 0 :: v_dual_mov_b32 v63, 0
	v_dual_mov_b32 v64, 0 :: v_dual_mov_b32 v10, 0
	;; [unrolled: 1-line block ×3, first 2 shown]
	v_mov_b32_e32 v12, 0
	s_mov_b32 s4, 0
                                        ; implicit-def: $sgpr13
	s_and_saveexec_b32 s42, s1
	s_cbranch_execz .LBB1490_58
; %bb.41:
	v_mul_u32_u24_e32 v1, 0x48, v0
	v_cmp_ne_u32_e64 s1, v7, v8
	v_mov_b64_e32 v[14:15], 0
	v_mov_b64_e32 v[48:49], 0
	;; [unrolled: 1-line block ×3, first 2 shown]
	v_dual_add_nc_u32 v1, v68, v1 :: v_dual_mov_b32 v53, 0
	v_mov_b64_e32 v[46:47], 0
	v_mov_b64_e32 v[18:19], 0
	;; [unrolled: 1-line block ×3, first 2 shown]
	ds_load_2addr_b64 v[10:13], v1 offset0:1 offset1:2
	v_mov_b64_e32 v[40:41], 0
	v_mov_b64_e32 v[32:33], 0
	;; [unrolled: 1-line block ×9, first 2 shown]
	v_dual_add_nc_u32 v6, 2, v67 :: v_dual_mov_b32 v52, 0
	v_dual_mov_b32 v54, 0 :: v_dual_mov_b32 v55, 0
	v_dual_mov_b32 v56, 0 :: v_dual_mov_b32 v57, 0
	;; [unrolled: 1-line block ×4, first 2 shown]
	v_mov_b32_e32 v64, 0
	s_wait_dscnt 0x0
	v_cndmask_b32_e64 v43, v11, s37, s1
	v_cndmask_b32_e64 v42, v10, s36, s1
	v_dual_mov_b32 v10, 0 :: v_dual_mov_b32 v11, 0
	v_mov_b32_e32 v65, 0
	s_mov_b32 s43, exec_lo
                                        ; implicit-def: $sgpr13
	v_cmpx_gt_u32_e64 s41, v6
	s_cbranch_execz .LBB1490_57
; %bb.42:
	v_cmp_ne_u32_e64 s4, v8, v9
	v_dual_add_nc_u32 v6, 3, v67 :: v_dual_mov_b32 v52, 0
	v_mov_b64_e32 v[14:15], 0
	v_mov_b64_e32 v[48:49], 0
	;; [unrolled: 1-line block ×13, first 2 shown]
	v_cndmask_b32_e64 v41, v13, s37, s4
	v_cndmask_b32_e64 v40, v12, s36, s4
	v_cmp_gt_u32_e64 s5, s41, v6
	v_dual_mov_b32 v53, 0 :: v_dual_mov_b32 v54, 0
	v_dual_mov_b32 v55, 0 :: v_dual_mov_b32 v56, 0
	;; [unrolled: 1-line block ×5, first 2 shown]
	v_mov_b32_e32 v11, 0
	s_mov_b32 s6, 0
                                        ; implicit-def: $sgpr13
	s_and_saveexec_b32 s44, s5
	s_cbranch_execz .LBB1490_56
; %bb.43:
	ds_load_2addr_b64 v[10:13], v1 offset0:3 offset1:4
	v_cmp_ne_u32_e64 s5, v9, v2
	v_mov_b64_e32 v[14:15], 0
	v_mov_b64_e32 v[48:49], 0
	;; [unrolled: 1-line block ×11, first 2 shown]
	v_dual_add_nc_u32 v6, 4, v67 :: v_dual_mov_b32 v52, 0
	v_dual_mov_b32 v53, 0 :: v_dual_mov_b32 v54, 0
	v_dual_mov_b32 v55, 0 :: v_dual_mov_b32 v56, 0
	;; [unrolled: 1-line block ×3, first 2 shown]
	s_wait_dscnt 0x0
	v_cndmask_b32_e64 v45, v11, s37, s5
	v_cndmask_b32_e64 v44, v10, s36, s5
	v_dual_mov_b32 v63, 0 :: v_dual_mov_b32 v64, 0
	v_mov_b32_e32 v10, 0
	s_mov_b32 s7, 0
	s_mov_b32 s45, exec_lo
                                        ; implicit-def: $sgpr13
	v_cmpx_gt_u32_e64 s41, v6
	s_cbranch_execz .LBB1490_55
; %bb.44:
	v_cmp_ne_u32_e64 s6, v2, v3
	v_mov_b64_e32 v[14:15], 0
	v_mov_b64_e32 v[48:49], 0
	;; [unrolled: 1-line block ×9, first 2 shown]
	v_dual_add_nc_u32 v2, 5, v67 :: v_dual_mov_b32 v52, 0
	v_cndmask_b32_e64 v19, v13, s37, s6
	v_cndmask_b32_e64 v18, v12, s36, s6
	v_dual_mov_b32 v53, 0 :: v_dual_mov_b32 v54, 0
	v_dual_mov_b32 v55, 0 :: v_dual_mov_b32 v62, 0
	v_dual_mov_b32 v61, 0 :: v_dual_mov_b32 v63, 0
	v_mov_b32_e32 v64, 0
	s_mov_b32 s8, 0
	s_mov_b32 s46, exec_lo
                                        ; implicit-def: $sgpr13
	v_cmpx_gt_u32_e64 s41, v2
	s_cbranch_execz .LBB1490_54
; %bb.45:
	ds_load_2addr_b64 v[6:9], v1 offset0:5 offset1:6
	v_cmp_ne_u32_e64 s7, v3, v4
	v_mov_b64_e32 v[14:15], 0
	v_mov_b64_e32 v[48:49], 0
	;; [unrolled: 1-line block ×7, first 2 shown]
	v_dual_add_nc_u32 v2, 6, v67 :: v_dual_mov_b32 v52, 0
	v_dual_mov_b32 v53, 0 :: v_dual_mov_b32 v54, 0
	v_dual_mov_b32 v62, 0 :: v_dual_mov_b32 v61, 0
	v_mov_b32_e32 v63, 0
	s_mov_b32 s9, 0
	s_mov_b32 s47, exec_lo
                                        ; implicit-def: $sgpr13
	s_wait_dscnt 0x0
	v_cndmask_b32_e64 v47, v7, s37, s7
	v_cndmask_b32_e64 v46, v6, s36, s7
	v_cmpx_gt_u32_e64 s41, v2
	s_cbranch_execz .LBB1490_53
; %bb.46:
	v_cmp_ne_u32_e64 s8, v4, v5
	v_mov_b64_e32 v[14:15], 0
	v_mov_b64_e32 v[48:49], 0
	;; [unrolled: 1-line block ×4, first 2 shown]
	v_dual_add_nc_u32 v2, 7, v67 :: v_dual_mov_b32 v52, 0
	v_cndmask_b32_e64 v17, v9, s37, s8
	v_cndmask_b32_e64 v16, v8, s36, s8
	v_dual_mov_b32 v53, 0 :: v_dual_mov_b32 v61, 0
	s_mov_b32 s10, 0
	s_mov_b32 s48, exec_lo
                                        ; implicit-def: $sgpr13
	v_cmpx_gt_u32_e64 s41, v2
	s_cbranch_execz .LBB1490_52
; %bb.47:
	ds_load_2addr_b64 v[6:9], v1 offset0:7 offset1:8
	v_cmp_ne_u32_e64 s9, v5, v50
	v_mov_b64_e32 v[14:15], 0
	v_mov_b64_e32 v[32:33], 0
	v_dual_add_nc_u32 v2, 8, v67 :: v_dual_mov_b32 v52, 0
	s_mov_b32 s11, 0
	s_mov_b32 s49, exec_lo
                                        ; implicit-def: $sgpr13
	s_wait_dscnt 0x0
	v_cndmask_b32_e64 v49, v7, s37, s9
	v_cndmask_b32_e64 v48, v6, s36, s9
	v_cmpx_gt_u32_e64 s41, v2
	s_cbranch_execz .LBB1490_51
; %bb.48:
	v_cmp_ne_u32_e64 s10, v50, v51
	v_add_nc_u32_e32 v2, 9, v67
	v_mov_b64_e32 v[32:33], 0
                                        ; implicit-def: $sgpr13
	s_delay_alu instid0(VALU_DEP_3) | instskip(SKIP_1) | instid1(VALU_DEP_4)
	v_cndmask_b32_e64 v15, v9, s37, s10
	v_cndmask_b32_e64 v14, v8, s36, s10
	v_cmp_gt_u32_e64 s11, s41, v2
	s_mov_b32 s41, 0
	s_and_saveexec_b32 s50, s11
	s_delay_alu instid0(SALU_CYCLE_1)
	s_xor_b32 s11, exec_lo, s50
	s_cbranch_execz .LBB1490_50
; %bb.49:
	ds_load_b64 v[2:3], v1 offset:72
	v_cmp_ne_u32_e64 s13, v51, v59
	s_mov_b32 s41, exec_lo
	s_wait_dscnt 0x0
	v_cndmask_b32_e64 v33, v3, s37, s13
	v_cndmask_b32_e64 v32, v2, s36, s13
.LBB1490_50:
	s_or_b32 exec_lo, exec_lo, s11
	v_cndmask_b32_e64 v52, 0, 1, s10
	s_and_b32 s11, s41, exec_lo
.LBB1490_51:
	s_or_b32 exec_lo, exec_lo, s49
	v_cndmask_b32_e64 v53, 0, 1, s9
	v_mov_b64_e32 v[22:23], v[48:49]
	s_and_b32 s10, s11, exec_lo
	s_delay_alu instid0(VALU_DEP_2)
	v_mov_b32_e32 v61, v53
.LBB1490_52:
	s_or_b32 exec_lo, exec_lo, s48
	v_cndmask_b32_e64 v54, 0, 1, s8
	v_mov_b64_e32 v[20:21], v[14:15]
	v_mov_b64_e32 v[24:25], v[16:17]
	v_mov_b32_e32 v62, v52
	s_and_b32 s9, s10, exec_lo
	v_mov_b32_e32 v63, v54
.LBB1490_53:
	s_or_b32 exec_lo, exec_lo, s47
	v_cndmask_b32_e64 v55, 0, 1, s7
	v_mov_b64_e32 v[28:29], v[46:47]
	s_and_b32 s8, s9, exec_lo
	s_delay_alu instid0(VALU_DEP_2)
	v_mov_b32_e32 v64, v55
.LBB1490_54:
	s_or_b32 exec_lo, exec_lo, s46
	v_cndmask_b32_e64 v56, 0, 1, s6
	v_mov_b64_e32 v[30:31], v[18:19]
	s_and_b32 s7, s8, exec_lo
	s_delay_alu instid0(VALU_DEP_2)
	v_mov_b32_e32 v10, v56
.LBB1490_55:
	s_or_b32 exec_lo, exec_lo, s45
	v_cndmask_b32_e64 v57, 0, 1, s5
	v_mov_b64_e32 v[34:35], v[44:45]
	s_and_b32 s6, s7, exec_lo
	s_delay_alu instid0(VALU_DEP_2)
	v_mov_b32_e32 v11, v57
.LBB1490_56:
	s_or_b32 exec_lo, exec_lo, s44
	v_cndmask_b32_e64 v58, 0, 1, s4
	v_mov_b64_e32 v[36:37], v[40:41]
	s_and_b32 s5, s6, exec_lo
	s_delay_alu instid0(VALU_DEP_2)
	v_mov_b32_e32 v65, v58
.LBB1490_57:
	s_or_b32 exec_lo, exec_lo, s43
	v_cndmask_b32_e64 v60, 0, 1, s1
	v_mov_b64_e32 v[38:39], v[42:43]
	s_and_b32 s4, s5, exec_lo
	s_delay_alu instid0(VALU_DEP_2)
	v_mov_b32_e32 v12, v60
.LBB1490_58:
	s_or_b32 exec_lo, exec_lo, s42
	v_cndmask_b32_e64 v66, 0, 1, vcc_lo
	s_and_b32 s5, s4, exec_lo
	s_delay_alu instid0(VALU_DEP_1)
	v_mov_b32_e32 v1, v66
.LBB1490_59:
	s_or_b32 exec_lo, exec_lo, s40
	s_delay_alu instid0(SALU_CYCLE_1)
	s_and_b32 vcc_lo, exec_lo, s12
	s_cbranch_vccnz .LBB1490_61
	s_branch .LBB1490_66
.LBB1490_60:
                                        ; implicit-def: $sgpr13
                                        ; implicit-def: $vgpr26_vgpr27
                                        ; implicit-def: $vgpr52
                                        ; implicit-def: $vgpr14_vgpr15
                                        ; implicit-def: $vgpr53
                                        ; implicit-def: $vgpr48_vgpr49
                                        ; implicit-def: $vgpr54
                                        ; implicit-def: $vgpr16_vgpr17
                                        ; implicit-def: $vgpr55
                                        ; implicit-def: $vgpr46_vgpr47
                                        ; implicit-def: $vgpr56
                                        ; implicit-def: $vgpr18_vgpr19
                                        ; implicit-def: $vgpr57
                                        ; implicit-def: $vgpr44_vgpr45
                                        ; implicit-def: $vgpr58
                                        ; implicit-def: $vgpr40_vgpr41
                                        ; implicit-def: $vgpr60
                                        ; implicit-def: $vgpr42_vgpr43
                                        ; implicit-def: $vgpr66
                                        ; implicit-def: $vgpr32_vgpr33
                                        ; implicit-def: $vgpr62
                                        ; implicit-def: $vgpr20_vgpr21
                                        ; implicit-def: $vgpr61
                                        ; implicit-def: $vgpr22_vgpr23
                                        ; implicit-def: $vgpr63
                                        ; implicit-def: $vgpr24_vgpr25
                                        ; implicit-def: $vgpr64
                                        ; implicit-def: $vgpr28_vgpr29
                                        ; implicit-def: $vgpr10
                                        ; implicit-def: $vgpr30_vgpr31
                                        ; implicit-def: $vgpr11
                                        ; implicit-def: $vgpr34_vgpr35
                                        ; implicit-def: $vgpr65
                                        ; implicit-def: $vgpr36_vgpr37
                                        ; implicit-def: $vgpr12
                                        ; implicit-def: $vgpr38_vgpr39
                                        ; implicit-def: $vgpr1
	s_cbranch_execz .LBB1490_66
.LBB1490_61:
	s_clause 0x9
	flat_load_b32 v1, v0, s[16:17] scale_offset
	flat_load_b32 v2, v0, s[16:17] offset:512 scale_offset
	flat_load_b32 v3, v0, s[16:17] offset:1024 scale_offset
	;; [unrolled: 1-line block ×9, first 2 shown]
	v_dual_mov_b32 v12, 0 :: v_dual_lshlrev_b32 v11, 2, v0
	s_mov_b32 s1, exec_lo
	s_wait_loadcnt_dscnt 0x808
	ds_store_2addr_stride64_b32 v11, v1, v2 offset1:2
	s_wait_loadcnt_dscnt 0x607
	ds_store_2addr_stride64_b32 v11, v3, v4 offset0:4 offset1:6
	s_wait_loadcnt_dscnt 0x406
	ds_store_2addr_stride64_b32 v11, v5, v6 offset0:8 offset1:10
	;; [unrolled: 2-line block ×4, first 2 shown]
	s_wait_dscnt 0x0
	s_barrier_signal -1
	s_barrier_wait -1
	flat_load_b32 v1, v12, s[16:17] offset:5120
	v_mad_u32_u24 v10, v0, 36, v11
	ds_load_2addr_b64 v[6:9], v10 offset1:1
	ds_load_2addr_b64 v[2:5], v10 offset0:2 offset1:3
	ds_load_b64 v[28:29], v10 offset:32
	v_mad_i32_i24 v10, 0xffffffdc, v0, v10
	s_wait_dscnt 0x2
	ds_store_b32 v10, v6 offset:5632
	s_wait_loadcnt_dscnt 0x0
	s_barrier_signal -1
	s_barrier_wait -1
	v_cmpx_ne_u32_e32 0x7f, v0
; %bb.62:
	ds_load_b32 v1, v10 offset:5636
; %bb.63:
	s_or_b32 exec_lo, exec_lo, s1
	s_wait_dscnt 0x0
	s_barrier_signal -1
	s_barrier_wait -1
	s_clause 0x9
	flat_load_b64 v[12:13], v0, s[14:15] scale_offset
	flat_load_b64 v[14:15], v0, s[14:15] offset:1024 scale_offset
	flat_load_b64 v[16:17], v0, s[14:15] offset:2048 scale_offset
	;; [unrolled: 1-line block ×9, first 2 shown]
	v_lshl_add_u32 v32, v0, 2, v10
	s_mov_b32 s4, exec_lo
	v_cmp_ne_u32_e32 vcc_lo, v6, v7
	s_wait_loadcnt_dscnt 0x808
	ds_store_2addr_stride64_b64 v32, v[12:13], v[14:15] offset1:2
	s_wait_loadcnt_dscnt 0x607
	ds_store_2addr_stride64_b64 v32, v[16:17], v[18:19] offset0:4 offset1:6
	s_wait_loadcnt_dscnt 0x406
	ds_store_2addr_stride64_b64 v32, v[20:21], v[22:23] offset0:8 offset1:10
	;; [unrolled: 2-line block ×4, first 2 shown]
	v_mad_u32_u24 v33, 0x48, v0, v32
	s_wait_dscnt 0x0
	s_barrier_signal -1
	s_barrier_wait -1
	ds_load_2addr_b64 v[22:25], v33 offset0:1 offset1:2
	ds_load_2addr_b64 v[18:21], v33 offset0:3 offset1:4
	;; [unrolled: 1-line block ×4, first 2 shown]
	ds_load_b64 v[30:31], v33 offset:72
	v_mov_b64_e32 v[26:27], s[36:37]
	v_cmpx_eq_u32_e64 v6, v7
; %bb.64:
	v_mul_u32_u24_e32 v6, 0x48, v0
	s_delay_alu instid0(VALU_DEP_1)
	v_add_nc_u32_e32 v6, v32, v6
	ds_load_b64 v[26:27], v6
; %bb.65:
	s_or_b32 exec_lo, exec_lo, s4
	v_cndmask_b32_e64 v66, 0, 1, vcc_lo
	v_cmp_ne_u32_e32 vcc_lo, v7, v8
	v_cmp_ne_u32_e64 s1, v8, v9
	v_cmp_ne_u32_e64 s4, v9, v2
	;; [unrolled: 1-line block ×8, first 2 shown]
	s_wait_dscnt 0x4
	v_cndmask_b32_e64 v43, v23, s37, vcc_lo
	v_cndmask_b32_e64 v42, v22, s36, vcc_lo
	v_cndmask_b32_e64 v41, v25, s37, s1
	v_cndmask_b32_e64 v40, v24, s36, s1
	s_wait_dscnt 0x3
	v_cndmask_b32_e64 v45, v19, s37, s4
	v_cndmask_b32_e64 v44, v18, s36, s4
	v_cndmask_b32_e64 v19, v21, s37, s5
	v_cndmask_b32_e64 v18, v20, s36, s5
	s_wait_dscnt 0x2
	v_cndmask_b32_e64 v47, v15, s37, s6
	v_cndmask_b32_e64 v46, v14, s36, s6
	;; [unrolled: 5-line block ×3, first 2 shown]
	v_cndmask_b32_e64 v14, v12, s36, s9
	v_cndmask_b32_e64 v48, v10, s36, s8
	v_cndmask_b32_e64 v60, 0, 1, vcc_lo
	v_cndmask_b32_e64 v58, 0, 1, s1
	v_cndmask_b32_e64 v57, 0, 1, s4
	;; [unrolled: 1-line block ×7, first 2 shown]
	s_wait_dscnt 0x0
	v_cndmask_b32_e64 v33, v31, s37, s13
	v_cndmask_b32_e64 v32, v30, s36, s13
	v_mov_b64_e32 v[20:21], v[14:15]
	v_mov_b64_e32 v[22:23], v[48:49]
	;; [unrolled: 1-line block ×8, first 2 shown]
	v_dual_mov_b32 v62, v52 :: v_dual_mov_b32 v61, v53
	v_dual_mov_b32 v63, v54 :: v_dual_mov_b32 v64, v55
	;; [unrolled: 1-line block ×4, first 2 shown]
	v_mov_b32_e32 v1, v66
	s_mov_b32 s5, -1
.LBB1490_66:
	v_mov_b32_e32 v50, 0
	s_and_saveexec_b32 s1, s5
	s_cbranch_execz .LBB1490_68
; %bb.67:
	v_mov_b64_e32 v[38:39], v[42:43]
	v_mov_b64_e32 v[36:37], v[40:41]
	v_mov_b64_e32 v[34:35], v[44:45]
	v_mov_b64_e32 v[30:31], v[18:19]
	v_mov_b64_e32 v[28:29], v[46:47]
	v_mov_b64_e32 v[24:25], v[16:17]
	v_mov_b64_e32 v[22:23], v[48:49]
	v_mov_b64_e32 v[20:21], v[14:15]
	v_cndmask_b32_e64 v50, 0, 1, s13
	v_dual_mov_b32 v1, v66 :: v_dual_mov_b32 v12, v60
	v_dual_mov_b32 v65, v58 :: v_dual_mov_b32 v11, v57
	;; [unrolled: 1-line block ×4, first 2 shown]
	v_mov_b32_e32 v62, v52
.LBB1490_68:
	s_or_b32 exec_lo, exec_lo, s1
	v_and_b32_e32 v47, 1, v11
	s_delay_alu instid0(VALU_DEP_3)
	v_and_b32_e32 v46, 1, v63
	v_and_b32_e32 v45, 1, v1
	;; [unrolled: 1-line block ×4, first 2 shown]
	v_bitop3_b16 v49, v65, 0xff, v12 bitop3:0xc8
	v_and_b32_e32 v58, 0xff, v11
	v_cmp_eq_u32_e64 s11, 1, v47
	v_and_b32_e32 v57, 0xff, v10
	v_and_b32_e32 v56, 0xff, v64
	v_bitop3_b16 v51, v64, 0xff, v10 bitop3:0xc8
	v_and_b32_e32 v55, 0xff, v63
	v_cmp_eq_u32_e64 s13, 1, v46
	v_and_b32_e32 v54, 0xff, v61
	v_and_b32_e32 v53, 0xff, v62
	v_bitop3_b16 v52, v62, 0xff, v61 bitop3:0xc8
	v_cmp_eq_u16_e64 s12, 0, v50
	v_and_b32_e32 v48, 1, v50
	v_mbcnt_lo_u32_b32 v44, -1, 0
	s_cmp_lg_u32 s33, 0
	v_cmp_eq_u32_e32 vcc_lo, 1, v45
	s_barrier_signal -1
	s_barrier_wait -1
	s_cbranch_scc0 .LBB1490_132
; %bb.69:
	v_cmp_eq_u16_e64 s1, 0, v60
	v_cmp_eq_u16_e64 s4, 0, v59
	;; [unrolled: 1-line block ×5, first 2 shown]
	v_dual_cndmask_b32 v3, 0, v27, s1 :: v_dual_cndmask_b32 v2, 0, v26, s1
	v_cmp_eq_u16_e64 s8, 0, v55
	v_cmp_eq_u16_e64 s9, 0, v54
	;; [unrolled: 1-line block ×3, first 2 shown]
	v_cmp_ne_u16_e64 s15, 0, v51
	v_add_nc_u64_e32 v[2:3], v[2:3], v[38:39]
	v_cmp_ne_u16_e64 s16, 0, v52
	v_cmp_eq_u32_e64 s17, 1, v48
	v_cmp_ne_u16_e64 s14, 0, v49
	s_or_b32 s13, s15, s13
	v_dual_cndmask_b32 v3, 0, v3, s4 :: v_dual_bitop2_b32 v4, 15, v44 bitop3:0x40
	v_cndmask_b32_e64 v2, 0, v2, s4
	s_or_b32 s15, s16, s17
	s_or_b32 s11, s14, s11
	;; [unrolled: 1-line block ×3, first 2 shown]
	s_delay_alu instid0(VALU_DEP_1) | instskip(SKIP_1) | instid1(SALU_CYCLE_1)
	v_add_nc_u64_e32 v[2:3], v[2:3], v[36:37]
	s_or_b32 s11, s13, s11
	s_or_b32 s11, s11, vcc_lo
	s_delay_alu instid0(SALU_CYCLE_1) | instskip(SKIP_1) | instid1(VALU_DEP_3)
	v_cndmask_b32_e64 v5, 0, 1, s11
	v_cndmask_b32_e64 v6, 0, 1, s11
	v_dual_cndmask_b32 v3, 0, v3, s5 :: v_dual_cndmask_b32 v2, 0, v2, s5
	s_delay_alu instid0(VALU_DEP_3) | instskip(NEXT) | instid1(VALU_DEP_2)
	v_mov_b32_dpp v7, v5 row_shr:1 row_mask:0xf bank_mask:0xf
	v_add_nc_u64_e32 v[2:3], v[2:3], v[34:35]
	s_delay_alu instid0(VALU_DEP_1) | instskip(NEXT) | instid1(VALU_DEP_1)
	v_dual_cndmask_b32 v3, 0, v3, s6 :: v_dual_cndmask_b32 v2, 0, v2, s6
	v_add_nc_u64_e32 v[2:3], v[2:3], v[30:31]
	s_delay_alu instid0(VALU_DEP_1) | instskip(NEXT) | instid1(VALU_DEP_1)
	v_dual_cndmask_b32 v3, 0, v3, s7 :: v_dual_cndmask_b32 v2, 0, v2, s7
	;; [unrolled: 3-line block ×5, first 2 shown]
	v_add_nc_u64_e32 v[2:3], v[2:3], v[20:21]
	s_delay_alu instid0(VALU_DEP_1) | instskip(SKIP_1) | instid1(VALU_DEP_1)
	v_dual_cndmask_b32 v3, 0, v3, s12 :: v_dual_cndmask_b32 v2, 0, v2, s12
	s_mov_b32 s12, exec_lo
	v_add_nc_u64_e32 v[2:3], v[2:3], v[32:33]
	s_delay_alu instid0(VALU_DEP_1) | instskip(NEXT) | instid1(VALU_DEP_2)
	v_mov_b32_dpp v8, v2 row_shr:1 row_mask:0xf bank_mask:0xf
	v_mov_b32_dpp v9, v3 row_shr:1 row_mask:0xf bank_mask:0xf
	v_cmpx_ne_u32_e32 0, v4
; %bb.70:
	s_delay_alu instid0(VALU_DEP_2) | instskip(NEXT) | instid1(VALU_DEP_4)
	v_cndmask_b32_e64 v9, v9, 0, s11
	v_cndmask_b32_e64 v8, v8, 0, s11
	v_bitop3_b16 v6, v7, v6, 1 bitop3:0xec
	s_delay_alu instid0(VALU_DEP_2) | instskip(NEXT) | instid1(VALU_DEP_2)
	v_add_nc_u64_e32 v[2:3], v[8:9], v[2:3]
	v_and_b32_e32 v5, 0xffff, v6
; %bb.71:
	s_or_b32 exec_lo, exec_lo, s12
	s_delay_alu instid0(VALU_DEP_2) | instskip(NEXT) | instid1(VALU_DEP_3)
	v_mov_b32_dpp v7, v2 row_shr:2 row_mask:0xf bank_mask:0xf
	v_mov_b32_dpp v8, v3 row_shr:2 row_mask:0xf bank_mask:0xf
	s_delay_alu instid0(VALU_DEP_3)
	v_mov_b32_dpp v9, v5 row_shr:2 row_mask:0xf bank_mask:0xf
	s_mov_b32 s12, exec_lo
	v_cmpx_lt_u32_e32 1, v4
	s_cbranch_execz .LBB1490_73
; %bb.72:
	v_cmp_eq_u16_e32 vcc_lo, 0, v6
	v_and_b32_e32 v5, 1, v6
	v_dual_cndmask_b32 v9, 0, v8, vcc_lo :: v_dual_bitop2_b32 v6, 1, v9 bitop3:0x40
	v_cndmask_b32_e32 v8, 0, v7, vcc_lo
	s_delay_alu instid0(VALU_DEP_3) | instskip(NEXT) | instid1(VALU_DEP_3)
	v_cmp_eq_u32_e32 vcc_lo, 1, v5
	v_cmp_eq_u32_e64 s11, 1, v6
	s_delay_alu instid0(VALU_DEP_3) | instskip(SKIP_1) | instid1(SALU_CYCLE_1)
	v_add_nc_u64_e32 v[2:3], v[8:9], v[2:3]
	s_or_b32 s11, vcc_lo, s11
	v_cndmask_b32_e64 v6, 0, 1, s11
	v_cndmask_b32_e64 v5, 0, 1, s11
.LBB1490_73:
	s_or_b32 exec_lo, exec_lo, s12
	s_delay_alu instid0(VALU_DEP_3) | instskip(NEXT) | instid1(VALU_DEP_4)
	v_mov_b32_dpp v7, v2 row_shr:4 row_mask:0xf bank_mask:0xf
	v_mov_b32_dpp v8, v3 row_shr:4 row_mask:0xf bank_mask:0xf
	s_delay_alu instid0(VALU_DEP_3)
	v_mov_b32_dpp v9, v5 row_shr:4 row_mask:0xf bank_mask:0xf
	s_mov_b32 s12, exec_lo
	v_cmpx_lt_u32_e32 3, v4
	s_cbranch_execz .LBB1490_75
; %bb.74:
	v_cmp_eq_u16_e32 vcc_lo, 0, v6
	v_and_b32_e32 v5, 1, v6
	v_dual_cndmask_b32 v9, 0, v8, vcc_lo :: v_dual_bitop2_b32 v6, 1, v9 bitop3:0x40
	v_cndmask_b32_e32 v8, 0, v7, vcc_lo
	s_delay_alu instid0(VALU_DEP_3) | instskip(NEXT) | instid1(VALU_DEP_3)
	v_cmp_eq_u32_e32 vcc_lo, 1, v5
	v_cmp_eq_u32_e64 s11, 1, v6
	s_delay_alu instid0(VALU_DEP_3) | instskip(SKIP_1) | instid1(SALU_CYCLE_1)
	v_add_nc_u64_e32 v[2:3], v[8:9], v[2:3]
	s_or_b32 s11, vcc_lo, s11
	v_cndmask_b32_e64 v6, 0, 1, s11
	v_cndmask_b32_e64 v5, 0, 1, s11
.LBB1490_75:
	s_or_b32 exec_lo, exec_lo, s12
	s_delay_alu instid0(VALU_DEP_3) | instskip(NEXT) | instid1(VALU_DEP_4)
	v_mov_b32_dpp v7, v2 row_shr:8 row_mask:0xf bank_mask:0xf
	v_mov_b32_dpp v8, v3 row_shr:8 row_mask:0xf bank_mask:0xf
	s_delay_alu instid0(VALU_DEP_3)
	v_mov_b32_dpp v9, v5 row_shr:8 row_mask:0xf bank_mask:0xf
	s_mov_b32 s12, exec_lo
	v_cmpx_lt_u32_e32 7, v4
	s_cbranch_execz .LBB1490_77
; %bb.76:
	v_cmp_eq_u16_e32 vcc_lo, 0, v6
	v_and_b32_e32 v6, 1, v6
	v_dual_cndmask_b32 v4, 0, v7, vcc_lo :: v_dual_bitop2_b32 v9, 1, v9 bitop3:0x40
	v_cndmask_b32_e32 v5, 0, v8, vcc_lo
	s_delay_alu instid0(VALU_DEP_3) | instskip(NEXT) | instid1(VALU_DEP_3)
	v_cmp_eq_u32_e32 vcc_lo, 1, v6
	v_cmp_eq_u32_e64 s11, 1, v9
	s_delay_alu instid0(VALU_DEP_3) | instskip(SKIP_1) | instid1(SALU_CYCLE_1)
	v_add_nc_u64_e32 v[2:3], v[4:5], v[2:3]
	s_or_b32 s11, vcc_lo, s11
	v_cndmask_b32_e64 v6, 0, 1, s11
	v_cndmask_b32_e64 v5, 0, 1, s11
.LBB1490_77:
	s_or_b32 exec_lo, exec_lo, s12
	ds_swizzle_b32 v4, v2 offset:swizzle(BROADCAST,32,15)
	ds_swizzle_b32 v7, v3 offset:swizzle(BROADCAST,32,15)
	;; [unrolled: 1-line block ×3, first 2 shown]
	v_and_b32_e32 v8, 16, v44
	s_mov_b32 s12, exec_lo
	s_delay_alu instid0(VALU_DEP_1)
	v_cmpx_ne_u32_e32 0, v8
	s_cbranch_execz .LBB1490_79
; %bb.78:
	v_cmp_eq_u16_e32 vcc_lo, 0, v6
	v_and_b32_e32 v6, 1, v6
	s_wait_dscnt 0x0
	v_dual_cndmask_b32 v4, 0, v4, vcc_lo :: v_dual_bitop2_b32 v8, 1, v5 bitop3:0x40
	v_cndmask_b32_e32 v5, 0, v7, vcc_lo
	s_delay_alu instid0(VALU_DEP_3) | instskip(NEXT) | instid1(VALU_DEP_3)
	v_cmp_eq_u32_e32 vcc_lo, 1, v6
	v_cmp_eq_u32_e64 s11, 1, v8
	s_delay_alu instid0(VALU_DEP_3) | instskip(SKIP_1) | instid1(SALU_CYCLE_1)
	v_add_nc_u64_e32 v[2:3], v[4:5], v[2:3]
	s_or_b32 s11, vcc_lo, s11
	v_cndmask_b32_e64 v6, 0, 1, s11
.LBB1490_79:
	s_or_b32 exec_lo, exec_lo, s12
	s_wait_dscnt 0x0
	v_dual_lshrrev_b32 v5, 5, v0 :: v_dual_bitop2_b32 v4, 31, v0 bitop3:0x54
	s_mov_b32 s11, exec_lo
	s_delay_alu instid0(VALU_DEP_1) | instskip(NEXT) | instid1(VALU_DEP_2)
	v_lshlrev_b32_e32 v7, 4, v5
	v_cmpx_eq_u32_e64 v0, v4
	s_cbranch_execz .LBB1490_81
; %bb.80:
	ds_store_b64 v7, v[2:3]
	ds_store_b8 v7, v6 offset:8
.LBB1490_81:
	s_or_b32 exec_lo, exec_lo, s11
	s_delay_alu instid0(SALU_CYCLE_1)
	s_mov_b32 s12, exec_lo
	s_wait_dscnt 0x0
	s_barrier_signal -1
	s_barrier_wait -1
	v_cmpx_gt_u32_e32 4, v0
	s_cbranch_execz .LBB1490_87
; %bb.82:
	v_lshlrev_b32_e32 v8, 4, v0
	s_mov_b32 s11, exec_lo
	ds_load_b64 v[4:5], v8
	ds_load_b32 v9, v8 offset:8
	v_and_b32_e32 v10, 3, v44
	s_wait_dscnt 0x1
	v_mov_b32_dpp v14, v4 row_shr:1 row_mask:0xf bank_mask:0xf
	v_mov_b32_dpp v15, v5 row_shr:1 row_mask:0xf bank_mask:0xf
	s_wait_dscnt 0x0
	v_mov_b32_dpp v13, v9 row_shr:1 row_mask:0xf bank_mask:0xf
	v_dual_mov_b32 v12, v9 :: v_dual_mov_b32 v11, v9
	v_cmpx_ne_u32_e32 0, v10
	s_cbranch_execz .LBB1490_84
; %bb.83:
	v_and_b32_e32 v11, 0xff, v9
	v_or_b32_e32 v12, v13, v9
	s_delay_alu instid0(VALU_DEP_2) | instskip(SKIP_1) | instid1(VALU_DEP_3)
	v_cmp_eq_u16_e32 vcc_lo, 0, v11
	v_bitop3_b32 v11, v13, 1, v9 bitop3:0xc8
	v_dual_cndmask_b32 v15, 0, v15, vcc_lo :: v_dual_bitop2_b32 v12, 1, v12 bitop3:0x40
	v_cndmask_b32_e32 v14, 0, v14, vcc_lo
	s_delay_alu instid0(VALU_DEP_3) | instskip(NEXT) | instid1(VALU_DEP_2)
	v_and_or_b32 v9, 0xffffff00, v9, v11
	v_add_nc_u64_e32 v[4:5], v[14:15], v[4:5]
.LBB1490_84:
	s_or_b32 exec_lo, exec_lo, s11
	s_delay_alu instid0(VALU_DEP_1) | instskip(NEXT) | instid1(VALU_DEP_2)
	v_mov_b32_dpp v13, v4 row_shr:2 row_mask:0xf bank_mask:0xf
	v_mov_b32_dpp v14, v5 row_shr:2 row_mask:0xf bank_mask:0xf
	v_mov_b32_dpp v9, v9 row_shr:2 row_mask:0xf bank_mask:0xf
	s_mov_b32 s13, exec_lo
	v_cmpx_lt_u32_e32 1, v10
	s_cbranch_execz .LBB1490_86
; %bb.85:
	v_and_b32_e32 v10, 0xff, v11
	v_and_b32_e32 v9, 1, v9
	s_delay_alu instid0(VALU_DEP_2) | instskip(SKIP_1) | instid1(VALU_DEP_3)
	v_cmp_eq_u16_e32 vcc_lo, 0, v10
	v_and_b32_e32 v12, 1, v11
	v_cmp_eq_u32_e64 s11, 1, v9
	v_dual_cndmask_b32 v11, 0, v14 :: v_dual_cndmask_b32 v10, 0, v13
	s_delay_alu instid0(VALU_DEP_3) | instskip(NEXT) | instid1(VALU_DEP_2)
	v_cmp_eq_u32_e32 vcc_lo, 1, v12
	v_add_nc_u64_e32 v[4:5], v[10:11], v[4:5]
	s_or_b32 s11, vcc_lo, s11
	s_delay_alu instid0(SALU_CYCLE_1)
	v_cndmask_b32_e64 v12, 0, 1, s11
.LBB1490_86:
	s_or_b32 exec_lo, exec_lo, s13
	ds_store_b64 v8, v[4:5]
	ds_store_b8 v8, v12 offset:8
.LBB1490_87:
	s_or_b32 exec_lo, exec_lo, s12
	v_mov_b64_e32 v[4:5], 0
	v_mov_b32_e32 v12, 0
	s_mov_b32 s12, exec_lo
	v_cmp_gt_u32_e32 vcc_lo, 32, v0
	s_wait_dscnt 0x0
	s_barrier_signal -1
	s_barrier_wait -1
	v_cmpx_lt_u32_e32 31, v0
	s_cbranch_execz .LBB1490_89
; %bb.88:
	v_dual_add_nc_u32 v4, -16, v7 :: v_dual_add_nc_u32 v7, -8, v7
	v_cmp_eq_u16_e64 s11, 0, v6
	ds_load_b64 v[4:5], v4
	ds_load_u8 v12, v7
	s_wait_dscnt 0x1
	v_dual_cndmask_b32 v9, 0, v5, s11 :: v_dual_cndmask_b32 v8, 0, v4, s11
	s_wait_dscnt 0x0
	v_or_b32_e32 v6, v12, v6
	s_delay_alu instid0(VALU_DEP_2)
	v_add_nc_u64_e32 v[2:3], v[2:3], v[8:9]
.LBB1490_89:
	s_or_b32 exec_lo, exec_lo, s12
	v_sub_co_u32 v7, s11, v44, 1
	s_delay_alu instid0(VALU_DEP_3) | instskip(NEXT) | instid1(VALU_DEP_2)
	v_and_b32_e32 v6, 0xff, v6
	v_cmp_gt_i32_e64 s12, 0, v7
	s_delay_alu instid0(VALU_DEP_1) | instskip(NEXT) | instid1(VALU_DEP_1)
	v_cndmask_b32_e64 v7, v7, v44, s12
	v_lshlrev_b32_e32 v7, 2, v7
	ds_bpermute_b32 v13, v7, v2
	ds_bpermute_b32 v14, v7, v3
	;; [unrolled: 1-line block ×3, first 2 shown]
	s_and_saveexec_b32 s13, vcc_lo
	s_cbranch_execz .LBB1490_137
; %bb.90:
	v_mov_b32_e32 v9, 0
	ds_load_b64 v[2:3], v9 offset:48
	ds_load_u8 v16, v9 offset:56
	s_and_saveexec_b32 s12, s11
	s_cbranch_execz .LBB1490_92
; %bb.91:
	s_add_co_i32 s14, s33, 32
	s_mov_b32 s15, 0
	v_dual_mov_b32 v6, 1 :: v_dual_mov_b32 v7, s14
	s_lshl_b64 s[16:17], s[14:15], 4
	s_delay_alu instid0(SALU_CYCLE_1)
	s_add_nc_u64 s[14:15], s[20:21], s[16:17]
	s_wait_dscnt 0x1
	global_store_b64 v9, v[2:3], s[14:15]
	s_wait_dscnt 0x0
	global_store_b8 v9, v16, s[14:15] offset:8
	global_wb scope:SCOPE_DEV
	s_wait_storecnt 0x0
	global_inv scope:SCOPE_DEV
	s_wait_xcnt 0x0
	global_store_b8 v7, v6, s[24:25] scope:SCOPE_DEV
.LBB1490_92:
	s_wait_xcnt 0x0
	s_or_b32 exec_lo, exec_lo, s12
	v_xad_u32 v6, v44, -1, s33
	s_mov_b32 s14, 0
	s_mov_b32 s12, exec_lo
	s_delay_alu instid0(VALU_DEP_1)
	v_add_nc_u32_e32 v8, 32, v6
	global_load_u8 v17, v8, s[24:25] scope:SCOPE_DEV
	s_wait_loadcnt 0x0
	v_cmpx_eq_u16_e32 0, v17
	s_cbranch_execz .LBB1490_96
; %bb.93:
	v_add_nc_u64_e32 v[10:11], s[24:25], v[8:9]
.LBB1490_94:                            ; =>This Inner Loop Header: Depth=1
	global_load_u8 v17, v[10:11], off scope:SCOPE_DEV
	s_wait_loadcnt 0x0
	v_cmp_ne_u16_e32 vcc_lo, 0, v17
	s_or_b32 s14, vcc_lo, s14
	s_wait_xcnt 0x0
	s_and_not1_b32 exec_lo, exec_lo, s14
	s_cbranch_execnz .LBB1490_94
; %bb.95:
	s_or_b32 exec_lo, exec_lo, s14
.LBB1490_96:
	s_delay_alu instid0(SALU_CYCLE_1)
	s_or_b32 exec_lo, exec_lo, s12
	v_dual_mov_b32 v7, s21 :: v_dual_mov_b32 v10, s20
	v_cmp_eq_u16_e32 vcc_lo, 1, v17
	global_wb scope:SCOPE_DEV
	s_wait_storecnt_dscnt 0x0
	global_inv scope:SCOPE_DEV
	v_lshlrev_b32_e64 v19, v44, -1
	s_mov_b32 s12, exec_lo
	v_cndmask_b32_e32 v11, s23, v7, vcc_lo
	v_cndmask_b32_e32 v10, s22, v10, vcc_lo
	v_cmp_ne_u32_e32 vcc_lo, 31, v44
	v_add_co_ci_u32_e64 v7, null, 0, v44, vcc_lo
	v_cmp_eq_u16_e32 vcc_lo, 2, v17
	s_delay_alu instid0(VALU_DEP_2)
	v_lshlrev_b32_e32 v18, 2, v7
	v_lshl_add_u64 v[8:9], v[8:9], 4, v[10:11]
	s_clause 0x1
	global_load_u8 v66, v[8:9], off offset:8
	global_load_b64 v[10:11], v[8:9], off
	v_and_or_b32 v7, vcc_lo, v19, 0x80000000
	s_delay_alu instid0(VALU_DEP_1)
	v_ctz_i32_b32_e32 v7, v7
	s_wait_loadcnt 0x1
	s_wait_xcnt 0x0
	v_and_b32_e32 v8, 1, v66
	s_wait_loadcnt 0x0
	ds_bpermute_b32 v40, v18, v10
	ds_bpermute_b32 v41, v18, v11
	;; [unrolled: 1-line block ×3, first 2 shown]
	v_cmpx_lt_u32_e64 v44, v7
	s_cbranch_execz .LBB1490_98
; %bb.97:
	v_and_b32_e32 v8, 0xff, v66
	s_wait_dscnt 0x0
	v_bitop3_b16 v66, v9, v66, 1 bitop3:0xec
	s_delay_alu instid0(VALU_DEP_2) | instskip(NEXT) | instid1(VALU_DEP_2)
	v_cmp_eq_u16_e32 vcc_lo, 0, v8
	v_and_b32_e32 v8, 0xff, v66
	v_dual_cndmask_b32 v41, 0, v41 :: v_dual_cndmask_b32 v40, 0, v40
	s_delay_alu instid0(VALU_DEP_1)
	v_add_nc_u64_e32 v[10:11], v[40:41], v[10:11]
.LBB1490_98:
	s_or_b32 exec_lo, exec_lo, s12
	v_cmp_gt_u32_e32 vcc_lo, 30, v44
	s_wait_dscnt 0x1
	v_add_nc_u32_e32 v41, 2, v44
	s_mov_b32 s14, exec_lo
	s_wait_dscnt 0x0
	v_cndmask_b32_e64 v9, 0, 2, vcc_lo
	s_delay_alu instid0(VALU_DEP_1)
	v_add_lshl_u32 v40, v9, v44, 2
	ds_bpermute_b32 v9, v40, v10
	ds_bpermute_b32 v42, v40, v11
	;; [unrolled: 1-line block ×3, first 2 shown]
	v_cmpx_le_u32_e64 v41, v7
	s_cbranch_execz .LBB1490_100
; %bb.99:
	v_and_b32_e32 v8, 0xff, v66
	s_delay_alu instid0(VALU_DEP_1) | instskip(SKIP_4) | instid1(VALU_DEP_3)
	v_cmp_eq_u16_e32 vcc_lo, 0, v8
	v_and_b32_e32 v61, 1, v66
	s_wait_dscnt 0x0
	v_dual_cndmask_b32 v43, 0, v42, vcc_lo :: v_dual_bitop2_b32 v8, 1, v43 bitop3:0x40
	v_cndmask_b32_e32 v42, 0, v9, vcc_lo
	v_cmp_eq_u32_e64 s12, 1, v61
	s_delay_alu instid0(VALU_DEP_3) | instskip(NEXT) | instid1(VALU_DEP_3)
	v_cmp_eq_u32_e32 vcc_lo, 1, v8
	v_add_nc_u64_e32 v[10:11], v[42:43], v[10:11]
	s_or_b32 s12, s12, vcc_lo
	s_delay_alu instid0(SALU_CYCLE_1)
	v_cndmask_b32_e64 v66, 0, 1, s12
	v_cndmask_b32_e64 v8, 0, 1, s12
.LBB1490_100:
	s_or_b32 exec_lo, exec_lo, s14
	v_cmp_gt_u32_e32 vcc_lo, 28, v44
	s_wait_dscnt 0x0
	v_add_nc_u32_e32 v43, 4, v44
	s_mov_b32 s14, exec_lo
	v_cndmask_b32_e64 v9, 0, 4, vcc_lo
	s_delay_alu instid0(VALU_DEP_1)
	v_add_lshl_u32 v42, v9, v44, 2
	ds_bpermute_b32 v9, v42, v10
	ds_bpermute_b32 v61, v42, v11
	;; [unrolled: 1-line block ×3, first 2 shown]
	v_cmpx_le_u32_e64 v43, v7
	s_cbranch_execz .LBB1490_102
; %bb.101:
	v_and_b32_e32 v8, 0xff, v66
	s_delay_alu instid0(VALU_DEP_1) | instskip(SKIP_4) | instid1(VALU_DEP_3)
	v_cmp_eq_u16_e32 vcc_lo, 0, v8
	v_and_b32_e32 v64, 1, v66
	s_wait_dscnt 0x0
	v_dual_cndmask_b32 v62, 0, v9, vcc_lo :: v_dual_bitop2_b32 v8, 1, v62 bitop3:0x40
	v_cndmask_b32_e32 v63, 0, v61, vcc_lo
	v_cmp_eq_u32_e64 s12, 1, v64
	s_delay_alu instid0(VALU_DEP_3) | instskip(NEXT) | instid1(VALU_DEP_3)
	v_cmp_eq_u32_e32 vcc_lo, 1, v8
	v_add_nc_u64_e32 v[10:11], v[62:63], v[10:11]
	s_or_b32 s12, s12, vcc_lo
	s_delay_alu instid0(SALU_CYCLE_1)
	v_cndmask_b32_e64 v66, 0, 1, s12
	v_cndmask_b32_e64 v8, 0, 1, s12
.LBB1490_102:
	s_or_b32 exec_lo, exec_lo, s14
	v_cmp_gt_u32_e32 vcc_lo, 24, v44
	s_wait_dscnt 0x0
	v_add_nc_u32_e32 v62, 8, v44
	s_mov_b32 s14, exec_lo
	v_cndmask_b32_e64 v9, 0, 8, vcc_lo
	s_delay_alu instid0(VALU_DEP_1)
	v_add_lshl_u32 v61, v9, v44, 2
	ds_bpermute_b32 v9, v61, v10
	ds_bpermute_b32 v63, v61, v11
	;; [unrolled: 1-line block ×3, first 2 shown]
	v_cmpx_le_u32_e64 v62, v7
	s_cbranch_execz .LBB1490_104
; %bb.103:
	v_and_b32_e32 v8, 0xff, v66
	s_delay_alu instid0(VALU_DEP_1) | instskip(SKIP_4) | instid1(VALU_DEP_3)
	v_cmp_eq_u16_e32 vcc_lo, 0, v8
	v_and_b32_e32 v66, 1, v66
	s_wait_dscnt 0x0
	v_dual_cndmask_b32 v64, 0, v9, vcc_lo :: v_dual_bitop2_b32 v8, 1, v64 bitop3:0x40
	v_cndmask_b32_e32 v65, 0, v63, vcc_lo
	v_cmp_eq_u32_e64 s12, 1, v66
	s_delay_alu instid0(VALU_DEP_3) | instskip(NEXT) | instid1(VALU_DEP_3)
	v_cmp_eq_u32_e32 vcc_lo, 1, v8
	v_add_nc_u64_e32 v[10:11], v[64:65], v[10:11]
	s_or_b32 s12, s12, vcc_lo
	s_delay_alu instid0(SALU_CYCLE_1)
	v_cndmask_b32_e64 v66, 0, 1, s12
	v_cndmask_b32_e64 v8, 0, 1, s12
.LBB1490_104:
	s_or_b32 exec_lo, exec_lo, s14
	s_wait_dscnt 0x1
	v_lshl_or_b32 v63, v44, 2, 64
	v_add_nc_u32_e32 v65, 16, v44
	s_mov_b32 s14, exec_lo
	ds_bpermute_b32 v9, v63, v10
	s_wait_dscnt 0x1
	ds_bpermute_b32 v64, v63, v11
	ds_bpermute_b32 v8, v63, v8
	v_cmpx_le_u32_e64 v65, v7
	s_cbranch_execz .LBB1490_106
; %bb.105:
	v_and_b32_e32 v7, 0xff, v66
	s_delay_alu instid0(VALU_DEP_1) | instskip(SKIP_4) | instid1(VALU_DEP_3)
	v_cmp_eq_u16_e32 vcc_lo, 0, v7
	v_and_b32_e32 v7, 1, v66
	s_wait_dscnt 0x0
	v_dual_cndmask_b32 v66, 0, v9, vcc_lo :: v_dual_bitop2_b32 v8, 1, v8 bitop3:0x40
	v_cndmask_b32_e32 v67, 0, v64, vcc_lo
	v_cmp_eq_u32_e32 vcc_lo, 1, v7
	s_delay_alu instid0(VALU_DEP_3) | instskip(NEXT) | instid1(VALU_DEP_3)
	v_cmp_eq_u32_e64 s12, 1, v8
	v_add_nc_u64_e32 v[10:11], v[66:67], v[10:11]
	s_or_b32 s12, vcc_lo, s12
	s_delay_alu instid0(SALU_CYCLE_1)
	v_cndmask_b32_e64 v66, 0, 1, s12
.LBB1490_106:
	s_or_b32 exec_lo, exec_lo, s14
	v_mov_b32_e32 v7, 0
	s_branch .LBB1490_109
.LBB1490_107:                           ;   in Loop: Header=BB1490_109 Depth=1
	s_or_b32 exec_lo, exec_lo, s15
	v_and_b32_e32 v66, 0xff, v64
	v_subrev_nc_u32_e32 v6, 32, v6
	s_delay_alu instid0(VALU_DEP_2) | instskip(SKIP_2) | instid1(VALU_DEP_2)
	v_cmp_eq_u16_e32 vcc_lo, 0, v66
	v_dual_cndmask_b32 v11, 0, v11, vcc_lo :: v_dual_bitop2_b32 v66, 1, v64 bitop3:0x40
	v_cndmask_b32_e32 v10, 0, v10, vcc_lo
	v_cmp_eq_u32_e32 vcc_lo, 1, v66
	s_delay_alu instid0(VALU_DEP_2) | instskip(SKIP_1) | instid1(SALU_CYCLE_1)
	v_add_nc_u64_e32 v[10:11], v[10:11], v[8:9]
	s_or_b32 s12, vcc_lo, s14
	v_cndmask_b32_e64 v66, 0, 1, s12
	s_mov_b32 s12, 0
.LBB1490_108:                           ;   in Loop: Header=BB1490_109 Depth=1
	s_delay_alu instid0(SALU_CYCLE_1)
	s_and_b32 vcc_lo, exec_lo, s12
	s_cbranch_vccnz .LBB1490_133
.LBB1490_109:                           ; =>This Loop Header: Depth=1
                                        ;     Child Loop BB1490_112 Depth 2
	s_wait_dscnt 0x0
	v_and_b32_e32 v8, 0xff, v17
	v_mov_b32_e32 v64, v66
	s_mov_b32 s12, -1
                                        ; implicit-def: $vgpr66
                                        ; implicit-def: $vgpr17
	s_delay_alu instid0(VALU_DEP_2)
	v_cmp_ne_u16_e32 vcc_lo, 2, v8
	v_mov_b64_e32 v[8:9], v[10:11]
                                        ; implicit-def: $vgpr10_vgpr11
	s_cmp_lg_u32 vcc_lo, exec_lo
	s_cbranch_scc1 .LBB1490_108
; %bb.110:                              ;   in Loop: Header=BB1490_109 Depth=1
	global_load_u8 v17, v6, s[24:25] scope:SCOPE_DEV
	s_mov_b32 s12, exec_lo
	s_wait_loadcnt 0x0
	v_cmpx_eq_u16_e32 0, v17
	s_cbranch_execz .LBB1490_114
; %bb.111:                              ;   in Loop: Header=BB1490_109 Depth=1
	v_add_nc_u64_e32 v[10:11], s[24:25], v[6:7]
	s_mov_b32 s14, 0
.LBB1490_112:                           ;   Parent Loop BB1490_109 Depth=1
                                        ; =>  This Inner Loop Header: Depth=2
	global_load_u8 v17, v[10:11], off scope:SCOPE_DEV
	s_wait_loadcnt 0x0
	v_cmp_ne_u16_e32 vcc_lo, 0, v17
	s_or_b32 s14, vcc_lo, s14
	s_delay_alu instid0(SALU_CYCLE_1)
	s_and_not1_b32 exec_lo, exec_lo, s14
	s_cbranch_execnz .LBB1490_112
; %bb.113:                              ;   in Loop: Header=BB1490_109 Depth=1
	s_or_b32 exec_lo, exec_lo, s14
.LBB1490_114:                           ;   in Loop: Header=BB1490_109 Depth=1
	s_delay_alu instid0(SALU_CYCLE_1)
	s_or_b32 exec_lo, exec_lo, s12
	v_dual_mov_b32 v10, s21 :: v_dual_mov_b32 v66, s20
	v_cmp_eq_u16_e32 vcc_lo, 1, v17
	global_wb scope:SCOPE_DEV
	s_wait_storecnt 0x0
	global_inv scope:SCOPE_DEV
	s_mov_b32 s12, exec_lo
	v_cndmask_b32_e32 v11, s23, v10, vcc_lo
	v_cndmask_b32_e32 v10, s22, v66, vcc_lo
	v_cmp_eq_u16_e32 vcc_lo, 2, v17
	s_delay_alu instid0(VALU_DEP_2)
	v_lshl_add_u64 v[68:69], v[6:7], 4, v[10:11]
	v_and_or_b32 v66, vcc_lo, v19, 0x80000000
	s_clause 0x1
	global_load_u8 v67, v[68:69], off offset:8
	global_load_b64 v[10:11], v[68:69], off
	v_ctz_i32_b32_e32 v66, v66
	s_wait_loadcnt 0x1
	s_wait_xcnt 0x0
	v_and_b32_e32 v68, 1, v67
	s_wait_loadcnt 0x0
	ds_bpermute_b32 v70, v18, v10
	ds_bpermute_b32 v71, v18, v11
	;; [unrolled: 1-line block ×3, first 2 shown]
	v_cmpx_lt_u32_e64 v44, v66
	s_cbranch_execz .LBB1490_116
; %bb.115:                              ;   in Loop: Header=BB1490_109 Depth=1
	v_and_b32_e32 v68, 0xff, v67
	s_wait_dscnt 0x0
	v_bitop3_b16 v67, v69, v67, 1 bitop3:0xec
	s_delay_alu instid0(VALU_DEP_2) | instskip(NEXT) | instid1(VALU_DEP_2)
	v_cmp_eq_u16_e32 vcc_lo, 0, v68
	v_and_b32_e32 v68, 0xff, v67
	v_dual_cndmask_b32 v71, 0, v71 :: v_dual_cndmask_b32 v70, 0, v70
	s_delay_alu instid0(VALU_DEP_1)
	v_add_nc_u64_e32 v[10:11], v[70:71], v[10:11]
.LBB1490_116:                           ;   in Loop: Header=BB1490_109 Depth=1
	s_or_b32 exec_lo, exec_lo, s12
	s_wait_dscnt 0x0
	ds_bpermute_b32 v69, v40, v10
	ds_bpermute_b32 v70, v40, v11
	;; [unrolled: 1-line block ×3, first 2 shown]
	v_and_b32_e32 v72, 1, v67
	s_mov_b32 s12, exec_lo
	s_delay_alu instid0(VALU_DEP_1)
	v_cmp_eq_u32_e64 s14, 1, v72
	v_cmpx_le_u32_e64 v41, v66
	s_cbranch_execz .LBB1490_118
; %bb.117:                              ;   in Loop: Header=BB1490_109 Depth=1
	v_and_b32_e32 v67, 0xff, v67
	s_delay_alu instid0(VALU_DEP_1) | instskip(SKIP_3) | instid1(VALU_DEP_2)
	v_cmp_eq_u16_e32 vcc_lo, 0, v67
	s_wait_dscnt 0x0
	v_dual_cndmask_b32 v71, 0, v70, vcc_lo :: v_dual_bitop2_b32 v67, 1, v71 bitop3:0x40
	v_cndmask_b32_e32 v70, 0, v69, vcc_lo
	v_cmp_eq_u32_e32 vcc_lo, 1, v67
	s_delay_alu instid0(VALU_DEP_2)
	v_add_nc_u64_e32 v[10:11], v[70:71], v[10:11]
	s_or_b32 s15, s14, vcc_lo
	s_and_not1_b32 s14, s14, exec_lo
	v_cndmask_b32_e64 v67, 0, 1, s15
	v_cndmask_b32_e64 v68, 0, 1, s15
	s_and_b32 s15, s15, exec_lo
	s_delay_alu instid0(SALU_CYCLE_1)
	s_or_b32 s14, s14, s15
.LBB1490_118:                           ;   in Loop: Header=BB1490_109 Depth=1
	s_or_b32 exec_lo, exec_lo, s12
	s_wait_dscnt 0x2
	ds_bpermute_b32 v69, v42, v10
	s_wait_dscnt 0x2
	ds_bpermute_b32 v70, v42, v11
	;; [unrolled: 2-line block ×3, first 2 shown]
	s_mov_b32 s15, exec_lo
	v_cmpx_le_u32_e64 v43, v66
	s_cbranch_execz .LBB1490_120
; %bb.119:                              ;   in Loop: Header=BB1490_109 Depth=1
	v_and_b32_e32 v68, 0xff, v67
	s_and_not1_b32 s14, s14, exec_lo
	s_delay_alu instid0(VALU_DEP_1) | instskip(SKIP_3) | instid1(VALU_DEP_2)
	v_cmp_eq_u16_e32 vcc_lo, 0, v68
	v_and_b32_e32 v67, 1, v67
	s_wait_dscnt 0x0
	v_dual_cndmask_b32 v71, 0, v70, vcc_lo :: v_dual_bitop2_b32 v68, 1, v71 bitop3:0x40
	v_cmp_eq_u32_e64 s12, 1, v67
	v_cndmask_b32_e32 v70, 0, v69, vcc_lo
	s_delay_alu instid0(VALU_DEP_3) | instskip(NEXT) | instid1(VALU_DEP_2)
	v_cmp_eq_u32_e32 vcc_lo, 1, v68
	v_add_nc_u64_e32 v[10:11], v[70:71], v[10:11]
	s_or_b32 s12, s12, vcc_lo
	s_delay_alu instid0(SALU_CYCLE_1) | instskip(SKIP_2) | instid1(SALU_CYCLE_1)
	v_cndmask_b32_e64 v67, 0, 1, s12
	v_cndmask_b32_e64 v68, 0, 1, s12
	s_and_b32 s12, s12, exec_lo
	s_or_b32 s14, s14, s12
.LBB1490_120:                           ;   in Loop: Header=BB1490_109 Depth=1
	s_or_b32 exec_lo, exec_lo, s15
	s_wait_dscnt 0x2
	ds_bpermute_b32 v69, v61, v10
	s_wait_dscnt 0x2
	ds_bpermute_b32 v70, v61, v11
	;; [unrolled: 2-line block ×3, first 2 shown]
	s_mov_b32 s15, exec_lo
	v_cmpx_le_u32_e64 v62, v66
	s_cbranch_execz .LBB1490_122
; %bb.121:                              ;   in Loop: Header=BB1490_109 Depth=1
	v_and_b32_e32 v68, 0xff, v67
	s_and_not1_b32 s14, s14, exec_lo
	s_delay_alu instid0(VALU_DEP_1) | instskip(SKIP_3) | instid1(VALU_DEP_2)
	v_cmp_eq_u16_e32 vcc_lo, 0, v68
	v_and_b32_e32 v67, 1, v67
	s_wait_dscnt 0x0
	v_dual_cndmask_b32 v71, 0, v70, vcc_lo :: v_dual_bitop2_b32 v68, 1, v71 bitop3:0x40
	v_cmp_eq_u32_e64 s12, 1, v67
	v_cndmask_b32_e32 v70, 0, v69, vcc_lo
	s_delay_alu instid0(VALU_DEP_3) | instskip(NEXT) | instid1(VALU_DEP_2)
	v_cmp_eq_u32_e32 vcc_lo, 1, v68
	v_add_nc_u64_e32 v[10:11], v[70:71], v[10:11]
	s_or_b32 s12, s12, vcc_lo
	s_delay_alu instid0(SALU_CYCLE_1) | instskip(SKIP_2) | instid1(SALU_CYCLE_1)
	v_cndmask_b32_e64 v67, 0, 1, s12
	v_cndmask_b32_e64 v68, 0, 1, s12
	s_and_b32 s12, s12, exec_lo
	s_or_b32 s14, s14, s12
.LBB1490_122:                           ;   in Loop: Header=BB1490_109 Depth=1
	s_or_b32 exec_lo, exec_lo, s15
	s_wait_dscnt 0x2
	ds_bpermute_b32 v69, v63, v10
	s_wait_dscnt 0x2
	ds_bpermute_b32 v70, v63, v11
	ds_bpermute_b32 v68, v63, v68
	s_mov_b32 s15, exec_lo
	v_cmpx_le_u32_e64 v65, v66
	s_cbranch_execz .LBB1490_107
; %bb.123:                              ;   in Loop: Header=BB1490_109 Depth=1
	v_and_b32_e32 v66, 0xff, v67
	s_and_not1_b32 s14, s14, exec_lo
	s_delay_alu instid0(VALU_DEP_1)
	v_cmp_eq_u16_e32 vcc_lo, 0, v66
	s_wait_dscnt 0x3
	v_and_b32_e32 v71, 1, v67
	s_wait_dscnt 0x0
	v_dual_cndmask_b32 v66, 0, v69, vcc_lo :: v_dual_bitop2_b32 v68, 1, v68 bitop3:0x40
	v_cndmask_b32_e32 v67, 0, v70, vcc_lo
	s_delay_alu instid0(VALU_DEP_3) | instskip(NEXT) | instid1(VALU_DEP_3)
	v_cmp_eq_u32_e32 vcc_lo, 1, v71
	v_cmp_eq_u32_e64 s12, 1, v68
	s_delay_alu instid0(VALU_DEP_3) | instskip(SKIP_1) | instid1(SALU_CYCLE_1)
	v_add_nc_u64_e32 v[10:11], v[66:67], v[10:11]
	s_or_b32 s12, vcc_lo, s12
	s_and_b32 s12, s12, exec_lo
	s_delay_alu instid0(SALU_CYCLE_1)
	s_or_b32 s14, s14, s12
	s_branch .LBB1490_107
.LBB1490_124:
	s_or_b32 exec_lo, exec_lo, s12
                                        ; implicit-def: $vgpr12_vgpr13
	s_and_saveexec_b32 s12, s1
	s_cbranch_execz .LBB1490_29
.LBB1490_125:
	flat_load_b64 v[12:13], v0, s[14:15] offset:1024 scale_offset
	s_wait_xcnt 0x0
	s_or_b32 exec_lo, exec_lo, s12
                                        ; implicit-def: $vgpr14_vgpr15
	s_and_saveexec_b32 s1, s4
	s_cbranch_execnz .LBB1490_30
.LBB1490_126:
	s_or_b32 exec_lo, exec_lo, s1
                                        ; implicit-def: $vgpr16_vgpr17
	s_and_saveexec_b32 s1, s5
	s_cbranch_execz .LBB1490_31
.LBB1490_127:
	flat_load_b64 v[16:17], v0, s[14:15] offset:3072 scale_offset
	s_wait_xcnt 0x0
	s_or_b32 exec_lo, exec_lo, s1
                                        ; implicit-def: $vgpr18_vgpr19
	s_and_saveexec_b32 s1, s6
	s_cbranch_execnz .LBB1490_32
.LBB1490_128:
	s_or_b32 exec_lo, exec_lo, s1
                                        ; implicit-def: $vgpr20_vgpr21
	s_and_saveexec_b32 s1, s7
	s_cbranch_execz .LBB1490_33
.LBB1490_129:
	flat_load_b64 v[20:21], v0, s[14:15] offset:5120 scale_offset
	s_wait_xcnt 0x0
	s_or_b32 exec_lo, exec_lo, s1
                                        ; implicit-def: $vgpr22_vgpr23
	s_and_saveexec_b32 s1, s8
	s_cbranch_execnz .LBB1490_34
.LBB1490_130:
	s_or_b32 exec_lo, exec_lo, s1
                                        ; implicit-def: $vgpr24_vgpr25
	s_and_saveexec_b32 s1, s9
	s_cbranch_execz .LBB1490_35
.LBB1490_131:
	flat_load_b64 v[24:25], v0, s[14:15] offset:7168 scale_offset
	s_wait_xcnt 0x0
	s_or_b32 exec_lo, exec_lo, s1
                                        ; implicit-def: $vgpr26_vgpr27
	s_and_saveexec_b32 s1, s10
	s_cbranch_execz .LBB1490_37
	s_branch .LBB1490_36
.LBB1490_132:
                                        ; implicit-def: $vgpr2_vgpr3
                                        ; implicit-def: $vgpr42_vgpr43
                                        ; implicit-def: $vgpr18_vgpr19
                                        ; implicit-def: $vgpr16_vgpr17
                                        ; implicit-def: $vgpr12_vgpr13
                                        ; implicit-def: $vgpr8_vgpr9
	s_cbranch_execnz .LBB1490_140
	s_branch .LBB1490_165
.LBB1490_133:
	s_and_saveexec_b32 s12, s11
	s_cbranch_execz .LBB1490_135
; %bb.134:
	v_and_b32_e32 v6, 0xff, v16
	s_add_co_i32 s14, s33, 32
	s_mov_b32 s15, 0
	v_mov_b32_e32 v11, s14
	v_bitop3_b16 v10, v16, 1, v64 bitop3:0xc8
	v_cmp_eq_u32_e32 vcc_lo, 0, v6
	s_lshl_b64 s[16:17], s[14:15], 4
	s_delay_alu instid0(SALU_CYCLE_1) | instskip(SKIP_1) | instid1(VALU_DEP_1)
	s_add_nc_u64 s[14:15], s[22:23], s[16:17]
	v_dual_cndmask_b32 v7, 0, v9 :: v_dual_cndmask_b32 v6, 0, v8
	v_add_nc_u64_e32 v[2:3], v[6:7], v[2:3]
	v_dual_mov_b32 v6, 0 :: v_dual_mov_b32 v7, 2
	s_clause 0x1
	global_store_b64 v6, v[2:3], s[14:15]
	global_store_b8 v6, v10, s[14:15] offset:8
	global_wb scope:SCOPE_DEV
	s_wait_storecnt_dscnt 0x0
	global_inv scope:SCOPE_DEV
	s_wait_xcnt 0x0
	global_store_b8 v11, v7, s[24:25] scope:SCOPE_DEV
.LBB1490_135:
	s_wait_xcnt 0x0
	s_or_b32 exec_lo, exec_lo, s12
	s_delay_alu instid0(SALU_CYCLE_1)
	s_and_b32 exec_lo, exec_lo, s2
	s_cbranch_execz .LBB1490_137
; %bb.136:
	v_mov_b32_e32 v2, 0
	ds_store_b64 v2, v[8:9] offset:48
	ds_store_b8 v2, v64 offset:56
.LBB1490_137:
	s_or_b32 exec_lo, exec_lo, s13
	v_mov_b32_e32 v2, 0
	s_wait_storecnt 0x0
	s_wait_loadcnt_dscnt 0x0
	s_barrier_signal -1
	s_barrier_wait -1
	ds_load_b64 v[2:3], v2 offset:48
	s_and_saveexec_b32 s12, s3
	s_cbranch_execz .LBB1490_139
; %bb.138:
	v_dual_cndmask_b32 v6, v15, v12, s11 :: v_dual_cndmask_b32 v5, v14, v5, s11
	s_delay_alu instid0(VALU_DEP_1) | instskip(NEXT) | instid1(VALU_DEP_1)
	v_and_b32_e32 v6, 0xff, v6
	v_cmp_eq_u16_e32 vcc_lo, 0, v6
	s_wait_dscnt 0x0
	v_dual_cndmask_b32 v4, v13, v4, s11 :: v_dual_cndmask_b32 v3, 0, v3, vcc_lo
	v_cndmask_b32_e32 v2, 0, v2, vcc_lo
	s_delay_alu instid0(VALU_DEP_1)
	v_add_nc_u64_e32 v[2:3], v[4:5], v[2:3]
.LBB1490_139:
	s_or_b32 exec_lo, exec_lo, s12
	v_and_b32_e32 v4, 0xff, v1
	s_delay_alu instid0(VALU_DEP_1) | instskip(SKIP_1) | instid1(VALU_DEP_3)
	v_cmp_eq_u16_e32 vcc_lo, 0, v4
	s_wait_dscnt 0x0
	v_dual_cndmask_b32 v5, 0, v3 :: v_dual_cndmask_b32 v4, 0, v2
	s_delay_alu instid0(VALU_DEP_1) | instskip(NEXT) | instid1(VALU_DEP_1)
	v_add_nc_u64_e32 v[4:5], v[4:5], v[26:27]
	v_dual_cndmask_b32 v7, 0, v5, s1 :: v_dual_cndmask_b32 v6, 0, v4, s1
	s_delay_alu instid0(VALU_DEP_1) | instskip(NEXT) | instid1(VALU_DEP_1)
	v_add_nc_u64_e32 v[6:7], v[6:7], v[38:39]
	v_dual_cndmask_b32 v9, 0, v7, s4 :: v_dual_cndmask_b32 v8, 0, v6, s4
	;; [unrolled: 3-line block ×8, first 2 shown]
	s_branch .LBB1490_165
.LBB1490_140:
	s_cmp_eq_u64 s[38:39], 0
	v_mov_b64_e32 v[40:41], s[36:37]
	s_cselect_b32 s1, -1, 0
	s_cmp_eq_u64 s[30:31], 0
	s_cselect_b32 s3, -1, 0
	s_delay_alu instid0(SALU_CYCLE_1) | instskip(NEXT) | instid1(SALU_CYCLE_1)
	s_or_b32 s1, s1, s3
	s_and_b32 vcc_lo, exec_lo, s1
	s_cbranch_vccnz .LBB1490_142
; %bb.141:
	v_mov_b32_e32 v2, 0
	global_load_b64 v[40:41], v2, s[30:31]
.LBB1490_142:
	v_cmp_eq_u16_e32 vcc_lo, 0, v60
	v_cmp_eq_u16_e64 s1, 0, v59
	v_cmp_eq_u16_e64 s3, 0, v58
	;; [unrolled: 1-line block ×4, first 2 shown]
	s_wait_xcnt 0x0
	v_dual_cndmask_b32 v3, 0, v27 :: v_dual_cndmask_b32 v2, 0, v26
	v_cmp_eq_u16_e64 s6, 0, v55
	v_cmp_eq_u16_e64 s7, 0, v54
	;; [unrolled: 1-line block ×3, first 2 shown]
	v_cmp_ne_u16_e64 s11, 0, v51
	v_add_nc_u64_e32 v[2:3], v[2:3], v[38:39]
	v_cmp_eq_u32_e64 s12, 1, v46
	v_cmp_ne_u16_e64 s13, 0, v52
	v_cmp_eq_u32_e64 s14, 1, v48
	v_cmp_ne_u16_e64 s9, 0, v49
	v_cmp_eq_u32_e64 s10, 1, v47
	s_or_b32 s12, s11, s12
	v_dual_cndmask_b32 v3, 0, v3, s1 :: v_dual_cndmask_b32 v2, 0, v2, s1
	v_cmp_eq_u16_e64 s11, 0, v50
	s_or_b32 s13, s13, s14
	v_cmp_eq_u32_e64 s15, 1, v45
	s_or_b32 s9, s9, s10
	v_add_nc_u64_e32 v[2:3], v[2:3], v[36:37]
	s_or_b32 s10, s13, s12
	v_and_b32_e32 v4, 15, v44
	s_or_b32 s9, s10, s9
	s_delay_alu instid0(SALU_CYCLE_1) | instskip(NEXT) | instid1(VALU_DEP_2)
	s_or_b32 s10, s9, s15
	v_dual_cndmask_b32 v3, 0, v3, s3 :: v_dual_cndmask_b32 v2, 0, v2, s3
	v_cndmask_b32_e64 v5, 0, 1, s10
	v_cndmask_b32_e64 v6, 0, 1, s10
	s_delay_alu instid0(VALU_DEP_3) | instskip(NEXT) | instid1(VALU_DEP_3)
	v_add_nc_u64_e32 v[2:3], v[2:3], v[34:35]
	v_mov_b32_dpp v7, v5 row_shr:1 row_mask:0xf bank_mask:0xf
	s_delay_alu instid0(VALU_DEP_2) | instskip(NEXT) | instid1(VALU_DEP_1)
	v_dual_cndmask_b32 v3, 0, v3, s4 :: v_dual_cndmask_b32 v2, 0, v2, s4
	v_add_nc_u64_e32 v[2:3], v[2:3], v[30:31]
	s_delay_alu instid0(VALU_DEP_1) | instskip(NEXT) | instid1(VALU_DEP_1)
	v_dual_cndmask_b32 v3, 0, v3, s5 :: v_dual_cndmask_b32 v2, 0, v2, s5
	v_add_nc_u64_e32 v[2:3], v[2:3], v[28:29]
	s_delay_alu instid0(VALU_DEP_1) | instskip(NEXT) | instid1(VALU_DEP_1)
	;; [unrolled: 3-line block ×4, first 2 shown]
	v_dual_cndmask_b32 v3, 0, v3, s8 :: v_dual_cndmask_b32 v2, 0, v2, s8
	v_add_nc_u64_e32 v[2:3], v[2:3], v[20:21]
	s_delay_alu instid0(VALU_DEP_1) | instskip(SKIP_1) | instid1(VALU_DEP_1)
	v_dual_cndmask_b32 v3, 0, v3, s11 :: v_dual_cndmask_b32 v2, 0, v2, s11
	s_mov_b32 s11, exec_lo
	v_add_nc_u64_e32 v[2:3], v[2:3], v[32:33]
	s_delay_alu instid0(VALU_DEP_1) | instskip(NEXT) | instid1(VALU_DEP_2)
	v_mov_b32_dpp v8, v2 row_shr:1 row_mask:0xf bank_mask:0xf
	v_mov_b32_dpp v9, v3 row_shr:1 row_mask:0xf bank_mask:0xf
	v_cmpx_ne_u32_e32 0, v4
; %bb.143:
	s_delay_alu instid0(VALU_DEP_2) | instskip(NEXT) | instid1(VALU_DEP_4)
	v_cndmask_b32_e64 v9, v9, 0, s10
	v_cndmask_b32_e64 v8, v8, 0, s10
	v_bitop3_b16 v6, v7, v6, 1 bitop3:0xec
	s_delay_alu instid0(VALU_DEP_2) | instskip(NEXT) | instid1(VALU_DEP_2)
	v_add_nc_u64_e32 v[2:3], v[8:9], v[2:3]
	v_and_b32_e32 v5, 0xffff, v6
; %bb.144:
	s_or_b32 exec_lo, exec_lo, s11
	s_delay_alu instid0(VALU_DEP_2) | instskip(NEXT) | instid1(VALU_DEP_3)
	v_mov_b32_dpp v7, v2 row_shr:2 row_mask:0xf bank_mask:0xf
	v_mov_b32_dpp v8, v3 row_shr:2 row_mask:0xf bank_mask:0xf
	s_delay_alu instid0(VALU_DEP_3)
	v_mov_b32_dpp v9, v5 row_shr:2 row_mask:0xf bank_mask:0xf
	s_mov_b32 s11, exec_lo
	v_cmpx_lt_u32_e32 1, v4
	s_cbranch_execz .LBB1490_146
; %bb.145:
	v_cmp_eq_u16_e64 s9, 0, v6
	v_and_b32_e32 v5, 1, v6
	s_delay_alu instid0(VALU_DEP_2) | instskip(SKIP_1) | instid1(VALU_DEP_3)
	v_dual_cndmask_b32 v9, 0, v8, s9 :: v_dual_bitop2_b32 v6, 1, v9 bitop3:0x40
	v_cndmask_b32_e64 v8, 0, v7, s9
	v_cmp_eq_u32_e64 s9, 1, v5
	s_delay_alu instid0(VALU_DEP_3) | instskip(NEXT) | instid1(VALU_DEP_3)
	v_cmp_eq_u32_e64 s10, 1, v6
	v_add_nc_u64_e32 v[2:3], v[8:9], v[2:3]
	s_or_b32 s9, s9, s10
	s_delay_alu instid0(SALU_CYCLE_1)
	v_cndmask_b32_e64 v6, 0, 1, s9
	v_cndmask_b32_e64 v5, 0, 1, s9
.LBB1490_146:
	s_or_b32 exec_lo, exec_lo, s11
	s_delay_alu instid0(VALU_DEP_3) | instskip(NEXT) | instid1(VALU_DEP_4)
	v_mov_b32_dpp v7, v2 row_shr:4 row_mask:0xf bank_mask:0xf
	v_mov_b32_dpp v8, v3 row_shr:4 row_mask:0xf bank_mask:0xf
	s_delay_alu instid0(VALU_DEP_3)
	v_mov_b32_dpp v9, v5 row_shr:4 row_mask:0xf bank_mask:0xf
	s_mov_b32 s11, exec_lo
	v_cmpx_lt_u32_e32 3, v4
	s_cbranch_execz .LBB1490_148
; %bb.147:
	v_cmp_eq_u16_e64 s9, 0, v6
	v_and_b32_e32 v5, 1, v6
	s_delay_alu instid0(VALU_DEP_2) | instskip(SKIP_1) | instid1(VALU_DEP_3)
	v_dual_cndmask_b32 v9, 0, v8, s9 :: v_dual_bitop2_b32 v6, 1, v9 bitop3:0x40
	v_cndmask_b32_e64 v8, 0, v7, s9
	v_cmp_eq_u32_e64 s9, 1, v5
	s_delay_alu instid0(VALU_DEP_3) | instskip(NEXT) | instid1(VALU_DEP_3)
	v_cmp_eq_u32_e64 s10, 1, v6
	v_add_nc_u64_e32 v[2:3], v[8:9], v[2:3]
	s_or_b32 s9, s9, s10
	s_delay_alu instid0(SALU_CYCLE_1)
	v_cndmask_b32_e64 v6, 0, 1, s9
	v_cndmask_b32_e64 v5, 0, 1, s9
.LBB1490_148:
	s_or_b32 exec_lo, exec_lo, s11
	s_delay_alu instid0(VALU_DEP_3) | instskip(NEXT) | instid1(VALU_DEP_4)
	v_mov_b32_dpp v7, v2 row_shr:8 row_mask:0xf bank_mask:0xf
	v_mov_b32_dpp v8, v3 row_shr:8 row_mask:0xf bank_mask:0xf
	s_delay_alu instid0(VALU_DEP_3)
	v_mov_b32_dpp v9, v5 row_shr:8 row_mask:0xf bank_mask:0xf
	s_mov_b32 s11, exec_lo
	v_cmpx_lt_u32_e32 7, v4
	s_cbranch_execz .LBB1490_150
; %bb.149:
	v_cmp_eq_u16_e64 s9, 0, v6
	v_and_b32_e32 v6, 1, v6
	s_delay_alu instid0(VALU_DEP_2) | instskip(SKIP_1) | instid1(VALU_DEP_3)
	v_dual_cndmask_b32 v4, 0, v7, s9 :: v_dual_bitop2_b32 v9, 1, v9 bitop3:0x40
	v_cndmask_b32_e64 v5, 0, v8, s9
	v_cmp_eq_u32_e64 s9, 1, v6
	s_delay_alu instid0(VALU_DEP_3) | instskip(NEXT) | instid1(VALU_DEP_3)
	v_cmp_eq_u32_e64 s10, 1, v9
	v_add_nc_u64_e32 v[2:3], v[4:5], v[2:3]
	s_or_b32 s9, s9, s10
	s_delay_alu instid0(SALU_CYCLE_1)
	v_cndmask_b32_e64 v6, 0, 1, s9
	v_cndmask_b32_e64 v5, 0, 1, s9
.LBB1490_150:
	s_or_b32 exec_lo, exec_lo, s11
	ds_swizzle_b32 v4, v2 offset:swizzle(BROADCAST,32,15)
	ds_swizzle_b32 v7, v3 offset:swizzle(BROADCAST,32,15)
	;; [unrolled: 1-line block ×3, first 2 shown]
	v_and_b32_e32 v8, 16, v44
	s_mov_b32 s11, exec_lo
	s_delay_alu instid0(VALU_DEP_1)
	v_cmpx_ne_u32_e32 0, v8
	s_cbranch_execz .LBB1490_152
; %bb.151:
	v_cmp_eq_u16_e64 s9, 0, v6
	v_and_b32_e32 v6, 1, v6
	s_wait_dscnt 0x0
	s_delay_alu instid0(VALU_DEP_2) | instskip(SKIP_1) | instid1(VALU_DEP_3)
	v_dual_cndmask_b32 v4, 0, v4, s9 :: v_dual_bitop2_b32 v8, 1, v5 bitop3:0x40
	v_cndmask_b32_e64 v5, 0, v7, s9
	v_cmp_eq_u32_e64 s9, 1, v6
	s_delay_alu instid0(VALU_DEP_3) | instskip(NEXT) | instid1(VALU_DEP_3)
	v_cmp_eq_u32_e64 s10, 1, v8
	v_add_nc_u64_e32 v[2:3], v[4:5], v[2:3]
	s_or_b32 s9, s9, s10
	s_delay_alu instid0(SALU_CYCLE_1)
	v_cndmask_b32_e64 v6, 0, 1, s9
.LBB1490_152:
	s_or_b32 exec_lo, exec_lo, s11
	s_wait_dscnt 0x0
	v_dual_lshrrev_b32 v5, 5, v0 :: v_dual_bitop2_b32 v4, 31, v0 bitop3:0x54
	s_mov_b32 s10, exec_lo
	s_delay_alu instid0(VALU_DEP_1) | instskip(NEXT) | instid1(VALU_DEP_2)
	v_lshlrev_b32_e32 v7, 4, v5
	v_cmpx_eq_u32_e64 v0, v4
	s_cbranch_execz .LBB1490_154
; %bb.153:
	ds_store_b64 v7, v[2:3]
	ds_store_b8 v7, v6 offset:8
.LBB1490_154:
	s_or_b32 exec_lo, exec_lo, s10
	s_delay_alu instid0(SALU_CYCLE_1)
	s_mov_b32 s11, exec_lo
	s_wait_loadcnt_dscnt 0x0
	s_barrier_signal -1
	s_barrier_wait -1
	v_cmpx_gt_u32_e32 4, v0
	s_cbranch_execz .LBB1490_160
; %bb.155:
	v_lshlrev_b32_e32 v8, 4, v0
	s_mov_b32 s10, exec_lo
	ds_load_b64 v[4:5], v8
	ds_load_b32 v9, v8 offset:8
	v_and_b32_e32 v10, 3, v44
	s_wait_dscnt 0x1
	v_mov_b32_dpp v14, v4 row_shr:1 row_mask:0xf bank_mask:0xf
	v_mov_b32_dpp v15, v5 row_shr:1 row_mask:0xf bank_mask:0xf
	s_wait_dscnt 0x0
	v_mov_b32_dpp v13, v9 row_shr:1 row_mask:0xf bank_mask:0xf
	v_dual_mov_b32 v12, v9 :: v_dual_mov_b32 v11, v9
	v_cmpx_ne_u32_e32 0, v10
	s_cbranch_execz .LBB1490_157
; %bb.156:
	v_and_b32_e32 v11, 0xff, v9
	v_or_b32_e32 v12, v13, v9
	s_delay_alu instid0(VALU_DEP_2) | instskip(SKIP_1) | instid1(VALU_DEP_2)
	v_cmp_eq_u16_e64 s9, 0, v11
	v_bitop3_b32 v11, v13, 1, v9 bitop3:0xc8
	v_dual_cndmask_b32 v15, 0, v15, s9 :: v_dual_bitop2_b32 v12, 1, v12 bitop3:0x40
	v_cndmask_b32_e64 v14, 0, v14, s9
	s_delay_alu instid0(VALU_DEP_3) | instskip(NEXT) | instid1(VALU_DEP_2)
	v_and_or_b32 v9, 0xffffff00, v9, v11
	v_add_nc_u64_e32 v[4:5], v[14:15], v[4:5]
.LBB1490_157:
	s_or_b32 exec_lo, exec_lo, s10
	s_delay_alu instid0(VALU_DEP_1) | instskip(NEXT) | instid1(VALU_DEP_2)
	v_mov_b32_dpp v13, v4 row_shr:2 row_mask:0xf bank_mask:0xf
	v_mov_b32_dpp v14, v5 row_shr:2 row_mask:0xf bank_mask:0xf
	;; [unrolled: 1-line block ×3, first 2 shown]
	s_mov_b32 s12, exec_lo
	v_cmpx_lt_u32_e32 1, v10
	s_cbranch_execz .LBB1490_159
; %bb.158:
	v_and_b32_e32 v10, 0xff, v11
	v_and_b32_e32 v9, 1, v9
	s_delay_alu instid0(VALU_DEP_2) | instskip(SKIP_1) | instid1(VALU_DEP_3)
	v_cmp_eq_u16_e64 s9, 0, v10
	v_and_b32_e32 v12, 1, v11
	v_cmp_eq_u32_e64 s10, 1, v9
	s_delay_alu instid0(VALU_DEP_3) | instskip(NEXT) | instid1(VALU_DEP_3)
	v_dual_cndmask_b32 v11, 0, v14, s9 :: v_dual_cndmask_b32 v10, 0, v13, s9
	v_cmp_eq_u32_e64 s9, 1, v12
	s_delay_alu instid0(VALU_DEP_2) | instskip(SKIP_1) | instid1(SALU_CYCLE_1)
	v_add_nc_u64_e32 v[4:5], v[10:11], v[4:5]
	s_or_b32 s9, s9, s10
	v_cndmask_b32_e64 v12, 0, 1, s9
.LBB1490_159:
	s_or_b32 exec_lo, exec_lo, s12
	ds_store_b64 v8, v[4:5]
	ds_store_b8 v8, v12 offset:8
.LBB1490_160:
	s_or_b32 exec_lo, exec_lo, s11
	v_mov_b64_e32 v[4:5], v[40:41]
	s_mov_b32 s10, exec_lo
	s_wait_dscnt 0x0
	s_barrier_signal -1
	s_barrier_wait -1
	v_cmpx_lt_u32_e32 31, v0
	s_cbranch_execz .LBB1490_162
; %bb.161:
	v_add_nc_u32_e32 v4, -8, v7
	ds_load_u8 v8, v4
	s_wait_dscnt 0x0
	v_cmp_eq_u16_e64 s9, 0, v8
	s_delay_alu instid0(VALU_DEP_1) | instskip(SKIP_3) | instid1(VALU_DEP_1)
	v_dual_add_nc_u32 v4, -16, v7 :: v_dual_cndmask_b32 v8, 0, v40, s9
	ds_load_b64 v[4:5], v4
	v_cndmask_b32_e64 v9, 0, v41, s9
	s_wait_dscnt 0x0
	v_add_nc_u64_e32 v[4:5], v[8:9], v[4:5]
.LBB1490_162:
	s_or_b32 exec_lo, exec_lo, s10
	v_cmp_eq_u16_e64 s9, 0, v6
	v_sub_co_u32 v8, s10, v44, 1
	v_and_b32_e32 v1, 0xff, v1
	s_delay_alu instid0(VALU_DEP_3) | instskip(NEXT) | instid1(VALU_DEP_3)
	v_dual_cndmask_b32 v7, 0, v5, s9 :: v_dual_cndmask_b32 v6, 0, v4, s9
	v_cmp_gt_i32_e64 s9, 0, v8
	s_delay_alu instid0(VALU_DEP_2) | instskip(NEXT) | instid1(VALU_DEP_2)
	v_add_nc_u64_e32 v[2:3], v[6:7], v[2:3]
	v_cndmask_b32_e64 v8, v8, v44, s9
	v_cmp_eq_u16_e64 s9, 0, v1
	s_delay_alu instid0(VALU_DEP_2) | instskip(SKIP_3) | instid1(VALU_DEP_1)
	v_lshlrev_b32_e32 v6, 2, v8
	ds_bpermute_b32 v3, v6, v3
	s_wait_dscnt 0x0
	v_cndmask_b32_e64 v3, v3, v5, s10
	v_cndmask_b32_e64 v5, v3, v41, s2
	ds_bpermute_b32 v2, v6, v2
	s_wait_dscnt 0x0
	v_dual_cndmask_b32 v5, 0, v5, s9 :: v_dual_cndmask_b32 v2, v2, v4, s10
	s_delay_alu instid0(VALU_DEP_1) | instskip(NEXT) | instid1(VALU_DEP_1)
	v_cndmask_b32_e64 v4, v2, v40, s2
	v_cndmask_b32_e64 v4, 0, v4, s9
	s_delay_alu instid0(VALU_DEP_1) | instskip(NEXT) | instid1(VALU_DEP_1)
	v_add_nc_u64_e32 v[4:5], v[4:5], v[26:27]
	v_dual_cndmask_b32 v7, 0, v5 :: v_dual_cndmask_b32 v6, 0, v4
	s_delay_alu instid0(VALU_DEP_1) | instskip(NEXT) | instid1(VALU_DEP_1)
	v_add_nc_u64_e32 v[6:7], v[6:7], v[38:39]
	v_dual_cndmask_b32 v9, 0, v7, s1 :: v_dual_cndmask_b32 v8, 0, v6, s1
	s_delay_alu instid0(VALU_DEP_1) | instskip(NEXT) | instid1(VALU_DEP_1)
	v_add_nc_u64_e32 v[8:9], v[8:9], v[36:37]
	v_dual_cndmask_b32 v11, 0, v9, s3 :: v_dual_cndmask_b32 v10, 0, v8, s3
	;; [unrolled: 3-line block ×7, first 2 shown]
	s_and_saveexec_b32 s1, s2
	s_cbranch_execz .LBB1490_164
; %bb.163:
	v_mov_b32_e32 v1, 0
	ds_load_u8 v24, v1 offset:56
	ds_load_b64 v[2:3], v1 offset:48
	v_mov_b32_e32 v25, 2
	s_wait_dscnt 0x1
	v_and_b32_e32 v22, 0xffff, v24
	s_delay_alu instid0(VALU_DEP_1) | instskip(SKIP_2) | instid1(VALU_DEP_1)
	v_cmp_eq_u32_e32 vcc_lo, 0, v22
	v_dual_cndmask_b32 v23, 0, v41 :: v_dual_cndmask_b32 v22, 0, v40
	s_wait_dscnt 0x0
	v_add_nc_u64_e32 v[22:23], v[22:23], v[2:3]
	v_mov_b64_e32 v[2:3], v[40:41]
	s_clause 0x1
	global_store_b64 v1, v[22:23], s[22:23] offset:512
	global_store_b8 v1, v24, s[22:23] offset:520
	global_wb scope:SCOPE_DEV
	s_wait_storecnt 0x0
	global_inv scope:SCOPE_DEV
	s_wait_xcnt 0x0
	global_store_b8 v1, v25, s[24:25] offset:32 scope:SCOPE_DEV
.LBB1490_164:
	s_wait_xcnt 0x0
	s_or_b32 exec_lo, exec_lo, s1
.LBB1490_165:
	s_delay_alu instid0(VALU_DEP_1)
	v_add_nc_u64_e32 v[20:21], v[42:43], v[20:21]
	s_add_nc_u64 s[2:3], s[18:19], s[34:35]
	s_and_b32 vcc_lo, exec_lo, s0
	s_add_nc_u64 s[0:1], s[2:3], s[28:29]
	s_cbranch_vccz .LBB1490_197
; %bb.166:
	v_mul_u32_u24_e32 v1, 10, v0
	s_add_co_i32 s27, s27, s26
	s_mov_b32 s2, exec_lo
	s_delay_alu instid0(VALU_DEP_1)
	v_cmpx_gt_u32_e64 s27, v1
	s_cbranch_execz .LBB1490_178
; %bb.167:
	v_or_b32_e32 v22, 1, v1
	s_mov_b32 s3, exec_lo
	s_delay_alu instid0(VALU_DEP_1)
	v_cmpx_gt_u32_e64 s27, v22
	s_cbranch_execz .LBB1490_177
; %bb.168:
	v_add_nc_u32_e32 v22, 2, v1
	s_mov_b32 s4, exec_lo
	s_delay_alu instid0(VALU_DEP_1)
	v_cmpx_gt_u32_e64 s27, v22
	s_cbranch_execz .LBB1490_176
; %bb.169:
	v_add_nc_u32_e32 v22, 3, v1
	;; [unrolled: 6-line block ×4, first 2 shown]
	s_mov_b32 s7, exec_lo
	s_delay_alu instid0(VALU_DEP_1)
	v_cmpx_gt_u32_e64 s27, v22
; %bb.172:
	v_add_nc_u32_e32 v22, 6, v1
	s_mov_b32 s8, exec_lo
	s_delay_alu instid0(VALU_DEP_1)
	v_cmpx_gt_u32_e64 s27, v22
	s_or_b32 exec_lo, exec_lo, s8
; %bb.173:
	s_delay_alu instid0(SALU_CYCLE_1)
	s_or_b32 exec_lo, exec_lo, s7
.LBB1490_174:
	s_delay_alu instid0(SALU_CYCLE_1)
	s_or_b32 exec_lo, exec_lo, s6
.LBB1490_175:
	s_delay_alu instid0(SALU_CYCLE_1)
	s_or_b32 exec_lo, exec_lo, s5
.LBB1490_176:
	s_delay_alu instid0(SALU_CYCLE_1)
	s_or_b32 exec_lo, exec_lo, s4
.LBB1490_177:
	s_delay_alu instid0(SALU_CYCLE_1)
	s_or_b32 exec_lo, exec_lo, s3
.LBB1490_178:
	s_delay_alu instid0(SALU_CYCLE_1)
	s_or_b32 exec_lo, exec_lo, s2
	v_dual_lshlrev_b32 v1, 3, v1 :: v_dual_mov_b32 v41, 0
	s_wait_loadcnt 0x0
	s_wait_storecnt 0x0
	s_barrier_signal -1
	s_barrier_wait -1
	v_mad_i32_i24 v22, 0xffffffb8, v0, v1
	ds_store_b128 v1, v[2:5]
	ds_store_b128 v1, v[6:9] offset:16
	ds_store_b128 v1, v[10:13] offset:32
	;; [unrolled: 1-line block ×4, first 2 shown]
	s_wait_dscnt 0x0
	s_barrier_signal -1
	s_barrier_wait -1
	ds_load_2addr_stride64_b64 v[36:39], v22 offset0:2 offset1:4
	ds_load_2addr_stride64_b64 v[32:35], v22 offset0:6 offset1:8
	;; [unrolled: 1-line block ×4, first 2 shown]
	ds_load_b64 v[22:23], v22 offset:9216
	v_lshlrev_b32_e32 v40, 3, v0
	s_mov_b32 s2, exec_lo
	s_delay_alu instid0(VALU_DEP_1)
	v_add_nc_u64_e32 v[40:41], s[0:1], v[40:41]
	v_cmpx_gt_u32_e64 s27, v0
	s_cbranch_execz .LBB1490_180
; %bb.179:
	v_mul_i32_i24_e32 v42, 0xffffffb8, v0
	s_delay_alu instid0(VALU_DEP_1)
	v_add_nc_u32_e32 v1, v1, v42
	ds_load_b64 v[42:43], v1
	s_wait_dscnt 0x0
	flat_store_b64 v[40:41], v[42:43]
.LBB1490_180:
	s_wait_xcnt 0x0
	s_or_b32 exec_lo, exec_lo, s2
	v_or_b32_e32 v1, 0x80, v0
	s_mov_b32 s2, exec_lo
	s_delay_alu instid0(VALU_DEP_1)
	v_cmpx_gt_u32_e64 s27, v1
	s_cbranch_execz .LBB1490_182
; %bb.181:
	s_wait_dscnt 0x4
	flat_store_b64 v[40:41], v[36:37] offset:1024
.LBB1490_182:
	s_wait_xcnt 0x0
	s_or_b32 exec_lo, exec_lo, s2
	v_or_b32_e32 v1, 0x100, v0
	s_mov_b32 s2, exec_lo
	s_delay_alu instid0(VALU_DEP_1)
	v_cmpx_gt_u32_e64 s27, v1
	s_cbranch_execz .LBB1490_184
; %bb.183:
	s_wait_dscnt 0x4
	flat_store_b64 v[40:41], v[38:39] offset:2048
.LBB1490_184:
	;; [unrolled: 11-line block ×8, first 2 shown]
	s_wait_xcnt 0x0
	s_or_b32 exec_lo, exec_lo, s2
	v_or_b32_e32 v1, 0x480, v0
	s_delay_alu instid0(VALU_DEP_1)
	v_cmp_gt_u32_e64 s2, s27, v1
	s_branch .LBB1490_199
.LBB1490_197:
	s_mov_b32 s2, 0
                                        ; implicit-def: $vgpr22_vgpr23
	s_cbranch_execz .LBB1490_199
; %bb.198:
	v_mul_u32_u24_e32 v1, 0x50, v0
	s_wait_dscnt 0x0
	v_mul_i32_i24_e32 v22, 0xffffffb8, v0
	s_wait_loadcnt 0x0
	s_wait_storecnt 0x0
	s_barrier_signal -1
	s_barrier_wait -1
	ds_store_b128 v1, v[2:5]
	ds_store_b128 v1, v[6:9] offset:16
	ds_store_b128 v1, v[10:13] offset:32
	;; [unrolled: 1-line block ×4, first 2 shown]
	v_mad_u32_u24 v1, 0x50, v0, v22
	s_wait_dscnt 0x0
	s_barrier_signal -1
	s_barrier_wait -1
	ds_load_2addr_stride64_b64 v[2:5], v1 offset1:2
	ds_load_2addr_stride64_b64 v[6:9], v1 offset0:4 offset1:6
	ds_load_2addr_stride64_b64 v[10:13], v1 offset0:8 offset1:10
	;; [unrolled: 1-line block ×4, first 2 shown]
	s_or_b32 s2, s2, exec_lo
	s_wait_dscnt 0x4
	s_clause 0x1
	flat_store_b64 v0, v[2:3], s[0:1] scale_offset
	flat_store_b64 v0, v[4:5], s[0:1] offset:1024 scale_offset
	s_wait_dscnt 0x5
	s_clause 0x1
	flat_store_b64 v0, v[6:7], s[0:1] offset:2048 scale_offset
	flat_store_b64 v0, v[8:9], s[0:1] offset:3072 scale_offset
	s_wait_dscnt 0x6
	s_clause 0x1
	flat_store_b64 v0, v[10:11], s[0:1] offset:4096 scale_offset
	;; [unrolled: 4-line block ×3, first 2 shown]
	flat_store_b64 v0, v[16:17], s[0:1] offset:7168 scale_offset
	s_wait_dscnt 0x8
	flat_store_b64 v0, v[20:21], s[0:1] offset:8192 scale_offset
.LBB1490_199:
	s_wait_xcnt 0x0
	s_delay_alu instid0(VALU_DEP_1)
	s_and_saveexec_b32 s3, s2
	s_cbranch_execz .LBB1490_201
; %bb.200:
	s_wait_dscnt 0x0
	flat_store_b64 v0, v[22:23], s[0:1] offset:9216 scale_offset
	s_sendmsg sendmsg(MSG_DEALLOC_VGPRS)
	s_endpgm
.LBB1490_201:
	s_sendmsg sendmsg(MSG_DEALLOC_VGPRS)
	s_endpgm
	.section	.rodata,"a",@progbits
	.p2align	6, 0x0
	.amdhsa_kernel _ZN7rocprim17ROCPRIM_400000_NS6detail17trampoline_kernelINS0_14default_configENS1_27scan_by_key_config_selectorIiyEEZZNS1_16scan_by_key_implILNS1_25lookback_scan_determinismE0ELb1ES3_N6thrust23THRUST_200600_302600_NS6detail15normal_iteratorINS9_10device_ptrIiEEEENSB_INSC_IyEEEESG_yNS9_4plusIvEENS9_8equal_toIvEEyEE10hipError_tPvRmT2_T3_T4_T5_mT6_T7_P12ihipStream_tbENKUlT_T0_E_clISt17integral_constantIbLb0EES10_IbLb1EEEEDaSW_SX_EUlSW_E_NS1_11comp_targetILNS1_3genE0ELNS1_11target_archE4294967295ELNS1_3gpuE0ELNS1_3repE0EEENS1_30default_config_static_selectorELNS0_4arch9wavefront6targetE0EEEvT1_
		.amdhsa_group_segment_fixed_size 10240
		.amdhsa_private_segment_fixed_size 0
		.amdhsa_kernarg_size 136
		.amdhsa_user_sgpr_count 2
		.amdhsa_user_sgpr_dispatch_ptr 0
		.amdhsa_user_sgpr_queue_ptr 0
		.amdhsa_user_sgpr_kernarg_segment_ptr 1
		.amdhsa_user_sgpr_dispatch_id 0
		.amdhsa_user_sgpr_kernarg_preload_length 0
		.amdhsa_user_sgpr_kernarg_preload_offset 0
		.amdhsa_user_sgpr_private_segment_size 0
		.amdhsa_wavefront_size32 1
		.amdhsa_uses_dynamic_stack 0
		.amdhsa_enable_private_segment 0
		.amdhsa_system_sgpr_workgroup_id_x 1
		.amdhsa_system_sgpr_workgroup_id_y 0
		.amdhsa_system_sgpr_workgroup_id_z 0
		.amdhsa_system_sgpr_workgroup_info 0
		.amdhsa_system_vgpr_workitem_id 0
		.amdhsa_next_free_vgpr 73
		.amdhsa_next_free_sgpr 51
		.amdhsa_named_barrier_count 0
		.amdhsa_reserve_vcc 1
		.amdhsa_float_round_mode_32 0
		.amdhsa_float_round_mode_16_64 0
		.amdhsa_float_denorm_mode_32 3
		.amdhsa_float_denorm_mode_16_64 3
		.amdhsa_fp16_overflow 0
		.amdhsa_memory_ordered 1
		.amdhsa_forward_progress 1
		.amdhsa_inst_pref_size 92
		.amdhsa_round_robin_scheduling 0
		.amdhsa_exception_fp_ieee_invalid_op 0
		.amdhsa_exception_fp_denorm_src 0
		.amdhsa_exception_fp_ieee_div_zero 0
		.amdhsa_exception_fp_ieee_overflow 0
		.amdhsa_exception_fp_ieee_underflow 0
		.amdhsa_exception_fp_ieee_inexact 0
		.amdhsa_exception_int_div_zero 0
	.end_amdhsa_kernel
	.section	.text._ZN7rocprim17ROCPRIM_400000_NS6detail17trampoline_kernelINS0_14default_configENS1_27scan_by_key_config_selectorIiyEEZZNS1_16scan_by_key_implILNS1_25lookback_scan_determinismE0ELb1ES3_N6thrust23THRUST_200600_302600_NS6detail15normal_iteratorINS9_10device_ptrIiEEEENSB_INSC_IyEEEESG_yNS9_4plusIvEENS9_8equal_toIvEEyEE10hipError_tPvRmT2_T3_T4_T5_mT6_T7_P12ihipStream_tbENKUlT_T0_E_clISt17integral_constantIbLb0EES10_IbLb1EEEEDaSW_SX_EUlSW_E_NS1_11comp_targetILNS1_3genE0ELNS1_11target_archE4294967295ELNS1_3gpuE0ELNS1_3repE0EEENS1_30default_config_static_selectorELNS0_4arch9wavefront6targetE0EEEvT1_,"axG",@progbits,_ZN7rocprim17ROCPRIM_400000_NS6detail17trampoline_kernelINS0_14default_configENS1_27scan_by_key_config_selectorIiyEEZZNS1_16scan_by_key_implILNS1_25lookback_scan_determinismE0ELb1ES3_N6thrust23THRUST_200600_302600_NS6detail15normal_iteratorINS9_10device_ptrIiEEEENSB_INSC_IyEEEESG_yNS9_4plusIvEENS9_8equal_toIvEEyEE10hipError_tPvRmT2_T3_T4_T5_mT6_T7_P12ihipStream_tbENKUlT_T0_E_clISt17integral_constantIbLb0EES10_IbLb1EEEEDaSW_SX_EUlSW_E_NS1_11comp_targetILNS1_3genE0ELNS1_11target_archE4294967295ELNS1_3gpuE0ELNS1_3repE0EEENS1_30default_config_static_selectorELNS0_4arch9wavefront6targetE0EEEvT1_,comdat
.Lfunc_end1490:
	.size	_ZN7rocprim17ROCPRIM_400000_NS6detail17trampoline_kernelINS0_14default_configENS1_27scan_by_key_config_selectorIiyEEZZNS1_16scan_by_key_implILNS1_25lookback_scan_determinismE0ELb1ES3_N6thrust23THRUST_200600_302600_NS6detail15normal_iteratorINS9_10device_ptrIiEEEENSB_INSC_IyEEEESG_yNS9_4plusIvEENS9_8equal_toIvEEyEE10hipError_tPvRmT2_T3_T4_T5_mT6_T7_P12ihipStream_tbENKUlT_T0_E_clISt17integral_constantIbLb0EES10_IbLb1EEEEDaSW_SX_EUlSW_E_NS1_11comp_targetILNS1_3genE0ELNS1_11target_archE4294967295ELNS1_3gpuE0ELNS1_3repE0EEENS1_30default_config_static_selectorELNS0_4arch9wavefront6targetE0EEEvT1_, .Lfunc_end1490-_ZN7rocprim17ROCPRIM_400000_NS6detail17trampoline_kernelINS0_14default_configENS1_27scan_by_key_config_selectorIiyEEZZNS1_16scan_by_key_implILNS1_25lookback_scan_determinismE0ELb1ES3_N6thrust23THRUST_200600_302600_NS6detail15normal_iteratorINS9_10device_ptrIiEEEENSB_INSC_IyEEEESG_yNS9_4plusIvEENS9_8equal_toIvEEyEE10hipError_tPvRmT2_T3_T4_T5_mT6_T7_P12ihipStream_tbENKUlT_T0_E_clISt17integral_constantIbLb0EES10_IbLb1EEEEDaSW_SX_EUlSW_E_NS1_11comp_targetILNS1_3genE0ELNS1_11target_archE4294967295ELNS1_3gpuE0ELNS1_3repE0EEENS1_30default_config_static_selectorELNS0_4arch9wavefront6targetE0EEEvT1_
                                        ; -- End function
	.set _ZN7rocprim17ROCPRIM_400000_NS6detail17trampoline_kernelINS0_14default_configENS1_27scan_by_key_config_selectorIiyEEZZNS1_16scan_by_key_implILNS1_25lookback_scan_determinismE0ELb1ES3_N6thrust23THRUST_200600_302600_NS6detail15normal_iteratorINS9_10device_ptrIiEEEENSB_INSC_IyEEEESG_yNS9_4plusIvEENS9_8equal_toIvEEyEE10hipError_tPvRmT2_T3_T4_T5_mT6_T7_P12ihipStream_tbENKUlT_T0_E_clISt17integral_constantIbLb0EES10_IbLb1EEEEDaSW_SX_EUlSW_E_NS1_11comp_targetILNS1_3genE0ELNS1_11target_archE4294967295ELNS1_3gpuE0ELNS1_3repE0EEENS1_30default_config_static_selectorELNS0_4arch9wavefront6targetE0EEEvT1_.num_vgpr, 73
	.set _ZN7rocprim17ROCPRIM_400000_NS6detail17trampoline_kernelINS0_14default_configENS1_27scan_by_key_config_selectorIiyEEZZNS1_16scan_by_key_implILNS1_25lookback_scan_determinismE0ELb1ES3_N6thrust23THRUST_200600_302600_NS6detail15normal_iteratorINS9_10device_ptrIiEEEENSB_INSC_IyEEEESG_yNS9_4plusIvEENS9_8equal_toIvEEyEE10hipError_tPvRmT2_T3_T4_T5_mT6_T7_P12ihipStream_tbENKUlT_T0_E_clISt17integral_constantIbLb0EES10_IbLb1EEEEDaSW_SX_EUlSW_E_NS1_11comp_targetILNS1_3genE0ELNS1_11target_archE4294967295ELNS1_3gpuE0ELNS1_3repE0EEENS1_30default_config_static_selectorELNS0_4arch9wavefront6targetE0EEEvT1_.num_agpr, 0
	.set _ZN7rocprim17ROCPRIM_400000_NS6detail17trampoline_kernelINS0_14default_configENS1_27scan_by_key_config_selectorIiyEEZZNS1_16scan_by_key_implILNS1_25lookback_scan_determinismE0ELb1ES3_N6thrust23THRUST_200600_302600_NS6detail15normal_iteratorINS9_10device_ptrIiEEEENSB_INSC_IyEEEESG_yNS9_4plusIvEENS9_8equal_toIvEEyEE10hipError_tPvRmT2_T3_T4_T5_mT6_T7_P12ihipStream_tbENKUlT_T0_E_clISt17integral_constantIbLb0EES10_IbLb1EEEEDaSW_SX_EUlSW_E_NS1_11comp_targetILNS1_3genE0ELNS1_11target_archE4294967295ELNS1_3gpuE0ELNS1_3repE0EEENS1_30default_config_static_selectorELNS0_4arch9wavefront6targetE0EEEvT1_.numbered_sgpr, 51
	.set _ZN7rocprim17ROCPRIM_400000_NS6detail17trampoline_kernelINS0_14default_configENS1_27scan_by_key_config_selectorIiyEEZZNS1_16scan_by_key_implILNS1_25lookback_scan_determinismE0ELb1ES3_N6thrust23THRUST_200600_302600_NS6detail15normal_iteratorINS9_10device_ptrIiEEEENSB_INSC_IyEEEESG_yNS9_4plusIvEENS9_8equal_toIvEEyEE10hipError_tPvRmT2_T3_T4_T5_mT6_T7_P12ihipStream_tbENKUlT_T0_E_clISt17integral_constantIbLb0EES10_IbLb1EEEEDaSW_SX_EUlSW_E_NS1_11comp_targetILNS1_3genE0ELNS1_11target_archE4294967295ELNS1_3gpuE0ELNS1_3repE0EEENS1_30default_config_static_selectorELNS0_4arch9wavefront6targetE0EEEvT1_.num_named_barrier, 0
	.set _ZN7rocprim17ROCPRIM_400000_NS6detail17trampoline_kernelINS0_14default_configENS1_27scan_by_key_config_selectorIiyEEZZNS1_16scan_by_key_implILNS1_25lookback_scan_determinismE0ELb1ES3_N6thrust23THRUST_200600_302600_NS6detail15normal_iteratorINS9_10device_ptrIiEEEENSB_INSC_IyEEEESG_yNS9_4plusIvEENS9_8equal_toIvEEyEE10hipError_tPvRmT2_T3_T4_T5_mT6_T7_P12ihipStream_tbENKUlT_T0_E_clISt17integral_constantIbLb0EES10_IbLb1EEEEDaSW_SX_EUlSW_E_NS1_11comp_targetILNS1_3genE0ELNS1_11target_archE4294967295ELNS1_3gpuE0ELNS1_3repE0EEENS1_30default_config_static_selectorELNS0_4arch9wavefront6targetE0EEEvT1_.private_seg_size, 0
	.set _ZN7rocprim17ROCPRIM_400000_NS6detail17trampoline_kernelINS0_14default_configENS1_27scan_by_key_config_selectorIiyEEZZNS1_16scan_by_key_implILNS1_25lookback_scan_determinismE0ELb1ES3_N6thrust23THRUST_200600_302600_NS6detail15normal_iteratorINS9_10device_ptrIiEEEENSB_INSC_IyEEEESG_yNS9_4plusIvEENS9_8equal_toIvEEyEE10hipError_tPvRmT2_T3_T4_T5_mT6_T7_P12ihipStream_tbENKUlT_T0_E_clISt17integral_constantIbLb0EES10_IbLb1EEEEDaSW_SX_EUlSW_E_NS1_11comp_targetILNS1_3genE0ELNS1_11target_archE4294967295ELNS1_3gpuE0ELNS1_3repE0EEENS1_30default_config_static_selectorELNS0_4arch9wavefront6targetE0EEEvT1_.uses_vcc, 1
	.set _ZN7rocprim17ROCPRIM_400000_NS6detail17trampoline_kernelINS0_14default_configENS1_27scan_by_key_config_selectorIiyEEZZNS1_16scan_by_key_implILNS1_25lookback_scan_determinismE0ELb1ES3_N6thrust23THRUST_200600_302600_NS6detail15normal_iteratorINS9_10device_ptrIiEEEENSB_INSC_IyEEEESG_yNS9_4plusIvEENS9_8equal_toIvEEyEE10hipError_tPvRmT2_T3_T4_T5_mT6_T7_P12ihipStream_tbENKUlT_T0_E_clISt17integral_constantIbLb0EES10_IbLb1EEEEDaSW_SX_EUlSW_E_NS1_11comp_targetILNS1_3genE0ELNS1_11target_archE4294967295ELNS1_3gpuE0ELNS1_3repE0EEENS1_30default_config_static_selectorELNS0_4arch9wavefront6targetE0EEEvT1_.uses_flat_scratch, 1
	.set _ZN7rocprim17ROCPRIM_400000_NS6detail17trampoline_kernelINS0_14default_configENS1_27scan_by_key_config_selectorIiyEEZZNS1_16scan_by_key_implILNS1_25lookback_scan_determinismE0ELb1ES3_N6thrust23THRUST_200600_302600_NS6detail15normal_iteratorINS9_10device_ptrIiEEEENSB_INSC_IyEEEESG_yNS9_4plusIvEENS9_8equal_toIvEEyEE10hipError_tPvRmT2_T3_T4_T5_mT6_T7_P12ihipStream_tbENKUlT_T0_E_clISt17integral_constantIbLb0EES10_IbLb1EEEEDaSW_SX_EUlSW_E_NS1_11comp_targetILNS1_3genE0ELNS1_11target_archE4294967295ELNS1_3gpuE0ELNS1_3repE0EEENS1_30default_config_static_selectorELNS0_4arch9wavefront6targetE0EEEvT1_.has_dyn_sized_stack, 0
	.set _ZN7rocprim17ROCPRIM_400000_NS6detail17trampoline_kernelINS0_14default_configENS1_27scan_by_key_config_selectorIiyEEZZNS1_16scan_by_key_implILNS1_25lookback_scan_determinismE0ELb1ES3_N6thrust23THRUST_200600_302600_NS6detail15normal_iteratorINS9_10device_ptrIiEEEENSB_INSC_IyEEEESG_yNS9_4plusIvEENS9_8equal_toIvEEyEE10hipError_tPvRmT2_T3_T4_T5_mT6_T7_P12ihipStream_tbENKUlT_T0_E_clISt17integral_constantIbLb0EES10_IbLb1EEEEDaSW_SX_EUlSW_E_NS1_11comp_targetILNS1_3genE0ELNS1_11target_archE4294967295ELNS1_3gpuE0ELNS1_3repE0EEENS1_30default_config_static_selectorELNS0_4arch9wavefront6targetE0EEEvT1_.has_recursion, 0
	.set _ZN7rocprim17ROCPRIM_400000_NS6detail17trampoline_kernelINS0_14default_configENS1_27scan_by_key_config_selectorIiyEEZZNS1_16scan_by_key_implILNS1_25lookback_scan_determinismE0ELb1ES3_N6thrust23THRUST_200600_302600_NS6detail15normal_iteratorINS9_10device_ptrIiEEEENSB_INSC_IyEEEESG_yNS9_4plusIvEENS9_8equal_toIvEEyEE10hipError_tPvRmT2_T3_T4_T5_mT6_T7_P12ihipStream_tbENKUlT_T0_E_clISt17integral_constantIbLb0EES10_IbLb1EEEEDaSW_SX_EUlSW_E_NS1_11comp_targetILNS1_3genE0ELNS1_11target_archE4294967295ELNS1_3gpuE0ELNS1_3repE0EEENS1_30default_config_static_selectorELNS0_4arch9wavefront6targetE0EEEvT1_.has_indirect_call, 0
	.section	.AMDGPU.csdata,"",@progbits
; Kernel info:
; codeLenInByte = 11676
; TotalNumSgprs: 53
; NumVgprs: 73
; ScratchSize: 0
; MemoryBound: 0
; FloatMode: 240
; IeeeMode: 1
; LDSByteSize: 10240 bytes/workgroup (compile time only)
; SGPRBlocks: 0
; VGPRBlocks: 4
; NumSGPRsForWavesPerEU: 53
; NumVGPRsForWavesPerEU: 73
; NamedBarCnt: 0
; Occupancy: 12
; WaveLimiterHint : 1
; COMPUTE_PGM_RSRC2:SCRATCH_EN: 0
; COMPUTE_PGM_RSRC2:USER_SGPR: 2
; COMPUTE_PGM_RSRC2:TRAP_HANDLER: 0
; COMPUTE_PGM_RSRC2:TGID_X_EN: 1
; COMPUTE_PGM_RSRC2:TGID_Y_EN: 0
; COMPUTE_PGM_RSRC2:TGID_Z_EN: 0
; COMPUTE_PGM_RSRC2:TIDIG_COMP_CNT: 0
	.section	.text._ZN7rocprim17ROCPRIM_400000_NS6detail17trampoline_kernelINS0_14default_configENS1_27scan_by_key_config_selectorIiyEEZZNS1_16scan_by_key_implILNS1_25lookback_scan_determinismE0ELb1ES3_N6thrust23THRUST_200600_302600_NS6detail15normal_iteratorINS9_10device_ptrIiEEEENSB_INSC_IyEEEESG_yNS9_4plusIvEENS9_8equal_toIvEEyEE10hipError_tPvRmT2_T3_T4_T5_mT6_T7_P12ihipStream_tbENKUlT_T0_E_clISt17integral_constantIbLb0EES10_IbLb1EEEEDaSW_SX_EUlSW_E_NS1_11comp_targetILNS1_3genE10ELNS1_11target_archE1201ELNS1_3gpuE5ELNS1_3repE0EEENS1_30default_config_static_selectorELNS0_4arch9wavefront6targetE0EEEvT1_,"axG",@progbits,_ZN7rocprim17ROCPRIM_400000_NS6detail17trampoline_kernelINS0_14default_configENS1_27scan_by_key_config_selectorIiyEEZZNS1_16scan_by_key_implILNS1_25lookback_scan_determinismE0ELb1ES3_N6thrust23THRUST_200600_302600_NS6detail15normal_iteratorINS9_10device_ptrIiEEEENSB_INSC_IyEEEESG_yNS9_4plusIvEENS9_8equal_toIvEEyEE10hipError_tPvRmT2_T3_T4_T5_mT6_T7_P12ihipStream_tbENKUlT_T0_E_clISt17integral_constantIbLb0EES10_IbLb1EEEEDaSW_SX_EUlSW_E_NS1_11comp_targetILNS1_3genE10ELNS1_11target_archE1201ELNS1_3gpuE5ELNS1_3repE0EEENS1_30default_config_static_selectorELNS0_4arch9wavefront6targetE0EEEvT1_,comdat
	.protected	_ZN7rocprim17ROCPRIM_400000_NS6detail17trampoline_kernelINS0_14default_configENS1_27scan_by_key_config_selectorIiyEEZZNS1_16scan_by_key_implILNS1_25lookback_scan_determinismE0ELb1ES3_N6thrust23THRUST_200600_302600_NS6detail15normal_iteratorINS9_10device_ptrIiEEEENSB_INSC_IyEEEESG_yNS9_4plusIvEENS9_8equal_toIvEEyEE10hipError_tPvRmT2_T3_T4_T5_mT6_T7_P12ihipStream_tbENKUlT_T0_E_clISt17integral_constantIbLb0EES10_IbLb1EEEEDaSW_SX_EUlSW_E_NS1_11comp_targetILNS1_3genE10ELNS1_11target_archE1201ELNS1_3gpuE5ELNS1_3repE0EEENS1_30default_config_static_selectorELNS0_4arch9wavefront6targetE0EEEvT1_ ; -- Begin function _ZN7rocprim17ROCPRIM_400000_NS6detail17trampoline_kernelINS0_14default_configENS1_27scan_by_key_config_selectorIiyEEZZNS1_16scan_by_key_implILNS1_25lookback_scan_determinismE0ELb1ES3_N6thrust23THRUST_200600_302600_NS6detail15normal_iteratorINS9_10device_ptrIiEEEENSB_INSC_IyEEEESG_yNS9_4plusIvEENS9_8equal_toIvEEyEE10hipError_tPvRmT2_T3_T4_T5_mT6_T7_P12ihipStream_tbENKUlT_T0_E_clISt17integral_constantIbLb0EES10_IbLb1EEEEDaSW_SX_EUlSW_E_NS1_11comp_targetILNS1_3genE10ELNS1_11target_archE1201ELNS1_3gpuE5ELNS1_3repE0EEENS1_30default_config_static_selectorELNS0_4arch9wavefront6targetE0EEEvT1_
	.globl	_ZN7rocprim17ROCPRIM_400000_NS6detail17trampoline_kernelINS0_14default_configENS1_27scan_by_key_config_selectorIiyEEZZNS1_16scan_by_key_implILNS1_25lookback_scan_determinismE0ELb1ES3_N6thrust23THRUST_200600_302600_NS6detail15normal_iteratorINS9_10device_ptrIiEEEENSB_INSC_IyEEEESG_yNS9_4plusIvEENS9_8equal_toIvEEyEE10hipError_tPvRmT2_T3_T4_T5_mT6_T7_P12ihipStream_tbENKUlT_T0_E_clISt17integral_constantIbLb0EES10_IbLb1EEEEDaSW_SX_EUlSW_E_NS1_11comp_targetILNS1_3genE10ELNS1_11target_archE1201ELNS1_3gpuE5ELNS1_3repE0EEENS1_30default_config_static_selectorELNS0_4arch9wavefront6targetE0EEEvT1_
	.p2align	8
	.type	_ZN7rocprim17ROCPRIM_400000_NS6detail17trampoline_kernelINS0_14default_configENS1_27scan_by_key_config_selectorIiyEEZZNS1_16scan_by_key_implILNS1_25lookback_scan_determinismE0ELb1ES3_N6thrust23THRUST_200600_302600_NS6detail15normal_iteratorINS9_10device_ptrIiEEEENSB_INSC_IyEEEESG_yNS9_4plusIvEENS9_8equal_toIvEEyEE10hipError_tPvRmT2_T3_T4_T5_mT6_T7_P12ihipStream_tbENKUlT_T0_E_clISt17integral_constantIbLb0EES10_IbLb1EEEEDaSW_SX_EUlSW_E_NS1_11comp_targetILNS1_3genE10ELNS1_11target_archE1201ELNS1_3gpuE5ELNS1_3repE0EEENS1_30default_config_static_selectorELNS0_4arch9wavefront6targetE0EEEvT1_,@function
_ZN7rocprim17ROCPRIM_400000_NS6detail17trampoline_kernelINS0_14default_configENS1_27scan_by_key_config_selectorIiyEEZZNS1_16scan_by_key_implILNS1_25lookback_scan_determinismE0ELb1ES3_N6thrust23THRUST_200600_302600_NS6detail15normal_iteratorINS9_10device_ptrIiEEEENSB_INSC_IyEEEESG_yNS9_4plusIvEENS9_8equal_toIvEEyEE10hipError_tPvRmT2_T3_T4_T5_mT6_T7_P12ihipStream_tbENKUlT_T0_E_clISt17integral_constantIbLb0EES10_IbLb1EEEEDaSW_SX_EUlSW_E_NS1_11comp_targetILNS1_3genE10ELNS1_11target_archE1201ELNS1_3gpuE5ELNS1_3repE0EEENS1_30default_config_static_selectorELNS0_4arch9wavefront6targetE0EEEvT1_: ; @_ZN7rocprim17ROCPRIM_400000_NS6detail17trampoline_kernelINS0_14default_configENS1_27scan_by_key_config_selectorIiyEEZZNS1_16scan_by_key_implILNS1_25lookback_scan_determinismE0ELb1ES3_N6thrust23THRUST_200600_302600_NS6detail15normal_iteratorINS9_10device_ptrIiEEEENSB_INSC_IyEEEESG_yNS9_4plusIvEENS9_8equal_toIvEEyEE10hipError_tPvRmT2_T3_T4_T5_mT6_T7_P12ihipStream_tbENKUlT_T0_E_clISt17integral_constantIbLb0EES10_IbLb1EEEEDaSW_SX_EUlSW_E_NS1_11comp_targetILNS1_3genE10ELNS1_11target_archE1201ELNS1_3gpuE5ELNS1_3repE0EEENS1_30default_config_static_selectorELNS0_4arch9wavefront6targetE0EEEvT1_
; %bb.0:
	.section	.rodata,"a",@progbits
	.p2align	6, 0x0
	.amdhsa_kernel _ZN7rocprim17ROCPRIM_400000_NS6detail17trampoline_kernelINS0_14default_configENS1_27scan_by_key_config_selectorIiyEEZZNS1_16scan_by_key_implILNS1_25lookback_scan_determinismE0ELb1ES3_N6thrust23THRUST_200600_302600_NS6detail15normal_iteratorINS9_10device_ptrIiEEEENSB_INSC_IyEEEESG_yNS9_4plusIvEENS9_8equal_toIvEEyEE10hipError_tPvRmT2_T3_T4_T5_mT6_T7_P12ihipStream_tbENKUlT_T0_E_clISt17integral_constantIbLb0EES10_IbLb1EEEEDaSW_SX_EUlSW_E_NS1_11comp_targetILNS1_3genE10ELNS1_11target_archE1201ELNS1_3gpuE5ELNS1_3repE0EEENS1_30default_config_static_selectorELNS0_4arch9wavefront6targetE0EEEvT1_
		.amdhsa_group_segment_fixed_size 0
		.amdhsa_private_segment_fixed_size 0
		.amdhsa_kernarg_size 136
		.amdhsa_user_sgpr_count 2
		.amdhsa_user_sgpr_dispatch_ptr 0
		.amdhsa_user_sgpr_queue_ptr 0
		.amdhsa_user_sgpr_kernarg_segment_ptr 1
		.amdhsa_user_sgpr_dispatch_id 0
		.amdhsa_user_sgpr_kernarg_preload_length 0
		.amdhsa_user_sgpr_kernarg_preload_offset 0
		.amdhsa_user_sgpr_private_segment_size 0
		.amdhsa_wavefront_size32 1
		.amdhsa_uses_dynamic_stack 0
		.amdhsa_enable_private_segment 0
		.amdhsa_system_sgpr_workgroup_id_x 1
		.amdhsa_system_sgpr_workgroup_id_y 0
		.amdhsa_system_sgpr_workgroup_id_z 0
		.amdhsa_system_sgpr_workgroup_info 0
		.amdhsa_system_vgpr_workitem_id 0
		.amdhsa_next_free_vgpr 1
		.amdhsa_next_free_sgpr 1
		.amdhsa_named_barrier_count 0
		.amdhsa_reserve_vcc 0
		.amdhsa_float_round_mode_32 0
		.amdhsa_float_round_mode_16_64 0
		.amdhsa_float_denorm_mode_32 3
		.amdhsa_float_denorm_mode_16_64 3
		.amdhsa_fp16_overflow 0
		.amdhsa_memory_ordered 1
		.amdhsa_forward_progress 1
		.amdhsa_inst_pref_size 0
		.amdhsa_round_robin_scheduling 0
		.amdhsa_exception_fp_ieee_invalid_op 0
		.amdhsa_exception_fp_denorm_src 0
		.amdhsa_exception_fp_ieee_div_zero 0
		.amdhsa_exception_fp_ieee_overflow 0
		.amdhsa_exception_fp_ieee_underflow 0
		.amdhsa_exception_fp_ieee_inexact 0
		.amdhsa_exception_int_div_zero 0
	.end_amdhsa_kernel
	.section	.text._ZN7rocprim17ROCPRIM_400000_NS6detail17trampoline_kernelINS0_14default_configENS1_27scan_by_key_config_selectorIiyEEZZNS1_16scan_by_key_implILNS1_25lookback_scan_determinismE0ELb1ES3_N6thrust23THRUST_200600_302600_NS6detail15normal_iteratorINS9_10device_ptrIiEEEENSB_INSC_IyEEEESG_yNS9_4plusIvEENS9_8equal_toIvEEyEE10hipError_tPvRmT2_T3_T4_T5_mT6_T7_P12ihipStream_tbENKUlT_T0_E_clISt17integral_constantIbLb0EES10_IbLb1EEEEDaSW_SX_EUlSW_E_NS1_11comp_targetILNS1_3genE10ELNS1_11target_archE1201ELNS1_3gpuE5ELNS1_3repE0EEENS1_30default_config_static_selectorELNS0_4arch9wavefront6targetE0EEEvT1_,"axG",@progbits,_ZN7rocprim17ROCPRIM_400000_NS6detail17trampoline_kernelINS0_14default_configENS1_27scan_by_key_config_selectorIiyEEZZNS1_16scan_by_key_implILNS1_25lookback_scan_determinismE0ELb1ES3_N6thrust23THRUST_200600_302600_NS6detail15normal_iteratorINS9_10device_ptrIiEEEENSB_INSC_IyEEEESG_yNS9_4plusIvEENS9_8equal_toIvEEyEE10hipError_tPvRmT2_T3_T4_T5_mT6_T7_P12ihipStream_tbENKUlT_T0_E_clISt17integral_constantIbLb0EES10_IbLb1EEEEDaSW_SX_EUlSW_E_NS1_11comp_targetILNS1_3genE10ELNS1_11target_archE1201ELNS1_3gpuE5ELNS1_3repE0EEENS1_30default_config_static_selectorELNS0_4arch9wavefront6targetE0EEEvT1_,comdat
.Lfunc_end1491:
	.size	_ZN7rocprim17ROCPRIM_400000_NS6detail17trampoline_kernelINS0_14default_configENS1_27scan_by_key_config_selectorIiyEEZZNS1_16scan_by_key_implILNS1_25lookback_scan_determinismE0ELb1ES3_N6thrust23THRUST_200600_302600_NS6detail15normal_iteratorINS9_10device_ptrIiEEEENSB_INSC_IyEEEESG_yNS9_4plusIvEENS9_8equal_toIvEEyEE10hipError_tPvRmT2_T3_T4_T5_mT6_T7_P12ihipStream_tbENKUlT_T0_E_clISt17integral_constantIbLb0EES10_IbLb1EEEEDaSW_SX_EUlSW_E_NS1_11comp_targetILNS1_3genE10ELNS1_11target_archE1201ELNS1_3gpuE5ELNS1_3repE0EEENS1_30default_config_static_selectorELNS0_4arch9wavefront6targetE0EEEvT1_, .Lfunc_end1491-_ZN7rocprim17ROCPRIM_400000_NS6detail17trampoline_kernelINS0_14default_configENS1_27scan_by_key_config_selectorIiyEEZZNS1_16scan_by_key_implILNS1_25lookback_scan_determinismE0ELb1ES3_N6thrust23THRUST_200600_302600_NS6detail15normal_iteratorINS9_10device_ptrIiEEEENSB_INSC_IyEEEESG_yNS9_4plusIvEENS9_8equal_toIvEEyEE10hipError_tPvRmT2_T3_T4_T5_mT6_T7_P12ihipStream_tbENKUlT_T0_E_clISt17integral_constantIbLb0EES10_IbLb1EEEEDaSW_SX_EUlSW_E_NS1_11comp_targetILNS1_3genE10ELNS1_11target_archE1201ELNS1_3gpuE5ELNS1_3repE0EEENS1_30default_config_static_selectorELNS0_4arch9wavefront6targetE0EEEvT1_
                                        ; -- End function
	.set _ZN7rocprim17ROCPRIM_400000_NS6detail17trampoline_kernelINS0_14default_configENS1_27scan_by_key_config_selectorIiyEEZZNS1_16scan_by_key_implILNS1_25lookback_scan_determinismE0ELb1ES3_N6thrust23THRUST_200600_302600_NS6detail15normal_iteratorINS9_10device_ptrIiEEEENSB_INSC_IyEEEESG_yNS9_4plusIvEENS9_8equal_toIvEEyEE10hipError_tPvRmT2_T3_T4_T5_mT6_T7_P12ihipStream_tbENKUlT_T0_E_clISt17integral_constantIbLb0EES10_IbLb1EEEEDaSW_SX_EUlSW_E_NS1_11comp_targetILNS1_3genE10ELNS1_11target_archE1201ELNS1_3gpuE5ELNS1_3repE0EEENS1_30default_config_static_selectorELNS0_4arch9wavefront6targetE0EEEvT1_.num_vgpr, 0
	.set _ZN7rocprim17ROCPRIM_400000_NS6detail17trampoline_kernelINS0_14default_configENS1_27scan_by_key_config_selectorIiyEEZZNS1_16scan_by_key_implILNS1_25lookback_scan_determinismE0ELb1ES3_N6thrust23THRUST_200600_302600_NS6detail15normal_iteratorINS9_10device_ptrIiEEEENSB_INSC_IyEEEESG_yNS9_4plusIvEENS9_8equal_toIvEEyEE10hipError_tPvRmT2_T3_T4_T5_mT6_T7_P12ihipStream_tbENKUlT_T0_E_clISt17integral_constantIbLb0EES10_IbLb1EEEEDaSW_SX_EUlSW_E_NS1_11comp_targetILNS1_3genE10ELNS1_11target_archE1201ELNS1_3gpuE5ELNS1_3repE0EEENS1_30default_config_static_selectorELNS0_4arch9wavefront6targetE0EEEvT1_.num_agpr, 0
	.set _ZN7rocprim17ROCPRIM_400000_NS6detail17trampoline_kernelINS0_14default_configENS1_27scan_by_key_config_selectorIiyEEZZNS1_16scan_by_key_implILNS1_25lookback_scan_determinismE0ELb1ES3_N6thrust23THRUST_200600_302600_NS6detail15normal_iteratorINS9_10device_ptrIiEEEENSB_INSC_IyEEEESG_yNS9_4plusIvEENS9_8equal_toIvEEyEE10hipError_tPvRmT2_T3_T4_T5_mT6_T7_P12ihipStream_tbENKUlT_T0_E_clISt17integral_constantIbLb0EES10_IbLb1EEEEDaSW_SX_EUlSW_E_NS1_11comp_targetILNS1_3genE10ELNS1_11target_archE1201ELNS1_3gpuE5ELNS1_3repE0EEENS1_30default_config_static_selectorELNS0_4arch9wavefront6targetE0EEEvT1_.numbered_sgpr, 0
	.set _ZN7rocprim17ROCPRIM_400000_NS6detail17trampoline_kernelINS0_14default_configENS1_27scan_by_key_config_selectorIiyEEZZNS1_16scan_by_key_implILNS1_25lookback_scan_determinismE0ELb1ES3_N6thrust23THRUST_200600_302600_NS6detail15normal_iteratorINS9_10device_ptrIiEEEENSB_INSC_IyEEEESG_yNS9_4plusIvEENS9_8equal_toIvEEyEE10hipError_tPvRmT2_T3_T4_T5_mT6_T7_P12ihipStream_tbENKUlT_T0_E_clISt17integral_constantIbLb0EES10_IbLb1EEEEDaSW_SX_EUlSW_E_NS1_11comp_targetILNS1_3genE10ELNS1_11target_archE1201ELNS1_3gpuE5ELNS1_3repE0EEENS1_30default_config_static_selectorELNS0_4arch9wavefront6targetE0EEEvT1_.num_named_barrier, 0
	.set _ZN7rocprim17ROCPRIM_400000_NS6detail17trampoline_kernelINS0_14default_configENS1_27scan_by_key_config_selectorIiyEEZZNS1_16scan_by_key_implILNS1_25lookback_scan_determinismE0ELb1ES3_N6thrust23THRUST_200600_302600_NS6detail15normal_iteratorINS9_10device_ptrIiEEEENSB_INSC_IyEEEESG_yNS9_4plusIvEENS9_8equal_toIvEEyEE10hipError_tPvRmT2_T3_T4_T5_mT6_T7_P12ihipStream_tbENKUlT_T0_E_clISt17integral_constantIbLb0EES10_IbLb1EEEEDaSW_SX_EUlSW_E_NS1_11comp_targetILNS1_3genE10ELNS1_11target_archE1201ELNS1_3gpuE5ELNS1_3repE0EEENS1_30default_config_static_selectorELNS0_4arch9wavefront6targetE0EEEvT1_.private_seg_size, 0
	.set _ZN7rocprim17ROCPRIM_400000_NS6detail17trampoline_kernelINS0_14default_configENS1_27scan_by_key_config_selectorIiyEEZZNS1_16scan_by_key_implILNS1_25lookback_scan_determinismE0ELb1ES3_N6thrust23THRUST_200600_302600_NS6detail15normal_iteratorINS9_10device_ptrIiEEEENSB_INSC_IyEEEESG_yNS9_4plusIvEENS9_8equal_toIvEEyEE10hipError_tPvRmT2_T3_T4_T5_mT6_T7_P12ihipStream_tbENKUlT_T0_E_clISt17integral_constantIbLb0EES10_IbLb1EEEEDaSW_SX_EUlSW_E_NS1_11comp_targetILNS1_3genE10ELNS1_11target_archE1201ELNS1_3gpuE5ELNS1_3repE0EEENS1_30default_config_static_selectorELNS0_4arch9wavefront6targetE0EEEvT1_.uses_vcc, 0
	.set _ZN7rocprim17ROCPRIM_400000_NS6detail17trampoline_kernelINS0_14default_configENS1_27scan_by_key_config_selectorIiyEEZZNS1_16scan_by_key_implILNS1_25lookback_scan_determinismE0ELb1ES3_N6thrust23THRUST_200600_302600_NS6detail15normal_iteratorINS9_10device_ptrIiEEEENSB_INSC_IyEEEESG_yNS9_4plusIvEENS9_8equal_toIvEEyEE10hipError_tPvRmT2_T3_T4_T5_mT6_T7_P12ihipStream_tbENKUlT_T0_E_clISt17integral_constantIbLb0EES10_IbLb1EEEEDaSW_SX_EUlSW_E_NS1_11comp_targetILNS1_3genE10ELNS1_11target_archE1201ELNS1_3gpuE5ELNS1_3repE0EEENS1_30default_config_static_selectorELNS0_4arch9wavefront6targetE0EEEvT1_.uses_flat_scratch, 0
	.set _ZN7rocprim17ROCPRIM_400000_NS6detail17trampoline_kernelINS0_14default_configENS1_27scan_by_key_config_selectorIiyEEZZNS1_16scan_by_key_implILNS1_25lookback_scan_determinismE0ELb1ES3_N6thrust23THRUST_200600_302600_NS6detail15normal_iteratorINS9_10device_ptrIiEEEENSB_INSC_IyEEEESG_yNS9_4plusIvEENS9_8equal_toIvEEyEE10hipError_tPvRmT2_T3_T4_T5_mT6_T7_P12ihipStream_tbENKUlT_T0_E_clISt17integral_constantIbLb0EES10_IbLb1EEEEDaSW_SX_EUlSW_E_NS1_11comp_targetILNS1_3genE10ELNS1_11target_archE1201ELNS1_3gpuE5ELNS1_3repE0EEENS1_30default_config_static_selectorELNS0_4arch9wavefront6targetE0EEEvT1_.has_dyn_sized_stack, 0
	.set _ZN7rocprim17ROCPRIM_400000_NS6detail17trampoline_kernelINS0_14default_configENS1_27scan_by_key_config_selectorIiyEEZZNS1_16scan_by_key_implILNS1_25lookback_scan_determinismE0ELb1ES3_N6thrust23THRUST_200600_302600_NS6detail15normal_iteratorINS9_10device_ptrIiEEEENSB_INSC_IyEEEESG_yNS9_4plusIvEENS9_8equal_toIvEEyEE10hipError_tPvRmT2_T3_T4_T5_mT6_T7_P12ihipStream_tbENKUlT_T0_E_clISt17integral_constantIbLb0EES10_IbLb1EEEEDaSW_SX_EUlSW_E_NS1_11comp_targetILNS1_3genE10ELNS1_11target_archE1201ELNS1_3gpuE5ELNS1_3repE0EEENS1_30default_config_static_selectorELNS0_4arch9wavefront6targetE0EEEvT1_.has_recursion, 0
	.set _ZN7rocprim17ROCPRIM_400000_NS6detail17trampoline_kernelINS0_14default_configENS1_27scan_by_key_config_selectorIiyEEZZNS1_16scan_by_key_implILNS1_25lookback_scan_determinismE0ELb1ES3_N6thrust23THRUST_200600_302600_NS6detail15normal_iteratorINS9_10device_ptrIiEEEENSB_INSC_IyEEEESG_yNS9_4plusIvEENS9_8equal_toIvEEyEE10hipError_tPvRmT2_T3_T4_T5_mT6_T7_P12ihipStream_tbENKUlT_T0_E_clISt17integral_constantIbLb0EES10_IbLb1EEEEDaSW_SX_EUlSW_E_NS1_11comp_targetILNS1_3genE10ELNS1_11target_archE1201ELNS1_3gpuE5ELNS1_3repE0EEENS1_30default_config_static_selectorELNS0_4arch9wavefront6targetE0EEEvT1_.has_indirect_call, 0
	.section	.AMDGPU.csdata,"",@progbits
; Kernel info:
; codeLenInByte = 0
; TotalNumSgprs: 0
; NumVgprs: 0
; ScratchSize: 0
; MemoryBound: 0
; FloatMode: 240
; IeeeMode: 1
; LDSByteSize: 0 bytes/workgroup (compile time only)
; SGPRBlocks: 0
; VGPRBlocks: 0
; NumSGPRsForWavesPerEU: 1
; NumVGPRsForWavesPerEU: 1
; NamedBarCnt: 0
; Occupancy: 16
; WaveLimiterHint : 0
; COMPUTE_PGM_RSRC2:SCRATCH_EN: 0
; COMPUTE_PGM_RSRC2:USER_SGPR: 2
; COMPUTE_PGM_RSRC2:TRAP_HANDLER: 0
; COMPUTE_PGM_RSRC2:TGID_X_EN: 1
; COMPUTE_PGM_RSRC2:TGID_Y_EN: 0
; COMPUTE_PGM_RSRC2:TGID_Z_EN: 0
; COMPUTE_PGM_RSRC2:TIDIG_COMP_CNT: 0
	.section	.text._ZN7rocprim17ROCPRIM_400000_NS6detail17trampoline_kernelINS0_14default_configENS1_27scan_by_key_config_selectorIiyEEZZNS1_16scan_by_key_implILNS1_25lookback_scan_determinismE0ELb1ES3_N6thrust23THRUST_200600_302600_NS6detail15normal_iteratorINS9_10device_ptrIiEEEENSB_INSC_IyEEEESG_yNS9_4plusIvEENS9_8equal_toIvEEyEE10hipError_tPvRmT2_T3_T4_T5_mT6_T7_P12ihipStream_tbENKUlT_T0_E_clISt17integral_constantIbLb0EES10_IbLb1EEEEDaSW_SX_EUlSW_E_NS1_11comp_targetILNS1_3genE5ELNS1_11target_archE942ELNS1_3gpuE9ELNS1_3repE0EEENS1_30default_config_static_selectorELNS0_4arch9wavefront6targetE0EEEvT1_,"axG",@progbits,_ZN7rocprim17ROCPRIM_400000_NS6detail17trampoline_kernelINS0_14default_configENS1_27scan_by_key_config_selectorIiyEEZZNS1_16scan_by_key_implILNS1_25lookback_scan_determinismE0ELb1ES3_N6thrust23THRUST_200600_302600_NS6detail15normal_iteratorINS9_10device_ptrIiEEEENSB_INSC_IyEEEESG_yNS9_4plusIvEENS9_8equal_toIvEEyEE10hipError_tPvRmT2_T3_T4_T5_mT6_T7_P12ihipStream_tbENKUlT_T0_E_clISt17integral_constantIbLb0EES10_IbLb1EEEEDaSW_SX_EUlSW_E_NS1_11comp_targetILNS1_3genE5ELNS1_11target_archE942ELNS1_3gpuE9ELNS1_3repE0EEENS1_30default_config_static_selectorELNS0_4arch9wavefront6targetE0EEEvT1_,comdat
	.protected	_ZN7rocprim17ROCPRIM_400000_NS6detail17trampoline_kernelINS0_14default_configENS1_27scan_by_key_config_selectorIiyEEZZNS1_16scan_by_key_implILNS1_25lookback_scan_determinismE0ELb1ES3_N6thrust23THRUST_200600_302600_NS6detail15normal_iteratorINS9_10device_ptrIiEEEENSB_INSC_IyEEEESG_yNS9_4plusIvEENS9_8equal_toIvEEyEE10hipError_tPvRmT2_T3_T4_T5_mT6_T7_P12ihipStream_tbENKUlT_T0_E_clISt17integral_constantIbLb0EES10_IbLb1EEEEDaSW_SX_EUlSW_E_NS1_11comp_targetILNS1_3genE5ELNS1_11target_archE942ELNS1_3gpuE9ELNS1_3repE0EEENS1_30default_config_static_selectorELNS0_4arch9wavefront6targetE0EEEvT1_ ; -- Begin function _ZN7rocprim17ROCPRIM_400000_NS6detail17trampoline_kernelINS0_14default_configENS1_27scan_by_key_config_selectorIiyEEZZNS1_16scan_by_key_implILNS1_25lookback_scan_determinismE0ELb1ES3_N6thrust23THRUST_200600_302600_NS6detail15normal_iteratorINS9_10device_ptrIiEEEENSB_INSC_IyEEEESG_yNS9_4plusIvEENS9_8equal_toIvEEyEE10hipError_tPvRmT2_T3_T4_T5_mT6_T7_P12ihipStream_tbENKUlT_T0_E_clISt17integral_constantIbLb0EES10_IbLb1EEEEDaSW_SX_EUlSW_E_NS1_11comp_targetILNS1_3genE5ELNS1_11target_archE942ELNS1_3gpuE9ELNS1_3repE0EEENS1_30default_config_static_selectorELNS0_4arch9wavefront6targetE0EEEvT1_
	.globl	_ZN7rocprim17ROCPRIM_400000_NS6detail17trampoline_kernelINS0_14default_configENS1_27scan_by_key_config_selectorIiyEEZZNS1_16scan_by_key_implILNS1_25lookback_scan_determinismE0ELb1ES3_N6thrust23THRUST_200600_302600_NS6detail15normal_iteratorINS9_10device_ptrIiEEEENSB_INSC_IyEEEESG_yNS9_4plusIvEENS9_8equal_toIvEEyEE10hipError_tPvRmT2_T3_T4_T5_mT6_T7_P12ihipStream_tbENKUlT_T0_E_clISt17integral_constantIbLb0EES10_IbLb1EEEEDaSW_SX_EUlSW_E_NS1_11comp_targetILNS1_3genE5ELNS1_11target_archE942ELNS1_3gpuE9ELNS1_3repE0EEENS1_30default_config_static_selectorELNS0_4arch9wavefront6targetE0EEEvT1_
	.p2align	8
	.type	_ZN7rocprim17ROCPRIM_400000_NS6detail17trampoline_kernelINS0_14default_configENS1_27scan_by_key_config_selectorIiyEEZZNS1_16scan_by_key_implILNS1_25lookback_scan_determinismE0ELb1ES3_N6thrust23THRUST_200600_302600_NS6detail15normal_iteratorINS9_10device_ptrIiEEEENSB_INSC_IyEEEESG_yNS9_4plusIvEENS9_8equal_toIvEEyEE10hipError_tPvRmT2_T3_T4_T5_mT6_T7_P12ihipStream_tbENKUlT_T0_E_clISt17integral_constantIbLb0EES10_IbLb1EEEEDaSW_SX_EUlSW_E_NS1_11comp_targetILNS1_3genE5ELNS1_11target_archE942ELNS1_3gpuE9ELNS1_3repE0EEENS1_30default_config_static_selectorELNS0_4arch9wavefront6targetE0EEEvT1_,@function
_ZN7rocprim17ROCPRIM_400000_NS6detail17trampoline_kernelINS0_14default_configENS1_27scan_by_key_config_selectorIiyEEZZNS1_16scan_by_key_implILNS1_25lookback_scan_determinismE0ELb1ES3_N6thrust23THRUST_200600_302600_NS6detail15normal_iteratorINS9_10device_ptrIiEEEENSB_INSC_IyEEEESG_yNS9_4plusIvEENS9_8equal_toIvEEyEE10hipError_tPvRmT2_T3_T4_T5_mT6_T7_P12ihipStream_tbENKUlT_T0_E_clISt17integral_constantIbLb0EES10_IbLb1EEEEDaSW_SX_EUlSW_E_NS1_11comp_targetILNS1_3genE5ELNS1_11target_archE942ELNS1_3gpuE9ELNS1_3repE0EEENS1_30default_config_static_selectorELNS0_4arch9wavefront6targetE0EEEvT1_: ; @_ZN7rocprim17ROCPRIM_400000_NS6detail17trampoline_kernelINS0_14default_configENS1_27scan_by_key_config_selectorIiyEEZZNS1_16scan_by_key_implILNS1_25lookback_scan_determinismE0ELb1ES3_N6thrust23THRUST_200600_302600_NS6detail15normal_iteratorINS9_10device_ptrIiEEEENSB_INSC_IyEEEESG_yNS9_4plusIvEENS9_8equal_toIvEEyEE10hipError_tPvRmT2_T3_T4_T5_mT6_T7_P12ihipStream_tbENKUlT_T0_E_clISt17integral_constantIbLb0EES10_IbLb1EEEEDaSW_SX_EUlSW_E_NS1_11comp_targetILNS1_3genE5ELNS1_11target_archE942ELNS1_3gpuE9ELNS1_3repE0EEENS1_30default_config_static_selectorELNS0_4arch9wavefront6targetE0EEEvT1_
; %bb.0:
	.section	.rodata,"a",@progbits
	.p2align	6, 0x0
	.amdhsa_kernel _ZN7rocprim17ROCPRIM_400000_NS6detail17trampoline_kernelINS0_14default_configENS1_27scan_by_key_config_selectorIiyEEZZNS1_16scan_by_key_implILNS1_25lookback_scan_determinismE0ELb1ES3_N6thrust23THRUST_200600_302600_NS6detail15normal_iteratorINS9_10device_ptrIiEEEENSB_INSC_IyEEEESG_yNS9_4plusIvEENS9_8equal_toIvEEyEE10hipError_tPvRmT2_T3_T4_T5_mT6_T7_P12ihipStream_tbENKUlT_T0_E_clISt17integral_constantIbLb0EES10_IbLb1EEEEDaSW_SX_EUlSW_E_NS1_11comp_targetILNS1_3genE5ELNS1_11target_archE942ELNS1_3gpuE9ELNS1_3repE0EEENS1_30default_config_static_selectorELNS0_4arch9wavefront6targetE0EEEvT1_
		.amdhsa_group_segment_fixed_size 0
		.amdhsa_private_segment_fixed_size 0
		.amdhsa_kernarg_size 136
		.amdhsa_user_sgpr_count 2
		.amdhsa_user_sgpr_dispatch_ptr 0
		.amdhsa_user_sgpr_queue_ptr 0
		.amdhsa_user_sgpr_kernarg_segment_ptr 1
		.amdhsa_user_sgpr_dispatch_id 0
		.amdhsa_user_sgpr_kernarg_preload_length 0
		.amdhsa_user_sgpr_kernarg_preload_offset 0
		.amdhsa_user_sgpr_private_segment_size 0
		.amdhsa_wavefront_size32 1
		.amdhsa_uses_dynamic_stack 0
		.amdhsa_enable_private_segment 0
		.amdhsa_system_sgpr_workgroup_id_x 1
		.amdhsa_system_sgpr_workgroup_id_y 0
		.amdhsa_system_sgpr_workgroup_id_z 0
		.amdhsa_system_sgpr_workgroup_info 0
		.amdhsa_system_vgpr_workitem_id 0
		.amdhsa_next_free_vgpr 1
		.amdhsa_next_free_sgpr 1
		.amdhsa_named_barrier_count 0
		.amdhsa_reserve_vcc 0
		.amdhsa_float_round_mode_32 0
		.amdhsa_float_round_mode_16_64 0
		.amdhsa_float_denorm_mode_32 3
		.amdhsa_float_denorm_mode_16_64 3
		.amdhsa_fp16_overflow 0
		.amdhsa_memory_ordered 1
		.amdhsa_forward_progress 1
		.amdhsa_inst_pref_size 0
		.amdhsa_round_robin_scheduling 0
		.amdhsa_exception_fp_ieee_invalid_op 0
		.amdhsa_exception_fp_denorm_src 0
		.amdhsa_exception_fp_ieee_div_zero 0
		.amdhsa_exception_fp_ieee_overflow 0
		.amdhsa_exception_fp_ieee_underflow 0
		.amdhsa_exception_fp_ieee_inexact 0
		.amdhsa_exception_int_div_zero 0
	.end_amdhsa_kernel
	.section	.text._ZN7rocprim17ROCPRIM_400000_NS6detail17trampoline_kernelINS0_14default_configENS1_27scan_by_key_config_selectorIiyEEZZNS1_16scan_by_key_implILNS1_25lookback_scan_determinismE0ELb1ES3_N6thrust23THRUST_200600_302600_NS6detail15normal_iteratorINS9_10device_ptrIiEEEENSB_INSC_IyEEEESG_yNS9_4plusIvEENS9_8equal_toIvEEyEE10hipError_tPvRmT2_T3_T4_T5_mT6_T7_P12ihipStream_tbENKUlT_T0_E_clISt17integral_constantIbLb0EES10_IbLb1EEEEDaSW_SX_EUlSW_E_NS1_11comp_targetILNS1_3genE5ELNS1_11target_archE942ELNS1_3gpuE9ELNS1_3repE0EEENS1_30default_config_static_selectorELNS0_4arch9wavefront6targetE0EEEvT1_,"axG",@progbits,_ZN7rocprim17ROCPRIM_400000_NS6detail17trampoline_kernelINS0_14default_configENS1_27scan_by_key_config_selectorIiyEEZZNS1_16scan_by_key_implILNS1_25lookback_scan_determinismE0ELb1ES3_N6thrust23THRUST_200600_302600_NS6detail15normal_iteratorINS9_10device_ptrIiEEEENSB_INSC_IyEEEESG_yNS9_4plusIvEENS9_8equal_toIvEEyEE10hipError_tPvRmT2_T3_T4_T5_mT6_T7_P12ihipStream_tbENKUlT_T0_E_clISt17integral_constantIbLb0EES10_IbLb1EEEEDaSW_SX_EUlSW_E_NS1_11comp_targetILNS1_3genE5ELNS1_11target_archE942ELNS1_3gpuE9ELNS1_3repE0EEENS1_30default_config_static_selectorELNS0_4arch9wavefront6targetE0EEEvT1_,comdat
.Lfunc_end1492:
	.size	_ZN7rocprim17ROCPRIM_400000_NS6detail17trampoline_kernelINS0_14default_configENS1_27scan_by_key_config_selectorIiyEEZZNS1_16scan_by_key_implILNS1_25lookback_scan_determinismE0ELb1ES3_N6thrust23THRUST_200600_302600_NS6detail15normal_iteratorINS9_10device_ptrIiEEEENSB_INSC_IyEEEESG_yNS9_4plusIvEENS9_8equal_toIvEEyEE10hipError_tPvRmT2_T3_T4_T5_mT6_T7_P12ihipStream_tbENKUlT_T0_E_clISt17integral_constantIbLb0EES10_IbLb1EEEEDaSW_SX_EUlSW_E_NS1_11comp_targetILNS1_3genE5ELNS1_11target_archE942ELNS1_3gpuE9ELNS1_3repE0EEENS1_30default_config_static_selectorELNS0_4arch9wavefront6targetE0EEEvT1_, .Lfunc_end1492-_ZN7rocprim17ROCPRIM_400000_NS6detail17trampoline_kernelINS0_14default_configENS1_27scan_by_key_config_selectorIiyEEZZNS1_16scan_by_key_implILNS1_25lookback_scan_determinismE0ELb1ES3_N6thrust23THRUST_200600_302600_NS6detail15normal_iteratorINS9_10device_ptrIiEEEENSB_INSC_IyEEEESG_yNS9_4plusIvEENS9_8equal_toIvEEyEE10hipError_tPvRmT2_T3_T4_T5_mT6_T7_P12ihipStream_tbENKUlT_T0_E_clISt17integral_constantIbLb0EES10_IbLb1EEEEDaSW_SX_EUlSW_E_NS1_11comp_targetILNS1_3genE5ELNS1_11target_archE942ELNS1_3gpuE9ELNS1_3repE0EEENS1_30default_config_static_selectorELNS0_4arch9wavefront6targetE0EEEvT1_
                                        ; -- End function
	.set _ZN7rocprim17ROCPRIM_400000_NS6detail17trampoline_kernelINS0_14default_configENS1_27scan_by_key_config_selectorIiyEEZZNS1_16scan_by_key_implILNS1_25lookback_scan_determinismE0ELb1ES3_N6thrust23THRUST_200600_302600_NS6detail15normal_iteratorINS9_10device_ptrIiEEEENSB_INSC_IyEEEESG_yNS9_4plusIvEENS9_8equal_toIvEEyEE10hipError_tPvRmT2_T3_T4_T5_mT6_T7_P12ihipStream_tbENKUlT_T0_E_clISt17integral_constantIbLb0EES10_IbLb1EEEEDaSW_SX_EUlSW_E_NS1_11comp_targetILNS1_3genE5ELNS1_11target_archE942ELNS1_3gpuE9ELNS1_3repE0EEENS1_30default_config_static_selectorELNS0_4arch9wavefront6targetE0EEEvT1_.num_vgpr, 0
	.set _ZN7rocprim17ROCPRIM_400000_NS6detail17trampoline_kernelINS0_14default_configENS1_27scan_by_key_config_selectorIiyEEZZNS1_16scan_by_key_implILNS1_25lookback_scan_determinismE0ELb1ES3_N6thrust23THRUST_200600_302600_NS6detail15normal_iteratorINS9_10device_ptrIiEEEENSB_INSC_IyEEEESG_yNS9_4plusIvEENS9_8equal_toIvEEyEE10hipError_tPvRmT2_T3_T4_T5_mT6_T7_P12ihipStream_tbENKUlT_T0_E_clISt17integral_constantIbLb0EES10_IbLb1EEEEDaSW_SX_EUlSW_E_NS1_11comp_targetILNS1_3genE5ELNS1_11target_archE942ELNS1_3gpuE9ELNS1_3repE0EEENS1_30default_config_static_selectorELNS0_4arch9wavefront6targetE0EEEvT1_.num_agpr, 0
	.set _ZN7rocprim17ROCPRIM_400000_NS6detail17trampoline_kernelINS0_14default_configENS1_27scan_by_key_config_selectorIiyEEZZNS1_16scan_by_key_implILNS1_25lookback_scan_determinismE0ELb1ES3_N6thrust23THRUST_200600_302600_NS6detail15normal_iteratorINS9_10device_ptrIiEEEENSB_INSC_IyEEEESG_yNS9_4plusIvEENS9_8equal_toIvEEyEE10hipError_tPvRmT2_T3_T4_T5_mT6_T7_P12ihipStream_tbENKUlT_T0_E_clISt17integral_constantIbLb0EES10_IbLb1EEEEDaSW_SX_EUlSW_E_NS1_11comp_targetILNS1_3genE5ELNS1_11target_archE942ELNS1_3gpuE9ELNS1_3repE0EEENS1_30default_config_static_selectorELNS0_4arch9wavefront6targetE0EEEvT1_.numbered_sgpr, 0
	.set _ZN7rocprim17ROCPRIM_400000_NS6detail17trampoline_kernelINS0_14default_configENS1_27scan_by_key_config_selectorIiyEEZZNS1_16scan_by_key_implILNS1_25lookback_scan_determinismE0ELb1ES3_N6thrust23THRUST_200600_302600_NS6detail15normal_iteratorINS9_10device_ptrIiEEEENSB_INSC_IyEEEESG_yNS9_4plusIvEENS9_8equal_toIvEEyEE10hipError_tPvRmT2_T3_T4_T5_mT6_T7_P12ihipStream_tbENKUlT_T0_E_clISt17integral_constantIbLb0EES10_IbLb1EEEEDaSW_SX_EUlSW_E_NS1_11comp_targetILNS1_3genE5ELNS1_11target_archE942ELNS1_3gpuE9ELNS1_3repE0EEENS1_30default_config_static_selectorELNS0_4arch9wavefront6targetE0EEEvT1_.num_named_barrier, 0
	.set _ZN7rocprim17ROCPRIM_400000_NS6detail17trampoline_kernelINS0_14default_configENS1_27scan_by_key_config_selectorIiyEEZZNS1_16scan_by_key_implILNS1_25lookback_scan_determinismE0ELb1ES3_N6thrust23THRUST_200600_302600_NS6detail15normal_iteratorINS9_10device_ptrIiEEEENSB_INSC_IyEEEESG_yNS9_4plusIvEENS9_8equal_toIvEEyEE10hipError_tPvRmT2_T3_T4_T5_mT6_T7_P12ihipStream_tbENKUlT_T0_E_clISt17integral_constantIbLb0EES10_IbLb1EEEEDaSW_SX_EUlSW_E_NS1_11comp_targetILNS1_3genE5ELNS1_11target_archE942ELNS1_3gpuE9ELNS1_3repE0EEENS1_30default_config_static_selectorELNS0_4arch9wavefront6targetE0EEEvT1_.private_seg_size, 0
	.set _ZN7rocprim17ROCPRIM_400000_NS6detail17trampoline_kernelINS0_14default_configENS1_27scan_by_key_config_selectorIiyEEZZNS1_16scan_by_key_implILNS1_25lookback_scan_determinismE0ELb1ES3_N6thrust23THRUST_200600_302600_NS6detail15normal_iteratorINS9_10device_ptrIiEEEENSB_INSC_IyEEEESG_yNS9_4plusIvEENS9_8equal_toIvEEyEE10hipError_tPvRmT2_T3_T4_T5_mT6_T7_P12ihipStream_tbENKUlT_T0_E_clISt17integral_constantIbLb0EES10_IbLb1EEEEDaSW_SX_EUlSW_E_NS1_11comp_targetILNS1_3genE5ELNS1_11target_archE942ELNS1_3gpuE9ELNS1_3repE0EEENS1_30default_config_static_selectorELNS0_4arch9wavefront6targetE0EEEvT1_.uses_vcc, 0
	.set _ZN7rocprim17ROCPRIM_400000_NS6detail17trampoline_kernelINS0_14default_configENS1_27scan_by_key_config_selectorIiyEEZZNS1_16scan_by_key_implILNS1_25lookback_scan_determinismE0ELb1ES3_N6thrust23THRUST_200600_302600_NS6detail15normal_iteratorINS9_10device_ptrIiEEEENSB_INSC_IyEEEESG_yNS9_4plusIvEENS9_8equal_toIvEEyEE10hipError_tPvRmT2_T3_T4_T5_mT6_T7_P12ihipStream_tbENKUlT_T0_E_clISt17integral_constantIbLb0EES10_IbLb1EEEEDaSW_SX_EUlSW_E_NS1_11comp_targetILNS1_3genE5ELNS1_11target_archE942ELNS1_3gpuE9ELNS1_3repE0EEENS1_30default_config_static_selectorELNS0_4arch9wavefront6targetE0EEEvT1_.uses_flat_scratch, 0
	.set _ZN7rocprim17ROCPRIM_400000_NS6detail17trampoline_kernelINS0_14default_configENS1_27scan_by_key_config_selectorIiyEEZZNS1_16scan_by_key_implILNS1_25lookback_scan_determinismE0ELb1ES3_N6thrust23THRUST_200600_302600_NS6detail15normal_iteratorINS9_10device_ptrIiEEEENSB_INSC_IyEEEESG_yNS9_4plusIvEENS9_8equal_toIvEEyEE10hipError_tPvRmT2_T3_T4_T5_mT6_T7_P12ihipStream_tbENKUlT_T0_E_clISt17integral_constantIbLb0EES10_IbLb1EEEEDaSW_SX_EUlSW_E_NS1_11comp_targetILNS1_3genE5ELNS1_11target_archE942ELNS1_3gpuE9ELNS1_3repE0EEENS1_30default_config_static_selectorELNS0_4arch9wavefront6targetE0EEEvT1_.has_dyn_sized_stack, 0
	.set _ZN7rocprim17ROCPRIM_400000_NS6detail17trampoline_kernelINS0_14default_configENS1_27scan_by_key_config_selectorIiyEEZZNS1_16scan_by_key_implILNS1_25lookback_scan_determinismE0ELb1ES3_N6thrust23THRUST_200600_302600_NS6detail15normal_iteratorINS9_10device_ptrIiEEEENSB_INSC_IyEEEESG_yNS9_4plusIvEENS9_8equal_toIvEEyEE10hipError_tPvRmT2_T3_T4_T5_mT6_T7_P12ihipStream_tbENKUlT_T0_E_clISt17integral_constantIbLb0EES10_IbLb1EEEEDaSW_SX_EUlSW_E_NS1_11comp_targetILNS1_3genE5ELNS1_11target_archE942ELNS1_3gpuE9ELNS1_3repE0EEENS1_30default_config_static_selectorELNS0_4arch9wavefront6targetE0EEEvT1_.has_recursion, 0
	.set _ZN7rocprim17ROCPRIM_400000_NS6detail17trampoline_kernelINS0_14default_configENS1_27scan_by_key_config_selectorIiyEEZZNS1_16scan_by_key_implILNS1_25lookback_scan_determinismE0ELb1ES3_N6thrust23THRUST_200600_302600_NS6detail15normal_iteratorINS9_10device_ptrIiEEEENSB_INSC_IyEEEESG_yNS9_4plusIvEENS9_8equal_toIvEEyEE10hipError_tPvRmT2_T3_T4_T5_mT6_T7_P12ihipStream_tbENKUlT_T0_E_clISt17integral_constantIbLb0EES10_IbLb1EEEEDaSW_SX_EUlSW_E_NS1_11comp_targetILNS1_3genE5ELNS1_11target_archE942ELNS1_3gpuE9ELNS1_3repE0EEENS1_30default_config_static_selectorELNS0_4arch9wavefront6targetE0EEEvT1_.has_indirect_call, 0
	.section	.AMDGPU.csdata,"",@progbits
; Kernel info:
; codeLenInByte = 0
; TotalNumSgprs: 0
; NumVgprs: 0
; ScratchSize: 0
; MemoryBound: 0
; FloatMode: 240
; IeeeMode: 1
; LDSByteSize: 0 bytes/workgroup (compile time only)
; SGPRBlocks: 0
; VGPRBlocks: 0
; NumSGPRsForWavesPerEU: 1
; NumVGPRsForWavesPerEU: 1
; NamedBarCnt: 0
; Occupancy: 16
; WaveLimiterHint : 0
; COMPUTE_PGM_RSRC2:SCRATCH_EN: 0
; COMPUTE_PGM_RSRC2:USER_SGPR: 2
; COMPUTE_PGM_RSRC2:TRAP_HANDLER: 0
; COMPUTE_PGM_RSRC2:TGID_X_EN: 1
; COMPUTE_PGM_RSRC2:TGID_Y_EN: 0
; COMPUTE_PGM_RSRC2:TGID_Z_EN: 0
; COMPUTE_PGM_RSRC2:TIDIG_COMP_CNT: 0
	.section	.text._ZN7rocprim17ROCPRIM_400000_NS6detail17trampoline_kernelINS0_14default_configENS1_27scan_by_key_config_selectorIiyEEZZNS1_16scan_by_key_implILNS1_25lookback_scan_determinismE0ELb1ES3_N6thrust23THRUST_200600_302600_NS6detail15normal_iteratorINS9_10device_ptrIiEEEENSB_INSC_IyEEEESG_yNS9_4plusIvEENS9_8equal_toIvEEyEE10hipError_tPvRmT2_T3_T4_T5_mT6_T7_P12ihipStream_tbENKUlT_T0_E_clISt17integral_constantIbLb0EES10_IbLb1EEEEDaSW_SX_EUlSW_E_NS1_11comp_targetILNS1_3genE4ELNS1_11target_archE910ELNS1_3gpuE8ELNS1_3repE0EEENS1_30default_config_static_selectorELNS0_4arch9wavefront6targetE0EEEvT1_,"axG",@progbits,_ZN7rocprim17ROCPRIM_400000_NS6detail17trampoline_kernelINS0_14default_configENS1_27scan_by_key_config_selectorIiyEEZZNS1_16scan_by_key_implILNS1_25lookback_scan_determinismE0ELb1ES3_N6thrust23THRUST_200600_302600_NS6detail15normal_iteratorINS9_10device_ptrIiEEEENSB_INSC_IyEEEESG_yNS9_4plusIvEENS9_8equal_toIvEEyEE10hipError_tPvRmT2_T3_T4_T5_mT6_T7_P12ihipStream_tbENKUlT_T0_E_clISt17integral_constantIbLb0EES10_IbLb1EEEEDaSW_SX_EUlSW_E_NS1_11comp_targetILNS1_3genE4ELNS1_11target_archE910ELNS1_3gpuE8ELNS1_3repE0EEENS1_30default_config_static_selectorELNS0_4arch9wavefront6targetE0EEEvT1_,comdat
	.protected	_ZN7rocprim17ROCPRIM_400000_NS6detail17trampoline_kernelINS0_14default_configENS1_27scan_by_key_config_selectorIiyEEZZNS1_16scan_by_key_implILNS1_25lookback_scan_determinismE0ELb1ES3_N6thrust23THRUST_200600_302600_NS6detail15normal_iteratorINS9_10device_ptrIiEEEENSB_INSC_IyEEEESG_yNS9_4plusIvEENS9_8equal_toIvEEyEE10hipError_tPvRmT2_T3_T4_T5_mT6_T7_P12ihipStream_tbENKUlT_T0_E_clISt17integral_constantIbLb0EES10_IbLb1EEEEDaSW_SX_EUlSW_E_NS1_11comp_targetILNS1_3genE4ELNS1_11target_archE910ELNS1_3gpuE8ELNS1_3repE0EEENS1_30default_config_static_selectorELNS0_4arch9wavefront6targetE0EEEvT1_ ; -- Begin function _ZN7rocprim17ROCPRIM_400000_NS6detail17trampoline_kernelINS0_14default_configENS1_27scan_by_key_config_selectorIiyEEZZNS1_16scan_by_key_implILNS1_25lookback_scan_determinismE0ELb1ES3_N6thrust23THRUST_200600_302600_NS6detail15normal_iteratorINS9_10device_ptrIiEEEENSB_INSC_IyEEEESG_yNS9_4plusIvEENS9_8equal_toIvEEyEE10hipError_tPvRmT2_T3_T4_T5_mT6_T7_P12ihipStream_tbENKUlT_T0_E_clISt17integral_constantIbLb0EES10_IbLb1EEEEDaSW_SX_EUlSW_E_NS1_11comp_targetILNS1_3genE4ELNS1_11target_archE910ELNS1_3gpuE8ELNS1_3repE0EEENS1_30default_config_static_selectorELNS0_4arch9wavefront6targetE0EEEvT1_
	.globl	_ZN7rocprim17ROCPRIM_400000_NS6detail17trampoline_kernelINS0_14default_configENS1_27scan_by_key_config_selectorIiyEEZZNS1_16scan_by_key_implILNS1_25lookback_scan_determinismE0ELb1ES3_N6thrust23THRUST_200600_302600_NS6detail15normal_iteratorINS9_10device_ptrIiEEEENSB_INSC_IyEEEESG_yNS9_4plusIvEENS9_8equal_toIvEEyEE10hipError_tPvRmT2_T3_T4_T5_mT6_T7_P12ihipStream_tbENKUlT_T0_E_clISt17integral_constantIbLb0EES10_IbLb1EEEEDaSW_SX_EUlSW_E_NS1_11comp_targetILNS1_3genE4ELNS1_11target_archE910ELNS1_3gpuE8ELNS1_3repE0EEENS1_30default_config_static_selectorELNS0_4arch9wavefront6targetE0EEEvT1_
	.p2align	8
	.type	_ZN7rocprim17ROCPRIM_400000_NS6detail17trampoline_kernelINS0_14default_configENS1_27scan_by_key_config_selectorIiyEEZZNS1_16scan_by_key_implILNS1_25lookback_scan_determinismE0ELb1ES3_N6thrust23THRUST_200600_302600_NS6detail15normal_iteratorINS9_10device_ptrIiEEEENSB_INSC_IyEEEESG_yNS9_4plusIvEENS9_8equal_toIvEEyEE10hipError_tPvRmT2_T3_T4_T5_mT6_T7_P12ihipStream_tbENKUlT_T0_E_clISt17integral_constantIbLb0EES10_IbLb1EEEEDaSW_SX_EUlSW_E_NS1_11comp_targetILNS1_3genE4ELNS1_11target_archE910ELNS1_3gpuE8ELNS1_3repE0EEENS1_30default_config_static_selectorELNS0_4arch9wavefront6targetE0EEEvT1_,@function
_ZN7rocprim17ROCPRIM_400000_NS6detail17trampoline_kernelINS0_14default_configENS1_27scan_by_key_config_selectorIiyEEZZNS1_16scan_by_key_implILNS1_25lookback_scan_determinismE0ELb1ES3_N6thrust23THRUST_200600_302600_NS6detail15normal_iteratorINS9_10device_ptrIiEEEENSB_INSC_IyEEEESG_yNS9_4plusIvEENS9_8equal_toIvEEyEE10hipError_tPvRmT2_T3_T4_T5_mT6_T7_P12ihipStream_tbENKUlT_T0_E_clISt17integral_constantIbLb0EES10_IbLb1EEEEDaSW_SX_EUlSW_E_NS1_11comp_targetILNS1_3genE4ELNS1_11target_archE910ELNS1_3gpuE8ELNS1_3repE0EEENS1_30default_config_static_selectorELNS0_4arch9wavefront6targetE0EEEvT1_: ; @_ZN7rocprim17ROCPRIM_400000_NS6detail17trampoline_kernelINS0_14default_configENS1_27scan_by_key_config_selectorIiyEEZZNS1_16scan_by_key_implILNS1_25lookback_scan_determinismE0ELb1ES3_N6thrust23THRUST_200600_302600_NS6detail15normal_iteratorINS9_10device_ptrIiEEEENSB_INSC_IyEEEESG_yNS9_4plusIvEENS9_8equal_toIvEEyEE10hipError_tPvRmT2_T3_T4_T5_mT6_T7_P12ihipStream_tbENKUlT_T0_E_clISt17integral_constantIbLb0EES10_IbLb1EEEEDaSW_SX_EUlSW_E_NS1_11comp_targetILNS1_3genE4ELNS1_11target_archE910ELNS1_3gpuE8ELNS1_3repE0EEENS1_30default_config_static_selectorELNS0_4arch9wavefront6targetE0EEEvT1_
; %bb.0:
	.section	.rodata,"a",@progbits
	.p2align	6, 0x0
	.amdhsa_kernel _ZN7rocprim17ROCPRIM_400000_NS6detail17trampoline_kernelINS0_14default_configENS1_27scan_by_key_config_selectorIiyEEZZNS1_16scan_by_key_implILNS1_25lookback_scan_determinismE0ELb1ES3_N6thrust23THRUST_200600_302600_NS6detail15normal_iteratorINS9_10device_ptrIiEEEENSB_INSC_IyEEEESG_yNS9_4plusIvEENS9_8equal_toIvEEyEE10hipError_tPvRmT2_T3_T4_T5_mT6_T7_P12ihipStream_tbENKUlT_T0_E_clISt17integral_constantIbLb0EES10_IbLb1EEEEDaSW_SX_EUlSW_E_NS1_11comp_targetILNS1_3genE4ELNS1_11target_archE910ELNS1_3gpuE8ELNS1_3repE0EEENS1_30default_config_static_selectorELNS0_4arch9wavefront6targetE0EEEvT1_
		.amdhsa_group_segment_fixed_size 0
		.amdhsa_private_segment_fixed_size 0
		.amdhsa_kernarg_size 136
		.amdhsa_user_sgpr_count 2
		.amdhsa_user_sgpr_dispatch_ptr 0
		.amdhsa_user_sgpr_queue_ptr 0
		.amdhsa_user_sgpr_kernarg_segment_ptr 1
		.amdhsa_user_sgpr_dispatch_id 0
		.amdhsa_user_sgpr_kernarg_preload_length 0
		.amdhsa_user_sgpr_kernarg_preload_offset 0
		.amdhsa_user_sgpr_private_segment_size 0
		.amdhsa_wavefront_size32 1
		.amdhsa_uses_dynamic_stack 0
		.amdhsa_enable_private_segment 0
		.amdhsa_system_sgpr_workgroup_id_x 1
		.amdhsa_system_sgpr_workgroup_id_y 0
		.amdhsa_system_sgpr_workgroup_id_z 0
		.amdhsa_system_sgpr_workgroup_info 0
		.amdhsa_system_vgpr_workitem_id 0
		.amdhsa_next_free_vgpr 1
		.amdhsa_next_free_sgpr 1
		.amdhsa_named_barrier_count 0
		.amdhsa_reserve_vcc 0
		.amdhsa_float_round_mode_32 0
		.amdhsa_float_round_mode_16_64 0
		.amdhsa_float_denorm_mode_32 3
		.amdhsa_float_denorm_mode_16_64 3
		.amdhsa_fp16_overflow 0
		.amdhsa_memory_ordered 1
		.amdhsa_forward_progress 1
		.amdhsa_inst_pref_size 0
		.amdhsa_round_robin_scheduling 0
		.amdhsa_exception_fp_ieee_invalid_op 0
		.amdhsa_exception_fp_denorm_src 0
		.amdhsa_exception_fp_ieee_div_zero 0
		.amdhsa_exception_fp_ieee_overflow 0
		.amdhsa_exception_fp_ieee_underflow 0
		.amdhsa_exception_fp_ieee_inexact 0
		.amdhsa_exception_int_div_zero 0
	.end_amdhsa_kernel
	.section	.text._ZN7rocprim17ROCPRIM_400000_NS6detail17trampoline_kernelINS0_14default_configENS1_27scan_by_key_config_selectorIiyEEZZNS1_16scan_by_key_implILNS1_25lookback_scan_determinismE0ELb1ES3_N6thrust23THRUST_200600_302600_NS6detail15normal_iteratorINS9_10device_ptrIiEEEENSB_INSC_IyEEEESG_yNS9_4plusIvEENS9_8equal_toIvEEyEE10hipError_tPvRmT2_T3_T4_T5_mT6_T7_P12ihipStream_tbENKUlT_T0_E_clISt17integral_constantIbLb0EES10_IbLb1EEEEDaSW_SX_EUlSW_E_NS1_11comp_targetILNS1_3genE4ELNS1_11target_archE910ELNS1_3gpuE8ELNS1_3repE0EEENS1_30default_config_static_selectorELNS0_4arch9wavefront6targetE0EEEvT1_,"axG",@progbits,_ZN7rocprim17ROCPRIM_400000_NS6detail17trampoline_kernelINS0_14default_configENS1_27scan_by_key_config_selectorIiyEEZZNS1_16scan_by_key_implILNS1_25lookback_scan_determinismE0ELb1ES3_N6thrust23THRUST_200600_302600_NS6detail15normal_iteratorINS9_10device_ptrIiEEEENSB_INSC_IyEEEESG_yNS9_4plusIvEENS9_8equal_toIvEEyEE10hipError_tPvRmT2_T3_T4_T5_mT6_T7_P12ihipStream_tbENKUlT_T0_E_clISt17integral_constantIbLb0EES10_IbLb1EEEEDaSW_SX_EUlSW_E_NS1_11comp_targetILNS1_3genE4ELNS1_11target_archE910ELNS1_3gpuE8ELNS1_3repE0EEENS1_30default_config_static_selectorELNS0_4arch9wavefront6targetE0EEEvT1_,comdat
.Lfunc_end1493:
	.size	_ZN7rocprim17ROCPRIM_400000_NS6detail17trampoline_kernelINS0_14default_configENS1_27scan_by_key_config_selectorIiyEEZZNS1_16scan_by_key_implILNS1_25lookback_scan_determinismE0ELb1ES3_N6thrust23THRUST_200600_302600_NS6detail15normal_iteratorINS9_10device_ptrIiEEEENSB_INSC_IyEEEESG_yNS9_4plusIvEENS9_8equal_toIvEEyEE10hipError_tPvRmT2_T3_T4_T5_mT6_T7_P12ihipStream_tbENKUlT_T0_E_clISt17integral_constantIbLb0EES10_IbLb1EEEEDaSW_SX_EUlSW_E_NS1_11comp_targetILNS1_3genE4ELNS1_11target_archE910ELNS1_3gpuE8ELNS1_3repE0EEENS1_30default_config_static_selectorELNS0_4arch9wavefront6targetE0EEEvT1_, .Lfunc_end1493-_ZN7rocprim17ROCPRIM_400000_NS6detail17trampoline_kernelINS0_14default_configENS1_27scan_by_key_config_selectorIiyEEZZNS1_16scan_by_key_implILNS1_25lookback_scan_determinismE0ELb1ES3_N6thrust23THRUST_200600_302600_NS6detail15normal_iteratorINS9_10device_ptrIiEEEENSB_INSC_IyEEEESG_yNS9_4plusIvEENS9_8equal_toIvEEyEE10hipError_tPvRmT2_T3_T4_T5_mT6_T7_P12ihipStream_tbENKUlT_T0_E_clISt17integral_constantIbLb0EES10_IbLb1EEEEDaSW_SX_EUlSW_E_NS1_11comp_targetILNS1_3genE4ELNS1_11target_archE910ELNS1_3gpuE8ELNS1_3repE0EEENS1_30default_config_static_selectorELNS0_4arch9wavefront6targetE0EEEvT1_
                                        ; -- End function
	.set _ZN7rocprim17ROCPRIM_400000_NS6detail17trampoline_kernelINS0_14default_configENS1_27scan_by_key_config_selectorIiyEEZZNS1_16scan_by_key_implILNS1_25lookback_scan_determinismE0ELb1ES3_N6thrust23THRUST_200600_302600_NS6detail15normal_iteratorINS9_10device_ptrIiEEEENSB_INSC_IyEEEESG_yNS9_4plusIvEENS9_8equal_toIvEEyEE10hipError_tPvRmT2_T3_T4_T5_mT6_T7_P12ihipStream_tbENKUlT_T0_E_clISt17integral_constantIbLb0EES10_IbLb1EEEEDaSW_SX_EUlSW_E_NS1_11comp_targetILNS1_3genE4ELNS1_11target_archE910ELNS1_3gpuE8ELNS1_3repE0EEENS1_30default_config_static_selectorELNS0_4arch9wavefront6targetE0EEEvT1_.num_vgpr, 0
	.set _ZN7rocprim17ROCPRIM_400000_NS6detail17trampoline_kernelINS0_14default_configENS1_27scan_by_key_config_selectorIiyEEZZNS1_16scan_by_key_implILNS1_25lookback_scan_determinismE0ELb1ES3_N6thrust23THRUST_200600_302600_NS6detail15normal_iteratorINS9_10device_ptrIiEEEENSB_INSC_IyEEEESG_yNS9_4plusIvEENS9_8equal_toIvEEyEE10hipError_tPvRmT2_T3_T4_T5_mT6_T7_P12ihipStream_tbENKUlT_T0_E_clISt17integral_constantIbLb0EES10_IbLb1EEEEDaSW_SX_EUlSW_E_NS1_11comp_targetILNS1_3genE4ELNS1_11target_archE910ELNS1_3gpuE8ELNS1_3repE0EEENS1_30default_config_static_selectorELNS0_4arch9wavefront6targetE0EEEvT1_.num_agpr, 0
	.set _ZN7rocprim17ROCPRIM_400000_NS6detail17trampoline_kernelINS0_14default_configENS1_27scan_by_key_config_selectorIiyEEZZNS1_16scan_by_key_implILNS1_25lookback_scan_determinismE0ELb1ES3_N6thrust23THRUST_200600_302600_NS6detail15normal_iteratorINS9_10device_ptrIiEEEENSB_INSC_IyEEEESG_yNS9_4plusIvEENS9_8equal_toIvEEyEE10hipError_tPvRmT2_T3_T4_T5_mT6_T7_P12ihipStream_tbENKUlT_T0_E_clISt17integral_constantIbLb0EES10_IbLb1EEEEDaSW_SX_EUlSW_E_NS1_11comp_targetILNS1_3genE4ELNS1_11target_archE910ELNS1_3gpuE8ELNS1_3repE0EEENS1_30default_config_static_selectorELNS0_4arch9wavefront6targetE0EEEvT1_.numbered_sgpr, 0
	.set _ZN7rocprim17ROCPRIM_400000_NS6detail17trampoline_kernelINS0_14default_configENS1_27scan_by_key_config_selectorIiyEEZZNS1_16scan_by_key_implILNS1_25lookback_scan_determinismE0ELb1ES3_N6thrust23THRUST_200600_302600_NS6detail15normal_iteratorINS9_10device_ptrIiEEEENSB_INSC_IyEEEESG_yNS9_4plusIvEENS9_8equal_toIvEEyEE10hipError_tPvRmT2_T3_T4_T5_mT6_T7_P12ihipStream_tbENKUlT_T0_E_clISt17integral_constantIbLb0EES10_IbLb1EEEEDaSW_SX_EUlSW_E_NS1_11comp_targetILNS1_3genE4ELNS1_11target_archE910ELNS1_3gpuE8ELNS1_3repE0EEENS1_30default_config_static_selectorELNS0_4arch9wavefront6targetE0EEEvT1_.num_named_barrier, 0
	.set _ZN7rocprim17ROCPRIM_400000_NS6detail17trampoline_kernelINS0_14default_configENS1_27scan_by_key_config_selectorIiyEEZZNS1_16scan_by_key_implILNS1_25lookback_scan_determinismE0ELb1ES3_N6thrust23THRUST_200600_302600_NS6detail15normal_iteratorINS9_10device_ptrIiEEEENSB_INSC_IyEEEESG_yNS9_4plusIvEENS9_8equal_toIvEEyEE10hipError_tPvRmT2_T3_T4_T5_mT6_T7_P12ihipStream_tbENKUlT_T0_E_clISt17integral_constantIbLb0EES10_IbLb1EEEEDaSW_SX_EUlSW_E_NS1_11comp_targetILNS1_3genE4ELNS1_11target_archE910ELNS1_3gpuE8ELNS1_3repE0EEENS1_30default_config_static_selectorELNS0_4arch9wavefront6targetE0EEEvT1_.private_seg_size, 0
	.set _ZN7rocprim17ROCPRIM_400000_NS6detail17trampoline_kernelINS0_14default_configENS1_27scan_by_key_config_selectorIiyEEZZNS1_16scan_by_key_implILNS1_25lookback_scan_determinismE0ELb1ES3_N6thrust23THRUST_200600_302600_NS6detail15normal_iteratorINS9_10device_ptrIiEEEENSB_INSC_IyEEEESG_yNS9_4plusIvEENS9_8equal_toIvEEyEE10hipError_tPvRmT2_T3_T4_T5_mT6_T7_P12ihipStream_tbENKUlT_T0_E_clISt17integral_constantIbLb0EES10_IbLb1EEEEDaSW_SX_EUlSW_E_NS1_11comp_targetILNS1_3genE4ELNS1_11target_archE910ELNS1_3gpuE8ELNS1_3repE0EEENS1_30default_config_static_selectorELNS0_4arch9wavefront6targetE0EEEvT1_.uses_vcc, 0
	.set _ZN7rocprim17ROCPRIM_400000_NS6detail17trampoline_kernelINS0_14default_configENS1_27scan_by_key_config_selectorIiyEEZZNS1_16scan_by_key_implILNS1_25lookback_scan_determinismE0ELb1ES3_N6thrust23THRUST_200600_302600_NS6detail15normal_iteratorINS9_10device_ptrIiEEEENSB_INSC_IyEEEESG_yNS9_4plusIvEENS9_8equal_toIvEEyEE10hipError_tPvRmT2_T3_T4_T5_mT6_T7_P12ihipStream_tbENKUlT_T0_E_clISt17integral_constantIbLb0EES10_IbLb1EEEEDaSW_SX_EUlSW_E_NS1_11comp_targetILNS1_3genE4ELNS1_11target_archE910ELNS1_3gpuE8ELNS1_3repE0EEENS1_30default_config_static_selectorELNS0_4arch9wavefront6targetE0EEEvT1_.uses_flat_scratch, 0
	.set _ZN7rocprim17ROCPRIM_400000_NS6detail17trampoline_kernelINS0_14default_configENS1_27scan_by_key_config_selectorIiyEEZZNS1_16scan_by_key_implILNS1_25lookback_scan_determinismE0ELb1ES3_N6thrust23THRUST_200600_302600_NS6detail15normal_iteratorINS9_10device_ptrIiEEEENSB_INSC_IyEEEESG_yNS9_4plusIvEENS9_8equal_toIvEEyEE10hipError_tPvRmT2_T3_T4_T5_mT6_T7_P12ihipStream_tbENKUlT_T0_E_clISt17integral_constantIbLb0EES10_IbLb1EEEEDaSW_SX_EUlSW_E_NS1_11comp_targetILNS1_3genE4ELNS1_11target_archE910ELNS1_3gpuE8ELNS1_3repE0EEENS1_30default_config_static_selectorELNS0_4arch9wavefront6targetE0EEEvT1_.has_dyn_sized_stack, 0
	.set _ZN7rocprim17ROCPRIM_400000_NS6detail17trampoline_kernelINS0_14default_configENS1_27scan_by_key_config_selectorIiyEEZZNS1_16scan_by_key_implILNS1_25lookback_scan_determinismE0ELb1ES3_N6thrust23THRUST_200600_302600_NS6detail15normal_iteratorINS9_10device_ptrIiEEEENSB_INSC_IyEEEESG_yNS9_4plusIvEENS9_8equal_toIvEEyEE10hipError_tPvRmT2_T3_T4_T5_mT6_T7_P12ihipStream_tbENKUlT_T0_E_clISt17integral_constantIbLb0EES10_IbLb1EEEEDaSW_SX_EUlSW_E_NS1_11comp_targetILNS1_3genE4ELNS1_11target_archE910ELNS1_3gpuE8ELNS1_3repE0EEENS1_30default_config_static_selectorELNS0_4arch9wavefront6targetE0EEEvT1_.has_recursion, 0
	.set _ZN7rocprim17ROCPRIM_400000_NS6detail17trampoline_kernelINS0_14default_configENS1_27scan_by_key_config_selectorIiyEEZZNS1_16scan_by_key_implILNS1_25lookback_scan_determinismE0ELb1ES3_N6thrust23THRUST_200600_302600_NS6detail15normal_iteratorINS9_10device_ptrIiEEEENSB_INSC_IyEEEESG_yNS9_4plusIvEENS9_8equal_toIvEEyEE10hipError_tPvRmT2_T3_T4_T5_mT6_T7_P12ihipStream_tbENKUlT_T0_E_clISt17integral_constantIbLb0EES10_IbLb1EEEEDaSW_SX_EUlSW_E_NS1_11comp_targetILNS1_3genE4ELNS1_11target_archE910ELNS1_3gpuE8ELNS1_3repE0EEENS1_30default_config_static_selectorELNS0_4arch9wavefront6targetE0EEEvT1_.has_indirect_call, 0
	.section	.AMDGPU.csdata,"",@progbits
; Kernel info:
; codeLenInByte = 0
; TotalNumSgprs: 0
; NumVgprs: 0
; ScratchSize: 0
; MemoryBound: 0
; FloatMode: 240
; IeeeMode: 1
; LDSByteSize: 0 bytes/workgroup (compile time only)
; SGPRBlocks: 0
; VGPRBlocks: 0
; NumSGPRsForWavesPerEU: 1
; NumVGPRsForWavesPerEU: 1
; NamedBarCnt: 0
; Occupancy: 16
; WaveLimiterHint : 0
; COMPUTE_PGM_RSRC2:SCRATCH_EN: 0
; COMPUTE_PGM_RSRC2:USER_SGPR: 2
; COMPUTE_PGM_RSRC2:TRAP_HANDLER: 0
; COMPUTE_PGM_RSRC2:TGID_X_EN: 1
; COMPUTE_PGM_RSRC2:TGID_Y_EN: 0
; COMPUTE_PGM_RSRC2:TGID_Z_EN: 0
; COMPUTE_PGM_RSRC2:TIDIG_COMP_CNT: 0
	.section	.text._ZN7rocprim17ROCPRIM_400000_NS6detail17trampoline_kernelINS0_14default_configENS1_27scan_by_key_config_selectorIiyEEZZNS1_16scan_by_key_implILNS1_25lookback_scan_determinismE0ELb1ES3_N6thrust23THRUST_200600_302600_NS6detail15normal_iteratorINS9_10device_ptrIiEEEENSB_INSC_IyEEEESG_yNS9_4plusIvEENS9_8equal_toIvEEyEE10hipError_tPvRmT2_T3_T4_T5_mT6_T7_P12ihipStream_tbENKUlT_T0_E_clISt17integral_constantIbLb0EES10_IbLb1EEEEDaSW_SX_EUlSW_E_NS1_11comp_targetILNS1_3genE3ELNS1_11target_archE908ELNS1_3gpuE7ELNS1_3repE0EEENS1_30default_config_static_selectorELNS0_4arch9wavefront6targetE0EEEvT1_,"axG",@progbits,_ZN7rocprim17ROCPRIM_400000_NS6detail17trampoline_kernelINS0_14default_configENS1_27scan_by_key_config_selectorIiyEEZZNS1_16scan_by_key_implILNS1_25lookback_scan_determinismE0ELb1ES3_N6thrust23THRUST_200600_302600_NS6detail15normal_iteratorINS9_10device_ptrIiEEEENSB_INSC_IyEEEESG_yNS9_4plusIvEENS9_8equal_toIvEEyEE10hipError_tPvRmT2_T3_T4_T5_mT6_T7_P12ihipStream_tbENKUlT_T0_E_clISt17integral_constantIbLb0EES10_IbLb1EEEEDaSW_SX_EUlSW_E_NS1_11comp_targetILNS1_3genE3ELNS1_11target_archE908ELNS1_3gpuE7ELNS1_3repE0EEENS1_30default_config_static_selectorELNS0_4arch9wavefront6targetE0EEEvT1_,comdat
	.protected	_ZN7rocprim17ROCPRIM_400000_NS6detail17trampoline_kernelINS0_14default_configENS1_27scan_by_key_config_selectorIiyEEZZNS1_16scan_by_key_implILNS1_25lookback_scan_determinismE0ELb1ES3_N6thrust23THRUST_200600_302600_NS6detail15normal_iteratorINS9_10device_ptrIiEEEENSB_INSC_IyEEEESG_yNS9_4plusIvEENS9_8equal_toIvEEyEE10hipError_tPvRmT2_T3_T4_T5_mT6_T7_P12ihipStream_tbENKUlT_T0_E_clISt17integral_constantIbLb0EES10_IbLb1EEEEDaSW_SX_EUlSW_E_NS1_11comp_targetILNS1_3genE3ELNS1_11target_archE908ELNS1_3gpuE7ELNS1_3repE0EEENS1_30default_config_static_selectorELNS0_4arch9wavefront6targetE0EEEvT1_ ; -- Begin function _ZN7rocprim17ROCPRIM_400000_NS6detail17trampoline_kernelINS0_14default_configENS1_27scan_by_key_config_selectorIiyEEZZNS1_16scan_by_key_implILNS1_25lookback_scan_determinismE0ELb1ES3_N6thrust23THRUST_200600_302600_NS6detail15normal_iteratorINS9_10device_ptrIiEEEENSB_INSC_IyEEEESG_yNS9_4plusIvEENS9_8equal_toIvEEyEE10hipError_tPvRmT2_T3_T4_T5_mT6_T7_P12ihipStream_tbENKUlT_T0_E_clISt17integral_constantIbLb0EES10_IbLb1EEEEDaSW_SX_EUlSW_E_NS1_11comp_targetILNS1_3genE3ELNS1_11target_archE908ELNS1_3gpuE7ELNS1_3repE0EEENS1_30default_config_static_selectorELNS0_4arch9wavefront6targetE0EEEvT1_
	.globl	_ZN7rocprim17ROCPRIM_400000_NS6detail17trampoline_kernelINS0_14default_configENS1_27scan_by_key_config_selectorIiyEEZZNS1_16scan_by_key_implILNS1_25lookback_scan_determinismE0ELb1ES3_N6thrust23THRUST_200600_302600_NS6detail15normal_iteratorINS9_10device_ptrIiEEEENSB_INSC_IyEEEESG_yNS9_4plusIvEENS9_8equal_toIvEEyEE10hipError_tPvRmT2_T3_T4_T5_mT6_T7_P12ihipStream_tbENKUlT_T0_E_clISt17integral_constantIbLb0EES10_IbLb1EEEEDaSW_SX_EUlSW_E_NS1_11comp_targetILNS1_3genE3ELNS1_11target_archE908ELNS1_3gpuE7ELNS1_3repE0EEENS1_30default_config_static_selectorELNS0_4arch9wavefront6targetE0EEEvT1_
	.p2align	8
	.type	_ZN7rocprim17ROCPRIM_400000_NS6detail17trampoline_kernelINS0_14default_configENS1_27scan_by_key_config_selectorIiyEEZZNS1_16scan_by_key_implILNS1_25lookback_scan_determinismE0ELb1ES3_N6thrust23THRUST_200600_302600_NS6detail15normal_iteratorINS9_10device_ptrIiEEEENSB_INSC_IyEEEESG_yNS9_4plusIvEENS9_8equal_toIvEEyEE10hipError_tPvRmT2_T3_T4_T5_mT6_T7_P12ihipStream_tbENKUlT_T0_E_clISt17integral_constantIbLb0EES10_IbLb1EEEEDaSW_SX_EUlSW_E_NS1_11comp_targetILNS1_3genE3ELNS1_11target_archE908ELNS1_3gpuE7ELNS1_3repE0EEENS1_30default_config_static_selectorELNS0_4arch9wavefront6targetE0EEEvT1_,@function
_ZN7rocprim17ROCPRIM_400000_NS6detail17trampoline_kernelINS0_14default_configENS1_27scan_by_key_config_selectorIiyEEZZNS1_16scan_by_key_implILNS1_25lookback_scan_determinismE0ELb1ES3_N6thrust23THRUST_200600_302600_NS6detail15normal_iteratorINS9_10device_ptrIiEEEENSB_INSC_IyEEEESG_yNS9_4plusIvEENS9_8equal_toIvEEyEE10hipError_tPvRmT2_T3_T4_T5_mT6_T7_P12ihipStream_tbENKUlT_T0_E_clISt17integral_constantIbLb0EES10_IbLb1EEEEDaSW_SX_EUlSW_E_NS1_11comp_targetILNS1_3genE3ELNS1_11target_archE908ELNS1_3gpuE7ELNS1_3repE0EEENS1_30default_config_static_selectorELNS0_4arch9wavefront6targetE0EEEvT1_: ; @_ZN7rocprim17ROCPRIM_400000_NS6detail17trampoline_kernelINS0_14default_configENS1_27scan_by_key_config_selectorIiyEEZZNS1_16scan_by_key_implILNS1_25lookback_scan_determinismE0ELb1ES3_N6thrust23THRUST_200600_302600_NS6detail15normal_iteratorINS9_10device_ptrIiEEEENSB_INSC_IyEEEESG_yNS9_4plusIvEENS9_8equal_toIvEEyEE10hipError_tPvRmT2_T3_T4_T5_mT6_T7_P12ihipStream_tbENKUlT_T0_E_clISt17integral_constantIbLb0EES10_IbLb1EEEEDaSW_SX_EUlSW_E_NS1_11comp_targetILNS1_3genE3ELNS1_11target_archE908ELNS1_3gpuE7ELNS1_3repE0EEENS1_30default_config_static_selectorELNS0_4arch9wavefront6targetE0EEEvT1_
; %bb.0:
	.section	.rodata,"a",@progbits
	.p2align	6, 0x0
	.amdhsa_kernel _ZN7rocprim17ROCPRIM_400000_NS6detail17trampoline_kernelINS0_14default_configENS1_27scan_by_key_config_selectorIiyEEZZNS1_16scan_by_key_implILNS1_25lookback_scan_determinismE0ELb1ES3_N6thrust23THRUST_200600_302600_NS6detail15normal_iteratorINS9_10device_ptrIiEEEENSB_INSC_IyEEEESG_yNS9_4plusIvEENS9_8equal_toIvEEyEE10hipError_tPvRmT2_T3_T4_T5_mT6_T7_P12ihipStream_tbENKUlT_T0_E_clISt17integral_constantIbLb0EES10_IbLb1EEEEDaSW_SX_EUlSW_E_NS1_11comp_targetILNS1_3genE3ELNS1_11target_archE908ELNS1_3gpuE7ELNS1_3repE0EEENS1_30default_config_static_selectorELNS0_4arch9wavefront6targetE0EEEvT1_
		.amdhsa_group_segment_fixed_size 0
		.amdhsa_private_segment_fixed_size 0
		.amdhsa_kernarg_size 136
		.amdhsa_user_sgpr_count 2
		.amdhsa_user_sgpr_dispatch_ptr 0
		.amdhsa_user_sgpr_queue_ptr 0
		.amdhsa_user_sgpr_kernarg_segment_ptr 1
		.amdhsa_user_sgpr_dispatch_id 0
		.amdhsa_user_sgpr_kernarg_preload_length 0
		.amdhsa_user_sgpr_kernarg_preload_offset 0
		.amdhsa_user_sgpr_private_segment_size 0
		.amdhsa_wavefront_size32 1
		.amdhsa_uses_dynamic_stack 0
		.amdhsa_enable_private_segment 0
		.amdhsa_system_sgpr_workgroup_id_x 1
		.amdhsa_system_sgpr_workgroup_id_y 0
		.amdhsa_system_sgpr_workgroup_id_z 0
		.amdhsa_system_sgpr_workgroup_info 0
		.amdhsa_system_vgpr_workitem_id 0
		.amdhsa_next_free_vgpr 1
		.amdhsa_next_free_sgpr 1
		.amdhsa_named_barrier_count 0
		.amdhsa_reserve_vcc 0
		.amdhsa_float_round_mode_32 0
		.amdhsa_float_round_mode_16_64 0
		.amdhsa_float_denorm_mode_32 3
		.amdhsa_float_denorm_mode_16_64 3
		.amdhsa_fp16_overflow 0
		.amdhsa_memory_ordered 1
		.amdhsa_forward_progress 1
		.amdhsa_inst_pref_size 0
		.amdhsa_round_robin_scheduling 0
		.amdhsa_exception_fp_ieee_invalid_op 0
		.amdhsa_exception_fp_denorm_src 0
		.amdhsa_exception_fp_ieee_div_zero 0
		.amdhsa_exception_fp_ieee_overflow 0
		.amdhsa_exception_fp_ieee_underflow 0
		.amdhsa_exception_fp_ieee_inexact 0
		.amdhsa_exception_int_div_zero 0
	.end_amdhsa_kernel
	.section	.text._ZN7rocprim17ROCPRIM_400000_NS6detail17trampoline_kernelINS0_14default_configENS1_27scan_by_key_config_selectorIiyEEZZNS1_16scan_by_key_implILNS1_25lookback_scan_determinismE0ELb1ES3_N6thrust23THRUST_200600_302600_NS6detail15normal_iteratorINS9_10device_ptrIiEEEENSB_INSC_IyEEEESG_yNS9_4plusIvEENS9_8equal_toIvEEyEE10hipError_tPvRmT2_T3_T4_T5_mT6_T7_P12ihipStream_tbENKUlT_T0_E_clISt17integral_constantIbLb0EES10_IbLb1EEEEDaSW_SX_EUlSW_E_NS1_11comp_targetILNS1_3genE3ELNS1_11target_archE908ELNS1_3gpuE7ELNS1_3repE0EEENS1_30default_config_static_selectorELNS0_4arch9wavefront6targetE0EEEvT1_,"axG",@progbits,_ZN7rocprim17ROCPRIM_400000_NS6detail17trampoline_kernelINS0_14default_configENS1_27scan_by_key_config_selectorIiyEEZZNS1_16scan_by_key_implILNS1_25lookback_scan_determinismE0ELb1ES3_N6thrust23THRUST_200600_302600_NS6detail15normal_iteratorINS9_10device_ptrIiEEEENSB_INSC_IyEEEESG_yNS9_4plusIvEENS9_8equal_toIvEEyEE10hipError_tPvRmT2_T3_T4_T5_mT6_T7_P12ihipStream_tbENKUlT_T0_E_clISt17integral_constantIbLb0EES10_IbLb1EEEEDaSW_SX_EUlSW_E_NS1_11comp_targetILNS1_3genE3ELNS1_11target_archE908ELNS1_3gpuE7ELNS1_3repE0EEENS1_30default_config_static_selectorELNS0_4arch9wavefront6targetE0EEEvT1_,comdat
.Lfunc_end1494:
	.size	_ZN7rocprim17ROCPRIM_400000_NS6detail17trampoline_kernelINS0_14default_configENS1_27scan_by_key_config_selectorIiyEEZZNS1_16scan_by_key_implILNS1_25lookback_scan_determinismE0ELb1ES3_N6thrust23THRUST_200600_302600_NS6detail15normal_iteratorINS9_10device_ptrIiEEEENSB_INSC_IyEEEESG_yNS9_4plusIvEENS9_8equal_toIvEEyEE10hipError_tPvRmT2_T3_T4_T5_mT6_T7_P12ihipStream_tbENKUlT_T0_E_clISt17integral_constantIbLb0EES10_IbLb1EEEEDaSW_SX_EUlSW_E_NS1_11comp_targetILNS1_3genE3ELNS1_11target_archE908ELNS1_3gpuE7ELNS1_3repE0EEENS1_30default_config_static_selectorELNS0_4arch9wavefront6targetE0EEEvT1_, .Lfunc_end1494-_ZN7rocprim17ROCPRIM_400000_NS6detail17trampoline_kernelINS0_14default_configENS1_27scan_by_key_config_selectorIiyEEZZNS1_16scan_by_key_implILNS1_25lookback_scan_determinismE0ELb1ES3_N6thrust23THRUST_200600_302600_NS6detail15normal_iteratorINS9_10device_ptrIiEEEENSB_INSC_IyEEEESG_yNS9_4plusIvEENS9_8equal_toIvEEyEE10hipError_tPvRmT2_T3_T4_T5_mT6_T7_P12ihipStream_tbENKUlT_T0_E_clISt17integral_constantIbLb0EES10_IbLb1EEEEDaSW_SX_EUlSW_E_NS1_11comp_targetILNS1_3genE3ELNS1_11target_archE908ELNS1_3gpuE7ELNS1_3repE0EEENS1_30default_config_static_selectorELNS0_4arch9wavefront6targetE0EEEvT1_
                                        ; -- End function
	.set _ZN7rocprim17ROCPRIM_400000_NS6detail17trampoline_kernelINS0_14default_configENS1_27scan_by_key_config_selectorIiyEEZZNS1_16scan_by_key_implILNS1_25lookback_scan_determinismE0ELb1ES3_N6thrust23THRUST_200600_302600_NS6detail15normal_iteratorINS9_10device_ptrIiEEEENSB_INSC_IyEEEESG_yNS9_4plusIvEENS9_8equal_toIvEEyEE10hipError_tPvRmT2_T3_T4_T5_mT6_T7_P12ihipStream_tbENKUlT_T0_E_clISt17integral_constantIbLb0EES10_IbLb1EEEEDaSW_SX_EUlSW_E_NS1_11comp_targetILNS1_3genE3ELNS1_11target_archE908ELNS1_3gpuE7ELNS1_3repE0EEENS1_30default_config_static_selectorELNS0_4arch9wavefront6targetE0EEEvT1_.num_vgpr, 0
	.set _ZN7rocprim17ROCPRIM_400000_NS6detail17trampoline_kernelINS0_14default_configENS1_27scan_by_key_config_selectorIiyEEZZNS1_16scan_by_key_implILNS1_25lookback_scan_determinismE0ELb1ES3_N6thrust23THRUST_200600_302600_NS6detail15normal_iteratorINS9_10device_ptrIiEEEENSB_INSC_IyEEEESG_yNS9_4plusIvEENS9_8equal_toIvEEyEE10hipError_tPvRmT2_T3_T4_T5_mT6_T7_P12ihipStream_tbENKUlT_T0_E_clISt17integral_constantIbLb0EES10_IbLb1EEEEDaSW_SX_EUlSW_E_NS1_11comp_targetILNS1_3genE3ELNS1_11target_archE908ELNS1_3gpuE7ELNS1_3repE0EEENS1_30default_config_static_selectorELNS0_4arch9wavefront6targetE0EEEvT1_.num_agpr, 0
	.set _ZN7rocprim17ROCPRIM_400000_NS6detail17trampoline_kernelINS0_14default_configENS1_27scan_by_key_config_selectorIiyEEZZNS1_16scan_by_key_implILNS1_25lookback_scan_determinismE0ELb1ES3_N6thrust23THRUST_200600_302600_NS6detail15normal_iteratorINS9_10device_ptrIiEEEENSB_INSC_IyEEEESG_yNS9_4plusIvEENS9_8equal_toIvEEyEE10hipError_tPvRmT2_T3_T4_T5_mT6_T7_P12ihipStream_tbENKUlT_T0_E_clISt17integral_constantIbLb0EES10_IbLb1EEEEDaSW_SX_EUlSW_E_NS1_11comp_targetILNS1_3genE3ELNS1_11target_archE908ELNS1_3gpuE7ELNS1_3repE0EEENS1_30default_config_static_selectorELNS0_4arch9wavefront6targetE0EEEvT1_.numbered_sgpr, 0
	.set _ZN7rocprim17ROCPRIM_400000_NS6detail17trampoline_kernelINS0_14default_configENS1_27scan_by_key_config_selectorIiyEEZZNS1_16scan_by_key_implILNS1_25lookback_scan_determinismE0ELb1ES3_N6thrust23THRUST_200600_302600_NS6detail15normal_iteratorINS9_10device_ptrIiEEEENSB_INSC_IyEEEESG_yNS9_4plusIvEENS9_8equal_toIvEEyEE10hipError_tPvRmT2_T3_T4_T5_mT6_T7_P12ihipStream_tbENKUlT_T0_E_clISt17integral_constantIbLb0EES10_IbLb1EEEEDaSW_SX_EUlSW_E_NS1_11comp_targetILNS1_3genE3ELNS1_11target_archE908ELNS1_3gpuE7ELNS1_3repE0EEENS1_30default_config_static_selectorELNS0_4arch9wavefront6targetE0EEEvT1_.num_named_barrier, 0
	.set _ZN7rocprim17ROCPRIM_400000_NS6detail17trampoline_kernelINS0_14default_configENS1_27scan_by_key_config_selectorIiyEEZZNS1_16scan_by_key_implILNS1_25lookback_scan_determinismE0ELb1ES3_N6thrust23THRUST_200600_302600_NS6detail15normal_iteratorINS9_10device_ptrIiEEEENSB_INSC_IyEEEESG_yNS9_4plusIvEENS9_8equal_toIvEEyEE10hipError_tPvRmT2_T3_T4_T5_mT6_T7_P12ihipStream_tbENKUlT_T0_E_clISt17integral_constantIbLb0EES10_IbLb1EEEEDaSW_SX_EUlSW_E_NS1_11comp_targetILNS1_3genE3ELNS1_11target_archE908ELNS1_3gpuE7ELNS1_3repE0EEENS1_30default_config_static_selectorELNS0_4arch9wavefront6targetE0EEEvT1_.private_seg_size, 0
	.set _ZN7rocprim17ROCPRIM_400000_NS6detail17trampoline_kernelINS0_14default_configENS1_27scan_by_key_config_selectorIiyEEZZNS1_16scan_by_key_implILNS1_25lookback_scan_determinismE0ELb1ES3_N6thrust23THRUST_200600_302600_NS6detail15normal_iteratorINS9_10device_ptrIiEEEENSB_INSC_IyEEEESG_yNS9_4plusIvEENS9_8equal_toIvEEyEE10hipError_tPvRmT2_T3_T4_T5_mT6_T7_P12ihipStream_tbENKUlT_T0_E_clISt17integral_constantIbLb0EES10_IbLb1EEEEDaSW_SX_EUlSW_E_NS1_11comp_targetILNS1_3genE3ELNS1_11target_archE908ELNS1_3gpuE7ELNS1_3repE0EEENS1_30default_config_static_selectorELNS0_4arch9wavefront6targetE0EEEvT1_.uses_vcc, 0
	.set _ZN7rocprim17ROCPRIM_400000_NS6detail17trampoline_kernelINS0_14default_configENS1_27scan_by_key_config_selectorIiyEEZZNS1_16scan_by_key_implILNS1_25lookback_scan_determinismE0ELb1ES3_N6thrust23THRUST_200600_302600_NS6detail15normal_iteratorINS9_10device_ptrIiEEEENSB_INSC_IyEEEESG_yNS9_4plusIvEENS9_8equal_toIvEEyEE10hipError_tPvRmT2_T3_T4_T5_mT6_T7_P12ihipStream_tbENKUlT_T0_E_clISt17integral_constantIbLb0EES10_IbLb1EEEEDaSW_SX_EUlSW_E_NS1_11comp_targetILNS1_3genE3ELNS1_11target_archE908ELNS1_3gpuE7ELNS1_3repE0EEENS1_30default_config_static_selectorELNS0_4arch9wavefront6targetE0EEEvT1_.uses_flat_scratch, 0
	.set _ZN7rocprim17ROCPRIM_400000_NS6detail17trampoline_kernelINS0_14default_configENS1_27scan_by_key_config_selectorIiyEEZZNS1_16scan_by_key_implILNS1_25lookback_scan_determinismE0ELb1ES3_N6thrust23THRUST_200600_302600_NS6detail15normal_iteratorINS9_10device_ptrIiEEEENSB_INSC_IyEEEESG_yNS9_4plusIvEENS9_8equal_toIvEEyEE10hipError_tPvRmT2_T3_T4_T5_mT6_T7_P12ihipStream_tbENKUlT_T0_E_clISt17integral_constantIbLb0EES10_IbLb1EEEEDaSW_SX_EUlSW_E_NS1_11comp_targetILNS1_3genE3ELNS1_11target_archE908ELNS1_3gpuE7ELNS1_3repE0EEENS1_30default_config_static_selectorELNS0_4arch9wavefront6targetE0EEEvT1_.has_dyn_sized_stack, 0
	.set _ZN7rocprim17ROCPRIM_400000_NS6detail17trampoline_kernelINS0_14default_configENS1_27scan_by_key_config_selectorIiyEEZZNS1_16scan_by_key_implILNS1_25lookback_scan_determinismE0ELb1ES3_N6thrust23THRUST_200600_302600_NS6detail15normal_iteratorINS9_10device_ptrIiEEEENSB_INSC_IyEEEESG_yNS9_4plusIvEENS9_8equal_toIvEEyEE10hipError_tPvRmT2_T3_T4_T5_mT6_T7_P12ihipStream_tbENKUlT_T0_E_clISt17integral_constantIbLb0EES10_IbLb1EEEEDaSW_SX_EUlSW_E_NS1_11comp_targetILNS1_3genE3ELNS1_11target_archE908ELNS1_3gpuE7ELNS1_3repE0EEENS1_30default_config_static_selectorELNS0_4arch9wavefront6targetE0EEEvT1_.has_recursion, 0
	.set _ZN7rocprim17ROCPRIM_400000_NS6detail17trampoline_kernelINS0_14default_configENS1_27scan_by_key_config_selectorIiyEEZZNS1_16scan_by_key_implILNS1_25lookback_scan_determinismE0ELb1ES3_N6thrust23THRUST_200600_302600_NS6detail15normal_iteratorINS9_10device_ptrIiEEEENSB_INSC_IyEEEESG_yNS9_4plusIvEENS9_8equal_toIvEEyEE10hipError_tPvRmT2_T3_T4_T5_mT6_T7_P12ihipStream_tbENKUlT_T0_E_clISt17integral_constantIbLb0EES10_IbLb1EEEEDaSW_SX_EUlSW_E_NS1_11comp_targetILNS1_3genE3ELNS1_11target_archE908ELNS1_3gpuE7ELNS1_3repE0EEENS1_30default_config_static_selectorELNS0_4arch9wavefront6targetE0EEEvT1_.has_indirect_call, 0
	.section	.AMDGPU.csdata,"",@progbits
; Kernel info:
; codeLenInByte = 0
; TotalNumSgprs: 0
; NumVgprs: 0
; ScratchSize: 0
; MemoryBound: 0
; FloatMode: 240
; IeeeMode: 1
; LDSByteSize: 0 bytes/workgroup (compile time only)
; SGPRBlocks: 0
; VGPRBlocks: 0
; NumSGPRsForWavesPerEU: 1
; NumVGPRsForWavesPerEU: 1
; NamedBarCnt: 0
; Occupancy: 16
; WaveLimiterHint : 0
; COMPUTE_PGM_RSRC2:SCRATCH_EN: 0
; COMPUTE_PGM_RSRC2:USER_SGPR: 2
; COMPUTE_PGM_RSRC2:TRAP_HANDLER: 0
; COMPUTE_PGM_RSRC2:TGID_X_EN: 1
; COMPUTE_PGM_RSRC2:TGID_Y_EN: 0
; COMPUTE_PGM_RSRC2:TGID_Z_EN: 0
; COMPUTE_PGM_RSRC2:TIDIG_COMP_CNT: 0
	.section	.text._ZN7rocprim17ROCPRIM_400000_NS6detail17trampoline_kernelINS0_14default_configENS1_27scan_by_key_config_selectorIiyEEZZNS1_16scan_by_key_implILNS1_25lookback_scan_determinismE0ELb1ES3_N6thrust23THRUST_200600_302600_NS6detail15normal_iteratorINS9_10device_ptrIiEEEENSB_INSC_IyEEEESG_yNS9_4plusIvEENS9_8equal_toIvEEyEE10hipError_tPvRmT2_T3_T4_T5_mT6_T7_P12ihipStream_tbENKUlT_T0_E_clISt17integral_constantIbLb0EES10_IbLb1EEEEDaSW_SX_EUlSW_E_NS1_11comp_targetILNS1_3genE2ELNS1_11target_archE906ELNS1_3gpuE6ELNS1_3repE0EEENS1_30default_config_static_selectorELNS0_4arch9wavefront6targetE0EEEvT1_,"axG",@progbits,_ZN7rocprim17ROCPRIM_400000_NS6detail17trampoline_kernelINS0_14default_configENS1_27scan_by_key_config_selectorIiyEEZZNS1_16scan_by_key_implILNS1_25lookback_scan_determinismE0ELb1ES3_N6thrust23THRUST_200600_302600_NS6detail15normal_iteratorINS9_10device_ptrIiEEEENSB_INSC_IyEEEESG_yNS9_4plusIvEENS9_8equal_toIvEEyEE10hipError_tPvRmT2_T3_T4_T5_mT6_T7_P12ihipStream_tbENKUlT_T0_E_clISt17integral_constantIbLb0EES10_IbLb1EEEEDaSW_SX_EUlSW_E_NS1_11comp_targetILNS1_3genE2ELNS1_11target_archE906ELNS1_3gpuE6ELNS1_3repE0EEENS1_30default_config_static_selectorELNS0_4arch9wavefront6targetE0EEEvT1_,comdat
	.protected	_ZN7rocprim17ROCPRIM_400000_NS6detail17trampoline_kernelINS0_14default_configENS1_27scan_by_key_config_selectorIiyEEZZNS1_16scan_by_key_implILNS1_25lookback_scan_determinismE0ELb1ES3_N6thrust23THRUST_200600_302600_NS6detail15normal_iteratorINS9_10device_ptrIiEEEENSB_INSC_IyEEEESG_yNS9_4plusIvEENS9_8equal_toIvEEyEE10hipError_tPvRmT2_T3_T4_T5_mT6_T7_P12ihipStream_tbENKUlT_T0_E_clISt17integral_constantIbLb0EES10_IbLb1EEEEDaSW_SX_EUlSW_E_NS1_11comp_targetILNS1_3genE2ELNS1_11target_archE906ELNS1_3gpuE6ELNS1_3repE0EEENS1_30default_config_static_selectorELNS0_4arch9wavefront6targetE0EEEvT1_ ; -- Begin function _ZN7rocprim17ROCPRIM_400000_NS6detail17trampoline_kernelINS0_14default_configENS1_27scan_by_key_config_selectorIiyEEZZNS1_16scan_by_key_implILNS1_25lookback_scan_determinismE0ELb1ES3_N6thrust23THRUST_200600_302600_NS6detail15normal_iteratorINS9_10device_ptrIiEEEENSB_INSC_IyEEEESG_yNS9_4plusIvEENS9_8equal_toIvEEyEE10hipError_tPvRmT2_T3_T4_T5_mT6_T7_P12ihipStream_tbENKUlT_T0_E_clISt17integral_constantIbLb0EES10_IbLb1EEEEDaSW_SX_EUlSW_E_NS1_11comp_targetILNS1_3genE2ELNS1_11target_archE906ELNS1_3gpuE6ELNS1_3repE0EEENS1_30default_config_static_selectorELNS0_4arch9wavefront6targetE0EEEvT1_
	.globl	_ZN7rocprim17ROCPRIM_400000_NS6detail17trampoline_kernelINS0_14default_configENS1_27scan_by_key_config_selectorIiyEEZZNS1_16scan_by_key_implILNS1_25lookback_scan_determinismE0ELb1ES3_N6thrust23THRUST_200600_302600_NS6detail15normal_iteratorINS9_10device_ptrIiEEEENSB_INSC_IyEEEESG_yNS9_4plusIvEENS9_8equal_toIvEEyEE10hipError_tPvRmT2_T3_T4_T5_mT6_T7_P12ihipStream_tbENKUlT_T0_E_clISt17integral_constantIbLb0EES10_IbLb1EEEEDaSW_SX_EUlSW_E_NS1_11comp_targetILNS1_3genE2ELNS1_11target_archE906ELNS1_3gpuE6ELNS1_3repE0EEENS1_30default_config_static_selectorELNS0_4arch9wavefront6targetE0EEEvT1_
	.p2align	8
	.type	_ZN7rocprim17ROCPRIM_400000_NS6detail17trampoline_kernelINS0_14default_configENS1_27scan_by_key_config_selectorIiyEEZZNS1_16scan_by_key_implILNS1_25lookback_scan_determinismE0ELb1ES3_N6thrust23THRUST_200600_302600_NS6detail15normal_iteratorINS9_10device_ptrIiEEEENSB_INSC_IyEEEESG_yNS9_4plusIvEENS9_8equal_toIvEEyEE10hipError_tPvRmT2_T3_T4_T5_mT6_T7_P12ihipStream_tbENKUlT_T0_E_clISt17integral_constantIbLb0EES10_IbLb1EEEEDaSW_SX_EUlSW_E_NS1_11comp_targetILNS1_3genE2ELNS1_11target_archE906ELNS1_3gpuE6ELNS1_3repE0EEENS1_30default_config_static_selectorELNS0_4arch9wavefront6targetE0EEEvT1_,@function
_ZN7rocprim17ROCPRIM_400000_NS6detail17trampoline_kernelINS0_14default_configENS1_27scan_by_key_config_selectorIiyEEZZNS1_16scan_by_key_implILNS1_25lookback_scan_determinismE0ELb1ES3_N6thrust23THRUST_200600_302600_NS6detail15normal_iteratorINS9_10device_ptrIiEEEENSB_INSC_IyEEEESG_yNS9_4plusIvEENS9_8equal_toIvEEyEE10hipError_tPvRmT2_T3_T4_T5_mT6_T7_P12ihipStream_tbENKUlT_T0_E_clISt17integral_constantIbLb0EES10_IbLb1EEEEDaSW_SX_EUlSW_E_NS1_11comp_targetILNS1_3genE2ELNS1_11target_archE906ELNS1_3gpuE6ELNS1_3repE0EEENS1_30default_config_static_selectorELNS0_4arch9wavefront6targetE0EEEvT1_: ; @_ZN7rocprim17ROCPRIM_400000_NS6detail17trampoline_kernelINS0_14default_configENS1_27scan_by_key_config_selectorIiyEEZZNS1_16scan_by_key_implILNS1_25lookback_scan_determinismE0ELb1ES3_N6thrust23THRUST_200600_302600_NS6detail15normal_iteratorINS9_10device_ptrIiEEEENSB_INSC_IyEEEESG_yNS9_4plusIvEENS9_8equal_toIvEEyEE10hipError_tPvRmT2_T3_T4_T5_mT6_T7_P12ihipStream_tbENKUlT_T0_E_clISt17integral_constantIbLb0EES10_IbLb1EEEEDaSW_SX_EUlSW_E_NS1_11comp_targetILNS1_3genE2ELNS1_11target_archE906ELNS1_3gpuE6ELNS1_3repE0EEENS1_30default_config_static_selectorELNS0_4arch9wavefront6targetE0EEEvT1_
; %bb.0:
	.section	.rodata,"a",@progbits
	.p2align	6, 0x0
	.amdhsa_kernel _ZN7rocprim17ROCPRIM_400000_NS6detail17trampoline_kernelINS0_14default_configENS1_27scan_by_key_config_selectorIiyEEZZNS1_16scan_by_key_implILNS1_25lookback_scan_determinismE0ELb1ES3_N6thrust23THRUST_200600_302600_NS6detail15normal_iteratorINS9_10device_ptrIiEEEENSB_INSC_IyEEEESG_yNS9_4plusIvEENS9_8equal_toIvEEyEE10hipError_tPvRmT2_T3_T4_T5_mT6_T7_P12ihipStream_tbENKUlT_T0_E_clISt17integral_constantIbLb0EES10_IbLb1EEEEDaSW_SX_EUlSW_E_NS1_11comp_targetILNS1_3genE2ELNS1_11target_archE906ELNS1_3gpuE6ELNS1_3repE0EEENS1_30default_config_static_selectorELNS0_4arch9wavefront6targetE0EEEvT1_
		.amdhsa_group_segment_fixed_size 0
		.amdhsa_private_segment_fixed_size 0
		.amdhsa_kernarg_size 136
		.amdhsa_user_sgpr_count 2
		.amdhsa_user_sgpr_dispatch_ptr 0
		.amdhsa_user_sgpr_queue_ptr 0
		.amdhsa_user_sgpr_kernarg_segment_ptr 1
		.amdhsa_user_sgpr_dispatch_id 0
		.amdhsa_user_sgpr_kernarg_preload_length 0
		.amdhsa_user_sgpr_kernarg_preload_offset 0
		.amdhsa_user_sgpr_private_segment_size 0
		.amdhsa_wavefront_size32 1
		.amdhsa_uses_dynamic_stack 0
		.amdhsa_enable_private_segment 0
		.amdhsa_system_sgpr_workgroup_id_x 1
		.amdhsa_system_sgpr_workgroup_id_y 0
		.amdhsa_system_sgpr_workgroup_id_z 0
		.amdhsa_system_sgpr_workgroup_info 0
		.amdhsa_system_vgpr_workitem_id 0
		.amdhsa_next_free_vgpr 1
		.amdhsa_next_free_sgpr 1
		.amdhsa_named_barrier_count 0
		.amdhsa_reserve_vcc 0
		.amdhsa_float_round_mode_32 0
		.amdhsa_float_round_mode_16_64 0
		.amdhsa_float_denorm_mode_32 3
		.amdhsa_float_denorm_mode_16_64 3
		.amdhsa_fp16_overflow 0
		.amdhsa_memory_ordered 1
		.amdhsa_forward_progress 1
		.amdhsa_inst_pref_size 0
		.amdhsa_round_robin_scheduling 0
		.amdhsa_exception_fp_ieee_invalid_op 0
		.amdhsa_exception_fp_denorm_src 0
		.amdhsa_exception_fp_ieee_div_zero 0
		.amdhsa_exception_fp_ieee_overflow 0
		.amdhsa_exception_fp_ieee_underflow 0
		.amdhsa_exception_fp_ieee_inexact 0
		.amdhsa_exception_int_div_zero 0
	.end_amdhsa_kernel
	.section	.text._ZN7rocprim17ROCPRIM_400000_NS6detail17trampoline_kernelINS0_14default_configENS1_27scan_by_key_config_selectorIiyEEZZNS1_16scan_by_key_implILNS1_25lookback_scan_determinismE0ELb1ES3_N6thrust23THRUST_200600_302600_NS6detail15normal_iteratorINS9_10device_ptrIiEEEENSB_INSC_IyEEEESG_yNS9_4plusIvEENS9_8equal_toIvEEyEE10hipError_tPvRmT2_T3_T4_T5_mT6_T7_P12ihipStream_tbENKUlT_T0_E_clISt17integral_constantIbLb0EES10_IbLb1EEEEDaSW_SX_EUlSW_E_NS1_11comp_targetILNS1_3genE2ELNS1_11target_archE906ELNS1_3gpuE6ELNS1_3repE0EEENS1_30default_config_static_selectorELNS0_4arch9wavefront6targetE0EEEvT1_,"axG",@progbits,_ZN7rocprim17ROCPRIM_400000_NS6detail17trampoline_kernelINS0_14default_configENS1_27scan_by_key_config_selectorIiyEEZZNS1_16scan_by_key_implILNS1_25lookback_scan_determinismE0ELb1ES3_N6thrust23THRUST_200600_302600_NS6detail15normal_iteratorINS9_10device_ptrIiEEEENSB_INSC_IyEEEESG_yNS9_4plusIvEENS9_8equal_toIvEEyEE10hipError_tPvRmT2_T3_T4_T5_mT6_T7_P12ihipStream_tbENKUlT_T0_E_clISt17integral_constantIbLb0EES10_IbLb1EEEEDaSW_SX_EUlSW_E_NS1_11comp_targetILNS1_3genE2ELNS1_11target_archE906ELNS1_3gpuE6ELNS1_3repE0EEENS1_30default_config_static_selectorELNS0_4arch9wavefront6targetE0EEEvT1_,comdat
.Lfunc_end1495:
	.size	_ZN7rocprim17ROCPRIM_400000_NS6detail17trampoline_kernelINS0_14default_configENS1_27scan_by_key_config_selectorIiyEEZZNS1_16scan_by_key_implILNS1_25lookback_scan_determinismE0ELb1ES3_N6thrust23THRUST_200600_302600_NS6detail15normal_iteratorINS9_10device_ptrIiEEEENSB_INSC_IyEEEESG_yNS9_4plusIvEENS9_8equal_toIvEEyEE10hipError_tPvRmT2_T3_T4_T5_mT6_T7_P12ihipStream_tbENKUlT_T0_E_clISt17integral_constantIbLb0EES10_IbLb1EEEEDaSW_SX_EUlSW_E_NS1_11comp_targetILNS1_3genE2ELNS1_11target_archE906ELNS1_3gpuE6ELNS1_3repE0EEENS1_30default_config_static_selectorELNS0_4arch9wavefront6targetE0EEEvT1_, .Lfunc_end1495-_ZN7rocprim17ROCPRIM_400000_NS6detail17trampoline_kernelINS0_14default_configENS1_27scan_by_key_config_selectorIiyEEZZNS1_16scan_by_key_implILNS1_25lookback_scan_determinismE0ELb1ES3_N6thrust23THRUST_200600_302600_NS6detail15normal_iteratorINS9_10device_ptrIiEEEENSB_INSC_IyEEEESG_yNS9_4plusIvEENS9_8equal_toIvEEyEE10hipError_tPvRmT2_T3_T4_T5_mT6_T7_P12ihipStream_tbENKUlT_T0_E_clISt17integral_constantIbLb0EES10_IbLb1EEEEDaSW_SX_EUlSW_E_NS1_11comp_targetILNS1_3genE2ELNS1_11target_archE906ELNS1_3gpuE6ELNS1_3repE0EEENS1_30default_config_static_selectorELNS0_4arch9wavefront6targetE0EEEvT1_
                                        ; -- End function
	.set _ZN7rocprim17ROCPRIM_400000_NS6detail17trampoline_kernelINS0_14default_configENS1_27scan_by_key_config_selectorIiyEEZZNS1_16scan_by_key_implILNS1_25lookback_scan_determinismE0ELb1ES3_N6thrust23THRUST_200600_302600_NS6detail15normal_iteratorINS9_10device_ptrIiEEEENSB_INSC_IyEEEESG_yNS9_4plusIvEENS9_8equal_toIvEEyEE10hipError_tPvRmT2_T3_T4_T5_mT6_T7_P12ihipStream_tbENKUlT_T0_E_clISt17integral_constantIbLb0EES10_IbLb1EEEEDaSW_SX_EUlSW_E_NS1_11comp_targetILNS1_3genE2ELNS1_11target_archE906ELNS1_3gpuE6ELNS1_3repE0EEENS1_30default_config_static_selectorELNS0_4arch9wavefront6targetE0EEEvT1_.num_vgpr, 0
	.set _ZN7rocprim17ROCPRIM_400000_NS6detail17trampoline_kernelINS0_14default_configENS1_27scan_by_key_config_selectorIiyEEZZNS1_16scan_by_key_implILNS1_25lookback_scan_determinismE0ELb1ES3_N6thrust23THRUST_200600_302600_NS6detail15normal_iteratorINS9_10device_ptrIiEEEENSB_INSC_IyEEEESG_yNS9_4plusIvEENS9_8equal_toIvEEyEE10hipError_tPvRmT2_T3_T4_T5_mT6_T7_P12ihipStream_tbENKUlT_T0_E_clISt17integral_constantIbLb0EES10_IbLb1EEEEDaSW_SX_EUlSW_E_NS1_11comp_targetILNS1_3genE2ELNS1_11target_archE906ELNS1_3gpuE6ELNS1_3repE0EEENS1_30default_config_static_selectorELNS0_4arch9wavefront6targetE0EEEvT1_.num_agpr, 0
	.set _ZN7rocprim17ROCPRIM_400000_NS6detail17trampoline_kernelINS0_14default_configENS1_27scan_by_key_config_selectorIiyEEZZNS1_16scan_by_key_implILNS1_25lookback_scan_determinismE0ELb1ES3_N6thrust23THRUST_200600_302600_NS6detail15normal_iteratorINS9_10device_ptrIiEEEENSB_INSC_IyEEEESG_yNS9_4plusIvEENS9_8equal_toIvEEyEE10hipError_tPvRmT2_T3_T4_T5_mT6_T7_P12ihipStream_tbENKUlT_T0_E_clISt17integral_constantIbLb0EES10_IbLb1EEEEDaSW_SX_EUlSW_E_NS1_11comp_targetILNS1_3genE2ELNS1_11target_archE906ELNS1_3gpuE6ELNS1_3repE0EEENS1_30default_config_static_selectorELNS0_4arch9wavefront6targetE0EEEvT1_.numbered_sgpr, 0
	.set _ZN7rocprim17ROCPRIM_400000_NS6detail17trampoline_kernelINS0_14default_configENS1_27scan_by_key_config_selectorIiyEEZZNS1_16scan_by_key_implILNS1_25lookback_scan_determinismE0ELb1ES3_N6thrust23THRUST_200600_302600_NS6detail15normal_iteratorINS9_10device_ptrIiEEEENSB_INSC_IyEEEESG_yNS9_4plusIvEENS9_8equal_toIvEEyEE10hipError_tPvRmT2_T3_T4_T5_mT6_T7_P12ihipStream_tbENKUlT_T0_E_clISt17integral_constantIbLb0EES10_IbLb1EEEEDaSW_SX_EUlSW_E_NS1_11comp_targetILNS1_3genE2ELNS1_11target_archE906ELNS1_3gpuE6ELNS1_3repE0EEENS1_30default_config_static_selectorELNS0_4arch9wavefront6targetE0EEEvT1_.num_named_barrier, 0
	.set _ZN7rocprim17ROCPRIM_400000_NS6detail17trampoline_kernelINS0_14default_configENS1_27scan_by_key_config_selectorIiyEEZZNS1_16scan_by_key_implILNS1_25lookback_scan_determinismE0ELb1ES3_N6thrust23THRUST_200600_302600_NS6detail15normal_iteratorINS9_10device_ptrIiEEEENSB_INSC_IyEEEESG_yNS9_4plusIvEENS9_8equal_toIvEEyEE10hipError_tPvRmT2_T3_T4_T5_mT6_T7_P12ihipStream_tbENKUlT_T0_E_clISt17integral_constantIbLb0EES10_IbLb1EEEEDaSW_SX_EUlSW_E_NS1_11comp_targetILNS1_3genE2ELNS1_11target_archE906ELNS1_3gpuE6ELNS1_3repE0EEENS1_30default_config_static_selectorELNS0_4arch9wavefront6targetE0EEEvT1_.private_seg_size, 0
	.set _ZN7rocprim17ROCPRIM_400000_NS6detail17trampoline_kernelINS0_14default_configENS1_27scan_by_key_config_selectorIiyEEZZNS1_16scan_by_key_implILNS1_25lookback_scan_determinismE0ELb1ES3_N6thrust23THRUST_200600_302600_NS6detail15normal_iteratorINS9_10device_ptrIiEEEENSB_INSC_IyEEEESG_yNS9_4plusIvEENS9_8equal_toIvEEyEE10hipError_tPvRmT2_T3_T4_T5_mT6_T7_P12ihipStream_tbENKUlT_T0_E_clISt17integral_constantIbLb0EES10_IbLb1EEEEDaSW_SX_EUlSW_E_NS1_11comp_targetILNS1_3genE2ELNS1_11target_archE906ELNS1_3gpuE6ELNS1_3repE0EEENS1_30default_config_static_selectorELNS0_4arch9wavefront6targetE0EEEvT1_.uses_vcc, 0
	.set _ZN7rocprim17ROCPRIM_400000_NS6detail17trampoline_kernelINS0_14default_configENS1_27scan_by_key_config_selectorIiyEEZZNS1_16scan_by_key_implILNS1_25lookback_scan_determinismE0ELb1ES3_N6thrust23THRUST_200600_302600_NS6detail15normal_iteratorINS9_10device_ptrIiEEEENSB_INSC_IyEEEESG_yNS9_4plusIvEENS9_8equal_toIvEEyEE10hipError_tPvRmT2_T3_T4_T5_mT6_T7_P12ihipStream_tbENKUlT_T0_E_clISt17integral_constantIbLb0EES10_IbLb1EEEEDaSW_SX_EUlSW_E_NS1_11comp_targetILNS1_3genE2ELNS1_11target_archE906ELNS1_3gpuE6ELNS1_3repE0EEENS1_30default_config_static_selectorELNS0_4arch9wavefront6targetE0EEEvT1_.uses_flat_scratch, 0
	.set _ZN7rocprim17ROCPRIM_400000_NS6detail17trampoline_kernelINS0_14default_configENS1_27scan_by_key_config_selectorIiyEEZZNS1_16scan_by_key_implILNS1_25lookback_scan_determinismE0ELb1ES3_N6thrust23THRUST_200600_302600_NS6detail15normal_iteratorINS9_10device_ptrIiEEEENSB_INSC_IyEEEESG_yNS9_4plusIvEENS9_8equal_toIvEEyEE10hipError_tPvRmT2_T3_T4_T5_mT6_T7_P12ihipStream_tbENKUlT_T0_E_clISt17integral_constantIbLb0EES10_IbLb1EEEEDaSW_SX_EUlSW_E_NS1_11comp_targetILNS1_3genE2ELNS1_11target_archE906ELNS1_3gpuE6ELNS1_3repE0EEENS1_30default_config_static_selectorELNS0_4arch9wavefront6targetE0EEEvT1_.has_dyn_sized_stack, 0
	.set _ZN7rocprim17ROCPRIM_400000_NS6detail17trampoline_kernelINS0_14default_configENS1_27scan_by_key_config_selectorIiyEEZZNS1_16scan_by_key_implILNS1_25lookback_scan_determinismE0ELb1ES3_N6thrust23THRUST_200600_302600_NS6detail15normal_iteratorINS9_10device_ptrIiEEEENSB_INSC_IyEEEESG_yNS9_4plusIvEENS9_8equal_toIvEEyEE10hipError_tPvRmT2_T3_T4_T5_mT6_T7_P12ihipStream_tbENKUlT_T0_E_clISt17integral_constantIbLb0EES10_IbLb1EEEEDaSW_SX_EUlSW_E_NS1_11comp_targetILNS1_3genE2ELNS1_11target_archE906ELNS1_3gpuE6ELNS1_3repE0EEENS1_30default_config_static_selectorELNS0_4arch9wavefront6targetE0EEEvT1_.has_recursion, 0
	.set _ZN7rocprim17ROCPRIM_400000_NS6detail17trampoline_kernelINS0_14default_configENS1_27scan_by_key_config_selectorIiyEEZZNS1_16scan_by_key_implILNS1_25lookback_scan_determinismE0ELb1ES3_N6thrust23THRUST_200600_302600_NS6detail15normal_iteratorINS9_10device_ptrIiEEEENSB_INSC_IyEEEESG_yNS9_4plusIvEENS9_8equal_toIvEEyEE10hipError_tPvRmT2_T3_T4_T5_mT6_T7_P12ihipStream_tbENKUlT_T0_E_clISt17integral_constantIbLb0EES10_IbLb1EEEEDaSW_SX_EUlSW_E_NS1_11comp_targetILNS1_3genE2ELNS1_11target_archE906ELNS1_3gpuE6ELNS1_3repE0EEENS1_30default_config_static_selectorELNS0_4arch9wavefront6targetE0EEEvT1_.has_indirect_call, 0
	.section	.AMDGPU.csdata,"",@progbits
; Kernel info:
; codeLenInByte = 0
; TotalNumSgprs: 0
; NumVgprs: 0
; ScratchSize: 0
; MemoryBound: 0
; FloatMode: 240
; IeeeMode: 1
; LDSByteSize: 0 bytes/workgroup (compile time only)
; SGPRBlocks: 0
; VGPRBlocks: 0
; NumSGPRsForWavesPerEU: 1
; NumVGPRsForWavesPerEU: 1
; NamedBarCnt: 0
; Occupancy: 16
; WaveLimiterHint : 0
; COMPUTE_PGM_RSRC2:SCRATCH_EN: 0
; COMPUTE_PGM_RSRC2:USER_SGPR: 2
; COMPUTE_PGM_RSRC2:TRAP_HANDLER: 0
; COMPUTE_PGM_RSRC2:TGID_X_EN: 1
; COMPUTE_PGM_RSRC2:TGID_Y_EN: 0
; COMPUTE_PGM_RSRC2:TGID_Z_EN: 0
; COMPUTE_PGM_RSRC2:TIDIG_COMP_CNT: 0
	.section	.text._ZN7rocprim17ROCPRIM_400000_NS6detail17trampoline_kernelINS0_14default_configENS1_27scan_by_key_config_selectorIiyEEZZNS1_16scan_by_key_implILNS1_25lookback_scan_determinismE0ELb1ES3_N6thrust23THRUST_200600_302600_NS6detail15normal_iteratorINS9_10device_ptrIiEEEENSB_INSC_IyEEEESG_yNS9_4plusIvEENS9_8equal_toIvEEyEE10hipError_tPvRmT2_T3_T4_T5_mT6_T7_P12ihipStream_tbENKUlT_T0_E_clISt17integral_constantIbLb0EES10_IbLb1EEEEDaSW_SX_EUlSW_E_NS1_11comp_targetILNS1_3genE10ELNS1_11target_archE1200ELNS1_3gpuE4ELNS1_3repE0EEENS1_30default_config_static_selectorELNS0_4arch9wavefront6targetE0EEEvT1_,"axG",@progbits,_ZN7rocprim17ROCPRIM_400000_NS6detail17trampoline_kernelINS0_14default_configENS1_27scan_by_key_config_selectorIiyEEZZNS1_16scan_by_key_implILNS1_25lookback_scan_determinismE0ELb1ES3_N6thrust23THRUST_200600_302600_NS6detail15normal_iteratorINS9_10device_ptrIiEEEENSB_INSC_IyEEEESG_yNS9_4plusIvEENS9_8equal_toIvEEyEE10hipError_tPvRmT2_T3_T4_T5_mT6_T7_P12ihipStream_tbENKUlT_T0_E_clISt17integral_constantIbLb0EES10_IbLb1EEEEDaSW_SX_EUlSW_E_NS1_11comp_targetILNS1_3genE10ELNS1_11target_archE1200ELNS1_3gpuE4ELNS1_3repE0EEENS1_30default_config_static_selectorELNS0_4arch9wavefront6targetE0EEEvT1_,comdat
	.protected	_ZN7rocprim17ROCPRIM_400000_NS6detail17trampoline_kernelINS0_14default_configENS1_27scan_by_key_config_selectorIiyEEZZNS1_16scan_by_key_implILNS1_25lookback_scan_determinismE0ELb1ES3_N6thrust23THRUST_200600_302600_NS6detail15normal_iteratorINS9_10device_ptrIiEEEENSB_INSC_IyEEEESG_yNS9_4plusIvEENS9_8equal_toIvEEyEE10hipError_tPvRmT2_T3_T4_T5_mT6_T7_P12ihipStream_tbENKUlT_T0_E_clISt17integral_constantIbLb0EES10_IbLb1EEEEDaSW_SX_EUlSW_E_NS1_11comp_targetILNS1_3genE10ELNS1_11target_archE1200ELNS1_3gpuE4ELNS1_3repE0EEENS1_30default_config_static_selectorELNS0_4arch9wavefront6targetE0EEEvT1_ ; -- Begin function _ZN7rocprim17ROCPRIM_400000_NS6detail17trampoline_kernelINS0_14default_configENS1_27scan_by_key_config_selectorIiyEEZZNS1_16scan_by_key_implILNS1_25lookback_scan_determinismE0ELb1ES3_N6thrust23THRUST_200600_302600_NS6detail15normal_iteratorINS9_10device_ptrIiEEEENSB_INSC_IyEEEESG_yNS9_4plusIvEENS9_8equal_toIvEEyEE10hipError_tPvRmT2_T3_T4_T5_mT6_T7_P12ihipStream_tbENKUlT_T0_E_clISt17integral_constantIbLb0EES10_IbLb1EEEEDaSW_SX_EUlSW_E_NS1_11comp_targetILNS1_3genE10ELNS1_11target_archE1200ELNS1_3gpuE4ELNS1_3repE0EEENS1_30default_config_static_selectorELNS0_4arch9wavefront6targetE0EEEvT1_
	.globl	_ZN7rocprim17ROCPRIM_400000_NS6detail17trampoline_kernelINS0_14default_configENS1_27scan_by_key_config_selectorIiyEEZZNS1_16scan_by_key_implILNS1_25lookback_scan_determinismE0ELb1ES3_N6thrust23THRUST_200600_302600_NS6detail15normal_iteratorINS9_10device_ptrIiEEEENSB_INSC_IyEEEESG_yNS9_4plusIvEENS9_8equal_toIvEEyEE10hipError_tPvRmT2_T3_T4_T5_mT6_T7_P12ihipStream_tbENKUlT_T0_E_clISt17integral_constantIbLb0EES10_IbLb1EEEEDaSW_SX_EUlSW_E_NS1_11comp_targetILNS1_3genE10ELNS1_11target_archE1200ELNS1_3gpuE4ELNS1_3repE0EEENS1_30default_config_static_selectorELNS0_4arch9wavefront6targetE0EEEvT1_
	.p2align	8
	.type	_ZN7rocprim17ROCPRIM_400000_NS6detail17trampoline_kernelINS0_14default_configENS1_27scan_by_key_config_selectorIiyEEZZNS1_16scan_by_key_implILNS1_25lookback_scan_determinismE0ELb1ES3_N6thrust23THRUST_200600_302600_NS6detail15normal_iteratorINS9_10device_ptrIiEEEENSB_INSC_IyEEEESG_yNS9_4plusIvEENS9_8equal_toIvEEyEE10hipError_tPvRmT2_T3_T4_T5_mT6_T7_P12ihipStream_tbENKUlT_T0_E_clISt17integral_constantIbLb0EES10_IbLb1EEEEDaSW_SX_EUlSW_E_NS1_11comp_targetILNS1_3genE10ELNS1_11target_archE1200ELNS1_3gpuE4ELNS1_3repE0EEENS1_30default_config_static_selectorELNS0_4arch9wavefront6targetE0EEEvT1_,@function
_ZN7rocprim17ROCPRIM_400000_NS6detail17trampoline_kernelINS0_14default_configENS1_27scan_by_key_config_selectorIiyEEZZNS1_16scan_by_key_implILNS1_25lookback_scan_determinismE0ELb1ES3_N6thrust23THRUST_200600_302600_NS6detail15normal_iteratorINS9_10device_ptrIiEEEENSB_INSC_IyEEEESG_yNS9_4plusIvEENS9_8equal_toIvEEyEE10hipError_tPvRmT2_T3_T4_T5_mT6_T7_P12ihipStream_tbENKUlT_T0_E_clISt17integral_constantIbLb0EES10_IbLb1EEEEDaSW_SX_EUlSW_E_NS1_11comp_targetILNS1_3genE10ELNS1_11target_archE1200ELNS1_3gpuE4ELNS1_3repE0EEENS1_30default_config_static_selectorELNS0_4arch9wavefront6targetE0EEEvT1_: ; @_ZN7rocprim17ROCPRIM_400000_NS6detail17trampoline_kernelINS0_14default_configENS1_27scan_by_key_config_selectorIiyEEZZNS1_16scan_by_key_implILNS1_25lookback_scan_determinismE0ELb1ES3_N6thrust23THRUST_200600_302600_NS6detail15normal_iteratorINS9_10device_ptrIiEEEENSB_INSC_IyEEEESG_yNS9_4plusIvEENS9_8equal_toIvEEyEE10hipError_tPvRmT2_T3_T4_T5_mT6_T7_P12ihipStream_tbENKUlT_T0_E_clISt17integral_constantIbLb0EES10_IbLb1EEEEDaSW_SX_EUlSW_E_NS1_11comp_targetILNS1_3genE10ELNS1_11target_archE1200ELNS1_3gpuE4ELNS1_3repE0EEENS1_30default_config_static_selectorELNS0_4arch9wavefront6targetE0EEEvT1_
; %bb.0:
	.section	.rodata,"a",@progbits
	.p2align	6, 0x0
	.amdhsa_kernel _ZN7rocprim17ROCPRIM_400000_NS6detail17trampoline_kernelINS0_14default_configENS1_27scan_by_key_config_selectorIiyEEZZNS1_16scan_by_key_implILNS1_25lookback_scan_determinismE0ELb1ES3_N6thrust23THRUST_200600_302600_NS6detail15normal_iteratorINS9_10device_ptrIiEEEENSB_INSC_IyEEEESG_yNS9_4plusIvEENS9_8equal_toIvEEyEE10hipError_tPvRmT2_T3_T4_T5_mT6_T7_P12ihipStream_tbENKUlT_T0_E_clISt17integral_constantIbLb0EES10_IbLb1EEEEDaSW_SX_EUlSW_E_NS1_11comp_targetILNS1_3genE10ELNS1_11target_archE1200ELNS1_3gpuE4ELNS1_3repE0EEENS1_30default_config_static_selectorELNS0_4arch9wavefront6targetE0EEEvT1_
		.amdhsa_group_segment_fixed_size 0
		.amdhsa_private_segment_fixed_size 0
		.amdhsa_kernarg_size 136
		.amdhsa_user_sgpr_count 2
		.amdhsa_user_sgpr_dispatch_ptr 0
		.amdhsa_user_sgpr_queue_ptr 0
		.amdhsa_user_sgpr_kernarg_segment_ptr 1
		.amdhsa_user_sgpr_dispatch_id 0
		.amdhsa_user_sgpr_kernarg_preload_length 0
		.amdhsa_user_sgpr_kernarg_preload_offset 0
		.amdhsa_user_sgpr_private_segment_size 0
		.amdhsa_wavefront_size32 1
		.amdhsa_uses_dynamic_stack 0
		.amdhsa_enable_private_segment 0
		.amdhsa_system_sgpr_workgroup_id_x 1
		.amdhsa_system_sgpr_workgroup_id_y 0
		.amdhsa_system_sgpr_workgroup_id_z 0
		.amdhsa_system_sgpr_workgroup_info 0
		.amdhsa_system_vgpr_workitem_id 0
		.amdhsa_next_free_vgpr 1
		.amdhsa_next_free_sgpr 1
		.amdhsa_named_barrier_count 0
		.amdhsa_reserve_vcc 0
		.amdhsa_float_round_mode_32 0
		.amdhsa_float_round_mode_16_64 0
		.amdhsa_float_denorm_mode_32 3
		.amdhsa_float_denorm_mode_16_64 3
		.amdhsa_fp16_overflow 0
		.amdhsa_memory_ordered 1
		.amdhsa_forward_progress 1
		.amdhsa_inst_pref_size 0
		.amdhsa_round_robin_scheduling 0
		.amdhsa_exception_fp_ieee_invalid_op 0
		.amdhsa_exception_fp_denorm_src 0
		.amdhsa_exception_fp_ieee_div_zero 0
		.amdhsa_exception_fp_ieee_overflow 0
		.amdhsa_exception_fp_ieee_underflow 0
		.amdhsa_exception_fp_ieee_inexact 0
		.amdhsa_exception_int_div_zero 0
	.end_amdhsa_kernel
	.section	.text._ZN7rocprim17ROCPRIM_400000_NS6detail17trampoline_kernelINS0_14default_configENS1_27scan_by_key_config_selectorIiyEEZZNS1_16scan_by_key_implILNS1_25lookback_scan_determinismE0ELb1ES3_N6thrust23THRUST_200600_302600_NS6detail15normal_iteratorINS9_10device_ptrIiEEEENSB_INSC_IyEEEESG_yNS9_4plusIvEENS9_8equal_toIvEEyEE10hipError_tPvRmT2_T3_T4_T5_mT6_T7_P12ihipStream_tbENKUlT_T0_E_clISt17integral_constantIbLb0EES10_IbLb1EEEEDaSW_SX_EUlSW_E_NS1_11comp_targetILNS1_3genE10ELNS1_11target_archE1200ELNS1_3gpuE4ELNS1_3repE0EEENS1_30default_config_static_selectorELNS0_4arch9wavefront6targetE0EEEvT1_,"axG",@progbits,_ZN7rocprim17ROCPRIM_400000_NS6detail17trampoline_kernelINS0_14default_configENS1_27scan_by_key_config_selectorIiyEEZZNS1_16scan_by_key_implILNS1_25lookback_scan_determinismE0ELb1ES3_N6thrust23THRUST_200600_302600_NS6detail15normal_iteratorINS9_10device_ptrIiEEEENSB_INSC_IyEEEESG_yNS9_4plusIvEENS9_8equal_toIvEEyEE10hipError_tPvRmT2_T3_T4_T5_mT6_T7_P12ihipStream_tbENKUlT_T0_E_clISt17integral_constantIbLb0EES10_IbLb1EEEEDaSW_SX_EUlSW_E_NS1_11comp_targetILNS1_3genE10ELNS1_11target_archE1200ELNS1_3gpuE4ELNS1_3repE0EEENS1_30default_config_static_selectorELNS0_4arch9wavefront6targetE0EEEvT1_,comdat
.Lfunc_end1496:
	.size	_ZN7rocprim17ROCPRIM_400000_NS6detail17trampoline_kernelINS0_14default_configENS1_27scan_by_key_config_selectorIiyEEZZNS1_16scan_by_key_implILNS1_25lookback_scan_determinismE0ELb1ES3_N6thrust23THRUST_200600_302600_NS6detail15normal_iteratorINS9_10device_ptrIiEEEENSB_INSC_IyEEEESG_yNS9_4plusIvEENS9_8equal_toIvEEyEE10hipError_tPvRmT2_T3_T4_T5_mT6_T7_P12ihipStream_tbENKUlT_T0_E_clISt17integral_constantIbLb0EES10_IbLb1EEEEDaSW_SX_EUlSW_E_NS1_11comp_targetILNS1_3genE10ELNS1_11target_archE1200ELNS1_3gpuE4ELNS1_3repE0EEENS1_30default_config_static_selectorELNS0_4arch9wavefront6targetE0EEEvT1_, .Lfunc_end1496-_ZN7rocprim17ROCPRIM_400000_NS6detail17trampoline_kernelINS0_14default_configENS1_27scan_by_key_config_selectorIiyEEZZNS1_16scan_by_key_implILNS1_25lookback_scan_determinismE0ELb1ES3_N6thrust23THRUST_200600_302600_NS6detail15normal_iteratorINS9_10device_ptrIiEEEENSB_INSC_IyEEEESG_yNS9_4plusIvEENS9_8equal_toIvEEyEE10hipError_tPvRmT2_T3_T4_T5_mT6_T7_P12ihipStream_tbENKUlT_T0_E_clISt17integral_constantIbLb0EES10_IbLb1EEEEDaSW_SX_EUlSW_E_NS1_11comp_targetILNS1_3genE10ELNS1_11target_archE1200ELNS1_3gpuE4ELNS1_3repE0EEENS1_30default_config_static_selectorELNS0_4arch9wavefront6targetE0EEEvT1_
                                        ; -- End function
	.set _ZN7rocprim17ROCPRIM_400000_NS6detail17trampoline_kernelINS0_14default_configENS1_27scan_by_key_config_selectorIiyEEZZNS1_16scan_by_key_implILNS1_25lookback_scan_determinismE0ELb1ES3_N6thrust23THRUST_200600_302600_NS6detail15normal_iteratorINS9_10device_ptrIiEEEENSB_INSC_IyEEEESG_yNS9_4plusIvEENS9_8equal_toIvEEyEE10hipError_tPvRmT2_T3_T4_T5_mT6_T7_P12ihipStream_tbENKUlT_T0_E_clISt17integral_constantIbLb0EES10_IbLb1EEEEDaSW_SX_EUlSW_E_NS1_11comp_targetILNS1_3genE10ELNS1_11target_archE1200ELNS1_3gpuE4ELNS1_3repE0EEENS1_30default_config_static_selectorELNS0_4arch9wavefront6targetE0EEEvT1_.num_vgpr, 0
	.set _ZN7rocprim17ROCPRIM_400000_NS6detail17trampoline_kernelINS0_14default_configENS1_27scan_by_key_config_selectorIiyEEZZNS1_16scan_by_key_implILNS1_25lookback_scan_determinismE0ELb1ES3_N6thrust23THRUST_200600_302600_NS6detail15normal_iteratorINS9_10device_ptrIiEEEENSB_INSC_IyEEEESG_yNS9_4plusIvEENS9_8equal_toIvEEyEE10hipError_tPvRmT2_T3_T4_T5_mT6_T7_P12ihipStream_tbENKUlT_T0_E_clISt17integral_constantIbLb0EES10_IbLb1EEEEDaSW_SX_EUlSW_E_NS1_11comp_targetILNS1_3genE10ELNS1_11target_archE1200ELNS1_3gpuE4ELNS1_3repE0EEENS1_30default_config_static_selectorELNS0_4arch9wavefront6targetE0EEEvT1_.num_agpr, 0
	.set _ZN7rocprim17ROCPRIM_400000_NS6detail17trampoline_kernelINS0_14default_configENS1_27scan_by_key_config_selectorIiyEEZZNS1_16scan_by_key_implILNS1_25lookback_scan_determinismE0ELb1ES3_N6thrust23THRUST_200600_302600_NS6detail15normal_iteratorINS9_10device_ptrIiEEEENSB_INSC_IyEEEESG_yNS9_4plusIvEENS9_8equal_toIvEEyEE10hipError_tPvRmT2_T3_T4_T5_mT6_T7_P12ihipStream_tbENKUlT_T0_E_clISt17integral_constantIbLb0EES10_IbLb1EEEEDaSW_SX_EUlSW_E_NS1_11comp_targetILNS1_3genE10ELNS1_11target_archE1200ELNS1_3gpuE4ELNS1_3repE0EEENS1_30default_config_static_selectorELNS0_4arch9wavefront6targetE0EEEvT1_.numbered_sgpr, 0
	.set _ZN7rocprim17ROCPRIM_400000_NS6detail17trampoline_kernelINS0_14default_configENS1_27scan_by_key_config_selectorIiyEEZZNS1_16scan_by_key_implILNS1_25lookback_scan_determinismE0ELb1ES3_N6thrust23THRUST_200600_302600_NS6detail15normal_iteratorINS9_10device_ptrIiEEEENSB_INSC_IyEEEESG_yNS9_4plusIvEENS9_8equal_toIvEEyEE10hipError_tPvRmT2_T3_T4_T5_mT6_T7_P12ihipStream_tbENKUlT_T0_E_clISt17integral_constantIbLb0EES10_IbLb1EEEEDaSW_SX_EUlSW_E_NS1_11comp_targetILNS1_3genE10ELNS1_11target_archE1200ELNS1_3gpuE4ELNS1_3repE0EEENS1_30default_config_static_selectorELNS0_4arch9wavefront6targetE0EEEvT1_.num_named_barrier, 0
	.set _ZN7rocprim17ROCPRIM_400000_NS6detail17trampoline_kernelINS0_14default_configENS1_27scan_by_key_config_selectorIiyEEZZNS1_16scan_by_key_implILNS1_25lookback_scan_determinismE0ELb1ES3_N6thrust23THRUST_200600_302600_NS6detail15normal_iteratorINS9_10device_ptrIiEEEENSB_INSC_IyEEEESG_yNS9_4plusIvEENS9_8equal_toIvEEyEE10hipError_tPvRmT2_T3_T4_T5_mT6_T7_P12ihipStream_tbENKUlT_T0_E_clISt17integral_constantIbLb0EES10_IbLb1EEEEDaSW_SX_EUlSW_E_NS1_11comp_targetILNS1_3genE10ELNS1_11target_archE1200ELNS1_3gpuE4ELNS1_3repE0EEENS1_30default_config_static_selectorELNS0_4arch9wavefront6targetE0EEEvT1_.private_seg_size, 0
	.set _ZN7rocprim17ROCPRIM_400000_NS6detail17trampoline_kernelINS0_14default_configENS1_27scan_by_key_config_selectorIiyEEZZNS1_16scan_by_key_implILNS1_25lookback_scan_determinismE0ELb1ES3_N6thrust23THRUST_200600_302600_NS6detail15normal_iteratorINS9_10device_ptrIiEEEENSB_INSC_IyEEEESG_yNS9_4plusIvEENS9_8equal_toIvEEyEE10hipError_tPvRmT2_T3_T4_T5_mT6_T7_P12ihipStream_tbENKUlT_T0_E_clISt17integral_constantIbLb0EES10_IbLb1EEEEDaSW_SX_EUlSW_E_NS1_11comp_targetILNS1_3genE10ELNS1_11target_archE1200ELNS1_3gpuE4ELNS1_3repE0EEENS1_30default_config_static_selectorELNS0_4arch9wavefront6targetE0EEEvT1_.uses_vcc, 0
	.set _ZN7rocprim17ROCPRIM_400000_NS6detail17trampoline_kernelINS0_14default_configENS1_27scan_by_key_config_selectorIiyEEZZNS1_16scan_by_key_implILNS1_25lookback_scan_determinismE0ELb1ES3_N6thrust23THRUST_200600_302600_NS6detail15normal_iteratorINS9_10device_ptrIiEEEENSB_INSC_IyEEEESG_yNS9_4plusIvEENS9_8equal_toIvEEyEE10hipError_tPvRmT2_T3_T4_T5_mT6_T7_P12ihipStream_tbENKUlT_T0_E_clISt17integral_constantIbLb0EES10_IbLb1EEEEDaSW_SX_EUlSW_E_NS1_11comp_targetILNS1_3genE10ELNS1_11target_archE1200ELNS1_3gpuE4ELNS1_3repE0EEENS1_30default_config_static_selectorELNS0_4arch9wavefront6targetE0EEEvT1_.uses_flat_scratch, 0
	.set _ZN7rocprim17ROCPRIM_400000_NS6detail17trampoline_kernelINS0_14default_configENS1_27scan_by_key_config_selectorIiyEEZZNS1_16scan_by_key_implILNS1_25lookback_scan_determinismE0ELb1ES3_N6thrust23THRUST_200600_302600_NS6detail15normal_iteratorINS9_10device_ptrIiEEEENSB_INSC_IyEEEESG_yNS9_4plusIvEENS9_8equal_toIvEEyEE10hipError_tPvRmT2_T3_T4_T5_mT6_T7_P12ihipStream_tbENKUlT_T0_E_clISt17integral_constantIbLb0EES10_IbLb1EEEEDaSW_SX_EUlSW_E_NS1_11comp_targetILNS1_3genE10ELNS1_11target_archE1200ELNS1_3gpuE4ELNS1_3repE0EEENS1_30default_config_static_selectorELNS0_4arch9wavefront6targetE0EEEvT1_.has_dyn_sized_stack, 0
	.set _ZN7rocprim17ROCPRIM_400000_NS6detail17trampoline_kernelINS0_14default_configENS1_27scan_by_key_config_selectorIiyEEZZNS1_16scan_by_key_implILNS1_25lookback_scan_determinismE0ELb1ES3_N6thrust23THRUST_200600_302600_NS6detail15normal_iteratorINS9_10device_ptrIiEEEENSB_INSC_IyEEEESG_yNS9_4plusIvEENS9_8equal_toIvEEyEE10hipError_tPvRmT2_T3_T4_T5_mT6_T7_P12ihipStream_tbENKUlT_T0_E_clISt17integral_constantIbLb0EES10_IbLb1EEEEDaSW_SX_EUlSW_E_NS1_11comp_targetILNS1_3genE10ELNS1_11target_archE1200ELNS1_3gpuE4ELNS1_3repE0EEENS1_30default_config_static_selectorELNS0_4arch9wavefront6targetE0EEEvT1_.has_recursion, 0
	.set _ZN7rocprim17ROCPRIM_400000_NS6detail17trampoline_kernelINS0_14default_configENS1_27scan_by_key_config_selectorIiyEEZZNS1_16scan_by_key_implILNS1_25lookback_scan_determinismE0ELb1ES3_N6thrust23THRUST_200600_302600_NS6detail15normal_iteratorINS9_10device_ptrIiEEEENSB_INSC_IyEEEESG_yNS9_4plusIvEENS9_8equal_toIvEEyEE10hipError_tPvRmT2_T3_T4_T5_mT6_T7_P12ihipStream_tbENKUlT_T0_E_clISt17integral_constantIbLb0EES10_IbLb1EEEEDaSW_SX_EUlSW_E_NS1_11comp_targetILNS1_3genE10ELNS1_11target_archE1200ELNS1_3gpuE4ELNS1_3repE0EEENS1_30default_config_static_selectorELNS0_4arch9wavefront6targetE0EEEvT1_.has_indirect_call, 0
	.section	.AMDGPU.csdata,"",@progbits
; Kernel info:
; codeLenInByte = 0
; TotalNumSgprs: 0
; NumVgprs: 0
; ScratchSize: 0
; MemoryBound: 0
; FloatMode: 240
; IeeeMode: 1
; LDSByteSize: 0 bytes/workgroup (compile time only)
; SGPRBlocks: 0
; VGPRBlocks: 0
; NumSGPRsForWavesPerEU: 1
; NumVGPRsForWavesPerEU: 1
; NamedBarCnt: 0
; Occupancy: 16
; WaveLimiterHint : 0
; COMPUTE_PGM_RSRC2:SCRATCH_EN: 0
; COMPUTE_PGM_RSRC2:USER_SGPR: 2
; COMPUTE_PGM_RSRC2:TRAP_HANDLER: 0
; COMPUTE_PGM_RSRC2:TGID_X_EN: 1
; COMPUTE_PGM_RSRC2:TGID_Y_EN: 0
; COMPUTE_PGM_RSRC2:TGID_Z_EN: 0
; COMPUTE_PGM_RSRC2:TIDIG_COMP_CNT: 0
	.section	.text._ZN7rocprim17ROCPRIM_400000_NS6detail17trampoline_kernelINS0_14default_configENS1_27scan_by_key_config_selectorIiyEEZZNS1_16scan_by_key_implILNS1_25lookback_scan_determinismE0ELb1ES3_N6thrust23THRUST_200600_302600_NS6detail15normal_iteratorINS9_10device_ptrIiEEEENSB_INSC_IyEEEESG_yNS9_4plusIvEENS9_8equal_toIvEEyEE10hipError_tPvRmT2_T3_T4_T5_mT6_T7_P12ihipStream_tbENKUlT_T0_E_clISt17integral_constantIbLb0EES10_IbLb1EEEEDaSW_SX_EUlSW_E_NS1_11comp_targetILNS1_3genE9ELNS1_11target_archE1100ELNS1_3gpuE3ELNS1_3repE0EEENS1_30default_config_static_selectorELNS0_4arch9wavefront6targetE0EEEvT1_,"axG",@progbits,_ZN7rocprim17ROCPRIM_400000_NS6detail17trampoline_kernelINS0_14default_configENS1_27scan_by_key_config_selectorIiyEEZZNS1_16scan_by_key_implILNS1_25lookback_scan_determinismE0ELb1ES3_N6thrust23THRUST_200600_302600_NS6detail15normal_iteratorINS9_10device_ptrIiEEEENSB_INSC_IyEEEESG_yNS9_4plusIvEENS9_8equal_toIvEEyEE10hipError_tPvRmT2_T3_T4_T5_mT6_T7_P12ihipStream_tbENKUlT_T0_E_clISt17integral_constantIbLb0EES10_IbLb1EEEEDaSW_SX_EUlSW_E_NS1_11comp_targetILNS1_3genE9ELNS1_11target_archE1100ELNS1_3gpuE3ELNS1_3repE0EEENS1_30default_config_static_selectorELNS0_4arch9wavefront6targetE0EEEvT1_,comdat
	.protected	_ZN7rocprim17ROCPRIM_400000_NS6detail17trampoline_kernelINS0_14default_configENS1_27scan_by_key_config_selectorIiyEEZZNS1_16scan_by_key_implILNS1_25lookback_scan_determinismE0ELb1ES3_N6thrust23THRUST_200600_302600_NS6detail15normal_iteratorINS9_10device_ptrIiEEEENSB_INSC_IyEEEESG_yNS9_4plusIvEENS9_8equal_toIvEEyEE10hipError_tPvRmT2_T3_T4_T5_mT6_T7_P12ihipStream_tbENKUlT_T0_E_clISt17integral_constantIbLb0EES10_IbLb1EEEEDaSW_SX_EUlSW_E_NS1_11comp_targetILNS1_3genE9ELNS1_11target_archE1100ELNS1_3gpuE3ELNS1_3repE0EEENS1_30default_config_static_selectorELNS0_4arch9wavefront6targetE0EEEvT1_ ; -- Begin function _ZN7rocprim17ROCPRIM_400000_NS6detail17trampoline_kernelINS0_14default_configENS1_27scan_by_key_config_selectorIiyEEZZNS1_16scan_by_key_implILNS1_25lookback_scan_determinismE0ELb1ES3_N6thrust23THRUST_200600_302600_NS6detail15normal_iteratorINS9_10device_ptrIiEEEENSB_INSC_IyEEEESG_yNS9_4plusIvEENS9_8equal_toIvEEyEE10hipError_tPvRmT2_T3_T4_T5_mT6_T7_P12ihipStream_tbENKUlT_T0_E_clISt17integral_constantIbLb0EES10_IbLb1EEEEDaSW_SX_EUlSW_E_NS1_11comp_targetILNS1_3genE9ELNS1_11target_archE1100ELNS1_3gpuE3ELNS1_3repE0EEENS1_30default_config_static_selectorELNS0_4arch9wavefront6targetE0EEEvT1_
	.globl	_ZN7rocprim17ROCPRIM_400000_NS6detail17trampoline_kernelINS0_14default_configENS1_27scan_by_key_config_selectorIiyEEZZNS1_16scan_by_key_implILNS1_25lookback_scan_determinismE0ELb1ES3_N6thrust23THRUST_200600_302600_NS6detail15normal_iteratorINS9_10device_ptrIiEEEENSB_INSC_IyEEEESG_yNS9_4plusIvEENS9_8equal_toIvEEyEE10hipError_tPvRmT2_T3_T4_T5_mT6_T7_P12ihipStream_tbENKUlT_T0_E_clISt17integral_constantIbLb0EES10_IbLb1EEEEDaSW_SX_EUlSW_E_NS1_11comp_targetILNS1_3genE9ELNS1_11target_archE1100ELNS1_3gpuE3ELNS1_3repE0EEENS1_30default_config_static_selectorELNS0_4arch9wavefront6targetE0EEEvT1_
	.p2align	8
	.type	_ZN7rocprim17ROCPRIM_400000_NS6detail17trampoline_kernelINS0_14default_configENS1_27scan_by_key_config_selectorIiyEEZZNS1_16scan_by_key_implILNS1_25lookback_scan_determinismE0ELb1ES3_N6thrust23THRUST_200600_302600_NS6detail15normal_iteratorINS9_10device_ptrIiEEEENSB_INSC_IyEEEESG_yNS9_4plusIvEENS9_8equal_toIvEEyEE10hipError_tPvRmT2_T3_T4_T5_mT6_T7_P12ihipStream_tbENKUlT_T0_E_clISt17integral_constantIbLb0EES10_IbLb1EEEEDaSW_SX_EUlSW_E_NS1_11comp_targetILNS1_3genE9ELNS1_11target_archE1100ELNS1_3gpuE3ELNS1_3repE0EEENS1_30default_config_static_selectorELNS0_4arch9wavefront6targetE0EEEvT1_,@function
_ZN7rocprim17ROCPRIM_400000_NS6detail17trampoline_kernelINS0_14default_configENS1_27scan_by_key_config_selectorIiyEEZZNS1_16scan_by_key_implILNS1_25lookback_scan_determinismE0ELb1ES3_N6thrust23THRUST_200600_302600_NS6detail15normal_iteratorINS9_10device_ptrIiEEEENSB_INSC_IyEEEESG_yNS9_4plusIvEENS9_8equal_toIvEEyEE10hipError_tPvRmT2_T3_T4_T5_mT6_T7_P12ihipStream_tbENKUlT_T0_E_clISt17integral_constantIbLb0EES10_IbLb1EEEEDaSW_SX_EUlSW_E_NS1_11comp_targetILNS1_3genE9ELNS1_11target_archE1100ELNS1_3gpuE3ELNS1_3repE0EEENS1_30default_config_static_selectorELNS0_4arch9wavefront6targetE0EEEvT1_: ; @_ZN7rocprim17ROCPRIM_400000_NS6detail17trampoline_kernelINS0_14default_configENS1_27scan_by_key_config_selectorIiyEEZZNS1_16scan_by_key_implILNS1_25lookback_scan_determinismE0ELb1ES3_N6thrust23THRUST_200600_302600_NS6detail15normal_iteratorINS9_10device_ptrIiEEEENSB_INSC_IyEEEESG_yNS9_4plusIvEENS9_8equal_toIvEEyEE10hipError_tPvRmT2_T3_T4_T5_mT6_T7_P12ihipStream_tbENKUlT_T0_E_clISt17integral_constantIbLb0EES10_IbLb1EEEEDaSW_SX_EUlSW_E_NS1_11comp_targetILNS1_3genE9ELNS1_11target_archE1100ELNS1_3gpuE3ELNS1_3repE0EEENS1_30default_config_static_selectorELNS0_4arch9wavefront6targetE0EEEvT1_
; %bb.0:
	.section	.rodata,"a",@progbits
	.p2align	6, 0x0
	.amdhsa_kernel _ZN7rocprim17ROCPRIM_400000_NS6detail17trampoline_kernelINS0_14default_configENS1_27scan_by_key_config_selectorIiyEEZZNS1_16scan_by_key_implILNS1_25lookback_scan_determinismE0ELb1ES3_N6thrust23THRUST_200600_302600_NS6detail15normal_iteratorINS9_10device_ptrIiEEEENSB_INSC_IyEEEESG_yNS9_4plusIvEENS9_8equal_toIvEEyEE10hipError_tPvRmT2_T3_T4_T5_mT6_T7_P12ihipStream_tbENKUlT_T0_E_clISt17integral_constantIbLb0EES10_IbLb1EEEEDaSW_SX_EUlSW_E_NS1_11comp_targetILNS1_3genE9ELNS1_11target_archE1100ELNS1_3gpuE3ELNS1_3repE0EEENS1_30default_config_static_selectorELNS0_4arch9wavefront6targetE0EEEvT1_
		.amdhsa_group_segment_fixed_size 0
		.amdhsa_private_segment_fixed_size 0
		.amdhsa_kernarg_size 136
		.amdhsa_user_sgpr_count 2
		.amdhsa_user_sgpr_dispatch_ptr 0
		.amdhsa_user_sgpr_queue_ptr 0
		.amdhsa_user_sgpr_kernarg_segment_ptr 1
		.amdhsa_user_sgpr_dispatch_id 0
		.amdhsa_user_sgpr_kernarg_preload_length 0
		.amdhsa_user_sgpr_kernarg_preload_offset 0
		.amdhsa_user_sgpr_private_segment_size 0
		.amdhsa_wavefront_size32 1
		.amdhsa_uses_dynamic_stack 0
		.amdhsa_enable_private_segment 0
		.amdhsa_system_sgpr_workgroup_id_x 1
		.amdhsa_system_sgpr_workgroup_id_y 0
		.amdhsa_system_sgpr_workgroup_id_z 0
		.amdhsa_system_sgpr_workgroup_info 0
		.amdhsa_system_vgpr_workitem_id 0
		.amdhsa_next_free_vgpr 1
		.amdhsa_next_free_sgpr 1
		.amdhsa_named_barrier_count 0
		.amdhsa_reserve_vcc 0
		.amdhsa_float_round_mode_32 0
		.amdhsa_float_round_mode_16_64 0
		.amdhsa_float_denorm_mode_32 3
		.amdhsa_float_denorm_mode_16_64 3
		.amdhsa_fp16_overflow 0
		.amdhsa_memory_ordered 1
		.amdhsa_forward_progress 1
		.amdhsa_inst_pref_size 0
		.amdhsa_round_robin_scheduling 0
		.amdhsa_exception_fp_ieee_invalid_op 0
		.amdhsa_exception_fp_denorm_src 0
		.amdhsa_exception_fp_ieee_div_zero 0
		.amdhsa_exception_fp_ieee_overflow 0
		.amdhsa_exception_fp_ieee_underflow 0
		.amdhsa_exception_fp_ieee_inexact 0
		.amdhsa_exception_int_div_zero 0
	.end_amdhsa_kernel
	.section	.text._ZN7rocprim17ROCPRIM_400000_NS6detail17trampoline_kernelINS0_14default_configENS1_27scan_by_key_config_selectorIiyEEZZNS1_16scan_by_key_implILNS1_25lookback_scan_determinismE0ELb1ES3_N6thrust23THRUST_200600_302600_NS6detail15normal_iteratorINS9_10device_ptrIiEEEENSB_INSC_IyEEEESG_yNS9_4plusIvEENS9_8equal_toIvEEyEE10hipError_tPvRmT2_T3_T4_T5_mT6_T7_P12ihipStream_tbENKUlT_T0_E_clISt17integral_constantIbLb0EES10_IbLb1EEEEDaSW_SX_EUlSW_E_NS1_11comp_targetILNS1_3genE9ELNS1_11target_archE1100ELNS1_3gpuE3ELNS1_3repE0EEENS1_30default_config_static_selectorELNS0_4arch9wavefront6targetE0EEEvT1_,"axG",@progbits,_ZN7rocprim17ROCPRIM_400000_NS6detail17trampoline_kernelINS0_14default_configENS1_27scan_by_key_config_selectorIiyEEZZNS1_16scan_by_key_implILNS1_25lookback_scan_determinismE0ELb1ES3_N6thrust23THRUST_200600_302600_NS6detail15normal_iteratorINS9_10device_ptrIiEEEENSB_INSC_IyEEEESG_yNS9_4plusIvEENS9_8equal_toIvEEyEE10hipError_tPvRmT2_T3_T4_T5_mT6_T7_P12ihipStream_tbENKUlT_T0_E_clISt17integral_constantIbLb0EES10_IbLb1EEEEDaSW_SX_EUlSW_E_NS1_11comp_targetILNS1_3genE9ELNS1_11target_archE1100ELNS1_3gpuE3ELNS1_3repE0EEENS1_30default_config_static_selectorELNS0_4arch9wavefront6targetE0EEEvT1_,comdat
.Lfunc_end1497:
	.size	_ZN7rocprim17ROCPRIM_400000_NS6detail17trampoline_kernelINS0_14default_configENS1_27scan_by_key_config_selectorIiyEEZZNS1_16scan_by_key_implILNS1_25lookback_scan_determinismE0ELb1ES3_N6thrust23THRUST_200600_302600_NS6detail15normal_iteratorINS9_10device_ptrIiEEEENSB_INSC_IyEEEESG_yNS9_4plusIvEENS9_8equal_toIvEEyEE10hipError_tPvRmT2_T3_T4_T5_mT6_T7_P12ihipStream_tbENKUlT_T0_E_clISt17integral_constantIbLb0EES10_IbLb1EEEEDaSW_SX_EUlSW_E_NS1_11comp_targetILNS1_3genE9ELNS1_11target_archE1100ELNS1_3gpuE3ELNS1_3repE0EEENS1_30default_config_static_selectorELNS0_4arch9wavefront6targetE0EEEvT1_, .Lfunc_end1497-_ZN7rocprim17ROCPRIM_400000_NS6detail17trampoline_kernelINS0_14default_configENS1_27scan_by_key_config_selectorIiyEEZZNS1_16scan_by_key_implILNS1_25lookback_scan_determinismE0ELb1ES3_N6thrust23THRUST_200600_302600_NS6detail15normal_iteratorINS9_10device_ptrIiEEEENSB_INSC_IyEEEESG_yNS9_4plusIvEENS9_8equal_toIvEEyEE10hipError_tPvRmT2_T3_T4_T5_mT6_T7_P12ihipStream_tbENKUlT_T0_E_clISt17integral_constantIbLb0EES10_IbLb1EEEEDaSW_SX_EUlSW_E_NS1_11comp_targetILNS1_3genE9ELNS1_11target_archE1100ELNS1_3gpuE3ELNS1_3repE0EEENS1_30default_config_static_selectorELNS0_4arch9wavefront6targetE0EEEvT1_
                                        ; -- End function
	.set _ZN7rocprim17ROCPRIM_400000_NS6detail17trampoline_kernelINS0_14default_configENS1_27scan_by_key_config_selectorIiyEEZZNS1_16scan_by_key_implILNS1_25lookback_scan_determinismE0ELb1ES3_N6thrust23THRUST_200600_302600_NS6detail15normal_iteratorINS9_10device_ptrIiEEEENSB_INSC_IyEEEESG_yNS9_4plusIvEENS9_8equal_toIvEEyEE10hipError_tPvRmT2_T3_T4_T5_mT6_T7_P12ihipStream_tbENKUlT_T0_E_clISt17integral_constantIbLb0EES10_IbLb1EEEEDaSW_SX_EUlSW_E_NS1_11comp_targetILNS1_3genE9ELNS1_11target_archE1100ELNS1_3gpuE3ELNS1_3repE0EEENS1_30default_config_static_selectorELNS0_4arch9wavefront6targetE0EEEvT1_.num_vgpr, 0
	.set _ZN7rocprim17ROCPRIM_400000_NS6detail17trampoline_kernelINS0_14default_configENS1_27scan_by_key_config_selectorIiyEEZZNS1_16scan_by_key_implILNS1_25lookback_scan_determinismE0ELb1ES3_N6thrust23THRUST_200600_302600_NS6detail15normal_iteratorINS9_10device_ptrIiEEEENSB_INSC_IyEEEESG_yNS9_4plusIvEENS9_8equal_toIvEEyEE10hipError_tPvRmT2_T3_T4_T5_mT6_T7_P12ihipStream_tbENKUlT_T0_E_clISt17integral_constantIbLb0EES10_IbLb1EEEEDaSW_SX_EUlSW_E_NS1_11comp_targetILNS1_3genE9ELNS1_11target_archE1100ELNS1_3gpuE3ELNS1_3repE0EEENS1_30default_config_static_selectorELNS0_4arch9wavefront6targetE0EEEvT1_.num_agpr, 0
	.set _ZN7rocprim17ROCPRIM_400000_NS6detail17trampoline_kernelINS0_14default_configENS1_27scan_by_key_config_selectorIiyEEZZNS1_16scan_by_key_implILNS1_25lookback_scan_determinismE0ELb1ES3_N6thrust23THRUST_200600_302600_NS6detail15normal_iteratorINS9_10device_ptrIiEEEENSB_INSC_IyEEEESG_yNS9_4plusIvEENS9_8equal_toIvEEyEE10hipError_tPvRmT2_T3_T4_T5_mT6_T7_P12ihipStream_tbENKUlT_T0_E_clISt17integral_constantIbLb0EES10_IbLb1EEEEDaSW_SX_EUlSW_E_NS1_11comp_targetILNS1_3genE9ELNS1_11target_archE1100ELNS1_3gpuE3ELNS1_3repE0EEENS1_30default_config_static_selectorELNS0_4arch9wavefront6targetE0EEEvT1_.numbered_sgpr, 0
	.set _ZN7rocprim17ROCPRIM_400000_NS6detail17trampoline_kernelINS0_14default_configENS1_27scan_by_key_config_selectorIiyEEZZNS1_16scan_by_key_implILNS1_25lookback_scan_determinismE0ELb1ES3_N6thrust23THRUST_200600_302600_NS6detail15normal_iteratorINS9_10device_ptrIiEEEENSB_INSC_IyEEEESG_yNS9_4plusIvEENS9_8equal_toIvEEyEE10hipError_tPvRmT2_T3_T4_T5_mT6_T7_P12ihipStream_tbENKUlT_T0_E_clISt17integral_constantIbLb0EES10_IbLb1EEEEDaSW_SX_EUlSW_E_NS1_11comp_targetILNS1_3genE9ELNS1_11target_archE1100ELNS1_3gpuE3ELNS1_3repE0EEENS1_30default_config_static_selectorELNS0_4arch9wavefront6targetE0EEEvT1_.num_named_barrier, 0
	.set _ZN7rocprim17ROCPRIM_400000_NS6detail17trampoline_kernelINS0_14default_configENS1_27scan_by_key_config_selectorIiyEEZZNS1_16scan_by_key_implILNS1_25lookback_scan_determinismE0ELb1ES3_N6thrust23THRUST_200600_302600_NS6detail15normal_iteratorINS9_10device_ptrIiEEEENSB_INSC_IyEEEESG_yNS9_4plusIvEENS9_8equal_toIvEEyEE10hipError_tPvRmT2_T3_T4_T5_mT6_T7_P12ihipStream_tbENKUlT_T0_E_clISt17integral_constantIbLb0EES10_IbLb1EEEEDaSW_SX_EUlSW_E_NS1_11comp_targetILNS1_3genE9ELNS1_11target_archE1100ELNS1_3gpuE3ELNS1_3repE0EEENS1_30default_config_static_selectorELNS0_4arch9wavefront6targetE0EEEvT1_.private_seg_size, 0
	.set _ZN7rocprim17ROCPRIM_400000_NS6detail17trampoline_kernelINS0_14default_configENS1_27scan_by_key_config_selectorIiyEEZZNS1_16scan_by_key_implILNS1_25lookback_scan_determinismE0ELb1ES3_N6thrust23THRUST_200600_302600_NS6detail15normal_iteratorINS9_10device_ptrIiEEEENSB_INSC_IyEEEESG_yNS9_4plusIvEENS9_8equal_toIvEEyEE10hipError_tPvRmT2_T3_T4_T5_mT6_T7_P12ihipStream_tbENKUlT_T0_E_clISt17integral_constantIbLb0EES10_IbLb1EEEEDaSW_SX_EUlSW_E_NS1_11comp_targetILNS1_3genE9ELNS1_11target_archE1100ELNS1_3gpuE3ELNS1_3repE0EEENS1_30default_config_static_selectorELNS0_4arch9wavefront6targetE0EEEvT1_.uses_vcc, 0
	.set _ZN7rocprim17ROCPRIM_400000_NS6detail17trampoline_kernelINS0_14default_configENS1_27scan_by_key_config_selectorIiyEEZZNS1_16scan_by_key_implILNS1_25lookback_scan_determinismE0ELb1ES3_N6thrust23THRUST_200600_302600_NS6detail15normal_iteratorINS9_10device_ptrIiEEEENSB_INSC_IyEEEESG_yNS9_4plusIvEENS9_8equal_toIvEEyEE10hipError_tPvRmT2_T3_T4_T5_mT6_T7_P12ihipStream_tbENKUlT_T0_E_clISt17integral_constantIbLb0EES10_IbLb1EEEEDaSW_SX_EUlSW_E_NS1_11comp_targetILNS1_3genE9ELNS1_11target_archE1100ELNS1_3gpuE3ELNS1_3repE0EEENS1_30default_config_static_selectorELNS0_4arch9wavefront6targetE0EEEvT1_.uses_flat_scratch, 0
	.set _ZN7rocprim17ROCPRIM_400000_NS6detail17trampoline_kernelINS0_14default_configENS1_27scan_by_key_config_selectorIiyEEZZNS1_16scan_by_key_implILNS1_25lookback_scan_determinismE0ELb1ES3_N6thrust23THRUST_200600_302600_NS6detail15normal_iteratorINS9_10device_ptrIiEEEENSB_INSC_IyEEEESG_yNS9_4plusIvEENS9_8equal_toIvEEyEE10hipError_tPvRmT2_T3_T4_T5_mT6_T7_P12ihipStream_tbENKUlT_T0_E_clISt17integral_constantIbLb0EES10_IbLb1EEEEDaSW_SX_EUlSW_E_NS1_11comp_targetILNS1_3genE9ELNS1_11target_archE1100ELNS1_3gpuE3ELNS1_3repE0EEENS1_30default_config_static_selectorELNS0_4arch9wavefront6targetE0EEEvT1_.has_dyn_sized_stack, 0
	.set _ZN7rocprim17ROCPRIM_400000_NS6detail17trampoline_kernelINS0_14default_configENS1_27scan_by_key_config_selectorIiyEEZZNS1_16scan_by_key_implILNS1_25lookback_scan_determinismE0ELb1ES3_N6thrust23THRUST_200600_302600_NS6detail15normal_iteratorINS9_10device_ptrIiEEEENSB_INSC_IyEEEESG_yNS9_4plusIvEENS9_8equal_toIvEEyEE10hipError_tPvRmT2_T3_T4_T5_mT6_T7_P12ihipStream_tbENKUlT_T0_E_clISt17integral_constantIbLb0EES10_IbLb1EEEEDaSW_SX_EUlSW_E_NS1_11comp_targetILNS1_3genE9ELNS1_11target_archE1100ELNS1_3gpuE3ELNS1_3repE0EEENS1_30default_config_static_selectorELNS0_4arch9wavefront6targetE0EEEvT1_.has_recursion, 0
	.set _ZN7rocprim17ROCPRIM_400000_NS6detail17trampoline_kernelINS0_14default_configENS1_27scan_by_key_config_selectorIiyEEZZNS1_16scan_by_key_implILNS1_25lookback_scan_determinismE0ELb1ES3_N6thrust23THRUST_200600_302600_NS6detail15normal_iteratorINS9_10device_ptrIiEEEENSB_INSC_IyEEEESG_yNS9_4plusIvEENS9_8equal_toIvEEyEE10hipError_tPvRmT2_T3_T4_T5_mT6_T7_P12ihipStream_tbENKUlT_T0_E_clISt17integral_constantIbLb0EES10_IbLb1EEEEDaSW_SX_EUlSW_E_NS1_11comp_targetILNS1_3genE9ELNS1_11target_archE1100ELNS1_3gpuE3ELNS1_3repE0EEENS1_30default_config_static_selectorELNS0_4arch9wavefront6targetE0EEEvT1_.has_indirect_call, 0
	.section	.AMDGPU.csdata,"",@progbits
; Kernel info:
; codeLenInByte = 0
; TotalNumSgprs: 0
; NumVgprs: 0
; ScratchSize: 0
; MemoryBound: 0
; FloatMode: 240
; IeeeMode: 1
; LDSByteSize: 0 bytes/workgroup (compile time only)
; SGPRBlocks: 0
; VGPRBlocks: 0
; NumSGPRsForWavesPerEU: 1
; NumVGPRsForWavesPerEU: 1
; NamedBarCnt: 0
; Occupancy: 16
; WaveLimiterHint : 0
; COMPUTE_PGM_RSRC2:SCRATCH_EN: 0
; COMPUTE_PGM_RSRC2:USER_SGPR: 2
; COMPUTE_PGM_RSRC2:TRAP_HANDLER: 0
; COMPUTE_PGM_RSRC2:TGID_X_EN: 1
; COMPUTE_PGM_RSRC2:TGID_Y_EN: 0
; COMPUTE_PGM_RSRC2:TGID_Z_EN: 0
; COMPUTE_PGM_RSRC2:TIDIG_COMP_CNT: 0
	.section	.text._ZN7rocprim17ROCPRIM_400000_NS6detail17trampoline_kernelINS0_14default_configENS1_27scan_by_key_config_selectorIiyEEZZNS1_16scan_by_key_implILNS1_25lookback_scan_determinismE0ELb1ES3_N6thrust23THRUST_200600_302600_NS6detail15normal_iteratorINS9_10device_ptrIiEEEENSB_INSC_IyEEEESG_yNS9_4plusIvEENS9_8equal_toIvEEyEE10hipError_tPvRmT2_T3_T4_T5_mT6_T7_P12ihipStream_tbENKUlT_T0_E_clISt17integral_constantIbLb0EES10_IbLb1EEEEDaSW_SX_EUlSW_E_NS1_11comp_targetILNS1_3genE8ELNS1_11target_archE1030ELNS1_3gpuE2ELNS1_3repE0EEENS1_30default_config_static_selectorELNS0_4arch9wavefront6targetE0EEEvT1_,"axG",@progbits,_ZN7rocprim17ROCPRIM_400000_NS6detail17trampoline_kernelINS0_14default_configENS1_27scan_by_key_config_selectorIiyEEZZNS1_16scan_by_key_implILNS1_25lookback_scan_determinismE0ELb1ES3_N6thrust23THRUST_200600_302600_NS6detail15normal_iteratorINS9_10device_ptrIiEEEENSB_INSC_IyEEEESG_yNS9_4plusIvEENS9_8equal_toIvEEyEE10hipError_tPvRmT2_T3_T4_T5_mT6_T7_P12ihipStream_tbENKUlT_T0_E_clISt17integral_constantIbLb0EES10_IbLb1EEEEDaSW_SX_EUlSW_E_NS1_11comp_targetILNS1_3genE8ELNS1_11target_archE1030ELNS1_3gpuE2ELNS1_3repE0EEENS1_30default_config_static_selectorELNS0_4arch9wavefront6targetE0EEEvT1_,comdat
	.protected	_ZN7rocprim17ROCPRIM_400000_NS6detail17trampoline_kernelINS0_14default_configENS1_27scan_by_key_config_selectorIiyEEZZNS1_16scan_by_key_implILNS1_25lookback_scan_determinismE0ELb1ES3_N6thrust23THRUST_200600_302600_NS6detail15normal_iteratorINS9_10device_ptrIiEEEENSB_INSC_IyEEEESG_yNS9_4plusIvEENS9_8equal_toIvEEyEE10hipError_tPvRmT2_T3_T4_T5_mT6_T7_P12ihipStream_tbENKUlT_T0_E_clISt17integral_constantIbLb0EES10_IbLb1EEEEDaSW_SX_EUlSW_E_NS1_11comp_targetILNS1_3genE8ELNS1_11target_archE1030ELNS1_3gpuE2ELNS1_3repE0EEENS1_30default_config_static_selectorELNS0_4arch9wavefront6targetE0EEEvT1_ ; -- Begin function _ZN7rocprim17ROCPRIM_400000_NS6detail17trampoline_kernelINS0_14default_configENS1_27scan_by_key_config_selectorIiyEEZZNS1_16scan_by_key_implILNS1_25lookback_scan_determinismE0ELb1ES3_N6thrust23THRUST_200600_302600_NS6detail15normal_iteratorINS9_10device_ptrIiEEEENSB_INSC_IyEEEESG_yNS9_4plusIvEENS9_8equal_toIvEEyEE10hipError_tPvRmT2_T3_T4_T5_mT6_T7_P12ihipStream_tbENKUlT_T0_E_clISt17integral_constantIbLb0EES10_IbLb1EEEEDaSW_SX_EUlSW_E_NS1_11comp_targetILNS1_3genE8ELNS1_11target_archE1030ELNS1_3gpuE2ELNS1_3repE0EEENS1_30default_config_static_selectorELNS0_4arch9wavefront6targetE0EEEvT1_
	.globl	_ZN7rocprim17ROCPRIM_400000_NS6detail17trampoline_kernelINS0_14default_configENS1_27scan_by_key_config_selectorIiyEEZZNS1_16scan_by_key_implILNS1_25lookback_scan_determinismE0ELb1ES3_N6thrust23THRUST_200600_302600_NS6detail15normal_iteratorINS9_10device_ptrIiEEEENSB_INSC_IyEEEESG_yNS9_4plusIvEENS9_8equal_toIvEEyEE10hipError_tPvRmT2_T3_T4_T5_mT6_T7_P12ihipStream_tbENKUlT_T0_E_clISt17integral_constantIbLb0EES10_IbLb1EEEEDaSW_SX_EUlSW_E_NS1_11comp_targetILNS1_3genE8ELNS1_11target_archE1030ELNS1_3gpuE2ELNS1_3repE0EEENS1_30default_config_static_selectorELNS0_4arch9wavefront6targetE0EEEvT1_
	.p2align	8
	.type	_ZN7rocprim17ROCPRIM_400000_NS6detail17trampoline_kernelINS0_14default_configENS1_27scan_by_key_config_selectorIiyEEZZNS1_16scan_by_key_implILNS1_25lookback_scan_determinismE0ELb1ES3_N6thrust23THRUST_200600_302600_NS6detail15normal_iteratorINS9_10device_ptrIiEEEENSB_INSC_IyEEEESG_yNS9_4plusIvEENS9_8equal_toIvEEyEE10hipError_tPvRmT2_T3_T4_T5_mT6_T7_P12ihipStream_tbENKUlT_T0_E_clISt17integral_constantIbLb0EES10_IbLb1EEEEDaSW_SX_EUlSW_E_NS1_11comp_targetILNS1_3genE8ELNS1_11target_archE1030ELNS1_3gpuE2ELNS1_3repE0EEENS1_30default_config_static_selectorELNS0_4arch9wavefront6targetE0EEEvT1_,@function
_ZN7rocprim17ROCPRIM_400000_NS6detail17trampoline_kernelINS0_14default_configENS1_27scan_by_key_config_selectorIiyEEZZNS1_16scan_by_key_implILNS1_25lookback_scan_determinismE0ELb1ES3_N6thrust23THRUST_200600_302600_NS6detail15normal_iteratorINS9_10device_ptrIiEEEENSB_INSC_IyEEEESG_yNS9_4plusIvEENS9_8equal_toIvEEyEE10hipError_tPvRmT2_T3_T4_T5_mT6_T7_P12ihipStream_tbENKUlT_T0_E_clISt17integral_constantIbLb0EES10_IbLb1EEEEDaSW_SX_EUlSW_E_NS1_11comp_targetILNS1_3genE8ELNS1_11target_archE1030ELNS1_3gpuE2ELNS1_3repE0EEENS1_30default_config_static_selectorELNS0_4arch9wavefront6targetE0EEEvT1_: ; @_ZN7rocprim17ROCPRIM_400000_NS6detail17trampoline_kernelINS0_14default_configENS1_27scan_by_key_config_selectorIiyEEZZNS1_16scan_by_key_implILNS1_25lookback_scan_determinismE0ELb1ES3_N6thrust23THRUST_200600_302600_NS6detail15normal_iteratorINS9_10device_ptrIiEEEENSB_INSC_IyEEEESG_yNS9_4plusIvEENS9_8equal_toIvEEyEE10hipError_tPvRmT2_T3_T4_T5_mT6_T7_P12ihipStream_tbENKUlT_T0_E_clISt17integral_constantIbLb0EES10_IbLb1EEEEDaSW_SX_EUlSW_E_NS1_11comp_targetILNS1_3genE8ELNS1_11target_archE1030ELNS1_3gpuE2ELNS1_3repE0EEENS1_30default_config_static_selectorELNS0_4arch9wavefront6targetE0EEEvT1_
; %bb.0:
	.section	.rodata,"a",@progbits
	.p2align	6, 0x0
	.amdhsa_kernel _ZN7rocprim17ROCPRIM_400000_NS6detail17trampoline_kernelINS0_14default_configENS1_27scan_by_key_config_selectorIiyEEZZNS1_16scan_by_key_implILNS1_25lookback_scan_determinismE0ELb1ES3_N6thrust23THRUST_200600_302600_NS6detail15normal_iteratorINS9_10device_ptrIiEEEENSB_INSC_IyEEEESG_yNS9_4plusIvEENS9_8equal_toIvEEyEE10hipError_tPvRmT2_T3_T4_T5_mT6_T7_P12ihipStream_tbENKUlT_T0_E_clISt17integral_constantIbLb0EES10_IbLb1EEEEDaSW_SX_EUlSW_E_NS1_11comp_targetILNS1_3genE8ELNS1_11target_archE1030ELNS1_3gpuE2ELNS1_3repE0EEENS1_30default_config_static_selectorELNS0_4arch9wavefront6targetE0EEEvT1_
		.amdhsa_group_segment_fixed_size 0
		.amdhsa_private_segment_fixed_size 0
		.amdhsa_kernarg_size 136
		.amdhsa_user_sgpr_count 2
		.amdhsa_user_sgpr_dispatch_ptr 0
		.amdhsa_user_sgpr_queue_ptr 0
		.amdhsa_user_sgpr_kernarg_segment_ptr 1
		.amdhsa_user_sgpr_dispatch_id 0
		.amdhsa_user_sgpr_kernarg_preload_length 0
		.amdhsa_user_sgpr_kernarg_preload_offset 0
		.amdhsa_user_sgpr_private_segment_size 0
		.amdhsa_wavefront_size32 1
		.amdhsa_uses_dynamic_stack 0
		.amdhsa_enable_private_segment 0
		.amdhsa_system_sgpr_workgroup_id_x 1
		.amdhsa_system_sgpr_workgroup_id_y 0
		.amdhsa_system_sgpr_workgroup_id_z 0
		.amdhsa_system_sgpr_workgroup_info 0
		.amdhsa_system_vgpr_workitem_id 0
		.amdhsa_next_free_vgpr 1
		.amdhsa_next_free_sgpr 1
		.amdhsa_named_barrier_count 0
		.amdhsa_reserve_vcc 0
		.amdhsa_float_round_mode_32 0
		.amdhsa_float_round_mode_16_64 0
		.amdhsa_float_denorm_mode_32 3
		.amdhsa_float_denorm_mode_16_64 3
		.amdhsa_fp16_overflow 0
		.amdhsa_memory_ordered 1
		.amdhsa_forward_progress 1
		.amdhsa_inst_pref_size 0
		.amdhsa_round_robin_scheduling 0
		.amdhsa_exception_fp_ieee_invalid_op 0
		.amdhsa_exception_fp_denorm_src 0
		.amdhsa_exception_fp_ieee_div_zero 0
		.amdhsa_exception_fp_ieee_overflow 0
		.amdhsa_exception_fp_ieee_underflow 0
		.amdhsa_exception_fp_ieee_inexact 0
		.amdhsa_exception_int_div_zero 0
	.end_amdhsa_kernel
	.section	.text._ZN7rocprim17ROCPRIM_400000_NS6detail17trampoline_kernelINS0_14default_configENS1_27scan_by_key_config_selectorIiyEEZZNS1_16scan_by_key_implILNS1_25lookback_scan_determinismE0ELb1ES3_N6thrust23THRUST_200600_302600_NS6detail15normal_iteratorINS9_10device_ptrIiEEEENSB_INSC_IyEEEESG_yNS9_4plusIvEENS9_8equal_toIvEEyEE10hipError_tPvRmT2_T3_T4_T5_mT6_T7_P12ihipStream_tbENKUlT_T0_E_clISt17integral_constantIbLb0EES10_IbLb1EEEEDaSW_SX_EUlSW_E_NS1_11comp_targetILNS1_3genE8ELNS1_11target_archE1030ELNS1_3gpuE2ELNS1_3repE0EEENS1_30default_config_static_selectorELNS0_4arch9wavefront6targetE0EEEvT1_,"axG",@progbits,_ZN7rocprim17ROCPRIM_400000_NS6detail17trampoline_kernelINS0_14default_configENS1_27scan_by_key_config_selectorIiyEEZZNS1_16scan_by_key_implILNS1_25lookback_scan_determinismE0ELb1ES3_N6thrust23THRUST_200600_302600_NS6detail15normal_iteratorINS9_10device_ptrIiEEEENSB_INSC_IyEEEESG_yNS9_4plusIvEENS9_8equal_toIvEEyEE10hipError_tPvRmT2_T3_T4_T5_mT6_T7_P12ihipStream_tbENKUlT_T0_E_clISt17integral_constantIbLb0EES10_IbLb1EEEEDaSW_SX_EUlSW_E_NS1_11comp_targetILNS1_3genE8ELNS1_11target_archE1030ELNS1_3gpuE2ELNS1_3repE0EEENS1_30default_config_static_selectorELNS0_4arch9wavefront6targetE0EEEvT1_,comdat
.Lfunc_end1498:
	.size	_ZN7rocprim17ROCPRIM_400000_NS6detail17trampoline_kernelINS0_14default_configENS1_27scan_by_key_config_selectorIiyEEZZNS1_16scan_by_key_implILNS1_25lookback_scan_determinismE0ELb1ES3_N6thrust23THRUST_200600_302600_NS6detail15normal_iteratorINS9_10device_ptrIiEEEENSB_INSC_IyEEEESG_yNS9_4plusIvEENS9_8equal_toIvEEyEE10hipError_tPvRmT2_T3_T4_T5_mT6_T7_P12ihipStream_tbENKUlT_T0_E_clISt17integral_constantIbLb0EES10_IbLb1EEEEDaSW_SX_EUlSW_E_NS1_11comp_targetILNS1_3genE8ELNS1_11target_archE1030ELNS1_3gpuE2ELNS1_3repE0EEENS1_30default_config_static_selectorELNS0_4arch9wavefront6targetE0EEEvT1_, .Lfunc_end1498-_ZN7rocprim17ROCPRIM_400000_NS6detail17trampoline_kernelINS0_14default_configENS1_27scan_by_key_config_selectorIiyEEZZNS1_16scan_by_key_implILNS1_25lookback_scan_determinismE0ELb1ES3_N6thrust23THRUST_200600_302600_NS6detail15normal_iteratorINS9_10device_ptrIiEEEENSB_INSC_IyEEEESG_yNS9_4plusIvEENS9_8equal_toIvEEyEE10hipError_tPvRmT2_T3_T4_T5_mT6_T7_P12ihipStream_tbENKUlT_T0_E_clISt17integral_constantIbLb0EES10_IbLb1EEEEDaSW_SX_EUlSW_E_NS1_11comp_targetILNS1_3genE8ELNS1_11target_archE1030ELNS1_3gpuE2ELNS1_3repE0EEENS1_30default_config_static_selectorELNS0_4arch9wavefront6targetE0EEEvT1_
                                        ; -- End function
	.set _ZN7rocprim17ROCPRIM_400000_NS6detail17trampoline_kernelINS0_14default_configENS1_27scan_by_key_config_selectorIiyEEZZNS1_16scan_by_key_implILNS1_25lookback_scan_determinismE0ELb1ES3_N6thrust23THRUST_200600_302600_NS6detail15normal_iteratorINS9_10device_ptrIiEEEENSB_INSC_IyEEEESG_yNS9_4plusIvEENS9_8equal_toIvEEyEE10hipError_tPvRmT2_T3_T4_T5_mT6_T7_P12ihipStream_tbENKUlT_T0_E_clISt17integral_constantIbLb0EES10_IbLb1EEEEDaSW_SX_EUlSW_E_NS1_11comp_targetILNS1_3genE8ELNS1_11target_archE1030ELNS1_3gpuE2ELNS1_3repE0EEENS1_30default_config_static_selectorELNS0_4arch9wavefront6targetE0EEEvT1_.num_vgpr, 0
	.set _ZN7rocprim17ROCPRIM_400000_NS6detail17trampoline_kernelINS0_14default_configENS1_27scan_by_key_config_selectorIiyEEZZNS1_16scan_by_key_implILNS1_25lookback_scan_determinismE0ELb1ES3_N6thrust23THRUST_200600_302600_NS6detail15normal_iteratorINS9_10device_ptrIiEEEENSB_INSC_IyEEEESG_yNS9_4plusIvEENS9_8equal_toIvEEyEE10hipError_tPvRmT2_T3_T4_T5_mT6_T7_P12ihipStream_tbENKUlT_T0_E_clISt17integral_constantIbLb0EES10_IbLb1EEEEDaSW_SX_EUlSW_E_NS1_11comp_targetILNS1_3genE8ELNS1_11target_archE1030ELNS1_3gpuE2ELNS1_3repE0EEENS1_30default_config_static_selectorELNS0_4arch9wavefront6targetE0EEEvT1_.num_agpr, 0
	.set _ZN7rocprim17ROCPRIM_400000_NS6detail17trampoline_kernelINS0_14default_configENS1_27scan_by_key_config_selectorIiyEEZZNS1_16scan_by_key_implILNS1_25lookback_scan_determinismE0ELb1ES3_N6thrust23THRUST_200600_302600_NS6detail15normal_iteratorINS9_10device_ptrIiEEEENSB_INSC_IyEEEESG_yNS9_4plusIvEENS9_8equal_toIvEEyEE10hipError_tPvRmT2_T3_T4_T5_mT6_T7_P12ihipStream_tbENKUlT_T0_E_clISt17integral_constantIbLb0EES10_IbLb1EEEEDaSW_SX_EUlSW_E_NS1_11comp_targetILNS1_3genE8ELNS1_11target_archE1030ELNS1_3gpuE2ELNS1_3repE0EEENS1_30default_config_static_selectorELNS0_4arch9wavefront6targetE0EEEvT1_.numbered_sgpr, 0
	.set _ZN7rocprim17ROCPRIM_400000_NS6detail17trampoline_kernelINS0_14default_configENS1_27scan_by_key_config_selectorIiyEEZZNS1_16scan_by_key_implILNS1_25lookback_scan_determinismE0ELb1ES3_N6thrust23THRUST_200600_302600_NS6detail15normal_iteratorINS9_10device_ptrIiEEEENSB_INSC_IyEEEESG_yNS9_4plusIvEENS9_8equal_toIvEEyEE10hipError_tPvRmT2_T3_T4_T5_mT6_T7_P12ihipStream_tbENKUlT_T0_E_clISt17integral_constantIbLb0EES10_IbLb1EEEEDaSW_SX_EUlSW_E_NS1_11comp_targetILNS1_3genE8ELNS1_11target_archE1030ELNS1_3gpuE2ELNS1_3repE0EEENS1_30default_config_static_selectorELNS0_4arch9wavefront6targetE0EEEvT1_.num_named_barrier, 0
	.set _ZN7rocprim17ROCPRIM_400000_NS6detail17trampoline_kernelINS0_14default_configENS1_27scan_by_key_config_selectorIiyEEZZNS1_16scan_by_key_implILNS1_25lookback_scan_determinismE0ELb1ES3_N6thrust23THRUST_200600_302600_NS6detail15normal_iteratorINS9_10device_ptrIiEEEENSB_INSC_IyEEEESG_yNS9_4plusIvEENS9_8equal_toIvEEyEE10hipError_tPvRmT2_T3_T4_T5_mT6_T7_P12ihipStream_tbENKUlT_T0_E_clISt17integral_constantIbLb0EES10_IbLb1EEEEDaSW_SX_EUlSW_E_NS1_11comp_targetILNS1_3genE8ELNS1_11target_archE1030ELNS1_3gpuE2ELNS1_3repE0EEENS1_30default_config_static_selectorELNS0_4arch9wavefront6targetE0EEEvT1_.private_seg_size, 0
	.set _ZN7rocprim17ROCPRIM_400000_NS6detail17trampoline_kernelINS0_14default_configENS1_27scan_by_key_config_selectorIiyEEZZNS1_16scan_by_key_implILNS1_25lookback_scan_determinismE0ELb1ES3_N6thrust23THRUST_200600_302600_NS6detail15normal_iteratorINS9_10device_ptrIiEEEENSB_INSC_IyEEEESG_yNS9_4plusIvEENS9_8equal_toIvEEyEE10hipError_tPvRmT2_T3_T4_T5_mT6_T7_P12ihipStream_tbENKUlT_T0_E_clISt17integral_constantIbLb0EES10_IbLb1EEEEDaSW_SX_EUlSW_E_NS1_11comp_targetILNS1_3genE8ELNS1_11target_archE1030ELNS1_3gpuE2ELNS1_3repE0EEENS1_30default_config_static_selectorELNS0_4arch9wavefront6targetE0EEEvT1_.uses_vcc, 0
	.set _ZN7rocprim17ROCPRIM_400000_NS6detail17trampoline_kernelINS0_14default_configENS1_27scan_by_key_config_selectorIiyEEZZNS1_16scan_by_key_implILNS1_25lookback_scan_determinismE0ELb1ES3_N6thrust23THRUST_200600_302600_NS6detail15normal_iteratorINS9_10device_ptrIiEEEENSB_INSC_IyEEEESG_yNS9_4plusIvEENS9_8equal_toIvEEyEE10hipError_tPvRmT2_T3_T4_T5_mT6_T7_P12ihipStream_tbENKUlT_T0_E_clISt17integral_constantIbLb0EES10_IbLb1EEEEDaSW_SX_EUlSW_E_NS1_11comp_targetILNS1_3genE8ELNS1_11target_archE1030ELNS1_3gpuE2ELNS1_3repE0EEENS1_30default_config_static_selectorELNS0_4arch9wavefront6targetE0EEEvT1_.uses_flat_scratch, 0
	.set _ZN7rocprim17ROCPRIM_400000_NS6detail17trampoline_kernelINS0_14default_configENS1_27scan_by_key_config_selectorIiyEEZZNS1_16scan_by_key_implILNS1_25lookback_scan_determinismE0ELb1ES3_N6thrust23THRUST_200600_302600_NS6detail15normal_iteratorINS9_10device_ptrIiEEEENSB_INSC_IyEEEESG_yNS9_4plusIvEENS9_8equal_toIvEEyEE10hipError_tPvRmT2_T3_T4_T5_mT6_T7_P12ihipStream_tbENKUlT_T0_E_clISt17integral_constantIbLb0EES10_IbLb1EEEEDaSW_SX_EUlSW_E_NS1_11comp_targetILNS1_3genE8ELNS1_11target_archE1030ELNS1_3gpuE2ELNS1_3repE0EEENS1_30default_config_static_selectorELNS0_4arch9wavefront6targetE0EEEvT1_.has_dyn_sized_stack, 0
	.set _ZN7rocprim17ROCPRIM_400000_NS6detail17trampoline_kernelINS0_14default_configENS1_27scan_by_key_config_selectorIiyEEZZNS1_16scan_by_key_implILNS1_25lookback_scan_determinismE0ELb1ES3_N6thrust23THRUST_200600_302600_NS6detail15normal_iteratorINS9_10device_ptrIiEEEENSB_INSC_IyEEEESG_yNS9_4plusIvEENS9_8equal_toIvEEyEE10hipError_tPvRmT2_T3_T4_T5_mT6_T7_P12ihipStream_tbENKUlT_T0_E_clISt17integral_constantIbLb0EES10_IbLb1EEEEDaSW_SX_EUlSW_E_NS1_11comp_targetILNS1_3genE8ELNS1_11target_archE1030ELNS1_3gpuE2ELNS1_3repE0EEENS1_30default_config_static_selectorELNS0_4arch9wavefront6targetE0EEEvT1_.has_recursion, 0
	.set _ZN7rocprim17ROCPRIM_400000_NS6detail17trampoline_kernelINS0_14default_configENS1_27scan_by_key_config_selectorIiyEEZZNS1_16scan_by_key_implILNS1_25lookback_scan_determinismE0ELb1ES3_N6thrust23THRUST_200600_302600_NS6detail15normal_iteratorINS9_10device_ptrIiEEEENSB_INSC_IyEEEESG_yNS9_4plusIvEENS9_8equal_toIvEEyEE10hipError_tPvRmT2_T3_T4_T5_mT6_T7_P12ihipStream_tbENKUlT_T0_E_clISt17integral_constantIbLb0EES10_IbLb1EEEEDaSW_SX_EUlSW_E_NS1_11comp_targetILNS1_3genE8ELNS1_11target_archE1030ELNS1_3gpuE2ELNS1_3repE0EEENS1_30default_config_static_selectorELNS0_4arch9wavefront6targetE0EEEvT1_.has_indirect_call, 0
	.section	.AMDGPU.csdata,"",@progbits
; Kernel info:
; codeLenInByte = 0
; TotalNumSgprs: 0
; NumVgprs: 0
; ScratchSize: 0
; MemoryBound: 0
; FloatMode: 240
; IeeeMode: 1
; LDSByteSize: 0 bytes/workgroup (compile time only)
; SGPRBlocks: 0
; VGPRBlocks: 0
; NumSGPRsForWavesPerEU: 1
; NumVGPRsForWavesPerEU: 1
; NamedBarCnt: 0
; Occupancy: 16
; WaveLimiterHint : 0
; COMPUTE_PGM_RSRC2:SCRATCH_EN: 0
; COMPUTE_PGM_RSRC2:USER_SGPR: 2
; COMPUTE_PGM_RSRC2:TRAP_HANDLER: 0
; COMPUTE_PGM_RSRC2:TGID_X_EN: 1
; COMPUTE_PGM_RSRC2:TGID_Y_EN: 0
; COMPUTE_PGM_RSRC2:TGID_Z_EN: 0
; COMPUTE_PGM_RSRC2:TIDIG_COMP_CNT: 0
	.section	.text._ZN7rocprim17ROCPRIM_400000_NS6detail17trampoline_kernelINS0_14default_configENS1_27scan_by_key_config_selectorIijEEZZNS1_16scan_by_key_implILNS1_25lookback_scan_determinismE0ELb1ES3_N6thrust23THRUST_200600_302600_NS6detail15normal_iteratorINS9_10device_ptrIiEEEENSB_INSC_IjEEEESG_jNS9_4plusIvEENS9_8equal_toIvEEjEE10hipError_tPvRmT2_T3_T4_T5_mT6_T7_P12ihipStream_tbENKUlT_T0_E_clISt17integral_constantIbLb0EES11_EEDaSW_SX_EUlSW_E_NS1_11comp_targetILNS1_3genE0ELNS1_11target_archE4294967295ELNS1_3gpuE0ELNS1_3repE0EEENS1_30default_config_static_selectorELNS0_4arch9wavefront6targetE0EEEvT1_,"axG",@progbits,_ZN7rocprim17ROCPRIM_400000_NS6detail17trampoline_kernelINS0_14default_configENS1_27scan_by_key_config_selectorIijEEZZNS1_16scan_by_key_implILNS1_25lookback_scan_determinismE0ELb1ES3_N6thrust23THRUST_200600_302600_NS6detail15normal_iteratorINS9_10device_ptrIiEEEENSB_INSC_IjEEEESG_jNS9_4plusIvEENS9_8equal_toIvEEjEE10hipError_tPvRmT2_T3_T4_T5_mT6_T7_P12ihipStream_tbENKUlT_T0_E_clISt17integral_constantIbLb0EES11_EEDaSW_SX_EUlSW_E_NS1_11comp_targetILNS1_3genE0ELNS1_11target_archE4294967295ELNS1_3gpuE0ELNS1_3repE0EEENS1_30default_config_static_selectorELNS0_4arch9wavefront6targetE0EEEvT1_,comdat
	.protected	_ZN7rocprim17ROCPRIM_400000_NS6detail17trampoline_kernelINS0_14default_configENS1_27scan_by_key_config_selectorIijEEZZNS1_16scan_by_key_implILNS1_25lookback_scan_determinismE0ELb1ES3_N6thrust23THRUST_200600_302600_NS6detail15normal_iteratorINS9_10device_ptrIiEEEENSB_INSC_IjEEEESG_jNS9_4plusIvEENS9_8equal_toIvEEjEE10hipError_tPvRmT2_T3_T4_T5_mT6_T7_P12ihipStream_tbENKUlT_T0_E_clISt17integral_constantIbLb0EES11_EEDaSW_SX_EUlSW_E_NS1_11comp_targetILNS1_3genE0ELNS1_11target_archE4294967295ELNS1_3gpuE0ELNS1_3repE0EEENS1_30default_config_static_selectorELNS0_4arch9wavefront6targetE0EEEvT1_ ; -- Begin function _ZN7rocprim17ROCPRIM_400000_NS6detail17trampoline_kernelINS0_14default_configENS1_27scan_by_key_config_selectorIijEEZZNS1_16scan_by_key_implILNS1_25lookback_scan_determinismE0ELb1ES3_N6thrust23THRUST_200600_302600_NS6detail15normal_iteratorINS9_10device_ptrIiEEEENSB_INSC_IjEEEESG_jNS9_4plusIvEENS9_8equal_toIvEEjEE10hipError_tPvRmT2_T3_T4_T5_mT6_T7_P12ihipStream_tbENKUlT_T0_E_clISt17integral_constantIbLb0EES11_EEDaSW_SX_EUlSW_E_NS1_11comp_targetILNS1_3genE0ELNS1_11target_archE4294967295ELNS1_3gpuE0ELNS1_3repE0EEENS1_30default_config_static_selectorELNS0_4arch9wavefront6targetE0EEEvT1_
	.globl	_ZN7rocprim17ROCPRIM_400000_NS6detail17trampoline_kernelINS0_14default_configENS1_27scan_by_key_config_selectorIijEEZZNS1_16scan_by_key_implILNS1_25lookback_scan_determinismE0ELb1ES3_N6thrust23THRUST_200600_302600_NS6detail15normal_iteratorINS9_10device_ptrIiEEEENSB_INSC_IjEEEESG_jNS9_4plusIvEENS9_8equal_toIvEEjEE10hipError_tPvRmT2_T3_T4_T5_mT6_T7_P12ihipStream_tbENKUlT_T0_E_clISt17integral_constantIbLb0EES11_EEDaSW_SX_EUlSW_E_NS1_11comp_targetILNS1_3genE0ELNS1_11target_archE4294967295ELNS1_3gpuE0ELNS1_3repE0EEENS1_30default_config_static_selectorELNS0_4arch9wavefront6targetE0EEEvT1_
	.p2align	8
	.type	_ZN7rocprim17ROCPRIM_400000_NS6detail17trampoline_kernelINS0_14default_configENS1_27scan_by_key_config_selectorIijEEZZNS1_16scan_by_key_implILNS1_25lookback_scan_determinismE0ELb1ES3_N6thrust23THRUST_200600_302600_NS6detail15normal_iteratorINS9_10device_ptrIiEEEENSB_INSC_IjEEEESG_jNS9_4plusIvEENS9_8equal_toIvEEjEE10hipError_tPvRmT2_T3_T4_T5_mT6_T7_P12ihipStream_tbENKUlT_T0_E_clISt17integral_constantIbLb0EES11_EEDaSW_SX_EUlSW_E_NS1_11comp_targetILNS1_3genE0ELNS1_11target_archE4294967295ELNS1_3gpuE0ELNS1_3repE0EEENS1_30default_config_static_selectorELNS0_4arch9wavefront6targetE0EEEvT1_,@function
_ZN7rocprim17ROCPRIM_400000_NS6detail17trampoline_kernelINS0_14default_configENS1_27scan_by_key_config_selectorIijEEZZNS1_16scan_by_key_implILNS1_25lookback_scan_determinismE0ELb1ES3_N6thrust23THRUST_200600_302600_NS6detail15normal_iteratorINS9_10device_ptrIiEEEENSB_INSC_IjEEEESG_jNS9_4plusIvEENS9_8equal_toIvEEjEE10hipError_tPvRmT2_T3_T4_T5_mT6_T7_P12ihipStream_tbENKUlT_T0_E_clISt17integral_constantIbLb0EES11_EEDaSW_SX_EUlSW_E_NS1_11comp_targetILNS1_3genE0ELNS1_11target_archE4294967295ELNS1_3gpuE0ELNS1_3repE0EEENS1_30default_config_static_selectorELNS0_4arch9wavefront6targetE0EEEvT1_: ; @_ZN7rocprim17ROCPRIM_400000_NS6detail17trampoline_kernelINS0_14default_configENS1_27scan_by_key_config_selectorIijEEZZNS1_16scan_by_key_implILNS1_25lookback_scan_determinismE0ELb1ES3_N6thrust23THRUST_200600_302600_NS6detail15normal_iteratorINS9_10device_ptrIiEEEENSB_INSC_IjEEEESG_jNS9_4plusIvEENS9_8equal_toIvEEjEE10hipError_tPvRmT2_T3_T4_T5_mT6_T7_P12ihipStream_tbENKUlT_T0_E_clISt17integral_constantIbLb0EES11_EEDaSW_SX_EUlSW_E_NS1_11comp_targetILNS1_3genE0ELNS1_11target_archE4294967295ELNS1_3gpuE0ELNS1_3repE0EEENS1_30default_config_static_selectorELNS0_4arch9wavefront6targetE0EEEvT1_
; %bb.0:
	s_clause 0x2
	s_load_b96 s[24:26], s[0:1], 0x38
	s_load_b256 s[8:15], s[0:1], 0x0
	s_load_b128 s[20:23], s[0:1], 0x48
	s_bfe_u32 s4, ttmp6, 0x4000c
	s_delay_alu instid0(SALU_CYCLE_1)
	s_add_co_i32 s4, s4, 1
	s_clause 0x1
	s_load_b32 s33, s[0:1], 0x20
	s_load_b128 s[16:19], s[0:1], 0x28
	s_and_b32 s2, ttmp6, 15
	s_wait_xcnt 0x0
	s_mul_i32 s0, ttmp9, s4
	s_getreg_b32 s5, hwreg(HW_REG_IB_STS2, 6, 4)
	s_add_co_i32 s6, s2, s0
	s_mov_b32 s3, 0
	s_barrier_signal -1
	s_mov_b32 s29, s3
	s_barrier_wait -1
	s_wait_kmcnt 0x0
	s_mov_b32 s2, s26
	s_lshl_b64 s[26:27], s[10:11], 2
	s_cmp_eq_u32 s5, 0
	s_mul_u64 s[4:5], s[24:25], s[2:3]
	s_cselect_b32 s28, ttmp9, s6
	s_add_nc_u64 s[0:1], s[8:9], s[26:27]
	s_add_nc_u64 s[4:5], s[4:5], s[28:29]
	s_add_nc_u64 s[8:9], s[20:21], -1
	s_mul_i32 s2, s28, 0xc00
	v_cmp_ge_u64_e64 s19, s[4:5], s[8:9]
	s_add_nc_u64 s[6:7], s[12:13], s[26:27]
	s_lshl_b64 s[20:21], s[2:3], 2
	s_mul_i32 s29, s8, 0xfffff400
	s_add_nc_u64 s[30:31], s[0:1], s[20:21]
	s_add_nc_u64 s[12:13], s[6:7], s[20:21]
	s_and_b32 vcc_lo, exec_lo, s19
	s_cbranch_vccz .LBB1499_66
; %bb.1:
	v_mov_b32_e32 v1, 0
	s_add_co_i32 s34, s29, s18
	s_delay_alu instid0(SALU_CYCLE_1)
	v_cmp_gt_u32_e32 vcc_lo, s34, v0
	flat_load_b32 v1, v1, s[30:31]
	s_wait_loadcnt_dscnt 0x0
	v_mov_b32_e32 v2, v1
	s_and_saveexec_b32 s0, vcc_lo
	s_cbranch_execz .LBB1499_3
; %bb.2:
	flat_load_b32 v2, v0, s[30:31] scale_offset
.LBB1499_3:
	s_wait_xcnt 0x0
	s_or_b32 exec_lo, exec_lo, s0
	v_or_b32_e32 v3, 0x100, v0
	s_delay_alu instid0(VALU_DEP_1)
	v_cmp_gt_u32_e64 s0, s34, v3
	v_mov_b32_e32 v3, v1
	s_and_saveexec_b32 s1, s0
	s_cbranch_execz .LBB1499_5
; %bb.4:
	flat_load_b32 v3, v0, s[30:31] offset:1024 scale_offset
.LBB1499_5:
	s_wait_xcnt 0x0
	s_or_b32 exec_lo, exec_lo, s1
	v_or_b32_e32 v4, 0x200, v0
	s_delay_alu instid0(VALU_DEP_1)
	v_cmp_gt_u32_e64 s1, s34, v4
	v_mov_b32_e32 v4, v1
	s_and_saveexec_b32 s2, s1
	s_cbranch_execz .LBB1499_7
; %bb.6:
	flat_load_b32 v4, v0, s[30:31] offset:2048 scale_offset
.LBB1499_7:
	;; [unrolled: 11-line block ×10, first 2 shown]
	s_wait_xcnt 0x0
	s_or_b32 exec_lo, exec_lo, s10
	v_or_b32_e32 v13, 0xb00, v0
	s_delay_alu instid0(VALU_DEP_1) | instskip(SKIP_2) | instid1(SALU_CYCLE_1)
	v_cmp_gt_u32_e64 s10, s34, v13
	v_cmp_le_u32_e64 s11, s34, v13
	s_and_saveexec_b32 s35, s11
	s_xor_b32 s11, exec_lo, s35
	s_delay_alu instid0(SALU_CYCLE_1)
	s_and_not1_saveexec_b32 s11, s11
	s_cbranch_execz .LBB1499_25
; %bb.24:
	flat_load_b32 v1, v0, s[30:31] offset:11264 scale_offset
.LBB1499_25:
	s_wait_xcnt 0x0
	s_or_b32 exec_lo, exec_lo, s11
	v_lshlrev_b32_e32 v14, 2, v0
	s_mov_b32 s35, exec_lo
	s_wait_loadcnt_dscnt 0x0
	ds_store_2addr_stride64_b32 v14, v2, v3 offset1:4
	ds_store_2addr_stride64_b32 v14, v4, v5 offset0:8 offset1:12
	ds_store_2addr_stride64_b32 v14, v6, v7 offset0:16 offset1:20
	;; [unrolled: 1-line block ×5, first 2 shown]
	v_mov_b32_e32 v1, 0
	s_wait_dscnt 0x0
	s_barrier_signal -1
	s_barrier_wait -1
	flat_load_b32 v38, v1, s[30:31]
	s_wait_xcnt 0x0
	v_mad_u32_u24 v1, v0, 44, v14
	ds_load_b128 v[10:13], v1
	ds_load_b128 v[6:9], v1 offset:16
	ds_load_b128 v[2:5], v1 offset:32
	v_mad_i32_i24 v15, 0xffffffd4, v0, v1
	s_wait_dscnt 0x2
	ds_store_b32 v15, v10 offset:13312
	s_wait_loadcnt_dscnt 0x0
	s_barrier_signal -1
	s_barrier_wait -1
	v_cmpx_ne_u32_e32 0xff, v0
; %bb.26:
	v_mul_i32_i24_e32 v15, 0xffffffd4, v0
	s_delay_alu instid0(VALU_DEP_1)
	v_add_nc_u32_e32 v15, v1, v15
	ds_load_b32 v38, v15 offset:13316
; %bb.27:
	s_or_b32 exec_lo, exec_lo, s35
	s_wait_dscnt 0x0
	s_barrier_signal -1
	s_barrier_wait -1
                                        ; implicit-def: $vgpr15
	s_and_saveexec_b32 s11, vcc_lo
	s_cbranch_execz .LBB1499_102
; %bb.28:
	flat_load_b32 v15, v0, s[12:13] scale_offset
	s_wait_xcnt 0x0
	s_or_b32 exec_lo, exec_lo, s11
                                        ; implicit-def: $vgpr16
	s_and_saveexec_b32 s11, s0
	s_cbranch_execnz .LBB1499_103
.LBB1499_29:
	s_or_b32 exec_lo, exec_lo, s11
                                        ; implicit-def: $vgpr17
	s_and_saveexec_b32 s0, s1
	s_cbranch_execz .LBB1499_104
.LBB1499_30:
	flat_load_b32 v17, v0, s[12:13] offset:2048 scale_offset
	s_wait_xcnt 0x0
	s_or_b32 exec_lo, exec_lo, s0
                                        ; implicit-def: $vgpr18
	s_and_saveexec_b32 s0, s2
	s_cbranch_execnz .LBB1499_105
.LBB1499_31:
	s_or_b32 exec_lo, exec_lo, s0
                                        ; implicit-def: $vgpr19
	s_and_saveexec_b32 s0, s3
	s_cbranch_execz .LBB1499_106
.LBB1499_32:
	flat_load_b32 v19, v0, s[12:13] offset:4096 scale_offset
	s_wait_xcnt 0x0
	s_or_b32 exec_lo, exec_lo, s0
                                        ; implicit-def: $vgpr20
	s_and_saveexec_b32 s0, s4
	s_cbranch_execnz .LBB1499_107
.LBB1499_33:
	s_or_b32 exec_lo, exec_lo, s0
                                        ; implicit-def: $vgpr21
	s_and_saveexec_b32 s0, s5
	s_cbranch_execz .LBB1499_108
.LBB1499_34:
	flat_load_b32 v21, v0, s[12:13] offset:6144 scale_offset
	s_wait_xcnt 0x0
	s_or_b32 exec_lo, exec_lo, s0
                                        ; implicit-def: $vgpr22
	s_and_saveexec_b32 s0, s6
	s_cbranch_execnz .LBB1499_109
.LBB1499_35:
	s_or_b32 exec_lo, exec_lo, s0
                                        ; implicit-def: $vgpr23
	s_and_saveexec_b32 s0, s7
	s_cbranch_execz .LBB1499_110
.LBB1499_36:
	flat_load_b32 v23, v0, s[12:13] offset:8192 scale_offset
	s_wait_xcnt 0x0
	s_or_b32 exec_lo, exec_lo, s0
                                        ; implicit-def: $vgpr24
	s_and_saveexec_b32 s0, s8
	s_cbranch_execnz .LBB1499_111
.LBB1499_37:
	s_or_b32 exec_lo, exec_lo, s0
                                        ; implicit-def: $vgpr25
	s_and_saveexec_b32 s0, s9
	s_cbranch_execz .LBB1499_39
.LBB1499_38:
	flat_load_b32 v25, v0, s[12:13] offset:10240 scale_offset
.LBB1499_39:
	s_wait_xcnt 0x0
	s_or_b32 exec_lo, exec_lo, s0
	v_mul_u32_u24_e32 v39, 12, v0
                                        ; implicit-def: $vgpr26
	s_and_saveexec_b32 s0, s10
	s_cbranch_execz .LBB1499_41
; %bb.40:
	flat_load_b32 v26, v0, s[12:13] offset:11264 scale_offset
.LBB1499_41:
	s_wait_xcnt 0x0
	s_or_b32 exec_lo, exec_lo, s0
	s_wait_loadcnt_dscnt 0x0
	ds_store_2addr_stride64_b32 v14, v15, v16 offset1:4
	ds_store_2addr_stride64_b32 v14, v17, v18 offset0:8 offset1:12
	ds_store_2addr_stride64_b32 v14, v19, v20 offset0:16 offset1:20
	ds_store_2addr_stride64_b32 v14, v21, v22 offset0:24 offset1:28
	ds_store_2addr_stride64_b32 v14, v23, v24 offset0:32 offset1:36
	ds_store_2addr_stride64_b32 v14, v25, v26 offset0:40 offset1:44
	v_mov_b64_e32 v[14:15], 0
	v_mov_b64_e32 v[42:43], 0
	;; [unrolled: 1-line block ×21, first 2 shown]
	s_mov_b32 s0, 0
	s_mov_b32 s3, 0
	s_mov_b32 s1, exec_lo
	s_wait_dscnt 0x0
	s_barrier_signal -1
	s_barrier_wait -1
                                        ; implicit-def: $sgpr2
                                        ; implicit-def: $vgpr60
	v_cmpx_gt_u32_e64 s34, v39
	s_cbranch_execz .LBB1499_65
; %bb.42:
	ds_load_b32 v14, v1
	v_cmp_eq_u32_e32 vcc_lo, v10, v11
	v_or_b32_e32 v16, 1, v39
	v_mov_b64_e32 v[42:43], 0
	v_mov_b64_e32 v[40:41], 0
	;; [unrolled: 1-line block ×17, first 2 shown]
	s_wait_dscnt 0x0
	v_cndmask_b32_e32 v14, s33, v14, vcc_lo
	v_cmp_ne_u32_e32 vcc_lo, v10, v11
	v_mov_b64_e32 v[20:21], 0
	v_mov_b64_e32 v[18:19], 0
	s_mov_b32 s4, 0
	s_mov_b32 s3, exec_lo
	v_cndmask_b32_e64 v15, 0, 1, vcc_lo
                                        ; implicit-def: $sgpr2
                                        ; implicit-def: $vgpr60
	v_cmpx_gt_u32_e64 s34, v16
	s_cbranch_execz .LBB1499_64
; %bb.43:
	ds_load_2addr_b32 v[16:17], v1 offset0:1 offset1:2
	v_cmp_eq_u32_e32 vcc_lo, v11, v12
	v_or_b32_e32 v10, 2, v39
	v_mov_b64_e32 v[40:41], 0
	v_mov_b64_e32 v[44:45], 0
	v_mov_b64_e32 v[46:47], 0
	v_mov_b64_e32 v[48:49], 0
	v_mov_b64_e32 v[50:51], 0
	v_mov_b64_e32 v[52:53], 0
	v_mov_b64_e32 v[54:55], 0
	v_mov_b64_e32 v[56:57], 0
	v_mov_b64_e32 v[58:59], 0
	v_mov_b64_e32 v[32:33], 0
	v_mov_b64_e32 v[30:31], 0
	v_mov_b64_e32 v[28:29], 0
	v_mov_b64_e32 v[26:27], 0
	v_mov_b64_e32 v[24:25], 0
	v_mov_b64_e32 v[22:23], 0
	v_mov_b64_e32 v[20:21], 0
	v_mov_b64_e32 v[18:19], 0
	s_wait_dscnt 0x0
	v_cndmask_b32_e32 v42, s33, v16, vcc_lo
	v_cmp_ne_u32_e32 vcc_lo, v11, v12
	s_mov_b32 s5, 0
	s_mov_b32 s4, exec_lo
                                        ; implicit-def: $sgpr2
                                        ; implicit-def: $vgpr60
	v_cndmask_b32_e64 v43, 0, 1, vcc_lo
	v_cmpx_gt_u32_e64 s34, v10
	s_cbranch_execz .LBB1499_63
; %bb.44:
	v_cmp_eq_u32_e32 vcc_lo, v12, v13
	v_mov_b64_e32 v[44:45], 0
	v_mov_b64_e32 v[46:47], 0
	;; [unrolled: 1-line block ×4, first 2 shown]
	v_dual_cndmask_b32 v40, s33, v17, vcc_lo :: v_dual_bitop2_b32 v10, 3, v39 bitop3:0x54
	v_cmp_ne_u32_e32 vcc_lo, v12, v13
	v_mov_b64_e32 v[52:53], 0
	v_mov_b64_e32 v[54:55], 0
	;; [unrolled: 1-line block ×11, first 2 shown]
	v_cndmask_b32_e64 v41, 0, 1, vcc_lo
	s_mov_b32 s6, 0
	s_mov_b32 s5, exec_lo
                                        ; implicit-def: $sgpr2
                                        ; implicit-def: $vgpr60
	v_cmpx_gt_u32_e64 s34, v10
	s_cbranch_execz .LBB1499_62
; %bb.45:
	ds_load_2addr_b32 v[10:11], v1 offset0:3 offset1:4
	v_cmp_ne_u32_e32 vcc_lo, v13, v6
	v_mov_b64_e32 v[46:47], 0
	v_mov_b64_e32 v[48:49], 0
	;; [unrolled: 1-line block ×4, first 2 shown]
	v_cndmask_b32_e64 v45, 0, 1, vcc_lo
	v_cmp_eq_u32_e32 vcc_lo, v13, v6
	v_mov_b64_e32 v[54:55], 0
	v_mov_b64_e32 v[56:57], 0
	;; [unrolled: 1-line block ×9, first 2 shown]
	v_add_nc_u32_e32 v12, 4, v39
	s_mov_b32 s7, 0
	s_mov_b32 s6, exec_lo
	s_wait_dscnt 0x0
	v_cndmask_b32_e32 v44, s33, v10, vcc_lo
                                        ; implicit-def: $sgpr2
                                        ; implicit-def: $vgpr60
	v_cmpx_gt_u32_e64 s34, v12
	s_cbranch_execz .LBB1499_61
; %bb.46:
	v_cmp_eq_u32_e32 vcc_lo, v6, v7
	v_mov_b64_e32 v[48:49], 0
	v_mov_b64_e32 v[50:51], 0
	;; [unrolled: 1-line block ×4, first 2 shown]
	v_cndmask_b32_e32 v46, s33, v11, vcc_lo
	v_cmp_ne_u32_e32 vcc_lo, v6, v7
	v_mov_b64_e32 v[56:57], 0
	v_mov_b64_e32 v[58:59], 0
	;; [unrolled: 1-line block ×7, first 2 shown]
	v_add_nc_u32_e32 v10, 5, v39
	v_cndmask_b32_e64 v47, 0, 1, vcc_lo
	s_mov_b32 s8, 0
	s_mov_b32 s7, exec_lo
                                        ; implicit-def: $sgpr2
                                        ; implicit-def: $vgpr60
	s_delay_alu instid0(VALU_DEP_2)
	v_cmpx_gt_u32_e64 s34, v10
	s_cbranch_execz .LBB1499_60
; %bb.47:
	ds_load_2addr_b32 v[10:11], v1 offset0:5 offset1:6
	v_cmp_ne_u32_e32 vcc_lo, v7, v8
	v_mov_b64_e32 v[50:51], 0
	v_mov_b64_e32 v[52:53], 0
	;; [unrolled: 1-line block ×4, first 2 shown]
	v_cndmask_b32_e64 v49, 0, 1, vcc_lo
	v_cmp_eq_u32_e32 vcc_lo, v7, v8
	v_mov_b64_e32 v[58:59], 0
	v_mov_b64_e32 v[24:25], 0
	;; [unrolled: 1-line block ×5, first 2 shown]
	v_add_nc_u32_e32 v6, 6, v39
	s_mov_b32 s9, 0
	s_mov_b32 s8, exec_lo
                                        ; implicit-def: $sgpr2
                                        ; implicit-def: $vgpr60
	s_wait_dscnt 0x0
	v_cndmask_b32_e32 v48, s33, v10, vcc_lo
	v_cmpx_gt_u32_e64 s34, v6
	s_cbranch_execz .LBB1499_59
; %bb.48:
	v_cmp_eq_u32_e32 vcc_lo, v8, v9
	v_mov_b64_e32 v[52:53], 0
	v_mov_b64_e32 v[54:55], 0
	;; [unrolled: 1-line block ×4, first 2 shown]
	v_cndmask_b32_e32 v50, s33, v11, vcc_lo
	v_cmp_ne_u32_e32 vcc_lo, v8, v9
	v_mov_b64_e32 v[22:23], 0
	v_mov_b64_e32 v[20:21], 0
	;; [unrolled: 1-line block ×3, first 2 shown]
	v_add_nc_u32_e32 v6, 7, v39
	v_cndmask_b32_e64 v51, 0, 1, vcc_lo
	s_mov_b32 s10, 0
	s_mov_b32 s9, exec_lo
                                        ; implicit-def: $sgpr2
                                        ; implicit-def: $vgpr60
	s_delay_alu instid0(VALU_DEP_2)
	v_cmpx_gt_u32_e64 s34, v6
	s_cbranch_execz .LBB1499_58
; %bb.49:
	ds_load_2addr_b32 v[6:7], v1 offset0:7 offset1:8
	v_cmp_ne_u32_e32 vcc_lo, v9, v2
	v_mov_b64_e32 v[54:55], 0
	v_mov_b64_e32 v[56:57], 0
	;; [unrolled: 1-line block ×4, first 2 shown]
	v_cndmask_b32_e64 v53, 0, 1, vcc_lo
	v_cmp_eq_u32_e32 vcc_lo, v9, v2
	v_mov_b64_e32 v[18:19], 0
	v_add_nc_u32_e32 v8, 8, v39
	s_mov_b32 s11, 0
	s_mov_b32 s10, exec_lo
                                        ; implicit-def: $sgpr2
                                        ; implicit-def: $vgpr60
	s_wait_dscnt 0x0
	v_cndmask_b32_e32 v52, s33, v6, vcc_lo
	v_cmpx_gt_u32_e64 s34, v8
	s_cbranch_execz .LBB1499_57
; %bb.50:
	v_cmp_eq_u32_e32 vcc_lo, v2, v3
	v_mov_b64_e32 v[56:57], 0
	v_mov_b64_e32 v[58:59], 0
	;; [unrolled: 1-line block ×3, first 2 shown]
	v_add_nc_u32_e32 v6, 9, v39
	v_cndmask_b32_e32 v54, s33, v7, vcc_lo
	v_cmp_ne_u32_e32 vcc_lo, v2, v3
	s_mov_b32 s35, 0
	s_mov_b32 s11, exec_lo
                                        ; implicit-def: $sgpr2
                                        ; implicit-def: $vgpr60
	v_cndmask_b32_e64 v55, 0, 1, vcc_lo
	v_cmpx_gt_u32_e64 s34, v6
	s_cbranch_execz .LBB1499_56
; %bb.51:
	ds_load_2addr_b32 v[6:7], v1 offset0:9 offset1:10
	v_cmp_ne_u32_e32 vcc_lo, v3, v4
	v_mov_b64_e32 v[58:59], 0
	s_mov_b32 s36, 0
	s_mov_b32 s35, exec_lo
                                        ; implicit-def: $sgpr2
                                        ; implicit-def: $vgpr60
	v_cndmask_b32_e64 v57, 0, 1, vcc_lo
	v_cmp_eq_u32_e32 vcc_lo, v3, v4
	s_wait_dscnt 0x0
	v_dual_add_nc_u32 v2, 10, v39 :: v_dual_cndmask_b32 v56, s33, v6, vcc_lo
	s_delay_alu instid0(VALU_DEP_1)
	v_cmpx_gt_u32_e64 s34, v2
	s_cbranch_execz .LBB1499_55
; %bb.52:
	v_cmp_eq_u32_e32 vcc_lo, v4, v5
	v_add_nc_u32_e32 v2, 11, v39
                                        ; implicit-def: $sgpr2
                                        ; implicit-def: $vgpr60
	v_cndmask_b32_e32 v58, s33, v7, vcc_lo
	v_cmp_ne_u32_e32 vcc_lo, v4, v5
	v_cndmask_b32_e64 v59, 0, 1, vcc_lo
	s_delay_alu instid0(VALU_DEP_4) | instskip(SKIP_2) | instid1(SALU_CYCLE_1)
	v_cmp_gt_u32_e32 vcc_lo, s34, v2
	s_mov_b32 s34, 0
	s_and_saveexec_b32 s36, vcc_lo
	s_xor_b32 s36, exec_lo, s36
	s_cbranch_execz .LBB1499_54
; %bb.53:
	ds_load_b32 v1, v1 offset:44
	v_cmp_ne_u32_e64 s2, v5, v38
	s_mov_b32 s34, exec_lo
	s_wait_dscnt 0x0
	v_cndmask_b32_e64 v60, v1, s33, s2
.LBB1499_54:
	s_or_b32 exec_lo, exec_lo, s36
	s_delay_alu instid0(SALU_CYCLE_1)
	s_and_b32 s36, s34, exec_lo
.LBB1499_55:
	s_or_b32 exec_lo, exec_lo, s35
	v_mov_b64_e32 v[18:19], v[58:59]
	s_and_b32 s35, s36, exec_lo
.LBB1499_56:
	s_or_b32 exec_lo, exec_lo, s11
	v_mov_b64_e32 v[20:21], v[56:57]
	s_and_b32 s11, s35, exec_lo
.LBB1499_57:
	s_or_b32 exec_lo, exec_lo, s10
	v_mov_b64_e32 v[22:23], v[54:55]
	s_and_b32 s10, s11, exec_lo
.LBB1499_58:
	s_or_b32 exec_lo, exec_lo, s9
	v_mov_b64_e32 v[24:25], v[52:53]
	s_and_b32 s9, s10, exec_lo
.LBB1499_59:
	s_or_b32 exec_lo, exec_lo, s8
	v_mov_b64_e32 v[26:27], v[50:51]
	s_and_b32 s8, s9, exec_lo
.LBB1499_60:
	s_or_b32 exec_lo, exec_lo, s7
	v_mov_b64_e32 v[28:29], v[48:49]
	s_and_b32 s7, s8, exec_lo
.LBB1499_61:
	s_or_b32 exec_lo, exec_lo, s6
	v_mov_b64_e32 v[30:31], v[46:47]
	s_and_b32 s6, s7, exec_lo
.LBB1499_62:
	s_or_b32 exec_lo, exec_lo, s5
	v_mov_b64_e32 v[32:33], v[44:45]
	s_and_b32 s5, s6, exec_lo
.LBB1499_63:
	s_or_b32 exec_lo, exec_lo, s4
	v_mov_b64_e32 v[34:35], v[40:41]
	s_and_b32 s4, s5, exec_lo
.LBB1499_64:
	s_or_b32 exec_lo, exec_lo, s3
	v_mov_b64_e32 v[36:37], v[42:43]
	s_and_b32 s3, s4, exec_lo
.LBB1499_65:
	s_or_b32 exec_lo, exec_lo, s1
	v_lshlrev_b32_e32 v16, 2, v0
	s_and_b32 vcc_lo, exec_lo, s0
	s_cbranch_vccnz .LBB1499_67
	s_branch .LBB1499_72
.LBB1499_66:
                                        ; implicit-def: $sgpr2
                                        ; implicit-def: $vgpr60
                                        ; implicit-def: $vgpr14_vgpr15
                                        ; implicit-def: $vgpr42_vgpr43
                                        ; implicit-def: $vgpr40_vgpr41
                                        ; implicit-def: $vgpr44_vgpr45
                                        ; implicit-def: $vgpr46_vgpr47
                                        ; implicit-def: $vgpr48_vgpr49
                                        ; implicit-def: $vgpr50_vgpr51
                                        ; implicit-def: $vgpr52_vgpr53
                                        ; implicit-def: $vgpr54_vgpr55
                                        ; implicit-def: $vgpr56_vgpr57
                                        ; implicit-def: $vgpr58_vgpr59
                                        ; implicit-def: $vgpr36_vgpr37
                                        ; implicit-def: $vgpr34_vgpr35
                                        ; implicit-def: $vgpr32_vgpr33
                                        ; implicit-def: $vgpr30_vgpr31
                                        ; implicit-def: $vgpr28_vgpr29
                                        ; implicit-def: $vgpr26_vgpr27
                                        ; implicit-def: $vgpr24_vgpr25
                                        ; implicit-def: $vgpr22_vgpr23
                                        ; implicit-def: $vgpr20_vgpr21
                                        ; implicit-def: $vgpr18_vgpr19
	v_lshlrev_b32_e32 v16, 2, v0
	s_cbranch_execz .LBB1499_72
.LBB1499_67:
	s_clause 0xb
	flat_load_b32 v1, v0, s[30:31] scale_offset
	flat_load_b32 v2, v0, s[30:31] offset:1024 scale_offset
	flat_load_b32 v3, v0, s[30:31] offset:2048 scale_offset
	;; [unrolled: 1-line block ×11, first 2 shown]
	v_mov_b32_e32 v13, 0
	v_mad_u32_u24 v28, v0, 44, v16
	s_mov_b32 s0, exec_lo
	s_wait_loadcnt_dscnt 0xa0a
	ds_store_2addr_stride64_b32 v16, v1, v2 offset1:4
	s_wait_loadcnt_dscnt 0x809
	ds_store_2addr_stride64_b32 v16, v3, v4 offset0:8 offset1:12
	s_wait_loadcnt_dscnt 0x608
	ds_store_2addr_stride64_b32 v16, v5, v6 offset0:16 offset1:20
	;; [unrolled: 2-line block ×5, first 2 shown]
	s_wait_dscnt 0x0
	s_barrier_signal -1
	s_barrier_wait -1
	flat_load_b32 v1, v13, s[30:31] offset:12288
	s_wait_xcnt 0x0
	ds_load_b128 v[10:13], v28
	ds_load_b128 v[6:9], v28 offset:16
	ds_load_b128 v[2:5], v28 offset:32
	v_mad_i32_i24 v14, 0xffffffd4, v0, v28
	s_wait_dscnt 0x2
	ds_store_b32 v14, v10 offset:13312
	s_wait_loadcnt_dscnt 0x0
	s_barrier_signal -1
	s_barrier_wait -1
	v_cmpx_ne_u32_e32 0xff, v0
; %bb.68:
	v_mul_i32_i24_e32 v1, 0xffffffd4, v0
	s_delay_alu instid0(VALU_DEP_1)
	v_add_nc_u32_e32 v1, v28, v1
	ds_load_b32 v1, v1 offset:13316
; %bb.69:
	s_or_b32 exec_lo, exec_lo, s0
	s_wait_dscnt 0x0
	s_barrier_signal -1
	s_barrier_wait -1
	s_clause 0xb
	flat_load_b32 v14, v0, s[12:13] scale_offset
	flat_load_b32 v15, v0, s[12:13] offset:1024 scale_offset
	flat_load_b32 v17, v0, s[12:13] offset:2048 scale_offset
	flat_load_b32 v18, v0, s[12:13] offset:3072 scale_offset
	flat_load_b32 v19, v0, s[12:13] offset:4096 scale_offset
	flat_load_b32 v20, v0, s[12:13] offset:5120 scale_offset
	flat_load_b32 v21, v0, s[12:13] offset:6144 scale_offset
	flat_load_b32 v22, v0, s[12:13] offset:7168 scale_offset
	flat_load_b32 v23, v0, s[12:13] offset:8192 scale_offset
	flat_load_b32 v24, v0, s[12:13] offset:9216 scale_offset
	flat_load_b32 v25, v0, s[12:13] offset:10240 scale_offset
	flat_load_b32 v26, v0, s[12:13] offset:11264 scale_offset
	v_cmp_eq_u32_e32 vcc_lo, v10, v11
	v_mov_b32_e32 v10, s33
	s_wait_loadcnt_dscnt 0xa0a
	ds_store_2addr_stride64_b32 v16, v14, v15 offset1:4
	s_wait_loadcnt_dscnt 0x809
	ds_store_2addr_stride64_b32 v16, v17, v18 offset0:8 offset1:12
	s_wait_loadcnt_dscnt 0x608
	ds_store_2addr_stride64_b32 v16, v19, v20 offset0:16 offset1:20
	;; [unrolled: 2-line block ×5, first 2 shown]
	s_wait_dscnt 0x0
	s_barrier_signal -1
	s_barrier_wait -1
	ds_load_2addr_b32 v[26:27], v28 offset0:1 offset1:2
	ds_load_2addr_b32 v[24:25], v28 offset0:3 offset1:4
	;; [unrolled: 1-line block ×5, first 2 shown]
	ds_load_b32 v17, v28 offset:44
	v_mov_b64_e32 v[14:15], 0x100000000
	s_and_saveexec_b32 s0, vcc_lo
; %bb.70:
	ds_load_b32 v10, v28
	v_mov_b64_e32 v[14:15], 0
; %bb.71:
	s_or_b32 exec_lo, exec_lo, s0
	v_cmp_eq_u32_e32 vcc_lo, v11, v12
	v_cmp_ne_u32_e64 s2, v5, v1
	s_mov_b32 s3, -1
	s_wait_dscnt 0x5
	v_cndmask_b32_e32 v42, s33, v26, vcc_lo
	v_cmp_ne_u32_e32 vcc_lo, v11, v12
	s_wait_dscnt 0x0
	v_cndmask_b32_e64 v60, v17, s33, s2
	v_cndmask_b32_e64 v43, 0, 1, vcc_lo
	v_cmp_eq_u32_e32 vcc_lo, v12, v13
	v_or_b32_e32 v14, v14, v10
	s_delay_alu instid0(VALU_DEP_3) | instskip(SKIP_4) | instid1(VALU_DEP_2)
	v_mov_b64_e32 v[36:37], v[42:43]
	v_cndmask_b32_e32 v40, s33, v27, vcc_lo
	v_cmp_ne_u32_e32 vcc_lo, v12, v13
	v_cndmask_b32_e64 v41, 0, 1, vcc_lo
	v_cmp_eq_u32_e32 vcc_lo, v13, v6
	v_mov_b64_e32 v[34:35], v[40:41]
	v_cndmask_b32_e32 v44, s33, v24, vcc_lo
	v_cmp_ne_u32_e32 vcc_lo, v13, v6
	v_cndmask_b32_e64 v45, 0, 1, vcc_lo
	v_cmp_eq_u32_e32 vcc_lo, v6, v7
	s_delay_alu instid0(VALU_DEP_2) | instskip(SKIP_4) | instid1(VALU_DEP_2)
	v_mov_b64_e32 v[32:33], v[44:45]
	v_cndmask_b32_e32 v46, s33, v25, vcc_lo
	v_cmp_ne_u32_e32 vcc_lo, v6, v7
	v_cndmask_b32_e64 v47, 0, 1, vcc_lo
	v_cmp_eq_u32_e32 vcc_lo, v7, v8
	v_mov_b64_e32 v[30:31], v[46:47]
	v_cndmask_b32_e32 v48, s33, v22, vcc_lo
	v_cmp_ne_u32_e32 vcc_lo, v7, v8
	v_cndmask_b32_e64 v49, 0, 1, vcc_lo
	v_cmp_eq_u32_e32 vcc_lo, v8, v9
	s_delay_alu instid0(VALU_DEP_2) | instskip(SKIP_4) | instid1(VALU_DEP_2)
	;; [unrolled: 11-line block ×3, first 2 shown]
	v_mov_b64_e32 v[24:25], v[52:53]
	v_cndmask_b32_e32 v54, s33, v21, vcc_lo
	v_cmp_ne_u32_e32 vcc_lo, v2, v3
	v_cndmask_b32_e64 v55, 0, 1, vcc_lo
	v_cmp_eq_u32_e32 vcc_lo, v3, v4
	v_mov_b64_e32 v[22:23], v[54:55]
	v_cndmask_b32_e32 v56, s33, v18, vcc_lo
	v_cmp_ne_u32_e32 vcc_lo, v3, v4
	v_cndmask_b32_e64 v57, 0, 1, vcc_lo
	v_cmp_eq_u32_e32 vcc_lo, v4, v5
	s_delay_alu instid0(VALU_DEP_2) | instskip(SKIP_3) | instid1(VALU_DEP_1)
	v_mov_b64_e32 v[20:21], v[56:57]
	v_cndmask_b32_e32 v58, s33, v19, vcc_lo
	v_cmp_ne_u32_e32 vcc_lo, v4, v5
	v_cndmask_b32_e64 v59, 0, 1, vcc_lo
	v_mov_b64_e32 v[18:19], v[58:59]
.LBB1499_72:
	v_mov_b64_e32 v[38:39], 0
	s_and_saveexec_b32 s0, s3
	s_cbranch_execz .LBB1499_74
; %bb.73:
	v_cndmask_b32_e64 v61, 0, 1, s2
	v_mov_b64_e32 v[18:19], v[58:59]
	v_mov_b64_e32 v[20:21], v[56:57]
	;; [unrolled: 1-line block ×11, first 2 shown]
.LBB1499_74:
	s_or_b32 exec_lo, exec_lo, s0
	v_dual_lshrrev_b32 v1, 2, v0 :: v_dual_bitop2_b32 v40, v25, v23 bitop3:0x54
	s_delay_alu instid0(VALU_DEP_3)
	v_or_b32_e32 v17, v21, v19
	s_cmp_lg_u32 s28, 0
	v_cmp_gt_u32_e32 vcc_lo, 32, v0
	s_barrier_signal -1
	s_barrier_wait -1
	s_cbranch_scc0 .LBB1499_112
; %bb.75:
	s_mov_b64 s[10:11], 0x100000000
	v_or3_b32 v3, v40, v27, v29
	v_cmp_gt_u64_e64 s0, s[10:11], v[36:37]
	v_cmp_gt_u64_e64 s1, s[10:11], v[34:35]
	;; [unrolled: 1-line block ×7, first 2 shown]
	v_dual_cndmask_b32 v2, 0, v14, s0 :: v_dual_bitop2_b32 v5, 56, v1 bitop3:0x40
	v_cmp_gt_u64_e64 s7, s[10:11], v[22:23]
	v_cmp_gt_u64_e64 s8, s[10:11], v[20:21]
	v_cmp_gt_u64_e64 s9, s[10:11], v[18:19]
	s_delay_alu instid0(VALU_DEP_4) | instskip(SKIP_3) | instid1(VALU_DEP_4)
	v_add_nc_u32_e32 v2, v2, v36
	v_cmp_gt_u64_e64 s10, s[10:11], v[38:39]
	v_or3_b32 v3, v3, v31, v33
	v_lshl_add_u32 v5, v0, 3, v5
	v_cndmask_b32_e64 v2, 0, v2, s1
	s_delay_alu instid0(VALU_DEP_3) | instskip(NEXT) | instid1(VALU_DEP_2)
	v_or3_b32 v3, v3, v35, v37
	v_add_nc_u32_e32 v2, v2, v34
	s_delay_alu instid0(VALU_DEP_2) | instskip(NEXT) | instid1(VALU_DEP_2)
	v_or3_b32 v3, v39, v17, v3
	v_cndmask_b32_e64 v2, 0, v2, s2
	s_delay_alu instid0(VALU_DEP_2) | instskip(NEXT) | instid1(VALU_DEP_2)
	v_and_b32_e32 v3, 0xff, v3
	v_add_nc_u32_e32 v2, v2, v32
	s_delay_alu instid0(VALU_DEP_1) | instskip(NEXT) | instid1(VALU_DEP_1)
	v_cndmask_b32_e64 v2, 0, v2, s3
	v_add_nc_u32_e32 v2, v2, v30
	s_delay_alu instid0(VALU_DEP_1) | instskip(NEXT) | instid1(VALU_DEP_1)
	v_cndmask_b32_e64 v2, 0, v2, s4
	;; [unrolled: 3-line block ×7, first 2 shown]
	v_dual_add_nc_u32 v4, v2, v18 :: v_dual_mov_b32 v2, 0
	s_delay_alu instid0(VALU_DEP_1) | instskip(NEXT) | instid1(VALU_DEP_2)
	v_cndmask_b32_e64 v4, 0, v4, s10
	v_cmp_eq_u64_e64 s10, 0, v[2:3]
	s_delay_alu instid0(VALU_DEP_1)
	v_dual_add_nc_u32 v12, v4, v38 :: v_dual_cndmask_b32 v13, 1, v15, s10
	ds_store_b32 v5, v12
	ds_store_b8 v5, v13 offset:4
	s_wait_dscnt 0x0
	s_barrier_signal -1
	s_barrier_wait -1
	s_and_saveexec_b32 s11, vcc_lo
	s_cbranch_execz .LBB1499_85
; %bb.76:
	v_dual_lshlrev_b32 v2, 1, v0 :: v_dual_lshlrev_b32 v3, 6, v0
	s_mov_b32 s12, exec_lo
	s_delay_alu instid0(VALU_DEP_1) | instskip(NEXT) | instid1(VALU_DEP_1)
	v_and_b32_e32 v2, 0x1f8, v2
	v_add_nc_u32_e32 v4, v2, v3
	ds_load_u8 v5, v4 offset:12
	ds_load_b64 v[2:3], v4
	ds_load_2addr_b32 v[6:7], v4 offset0:2 offset1:4
	ds_load_u8 v10, v4 offset:20
	ds_load_u8 v11, v4 offset:28
	ds_load_u8 v41, v4 offset:36
	ds_load_u8 v42, v4 offset:44
	ds_load_u8 v43, v4 offset:52
	ds_load_b32 v44, v4 offset:56
	s_wait_dscnt 0x8
	v_cmp_eq_u16_e64 s10, 0, v5
	s_wait_dscnt 0x5
	s_delay_alu instid0(VALU_DEP_1)
	v_dual_cndmask_b32 v45, 0, v2, s10 :: v_dual_bitop2_b32 v5, v10, v5 bitop3:0x54
	ds_load_2addr_b32 v[8:9], v4 offset0:6 offset1:8
	v_cmp_eq_u16_e64 s10, 0, v10
	s_wait_dscnt 0x4
	v_bitop3_b16 v5, v5, v41, v11 bitop3:0xfe
	v_add_nc_u32_e32 v6, v45, v6
	s_delay_alu instid0(VALU_DEP_1) | instskip(SKIP_1) | instid1(VALU_DEP_2)
	v_cndmask_b32_e64 v6, 0, v6, s10
	v_cmp_eq_u16_e64 s10, 0, v11
	v_add_nc_u32_e32 v6, v6, v7
	s_delay_alu instid0(VALU_DEP_1)
	v_cndmask_b32_e64 v45, 0, v6, s10
	ds_load_2addr_b32 v[6:7], v4 offset0:10 offset1:12
	v_cmp_eq_u16_e64 s10, 0, v41
	s_wait_dscnt 0x1
	v_add_nc_u32_e32 v8, v45, v8
	ds_load_u8 v45, v4 offset:60
	v_cndmask_b32_e64 v8, 0, v8, s10
	v_cmp_eq_u16_e64 s10, 0, v42
	s_delay_alu instid0(VALU_DEP_2) | instskip(SKIP_1) | instid1(VALU_DEP_2)
	v_add_nc_u32_e32 v8, v8, v9
	v_bitop3_b16 v9, v5, v43, v42 bitop3:0xfe
	v_dual_cndmask_b32 v8, 0, v8, s10 :: v_dual_bitop2_b32 v5, 1, v3 bitop3:0x40
	s_delay_alu instid0(VALU_DEP_2) | instskip(SKIP_1) | instid1(VALU_DEP_2)
	v_cmp_eq_u16_e64 s10, 0, v9
	s_wait_dscnt 0x0
	v_dual_add_nc_u32 v6, v8, v6 :: v_dual_bitop2_b32 v8, 1, v45 bitop3:0x40
	s_delay_alu instid0(VALU_DEP_2) | instskip(SKIP_1) | instid1(VALU_DEP_1)
	v_cndmask_b32_e64 v9, 1, v5, s10
	v_cmp_eq_u16_e64 s10, 0, v43
	v_cndmask_b32_e64 v6, 0, v6, s10
	s_delay_alu instid0(VALU_DEP_4) | instskip(SKIP_1) | instid1(VALU_DEP_2)
	v_cmp_eq_u32_e64 s10, 1, v8
	v_mbcnt_lo_u32_b32 v8, -1, 0
	v_cndmask_b32_e64 v9, v9, 1, s10
	v_cmp_eq_u16_e64 s10, 0, v45
	s_delay_alu instid0(VALU_DEP_2) | instskip(SKIP_2) | instid1(VALU_DEP_1)
	v_and_b32_e32 v10, 0xffff, v9
	v_add_nc_u32_e32 v7, v6, v7
	v_and_b32_e32 v6, 0xffffff00, v3
	v_dual_cndmask_b32 v7, 0, v7, s10 :: v_dual_bitop2_b32 v11, v6, v10 bitop3:0x54
	v_and_b32_e32 v10, 15, v8
	s_delay_alu instid0(VALU_DEP_2) | instskip(NEXT) | instid1(VALU_DEP_3)
	v_mov_b32_dpp v42, v11 row_shr:1 row_mask:0xf bank_mask:0xf
	v_add_nc_u32_e32 v7, v7, v44
	s_delay_alu instid0(VALU_DEP_1) | instskip(NEXT) | instid1(VALU_DEP_4)
	v_mov_b32_dpp v41, v7 row_shr:1 row_mask:0xf bank_mask:0xf
	v_cmpx_ne_u32_e32 0, v10
	s_cbranch_execz .LBB1499_78
; %bb.77:
	v_and_b32_e32 v11, 1, v9
	v_and_b32_e32 v42, 1, v42
	s_delay_alu instid0(VALU_DEP_2) | instskip(NEXT) | instid1(VALU_DEP_1)
	v_cmp_eq_u32_e64 s10, 1, v11
	v_cndmask_b32_e64 v42, v42, 1, s10
	v_cmp_eq_u16_e64 s10, 0, v9
	s_delay_alu instid0(VALU_DEP_2) | instskip(NEXT) | instid1(VALU_DEP_1)
	v_and_b32_e32 v11, 0xffff, v42
	v_dual_cndmask_b32 v9, 0, v41, s10 :: v_dual_bitop2_b32 v11, v6, v11 bitop3:0x54
	s_delay_alu instid0(VALU_DEP_1)
	v_dual_add_nc_u32 v7, v9, v7 :: v_dual_mov_b32 v9, v42
.LBB1499_78:
	s_or_b32 exec_lo, exec_lo, s12
	s_delay_alu instid0(VALU_DEP_1) | instskip(NEXT) | instid1(VALU_DEP_3)
	v_mov_b32_dpp v41, v7 row_shr:2 row_mask:0xf bank_mask:0xf
	v_mov_b32_dpp v42, v11 row_shr:2 row_mask:0xf bank_mask:0xf
	s_mov_b32 s12, exec_lo
	v_cmpx_lt_u32_e32 1, v10
	s_cbranch_execz .LBB1499_80
; %bb.79:
	v_and_b32_e32 v11, 1, v9
	v_and_b32_e32 v42, 1, v42
	s_delay_alu instid0(VALU_DEP_2) | instskip(NEXT) | instid1(VALU_DEP_1)
	v_cmp_eq_u32_e64 s10, 1, v11
	v_cndmask_b32_e64 v42, v42, 1, s10
	v_cmp_eq_u16_e64 s10, 0, v9
	s_delay_alu instid0(VALU_DEP_2) | instskip(NEXT) | instid1(VALU_DEP_1)
	v_and_b32_e32 v11, 0xffff, v42
	v_dual_cndmask_b32 v9, 0, v41, s10 :: v_dual_bitop2_b32 v11, v6, v11 bitop3:0x54
	s_delay_alu instid0(VALU_DEP_1)
	v_dual_add_nc_u32 v7, v9, v7 :: v_dual_mov_b32 v9, v42
.LBB1499_80:
	s_or_b32 exec_lo, exec_lo, s12
	s_delay_alu instid0(VALU_DEP_1) | instskip(NEXT) | instid1(VALU_DEP_3)
	v_mov_b32_dpp v41, v7 row_shr:4 row_mask:0xf bank_mask:0xf
	v_mov_b32_dpp v42, v11 row_shr:4 row_mask:0xf bank_mask:0xf
	s_mov_b32 s12, exec_lo
	v_cmpx_lt_u32_e32 3, v10
	;; [unrolled: 20-line block ×3, first 2 shown]
	s_cbranch_execz .LBB1499_84
; %bb.83:
	v_and_b32_e32 v10, 1, v9
	v_and_b32_e32 v11, 1, v42
	s_delay_alu instid0(VALU_DEP_2) | instskip(NEXT) | instid1(VALU_DEP_1)
	v_cmp_eq_u32_e64 s10, 1, v10
	v_cndmask_b32_e64 v10, v11, 1, s10
	v_cmp_eq_u16_e64 s10, 0, v9
	s_delay_alu instid0(VALU_DEP_2) | instskip(NEXT) | instid1(VALU_DEP_1)
	v_and_b32_e32 v11, 0xffff, v10
	v_dual_cndmask_b32 v9, 0, v41, s10 :: v_dual_bitop2_b32 v11, v6, v11 bitop3:0x54
	s_delay_alu instid0(VALU_DEP_1)
	v_dual_add_nc_u32 v7, v9, v7 :: v_dual_mov_b32 v9, v10
.LBB1499_84:
	s_or_b32 exec_lo, exec_lo, s12
	ds_swizzle_b32 v10, v11 offset:swizzle(BROADCAST,32,15)
	ds_swizzle_b32 v11, v7 offset:swizzle(BROADCAST,32,15)
	v_and_b32_e32 v41, 1, v9
	v_bfe_i32 v43, v8, 4, 1
	v_and_b32_e32 v3, 0xff, v3
	; wave barrier
	s_delay_alu instid0(VALU_DEP_3) | instskip(SKIP_2) | instid1(VALU_DEP_1)
	v_cmp_eq_u32_e64 s10, 1, v41
	s_wait_dscnt 0x1
	v_dual_add_nc_u32 v41, -1, v8 :: v_dual_bitop2_b32 v10, 1, v10 bitop3:0x40
	v_cndmask_b32_e64 v10, v10, 1, s10
	v_and_b32_e32 v42, 16, v8
	v_cmp_eq_u16_e64 s10, 0, v9
	s_wait_dscnt 0x0
	s_delay_alu instid0(VALU_DEP_1) | instskip(NEXT) | instid1(VALU_DEP_3)
	v_cndmask_b32_e64 v11, 0, v11, s10
	v_cmp_eq_u32_e64 s10, 0, v42
	s_delay_alu instid0(VALU_DEP_1) | instskip(SKIP_1) | instid1(VALU_DEP_4)
	v_cndmask_b32_e64 v9, v10, v9, s10
	v_cmp_gt_i32_e64 s10, 0, v41
	v_and_b32_e32 v10, v43, v11
	s_delay_alu instid0(VALU_DEP_3) | instskip(NEXT) | instid1(VALU_DEP_2)
	v_and_b32_e32 v9, 0xffff, v9
	v_dual_cndmask_b32 v8, v41, v8, s10 :: v_dual_add_nc_u32 v7, v10, v7
	v_cmp_eq_u16_e64 s10, 0, v3
	s_delay_alu instid0(VALU_DEP_2)
	v_lshlrev_b32_e32 v8, 2, v8
	ds_bpermute_b32 v7, v8, v7
	s_wait_dscnt 0x0
	v_dual_cndmask_b32 v3, 0, v7, s10 :: v_dual_bitop2_b32 v6, v6, v9 bitop3:0x54
	ds_bpermute_b32 v6, v8, v6
	v_cmp_eq_u32_e64 s10, 1, v5
	v_add_nc_u32_e32 v2, v3, v2
	s_wait_dscnt 0x0
	v_and_b32_e32 v6, 1, v6
	s_delay_alu instid0(VALU_DEP_1) | instskip(SKIP_1) | instid1(VALU_DEP_1)
	v_cndmask_b32_e64 v3, v6, 1, s10
	v_cmp_eq_u32_e64 s10, 0, v0
	v_dual_cndmask_b32 v8, v3, v13, s10 :: v_dual_cndmask_b32 v5, v2, v12, s10
	ds_store_b32 v4, v5
	ds_store_b8 v4, v8 offset:4
	; wave barrier
	ds_load_u8 v9, v4 offset:12
	ds_load_2addr_b32 v[2:3], v4 offset0:2 offset1:4
	ds_load_u8 v10, v4 offset:20
	ds_load_u8 v11, v4 offset:28
	;; [unrolled: 1-line block ×5, first 2 shown]
	ds_load_b32 v44, v4 offset:56
	ds_load_u8 v45, v4 offset:60
	ds_load_2addr_b32 v[6:7], v4 offset0:6 offset1:8
	s_wait_dscnt 0x9
	v_cmp_eq_u16_e64 s10, 0, v9
	v_and_b32_e32 v9, 1, v9
	s_delay_alu instid0(VALU_DEP_2) | instskip(SKIP_2) | instid1(VALU_DEP_2)
	v_cndmask_b32_e64 v5, 0, v5, s10
	s_wait_dscnt 0x7
	v_cmp_eq_u16_e64 s10, 0, v10
	v_add_nc_u32_e32 v5, v5, v2
	s_delay_alu instid0(VALU_DEP_1) | instskip(SKIP_2) | instid1(VALU_DEP_2)
	v_cndmask_b32_e64 v2, 0, v5, s10
	s_wait_dscnt 0x6
	v_cmp_eq_u16_e64 s10, 0, v11
	v_add_nc_u32_e32 v46, v2, v3
	ds_load_2addr_b32 v[2:3], v4 offset0:10 offset1:12
	v_cndmask_b32_e64 v47, 0, v46, s10
	s_wait_dscnt 0x6
	v_cmp_eq_u16_e64 s10, 0, v41
	ds_store_2addr_b32 v4, v5, v46 offset0:2 offset1:4
	s_wait_dscnt 0x2
	v_add_nc_u32_e32 v6, v47, v6
	s_delay_alu instid0(VALU_DEP_1) | instskip(SKIP_3) | instid1(VALU_DEP_4)
	v_cndmask_b32_e64 v47, 0, v6, s10
	v_cmp_eq_u32_e64 s10, 1, v9
	v_and_b32_e32 v9, 1, v11
	v_and_b32_e32 v11, 1, v41
	v_dual_add_nc_u32 v7, v47, v7 :: v_dual_bitop2_b32 v10, 1, v10 bitop3:0x40
	s_delay_alu instid0(VALU_DEP_4) | instskip(SKIP_1) | instid1(VALU_DEP_3)
	v_cndmask_b32_e64 v8, v8, 1, s10
	v_and_b32_e32 v47, 1, v45
	v_cmp_eq_u32_e64 s10, 1, v10
	s_delay_alu instid0(VALU_DEP_1) | instskip(SKIP_1) | instid1(VALU_DEP_1)
	v_cndmask_b32_e64 v10, v8, 1, s10
	v_cmp_eq_u16_e64 s10, 0, v42
	v_dual_cndmask_b32 v41, 0, v7, s10 :: v_dual_bitop2_b32 v42, 1, v42 bitop3:0x40
	v_cmp_eq_u32_e64 s10, 1, v9
	s_wait_dscnt 0x1
	s_delay_alu instid0(VALU_DEP_2) | instskip(NEXT) | instid1(VALU_DEP_2)
	v_dual_add_nc_u32 v2, v41, v2 :: v_dual_bitop2_b32 v41, 1, v43 bitop3:0x40
	v_cndmask_b32_e64 v9, v10, 1, s10
	v_cmp_eq_u32_e64 s10, 1, v11
	s_delay_alu instid0(VALU_DEP_1) | instskip(SKIP_1) | instid1(VALU_DEP_1)
	v_cndmask_b32_e64 v11, v9, 1, s10
	v_cmp_eq_u16_e64 s10, 0, v43
	v_cndmask_b32_e64 v43, 0, v2, s10
	v_cmp_eq_u32_e64 s10, 1, v42
	s_delay_alu instid0(VALU_DEP_2) | instskip(NEXT) | instid1(VALU_DEP_2)
	v_add_nc_u32_e32 v3, v43, v3
	v_cndmask_b32_e64 v42, v11, 1, s10
	v_cmp_eq_u32_e64 s10, 1, v41
	ds_store_2addr_b32 v4, v6, v7 offset0:6 offset1:8
	ds_store_2addr_b32 v4, v2, v3 offset0:10 offset1:12
	v_cndmask_b32_e64 v41, v42, 1, s10
	v_cmp_eq_u16_e64 s10, 0, v45
	s_delay_alu instid0(VALU_DEP_1) | instskip(SKIP_1) | instid1(VALU_DEP_2)
	v_cndmask_b32_e64 v5, 0, v3, s10
	v_cmp_eq_u32_e64 s10, 1, v47
	v_add_nc_u32_e32 v2, v5, v44
	s_delay_alu instid0(VALU_DEP_2)
	v_cndmask_b32_e64 v43, v41, 1, s10
	ds_store_b8 v4, v8 offset:12
	ds_store_b8 v4, v10 offset:20
	;; [unrolled: 1-line block ×6, first 2 shown]
	ds_store_b32 v4, v2 offset:56
	ds_store_b8 v4, v43 offset:60
.LBB1499_85:
	s_or_b32 exec_lo, exec_lo, s11
	v_cmp_eq_u32_e64 s10, 0, v0
	s_mov_b32 s12, exec_lo
	s_wait_dscnt 0x0
	s_barrier_signal -1
	s_barrier_wait -1
	v_cmpx_ne_u32_e32 0, v0
	s_cbranch_execz .LBB1499_87
; %bb.86:
	v_add_nc_u32_e32 v2, -1, v0
	s_delay_alu instid0(VALU_DEP_1) | instskip(NEXT) | instid1(VALU_DEP_1)
	v_lshrrev_b32_e32 v3, 2, v2
	v_and_b32_e32 v3, 0x3ffffff8, v3
	s_delay_alu instid0(VALU_DEP_1)
	v_lshl_add_u32 v2, v2, 3, v3
	ds_load_b32 v12, v2
	ds_load_u8 v13, v2 offset:4
.LBB1499_87:
	s_or_b32 exec_lo, exec_lo, s12
	s_and_saveexec_b32 s34, vcc_lo
	s_cbranch_execz .LBB1499_157
; %bb.88:
	v_mov_b32_e32 v5, 0
	v_mbcnt_lo_u32_b32 v41, -1, 0
	s_mov_b32 s13, 0
	ds_load_b64 v[2:3], v5 offset:2096
	v_cmp_eq_u32_e64 s11, 0, v41
	s_and_saveexec_b32 s30, s11
	s_cbranch_execz .LBB1499_90
; %bb.89:
	s_add_co_i32 s12, s28, 32
	v_mov_b32_e32 v4, 1
	s_lshl_b64 s[12:13], s[12:13], 4
	s_delay_alu instid0(SALU_CYCLE_1) | instskip(NEXT) | instid1(SALU_CYCLE_1)
	s_add_nc_u64 s[12:13], s[16:17], s[12:13]
	v_mov_b64_e32 v[6:7], s[12:13]
	s_wait_dscnt 0x0
	;;#ASMSTART
	global_store_b128 v[6:7], v[2:5] off scope:SCOPE_DEV	
s_wait_storecnt 0x0
	;;#ASMEND
.LBB1499_90:
	s_or_b32 exec_lo, exec_lo, s30
	v_xad_u32 v8, v41, -1, s28
	s_mov_b32 s12, exec_lo
	s_delay_alu instid0(VALU_DEP_1) | instskip(NEXT) | instid1(VALU_DEP_1)
	v_add_nc_u32_e32 v4, 32, v8
	v_lshl_add_u64 v[10:11], v[4:5], 4, s[16:17]
	;;#ASMSTART
	global_load_b128 v[4:7], v[10:11] off scope:SCOPE_DEV	
s_wait_loadcnt 0x0
	;;#ASMEND
	v_and_b32_e32 v7, 0xff, v6
	v_and_b32_e32 v5, 0xff, v5
	s_delay_alu instid0(VALU_DEP_2)
	v_cmpx_eq_u16_e32 0, v7
	s_cbranch_execz .LBB1499_94
; %bb.91:
	s_mov_b32 s13, 0
.LBB1499_92:                            ; =>This Inner Loop Header: Depth=1
	;;#ASMSTART
	global_load_b128 v[4:7], v[10:11] off scope:SCOPE_DEV	
s_wait_loadcnt 0x0
	;;#ASMEND
	v_and_b32_e32 v7, 0xff, v6
	s_delay_alu instid0(VALU_DEP_1) | instskip(SKIP_1) | instid1(SALU_CYCLE_1)
	v_cmp_ne_u16_e32 vcc_lo, 0, v7
	s_or_b32 s13, vcc_lo, s13
	s_and_not1_b32 exec_lo, exec_lo, s13
	s_cbranch_execnz .LBB1499_92
; %bb.93:
	s_or_b32 exec_lo, exec_lo, s13
	v_and_b32_e32 v5, 0xff, v5
.LBB1499_94:
	s_or_b32 exec_lo, exec_lo, s12
	v_cmp_ne_u32_e32 vcc_lo, 31, v41
	v_and_b32_e32 v9, 0xff, v6
	v_lshlrev_b32_e64 v43, v41, -1
	s_mov_b64 s[30:31], 0x100000000
	v_lshl_or_b32 v52, v41, 2, 64
	v_add_co_ci_u32_e64 v7, null, 0, v41, vcc_lo
	v_cmp_eq_u16_e32 vcc_lo, 2, v9
	v_cmp_gt_u64_e64 s12, s[30:31], v[4:5]
	s_delay_alu instid0(VALU_DEP_3) | instskip(SKIP_1) | instid1(VALU_DEP_2)
	v_dual_lshlrev_b32 v42, 2, v7 :: v_dual_bitop2_b32 v10, 1, v5 bitop3:0x40
	v_and_or_b32 v9, vcc_lo, v43, 0x80000000
	v_cmp_eq_u32_e32 vcc_lo, 1, v10
	ds_bpermute_b32 v7, v42, v5
	ds_bpermute_b32 v10, v42, v4
	v_ctz_i32_b32_e32 v9, v9
	s_wait_dscnt 0x1
	v_and_b32_e32 v7, 1, v7
	s_delay_alu instid0(VALU_DEP_1) | instskip(SKIP_1) | instid1(VALU_DEP_2)
	v_cndmask_b32_e64 v7, v7, 1, vcc_lo
	v_cmp_gt_u32_e32 vcc_lo, 30, v41
	v_and_b32_e32 v45, 0xffff, v7
	v_cndmask_b32_e64 v11, 0, 2, vcc_lo
	v_cmp_lt_u32_e32 vcc_lo, v41, v9
	s_delay_alu instid0(VALU_DEP_2) | instskip(NEXT) | instid1(VALU_DEP_4)
	v_add_lshl_u32 v44, v11, v41, 2
	v_dual_cndmask_b32 v11, v5, v45, vcc_lo :: v_dual_cndmask_b32 v7, v5, v7, vcc_lo
	s_and_b32 vcc_lo, vcc_lo, s12
	s_wait_dscnt 0x0
	v_cndmask_b32_e32 v10, 0, v10, vcc_lo
	ds_bpermute_b32 v5, v44, v11
	v_and_b32_e32 v46, 1, v7
	v_and_b32_e32 v48, 0xff, v7
	v_add_nc_u32_e32 v4, v10, v4
	s_delay_alu instid0(VALU_DEP_3) | instskip(NEXT) | instid1(VALU_DEP_3)
	v_cmp_eq_u32_e32 vcc_lo, 1, v46
	v_cmp_eq_u16_e64 s12, 0, v48
	ds_bpermute_b32 v10, v44, v4
	s_wait_dscnt 0x1
	v_and_b32_e32 v5, 1, v5
	s_delay_alu instid0(VALU_DEP_1) | instskip(SKIP_2) | instid1(VALU_DEP_3)
	v_cndmask_b32_e64 v5, v5, 1, vcc_lo
	v_add_nc_u32_e32 v45, 2, v41
	v_cmp_gt_u32_e32 vcc_lo, 28, v41
	v_and_b32_e32 v47, 0xffff, v5
	v_cndmask_b32_e64 v46, 0, 4, vcc_lo
	s_delay_alu instid0(VALU_DEP_4) | instskip(NEXT) | instid1(VALU_DEP_2)
	v_cmp_gt_u32_e32 vcc_lo, v45, v9
	v_add_lshl_u32 v46, v46, v41, 2
	v_cndmask_b32_e32 v5, v5, v7, vcc_lo
	s_wait_dscnt 0x0
	v_dual_cndmask_b32 v7, v47, v11, vcc_lo :: v_dual_cndmask_b32 v10, 0, v10, s12
	s_delay_alu instid0(VALU_DEP_2) | instskip(SKIP_4) | instid1(VALU_DEP_3)
	v_and_b32_e32 v48, 1, v5
	ds_bpermute_b32 v11, v46, v7
	v_cndmask_b32_e64 v10, v10, 0, vcc_lo
	v_cmp_eq_u32_e32 vcc_lo, 1, v48
	v_and_b32_e32 v48, 0xff, v5
	v_add_nc_u32_e32 v4, v10, v4
	s_delay_alu instid0(VALU_DEP_2)
	v_cmp_eq_u16_e64 s12, 0, v48
	s_wait_dscnt 0x0
	v_and_b32_e32 v11, 1, v11
	ds_bpermute_b32 v10, v46, v4
	v_add_nc_u32_e32 v47, 4, v41
	v_cndmask_b32_e64 v11, v11, 1, vcc_lo
	v_cmp_gt_u32_e32 vcc_lo, 24, v41
	s_delay_alu instid0(VALU_DEP_2) | instskip(SKIP_1) | instid1(VALU_DEP_1)
	v_and_b32_e32 v50, 0xffff, v11
	v_cndmask_b32_e64 v49, 0, 8, vcc_lo
	v_add_lshl_u32 v48, v49, v41, 2
	s_wait_dscnt 0x0
	v_dual_add_nc_u32 v49, 8, v41 :: v_dual_cndmask_b32 v10, 0, v10, s12
	v_cmp_gt_u32_e32 vcc_lo, v47, v9
	v_dual_cndmask_b32 v5, v11, v5, vcc_lo :: v_dual_cndmask_b32 v7, v50, v7, vcc_lo
	s_delay_alu instid0(VALU_DEP_3) | instskip(NEXT) | instid1(VALU_DEP_2)
	v_cndmask_b32_e64 v10, v10, 0, vcc_lo
	v_and_b32_e32 v50, 1, v5
	ds_bpermute_b32 v11, v48, v7
	v_add_nc_u32_e32 v4, v10, v4
	v_and_b32_e32 v51, 0xff, v5
	v_cmp_eq_u32_e32 vcc_lo, 1, v50
	ds_bpermute_b32 v10, v48, v4
	s_wait_dscnt 0x1
	v_and_b32_e32 v11, 1, v11
	s_delay_alu instid0(VALU_DEP_1) | instskip(SKIP_1) | instid1(VALU_DEP_2)
	v_cndmask_b32_e64 v11, v11, 1, vcc_lo
	v_cmp_eq_u16_e32 vcc_lo, 0, v51
	v_and_b32_e32 v50, 0xffff, v11
	s_wait_dscnt 0x0
	v_cndmask_b32_e32 v10, 0, v10, vcc_lo
	v_cmp_gt_u32_e32 vcc_lo, v49, v9
	s_delay_alu instid0(VALU_DEP_3) | instskip(NEXT) | instid1(VALU_DEP_3)
	v_dual_cndmask_b32 v5, v11, v5, vcc_lo :: v_dual_cndmask_b32 v7, v50, v7, vcc_lo
	v_cndmask_b32_e64 v10, v10, 0, vcc_lo
	s_delay_alu instid0(VALU_DEP_2) | instskip(SKIP_3) | instid1(VALU_DEP_1)
	v_and_b32_e32 v50, 1, v5
	ds_bpermute_b32 v7, v52, v7
	v_add_nc_u32_e32 v4, v10, v4
	v_and_b32_e32 v11, 0xff, v5
	v_cmp_eq_u16_e32 vcc_lo, 0, v11
	s_wait_dscnt 0x0
	v_and_b32_e32 v7, 1, v7
	ds_bpermute_b32 v10, v52, v4
	s_wait_dscnt 0x0
	v_dual_cndmask_b32 v10, 0, v10 :: v_dual_add_nc_u32 v53, 16, v41
	v_cmp_eq_u32_e32 vcc_lo, 1, v50
	v_cndmask_b32_e64 v7, v7, 1, vcc_lo
	s_delay_alu instid0(VALU_DEP_3) | instskip(NEXT) | instid1(VALU_DEP_2)
	v_cmp_gt_u32_e32 vcc_lo, v53, v9
	v_dual_mov_b32 v9, 0 :: v_dual_cndmask_b32 v5, v7, v5, vcc_lo
	v_cndmask_b32_e64 v7, v10, 0, vcc_lo
	s_delay_alu instid0(VALU_DEP_1)
	v_add_nc_u32_e32 v4, v7, v4
	s_branch .LBB1499_98
.LBB1499_95:                            ;   in Loop: Header=BB1499_98 Depth=1
	s_or_b32 exec_lo, exec_lo, s13
	v_and_b32_e32 v5, 0xff, v5
.LBB1499_96:                            ;   in Loop: Header=BB1499_98 Depth=1
	s_or_b32 exec_lo, exec_lo, s12
	ds_bpermute_b32 v7, v42, v5
	v_and_b32_e32 v10, 0xff, v6
	v_cmp_gt_u64_e64 s12, s[30:31], v[4:5]
	v_subrev_nc_u32_e32 v8, 32, v8
	s_delay_alu instid0(VALU_DEP_3) | instskip(SKIP_2) | instid1(VALU_DEP_2)
	v_cmp_eq_u16_e32 vcc_lo, 2, v10
	v_and_b32_e32 v10, 1, v5
	v_and_or_b32 v11, vcc_lo, v43, 0x80000000
	v_cmp_eq_u32_e32 vcc_lo, 1, v10
	s_delay_alu instid0(VALU_DEP_2) | instskip(SKIP_3) | instid1(VALU_DEP_1)
	v_ctz_i32_b32_e32 v10, v11
	ds_bpermute_b32 v11, v42, v4
	s_wait_dscnt 0x1
	v_and_b32_e32 v7, 1, v7
	v_cndmask_b32_e64 v7, v7, 1, vcc_lo
	v_cmp_lt_u32_e32 vcc_lo, v41, v10
	s_delay_alu instid0(VALU_DEP_2) | instskip(NEXT) | instid1(VALU_DEP_1)
	v_and_b32_e32 v54, 0xffff, v7
	v_dual_cndmask_b32 v7, v5, v7 :: v_dual_cndmask_b32 v54, v5, v54
	s_and_b32 vcc_lo, vcc_lo, s12
	s_delay_alu instid0(VALU_DEP_1)
	v_and_b32_e32 v56, 0xff, v7
	v_and_b32_e32 v55, 1, v7
	ds_bpermute_b32 v5, v44, v54
	s_wait_dscnt 0x1
	v_cndmask_b32_e32 v11, 0, v11, vcc_lo
	v_cmp_eq_u16_e64 s12, 0, v56
	v_cmp_eq_u32_e32 vcc_lo, 1, v55
	s_wait_dscnt 0x0
	s_delay_alu instid0(VALU_DEP_3) | instskip(NEXT) | instid1(VALU_DEP_1)
	v_dual_add_nc_u32 v4, v11, v4 :: v_dual_bitop2_b32 v5, 1, v5 bitop3:0x40
	v_cndmask_b32_e64 v5, v5, 1, vcc_lo
	ds_bpermute_b32 v11, v44, v4
	v_cmp_gt_u32_e32 vcc_lo, v45, v10
	v_and_b32_e32 v55, 0xffff, v5
	s_delay_alu instid0(VALU_DEP_1) | instskip(NEXT) | instid1(VALU_DEP_1)
	v_dual_cndmask_b32 v5, v5, v7, vcc_lo :: v_dual_cndmask_b32 v7, v55, v54, vcc_lo
	v_and_b32_e32 v55, 1, v5
	ds_bpermute_b32 v54, v46, v7
	s_wait_dscnt 0x1
	v_cndmask_b32_e64 v11, 0, v11, s12
	s_delay_alu instid0(VALU_DEP_1) | instskip(SKIP_2) | instid1(VALU_DEP_3)
	v_cndmask_b32_e64 v11, v11, 0, vcc_lo
	v_cmp_eq_u32_e32 vcc_lo, 1, v55
	v_and_b32_e32 v55, 0xff, v5
	v_add_nc_u32_e32 v4, v11, v4
	s_delay_alu instid0(VALU_DEP_2)
	v_cmp_eq_u16_e64 s12, 0, v55
	s_wait_dscnt 0x0
	v_and_b32_e32 v54, 1, v54
	ds_bpermute_b32 v11, v46, v4
	v_cndmask_b32_e64 v54, v54, 1, vcc_lo
	v_cmp_gt_u32_e32 vcc_lo, v47, v10
	s_delay_alu instid0(VALU_DEP_2) | instskip(SKIP_3) | instid1(VALU_DEP_1)
	v_and_b32_e32 v56, 0xffff, v54
	s_wait_dscnt 0x0
	v_dual_cndmask_b32 v5, v54, v5, vcc_lo :: v_dual_cndmask_b32 v11, 0, v11, s12
	s_mov_b32 s12, 0
	v_cndmask_b32_e64 v11, v11, 0, vcc_lo
	v_cndmask_b32_e32 v7, v56, v7, vcc_lo
	s_delay_alu instid0(VALU_DEP_3) | instskip(NEXT) | instid1(VALU_DEP_3)
	v_and_b32_e32 v56, 0xff, v5
	v_add_nc_u32_e32 v4, v11, v4
	ds_bpermute_b32 v54, v48, v7
	ds_bpermute_b32 v11, v48, v4
	v_and_b32_e32 v55, 1, v5
	s_delay_alu instid0(VALU_DEP_1) | instskip(SKIP_2) | instid1(VALU_DEP_1)
	v_cmp_eq_u32_e32 vcc_lo, 1, v55
	s_wait_dscnt 0x1
	v_and_b32_e32 v54, 1, v54
	v_cndmask_b32_e64 v54, v54, 1, vcc_lo
	v_cmp_eq_u16_e32 vcc_lo, 0, v56
	s_delay_alu instid0(VALU_DEP_2) | instskip(SKIP_3) | instid1(VALU_DEP_2)
	v_and_b32_e32 v55, 0xffff, v54
	s_wait_dscnt 0x0
	v_cndmask_b32_e32 v11, 0, v11, vcc_lo
	v_cmp_gt_u32_e32 vcc_lo, v49, v10
	v_cndmask_b32_e64 v11, v11, 0, vcc_lo
	v_dual_cndmask_b32 v7, v55, v7, vcc_lo :: v_dual_cndmask_b32 v5, v54, v5, vcc_lo
	s_delay_alu instid0(VALU_DEP_2) | instskip(SKIP_4) | instid1(VALU_DEP_1)
	v_add_nc_u32_e32 v4, v11, v4
	ds_bpermute_b32 v7, v52, v7
	v_and_b32_e32 v55, 0xff, v5
	ds_bpermute_b32 v11, v52, v4
	v_and_b32_e32 v54, 1, v5
	v_cmp_eq_u32_e32 vcc_lo, 1, v54
	s_wait_dscnt 0x1
	v_cndmask_b32_e64 v7, v7, 1, vcc_lo
	v_cmp_eq_u16_e32 vcc_lo, 0, v55
	s_wait_dscnt 0x0
	v_cndmask_b32_e32 v11, 0, v11, vcc_lo
	v_cmp_gt_u32_e32 vcc_lo, v53, v10
	v_and_b32_e32 v10, 0xff, v50
	v_cndmask_b32_e32 v5, v7, v5, vcc_lo
	s_delay_alu instid0(VALU_DEP_4) | instskip(NEXT) | instid1(VALU_DEP_3)
	v_cndmask_b32_e64 v7, v11, 0, vcc_lo
	v_cmp_eq_u16_e32 vcc_lo, 0, v10
	s_delay_alu instid0(VALU_DEP_2) | instskip(NEXT) | instid1(VALU_DEP_1)
	v_dual_add_nc_u32 v4, v7, v4 :: v_dual_bitop2_b32 v7, 1, v50 bitop3:0x40
	v_dual_cndmask_b32 v4, 0, v4, vcc_lo :: v_dual_bitop2_b32 v5, 1, v5 bitop3:0x40
	s_delay_alu instid0(VALU_DEP_2) | instskip(NEXT) | instid1(VALU_DEP_2)
	v_cmp_eq_u32_e32 vcc_lo, 1, v7
	v_add_nc_u32_e32 v4, v4, v51
	s_delay_alu instid0(VALU_DEP_3)
	v_cndmask_b32_e64 v5, v5, 1, vcc_lo
.LBB1499_97:                            ;   in Loop: Header=BB1499_98 Depth=1
	s_and_b32 vcc_lo, exec_lo, s12
	s_cbranch_vccnz .LBB1499_153
.LBB1499_98:                            ; =>This Loop Header: Depth=1
                                        ;     Child Loop BB1499_101 Depth 2
	v_and_b32_e32 v6, 0xff, v6
	s_delay_alu instid0(VALU_DEP_2) | instskip(SKIP_1) | instid1(VALU_DEP_2)
	v_dual_mov_b32 v50, v5 :: v_dual_mov_b32 v51, v4
	s_mov_b32 s12, -1
                                        ; implicit-def: $vgpr5
                                        ; implicit-def: $vgpr4
	v_cmp_ne_u16_e32 vcc_lo, 2, v6
                                        ; implicit-def: $vgpr6
	s_cmp_lg_u32 vcc_lo, exec_lo
	s_cbranch_scc1 .LBB1499_97
; %bb.99:                               ;   in Loop: Header=BB1499_98 Depth=1
	v_lshl_add_u64 v[10:11], v[8:9], 4, s[16:17]
	;;#ASMSTART
	global_load_b128 v[4:7], v[10:11] off scope:SCOPE_DEV	
s_wait_loadcnt 0x0
	;;#ASMEND
	v_and_b32_e32 v7, 0xff, v6
	v_and_b32_e32 v5, 0xff, v5
	s_mov_b32 s12, exec_lo
	s_delay_alu instid0(VALU_DEP_2)
	v_cmpx_eq_u16_e32 0, v7
	s_cbranch_execz .LBB1499_96
; %bb.100:                              ;   in Loop: Header=BB1499_98 Depth=1
	s_mov_b32 s13, 0
.LBB1499_101:                           ;   Parent Loop BB1499_98 Depth=1
                                        ; =>  This Inner Loop Header: Depth=2
	;;#ASMSTART
	global_load_b128 v[4:7], v[10:11] off scope:SCOPE_DEV	
s_wait_loadcnt 0x0
	;;#ASMEND
	v_and_b32_e32 v7, 0xff, v6
	s_delay_alu instid0(VALU_DEP_1) | instskip(SKIP_1) | instid1(SALU_CYCLE_1)
	v_cmp_ne_u16_e32 vcc_lo, 0, v7
	s_or_b32 s13, vcc_lo, s13
	s_and_not1_b32 exec_lo, exec_lo, s13
	s_cbranch_execnz .LBB1499_101
	s_branch .LBB1499_95
.LBB1499_102:
	s_or_b32 exec_lo, exec_lo, s11
                                        ; implicit-def: $vgpr16
	s_and_saveexec_b32 s11, s0
	s_cbranch_execz .LBB1499_29
.LBB1499_103:
	flat_load_b32 v16, v0, s[12:13] offset:1024 scale_offset
	s_wait_xcnt 0x0
	s_or_b32 exec_lo, exec_lo, s11
                                        ; implicit-def: $vgpr17
	s_and_saveexec_b32 s0, s1
	s_cbranch_execnz .LBB1499_30
.LBB1499_104:
	s_or_b32 exec_lo, exec_lo, s0
                                        ; implicit-def: $vgpr18
	s_and_saveexec_b32 s0, s2
	s_cbranch_execz .LBB1499_31
.LBB1499_105:
	flat_load_b32 v18, v0, s[12:13] offset:3072 scale_offset
	s_wait_xcnt 0x0
	s_or_b32 exec_lo, exec_lo, s0
                                        ; implicit-def: $vgpr19
	s_and_saveexec_b32 s0, s3
	s_cbranch_execnz .LBB1499_32
.LBB1499_106:
	s_or_b32 exec_lo, exec_lo, s0
                                        ; implicit-def: $vgpr20
	s_and_saveexec_b32 s0, s4
	s_cbranch_execz .LBB1499_33
.LBB1499_107:
	flat_load_b32 v20, v0, s[12:13] offset:5120 scale_offset
	s_wait_xcnt 0x0
	s_or_b32 exec_lo, exec_lo, s0
                                        ; implicit-def: $vgpr21
	s_and_saveexec_b32 s0, s5
	s_cbranch_execnz .LBB1499_34
.LBB1499_108:
	s_or_b32 exec_lo, exec_lo, s0
                                        ; implicit-def: $vgpr22
	s_and_saveexec_b32 s0, s6
	s_cbranch_execz .LBB1499_35
.LBB1499_109:
	flat_load_b32 v22, v0, s[12:13] offset:7168 scale_offset
	s_wait_xcnt 0x0
	s_or_b32 exec_lo, exec_lo, s0
                                        ; implicit-def: $vgpr23
	s_and_saveexec_b32 s0, s7
	s_cbranch_execnz .LBB1499_36
.LBB1499_110:
	s_or_b32 exec_lo, exec_lo, s0
                                        ; implicit-def: $vgpr24
	s_and_saveexec_b32 s0, s8
	s_cbranch_execz .LBB1499_37
.LBB1499_111:
	flat_load_b32 v24, v0, s[12:13] offset:9216 scale_offset
	s_wait_xcnt 0x0
	s_or_b32 exec_lo, exec_lo, s0
                                        ; implicit-def: $vgpr25
	s_and_saveexec_b32 s0, s9
	s_cbranch_execz .LBB1499_39
	s_branch .LBB1499_38
.LBB1499_112:
                                        ; implicit-def: $vgpr13
                                        ; implicit-def: $vgpr9
                                        ; implicit-def: $vgpr5
	s_cbranch_execnz .LBB1499_158
.LBB1499_113:
	s_add_nc_u64 s[0:1], s[14:15], s[26:27]
	s_and_b32 vcc_lo, exec_lo, s19
	s_add_nc_u64 s[0:1], s[0:1], s[20:21]
	s_cbranch_vccz .LBB1499_175
.LBB1499_114:
	v_mul_u32_u24_e32 v1, 12, v0
	s_add_co_i32 s29, s29, s18
	s_mov_b32 s2, exec_lo
	s_delay_alu instid0(VALU_DEP_1)
	v_cmpx_gt_u32_e64 s29, v1
	s_cbranch_execz .LBB1499_130
; %bb.115:
	v_or_b32_e32 v14, 1, v1
	s_mov_b32 s3, exec_lo
	s_delay_alu instid0(VALU_DEP_1)
	v_cmpx_gt_u32_e64 s29, v14
	s_cbranch_execz .LBB1499_129
; %bb.116:
	v_or_b32_e32 v14, 2, v1
	;; [unrolled: 6-line block ×3, first 2 shown]
	s_mov_b32 s5, exec_lo
	s_delay_alu instid0(VALU_DEP_1)
	v_cmpx_gt_u32_e64 s29, v14
	s_cbranch_execz .LBB1499_127
; %bb.118:
	v_add_nc_u32_e32 v14, 4, v1
	s_mov_b32 s6, exec_lo
	s_delay_alu instid0(VALU_DEP_1)
	v_cmpx_gt_u32_e64 s29, v14
	s_cbranch_execz .LBB1499_126
; %bb.119:
	v_add_nc_u32_e32 v14, 5, v1
	;; [unrolled: 6-line block ×4, first 2 shown]
	s_mov_b32 s9, exec_lo
	s_delay_alu instid0(VALU_DEP_1)
	v_cmpx_gt_u32_e64 s29, v14
; %bb.122:
	v_add_nc_u32_e32 v14, 8, v1
	s_mov_b32 s10, exec_lo
	s_delay_alu instid0(VALU_DEP_1)
	v_cmpx_gt_u32_e64 s29, v14
	s_or_b32 exec_lo, exec_lo, s10
; %bb.123:
	s_delay_alu instid0(SALU_CYCLE_1)
	s_or_b32 exec_lo, exec_lo, s9
.LBB1499_124:
	s_delay_alu instid0(SALU_CYCLE_1)
	s_or_b32 exec_lo, exec_lo, s8
.LBB1499_125:
	s_delay_alu instid0(SALU_CYCLE_1)
	s_or_b32 exec_lo, exec_lo, s7
.LBB1499_126:
	s_delay_alu instid0(SALU_CYCLE_1)
	s_or_b32 exec_lo, exec_lo, s6
.LBB1499_127:
	s_delay_alu instid0(SALU_CYCLE_1)
	s_or_b32 exec_lo, exec_lo, s5
.LBB1499_128:
	s_delay_alu instid0(SALU_CYCLE_1)
	s_or_b32 exec_lo, exec_lo, s4
.LBB1499_129:
	s_delay_alu instid0(SALU_CYCLE_1)
	s_or_b32 exec_lo, exec_lo, s3
.LBB1499_130:
	s_delay_alu instid0(SALU_CYCLE_1) | instskip(SKIP_3) | instid1(VALU_DEP_1)
	s_or_b32 exec_lo, exec_lo, s2
	v_dual_lshlrev_b32 v1, 2, v1 :: v_dual_mov_b32 v17, 0
	s_barrier_signal -1
	s_barrier_wait -1
	v_mad_i32_i24 v14, 0xffffffd4, v0, v1
	ds_store_b128 v1, v[2:5]
	ds_store_b128 v1, v[6:9] offset:16
	ds_store_b128 v1, v[10:13] offset:32
	s_wait_dscnt 0x0
	s_barrier_signal -1
	s_barrier_wait -1
	ds_load_2addr_stride64_b32 v[26:27], v14 offset0:4 offset1:8
	ds_load_2addr_stride64_b32 v[24:25], v14 offset0:12 offset1:16
	;; [unrolled: 1-line block ×5, first 2 shown]
	ds_load_b32 v15, v14 offset:11264
	v_add_nc_u64_e32 v[16:17], s[0:1], v[16:17]
	s_mov_b32 s2, exec_lo
	v_cmpx_gt_u32_e64 s29, v0
	s_cbranch_execz .LBB1499_132
; %bb.131:
	v_mul_i32_i24_e32 v14, 0xffffffd4, v0
	s_delay_alu instid0(VALU_DEP_1)
	v_add_nc_u32_e32 v1, v1, v14
	ds_load_b32 v1, v1
	s_wait_dscnt 0x0
	flat_store_b32 v[16:17], v1
.LBB1499_132:
	s_wait_xcnt 0x0
	s_or_b32 exec_lo, exec_lo, s2
	v_or_b32_e32 v1, 0x100, v0
	s_mov_b32 s2, exec_lo
	s_delay_alu instid0(VALU_DEP_1)
	v_cmpx_gt_u32_e64 s29, v1
	s_cbranch_execz .LBB1499_134
; %bb.133:
	s_wait_dscnt 0x5
	flat_store_b32 v[16:17], v26 offset:1024
.LBB1499_134:
	s_wait_xcnt 0x0
	s_or_b32 exec_lo, exec_lo, s2
	v_or_b32_e32 v1, 0x200, v0
	s_mov_b32 s2, exec_lo
	s_delay_alu instid0(VALU_DEP_1)
	v_cmpx_gt_u32_e64 s29, v1
	s_cbranch_execz .LBB1499_136
; %bb.135:
	s_wait_dscnt 0x5
	flat_store_b32 v[16:17], v27 offset:2048
.LBB1499_136:
	s_wait_xcnt 0x0
	s_or_b32 exec_lo, exec_lo, s2
	v_or_b32_e32 v1, 0x300, v0
	s_mov_b32 s2, exec_lo
	s_delay_alu instid0(VALU_DEP_1)
	v_cmpx_gt_u32_e64 s29, v1
	s_cbranch_execz .LBB1499_138
; %bb.137:
	s_wait_dscnt 0x4
	flat_store_b32 v[16:17], v24 offset:3072
.LBB1499_138:
	s_wait_xcnt 0x0
	s_or_b32 exec_lo, exec_lo, s2
	v_or_b32_e32 v1, 0x400, v0
	s_mov_b32 s2, exec_lo
	s_delay_alu instid0(VALU_DEP_1)
	v_cmpx_gt_u32_e64 s29, v1
	s_cbranch_execz .LBB1499_140
; %bb.139:
	s_wait_dscnt 0x4
	flat_store_b32 v[16:17], v25 offset:4096
.LBB1499_140:
	s_wait_xcnt 0x0
	s_or_b32 exec_lo, exec_lo, s2
	v_or_b32_e32 v1, 0x500, v0
	s_mov_b32 s2, exec_lo
	s_delay_alu instid0(VALU_DEP_1)
	v_cmpx_gt_u32_e64 s29, v1
	s_cbranch_execz .LBB1499_142
; %bb.141:
	s_wait_dscnt 0x3
	flat_store_b32 v[16:17], v22 offset:5120
.LBB1499_142:
	s_wait_xcnt 0x0
	s_or_b32 exec_lo, exec_lo, s2
	v_or_b32_e32 v1, 0x600, v0
	s_mov_b32 s2, exec_lo
	s_delay_alu instid0(VALU_DEP_1)
	v_cmpx_gt_u32_e64 s29, v1
	s_cbranch_execz .LBB1499_144
; %bb.143:
	s_wait_dscnt 0x3
	flat_store_b32 v[16:17], v23 offset:6144
.LBB1499_144:
	s_wait_xcnt 0x0
	s_or_b32 exec_lo, exec_lo, s2
	v_or_b32_e32 v1, 0x700, v0
	s_mov_b32 s2, exec_lo
	s_delay_alu instid0(VALU_DEP_1)
	v_cmpx_gt_u32_e64 s29, v1
	s_cbranch_execz .LBB1499_146
; %bb.145:
	s_wait_dscnt 0x2
	flat_store_b32 v[16:17], v20 offset:7168
.LBB1499_146:
	s_wait_xcnt 0x0
	s_or_b32 exec_lo, exec_lo, s2
	v_or_b32_e32 v1, 0x800, v0
	s_mov_b32 s2, exec_lo
	s_delay_alu instid0(VALU_DEP_1)
	v_cmpx_gt_u32_e64 s29, v1
	s_cbranch_execz .LBB1499_148
; %bb.147:
	s_wait_dscnt 0x2
	flat_store_b32 v[16:17], v21 offset:8192
.LBB1499_148:
	s_wait_xcnt 0x0
	s_or_b32 exec_lo, exec_lo, s2
	v_or_b32_e32 v1, 0x900, v0
	s_mov_b32 s2, exec_lo
	s_delay_alu instid0(VALU_DEP_1)
	v_cmpx_gt_u32_e64 s29, v1
	s_cbranch_execz .LBB1499_150
; %bb.149:
	s_wait_dscnt 0x1
	flat_store_b32 v[16:17], v18 offset:9216
.LBB1499_150:
	s_wait_xcnt 0x0
	s_or_b32 exec_lo, exec_lo, s2
	v_or_b32_e32 v1, 0xa00, v0
	s_mov_b32 s2, exec_lo
	s_delay_alu instid0(VALU_DEP_1)
	v_cmpx_gt_u32_e64 s29, v1
	s_cbranch_execz .LBB1499_152
; %bb.151:
	s_wait_dscnt 0x1
	flat_store_b32 v[16:17], v19 offset:10240
.LBB1499_152:
	s_wait_xcnt 0x0
	s_or_b32 exec_lo, exec_lo, s2
	v_or_b32_e32 v1, 0xb00, v0
	s_delay_alu instid0(VALU_DEP_1)
	v_cmp_gt_u32_e64 s2, s29, v1
	s_branch .LBB1499_177
.LBB1499_153:
	s_and_saveexec_b32 s12, s11
	s_cbranch_execz .LBB1499_155
; %bb.154:
	v_and_b32_e32 v4, 0xff, v3
	s_mov_b32 s31, 0
	s_add_co_i32 s30, s28, 32
	v_and_b32_e32 v5, 1, v50
	s_lshl_b64 s[30:31], s[30:31], 4
	v_cmp_eq_u32_e32 vcc_lo, 0, v4
	s_add_nc_u64 s[30:31], s[16:17], s[30:31]
	s_delay_alu instid0(SALU_CYCLE_1) | instskip(SKIP_1) | instid1(VALU_DEP_1)
	v_mov_b64_e32 v[6:7], s[30:31]
	v_cndmask_b32_e32 v4, 0, v51, vcc_lo
	v_dual_add_nc_u32 v2, v4, v2 :: v_dual_bitop2_b32 v3, 1, v3 bitop3:0x40
	s_delay_alu instid0(VALU_DEP_1)
	v_cmp_eq_u32_e32 vcc_lo, 1, v3
	v_mov_b32_e32 v4, 2
	v_cndmask_b32_e64 v3, v5, 1, vcc_lo
	v_mov_b32_e32 v5, 0
	;;#ASMSTART
	global_store_b128 v[6:7], v[2:5] off scope:SCOPE_DEV	
s_wait_storecnt 0x0
	;;#ASMEND
.LBB1499_155:
	s_or_b32 exec_lo, exec_lo, s12
	s_delay_alu instid0(SALU_CYCLE_1)
	s_and_b32 exec_lo, exec_lo, s10
	s_cbranch_execz .LBB1499_157
; %bb.156:
	v_mov_b32_e32 v2, 0
	ds_store_b32 v2, v51
	ds_store_b8 v2, v50 offset:4
.LBB1499_157:
	s_or_b32 exec_lo, exec_lo, s34
	s_wait_dscnt 0x0
	v_and_b32_e32 v3, 0xff, v13
	s_barrier_signal -1
	s_barrier_wait -1
	s_delay_alu instid0(VALU_DEP_1)
	v_cmp_eq_u16_e32 vcc_lo, 0, v3
	v_mov_b32_e32 v4, 0
	v_and_b32_e32 v5, 0xff, v15
	ds_load_b32 v2, v4
	s_wait_dscnt 0x0
	v_cndmask_b32_e32 v3, 0, v2, vcc_lo
	v_cmp_eq_u64_e32 vcc_lo, 0, v[4:5]
	s_delay_alu instid0(VALU_DEP_2) | instskip(NEXT) | instid1(VALU_DEP_1)
	v_add_nc_u32_e32 v3, v3, v12
	v_cndmask_b32_e64 v2, v3, v2, s10
	s_delay_alu instid0(VALU_DEP_1) | instskip(NEXT) | instid1(VALU_DEP_1)
	v_cndmask_b32_e32 v3, 0, v2, vcc_lo
	v_add_nc_u32_e32 v3, v3, v14
	s_delay_alu instid0(VALU_DEP_1) | instskip(NEXT) | instid1(VALU_DEP_1)
	v_cndmask_b32_e64 v4, 0, v3, s0
	v_add_nc_u32_e32 v4, v4, v36
	s_delay_alu instid0(VALU_DEP_1) | instskip(NEXT) | instid1(VALU_DEP_1)
	v_cndmask_b32_e64 v5, 0, v4, s1
	;; [unrolled: 3-line block ×10, first 2 shown]
	v_add_nc_u32_e32 v13, v13, v18
	s_branch .LBB1499_113
.LBB1499_158:
	s_cmp_eq_u64 s[24:25], 0
	v_mov_b32_e32 v41, s33
	s_cselect_b32 s0, -1, 0
	s_cmp_eq_u64 s[22:23], 0
	s_cselect_b32 s1, -1, 0
	s_delay_alu instid0(SALU_CYCLE_1) | instskip(NEXT) | instid1(SALU_CYCLE_1)
	s_or_b32 s0, s0, s1
	s_and_b32 vcc_lo, exec_lo, s0
	s_cbranch_vccnz .LBB1499_160
; %bb.159:
	v_mov_b32_e32 v2, 0
	global_load_b32 v41, v2, s[22:23]
.LBB1499_160:
	s_mov_b64 s[10:11], 0x100000000
	v_or3_b32 v3, v40, v27, v29
	v_cmp_gt_u64_e32 vcc_lo, s[10:11], v[36:37]
	v_cmp_gt_u64_e64 s0, s[10:11], v[34:35]
	v_cmp_gt_u64_e64 s9, s[10:11], v[38:39]
	;; [unrolled: 1-line block ×6, first 2 shown]
	s_wait_xcnt 0x0
	v_dual_cndmask_b32 v2, 0, v14, vcc_lo :: v_dual_bitop2_b32 v1, 56, v1 bitop3:0x40
	v_cmp_gt_u64_e64 s5, s[10:11], v[24:25]
	v_cmp_gt_u64_e64 s6, s[10:11], v[22:23]
	;; [unrolled: 1-line block ×3, first 2 shown]
	s_delay_alu instid0(VALU_DEP_4)
	v_add_nc_u32_e32 v2, v2, v36
	v_or3_b32 v3, v3, v31, v33
	v_cmp_gt_u64_e64 s8, s[10:11], v[18:19]
	v_lshl_add_u32 v1, v0, 3, v1
	s_mov_b32 s10, exec_lo
	v_cndmask_b32_e64 v2, 0, v2, s0
	v_or3_b32 v3, v3, v35, v37
	s_delay_alu instid0(VALU_DEP_2) | instskip(NEXT) | instid1(VALU_DEP_2)
	v_add_nc_u32_e32 v2, v2, v34
	v_or3_b32 v3, v39, v17, v3
	s_delay_alu instid0(VALU_DEP_2) | instskip(NEXT) | instid1(VALU_DEP_2)
	v_cndmask_b32_e64 v2, 0, v2, s1
	v_and_b32_e32 v3, 0xff, v3
	s_delay_alu instid0(VALU_DEP_2) | instskip(NEXT) | instid1(VALU_DEP_1)
	v_add_nc_u32_e32 v2, v2, v32
	v_cndmask_b32_e64 v2, 0, v2, s2
	s_delay_alu instid0(VALU_DEP_1) | instskip(NEXT) | instid1(VALU_DEP_1)
	v_add_nc_u32_e32 v2, v2, v30
	v_cndmask_b32_e64 v2, 0, v2, s3
	s_delay_alu instid0(VALU_DEP_1) | instskip(NEXT) | instid1(VALU_DEP_1)
	;; [unrolled: 3-line block ×7, first 2 shown]
	v_dual_add_nc_u32 v4, v2, v18 :: v_dual_mov_b32 v2, 0
	v_cndmask_b32_e64 v4, 0, v4, s9
	s_delay_alu instid0(VALU_DEP_2) | instskip(NEXT) | instid1(VALU_DEP_1)
	v_cmp_eq_u64_e64 s9, 0, v[2:3]
	v_dual_add_nc_u32 v4, v4, v38 :: v_dual_cndmask_b32 v5, 1, v15, s9
	ds_store_b32 v1, v4
	ds_store_b8 v1, v5 offset:4
	s_wait_loadcnt_dscnt 0x0
	s_barrier_signal -1
	s_barrier_wait -1
	v_cmpx_gt_u32_e32 32, v0
	s_cbranch_execz .LBB1499_170
; %bb.161:
	v_dual_lshlrev_b32 v1, 1, v0 :: v_dual_lshlrev_b32 v2, 6, v0
	s_mov_b32 s11, exec_lo
	s_delay_alu instid0(VALU_DEP_1) | instskip(NEXT) | instid1(VALU_DEP_1)
	v_and_b32_e32 v1, 0x1f8, v1
	v_add_nc_u32_e32 v1, v1, v2
	ds_load_u8 v12, v1 offset:12
	ds_load_b64 v[2:3], v1
	ds_load_2addr_b32 v[6:7], v1 offset0:2 offset1:4
	ds_load_u8 v13, v1 offset:20
	ds_load_u8 v17, v1 offset:28
	;; [unrolled: 1-line block ×5, first 2 shown]
	ds_load_b32 v25, v1 offset:56
	s_wait_dscnt 0x8
	v_cmp_eq_u16_e64 s9, 0, v12
	s_wait_dscnt 0x7
	s_delay_alu instid0(VALU_DEP_1)
	v_cndmask_b32_e64 v10, 0, v2, s9
	ds_load_2addr_b32 v[8:9], v1 offset0:6 offset1:8
	s_wait_dscnt 0x6
	v_cmp_eq_u16_e64 s9, 0, v13
	v_add_nc_u32_e32 v6, v10, v6
	ds_load_2addr_b32 v[10:11], v1 offset0:10 offset1:12
	v_cndmask_b32_e64 v6, 0, v6, s9
	s_wait_dscnt 0x6
	v_cmp_eq_u16_e64 s9, 0, v17
	s_delay_alu instid0(VALU_DEP_2) | instskip(NEXT) | instid1(VALU_DEP_1)
	v_dual_add_nc_u32 v6, v6, v7 :: v_dual_bitop2_b32 v7, v13, v12 bitop3:0x54
	v_cndmask_b32_e64 v6, 0, v6, s9
	s_wait_dscnt 0x5
	v_cmp_eq_u16_e64 s9, 0, v19
	s_delay_alu instid0(VALU_DEP_3)
	v_bitop3_b16 v7, v7, v19, v17 bitop3:0xfe
	s_wait_dscnt 0x1
	v_add_nc_u32_e32 v6, v6, v8
	ds_load_u8 v8, v1 offset:60
	v_bitop3_b16 v7, v7, v23, v21 bitop3:0xfe
	v_cndmask_b32_e64 v6, 0, v6, s9
	v_cmp_eq_u16_e64 s9, 0, v21
	s_delay_alu instid0(VALU_DEP_2) | instskip(NEXT) | instid1(VALU_DEP_1)
	v_add_nc_u32_e32 v6, v6, v9
	v_dual_cndmask_b32 v9, 0, v6, s9 :: v_dual_bitop2_b32 v6, 1, v3 bitop3:0x40
	v_cmp_eq_u16_e64 s9, 0, v7
	s_wait_dscnt 0x0
	s_delay_alu instid0(VALU_DEP_2) | instskip(NEXT) | instid1(VALU_DEP_2)
	v_dual_add_nc_u32 v9, v9, v10 :: v_dual_bitop2_b32 v10, 1, v8 bitop3:0x40
	v_cndmask_b32_e64 v7, 1, v6, s9
	v_cmp_eq_u16_e64 s9, 0, v23
	s_delay_alu instid0(VALU_DEP_1) | instskip(NEXT) | instid1(VALU_DEP_4)
	v_cndmask_b32_e64 v9, 0, v9, s9
	v_cmp_eq_u32_e64 s9, 1, v10
	s_delay_alu instid0(VALU_DEP_2) | instskip(NEXT) | instid1(VALU_DEP_2)
	v_add_nc_u32_e32 v9, v9, v11
	v_cndmask_b32_e64 v10, v7, 1, s9
	v_cmp_eq_u16_e64 s9, 0, v8
	v_and_b32_e32 v7, 0xffffff00, v3
	s_delay_alu instid0(VALU_DEP_3) | instskip(NEXT) | instid1(VALU_DEP_3)
	v_and_b32_e32 v11, 0xffff, v10
	v_cndmask_b32_e64 v8, 0, v9, s9
	v_mbcnt_lo_u32_b32 v9, -1, 0
	s_delay_alu instid0(VALU_DEP_2) | instskip(NEXT) | instid1(VALU_DEP_2)
	v_dual_add_nc_u32 v8, v8, v25 :: v_dual_bitop2_b32 v12, v7, v11 bitop3:0x54
	v_and_b32_e32 v11, 15, v9
	s_delay_alu instid0(VALU_DEP_2) | instskip(NEXT) | instid1(VALU_DEP_3)
	v_mov_b32_dpp v17, v12 row_shr:1 row_mask:0xf bank_mask:0xf
	v_mov_b32_dpp v13, v8 row_shr:1 row_mask:0xf bank_mask:0xf
	s_delay_alu instid0(VALU_DEP_3)
	v_cmpx_ne_u32_e32 0, v11
	s_cbranch_execz .LBB1499_163
; %bb.162:
	v_and_b32_e32 v12, 1, v10
	v_and_b32_e32 v17, 1, v17
	s_delay_alu instid0(VALU_DEP_2) | instskip(NEXT) | instid1(VALU_DEP_1)
	v_cmp_eq_u32_e64 s9, 1, v12
	v_cndmask_b32_e64 v17, v17, 1, s9
	v_cmp_eq_u16_e64 s9, 0, v10
	s_delay_alu instid0(VALU_DEP_2) | instskip(NEXT) | instid1(VALU_DEP_1)
	v_and_b32_e32 v12, 0xffff, v17
	v_dual_cndmask_b32 v10, 0, v13, s9 :: v_dual_bitop2_b32 v12, v7, v12 bitop3:0x54
	s_delay_alu instid0(VALU_DEP_1)
	v_dual_add_nc_u32 v8, v10, v8 :: v_dual_mov_b32 v10, v17
.LBB1499_163:
	s_or_b32 exec_lo, exec_lo, s11
	s_delay_alu instid0(VALU_DEP_1) | instskip(NEXT) | instid1(VALU_DEP_3)
	v_mov_b32_dpp v13, v8 row_shr:2 row_mask:0xf bank_mask:0xf
	v_mov_b32_dpp v17, v12 row_shr:2 row_mask:0xf bank_mask:0xf
	s_mov_b32 s11, exec_lo
	v_cmpx_lt_u32_e32 1, v11
	s_cbranch_execz .LBB1499_165
; %bb.164:
	v_and_b32_e32 v12, 1, v10
	v_and_b32_e32 v17, 1, v17
	s_delay_alu instid0(VALU_DEP_2) | instskip(NEXT) | instid1(VALU_DEP_1)
	v_cmp_eq_u32_e64 s9, 1, v12
	v_cndmask_b32_e64 v17, v17, 1, s9
	v_cmp_eq_u16_e64 s9, 0, v10
	s_delay_alu instid0(VALU_DEP_2) | instskip(NEXT) | instid1(VALU_DEP_1)
	v_and_b32_e32 v12, 0xffff, v17
	v_dual_cndmask_b32 v10, 0, v13, s9 :: v_dual_bitop2_b32 v12, v7, v12 bitop3:0x54
	s_delay_alu instid0(VALU_DEP_1)
	v_dual_add_nc_u32 v8, v10, v8 :: v_dual_mov_b32 v10, v17
.LBB1499_165:
	s_or_b32 exec_lo, exec_lo, s11
	s_delay_alu instid0(VALU_DEP_1) | instskip(NEXT) | instid1(VALU_DEP_3)
	v_mov_b32_dpp v13, v8 row_shr:4 row_mask:0xf bank_mask:0xf
	v_mov_b32_dpp v17, v12 row_shr:4 row_mask:0xf bank_mask:0xf
	s_mov_b32 s11, exec_lo
	v_cmpx_lt_u32_e32 3, v11
	;; [unrolled: 20-line block ×3, first 2 shown]
	s_cbranch_execz .LBB1499_169
; %bb.168:
	v_and_b32_e32 v11, 1, v10
	v_and_b32_e32 v12, 1, v17
	s_delay_alu instid0(VALU_DEP_2) | instskip(NEXT) | instid1(VALU_DEP_1)
	v_cmp_eq_u32_e64 s9, 1, v11
	v_cndmask_b32_e64 v11, v12, 1, s9
	v_cmp_eq_u16_e64 s9, 0, v10
	s_delay_alu instid0(VALU_DEP_2) | instskip(NEXT) | instid1(VALU_DEP_1)
	v_and_b32_e32 v12, 0xffff, v11
	v_dual_cndmask_b32 v10, 0, v13, s9 :: v_dual_bitop2_b32 v12, v7, v12 bitop3:0x54
	s_delay_alu instid0(VALU_DEP_1)
	v_dual_add_nc_u32 v8, v10, v8 :: v_dual_mov_b32 v10, v11
.LBB1499_169:
	s_or_b32 exec_lo, exec_lo, s11
	ds_swizzle_b32 v11, v12 offset:swizzle(BROADCAST,32,15)
	ds_swizzle_b32 v12, v8 offset:swizzle(BROADCAST,32,15)
	v_and_b32_e32 v13, 1, v10
	v_bfe_i32 v19, v9, 4, 1
	v_and_b32_e32 v3, 0xff, v3
	; wave barrier
	s_delay_alu instid0(VALU_DEP_3) | instskip(SKIP_2) | instid1(VALU_DEP_1)
	v_cmp_eq_u32_e64 s9, 1, v13
	s_wait_dscnt 0x1
	v_dual_add_nc_u32 v13, -1, v9 :: v_dual_bitop2_b32 v11, 1, v11 bitop3:0x40
	v_cndmask_b32_e64 v11, v11, 1, s9
	v_and_b32_e32 v17, 16, v9
	v_cmp_eq_u16_e64 s9, 0, v10
	s_wait_dscnt 0x0
	s_delay_alu instid0(VALU_DEP_1) | instskip(NEXT) | instid1(VALU_DEP_3)
	v_cndmask_b32_e64 v12, 0, v12, s9
	v_cmp_eq_u32_e64 s9, 0, v17
	s_delay_alu instid0(VALU_DEP_1) | instskip(SKIP_1) | instid1(VALU_DEP_4)
	v_cndmask_b32_e64 v10, v11, v10, s9
	v_cmp_gt_i32_e64 s9, 0, v13
	v_and_b32_e32 v11, v19, v12
	s_delay_alu instid0(VALU_DEP_3) | instskip(NEXT) | instid1(VALU_DEP_2)
	v_and_b32_e32 v10, 0xffff, v10
	v_dual_cndmask_b32 v9, v13, v9, s9 :: v_dual_add_nc_u32 v8, v11, v8
	v_cmp_eq_u16_e64 s9, 0, v3
	s_delay_alu instid0(VALU_DEP_2)
	v_lshlrev_b32_e32 v9, 2, v9
	ds_bpermute_b32 v8, v9, v8
	s_wait_dscnt 0x0
	v_dual_cndmask_b32 v3, 0, v8, s9 :: v_dual_bitop2_b32 v7, v7, v10 bitop3:0x54
	ds_bpermute_b32 v7, v9, v7
	v_cmp_eq_u32_e64 s9, 1, v6
	s_wait_dscnt 0x0
	v_dual_add_nc_u32 v2, v3, v2 :: v_dual_bitop2_b32 v7, 1, v7 bitop3:0x40
	s_delay_alu instid0(VALU_DEP_1) | instskip(SKIP_1) | instid1(VALU_DEP_1)
	v_cndmask_b32_e64 v3, v7, 1, s9
	v_cmp_eq_u32_e64 s9, 0, v0
	v_dual_cndmask_b32 v4, v2, v4, s9 :: v_dual_cndmask_b32 v6, v3, v5, s9
	ds_store_b32 v1, v4
	ds_store_b8 v1, v6 offset:4
	; wave barrier
	ds_load_u8 v7, v1 offset:12
	ds_load_2addr_b32 v[2:3], v1 offset0:2 offset1:4
	ds_load_u8 v8, v1 offset:20
	ds_load_u8 v9, v1 offset:28
	;; [unrolled: 1-line block ×5, first 2 shown]
	ds_load_b32 v13, v1 offset:56
	ds_load_u8 v17, v1 offset:60
	s_wait_dscnt 0x8
	v_cmp_eq_u16_e64 s9, 0, v7
	s_delay_alu instid0(VALU_DEP_1) | instskip(SKIP_4) | instid1(VALU_DEP_1)
	v_cndmask_b32_e64 v19, 0, v4, s9
	ds_load_2addr_b32 v[4:5], v1 offset0:6 offset1:8
	s_wait_dscnt 0x7
	v_cmp_eq_u16_e64 s9, 0, v8
	v_add_nc_u32_e32 v19, v19, v2
	v_cndmask_b32_e64 v2, 0, v19, s9
	s_wait_dscnt 0x6
	v_cmp_eq_u16_e64 s9, 0, v9
	s_delay_alu instid0(VALU_DEP_2)
	v_add_nc_u32_e32 v21, v2, v3
	ds_load_2addr_b32 v[2:3], v1 offset0:10 offset1:12
	v_cndmask_b32_e64 v23, 0, v21, s9
	s_wait_dscnt 0x6
	v_cmp_eq_u16_e64 s9, 0, v10
	ds_store_2addr_b32 v1, v19, v21 offset0:2 offset1:4
	s_wait_dscnt 0x2
	v_dual_add_nc_u32 v4, v23, v4 :: v_dual_bitop2_b32 v7, 1, v7 bitop3:0x40
	s_delay_alu instid0(VALU_DEP_1) | instskip(SKIP_1) | instid1(VALU_DEP_3)
	v_cndmask_b32_e64 v23, 0, v4, s9
	v_and_b32_e32 v8, 1, v8
	v_cmp_eq_u32_e64 s9, 1, v7
	v_and_b32_e32 v7, 1, v9
	s_delay_alu instid0(VALU_DEP_4) | instskip(NEXT) | instid1(VALU_DEP_3)
	v_add_nc_u32_e32 v5, v23, v5
	v_cndmask_b32_e64 v6, v6, 1, s9
	v_cmp_eq_u32_e64 s9, 1, v8
	s_delay_alu instid0(VALU_DEP_1) | instskip(SKIP_1) | instid1(VALU_DEP_1)
	v_cndmask_b32_e64 v8, v6, 1, s9
	v_cmp_eq_u16_e64 s9, 0, v11
	v_dual_cndmask_b32 v10, 0, v5, s9 :: v_dual_bitop2_b32 v9, 1, v10 bitop3:0x40
	s_wait_dscnt 0x1
	s_delay_alu instid0(VALU_DEP_1) | instskip(SKIP_2) | instid1(VALU_DEP_2)
	v_add_nc_u32_e32 v2, v10, v2
	v_cmp_eq_u32_e64 s9, 1, v7
	v_and_b32_e32 v10, 1, v12
	v_cndmask_b32_e64 v7, v8, 1, s9
	v_cmp_eq_u32_e64 s9, 1, v9
	s_delay_alu instid0(VALU_DEP_1) | instskip(SKIP_1) | instid1(VALU_DEP_1)
	v_cndmask_b32_e64 v9, v7, 1, s9
	v_cmp_eq_u16_e64 s9, 0, v12
	v_dual_cndmask_b32 v12, 0, v2, s9 :: v_dual_bitop2_b32 v11, 1, v11 bitop3:0x40
	s_delay_alu instid0(VALU_DEP_1) | instskip(NEXT) | instid1(VALU_DEP_2)
	v_cmp_eq_u32_e64 s9, 1, v11
	v_add_nc_u32_e32 v3, v12, v3
	s_delay_alu instid0(VALU_DEP_2)
	v_cndmask_b32_e64 v11, v9, 1, s9
	v_cmp_eq_u32_e64 s9, 1, v10
	ds_store_2addr_b32 v1, v4, v5 offset0:6 offset1:8
	ds_store_2addr_b32 v1, v2, v3 offset0:10 offset1:12
	v_cndmask_b32_e64 v10, v11, 1, s9
	v_cmp_eq_u16_e64 s9, 0, v17
	s_delay_alu instid0(VALU_DEP_1) | instskip(NEXT) | instid1(VALU_DEP_1)
	v_dual_cndmask_b32 v12, 0, v3, s9 :: v_dual_bitop2_b32 v23, 1, v17 bitop3:0x40
	v_cmp_eq_u32_e64 s9, 1, v23
	s_delay_alu instid0(VALU_DEP_2) | instskip(NEXT) | instid1(VALU_DEP_2)
	v_add_nc_u32_e32 v2, v12, v13
	v_cndmask_b32_e64 v17, v10, 1, s9
	ds_store_b8 v1, v6 offset:12
	ds_store_b8 v1, v8 offset:20
	;; [unrolled: 1-line block ×6, first 2 shown]
	ds_store_b32 v1, v2 offset:56
	ds_store_b8 v1, v17 offset:60
.LBB1499_170:
	s_or_b32 exec_lo, exec_lo, s10
	v_cmp_eq_u32_e64 s9, 0, v0
	v_mov_b32_e32 v2, v41
	s_mov_b32 s11, exec_lo
	s_wait_dscnt 0x0
	s_barrier_signal -1
	s_barrier_wait -1
	v_cmpx_ne_u32_e32 0, v0
	s_cbranch_execz .LBB1499_172
; %bb.171:
	v_add_nc_u32_e32 v1, -1, v0
	s_delay_alu instid0(VALU_DEP_1) | instskip(NEXT) | instid1(VALU_DEP_1)
	v_lshrrev_b32_e32 v2, 2, v1
	v_and_b32_e32 v2, 0x3ffffff8, v2
	s_delay_alu instid0(VALU_DEP_1) | instskip(SKIP_4) | instid1(VALU_DEP_1)
	v_lshl_add_u32 v1, v1, 3, v2
	ds_load_u8 v2, v1 offset:4
	ds_load_b32 v1, v1
	s_wait_dscnt 0x1
	v_cmp_eq_u16_e64 s10, 0, v2
	v_cndmask_b32_e64 v2, 0, v41, s10
	s_wait_dscnt 0x0
	s_delay_alu instid0(VALU_DEP_1)
	v_add_nc_u32_e32 v2, v2, v1
.LBB1499_172:
	s_or_b32 exec_lo, exec_lo, s11
	v_and_b32_e32 v39, 0xff, v15
	v_mov_b32_e32 v38, 0
	s_delay_alu instid0(VALU_DEP_1) | instskip(NEXT) | instid1(VALU_DEP_1)
	v_cmp_eq_u64_e64 s10, 0, v[38:39]
	v_cndmask_b32_e64 v1, 0, v2, s10
	s_delay_alu instid0(VALU_DEP_1) | instskip(NEXT) | instid1(VALU_DEP_1)
	v_add_nc_u32_e32 v3, v1, v14
	v_cndmask_b32_e32 v1, 0, v3, vcc_lo
	s_delay_alu instid0(VALU_DEP_1) | instskip(NEXT) | instid1(VALU_DEP_1)
	v_add_nc_u32_e32 v4, v1, v36
	v_cndmask_b32_e64 v1, 0, v4, s0
	s_delay_alu instid0(VALU_DEP_1) | instskip(NEXT) | instid1(VALU_DEP_1)
	v_add_nc_u32_e32 v5, v1, v34
	v_cndmask_b32_e64 v1, 0, v5, s1
	;; [unrolled: 3-line block ×9, first 2 shown]
	s_delay_alu instid0(VALU_DEP_1)
	v_add_nc_u32_e32 v13, v1, v18
	s_and_saveexec_b32 s0, s9
	s_cbranch_execz .LBB1499_174
; %bb.173:
	ds_load_u8 v1, v38 offset:2100
	ds_load_b32 v17, v38 offset:2096
	v_mov_b32_e32 v15, v38
	s_add_nc_u64 s[2:3], s[16:17], 0x200
	v_dual_mov_b32 v20, 2 :: v_dual_mov_b32 v21, v38
	s_wait_dscnt 0x1
	v_and_b32_e32 v14, 0xffff, v1
	s_delay_alu instid0(VALU_DEP_1) | instskip(SKIP_3) | instid1(VALU_DEP_2)
	v_cmp_eq_u64_e32 vcc_lo, 0, v[14:15]
	v_dual_cndmask_b32 v1, 0, v41, vcc_lo :: v_dual_mov_b32 v19, v14
	v_mov_b64_e32 v[14:15], s[2:3]
	s_wait_dscnt 0x0
	v_add_nc_u32_e32 v18, v1, v17
	;;#ASMSTART
	global_store_b128 v[14:15], v[18:21] off scope:SCOPE_DEV	
s_wait_storecnt 0x0
	;;#ASMEND
.LBB1499_174:
	s_or_b32 exec_lo, exec_lo, s0
	s_add_nc_u64 s[0:1], s[14:15], s[26:27]
	s_and_b32 vcc_lo, exec_lo, s19
	s_add_nc_u64 s[0:1], s[0:1], s[20:21]
	s_cbranch_vccnz .LBB1499_114
.LBB1499_175:
	s_mov_b32 s2, 0
                                        ; implicit-def: $vgpr15
	s_cbranch_execz .LBB1499_177
; %bb.176:
	v_mul_u32_u24_e32 v1, 48, v0
	v_mul_i32_i24_e32 v14, 0xffffffd4, v0
	s_wait_storecnt_dscnt 0x0
	s_barrier_signal -1
	s_barrier_wait -1
	ds_store_b128 v1, v[2:5]
	ds_store_b128 v1, v[6:9] offset:16
	ds_store_b128 v1, v[10:13] offset:32
	v_mad_u32_u24 v1, v0, 48, v14
	s_wait_dscnt 0x0
	s_barrier_signal -1
	s_barrier_wait -1
	ds_load_2addr_stride64_b32 v[2:3], v1 offset1:4
	ds_load_2addr_stride64_b32 v[4:5], v1 offset0:8 offset1:12
	ds_load_2addr_stride64_b32 v[6:7], v1 offset0:16 offset1:20
	;; [unrolled: 1-line block ×5, first 2 shown]
	s_or_b32 s2, s2, exec_lo
	s_wait_dscnt 0x5
	s_clause 0x1
	flat_store_b32 v0, v2, s[0:1] scale_offset
	flat_store_b32 v0, v3, s[0:1] offset:1024 scale_offset
	s_wait_dscnt 0x6
	s_clause 0x1
	flat_store_b32 v0, v4, s[0:1] offset:2048 scale_offset
	flat_store_b32 v0, v5, s[0:1] offset:3072 scale_offset
	s_wait_dscnt 0x7
	s_clause 0x1
	flat_store_b32 v0, v6, s[0:1] offset:4096 scale_offset
	;; [unrolled: 4-line block ×4, first 2 shown]
	flat_store_b32 v0, v11, s[0:1] offset:9216 scale_offset
	s_wait_dscnt 0xa
	flat_store_b32 v0, v14, s[0:1] offset:10240 scale_offset
.LBB1499_177:
	s_wait_xcnt 0x0
	s_delay_alu instid0(VALU_DEP_1)
	s_and_saveexec_b32 s3, s2
	s_cbranch_execz .LBB1499_179
; %bb.178:
	s_wait_dscnt 0x0
	flat_store_b32 v0, v15, s[0:1] offset:11264 scale_offset
	s_endpgm
.LBB1499_179:
	s_endpgm
	.section	.rodata,"a",@progbits
	.p2align	6, 0x0
	.amdhsa_kernel _ZN7rocprim17ROCPRIM_400000_NS6detail17trampoline_kernelINS0_14default_configENS1_27scan_by_key_config_selectorIijEEZZNS1_16scan_by_key_implILNS1_25lookback_scan_determinismE0ELb1ES3_N6thrust23THRUST_200600_302600_NS6detail15normal_iteratorINS9_10device_ptrIiEEEENSB_INSC_IjEEEESG_jNS9_4plusIvEENS9_8equal_toIvEEjEE10hipError_tPvRmT2_T3_T4_T5_mT6_T7_P12ihipStream_tbENKUlT_T0_E_clISt17integral_constantIbLb0EES11_EEDaSW_SX_EUlSW_E_NS1_11comp_targetILNS1_3genE0ELNS1_11target_archE4294967295ELNS1_3gpuE0ELNS1_3repE0EEENS1_30default_config_static_selectorELNS0_4arch9wavefront6targetE0EEEvT1_
		.amdhsa_group_segment_fixed_size 14336
		.amdhsa_private_segment_fixed_size 0
		.amdhsa_kernarg_size 112
		.amdhsa_user_sgpr_count 2
		.amdhsa_user_sgpr_dispatch_ptr 0
		.amdhsa_user_sgpr_queue_ptr 0
		.amdhsa_user_sgpr_kernarg_segment_ptr 1
		.amdhsa_user_sgpr_dispatch_id 0
		.amdhsa_user_sgpr_kernarg_preload_length 0
		.amdhsa_user_sgpr_kernarg_preload_offset 0
		.amdhsa_user_sgpr_private_segment_size 0
		.amdhsa_wavefront_size32 1
		.amdhsa_uses_dynamic_stack 0
		.amdhsa_enable_private_segment 0
		.amdhsa_system_sgpr_workgroup_id_x 1
		.amdhsa_system_sgpr_workgroup_id_y 0
		.amdhsa_system_sgpr_workgroup_id_z 0
		.amdhsa_system_sgpr_workgroup_info 0
		.amdhsa_system_vgpr_workitem_id 0
		.amdhsa_next_free_vgpr 62
		.amdhsa_next_free_sgpr 37
		.amdhsa_named_barrier_count 0
		.amdhsa_reserve_vcc 1
		.amdhsa_float_round_mode_32 0
		.amdhsa_float_round_mode_16_64 0
		.amdhsa_float_denorm_mode_32 3
		.amdhsa_float_denorm_mode_16_64 3
		.amdhsa_fp16_overflow 0
		.amdhsa_memory_ordered 1
		.amdhsa_forward_progress 1
		.amdhsa_inst_pref_size 95
		.amdhsa_round_robin_scheduling 0
		.amdhsa_exception_fp_ieee_invalid_op 0
		.amdhsa_exception_fp_denorm_src 0
		.amdhsa_exception_fp_ieee_div_zero 0
		.amdhsa_exception_fp_ieee_overflow 0
		.amdhsa_exception_fp_ieee_underflow 0
		.amdhsa_exception_fp_ieee_inexact 0
		.amdhsa_exception_int_div_zero 0
	.end_amdhsa_kernel
	.section	.text._ZN7rocprim17ROCPRIM_400000_NS6detail17trampoline_kernelINS0_14default_configENS1_27scan_by_key_config_selectorIijEEZZNS1_16scan_by_key_implILNS1_25lookback_scan_determinismE0ELb1ES3_N6thrust23THRUST_200600_302600_NS6detail15normal_iteratorINS9_10device_ptrIiEEEENSB_INSC_IjEEEESG_jNS9_4plusIvEENS9_8equal_toIvEEjEE10hipError_tPvRmT2_T3_T4_T5_mT6_T7_P12ihipStream_tbENKUlT_T0_E_clISt17integral_constantIbLb0EES11_EEDaSW_SX_EUlSW_E_NS1_11comp_targetILNS1_3genE0ELNS1_11target_archE4294967295ELNS1_3gpuE0ELNS1_3repE0EEENS1_30default_config_static_selectorELNS0_4arch9wavefront6targetE0EEEvT1_,"axG",@progbits,_ZN7rocprim17ROCPRIM_400000_NS6detail17trampoline_kernelINS0_14default_configENS1_27scan_by_key_config_selectorIijEEZZNS1_16scan_by_key_implILNS1_25lookback_scan_determinismE0ELb1ES3_N6thrust23THRUST_200600_302600_NS6detail15normal_iteratorINS9_10device_ptrIiEEEENSB_INSC_IjEEEESG_jNS9_4plusIvEENS9_8equal_toIvEEjEE10hipError_tPvRmT2_T3_T4_T5_mT6_T7_P12ihipStream_tbENKUlT_T0_E_clISt17integral_constantIbLb0EES11_EEDaSW_SX_EUlSW_E_NS1_11comp_targetILNS1_3genE0ELNS1_11target_archE4294967295ELNS1_3gpuE0ELNS1_3repE0EEENS1_30default_config_static_selectorELNS0_4arch9wavefront6targetE0EEEvT1_,comdat
.Lfunc_end1499:
	.size	_ZN7rocprim17ROCPRIM_400000_NS6detail17trampoline_kernelINS0_14default_configENS1_27scan_by_key_config_selectorIijEEZZNS1_16scan_by_key_implILNS1_25lookback_scan_determinismE0ELb1ES3_N6thrust23THRUST_200600_302600_NS6detail15normal_iteratorINS9_10device_ptrIiEEEENSB_INSC_IjEEEESG_jNS9_4plusIvEENS9_8equal_toIvEEjEE10hipError_tPvRmT2_T3_T4_T5_mT6_T7_P12ihipStream_tbENKUlT_T0_E_clISt17integral_constantIbLb0EES11_EEDaSW_SX_EUlSW_E_NS1_11comp_targetILNS1_3genE0ELNS1_11target_archE4294967295ELNS1_3gpuE0ELNS1_3repE0EEENS1_30default_config_static_selectorELNS0_4arch9wavefront6targetE0EEEvT1_, .Lfunc_end1499-_ZN7rocprim17ROCPRIM_400000_NS6detail17trampoline_kernelINS0_14default_configENS1_27scan_by_key_config_selectorIijEEZZNS1_16scan_by_key_implILNS1_25lookback_scan_determinismE0ELb1ES3_N6thrust23THRUST_200600_302600_NS6detail15normal_iteratorINS9_10device_ptrIiEEEENSB_INSC_IjEEEESG_jNS9_4plusIvEENS9_8equal_toIvEEjEE10hipError_tPvRmT2_T3_T4_T5_mT6_T7_P12ihipStream_tbENKUlT_T0_E_clISt17integral_constantIbLb0EES11_EEDaSW_SX_EUlSW_E_NS1_11comp_targetILNS1_3genE0ELNS1_11target_archE4294967295ELNS1_3gpuE0ELNS1_3repE0EEENS1_30default_config_static_selectorELNS0_4arch9wavefront6targetE0EEEvT1_
                                        ; -- End function
	.set _ZN7rocprim17ROCPRIM_400000_NS6detail17trampoline_kernelINS0_14default_configENS1_27scan_by_key_config_selectorIijEEZZNS1_16scan_by_key_implILNS1_25lookback_scan_determinismE0ELb1ES3_N6thrust23THRUST_200600_302600_NS6detail15normal_iteratorINS9_10device_ptrIiEEEENSB_INSC_IjEEEESG_jNS9_4plusIvEENS9_8equal_toIvEEjEE10hipError_tPvRmT2_T3_T4_T5_mT6_T7_P12ihipStream_tbENKUlT_T0_E_clISt17integral_constantIbLb0EES11_EEDaSW_SX_EUlSW_E_NS1_11comp_targetILNS1_3genE0ELNS1_11target_archE4294967295ELNS1_3gpuE0ELNS1_3repE0EEENS1_30default_config_static_selectorELNS0_4arch9wavefront6targetE0EEEvT1_.num_vgpr, 62
	.set _ZN7rocprim17ROCPRIM_400000_NS6detail17trampoline_kernelINS0_14default_configENS1_27scan_by_key_config_selectorIijEEZZNS1_16scan_by_key_implILNS1_25lookback_scan_determinismE0ELb1ES3_N6thrust23THRUST_200600_302600_NS6detail15normal_iteratorINS9_10device_ptrIiEEEENSB_INSC_IjEEEESG_jNS9_4plusIvEENS9_8equal_toIvEEjEE10hipError_tPvRmT2_T3_T4_T5_mT6_T7_P12ihipStream_tbENKUlT_T0_E_clISt17integral_constantIbLb0EES11_EEDaSW_SX_EUlSW_E_NS1_11comp_targetILNS1_3genE0ELNS1_11target_archE4294967295ELNS1_3gpuE0ELNS1_3repE0EEENS1_30default_config_static_selectorELNS0_4arch9wavefront6targetE0EEEvT1_.num_agpr, 0
	.set _ZN7rocprim17ROCPRIM_400000_NS6detail17trampoline_kernelINS0_14default_configENS1_27scan_by_key_config_selectorIijEEZZNS1_16scan_by_key_implILNS1_25lookback_scan_determinismE0ELb1ES3_N6thrust23THRUST_200600_302600_NS6detail15normal_iteratorINS9_10device_ptrIiEEEENSB_INSC_IjEEEESG_jNS9_4plusIvEENS9_8equal_toIvEEjEE10hipError_tPvRmT2_T3_T4_T5_mT6_T7_P12ihipStream_tbENKUlT_T0_E_clISt17integral_constantIbLb0EES11_EEDaSW_SX_EUlSW_E_NS1_11comp_targetILNS1_3genE0ELNS1_11target_archE4294967295ELNS1_3gpuE0ELNS1_3repE0EEENS1_30default_config_static_selectorELNS0_4arch9wavefront6targetE0EEEvT1_.numbered_sgpr, 37
	.set _ZN7rocprim17ROCPRIM_400000_NS6detail17trampoline_kernelINS0_14default_configENS1_27scan_by_key_config_selectorIijEEZZNS1_16scan_by_key_implILNS1_25lookback_scan_determinismE0ELb1ES3_N6thrust23THRUST_200600_302600_NS6detail15normal_iteratorINS9_10device_ptrIiEEEENSB_INSC_IjEEEESG_jNS9_4plusIvEENS9_8equal_toIvEEjEE10hipError_tPvRmT2_T3_T4_T5_mT6_T7_P12ihipStream_tbENKUlT_T0_E_clISt17integral_constantIbLb0EES11_EEDaSW_SX_EUlSW_E_NS1_11comp_targetILNS1_3genE0ELNS1_11target_archE4294967295ELNS1_3gpuE0ELNS1_3repE0EEENS1_30default_config_static_selectorELNS0_4arch9wavefront6targetE0EEEvT1_.num_named_barrier, 0
	.set _ZN7rocprim17ROCPRIM_400000_NS6detail17trampoline_kernelINS0_14default_configENS1_27scan_by_key_config_selectorIijEEZZNS1_16scan_by_key_implILNS1_25lookback_scan_determinismE0ELb1ES3_N6thrust23THRUST_200600_302600_NS6detail15normal_iteratorINS9_10device_ptrIiEEEENSB_INSC_IjEEEESG_jNS9_4plusIvEENS9_8equal_toIvEEjEE10hipError_tPvRmT2_T3_T4_T5_mT6_T7_P12ihipStream_tbENKUlT_T0_E_clISt17integral_constantIbLb0EES11_EEDaSW_SX_EUlSW_E_NS1_11comp_targetILNS1_3genE0ELNS1_11target_archE4294967295ELNS1_3gpuE0ELNS1_3repE0EEENS1_30default_config_static_selectorELNS0_4arch9wavefront6targetE0EEEvT1_.private_seg_size, 0
	.set _ZN7rocprim17ROCPRIM_400000_NS6detail17trampoline_kernelINS0_14default_configENS1_27scan_by_key_config_selectorIijEEZZNS1_16scan_by_key_implILNS1_25lookback_scan_determinismE0ELb1ES3_N6thrust23THRUST_200600_302600_NS6detail15normal_iteratorINS9_10device_ptrIiEEEENSB_INSC_IjEEEESG_jNS9_4plusIvEENS9_8equal_toIvEEjEE10hipError_tPvRmT2_T3_T4_T5_mT6_T7_P12ihipStream_tbENKUlT_T0_E_clISt17integral_constantIbLb0EES11_EEDaSW_SX_EUlSW_E_NS1_11comp_targetILNS1_3genE0ELNS1_11target_archE4294967295ELNS1_3gpuE0ELNS1_3repE0EEENS1_30default_config_static_selectorELNS0_4arch9wavefront6targetE0EEEvT1_.uses_vcc, 1
	.set _ZN7rocprim17ROCPRIM_400000_NS6detail17trampoline_kernelINS0_14default_configENS1_27scan_by_key_config_selectorIijEEZZNS1_16scan_by_key_implILNS1_25lookback_scan_determinismE0ELb1ES3_N6thrust23THRUST_200600_302600_NS6detail15normal_iteratorINS9_10device_ptrIiEEEENSB_INSC_IjEEEESG_jNS9_4plusIvEENS9_8equal_toIvEEjEE10hipError_tPvRmT2_T3_T4_T5_mT6_T7_P12ihipStream_tbENKUlT_T0_E_clISt17integral_constantIbLb0EES11_EEDaSW_SX_EUlSW_E_NS1_11comp_targetILNS1_3genE0ELNS1_11target_archE4294967295ELNS1_3gpuE0ELNS1_3repE0EEENS1_30default_config_static_selectorELNS0_4arch9wavefront6targetE0EEEvT1_.uses_flat_scratch, 1
	.set _ZN7rocprim17ROCPRIM_400000_NS6detail17trampoline_kernelINS0_14default_configENS1_27scan_by_key_config_selectorIijEEZZNS1_16scan_by_key_implILNS1_25lookback_scan_determinismE0ELb1ES3_N6thrust23THRUST_200600_302600_NS6detail15normal_iteratorINS9_10device_ptrIiEEEENSB_INSC_IjEEEESG_jNS9_4plusIvEENS9_8equal_toIvEEjEE10hipError_tPvRmT2_T3_T4_T5_mT6_T7_P12ihipStream_tbENKUlT_T0_E_clISt17integral_constantIbLb0EES11_EEDaSW_SX_EUlSW_E_NS1_11comp_targetILNS1_3genE0ELNS1_11target_archE4294967295ELNS1_3gpuE0ELNS1_3repE0EEENS1_30default_config_static_selectorELNS0_4arch9wavefront6targetE0EEEvT1_.has_dyn_sized_stack, 0
	.set _ZN7rocprim17ROCPRIM_400000_NS6detail17trampoline_kernelINS0_14default_configENS1_27scan_by_key_config_selectorIijEEZZNS1_16scan_by_key_implILNS1_25lookback_scan_determinismE0ELb1ES3_N6thrust23THRUST_200600_302600_NS6detail15normal_iteratorINS9_10device_ptrIiEEEENSB_INSC_IjEEEESG_jNS9_4plusIvEENS9_8equal_toIvEEjEE10hipError_tPvRmT2_T3_T4_T5_mT6_T7_P12ihipStream_tbENKUlT_T0_E_clISt17integral_constantIbLb0EES11_EEDaSW_SX_EUlSW_E_NS1_11comp_targetILNS1_3genE0ELNS1_11target_archE4294967295ELNS1_3gpuE0ELNS1_3repE0EEENS1_30default_config_static_selectorELNS0_4arch9wavefront6targetE0EEEvT1_.has_recursion, 0
	.set _ZN7rocprim17ROCPRIM_400000_NS6detail17trampoline_kernelINS0_14default_configENS1_27scan_by_key_config_selectorIijEEZZNS1_16scan_by_key_implILNS1_25lookback_scan_determinismE0ELb1ES3_N6thrust23THRUST_200600_302600_NS6detail15normal_iteratorINS9_10device_ptrIiEEEENSB_INSC_IjEEEESG_jNS9_4plusIvEENS9_8equal_toIvEEjEE10hipError_tPvRmT2_T3_T4_T5_mT6_T7_P12ihipStream_tbENKUlT_T0_E_clISt17integral_constantIbLb0EES11_EEDaSW_SX_EUlSW_E_NS1_11comp_targetILNS1_3genE0ELNS1_11target_archE4294967295ELNS1_3gpuE0ELNS1_3repE0EEENS1_30default_config_static_selectorELNS0_4arch9wavefront6targetE0EEEvT1_.has_indirect_call, 0
	.section	.AMDGPU.csdata,"",@progbits
; Kernel info:
; codeLenInByte = 12036
; TotalNumSgprs: 39
; NumVgprs: 62
; ScratchSize: 0
; MemoryBound: 0
; FloatMode: 240
; IeeeMode: 1
; LDSByteSize: 14336 bytes/workgroup (compile time only)
; SGPRBlocks: 0
; VGPRBlocks: 3
; NumSGPRsForWavesPerEU: 39
; NumVGPRsForWavesPerEU: 62
; NamedBarCnt: 0
; Occupancy: 16
; WaveLimiterHint : 1
; COMPUTE_PGM_RSRC2:SCRATCH_EN: 0
; COMPUTE_PGM_RSRC2:USER_SGPR: 2
; COMPUTE_PGM_RSRC2:TRAP_HANDLER: 0
; COMPUTE_PGM_RSRC2:TGID_X_EN: 1
; COMPUTE_PGM_RSRC2:TGID_Y_EN: 0
; COMPUTE_PGM_RSRC2:TGID_Z_EN: 0
; COMPUTE_PGM_RSRC2:TIDIG_COMP_CNT: 0
	.section	.text._ZN7rocprim17ROCPRIM_400000_NS6detail17trampoline_kernelINS0_14default_configENS1_27scan_by_key_config_selectorIijEEZZNS1_16scan_by_key_implILNS1_25lookback_scan_determinismE0ELb1ES3_N6thrust23THRUST_200600_302600_NS6detail15normal_iteratorINS9_10device_ptrIiEEEENSB_INSC_IjEEEESG_jNS9_4plusIvEENS9_8equal_toIvEEjEE10hipError_tPvRmT2_T3_T4_T5_mT6_T7_P12ihipStream_tbENKUlT_T0_E_clISt17integral_constantIbLb0EES11_EEDaSW_SX_EUlSW_E_NS1_11comp_targetILNS1_3genE10ELNS1_11target_archE1201ELNS1_3gpuE5ELNS1_3repE0EEENS1_30default_config_static_selectorELNS0_4arch9wavefront6targetE0EEEvT1_,"axG",@progbits,_ZN7rocprim17ROCPRIM_400000_NS6detail17trampoline_kernelINS0_14default_configENS1_27scan_by_key_config_selectorIijEEZZNS1_16scan_by_key_implILNS1_25lookback_scan_determinismE0ELb1ES3_N6thrust23THRUST_200600_302600_NS6detail15normal_iteratorINS9_10device_ptrIiEEEENSB_INSC_IjEEEESG_jNS9_4plusIvEENS9_8equal_toIvEEjEE10hipError_tPvRmT2_T3_T4_T5_mT6_T7_P12ihipStream_tbENKUlT_T0_E_clISt17integral_constantIbLb0EES11_EEDaSW_SX_EUlSW_E_NS1_11comp_targetILNS1_3genE10ELNS1_11target_archE1201ELNS1_3gpuE5ELNS1_3repE0EEENS1_30default_config_static_selectorELNS0_4arch9wavefront6targetE0EEEvT1_,comdat
	.protected	_ZN7rocprim17ROCPRIM_400000_NS6detail17trampoline_kernelINS0_14default_configENS1_27scan_by_key_config_selectorIijEEZZNS1_16scan_by_key_implILNS1_25lookback_scan_determinismE0ELb1ES3_N6thrust23THRUST_200600_302600_NS6detail15normal_iteratorINS9_10device_ptrIiEEEENSB_INSC_IjEEEESG_jNS9_4plusIvEENS9_8equal_toIvEEjEE10hipError_tPvRmT2_T3_T4_T5_mT6_T7_P12ihipStream_tbENKUlT_T0_E_clISt17integral_constantIbLb0EES11_EEDaSW_SX_EUlSW_E_NS1_11comp_targetILNS1_3genE10ELNS1_11target_archE1201ELNS1_3gpuE5ELNS1_3repE0EEENS1_30default_config_static_selectorELNS0_4arch9wavefront6targetE0EEEvT1_ ; -- Begin function _ZN7rocprim17ROCPRIM_400000_NS6detail17trampoline_kernelINS0_14default_configENS1_27scan_by_key_config_selectorIijEEZZNS1_16scan_by_key_implILNS1_25lookback_scan_determinismE0ELb1ES3_N6thrust23THRUST_200600_302600_NS6detail15normal_iteratorINS9_10device_ptrIiEEEENSB_INSC_IjEEEESG_jNS9_4plusIvEENS9_8equal_toIvEEjEE10hipError_tPvRmT2_T3_T4_T5_mT6_T7_P12ihipStream_tbENKUlT_T0_E_clISt17integral_constantIbLb0EES11_EEDaSW_SX_EUlSW_E_NS1_11comp_targetILNS1_3genE10ELNS1_11target_archE1201ELNS1_3gpuE5ELNS1_3repE0EEENS1_30default_config_static_selectorELNS0_4arch9wavefront6targetE0EEEvT1_
	.globl	_ZN7rocprim17ROCPRIM_400000_NS6detail17trampoline_kernelINS0_14default_configENS1_27scan_by_key_config_selectorIijEEZZNS1_16scan_by_key_implILNS1_25lookback_scan_determinismE0ELb1ES3_N6thrust23THRUST_200600_302600_NS6detail15normal_iteratorINS9_10device_ptrIiEEEENSB_INSC_IjEEEESG_jNS9_4plusIvEENS9_8equal_toIvEEjEE10hipError_tPvRmT2_T3_T4_T5_mT6_T7_P12ihipStream_tbENKUlT_T0_E_clISt17integral_constantIbLb0EES11_EEDaSW_SX_EUlSW_E_NS1_11comp_targetILNS1_3genE10ELNS1_11target_archE1201ELNS1_3gpuE5ELNS1_3repE0EEENS1_30default_config_static_selectorELNS0_4arch9wavefront6targetE0EEEvT1_
	.p2align	8
	.type	_ZN7rocprim17ROCPRIM_400000_NS6detail17trampoline_kernelINS0_14default_configENS1_27scan_by_key_config_selectorIijEEZZNS1_16scan_by_key_implILNS1_25lookback_scan_determinismE0ELb1ES3_N6thrust23THRUST_200600_302600_NS6detail15normal_iteratorINS9_10device_ptrIiEEEENSB_INSC_IjEEEESG_jNS9_4plusIvEENS9_8equal_toIvEEjEE10hipError_tPvRmT2_T3_T4_T5_mT6_T7_P12ihipStream_tbENKUlT_T0_E_clISt17integral_constantIbLb0EES11_EEDaSW_SX_EUlSW_E_NS1_11comp_targetILNS1_3genE10ELNS1_11target_archE1201ELNS1_3gpuE5ELNS1_3repE0EEENS1_30default_config_static_selectorELNS0_4arch9wavefront6targetE0EEEvT1_,@function
_ZN7rocprim17ROCPRIM_400000_NS6detail17trampoline_kernelINS0_14default_configENS1_27scan_by_key_config_selectorIijEEZZNS1_16scan_by_key_implILNS1_25lookback_scan_determinismE0ELb1ES3_N6thrust23THRUST_200600_302600_NS6detail15normal_iteratorINS9_10device_ptrIiEEEENSB_INSC_IjEEEESG_jNS9_4plusIvEENS9_8equal_toIvEEjEE10hipError_tPvRmT2_T3_T4_T5_mT6_T7_P12ihipStream_tbENKUlT_T0_E_clISt17integral_constantIbLb0EES11_EEDaSW_SX_EUlSW_E_NS1_11comp_targetILNS1_3genE10ELNS1_11target_archE1201ELNS1_3gpuE5ELNS1_3repE0EEENS1_30default_config_static_selectorELNS0_4arch9wavefront6targetE0EEEvT1_: ; @_ZN7rocprim17ROCPRIM_400000_NS6detail17trampoline_kernelINS0_14default_configENS1_27scan_by_key_config_selectorIijEEZZNS1_16scan_by_key_implILNS1_25lookback_scan_determinismE0ELb1ES3_N6thrust23THRUST_200600_302600_NS6detail15normal_iteratorINS9_10device_ptrIiEEEENSB_INSC_IjEEEESG_jNS9_4plusIvEENS9_8equal_toIvEEjEE10hipError_tPvRmT2_T3_T4_T5_mT6_T7_P12ihipStream_tbENKUlT_T0_E_clISt17integral_constantIbLb0EES11_EEDaSW_SX_EUlSW_E_NS1_11comp_targetILNS1_3genE10ELNS1_11target_archE1201ELNS1_3gpuE5ELNS1_3repE0EEENS1_30default_config_static_selectorELNS0_4arch9wavefront6targetE0EEEvT1_
; %bb.0:
	.section	.rodata,"a",@progbits
	.p2align	6, 0x0
	.amdhsa_kernel _ZN7rocprim17ROCPRIM_400000_NS6detail17trampoline_kernelINS0_14default_configENS1_27scan_by_key_config_selectorIijEEZZNS1_16scan_by_key_implILNS1_25lookback_scan_determinismE0ELb1ES3_N6thrust23THRUST_200600_302600_NS6detail15normal_iteratorINS9_10device_ptrIiEEEENSB_INSC_IjEEEESG_jNS9_4plusIvEENS9_8equal_toIvEEjEE10hipError_tPvRmT2_T3_T4_T5_mT6_T7_P12ihipStream_tbENKUlT_T0_E_clISt17integral_constantIbLb0EES11_EEDaSW_SX_EUlSW_E_NS1_11comp_targetILNS1_3genE10ELNS1_11target_archE1201ELNS1_3gpuE5ELNS1_3repE0EEENS1_30default_config_static_selectorELNS0_4arch9wavefront6targetE0EEEvT1_
		.amdhsa_group_segment_fixed_size 0
		.amdhsa_private_segment_fixed_size 0
		.amdhsa_kernarg_size 112
		.amdhsa_user_sgpr_count 2
		.amdhsa_user_sgpr_dispatch_ptr 0
		.amdhsa_user_sgpr_queue_ptr 0
		.amdhsa_user_sgpr_kernarg_segment_ptr 1
		.amdhsa_user_sgpr_dispatch_id 0
		.amdhsa_user_sgpr_kernarg_preload_length 0
		.amdhsa_user_sgpr_kernarg_preload_offset 0
		.amdhsa_user_sgpr_private_segment_size 0
		.amdhsa_wavefront_size32 1
		.amdhsa_uses_dynamic_stack 0
		.amdhsa_enable_private_segment 0
		.amdhsa_system_sgpr_workgroup_id_x 1
		.amdhsa_system_sgpr_workgroup_id_y 0
		.amdhsa_system_sgpr_workgroup_id_z 0
		.amdhsa_system_sgpr_workgroup_info 0
		.amdhsa_system_vgpr_workitem_id 0
		.amdhsa_next_free_vgpr 1
		.amdhsa_next_free_sgpr 1
		.amdhsa_named_barrier_count 0
		.amdhsa_reserve_vcc 0
		.amdhsa_float_round_mode_32 0
		.amdhsa_float_round_mode_16_64 0
		.amdhsa_float_denorm_mode_32 3
		.amdhsa_float_denorm_mode_16_64 3
		.amdhsa_fp16_overflow 0
		.amdhsa_memory_ordered 1
		.amdhsa_forward_progress 1
		.amdhsa_inst_pref_size 0
		.amdhsa_round_robin_scheduling 0
		.amdhsa_exception_fp_ieee_invalid_op 0
		.amdhsa_exception_fp_denorm_src 0
		.amdhsa_exception_fp_ieee_div_zero 0
		.amdhsa_exception_fp_ieee_overflow 0
		.amdhsa_exception_fp_ieee_underflow 0
		.amdhsa_exception_fp_ieee_inexact 0
		.amdhsa_exception_int_div_zero 0
	.end_amdhsa_kernel
	.section	.text._ZN7rocprim17ROCPRIM_400000_NS6detail17trampoline_kernelINS0_14default_configENS1_27scan_by_key_config_selectorIijEEZZNS1_16scan_by_key_implILNS1_25lookback_scan_determinismE0ELb1ES3_N6thrust23THRUST_200600_302600_NS6detail15normal_iteratorINS9_10device_ptrIiEEEENSB_INSC_IjEEEESG_jNS9_4plusIvEENS9_8equal_toIvEEjEE10hipError_tPvRmT2_T3_T4_T5_mT6_T7_P12ihipStream_tbENKUlT_T0_E_clISt17integral_constantIbLb0EES11_EEDaSW_SX_EUlSW_E_NS1_11comp_targetILNS1_3genE10ELNS1_11target_archE1201ELNS1_3gpuE5ELNS1_3repE0EEENS1_30default_config_static_selectorELNS0_4arch9wavefront6targetE0EEEvT1_,"axG",@progbits,_ZN7rocprim17ROCPRIM_400000_NS6detail17trampoline_kernelINS0_14default_configENS1_27scan_by_key_config_selectorIijEEZZNS1_16scan_by_key_implILNS1_25lookback_scan_determinismE0ELb1ES3_N6thrust23THRUST_200600_302600_NS6detail15normal_iteratorINS9_10device_ptrIiEEEENSB_INSC_IjEEEESG_jNS9_4plusIvEENS9_8equal_toIvEEjEE10hipError_tPvRmT2_T3_T4_T5_mT6_T7_P12ihipStream_tbENKUlT_T0_E_clISt17integral_constantIbLb0EES11_EEDaSW_SX_EUlSW_E_NS1_11comp_targetILNS1_3genE10ELNS1_11target_archE1201ELNS1_3gpuE5ELNS1_3repE0EEENS1_30default_config_static_selectorELNS0_4arch9wavefront6targetE0EEEvT1_,comdat
.Lfunc_end1500:
	.size	_ZN7rocprim17ROCPRIM_400000_NS6detail17trampoline_kernelINS0_14default_configENS1_27scan_by_key_config_selectorIijEEZZNS1_16scan_by_key_implILNS1_25lookback_scan_determinismE0ELb1ES3_N6thrust23THRUST_200600_302600_NS6detail15normal_iteratorINS9_10device_ptrIiEEEENSB_INSC_IjEEEESG_jNS9_4plusIvEENS9_8equal_toIvEEjEE10hipError_tPvRmT2_T3_T4_T5_mT6_T7_P12ihipStream_tbENKUlT_T0_E_clISt17integral_constantIbLb0EES11_EEDaSW_SX_EUlSW_E_NS1_11comp_targetILNS1_3genE10ELNS1_11target_archE1201ELNS1_3gpuE5ELNS1_3repE0EEENS1_30default_config_static_selectorELNS0_4arch9wavefront6targetE0EEEvT1_, .Lfunc_end1500-_ZN7rocprim17ROCPRIM_400000_NS6detail17trampoline_kernelINS0_14default_configENS1_27scan_by_key_config_selectorIijEEZZNS1_16scan_by_key_implILNS1_25lookback_scan_determinismE0ELb1ES3_N6thrust23THRUST_200600_302600_NS6detail15normal_iteratorINS9_10device_ptrIiEEEENSB_INSC_IjEEEESG_jNS9_4plusIvEENS9_8equal_toIvEEjEE10hipError_tPvRmT2_T3_T4_T5_mT6_T7_P12ihipStream_tbENKUlT_T0_E_clISt17integral_constantIbLb0EES11_EEDaSW_SX_EUlSW_E_NS1_11comp_targetILNS1_3genE10ELNS1_11target_archE1201ELNS1_3gpuE5ELNS1_3repE0EEENS1_30default_config_static_selectorELNS0_4arch9wavefront6targetE0EEEvT1_
                                        ; -- End function
	.set _ZN7rocprim17ROCPRIM_400000_NS6detail17trampoline_kernelINS0_14default_configENS1_27scan_by_key_config_selectorIijEEZZNS1_16scan_by_key_implILNS1_25lookback_scan_determinismE0ELb1ES3_N6thrust23THRUST_200600_302600_NS6detail15normal_iteratorINS9_10device_ptrIiEEEENSB_INSC_IjEEEESG_jNS9_4plusIvEENS9_8equal_toIvEEjEE10hipError_tPvRmT2_T3_T4_T5_mT6_T7_P12ihipStream_tbENKUlT_T0_E_clISt17integral_constantIbLb0EES11_EEDaSW_SX_EUlSW_E_NS1_11comp_targetILNS1_3genE10ELNS1_11target_archE1201ELNS1_3gpuE5ELNS1_3repE0EEENS1_30default_config_static_selectorELNS0_4arch9wavefront6targetE0EEEvT1_.num_vgpr, 0
	.set _ZN7rocprim17ROCPRIM_400000_NS6detail17trampoline_kernelINS0_14default_configENS1_27scan_by_key_config_selectorIijEEZZNS1_16scan_by_key_implILNS1_25lookback_scan_determinismE0ELb1ES3_N6thrust23THRUST_200600_302600_NS6detail15normal_iteratorINS9_10device_ptrIiEEEENSB_INSC_IjEEEESG_jNS9_4plusIvEENS9_8equal_toIvEEjEE10hipError_tPvRmT2_T3_T4_T5_mT6_T7_P12ihipStream_tbENKUlT_T0_E_clISt17integral_constantIbLb0EES11_EEDaSW_SX_EUlSW_E_NS1_11comp_targetILNS1_3genE10ELNS1_11target_archE1201ELNS1_3gpuE5ELNS1_3repE0EEENS1_30default_config_static_selectorELNS0_4arch9wavefront6targetE0EEEvT1_.num_agpr, 0
	.set _ZN7rocprim17ROCPRIM_400000_NS6detail17trampoline_kernelINS0_14default_configENS1_27scan_by_key_config_selectorIijEEZZNS1_16scan_by_key_implILNS1_25lookback_scan_determinismE0ELb1ES3_N6thrust23THRUST_200600_302600_NS6detail15normal_iteratorINS9_10device_ptrIiEEEENSB_INSC_IjEEEESG_jNS9_4plusIvEENS9_8equal_toIvEEjEE10hipError_tPvRmT2_T3_T4_T5_mT6_T7_P12ihipStream_tbENKUlT_T0_E_clISt17integral_constantIbLb0EES11_EEDaSW_SX_EUlSW_E_NS1_11comp_targetILNS1_3genE10ELNS1_11target_archE1201ELNS1_3gpuE5ELNS1_3repE0EEENS1_30default_config_static_selectorELNS0_4arch9wavefront6targetE0EEEvT1_.numbered_sgpr, 0
	.set _ZN7rocprim17ROCPRIM_400000_NS6detail17trampoline_kernelINS0_14default_configENS1_27scan_by_key_config_selectorIijEEZZNS1_16scan_by_key_implILNS1_25lookback_scan_determinismE0ELb1ES3_N6thrust23THRUST_200600_302600_NS6detail15normal_iteratorINS9_10device_ptrIiEEEENSB_INSC_IjEEEESG_jNS9_4plusIvEENS9_8equal_toIvEEjEE10hipError_tPvRmT2_T3_T4_T5_mT6_T7_P12ihipStream_tbENKUlT_T0_E_clISt17integral_constantIbLb0EES11_EEDaSW_SX_EUlSW_E_NS1_11comp_targetILNS1_3genE10ELNS1_11target_archE1201ELNS1_3gpuE5ELNS1_3repE0EEENS1_30default_config_static_selectorELNS0_4arch9wavefront6targetE0EEEvT1_.num_named_barrier, 0
	.set _ZN7rocprim17ROCPRIM_400000_NS6detail17trampoline_kernelINS0_14default_configENS1_27scan_by_key_config_selectorIijEEZZNS1_16scan_by_key_implILNS1_25lookback_scan_determinismE0ELb1ES3_N6thrust23THRUST_200600_302600_NS6detail15normal_iteratorINS9_10device_ptrIiEEEENSB_INSC_IjEEEESG_jNS9_4plusIvEENS9_8equal_toIvEEjEE10hipError_tPvRmT2_T3_T4_T5_mT6_T7_P12ihipStream_tbENKUlT_T0_E_clISt17integral_constantIbLb0EES11_EEDaSW_SX_EUlSW_E_NS1_11comp_targetILNS1_3genE10ELNS1_11target_archE1201ELNS1_3gpuE5ELNS1_3repE0EEENS1_30default_config_static_selectorELNS0_4arch9wavefront6targetE0EEEvT1_.private_seg_size, 0
	.set _ZN7rocprim17ROCPRIM_400000_NS6detail17trampoline_kernelINS0_14default_configENS1_27scan_by_key_config_selectorIijEEZZNS1_16scan_by_key_implILNS1_25lookback_scan_determinismE0ELb1ES3_N6thrust23THRUST_200600_302600_NS6detail15normal_iteratorINS9_10device_ptrIiEEEENSB_INSC_IjEEEESG_jNS9_4plusIvEENS9_8equal_toIvEEjEE10hipError_tPvRmT2_T3_T4_T5_mT6_T7_P12ihipStream_tbENKUlT_T0_E_clISt17integral_constantIbLb0EES11_EEDaSW_SX_EUlSW_E_NS1_11comp_targetILNS1_3genE10ELNS1_11target_archE1201ELNS1_3gpuE5ELNS1_3repE0EEENS1_30default_config_static_selectorELNS0_4arch9wavefront6targetE0EEEvT1_.uses_vcc, 0
	.set _ZN7rocprim17ROCPRIM_400000_NS6detail17trampoline_kernelINS0_14default_configENS1_27scan_by_key_config_selectorIijEEZZNS1_16scan_by_key_implILNS1_25lookback_scan_determinismE0ELb1ES3_N6thrust23THRUST_200600_302600_NS6detail15normal_iteratorINS9_10device_ptrIiEEEENSB_INSC_IjEEEESG_jNS9_4plusIvEENS9_8equal_toIvEEjEE10hipError_tPvRmT2_T3_T4_T5_mT6_T7_P12ihipStream_tbENKUlT_T0_E_clISt17integral_constantIbLb0EES11_EEDaSW_SX_EUlSW_E_NS1_11comp_targetILNS1_3genE10ELNS1_11target_archE1201ELNS1_3gpuE5ELNS1_3repE0EEENS1_30default_config_static_selectorELNS0_4arch9wavefront6targetE0EEEvT1_.uses_flat_scratch, 0
	.set _ZN7rocprim17ROCPRIM_400000_NS6detail17trampoline_kernelINS0_14default_configENS1_27scan_by_key_config_selectorIijEEZZNS1_16scan_by_key_implILNS1_25lookback_scan_determinismE0ELb1ES3_N6thrust23THRUST_200600_302600_NS6detail15normal_iteratorINS9_10device_ptrIiEEEENSB_INSC_IjEEEESG_jNS9_4plusIvEENS9_8equal_toIvEEjEE10hipError_tPvRmT2_T3_T4_T5_mT6_T7_P12ihipStream_tbENKUlT_T0_E_clISt17integral_constantIbLb0EES11_EEDaSW_SX_EUlSW_E_NS1_11comp_targetILNS1_3genE10ELNS1_11target_archE1201ELNS1_3gpuE5ELNS1_3repE0EEENS1_30default_config_static_selectorELNS0_4arch9wavefront6targetE0EEEvT1_.has_dyn_sized_stack, 0
	.set _ZN7rocprim17ROCPRIM_400000_NS6detail17trampoline_kernelINS0_14default_configENS1_27scan_by_key_config_selectorIijEEZZNS1_16scan_by_key_implILNS1_25lookback_scan_determinismE0ELb1ES3_N6thrust23THRUST_200600_302600_NS6detail15normal_iteratorINS9_10device_ptrIiEEEENSB_INSC_IjEEEESG_jNS9_4plusIvEENS9_8equal_toIvEEjEE10hipError_tPvRmT2_T3_T4_T5_mT6_T7_P12ihipStream_tbENKUlT_T0_E_clISt17integral_constantIbLb0EES11_EEDaSW_SX_EUlSW_E_NS1_11comp_targetILNS1_3genE10ELNS1_11target_archE1201ELNS1_3gpuE5ELNS1_3repE0EEENS1_30default_config_static_selectorELNS0_4arch9wavefront6targetE0EEEvT1_.has_recursion, 0
	.set _ZN7rocprim17ROCPRIM_400000_NS6detail17trampoline_kernelINS0_14default_configENS1_27scan_by_key_config_selectorIijEEZZNS1_16scan_by_key_implILNS1_25lookback_scan_determinismE0ELb1ES3_N6thrust23THRUST_200600_302600_NS6detail15normal_iteratorINS9_10device_ptrIiEEEENSB_INSC_IjEEEESG_jNS9_4plusIvEENS9_8equal_toIvEEjEE10hipError_tPvRmT2_T3_T4_T5_mT6_T7_P12ihipStream_tbENKUlT_T0_E_clISt17integral_constantIbLb0EES11_EEDaSW_SX_EUlSW_E_NS1_11comp_targetILNS1_3genE10ELNS1_11target_archE1201ELNS1_3gpuE5ELNS1_3repE0EEENS1_30default_config_static_selectorELNS0_4arch9wavefront6targetE0EEEvT1_.has_indirect_call, 0
	.section	.AMDGPU.csdata,"",@progbits
; Kernel info:
; codeLenInByte = 0
; TotalNumSgprs: 0
; NumVgprs: 0
; ScratchSize: 0
; MemoryBound: 0
; FloatMode: 240
; IeeeMode: 1
; LDSByteSize: 0 bytes/workgroup (compile time only)
; SGPRBlocks: 0
; VGPRBlocks: 0
; NumSGPRsForWavesPerEU: 1
; NumVGPRsForWavesPerEU: 1
; NamedBarCnt: 0
; Occupancy: 16
; WaveLimiterHint : 0
; COMPUTE_PGM_RSRC2:SCRATCH_EN: 0
; COMPUTE_PGM_RSRC2:USER_SGPR: 2
; COMPUTE_PGM_RSRC2:TRAP_HANDLER: 0
; COMPUTE_PGM_RSRC2:TGID_X_EN: 1
; COMPUTE_PGM_RSRC2:TGID_Y_EN: 0
; COMPUTE_PGM_RSRC2:TGID_Z_EN: 0
; COMPUTE_PGM_RSRC2:TIDIG_COMP_CNT: 0
	.section	.text._ZN7rocprim17ROCPRIM_400000_NS6detail17trampoline_kernelINS0_14default_configENS1_27scan_by_key_config_selectorIijEEZZNS1_16scan_by_key_implILNS1_25lookback_scan_determinismE0ELb1ES3_N6thrust23THRUST_200600_302600_NS6detail15normal_iteratorINS9_10device_ptrIiEEEENSB_INSC_IjEEEESG_jNS9_4plusIvEENS9_8equal_toIvEEjEE10hipError_tPvRmT2_T3_T4_T5_mT6_T7_P12ihipStream_tbENKUlT_T0_E_clISt17integral_constantIbLb0EES11_EEDaSW_SX_EUlSW_E_NS1_11comp_targetILNS1_3genE5ELNS1_11target_archE942ELNS1_3gpuE9ELNS1_3repE0EEENS1_30default_config_static_selectorELNS0_4arch9wavefront6targetE0EEEvT1_,"axG",@progbits,_ZN7rocprim17ROCPRIM_400000_NS6detail17trampoline_kernelINS0_14default_configENS1_27scan_by_key_config_selectorIijEEZZNS1_16scan_by_key_implILNS1_25lookback_scan_determinismE0ELb1ES3_N6thrust23THRUST_200600_302600_NS6detail15normal_iteratorINS9_10device_ptrIiEEEENSB_INSC_IjEEEESG_jNS9_4plusIvEENS9_8equal_toIvEEjEE10hipError_tPvRmT2_T3_T4_T5_mT6_T7_P12ihipStream_tbENKUlT_T0_E_clISt17integral_constantIbLb0EES11_EEDaSW_SX_EUlSW_E_NS1_11comp_targetILNS1_3genE5ELNS1_11target_archE942ELNS1_3gpuE9ELNS1_3repE0EEENS1_30default_config_static_selectorELNS0_4arch9wavefront6targetE0EEEvT1_,comdat
	.protected	_ZN7rocprim17ROCPRIM_400000_NS6detail17trampoline_kernelINS0_14default_configENS1_27scan_by_key_config_selectorIijEEZZNS1_16scan_by_key_implILNS1_25lookback_scan_determinismE0ELb1ES3_N6thrust23THRUST_200600_302600_NS6detail15normal_iteratorINS9_10device_ptrIiEEEENSB_INSC_IjEEEESG_jNS9_4plusIvEENS9_8equal_toIvEEjEE10hipError_tPvRmT2_T3_T4_T5_mT6_T7_P12ihipStream_tbENKUlT_T0_E_clISt17integral_constantIbLb0EES11_EEDaSW_SX_EUlSW_E_NS1_11comp_targetILNS1_3genE5ELNS1_11target_archE942ELNS1_3gpuE9ELNS1_3repE0EEENS1_30default_config_static_selectorELNS0_4arch9wavefront6targetE0EEEvT1_ ; -- Begin function _ZN7rocprim17ROCPRIM_400000_NS6detail17trampoline_kernelINS0_14default_configENS1_27scan_by_key_config_selectorIijEEZZNS1_16scan_by_key_implILNS1_25lookback_scan_determinismE0ELb1ES3_N6thrust23THRUST_200600_302600_NS6detail15normal_iteratorINS9_10device_ptrIiEEEENSB_INSC_IjEEEESG_jNS9_4plusIvEENS9_8equal_toIvEEjEE10hipError_tPvRmT2_T3_T4_T5_mT6_T7_P12ihipStream_tbENKUlT_T0_E_clISt17integral_constantIbLb0EES11_EEDaSW_SX_EUlSW_E_NS1_11comp_targetILNS1_3genE5ELNS1_11target_archE942ELNS1_3gpuE9ELNS1_3repE0EEENS1_30default_config_static_selectorELNS0_4arch9wavefront6targetE0EEEvT1_
	.globl	_ZN7rocprim17ROCPRIM_400000_NS6detail17trampoline_kernelINS0_14default_configENS1_27scan_by_key_config_selectorIijEEZZNS1_16scan_by_key_implILNS1_25lookback_scan_determinismE0ELb1ES3_N6thrust23THRUST_200600_302600_NS6detail15normal_iteratorINS9_10device_ptrIiEEEENSB_INSC_IjEEEESG_jNS9_4plusIvEENS9_8equal_toIvEEjEE10hipError_tPvRmT2_T3_T4_T5_mT6_T7_P12ihipStream_tbENKUlT_T0_E_clISt17integral_constantIbLb0EES11_EEDaSW_SX_EUlSW_E_NS1_11comp_targetILNS1_3genE5ELNS1_11target_archE942ELNS1_3gpuE9ELNS1_3repE0EEENS1_30default_config_static_selectorELNS0_4arch9wavefront6targetE0EEEvT1_
	.p2align	8
	.type	_ZN7rocprim17ROCPRIM_400000_NS6detail17trampoline_kernelINS0_14default_configENS1_27scan_by_key_config_selectorIijEEZZNS1_16scan_by_key_implILNS1_25lookback_scan_determinismE0ELb1ES3_N6thrust23THRUST_200600_302600_NS6detail15normal_iteratorINS9_10device_ptrIiEEEENSB_INSC_IjEEEESG_jNS9_4plusIvEENS9_8equal_toIvEEjEE10hipError_tPvRmT2_T3_T4_T5_mT6_T7_P12ihipStream_tbENKUlT_T0_E_clISt17integral_constantIbLb0EES11_EEDaSW_SX_EUlSW_E_NS1_11comp_targetILNS1_3genE5ELNS1_11target_archE942ELNS1_3gpuE9ELNS1_3repE0EEENS1_30default_config_static_selectorELNS0_4arch9wavefront6targetE0EEEvT1_,@function
_ZN7rocprim17ROCPRIM_400000_NS6detail17trampoline_kernelINS0_14default_configENS1_27scan_by_key_config_selectorIijEEZZNS1_16scan_by_key_implILNS1_25lookback_scan_determinismE0ELb1ES3_N6thrust23THRUST_200600_302600_NS6detail15normal_iteratorINS9_10device_ptrIiEEEENSB_INSC_IjEEEESG_jNS9_4plusIvEENS9_8equal_toIvEEjEE10hipError_tPvRmT2_T3_T4_T5_mT6_T7_P12ihipStream_tbENKUlT_T0_E_clISt17integral_constantIbLb0EES11_EEDaSW_SX_EUlSW_E_NS1_11comp_targetILNS1_3genE5ELNS1_11target_archE942ELNS1_3gpuE9ELNS1_3repE0EEENS1_30default_config_static_selectorELNS0_4arch9wavefront6targetE0EEEvT1_: ; @_ZN7rocprim17ROCPRIM_400000_NS6detail17trampoline_kernelINS0_14default_configENS1_27scan_by_key_config_selectorIijEEZZNS1_16scan_by_key_implILNS1_25lookback_scan_determinismE0ELb1ES3_N6thrust23THRUST_200600_302600_NS6detail15normal_iteratorINS9_10device_ptrIiEEEENSB_INSC_IjEEEESG_jNS9_4plusIvEENS9_8equal_toIvEEjEE10hipError_tPvRmT2_T3_T4_T5_mT6_T7_P12ihipStream_tbENKUlT_T0_E_clISt17integral_constantIbLb0EES11_EEDaSW_SX_EUlSW_E_NS1_11comp_targetILNS1_3genE5ELNS1_11target_archE942ELNS1_3gpuE9ELNS1_3repE0EEENS1_30default_config_static_selectorELNS0_4arch9wavefront6targetE0EEEvT1_
; %bb.0:
	.section	.rodata,"a",@progbits
	.p2align	6, 0x0
	.amdhsa_kernel _ZN7rocprim17ROCPRIM_400000_NS6detail17trampoline_kernelINS0_14default_configENS1_27scan_by_key_config_selectorIijEEZZNS1_16scan_by_key_implILNS1_25lookback_scan_determinismE0ELb1ES3_N6thrust23THRUST_200600_302600_NS6detail15normal_iteratorINS9_10device_ptrIiEEEENSB_INSC_IjEEEESG_jNS9_4plusIvEENS9_8equal_toIvEEjEE10hipError_tPvRmT2_T3_T4_T5_mT6_T7_P12ihipStream_tbENKUlT_T0_E_clISt17integral_constantIbLb0EES11_EEDaSW_SX_EUlSW_E_NS1_11comp_targetILNS1_3genE5ELNS1_11target_archE942ELNS1_3gpuE9ELNS1_3repE0EEENS1_30default_config_static_selectorELNS0_4arch9wavefront6targetE0EEEvT1_
		.amdhsa_group_segment_fixed_size 0
		.amdhsa_private_segment_fixed_size 0
		.amdhsa_kernarg_size 112
		.amdhsa_user_sgpr_count 2
		.amdhsa_user_sgpr_dispatch_ptr 0
		.amdhsa_user_sgpr_queue_ptr 0
		.amdhsa_user_sgpr_kernarg_segment_ptr 1
		.amdhsa_user_sgpr_dispatch_id 0
		.amdhsa_user_sgpr_kernarg_preload_length 0
		.amdhsa_user_sgpr_kernarg_preload_offset 0
		.amdhsa_user_sgpr_private_segment_size 0
		.amdhsa_wavefront_size32 1
		.amdhsa_uses_dynamic_stack 0
		.amdhsa_enable_private_segment 0
		.amdhsa_system_sgpr_workgroup_id_x 1
		.amdhsa_system_sgpr_workgroup_id_y 0
		.amdhsa_system_sgpr_workgroup_id_z 0
		.amdhsa_system_sgpr_workgroup_info 0
		.amdhsa_system_vgpr_workitem_id 0
		.amdhsa_next_free_vgpr 1
		.amdhsa_next_free_sgpr 1
		.amdhsa_named_barrier_count 0
		.amdhsa_reserve_vcc 0
		.amdhsa_float_round_mode_32 0
		.amdhsa_float_round_mode_16_64 0
		.amdhsa_float_denorm_mode_32 3
		.amdhsa_float_denorm_mode_16_64 3
		.amdhsa_fp16_overflow 0
		.amdhsa_memory_ordered 1
		.amdhsa_forward_progress 1
		.amdhsa_inst_pref_size 0
		.amdhsa_round_robin_scheduling 0
		.amdhsa_exception_fp_ieee_invalid_op 0
		.amdhsa_exception_fp_denorm_src 0
		.amdhsa_exception_fp_ieee_div_zero 0
		.amdhsa_exception_fp_ieee_overflow 0
		.amdhsa_exception_fp_ieee_underflow 0
		.amdhsa_exception_fp_ieee_inexact 0
		.amdhsa_exception_int_div_zero 0
	.end_amdhsa_kernel
	.section	.text._ZN7rocprim17ROCPRIM_400000_NS6detail17trampoline_kernelINS0_14default_configENS1_27scan_by_key_config_selectorIijEEZZNS1_16scan_by_key_implILNS1_25lookback_scan_determinismE0ELb1ES3_N6thrust23THRUST_200600_302600_NS6detail15normal_iteratorINS9_10device_ptrIiEEEENSB_INSC_IjEEEESG_jNS9_4plusIvEENS9_8equal_toIvEEjEE10hipError_tPvRmT2_T3_T4_T5_mT6_T7_P12ihipStream_tbENKUlT_T0_E_clISt17integral_constantIbLb0EES11_EEDaSW_SX_EUlSW_E_NS1_11comp_targetILNS1_3genE5ELNS1_11target_archE942ELNS1_3gpuE9ELNS1_3repE0EEENS1_30default_config_static_selectorELNS0_4arch9wavefront6targetE0EEEvT1_,"axG",@progbits,_ZN7rocprim17ROCPRIM_400000_NS6detail17trampoline_kernelINS0_14default_configENS1_27scan_by_key_config_selectorIijEEZZNS1_16scan_by_key_implILNS1_25lookback_scan_determinismE0ELb1ES3_N6thrust23THRUST_200600_302600_NS6detail15normal_iteratorINS9_10device_ptrIiEEEENSB_INSC_IjEEEESG_jNS9_4plusIvEENS9_8equal_toIvEEjEE10hipError_tPvRmT2_T3_T4_T5_mT6_T7_P12ihipStream_tbENKUlT_T0_E_clISt17integral_constantIbLb0EES11_EEDaSW_SX_EUlSW_E_NS1_11comp_targetILNS1_3genE5ELNS1_11target_archE942ELNS1_3gpuE9ELNS1_3repE0EEENS1_30default_config_static_selectorELNS0_4arch9wavefront6targetE0EEEvT1_,comdat
.Lfunc_end1501:
	.size	_ZN7rocprim17ROCPRIM_400000_NS6detail17trampoline_kernelINS0_14default_configENS1_27scan_by_key_config_selectorIijEEZZNS1_16scan_by_key_implILNS1_25lookback_scan_determinismE0ELb1ES3_N6thrust23THRUST_200600_302600_NS6detail15normal_iteratorINS9_10device_ptrIiEEEENSB_INSC_IjEEEESG_jNS9_4plusIvEENS9_8equal_toIvEEjEE10hipError_tPvRmT2_T3_T4_T5_mT6_T7_P12ihipStream_tbENKUlT_T0_E_clISt17integral_constantIbLb0EES11_EEDaSW_SX_EUlSW_E_NS1_11comp_targetILNS1_3genE5ELNS1_11target_archE942ELNS1_3gpuE9ELNS1_3repE0EEENS1_30default_config_static_selectorELNS0_4arch9wavefront6targetE0EEEvT1_, .Lfunc_end1501-_ZN7rocprim17ROCPRIM_400000_NS6detail17trampoline_kernelINS0_14default_configENS1_27scan_by_key_config_selectorIijEEZZNS1_16scan_by_key_implILNS1_25lookback_scan_determinismE0ELb1ES3_N6thrust23THRUST_200600_302600_NS6detail15normal_iteratorINS9_10device_ptrIiEEEENSB_INSC_IjEEEESG_jNS9_4plusIvEENS9_8equal_toIvEEjEE10hipError_tPvRmT2_T3_T4_T5_mT6_T7_P12ihipStream_tbENKUlT_T0_E_clISt17integral_constantIbLb0EES11_EEDaSW_SX_EUlSW_E_NS1_11comp_targetILNS1_3genE5ELNS1_11target_archE942ELNS1_3gpuE9ELNS1_3repE0EEENS1_30default_config_static_selectorELNS0_4arch9wavefront6targetE0EEEvT1_
                                        ; -- End function
	.set _ZN7rocprim17ROCPRIM_400000_NS6detail17trampoline_kernelINS0_14default_configENS1_27scan_by_key_config_selectorIijEEZZNS1_16scan_by_key_implILNS1_25lookback_scan_determinismE0ELb1ES3_N6thrust23THRUST_200600_302600_NS6detail15normal_iteratorINS9_10device_ptrIiEEEENSB_INSC_IjEEEESG_jNS9_4plusIvEENS9_8equal_toIvEEjEE10hipError_tPvRmT2_T3_T4_T5_mT6_T7_P12ihipStream_tbENKUlT_T0_E_clISt17integral_constantIbLb0EES11_EEDaSW_SX_EUlSW_E_NS1_11comp_targetILNS1_3genE5ELNS1_11target_archE942ELNS1_3gpuE9ELNS1_3repE0EEENS1_30default_config_static_selectorELNS0_4arch9wavefront6targetE0EEEvT1_.num_vgpr, 0
	.set _ZN7rocprim17ROCPRIM_400000_NS6detail17trampoline_kernelINS0_14default_configENS1_27scan_by_key_config_selectorIijEEZZNS1_16scan_by_key_implILNS1_25lookback_scan_determinismE0ELb1ES3_N6thrust23THRUST_200600_302600_NS6detail15normal_iteratorINS9_10device_ptrIiEEEENSB_INSC_IjEEEESG_jNS9_4plusIvEENS9_8equal_toIvEEjEE10hipError_tPvRmT2_T3_T4_T5_mT6_T7_P12ihipStream_tbENKUlT_T0_E_clISt17integral_constantIbLb0EES11_EEDaSW_SX_EUlSW_E_NS1_11comp_targetILNS1_3genE5ELNS1_11target_archE942ELNS1_3gpuE9ELNS1_3repE0EEENS1_30default_config_static_selectorELNS0_4arch9wavefront6targetE0EEEvT1_.num_agpr, 0
	.set _ZN7rocprim17ROCPRIM_400000_NS6detail17trampoline_kernelINS0_14default_configENS1_27scan_by_key_config_selectorIijEEZZNS1_16scan_by_key_implILNS1_25lookback_scan_determinismE0ELb1ES3_N6thrust23THRUST_200600_302600_NS6detail15normal_iteratorINS9_10device_ptrIiEEEENSB_INSC_IjEEEESG_jNS9_4plusIvEENS9_8equal_toIvEEjEE10hipError_tPvRmT2_T3_T4_T5_mT6_T7_P12ihipStream_tbENKUlT_T0_E_clISt17integral_constantIbLb0EES11_EEDaSW_SX_EUlSW_E_NS1_11comp_targetILNS1_3genE5ELNS1_11target_archE942ELNS1_3gpuE9ELNS1_3repE0EEENS1_30default_config_static_selectorELNS0_4arch9wavefront6targetE0EEEvT1_.numbered_sgpr, 0
	.set _ZN7rocprim17ROCPRIM_400000_NS6detail17trampoline_kernelINS0_14default_configENS1_27scan_by_key_config_selectorIijEEZZNS1_16scan_by_key_implILNS1_25lookback_scan_determinismE0ELb1ES3_N6thrust23THRUST_200600_302600_NS6detail15normal_iteratorINS9_10device_ptrIiEEEENSB_INSC_IjEEEESG_jNS9_4plusIvEENS9_8equal_toIvEEjEE10hipError_tPvRmT2_T3_T4_T5_mT6_T7_P12ihipStream_tbENKUlT_T0_E_clISt17integral_constantIbLb0EES11_EEDaSW_SX_EUlSW_E_NS1_11comp_targetILNS1_3genE5ELNS1_11target_archE942ELNS1_3gpuE9ELNS1_3repE0EEENS1_30default_config_static_selectorELNS0_4arch9wavefront6targetE0EEEvT1_.num_named_barrier, 0
	.set _ZN7rocprim17ROCPRIM_400000_NS6detail17trampoline_kernelINS0_14default_configENS1_27scan_by_key_config_selectorIijEEZZNS1_16scan_by_key_implILNS1_25lookback_scan_determinismE0ELb1ES3_N6thrust23THRUST_200600_302600_NS6detail15normal_iteratorINS9_10device_ptrIiEEEENSB_INSC_IjEEEESG_jNS9_4plusIvEENS9_8equal_toIvEEjEE10hipError_tPvRmT2_T3_T4_T5_mT6_T7_P12ihipStream_tbENKUlT_T0_E_clISt17integral_constantIbLb0EES11_EEDaSW_SX_EUlSW_E_NS1_11comp_targetILNS1_3genE5ELNS1_11target_archE942ELNS1_3gpuE9ELNS1_3repE0EEENS1_30default_config_static_selectorELNS0_4arch9wavefront6targetE0EEEvT1_.private_seg_size, 0
	.set _ZN7rocprim17ROCPRIM_400000_NS6detail17trampoline_kernelINS0_14default_configENS1_27scan_by_key_config_selectorIijEEZZNS1_16scan_by_key_implILNS1_25lookback_scan_determinismE0ELb1ES3_N6thrust23THRUST_200600_302600_NS6detail15normal_iteratorINS9_10device_ptrIiEEEENSB_INSC_IjEEEESG_jNS9_4plusIvEENS9_8equal_toIvEEjEE10hipError_tPvRmT2_T3_T4_T5_mT6_T7_P12ihipStream_tbENKUlT_T0_E_clISt17integral_constantIbLb0EES11_EEDaSW_SX_EUlSW_E_NS1_11comp_targetILNS1_3genE5ELNS1_11target_archE942ELNS1_3gpuE9ELNS1_3repE0EEENS1_30default_config_static_selectorELNS0_4arch9wavefront6targetE0EEEvT1_.uses_vcc, 0
	.set _ZN7rocprim17ROCPRIM_400000_NS6detail17trampoline_kernelINS0_14default_configENS1_27scan_by_key_config_selectorIijEEZZNS1_16scan_by_key_implILNS1_25lookback_scan_determinismE0ELb1ES3_N6thrust23THRUST_200600_302600_NS6detail15normal_iteratorINS9_10device_ptrIiEEEENSB_INSC_IjEEEESG_jNS9_4plusIvEENS9_8equal_toIvEEjEE10hipError_tPvRmT2_T3_T4_T5_mT6_T7_P12ihipStream_tbENKUlT_T0_E_clISt17integral_constantIbLb0EES11_EEDaSW_SX_EUlSW_E_NS1_11comp_targetILNS1_3genE5ELNS1_11target_archE942ELNS1_3gpuE9ELNS1_3repE0EEENS1_30default_config_static_selectorELNS0_4arch9wavefront6targetE0EEEvT1_.uses_flat_scratch, 0
	.set _ZN7rocprim17ROCPRIM_400000_NS6detail17trampoline_kernelINS0_14default_configENS1_27scan_by_key_config_selectorIijEEZZNS1_16scan_by_key_implILNS1_25lookback_scan_determinismE0ELb1ES3_N6thrust23THRUST_200600_302600_NS6detail15normal_iteratorINS9_10device_ptrIiEEEENSB_INSC_IjEEEESG_jNS9_4plusIvEENS9_8equal_toIvEEjEE10hipError_tPvRmT2_T3_T4_T5_mT6_T7_P12ihipStream_tbENKUlT_T0_E_clISt17integral_constantIbLb0EES11_EEDaSW_SX_EUlSW_E_NS1_11comp_targetILNS1_3genE5ELNS1_11target_archE942ELNS1_3gpuE9ELNS1_3repE0EEENS1_30default_config_static_selectorELNS0_4arch9wavefront6targetE0EEEvT1_.has_dyn_sized_stack, 0
	.set _ZN7rocprim17ROCPRIM_400000_NS6detail17trampoline_kernelINS0_14default_configENS1_27scan_by_key_config_selectorIijEEZZNS1_16scan_by_key_implILNS1_25lookback_scan_determinismE0ELb1ES3_N6thrust23THRUST_200600_302600_NS6detail15normal_iteratorINS9_10device_ptrIiEEEENSB_INSC_IjEEEESG_jNS9_4plusIvEENS9_8equal_toIvEEjEE10hipError_tPvRmT2_T3_T4_T5_mT6_T7_P12ihipStream_tbENKUlT_T0_E_clISt17integral_constantIbLb0EES11_EEDaSW_SX_EUlSW_E_NS1_11comp_targetILNS1_3genE5ELNS1_11target_archE942ELNS1_3gpuE9ELNS1_3repE0EEENS1_30default_config_static_selectorELNS0_4arch9wavefront6targetE0EEEvT1_.has_recursion, 0
	.set _ZN7rocprim17ROCPRIM_400000_NS6detail17trampoline_kernelINS0_14default_configENS1_27scan_by_key_config_selectorIijEEZZNS1_16scan_by_key_implILNS1_25lookback_scan_determinismE0ELb1ES3_N6thrust23THRUST_200600_302600_NS6detail15normal_iteratorINS9_10device_ptrIiEEEENSB_INSC_IjEEEESG_jNS9_4plusIvEENS9_8equal_toIvEEjEE10hipError_tPvRmT2_T3_T4_T5_mT6_T7_P12ihipStream_tbENKUlT_T0_E_clISt17integral_constantIbLb0EES11_EEDaSW_SX_EUlSW_E_NS1_11comp_targetILNS1_3genE5ELNS1_11target_archE942ELNS1_3gpuE9ELNS1_3repE0EEENS1_30default_config_static_selectorELNS0_4arch9wavefront6targetE0EEEvT1_.has_indirect_call, 0
	.section	.AMDGPU.csdata,"",@progbits
; Kernel info:
; codeLenInByte = 0
; TotalNumSgprs: 0
; NumVgprs: 0
; ScratchSize: 0
; MemoryBound: 0
; FloatMode: 240
; IeeeMode: 1
; LDSByteSize: 0 bytes/workgroup (compile time only)
; SGPRBlocks: 0
; VGPRBlocks: 0
; NumSGPRsForWavesPerEU: 1
; NumVGPRsForWavesPerEU: 1
; NamedBarCnt: 0
; Occupancy: 16
; WaveLimiterHint : 0
; COMPUTE_PGM_RSRC2:SCRATCH_EN: 0
; COMPUTE_PGM_RSRC2:USER_SGPR: 2
; COMPUTE_PGM_RSRC2:TRAP_HANDLER: 0
; COMPUTE_PGM_RSRC2:TGID_X_EN: 1
; COMPUTE_PGM_RSRC2:TGID_Y_EN: 0
; COMPUTE_PGM_RSRC2:TGID_Z_EN: 0
; COMPUTE_PGM_RSRC2:TIDIG_COMP_CNT: 0
	.section	.text._ZN7rocprim17ROCPRIM_400000_NS6detail17trampoline_kernelINS0_14default_configENS1_27scan_by_key_config_selectorIijEEZZNS1_16scan_by_key_implILNS1_25lookback_scan_determinismE0ELb1ES3_N6thrust23THRUST_200600_302600_NS6detail15normal_iteratorINS9_10device_ptrIiEEEENSB_INSC_IjEEEESG_jNS9_4plusIvEENS9_8equal_toIvEEjEE10hipError_tPvRmT2_T3_T4_T5_mT6_T7_P12ihipStream_tbENKUlT_T0_E_clISt17integral_constantIbLb0EES11_EEDaSW_SX_EUlSW_E_NS1_11comp_targetILNS1_3genE4ELNS1_11target_archE910ELNS1_3gpuE8ELNS1_3repE0EEENS1_30default_config_static_selectorELNS0_4arch9wavefront6targetE0EEEvT1_,"axG",@progbits,_ZN7rocprim17ROCPRIM_400000_NS6detail17trampoline_kernelINS0_14default_configENS1_27scan_by_key_config_selectorIijEEZZNS1_16scan_by_key_implILNS1_25lookback_scan_determinismE0ELb1ES3_N6thrust23THRUST_200600_302600_NS6detail15normal_iteratorINS9_10device_ptrIiEEEENSB_INSC_IjEEEESG_jNS9_4plusIvEENS9_8equal_toIvEEjEE10hipError_tPvRmT2_T3_T4_T5_mT6_T7_P12ihipStream_tbENKUlT_T0_E_clISt17integral_constantIbLb0EES11_EEDaSW_SX_EUlSW_E_NS1_11comp_targetILNS1_3genE4ELNS1_11target_archE910ELNS1_3gpuE8ELNS1_3repE0EEENS1_30default_config_static_selectorELNS0_4arch9wavefront6targetE0EEEvT1_,comdat
	.protected	_ZN7rocprim17ROCPRIM_400000_NS6detail17trampoline_kernelINS0_14default_configENS1_27scan_by_key_config_selectorIijEEZZNS1_16scan_by_key_implILNS1_25lookback_scan_determinismE0ELb1ES3_N6thrust23THRUST_200600_302600_NS6detail15normal_iteratorINS9_10device_ptrIiEEEENSB_INSC_IjEEEESG_jNS9_4plusIvEENS9_8equal_toIvEEjEE10hipError_tPvRmT2_T3_T4_T5_mT6_T7_P12ihipStream_tbENKUlT_T0_E_clISt17integral_constantIbLb0EES11_EEDaSW_SX_EUlSW_E_NS1_11comp_targetILNS1_3genE4ELNS1_11target_archE910ELNS1_3gpuE8ELNS1_3repE0EEENS1_30default_config_static_selectorELNS0_4arch9wavefront6targetE0EEEvT1_ ; -- Begin function _ZN7rocprim17ROCPRIM_400000_NS6detail17trampoline_kernelINS0_14default_configENS1_27scan_by_key_config_selectorIijEEZZNS1_16scan_by_key_implILNS1_25lookback_scan_determinismE0ELb1ES3_N6thrust23THRUST_200600_302600_NS6detail15normal_iteratorINS9_10device_ptrIiEEEENSB_INSC_IjEEEESG_jNS9_4plusIvEENS9_8equal_toIvEEjEE10hipError_tPvRmT2_T3_T4_T5_mT6_T7_P12ihipStream_tbENKUlT_T0_E_clISt17integral_constantIbLb0EES11_EEDaSW_SX_EUlSW_E_NS1_11comp_targetILNS1_3genE4ELNS1_11target_archE910ELNS1_3gpuE8ELNS1_3repE0EEENS1_30default_config_static_selectorELNS0_4arch9wavefront6targetE0EEEvT1_
	.globl	_ZN7rocprim17ROCPRIM_400000_NS6detail17trampoline_kernelINS0_14default_configENS1_27scan_by_key_config_selectorIijEEZZNS1_16scan_by_key_implILNS1_25lookback_scan_determinismE0ELb1ES3_N6thrust23THRUST_200600_302600_NS6detail15normal_iteratorINS9_10device_ptrIiEEEENSB_INSC_IjEEEESG_jNS9_4plusIvEENS9_8equal_toIvEEjEE10hipError_tPvRmT2_T3_T4_T5_mT6_T7_P12ihipStream_tbENKUlT_T0_E_clISt17integral_constantIbLb0EES11_EEDaSW_SX_EUlSW_E_NS1_11comp_targetILNS1_3genE4ELNS1_11target_archE910ELNS1_3gpuE8ELNS1_3repE0EEENS1_30default_config_static_selectorELNS0_4arch9wavefront6targetE0EEEvT1_
	.p2align	8
	.type	_ZN7rocprim17ROCPRIM_400000_NS6detail17trampoline_kernelINS0_14default_configENS1_27scan_by_key_config_selectorIijEEZZNS1_16scan_by_key_implILNS1_25lookback_scan_determinismE0ELb1ES3_N6thrust23THRUST_200600_302600_NS6detail15normal_iteratorINS9_10device_ptrIiEEEENSB_INSC_IjEEEESG_jNS9_4plusIvEENS9_8equal_toIvEEjEE10hipError_tPvRmT2_T3_T4_T5_mT6_T7_P12ihipStream_tbENKUlT_T0_E_clISt17integral_constantIbLb0EES11_EEDaSW_SX_EUlSW_E_NS1_11comp_targetILNS1_3genE4ELNS1_11target_archE910ELNS1_3gpuE8ELNS1_3repE0EEENS1_30default_config_static_selectorELNS0_4arch9wavefront6targetE0EEEvT1_,@function
_ZN7rocprim17ROCPRIM_400000_NS6detail17trampoline_kernelINS0_14default_configENS1_27scan_by_key_config_selectorIijEEZZNS1_16scan_by_key_implILNS1_25lookback_scan_determinismE0ELb1ES3_N6thrust23THRUST_200600_302600_NS6detail15normal_iteratorINS9_10device_ptrIiEEEENSB_INSC_IjEEEESG_jNS9_4plusIvEENS9_8equal_toIvEEjEE10hipError_tPvRmT2_T3_T4_T5_mT6_T7_P12ihipStream_tbENKUlT_T0_E_clISt17integral_constantIbLb0EES11_EEDaSW_SX_EUlSW_E_NS1_11comp_targetILNS1_3genE4ELNS1_11target_archE910ELNS1_3gpuE8ELNS1_3repE0EEENS1_30default_config_static_selectorELNS0_4arch9wavefront6targetE0EEEvT1_: ; @_ZN7rocprim17ROCPRIM_400000_NS6detail17trampoline_kernelINS0_14default_configENS1_27scan_by_key_config_selectorIijEEZZNS1_16scan_by_key_implILNS1_25lookback_scan_determinismE0ELb1ES3_N6thrust23THRUST_200600_302600_NS6detail15normal_iteratorINS9_10device_ptrIiEEEENSB_INSC_IjEEEESG_jNS9_4plusIvEENS9_8equal_toIvEEjEE10hipError_tPvRmT2_T3_T4_T5_mT6_T7_P12ihipStream_tbENKUlT_T0_E_clISt17integral_constantIbLb0EES11_EEDaSW_SX_EUlSW_E_NS1_11comp_targetILNS1_3genE4ELNS1_11target_archE910ELNS1_3gpuE8ELNS1_3repE0EEENS1_30default_config_static_selectorELNS0_4arch9wavefront6targetE0EEEvT1_
; %bb.0:
	.section	.rodata,"a",@progbits
	.p2align	6, 0x0
	.amdhsa_kernel _ZN7rocprim17ROCPRIM_400000_NS6detail17trampoline_kernelINS0_14default_configENS1_27scan_by_key_config_selectorIijEEZZNS1_16scan_by_key_implILNS1_25lookback_scan_determinismE0ELb1ES3_N6thrust23THRUST_200600_302600_NS6detail15normal_iteratorINS9_10device_ptrIiEEEENSB_INSC_IjEEEESG_jNS9_4plusIvEENS9_8equal_toIvEEjEE10hipError_tPvRmT2_T3_T4_T5_mT6_T7_P12ihipStream_tbENKUlT_T0_E_clISt17integral_constantIbLb0EES11_EEDaSW_SX_EUlSW_E_NS1_11comp_targetILNS1_3genE4ELNS1_11target_archE910ELNS1_3gpuE8ELNS1_3repE0EEENS1_30default_config_static_selectorELNS0_4arch9wavefront6targetE0EEEvT1_
		.amdhsa_group_segment_fixed_size 0
		.amdhsa_private_segment_fixed_size 0
		.amdhsa_kernarg_size 112
		.amdhsa_user_sgpr_count 2
		.amdhsa_user_sgpr_dispatch_ptr 0
		.amdhsa_user_sgpr_queue_ptr 0
		.amdhsa_user_sgpr_kernarg_segment_ptr 1
		.amdhsa_user_sgpr_dispatch_id 0
		.amdhsa_user_sgpr_kernarg_preload_length 0
		.amdhsa_user_sgpr_kernarg_preload_offset 0
		.amdhsa_user_sgpr_private_segment_size 0
		.amdhsa_wavefront_size32 1
		.amdhsa_uses_dynamic_stack 0
		.amdhsa_enable_private_segment 0
		.amdhsa_system_sgpr_workgroup_id_x 1
		.amdhsa_system_sgpr_workgroup_id_y 0
		.amdhsa_system_sgpr_workgroup_id_z 0
		.amdhsa_system_sgpr_workgroup_info 0
		.amdhsa_system_vgpr_workitem_id 0
		.amdhsa_next_free_vgpr 1
		.amdhsa_next_free_sgpr 1
		.amdhsa_named_barrier_count 0
		.amdhsa_reserve_vcc 0
		.amdhsa_float_round_mode_32 0
		.amdhsa_float_round_mode_16_64 0
		.amdhsa_float_denorm_mode_32 3
		.amdhsa_float_denorm_mode_16_64 3
		.amdhsa_fp16_overflow 0
		.amdhsa_memory_ordered 1
		.amdhsa_forward_progress 1
		.amdhsa_inst_pref_size 0
		.amdhsa_round_robin_scheduling 0
		.amdhsa_exception_fp_ieee_invalid_op 0
		.amdhsa_exception_fp_denorm_src 0
		.amdhsa_exception_fp_ieee_div_zero 0
		.amdhsa_exception_fp_ieee_overflow 0
		.amdhsa_exception_fp_ieee_underflow 0
		.amdhsa_exception_fp_ieee_inexact 0
		.amdhsa_exception_int_div_zero 0
	.end_amdhsa_kernel
	.section	.text._ZN7rocprim17ROCPRIM_400000_NS6detail17trampoline_kernelINS0_14default_configENS1_27scan_by_key_config_selectorIijEEZZNS1_16scan_by_key_implILNS1_25lookback_scan_determinismE0ELb1ES3_N6thrust23THRUST_200600_302600_NS6detail15normal_iteratorINS9_10device_ptrIiEEEENSB_INSC_IjEEEESG_jNS9_4plusIvEENS9_8equal_toIvEEjEE10hipError_tPvRmT2_T3_T4_T5_mT6_T7_P12ihipStream_tbENKUlT_T0_E_clISt17integral_constantIbLb0EES11_EEDaSW_SX_EUlSW_E_NS1_11comp_targetILNS1_3genE4ELNS1_11target_archE910ELNS1_3gpuE8ELNS1_3repE0EEENS1_30default_config_static_selectorELNS0_4arch9wavefront6targetE0EEEvT1_,"axG",@progbits,_ZN7rocprim17ROCPRIM_400000_NS6detail17trampoline_kernelINS0_14default_configENS1_27scan_by_key_config_selectorIijEEZZNS1_16scan_by_key_implILNS1_25lookback_scan_determinismE0ELb1ES3_N6thrust23THRUST_200600_302600_NS6detail15normal_iteratorINS9_10device_ptrIiEEEENSB_INSC_IjEEEESG_jNS9_4plusIvEENS9_8equal_toIvEEjEE10hipError_tPvRmT2_T3_T4_T5_mT6_T7_P12ihipStream_tbENKUlT_T0_E_clISt17integral_constantIbLb0EES11_EEDaSW_SX_EUlSW_E_NS1_11comp_targetILNS1_3genE4ELNS1_11target_archE910ELNS1_3gpuE8ELNS1_3repE0EEENS1_30default_config_static_selectorELNS0_4arch9wavefront6targetE0EEEvT1_,comdat
.Lfunc_end1502:
	.size	_ZN7rocprim17ROCPRIM_400000_NS6detail17trampoline_kernelINS0_14default_configENS1_27scan_by_key_config_selectorIijEEZZNS1_16scan_by_key_implILNS1_25lookback_scan_determinismE0ELb1ES3_N6thrust23THRUST_200600_302600_NS6detail15normal_iteratorINS9_10device_ptrIiEEEENSB_INSC_IjEEEESG_jNS9_4plusIvEENS9_8equal_toIvEEjEE10hipError_tPvRmT2_T3_T4_T5_mT6_T7_P12ihipStream_tbENKUlT_T0_E_clISt17integral_constantIbLb0EES11_EEDaSW_SX_EUlSW_E_NS1_11comp_targetILNS1_3genE4ELNS1_11target_archE910ELNS1_3gpuE8ELNS1_3repE0EEENS1_30default_config_static_selectorELNS0_4arch9wavefront6targetE0EEEvT1_, .Lfunc_end1502-_ZN7rocprim17ROCPRIM_400000_NS6detail17trampoline_kernelINS0_14default_configENS1_27scan_by_key_config_selectorIijEEZZNS1_16scan_by_key_implILNS1_25lookback_scan_determinismE0ELb1ES3_N6thrust23THRUST_200600_302600_NS6detail15normal_iteratorINS9_10device_ptrIiEEEENSB_INSC_IjEEEESG_jNS9_4plusIvEENS9_8equal_toIvEEjEE10hipError_tPvRmT2_T3_T4_T5_mT6_T7_P12ihipStream_tbENKUlT_T0_E_clISt17integral_constantIbLb0EES11_EEDaSW_SX_EUlSW_E_NS1_11comp_targetILNS1_3genE4ELNS1_11target_archE910ELNS1_3gpuE8ELNS1_3repE0EEENS1_30default_config_static_selectorELNS0_4arch9wavefront6targetE0EEEvT1_
                                        ; -- End function
	.set _ZN7rocprim17ROCPRIM_400000_NS6detail17trampoline_kernelINS0_14default_configENS1_27scan_by_key_config_selectorIijEEZZNS1_16scan_by_key_implILNS1_25lookback_scan_determinismE0ELb1ES3_N6thrust23THRUST_200600_302600_NS6detail15normal_iteratorINS9_10device_ptrIiEEEENSB_INSC_IjEEEESG_jNS9_4plusIvEENS9_8equal_toIvEEjEE10hipError_tPvRmT2_T3_T4_T5_mT6_T7_P12ihipStream_tbENKUlT_T0_E_clISt17integral_constantIbLb0EES11_EEDaSW_SX_EUlSW_E_NS1_11comp_targetILNS1_3genE4ELNS1_11target_archE910ELNS1_3gpuE8ELNS1_3repE0EEENS1_30default_config_static_selectorELNS0_4arch9wavefront6targetE0EEEvT1_.num_vgpr, 0
	.set _ZN7rocprim17ROCPRIM_400000_NS6detail17trampoline_kernelINS0_14default_configENS1_27scan_by_key_config_selectorIijEEZZNS1_16scan_by_key_implILNS1_25lookback_scan_determinismE0ELb1ES3_N6thrust23THRUST_200600_302600_NS6detail15normal_iteratorINS9_10device_ptrIiEEEENSB_INSC_IjEEEESG_jNS9_4plusIvEENS9_8equal_toIvEEjEE10hipError_tPvRmT2_T3_T4_T5_mT6_T7_P12ihipStream_tbENKUlT_T0_E_clISt17integral_constantIbLb0EES11_EEDaSW_SX_EUlSW_E_NS1_11comp_targetILNS1_3genE4ELNS1_11target_archE910ELNS1_3gpuE8ELNS1_3repE0EEENS1_30default_config_static_selectorELNS0_4arch9wavefront6targetE0EEEvT1_.num_agpr, 0
	.set _ZN7rocprim17ROCPRIM_400000_NS6detail17trampoline_kernelINS0_14default_configENS1_27scan_by_key_config_selectorIijEEZZNS1_16scan_by_key_implILNS1_25lookback_scan_determinismE0ELb1ES3_N6thrust23THRUST_200600_302600_NS6detail15normal_iteratorINS9_10device_ptrIiEEEENSB_INSC_IjEEEESG_jNS9_4plusIvEENS9_8equal_toIvEEjEE10hipError_tPvRmT2_T3_T4_T5_mT6_T7_P12ihipStream_tbENKUlT_T0_E_clISt17integral_constantIbLb0EES11_EEDaSW_SX_EUlSW_E_NS1_11comp_targetILNS1_3genE4ELNS1_11target_archE910ELNS1_3gpuE8ELNS1_3repE0EEENS1_30default_config_static_selectorELNS0_4arch9wavefront6targetE0EEEvT1_.numbered_sgpr, 0
	.set _ZN7rocprim17ROCPRIM_400000_NS6detail17trampoline_kernelINS0_14default_configENS1_27scan_by_key_config_selectorIijEEZZNS1_16scan_by_key_implILNS1_25lookback_scan_determinismE0ELb1ES3_N6thrust23THRUST_200600_302600_NS6detail15normal_iteratorINS9_10device_ptrIiEEEENSB_INSC_IjEEEESG_jNS9_4plusIvEENS9_8equal_toIvEEjEE10hipError_tPvRmT2_T3_T4_T5_mT6_T7_P12ihipStream_tbENKUlT_T0_E_clISt17integral_constantIbLb0EES11_EEDaSW_SX_EUlSW_E_NS1_11comp_targetILNS1_3genE4ELNS1_11target_archE910ELNS1_3gpuE8ELNS1_3repE0EEENS1_30default_config_static_selectorELNS0_4arch9wavefront6targetE0EEEvT1_.num_named_barrier, 0
	.set _ZN7rocprim17ROCPRIM_400000_NS6detail17trampoline_kernelINS0_14default_configENS1_27scan_by_key_config_selectorIijEEZZNS1_16scan_by_key_implILNS1_25lookback_scan_determinismE0ELb1ES3_N6thrust23THRUST_200600_302600_NS6detail15normal_iteratorINS9_10device_ptrIiEEEENSB_INSC_IjEEEESG_jNS9_4plusIvEENS9_8equal_toIvEEjEE10hipError_tPvRmT2_T3_T4_T5_mT6_T7_P12ihipStream_tbENKUlT_T0_E_clISt17integral_constantIbLb0EES11_EEDaSW_SX_EUlSW_E_NS1_11comp_targetILNS1_3genE4ELNS1_11target_archE910ELNS1_3gpuE8ELNS1_3repE0EEENS1_30default_config_static_selectorELNS0_4arch9wavefront6targetE0EEEvT1_.private_seg_size, 0
	.set _ZN7rocprim17ROCPRIM_400000_NS6detail17trampoline_kernelINS0_14default_configENS1_27scan_by_key_config_selectorIijEEZZNS1_16scan_by_key_implILNS1_25lookback_scan_determinismE0ELb1ES3_N6thrust23THRUST_200600_302600_NS6detail15normal_iteratorINS9_10device_ptrIiEEEENSB_INSC_IjEEEESG_jNS9_4plusIvEENS9_8equal_toIvEEjEE10hipError_tPvRmT2_T3_T4_T5_mT6_T7_P12ihipStream_tbENKUlT_T0_E_clISt17integral_constantIbLb0EES11_EEDaSW_SX_EUlSW_E_NS1_11comp_targetILNS1_3genE4ELNS1_11target_archE910ELNS1_3gpuE8ELNS1_3repE0EEENS1_30default_config_static_selectorELNS0_4arch9wavefront6targetE0EEEvT1_.uses_vcc, 0
	.set _ZN7rocprim17ROCPRIM_400000_NS6detail17trampoline_kernelINS0_14default_configENS1_27scan_by_key_config_selectorIijEEZZNS1_16scan_by_key_implILNS1_25lookback_scan_determinismE0ELb1ES3_N6thrust23THRUST_200600_302600_NS6detail15normal_iteratorINS9_10device_ptrIiEEEENSB_INSC_IjEEEESG_jNS9_4plusIvEENS9_8equal_toIvEEjEE10hipError_tPvRmT2_T3_T4_T5_mT6_T7_P12ihipStream_tbENKUlT_T0_E_clISt17integral_constantIbLb0EES11_EEDaSW_SX_EUlSW_E_NS1_11comp_targetILNS1_3genE4ELNS1_11target_archE910ELNS1_3gpuE8ELNS1_3repE0EEENS1_30default_config_static_selectorELNS0_4arch9wavefront6targetE0EEEvT1_.uses_flat_scratch, 0
	.set _ZN7rocprim17ROCPRIM_400000_NS6detail17trampoline_kernelINS0_14default_configENS1_27scan_by_key_config_selectorIijEEZZNS1_16scan_by_key_implILNS1_25lookback_scan_determinismE0ELb1ES3_N6thrust23THRUST_200600_302600_NS6detail15normal_iteratorINS9_10device_ptrIiEEEENSB_INSC_IjEEEESG_jNS9_4plusIvEENS9_8equal_toIvEEjEE10hipError_tPvRmT2_T3_T4_T5_mT6_T7_P12ihipStream_tbENKUlT_T0_E_clISt17integral_constantIbLb0EES11_EEDaSW_SX_EUlSW_E_NS1_11comp_targetILNS1_3genE4ELNS1_11target_archE910ELNS1_3gpuE8ELNS1_3repE0EEENS1_30default_config_static_selectorELNS0_4arch9wavefront6targetE0EEEvT1_.has_dyn_sized_stack, 0
	.set _ZN7rocprim17ROCPRIM_400000_NS6detail17trampoline_kernelINS0_14default_configENS1_27scan_by_key_config_selectorIijEEZZNS1_16scan_by_key_implILNS1_25lookback_scan_determinismE0ELb1ES3_N6thrust23THRUST_200600_302600_NS6detail15normal_iteratorINS9_10device_ptrIiEEEENSB_INSC_IjEEEESG_jNS9_4plusIvEENS9_8equal_toIvEEjEE10hipError_tPvRmT2_T3_T4_T5_mT6_T7_P12ihipStream_tbENKUlT_T0_E_clISt17integral_constantIbLb0EES11_EEDaSW_SX_EUlSW_E_NS1_11comp_targetILNS1_3genE4ELNS1_11target_archE910ELNS1_3gpuE8ELNS1_3repE0EEENS1_30default_config_static_selectorELNS0_4arch9wavefront6targetE0EEEvT1_.has_recursion, 0
	.set _ZN7rocprim17ROCPRIM_400000_NS6detail17trampoline_kernelINS0_14default_configENS1_27scan_by_key_config_selectorIijEEZZNS1_16scan_by_key_implILNS1_25lookback_scan_determinismE0ELb1ES3_N6thrust23THRUST_200600_302600_NS6detail15normal_iteratorINS9_10device_ptrIiEEEENSB_INSC_IjEEEESG_jNS9_4plusIvEENS9_8equal_toIvEEjEE10hipError_tPvRmT2_T3_T4_T5_mT6_T7_P12ihipStream_tbENKUlT_T0_E_clISt17integral_constantIbLb0EES11_EEDaSW_SX_EUlSW_E_NS1_11comp_targetILNS1_3genE4ELNS1_11target_archE910ELNS1_3gpuE8ELNS1_3repE0EEENS1_30default_config_static_selectorELNS0_4arch9wavefront6targetE0EEEvT1_.has_indirect_call, 0
	.section	.AMDGPU.csdata,"",@progbits
; Kernel info:
; codeLenInByte = 0
; TotalNumSgprs: 0
; NumVgprs: 0
; ScratchSize: 0
; MemoryBound: 0
; FloatMode: 240
; IeeeMode: 1
; LDSByteSize: 0 bytes/workgroup (compile time only)
; SGPRBlocks: 0
; VGPRBlocks: 0
; NumSGPRsForWavesPerEU: 1
; NumVGPRsForWavesPerEU: 1
; NamedBarCnt: 0
; Occupancy: 16
; WaveLimiterHint : 0
; COMPUTE_PGM_RSRC2:SCRATCH_EN: 0
; COMPUTE_PGM_RSRC2:USER_SGPR: 2
; COMPUTE_PGM_RSRC2:TRAP_HANDLER: 0
; COMPUTE_PGM_RSRC2:TGID_X_EN: 1
; COMPUTE_PGM_RSRC2:TGID_Y_EN: 0
; COMPUTE_PGM_RSRC2:TGID_Z_EN: 0
; COMPUTE_PGM_RSRC2:TIDIG_COMP_CNT: 0
	.section	.text._ZN7rocprim17ROCPRIM_400000_NS6detail17trampoline_kernelINS0_14default_configENS1_27scan_by_key_config_selectorIijEEZZNS1_16scan_by_key_implILNS1_25lookback_scan_determinismE0ELb1ES3_N6thrust23THRUST_200600_302600_NS6detail15normal_iteratorINS9_10device_ptrIiEEEENSB_INSC_IjEEEESG_jNS9_4plusIvEENS9_8equal_toIvEEjEE10hipError_tPvRmT2_T3_T4_T5_mT6_T7_P12ihipStream_tbENKUlT_T0_E_clISt17integral_constantIbLb0EES11_EEDaSW_SX_EUlSW_E_NS1_11comp_targetILNS1_3genE3ELNS1_11target_archE908ELNS1_3gpuE7ELNS1_3repE0EEENS1_30default_config_static_selectorELNS0_4arch9wavefront6targetE0EEEvT1_,"axG",@progbits,_ZN7rocprim17ROCPRIM_400000_NS6detail17trampoline_kernelINS0_14default_configENS1_27scan_by_key_config_selectorIijEEZZNS1_16scan_by_key_implILNS1_25lookback_scan_determinismE0ELb1ES3_N6thrust23THRUST_200600_302600_NS6detail15normal_iteratorINS9_10device_ptrIiEEEENSB_INSC_IjEEEESG_jNS9_4plusIvEENS9_8equal_toIvEEjEE10hipError_tPvRmT2_T3_T4_T5_mT6_T7_P12ihipStream_tbENKUlT_T0_E_clISt17integral_constantIbLb0EES11_EEDaSW_SX_EUlSW_E_NS1_11comp_targetILNS1_3genE3ELNS1_11target_archE908ELNS1_3gpuE7ELNS1_3repE0EEENS1_30default_config_static_selectorELNS0_4arch9wavefront6targetE0EEEvT1_,comdat
	.protected	_ZN7rocprim17ROCPRIM_400000_NS6detail17trampoline_kernelINS0_14default_configENS1_27scan_by_key_config_selectorIijEEZZNS1_16scan_by_key_implILNS1_25lookback_scan_determinismE0ELb1ES3_N6thrust23THRUST_200600_302600_NS6detail15normal_iteratorINS9_10device_ptrIiEEEENSB_INSC_IjEEEESG_jNS9_4plusIvEENS9_8equal_toIvEEjEE10hipError_tPvRmT2_T3_T4_T5_mT6_T7_P12ihipStream_tbENKUlT_T0_E_clISt17integral_constantIbLb0EES11_EEDaSW_SX_EUlSW_E_NS1_11comp_targetILNS1_3genE3ELNS1_11target_archE908ELNS1_3gpuE7ELNS1_3repE0EEENS1_30default_config_static_selectorELNS0_4arch9wavefront6targetE0EEEvT1_ ; -- Begin function _ZN7rocprim17ROCPRIM_400000_NS6detail17trampoline_kernelINS0_14default_configENS1_27scan_by_key_config_selectorIijEEZZNS1_16scan_by_key_implILNS1_25lookback_scan_determinismE0ELb1ES3_N6thrust23THRUST_200600_302600_NS6detail15normal_iteratorINS9_10device_ptrIiEEEENSB_INSC_IjEEEESG_jNS9_4plusIvEENS9_8equal_toIvEEjEE10hipError_tPvRmT2_T3_T4_T5_mT6_T7_P12ihipStream_tbENKUlT_T0_E_clISt17integral_constantIbLb0EES11_EEDaSW_SX_EUlSW_E_NS1_11comp_targetILNS1_3genE3ELNS1_11target_archE908ELNS1_3gpuE7ELNS1_3repE0EEENS1_30default_config_static_selectorELNS0_4arch9wavefront6targetE0EEEvT1_
	.globl	_ZN7rocprim17ROCPRIM_400000_NS6detail17trampoline_kernelINS0_14default_configENS1_27scan_by_key_config_selectorIijEEZZNS1_16scan_by_key_implILNS1_25lookback_scan_determinismE0ELb1ES3_N6thrust23THRUST_200600_302600_NS6detail15normal_iteratorINS9_10device_ptrIiEEEENSB_INSC_IjEEEESG_jNS9_4plusIvEENS9_8equal_toIvEEjEE10hipError_tPvRmT2_T3_T4_T5_mT6_T7_P12ihipStream_tbENKUlT_T0_E_clISt17integral_constantIbLb0EES11_EEDaSW_SX_EUlSW_E_NS1_11comp_targetILNS1_3genE3ELNS1_11target_archE908ELNS1_3gpuE7ELNS1_3repE0EEENS1_30default_config_static_selectorELNS0_4arch9wavefront6targetE0EEEvT1_
	.p2align	8
	.type	_ZN7rocprim17ROCPRIM_400000_NS6detail17trampoline_kernelINS0_14default_configENS1_27scan_by_key_config_selectorIijEEZZNS1_16scan_by_key_implILNS1_25lookback_scan_determinismE0ELb1ES3_N6thrust23THRUST_200600_302600_NS6detail15normal_iteratorINS9_10device_ptrIiEEEENSB_INSC_IjEEEESG_jNS9_4plusIvEENS9_8equal_toIvEEjEE10hipError_tPvRmT2_T3_T4_T5_mT6_T7_P12ihipStream_tbENKUlT_T0_E_clISt17integral_constantIbLb0EES11_EEDaSW_SX_EUlSW_E_NS1_11comp_targetILNS1_3genE3ELNS1_11target_archE908ELNS1_3gpuE7ELNS1_3repE0EEENS1_30default_config_static_selectorELNS0_4arch9wavefront6targetE0EEEvT1_,@function
_ZN7rocprim17ROCPRIM_400000_NS6detail17trampoline_kernelINS0_14default_configENS1_27scan_by_key_config_selectorIijEEZZNS1_16scan_by_key_implILNS1_25lookback_scan_determinismE0ELb1ES3_N6thrust23THRUST_200600_302600_NS6detail15normal_iteratorINS9_10device_ptrIiEEEENSB_INSC_IjEEEESG_jNS9_4plusIvEENS9_8equal_toIvEEjEE10hipError_tPvRmT2_T3_T4_T5_mT6_T7_P12ihipStream_tbENKUlT_T0_E_clISt17integral_constantIbLb0EES11_EEDaSW_SX_EUlSW_E_NS1_11comp_targetILNS1_3genE3ELNS1_11target_archE908ELNS1_3gpuE7ELNS1_3repE0EEENS1_30default_config_static_selectorELNS0_4arch9wavefront6targetE0EEEvT1_: ; @_ZN7rocprim17ROCPRIM_400000_NS6detail17trampoline_kernelINS0_14default_configENS1_27scan_by_key_config_selectorIijEEZZNS1_16scan_by_key_implILNS1_25lookback_scan_determinismE0ELb1ES3_N6thrust23THRUST_200600_302600_NS6detail15normal_iteratorINS9_10device_ptrIiEEEENSB_INSC_IjEEEESG_jNS9_4plusIvEENS9_8equal_toIvEEjEE10hipError_tPvRmT2_T3_T4_T5_mT6_T7_P12ihipStream_tbENKUlT_T0_E_clISt17integral_constantIbLb0EES11_EEDaSW_SX_EUlSW_E_NS1_11comp_targetILNS1_3genE3ELNS1_11target_archE908ELNS1_3gpuE7ELNS1_3repE0EEENS1_30default_config_static_selectorELNS0_4arch9wavefront6targetE0EEEvT1_
; %bb.0:
	.section	.rodata,"a",@progbits
	.p2align	6, 0x0
	.amdhsa_kernel _ZN7rocprim17ROCPRIM_400000_NS6detail17trampoline_kernelINS0_14default_configENS1_27scan_by_key_config_selectorIijEEZZNS1_16scan_by_key_implILNS1_25lookback_scan_determinismE0ELb1ES3_N6thrust23THRUST_200600_302600_NS6detail15normal_iteratorINS9_10device_ptrIiEEEENSB_INSC_IjEEEESG_jNS9_4plusIvEENS9_8equal_toIvEEjEE10hipError_tPvRmT2_T3_T4_T5_mT6_T7_P12ihipStream_tbENKUlT_T0_E_clISt17integral_constantIbLb0EES11_EEDaSW_SX_EUlSW_E_NS1_11comp_targetILNS1_3genE3ELNS1_11target_archE908ELNS1_3gpuE7ELNS1_3repE0EEENS1_30default_config_static_selectorELNS0_4arch9wavefront6targetE0EEEvT1_
		.amdhsa_group_segment_fixed_size 0
		.amdhsa_private_segment_fixed_size 0
		.amdhsa_kernarg_size 112
		.amdhsa_user_sgpr_count 2
		.amdhsa_user_sgpr_dispatch_ptr 0
		.amdhsa_user_sgpr_queue_ptr 0
		.amdhsa_user_sgpr_kernarg_segment_ptr 1
		.amdhsa_user_sgpr_dispatch_id 0
		.amdhsa_user_sgpr_kernarg_preload_length 0
		.amdhsa_user_sgpr_kernarg_preload_offset 0
		.amdhsa_user_sgpr_private_segment_size 0
		.amdhsa_wavefront_size32 1
		.amdhsa_uses_dynamic_stack 0
		.amdhsa_enable_private_segment 0
		.amdhsa_system_sgpr_workgroup_id_x 1
		.amdhsa_system_sgpr_workgroup_id_y 0
		.amdhsa_system_sgpr_workgroup_id_z 0
		.amdhsa_system_sgpr_workgroup_info 0
		.amdhsa_system_vgpr_workitem_id 0
		.amdhsa_next_free_vgpr 1
		.amdhsa_next_free_sgpr 1
		.amdhsa_named_barrier_count 0
		.amdhsa_reserve_vcc 0
		.amdhsa_float_round_mode_32 0
		.amdhsa_float_round_mode_16_64 0
		.amdhsa_float_denorm_mode_32 3
		.amdhsa_float_denorm_mode_16_64 3
		.amdhsa_fp16_overflow 0
		.amdhsa_memory_ordered 1
		.amdhsa_forward_progress 1
		.amdhsa_inst_pref_size 0
		.amdhsa_round_robin_scheduling 0
		.amdhsa_exception_fp_ieee_invalid_op 0
		.amdhsa_exception_fp_denorm_src 0
		.amdhsa_exception_fp_ieee_div_zero 0
		.amdhsa_exception_fp_ieee_overflow 0
		.amdhsa_exception_fp_ieee_underflow 0
		.amdhsa_exception_fp_ieee_inexact 0
		.amdhsa_exception_int_div_zero 0
	.end_amdhsa_kernel
	.section	.text._ZN7rocprim17ROCPRIM_400000_NS6detail17trampoline_kernelINS0_14default_configENS1_27scan_by_key_config_selectorIijEEZZNS1_16scan_by_key_implILNS1_25lookback_scan_determinismE0ELb1ES3_N6thrust23THRUST_200600_302600_NS6detail15normal_iteratorINS9_10device_ptrIiEEEENSB_INSC_IjEEEESG_jNS9_4plusIvEENS9_8equal_toIvEEjEE10hipError_tPvRmT2_T3_T4_T5_mT6_T7_P12ihipStream_tbENKUlT_T0_E_clISt17integral_constantIbLb0EES11_EEDaSW_SX_EUlSW_E_NS1_11comp_targetILNS1_3genE3ELNS1_11target_archE908ELNS1_3gpuE7ELNS1_3repE0EEENS1_30default_config_static_selectorELNS0_4arch9wavefront6targetE0EEEvT1_,"axG",@progbits,_ZN7rocprim17ROCPRIM_400000_NS6detail17trampoline_kernelINS0_14default_configENS1_27scan_by_key_config_selectorIijEEZZNS1_16scan_by_key_implILNS1_25lookback_scan_determinismE0ELb1ES3_N6thrust23THRUST_200600_302600_NS6detail15normal_iteratorINS9_10device_ptrIiEEEENSB_INSC_IjEEEESG_jNS9_4plusIvEENS9_8equal_toIvEEjEE10hipError_tPvRmT2_T3_T4_T5_mT6_T7_P12ihipStream_tbENKUlT_T0_E_clISt17integral_constantIbLb0EES11_EEDaSW_SX_EUlSW_E_NS1_11comp_targetILNS1_3genE3ELNS1_11target_archE908ELNS1_3gpuE7ELNS1_3repE0EEENS1_30default_config_static_selectorELNS0_4arch9wavefront6targetE0EEEvT1_,comdat
.Lfunc_end1503:
	.size	_ZN7rocprim17ROCPRIM_400000_NS6detail17trampoline_kernelINS0_14default_configENS1_27scan_by_key_config_selectorIijEEZZNS1_16scan_by_key_implILNS1_25lookback_scan_determinismE0ELb1ES3_N6thrust23THRUST_200600_302600_NS6detail15normal_iteratorINS9_10device_ptrIiEEEENSB_INSC_IjEEEESG_jNS9_4plusIvEENS9_8equal_toIvEEjEE10hipError_tPvRmT2_T3_T4_T5_mT6_T7_P12ihipStream_tbENKUlT_T0_E_clISt17integral_constantIbLb0EES11_EEDaSW_SX_EUlSW_E_NS1_11comp_targetILNS1_3genE3ELNS1_11target_archE908ELNS1_3gpuE7ELNS1_3repE0EEENS1_30default_config_static_selectorELNS0_4arch9wavefront6targetE0EEEvT1_, .Lfunc_end1503-_ZN7rocprim17ROCPRIM_400000_NS6detail17trampoline_kernelINS0_14default_configENS1_27scan_by_key_config_selectorIijEEZZNS1_16scan_by_key_implILNS1_25lookback_scan_determinismE0ELb1ES3_N6thrust23THRUST_200600_302600_NS6detail15normal_iteratorINS9_10device_ptrIiEEEENSB_INSC_IjEEEESG_jNS9_4plusIvEENS9_8equal_toIvEEjEE10hipError_tPvRmT2_T3_T4_T5_mT6_T7_P12ihipStream_tbENKUlT_T0_E_clISt17integral_constantIbLb0EES11_EEDaSW_SX_EUlSW_E_NS1_11comp_targetILNS1_3genE3ELNS1_11target_archE908ELNS1_3gpuE7ELNS1_3repE0EEENS1_30default_config_static_selectorELNS0_4arch9wavefront6targetE0EEEvT1_
                                        ; -- End function
	.set _ZN7rocprim17ROCPRIM_400000_NS6detail17trampoline_kernelINS0_14default_configENS1_27scan_by_key_config_selectorIijEEZZNS1_16scan_by_key_implILNS1_25lookback_scan_determinismE0ELb1ES3_N6thrust23THRUST_200600_302600_NS6detail15normal_iteratorINS9_10device_ptrIiEEEENSB_INSC_IjEEEESG_jNS9_4plusIvEENS9_8equal_toIvEEjEE10hipError_tPvRmT2_T3_T4_T5_mT6_T7_P12ihipStream_tbENKUlT_T0_E_clISt17integral_constantIbLb0EES11_EEDaSW_SX_EUlSW_E_NS1_11comp_targetILNS1_3genE3ELNS1_11target_archE908ELNS1_3gpuE7ELNS1_3repE0EEENS1_30default_config_static_selectorELNS0_4arch9wavefront6targetE0EEEvT1_.num_vgpr, 0
	.set _ZN7rocprim17ROCPRIM_400000_NS6detail17trampoline_kernelINS0_14default_configENS1_27scan_by_key_config_selectorIijEEZZNS1_16scan_by_key_implILNS1_25lookback_scan_determinismE0ELb1ES3_N6thrust23THRUST_200600_302600_NS6detail15normal_iteratorINS9_10device_ptrIiEEEENSB_INSC_IjEEEESG_jNS9_4plusIvEENS9_8equal_toIvEEjEE10hipError_tPvRmT2_T3_T4_T5_mT6_T7_P12ihipStream_tbENKUlT_T0_E_clISt17integral_constantIbLb0EES11_EEDaSW_SX_EUlSW_E_NS1_11comp_targetILNS1_3genE3ELNS1_11target_archE908ELNS1_3gpuE7ELNS1_3repE0EEENS1_30default_config_static_selectorELNS0_4arch9wavefront6targetE0EEEvT1_.num_agpr, 0
	.set _ZN7rocprim17ROCPRIM_400000_NS6detail17trampoline_kernelINS0_14default_configENS1_27scan_by_key_config_selectorIijEEZZNS1_16scan_by_key_implILNS1_25lookback_scan_determinismE0ELb1ES3_N6thrust23THRUST_200600_302600_NS6detail15normal_iteratorINS9_10device_ptrIiEEEENSB_INSC_IjEEEESG_jNS9_4plusIvEENS9_8equal_toIvEEjEE10hipError_tPvRmT2_T3_T4_T5_mT6_T7_P12ihipStream_tbENKUlT_T0_E_clISt17integral_constantIbLb0EES11_EEDaSW_SX_EUlSW_E_NS1_11comp_targetILNS1_3genE3ELNS1_11target_archE908ELNS1_3gpuE7ELNS1_3repE0EEENS1_30default_config_static_selectorELNS0_4arch9wavefront6targetE0EEEvT1_.numbered_sgpr, 0
	.set _ZN7rocprim17ROCPRIM_400000_NS6detail17trampoline_kernelINS0_14default_configENS1_27scan_by_key_config_selectorIijEEZZNS1_16scan_by_key_implILNS1_25lookback_scan_determinismE0ELb1ES3_N6thrust23THRUST_200600_302600_NS6detail15normal_iteratorINS9_10device_ptrIiEEEENSB_INSC_IjEEEESG_jNS9_4plusIvEENS9_8equal_toIvEEjEE10hipError_tPvRmT2_T3_T4_T5_mT6_T7_P12ihipStream_tbENKUlT_T0_E_clISt17integral_constantIbLb0EES11_EEDaSW_SX_EUlSW_E_NS1_11comp_targetILNS1_3genE3ELNS1_11target_archE908ELNS1_3gpuE7ELNS1_3repE0EEENS1_30default_config_static_selectorELNS0_4arch9wavefront6targetE0EEEvT1_.num_named_barrier, 0
	.set _ZN7rocprim17ROCPRIM_400000_NS6detail17trampoline_kernelINS0_14default_configENS1_27scan_by_key_config_selectorIijEEZZNS1_16scan_by_key_implILNS1_25lookback_scan_determinismE0ELb1ES3_N6thrust23THRUST_200600_302600_NS6detail15normal_iteratorINS9_10device_ptrIiEEEENSB_INSC_IjEEEESG_jNS9_4plusIvEENS9_8equal_toIvEEjEE10hipError_tPvRmT2_T3_T4_T5_mT6_T7_P12ihipStream_tbENKUlT_T0_E_clISt17integral_constantIbLb0EES11_EEDaSW_SX_EUlSW_E_NS1_11comp_targetILNS1_3genE3ELNS1_11target_archE908ELNS1_3gpuE7ELNS1_3repE0EEENS1_30default_config_static_selectorELNS0_4arch9wavefront6targetE0EEEvT1_.private_seg_size, 0
	.set _ZN7rocprim17ROCPRIM_400000_NS6detail17trampoline_kernelINS0_14default_configENS1_27scan_by_key_config_selectorIijEEZZNS1_16scan_by_key_implILNS1_25lookback_scan_determinismE0ELb1ES3_N6thrust23THRUST_200600_302600_NS6detail15normal_iteratorINS9_10device_ptrIiEEEENSB_INSC_IjEEEESG_jNS9_4plusIvEENS9_8equal_toIvEEjEE10hipError_tPvRmT2_T3_T4_T5_mT6_T7_P12ihipStream_tbENKUlT_T0_E_clISt17integral_constantIbLb0EES11_EEDaSW_SX_EUlSW_E_NS1_11comp_targetILNS1_3genE3ELNS1_11target_archE908ELNS1_3gpuE7ELNS1_3repE0EEENS1_30default_config_static_selectorELNS0_4arch9wavefront6targetE0EEEvT1_.uses_vcc, 0
	.set _ZN7rocprim17ROCPRIM_400000_NS6detail17trampoline_kernelINS0_14default_configENS1_27scan_by_key_config_selectorIijEEZZNS1_16scan_by_key_implILNS1_25lookback_scan_determinismE0ELb1ES3_N6thrust23THRUST_200600_302600_NS6detail15normal_iteratorINS9_10device_ptrIiEEEENSB_INSC_IjEEEESG_jNS9_4plusIvEENS9_8equal_toIvEEjEE10hipError_tPvRmT2_T3_T4_T5_mT6_T7_P12ihipStream_tbENKUlT_T0_E_clISt17integral_constantIbLb0EES11_EEDaSW_SX_EUlSW_E_NS1_11comp_targetILNS1_3genE3ELNS1_11target_archE908ELNS1_3gpuE7ELNS1_3repE0EEENS1_30default_config_static_selectorELNS0_4arch9wavefront6targetE0EEEvT1_.uses_flat_scratch, 0
	.set _ZN7rocprim17ROCPRIM_400000_NS6detail17trampoline_kernelINS0_14default_configENS1_27scan_by_key_config_selectorIijEEZZNS1_16scan_by_key_implILNS1_25lookback_scan_determinismE0ELb1ES3_N6thrust23THRUST_200600_302600_NS6detail15normal_iteratorINS9_10device_ptrIiEEEENSB_INSC_IjEEEESG_jNS9_4plusIvEENS9_8equal_toIvEEjEE10hipError_tPvRmT2_T3_T4_T5_mT6_T7_P12ihipStream_tbENKUlT_T0_E_clISt17integral_constantIbLb0EES11_EEDaSW_SX_EUlSW_E_NS1_11comp_targetILNS1_3genE3ELNS1_11target_archE908ELNS1_3gpuE7ELNS1_3repE0EEENS1_30default_config_static_selectorELNS0_4arch9wavefront6targetE0EEEvT1_.has_dyn_sized_stack, 0
	.set _ZN7rocprim17ROCPRIM_400000_NS6detail17trampoline_kernelINS0_14default_configENS1_27scan_by_key_config_selectorIijEEZZNS1_16scan_by_key_implILNS1_25lookback_scan_determinismE0ELb1ES3_N6thrust23THRUST_200600_302600_NS6detail15normal_iteratorINS9_10device_ptrIiEEEENSB_INSC_IjEEEESG_jNS9_4plusIvEENS9_8equal_toIvEEjEE10hipError_tPvRmT2_T3_T4_T5_mT6_T7_P12ihipStream_tbENKUlT_T0_E_clISt17integral_constantIbLb0EES11_EEDaSW_SX_EUlSW_E_NS1_11comp_targetILNS1_3genE3ELNS1_11target_archE908ELNS1_3gpuE7ELNS1_3repE0EEENS1_30default_config_static_selectorELNS0_4arch9wavefront6targetE0EEEvT1_.has_recursion, 0
	.set _ZN7rocprim17ROCPRIM_400000_NS6detail17trampoline_kernelINS0_14default_configENS1_27scan_by_key_config_selectorIijEEZZNS1_16scan_by_key_implILNS1_25lookback_scan_determinismE0ELb1ES3_N6thrust23THRUST_200600_302600_NS6detail15normal_iteratorINS9_10device_ptrIiEEEENSB_INSC_IjEEEESG_jNS9_4plusIvEENS9_8equal_toIvEEjEE10hipError_tPvRmT2_T3_T4_T5_mT6_T7_P12ihipStream_tbENKUlT_T0_E_clISt17integral_constantIbLb0EES11_EEDaSW_SX_EUlSW_E_NS1_11comp_targetILNS1_3genE3ELNS1_11target_archE908ELNS1_3gpuE7ELNS1_3repE0EEENS1_30default_config_static_selectorELNS0_4arch9wavefront6targetE0EEEvT1_.has_indirect_call, 0
	.section	.AMDGPU.csdata,"",@progbits
; Kernel info:
; codeLenInByte = 0
; TotalNumSgprs: 0
; NumVgprs: 0
; ScratchSize: 0
; MemoryBound: 0
; FloatMode: 240
; IeeeMode: 1
; LDSByteSize: 0 bytes/workgroup (compile time only)
; SGPRBlocks: 0
; VGPRBlocks: 0
; NumSGPRsForWavesPerEU: 1
; NumVGPRsForWavesPerEU: 1
; NamedBarCnt: 0
; Occupancy: 16
; WaveLimiterHint : 0
; COMPUTE_PGM_RSRC2:SCRATCH_EN: 0
; COMPUTE_PGM_RSRC2:USER_SGPR: 2
; COMPUTE_PGM_RSRC2:TRAP_HANDLER: 0
; COMPUTE_PGM_RSRC2:TGID_X_EN: 1
; COMPUTE_PGM_RSRC2:TGID_Y_EN: 0
; COMPUTE_PGM_RSRC2:TGID_Z_EN: 0
; COMPUTE_PGM_RSRC2:TIDIG_COMP_CNT: 0
	.section	.text._ZN7rocprim17ROCPRIM_400000_NS6detail17trampoline_kernelINS0_14default_configENS1_27scan_by_key_config_selectorIijEEZZNS1_16scan_by_key_implILNS1_25lookback_scan_determinismE0ELb1ES3_N6thrust23THRUST_200600_302600_NS6detail15normal_iteratorINS9_10device_ptrIiEEEENSB_INSC_IjEEEESG_jNS9_4plusIvEENS9_8equal_toIvEEjEE10hipError_tPvRmT2_T3_T4_T5_mT6_T7_P12ihipStream_tbENKUlT_T0_E_clISt17integral_constantIbLb0EES11_EEDaSW_SX_EUlSW_E_NS1_11comp_targetILNS1_3genE2ELNS1_11target_archE906ELNS1_3gpuE6ELNS1_3repE0EEENS1_30default_config_static_selectorELNS0_4arch9wavefront6targetE0EEEvT1_,"axG",@progbits,_ZN7rocprim17ROCPRIM_400000_NS6detail17trampoline_kernelINS0_14default_configENS1_27scan_by_key_config_selectorIijEEZZNS1_16scan_by_key_implILNS1_25lookback_scan_determinismE0ELb1ES3_N6thrust23THRUST_200600_302600_NS6detail15normal_iteratorINS9_10device_ptrIiEEEENSB_INSC_IjEEEESG_jNS9_4plusIvEENS9_8equal_toIvEEjEE10hipError_tPvRmT2_T3_T4_T5_mT6_T7_P12ihipStream_tbENKUlT_T0_E_clISt17integral_constantIbLb0EES11_EEDaSW_SX_EUlSW_E_NS1_11comp_targetILNS1_3genE2ELNS1_11target_archE906ELNS1_3gpuE6ELNS1_3repE0EEENS1_30default_config_static_selectorELNS0_4arch9wavefront6targetE0EEEvT1_,comdat
	.protected	_ZN7rocprim17ROCPRIM_400000_NS6detail17trampoline_kernelINS0_14default_configENS1_27scan_by_key_config_selectorIijEEZZNS1_16scan_by_key_implILNS1_25lookback_scan_determinismE0ELb1ES3_N6thrust23THRUST_200600_302600_NS6detail15normal_iteratorINS9_10device_ptrIiEEEENSB_INSC_IjEEEESG_jNS9_4plusIvEENS9_8equal_toIvEEjEE10hipError_tPvRmT2_T3_T4_T5_mT6_T7_P12ihipStream_tbENKUlT_T0_E_clISt17integral_constantIbLb0EES11_EEDaSW_SX_EUlSW_E_NS1_11comp_targetILNS1_3genE2ELNS1_11target_archE906ELNS1_3gpuE6ELNS1_3repE0EEENS1_30default_config_static_selectorELNS0_4arch9wavefront6targetE0EEEvT1_ ; -- Begin function _ZN7rocprim17ROCPRIM_400000_NS6detail17trampoline_kernelINS0_14default_configENS1_27scan_by_key_config_selectorIijEEZZNS1_16scan_by_key_implILNS1_25lookback_scan_determinismE0ELb1ES3_N6thrust23THRUST_200600_302600_NS6detail15normal_iteratorINS9_10device_ptrIiEEEENSB_INSC_IjEEEESG_jNS9_4plusIvEENS9_8equal_toIvEEjEE10hipError_tPvRmT2_T3_T4_T5_mT6_T7_P12ihipStream_tbENKUlT_T0_E_clISt17integral_constantIbLb0EES11_EEDaSW_SX_EUlSW_E_NS1_11comp_targetILNS1_3genE2ELNS1_11target_archE906ELNS1_3gpuE6ELNS1_3repE0EEENS1_30default_config_static_selectorELNS0_4arch9wavefront6targetE0EEEvT1_
	.globl	_ZN7rocprim17ROCPRIM_400000_NS6detail17trampoline_kernelINS0_14default_configENS1_27scan_by_key_config_selectorIijEEZZNS1_16scan_by_key_implILNS1_25lookback_scan_determinismE0ELb1ES3_N6thrust23THRUST_200600_302600_NS6detail15normal_iteratorINS9_10device_ptrIiEEEENSB_INSC_IjEEEESG_jNS9_4plusIvEENS9_8equal_toIvEEjEE10hipError_tPvRmT2_T3_T4_T5_mT6_T7_P12ihipStream_tbENKUlT_T0_E_clISt17integral_constantIbLb0EES11_EEDaSW_SX_EUlSW_E_NS1_11comp_targetILNS1_3genE2ELNS1_11target_archE906ELNS1_3gpuE6ELNS1_3repE0EEENS1_30default_config_static_selectorELNS0_4arch9wavefront6targetE0EEEvT1_
	.p2align	8
	.type	_ZN7rocprim17ROCPRIM_400000_NS6detail17trampoline_kernelINS0_14default_configENS1_27scan_by_key_config_selectorIijEEZZNS1_16scan_by_key_implILNS1_25lookback_scan_determinismE0ELb1ES3_N6thrust23THRUST_200600_302600_NS6detail15normal_iteratorINS9_10device_ptrIiEEEENSB_INSC_IjEEEESG_jNS9_4plusIvEENS9_8equal_toIvEEjEE10hipError_tPvRmT2_T3_T4_T5_mT6_T7_P12ihipStream_tbENKUlT_T0_E_clISt17integral_constantIbLb0EES11_EEDaSW_SX_EUlSW_E_NS1_11comp_targetILNS1_3genE2ELNS1_11target_archE906ELNS1_3gpuE6ELNS1_3repE0EEENS1_30default_config_static_selectorELNS0_4arch9wavefront6targetE0EEEvT1_,@function
_ZN7rocprim17ROCPRIM_400000_NS6detail17trampoline_kernelINS0_14default_configENS1_27scan_by_key_config_selectorIijEEZZNS1_16scan_by_key_implILNS1_25lookback_scan_determinismE0ELb1ES3_N6thrust23THRUST_200600_302600_NS6detail15normal_iteratorINS9_10device_ptrIiEEEENSB_INSC_IjEEEESG_jNS9_4plusIvEENS9_8equal_toIvEEjEE10hipError_tPvRmT2_T3_T4_T5_mT6_T7_P12ihipStream_tbENKUlT_T0_E_clISt17integral_constantIbLb0EES11_EEDaSW_SX_EUlSW_E_NS1_11comp_targetILNS1_3genE2ELNS1_11target_archE906ELNS1_3gpuE6ELNS1_3repE0EEENS1_30default_config_static_selectorELNS0_4arch9wavefront6targetE0EEEvT1_: ; @_ZN7rocprim17ROCPRIM_400000_NS6detail17trampoline_kernelINS0_14default_configENS1_27scan_by_key_config_selectorIijEEZZNS1_16scan_by_key_implILNS1_25lookback_scan_determinismE0ELb1ES3_N6thrust23THRUST_200600_302600_NS6detail15normal_iteratorINS9_10device_ptrIiEEEENSB_INSC_IjEEEESG_jNS9_4plusIvEENS9_8equal_toIvEEjEE10hipError_tPvRmT2_T3_T4_T5_mT6_T7_P12ihipStream_tbENKUlT_T0_E_clISt17integral_constantIbLb0EES11_EEDaSW_SX_EUlSW_E_NS1_11comp_targetILNS1_3genE2ELNS1_11target_archE906ELNS1_3gpuE6ELNS1_3repE0EEENS1_30default_config_static_selectorELNS0_4arch9wavefront6targetE0EEEvT1_
; %bb.0:
	.section	.rodata,"a",@progbits
	.p2align	6, 0x0
	.amdhsa_kernel _ZN7rocprim17ROCPRIM_400000_NS6detail17trampoline_kernelINS0_14default_configENS1_27scan_by_key_config_selectorIijEEZZNS1_16scan_by_key_implILNS1_25lookback_scan_determinismE0ELb1ES3_N6thrust23THRUST_200600_302600_NS6detail15normal_iteratorINS9_10device_ptrIiEEEENSB_INSC_IjEEEESG_jNS9_4plusIvEENS9_8equal_toIvEEjEE10hipError_tPvRmT2_T3_T4_T5_mT6_T7_P12ihipStream_tbENKUlT_T0_E_clISt17integral_constantIbLb0EES11_EEDaSW_SX_EUlSW_E_NS1_11comp_targetILNS1_3genE2ELNS1_11target_archE906ELNS1_3gpuE6ELNS1_3repE0EEENS1_30default_config_static_selectorELNS0_4arch9wavefront6targetE0EEEvT1_
		.amdhsa_group_segment_fixed_size 0
		.amdhsa_private_segment_fixed_size 0
		.amdhsa_kernarg_size 112
		.amdhsa_user_sgpr_count 2
		.amdhsa_user_sgpr_dispatch_ptr 0
		.amdhsa_user_sgpr_queue_ptr 0
		.amdhsa_user_sgpr_kernarg_segment_ptr 1
		.amdhsa_user_sgpr_dispatch_id 0
		.amdhsa_user_sgpr_kernarg_preload_length 0
		.amdhsa_user_sgpr_kernarg_preload_offset 0
		.amdhsa_user_sgpr_private_segment_size 0
		.amdhsa_wavefront_size32 1
		.amdhsa_uses_dynamic_stack 0
		.amdhsa_enable_private_segment 0
		.amdhsa_system_sgpr_workgroup_id_x 1
		.amdhsa_system_sgpr_workgroup_id_y 0
		.amdhsa_system_sgpr_workgroup_id_z 0
		.amdhsa_system_sgpr_workgroup_info 0
		.amdhsa_system_vgpr_workitem_id 0
		.amdhsa_next_free_vgpr 1
		.amdhsa_next_free_sgpr 1
		.amdhsa_named_barrier_count 0
		.amdhsa_reserve_vcc 0
		.amdhsa_float_round_mode_32 0
		.amdhsa_float_round_mode_16_64 0
		.amdhsa_float_denorm_mode_32 3
		.amdhsa_float_denorm_mode_16_64 3
		.amdhsa_fp16_overflow 0
		.amdhsa_memory_ordered 1
		.amdhsa_forward_progress 1
		.amdhsa_inst_pref_size 0
		.amdhsa_round_robin_scheduling 0
		.amdhsa_exception_fp_ieee_invalid_op 0
		.amdhsa_exception_fp_denorm_src 0
		.amdhsa_exception_fp_ieee_div_zero 0
		.amdhsa_exception_fp_ieee_overflow 0
		.amdhsa_exception_fp_ieee_underflow 0
		.amdhsa_exception_fp_ieee_inexact 0
		.amdhsa_exception_int_div_zero 0
	.end_amdhsa_kernel
	.section	.text._ZN7rocprim17ROCPRIM_400000_NS6detail17trampoline_kernelINS0_14default_configENS1_27scan_by_key_config_selectorIijEEZZNS1_16scan_by_key_implILNS1_25lookback_scan_determinismE0ELb1ES3_N6thrust23THRUST_200600_302600_NS6detail15normal_iteratorINS9_10device_ptrIiEEEENSB_INSC_IjEEEESG_jNS9_4plusIvEENS9_8equal_toIvEEjEE10hipError_tPvRmT2_T3_T4_T5_mT6_T7_P12ihipStream_tbENKUlT_T0_E_clISt17integral_constantIbLb0EES11_EEDaSW_SX_EUlSW_E_NS1_11comp_targetILNS1_3genE2ELNS1_11target_archE906ELNS1_3gpuE6ELNS1_3repE0EEENS1_30default_config_static_selectorELNS0_4arch9wavefront6targetE0EEEvT1_,"axG",@progbits,_ZN7rocprim17ROCPRIM_400000_NS6detail17trampoline_kernelINS0_14default_configENS1_27scan_by_key_config_selectorIijEEZZNS1_16scan_by_key_implILNS1_25lookback_scan_determinismE0ELb1ES3_N6thrust23THRUST_200600_302600_NS6detail15normal_iteratorINS9_10device_ptrIiEEEENSB_INSC_IjEEEESG_jNS9_4plusIvEENS9_8equal_toIvEEjEE10hipError_tPvRmT2_T3_T4_T5_mT6_T7_P12ihipStream_tbENKUlT_T0_E_clISt17integral_constantIbLb0EES11_EEDaSW_SX_EUlSW_E_NS1_11comp_targetILNS1_3genE2ELNS1_11target_archE906ELNS1_3gpuE6ELNS1_3repE0EEENS1_30default_config_static_selectorELNS0_4arch9wavefront6targetE0EEEvT1_,comdat
.Lfunc_end1504:
	.size	_ZN7rocprim17ROCPRIM_400000_NS6detail17trampoline_kernelINS0_14default_configENS1_27scan_by_key_config_selectorIijEEZZNS1_16scan_by_key_implILNS1_25lookback_scan_determinismE0ELb1ES3_N6thrust23THRUST_200600_302600_NS6detail15normal_iteratorINS9_10device_ptrIiEEEENSB_INSC_IjEEEESG_jNS9_4plusIvEENS9_8equal_toIvEEjEE10hipError_tPvRmT2_T3_T4_T5_mT6_T7_P12ihipStream_tbENKUlT_T0_E_clISt17integral_constantIbLb0EES11_EEDaSW_SX_EUlSW_E_NS1_11comp_targetILNS1_3genE2ELNS1_11target_archE906ELNS1_3gpuE6ELNS1_3repE0EEENS1_30default_config_static_selectorELNS0_4arch9wavefront6targetE0EEEvT1_, .Lfunc_end1504-_ZN7rocprim17ROCPRIM_400000_NS6detail17trampoline_kernelINS0_14default_configENS1_27scan_by_key_config_selectorIijEEZZNS1_16scan_by_key_implILNS1_25lookback_scan_determinismE0ELb1ES3_N6thrust23THRUST_200600_302600_NS6detail15normal_iteratorINS9_10device_ptrIiEEEENSB_INSC_IjEEEESG_jNS9_4plusIvEENS9_8equal_toIvEEjEE10hipError_tPvRmT2_T3_T4_T5_mT6_T7_P12ihipStream_tbENKUlT_T0_E_clISt17integral_constantIbLb0EES11_EEDaSW_SX_EUlSW_E_NS1_11comp_targetILNS1_3genE2ELNS1_11target_archE906ELNS1_3gpuE6ELNS1_3repE0EEENS1_30default_config_static_selectorELNS0_4arch9wavefront6targetE0EEEvT1_
                                        ; -- End function
	.set _ZN7rocprim17ROCPRIM_400000_NS6detail17trampoline_kernelINS0_14default_configENS1_27scan_by_key_config_selectorIijEEZZNS1_16scan_by_key_implILNS1_25lookback_scan_determinismE0ELb1ES3_N6thrust23THRUST_200600_302600_NS6detail15normal_iteratorINS9_10device_ptrIiEEEENSB_INSC_IjEEEESG_jNS9_4plusIvEENS9_8equal_toIvEEjEE10hipError_tPvRmT2_T3_T4_T5_mT6_T7_P12ihipStream_tbENKUlT_T0_E_clISt17integral_constantIbLb0EES11_EEDaSW_SX_EUlSW_E_NS1_11comp_targetILNS1_3genE2ELNS1_11target_archE906ELNS1_3gpuE6ELNS1_3repE0EEENS1_30default_config_static_selectorELNS0_4arch9wavefront6targetE0EEEvT1_.num_vgpr, 0
	.set _ZN7rocprim17ROCPRIM_400000_NS6detail17trampoline_kernelINS0_14default_configENS1_27scan_by_key_config_selectorIijEEZZNS1_16scan_by_key_implILNS1_25lookback_scan_determinismE0ELb1ES3_N6thrust23THRUST_200600_302600_NS6detail15normal_iteratorINS9_10device_ptrIiEEEENSB_INSC_IjEEEESG_jNS9_4plusIvEENS9_8equal_toIvEEjEE10hipError_tPvRmT2_T3_T4_T5_mT6_T7_P12ihipStream_tbENKUlT_T0_E_clISt17integral_constantIbLb0EES11_EEDaSW_SX_EUlSW_E_NS1_11comp_targetILNS1_3genE2ELNS1_11target_archE906ELNS1_3gpuE6ELNS1_3repE0EEENS1_30default_config_static_selectorELNS0_4arch9wavefront6targetE0EEEvT1_.num_agpr, 0
	.set _ZN7rocprim17ROCPRIM_400000_NS6detail17trampoline_kernelINS0_14default_configENS1_27scan_by_key_config_selectorIijEEZZNS1_16scan_by_key_implILNS1_25lookback_scan_determinismE0ELb1ES3_N6thrust23THRUST_200600_302600_NS6detail15normal_iteratorINS9_10device_ptrIiEEEENSB_INSC_IjEEEESG_jNS9_4plusIvEENS9_8equal_toIvEEjEE10hipError_tPvRmT2_T3_T4_T5_mT6_T7_P12ihipStream_tbENKUlT_T0_E_clISt17integral_constantIbLb0EES11_EEDaSW_SX_EUlSW_E_NS1_11comp_targetILNS1_3genE2ELNS1_11target_archE906ELNS1_3gpuE6ELNS1_3repE0EEENS1_30default_config_static_selectorELNS0_4arch9wavefront6targetE0EEEvT1_.numbered_sgpr, 0
	.set _ZN7rocprim17ROCPRIM_400000_NS6detail17trampoline_kernelINS0_14default_configENS1_27scan_by_key_config_selectorIijEEZZNS1_16scan_by_key_implILNS1_25lookback_scan_determinismE0ELb1ES3_N6thrust23THRUST_200600_302600_NS6detail15normal_iteratorINS9_10device_ptrIiEEEENSB_INSC_IjEEEESG_jNS9_4plusIvEENS9_8equal_toIvEEjEE10hipError_tPvRmT2_T3_T4_T5_mT6_T7_P12ihipStream_tbENKUlT_T0_E_clISt17integral_constantIbLb0EES11_EEDaSW_SX_EUlSW_E_NS1_11comp_targetILNS1_3genE2ELNS1_11target_archE906ELNS1_3gpuE6ELNS1_3repE0EEENS1_30default_config_static_selectorELNS0_4arch9wavefront6targetE0EEEvT1_.num_named_barrier, 0
	.set _ZN7rocprim17ROCPRIM_400000_NS6detail17trampoline_kernelINS0_14default_configENS1_27scan_by_key_config_selectorIijEEZZNS1_16scan_by_key_implILNS1_25lookback_scan_determinismE0ELb1ES3_N6thrust23THRUST_200600_302600_NS6detail15normal_iteratorINS9_10device_ptrIiEEEENSB_INSC_IjEEEESG_jNS9_4plusIvEENS9_8equal_toIvEEjEE10hipError_tPvRmT2_T3_T4_T5_mT6_T7_P12ihipStream_tbENKUlT_T0_E_clISt17integral_constantIbLb0EES11_EEDaSW_SX_EUlSW_E_NS1_11comp_targetILNS1_3genE2ELNS1_11target_archE906ELNS1_3gpuE6ELNS1_3repE0EEENS1_30default_config_static_selectorELNS0_4arch9wavefront6targetE0EEEvT1_.private_seg_size, 0
	.set _ZN7rocprim17ROCPRIM_400000_NS6detail17trampoline_kernelINS0_14default_configENS1_27scan_by_key_config_selectorIijEEZZNS1_16scan_by_key_implILNS1_25lookback_scan_determinismE0ELb1ES3_N6thrust23THRUST_200600_302600_NS6detail15normal_iteratorINS9_10device_ptrIiEEEENSB_INSC_IjEEEESG_jNS9_4plusIvEENS9_8equal_toIvEEjEE10hipError_tPvRmT2_T3_T4_T5_mT6_T7_P12ihipStream_tbENKUlT_T0_E_clISt17integral_constantIbLb0EES11_EEDaSW_SX_EUlSW_E_NS1_11comp_targetILNS1_3genE2ELNS1_11target_archE906ELNS1_3gpuE6ELNS1_3repE0EEENS1_30default_config_static_selectorELNS0_4arch9wavefront6targetE0EEEvT1_.uses_vcc, 0
	.set _ZN7rocprim17ROCPRIM_400000_NS6detail17trampoline_kernelINS0_14default_configENS1_27scan_by_key_config_selectorIijEEZZNS1_16scan_by_key_implILNS1_25lookback_scan_determinismE0ELb1ES3_N6thrust23THRUST_200600_302600_NS6detail15normal_iteratorINS9_10device_ptrIiEEEENSB_INSC_IjEEEESG_jNS9_4plusIvEENS9_8equal_toIvEEjEE10hipError_tPvRmT2_T3_T4_T5_mT6_T7_P12ihipStream_tbENKUlT_T0_E_clISt17integral_constantIbLb0EES11_EEDaSW_SX_EUlSW_E_NS1_11comp_targetILNS1_3genE2ELNS1_11target_archE906ELNS1_3gpuE6ELNS1_3repE0EEENS1_30default_config_static_selectorELNS0_4arch9wavefront6targetE0EEEvT1_.uses_flat_scratch, 0
	.set _ZN7rocprim17ROCPRIM_400000_NS6detail17trampoline_kernelINS0_14default_configENS1_27scan_by_key_config_selectorIijEEZZNS1_16scan_by_key_implILNS1_25lookback_scan_determinismE0ELb1ES3_N6thrust23THRUST_200600_302600_NS6detail15normal_iteratorINS9_10device_ptrIiEEEENSB_INSC_IjEEEESG_jNS9_4plusIvEENS9_8equal_toIvEEjEE10hipError_tPvRmT2_T3_T4_T5_mT6_T7_P12ihipStream_tbENKUlT_T0_E_clISt17integral_constantIbLb0EES11_EEDaSW_SX_EUlSW_E_NS1_11comp_targetILNS1_3genE2ELNS1_11target_archE906ELNS1_3gpuE6ELNS1_3repE0EEENS1_30default_config_static_selectorELNS0_4arch9wavefront6targetE0EEEvT1_.has_dyn_sized_stack, 0
	.set _ZN7rocprim17ROCPRIM_400000_NS6detail17trampoline_kernelINS0_14default_configENS1_27scan_by_key_config_selectorIijEEZZNS1_16scan_by_key_implILNS1_25lookback_scan_determinismE0ELb1ES3_N6thrust23THRUST_200600_302600_NS6detail15normal_iteratorINS9_10device_ptrIiEEEENSB_INSC_IjEEEESG_jNS9_4plusIvEENS9_8equal_toIvEEjEE10hipError_tPvRmT2_T3_T4_T5_mT6_T7_P12ihipStream_tbENKUlT_T0_E_clISt17integral_constantIbLb0EES11_EEDaSW_SX_EUlSW_E_NS1_11comp_targetILNS1_3genE2ELNS1_11target_archE906ELNS1_3gpuE6ELNS1_3repE0EEENS1_30default_config_static_selectorELNS0_4arch9wavefront6targetE0EEEvT1_.has_recursion, 0
	.set _ZN7rocprim17ROCPRIM_400000_NS6detail17trampoline_kernelINS0_14default_configENS1_27scan_by_key_config_selectorIijEEZZNS1_16scan_by_key_implILNS1_25lookback_scan_determinismE0ELb1ES3_N6thrust23THRUST_200600_302600_NS6detail15normal_iteratorINS9_10device_ptrIiEEEENSB_INSC_IjEEEESG_jNS9_4plusIvEENS9_8equal_toIvEEjEE10hipError_tPvRmT2_T3_T4_T5_mT6_T7_P12ihipStream_tbENKUlT_T0_E_clISt17integral_constantIbLb0EES11_EEDaSW_SX_EUlSW_E_NS1_11comp_targetILNS1_3genE2ELNS1_11target_archE906ELNS1_3gpuE6ELNS1_3repE0EEENS1_30default_config_static_selectorELNS0_4arch9wavefront6targetE0EEEvT1_.has_indirect_call, 0
	.section	.AMDGPU.csdata,"",@progbits
; Kernel info:
; codeLenInByte = 0
; TotalNumSgprs: 0
; NumVgprs: 0
; ScratchSize: 0
; MemoryBound: 0
; FloatMode: 240
; IeeeMode: 1
; LDSByteSize: 0 bytes/workgroup (compile time only)
; SGPRBlocks: 0
; VGPRBlocks: 0
; NumSGPRsForWavesPerEU: 1
; NumVGPRsForWavesPerEU: 1
; NamedBarCnt: 0
; Occupancy: 16
; WaveLimiterHint : 0
; COMPUTE_PGM_RSRC2:SCRATCH_EN: 0
; COMPUTE_PGM_RSRC2:USER_SGPR: 2
; COMPUTE_PGM_RSRC2:TRAP_HANDLER: 0
; COMPUTE_PGM_RSRC2:TGID_X_EN: 1
; COMPUTE_PGM_RSRC2:TGID_Y_EN: 0
; COMPUTE_PGM_RSRC2:TGID_Z_EN: 0
; COMPUTE_PGM_RSRC2:TIDIG_COMP_CNT: 0
	.section	.text._ZN7rocprim17ROCPRIM_400000_NS6detail17trampoline_kernelINS0_14default_configENS1_27scan_by_key_config_selectorIijEEZZNS1_16scan_by_key_implILNS1_25lookback_scan_determinismE0ELb1ES3_N6thrust23THRUST_200600_302600_NS6detail15normal_iteratorINS9_10device_ptrIiEEEENSB_INSC_IjEEEESG_jNS9_4plusIvEENS9_8equal_toIvEEjEE10hipError_tPvRmT2_T3_T4_T5_mT6_T7_P12ihipStream_tbENKUlT_T0_E_clISt17integral_constantIbLb0EES11_EEDaSW_SX_EUlSW_E_NS1_11comp_targetILNS1_3genE10ELNS1_11target_archE1200ELNS1_3gpuE4ELNS1_3repE0EEENS1_30default_config_static_selectorELNS0_4arch9wavefront6targetE0EEEvT1_,"axG",@progbits,_ZN7rocprim17ROCPRIM_400000_NS6detail17trampoline_kernelINS0_14default_configENS1_27scan_by_key_config_selectorIijEEZZNS1_16scan_by_key_implILNS1_25lookback_scan_determinismE0ELb1ES3_N6thrust23THRUST_200600_302600_NS6detail15normal_iteratorINS9_10device_ptrIiEEEENSB_INSC_IjEEEESG_jNS9_4plusIvEENS9_8equal_toIvEEjEE10hipError_tPvRmT2_T3_T4_T5_mT6_T7_P12ihipStream_tbENKUlT_T0_E_clISt17integral_constantIbLb0EES11_EEDaSW_SX_EUlSW_E_NS1_11comp_targetILNS1_3genE10ELNS1_11target_archE1200ELNS1_3gpuE4ELNS1_3repE0EEENS1_30default_config_static_selectorELNS0_4arch9wavefront6targetE0EEEvT1_,comdat
	.protected	_ZN7rocprim17ROCPRIM_400000_NS6detail17trampoline_kernelINS0_14default_configENS1_27scan_by_key_config_selectorIijEEZZNS1_16scan_by_key_implILNS1_25lookback_scan_determinismE0ELb1ES3_N6thrust23THRUST_200600_302600_NS6detail15normal_iteratorINS9_10device_ptrIiEEEENSB_INSC_IjEEEESG_jNS9_4plusIvEENS9_8equal_toIvEEjEE10hipError_tPvRmT2_T3_T4_T5_mT6_T7_P12ihipStream_tbENKUlT_T0_E_clISt17integral_constantIbLb0EES11_EEDaSW_SX_EUlSW_E_NS1_11comp_targetILNS1_3genE10ELNS1_11target_archE1200ELNS1_3gpuE4ELNS1_3repE0EEENS1_30default_config_static_selectorELNS0_4arch9wavefront6targetE0EEEvT1_ ; -- Begin function _ZN7rocprim17ROCPRIM_400000_NS6detail17trampoline_kernelINS0_14default_configENS1_27scan_by_key_config_selectorIijEEZZNS1_16scan_by_key_implILNS1_25lookback_scan_determinismE0ELb1ES3_N6thrust23THRUST_200600_302600_NS6detail15normal_iteratorINS9_10device_ptrIiEEEENSB_INSC_IjEEEESG_jNS9_4plusIvEENS9_8equal_toIvEEjEE10hipError_tPvRmT2_T3_T4_T5_mT6_T7_P12ihipStream_tbENKUlT_T0_E_clISt17integral_constantIbLb0EES11_EEDaSW_SX_EUlSW_E_NS1_11comp_targetILNS1_3genE10ELNS1_11target_archE1200ELNS1_3gpuE4ELNS1_3repE0EEENS1_30default_config_static_selectorELNS0_4arch9wavefront6targetE0EEEvT1_
	.globl	_ZN7rocprim17ROCPRIM_400000_NS6detail17trampoline_kernelINS0_14default_configENS1_27scan_by_key_config_selectorIijEEZZNS1_16scan_by_key_implILNS1_25lookback_scan_determinismE0ELb1ES3_N6thrust23THRUST_200600_302600_NS6detail15normal_iteratorINS9_10device_ptrIiEEEENSB_INSC_IjEEEESG_jNS9_4plusIvEENS9_8equal_toIvEEjEE10hipError_tPvRmT2_T3_T4_T5_mT6_T7_P12ihipStream_tbENKUlT_T0_E_clISt17integral_constantIbLb0EES11_EEDaSW_SX_EUlSW_E_NS1_11comp_targetILNS1_3genE10ELNS1_11target_archE1200ELNS1_3gpuE4ELNS1_3repE0EEENS1_30default_config_static_selectorELNS0_4arch9wavefront6targetE0EEEvT1_
	.p2align	8
	.type	_ZN7rocprim17ROCPRIM_400000_NS6detail17trampoline_kernelINS0_14default_configENS1_27scan_by_key_config_selectorIijEEZZNS1_16scan_by_key_implILNS1_25lookback_scan_determinismE0ELb1ES3_N6thrust23THRUST_200600_302600_NS6detail15normal_iteratorINS9_10device_ptrIiEEEENSB_INSC_IjEEEESG_jNS9_4plusIvEENS9_8equal_toIvEEjEE10hipError_tPvRmT2_T3_T4_T5_mT6_T7_P12ihipStream_tbENKUlT_T0_E_clISt17integral_constantIbLb0EES11_EEDaSW_SX_EUlSW_E_NS1_11comp_targetILNS1_3genE10ELNS1_11target_archE1200ELNS1_3gpuE4ELNS1_3repE0EEENS1_30default_config_static_selectorELNS0_4arch9wavefront6targetE0EEEvT1_,@function
_ZN7rocprim17ROCPRIM_400000_NS6detail17trampoline_kernelINS0_14default_configENS1_27scan_by_key_config_selectorIijEEZZNS1_16scan_by_key_implILNS1_25lookback_scan_determinismE0ELb1ES3_N6thrust23THRUST_200600_302600_NS6detail15normal_iteratorINS9_10device_ptrIiEEEENSB_INSC_IjEEEESG_jNS9_4plusIvEENS9_8equal_toIvEEjEE10hipError_tPvRmT2_T3_T4_T5_mT6_T7_P12ihipStream_tbENKUlT_T0_E_clISt17integral_constantIbLb0EES11_EEDaSW_SX_EUlSW_E_NS1_11comp_targetILNS1_3genE10ELNS1_11target_archE1200ELNS1_3gpuE4ELNS1_3repE0EEENS1_30default_config_static_selectorELNS0_4arch9wavefront6targetE0EEEvT1_: ; @_ZN7rocprim17ROCPRIM_400000_NS6detail17trampoline_kernelINS0_14default_configENS1_27scan_by_key_config_selectorIijEEZZNS1_16scan_by_key_implILNS1_25lookback_scan_determinismE0ELb1ES3_N6thrust23THRUST_200600_302600_NS6detail15normal_iteratorINS9_10device_ptrIiEEEENSB_INSC_IjEEEESG_jNS9_4plusIvEENS9_8equal_toIvEEjEE10hipError_tPvRmT2_T3_T4_T5_mT6_T7_P12ihipStream_tbENKUlT_T0_E_clISt17integral_constantIbLb0EES11_EEDaSW_SX_EUlSW_E_NS1_11comp_targetILNS1_3genE10ELNS1_11target_archE1200ELNS1_3gpuE4ELNS1_3repE0EEENS1_30default_config_static_selectorELNS0_4arch9wavefront6targetE0EEEvT1_
; %bb.0:
	.section	.rodata,"a",@progbits
	.p2align	6, 0x0
	.amdhsa_kernel _ZN7rocprim17ROCPRIM_400000_NS6detail17trampoline_kernelINS0_14default_configENS1_27scan_by_key_config_selectorIijEEZZNS1_16scan_by_key_implILNS1_25lookback_scan_determinismE0ELb1ES3_N6thrust23THRUST_200600_302600_NS6detail15normal_iteratorINS9_10device_ptrIiEEEENSB_INSC_IjEEEESG_jNS9_4plusIvEENS9_8equal_toIvEEjEE10hipError_tPvRmT2_T3_T4_T5_mT6_T7_P12ihipStream_tbENKUlT_T0_E_clISt17integral_constantIbLb0EES11_EEDaSW_SX_EUlSW_E_NS1_11comp_targetILNS1_3genE10ELNS1_11target_archE1200ELNS1_3gpuE4ELNS1_3repE0EEENS1_30default_config_static_selectorELNS0_4arch9wavefront6targetE0EEEvT1_
		.amdhsa_group_segment_fixed_size 0
		.amdhsa_private_segment_fixed_size 0
		.amdhsa_kernarg_size 112
		.amdhsa_user_sgpr_count 2
		.amdhsa_user_sgpr_dispatch_ptr 0
		.amdhsa_user_sgpr_queue_ptr 0
		.amdhsa_user_sgpr_kernarg_segment_ptr 1
		.amdhsa_user_sgpr_dispatch_id 0
		.amdhsa_user_sgpr_kernarg_preload_length 0
		.amdhsa_user_sgpr_kernarg_preload_offset 0
		.amdhsa_user_sgpr_private_segment_size 0
		.amdhsa_wavefront_size32 1
		.amdhsa_uses_dynamic_stack 0
		.amdhsa_enable_private_segment 0
		.amdhsa_system_sgpr_workgroup_id_x 1
		.amdhsa_system_sgpr_workgroup_id_y 0
		.amdhsa_system_sgpr_workgroup_id_z 0
		.amdhsa_system_sgpr_workgroup_info 0
		.amdhsa_system_vgpr_workitem_id 0
		.amdhsa_next_free_vgpr 1
		.amdhsa_next_free_sgpr 1
		.amdhsa_named_barrier_count 0
		.amdhsa_reserve_vcc 0
		.amdhsa_float_round_mode_32 0
		.amdhsa_float_round_mode_16_64 0
		.amdhsa_float_denorm_mode_32 3
		.amdhsa_float_denorm_mode_16_64 3
		.amdhsa_fp16_overflow 0
		.amdhsa_memory_ordered 1
		.amdhsa_forward_progress 1
		.amdhsa_inst_pref_size 0
		.amdhsa_round_robin_scheduling 0
		.amdhsa_exception_fp_ieee_invalid_op 0
		.amdhsa_exception_fp_denorm_src 0
		.amdhsa_exception_fp_ieee_div_zero 0
		.amdhsa_exception_fp_ieee_overflow 0
		.amdhsa_exception_fp_ieee_underflow 0
		.amdhsa_exception_fp_ieee_inexact 0
		.amdhsa_exception_int_div_zero 0
	.end_amdhsa_kernel
	.section	.text._ZN7rocprim17ROCPRIM_400000_NS6detail17trampoline_kernelINS0_14default_configENS1_27scan_by_key_config_selectorIijEEZZNS1_16scan_by_key_implILNS1_25lookback_scan_determinismE0ELb1ES3_N6thrust23THRUST_200600_302600_NS6detail15normal_iteratorINS9_10device_ptrIiEEEENSB_INSC_IjEEEESG_jNS9_4plusIvEENS9_8equal_toIvEEjEE10hipError_tPvRmT2_T3_T4_T5_mT6_T7_P12ihipStream_tbENKUlT_T0_E_clISt17integral_constantIbLb0EES11_EEDaSW_SX_EUlSW_E_NS1_11comp_targetILNS1_3genE10ELNS1_11target_archE1200ELNS1_3gpuE4ELNS1_3repE0EEENS1_30default_config_static_selectorELNS0_4arch9wavefront6targetE0EEEvT1_,"axG",@progbits,_ZN7rocprim17ROCPRIM_400000_NS6detail17trampoline_kernelINS0_14default_configENS1_27scan_by_key_config_selectorIijEEZZNS1_16scan_by_key_implILNS1_25lookback_scan_determinismE0ELb1ES3_N6thrust23THRUST_200600_302600_NS6detail15normal_iteratorINS9_10device_ptrIiEEEENSB_INSC_IjEEEESG_jNS9_4plusIvEENS9_8equal_toIvEEjEE10hipError_tPvRmT2_T3_T4_T5_mT6_T7_P12ihipStream_tbENKUlT_T0_E_clISt17integral_constantIbLb0EES11_EEDaSW_SX_EUlSW_E_NS1_11comp_targetILNS1_3genE10ELNS1_11target_archE1200ELNS1_3gpuE4ELNS1_3repE0EEENS1_30default_config_static_selectorELNS0_4arch9wavefront6targetE0EEEvT1_,comdat
.Lfunc_end1505:
	.size	_ZN7rocprim17ROCPRIM_400000_NS6detail17trampoline_kernelINS0_14default_configENS1_27scan_by_key_config_selectorIijEEZZNS1_16scan_by_key_implILNS1_25lookback_scan_determinismE0ELb1ES3_N6thrust23THRUST_200600_302600_NS6detail15normal_iteratorINS9_10device_ptrIiEEEENSB_INSC_IjEEEESG_jNS9_4plusIvEENS9_8equal_toIvEEjEE10hipError_tPvRmT2_T3_T4_T5_mT6_T7_P12ihipStream_tbENKUlT_T0_E_clISt17integral_constantIbLb0EES11_EEDaSW_SX_EUlSW_E_NS1_11comp_targetILNS1_3genE10ELNS1_11target_archE1200ELNS1_3gpuE4ELNS1_3repE0EEENS1_30default_config_static_selectorELNS0_4arch9wavefront6targetE0EEEvT1_, .Lfunc_end1505-_ZN7rocprim17ROCPRIM_400000_NS6detail17trampoline_kernelINS0_14default_configENS1_27scan_by_key_config_selectorIijEEZZNS1_16scan_by_key_implILNS1_25lookback_scan_determinismE0ELb1ES3_N6thrust23THRUST_200600_302600_NS6detail15normal_iteratorINS9_10device_ptrIiEEEENSB_INSC_IjEEEESG_jNS9_4plusIvEENS9_8equal_toIvEEjEE10hipError_tPvRmT2_T3_T4_T5_mT6_T7_P12ihipStream_tbENKUlT_T0_E_clISt17integral_constantIbLb0EES11_EEDaSW_SX_EUlSW_E_NS1_11comp_targetILNS1_3genE10ELNS1_11target_archE1200ELNS1_3gpuE4ELNS1_3repE0EEENS1_30default_config_static_selectorELNS0_4arch9wavefront6targetE0EEEvT1_
                                        ; -- End function
	.set _ZN7rocprim17ROCPRIM_400000_NS6detail17trampoline_kernelINS0_14default_configENS1_27scan_by_key_config_selectorIijEEZZNS1_16scan_by_key_implILNS1_25lookback_scan_determinismE0ELb1ES3_N6thrust23THRUST_200600_302600_NS6detail15normal_iteratorINS9_10device_ptrIiEEEENSB_INSC_IjEEEESG_jNS9_4plusIvEENS9_8equal_toIvEEjEE10hipError_tPvRmT2_T3_T4_T5_mT6_T7_P12ihipStream_tbENKUlT_T0_E_clISt17integral_constantIbLb0EES11_EEDaSW_SX_EUlSW_E_NS1_11comp_targetILNS1_3genE10ELNS1_11target_archE1200ELNS1_3gpuE4ELNS1_3repE0EEENS1_30default_config_static_selectorELNS0_4arch9wavefront6targetE0EEEvT1_.num_vgpr, 0
	.set _ZN7rocprim17ROCPRIM_400000_NS6detail17trampoline_kernelINS0_14default_configENS1_27scan_by_key_config_selectorIijEEZZNS1_16scan_by_key_implILNS1_25lookback_scan_determinismE0ELb1ES3_N6thrust23THRUST_200600_302600_NS6detail15normal_iteratorINS9_10device_ptrIiEEEENSB_INSC_IjEEEESG_jNS9_4plusIvEENS9_8equal_toIvEEjEE10hipError_tPvRmT2_T3_T4_T5_mT6_T7_P12ihipStream_tbENKUlT_T0_E_clISt17integral_constantIbLb0EES11_EEDaSW_SX_EUlSW_E_NS1_11comp_targetILNS1_3genE10ELNS1_11target_archE1200ELNS1_3gpuE4ELNS1_3repE0EEENS1_30default_config_static_selectorELNS0_4arch9wavefront6targetE0EEEvT1_.num_agpr, 0
	.set _ZN7rocprim17ROCPRIM_400000_NS6detail17trampoline_kernelINS0_14default_configENS1_27scan_by_key_config_selectorIijEEZZNS1_16scan_by_key_implILNS1_25lookback_scan_determinismE0ELb1ES3_N6thrust23THRUST_200600_302600_NS6detail15normal_iteratorINS9_10device_ptrIiEEEENSB_INSC_IjEEEESG_jNS9_4plusIvEENS9_8equal_toIvEEjEE10hipError_tPvRmT2_T3_T4_T5_mT6_T7_P12ihipStream_tbENKUlT_T0_E_clISt17integral_constantIbLb0EES11_EEDaSW_SX_EUlSW_E_NS1_11comp_targetILNS1_3genE10ELNS1_11target_archE1200ELNS1_3gpuE4ELNS1_3repE0EEENS1_30default_config_static_selectorELNS0_4arch9wavefront6targetE0EEEvT1_.numbered_sgpr, 0
	.set _ZN7rocprim17ROCPRIM_400000_NS6detail17trampoline_kernelINS0_14default_configENS1_27scan_by_key_config_selectorIijEEZZNS1_16scan_by_key_implILNS1_25lookback_scan_determinismE0ELb1ES3_N6thrust23THRUST_200600_302600_NS6detail15normal_iteratorINS9_10device_ptrIiEEEENSB_INSC_IjEEEESG_jNS9_4plusIvEENS9_8equal_toIvEEjEE10hipError_tPvRmT2_T3_T4_T5_mT6_T7_P12ihipStream_tbENKUlT_T0_E_clISt17integral_constantIbLb0EES11_EEDaSW_SX_EUlSW_E_NS1_11comp_targetILNS1_3genE10ELNS1_11target_archE1200ELNS1_3gpuE4ELNS1_3repE0EEENS1_30default_config_static_selectorELNS0_4arch9wavefront6targetE0EEEvT1_.num_named_barrier, 0
	.set _ZN7rocprim17ROCPRIM_400000_NS6detail17trampoline_kernelINS0_14default_configENS1_27scan_by_key_config_selectorIijEEZZNS1_16scan_by_key_implILNS1_25lookback_scan_determinismE0ELb1ES3_N6thrust23THRUST_200600_302600_NS6detail15normal_iteratorINS9_10device_ptrIiEEEENSB_INSC_IjEEEESG_jNS9_4plusIvEENS9_8equal_toIvEEjEE10hipError_tPvRmT2_T3_T4_T5_mT6_T7_P12ihipStream_tbENKUlT_T0_E_clISt17integral_constantIbLb0EES11_EEDaSW_SX_EUlSW_E_NS1_11comp_targetILNS1_3genE10ELNS1_11target_archE1200ELNS1_3gpuE4ELNS1_3repE0EEENS1_30default_config_static_selectorELNS0_4arch9wavefront6targetE0EEEvT1_.private_seg_size, 0
	.set _ZN7rocprim17ROCPRIM_400000_NS6detail17trampoline_kernelINS0_14default_configENS1_27scan_by_key_config_selectorIijEEZZNS1_16scan_by_key_implILNS1_25lookback_scan_determinismE0ELb1ES3_N6thrust23THRUST_200600_302600_NS6detail15normal_iteratorINS9_10device_ptrIiEEEENSB_INSC_IjEEEESG_jNS9_4plusIvEENS9_8equal_toIvEEjEE10hipError_tPvRmT2_T3_T4_T5_mT6_T7_P12ihipStream_tbENKUlT_T0_E_clISt17integral_constantIbLb0EES11_EEDaSW_SX_EUlSW_E_NS1_11comp_targetILNS1_3genE10ELNS1_11target_archE1200ELNS1_3gpuE4ELNS1_3repE0EEENS1_30default_config_static_selectorELNS0_4arch9wavefront6targetE0EEEvT1_.uses_vcc, 0
	.set _ZN7rocprim17ROCPRIM_400000_NS6detail17trampoline_kernelINS0_14default_configENS1_27scan_by_key_config_selectorIijEEZZNS1_16scan_by_key_implILNS1_25lookback_scan_determinismE0ELb1ES3_N6thrust23THRUST_200600_302600_NS6detail15normal_iteratorINS9_10device_ptrIiEEEENSB_INSC_IjEEEESG_jNS9_4plusIvEENS9_8equal_toIvEEjEE10hipError_tPvRmT2_T3_T4_T5_mT6_T7_P12ihipStream_tbENKUlT_T0_E_clISt17integral_constantIbLb0EES11_EEDaSW_SX_EUlSW_E_NS1_11comp_targetILNS1_3genE10ELNS1_11target_archE1200ELNS1_3gpuE4ELNS1_3repE0EEENS1_30default_config_static_selectorELNS0_4arch9wavefront6targetE0EEEvT1_.uses_flat_scratch, 0
	.set _ZN7rocprim17ROCPRIM_400000_NS6detail17trampoline_kernelINS0_14default_configENS1_27scan_by_key_config_selectorIijEEZZNS1_16scan_by_key_implILNS1_25lookback_scan_determinismE0ELb1ES3_N6thrust23THRUST_200600_302600_NS6detail15normal_iteratorINS9_10device_ptrIiEEEENSB_INSC_IjEEEESG_jNS9_4plusIvEENS9_8equal_toIvEEjEE10hipError_tPvRmT2_T3_T4_T5_mT6_T7_P12ihipStream_tbENKUlT_T0_E_clISt17integral_constantIbLb0EES11_EEDaSW_SX_EUlSW_E_NS1_11comp_targetILNS1_3genE10ELNS1_11target_archE1200ELNS1_3gpuE4ELNS1_3repE0EEENS1_30default_config_static_selectorELNS0_4arch9wavefront6targetE0EEEvT1_.has_dyn_sized_stack, 0
	.set _ZN7rocprim17ROCPRIM_400000_NS6detail17trampoline_kernelINS0_14default_configENS1_27scan_by_key_config_selectorIijEEZZNS1_16scan_by_key_implILNS1_25lookback_scan_determinismE0ELb1ES3_N6thrust23THRUST_200600_302600_NS6detail15normal_iteratorINS9_10device_ptrIiEEEENSB_INSC_IjEEEESG_jNS9_4plusIvEENS9_8equal_toIvEEjEE10hipError_tPvRmT2_T3_T4_T5_mT6_T7_P12ihipStream_tbENKUlT_T0_E_clISt17integral_constantIbLb0EES11_EEDaSW_SX_EUlSW_E_NS1_11comp_targetILNS1_3genE10ELNS1_11target_archE1200ELNS1_3gpuE4ELNS1_3repE0EEENS1_30default_config_static_selectorELNS0_4arch9wavefront6targetE0EEEvT1_.has_recursion, 0
	.set _ZN7rocprim17ROCPRIM_400000_NS6detail17trampoline_kernelINS0_14default_configENS1_27scan_by_key_config_selectorIijEEZZNS1_16scan_by_key_implILNS1_25lookback_scan_determinismE0ELb1ES3_N6thrust23THRUST_200600_302600_NS6detail15normal_iteratorINS9_10device_ptrIiEEEENSB_INSC_IjEEEESG_jNS9_4plusIvEENS9_8equal_toIvEEjEE10hipError_tPvRmT2_T3_T4_T5_mT6_T7_P12ihipStream_tbENKUlT_T0_E_clISt17integral_constantIbLb0EES11_EEDaSW_SX_EUlSW_E_NS1_11comp_targetILNS1_3genE10ELNS1_11target_archE1200ELNS1_3gpuE4ELNS1_3repE0EEENS1_30default_config_static_selectorELNS0_4arch9wavefront6targetE0EEEvT1_.has_indirect_call, 0
	.section	.AMDGPU.csdata,"",@progbits
; Kernel info:
; codeLenInByte = 0
; TotalNumSgprs: 0
; NumVgprs: 0
; ScratchSize: 0
; MemoryBound: 0
; FloatMode: 240
; IeeeMode: 1
; LDSByteSize: 0 bytes/workgroup (compile time only)
; SGPRBlocks: 0
; VGPRBlocks: 0
; NumSGPRsForWavesPerEU: 1
; NumVGPRsForWavesPerEU: 1
; NamedBarCnt: 0
; Occupancy: 16
; WaveLimiterHint : 0
; COMPUTE_PGM_RSRC2:SCRATCH_EN: 0
; COMPUTE_PGM_RSRC2:USER_SGPR: 2
; COMPUTE_PGM_RSRC2:TRAP_HANDLER: 0
; COMPUTE_PGM_RSRC2:TGID_X_EN: 1
; COMPUTE_PGM_RSRC2:TGID_Y_EN: 0
; COMPUTE_PGM_RSRC2:TGID_Z_EN: 0
; COMPUTE_PGM_RSRC2:TIDIG_COMP_CNT: 0
	.section	.text._ZN7rocprim17ROCPRIM_400000_NS6detail17trampoline_kernelINS0_14default_configENS1_27scan_by_key_config_selectorIijEEZZNS1_16scan_by_key_implILNS1_25lookback_scan_determinismE0ELb1ES3_N6thrust23THRUST_200600_302600_NS6detail15normal_iteratorINS9_10device_ptrIiEEEENSB_INSC_IjEEEESG_jNS9_4plusIvEENS9_8equal_toIvEEjEE10hipError_tPvRmT2_T3_T4_T5_mT6_T7_P12ihipStream_tbENKUlT_T0_E_clISt17integral_constantIbLb0EES11_EEDaSW_SX_EUlSW_E_NS1_11comp_targetILNS1_3genE9ELNS1_11target_archE1100ELNS1_3gpuE3ELNS1_3repE0EEENS1_30default_config_static_selectorELNS0_4arch9wavefront6targetE0EEEvT1_,"axG",@progbits,_ZN7rocprim17ROCPRIM_400000_NS6detail17trampoline_kernelINS0_14default_configENS1_27scan_by_key_config_selectorIijEEZZNS1_16scan_by_key_implILNS1_25lookback_scan_determinismE0ELb1ES3_N6thrust23THRUST_200600_302600_NS6detail15normal_iteratorINS9_10device_ptrIiEEEENSB_INSC_IjEEEESG_jNS9_4plusIvEENS9_8equal_toIvEEjEE10hipError_tPvRmT2_T3_T4_T5_mT6_T7_P12ihipStream_tbENKUlT_T0_E_clISt17integral_constantIbLb0EES11_EEDaSW_SX_EUlSW_E_NS1_11comp_targetILNS1_3genE9ELNS1_11target_archE1100ELNS1_3gpuE3ELNS1_3repE0EEENS1_30default_config_static_selectorELNS0_4arch9wavefront6targetE0EEEvT1_,comdat
	.protected	_ZN7rocprim17ROCPRIM_400000_NS6detail17trampoline_kernelINS0_14default_configENS1_27scan_by_key_config_selectorIijEEZZNS1_16scan_by_key_implILNS1_25lookback_scan_determinismE0ELb1ES3_N6thrust23THRUST_200600_302600_NS6detail15normal_iteratorINS9_10device_ptrIiEEEENSB_INSC_IjEEEESG_jNS9_4plusIvEENS9_8equal_toIvEEjEE10hipError_tPvRmT2_T3_T4_T5_mT6_T7_P12ihipStream_tbENKUlT_T0_E_clISt17integral_constantIbLb0EES11_EEDaSW_SX_EUlSW_E_NS1_11comp_targetILNS1_3genE9ELNS1_11target_archE1100ELNS1_3gpuE3ELNS1_3repE0EEENS1_30default_config_static_selectorELNS0_4arch9wavefront6targetE0EEEvT1_ ; -- Begin function _ZN7rocprim17ROCPRIM_400000_NS6detail17trampoline_kernelINS0_14default_configENS1_27scan_by_key_config_selectorIijEEZZNS1_16scan_by_key_implILNS1_25lookback_scan_determinismE0ELb1ES3_N6thrust23THRUST_200600_302600_NS6detail15normal_iteratorINS9_10device_ptrIiEEEENSB_INSC_IjEEEESG_jNS9_4plusIvEENS9_8equal_toIvEEjEE10hipError_tPvRmT2_T3_T4_T5_mT6_T7_P12ihipStream_tbENKUlT_T0_E_clISt17integral_constantIbLb0EES11_EEDaSW_SX_EUlSW_E_NS1_11comp_targetILNS1_3genE9ELNS1_11target_archE1100ELNS1_3gpuE3ELNS1_3repE0EEENS1_30default_config_static_selectorELNS0_4arch9wavefront6targetE0EEEvT1_
	.globl	_ZN7rocprim17ROCPRIM_400000_NS6detail17trampoline_kernelINS0_14default_configENS1_27scan_by_key_config_selectorIijEEZZNS1_16scan_by_key_implILNS1_25lookback_scan_determinismE0ELb1ES3_N6thrust23THRUST_200600_302600_NS6detail15normal_iteratorINS9_10device_ptrIiEEEENSB_INSC_IjEEEESG_jNS9_4plusIvEENS9_8equal_toIvEEjEE10hipError_tPvRmT2_T3_T4_T5_mT6_T7_P12ihipStream_tbENKUlT_T0_E_clISt17integral_constantIbLb0EES11_EEDaSW_SX_EUlSW_E_NS1_11comp_targetILNS1_3genE9ELNS1_11target_archE1100ELNS1_3gpuE3ELNS1_3repE0EEENS1_30default_config_static_selectorELNS0_4arch9wavefront6targetE0EEEvT1_
	.p2align	8
	.type	_ZN7rocprim17ROCPRIM_400000_NS6detail17trampoline_kernelINS0_14default_configENS1_27scan_by_key_config_selectorIijEEZZNS1_16scan_by_key_implILNS1_25lookback_scan_determinismE0ELb1ES3_N6thrust23THRUST_200600_302600_NS6detail15normal_iteratorINS9_10device_ptrIiEEEENSB_INSC_IjEEEESG_jNS9_4plusIvEENS9_8equal_toIvEEjEE10hipError_tPvRmT2_T3_T4_T5_mT6_T7_P12ihipStream_tbENKUlT_T0_E_clISt17integral_constantIbLb0EES11_EEDaSW_SX_EUlSW_E_NS1_11comp_targetILNS1_3genE9ELNS1_11target_archE1100ELNS1_3gpuE3ELNS1_3repE0EEENS1_30default_config_static_selectorELNS0_4arch9wavefront6targetE0EEEvT1_,@function
_ZN7rocprim17ROCPRIM_400000_NS6detail17trampoline_kernelINS0_14default_configENS1_27scan_by_key_config_selectorIijEEZZNS1_16scan_by_key_implILNS1_25lookback_scan_determinismE0ELb1ES3_N6thrust23THRUST_200600_302600_NS6detail15normal_iteratorINS9_10device_ptrIiEEEENSB_INSC_IjEEEESG_jNS9_4plusIvEENS9_8equal_toIvEEjEE10hipError_tPvRmT2_T3_T4_T5_mT6_T7_P12ihipStream_tbENKUlT_T0_E_clISt17integral_constantIbLb0EES11_EEDaSW_SX_EUlSW_E_NS1_11comp_targetILNS1_3genE9ELNS1_11target_archE1100ELNS1_3gpuE3ELNS1_3repE0EEENS1_30default_config_static_selectorELNS0_4arch9wavefront6targetE0EEEvT1_: ; @_ZN7rocprim17ROCPRIM_400000_NS6detail17trampoline_kernelINS0_14default_configENS1_27scan_by_key_config_selectorIijEEZZNS1_16scan_by_key_implILNS1_25lookback_scan_determinismE0ELb1ES3_N6thrust23THRUST_200600_302600_NS6detail15normal_iteratorINS9_10device_ptrIiEEEENSB_INSC_IjEEEESG_jNS9_4plusIvEENS9_8equal_toIvEEjEE10hipError_tPvRmT2_T3_T4_T5_mT6_T7_P12ihipStream_tbENKUlT_T0_E_clISt17integral_constantIbLb0EES11_EEDaSW_SX_EUlSW_E_NS1_11comp_targetILNS1_3genE9ELNS1_11target_archE1100ELNS1_3gpuE3ELNS1_3repE0EEENS1_30default_config_static_selectorELNS0_4arch9wavefront6targetE0EEEvT1_
; %bb.0:
	.section	.rodata,"a",@progbits
	.p2align	6, 0x0
	.amdhsa_kernel _ZN7rocprim17ROCPRIM_400000_NS6detail17trampoline_kernelINS0_14default_configENS1_27scan_by_key_config_selectorIijEEZZNS1_16scan_by_key_implILNS1_25lookback_scan_determinismE0ELb1ES3_N6thrust23THRUST_200600_302600_NS6detail15normal_iteratorINS9_10device_ptrIiEEEENSB_INSC_IjEEEESG_jNS9_4plusIvEENS9_8equal_toIvEEjEE10hipError_tPvRmT2_T3_T4_T5_mT6_T7_P12ihipStream_tbENKUlT_T0_E_clISt17integral_constantIbLb0EES11_EEDaSW_SX_EUlSW_E_NS1_11comp_targetILNS1_3genE9ELNS1_11target_archE1100ELNS1_3gpuE3ELNS1_3repE0EEENS1_30default_config_static_selectorELNS0_4arch9wavefront6targetE0EEEvT1_
		.amdhsa_group_segment_fixed_size 0
		.amdhsa_private_segment_fixed_size 0
		.amdhsa_kernarg_size 112
		.amdhsa_user_sgpr_count 2
		.amdhsa_user_sgpr_dispatch_ptr 0
		.amdhsa_user_sgpr_queue_ptr 0
		.amdhsa_user_sgpr_kernarg_segment_ptr 1
		.amdhsa_user_sgpr_dispatch_id 0
		.amdhsa_user_sgpr_kernarg_preload_length 0
		.amdhsa_user_sgpr_kernarg_preload_offset 0
		.amdhsa_user_sgpr_private_segment_size 0
		.amdhsa_wavefront_size32 1
		.amdhsa_uses_dynamic_stack 0
		.amdhsa_enable_private_segment 0
		.amdhsa_system_sgpr_workgroup_id_x 1
		.amdhsa_system_sgpr_workgroup_id_y 0
		.amdhsa_system_sgpr_workgroup_id_z 0
		.amdhsa_system_sgpr_workgroup_info 0
		.amdhsa_system_vgpr_workitem_id 0
		.amdhsa_next_free_vgpr 1
		.amdhsa_next_free_sgpr 1
		.amdhsa_named_barrier_count 0
		.amdhsa_reserve_vcc 0
		.amdhsa_float_round_mode_32 0
		.amdhsa_float_round_mode_16_64 0
		.amdhsa_float_denorm_mode_32 3
		.amdhsa_float_denorm_mode_16_64 3
		.amdhsa_fp16_overflow 0
		.amdhsa_memory_ordered 1
		.amdhsa_forward_progress 1
		.amdhsa_inst_pref_size 0
		.amdhsa_round_robin_scheduling 0
		.amdhsa_exception_fp_ieee_invalid_op 0
		.amdhsa_exception_fp_denorm_src 0
		.amdhsa_exception_fp_ieee_div_zero 0
		.amdhsa_exception_fp_ieee_overflow 0
		.amdhsa_exception_fp_ieee_underflow 0
		.amdhsa_exception_fp_ieee_inexact 0
		.amdhsa_exception_int_div_zero 0
	.end_amdhsa_kernel
	.section	.text._ZN7rocprim17ROCPRIM_400000_NS6detail17trampoline_kernelINS0_14default_configENS1_27scan_by_key_config_selectorIijEEZZNS1_16scan_by_key_implILNS1_25lookback_scan_determinismE0ELb1ES3_N6thrust23THRUST_200600_302600_NS6detail15normal_iteratorINS9_10device_ptrIiEEEENSB_INSC_IjEEEESG_jNS9_4plusIvEENS9_8equal_toIvEEjEE10hipError_tPvRmT2_T3_T4_T5_mT6_T7_P12ihipStream_tbENKUlT_T0_E_clISt17integral_constantIbLb0EES11_EEDaSW_SX_EUlSW_E_NS1_11comp_targetILNS1_3genE9ELNS1_11target_archE1100ELNS1_3gpuE3ELNS1_3repE0EEENS1_30default_config_static_selectorELNS0_4arch9wavefront6targetE0EEEvT1_,"axG",@progbits,_ZN7rocprim17ROCPRIM_400000_NS6detail17trampoline_kernelINS0_14default_configENS1_27scan_by_key_config_selectorIijEEZZNS1_16scan_by_key_implILNS1_25lookback_scan_determinismE0ELb1ES3_N6thrust23THRUST_200600_302600_NS6detail15normal_iteratorINS9_10device_ptrIiEEEENSB_INSC_IjEEEESG_jNS9_4plusIvEENS9_8equal_toIvEEjEE10hipError_tPvRmT2_T3_T4_T5_mT6_T7_P12ihipStream_tbENKUlT_T0_E_clISt17integral_constantIbLb0EES11_EEDaSW_SX_EUlSW_E_NS1_11comp_targetILNS1_3genE9ELNS1_11target_archE1100ELNS1_3gpuE3ELNS1_3repE0EEENS1_30default_config_static_selectorELNS0_4arch9wavefront6targetE0EEEvT1_,comdat
.Lfunc_end1506:
	.size	_ZN7rocprim17ROCPRIM_400000_NS6detail17trampoline_kernelINS0_14default_configENS1_27scan_by_key_config_selectorIijEEZZNS1_16scan_by_key_implILNS1_25lookback_scan_determinismE0ELb1ES3_N6thrust23THRUST_200600_302600_NS6detail15normal_iteratorINS9_10device_ptrIiEEEENSB_INSC_IjEEEESG_jNS9_4plusIvEENS9_8equal_toIvEEjEE10hipError_tPvRmT2_T3_T4_T5_mT6_T7_P12ihipStream_tbENKUlT_T0_E_clISt17integral_constantIbLb0EES11_EEDaSW_SX_EUlSW_E_NS1_11comp_targetILNS1_3genE9ELNS1_11target_archE1100ELNS1_3gpuE3ELNS1_3repE0EEENS1_30default_config_static_selectorELNS0_4arch9wavefront6targetE0EEEvT1_, .Lfunc_end1506-_ZN7rocprim17ROCPRIM_400000_NS6detail17trampoline_kernelINS0_14default_configENS1_27scan_by_key_config_selectorIijEEZZNS1_16scan_by_key_implILNS1_25lookback_scan_determinismE0ELb1ES3_N6thrust23THRUST_200600_302600_NS6detail15normal_iteratorINS9_10device_ptrIiEEEENSB_INSC_IjEEEESG_jNS9_4plusIvEENS9_8equal_toIvEEjEE10hipError_tPvRmT2_T3_T4_T5_mT6_T7_P12ihipStream_tbENKUlT_T0_E_clISt17integral_constantIbLb0EES11_EEDaSW_SX_EUlSW_E_NS1_11comp_targetILNS1_3genE9ELNS1_11target_archE1100ELNS1_3gpuE3ELNS1_3repE0EEENS1_30default_config_static_selectorELNS0_4arch9wavefront6targetE0EEEvT1_
                                        ; -- End function
	.set _ZN7rocprim17ROCPRIM_400000_NS6detail17trampoline_kernelINS0_14default_configENS1_27scan_by_key_config_selectorIijEEZZNS1_16scan_by_key_implILNS1_25lookback_scan_determinismE0ELb1ES3_N6thrust23THRUST_200600_302600_NS6detail15normal_iteratorINS9_10device_ptrIiEEEENSB_INSC_IjEEEESG_jNS9_4plusIvEENS9_8equal_toIvEEjEE10hipError_tPvRmT2_T3_T4_T5_mT6_T7_P12ihipStream_tbENKUlT_T0_E_clISt17integral_constantIbLb0EES11_EEDaSW_SX_EUlSW_E_NS1_11comp_targetILNS1_3genE9ELNS1_11target_archE1100ELNS1_3gpuE3ELNS1_3repE0EEENS1_30default_config_static_selectorELNS0_4arch9wavefront6targetE0EEEvT1_.num_vgpr, 0
	.set _ZN7rocprim17ROCPRIM_400000_NS6detail17trampoline_kernelINS0_14default_configENS1_27scan_by_key_config_selectorIijEEZZNS1_16scan_by_key_implILNS1_25lookback_scan_determinismE0ELb1ES3_N6thrust23THRUST_200600_302600_NS6detail15normal_iteratorINS9_10device_ptrIiEEEENSB_INSC_IjEEEESG_jNS9_4plusIvEENS9_8equal_toIvEEjEE10hipError_tPvRmT2_T3_T4_T5_mT6_T7_P12ihipStream_tbENKUlT_T0_E_clISt17integral_constantIbLb0EES11_EEDaSW_SX_EUlSW_E_NS1_11comp_targetILNS1_3genE9ELNS1_11target_archE1100ELNS1_3gpuE3ELNS1_3repE0EEENS1_30default_config_static_selectorELNS0_4arch9wavefront6targetE0EEEvT1_.num_agpr, 0
	.set _ZN7rocprim17ROCPRIM_400000_NS6detail17trampoline_kernelINS0_14default_configENS1_27scan_by_key_config_selectorIijEEZZNS1_16scan_by_key_implILNS1_25lookback_scan_determinismE0ELb1ES3_N6thrust23THRUST_200600_302600_NS6detail15normal_iteratorINS9_10device_ptrIiEEEENSB_INSC_IjEEEESG_jNS9_4plusIvEENS9_8equal_toIvEEjEE10hipError_tPvRmT2_T3_T4_T5_mT6_T7_P12ihipStream_tbENKUlT_T0_E_clISt17integral_constantIbLb0EES11_EEDaSW_SX_EUlSW_E_NS1_11comp_targetILNS1_3genE9ELNS1_11target_archE1100ELNS1_3gpuE3ELNS1_3repE0EEENS1_30default_config_static_selectorELNS0_4arch9wavefront6targetE0EEEvT1_.numbered_sgpr, 0
	.set _ZN7rocprim17ROCPRIM_400000_NS6detail17trampoline_kernelINS0_14default_configENS1_27scan_by_key_config_selectorIijEEZZNS1_16scan_by_key_implILNS1_25lookback_scan_determinismE0ELb1ES3_N6thrust23THRUST_200600_302600_NS6detail15normal_iteratorINS9_10device_ptrIiEEEENSB_INSC_IjEEEESG_jNS9_4plusIvEENS9_8equal_toIvEEjEE10hipError_tPvRmT2_T3_T4_T5_mT6_T7_P12ihipStream_tbENKUlT_T0_E_clISt17integral_constantIbLb0EES11_EEDaSW_SX_EUlSW_E_NS1_11comp_targetILNS1_3genE9ELNS1_11target_archE1100ELNS1_3gpuE3ELNS1_3repE0EEENS1_30default_config_static_selectorELNS0_4arch9wavefront6targetE0EEEvT1_.num_named_barrier, 0
	.set _ZN7rocprim17ROCPRIM_400000_NS6detail17trampoline_kernelINS0_14default_configENS1_27scan_by_key_config_selectorIijEEZZNS1_16scan_by_key_implILNS1_25lookback_scan_determinismE0ELb1ES3_N6thrust23THRUST_200600_302600_NS6detail15normal_iteratorINS9_10device_ptrIiEEEENSB_INSC_IjEEEESG_jNS9_4plusIvEENS9_8equal_toIvEEjEE10hipError_tPvRmT2_T3_T4_T5_mT6_T7_P12ihipStream_tbENKUlT_T0_E_clISt17integral_constantIbLb0EES11_EEDaSW_SX_EUlSW_E_NS1_11comp_targetILNS1_3genE9ELNS1_11target_archE1100ELNS1_3gpuE3ELNS1_3repE0EEENS1_30default_config_static_selectorELNS0_4arch9wavefront6targetE0EEEvT1_.private_seg_size, 0
	.set _ZN7rocprim17ROCPRIM_400000_NS6detail17trampoline_kernelINS0_14default_configENS1_27scan_by_key_config_selectorIijEEZZNS1_16scan_by_key_implILNS1_25lookback_scan_determinismE0ELb1ES3_N6thrust23THRUST_200600_302600_NS6detail15normal_iteratorINS9_10device_ptrIiEEEENSB_INSC_IjEEEESG_jNS9_4plusIvEENS9_8equal_toIvEEjEE10hipError_tPvRmT2_T3_T4_T5_mT6_T7_P12ihipStream_tbENKUlT_T0_E_clISt17integral_constantIbLb0EES11_EEDaSW_SX_EUlSW_E_NS1_11comp_targetILNS1_3genE9ELNS1_11target_archE1100ELNS1_3gpuE3ELNS1_3repE0EEENS1_30default_config_static_selectorELNS0_4arch9wavefront6targetE0EEEvT1_.uses_vcc, 0
	.set _ZN7rocprim17ROCPRIM_400000_NS6detail17trampoline_kernelINS0_14default_configENS1_27scan_by_key_config_selectorIijEEZZNS1_16scan_by_key_implILNS1_25lookback_scan_determinismE0ELb1ES3_N6thrust23THRUST_200600_302600_NS6detail15normal_iteratorINS9_10device_ptrIiEEEENSB_INSC_IjEEEESG_jNS9_4plusIvEENS9_8equal_toIvEEjEE10hipError_tPvRmT2_T3_T4_T5_mT6_T7_P12ihipStream_tbENKUlT_T0_E_clISt17integral_constantIbLb0EES11_EEDaSW_SX_EUlSW_E_NS1_11comp_targetILNS1_3genE9ELNS1_11target_archE1100ELNS1_3gpuE3ELNS1_3repE0EEENS1_30default_config_static_selectorELNS0_4arch9wavefront6targetE0EEEvT1_.uses_flat_scratch, 0
	.set _ZN7rocprim17ROCPRIM_400000_NS6detail17trampoline_kernelINS0_14default_configENS1_27scan_by_key_config_selectorIijEEZZNS1_16scan_by_key_implILNS1_25lookback_scan_determinismE0ELb1ES3_N6thrust23THRUST_200600_302600_NS6detail15normal_iteratorINS9_10device_ptrIiEEEENSB_INSC_IjEEEESG_jNS9_4plusIvEENS9_8equal_toIvEEjEE10hipError_tPvRmT2_T3_T4_T5_mT6_T7_P12ihipStream_tbENKUlT_T0_E_clISt17integral_constantIbLb0EES11_EEDaSW_SX_EUlSW_E_NS1_11comp_targetILNS1_3genE9ELNS1_11target_archE1100ELNS1_3gpuE3ELNS1_3repE0EEENS1_30default_config_static_selectorELNS0_4arch9wavefront6targetE0EEEvT1_.has_dyn_sized_stack, 0
	.set _ZN7rocprim17ROCPRIM_400000_NS6detail17trampoline_kernelINS0_14default_configENS1_27scan_by_key_config_selectorIijEEZZNS1_16scan_by_key_implILNS1_25lookback_scan_determinismE0ELb1ES3_N6thrust23THRUST_200600_302600_NS6detail15normal_iteratorINS9_10device_ptrIiEEEENSB_INSC_IjEEEESG_jNS9_4plusIvEENS9_8equal_toIvEEjEE10hipError_tPvRmT2_T3_T4_T5_mT6_T7_P12ihipStream_tbENKUlT_T0_E_clISt17integral_constantIbLb0EES11_EEDaSW_SX_EUlSW_E_NS1_11comp_targetILNS1_3genE9ELNS1_11target_archE1100ELNS1_3gpuE3ELNS1_3repE0EEENS1_30default_config_static_selectorELNS0_4arch9wavefront6targetE0EEEvT1_.has_recursion, 0
	.set _ZN7rocprim17ROCPRIM_400000_NS6detail17trampoline_kernelINS0_14default_configENS1_27scan_by_key_config_selectorIijEEZZNS1_16scan_by_key_implILNS1_25lookback_scan_determinismE0ELb1ES3_N6thrust23THRUST_200600_302600_NS6detail15normal_iteratorINS9_10device_ptrIiEEEENSB_INSC_IjEEEESG_jNS9_4plusIvEENS9_8equal_toIvEEjEE10hipError_tPvRmT2_T3_T4_T5_mT6_T7_P12ihipStream_tbENKUlT_T0_E_clISt17integral_constantIbLb0EES11_EEDaSW_SX_EUlSW_E_NS1_11comp_targetILNS1_3genE9ELNS1_11target_archE1100ELNS1_3gpuE3ELNS1_3repE0EEENS1_30default_config_static_selectorELNS0_4arch9wavefront6targetE0EEEvT1_.has_indirect_call, 0
	.section	.AMDGPU.csdata,"",@progbits
; Kernel info:
; codeLenInByte = 0
; TotalNumSgprs: 0
; NumVgprs: 0
; ScratchSize: 0
; MemoryBound: 0
; FloatMode: 240
; IeeeMode: 1
; LDSByteSize: 0 bytes/workgroup (compile time only)
; SGPRBlocks: 0
; VGPRBlocks: 0
; NumSGPRsForWavesPerEU: 1
; NumVGPRsForWavesPerEU: 1
; NamedBarCnt: 0
; Occupancy: 16
; WaveLimiterHint : 0
; COMPUTE_PGM_RSRC2:SCRATCH_EN: 0
; COMPUTE_PGM_RSRC2:USER_SGPR: 2
; COMPUTE_PGM_RSRC2:TRAP_HANDLER: 0
; COMPUTE_PGM_RSRC2:TGID_X_EN: 1
; COMPUTE_PGM_RSRC2:TGID_Y_EN: 0
; COMPUTE_PGM_RSRC2:TGID_Z_EN: 0
; COMPUTE_PGM_RSRC2:TIDIG_COMP_CNT: 0
	.section	.text._ZN7rocprim17ROCPRIM_400000_NS6detail17trampoline_kernelINS0_14default_configENS1_27scan_by_key_config_selectorIijEEZZNS1_16scan_by_key_implILNS1_25lookback_scan_determinismE0ELb1ES3_N6thrust23THRUST_200600_302600_NS6detail15normal_iteratorINS9_10device_ptrIiEEEENSB_INSC_IjEEEESG_jNS9_4plusIvEENS9_8equal_toIvEEjEE10hipError_tPvRmT2_T3_T4_T5_mT6_T7_P12ihipStream_tbENKUlT_T0_E_clISt17integral_constantIbLb0EES11_EEDaSW_SX_EUlSW_E_NS1_11comp_targetILNS1_3genE8ELNS1_11target_archE1030ELNS1_3gpuE2ELNS1_3repE0EEENS1_30default_config_static_selectorELNS0_4arch9wavefront6targetE0EEEvT1_,"axG",@progbits,_ZN7rocprim17ROCPRIM_400000_NS6detail17trampoline_kernelINS0_14default_configENS1_27scan_by_key_config_selectorIijEEZZNS1_16scan_by_key_implILNS1_25lookback_scan_determinismE0ELb1ES3_N6thrust23THRUST_200600_302600_NS6detail15normal_iteratorINS9_10device_ptrIiEEEENSB_INSC_IjEEEESG_jNS9_4plusIvEENS9_8equal_toIvEEjEE10hipError_tPvRmT2_T3_T4_T5_mT6_T7_P12ihipStream_tbENKUlT_T0_E_clISt17integral_constantIbLb0EES11_EEDaSW_SX_EUlSW_E_NS1_11comp_targetILNS1_3genE8ELNS1_11target_archE1030ELNS1_3gpuE2ELNS1_3repE0EEENS1_30default_config_static_selectorELNS0_4arch9wavefront6targetE0EEEvT1_,comdat
	.protected	_ZN7rocprim17ROCPRIM_400000_NS6detail17trampoline_kernelINS0_14default_configENS1_27scan_by_key_config_selectorIijEEZZNS1_16scan_by_key_implILNS1_25lookback_scan_determinismE0ELb1ES3_N6thrust23THRUST_200600_302600_NS6detail15normal_iteratorINS9_10device_ptrIiEEEENSB_INSC_IjEEEESG_jNS9_4plusIvEENS9_8equal_toIvEEjEE10hipError_tPvRmT2_T3_T4_T5_mT6_T7_P12ihipStream_tbENKUlT_T0_E_clISt17integral_constantIbLb0EES11_EEDaSW_SX_EUlSW_E_NS1_11comp_targetILNS1_3genE8ELNS1_11target_archE1030ELNS1_3gpuE2ELNS1_3repE0EEENS1_30default_config_static_selectorELNS0_4arch9wavefront6targetE0EEEvT1_ ; -- Begin function _ZN7rocprim17ROCPRIM_400000_NS6detail17trampoline_kernelINS0_14default_configENS1_27scan_by_key_config_selectorIijEEZZNS1_16scan_by_key_implILNS1_25lookback_scan_determinismE0ELb1ES3_N6thrust23THRUST_200600_302600_NS6detail15normal_iteratorINS9_10device_ptrIiEEEENSB_INSC_IjEEEESG_jNS9_4plusIvEENS9_8equal_toIvEEjEE10hipError_tPvRmT2_T3_T4_T5_mT6_T7_P12ihipStream_tbENKUlT_T0_E_clISt17integral_constantIbLb0EES11_EEDaSW_SX_EUlSW_E_NS1_11comp_targetILNS1_3genE8ELNS1_11target_archE1030ELNS1_3gpuE2ELNS1_3repE0EEENS1_30default_config_static_selectorELNS0_4arch9wavefront6targetE0EEEvT1_
	.globl	_ZN7rocprim17ROCPRIM_400000_NS6detail17trampoline_kernelINS0_14default_configENS1_27scan_by_key_config_selectorIijEEZZNS1_16scan_by_key_implILNS1_25lookback_scan_determinismE0ELb1ES3_N6thrust23THRUST_200600_302600_NS6detail15normal_iteratorINS9_10device_ptrIiEEEENSB_INSC_IjEEEESG_jNS9_4plusIvEENS9_8equal_toIvEEjEE10hipError_tPvRmT2_T3_T4_T5_mT6_T7_P12ihipStream_tbENKUlT_T0_E_clISt17integral_constantIbLb0EES11_EEDaSW_SX_EUlSW_E_NS1_11comp_targetILNS1_3genE8ELNS1_11target_archE1030ELNS1_3gpuE2ELNS1_3repE0EEENS1_30default_config_static_selectorELNS0_4arch9wavefront6targetE0EEEvT1_
	.p2align	8
	.type	_ZN7rocprim17ROCPRIM_400000_NS6detail17trampoline_kernelINS0_14default_configENS1_27scan_by_key_config_selectorIijEEZZNS1_16scan_by_key_implILNS1_25lookback_scan_determinismE0ELb1ES3_N6thrust23THRUST_200600_302600_NS6detail15normal_iteratorINS9_10device_ptrIiEEEENSB_INSC_IjEEEESG_jNS9_4plusIvEENS9_8equal_toIvEEjEE10hipError_tPvRmT2_T3_T4_T5_mT6_T7_P12ihipStream_tbENKUlT_T0_E_clISt17integral_constantIbLb0EES11_EEDaSW_SX_EUlSW_E_NS1_11comp_targetILNS1_3genE8ELNS1_11target_archE1030ELNS1_3gpuE2ELNS1_3repE0EEENS1_30default_config_static_selectorELNS0_4arch9wavefront6targetE0EEEvT1_,@function
_ZN7rocprim17ROCPRIM_400000_NS6detail17trampoline_kernelINS0_14default_configENS1_27scan_by_key_config_selectorIijEEZZNS1_16scan_by_key_implILNS1_25lookback_scan_determinismE0ELb1ES3_N6thrust23THRUST_200600_302600_NS6detail15normal_iteratorINS9_10device_ptrIiEEEENSB_INSC_IjEEEESG_jNS9_4plusIvEENS9_8equal_toIvEEjEE10hipError_tPvRmT2_T3_T4_T5_mT6_T7_P12ihipStream_tbENKUlT_T0_E_clISt17integral_constantIbLb0EES11_EEDaSW_SX_EUlSW_E_NS1_11comp_targetILNS1_3genE8ELNS1_11target_archE1030ELNS1_3gpuE2ELNS1_3repE0EEENS1_30default_config_static_selectorELNS0_4arch9wavefront6targetE0EEEvT1_: ; @_ZN7rocprim17ROCPRIM_400000_NS6detail17trampoline_kernelINS0_14default_configENS1_27scan_by_key_config_selectorIijEEZZNS1_16scan_by_key_implILNS1_25lookback_scan_determinismE0ELb1ES3_N6thrust23THRUST_200600_302600_NS6detail15normal_iteratorINS9_10device_ptrIiEEEENSB_INSC_IjEEEESG_jNS9_4plusIvEENS9_8equal_toIvEEjEE10hipError_tPvRmT2_T3_T4_T5_mT6_T7_P12ihipStream_tbENKUlT_T0_E_clISt17integral_constantIbLb0EES11_EEDaSW_SX_EUlSW_E_NS1_11comp_targetILNS1_3genE8ELNS1_11target_archE1030ELNS1_3gpuE2ELNS1_3repE0EEENS1_30default_config_static_selectorELNS0_4arch9wavefront6targetE0EEEvT1_
; %bb.0:
	.section	.rodata,"a",@progbits
	.p2align	6, 0x0
	.amdhsa_kernel _ZN7rocprim17ROCPRIM_400000_NS6detail17trampoline_kernelINS0_14default_configENS1_27scan_by_key_config_selectorIijEEZZNS1_16scan_by_key_implILNS1_25lookback_scan_determinismE0ELb1ES3_N6thrust23THRUST_200600_302600_NS6detail15normal_iteratorINS9_10device_ptrIiEEEENSB_INSC_IjEEEESG_jNS9_4plusIvEENS9_8equal_toIvEEjEE10hipError_tPvRmT2_T3_T4_T5_mT6_T7_P12ihipStream_tbENKUlT_T0_E_clISt17integral_constantIbLb0EES11_EEDaSW_SX_EUlSW_E_NS1_11comp_targetILNS1_3genE8ELNS1_11target_archE1030ELNS1_3gpuE2ELNS1_3repE0EEENS1_30default_config_static_selectorELNS0_4arch9wavefront6targetE0EEEvT1_
		.amdhsa_group_segment_fixed_size 0
		.amdhsa_private_segment_fixed_size 0
		.amdhsa_kernarg_size 112
		.amdhsa_user_sgpr_count 2
		.amdhsa_user_sgpr_dispatch_ptr 0
		.amdhsa_user_sgpr_queue_ptr 0
		.amdhsa_user_sgpr_kernarg_segment_ptr 1
		.amdhsa_user_sgpr_dispatch_id 0
		.amdhsa_user_sgpr_kernarg_preload_length 0
		.amdhsa_user_sgpr_kernarg_preload_offset 0
		.amdhsa_user_sgpr_private_segment_size 0
		.amdhsa_wavefront_size32 1
		.amdhsa_uses_dynamic_stack 0
		.amdhsa_enable_private_segment 0
		.amdhsa_system_sgpr_workgroup_id_x 1
		.amdhsa_system_sgpr_workgroup_id_y 0
		.amdhsa_system_sgpr_workgroup_id_z 0
		.amdhsa_system_sgpr_workgroup_info 0
		.amdhsa_system_vgpr_workitem_id 0
		.amdhsa_next_free_vgpr 1
		.amdhsa_next_free_sgpr 1
		.amdhsa_named_barrier_count 0
		.amdhsa_reserve_vcc 0
		.amdhsa_float_round_mode_32 0
		.amdhsa_float_round_mode_16_64 0
		.amdhsa_float_denorm_mode_32 3
		.amdhsa_float_denorm_mode_16_64 3
		.amdhsa_fp16_overflow 0
		.amdhsa_memory_ordered 1
		.amdhsa_forward_progress 1
		.amdhsa_inst_pref_size 0
		.amdhsa_round_robin_scheduling 0
		.amdhsa_exception_fp_ieee_invalid_op 0
		.amdhsa_exception_fp_denorm_src 0
		.amdhsa_exception_fp_ieee_div_zero 0
		.amdhsa_exception_fp_ieee_overflow 0
		.amdhsa_exception_fp_ieee_underflow 0
		.amdhsa_exception_fp_ieee_inexact 0
		.amdhsa_exception_int_div_zero 0
	.end_amdhsa_kernel
	.section	.text._ZN7rocprim17ROCPRIM_400000_NS6detail17trampoline_kernelINS0_14default_configENS1_27scan_by_key_config_selectorIijEEZZNS1_16scan_by_key_implILNS1_25lookback_scan_determinismE0ELb1ES3_N6thrust23THRUST_200600_302600_NS6detail15normal_iteratorINS9_10device_ptrIiEEEENSB_INSC_IjEEEESG_jNS9_4plusIvEENS9_8equal_toIvEEjEE10hipError_tPvRmT2_T3_T4_T5_mT6_T7_P12ihipStream_tbENKUlT_T0_E_clISt17integral_constantIbLb0EES11_EEDaSW_SX_EUlSW_E_NS1_11comp_targetILNS1_3genE8ELNS1_11target_archE1030ELNS1_3gpuE2ELNS1_3repE0EEENS1_30default_config_static_selectorELNS0_4arch9wavefront6targetE0EEEvT1_,"axG",@progbits,_ZN7rocprim17ROCPRIM_400000_NS6detail17trampoline_kernelINS0_14default_configENS1_27scan_by_key_config_selectorIijEEZZNS1_16scan_by_key_implILNS1_25lookback_scan_determinismE0ELb1ES3_N6thrust23THRUST_200600_302600_NS6detail15normal_iteratorINS9_10device_ptrIiEEEENSB_INSC_IjEEEESG_jNS9_4plusIvEENS9_8equal_toIvEEjEE10hipError_tPvRmT2_T3_T4_T5_mT6_T7_P12ihipStream_tbENKUlT_T0_E_clISt17integral_constantIbLb0EES11_EEDaSW_SX_EUlSW_E_NS1_11comp_targetILNS1_3genE8ELNS1_11target_archE1030ELNS1_3gpuE2ELNS1_3repE0EEENS1_30default_config_static_selectorELNS0_4arch9wavefront6targetE0EEEvT1_,comdat
.Lfunc_end1507:
	.size	_ZN7rocprim17ROCPRIM_400000_NS6detail17trampoline_kernelINS0_14default_configENS1_27scan_by_key_config_selectorIijEEZZNS1_16scan_by_key_implILNS1_25lookback_scan_determinismE0ELb1ES3_N6thrust23THRUST_200600_302600_NS6detail15normal_iteratorINS9_10device_ptrIiEEEENSB_INSC_IjEEEESG_jNS9_4plusIvEENS9_8equal_toIvEEjEE10hipError_tPvRmT2_T3_T4_T5_mT6_T7_P12ihipStream_tbENKUlT_T0_E_clISt17integral_constantIbLb0EES11_EEDaSW_SX_EUlSW_E_NS1_11comp_targetILNS1_3genE8ELNS1_11target_archE1030ELNS1_3gpuE2ELNS1_3repE0EEENS1_30default_config_static_selectorELNS0_4arch9wavefront6targetE0EEEvT1_, .Lfunc_end1507-_ZN7rocprim17ROCPRIM_400000_NS6detail17trampoline_kernelINS0_14default_configENS1_27scan_by_key_config_selectorIijEEZZNS1_16scan_by_key_implILNS1_25lookback_scan_determinismE0ELb1ES3_N6thrust23THRUST_200600_302600_NS6detail15normal_iteratorINS9_10device_ptrIiEEEENSB_INSC_IjEEEESG_jNS9_4plusIvEENS9_8equal_toIvEEjEE10hipError_tPvRmT2_T3_T4_T5_mT6_T7_P12ihipStream_tbENKUlT_T0_E_clISt17integral_constantIbLb0EES11_EEDaSW_SX_EUlSW_E_NS1_11comp_targetILNS1_3genE8ELNS1_11target_archE1030ELNS1_3gpuE2ELNS1_3repE0EEENS1_30default_config_static_selectorELNS0_4arch9wavefront6targetE0EEEvT1_
                                        ; -- End function
	.set _ZN7rocprim17ROCPRIM_400000_NS6detail17trampoline_kernelINS0_14default_configENS1_27scan_by_key_config_selectorIijEEZZNS1_16scan_by_key_implILNS1_25lookback_scan_determinismE0ELb1ES3_N6thrust23THRUST_200600_302600_NS6detail15normal_iteratorINS9_10device_ptrIiEEEENSB_INSC_IjEEEESG_jNS9_4plusIvEENS9_8equal_toIvEEjEE10hipError_tPvRmT2_T3_T4_T5_mT6_T7_P12ihipStream_tbENKUlT_T0_E_clISt17integral_constantIbLb0EES11_EEDaSW_SX_EUlSW_E_NS1_11comp_targetILNS1_3genE8ELNS1_11target_archE1030ELNS1_3gpuE2ELNS1_3repE0EEENS1_30default_config_static_selectorELNS0_4arch9wavefront6targetE0EEEvT1_.num_vgpr, 0
	.set _ZN7rocprim17ROCPRIM_400000_NS6detail17trampoline_kernelINS0_14default_configENS1_27scan_by_key_config_selectorIijEEZZNS1_16scan_by_key_implILNS1_25lookback_scan_determinismE0ELb1ES3_N6thrust23THRUST_200600_302600_NS6detail15normal_iteratorINS9_10device_ptrIiEEEENSB_INSC_IjEEEESG_jNS9_4plusIvEENS9_8equal_toIvEEjEE10hipError_tPvRmT2_T3_T4_T5_mT6_T7_P12ihipStream_tbENKUlT_T0_E_clISt17integral_constantIbLb0EES11_EEDaSW_SX_EUlSW_E_NS1_11comp_targetILNS1_3genE8ELNS1_11target_archE1030ELNS1_3gpuE2ELNS1_3repE0EEENS1_30default_config_static_selectorELNS0_4arch9wavefront6targetE0EEEvT1_.num_agpr, 0
	.set _ZN7rocprim17ROCPRIM_400000_NS6detail17trampoline_kernelINS0_14default_configENS1_27scan_by_key_config_selectorIijEEZZNS1_16scan_by_key_implILNS1_25lookback_scan_determinismE0ELb1ES3_N6thrust23THRUST_200600_302600_NS6detail15normal_iteratorINS9_10device_ptrIiEEEENSB_INSC_IjEEEESG_jNS9_4plusIvEENS9_8equal_toIvEEjEE10hipError_tPvRmT2_T3_T4_T5_mT6_T7_P12ihipStream_tbENKUlT_T0_E_clISt17integral_constantIbLb0EES11_EEDaSW_SX_EUlSW_E_NS1_11comp_targetILNS1_3genE8ELNS1_11target_archE1030ELNS1_3gpuE2ELNS1_3repE0EEENS1_30default_config_static_selectorELNS0_4arch9wavefront6targetE0EEEvT1_.numbered_sgpr, 0
	.set _ZN7rocprim17ROCPRIM_400000_NS6detail17trampoline_kernelINS0_14default_configENS1_27scan_by_key_config_selectorIijEEZZNS1_16scan_by_key_implILNS1_25lookback_scan_determinismE0ELb1ES3_N6thrust23THRUST_200600_302600_NS6detail15normal_iteratorINS9_10device_ptrIiEEEENSB_INSC_IjEEEESG_jNS9_4plusIvEENS9_8equal_toIvEEjEE10hipError_tPvRmT2_T3_T4_T5_mT6_T7_P12ihipStream_tbENKUlT_T0_E_clISt17integral_constantIbLb0EES11_EEDaSW_SX_EUlSW_E_NS1_11comp_targetILNS1_3genE8ELNS1_11target_archE1030ELNS1_3gpuE2ELNS1_3repE0EEENS1_30default_config_static_selectorELNS0_4arch9wavefront6targetE0EEEvT1_.num_named_barrier, 0
	.set _ZN7rocprim17ROCPRIM_400000_NS6detail17trampoline_kernelINS0_14default_configENS1_27scan_by_key_config_selectorIijEEZZNS1_16scan_by_key_implILNS1_25lookback_scan_determinismE0ELb1ES3_N6thrust23THRUST_200600_302600_NS6detail15normal_iteratorINS9_10device_ptrIiEEEENSB_INSC_IjEEEESG_jNS9_4plusIvEENS9_8equal_toIvEEjEE10hipError_tPvRmT2_T3_T4_T5_mT6_T7_P12ihipStream_tbENKUlT_T0_E_clISt17integral_constantIbLb0EES11_EEDaSW_SX_EUlSW_E_NS1_11comp_targetILNS1_3genE8ELNS1_11target_archE1030ELNS1_3gpuE2ELNS1_3repE0EEENS1_30default_config_static_selectorELNS0_4arch9wavefront6targetE0EEEvT1_.private_seg_size, 0
	.set _ZN7rocprim17ROCPRIM_400000_NS6detail17trampoline_kernelINS0_14default_configENS1_27scan_by_key_config_selectorIijEEZZNS1_16scan_by_key_implILNS1_25lookback_scan_determinismE0ELb1ES3_N6thrust23THRUST_200600_302600_NS6detail15normal_iteratorINS9_10device_ptrIiEEEENSB_INSC_IjEEEESG_jNS9_4plusIvEENS9_8equal_toIvEEjEE10hipError_tPvRmT2_T3_T4_T5_mT6_T7_P12ihipStream_tbENKUlT_T0_E_clISt17integral_constantIbLb0EES11_EEDaSW_SX_EUlSW_E_NS1_11comp_targetILNS1_3genE8ELNS1_11target_archE1030ELNS1_3gpuE2ELNS1_3repE0EEENS1_30default_config_static_selectorELNS0_4arch9wavefront6targetE0EEEvT1_.uses_vcc, 0
	.set _ZN7rocprim17ROCPRIM_400000_NS6detail17trampoline_kernelINS0_14default_configENS1_27scan_by_key_config_selectorIijEEZZNS1_16scan_by_key_implILNS1_25lookback_scan_determinismE0ELb1ES3_N6thrust23THRUST_200600_302600_NS6detail15normal_iteratorINS9_10device_ptrIiEEEENSB_INSC_IjEEEESG_jNS9_4plusIvEENS9_8equal_toIvEEjEE10hipError_tPvRmT2_T3_T4_T5_mT6_T7_P12ihipStream_tbENKUlT_T0_E_clISt17integral_constantIbLb0EES11_EEDaSW_SX_EUlSW_E_NS1_11comp_targetILNS1_3genE8ELNS1_11target_archE1030ELNS1_3gpuE2ELNS1_3repE0EEENS1_30default_config_static_selectorELNS0_4arch9wavefront6targetE0EEEvT1_.uses_flat_scratch, 0
	.set _ZN7rocprim17ROCPRIM_400000_NS6detail17trampoline_kernelINS0_14default_configENS1_27scan_by_key_config_selectorIijEEZZNS1_16scan_by_key_implILNS1_25lookback_scan_determinismE0ELb1ES3_N6thrust23THRUST_200600_302600_NS6detail15normal_iteratorINS9_10device_ptrIiEEEENSB_INSC_IjEEEESG_jNS9_4plusIvEENS9_8equal_toIvEEjEE10hipError_tPvRmT2_T3_T4_T5_mT6_T7_P12ihipStream_tbENKUlT_T0_E_clISt17integral_constantIbLb0EES11_EEDaSW_SX_EUlSW_E_NS1_11comp_targetILNS1_3genE8ELNS1_11target_archE1030ELNS1_3gpuE2ELNS1_3repE0EEENS1_30default_config_static_selectorELNS0_4arch9wavefront6targetE0EEEvT1_.has_dyn_sized_stack, 0
	.set _ZN7rocprim17ROCPRIM_400000_NS6detail17trampoline_kernelINS0_14default_configENS1_27scan_by_key_config_selectorIijEEZZNS1_16scan_by_key_implILNS1_25lookback_scan_determinismE0ELb1ES3_N6thrust23THRUST_200600_302600_NS6detail15normal_iteratorINS9_10device_ptrIiEEEENSB_INSC_IjEEEESG_jNS9_4plusIvEENS9_8equal_toIvEEjEE10hipError_tPvRmT2_T3_T4_T5_mT6_T7_P12ihipStream_tbENKUlT_T0_E_clISt17integral_constantIbLb0EES11_EEDaSW_SX_EUlSW_E_NS1_11comp_targetILNS1_3genE8ELNS1_11target_archE1030ELNS1_3gpuE2ELNS1_3repE0EEENS1_30default_config_static_selectorELNS0_4arch9wavefront6targetE0EEEvT1_.has_recursion, 0
	.set _ZN7rocprim17ROCPRIM_400000_NS6detail17trampoline_kernelINS0_14default_configENS1_27scan_by_key_config_selectorIijEEZZNS1_16scan_by_key_implILNS1_25lookback_scan_determinismE0ELb1ES3_N6thrust23THRUST_200600_302600_NS6detail15normal_iteratorINS9_10device_ptrIiEEEENSB_INSC_IjEEEESG_jNS9_4plusIvEENS9_8equal_toIvEEjEE10hipError_tPvRmT2_T3_T4_T5_mT6_T7_P12ihipStream_tbENKUlT_T0_E_clISt17integral_constantIbLb0EES11_EEDaSW_SX_EUlSW_E_NS1_11comp_targetILNS1_3genE8ELNS1_11target_archE1030ELNS1_3gpuE2ELNS1_3repE0EEENS1_30default_config_static_selectorELNS0_4arch9wavefront6targetE0EEEvT1_.has_indirect_call, 0
	.section	.AMDGPU.csdata,"",@progbits
; Kernel info:
; codeLenInByte = 0
; TotalNumSgprs: 0
; NumVgprs: 0
; ScratchSize: 0
; MemoryBound: 0
; FloatMode: 240
; IeeeMode: 1
; LDSByteSize: 0 bytes/workgroup (compile time only)
; SGPRBlocks: 0
; VGPRBlocks: 0
; NumSGPRsForWavesPerEU: 1
; NumVGPRsForWavesPerEU: 1
; NamedBarCnt: 0
; Occupancy: 16
; WaveLimiterHint : 0
; COMPUTE_PGM_RSRC2:SCRATCH_EN: 0
; COMPUTE_PGM_RSRC2:USER_SGPR: 2
; COMPUTE_PGM_RSRC2:TRAP_HANDLER: 0
; COMPUTE_PGM_RSRC2:TGID_X_EN: 1
; COMPUTE_PGM_RSRC2:TGID_Y_EN: 0
; COMPUTE_PGM_RSRC2:TGID_Z_EN: 0
; COMPUTE_PGM_RSRC2:TIDIG_COMP_CNT: 0
	.section	.text._ZN7rocprim17ROCPRIM_400000_NS6detail17trampoline_kernelINS0_14default_configENS1_27scan_by_key_config_selectorIijEEZZNS1_16scan_by_key_implILNS1_25lookback_scan_determinismE0ELb1ES3_N6thrust23THRUST_200600_302600_NS6detail15normal_iteratorINS9_10device_ptrIiEEEENSB_INSC_IjEEEESG_jNS9_4plusIvEENS9_8equal_toIvEEjEE10hipError_tPvRmT2_T3_T4_T5_mT6_T7_P12ihipStream_tbENKUlT_T0_E_clISt17integral_constantIbLb1EES11_EEDaSW_SX_EUlSW_E_NS1_11comp_targetILNS1_3genE0ELNS1_11target_archE4294967295ELNS1_3gpuE0ELNS1_3repE0EEENS1_30default_config_static_selectorELNS0_4arch9wavefront6targetE0EEEvT1_,"axG",@progbits,_ZN7rocprim17ROCPRIM_400000_NS6detail17trampoline_kernelINS0_14default_configENS1_27scan_by_key_config_selectorIijEEZZNS1_16scan_by_key_implILNS1_25lookback_scan_determinismE0ELb1ES3_N6thrust23THRUST_200600_302600_NS6detail15normal_iteratorINS9_10device_ptrIiEEEENSB_INSC_IjEEEESG_jNS9_4plusIvEENS9_8equal_toIvEEjEE10hipError_tPvRmT2_T3_T4_T5_mT6_T7_P12ihipStream_tbENKUlT_T0_E_clISt17integral_constantIbLb1EES11_EEDaSW_SX_EUlSW_E_NS1_11comp_targetILNS1_3genE0ELNS1_11target_archE4294967295ELNS1_3gpuE0ELNS1_3repE0EEENS1_30default_config_static_selectorELNS0_4arch9wavefront6targetE0EEEvT1_,comdat
	.protected	_ZN7rocprim17ROCPRIM_400000_NS6detail17trampoline_kernelINS0_14default_configENS1_27scan_by_key_config_selectorIijEEZZNS1_16scan_by_key_implILNS1_25lookback_scan_determinismE0ELb1ES3_N6thrust23THRUST_200600_302600_NS6detail15normal_iteratorINS9_10device_ptrIiEEEENSB_INSC_IjEEEESG_jNS9_4plusIvEENS9_8equal_toIvEEjEE10hipError_tPvRmT2_T3_T4_T5_mT6_T7_P12ihipStream_tbENKUlT_T0_E_clISt17integral_constantIbLb1EES11_EEDaSW_SX_EUlSW_E_NS1_11comp_targetILNS1_3genE0ELNS1_11target_archE4294967295ELNS1_3gpuE0ELNS1_3repE0EEENS1_30default_config_static_selectorELNS0_4arch9wavefront6targetE0EEEvT1_ ; -- Begin function _ZN7rocprim17ROCPRIM_400000_NS6detail17trampoline_kernelINS0_14default_configENS1_27scan_by_key_config_selectorIijEEZZNS1_16scan_by_key_implILNS1_25lookback_scan_determinismE0ELb1ES3_N6thrust23THRUST_200600_302600_NS6detail15normal_iteratorINS9_10device_ptrIiEEEENSB_INSC_IjEEEESG_jNS9_4plusIvEENS9_8equal_toIvEEjEE10hipError_tPvRmT2_T3_T4_T5_mT6_T7_P12ihipStream_tbENKUlT_T0_E_clISt17integral_constantIbLb1EES11_EEDaSW_SX_EUlSW_E_NS1_11comp_targetILNS1_3genE0ELNS1_11target_archE4294967295ELNS1_3gpuE0ELNS1_3repE0EEENS1_30default_config_static_selectorELNS0_4arch9wavefront6targetE0EEEvT1_
	.globl	_ZN7rocprim17ROCPRIM_400000_NS6detail17trampoline_kernelINS0_14default_configENS1_27scan_by_key_config_selectorIijEEZZNS1_16scan_by_key_implILNS1_25lookback_scan_determinismE0ELb1ES3_N6thrust23THRUST_200600_302600_NS6detail15normal_iteratorINS9_10device_ptrIiEEEENSB_INSC_IjEEEESG_jNS9_4plusIvEENS9_8equal_toIvEEjEE10hipError_tPvRmT2_T3_T4_T5_mT6_T7_P12ihipStream_tbENKUlT_T0_E_clISt17integral_constantIbLb1EES11_EEDaSW_SX_EUlSW_E_NS1_11comp_targetILNS1_3genE0ELNS1_11target_archE4294967295ELNS1_3gpuE0ELNS1_3repE0EEENS1_30default_config_static_selectorELNS0_4arch9wavefront6targetE0EEEvT1_
	.p2align	8
	.type	_ZN7rocprim17ROCPRIM_400000_NS6detail17trampoline_kernelINS0_14default_configENS1_27scan_by_key_config_selectorIijEEZZNS1_16scan_by_key_implILNS1_25lookback_scan_determinismE0ELb1ES3_N6thrust23THRUST_200600_302600_NS6detail15normal_iteratorINS9_10device_ptrIiEEEENSB_INSC_IjEEEESG_jNS9_4plusIvEENS9_8equal_toIvEEjEE10hipError_tPvRmT2_T3_T4_T5_mT6_T7_P12ihipStream_tbENKUlT_T0_E_clISt17integral_constantIbLb1EES11_EEDaSW_SX_EUlSW_E_NS1_11comp_targetILNS1_3genE0ELNS1_11target_archE4294967295ELNS1_3gpuE0ELNS1_3repE0EEENS1_30default_config_static_selectorELNS0_4arch9wavefront6targetE0EEEvT1_,@function
_ZN7rocprim17ROCPRIM_400000_NS6detail17trampoline_kernelINS0_14default_configENS1_27scan_by_key_config_selectorIijEEZZNS1_16scan_by_key_implILNS1_25lookback_scan_determinismE0ELb1ES3_N6thrust23THRUST_200600_302600_NS6detail15normal_iteratorINS9_10device_ptrIiEEEENSB_INSC_IjEEEESG_jNS9_4plusIvEENS9_8equal_toIvEEjEE10hipError_tPvRmT2_T3_T4_T5_mT6_T7_P12ihipStream_tbENKUlT_T0_E_clISt17integral_constantIbLb1EES11_EEDaSW_SX_EUlSW_E_NS1_11comp_targetILNS1_3genE0ELNS1_11target_archE4294967295ELNS1_3gpuE0ELNS1_3repE0EEENS1_30default_config_static_selectorELNS0_4arch9wavefront6targetE0EEEvT1_: ; @_ZN7rocprim17ROCPRIM_400000_NS6detail17trampoline_kernelINS0_14default_configENS1_27scan_by_key_config_selectorIijEEZZNS1_16scan_by_key_implILNS1_25lookback_scan_determinismE0ELb1ES3_N6thrust23THRUST_200600_302600_NS6detail15normal_iteratorINS9_10device_ptrIiEEEENSB_INSC_IjEEEESG_jNS9_4plusIvEENS9_8equal_toIvEEjEE10hipError_tPvRmT2_T3_T4_T5_mT6_T7_P12ihipStream_tbENKUlT_T0_E_clISt17integral_constantIbLb1EES11_EEDaSW_SX_EUlSW_E_NS1_11comp_targetILNS1_3genE0ELNS1_11target_archE4294967295ELNS1_3gpuE0ELNS1_3repE0EEENS1_30default_config_static_selectorELNS0_4arch9wavefront6targetE0EEEvT1_
; %bb.0:
	s_endpgm
	.section	.rodata,"a",@progbits
	.p2align	6, 0x0
	.amdhsa_kernel _ZN7rocprim17ROCPRIM_400000_NS6detail17trampoline_kernelINS0_14default_configENS1_27scan_by_key_config_selectorIijEEZZNS1_16scan_by_key_implILNS1_25lookback_scan_determinismE0ELb1ES3_N6thrust23THRUST_200600_302600_NS6detail15normal_iteratorINS9_10device_ptrIiEEEENSB_INSC_IjEEEESG_jNS9_4plusIvEENS9_8equal_toIvEEjEE10hipError_tPvRmT2_T3_T4_T5_mT6_T7_P12ihipStream_tbENKUlT_T0_E_clISt17integral_constantIbLb1EES11_EEDaSW_SX_EUlSW_E_NS1_11comp_targetILNS1_3genE0ELNS1_11target_archE4294967295ELNS1_3gpuE0ELNS1_3repE0EEENS1_30default_config_static_selectorELNS0_4arch9wavefront6targetE0EEEvT1_
		.amdhsa_group_segment_fixed_size 0
		.amdhsa_private_segment_fixed_size 0
		.amdhsa_kernarg_size 112
		.amdhsa_user_sgpr_count 2
		.amdhsa_user_sgpr_dispatch_ptr 0
		.amdhsa_user_sgpr_queue_ptr 0
		.amdhsa_user_sgpr_kernarg_segment_ptr 1
		.amdhsa_user_sgpr_dispatch_id 0
		.amdhsa_user_sgpr_kernarg_preload_length 0
		.amdhsa_user_sgpr_kernarg_preload_offset 0
		.amdhsa_user_sgpr_private_segment_size 0
		.amdhsa_wavefront_size32 1
		.amdhsa_uses_dynamic_stack 0
		.amdhsa_enable_private_segment 0
		.amdhsa_system_sgpr_workgroup_id_x 1
		.amdhsa_system_sgpr_workgroup_id_y 0
		.amdhsa_system_sgpr_workgroup_id_z 0
		.amdhsa_system_sgpr_workgroup_info 0
		.amdhsa_system_vgpr_workitem_id 0
		.amdhsa_next_free_vgpr 1
		.amdhsa_next_free_sgpr 1
		.amdhsa_named_barrier_count 0
		.amdhsa_reserve_vcc 0
		.amdhsa_float_round_mode_32 0
		.amdhsa_float_round_mode_16_64 0
		.amdhsa_float_denorm_mode_32 3
		.amdhsa_float_denorm_mode_16_64 3
		.amdhsa_fp16_overflow 0
		.amdhsa_memory_ordered 1
		.amdhsa_forward_progress 1
		.amdhsa_inst_pref_size 1
		.amdhsa_round_robin_scheduling 0
		.amdhsa_exception_fp_ieee_invalid_op 0
		.amdhsa_exception_fp_denorm_src 0
		.amdhsa_exception_fp_ieee_div_zero 0
		.amdhsa_exception_fp_ieee_overflow 0
		.amdhsa_exception_fp_ieee_underflow 0
		.amdhsa_exception_fp_ieee_inexact 0
		.amdhsa_exception_int_div_zero 0
	.end_amdhsa_kernel
	.section	.text._ZN7rocprim17ROCPRIM_400000_NS6detail17trampoline_kernelINS0_14default_configENS1_27scan_by_key_config_selectorIijEEZZNS1_16scan_by_key_implILNS1_25lookback_scan_determinismE0ELb1ES3_N6thrust23THRUST_200600_302600_NS6detail15normal_iteratorINS9_10device_ptrIiEEEENSB_INSC_IjEEEESG_jNS9_4plusIvEENS9_8equal_toIvEEjEE10hipError_tPvRmT2_T3_T4_T5_mT6_T7_P12ihipStream_tbENKUlT_T0_E_clISt17integral_constantIbLb1EES11_EEDaSW_SX_EUlSW_E_NS1_11comp_targetILNS1_3genE0ELNS1_11target_archE4294967295ELNS1_3gpuE0ELNS1_3repE0EEENS1_30default_config_static_selectorELNS0_4arch9wavefront6targetE0EEEvT1_,"axG",@progbits,_ZN7rocprim17ROCPRIM_400000_NS6detail17trampoline_kernelINS0_14default_configENS1_27scan_by_key_config_selectorIijEEZZNS1_16scan_by_key_implILNS1_25lookback_scan_determinismE0ELb1ES3_N6thrust23THRUST_200600_302600_NS6detail15normal_iteratorINS9_10device_ptrIiEEEENSB_INSC_IjEEEESG_jNS9_4plusIvEENS9_8equal_toIvEEjEE10hipError_tPvRmT2_T3_T4_T5_mT6_T7_P12ihipStream_tbENKUlT_T0_E_clISt17integral_constantIbLb1EES11_EEDaSW_SX_EUlSW_E_NS1_11comp_targetILNS1_3genE0ELNS1_11target_archE4294967295ELNS1_3gpuE0ELNS1_3repE0EEENS1_30default_config_static_selectorELNS0_4arch9wavefront6targetE0EEEvT1_,comdat
.Lfunc_end1508:
	.size	_ZN7rocprim17ROCPRIM_400000_NS6detail17trampoline_kernelINS0_14default_configENS1_27scan_by_key_config_selectorIijEEZZNS1_16scan_by_key_implILNS1_25lookback_scan_determinismE0ELb1ES3_N6thrust23THRUST_200600_302600_NS6detail15normal_iteratorINS9_10device_ptrIiEEEENSB_INSC_IjEEEESG_jNS9_4plusIvEENS9_8equal_toIvEEjEE10hipError_tPvRmT2_T3_T4_T5_mT6_T7_P12ihipStream_tbENKUlT_T0_E_clISt17integral_constantIbLb1EES11_EEDaSW_SX_EUlSW_E_NS1_11comp_targetILNS1_3genE0ELNS1_11target_archE4294967295ELNS1_3gpuE0ELNS1_3repE0EEENS1_30default_config_static_selectorELNS0_4arch9wavefront6targetE0EEEvT1_, .Lfunc_end1508-_ZN7rocprim17ROCPRIM_400000_NS6detail17trampoline_kernelINS0_14default_configENS1_27scan_by_key_config_selectorIijEEZZNS1_16scan_by_key_implILNS1_25lookback_scan_determinismE0ELb1ES3_N6thrust23THRUST_200600_302600_NS6detail15normal_iteratorINS9_10device_ptrIiEEEENSB_INSC_IjEEEESG_jNS9_4plusIvEENS9_8equal_toIvEEjEE10hipError_tPvRmT2_T3_T4_T5_mT6_T7_P12ihipStream_tbENKUlT_T0_E_clISt17integral_constantIbLb1EES11_EEDaSW_SX_EUlSW_E_NS1_11comp_targetILNS1_3genE0ELNS1_11target_archE4294967295ELNS1_3gpuE0ELNS1_3repE0EEENS1_30default_config_static_selectorELNS0_4arch9wavefront6targetE0EEEvT1_
                                        ; -- End function
	.set _ZN7rocprim17ROCPRIM_400000_NS6detail17trampoline_kernelINS0_14default_configENS1_27scan_by_key_config_selectorIijEEZZNS1_16scan_by_key_implILNS1_25lookback_scan_determinismE0ELb1ES3_N6thrust23THRUST_200600_302600_NS6detail15normal_iteratorINS9_10device_ptrIiEEEENSB_INSC_IjEEEESG_jNS9_4plusIvEENS9_8equal_toIvEEjEE10hipError_tPvRmT2_T3_T4_T5_mT6_T7_P12ihipStream_tbENKUlT_T0_E_clISt17integral_constantIbLb1EES11_EEDaSW_SX_EUlSW_E_NS1_11comp_targetILNS1_3genE0ELNS1_11target_archE4294967295ELNS1_3gpuE0ELNS1_3repE0EEENS1_30default_config_static_selectorELNS0_4arch9wavefront6targetE0EEEvT1_.num_vgpr, 0
	.set _ZN7rocprim17ROCPRIM_400000_NS6detail17trampoline_kernelINS0_14default_configENS1_27scan_by_key_config_selectorIijEEZZNS1_16scan_by_key_implILNS1_25lookback_scan_determinismE0ELb1ES3_N6thrust23THRUST_200600_302600_NS6detail15normal_iteratorINS9_10device_ptrIiEEEENSB_INSC_IjEEEESG_jNS9_4plusIvEENS9_8equal_toIvEEjEE10hipError_tPvRmT2_T3_T4_T5_mT6_T7_P12ihipStream_tbENKUlT_T0_E_clISt17integral_constantIbLb1EES11_EEDaSW_SX_EUlSW_E_NS1_11comp_targetILNS1_3genE0ELNS1_11target_archE4294967295ELNS1_3gpuE0ELNS1_3repE0EEENS1_30default_config_static_selectorELNS0_4arch9wavefront6targetE0EEEvT1_.num_agpr, 0
	.set _ZN7rocprim17ROCPRIM_400000_NS6detail17trampoline_kernelINS0_14default_configENS1_27scan_by_key_config_selectorIijEEZZNS1_16scan_by_key_implILNS1_25lookback_scan_determinismE0ELb1ES3_N6thrust23THRUST_200600_302600_NS6detail15normal_iteratorINS9_10device_ptrIiEEEENSB_INSC_IjEEEESG_jNS9_4plusIvEENS9_8equal_toIvEEjEE10hipError_tPvRmT2_T3_T4_T5_mT6_T7_P12ihipStream_tbENKUlT_T0_E_clISt17integral_constantIbLb1EES11_EEDaSW_SX_EUlSW_E_NS1_11comp_targetILNS1_3genE0ELNS1_11target_archE4294967295ELNS1_3gpuE0ELNS1_3repE0EEENS1_30default_config_static_selectorELNS0_4arch9wavefront6targetE0EEEvT1_.numbered_sgpr, 0
	.set _ZN7rocprim17ROCPRIM_400000_NS6detail17trampoline_kernelINS0_14default_configENS1_27scan_by_key_config_selectorIijEEZZNS1_16scan_by_key_implILNS1_25lookback_scan_determinismE0ELb1ES3_N6thrust23THRUST_200600_302600_NS6detail15normal_iteratorINS9_10device_ptrIiEEEENSB_INSC_IjEEEESG_jNS9_4plusIvEENS9_8equal_toIvEEjEE10hipError_tPvRmT2_T3_T4_T5_mT6_T7_P12ihipStream_tbENKUlT_T0_E_clISt17integral_constantIbLb1EES11_EEDaSW_SX_EUlSW_E_NS1_11comp_targetILNS1_3genE0ELNS1_11target_archE4294967295ELNS1_3gpuE0ELNS1_3repE0EEENS1_30default_config_static_selectorELNS0_4arch9wavefront6targetE0EEEvT1_.num_named_barrier, 0
	.set _ZN7rocprim17ROCPRIM_400000_NS6detail17trampoline_kernelINS0_14default_configENS1_27scan_by_key_config_selectorIijEEZZNS1_16scan_by_key_implILNS1_25lookback_scan_determinismE0ELb1ES3_N6thrust23THRUST_200600_302600_NS6detail15normal_iteratorINS9_10device_ptrIiEEEENSB_INSC_IjEEEESG_jNS9_4plusIvEENS9_8equal_toIvEEjEE10hipError_tPvRmT2_T3_T4_T5_mT6_T7_P12ihipStream_tbENKUlT_T0_E_clISt17integral_constantIbLb1EES11_EEDaSW_SX_EUlSW_E_NS1_11comp_targetILNS1_3genE0ELNS1_11target_archE4294967295ELNS1_3gpuE0ELNS1_3repE0EEENS1_30default_config_static_selectorELNS0_4arch9wavefront6targetE0EEEvT1_.private_seg_size, 0
	.set _ZN7rocprim17ROCPRIM_400000_NS6detail17trampoline_kernelINS0_14default_configENS1_27scan_by_key_config_selectorIijEEZZNS1_16scan_by_key_implILNS1_25lookback_scan_determinismE0ELb1ES3_N6thrust23THRUST_200600_302600_NS6detail15normal_iteratorINS9_10device_ptrIiEEEENSB_INSC_IjEEEESG_jNS9_4plusIvEENS9_8equal_toIvEEjEE10hipError_tPvRmT2_T3_T4_T5_mT6_T7_P12ihipStream_tbENKUlT_T0_E_clISt17integral_constantIbLb1EES11_EEDaSW_SX_EUlSW_E_NS1_11comp_targetILNS1_3genE0ELNS1_11target_archE4294967295ELNS1_3gpuE0ELNS1_3repE0EEENS1_30default_config_static_selectorELNS0_4arch9wavefront6targetE0EEEvT1_.uses_vcc, 0
	.set _ZN7rocprim17ROCPRIM_400000_NS6detail17trampoline_kernelINS0_14default_configENS1_27scan_by_key_config_selectorIijEEZZNS1_16scan_by_key_implILNS1_25lookback_scan_determinismE0ELb1ES3_N6thrust23THRUST_200600_302600_NS6detail15normal_iteratorINS9_10device_ptrIiEEEENSB_INSC_IjEEEESG_jNS9_4plusIvEENS9_8equal_toIvEEjEE10hipError_tPvRmT2_T3_T4_T5_mT6_T7_P12ihipStream_tbENKUlT_T0_E_clISt17integral_constantIbLb1EES11_EEDaSW_SX_EUlSW_E_NS1_11comp_targetILNS1_3genE0ELNS1_11target_archE4294967295ELNS1_3gpuE0ELNS1_3repE0EEENS1_30default_config_static_selectorELNS0_4arch9wavefront6targetE0EEEvT1_.uses_flat_scratch, 0
	.set _ZN7rocprim17ROCPRIM_400000_NS6detail17trampoline_kernelINS0_14default_configENS1_27scan_by_key_config_selectorIijEEZZNS1_16scan_by_key_implILNS1_25lookback_scan_determinismE0ELb1ES3_N6thrust23THRUST_200600_302600_NS6detail15normal_iteratorINS9_10device_ptrIiEEEENSB_INSC_IjEEEESG_jNS9_4plusIvEENS9_8equal_toIvEEjEE10hipError_tPvRmT2_T3_T4_T5_mT6_T7_P12ihipStream_tbENKUlT_T0_E_clISt17integral_constantIbLb1EES11_EEDaSW_SX_EUlSW_E_NS1_11comp_targetILNS1_3genE0ELNS1_11target_archE4294967295ELNS1_3gpuE0ELNS1_3repE0EEENS1_30default_config_static_selectorELNS0_4arch9wavefront6targetE0EEEvT1_.has_dyn_sized_stack, 0
	.set _ZN7rocprim17ROCPRIM_400000_NS6detail17trampoline_kernelINS0_14default_configENS1_27scan_by_key_config_selectorIijEEZZNS1_16scan_by_key_implILNS1_25lookback_scan_determinismE0ELb1ES3_N6thrust23THRUST_200600_302600_NS6detail15normal_iteratorINS9_10device_ptrIiEEEENSB_INSC_IjEEEESG_jNS9_4plusIvEENS9_8equal_toIvEEjEE10hipError_tPvRmT2_T3_T4_T5_mT6_T7_P12ihipStream_tbENKUlT_T0_E_clISt17integral_constantIbLb1EES11_EEDaSW_SX_EUlSW_E_NS1_11comp_targetILNS1_3genE0ELNS1_11target_archE4294967295ELNS1_3gpuE0ELNS1_3repE0EEENS1_30default_config_static_selectorELNS0_4arch9wavefront6targetE0EEEvT1_.has_recursion, 0
	.set _ZN7rocprim17ROCPRIM_400000_NS6detail17trampoline_kernelINS0_14default_configENS1_27scan_by_key_config_selectorIijEEZZNS1_16scan_by_key_implILNS1_25lookback_scan_determinismE0ELb1ES3_N6thrust23THRUST_200600_302600_NS6detail15normal_iteratorINS9_10device_ptrIiEEEENSB_INSC_IjEEEESG_jNS9_4plusIvEENS9_8equal_toIvEEjEE10hipError_tPvRmT2_T3_T4_T5_mT6_T7_P12ihipStream_tbENKUlT_T0_E_clISt17integral_constantIbLb1EES11_EEDaSW_SX_EUlSW_E_NS1_11comp_targetILNS1_3genE0ELNS1_11target_archE4294967295ELNS1_3gpuE0ELNS1_3repE0EEENS1_30default_config_static_selectorELNS0_4arch9wavefront6targetE0EEEvT1_.has_indirect_call, 0
	.section	.AMDGPU.csdata,"",@progbits
; Kernel info:
; codeLenInByte = 4
; TotalNumSgprs: 0
; NumVgprs: 0
; ScratchSize: 0
; MemoryBound: 0
; FloatMode: 240
; IeeeMode: 1
; LDSByteSize: 0 bytes/workgroup (compile time only)
; SGPRBlocks: 0
; VGPRBlocks: 0
; NumSGPRsForWavesPerEU: 1
; NumVGPRsForWavesPerEU: 1
; NamedBarCnt: 0
; Occupancy: 16
; WaveLimiterHint : 0
; COMPUTE_PGM_RSRC2:SCRATCH_EN: 0
; COMPUTE_PGM_RSRC2:USER_SGPR: 2
; COMPUTE_PGM_RSRC2:TRAP_HANDLER: 0
; COMPUTE_PGM_RSRC2:TGID_X_EN: 1
; COMPUTE_PGM_RSRC2:TGID_Y_EN: 0
; COMPUTE_PGM_RSRC2:TGID_Z_EN: 0
; COMPUTE_PGM_RSRC2:TIDIG_COMP_CNT: 0
	.section	.text._ZN7rocprim17ROCPRIM_400000_NS6detail17trampoline_kernelINS0_14default_configENS1_27scan_by_key_config_selectorIijEEZZNS1_16scan_by_key_implILNS1_25lookback_scan_determinismE0ELb1ES3_N6thrust23THRUST_200600_302600_NS6detail15normal_iteratorINS9_10device_ptrIiEEEENSB_INSC_IjEEEESG_jNS9_4plusIvEENS9_8equal_toIvEEjEE10hipError_tPvRmT2_T3_T4_T5_mT6_T7_P12ihipStream_tbENKUlT_T0_E_clISt17integral_constantIbLb1EES11_EEDaSW_SX_EUlSW_E_NS1_11comp_targetILNS1_3genE10ELNS1_11target_archE1201ELNS1_3gpuE5ELNS1_3repE0EEENS1_30default_config_static_selectorELNS0_4arch9wavefront6targetE0EEEvT1_,"axG",@progbits,_ZN7rocprim17ROCPRIM_400000_NS6detail17trampoline_kernelINS0_14default_configENS1_27scan_by_key_config_selectorIijEEZZNS1_16scan_by_key_implILNS1_25lookback_scan_determinismE0ELb1ES3_N6thrust23THRUST_200600_302600_NS6detail15normal_iteratorINS9_10device_ptrIiEEEENSB_INSC_IjEEEESG_jNS9_4plusIvEENS9_8equal_toIvEEjEE10hipError_tPvRmT2_T3_T4_T5_mT6_T7_P12ihipStream_tbENKUlT_T0_E_clISt17integral_constantIbLb1EES11_EEDaSW_SX_EUlSW_E_NS1_11comp_targetILNS1_3genE10ELNS1_11target_archE1201ELNS1_3gpuE5ELNS1_3repE0EEENS1_30default_config_static_selectorELNS0_4arch9wavefront6targetE0EEEvT1_,comdat
	.protected	_ZN7rocprim17ROCPRIM_400000_NS6detail17trampoline_kernelINS0_14default_configENS1_27scan_by_key_config_selectorIijEEZZNS1_16scan_by_key_implILNS1_25lookback_scan_determinismE0ELb1ES3_N6thrust23THRUST_200600_302600_NS6detail15normal_iteratorINS9_10device_ptrIiEEEENSB_INSC_IjEEEESG_jNS9_4plusIvEENS9_8equal_toIvEEjEE10hipError_tPvRmT2_T3_T4_T5_mT6_T7_P12ihipStream_tbENKUlT_T0_E_clISt17integral_constantIbLb1EES11_EEDaSW_SX_EUlSW_E_NS1_11comp_targetILNS1_3genE10ELNS1_11target_archE1201ELNS1_3gpuE5ELNS1_3repE0EEENS1_30default_config_static_selectorELNS0_4arch9wavefront6targetE0EEEvT1_ ; -- Begin function _ZN7rocprim17ROCPRIM_400000_NS6detail17trampoline_kernelINS0_14default_configENS1_27scan_by_key_config_selectorIijEEZZNS1_16scan_by_key_implILNS1_25lookback_scan_determinismE0ELb1ES3_N6thrust23THRUST_200600_302600_NS6detail15normal_iteratorINS9_10device_ptrIiEEEENSB_INSC_IjEEEESG_jNS9_4plusIvEENS9_8equal_toIvEEjEE10hipError_tPvRmT2_T3_T4_T5_mT6_T7_P12ihipStream_tbENKUlT_T0_E_clISt17integral_constantIbLb1EES11_EEDaSW_SX_EUlSW_E_NS1_11comp_targetILNS1_3genE10ELNS1_11target_archE1201ELNS1_3gpuE5ELNS1_3repE0EEENS1_30default_config_static_selectorELNS0_4arch9wavefront6targetE0EEEvT1_
	.globl	_ZN7rocprim17ROCPRIM_400000_NS6detail17trampoline_kernelINS0_14default_configENS1_27scan_by_key_config_selectorIijEEZZNS1_16scan_by_key_implILNS1_25lookback_scan_determinismE0ELb1ES3_N6thrust23THRUST_200600_302600_NS6detail15normal_iteratorINS9_10device_ptrIiEEEENSB_INSC_IjEEEESG_jNS9_4plusIvEENS9_8equal_toIvEEjEE10hipError_tPvRmT2_T3_T4_T5_mT6_T7_P12ihipStream_tbENKUlT_T0_E_clISt17integral_constantIbLb1EES11_EEDaSW_SX_EUlSW_E_NS1_11comp_targetILNS1_3genE10ELNS1_11target_archE1201ELNS1_3gpuE5ELNS1_3repE0EEENS1_30default_config_static_selectorELNS0_4arch9wavefront6targetE0EEEvT1_
	.p2align	8
	.type	_ZN7rocprim17ROCPRIM_400000_NS6detail17trampoline_kernelINS0_14default_configENS1_27scan_by_key_config_selectorIijEEZZNS1_16scan_by_key_implILNS1_25lookback_scan_determinismE0ELb1ES3_N6thrust23THRUST_200600_302600_NS6detail15normal_iteratorINS9_10device_ptrIiEEEENSB_INSC_IjEEEESG_jNS9_4plusIvEENS9_8equal_toIvEEjEE10hipError_tPvRmT2_T3_T4_T5_mT6_T7_P12ihipStream_tbENKUlT_T0_E_clISt17integral_constantIbLb1EES11_EEDaSW_SX_EUlSW_E_NS1_11comp_targetILNS1_3genE10ELNS1_11target_archE1201ELNS1_3gpuE5ELNS1_3repE0EEENS1_30default_config_static_selectorELNS0_4arch9wavefront6targetE0EEEvT1_,@function
_ZN7rocprim17ROCPRIM_400000_NS6detail17trampoline_kernelINS0_14default_configENS1_27scan_by_key_config_selectorIijEEZZNS1_16scan_by_key_implILNS1_25lookback_scan_determinismE0ELb1ES3_N6thrust23THRUST_200600_302600_NS6detail15normal_iteratorINS9_10device_ptrIiEEEENSB_INSC_IjEEEESG_jNS9_4plusIvEENS9_8equal_toIvEEjEE10hipError_tPvRmT2_T3_T4_T5_mT6_T7_P12ihipStream_tbENKUlT_T0_E_clISt17integral_constantIbLb1EES11_EEDaSW_SX_EUlSW_E_NS1_11comp_targetILNS1_3genE10ELNS1_11target_archE1201ELNS1_3gpuE5ELNS1_3repE0EEENS1_30default_config_static_selectorELNS0_4arch9wavefront6targetE0EEEvT1_: ; @_ZN7rocprim17ROCPRIM_400000_NS6detail17trampoline_kernelINS0_14default_configENS1_27scan_by_key_config_selectorIijEEZZNS1_16scan_by_key_implILNS1_25lookback_scan_determinismE0ELb1ES3_N6thrust23THRUST_200600_302600_NS6detail15normal_iteratorINS9_10device_ptrIiEEEENSB_INSC_IjEEEESG_jNS9_4plusIvEENS9_8equal_toIvEEjEE10hipError_tPvRmT2_T3_T4_T5_mT6_T7_P12ihipStream_tbENKUlT_T0_E_clISt17integral_constantIbLb1EES11_EEDaSW_SX_EUlSW_E_NS1_11comp_targetILNS1_3genE10ELNS1_11target_archE1201ELNS1_3gpuE5ELNS1_3repE0EEENS1_30default_config_static_selectorELNS0_4arch9wavefront6targetE0EEEvT1_
; %bb.0:
	.section	.rodata,"a",@progbits
	.p2align	6, 0x0
	.amdhsa_kernel _ZN7rocprim17ROCPRIM_400000_NS6detail17trampoline_kernelINS0_14default_configENS1_27scan_by_key_config_selectorIijEEZZNS1_16scan_by_key_implILNS1_25lookback_scan_determinismE0ELb1ES3_N6thrust23THRUST_200600_302600_NS6detail15normal_iteratorINS9_10device_ptrIiEEEENSB_INSC_IjEEEESG_jNS9_4plusIvEENS9_8equal_toIvEEjEE10hipError_tPvRmT2_T3_T4_T5_mT6_T7_P12ihipStream_tbENKUlT_T0_E_clISt17integral_constantIbLb1EES11_EEDaSW_SX_EUlSW_E_NS1_11comp_targetILNS1_3genE10ELNS1_11target_archE1201ELNS1_3gpuE5ELNS1_3repE0EEENS1_30default_config_static_selectorELNS0_4arch9wavefront6targetE0EEEvT1_
		.amdhsa_group_segment_fixed_size 0
		.amdhsa_private_segment_fixed_size 0
		.amdhsa_kernarg_size 112
		.amdhsa_user_sgpr_count 2
		.amdhsa_user_sgpr_dispatch_ptr 0
		.amdhsa_user_sgpr_queue_ptr 0
		.amdhsa_user_sgpr_kernarg_segment_ptr 1
		.amdhsa_user_sgpr_dispatch_id 0
		.amdhsa_user_sgpr_kernarg_preload_length 0
		.amdhsa_user_sgpr_kernarg_preload_offset 0
		.amdhsa_user_sgpr_private_segment_size 0
		.amdhsa_wavefront_size32 1
		.amdhsa_uses_dynamic_stack 0
		.amdhsa_enable_private_segment 0
		.amdhsa_system_sgpr_workgroup_id_x 1
		.amdhsa_system_sgpr_workgroup_id_y 0
		.amdhsa_system_sgpr_workgroup_id_z 0
		.amdhsa_system_sgpr_workgroup_info 0
		.amdhsa_system_vgpr_workitem_id 0
		.amdhsa_next_free_vgpr 1
		.amdhsa_next_free_sgpr 1
		.amdhsa_named_barrier_count 0
		.amdhsa_reserve_vcc 0
		.amdhsa_float_round_mode_32 0
		.amdhsa_float_round_mode_16_64 0
		.amdhsa_float_denorm_mode_32 3
		.amdhsa_float_denorm_mode_16_64 3
		.amdhsa_fp16_overflow 0
		.amdhsa_memory_ordered 1
		.amdhsa_forward_progress 1
		.amdhsa_inst_pref_size 0
		.amdhsa_round_robin_scheduling 0
		.amdhsa_exception_fp_ieee_invalid_op 0
		.amdhsa_exception_fp_denorm_src 0
		.amdhsa_exception_fp_ieee_div_zero 0
		.amdhsa_exception_fp_ieee_overflow 0
		.amdhsa_exception_fp_ieee_underflow 0
		.amdhsa_exception_fp_ieee_inexact 0
		.amdhsa_exception_int_div_zero 0
	.end_amdhsa_kernel
	.section	.text._ZN7rocprim17ROCPRIM_400000_NS6detail17trampoline_kernelINS0_14default_configENS1_27scan_by_key_config_selectorIijEEZZNS1_16scan_by_key_implILNS1_25lookback_scan_determinismE0ELb1ES3_N6thrust23THRUST_200600_302600_NS6detail15normal_iteratorINS9_10device_ptrIiEEEENSB_INSC_IjEEEESG_jNS9_4plusIvEENS9_8equal_toIvEEjEE10hipError_tPvRmT2_T3_T4_T5_mT6_T7_P12ihipStream_tbENKUlT_T0_E_clISt17integral_constantIbLb1EES11_EEDaSW_SX_EUlSW_E_NS1_11comp_targetILNS1_3genE10ELNS1_11target_archE1201ELNS1_3gpuE5ELNS1_3repE0EEENS1_30default_config_static_selectorELNS0_4arch9wavefront6targetE0EEEvT1_,"axG",@progbits,_ZN7rocprim17ROCPRIM_400000_NS6detail17trampoline_kernelINS0_14default_configENS1_27scan_by_key_config_selectorIijEEZZNS1_16scan_by_key_implILNS1_25lookback_scan_determinismE0ELb1ES3_N6thrust23THRUST_200600_302600_NS6detail15normal_iteratorINS9_10device_ptrIiEEEENSB_INSC_IjEEEESG_jNS9_4plusIvEENS9_8equal_toIvEEjEE10hipError_tPvRmT2_T3_T4_T5_mT6_T7_P12ihipStream_tbENKUlT_T0_E_clISt17integral_constantIbLb1EES11_EEDaSW_SX_EUlSW_E_NS1_11comp_targetILNS1_3genE10ELNS1_11target_archE1201ELNS1_3gpuE5ELNS1_3repE0EEENS1_30default_config_static_selectorELNS0_4arch9wavefront6targetE0EEEvT1_,comdat
.Lfunc_end1509:
	.size	_ZN7rocprim17ROCPRIM_400000_NS6detail17trampoline_kernelINS0_14default_configENS1_27scan_by_key_config_selectorIijEEZZNS1_16scan_by_key_implILNS1_25lookback_scan_determinismE0ELb1ES3_N6thrust23THRUST_200600_302600_NS6detail15normal_iteratorINS9_10device_ptrIiEEEENSB_INSC_IjEEEESG_jNS9_4plusIvEENS9_8equal_toIvEEjEE10hipError_tPvRmT2_T3_T4_T5_mT6_T7_P12ihipStream_tbENKUlT_T0_E_clISt17integral_constantIbLb1EES11_EEDaSW_SX_EUlSW_E_NS1_11comp_targetILNS1_3genE10ELNS1_11target_archE1201ELNS1_3gpuE5ELNS1_3repE0EEENS1_30default_config_static_selectorELNS0_4arch9wavefront6targetE0EEEvT1_, .Lfunc_end1509-_ZN7rocprim17ROCPRIM_400000_NS6detail17trampoline_kernelINS0_14default_configENS1_27scan_by_key_config_selectorIijEEZZNS1_16scan_by_key_implILNS1_25lookback_scan_determinismE0ELb1ES3_N6thrust23THRUST_200600_302600_NS6detail15normal_iteratorINS9_10device_ptrIiEEEENSB_INSC_IjEEEESG_jNS9_4plusIvEENS9_8equal_toIvEEjEE10hipError_tPvRmT2_T3_T4_T5_mT6_T7_P12ihipStream_tbENKUlT_T0_E_clISt17integral_constantIbLb1EES11_EEDaSW_SX_EUlSW_E_NS1_11comp_targetILNS1_3genE10ELNS1_11target_archE1201ELNS1_3gpuE5ELNS1_3repE0EEENS1_30default_config_static_selectorELNS0_4arch9wavefront6targetE0EEEvT1_
                                        ; -- End function
	.set _ZN7rocprim17ROCPRIM_400000_NS6detail17trampoline_kernelINS0_14default_configENS1_27scan_by_key_config_selectorIijEEZZNS1_16scan_by_key_implILNS1_25lookback_scan_determinismE0ELb1ES3_N6thrust23THRUST_200600_302600_NS6detail15normal_iteratorINS9_10device_ptrIiEEEENSB_INSC_IjEEEESG_jNS9_4plusIvEENS9_8equal_toIvEEjEE10hipError_tPvRmT2_T3_T4_T5_mT6_T7_P12ihipStream_tbENKUlT_T0_E_clISt17integral_constantIbLb1EES11_EEDaSW_SX_EUlSW_E_NS1_11comp_targetILNS1_3genE10ELNS1_11target_archE1201ELNS1_3gpuE5ELNS1_3repE0EEENS1_30default_config_static_selectorELNS0_4arch9wavefront6targetE0EEEvT1_.num_vgpr, 0
	.set _ZN7rocprim17ROCPRIM_400000_NS6detail17trampoline_kernelINS0_14default_configENS1_27scan_by_key_config_selectorIijEEZZNS1_16scan_by_key_implILNS1_25lookback_scan_determinismE0ELb1ES3_N6thrust23THRUST_200600_302600_NS6detail15normal_iteratorINS9_10device_ptrIiEEEENSB_INSC_IjEEEESG_jNS9_4plusIvEENS9_8equal_toIvEEjEE10hipError_tPvRmT2_T3_T4_T5_mT6_T7_P12ihipStream_tbENKUlT_T0_E_clISt17integral_constantIbLb1EES11_EEDaSW_SX_EUlSW_E_NS1_11comp_targetILNS1_3genE10ELNS1_11target_archE1201ELNS1_3gpuE5ELNS1_3repE0EEENS1_30default_config_static_selectorELNS0_4arch9wavefront6targetE0EEEvT1_.num_agpr, 0
	.set _ZN7rocprim17ROCPRIM_400000_NS6detail17trampoline_kernelINS0_14default_configENS1_27scan_by_key_config_selectorIijEEZZNS1_16scan_by_key_implILNS1_25lookback_scan_determinismE0ELb1ES3_N6thrust23THRUST_200600_302600_NS6detail15normal_iteratorINS9_10device_ptrIiEEEENSB_INSC_IjEEEESG_jNS9_4plusIvEENS9_8equal_toIvEEjEE10hipError_tPvRmT2_T3_T4_T5_mT6_T7_P12ihipStream_tbENKUlT_T0_E_clISt17integral_constantIbLb1EES11_EEDaSW_SX_EUlSW_E_NS1_11comp_targetILNS1_3genE10ELNS1_11target_archE1201ELNS1_3gpuE5ELNS1_3repE0EEENS1_30default_config_static_selectorELNS0_4arch9wavefront6targetE0EEEvT1_.numbered_sgpr, 0
	.set _ZN7rocprim17ROCPRIM_400000_NS6detail17trampoline_kernelINS0_14default_configENS1_27scan_by_key_config_selectorIijEEZZNS1_16scan_by_key_implILNS1_25lookback_scan_determinismE0ELb1ES3_N6thrust23THRUST_200600_302600_NS6detail15normal_iteratorINS9_10device_ptrIiEEEENSB_INSC_IjEEEESG_jNS9_4plusIvEENS9_8equal_toIvEEjEE10hipError_tPvRmT2_T3_T4_T5_mT6_T7_P12ihipStream_tbENKUlT_T0_E_clISt17integral_constantIbLb1EES11_EEDaSW_SX_EUlSW_E_NS1_11comp_targetILNS1_3genE10ELNS1_11target_archE1201ELNS1_3gpuE5ELNS1_3repE0EEENS1_30default_config_static_selectorELNS0_4arch9wavefront6targetE0EEEvT1_.num_named_barrier, 0
	.set _ZN7rocprim17ROCPRIM_400000_NS6detail17trampoline_kernelINS0_14default_configENS1_27scan_by_key_config_selectorIijEEZZNS1_16scan_by_key_implILNS1_25lookback_scan_determinismE0ELb1ES3_N6thrust23THRUST_200600_302600_NS6detail15normal_iteratorINS9_10device_ptrIiEEEENSB_INSC_IjEEEESG_jNS9_4plusIvEENS9_8equal_toIvEEjEE10hipError_tPvRmT2_T3_T4_T5_mT6_T7_P12ihipStream_tbENKUlT_T0_E_clISt17integral_constantIbLb1EES11_EEDaSW_SX_EUlSW_E_NS1_11comp_targetILNS1_3genE10ELNS1_11target_archE1201ELNS1_3gpuE5ELNS1_3repE0EEENS1_30default_config_static_selectorELNS0_4arch9wavefront6targetE0EEEvT1_.private_seg_size, 0
	.set _ZN7rocprim17ROCPRIM_400000_NS6detail17trampoline_kernelINS0_14default_configENS1_27scan_by_key_config_selectorIijEEZZNS1_16scan_by_key_implILNS1_25lookback_scan_determinismE0ELb1ES3_N6thrust23THRUST_200600_302600_NS6detail15normal_iteratorINS9_10device_ptrIiEEEENSB_INSC_IjEEEESG_jNS9_4plusIvEENS9_8equal_toIvEEjEE10hipError_tPvRmT2_T3_T4_T5_mT6_T7_P12ihipStream_tbENKUlT_T0_E_clISt17integral_constantIbLb1EES11_EEDaSW_SX_EUlSW_E_NS1_11comp_targetILNS1_3genE10ELNS1_11target_archE1201ELNS1_3gpuE5ELNS1_3repE0EEENS1_30default_config_static_selectorELNS0_4arch9wavefront6targetE0EEEvT1_.uses_vcc, 0
	.set _ZN7rocprim17ROCPRIM_400000_NS6detail17trampoline_kernelINS0_14default_configENS1_27scan_by_key_config_selectorIijEEZZNS1_16scan_by_key_implILNS1_25lookback_scan_determinismE0ELb1ES3_N6thrust23THRUST_200600_302600_NS6detail15normal_iteratorINS9_10device_ptrIiEEEENSB_INSC_IjEEEESG_jNS9_4plusIvEENS9_8equal_toIvEEjEE10hipError_tPvRmT2_T3_T4_T5_mT6_T7_P12ihipStream_tbENKUlT_T0_E_clISt17integral_constantIbLb1EES11_EEDaSW_SX_EUlSW_E_NS1_11comp_targetILNS1_3genE10ELNS1_11target_archE1201ELNS1_3gpuE5ELNS1_3repE0EEENS1_30default_config_static_selectorELNS0_4arch9wavefront6targetE0EEEvT1_.uses_flat_scratch, 0
	.set _ZN7rocprim17ROCPRIM_400000_NS6detail17trampoline_kernelINS0_14default_configENS1_27scan_by_key_config_selectorIijEEZZNS1_16scan_by_key_implILNS1_25lookback_scan_determinismE0ELb1ES3_N6thrust23THRUST_200600_302600_NS6detail15normal_iteratorINS9_10device_ptrIiEEEENSB_INSC_IjEEEESG_jNS9_4plusIvEENS9_8equal_toIvEEjEE10hipError_tPvRmT2_T3_T4_T5_mT6_T7_P12ihipStream_tbENKUlT_T0_E_clISt17integral_constantIbLb1EES11_EEDaSW_SX_EUlSW_E_NS1_11comp_targetILNS1_3genE10ELNS1_11target_archE1201ELNS1_3gpuE5ELNS1_3repE0EEENS1_30default_config_static_selectorELNS0_4arch9wavefront6targetE0EEEvT1_.has_dyn_sized_stack, 0
	.set _ZN7rocprim17ROCPRIM_400000_NS6detail17trampoline_kernelINS0_14default_configENS1_27scan_by_key_config_selectorIijEEZZNS1_16scan_by_key_implILNS1_25lookback_scan_determinismE0ELb1ES3_N6thrust23THRUST_200600_302600_NS6detail15normal_iteratorINS9_10device_ptrIiEEEENSB_INSC_IjEEEESG_jNS9_4plusIvEENS9_8equal_toIvEEjEE10hipError_tPvRmT2_T3_T4_T5_mT6_T7_P12ihipStream_tbENKUlT_T0_E_clISt17integral_constantIbLb1EES11_EEDaSW_SX_EUlSW_E_NS1_11comp_targetILNS1_3genE10ELNS1_11target_archE1201ELNS1_3gpuE5ELNS1_3repE0EEENS1_30default_config_static_selectorELNS0_4arch9wavefront6targetE0EEEvT1_.has_recursion, 0
	.set _ZN7rocprim17ROCPRIM_400000_NS6detail17trampoline_kernelINS0_14default_configENS1_27scan_by_key_config_selectorIijEEZZNS1_16scan_by_key_implILNS1_25lookback_scan_determinismE0ELb1ES3_N6thrust23THRUST_200600_302600_NS6detail15normal_iteratorINS9_10device_ptrIiEEEENSB_INSC_IjEEEESG_jNS9_4plusIvEENS9_8equal_toIvEEjEE10hipError_tPvRmT2_T3_T4_T5_mT6_T7_P12ihipStream_tbENKUlT_T0_E_clISt17integral_constantIbLb1EES11_EEDaSW_SX_EUlSW_E_NS1_11comp_targetILNS1_3genE10ELNS1_11target_archE1201ELNS1_3gpuE5ELNS1_3repE0EEENS1_30default_config_static_selectorELNS0_4arch9wavefront6targetE0EEEvT1_.has_indirect_call, 0
	.section	.AMDGPU.csdata,"",@progbits
; Kernel info:
; codeLenInByte = 0
; TotalNumSgprs: 0
; NumVgprs: 0
; ScratchSize: 0
; MemoryBound: 0
; FloatMode: 240
; IeeeMode: 1
; LDSByteSize: 0 bytes/workgroup (compile time only)
; SGPRBlocks: 0
; VGPRBlocks: 0
; NumSGPRsForWavesPerEU: 1
; NumVGPRsForWavesPerEU: 1
; NamedBarCnt: 0
; Occupancy: 16
; WaveLimiterHint : 0
; COMPUTE_PGM_RSRC2:SCRATCH_EN: 0
; COMPUTE_PGM_RSRC2:USER_SGPR: 2
; COMPUTE_PGM_RSRC2:TRAP_HANDLER: 0
; COMPUTE_PGM_RSRC2:TGID_X_EN: 1
; COMPUTE_PGM_RSRC2:TGID_Y_EN: 0
; COMPUTE_PGM_RSRC2:TGID_Z_EN: 0
; COMPUTE_PGM_RSRC2:TIDIG_COMP_CNT: 0
	.section	.text._ZN7rocprim17ROCPRIM_400000_NS6detail17trampoline_kernelINS0_14default_configENS1_27scan_by_key_config_selectorIijEEZZNS1_16scan_by_key_implILNS1_25lookback_scan_determinismE0ELb1ES3_N6thrust23THRUST_200600_302600_NS6detail15normal_iteratorINS9_10device_ptrIiEEEENSB_INSC_IjEEEESG_jNS9_4plusIvEENS9_8equal_toIvEEjEE10hipError_tPvRmT2_T3_T4_T5_mT6_T7_P12ihipStream_tbENKUlT_T0_E_clISt17integral_constantIbLb1EES11_EEDaSW_SX_EUlSW_E_NS1_11comp_targetILNS1_3genE5ELNS1_11target_archE942ELNS1_3gpuE9ELNS1_3repE0EEENS1_30default_config_static_selectorELNS0_4arch9wavefront6targetE0EEEvT1_,"axG",@progbits,_ZN7rocprim17ROCPRIM_400000_NS6detail17trampoline_kernelINS0_14default_configENS1_27scan_by_key_config_selectorIijEEZZNS1_16scan_by_key_implILNS1_25lookback_scan_determinismE0ELb1ES3_N6thrust23THRUST_200600_302600_NS6detail15normal_iteratorINS9_10device_ptrIiEEEENSB_INSC_IjEEEESG_jNS9_4plusIvEENS9_8equal_toIvEEjEE10hipError_tPvRmT2_T3_T4_T5_mT6_T7_P12ihipStream_tbENKUlT_T0_E_clISt17integral_constantIbLb1EES11_EEDaSW_SX_EUlSW_E_NS1_11comp_targetILNS1_3genE5ELNS1_11target_archE942ELNS1_3gpuE9ELNS1_3repE0EEENS1_30default_config_static_selectorELNS0_4arch9wavefront6targetE0EEEvT1_,comdat
	.protected	_ZN7rocprim17ROCPRIM_400000_NS6detail17trampoline_kernelINS0_14default_configENS1_27scan_by_key_config_selectorIijEEZZNS1_16scan_by_key_implILNS1_25lookback_scan_determinismE0ELb1ES3_N6thrust23THRUST_200600_302600_NS6detail15normal_iteratorINS9_10device_ptrIiEEEENSB_INSC_IjEEEESG_jNS9_4plusIvEENS9_8equal_toIvEEjEE10hipError_tPvRmT2_T3_T4_T5_mT6_T7_P12ihipStream_tbENKUlT_T0_E_clISt17integral_constantIbLb1EES11_EEDaSW_SX_EUlSW_E_NS1_11comp_targetILNS1_3genE5ELNS1_11target_archE942ELNS1_3gpuE9ELNS1_3repE0EEENS1_30default_config_static_selectorELNS0_4arch9wavefront6targetE0EEEvT1_ ; -- Begin function _ZN7rocprim17ROCPRIM_400000_NS6detail17trampoline_kernelINS0_14default_configENS1_27scan_by_key_config_selectorIijEEZZNS1_16scan_by_key_implILNS1_25lookback_scan_determinismE0ELb1ES3_N6thrust23THRUST_200600_302600_NS6detail15normal_iteratorINS9_10device_ptrIiEEEENSB_INSC_IjEEEESG_jNS9_4plusIvEENS9_8equal_toIvEEjEE10hipError_tPvRmT2_T3_T4_T5_mT6_T7_P12ihipStream_tbENKUlT_T0_E_clISt17integral_constantIbLb1EES11_EEDaSW_SX_EUlSW_E_NS1_11comp_targetILNS1_3genE5ELNS1_11target_archE942ELNS1_3gpuE9ELNS1_3repE0EEENS1_30default_config_static_selectorELNS0_4arch9wavefront6targetE0EEEvT1_
	.globl	_ZN7rocprim17ROCPRIM_400000_NS6detail17trampoline_kernelINS0_14default_configENS1_27scan_by_key_config_selectorIijEEZZNS1_16scan_by_key_implILNS1_25lookback_scan_determinismE0ELb1ES3_N6thrust23THRUST_200600_302600_NS6detail15normal_iteratorINS9_10device_ptrIiEEEENSB_INSC_IjEEEESG_jNS9_4plusIvEENS9_8equal_toIvEEjEE10hipError_tPvRmT2_T3_T4_T5_mT6_T7_P12ihipStream_tbENKUlT_T0_E_clISt17integral_constantIbLb1EES11_EEDaSW_SX_EUlSW_E_NS1_11comp_targetILNS1_3genE5ELNS1_11target_archE942ELNS1_3gpuE9ELNS1_3repE0EEENS1_30default_config_static_selectorELNS0_4arch9wavefront6targetE0EEEvT1_
	.p2align	8
	.type	_ZN7rocprim17ROCPRIM_400000_NS6detail17trampoline_kernelINS0_14default_configENS1_27scan_by_key_config_selectorIijEEZZNS1_16scan_by_key_implILNS1_25lookback_scan_determinismE0ELb1ES3_N6thrust23THRUST_200600_302600_NS6detail15normal_iteratorINS9_10device_ptrIiEEEENSB_INSC_IjEEEESG_jNS9_4plusIvEENS9_8equal_toIvEEjEE10hipError_tPvRmT2_T3_T4_T5_mT6_T7_P12ihipStream_tbENKUlT_T0_E_clISt17integral_constantIbLb1EES11_EEDaSW_SX_EUlSW_E_NS1_11comp_targetILNS1_3genE5ELNS1_11target_archE942ELNS1_3gpuE9ELNS1_3repE0EEENS1_30default_config_static_selectorELNS0_4arch9wavefront6targetE0EEEvT1_,@function
_ZN7rocprim17ROCPRIM_400000_NS6detail17trampoline_kernelINS0_14default_configENS1_27scan_by_key_config_selectorIijEEZZNS1_16scan_by_key_implILNS1_25lookback_scan_determinismE0ELb1ES3_N6thrust23THRUST_200600_302600_NS6detail15normal_iteratorINS9_10device_ptrIiEEEENSB_INSC_IjEEEESG_jNS9_4plusIvEENS9_8equal_toIvEEjEE10hipError_tPvRmT2_T3_T4_T5_mT6_T7_P12ihipStream_tbENKUlT_T0_E_clISt17integral_constantIbLb1EES11_EEDaSW_SX_EUlSW_E_NS1_11comp_targetILNS1_3genE5ELNS1_11target_archE942ELNS1_3gpuE9ELNS1_3repE0EEENS1_30default_config_static_selectorELNS0_4arch9wavefront6targetE0EEEvT1_: ; @_ZN7rocprim17ROCPRIM_400000_NS6detail17trampoline_kernelINS0_14default_configENS1_27scan_by_key_config_selectorIijEEZZNS1_16scan_by_key_implILNS1_25lookback_scan_determinismE0ELb1ES3_N6thrust23THRUST_200600_302600_NS6detail15normal_iteratorINS9_10device_ptrIiEEEENSB_INSC_IjEEEESG_jNS9_4plusIvEENS9_8equal_toIvEEjEE10hipError_tPvRmT2_T3_T4_T5_mT6_T7_P12ihipStream_tbENKUlT_T0_E_clISt17integral_constantIbLb1EES11_EEDaSW_SX_EUlSW_E_NS1_11comp_targetILNS1_3genE5ELNS1_11target_archE942ELNS1_3gpuE9ELNS1_3repE0EEENS1_30default_config_static_selectorELNS0_4arch9wavefront6targetE0EEEvT1_
; %bb.0:
	.section	.rodata,"a",@progbits
	.p2align	6, 0x0
	.amdhsa_kernel _ZN7rocprim17ROCPRIM_400000_NS6detail17trampoline_kernelINS0_14default_configENS1_27scan_by_key_config_selectorIijEEZZNS1_16scan_by_key_implILNS1_25lookback_scan_determinismE0ELb1ES3_N6thrust23THRUST_200600_302600_NS6detail15normal_iteratorINS9_10device_ptrIiEEEENSB_INSC_IjEEEESG_jNS9_4plusIvEENS9_8equal_toIvEEjEE10hipError_tPvRmT2_T3_T4_T5_mT6_T7_P12ihipStream_tbENKUlT_T0_E_clISt17integral_constantIbLb1EES11_EEDaSW_SX_EUlSW_E_NS1_11comp_targetILNS1_3genE5ELNS1_11target_archE942ELNS1_3gpuE9ELNS1_3repE0EEENS1_30default_config_static_selectorELNS0_4arch9wavefront6targetE0EEEvT1_
		.amdhsa_group_segment_fixed_size 0
		.amdhsa_private_segment_fixed_size 0
		.amdhsa_kernarg_size 112
		.amdhsa_user_sgpr_count 2
		.amdhsa_user_sgpr_dispatch_ptr 0
		.amdhsa_user_sgpr_queue_ptr 0
		.amdhsa_user_sgpr_kernarg_segment_ptr 1
		.amdhsa_user_sgpr_dispatch_id 0
		.amdhsa_user_sgpr_kernarg_preload_length 0
		.amdhsa_user_sgpr_kernarg_preload_offset 0
		.amdhsa_user_sgpr_private_segment_size 0
		.amdhsa_wavefront_size32 1
		.amdhsa_uses_dynamic_stack 0
		.amdhsa_enable_private_segment 0
		.amdhsa_system_sgpr_workgroup_id_x 1
		.amdhsa_system_sgpr_workgroup_id_y 0
		.amdhsa_system_sgpr_workgroup_id_z 0
		.amdhsa_system_sgpr_workgroup_info 0
		.amdhsa_system_vgpr_workitem_id 0
		.amdhsa_next_free_vgpr 1
		.amdhsa_next_free_sgpr 1
		.amdhsa_named_barrier_count 0
		.amdhsa_reserve_vcc 0
		.amdhsa_float_round_mode_32 0
		.amdhsa_float_round_mode_16_64 0
		.amdhsa_float_denorm_mode_32 3
		.amdhsa_float_denorm_mode_16_64 3
		.amdhsa_fp16_overflow 0
		.amdhsa_memory_ordered 1
		.amdhsa_forward_progress 1
		.amdhsa_inst_pref_size 0
		.amdhsa_round_robin_scheduling 0
		.amdhsa_exception_fp_ieee_invalid_op 0
		.amdhsa_exception_fp_denorm_src 0
		.amdhsa_exception_fp_ieee_div_zero 0
		.amdhsa_exception_fp_ieee_overflow 0
		.amdhsa_exception_fp_ieee_underflow 0
		.amdhsa_exception_fp_ieee_inexact 0
		.amdhsa_exception_int_div_zero 0
	.end_amdhsa_kernel
	.section	.text._ZN7rocprim17ROCPRIM_400000_NS6detail17trampoline_kernelINS0_14default_configENS1_27scan_by_key_config_selectorIijEEZZNS1_16scan_by_key_implILNS1_25lookback_scan_determinismE0ELb1ES3_N6thrust23THRUST_200600_302600_NS6detail15normal_iteratorINS9_10device_ptrIiEEEENSB_INSC_IjEEEESG_jNS9_4plusIvEENS9_8equal_toIvEEjEE10hipError_tPvRmT2_T3_T4_T5_mT6_T7_P12ihipStream_tbENKUlT_T0_E_clISt17integral_constantIbLb1EES11_EEDaSW_SX_EUlSW_E_NS1_11comp_targetILNS1_3genE5ELNS1_11target_archE942ELNS1_3gpuE9ELNS1_3repE0EEENS1_30default_config_static_selectorELNS0_4arch9wavefront6targetE0EEEvT1_,"axG",@progbits,_ZN7rocprim17ROCPRIM_400000_NS6detail17trampoline_kernelINS0_14default_configENS1_27scan_by_key_config_selectorIijEEZZNS1_16scan_by_key_implILNS1_25lookback_scan_determinismE0ELb1ES3_N6thrust23THRUST_200600_302600_NS6detail15normal_iteratorINS9_10device_ptrIiEEEENSB_INSC_IjEEEESG_jNS9_4plusIvEENS9_8equal_toIvEEjEE10hipError_tPvRmT2_T3_T4_T5_mT6_T7_P12ihipStream_tbENKUlT_T0_E_clISt17integral_constantIbLb1EES11_EEDaSW_SX_EUlSW_E_NS1_11comp_targetILNS1_3genE5ELNS1_11target_archE942ELNS1_3gpuE9ELNS1_3repE0EEENS1_30default_config_static_selectorELNS0_4arch9wavefront6targetE0EEEvT1_,comdat
.Lfunc_end1510:
	.size	_ZN7rocprim17ROCPRIM_400000_NS6detail17trampoline_kernelINS0_14default_configENS1_27scan_by_key_config_selectorIijEEZZNS1_16scan_by_key_implILNS1_25lookback_scan_determinismE0ELb1ES3_N6thrust23THRUST_200600_302600_NS6detail15normal_iteratorINS9_10device_ptrIiEEEENSB_INSC_IjEEEESG_jNS9_4plusIvEENS9_8equal_toIvEEjEE10hipError_tPvRmT2_T3_T4_T5_mT6_T7_P12ihipStream_tbENKUlT_T0_E_clISt17integral_constantIbLb1EES11_EEDaSW_SX_EUlSW_E_NS1_11comp_targetILNS1_3genE5ELNS1_11target_archE942ELNS1_3gpuE9ELNS1_3repE0EEENS1_30default_config_static_selectorELNS0_4arch9wavefront6targetE0EEEvT1_, .Lfunc_end1510-_ZN7rocprim17ROCPRIM_400000_NS6detail17trampoline_kernelINS0_14default_configENS1_27scan_by_key_config_selectorIijEEZZNS1_16scan_by_key_implILNS1_25lookback_scan_determinismE0ELb1ES3_N6thrust23THRUST_200600_302600_NS6detail15normal_iteratorINS9_10device_ptrIiEEEENSB_INSC_IjEEEESG_jNS9_4plusIvEENS9_8equal_toIvEEjEE10hipError_tPvRmT2_T3_T4_T5_mT6_T7_P12ihipStream_tbENKUlT_T0_E_clISt17integral_constantIbLb1EES11_EEDaSW_SX_EUlSW_E_NS1_11comp_targetILNS1_3genE5ELNS1_11target_archE942ELNS1_3gpuE9ELNS1_3repE0EEENS1_30default_config_static_selectorELNS0_4arch9wavefront6targetE0EEEvT1_
                                        ; -- End function
	.set _ZN7rocprim17ROCPRIM_400000_NS6detail17trampoline_kernelINS0_14default_configENS1_27scan_by_key_config_selectorIijEEZZNS1_16scan_by_key_implILNS1_25lookback_scan_determinismE0ELb1ES3_N6thrust23THRUST_200600_302600_NS6detail15normal_iteratorINS9_10device_ptrIiEEEENSB_INSC_IjEEEESG_jNS9_4plusIvEENS9_8equal_toIvEEjEE10hipError_tPvRmT2_T3_T4_T5_mT6_T7_P12ihipStream_tbENKUlT_T0_E_clISt17integral_constantIbLb1EES11_EEDaSW_SX_EUlSW_E_NS1_11comp_targetILNS1_3genE5ELNS1_11target_archE942ELNS1_3gpuE9ELNS1_3repE0EEENS1_30default_config_static_selectorELNS0_4arch9wavefront6targetE0EEEvT1_.num_vgpr, 0
	.set _ZN7rocprim17ROCPRIM_400000_NS6detail17trampoline_kernelINS0_14default_configENS1_27scan_by_key_config_selectorIijEEZZNS1_16scan_by_key_implILNS1_25lookback_scan_determinismE0ELb1ES3_N6thrust23THRUST_200600_302600_NS6detail15normal_iteratorINS9_10device_ptrIiEEEENSB_INSC_IjEEEESG_jNS9_4plusIvEENS9_8equal_toIvEEjEE10hipError_tPvRmT2_T3_T4_T5_mT6_T7_P12ihipStream_tbENKUlT_T0_E_clISt17integral_constantIbLb1EES11_EEDaSW_SX_EUlSW_E_NS1_11comp_targetILNS1_3genE5ELNS1_11target_archE942ELNS1_3gpuE9ELNS1_3repE0EEENS1_30default_config_static_selectorELNS0_4arch9wavefront6targetE0EEEvT1_.num_agpr, 0
	.set _ZN7rocprim17ROCPRIM_400000_NS6detail17trampoline_kernelINS0_14default_configENS1_27scan_by_key_config_selectorIijEEZZNS1_16scan_by_key_implILNS1_25lookback_scan_determinismE0ELb1ES3_N6thrust23THRUST_200600_302600_NS6detail15normal_iteratorINS9_10device_ptrIiEEEENSB_INSC_IjEEEESG_jNS9_4plusIvEENS9_8equal_toIvEEjEE10hipError_tPvRmT2_T3_T4_T5_mT6_T7_P12ihipStream_tbENKUlT_T0_E_clISt17integral_constantIbLb1EES11_EEDaSW_SX_EUlSW_E_NS1_11comp_targetILNS1_3genE5ELNS1_11target_archE942ELNS1_3gpuE9ELNS1_3repE0EEENS1_30default_config_static_selectorELNS0_4arch9wavefront6targetE0EEEvT1_.numbered_sgpr, 0
	.set _ZN7rocprim17ROCPRIM_400000_NS6detail17trampoline_kernelINS0_14default_configENS1_27scan_by_key_config_selectorIijEEZZNS1_16scan_by_key_implILNS1_25lookback_scan_determinismE0ELb1ES3_N6thrust23THRUST_200600_302600_NS6detail15normal_iteratorINS9_10device_ptrIiEEEENSB_INSC_IjEEEESG_jNS9_4plusIvEENS9_8equal_toIvEEjEE10hipError_tPvRmT2_T3_T4_T5_mT6_T7_P12ihipStream_tbENKUlT_T0_E_clISt17integral_constantIbLb1EES11_EEDaSW_SX_EUlSW_E_NS1_11comp_targetILNS1_3genE5ELNS1_11target_archE942ELNS1_3gpuE9ELNS1_3repE0EEENS1_30default_config_static_selectorELNS0_4arch9wavefront6targetE0EEEvT1_.num_named_barrier, 0
	.set _ZN7rocprim17ROCPRIM_400000_NS6detail17trampoline_kernelINS0_14default_configENS1_27scan_by_key_config_selectorIijEEZZNS1_16scan_by_key_implILNS1_25lookback_scan_determinismE0ELb1ES3_N6thrust23THRUST_200600_302600_NS6detail15normal_iteratorINS9_10device_ptrIiEEEENSB_INSC_IjEEEESG_jNS9_4plusIvEENS9_8equal_toIvEEjEE10hipError_tPvRmT2_T3_T4_T5_mT6_T7_P12ihipStream_tbENKUlT_T0_E_clISt17integral_constantIbLb1EES11_EEDaSW_SX_EUlSW_E_NS1_11comp_targetILNS1_3genE5ELNS1_11target_archE942ELNS1_3gpuE9ELNS1_3repE0EEENS1_30default_config_static_selectorELNS0_4arch9wavefront6targetE0EEEvT1_.private_seg_size, 0
	.set _ZN7rocprim17ROCPRIM_400000_NS6detail17trampoline_kernelINS0_14default_configENS1_27scan_by_key_config_selectorIijEEZZNS1_16scan_by_key_implILNS1_25lookback_scan_determinismE0ELb1ES3_N6thrust23THRUST_200600_302600_NS6detail15normal_iteratorINS9_10device_ptrIiEEEENSB_INSC_IjEEEESG_jNS9_4plusIvEENS9_8equal_toIvEEjEE10hipError_tPvRmT2_T3_T4_T5_mT6_T7_P12ihipStream_tbENKUlT_T0_E_clISt17integral_constantIbLb1EES11_EEDaSW_SX_EUlSW_E_NS1_11comp_targetILNS1_3genE5ELNS1_11target_archE942ELNS1_3gpuE9ELNS1_3repE0EEENS1_30default_config_static_selectorELNS0_4arch9wavefront6targetE0EEEvT1_.uses_vcc, 0
	.set _ZN7rocprim17ROCPRIM_400000_NS6detail17trampoline_kernelINS0_14default_configENS1_27scan_by_key_config_selectorIijEEZZNS1_16scan_by_key_implILNS1_25lookback_scan_determinismE0ELb1ES3_N6thrust23THRUST_200600_302600_NS6detail15normal_iteratorINS9_10device_ptrIiEEEENSB_INSC_IjEEEESG_jNS9_4plusIvEENS9_8equal_toIvEEjEE10hipError_tPvRmT2_T3_T4_T5_mT6_T7_P12ihipStream_tbENKUlT_T0_E_clISt17integral_constantIbLb1EES11_EEDaSW_SX_EUlSW_E_NS1_11comp_targetILNS1_3genE5ELNS1_11target_archE942ELNS1_3gpuE9ELNS1_3repE0EEENS1_30default_config_static_selectorELNS0_4arch9wavefront6targetE0EEEvT1_.uses_flat_scratch, 0
	.set _ZN7rocprim17ROCPRIM_400000_NS6detail17trampoline_kernelINS0_14default_configENS1_27scan_by_key_config_selectorIijEEZZNS1_16scan_by_key_implILNS1_25lookback_scan_determinismE0ELb1ES3_N6thrust23THRUST_200600_302600_NS6detail15normal_iteratorINS9_10device_ptrIiEEEENSB_INSC_IjEEEESG_jNS9_4plusIvEENS9_8equal_toIvEEjEE10hipError_tPvRmT2_T3_T4_T5_mT6_T7_P12ihipStream_tbENKUlT_T0_E_clISt17integral_constantIbLb1EES11_EEDaSW_SX_EUlSW_E_NS1_11comp_targetILNS1_3genE5ELNS1_11target_archE942ELNS1_3gpuE9ELNS1_3repE0EEENS1_30default_config_static_selectorELNS0_4arch9wavefront6targetE0EEEvT1_.has_dyn_sized_stack, 0
	.set _ZN7rocprim17ROCPRIM_400000_NS6detail17trampoline_kernelINS0_14default_configENS1_27scan_by_key_config_selectorIijEEZZNS1_16scan_by_key_implILNS1_25lookback_scan_determinismE0ELb1ES3_N6thrust23THRUST_200600_302600_NS6detail15normal_iteratorINS9_10device_ptrIiEEEENSB_INSC_IjEEEESG_jNS9_4plusIvEENS9_8equal_toIvEEjEE10hipError_tPvRmT2_T3_T4_T5_mT6_T7_P12ihipStream_tbENKUlT_T0_E_clISt17integral_constantIbLb1EES11_EEDaSW_SX_EUlSW_E_NS1_11comp_targetILNS1_3genE5ELNS1_11target_archE942ELNS1_3gpuE9ELNS1_3repE0EEENS1_30default_config_static_selectorELNS0_4arch9wavefront6targetE0EEEvT1_.has_recursion, 0
	.set _ZN7rocprim17ROCPRIM_400000_NS6detail17trampoline_kernelINS0_14default_configENS1_27scan_by_key_config_selectorIijEEZZNS1_16scan_by_key_implILNS1_25lookback_scan_determinismE0ELb1ES3_N6thrust23THRUST_200600_302600_NS6detail15normal_iteratorINS9_10device_ptrIiEEEENSB_INSC_IjEEEESG_jNS9_4plusIvEENS9_8equal_toIvEEjEE10hipError_tPvRmT2_T3_T4_T5_mT6_T7_P12ihipStream_tbENKUlT_T0_E_clISt17integral_constantIbLb1EES11_EEDaSW_SX_EUlSW_E_NS1_11comp_targetILNS1_3genE5ELNS1_11target_archE942ELNS1_3gpuE9ELNS1_3repE0EEENS1_30default_config_static_selectorELNS0_4arch9wavefront6targetE0EEEvT1_.has_indirect_call, 0
	.section	.AMDGPU.csdata,"",@progbits
; Kernel info:
; codeLenInByte = 0
; TotalNumSgprs: 0
; NumVgprs: 0
; ScratchSize: 0
; MemoryBound: 0
; FloatMode: 240
; IeeeMode: 1
; LDSByteSize: 0 bytes/workgroup (compile time only)
; SGPRBlocks: 0
; VGPRBlocks: 0
; NumSGPRsForWavesPerEU: 1
; NumVGPRsForWavesPerEU: 1
; NamedBarCnt: 0
; Occupancy: 16
; WaveLimiterHint : 0
; COMPUTE_PGM_RSRC2:SCRATCH_EN: 0
; COMPUTE_PGM_RSRC2:USER_SGPR: 2
; COMPUTE_PGM_RSRC2:TRAP_HANDLER: 0
; COMPUTE_PGM_RSRC2:TGID_X_EN: 1
; COMPUTE_PGM_RSRC2:TGID_Y_EN: 0
; COMPUTE_PGM_RSRC2:TGID_Z_EN: 0
; COMPUTE_PGM_RSRC2:TIDIG_COMP_CNT: 0
	.section	.text._ZN7rocprim17ROCPRIM_400000_NS6detail17trampoline_kernelINS0_14default_configENS1_27scan_by_key_config_selectorIijEEZZNS1_16scan_by_key_implILNS1_25lookback_scan_determinismE0ELb1ES3_N6thrust23THRUST_200600_302600_NS6detail15normal_iteratorINS9_10device_ptrIiEEEENSB_INSC_IjEEEESG_jNS9_4plusIvEENS9_8equal_toIvEEjEE10hipError_tPvRmT2_T3_T4_T5_mT6_T7_P12ihipStream_tbENKUlT_T0_E_clISt17integral_constantIbLb1EES11_EEDaSW_SX_EUlSW_E_NS1_11comp_targetILNS1_3genE4ELNS1_11target_archE910ELNS1_3gpuE8ELNS1_3repE0EEENS1_30default_config_static_selectorELNS0_4arch9wavefront6targetE0EEEvT1_,"axG",@progbits,_ZN7rocprim17ROCPRIM_400000_NS6detail17trampoline_kernelINS0_14default_configENS1_27scan_by_key_config_selectorIijEEZZNS1_16scan_by_key_implILNS1_25lookback_scan_determinismE0ELb1ES3_N6thrust23THRUST_200600_302600_NS6detail15normal_iteratorINS9_10device_ptrIiEEEENSB_INSC_IjEEEESG_jNS9_4plusIvEENS9_8equal_toIvEEjEE10hipError_tPvRmT2_T3_T4_T5_mT6_T7_P12ihipStream_tbENKUlT_T0_E_clISt17integral_constantIbLb1EES11_EEDaSW_SX_EUlSW_E_NS1_11comp_targetILNS1_3genE4ELNS1_11target_archE910ELNS1_3gpuE8ELNS1_3repE0EEENS1_30default_config_static_selectorELNS0_4arch9wavefront6targetE0EEEvT1_,comdat
	.protected	_ZN7rocprim17ROCPRIM_400000_NS6detail17trampoline_kernelINS0_14default_configENS1_27scan_by_key_config_selectorIijEEZZNS1_16scan_by_key_implILNS1_25lookback_scan_determinismE0ELb1ES3_N6thrust23THRUST_200600_302600_NS6detail15normal_iteratorINS9_10device_ptrIiEEEENSB_INSC_IjEEEESG_jNS9_4plusIvEENS9_8equal_toIvEEjEE10hipError_tPvRmT2_T3_T4_T5_mT6_T7_P12ihipStream_tbENKUlT_T0_E_clISt17integral_constantIbLb1EES11_EEDaSW_SX_EUlSW_E_NS1_11comp_targetILNS1_3genE4ELNS1_11target_archE910ELNS1_3gpuE8ELNS1_3repE0EEENS1_30default_config_static_selectorELNS0_4arch9wavefront6targetE0EEEvT1_ ; -- Begin function _ZN7rocprim17ROCPRIM_400000_NS6detail17trampoline_kernelINS0_14default_configENS1_27scan_by_key_config_selectorIijEEZZNS1_16scan_by_key_implILNS1_25lookback_scan_determinismE0ELb1ES3_N6thrust23THRUST_200600_302600_NS6detail15normal_iteratorINS9_10device_ptrIiEEEENSB_INSC_IjEEEESG_jNS9_4plusIvEENS9_8equal_toIvEEjEE10hipError_tPvRmT2_T3_T4_T5_mT6_T7_P12ihipStream_tbENKUlT_T0_E_clISt17integral_constantIbLb1EES11_EEDaSW_SX_EUlSW_E_NS1_11comp_targetILNS1_3genE4ELNS1_11target_archE910ELNS1_3gpuE8ELNS1_3repE0EEENS1_30default_config_static_selectorELNS0_4arch9wavefront6targetE0EEEvT1_
	.globl	_ZN7rocprim17ROCPRIM_400000_NS6detail17trampoline_kernelINS0_14default_configENS1_27scan_by_key_config_selectorIijEEZZNS1_16scan_by_key_implILNS1_25lookback_scan_determinismE0ELb1ES3_N6thrust23THRUST_200600_302600_NS6detail15normal_iteratorINS9_10device_ptrIiEEEENSB_INSC_IjEEEESG_jNS9_4plusIvEENS9_8equal_toIvEEjEE10hipError_tPvRmT2_T3_T4_T5_mT6_T7_P12ihipStream_tbENKUlT_T0_E_clISt17integral_constantIbLb1EES11_EEDaSW_SX_EUlSW_E_NS1_11comp_targetILNS1_3genE4ELNS1_11target_archE910ELNS1_3gpuE8ELNS1_3repE0EEENS1_30default_config_static_selectorELNS0_4arch9wavefront6targetE0EEEvT1_
	.p2align	8
	.type	_ZN7rocprim17ROCPRIM_400000_NS6detail17trampoline_kernelINS0_14default_configENS1_27scan_by_key_config_selectorIijEEZZNS1_16scan_by_key_implILNS1_25lookback_scan_determinismE0ELb1ES3_N6thrust23THRUST_200600_302600_NS6detail15normal_iteratorINS9_10device_ptrIiEEEENSB_INSC_IjEEEESG_jNS9_4plusIvEENS9_8equal_toIvEEjEE10hipError_tPvRmT2_T3_T4_T5_mT6_T7_P12ihipStream_tbENKUlT_T0_E_clISt17integral_constantIbLb1EES11_EEDaSW_SX_EUlSW_E_NS1_11comp_targetILNS1_3genE4ELNS1_11target_archE910ELNS1_3gpuE8ELNS1_3repE0EEENS1_30default_config_static_selectorELNS0_4arch9wavefront6targetE0EEEvT1_,@function
_ZN7rocprim17ROCPRIM_400000_NS6detail17trampoline_kernelINS0_14default_configENS1_27scan_by_key_config_selectorIijEEZZNS1_16scan_by_key_implILNS1_25lookback_scan_determinismE0ELb1ES3_N6thrust23THRUST_200600_302600_NS6detail15normal_iteratorINS9_10device_ptrIiEEEENSB_INSC_IjEEEESG_jNS9_4plusIvEENS9_8equal_toIvEEjEE10hipError_tPvRmT2_T3_T4_T5_mT6_T7_P12ihipStream_tbENKUlT_T0_E_clISt17integral_constantIbLb1EES11_EEDaSW_SX_EUlSW_E_NS1_11comp_targetILNS1_3genE4ELNS1_11target_archE910ELNS1_3gpuE8ELNS1_3repE0EEENS1_30default_config_static_selectorELNS0_4arch9wavefront6targetE0EEEvT1_: ; @_ZN7rocprim17ROCPRIM_400000_NS6detail17trampoline_kernelINS0_14default_configENS1_27scan_by_key_config_selectorIijEEZZNS1_16scan_by_key_implILNS1_25lookback_scan_determinismE0ELb1ES3_N6thrust23THRUST_200600_302600_NS6detail15normal_iteratorINS9_10device_ptrIiEEEENSB_INSC_IjEEEESG_jNS9_4plusIvEENS9_8equal_toIvEEjEE10hipError_tPvRmT2_T3_T4_T5_mT6_T7_P12ihipStream_tbENKUlT_T0_E_clISt17integral_constantIbLb1EES11_EEDaSW_SX_EUlSW_E_NS1_11comp_targetILNS1_3genE4ELNS1_11target_archE910ELNS1_3gpuE8ELNS1_3repE0EEENS1_30default_config_static_selectorELNS0_4arch9wavefront6targetE0EEEvT1_
; %bb.0:
	.section	.rodata,"a",@progbits
	.p2align	6, 0x0
	.amdhsa_kernel _ZN7rocprim17ROCPRIM_400000_NS6detail17trampoline_kernelINS0_14default_configENS1_27scan_by_key_config_selectorIijEEZZNS1_16scan_by_key_implILNS1_25lookback_scan_determinismE0ELb1ES3_N6thrust23THRUST_200600_302600_NS6detail15normal_iteratorINS9_10device_ptrIiEEEENSB_INSC_IjEEEESG_jNS9_4plusIvEENS9_8equal_toIvEEjEE10hipError_tPvRmT2_T3_T4_T5_mT6_T7_P12ihipStream_tbENKUlT_T0_E_clISt17integral_constantIbLb1EES11_EEDaSW_SX_EUlSW_E_NS1_11comp_targetILNS1_3genE4ELNS1_11target_archE910ELNS1_3gpuE8ELNS1_3repE0EEENS1_30default_config_static_selectorELNS0_4arch9wavefront6targetE0EEEvT1_
		.amdhsa_group_segment_fixed_size 0
		.amdhsa_private_segment_fixed_size 0
		.amdhsa_kernarg_size 112
		.amdhsa_user_sgpr_count 2
		.amdhsa_user_sgpr_dispatch_ptr 0
		.amdhsa_user_sgpr_queue_ptr 0
		.amdhsa_user_sgpr_kernarg_segment_ptr 1
		.amdhsa_user_sgpr_dispatch_id 0
		.amdhsa_user_sgpr_kernarg_preload_length 0
		.amdhsa_user_sgpr_kernarg_preload_offset 0
		.amdhsa_user_sgpr_private_segment_size 0
		.amdhsa_wavefront_size32 1
		.amdhsa_uses_dynamic_stack 0
		.amdhsa_enable_private_segment 0
		.amdhsa_system_sgpr_workgroup_id_x 1
		.amdhsa_system_sgpr_workgroup_id_y 0
		.amdhsa_system_sgpr_workgroup_id_z 0
		.amdhsa_system_sgpr_workgroup_info 0
		.amdhsa_system_vgpr_workitem_id 0
		.amdhsa_next_free_vgpr 1
		.amdhsa_next_free_sgpr 1
		.amdhsa_named_barrier_count 0
		.amdhsa_reserve_vcc 0
		.amdhsa_float_round_mode_32 0
		.amdhsa_float_round_mode_16_64 0
		.amdhsa_float_denorm_mode_32 3
		.amdhsa_float_denorm_mode_16_64 3
		.amdhsa_fp16_overflow 0
		.amdhsa_memory_ordered 1
		.amdhsa_forward_progress 1
		.amdhsa_inst_pref_size 0
		.amdhsa_round_robin_scheduling 0
		.amdhsa_exception_fp_ieee_invalid_op 0
		.amdhsa_exception_fp_denorm_src 0
		.amdhsa_exception_fp_ieee_div_zero 0
		.amdhsa_exception_fp_ieee_overflow 0
		.amdhsa_exception_fp_ieee_underflow 0
		.amdhsa_exception_fp_ieee_inexact 0
		.amdhsa_exception_int_div_zero 0
	.end_amdhsa_kernel
	.section	.text._ZN7rocprim17ROCPRIM_400000_NS6detail17trampoline_kernelINS0_14default_configENS1_27scan_by_key_config_selectorIijEEZZNS1_16scan_by_key_implILNS1_25lookback_scan_determinismE0ELb1ES3_N6thrust23THRUST_200600_302600_NS6detail15normal_iteratorINS9_10device_ptrIiEEEENSB_INSC_IjEEEESG_jNS9_4plusIvEENS9_8equal_toIvEEjEE10hipError_tPvRmT2_T3_T4_T5_mT6_T7_P12ihipStream_tbENKUlT_T0_E_clISt17integral_constantIbLb1EES11_EEDaSW_SX_EUlSW_E_NS1_11comp_targetILNS1_3genE4ELNS1_11target_archE910ELNS1_3gpuE8ELNS1_3repE0EEENS1_30default_config_static_selectorELNS0_4arch9wavefront6targetE0EEEvT1_,"axG",@progbits,_ZN7rocprim17ROCPRIM_400000_NS6detail17trampoline_kernelINS0_14default_configENS1_27scan_by_key_config_selectorIijEEZZNS1_16scan_by_key_implILNS1_25lookback_scan_determinismE0ELb1ES3_N6thrust23THRUST_200600_302600_NS6detail15normal_iteratorINS9_10device_ptrIiEEEENSB_INSC_IjEEEESG_jNS9_4plusIvEENS9_8equal_toIvEEjEE10hipError_tPvRmT2_T3_T4_T5_mT6_T7_P12ihipStream_tbENKUlT_T0_E_clISt17integral_constantIbLb1EES11_EEDaSW_SX_EUlSW_E_NS1_11comp_targetILNS1_3genE4ELNS1_11target_archE910ELNS1_3gpuE8ELNS1_3repE0EEENS1_30default_config_static_selectorELNS0_4arch9wavefront6targetE0EEEvT1_,comdat
.Lfunc_end1511:
	.size	_ZN7rocprim17ROCPRIM_400000_NS6detail17trampoline_kernelINS0_14default_configENS1_27scan_by_key_config_selectorIijEEZZNS1_16scan_by_key_implILNS1_25lookback_scan_determinismE0ELb1ES3_N6thrust23THRUST_200600_302600_NS6detail15normal_iteratorINS9_10device_ptrIiEEEENSB_INSC_IjEEEESG_jNS9_4plusIvEENS9_8equal_toIvEEjEE10hipError_tPvRmT2_T3_T4_T5_mT6_T7_P12ihipStream_tbENKUlT_T0_E_clISt17integral_constantIbLb1EES11_EEDaSW_SX_EUlSW_E_NS1_11comp_targetILNS1_3genE4ELNS1_11target_archE910ELNS1_3gpuE8ELNS1_3repE0EEENS1_30default_config_static_selectorELNS0_4arch9wavefront6targetE0EEEvT1_, .Lfunc_end1511-_ZN7rocprim17ROCPRIM_400000_NS6detail17trampoline_kernelINS0_14default_configENS1_27scan_by_key_config_selectorIijEEZZNS1_16scan_by_key_implILNS1_25lookback_scan_determinismE0ELb1ES3_N6thrust23THRUST_200600_302600_NS6detail15normal_iteratorINS9_10device_ptrIiEEEENSB_INSC_IjEEEESG_jNS9_4plusIvEENS9_8equal_toIvEEjEE10hipError_tPvRmT2_T3_T4_T5_mT6_T7_P12ihipStream_tbENKUlT_T0_E_clISt17integral_constantIbLb1EES11_EEDaSW_SX_EUlSW_E_NS1_11comp_targetILNS1_3genE4ELNS1_11target_archE910ELNS1_3gpuE8ELNS1_3repE0EEENS1_30default_config_static_selectorELNS0_4arch9wavefront6targetE0EEEvT1_
                                        ; -- End function
	.set _ZN7rocprim17ROCPRIM_400000_NS6detail17trampoline_kernelINS0_14default_configENS1_27scan_by_key_config_selectorIijEEZZNS1_16scan_by_key_implILNS1_25lookback_scan_determinismE0ELb1ES3_N6thrust23THRUST_200600_302600_NS6detail15normal_iteratorINS9_10device_ptrIiEEEENSB_INSC_IjEEEESG_jNS9_4plusIvEENS9_8equal_toIvEEjEE10hipError_tPvRmT2_T3_T4_T5_mT6_T7_P12ihipStream_tbENKUlT_T0_E_clISt17integral_constantIbLb1EES11_EEDaSW_SX_EUlSW_E_NS1_11comp_targetILNS1_3genE4ELNS1_11target_archE910ELNS1_3gpuE8ELNS1_3repE0EEENS1_30default_config_static_selectorELNS0_4arch9wavefront6targetE0EEEvT1_.num_vgpr, 0
	.set _ZN7rocprim17ROCPRIM_400000_NS6detail17trampoline_kernelINS0_14default_configENS1_27scan_by_key_config_selectorIijEEZZNS1_16scan_by_key_implILNS1_25lookback_scan_determinismE0ELb1ES3_N6thrust23THRUST_200600_302600_NS6detail15normal_iteratorINS9_10device_ptrIiEEEENSB_INSC_IjEEEESG_jNS9_4plusIvEENS9_8equal_toIvEEjEE10hipError_tPvRmT2_T3_T4_T5_mT6_T7_P12ihipStream_tbENKUlT_T0_E_clISt17integral_constantIbLb1EES11_EEDaSW_SX_EUlSW_E_NS1_11comp_targetILNS1_3genE4ELNS1_11target_archE910ELNS1_3gpuE8ELNS1_3repE0EEENS1_30default_config_static_selectorELNS0_4arch9wavefront6targetE0EEEvT1_.num_agpr, 0
	.set _ZN7rocprim17ROCPRIM_400000_NS6detail17trampoline_kernelINS0_14default_configENS1_27scan_by_key_config_selectorIijEEZZNS1_16scan_by_key_implILNS1_25lookback_scan_determinismE0ELb1ES3_N6thrust23THRUST_200600_302600_NS6detail15normal_iteratorINS9_10device_ptrIiEEEENSB_INSC_IjEEEESG_jNS9_4plusIvEENS9_8equal_toIvEEjEE10hipError_tPvRmT2_T3_T4_T5_mT6_T7_P12ihipStream_tbENKUlT_T0_E_clISt17integral_constantIbLb1EES11_EEDaSW_SX_EUlSW_E_NS1_11comp_targetILNS1_3genE4ELNS1_11target_archE910ELNS1_3gpuE8ELNS1_3repE0EEENS1_30default_config_static_selectorELNS0_4arch9wavefront6targetE0EEEvT1_.numbered_sgpr, 0
	.set _ZN7rocprim17ROCPRIM_400000_NS6detail17trampoline_kernelINS0_14default_configENS1_27scan_by_key_config_selectorIijEEZZNS1_16scan_by_key_implILNS1_25lookback_scan_determinismE0ELb1ES3_N6thrust23THRUST_200600_302600_NS6detail15normal_iteratorINS9_10device_ptrIiEEEENSB_INSC_IjEEEESG_jNS9_4plusIvEENS9_8equal_toIvEEjEE10hipError_tPvRmT2_T3_T4_T5_mT6_T7_P12ihipStream_tbENKUlT_T0_E_clISt17integral_constantIbLb1EES11_EEDaSW_SX_EUlSW_E_NS1_11comp_targetILNS1_3genE4ELNS1_11target_archE910ELNS1_3gpuE8ELNS1_3repE0EEENS1_30default_config_static_selectorELNS0_4arch9wavefront6targetE0EEEvT1_.num_named_barrier, 0
	.set _ZN7rocprim17ROCPRIM_400000_NS6detail17trampoline_kernelINS0_14default_configENS1_27scan_by_key_config_selectorIijEEZZNS1_16scan_by_key_implILNS1_25lookback_scan_determinismE0ELb1ES3_N6thrust23THRUST_200600_302600_NS6detail15normal_iteratorINS9_10device_ptrIiEEEENSB_INSC_IjEEEESG_jNS9_4plusIvEENS9_8equal_toIvEEjEE10hipError_tPvRmT2_T3_T4_T5_mT6_T7_P12ihipStream_tbENKUlT_T0_E_clISt17integral_constantIbLb1EES11_EEDaSW_SX_EUlSW_E_NS1_11comp_targetILNS1_3genE4ELNS1_11target_archE910ELNS1_3gpuE8ELNS1_3repE0EEENS1_30default_config_static_selectorELNS0_4arch9wavefront6targetE0EEEvT1_.private_seg_size, 0
	.set _ZN7rocprim17ROCPRIM_400000_NS6detail17trampoline_kernelINS0_14default_configENS1_27scan_by_key_config_selectorIijEEZZNS1_16scan_by_key_implILNS1_25lookback_scan_determinismE0ELb1ES3_N6thrust23THRUST_200600_302600_NS6detail15normal_iteratorINS9_10device_ptrIiEEEENSB_INSC_IjEEEESG_jNS9_4plusIvEENS9_8equal_toIvEEjEE10hipError_tPvRmT2_T3_T4_T5_mT6_T7_P12ihipStream_tbENKUlT_T0_E_clISt17integral_constantIbLb1EES11_EEDaSW_SX_EUlSW_E_NS1_11comp_targetILNS1_3genE4ELNS1_11target_archE910ELNS1_3gpuE8ELNS1_3repE0EEENS1_30default_config_static_selectorELNS0_4arch9wavefront6targetE0EEEvT1_.uses_vcc, 0
	.set _ZN7rocprim17ROCPRIM_400000_NS6detail17trampoline_kernelINS0_14default_configENS1_27scan_by_key_config_selectorIijEEZZNS1_16scan_by_key_implILNS1_25lookback_scan_determinismE0ELb1ES3_N6thrust23THRUST_200600_302600_NS6detail15normal_iteratorINS9_10device_ptrIiEEEENSB_INSC_IjEEEESG_jNS9_4plusIvEENS9_8equal_toIvEEjEE10hipError_tPvRmT2_T3_T4_T5_mT6_T7_P12ihipStream_tbENKUlT_T0_E_clISt17integral_constantIbLb1EES11_EEDaSW_SX_EUlSW_E_NS1_11comp_targetILNS1_3genE4ELNS1_11target_archE910ELNS1_3gpuE8ELNS1_3repE0EEENS1_30default_config_static_selectorELNS0_4arch9wavefront6targetE0EEEvT1_.uses_flat_scratch, 0
	.set _ZN7rocprim17ROCPRIM_400000_NS6detail17trampoline_kernelINS0_14default_configENS1_27scan_by_key_config_selectorIijEEZZNS1_16scan_by_key_implILNS1_25lookback_scan_determinismE0ELb1ES3_N6thrust23THRUST_200600_302600_NS6detail15normal_iteratorINS9_10device_ptrIiEEEENSB_INSC_IjEEEESG_jNS9_4plusIvEENS9_8equal_toIvEEjEE10hipError_tPvRmT2_T3_T4_T5_mT6_T7_P12ihipStream_tbENKUlT_T0_E_clISt17integral_constantIbLb1EES11_EEDaSW_SX_EUlSW_E_NS1_11comp_targetILNS1_3genE4ELNS1_11target_archE910ELNS1_3gpuE8ELNS1_3repE0EEENS1_30default_config_static_selectorELNS0_4arch9wavefront6targetE0EEEvT1_.has_dyn_sized_stack, 0
	.set _ZN7rocprim17ROCPRIM_400000_NS6detail17trampoline_kernelINS0_14default_configENS1_27scan_by_key_config_selectorIijEEZZNS1_16scan_by_key_implILNS1_25lookback_scan_determinismE0ELb1ES3_N6thrust23THRUST_200600_302600_NS6detail15normal_iteratorINS9_10device_ptrIiEEEENSB_INSC_IjEEEESG_jNS9_4plusIvEENS9_8equal_toIvEEjEE10hipError_tPvRmT2_T3_T4_T5_mT6_T7_P12ihipStream_tbENKUlT_T0_E_clISt17integral_constantIbLb1EES11_EEDaSW_SX_EUlSW_E_NS1_11comp_targetILNS1_3genE4ELNS1_11target_archE910ELNS1_3gpuE8ELNS1_3repE0EEENS1_30default_config_static_selectorELNS0_4arch9wavefront6targetE0EEEvT1_.has_recursion, 0
	.set _ZN7rocprim17ROCPRIM_400000_NS6detail17trampoline_kernelINS0_14default_configENS1_27scan_by_key_config_selectorIijEEZZNS1_16scan_by_key_implILNS1_25lookback_scan_determinismE0ELb1ES3_N6thrust23THRUST_200600_302600_NS6detail15normal_iteratorINS9_10device_ptrIiEEEENSB_INSC_IjEEEESG_jNS9_4plusIvEENS9_8equal_toIvEEjEE10hipError_tPvRmT2_T3_T4_T5_mT6_T7_P12ihipStream_tbENKUlT_T0_E_clISt17integral_constantIbLb1EES11_EEDaSW_SX_EUlSW_E_NS1_11comp_targetILNS1_3genE4ELNS1_11target_archE910ELNS1_3gpuE8ELNS1_3repE0EEENS1_30default_config_static_selectorELNS0_4arch9wavefront6targetE0EEEvT1_.has_indirect_call, 0
	.section	.AMDGPU.csdata,"",@progbits
; Kernel info:
; codeLenInByte = 0
; TotalNumSgprs: 0
; NumVgprs: 0
; ScratchSize: 0
; MemoryBound: 0
; FloatMode: 240
; IeeeMode: 1
; LDSByteSize: 0 bytes/workgroup (compile time only)
; SGPRBlocks: 0
; VGPRBlocks: 0
; NumSGPRsForWavesPerEU: 1
; NumVGPRsForWavesPerEU: 1
; NamedBarCnt: 0
; Occupancy: 16
; WaveLimiterHint : 0
; COMPUTE_PGM_RSRC2:SCRATCH_EN: 0
; COMPUTE_PGM_RSRC2:USER_SGPR: 2
; COMPUTE_PGM_RSRC2:TRAP_HANDLER: 0
; COMPUTE_PGM_RSRC2:TGID_X_EN: 1
; COMPUTE_PGM_RSRC2:TGID_Y_EN: 0
; COMPUTE_PGM_RSRC2:TGID_Z_EN: 0
; COMPUTE_PGM_RSRC2:TIDIG_COMP_CNT: 0
	.section	.text._ZN7rocprim17ROCPRIM_400000_NS6detail17trampoline_kernelINS0_14default_configENS1_27scan_by_key_config_selectorIijEEZZNS1_16scan_by_key_implILNS1_25lookback_scan_determinismE0ELb1ES3_N6thrust23THRUST_200600_302600_NS6detail15normal_iteratorINS9_10device_ptrIiEEEENSB_INSC_IjEEEESG_jNS9_4plusIvEENS9_8equal_toIvEEjEE10hipError_tPvRmT2_T3_T4_T5_mT6_T7_P12ihipStream_tbENKUlT_T0_E_clISt17integral_constantIbLb1EES11_EEDaSW_SX_EUlSW_E_NS1_11comp_targetILNS1_3genE3ELNS1_11target_archE908ELNS1_3gpuE7ELNS1_3repE0EEENS1_30default_config_static_selectorELNS0_4arch9wavefront6targetE0EEEvT1_,"axG",@progbits,_ZN7rocprim17ROCPRIM_400000_NS6detail17trampoline_kernelINS0_14default_configENS1_27scan_by_key_config_selectorIijEEZZNS1_16scan_by_key_implILNS1_25lookback_scan_determinismE0ELb1ES3_N6thrust23THRUST_200600_302600_NS6detail15normal_iteratorINS9_10device_ptrIiEEEENSB_INSC_IjEEEESG_jNS9_4plusIvEENS9_8equal_toIvEEjEE10hipError_tPvRmT2_T3_T4_T5_mT6_T7_P12ihipStream_tbENKUlT_T0_E_clISt17integral_constantIbLb1EES11_EEDaSW_SX_EUlSW_E_NS1_11comp_targetILNS1_3genE3ELNS1_11target_archE908ELNS1_3gpuE7ELNS1_3repE0EEENS1_30default_config_static_selectorELNS0_4arch9wavefront6targetE0EEEvT1_,comdat
	.protected	_ZN7rocprim17ROCPRIM_400000_NS6detail17trampoline_kernelINS0_14default_configENS1_27scan_by_key_config_selectorIijEEZZNS1_16scan_by_key_implILNS1_25lookback_scan_determinismE0ELb1ES3_N6thrust23THRUST_200600_302600_NS6detail15normal_iteratorINS9_10device_ptrIiEEEENSB_INSC_IjEEEESG_jNS9_4plusIvEENS9_8equal_toIvEEjEE10hipError_tPvRmT2_T3_T4_T5_mT6_T7_P12ihipStream_tbENKUlT_T0_E_clISt17integral_constantIbLb1EES11_EEDaSW_SX_EUlSW_E_NS1_11comp_targetILNS1_3genE3ELNS1_11target_archE908ELNS1_3gpuE7ELNS1_3repE0EEENS1_30default_config_static_selectorELNS0_4arch9wavefront6targetE0EEEvT1_ ; -- Begin function _ZN7rocprim17ROCPRIM_400000_NS6detail17trampoline_kernelINS0_14default_configENS1_27scan_by_key_config_selectorIijEEZZNS1_16scan_by_key_implILNS1_25lookback_scan_determinismE0ELb1ES3_N6thrust23THRUST_200600_302600_NS6detail15normal_iteratorINS9_10device_ptrIiEEEENSB_INSC_IjEEEESG_jNS9_4plusIvEENS9_8equal_toIvEEjEE10hipError_tPvRmT2_T3_T4_T5_mT6_T7_P12ihipStream_tbENKUlT_T0_E_clISt17integral_constantIbLb1EES11_EEDaSW_SX_EUlSW_E_NS1_11comp_targetILNS1_3genE3ELNS1_11target_archE908ELNS1_3gpuE7ELNS1_3repE0EEENS1_30default_config_static_selectorELNS0_4arch9wavefront6targetE0EEEvT1_
	.globl	_ZN7rocprim17ROCPRIM_400000_NS6detail17trampoline_kernelINS0_14default_configENS1_27scan_by_key_config_selectorIijEEZZNS1_16scan_by_key_implILNS1_25lookback_scan_determinismE0ELb1ES3_N6thrust23THRUST_200600_302600_NS6detail15normal_iteratorINS9_10device_ptrIiEEEENSB_INSC_IjEEEESG_jNS9_4plusIvEENS9_8equal_toIvEEjEE10hipError_tPvRmT2_T3_T4_T5_mT6_T7_P12ihipStream_tbENKUlT_T0_E_clISt17integral_constantIbLb1EES11_EEDaSW_SX_EUlSW_E_NS1_11comp_targetILNS1_3genE3ELNS1_11target_archE908ELNS1_3gpuE7ELNS1_3repE0EEENS1_30default_config_static_selectorELNS0_4arch9wavefront6targetE0EEEvT1_
	.p2align	8
	.type	_ZN7rocprim17ROCPRIM_400000_NS6detail17trampoline_kernelINS0_14default_configENS1_27scan_by_key_config_selectorIijEEZZNS1_16scan_by_key_implILNS1_25lookback_scan_determinismE0ELb1ES3_N6thrust23THRUST_200600_302600_NS6detail15normal_iteratorINS9_10device_ptrIiEEEENSB_INSC_IjEEEESG_jNS9_4plusIvEENS9_8equal_toIvEEjEE10hipError_tPvRmT2_T3_T4_T5_mT6_T7_P12ihipStream_tbENKUlT_T0_E_clISt17integral_constantIbLb1EES11_EEDaSW_SX_EUlSW_E_NS1_11comp_targetILNS1_3genE3ELNS1_11target_archE908ELNS1_3gpuE7ELNS1_3repE0EEENS1_30default_config_static_selectorELNS0_4arch9wavefront6targetE0EEEvT1_,@function
_ZN7rocprim17ROCPRIM_400000_NS6detail17trampoline_kernelINS0_14default_configENS1_27scan_by_key_config_selectorIijEEZZNS1_16scan_by_key_implILNS1_25lookback_scan_determinismE0ELb1ES3_N6thrust23THRUST_200600_302600_NS6detail15normal_iteratorINS9_10device_ptrIiEEEENSB_INSC_IjEEEESG_jNS9_4plusIvEENS9_8equal_toIvEEjEE10hipError_tPvRmT2_T3_T4_T5_mT6_T7_P12ihipStream_tbENKUlT_T0_E_clISt17integral_constantIbLb1EES11_EEDaSW_SX_EUlSW_E_NS1_11comp_targetILNS1_3genE3ELNS1_11target_archE908ELNS1_3gpuE7ELNS1_3repE0EEENS1_30default_config_static_selectorELNS0_4arch9wavefront6targetE0EEEvT1_: ; @_ZN7rocprim17ROCPRIM_400000_NS6detail17trampoline_kernelINS0_14default_configENS1_27scan_by_key_config_selectorIijEEZZNS1_16scan_by_key_implILNS1_25lookback_scan_determinismE0ELb1ES3_N6thrust23THRUST_200600_302600_NS6detail15normal_iteratorINS9_10device_ptrIiEEEENSB_INSC_IjEEEESG_jNS9_4plusIvEENS9_8equal_toIvEEjEE10hipError_tPvRmT2_T3_T4_T5_mT6_T7_P12ihipStream_tbENKUlT_T0_E_clISt17integral_constantIbLb1EES11_EEDaSW_SX_EUlSW_E_NS1_11comp_targetILNS1_3genE3ELNS1_11target_archE908ELNS1_3gpuE7ELNS1_3repE0EEENS1_30default_config_static_selectorELNS0_4arch9wavefront6targetE0EEEvT1_
; %bb.0:
	.section	.rodata,"a",@progbits
	.p2align	6, 0x0
	.amdhsa_kernel _ZN7rocprim17ROCPRIM_400000_NS6detail17trampoline_kernelINS0_14default_configENS1_27scan_by_key_config_selectorIijEEZZNS1_16scan_by_key_implILNS1_25lookback_scan_determinismE0ELb1ES3_N6thrust23THRUST_200600_302600_NS6detail15normal_iteratorINS9_10device_ptrIiEEEENSB_INSC_IjEEEESG_jNS9_4plusIvEENS9_8equal_toIvEEjEE10hipError_tPvRmT2_T3_T4_T5_mT6_T7_P12ihipStream_tbENKUlT_T0_E_clISt17integral_constantIbLb1EES11_EEDaSW_SX_EUlSW_E_NS1_11comp_targetILNS1_3genE3ELNS1_11target_archE908ELNS1_3gpuE7ELNS1_3repE0EEENS1_30default_config_static_selectorELNS0_4arch9wavefront6targetE0EEEvT1_
		.amdhsa_group_segment_fixed_size 0
		.amdhsa_private_segment_fixed_size 0
		.amdhsa_kernarg_size 112
		.amdhsa_user_sgpr_count 2
		.amdhsa_user_sgpr_dispatch_ptr 0
		.amdhsa_user_sgpr_queue_ptr 0
		.amdhsa_user_sgpr_kernarg_segment_ptr 1
		.amdhsa_user_sgpr_dispatch_id 0
		.amdhsa_user_sgpr_kernarg_preload_length 0
		.amdhsa_user_sgpr_kernarg_preload_offset 0
		.amdhsa_user_sgpr_private_segment_size 0
		.amdhsa_wavefront_size32 1
		.amdhsa_uses_dynamic_stack 0
		.amdhsa_enable_private_segment 0
		.amdhsa_system_sgpr_workgroup_id_x 1
		.amdhsa_system_sgpr_workgroup_id_y 0
		.amdhsa_system_sgpr_workgroup_id_z 0
		.amdhsa_system_sgpr_workgroup_info 0
		.amdhsa_system_vgpr_workitem_id 0
		.amdhsa_next_free_vgpr 1
		.amdhsa_next_free_sgpr 1
		.amdhsa_named_barrier_count 0
		.amdhsa_reserve_vcc 0
		.amdhsa_float_round_mode_32 0
		.amdhsa_float_round_mode_16_64 0
		.amdhsa_float_denorm_mode_32 3
		.amdhsa_float_denorm_mode_16_64 3
		.amdhsa_fp16_overflow 0
		.amdhsa_memory_ordered 1
		.amdhsa_forward_progress 1
		.amdhsa_inst_pref_size 0
		.amdhsa_round_robin_scheduling 0
		.amdhsa_exception_fp_ieee_invalid_op 0
		.amdhsa_exception_fp_denorm_src 0
		.amdhsa_exception_fp_ieee_div_zero 0
		.amdhsa_exception_fp_ieee_overflow 0
		.amdhsa_exception_fp_ieee_underflow 0
		.amdhsa_exception_fp_ieee_inexact 0
		.amdhsa_exception_int_div_zero 0
	.end_amdhsa_kernel
	.section	.text._ZN7rocprim17ROCPRIM_400000_NS6detail17trampoline_kernelINS0_14default_configENS1_27scan_by_key_config_selectorIijEEZZNS1_16scan_by_key_implILNS1_25lookback_scan_determinismE0ELb1ES3_N6thrust23THRUST_200600_302600_NS6detail15normal_iteratorINS9_10device_ptrIiEEEENSB_INSC_IjEEEESG_jNS9_4plusIvEENS9_8equal_toIvEEjEE10hipError_tPvRmT2_T3_T4_T5_mT6_T7_P12ihipStream_tbENKUlT_T0_E_clISt17integral_constantIbLb1EES11_EEDaSW_SX_EUlSW_E_NS1_11comp_targetILNS1_3genE3ELNS1_11target_archE908ELNS1_3gpuE7ELNS1_3repE0EEENS1_30default_config_static_selectorELNS0_4arch9wavefront6targetE0EEEvT1_,"axG",@progbits,_ZN7rocprim17ROCPRIM_400000_NS6detail17trampoline_kernelINS0_14default_configENS1_27scan_by_key_config_selectorIijEEZZNS1_16scan_by_key_implILNS1_25lookback_scan_determinismE0ELb1ES3_N6thrust23THRUST_200600_302600_NS6detail15normal_iteratorINS9_10device_ptrIiEEEENSB_INSC_IjEEEESG_jNS9_4plusIvEENS9_8equal_toIvEEjEE10hipError_tPvRmT2_T3_T4_T5_mT6_T7_P12ihipStream_tbENKUlT_T0_E_clISt17integral_constantIbLb1EES11_EEDaSW_SX_EUlSW_E_NS1_11comp_targetILNS1_3genE3ELNS1_11target_archE908ELNS1_3gpuE7ELNS1_3repE0EEENS1_30default_config_static_selectorELNS0_4arch9wavefront6targetE0EEEvT1_,comdat
.Lfunc_end1512:
	.size	_ZN7rocprim17ROCPRIM_400000_NS6detail17trampoline_kernelINS0_14default_configENS1_27scan_by_key_config_selectorIijEEZZNS1_16scan_by_key_implILNS1_25lookback_scan_determinismE0ELb1ES3_N6thrust23THRUST_200600_302600_NS6detail15normal_iteratorINS9_10device_ptrIiEEEENSB_INSC_IjEEEESG_jNS9_4plusIvEENS9_8equal_toIvEEjEE10hipError_tPvRmT2_T3_T4_T5_mT6_T7_P12ihipStream_tbENKUlT_T0_E_clISt17integral_constantIbLb1EES11_EEDaSW_SX_EUlSW_E_NS1_11comp_targetILNS1_3genE3ELNS1_11target_archE908ELNS1_3gpuE7ELNS1_3repE0EEENS1_30default_config_static_selectorELNS0_4arch9wavefront6targetE0EEEvT1_, .Lfunc_end1512-_ZN7rocprim17ROCPRIM_400000_NS6detail17trampoline_kernelINS0_14default_configENS1_27scan_by_key_config_selectorIijEEZZNS1_16scan_by_key_implILNS1_25lookback_scan_determinismE0ELb1ES3_N6thrust23THRUST_200600_302600_NS6detail15normal_iteratorINS9_10device_ptrIiEEEENSB_INSC_IjEEEESG_jNS9_4plusIvEENS9_8equal_toIvEEjEE10hipError_tPvRmT2_T3_T4_T5_mT6_T7_P12ihipStream_tbENKUlT_T0_E_clISt17integral_constantIbLb1EES11_EEDaSW_SX_EUlSW_E_NS1_11comp_targetILNS1_3genE3ELNS1_11target_archE908ELNS1_3gpuE7ELNS1_3repE0EEENS1_30default_config_static_selectorELNS0_4arch9wavefront6targetE0EEEvT1_
                                        ; -- End function
	.set _ZN7rocprim17ROCPRIM_400000_NS6detail17trampoline_kernelINS0_14default_configENS1_27scan_by_key_config_selectorIijEEZZNS1_16scan_by_key_implILNS1_25lookback_scan_determinismE0ELb1ES3_N6thrust23THRUST_200600_302600_NS6detail15normal_iteratorINS9_10device_ptrIiEEEENSB_INSC_IjEEEESG_jNS9_4plusIvEENS9_8equal_toIvEEjEE10hipError_tPvRmT2_T3_T4_T5_mT6_T7_P12ihipStream_tbENKUlT_T0_E_clISt17integral_constantIbLb1EES11_EEDaSW_SX_EUlSW_E_NS1_11comp_targetILNS1_3genE3ELNS1_11target_archE908ELNS1_3gpuE7ELNS1_3repE0EEENS1_30default_config_static_selectorELNS0_4arch9wavefront6targetE0EEEvT1_.num_vgpr, 0
	.set _ZN7rocprim17ROCPRIM_400000_NS6detail17trampoline_kernelINS0_14default_configENS1_27scan_by_key_config_selectorIijEEZZNS1_16scan_by_key_implILNS1_25lookback_scan_determinismE0ELb1ES3_N6thrust23THRUST_200600_302600_NS6detail15normal_iteratorINS9_10device_ptrIiEEEENSB_INSC_IjEEEESG_jNS9_4plusIvEENS9_8equal_toIvEEjEE10hipError_tPvRmT2_T3_T4_T5_mT6_T7_P12ihipStream_tbENKUlT_T0_E_clISt17integral_constantIbLb1EES11_EEDaSW_SX_EUlSW_E_NS1_11comp_targetILNS1_3genE3ELNS1_11target_archE908ELNS1_3gpuE7ELNS1_3repE0EEENS1_30default_config_static_selectorELNS0_4arch9wavefront6targetE0EEEvT1_.num_agpr, 0
	.set _ZN7rocprim17ROCPRIM_400000_NS6detail17trampoline_kernelINS0_14default_configENS1_27scan_by_key_config_selectorIijEEZZNS1_16scan_by_key_implILNS1_25lookback_scan_determinismE0ELb1ES3_N6thrust23THRUST_200600_302600_NS6detail15normal_iteratorINS9_10device_ptrIiEEEENSB_INSC_IjEEEESG_jNS9_4plusIvEENS9_8equal_toIvEEjEE10hipError_tPvRmT2_T3_T4_T5_mT6_T7_P12ihipStream_tbENKUlT_T0_E_clISt17integral_constantIbLb1EES11_EEDaSW_SX_EUlSW_E_NS1_11comp_targetILNS1_3genE3ELNS1_11target_archE908ELNS1_3gpuE7ELNS1_3repE0EEENS1_30default_config_static_selectorELNS0_4arch9wavefront6targetE0EEEvT1_.numbered_sgpr, 0
	.set _ZN7rocprim17ROCPRIM_400000_NS6detail17trampoline_kernelINS0_14default_configENS1_27scan_by_key_config_selectorIijEEZZNS1_16scan_by_key_implILNS1_25lookback_scan_determinismE0ELb1ES3_N6thrust23THRUST_200600_302600_NS6detail15normal_iteratorINS9_10device_ptrIiEEEENSB_INSC_IjEEEESG_jNS9_4plusIvEENS9_8equal_toIvEEjEE10hipError_tPvRmT2_T3_T4_T5_mT6_T7_P12ihipStream_tbENKUlT_T0_E_clISt17integral_constantIbLb1EES11_EEDaSW_SX_EUlSW_E_NS1_11comp_targetILNS1_3genE3ELNS1_11target_archE908ELNS1_3gpuE7ELNS1_3repE0EEENS1_30default_config_static_selectorELNS0_4arch9wavefront6targetE0EEEvT1_.num_named_barrier, 0
	.set _ZN7rocprim17ROCPRIM_400000_NS6detail17trampoline_kernelINS0_14default_configENS1_27scan_by_key_config_selectorIijEEZZNS1_16scan_by_key_implILNS1_25lookback_scan_determinismE0ELb1ES3_N6thrust23THRUST_200600_302600_NS6detail15normal_iteratorINS9_10device_ptrIiEEEENSB_INSC_IjEEEESG_jNS9_4plusIvEENS9_8equal_toIvEEjEE10hipError_tPvRmT2_T3_T4_T5_mT6_T7_P12ihipStream_tbENKUlT_T0_E_clISt17integral_constantIbLb1EES11_EEDaSW_SX_EUlSW_E_NS1_11comp_targetILNS1_3genE3ELNS1_11target_archE908ELNS1_3gpuE7ELNS1_3repE0EEENS1_30default_config_static_selectorELNS0_4arch9wavefront6targetE0EEEvT1_.private_seg_size, 0
	.set _ZN7rocprim17ROCPRIM_400000_NS6detail17trampoline_kernelINS0_14default_configENS1_27scan_by_key_config_selectorIijEEZZNS1_16scan_by_key_implILNS1_25lookback_scan_determinismE0ELb1ES3_N6thrust23THRUST_200600_302600_NS6detail15normal_iteratorINS9_10device_ptrIiEEEENSB_INSC_IjEEEESG_jNS9_4plusIvEENS9_8equal_toIvEEjEE10hipError_tPvRmT2_T3_T4_T5_mT6_T7_P12ihipStream_tbENKUlT_T0_E_clISt17integral_constantIbLb1EES11_EEDaSW_SX_EUlSW_E_NS1_11comp_targetILNS1_3genE3ELNS1_11target_archE908ELNS1_3gpuE7ELNS1_3repE0EEENS1_30default_config_static_selectorELNS0_4arch9wavefront6targetE0EEEvT1_.uses_vcc, 0
	.set _ZN7rocprim17ROCPRIM_400000_NS6detail17trampoline_kernelINS0_14default_configENS1_27scan_by_key_config_selectorIijEEZZNS1_16scan_by_key_implILNS1_25lookback_scan_determinismE0ELb1ES3_N6thrust23THRUST_200600_302600_NS6detail15normal_iteratorINS9_10device_ptrIiEEEENSB_INSC_IjEEEESG_jNS9_4plusIvEENS9_8equal_toIvEEjEE10hipError_tPvRmT2_T3_T4_T5_mT6_T7_P12ihipStream_tbENKUlT_T0_E_clISt17integral_constantIbLb1EES11_EEDaSW_SX_EUlSW_E_NS1_11comp_targetILNS1_3genE3ELNS1_11target_archE908ELNS1_3gpuE7ELNS1_3repE0EEENS1_30default_config_static_selectorELNS0_4arch9wavefront6targetE0EEEvT1_.uses_flat_scratch, 0
	.set _ZN7rocprim17ROCPRIM_400000_NS6detail17trampoline_kernelINS0_14default_configENS1_27scan_by_key_config_selectorIijEEZZNS1_16scan_by_key_implILNS1_25lookback_scan_determinismE0ELb1ES3_N6thrust23THRUST_200600_302600_NS6detail15normal_iteratorINS9_10device_ptrIiEEEENSB_INSC_IjEEEESG_jNS9_4plusIvEENS9_8equal_toIvEEjEE10hipError_tPvRmT2_T3_T4_T5_mT6_T7_P12ihipStream_tbENKUlT_T0_E_clISt17integral_constantIbLb1EES11_EEDaSW_SX_EUlSW_E_NS1_11comp_targetILNS1_3genE3ELNS1_11target_archE908ELNS1_3gpuE7ELNS1_3repE0EEENS1_30default_config_static_selectorELNS0_4arch9wavefront6targetE0EEEvT1_.has_dyn_sized_stack, 0
	.set _ZN7rocprim17ROCPRIM_400000_NS6detail17trampoline_kernelINS0_14default_configENS1_27scan_by_key_config_selectorIijEEZZNS1_16scan_by_key_implILNS1_25lookback_scan_determinismE0ELb1ES3_N6thrust23THRUST_200600_302600_NS6detail15normal_iteratorINS9_10device_ptrIiEEEENSB_INSC_IjEEEESG_jNS9_4plusIvEENS9_8equal_toIvEEjEE10hipError_tPvRmT2_T3_T4_T5_mT6_T7_P12ihipStream_tbENKUlT_T0_E_clISt17integral_constantIbLb1EES11_EEDaSW_SX_EUlSW_E_NS1_11comp_targetILNS1_3genE3ELNS1_11target_archE908ELNS1_3gpuE7ELNS1_3repE0EEENS1_30default_config_static_selectorELNS0_4arch9wavefront6targetE0EEEvT1_.has_recursion, 0
	.set _ZN7rocprim17ROCPRIM_400000_NS6detail17trampoline_kernelINS0_14default_configENS1_27scan_by_key_config_selectorIijEEZZNS1_16scan_by_key_implILNS1_25lookback_scan_determinismE0ELb1ES3_N6thrust23THRUST_200600_302600_NS6detail15normal_iteratorINS9_10device_ptrIiEEEENSB_INSC_IjEEEESG_jNS9_4plusIvEENS9_8equal_toIvEEjEE10hipError_tPvRmT2_T3_T4_T5_mT6_T7_P12ihipStream_tbENKUlT_T0_E_clISt17integral_constantIbLb1EES11_EEDaSW_SX_EUlSW_E_NS1_11comp_targetILNS1_3genE3ELNS1_11target_archE908ELNS1_3gpuE7ELNS1_3repE0EEENS1_30default_config_static_selectorELNS0_4arch9wavefront6targetE0EEEvT1_.has_indirect_call, 0
	.section	.AMDGPU.csdata,"",@progbits
; Kernel info:
; codeLenInByte = 0
; TotalNumSgprs: 0
; NumVgprs: 0
; ScratchSize: 0
; MemoryBound: 0
; FloatMode: 240
; IeeeMode: 1
; LDSByteSize: 0 bytes/workgroup (compile time only)
; SGPRBlocks: 0
; VGPRBlocks: 0
; NumSGPRsForWavesPerEU: 1
; NumVGPRsForWavesPerEU: 1
; NamedBarCnt: 0
; Occupancy: 16
; WaveLimiterHint : 0
; COMPUTE_PGM_RSRC2:SCRATCH_EN: 0
; COMPUTE_PGM_RSRC2:USER_SGPR: 2
; COMPUTE_PGM_RSRC2:TRAP_HANDLER: 0
; COMPUTE_PGM_RSRC2:TGID_X_EN: 1
; COMPUTE_PGM_RSRC2:TGID_Y_EN: 0
; COMPUTE_PGM_RSRC2:TGID_Z_EN: 0
; COMPUTE_PGM_RSRC2:TIDIG_COMP_CNT: 0
	.section	.text._ZN7rocprim17ROCPRIM_400000_NS6detail17trampoline_kernelINS0_14default_configENS1_27scan_by_key_config_selectorIijEEZZNS1_16scan_by_key_implILNS1_25lookback_scan_determinismE0ELb1ES3_N6thrust23THRUST_200600_302600_NS6detail15normal_iteratorINS9_10device_ptrIiEEEENSB_INSC_IjEEEESG_jNS9_4plusIvEENS9_8equal_toIvEEjEE10hipError_tPvRmT2_T3_T4_T5_mT6_T7_P12ihipStream_tbENKUlT_T0_E_clISt17integral_constantIbLb1EES11_EEDaSW_SX_EUlSW_E_NS1_11comp_targetILNS1_3genE2ELNS1_11target_archE906ELNS1_3gpuE6ELNS1_3repE0EEENS1_30default_config_static_selectorELNS0_4arch9wavefront6targetE0EEEvT1_,"axG",@progbits,_ZN7rocprim17ROCPRIM_400000_NS6detail17trampoline_kernelINS0_14default_configENS1_27scan_by_key_config_selectorIijEEZZNS1_16scan_by_key_implILNS1_25lookback_scan_determinismE0ELb1ES3_N6thrust23THRUST_200600_302600_NS6detail15normal_iteratorINS9_10device_ptrIiEEEENSB_INSC_IjEEEESG_jNS9_4plusIvEENS9_8equal_toIvEEjEE10hipError_tPvRmT2_T3_T4_T5_mT6_T7_P12ihipStream_tbENKUlT_T0_E_clISt17integral_constantIbLb1EES11_EEDaSW_SX_EUlSW_E_NS1_11comp_targetILNS1_3genE2ELNS1_11target_archE906ELNS1_3gpuE6ELNS1_3repE0EEENS1_30default_config_static_selectorELNS0_4arch9wavefront6targetE0EEEvT1_,comdat
	.protected	_ZN7rocprim17ROCPRIM_400000_NS6detail17trampoline_kernelINS0_14default_configENS1_27scan_by_key_config_selectorIijEEZZNS1_16scan_by_key_implILNS1_25lookback_scan_determinismE0ELb1ES3_N6thrust23THRUST_200600_302600_NS6detail15normal_iteratorINS9_10device_ptrIiEEEENSB_INSC_IjEEEESG_jNS9_4plusIvEENS9_8equal_toIvEEjEE10hipError_tPvRmT2_T3_T4_T5_mT6_T7_P12ihipStream_tbENKUlT_T0_E_clISt17integral_constantIbLb1EES11_EEDaSW_SX_EUlSW_E_NS1_11comp_targetILNS1_3genE2ELNS1_11target_archE906ELNS1_3gpuE6ELNS1_3repE0EEENS1_30default_config_static_selectorELNS0_4arch9wavefront6targetE0EEEvT1_ ; -- Begin function _ZN7rocprim17ROCPRIM_400000_NS6detail17trampoline_kernelINS0_14default_configENS1_27scan_by_key_config_selectorIijEEZZNS1_16scan_by_key_implILNS1_25lookback_scan_determinismE0ELb1ES3_N6thrust23THRUST_200600_302600_NS6detail15normal_iteratorINS9_10device_ptrIiEEEENSB_INSC_IjEEEESG_jNS9_4plusIvEENS9_8equal_toIvEEjEE10hipError_tPvRmT2_T3_T4_T5_mT6_T7_P12ihipStream_tbENKUlT_T0_E_clISt17integral_constantIbLb1EES11_EEDaSW_SX_EUlSW_E_NS1_11comp_targetILNS1_3genE2ELNS1_11target_archE906ELNS1_3gpuE6ELNS1_3repE0EEENS1_30default_config_static_selectorELNS0_4arch9wavefront6targetE0EEEvT1_
	.globl	_ZN7rocprim17ROCPRIM_400000_NS6detail17trampoline_kernelINS0_14default_configENS1_27scan_by_key_config_selectorIijEEZZNS1_16scan_by_key_implILNS1_25lookback_scan_determinismE0ELb1ES3_N6thrust23THRUST_200600_302600_NS6detail15normal_iteratorINS9_10device_ptrIiEEEENSB_INSC_IjEEEESG_jNS9_4plusIvEENS9_8equal_toIvEEjEE10hipError_tPvRmT2_T3_T4_T5_mT6_T7_P12ihipStream_tbENKUlT_T0_E_clISt17integral_constantIbLb1EES11_EEDaSW_SX_EUlSW_E_NS1_11comp_targetILNS1_3genE2ELNS1_11target_archE906ELNS1_3gpuE6ELNS1_3repE0EEENS1_30default_config_static_selectorELNS0_4arch9wavefront6targetE0EEEvT1_
	.p2align	8
	.type	_ZN7rocprim17ROCPRIM_400000_NS6detail17trampoline_kernelINS0_14default_configENS1_27scan_by_key_config_selectorIijEEZZNS1_16scan_by_key_implILNS1_25lookback_scan_determinismE0ELb1ES3_N6thrust23THRUST_200600_302600_NS6detail15normal_iteratorINS9_10device_ptrIiEEEENSB_INSC_IjEEEESG_jNS9_4plusIvEENS9_8equal_toIvEEjEE10hipError_tPvRmT2_T3_T4_T5_mT6_T7_P12ihipStream_tbENKUlT_T0_E_clISt17integral_constantIbLb1EES11_EEDaSW_SX_EUlSW_E_NS1_11comp_targetILNS1_3genE2ELNS1_11target_archE906ELNS1_3gpuE6ELNS1_3repE0EEENS1_30default_config_static_selectorELNS0_4arch9wavefront6targetE0EEEvT1_,@function
_ZN7rocprim17ROCPRIM_400000_NS6detail17trampoline_kernelINS0_14default_configENS1_27scan_by_key_config_selectorIijEEZZNS1_16scan_by_key_implILNS1_25lookback_scan_determinismE0ELb1ES3_N6thrust23THRUST_200600_302600_NS6detail15normal_iteratorINS9_10device_ptrIiEEEENSB_INSC_IjEEEESG_jNS9_4plusIvEENS9_8equal_toIvEEjEE10hipError_tPvRmT2_T3_T4_T5_mT6_T7_P12ihipStream_tbENKUlT_T0_E_clISt17integral_constantIbLb1EES11_EEDaSW_SX_EUlSW_E_NS1_11comp_targetILNS1_3genE2ELNS1_11target_archE906ELNS1_3gpuE6ELNS1_3repE0EEENS1_30default_config_static_selectorELNS0_4arch9wavefront6targetE0EEEvT1_: ; @_ZN7rocprim17ROCPRIM_400000_NS6detail17trampoline_kernelINS0_14default_configENS1_27scan_by_key_config_selectorIijEEZZNS1_16scan_by_key_implILNS1_25lookback_scan_determinismE0ELb1ES3_N6thrust23THRUST_200600_302600_NS6detail15normal_iteratorINS9_10device_ptrIiEEEENSB_INSC_IjEEEESG_jNS9_4plusIvEENS9_8equal_toIvEEjEE10hipError_tPvRmT2_T3_T4_T5_mT6_T7_P12ihipStream_tbENKUlT_T0_E_clISt17integral_constantIbLb1EES11_EEDaSW_SX_EUlSW_E_NS1_11comp_targetILNS1_3genE2ELNS1_11target_archE906ELNS1_3gpuE6ELNS1_3repE0EEENS1_30default_config_static_selectorELNS0_4arch9wavefront6targetE0EEEvT1_
; %bb.0:
	.section	.rodata,"a",@progbits
	.p2align	6, 0x0
	.amdhsa_kernel _ZN7rocprim17ROCPRIM_400000_NS6detail17trampoline_kernelINS0_14default_configENS1_27scan_by_key_config_selectorIijEEZZNS1_16scan_by_key_implILNS1_25lookback_scan_determinismE0ELb1ES3_N6thrust23THRUST_200600_302600_NS6detail15normal_iteratorINS9_10device_ptrIiEEEENSB_INSC_IjEEEESG_jNS9_4plusIvEENS9_8equal_toIvEEjEE10hipError_tPvRmT2_T3_T4_T5_mT6_T7_P12ihipStream_tbENKUlT_T0_E_clISt17integral_constantIbLb1EES11_EEDaSW_SX_EUlSW_E_NS1_11comp_targetILNS1_3genE2ELNS1_11target_archE906ELNS1_3gpuE6ELNS1_3repE0EEENS1_30default_config_static_selectorELNS0_4arch9wavefront6targetE0EEEvT1_
		.amdhsa_group_segment_fixed_size 0
		.amdhsa_private_segment_fixed_size 0
		.amdhsa_kernarg_size 112
		.amdhsa_user_sgpr_count 2
		.amdhsa_user_sgpr_dispatch_ptr 0
		.amdhsa_user_sgpr_queue_ptr 0
		.amdhsa_user_sgpr_kernarg_segment_ptr 1
		.amdhsa_user_sgpr_dispatch_id 0
		.amdhsa_user_sgpr_kernarg_preload_length 0
		.amdhsa_user_sgpr_kernarg_preload_offset 0
		.amdhsa_user_sgpr_private_segment_size 0
		.amdhsa_wavefront_size32 1
		.amdhsa_uses_dynamic_stack 0
		.amdhsa_enable_private_segment 0
		.amdhsa_system_sgpr_workgroup_id_x 1
		.amdhsa_system_sgpr_workgroup_id_y 0
		.amdhsa_system_sgpr_workgroup_id_z 0
		.amdhsa_system_sgpr_workgroup_info 0
		.amdhsa_system_vgpr_workitem_id 0
		.amdhsa_next_free_vgpr 1
		.amdhsa_next_free_sgpr 1
		.amdhsa_named_barrier_count 0
		.amdhsa_reserve_vcc 0
		.amdhsa_float_round_mode_32 0
		.amdhsa_float_round_mode_16_64 0
		.amdhsa_float_denorm_mode_32 3
		.amdhsa_float_denorm_mode_16_64 3
		.amdhsa_fp16_overflow 0
		.amdhsa_memory_ordered 1
		.amdhsa_forward_progress 1
		.amdhsa_inst_pref_size 0
		.amdhsa_round_robin_scheduling 0
		.amdhsa_exception_fp_ieee_invalid_op 0
		.amdhsa_exception_fp_denorm_src 0
		.amdhsa_exception_fp_ieee_div_zero 0
		.amdhsa_exception_fp_ieee_overflow 0
		.amdhsa_exception_fp_ieee_underflow 0
		.amdhsa_exception_fp_ieee_inexact 0
		.amdhsa_exception_int_div_zero 0
	.end_amdhsa_kernel
	.section	.text._ZN7rocprim17ROCPRIM_400000_NS6detail17trampoline_kernelINS0_14default_configENS1_27scan_by_key_config_selectorIijEEZZNS1_16scan_by_key_implILNS1_25lookback_scan_determinismE0ELb1ES3_N6thrust23THRUST_200600_302600_NS6detail15normal_iteratorINS9_10device_ptrIiEEEENSB_INSC_IjEEEESG_jNS9_4plusIvEENS9_8equal_toIvEEjEE10hipError_tPvRmT2_T3_T4_T5_mT6_T7_P12ihipStream_tbENKUlT_T0_E_clISt17integral_constantIbLb1EES11_EEDaSW_SX_EUlSW_E_NS1_11comp_targetILNS1_3genE2ELNS1_11target_archE906ELNS1_3gpuE6ELNS1_3repE0EEENS1_30default_config_static_selectorELNS0_4arch9wavefront6targetE0EEEvT1_,"axG",@progbits,_ZN7rocprim17ROCPRIM_400000_NS6detail17trampoline_kernelINS0_14default_configENS1_27scan_by_key_config_selectorIijEEZZNS1_16scan_by_key_implILNS1_25lookback_scan_determinismE0ELb1ES3_N6thrust23THRUST_200600_302600_NS6detail15normal_iteratorINS9_10device_ptrIiEEEENSB_INSC_IjEEEESG_jNS9_4plusIvEENS9_8equal_toIvEEjEE10hipError_tPvRmT2_T3_T4_T5_mT6_T7_P12ihipStream_tbENKUlT_T0_E_clISt17integral_constantIbLb1EES11_EEDaSW_SX_EUlSW_E_NS1_11comp_targetILNS1_3genE2ELNS1_11target_archE906ELNS1_3gpuE6ELNS1_3repE0EEENS1_30default_config_static_selectorELNS0_4arch9wavefront6targetE0EEEvT1_,comdat
.Lfunc_end1513:
	.size	_ZN7rocprim17ROCPRIM_400000_NS6detail17trampoline_kernelINS0_14default_configENS1_27scan_by_key_config_selectorIijEEZZNS1_16scan_by_key_implILNS1_25lookback_scan_determinismE0ELb1ES3_N6thrust23THRUST_200600_302600_NS6detail15normal_iteratorINS9_10device_ptrIiEEEENSB_INSC_IjEEEESG_jNS9_4plusIvEENS9_8equal_toIvEEjEE10hipError_tPvRmT2_T3_T4_T5_mT6_T7_P12ihipStream_tbENKUlT_T0_E_clISt17integral_constantIbLb1EES11_EEDaSW_SX_EUlSW_E_NS1_11comp_targetILNS1_3genE2ELNS1_11target_archE906ELNS1_3gpuE6ELNS1_3repE0EEENS1_30default_config_static_selectorELNS0_4arch9wavefront6targetE0EEEvT1_, .Lfunc_end1513-_ZN7rocprim17ROCPRIM_400000_NS6detail17trampoline_kernelINS0_14default_configENS1_27scan_by_key_config_selectorIijEEZZNS1_16scan_by_key_implILNS1_25lookback_scan_determinismE0ELb1ES3_N6thrust23THRUST_200600_302600_NS6detail15normal_iteratorINS9_10device_ptrIiEEEENSB_INSC_IjEEEESG_jNS9_4plusIvEENS9_8equal_toIvEEjEE10hipError_tPvRmT2_T3_T4_T5_mT6_T7_P12ihipStream_tbENKUlT_T0_E_clISt17integral_constantIbLb1EES11_EEDaSW_SX_EUlSW_E_NS1_11comp_targetILNS1_3genE2ELNS1_11target_archE906ELNS1_3gpuE6ELNS1_3repE0EEENS1_30default_config_static_selectorELNS0_4arch9wavefront6targetE0EEEvT1_
                                        ; -- End function
	.set _ZN7rocprim17ROCPRIM_400000_NS6detail17trampoline_kernelINS0_14default_configENS1_27scan_by_key_config_selectorIijEEZZNS1_16scan_by_key_implILNS1_25lookback_scan_determinismE0ELb1ES3_N6thrust23THRUST_200600_302600_NS6detail15normal_iteratorINS9_10device_ptrIiEEEENSB_INSC_IjEEEESG_jNS9_4plusIvEENS9_8equal_toIvEEjEE10hipError_tPvRmT2_T3_T4_T5_mT6_T7_P12ihipStream_tbENKUlT_T0_E_clISt17integral_constantIbLb1EES11_EEDaSW_SX_EUlSW_E_NS1_11comp_targetILNS1_3genE2ELNS1_11target_archE906ELNS1_3gpuE6ELNS1_3repE0EEENS1_30default_config_static_selectorELNS0_4arch9wavefront6targetE0EEEvT1_.num_vgpr, 0
	.set _ZN7rocprim17ROCPRIM_400000_NS6detail17trampoline_kernelINS0_14default_configENS1_27scan_by_key_config_selectorIijEEZZNS1_16scan_by_key_implILNS1_25lookback_scan_determinismE0ELb1ES3_N6thrust23THRUST_200600_302600_NS6detail15normal_iteratorINS9_10device_ptrIiEEEENSB_INSC_IjEEEESG_jNS9_4plusIvEENS9_8equal_toIvEEjEE10hipError_tPvRmT2_T3_T4_T5_mT6_T7_P12ihipStream_tbENKUlT_T0_E_clISt17integral_constantIbLb1EES11_EEDaSW_SX_EUlSW_E_NS1_11comp_targetILNS1_3genE2ELNS1_11target_archE906ELNS1_3gpuE6ELNS1_3repE0EEENS1_30default_config_static_selectorELNS0_4arch9wavefront6targetE0EEEvT1_.num_agpr, 0
	.set _ZN7rocprim17ROCPRIM_400000_NS6detail17trampoline_kernelINS0_14default_configENS1_27scan_by_key_config_selectorIijEEZZNS1_16scan_by_key_implILNS1_25lookback_scan_determinismE0ELb1ES3_N6thrust23THRUST_200600_302600_NS6detail15normal_iteratorINS9_10device_ptrIiEEEENSB_INSC_IjEEEESG_jNS9_4plusIvEENS9_8equal_toIvEEjEE10hipError_tPvRmT2_T3_T4_T5_mT6_T7_P12ihipStream_tbENKUlT_T0_E_clISt17integral_constantIbLb1EES11_EEDaSW_SX_EUlSW_E_NS1_11comp_targetILNS1_3genE2ELNS1_11target_archE906ELNS1_3gpuE6ELNS1_3repE0EEENS1_30default_config_static_selectorELNS0_4arch9wavefront6targetE0EEEvT1_.numbered_sgpr, 0
	.set _ZN7rocprim17ROCPRIM_400000_NS6detail17trampoline_kernelINS0_14default_configENS1_27scan_by_key_config_selectorIijEEZZNS1_16scan_by_key_implILNS1_25lookback_scan_determinismE0ELb1ES3_N6thrust23THRUST_200600_302600_NS6detail15normal_iteratorINS9_10device_ptrIiEEEENSB_INSC_IjEEEESG_jNS9_4plusIvEENS9_8equal_toIvEEjEE10hipError_tPvRmT2_T3_T4_T5_mT6_T7_P12ihipStream_tbENKUlT_T0_E_clISt17integral_constantIbLb1EES11_EEDaSW_SX_EUlSW_E_NS1_11comp_targetILNS1_3genE2ELNS1_11target_archE906ELNS1_3gpuE6ELNS1_3repE0EEENS1_30default_config_static_selectorELNS0_4arch9wavefront6targetE0EEEvT1_.num_named_barrier, 0
	.set _ZN7rocprim17ROCPRIM_400000_NS6detail17trampoline_kernelINS0_14default_configENS1_27scan_by_key_config_selectorIijEEZZNS1_16scan_by_key_implILNS1_25lookback_scan_determinismE0ELb1ES3_N6thrust23THRUST_200600_302600_NS6detail15normal_iteratorINS9_10device_ptrIiEEEENSB_INSC_IjEEEESG_jNS9_4plusIvEENS9_8equal_toIvEEjEE10hipError_tPvRmT2_T3_T4_T5_mT6_T7_P12ihipStream_tbENKUlT_T0_E_clISt17integral_constantIbLb1EES11_EEDaSW_SX_EUlSW_E_NS1_11comp_targetILNS1_3genE2ELNS1_11target_archE906ELNS1_3gpuE6ELNS1_3repE0EEENS1_30default_config_static_selectorELNS0_4arch9wavefront6targetE0EEEvT1_.private_seg_size, 0
	.set _ZN7rocprim17ROCPRIM_400000_NS6detail17trampoline_kernelINS0_14default_configENS1_27scan_by_key_config_selectorIijEEZZNS1_16scan_by_key_implILNS1_25lookback_scan_determinismE0ELb1ES3_N6thrust23THRUST_200600_302600_NS6detail15normal_iteratorINS9_10device_ptrIiEEEENSB_INSC_IjEEEESG_jNS9_4plusIvEENS9_8equal_toIvEEjEE10hipError_tPvRmT2_T3_T4_T5_mT6_T7_P12ihipStream_tbENKUlT_T0_E_clISt17integral_constantIbLb1EES11_EEDaSW_SX_EUlSW_E_NS1_11comp_targetILNS1_3genE2ELNS1_11target_archE906ELNS1_3gpuE6ELNS1_3repE0EEENS1_30default_config_static_selectorELNS0_4arch9wavefront6targetE0EEEvT1_.uses_vcc, 0
	.set _ZN7rocprim17ROCPRIM_400000_NS6detail17trampoline_kernelINS0_14default_configENS1_27scan_by_key_config_selectorIijEEZZNS1_16scan_by_key_implILNS1_25lookback_scan_determinismE0ELb1ES3_N6thrust23THRUST_200600_302600_NS6detail15normal_iteratorINS9_10device_ptrIiEEEENSB_INSC_IjEEEESG_jNS9_4plusIvEENS9_8equal_toIvEEjEE10hipError_tPvRmT2_T3_T4_T5_mT6_T7_P12ihipStream_tbENKUlT_T0_E_clISt17integral_constantIbLb1EES11_EEDaSW_SX_EUlSW_E_NS1_11comp_targetILNS1_3genE2ELNS1_11target_archE906ELNS1_3gpuE6ELNS1_3repE0EEENS1_30default_config_static_selectorELNS0_4arch9wavefront6targetE0EEEvT1_.uses_flat_scratch, 0
	.set _ZN7rocprim17ROCPRIM_400000_NS6detail17trampoline_kernelINS0_14default_configENS1_27scan_by_key_config_selectorIijEEZZNS1_16scan_by_key_implILNS1_25lookback_scan_determinismE0ELb1ES3_N6thrust23THRUST_200600_302600_NS6detail15normal_iteratorINS9_10device_ptrIiEEEENSB_INSC_IjEEEESG_jNS9_4plusIvEENS9_8equal_toIvEEjEE10hipError_tPvRmT2_T3_T4_T5_mT6_T7_P12ihipStream_tbENKUlT_T0_E_clISt17integral_constantIbLb1EES11_EEDaSW_SX_EUlSW_E_NS1_11comp_targetILNS1_3genE2ELNS1_11target_archE906ELNS1_3gpuE6ELNS1_3repE0EEENS1_30default_config_static_selectorELNS0_4arch9wavefront6targetE0EEEvT1_.has_dyn_sized_stack, 0
	.set _ZN7rocprim17ROCPRIM_400000_NS6detail17trampoline_kernelINS0_14default_configENS1_27scan_by_key_config_selectorIijEEZZNS1_16scan_by_key_implILNS1_25lookback_scan_determinismE0ELb1ES3_N6thrust23THRUST_200600_302600_NS6detail15normal_iteratorINS9_10device_ptrIiEEEENSB_INSC_IjEEEESG_jNS9_4plusIvEENS9_8equal_toIvEEjEE10hipError_tPvRmT2_T3_T4_T5_mT6_T7_P12ihipStream_tbENKUlT_T0_E_clISt17integral_constantIbLb1EES11_EEDaSW_SX_EUlSW_E_NS1_11comp_targetILNS1_3genE2ELNS1_11target_archE906ELNS1_3gpuE6ELNS1_3repE0EEENS1_30default_config_static_selectorELNS0_4arch9wavefront6targetE0EEEvT1_.has_recursion, 0
	.set _ZN7rocprim17ROCPRIM_400000_NS6detail17trampoline_kernelINS0_14default_configENS1_27scan_by_key_config_selectorIijEEZZNS1_16scan_by_key_implILNS1_25lookback_scan_determinismE0ELb1ES3_N6thrust23THRUST_200600_302600_NS6detail15normal_iteratorINS9_10device_ptrIiEEEENSB_INSC_IjEEEESG_jNS9_4plusIvEENS9_8equal_toIvEEjEE10hipError_tPvRmT2_T3_T4_T5_mT6_T7_P12ihipStream_tbENKUlT_T0_E_clISt17integral_constantIbLb1EES11_EEDaSW_SX_EUlSW_E_NS1_11comp_targetILNS1_3genE2ELNS1_11target_archE906ELNS1_3gpuE6ELNS1_3repE0EEENS1_30default_config_static_selectorELNS0_4arch9wavefront6targetE0EEEvT1_.has_indirect_call, 0
	.section	.AMDGPU.csdata,"",@progbits
; Kernel info:
; codeLenInByte = 0
; TotalNumSgprs: 0
; NumVgprs: 0
; ScratchSize: 0
; MemoryBound: 0
; FloatMode: 240
; IeeeMode: 1
; LDSByteSize: 0 bytes/workgroup (compile time only)
; SGPRBlocks: 0
; VGPRBlocks: 0
; NumSGPRsForWavesPerEU: 1
; NumVGPRsForWavesPerEU: 1
; NamedBarCnt: 0
; Occupancy: 16
; WaveLimiterHint : 0
; COMPUTE_PGM_RSRC2:SCRATCH_EN: 0
; COMPUTE_PGM_RSRC2:USER_SGPR: 2
; COMPUTE_PGM_RSRC2:TRAP_HANDLER: 0
; COMPUTE_PGM_RSRC2:TGID_X_EN: 1
; COMPUTE_PGM_RSRC2:TGID_Y_EN: 0
; COMPUTE_PGM_RSRC2:TGID_Z_EN: 0
; COMPUTE_PGM_RSRC2:TIDIG_COMP_CNT: 0
	.section	.text._ZN7rocprim17ROCPRIM_400000_NS6detail17trampoline_kernelINS0_14default_configENS1_27scan_by_key_config_selectorIijEEZZNS1_16scan_by_key_implILNS1_25lookback_scan_determinismE0ELb1ES3_N6thrust23THRUST_200600_302600_NS6detail15normal_iteratorINS9_10device_ptrIiEEEENSB_INSC_IjEEEESG_jNS9_4plusIvEENS9_8equal_toIvEEjEE10hipError_tPvRmT2_T3_T4_T5_mT6_T7_P12ihipStream_tbENKUlT_T0_E_clISt17integral_constantIbLb1EES11_EEDaSW_SX_EUlSW_E_NS1_11comp_targetILNS1_3genE10ELNS1_11target_archE1200ELNS1_3gpuE4ELNS1_3repE0EEENS1_30default_config_static_selectorELNS0_4arch9wavefront6targetE0EEEvT1_,"axG",@progbits,_ZN7rocprim17ROCPRIM_400000_NS6detail17trampoline_kernelINS0_14default_configENS1_27scan_by_key_config_selectorIijEEZZNS1_16scan_by_key_implILNS1_25lookback_scan_determinismE0ELb1ES3_N6thrust23THRUST_200600_302600_NS6detail15normal_iteratorINS9_10device_ptrIiEEEENSB_INSC_IjEEEESG_jNS9_4plusIvEENS9_8equal_toIvEEjEE10hipError_tPvRmT2_T3_T4_T5_mT6_T7_P12ihipStream_tbENKUlT_T0_E_clISt17integral_constantIbLb1EES11_EEDaSW_SX_EUlSW_E_NS1_11comp_targetILNS1_3genE10ELNS1_11target_archE1200ELNS1_3gpuE4ELNS1_3repE0EEENS1_30default_config_static_selectorELNS0_4arch9wavefront6targetE0EEEvT1_,comdat
	.protected	_ZN7rocprim17ROCPRIM_400000_NS6detail17trampoline_kernelINS0_14default_configENS1_27scan_by_key_config_selectorIijEEZZNS1_16scan_by_key_implILNS1_25lookback_scan_determinismE0ELb1ES3_N6thrust23THRUST_200600_302600_NS6detail15normal_iteratorINS9_10device_ptrIiEEEENSB_INSC_IjEEEESG_jNS9_4plusIvEENS9_8equal_toIvEEjEE10hipError_tPvRmT2_T3_T4_T5_mT6_T7_P12ihipStream_tbENKUlT_T0_E_clISt17integral_constantIbLb1EES11_EEDaSW_SX_EUlSW_E_NS1_11comp_targetILNS1_3genE10ELNS1_11target_archE1200ELNS1_3gpuE4ELNS1_3repE0EEENS1_30default_config_static_selectorELNS0_4arch9wavefront6targetE0EEEvT1_ ; -- Begin function _ZN7rocprim17ROCPRIM_400000_NS6detail17trampoline_kernelINS0_14default_configENS1_27scan_by_key_config_selectorIijEEZZNS1_16scan_by_key_implILNS1_25lookback_scan_determinismE0ELb1ES3_N6thrust23THRUST_200600_302600_NS6detail15normal_iteratorINS9_10device_ptrIiEEEENSB_INSC_IjEEEESG_jNS9_4plusIvEENS9_8equal_toIvEEjEE10hipError_tPvRmT2_T3_T4_T5_mT6_T7_P12ihipStream_tbENKUlT_T0_E_clISt17integral_constantIbLb1EES11_EEDaSW_SX_EUlSW_E_NS1_11comp_targetILNS1_3genE10ELNS1_11target_archE1200ELNS1_3gpuE4ELNS1_3repE0EEENS1_30default_config_static_selectorELNS0_4arch9wavefront6targetE0EEEvT1_
	.globl	_ZN7rocprim17ROCPRIM_400000_NS6detail17trampoline_kernelINS0_14default_configENS1_27scan_by_key_config_selectorIijEEZZNS1_16scan_by_key_implILNS1_25lookback_scan_determinismE0ELb1ES3_N6thrust23THRUST_200600_302600_NS6detail15normal_iteratorINS9_10device_ptrIiEEEENSB_INSC_IjEEEESG_jNS9_4plusIvEENS9_8equal_toIvEEjEE10hipError_tPvRmT2_T3_T4_T5_mT6_T7_P12ihipStream_tbENKUlT_T0_E_clISt17integral_constantIbLb1EES11_EEDaSW_SX_EUlSW_E_NS1_11comp_targetILNS1_3genE10ELNS1_11target_archE1200ELNS1_3gpuE4ELNS1_3repE0EEENS1_30default_config_static_selectorELNS0_4arch9wavefront6targetE0EEEvT1_
	.p2align	8
	.type	_ZN7rocprim17ROCPRIM_400000_NS6detail17trampoline_kernelINS0_14default_configENS1_27scan_by_key_config_selectorIijEEZZNS1_16scan_by_key_implILNS1_25lookback_scan_determinismE0ELb1ES3_N6thrust23THRUST_200600_302600_NS6detail15normal_iteratorINS9_10device_ptrIiEEEENSB_INSC_IjEEEESG_jNS9_4plusIvEENS9_8equal_toIvEEjEE10hipError_tPvRmT2_T3_T4_T5_mT6_T7_P12ihipStream_tbENKUlT_T0_E_clISt17integral_constantIbLb1EES11_EEDaSW_SX_EUlSW_E_NS1_11comp_targetILNS1_3genE10ELNS1_11target_archE1200ELNS1_3gpuE4ELNS1_3repE0EEENS1_30default_config_static_selectorELNS0_4arch9wavefront6targetE0EEEvT1_,@function
_ZN7rocprim17ROCPRIM_400000_NS6detail17trampoline_kernelINS0_14default_configENS1_27scan_by_key_config_selectorIijEEZZNS1_16scan_by_key_implILNS1_25lookback_scan_determinismE0ELb1ES3_N6thrust23THRUST_200600_302600_NS6detail15normal_iteratorINS9_10device_ptrIiEEEENSB_INSC_IjEEEESG_jNS9_4plusIvEENS9_8equal_toIvEEjEE10hipError_tPvRmT2_T3_T4_T5_mT6_T7_P12ihipStream_tbENKUlT_T0_E_clISt17integral_constantIbLb1EES11_EEDaSW_SX_EUlSW_E_NS1_11comp_targetILNS1_3genE10ELNS1_11target_archE1200ELNS1_3gpuE4ELNS1_3repE0EEENS1_30default_config_static_selectorELNS0_4arch9wavefront6targetE0EEEvT1_: ; @_ZN7rocprim17ROCPRIM_400000_NS6detail17trampoline_kernelINS0_14default_configENS1_27scan_by_key_config_selectorIijEEZZNS1_16scan_by_key_implILNS1_25lookback_scan_determinismE0ELb1ES3_N6thrust23THRUST_200600_302600_NS6detail15normal_iteratorINS9_10device_ptrIiEEEENSB_INSC_IjEEEESG_jNS9_4plusIvEENS9_8equal_toIvEEjEE10hipError_tPvRmT2_T3_T4_T5_mT6_T7_P12ihipStream_tbENKUlT_T0_E_clISt17integral_constantIbLb1EES11_EEDaSW_SX_EUlSW_E_NS1_11comp_targetILNS1_3genE10ELNS1_11target_archE1200ELNS1_3gpuE4ELNS1_3repE0EEENS1_30default_config_static_selectorELNS0_4arch9wavefront6targetE0EEEvT1_
; %bb.0:
	.section	.rodata,"a",@progbits
	.p2align	6, 0x0
	.amdhsa_kernel _ZN7rocprim17ROCPRIM_400000_NS6detail17trampoline_kernelINS0_14default_configENS1_27scan_by_key_config_selectorIijEEZZNS1_16scan_by_key_implILNS1_25lookback_scan_determinismE0ELb1ES3_N6thrust23THRUST_200600_302600_NS6detail15normal_iteratorINS9_10device_ptrIiEEEENSB_INSC_IjEEEESG_jNS9_4plusIvEENS9_8equal_toIvEEjEE10hipError_tPvRmT2_T3_T4_T5_mT6_T7_P12ihipStream_tbENKUlT_T0_E_clISt17integral_constantIbLb1EES11_EEDaSW_SX_EUlSW_E_NS1_11comp_targetILNS1_3genE10ELNS1_11target_archE1200ELNS1_3gpuE4ELNS1_3repE0EEENS1_30default_config_static_selectorELNS0_4arch9wavefront6targetE0EEEvT1_
		.amdhsa_group_segment_fixed_size 0
		.amdhsa_private_segment_fixed_size 0
		.amdhsa_kernarg_size 112
		.amdhsa_user_sgpr_count 2
		.amdhsa_user_sgpr_dispatch_ptr 0
		.amdhsa_user_sgpr_queue_ptr 0
		.amdhsa_user_sgpr_kernarg_segment_ptr 1
		.amdhsa_user_sgpr_dispatch_id 0
		.amdhsa_user_sgpr_kernarg_preload_length 0
		.amdhsa_user_sgpr_kernarg_preload_offset 0
		.amdhsa_user_sgpr_private_segment_size 0
		.amdhsa_wavefront_size32 1
		.amdhsa_uses_dynamic_stack 0
		.amdhsa_enable_private_segment 0
		.amdhsa_system_sgpr_workgroup_id_x 1
		.amdhsa_system_sgpr_workgroup_id_y 0
		.amdhsa_system_sgpr_workgroup_id_z 0
		.amdhsa_system_sgpr_workgroup_info 0
		.amdhsa_system_vgpr_workitem_id 0
		.amdhsa_next_free_vgpr 1
		.amdhsa_next_free_sgpr 1
		.amdhsa_named_barrier_count 0
		.amdhsa_reserve_vcc 0
		.amdhsa_float_round_mode_32 0
		.amdhsa_float_round_mode_16_64 0
		.amdhsa_float_denorm_mode_32 3
		.amdhsa_float_denorm_mode_16_64 3
		.amdhsa_fp16_overflow 0
		.amdhsa_memory_ordered 1
		.amdhsa_forward_progress 1
		.amdhsa_inst_pref_size 0
		.amdhsa_round_robin_scheduling 0
		.amdhsa_exception_fp_ieee_invalid_op 0
		.amdhsa_exception_fp_denorm_src 0
		.amdhsa_exception_fp_ieee_div_zero 0
		.amdhsa_exception_fp_ieee_overflow 0
		.amdhsa_exception_fp_ieee_underflow 0
		.amdhsa_exception_fp_ieee_inexact 0
		.amdhsa_exception_int_div_zero 0
	.end_amdhsa_kernel
	.section	.text._ZN7rocprim17ROCPRIM_400000_NS6detail17trampoline_kernelINS0_14default_configENS1_27scan_by_key_config_selectorIijEEZZNS1_16scan_by_key_implILNS1_25lookback_scan_determinismE0ELb1ES3_N6thrust23THRUST_200600_302600_NS6detail15normal_iteratorINS9_10device_ptrIiEEEENSB_INSC_IjEEEESG_jNS9_4plusIvEENS9_8equal_toIvEEjEE10hipError_tPvRmT2_T3_T4_T5_mT6_T7_P12ihipStream_tbENKUlT_T0_E_clISt17integral_constantIbLb1EES11_EEDaSW_SX_EUlSW_E_NS1_11comp_targetILNS1_3genE10ELNS1_11target_archE1200ELNS1_3gpuE4ELNS1_3repE0EEENS1_30default_config_static_selectorELNS0_4arch9wavefront6targetE0EEEvT1_,"axG",@progbits,_ZN7rocprim17ROCPRIM_400000_NS6detail17trampoline_kernelINS0_14default_configENS1_27scan_by_key_config_selectorIijEEZZNS1_16scan_by_key_implILNS1_25lookback_scan_determinismE0ELb1ES3_N6thrust23THRUST_200600_302600_NS6detail15normal_iteratorINS9_10device_ptrIiEEEENSB_INSC_IjEEEESG_jNS9_4plusIvEENS9_8equal_toIvEEjEE10hipError_tPvRmT2_T3_T4_T5_mT6_T7_P12ihipStream_tbENKUlT_T0_E_clISt17integral_constantIbLb1EES11_EEDaSW_SX_EUlSW_E_NS1_11comp_targetILNS1_3genE10ELNS1_11target_archE1200ELNS1_3gpuE4ELNS1_3repE0EEENS1_30default_config_static_selectorELNS0_4arch9wavefront6targetE0EEEvT1_,comdat
.Lfunc_end1514:
	.size	_ZN7rocprim17ROCPRIM_400000_NS6detail17trampoline_kernelINS0_14default_configENS1_27scan_by_key_config_selectorIijEEZZNS1_16scan_by_key_implILNS1_25lookback_scan_determinismE0ELb1ES3_N6thrust23THRUST_200600_302600_NS6detail15normal_iteratorINS9_10device_ptrIiEEEENSB_INSC_IjEEEESG_jNS9_4plusIvEENS9_8equal_toIvEEjEE10hipError_tPvRmT2_T3_T4_T5_mT6_T7_P12ihipStream_tbENKUlT_T0_E_clISt17integral_constantIbLb1EES11_EEDaSW_SX_EUlSW_E_NS1_11comp_targetILNS1_3genE10ELNS1_11target_archE1200ELNS1_3gpuE4ELNS1_3repE0EEENS1_30default_config_static_selectorELNS0_4arch9wavefront6targetE0EEEvT1_, .Lfunc_end1514-_ZN7rocprim17ROCPRIM_400000_NS6detail17trampoline_kernelINS0_14default_configENS1_27scan_by_key_config_selectorIijEEZZNS1_16scan_by_key_implILNS1_25lookback_scan_determinismE0ELb1ES3_N6thrust23THRUST_200600_302600_NS6detail15normal_iteratorINS9_10device_ptrIiEEEENSB_INSC_IjEEEESG_jNS9_4plusIvEENS9_8equal_toIvEEjEE10hipError_tPvRmT2_T3_T4_T5_mT6_T7_P12ihipStream_tbENKUlT_T0_E_clISt17integral_constantIbLb1EES11_EEDaSW_SX_EUlSW_E_NS1_11comp_targetILNS1_3genE10ELNS1_11target_archE1200ELNS1_3gpuE4ELNS1_3repE0EEENS1_30default_config_static_selectorELNS0_4arch9wavefront6targetE0EEEvT1_
                                        ; -- End function
	.set _ZN7rocprim17ROCPRIM_400000_NS6detail17trampoline_kernelINS0_14default_configENS1_27scan_by_key_config_selectorIijEEZZNS1_16scan_by_key_implILNS1_25lookback_scan_determinismE0ELb1ES3_N6thrust23THRUST_200600_302600_NS6detail15normal_iteratorINS9_10device_ptrIiEEEENSB_INSC_IjEEEESG_jNS9_4plusIvEENS9_8equal_toIvEEjEE10hipError_tPvRmT2_T3_T4_T5_mT6_T7_P12ihipStream_tbENKUlT_T0_E_clISt17integral_constantIbLb1EES11_EEDaSW_SX_EUlSW_E_NS1_11comp_targetILNS1_3genE10ELNS1_11target_archE1200ELNS1_3gpuE4ELNS1_3repE0EEENS1_30default_config_static_selectorELNS0_4arch9wavefront6targetE0EEEvT1_.num_vgpr, 0
	.set _ZN7rocprim17ROCPRIM_400000_NS6detail17trampoline_kernelINS0_14default_configENS1_27scan_by_key_config_selectorIijEEZZNS1_16scan_by_key_implILNS1_25lookback_scan_determinismE0ELb1ES3_N6thrust23THRUST_200600_302600_NS6detail15normal_iteratorINS9_10device_ptrIiEEEENSB_INSC_IjEEEESG_jNS9_4plusIvEENS9_8equal_toIvEEjEE10hipError_tPvRmT2_T3_T4_T5_mT6_T7_P12ihipStream_tbENKUlT_T0_E_clISt17integral_constantIbLb1EES11_EEDaSW_SX_EUlSW_E_NS1_11comp_targetILNS1_3genE10ELNS1_11target_archE1200ELNS1_3gpuE4ELNS1_3repE0EEENS1_30default_config_static_selectorELNS0_4arch9wavefront6targetE0EEEvT1_.num_agpr, 0
	.set _ZN7rocprim17ROCPRIM_400000_NS6detail17trampoline_kernelINS0_14default_configENS1_27scan_by_key_config_selectorIijEEZZNS1_16scan_by_key_implILNS1_25lookback_scan_determinismE0ELb1ES3_N6thrust23THRUST_200600_302600_NS6detail15normal_iteratorINS9_10device_ptrIiEEEENSB_INSC_IjEEEESG_jNS9_4plusIvEENS9_8equal_toIvEEjEE10hipError_tPvRmT2_T3_T4_T5_mT6_T7_P12ihipStream_tbENKUlT_T0_E_clISt17integral_constantIbLb1EES11_EEDaSW_SX_EUlSW_E_NS1_11comp_targetILNS1_3genE10ELNS1_11target_archE1200ELNS1_3gpuE4ELNS1_3repE0EEENS1_30default_config_static_selectorELNS0_4arch9wavefront6targetE0EEEvT1_.numbered_sgpr, 0
	.set _ZN7rocprim17ROCPRIM_400000_NS6detail17trampoline_kernelINS0_14default_configENS1_27scan_by_key_config_selectorIijEEZZNS1_16scan_by_key_implILNS1_25lookback_scan_determinismE0ELb1ES3_N6thrust23THRUST_200600_302600_NS6detail15normal_iteratorINS9_10device_ptrIiEEEENSB_INSC_IjEEEESG_jNS9_4plusIvEENS9_8equal_toIvEEjEE10hipError_tPvRmT2_T3_T4_T5_mT6_T7_P12ihipStream_tbENKUlT_T0_E_clISt17integral_constantIbLb1EES11_EEDaSW_SX_EUlSW_E_NS1_11comp_targetILNS1_3genE10ELNS1_11target_archE1200ELNS1_3gpuE4ELNS1_3repE0EEENS1_30default_config_static_selectorELNS0_4arch9wavefront6targetE0EEEvT1_.num_named_barrier, 0
	.set _ZN7rocprim17ROCPRIM_400000_NS6detail17trampoline_kernelINS0_14default_configENS1_27scan_by_key_config_selectorIijEEZZNS1_16scan_by_key_implILNS1_25lookback_scan_determinismE0ELb1ES3_N6thrust23THRUST_200600_302600_NS6detail15normal_iteratorINS9_10device_ptrIiEEEENSB_INSC_IjEEEESG_jNS9_4plusIvEENS9_8equal_toIvEEjEE10hipError_tPvRmT2_T3_T4_T5_mT6_T7_P12ihipStream_tbENKUlT_T0_E_clISt17integral_constantIbLb1EES11_EEDaSW_SX_EUlSW_E_NS1_11comp_targetILNS1_3genE10ELNS1_11target_archE1200ELNS1_3gpuE4ELNS1_3repE0EEENS1_30default_config_static_selectorELNS0_4arch9wavefront6targetE0EEEvT1_.private_seg_size, 0
	.set _ZN7rocprim17ROCPRIM_400000_NS6detail17trampoline_kernelINS0_14default_configENS1_27scan_by_key_config_selectorIijEEZZNS1_16scan_by_key_implILNS1_25lookback_scan_determinismE0ELb1ES3_N6thrust23THRUST_200600_302600_NS6detail15normal_iteratorINS9_10device_ptrIiEEEENSB_INSC_IjEEEESG_jNS9_4plusIvEENS9_8equal_toIvEEjEE10hipError_tPvRmT2_T3_T4_T5_mT6_T7_P12ihipStream_tbENKUlT_T0_E_clISt17integral_constantIbLb1EES11_EEDaSW_SX_EUlSW_E_NS1_11comp_targetILNS1_3genE10ELNS1_11target_archE1200ELNS1_3gpuE4ELNS1_3repE0EEENS1_30default_config_static_selectorELNS0_4arch9wavefront6targetE0EEEvT1_.uses_vcc, 0
	.set _ZN7rocprim17ROCPRIM_400000_NS6detail17trampoline_kernelINS0_14default_configENS1_27scan_by_key_config_selectorIijEEZZNS1_16scan_by_key_implILNS1_25lookback_scan_determinismE0ELb1ES3_N6thrust23THRUST_200600_302600_NS6detail15normal_iteratorINS9_10device_ptrIiEEEENSB_INSC_IjEEEESG_jNS9_4plusIvEENS9_8equal_toIvEEjEE10hipError_tPvRmT2_T3_T4_T5_mT6_T7_P12ihipStream_tbENKUlT_T0_E_clISt17integral_constantIbLb1EES11_EEDaSW_SX_EUlSW_E_NS1_11comp_targetILNS1_3genE10ELNS1_11target_archE1200ELNS1_3gpuE4ELNS1_3repE0EEENS1_30default_config_static_selectorELNS0_4arch9wavefront6targetE0EEEvT1_.uses_flat_scratch, 0
	.set _ZN7rocprim17ROCPRIM_400000_NS6detail17trampoline_kernelINS0_14default_configENS1_27scan_by_key_config_selectorIijEEZZNS1_16scan_by_key_implILNS1_25lookback_scan_determinismE0ELb1ES3_N6thrust23THRUST_200600_302600_NS6detail15normal_iteratorINS9_10device_ptrIiEEEENSB_INSC_IjEEEESG_jNS9_4plusIvEENS9_8equal_toIvEEjEE10hipError_tPvRmT2_T3_T4_T5_mT6_T7_P12ihipStream_tbENKUlT_T0_E_clISt17integral_constantIbLb1EES11_EEDaSW_SX_EUlSW_E_NS1_11comp_targetILNS1_3genE10ELNS1_11target_archE1200ELNS1_3gpuE4ELNS1_3repE0EEENS1_30default_config_static_selectorELNS0_4arch9wavefront6targetE0EEEvT1_.has_dyn_sized_stack, 0
	.set _ZN7rocprim17ROCPRIM_400000_NS6detail17trampoline_kernelINS0_14default_configENS1_27scan_by_key_config_selectorIijEEZZNS1_16scan_by_key_implILNS1_25lookback_scan_determinismE0ELb1ES3_N6thrust23THRUST_200600_302600_NS6detail15normal_iteratorINS9_10device_ptrIiEEEENSB_INSC_IjEEEESG_jNS9_4plusIvEENS9_8equal_toIvEEjEE10hipError_tPvRmT2_T3_T4_T5_mT6_T7_P12ihipStream_tbENKUlT_T0_E_clISt17integral_constantIbLb1EES11_EEDaSW_SX_EUlSW_E_NS1_11comp_targetILNS1_3genE10ELNS1_11target_archE1200ELNS1_3gpuE4ELNS1_3repE0EEENS1_30default_config_static_selectorELNS0_4arch9wavefront6targetE0EEEvT1_.has_recursion, 0
	.set _ZN7rocprim17ROCPRIM_400000_NS6detail17trampoline_kernelINS0_14default_configENS1_27scan_by_key_config_selectorIijEEZZNS1_16scan_by_key_implILNS1_25lookback_scan_determinismE0ELb1ES3_N6thrust23THRUST_200600_302600_NS6detail15normal_iteratorINS9_10device_ptrIiEEEENSB_INSC_IjEEEESG_jNS9_4plusIvEENS9_8equal_toIvEEjEE10hipError_tPvRmT2_T3_T4_T5_mT6_T7_P12ihipStream_tbENKUlT_T0_E_clISt17integral_constantIbLb1EES11_EEDaSW_SX_EUlSW_E_NS1_11comp_targetILNS1_3genE10ELNS1_11target_archE1200ELNS1_3gpuE4ELNS1_3repE0EEENS1_30default_config_static_selectorELNS0_4arch9wavefront6targetE0EEEvT1_.has_indirect_call, 0
	.section	.AMDGPU.csdata,"",@progbits
; Kernel info:
; codeLenInByte = 0
; TotalNumSgprs: 0
; NumVgprs: 0
; ScratchSize: 0
; MemoryBound: 0
; FloatMode: 240
; IeeeMode: 1
; LDSByteSize: 0 bytes/workgroup (compile time only)
; SGPRBlocks: 0
; VGPRBlocks: 0
; NumSGPRsForWavesPerEU: 1
; NumVGPRsForWavesPerEU: 1
; NamedBarCnt: 0
; Occupancy: 16
; WaveLimiterHint : 0
; COMPUTE_PGM_RSRC2:SCRATCH_EN: 0
; COMPUTE_PGM_RSRC2:USER_SGPR: 2
; COMPUTE_PGM_RSRC2:TRAP_HANDLER: 0
; COMPUTE_PGM_RSRC2:TGID_X_EN: 1
; COMPUTE_PGM_RSRC2:TGID_Y_EN: 0
; COMPUTE_PGM_RSRC2:TGID_Z_EN: 0
; COMPUTE_PGM_RSRC2:TIDIG_COMP_CNT: 0
	.section	.text._ZN7rocprim17ROCPRIM_400000_NS6detail17trampoline_kernelINS0_14default_configENS1_27scan_by_key_config_selectorIijEEZZNS1_16scan_by_key_implILNS1_25lookback_scan_determinismE0ELb1ES3_N6thrust23THRUST_200600_302600_NS6detail15normal_iteratorINS9_10device_ptrIiEEEENSB_INSC_IjEEEESG_jNS9_4plusIvEENS9_8equal_toIvEEjEE10hipError_tPvRmT2_T3_T4_T5_mT6_T7_P12ihipStream_tbENKUlT_T0_E_clISt17integral_constantIbLb1EES11_EEDaSW_SX_EUlSW_E_NS1_11comp_targetILNS1_3genE9ELNS1_11target_archE1100ELNS1_3gpuE3ELNS1_3repE0EEENS1_30default_config_static_selectorELNS0_4arch9wavefront6targetE0EEEvT1_,"axG",@progbits,_ZN7rocprim17ROCPRIM_400000_NS6detail17trampoline_kernelINS0_14default_configENS1_27scan_by_key_config_selectorIijEEZZNS1_16scan_by_key_implILNS1_25lookback_scan_determinismE0ELb1ES3_N6thrust23THRUST_200600_302600_NS6detail15normal_iteratorINS9_10device_ptrIiEEEENSB_INSC_IjEEEESG_jNS9_4plusIvEENS9_8equal_toIvEEjEE10hipError_tPvRmT2_T3_T4_T5_mT6_T7_P12ihipStream_tbENKUlT_T0_E_clISt17integral_constantIbLb1EES11_EEDaSW_SX_EUlSW_E_NS1_11comp_targetILNS1_3genE9ELNS1_11target_archE1100ELNS1_3gpuE3ELNS1_3repE0EEENS1_30default_config_static_selectorELNS0_4arch9wavefront6targetE0EEEvT1_,comdat
	.protected	_ZN7rocprim17ROCPRIM_400000_NS6detail17trampoline_kernelINS0_14default_configENS1_27scan_by_key_config_selectorIijEEZZNS1_16scan_by_key_implILNS1_25lookback_scan_determinismE0ELb1ES3_N6thrust23THRUST_200600_302600_NS6detail15normal_iteratorINS9_10device_ptrIiEEEENSB_INSC_IjEEEESG_jNS9_4plusIvEENS9_8equal_toIvEEjEE10hipError_tPvRmT2_T3_T4_T5_mT6_T7_P12ihipStream_tbENKUlT_T0_E_clISt17integral_constantIbLb1EES11_EEDaSW_SX_EUlSW_E_NS1_11comp_targetILNS1_3genE9ELNS1_11target_archE1100ELNS1_3gpuE3ELNS1_3repE0EEENS1_30default_config_static_selectorELNS0_4arch9wavefront6targetE0EEEvT1_ ; -- Begin function _ZN7rocprim17ROCPRIM_400000_NS6detail17trampoline_kernelINS0_14default_configENS1_27scan_by_key_config_selectorIijEEZZNS1_16scan_by_key_implILNS1_25lookback_scan_determinismE0ELb1ES3_N6thrust23THRUST_200600_302600_NS6detail15normal_iteratorINS9_10device_ptrIiEEEENSB_INSC_IjEEEESG_jNS9_4plusIvEENS9_8equal_toIvEEjEE10hipError_tPvRmT2_T3_T4_T5_mT6_T7_P12ihipStream_tbENKUlT_T0_E_clISt17integral_constantIbLb1EES11_EEDaSW_SX_EUlSW_E_NS1_11comp_targetILNS1_3genE9ELNS1_11target_archE1100ELNS1_3gpuE3ELNS1_3repE0EEENS1_30default_config_static_selectorELNS0_4arch9wavefront6targetE0EEEvT1_
	.globl	_ZN7rocprim17ROCPRIM_400000_NS6detail17trampoline_kernelINS0_14default_configENS1_27scan_by_key_config_selectorIijEEZZNS1_16scan_by_key_implILNS1_25lookback_scan_determinismE0ELb1ES3_N6thrust23THRUST_200600_302600_NS6detail15normal_iteratorINS9_10device_ptrIiEEEENSB_INSC_IjEEEESG_jNS9_4plusIvEENS9_8equal_toIvEEjEE10hipError_tPvRmT2_T3_T4_T5_mT6_T7_P12ihipStream_tbENKUlT_T0_E_clISt17integral_constantIbLb1EES11_EEDaSW_SX_EUlSW_E_NS1_11comp_targetILNS1_3genE9ELNS1_11target_archE1100ELNS1_3gpuE3ELNS1_3repE0EEENS1_30default_config_static_selectorELNS0_4arch9wavefront6targetE0EEEvT1_
	.p2align	8
	.type	_ZN7rocprim17ROCPRIM_400000_NS6detail17trampoline_kernelINS0_14default_configENS1_27scan_by_key_config_selectorIijEEZZNS1_16scan_by_key_implILNS1_25lookback_scan_determinismE0ELb1ES3_N6thrust23THRUST_200600_302600_NS6detail15normal_iteratorINS9_10device_ptrIiEEEENSB_INSC_IjEEEESG_jNS9_4plusIvEENS9_8equal_toIvEEjEE10hipError_tPvRmT2_T3_T4_T5_mT6_T7_P12ihipStream_tbENKUlT_T0_E_clISt17integral_constantIbLb1EES11_EEDaSW_SX_EUlSW_E_NS1_11comp_targetILNS1_3genE9ELNS1_11target_archE1100ELNS1_3gpuE3ELNS1_3repE0EEENS1_30default_config_static_selectorELNS0_4arch9wavefront6targetE0EEEvT1_,@function
_ZN7rocprim17ROCPRIM_400000_NS6detail17trampoline_kernelINS0_14default_configENS1_27scan_by_key_config_selectorIijEEZZNS1_16scan_by_key_implILNS1_25lookback_scan_determinismE0ELb1ES3_N6thrust23THRUST_200600_302600_NS6detail15normal_iteratorINS9_10device_ptrIiEEEENSB_INSC_IjEEEESG_jNS9_4plusIvEENS9_8equal_toIvEEjEE10hipError_tPvRmT2_T3_T4_T5_mT6_T7_P12ihipStream_tbENKUlT_T0_E_clISt17integral_constantIbLb1EES11_EEDaSW_SX_EUlSW_E_NS1_11comp_targetILNS1_3genE9ELNS1_11target_archE1100ELNS1_3gpuE3ELNS1_3repE0EEENS1_30default_config_static_selectorELNS0_4arch9wavefront6targetE0EEEvT1_: ; @_ZN7rocprim17ROCPRIM_400000_NS6detail17trampoline_kernelINS0_14default_configENS1_27scan_by_key_config_selectorIijEEZZNS1_16scan_by_key_implILNS1_25lookback_scan_determinismE0ELb1ES3_N6thrust23THRUST_200600_302600_NS6detail15normal_iteratorINS9_10device_ptrIiEEEENSB_INSC_IjEEEESG_jNS9_4plusIvEENS9_8equal_toIvEEjEE10hipError_tPvRmT2_T3_T4_T5_mT6_T7_P12ihipStream_tbENKUlT_T0_E_clISt17integral_constantIbLb1EES11_EEDaSW_SX_EUlSW_E_NS1_11comp_targetILNS1_3genE9ELNS1_11target_archE1100ELNS1_3gpuE3ELNS1_3repE0EEENS1_30default_config_static_selectorELNS0_4arch9wavefront6targetE0EEEvT1_
; %bb.0:
	.section	.rodata,"a",@progbits
	.p2align	6, 0x0
	.amdhsa_kernel _ZN7rocprim17ROCPRIM_400000_NS6detail17trampoline_kernelINS0_14default_configENS1_27scan_by_key_config_selectorIijEEZZNS1_16scan_by_key_implILNS1_25lookback_scan_determinismE0ELb1ES3_N6thrust23THRUST_200600_302600_NS6detail15normal_iteratorINS9_10device_ptrIiEEEENSB_INSC_IjEEEESG_jNS9_4plusIvEENS9_8equal_toIvEEjEE10hipError_tPvRmT2_T3_T4_T5_mT6_T7_P12ihipStream_tbENKUlT_T0_E_clISt17integral_constantIbLb1EES11_EEDaSW_SX_EUlSW_E_NS1_11comp_targetILNS1_3genE9ELNS1_11target_archE1100ELNS1_3gpuE3ELNS1_3repE0EEENS1_30default_config_static_selectorELNS0_4arch9wavefront6targetE0EEEvT1_
		.amdhsa_group_segment_fixed_size 0
		.amdhsa_private_segment_fixed_size 0
		.amdhsa_kernarg_size 112
		.amdhsa_user_sgpr_count 2
		.amdhsa_user_sgpr_dispatch_ptr 0
		.amdhsa_user_sgpr_queue_ptr 0
		.amdhsa_user_sgpr_kernarg_segment_ptr 1
		.amdhsa_user_sgpr_dispatch_id 0
		.amdhsa_user_sgpr_kernarg_preload_length 0
		.amdhsa_user_sgpr_kernarg_preload_offset 0
		.amdhsa_user_sgpr_private_segment_size 0
		.amdhsa_wavefront_size32 1
		.amdhsa_uses_dynamic_stack 0
		.amdhsa_enable_private_segment 0
		.amdhsa_system_sgpr_workgroup_id_x 1
		.amdhsa_system_sgpr_workgroup_id_y 0
		.amdhsa_system_sgpr_workgroup_id_z 0
		.amdhsa_system_sgpr_workgroup_info 0
		.amdhsa_system_vgpr_workitem_id 0
		.amdhsa_next_free_vgpr 1
		.amdhsa_next_free_sgpr 1
		.amdhsa_named_barrier_count 0
		.amdhsa_reserve_vcc 0
		.amdhsa_float_round_mode_32 0
		.amdhsa_float_round_mode_16_64 0
		.amdhsa_float_denorm_mode_32 3
		.amdhsa_float_denorm_mode_16_64 3
		.amdhsa_fp16_overflow 0
		.amdhsa_memory_ordered 1
		.amdhsa_forward_progress 1
		.amdhsa_inst_pref_size 0
		.amdhsa_round_robin_scheduling 0
		.amdhsa_exception_fp_ieee_invalid_op 0
		.amdhsa_exception_fp_denorm_src 0
		.amdhsa_exception_fp_ieee_div_zero 0
		.amdhsa_exception_fp_ieee_overflow 0
		.amdhsa_exception_fp_ieee_underflow 0
		.amdhsa_exception_fp_ieee_inexact 0
		.amdhsa_exception_int_div_zero 0
	.end_amdhsa_kernel
	.section	.text._ZN7rocprim17ROCPRIM_400000_NS6detail17trampoline_kernelINS0_14default_configENS1_27scan_by_key_config_selectorIijEEZZNS1_16scan_by_key_implILNS1_25lookback_scan_determinismE0ELb1ES3_N6thrust23THRUST_200600_302600_NS6detail15normal_iteratorINS9_10device_ptrIiEEEENSB_INSC_IjEEEESG_jNS9_4plusIvEENS9_8equal_toIvEEjEE10hipError_tPvRmT2_T3_T4_T5_mT6_T7_P12ihipStream_tbENKUlT_T0_E_clISt17integral_constantIbLb1EES11_EEDaSW_SX_EUlSW_E_NS1_11comp_targetILNS1_3genE9ELNS1_11target_archE1100ELNS1_3gpuE3ELNS1_3repE0EEENS1_30default_config_static_selectorELNS0_4arch9wavefront6targetE0EEEvT1_,"axG",@progbits,_ZN7rocprim17ROCPRIM_400000_NS6detail17trampoline_kernelINS0_14default_configENS1_27scan_by_key_config_selectorIijEEZZNS1_16scan_by_key_implILNS1_25lookback_scan_determinismE0ELb1ES3_N6thrust23THRUST_200600_302600_NS6detail15normal_iteratorINS9_10device_ptrIiEEEENSB_INSC_IjEEEESG_jNS9_4plusIvEENS9_8equal_toIvEEjEE10hipError_tPvRmT2_T3_T4_T5_mT6_T7_P12ihipStream_tbENKUlT_T0_E_clISt17integral_constantIbLb1EES11_EEDaSW_SX_EUlSW_E_NS1_11comp_targetILNS1_3genE9ELNS1_11target_archE1100ELNS1_3gpuE3ELNS1_3repE0EEENS1_30default_config_static_selectorELNS0_4arch9wavefront6targetE0EEEvT1_,comdat
.Lfunc_end1515:
	.size	_ZN7rocprim17ROCPRIM_400000_NS6detail17trampoline_kernelINS0_14default_configENS1_27scan_by_key_config_selectorIijEEZZNS1_16scan_by_key_implILNS1_25lookback_scan_determinismE0ELb1ES3_N6thrust23THRUST_200600_302600_NS6detail15normal_iteratorINS9_10device_ptrIiEEEENSB_INSC_IjEEEESG_jNS9_4plusIvEENS9_8equal_toIvEEjEE10hipError_tPvRmT2_T3_T4_T5_mT6_T7_P12ihipStream_tbENKUlT_T0_E_clISt17integral_constantIbLb1EES11_EEDaSW_SX_EUlSW_E_NS1_11comp_targetILNS1_3genE9ELNS1_11target_archE1100ELNS1_3gpuE3ELNS1_3repE0EEENS1_30default_config_static_selectorELNS0_4arch9wavefront6targetE0EEEvT1_, .Lfunc_end1515-_ZN7rocprim17ROCPRIM_400000_NS6detail17trampoline_kernelINS0_14default_configENS1_27scan_by_key_config_selectorIijEEZZNS1_16scan_by_key_implILNS1_25lookback_scan_determinismE0ELb1ES3_N6thrust23THRUST_200600_302600_NS6detail15normal_iteratorINS9_10device_ptrIiEEEENSB_INSC_IjEEEESG_jNS9_4plusIvEENS9_8equal_toIvEEjEE10hipError_tPvRmT2_T3_T4_T5_mT6_T7_P12ihipStream_tbENKUlT_T0_E_clISt17integral_constantIbLb1EES11_EEDaSW_SX_EUlSW_E_NS1_11comp_targetILNS1_3genE9ELNS1_11target_archE1100ELNS1_3gpuE3ELNS1_3repE0EEENS1_30default_config_static_selectorELNS0_4arch9wavefront6targetE0EEEvT1_
                                        ; -- End function
	.set _ZN7rocprim17ROCPRIM_400000_NS6detail17trampoline_kernelINS0_14default_configENS1_27scan_by_key_config_selectorIijEEZZNS1_16scan_by_key_implILNS1_25lookback_scan_determinismE0ELb1ES3_N6thrust23THRUST_200600_302600_NS6detail15normal_iteratorINS9_10device_ptrIiEEEENSB_INSC_IjEEEESG_jNS9_4plusIvEENS9_8equal_toIvEEjEE10hipError_tPvRmT2_T3_T4_T5_mT6_T7_P12ihipStream_tbENKUlT_T0_E_clISt17integral_constantIbLb1EES11_EEDaSW_SX_EUlSW_E_NS1_11comp_targetILNS1_3genE9ELNS1_11target_archE1100ELNS1_3gpuE3ELNS1_3repE0EEENS1_30default_config_static_selectorELNS0_4arch9wavefront6targetE0EEEvT1_.num_vgpr, 0
	.set _ZN7rocprim17ROCPRIM_400000_NS6detail17trampoline_kernelINS0_14default_configENS1_27scan_by_key_config_selectorIijEEZZNS1_16scan_by_key_implILNS1_25lookback_scan_determinismE0ELb1ES3_N6thrust23THRUST_200600_302600_NS6detail15normal_iteratorINS9_10device_ptrIiEEEENSB_INSC_IjEEEESG_jNS9_4plusIvEENS9_8equal_toIvEEjEE10hipError_tPvRmT2_T3_T4_T5_mT6_T7_P12ihipStream_tbENKUlT_T0_E_clISt17integral_constantIbLb1EES11_EEDaSW_SX_EUlSW_E_NS1_11comp_targetILNS1_3genE9ELNS1_11target_archE1100ELNS1_3gpuE3ELNS1_3repE0EEENS1_30default_config_static_selectorELNS0_4arch9wavefront6targetE0EEEvT1_.num_agpr, 0
	.set _ZN7rocprim17ROCPRIM_400000_NS6detail17trampoline_kernelINS0_14default_configENS1_27scan_by_key_config_selectorIijEEZZNS1_16scan_by_key_implILNS1_25lookback_scan_determinismE0ELb1ES3_N6thrust23THRUST_200600_302600_NS6detail15normal_iteratorINS9_10device_ptrIiEEEENSB_INSC_IjEEEESG_jNS9_4plusIvEENS9_8equal_toIvEEjEE10hipError_tPvRmT2_T3_T4_T5_mT6_T7_P12ihipStream_tbENKUlT_T0_E_clISt17integral_constantIbLb1EES11_EEDaSW_SX_EUlSW_E_NS1_11comp_targetILNS1_3genE9ELNS1_11target_archE1100ELNS1_3gpuE3ELNS1_3repE0EEENS1_30default_config_static_selectorELNS0_4arch9wavefront6targetE0EEEvT1_.numbered_sgpr, 0
	.set _ZN7rocprim17ROCPRIM_400000_NS6detail17trampoline_kernelINS0_14default_configENS1_27scan_by_key_config_selectorIijEEZZNS1_16scan_by_key_implILNS1_25lookback_scan_determinismE0ELb1ES3_N6thrust23THRUST_200600_302600_NS6detail15normal_iteratorINS9_10device_ptrIiEEEENSB_INSC_IjEEEESG_jNS9_4plusIvEENS9_8equal_toIvEEjEE10hipError_tPvRmT2_T3_T4_T5_mT6_T7_P12ihipStream_tbENKUlT_T0_E_clISt17integral_constantIbLb1EES11_EEDaSW_SX_EUlSW_E_NS1_11comp_targetILNS1_3genE9ELNS1_11target_archE1100ELNS1_3gpuE3ELNS1_3repE0EEENS1_30default_config_static_selectorELNS0_4arch9wavefront6targetE0EEEvT1_.num_named_barrier, 0
	.set _ZN7rocprim17ROCPRIM_400000_NS6detail17trampoline_kernelINS0_14default_configENS1_27scan_by_key_config_selectorIijEEZZNS1_16scan_by_key_implILNS1_25lookback_scan_determinismE0ELb1ES3_N6thrust23THRUST_200600_302600_NS6detail15normal_iteratorINS9_10device_ptrIiEEEENSB_INSC_IjEEEESG_jNS9_4plusIvEENS9_8equal_toIvEEjEE10hipError_tPvRmT2_T3_T4_T5_mT6_T7_P12ihipStream_tbENKUlT_T0_E_clISt17integral_constantIbLb1EES11_EEDaSW_SX_EUlSW_E_NS1_11comp_targetILNS1_3genE9ELNS1_11target_archE1100ELNS1_3gpuE3ELNS1_3repE0EEENS1_30default_config_static_selectorELNS0_4arch9wavefront6targetE0EEEvT1_.private_seg_size, 0
	.set _ZN7rocprim17ROCPRIM_400000_NS6detail17trampoline_kernelINS0_14default_configENS1_27scan_by_key_config_selectorIijEEZZNS1_16scan_by_key_implILNS1_25lookback_scan_determinismE0ELb1ES3_N6thrust23THRUST_200600_302600_NS6detail15normal_iteratorINS9_10device_ptrIiEEEENSB_INSC_IjEEEESG_jNS9_4plusIvEENS9_8equal_toIvEEjEE10hipError_tPvRmT2_T3_T4_T5_mT6_T7_P12ihipStream_tbENKUlT_T0_E_clISt17integral_constantIbLb1EES11_EEDaSW_SX_EUlSW_E_NS1_11comp_targetILNS1_3genE9ELNS1_11target_archE1100ELNS1_3gpuE3ELNS1_3repE0EEENS1_30default_config_static_selectorELNS0_4arch9wavefront6targetE0EEEvT1_.uses_vcc, 0
	.set _ZN7rocprim17ROCPRIM_400000_NS6detail17trampoline_kernelINS0_14default_configENS1_27scan_by_key_config_selectorIijEEZZNS1_16scan_by_key_implILNS1_25lookback_scan_determinismE0ELb1ES3_N6thrust23THRUST_200600_302600_NS6detail15normal_iteratorINS9_10device_ptrIiEEEENSB_INSC_IjEEEESG_jNS9_4plusIvEENS9_8equal_toIvEEjEE10hipError_tPvRmT2_T3_T4_T5_mT6_T7_P12ihipStream_tbENKUlT_T0_E_clISt17integral_constantIbLb1EES11_EEDaSW_SX_EUlSW_E_NS1_11comp_targetILNS1_3genE9ELNS1_11target_archE1100ELNS1_3gpuE3ELNS1_3repE0EEENS1_30default_config_static_selectorELNS0_4arch9wavefront6targetE0EEEvT1_.uses_flat_scratch, 0
	.set _ZN7rocprim17ROCPRIM_400000_NS6detail17trampoline_kernelINS0_14default_configENS1_27scan_by_key_config_selectorIijEEZZNS1_16scan_by_key_implILNS1_25lookback_scan_determinismE0ELb1ES3_N6thrust23THRUST_200600_302600_NS6detail15normal_iteratorINS9_10device_ptrIiEEEENSB_INSC_IjEEEESG_jNS9_4plusIvEENS9_8equal_toIvEEjEE10hipError_tPvRmT2_T3_T4_T5_mT6_T7_P12ihipStream_tbENKUlT_T0_E_clISt17integral_constantIbLb1EES11_EEDaSW_SX_EUlSW_E_NS1_11comp_targetILNS1_3genE9ELNS1_11target_archE1100ELNS1_3gpuE3ELNS1_3repE0EEENS1_30default_config_static_selectorELNS0_4arch9wavefront6targetE0EEEvT1_.has_dyn_sized_stack, 0
	.set _ZN7rocprim17ROCPRIM_400000_NS6detail17trampoline_kernelINS0_14default_configENS1_27scan_by_key_config_selectorIijEEZZNS1_16scan_by_key_implILNS1_25lookback_scan_determinismE0ELb1ES3_N6thrust23THRUST_200600_302600_NS6detail15normal_iteratorINS9_10device_ptrIiEEEENSB_INSC_IjEEEESG_jNS9_4plusIvEENS9_8equal_toIvEEjEE10hipError_tPvRmT2_T3_T4_T5_mT6_T7_P12ihipStream_tbENKUlT_T0_E_clISt17integral_constantIbLb1EES11_EEDaSW_SX_EUlSW_E_NS1_11comp_targetILNS1_3genE9ELNS1_11target_archE1100ELNS1_3gpuE3ELNS1_3repE0EEENS1_30default_config_static_selectorELNS0_4arch9wavefront6targetE0EEEvT1_.has_recursion, 0
	.set _ZN7rocprim17ROCPRIM_400000_NS6detail17trampoline_kernelINS0_14default_configENS1_27scan_by_key_config_selectorIijEEZZNS1_16scan_by_key_implILNS1_25lookback_scan_determinismE0ELb1ES3_N6thrust23THRUST_200600_302600_NS6detail15normal_iteratorINS9_10device_ptrIiEEEENSB_INSC_IjEEEESG_jNS9_4plusIvEENS9_8equal_toIvEEjEE10hipError_tPvRmT2_T3_T4_T5_mT6_T7_P12ihipStream_tbENKUlT_T0_E_clISt17integral_constantIbLb1EES11_EEDaSW_SX_EUlSW_E_NS1_11comp_targetILNS1_3genE9ELNS1_11target_archE1100ELNS1_3gpuE3ELNS1_3repE0EEENS1_30default_config_static_selectorELNS0_4arch9wavefront6targetE0EEEvT1_.has_indirect_call, 0
	.section	.AMDGPU.csdata,"",@progbits
; Kernel info:
; codeLenInByte = 0
; TotalNumSgprs: 0
; NumVgprs: 0
; ScratchSize: 0
; MemoryBound: 0
; FloatMode: 240
; IeeeMode: 1
; LDSByteSize: 0 bytes/workgroup (compile time only)
; SGPRBlocks: 0
; VGPRBlocks: 0
; NumSGPRsForWavesPerEU: 1
; NumVGPRsForWavesPerEU: 1
; NamedBarCnt: 0
; Occupancy: 16
; WaveLimiterHint : 0
; COMPUTE_PGM_RSRC2:SCRATCH_EN: 0
; COMPUTE_PGM_RSRC2:USER_SGPR: 2
; COMPUTE_PGM_RSRC2:TRAP_HANDLER: 0
; COMPUTE_PGM_RSRC2:TGID_X_EN: 1
; COMPUTE_PGM_RSRC2:TGID_Y_EN: 0
; COMPUTE_PGM_RSRC2:TGID_Z_EN: 0
; COMPUTE_PGM_RSRC2:TIDIG_COMP_CNT: 0
	.section	.text._ZN7rocprim17ROCPRIM_400000_NS6detail17trampoline_kernelINS0_14default_configENS1_27scan_by_key_config_selectorIijEEZZNS1_16scan_by_key_implILNS1_25lookback_scan_determinismE0ELb1ES3_N6thrust23THRUST_200600_302600_NS6detail15normal_iteratorINS9_10device_ptrIiEEEENSB_INSC_IjEEEESG_jNS9_4plusIvEENS9_8equal_toIvEEjEE10hipError_tPvRmT2_T3_T4_T5_mT6_T7_P12ihipStream_tbENKUlT_T0_E_clISt17integral_constantIbLb1EES11_EEDaSW_SX_EUlSW_E_NS1_11comp_targetILNS1_3genE8ELNS1_11target_archE1030ELNS1_3gpuE2ELNS1_3repE0EEENS1_30default_config_static_selectorELNS0_4arch9wavefront6targetE0EEEvT1_,"axG",@progbits,_ZN7rocprim17ROCPRIM_400000_NS6detail17trampoline_kernelINS0_14default_configENS1_27scan_by_key_config_selectorIijEEZZNS1_16scan_by_key_implILNS1_25lookback_scan_determinismE0ELb1ES3_N6thrust23THRUST_200600_302600_NS6detail15normal_iteratorINS9_10device_ptrIiEEEENSB_INSC_IjEEEESG_jNS9_4plusIvEENS9_8equal_toIvEEjEE10hipError_tPvRmT2_T3_T4_T5_mT6_T7_P12ihipStream_tbENKUlT_T0_E_clISt17integral_constantIbLb1EES11_EEDaSW_SX_EUlSW_E_NS1_11comp_targetILNS1_3genE8ELNS1_11target_archE1030ELNS1_3gpuE2ELNS1_3repE0EEENS1_30default_config_static_selectorELNS0_4arch9wavefront6targetE0EEEvT1_,comdat
	.protected	_ZN7rocprim17ROCPRIM_400000_NS6detail17trampoline_kernelINS0_14default_configENS1_27scan_by_key_config_selectorIijEEZZNS1_16scan_by_key_implILNS1_25lookback_scan_determinismE0ELb1ES3_N6thrust23THRUST_200600_302600_NS6detail15normal_iteratorINS9_10device_ptrIiEEEENSB_INSC_IjEEEESG_jNS9_4plusIvEENS9_8equal_toIvEEjEE10hipError_tPvRmT2_T3_T4_T5_mT6_T7_P12ihipStream_tbENKUlT_T0_E_clISt17integral_constantIbLb1EES11_EEDaSW_SX_EUlSW_E_NS1_11comp_targetILNS1_3genE8ELNS1_11target_archE1030ELNS1_3gpuE2ELNS1_3repE0EEENS1_30default_config_static_selectorELNS0_4arch9wavefront6targetE0EEEvT1_ ; -- Begin function _ZN7rocprim17ROCPRIM_400000_NS6detail17trampoline_kernelINS0_14default_configENS1_27scan_by_key_config_selectorIijEEZZNS1_16scan_by_key_implILNS1_25lookback_scan_determinismE0ELb1ES3_N6thrust23THRUST_200600_302600_NS6detail15normal_iteratorINS9_10device_ptrIiEEEENSB_INSC_IjEEEESG_jNS9_4plusIvEENS9_8equal_toIvEEjEE10hipError_tPvRmT2_T3_T4_T5_mT6_T7_P12ihipStream_tbENKUlT_T0_E_clISt17integral_constantIbLb1EES11_EEDaSW_SX_EUlSW_E_NS1_11comp_targetILNS1_3genE8ELNS1_11target_archE1030ELNS1_3gpuE2ELNS1_3repE0EEENS1_30default_config_static_selectorELNS0_4arch9wavefront6targetE0EEEvT1_
	.globl	_ZN7rocprim17ROCPRIM_400000_NS6detail17trampoline_kernelINS0_14default_configENS1_27scan_by_key_config_selectorIijEEZZNS1_16scan_by_key_implILNS1_25lookback_scan_determinismE0ELb1ES3_N6thrust23THRUST_200600_302600_NS6detail15normal_iteratorINS9_10device_ptrIiEEEENSB_INSC_IjEEEESG_jNS9_4plusIvEENS9_8equal_toIvEEjEE10hipError_tPvRmT2_T3_T4_T5_mT6_T7_P12ihipStream_tbENKUlT_T0_E_clISt17integral_constantIbLb1EES11_EEDaSW_SX_EUlSW_E_NS1_11comp_targetILNS1_3genE8ELNS1_11target_archE1030ELNS1_3gpuE2ELNS1_3repE0EEENS1_30default_config_static_selectorELNS0_4arch9wavefront6targetE0EEEvT1_
	.p2align	8
	.type	_ZN7rocprim17ROCPRIM_400000_NS6detail17trampoline_kernelINS0_14default_configENS1_27scan_by_key_config_selectorIijEEZZNS1_16scan_by_key_implILNS1_25lookback_scan_determinismE0ELb1ES3_N6thrust23THRUST_200600_302600_NS6detail15normal_iteratorINS9_10device_ptrIiEEEENSB_INSC_IjEEEESG_jNS9_4plusIvEENS9_8equal_toIvEEjEE10hipError_tPvRmT2_T3_T4_T5_mT6_T7_P12ihipStream_tbENKUlT_T0_E_clISt17integral_constantIbLb1EES11_EEDaSW_SX_EUlSW_E_NS1_11comp_targetILNS1_3genE8ELNS1_11target_archE1030ELNS1_3gpuE2ELNS1_3repE0EEENS1_30default_config_static_selectorELNS0_4arch9wavefront6targetE0EEEvT1_,@function
_ZN7rocprim17ROCPRIM_400000_NS6detail17trampoline_kernelINS0_14default_configENS1_27scan_by_key_config_selectorIijEEZZNS1_16scan_by_key_implILNS1_25lookback_scan_determinismE0ELb1ES3_N6thrust23THRUST_200600_302600_NS6detail15normal_iteratorINS9_10device_ptrIiEEEENSB_INSC_IjEEEESG_jNS9_4plusIvEENS9_8equal_toIvEEjEE10hipError_tPvRmT2_T3_T4_T5_mT6_T7_P12ihipStream_tbENKUlT_T0_E_clISt17integral_constantIbLb1EES11_EEDaSW_SX_EUlSW_E_NS1_11comp_targetILNS1_3genE8ELNS1_11target_archE1030ELNS1_3gpuE2ELNS1_3repE0EEENS1_30default_config_static_selectorELNS0_4arch9wavefront6targetE0EEEvT1_: ; @_ZN7rocprim17ROCPRIM_400000_NS6detail17trampoline_kernelINS0_14default_configENS1_27scan_by_key_config_selectorIijEEZZNS1_16scan_by_key_implILNS1_25lookback_scan_determinismE0ELb1ES3_N6thrust23THRUST_200600_302600_NS6detail15normal_iteratorINS9_10device_ptrIiEEEENSB_INSC_IjEEEESG_jNS9_4plusIvEENS9_8equal_toIvEEjEE10hipError_tPvRmT2_T3_T4_T5_mT6_T7_P12ihipStream_tbENKUlT_T0_E_clISt17integral_constantIbLb1EES11_EEDaSW_SX_EUlSW_E_NS1_11comp_targetILNS1_3genE8ELNS1_11target_archE1030ELNS1_3gpuE2ELNS1_3repE0EEENS1_30default_config_static_selectorELNS0_4arch9wavefront6targetE0EEEvT1_
; %bb.0:
	.section	.rodata,"a",@progbits
	.p2align	6, 0x0
	.amdhsa_kernel _ZN7rocprim17ROCPRIM_400000_NS6detail17trampoline_kernelINS0_14default_configENS1_27scan_by_key_config_selectorIijEEZZNS1_16scan_by_key_implILNS1_25lookback_scan_determinismE0ELb1ES3_N6thrust23THRUST_200600_302600_NS6detail15normal_iteratorINS9_10device_ptrIiEEEENSB_INSC_IjEEEESG_jNS9_4plusIvEENS9_8equal_toIvEEjEE10hipError_tPvRmT2_T3_T4_T5_mT6_T7_P12ihipStream_tbENKUlT_T0_E_clISt17integral_constantIbLb1EES11_EEDaSW_SX_EUlSW_E_NS1_11comp_targetILNS1_3genE8ELNS1_11target_archE1030ELNS1_3gpuE2ELNS1_3repE0EEENS1_30default_config_static_selectorELNS0_4arch9wavefront6targetE0EEEvT1_
		.amdhsa_group_segment_fixed_size 0
		.amdhsa_private_segment_fixed_size 0
		.amdhsa_kernarg_size 112
		.amdhsa_user_sgpr_count 2
		.amdhsa_user_sgpr_dispatch_ptr 0
		.amdhsa_user_sgpr_queue_ptr 0
		.amdhsa_user_sgpr_kernarg_segment_ptr 1
		.amdhsa_user_sgpr_dispatch_id 0
		.amdhsa_user_sgpr_kernarg_preload_length 0
		.amdhsa_user_sgpr_kernarg_preload_offset 0
		.amdhsa_user_sgpr_private_segment_size 0
		.amdhsa_wavefront_size32 1
		.amdhsa_uses_dynamic_stack 0
		.amdhsa_enable_private_segment 0
		.amdhsa_system_sgpr_workgroup_id_x 1
		.amdhsa_system_sgpr_workgroup_id_y 0
		.amdhsa_system_sgpr_workgroup_id_z 0
		.amdhsa_system_sgpr_workgroup_info 0
		.amdhsa_system_vgpr_workitem_id 0
		.amdhsa_next_free_vgpr 1
		.amdhsa_next_free_sgpr 1
		.amdhsa_named_barrier_count 0
		.amdhsa_reserve_vcc 0
		.amdhsa_float_round_mode_32 0
		.amdhsa_float_round_mode_16_64 0
		.amdhsa_float_denorm_mode_32 3
		.amdhsa_float_denorm_mode_16_64 3
		.amdhsa_fp16_overflow 0
		.amdhsa_memory_ordered 1
		.amdhsa_forward_progress 1
		.amdhsa_inst_pref_size 0
		.amdhsa_round_robin_scheduling 0
		.amdhsa_exception_fp_ieee_invalid_op 0
		.amdhsa_exception_fp_denorm_src 0
		.amdhsa_exception_fp_ieee_div_zero 0
		.amdhsa_exception_fp_ieee_overflow 0
		.amdhsa_exception_fp_ieee_underflow 0
		.amdhsa_exception_fp_ieee_inexact 0
		.amdhsa_exception_int_div_zero 0
	.end_amdhsa_kernel
	.section	.text._ZN7rocprim17ROCPRIM_400000_NS6detail17trampoline_kernelINS0_14default_configENS1_27scan_by_key_config_selectorIijEEZZNS1_16scan_by_key_implILNS1_25lookback_scan_determinismE0ELb1ES3_N6thrust23THRUST_200600_302600_NS6detail15normal_iteratorINS9_10device_ptrIiEEEENSB_INSC_IjEEEESG_jNS9_4plusIvEENS9_8equal_toIvEEjEE10hipError_tPvRmT2_T3_T4_T5_mT6_T7_P12ihipStream_tbENKUlT_T0_E_clISt17integral_constantIbLb1EES11_EEDaSW_SX_EUlSW_E_NS1_11comp_targetILNS1_3genE8ELNS1_11target_archE1030ELNS1_3gpuE2ELNS1_3repE0EEENS1_30default_config_static_selectorELNS0_4arch9wavefront6targetE0EEEvT1_,"axG",@progbits,_ZN7rocprim17ROCPRIM_400000_NS6detail17trampoline_kernelINS0_14default_configENS1_27scan_by_key_config_selectorIijEEZZNS1_16scan_by_key_implILNS1_25lookback_scan_determinismE0ELb1ES3_N6thrust23THRUST_200600_302600_NS6detail15normal_iteratorINS9_10device_ptrIiEEEENSB_INSC_IjEEEESG_jNS9_4plusIvEENS9_8equal_toIvEEjEE10hipError_tPvRmT2_T3_T4_T5_mT6_T7_P12ihipStream_tbENKUlT_T0_E_clISt17integral_constantIbLb1EES11_EEDaSW_SX_EUlSW_E_NS1_11comp_targetILNS1_3genE8ELNS1_11target_archE1030ELNS1_3gpuE2ELNS1_3repE0EEENS1_30default_config_static_selectorELNS0_4arch9wavefront6targetE0EEEvT1_,comdat
.Lfunc_end1516:
	.size	_ZN7rocprim17ROCPRIM_400000_NS6detail17trampoline_kernelINS0_14default_configENS1_27scan_by_key_config_selectorIijEEZZNS1_16scan_by_key_implILNS1_25lookback_scan_determinismE0ELb1ES3_N6thrust23THRUST_200600_302600_NS6detail15normal_iteratorINS9_10device_ptrIiEEEENSB_INSC_IjEEEESG_jNS9_4plusIvEENS9_8equal_toIvEEjEE10hipError_tPvRmT2_T3_T4_T5_mT6_T7_P12ihipStream_tbENKUlT_T0_E_clISt17integral_constantIbLb1EES11_EEDaSW_SX_EUlSW_E_NS1_11comp_targetILNS1_3genE8ELNS1_11target_archE1030ELNS1_3gpuE2ELNS1_3repE0EEENS1_30default_config_static_selectorELNS0_4arch9wavefront6targetE0EEEvT1_, .Lfunc_end1516-_ZN7rocprim17ROCPRIM_400000_NS6detail17trampoline_kernelINS0_14default_configENS1_27scan_by_key_config_selectorIijEEZZNS1_16scan_by_key_implILNS1_25lookback_scan_determinismE0ELb1ES3_N6thrust23THRUST_200600_302600_NS6detail15normal_iteratorINS9_10device_ptrIiEEEENSB_INSC_IjEEEESG_jNS9_4plusIvEENS9_8equal_toIvEEjEE10hipError_tPvRmT2_T3_T4_T5_mT6_T7_P12ihipStream_tbENKUlT_T0_E_clISt17integral_constantIbLb1EES11_EEDaSW_SX_EUlSW_E_NS1_11comp_targetILNS1_3genE8ELNS1_11target_archE1030ELNS1_3gpuE2ELNS1_3repE0EEENS1_30default_config_static_selectorELNS0_4arch9wavefront6targetE0EEEvT1_
                                        ; -- End function
	.set _ZN7rocprim17ROCPRIM_400000_NS6detail17trampoline_kernelINS0_14default_configENS1_27scan_by_key_config_selectorIijEEZZNS1_16scan_by_key_implILNS1_25lookback_scan_determinismE0ELb1ES3_N6thrust23THRUST_200600_302600_NS6detail15normal_iteratorINS9_10device_ptrIiEEEENSB_INSC_IjEEEESG_jNS9_4plusIvEENS9_8equal_toIvEEjEE10hipError_tPvRmT2_T3_T4_T5_mT6_T7_P12ihipStream_tbENKUlT_T0_E_clISt17integral_constantIbLb1EES11_EEDaSW_SX_EUlSW_E_NS1_11comp_targetILNS1_3genE8ELNS1_11target_archE1030ELNS1_3gpuE2ELNS1_3repE0EEENS1_30default_config_static_selectorELNS0_4arch9wavefront6targetE0EEEvT1_.num_vgpr, 0
	.set _ZN7rocprim17ROCPRIM_400000_NS6detail17trampoline_kernelINS0_14default_configENS1_27scan_by_key_config_selectorIijEEZZNS1_16scan_by_key_implILNS1_25lookback_scan_determinismE0ELb1ES3_N6thrust23THRUST_200600_302600_NS6detail15normal_iteratorINS9_10device_ptrIiEEEENSB_INSC_IjEEEESG_jNS9_4plusIvEENS9_8equal_toIvEEjEE10hipError_tPvRmT2_T3_T4_T5_mT6_T7_P12ihipStream_tbENKUlT_T0_E_clISt17integral_constantIbLb1EES11_EEDaSW_SX_EUlSW_E_NS1_11comp_targetILNS1_3genE8ELNS1_11target_archE1030ELNS1_3gpuE2ELNS1_3repE0EEENS1_30default_config_static_selectorELNS0_4arch9wavefront6targetE0EEEvT1_.num_agpr, 0
	.set _ZN7rocprim17ROCPRIM_400000_NS6detail17trampoline_kernelINS0_14default_configENS1_27scan_by_key_config_selectorIijEEZZNS1_16scan_by_key_implILNS1_25lookback_scan_determinismE0ELb1ES3_N6thrust23THRUST_200600_302600_NS6detail15normal_iteratorINS9_10device_ptrIiEEEENSB_INSC_IjEEEESG_jNS9_4plusIvEENS9_8equal_toIvEEjEE10hipError_tPvRmT2_T3_T4_T5_mT6_T7_P12ihipStream_tbENKUlT_T0_E_clISt17integral_constantIbLb1EES11_EEDaSW_SX_EUlSW_E_NS1_11comp_targetILNS1_3genE8ELNS1_11target_archE1030ELNS1_3gpuE2ELNS1_3repE0EEENS1_30default_config_static_selectorELNS0_4arch9wavefront6targetE0EEEvT1_.numbered_sgpr, 0
	.set _ZN7rocprim17ROCPRIM_400000_NS6detail17trampoline_kernelINS0_14default_configENS1_27scan_by_key_config_selectorIijEEZZNS1_16scan_by_key_implILNS1_25lookback_scan_determinismE0ELb1ES3_N6thrust23THRUST_200600_302600_NS6detail15normal_iteratorINS9_10device_ptrIiEEEENSB_INSC_IjEEEESG_jNS9_4plusIvEENS9_8equal_toIvEEjEE10hipError_tPvRmT2_T3_T4_T5_mT6_T7_P12ihipStream_tbENKUlT_T0_E_clISt17integral_constantIbLb1EES11_EEDaSW_SX_EUlSW_E_NS1_11comp_targetILNS1_3genE8ELNS1_11target_archE1030ELNS1_3gpuE2ELNS1_3repE0EEENS1_30default_config_static_selectorELNS0_4arch9wavefront6targetE0EEEvT1_.num_named_barrier, 0
	.set _ZN7rocprim17ROCPRIM_400000_NS6detail17trampoline_kernelINS0_14default_configENS1_27scan_by_key_config_selectorIijEEZZNS1_16scan_by_key_implILNS1_25lookback_scan_determinismE0ELb1ES3_N6thrust23THRUST_200600_302600_NS6detail15normal_iteratorINS9_10device_ptrIiEEEENSB_INSC_IjEEEESG_jNS9_4plusIvEENS9_8equal_toIvEEjEE10hipError_tPvRmT2_T3_T4_T5_mT6_T7_P12ihipStream_tbENKUlT_T0_E_clISt17integral_constantIbLb1EES11_EEDaSW_SX_EUlSW_E_NS1_11comp_targetILNS1_3genE8ELNS1_11target_archE1030ELNS1_3gpuE2ELNS1_3repE0EEENS1_30default_config_static_selectorELNS0_4arch9wavefront6targetE0EEEvT1_.private_seg_size, 0
	.set _ZN7rocprim17ROCPRIM_400000_NS6detail17trampoline_kernelINS0_14default_configENS1_27scan_by_key_config_selectorIijEEZZNS1_16scan_by_key_implILNS1_25lookback_scan_determinismE0ELb1ES3_N6thrust23THRUST_200600_302600_NS6detail15normal_iteratorINS9_10device_ptrIiEEEENSB_INSC_IjEEEESG_jNS9_4plusIvEENS9_8equal_toIvEEjEE10hipError_tPvRmT2_T3_T4_T5_mT6_T7_P12ihipStream_tbENKUlT_T0_E_clISt17integral_constantIbLb1EES11_EEDaSW_SX_EUlSW_E_NS1_11comp_targetILNS1_3genE8ELNS1_11target_archE1030ELNS1_3gpuE2ELNS1_3repE0EEENS1_30default_config_static_selectorELNS0_4arch9wavefront6targetE0EEEvT1_.uses_vcc, 0
	.set _ZN7rocprim17ROCPRIM_400000_NS6detail17trampoline_kernelINS0_14default_configENS1_27scan_by_key_config_selectorIijEEZZNS1_16scan_by_key_implILNS1_25lookback_scan_determinismE0ELb1ES3_N6thrust23THRUST_200600_302600_NS6detail15normal_iteratorINS9_10device_ptrIiEEEENSB_INSC_IjEEEESG_jNS9_4plusIvEENS9_8equal_toIvEEjEE10hipError_tPvRmT2_T3_T4_T5_mT6_T7_P12ihipStream_tbENKUlT_T0_E_clISt17integral_constantIbLb1EES11_EEDaSW_SX_EUlSW_E_NS1_11comp_targetILNS1_3genE8ELNS1_11target_archE1030ELNS1_3gpuE2ELNS1_3repE0EEENS1_30default_config_static_selectorELNS0_4arch9wavefront6targetE0EEEvT1_.uses_flat_scratch, 0
	.set _ZN7rocprim17ROCPRIM_400000_NS6detail17trampoline_kernelINS0_14default_configENS1_27scan_by_key_config_selectorIijEEZZNS1_16scan_by_key_implILNS1_25lookback_scan_determinismE0ELb1ES3_N6thrust23THRUST_200600_302600_NS6detail15normal_iteratorINS9_10device_ptrIiEEEENSB_INSC_IjEEEESG_jNS9_4plusIvEENS9_8equal_toIvEEjEE10hipError_tPvRmT2_T3_T4_T5_mT6_T7_P12ihipStream_tbENKUlT_T0_E_clISt17integral_constantIbLb1EES11_EEDaSW_SX_EUlSW_E_NS1_11comp_targetILNS1_3genE8ELNS1_11target_archE1030ELNS1_3gpuE2ELNS1_3repE0EEENS1_30default_config_static_selectorELNS0_4arch9wavefront6targetE0EEEvT1_.has_dyn_sized_stack, 0
	.set _ZN7rocprim17ROCPRIM_400000_NS6detail17trampoline_kernelINS0_14default_configENS1_27scan_by_key_config_selectorIijEEZZNS1_16scan_by_key_implILNS1_25lookback_scan_determinismE0ELb1ES3_N6thrust23THRUST_200600_302600_NS6detail15normal_iteratorINS9_10device_ptrIiEEEENSB_INSC_IjEEEESG_jNS9_4plusIvEENS9_8equal_toIvEEjEE10hipError_tPvRmT2_T3_T4_T5_mT6_T7_P12ihipStream_tbENKUlT_T0_E_clISt17integral_constantIbLb1EES11_EEDaSW_SX_EUlSW_E_NS1_11comp_targetILNS1_3genE8ELNS1_11target_archE1030ELNS1_3gpuE2ELNS1_3repE0EEENS1_30default_config_static_selectorELNS0_4arch9wavefront6targetE0EEEvT1_.has_recursion, 0
	.set _ZN7rocprim17ROCPRIM_400000_NS6detail17trampoline_kernelINS0_14default_configENS1_27scan_by_key_config_selectorIijEEZZNS1_16scan_by_key_implILNS1_25lookback_scan_determinismE0ELb1ES3_N6thrust23THRUST_200600_302600_NS6detail15normal_iteratorINS9_10device_ptrIiEEEENSB_INSC_IjEEEESG_jNS9_4plusIvEENS9_8equal_toIvEEjEE10hipError_tPvRmT2_T3_T4_T5_mT6_T7_P12ihipStream_tbENKUlT_T0_E_clISt17integral_constantIbLb1EES11_EEDaSW_SX_EUlSW_E_NS1_11comp_targetILNS1_3genE8ELNS1_11target_archE1030ELNS1_3gpuE2ELNS1_3repE0EEENS1_30default_config_static_selectorELNS0_4arch9wavefront6targetE0EEEvT1_.has_indirect_call, 0
	.section	.AMDGPU.csdata,"",@progbits
; Kernel info:
; codeLenInByte = 0
; TotalNumSgprs: 0
; NumVgprs: 0
; ScratchSize: 0
; MemoryBound: 0
; FloatMode: 240
; IeeeMode: 1
; LDSByteSize: 0 bytes/workgroup (compile time only)
; SGPRBlocks: 0
; VGPRBlocks: 0
; NumSGPRsForWavesPerEU: 1
; NumVGPRsForWavesPerEU: 1
; NamedBarCnt: 0
; Occupancy: 16
; WaveLimiterHint : 0
; COMPUTE_PGM_RSRC2:SCRATCH_EN: 0
; COMPUTE_PGM_RSRC2:USER_SGPR: 2
; COMPUTE_PGM_RSRC2:TRAP_HANDLER: 0
; COMPUTE_PGM_RSRC2:TGID_X_EN: 1
; COMPUTE_PGM_RSRC2:TGID_Y_EN: 0
; COMPUTE_PGM_RSRC2:TGID_Z_EN: 0
; COMPUTE_PGM_RSRC2:TIDIG_COMP_CNT: 0
	.section	.text._ZN7rocprim17ROCPRIM_400000_NS6detail17trampoline_kernelINS0_14default_configENS1_27scan_by_key_config_selectorIijEEZZNS1_16scan_by_key_implILNS1_25lookback_scan_determinismE0ELb1ES3_N6thrust23THRUST_200600_302600_NS6detail15normal_iteratorINS9_10device_ptrIiEEEENSB_INSC_IjEEEESG_jNS9_4plusIvEENS9_8equal_toIvEEjEE10hipError_tPvRmT2_T3_T4_T5_mT6_T7_P12ihipStream_tbENKUlT_T0_E_clISt17integral_constantIbLb1EES10_IbLb0EEEEDaSW_SX_EUlSW_E_NS1_11comp_targetILNS1_3genE0ELNS1_11target_archE4294967295ELNS1_3gpuE0ELNS1_3repE0EEENS1_30default_config_static_selectorELNS0_4arch9wavefront6targetE0EEEvT1_,"axG",@progbits,_ZN7rocprim17ROCPRIM_400000_NS6detail17trampoline_kernelINS0_14default_configENS1_27scan_by_key_config_selectorIijEEZZNS1_16scan_by_key_implILNS1_25lookback_scan_determinismE0ELb1ES3_N6thrust23THRUST_200600_302600_NS6detail15normal_iteratorINS9_10device_ptrIiEEEENSB_INSC_IjEEEESG_jNS9_4plusIvEENS9_8equal_toIvEEjEE10hipError_tPvRmT2_T3_T4_T5_mT6_T7_P12ihipStream_tbENKUlT_T0_E_clISt17integral_constantIbLb1EES10_IbLb0EEEEDaSW_SX_EUlSW_E_NS1_11comp_targetILNS1_3genE0ELNS1_11target_archE4294967295ELNS1_3gpuE0ELNS1_3repE0EEENS1_30default_config_static_selectorELNS0_4arch9wavefront6targetE0EEEvT1_,comdat
	.protected	_ZN7rocprim17ROCPRIM_400000_NS6detail17trampoline_kernelINS0_14default_configENS1_27scan_by_key_config_selectorIijEEZZNS1_16scan_by_key_implILNS1_25lookback_scan_determinismE0ELb1ES3_N6thrust23THRUST_200600_302600_NS6detail15normal_iteratorINS9_10device_ptrIiEEEENSB_INSC_IjEEEESG_jNS9_4plusIvEENS9_8equal_toIvEEjEE10hipError_tPvRmT2_T3_T4_T5_mT6_T7_P12ihipStream_tbENKUlT_T0_E_clISt17integral_constantIbLb1EES10_IbLb0EEEEDaSW_SX_EUlSW_E_NS1_11comp_targetILNS1_3genE0ELNS1_11target_archE4294967295ELNS1_3gpuE0ELNS1_3repE0EEENS1_30default_config_static_selectorELNS0_4arch9wavefront6targetE0EEEvT1_ ; -- Begin function _ZN7rocprim17ROCPRIM_400000_NS6detail17trampoline_kernelINS0_14default_configENS1_27scan_by_key_config_selectorIijEEZZNS1_16scan_by_key_implILNS1_25lookback_scan_determinismE0ELb1ES3_N6thrust23THRUST_200600_302600_NS6detail15normal_iteratorINS9_10device_ptrIiEEEENSB_INSC_IjEEEESG_jNS9_4plusIvEENS9_8equal_toIvEEjEE10hipError_tPvRmT2_T3_T4_T5_mT6_T7_P12ihipStream_tbENKUlT_T0_E_clISt17integral_constantIbLb1EES10_IbLb0EEEEDaSW_SX_EUlSW_E_NS1_11comp_targetILNS1_3genE0ELNS1_11target_archE4294967295ELNS1_3gpuE0ELNS1_3repE0EEENS1_30default_config_static_selectorELNS0_4arch9wavefront6targetE0EEEvT1_
	.globl	_ZN7rocprim17ROCPRIM_400000_NS6detail17trampoline_kernelINS0_14default_configENS1_27scan_by_key_config_selectorIijEEZZNS1_16scan_by_key_implILNS1_25lookback_scan_determinismE0ELb1ES3_N6thrust23THRUST_200600_302600_NS6detail15normal_iteratorINS9_10device_ptrIiEEEENSB_INSC_IjEEEESG_jNS9_4plusIvEENS9_8equal_toIvEEjEE10hipError_tPvRmT2_T3_T4_T5_mT6_T7_P12ihipStream_tbENKUlT_T0_E_clISt17integral_constantIbLb1EES10_IbLb0EEEEDaSW_SX_EUlSW_E_NS1_11comp_targetILNS1_3genE0ELNS1_11target_archE4294967295ELNS1_3gpuE0ELNS1_3repE0EEENS1_30default_config_static_selectorELNS0_4arch9wavefront6targetE0EEEvT1_
	.p2align	8
	.type	_ZN7rocprim17ROCPRIM_400000_NS6detail17trampoline_kernelINS0_14default_configENS1_27scan_by_key_config_selectorIijEEZZNS1_16scan_by_key_implILNS1_25lookback_scan_determinismE0ELb1ES3_N6thrust23THRUST_200600_302600_NS6detail15normal_iteratorINS9_10device_ptrIiEEEENSB_INSC_IjEEEESG_jNS9_4plusIvEENS9_8equal_toIvEEjEE10hipError_tPvRmT2_T3_T4_T5_mT6_T7_P12ihipStream_tbENKUlT_T0_E_clISt17integral_constantIbLb1EES10_IbLb0EEEEDaSW_SX_EUlSW_E_NS1_11comp_targetILNS1_3genE0ELNS1_11target_archE4294967295ELNS1_3gpuE0ELNS1_3repE0EEENS1_30default_config_static_selectorELNS0_4arch9wavefront6targetE0EEEvT1_,@function
_ZN7rocprim17ROCPRIM_400000_NS6detail17trampoline_kernelINS0_14default_configENS1_27scan_by_key_config_selectorIijEEZZNS1_16scan_by_key_implILNS1_25lookback_scan_determinismE0ELb1ES3_N6thrust23THRUST_200600_302600_NS6detail15normal_iteratorINS9_10device_ptrIiEEEENSB_INSC_IjEEEESG_jNS9_4plusIvEENS9_8equal_toIvEEjEE10hipError_tPvRmT2_T3_T4_T5_mT6_T7_P12ihipStream_tbENKUlT_T0_E_clISt17integral_constantIbLb1EES10_IbLb0EEEEDaSW_SX_EUlSW_E_NS1_11comp_targetILNS1_3genE0ELNS1_11target_archE4294967295ELNS1_3gpuE0ELNS1_3repE0EEENS1_30default_config_static_selectorELNS0_4arch9wavefront6targetE0EEEvT1_: ; @_ZN7rocprim17ROCPRIM_400000_NS6detail17trampoline_kernelINS0_14default_configENS1_27scan_by_key_config_selectorIijEEZZNS1_16scan_by_key_implILNS1_25lookback_scan_determinismE0ELb1ES3_N6thrust23THRUST_200600_302600_NS6detail15normal_iteratorINS9_10device_ptrIiEEEENSB_INSC_IjEEEESG_jNS9_4plusIvEENS9_8equal_toIvEEjEE10hipError_tPvRmT2_T3_T4_T5_mT6_T7_P12ihipStream_tbENKUlT_T0_E_clISt17integral_constantIbLb1EES10_IbLb0EEEEDaSW_SX_EUlSW_E_NS1_11comp_targetILNS1_3genE0ELNS1_11target_archE4294967295ELNS1_3gpuE0ELNS1_3repE0EEENS1_30default_config_static_selectorELNS0_4arch9wavefront6targetE0EEEvT1_
; %bb.0:
	s_endpgm
	.section	.rodata,"a",@progbits
	.p2align	6, 0x0
	.amdhsa_kernel _ZN7rocprim17ROCPRIM_400000_NS6detail17trampoline_kernelINS0_14default_configENS1_27scan_by_key_config_selectorIijEEZZNS1_16scan_by_key_implILNS1_25lookback_scan_determinismE0ELb1ES3_N6thrust23THRUST_200600_302600_NS6detail15normal_iteratorINS9_10device_ptrIiEEEENSB_INSC_IjEEEESG_jNS9_4plusIvEENS9_8equal_toIvEEjEE10hipError_tPvRmT2_T3_T4_T5_mT6_T7_P12ihipStream_tbENKUlT_T0_E_clISt17integral_constantIbLb1EES10_IbLb0EEEEDaSW_SX_EUlSW_E_NS1_11comp_targetILNS1_3genE0ELNS1_11target_archE4294967295ELNS1_3gpuE0ELNS1_3repE0EEENS1_30default_config_static_selectorELNS0_4arch9wavefront6targetE0EEEvT1_
		.amdhsa_group_segment_fixed_size 0
		.amdhsa_private_segment_fixed_size 0
		.amdhsa_kernarg_size 112
		.amdhsa_user_sgpr_count 2
		.amdhsa_user_sgpr_dispatch_ptr 0
		.amdhsa_user_sgpr_queue_ptr 0
		.amdhsa_user_sgpr_kernarg_segment_ptr 1
		.amdhsa_user_sgpr_dispatch_id 0
		.amdhsa_user_sgpr_kernarg_preload_length 0
		.amdhsa_user_sgpr_kernarg_preload_offset 0
		.amdhsa_user_sgpr_private_segment_size 0
		.amdhsa_wavefront_size32 1
		.amdhsa_uses_dynamic_stack 0
		.amdhsa_enable_private_segment 0
		.amdhsa_system_sgpr_workgroup_id_x 1
		.amdhsa_system_sgpr_workgroup_id_y 0
		.amdhsa_system_sgpr_workgroup_id_z 0
		.amdhsa_system_sgpr_workgroup_info 0
		.amdhsa_system_vgpr_workitem_id 0
		.amdhsa_next_free_vgpr 1
		.amdhsa_next_free_sgpr 1
		.amdhsa_named_barrier_count 0
		.amdhsa_reserve_vcc 0
		.amdhsa_float_round_mode_32 0
		.amdhsa_float_round_mode_16_64 0
		.amdhsa_float_denorm_mode_32 3
		.amdhsa_float_denorm_mode_16_64 3
		.amdhsa_fp16_overflow 0
		.amdhsa_memory_ordered 1
		.amdhsa_forward_progress 1
		.amdhsa_inst_pref_size 1
		.amdhsa_round_robin_scheduling 0
		.amdhsa_exception_fp_ieee_invalid_op 0
		.amdhsa_exception_fp_denorm_src 0
		.amdhsa_exception_fp_ieee_div_zero 0
		.amdhsa_exception_fp_ieee_overflow 0
		.amdhsa_exception_fp_ieee_underflow 0
		.amdhsa_exception_fp_ieee_inexact 0
		.amdhsa_exception_int_div_zero 0
	.end_amdhsa_kernel
	.section	.text._ZN7rocprim17ROCPRIM_400000_NS6detail17trampoline_kernelINS0_14default_configENS1_27scan_by_key_config_selectorIijEEZZNS1_16scan_by_key_implILNS1_25lookback_scan_determinismE0ELb1ES3_N6thrust23THRUST_200600_302600_NS6detail15normal_iteratorINS9_10device_ptrIiEEEENSB_INSC_IjEEEESG_jNS9_4plusIvEENS9_8equal_toIvEEjEE10hipError_tPvRmT2_T3_T4_T5_mT6_T7_P12ihipStream_tbENKUlT_T0_E_clISt17integral_constantIbLb1EES10_IbLb0EEEEDaSW_SX_EUlSW_E_NS1_11comp_targetILNS1_3genE0ELNS1_11target_archE4294967295ELNS1_3gpuE0ELNS1_3repE0EEENS1_30default_config_static_selectorELNS0_4arch9wavefront6targetE0EEEvT1_,"axG",@progbits,_ZN7rocprim17ROCPRIM_400000_NS6detail17trampoline_kernelINS0_14default_configENS1_27scan_by_key_config_selectorIijEEZZNS1_16scan_by_key_implILNS1_25lookback_scan_determinismE0ELb1ES3_N6thrust23THRUST_200600_302600_NS6detail15normal_iteratorINS9_10device_ptrIiEEEENSB_INSC_IjEEEESG_jNS9_4plusIvEENS9_8equal_toIvEEjEE10hipError_tPvRmT2_T3_T4_T5_mT6_T7_P12ihipStream_tbENKUlT_T0_E_clISt17integral_constantIbLb1EES10_IbLb0EEEEDaSW_SX_EUlSW_E_NS1_11comp_targetILNS1_3genE0ELNS1_11target_archE4294967295ELNS1_3gpuE0ELNS1_3repE0EEENS1_30default_config_static_selectorELNS0_4arch9wavefront6targetE0EEEvT1_,comdat
.Lfunc_end1517:
	.size	_ZN7rocprim17ROCPRIM_400000_NS6detail17trampoline_kernelINS0_14default_configENS1_27scan_by_key_config_selectorIijEEZZNS1_16scan_by_key_implILNS1_25lookback_scan_determinismE0ELb1ES3_N6thrust23THRUST_200600_302600_NS6detail15normal_iteratorINS9_10device_ptrIiEEEENSB_INSC_IjEEEESG_jNS9_4plusIvEENS9_8equal_toIvEEjEE10hipError_tPvRmT2_T3_T4_T5_mT6_T7_P12ihipStream_tbENKUlT_T0_E_clISt17integral_constantIbLb1EES10_IbLb0EEEEDaSW_SX_EUlSW_E_NS1_11comp_targetILNS1_3genE0ELNS1_11target_archE4294967295ELNS1_3gpuE0ELNS1_3repE0EEENS1_30default_config_static_selectorELNS0_4arch9wavefront6targetE0EEEvT1_, .Lfunc_end1517-_ZN7rocprim17ROCPRIM_400000_NS6detail17trampoline_kernelINS0_14default_configENS1_27scan_by_key_config_selectorIijEEZZNS1_16scan_by_key_implILNS1_25lookback_scan_determinismE0ELb1ES3_N6thrust23THRUST_200600_302600_NS6detail15normal_iteratorINS9_10device_ptrIiEEEENSB_INSC_IjEEEESG_jNS9_4plusIvEENS9_8equal_toIvEEjEE10hipError_tPvRmT2_T3_T4_T5_mT6_T7_P12ihipStream_tbENKUlT_T0_E_clISt17integral_constantIbLb1EES10_IbLb0EEEEDaSW_SX_EUlSW_E_NS1_11comp_targetILNS1_3genE0ELNS1_11target_archE4294967295ELNS1_3gpuE0ELNS1_3repE0EEENS1_30default_config_static_selectorELNS0_4arch9wavefront6targetE0EEEvT1_
                                        ; -- End function
	.set _ZN7rocprim17ROCPRIM_400000_NS6detail17trampoline_kernelINS0_14default_configENS1_27scan_by_key_config_selectorIijEEZZNS1_16scan_by_key_implILNS1_25lookback_scan_determinismE0ELb1ES3_N6thrust23THRUST_200600_302600_NS6detail15normal_iteratorINS9_10device_ptrIiEEEENSB_INSC_IjEEEESG_jNS9_4plusIvEENS9_8equal_toIvEEjEE10hipError_tPvRmT2_T3_T4_T5_mT6_T7_P12ihipStream_tbENKUlT_T0_E_clISt17integral_constantIbLb1EES10_IbLb0EEEEDaSW_SX_EUlSW_E_NS1_11comp_targetILNS1_3genE0ELNS1_11target_archE4294967295ELNS1_3gpuE0ELNS1_3repE0EEENS1_30default_config_static_selectorELNS0_4arch9wavefront6targetE0EEEvT1_.num_vgpr, 0
	.set _ZN7rocprim17ROCPRIM_400000_NS6detail17trampoline_kernelINS0_14default_configENS1_27scan_by_key_config_selectorIijEEZZNS1_16scan_by_key_implILNS1_25lookback_scan_determinismE0ELb1ES3_N6thrust23THRUST_200600_302600_NS6detail15normal_iteratorINS9_10device_ptrIiEEEENSB_INSC_IjEEEESG_jNS9_4plusIvEENS9_8equal_toIvEEjEE10hipError_tPvRmT2_T3_T4_T5_mT6_T7_P12ihipStream_tbENKUlT_T0_E_clISt17integral_constantIbLb1EES10_IbLb0EEEEDaSW_SX_EUlSW_E_NS1_11comp_targetILNS1_3genE0ELNS1_11target_archE4294967295ELNS1_3gpuE0ELNS1_3repE0EEENS1_30default_config_static_selectorELNS0_4arch9wavefront6targetE0EEEvT1_.num_agpr, 0
	.set _ZN7rocprim17ROCPRIM_400000_NS6detail17trampoline_kernelINS0_14default_configENS1_27scan_by_key_config_selectorIijEEZZNS1_16scan_by_key_implILNS1_25lookback_scan_determinismE0ELb1ES3_N6thrust23THRUST_200600_302600_NS6detail15normal_iteratorINS9_10device_ptrIiEEEENSB_INSC_IjEEEESG_jNS9_4plusIvEENS9_8equal_toIvEEjEE10hipError_tPvRmT2_T3_T4_T5_mT6_T7_P12ihipStream_tbENKUlT_T0_E_clISt17integral_constantIbLb1EES10_IbLb0EEEEDaSW_SX_EUlSW_E_NS1_11comp_targetILNS1_3genE0ELNS1_11target_archE4294967295ELNS1_3gpuE0ELNS1_3repE0EEENS1_30default_config_static_selectorELNS0_4arch9wavefront6targetE0EEEvT1_.numbered_sgpr, 0
	.set _ZN7rocprim17ROCPRIM_400000_NS6detail17trampoline_kernelINS0_14default_configENS1_27scan_by_key_config_selectorIijEEZZNS1_16scan_by_key_implILNS1_25lookback_scan_determinismE0ELb1ES3_N6thrust23THRUST_200600_302600_NS6detail15normal_iteratorINS9_10device_ptrIiEEEENSB_INSC_IjEEEESG_jNS9_4plusIvEENS9_8equal_toIvEEjEE10hipError_tPvRmT2_T3_T4_T5_mT6_T7_P12ihipStream_tbENKUlT_T0_E_clISt17integral_constantIbLb1EES10_IbLb0EEEEDaSW_SX_EUlSW_E_NS1_11comp_targetILNS1_3genE0ELNS1_11target_archE4294967295ELNS1_3gpuE0ELNS1_3repE0EEENS1_30default_config_static_selectorELNS0_4arch9wavefront6targetE0EEEvT1_.num_named_barrier, 0
	.set _ZN7rocprim17ROCPRIM_400000_NS6detail17trampoline_kernelINS0_14default_configENS1_27scan_by_key_config_selectorIijEEZZNS1_16scan_by_key_implILNS1_25lookback_scan_determinismE0ELb1ES3_N6thrust23THRUST_200600_302600_NS6detail15normal_iteratorINS9_10device_ptrIiEEEENSB_INSC_IjEEEESG_jNS9_4plusIvEENS9_8equal_toIvEEjEE10hipError_tPvRmT2_T3_T4_T5_mT6_T7_P12ihipStream_tbENKUlT_T0_E_clISt17integral_constantIbLb1EES10_IbLb0EEEEDaSW_SX_EUlSW_E_NS1_11comp_targetILNS1_3genE0ELNS1_11target_archE4294967295ELNS1_3gpuE0ELNS1_3repE0EEENS1_30default_config_static_selectorELNS0_4arch9wavefront6targetE0EEEvT1_.private_seg_size, 0
	.set _ZN7rocprim17ROCPRIM_400000_NS6detail17trampoline_kernelINS0_14default_configENS1_27scan_by_key_config_selectorIijEEZZNS1_16scan_by_key_implILNS1_25lookback_scan_determinismE0ELb1ES3_N6thrust23THRUST_200600_302600_NS6detail15normal_iteratorINS9_10device_ptrIiEEEENSB_INSC_IjEEEESG_jNS9_4plusIvEENS9_8equal_toIvEEjEE10hipError_tPvRmT2_T3_T4_T5_mT6_T7_P12ihipStream_tbENKUlT_T0_E_clISt17integral_constantIbLb1EES10_IbLb0EEEEDaSW_SX_EUlSW_E_NS1_11comp_targetILNS1_3genE0ELNS1_11target_archE4294967295ELNS1_3gpuE0ELNS1_3repE0EEENS1_30default_config_static_selectorELNS0_4arch9wavefront6targetE0EEEvT1_.uses_vcc, 0
	.set _ZN7rocprim17ROCPRIM_400000_NS6detail17trampoline_kernelINS0_14default_configENS1_27scan_by_key_config_selectorIijEEZZNS1_16scan_by_key_implILNS1_25lookback_scan_determinismE0ELb1ES3_N6thrust23THRUST_200600_302600_NS6detail15normal_iteratorINS9_10device_ptrIiEEEENSB_INSC_IjEEEESG_jNS9_4plusIvEENS9_8equal_toIvEEjEE10hipError_tPvRmT2_T3_T4_T5_mT6_T7_P12ihipStream_tbENKUlT_T0_E_clISt17integral_constantIbLb1EES10_IbLb0EEEEDaSW_SX_EUlSW_E_NS1_11comp_targetILNS1_3genE0ELNS1_11target_archE4294967295ELNS1_3gpuE0ELNS1_3repE0EEENS1_30default_config_static_selectorELNS0_4arch9wavefront6targetE0EEEvT1_.uses_flat_scratch, 0
	.set _ZN7rocprim17ROCPRIM_400000_NS6detail17trampoline_kernelINS0_14default_configENS1_27scan_by_key_config_selectorIijEEZZNS1_16scan_by_key_implILNS1_25lookback_scan_determinismE0ELb1ES3_N6thrust23THRUST_200600_302600_NS6detail15normal_iteratorINS9_10device_ptrIiEEEENSB_INSC_IjEEEESG_jNS9_4plusIvEENS9_8equal_toIvEEjEE10hipError_tPvRmT2_T3_T4_T5_mT6_T7_P12ihipStream_tbENKUlT_T0_E_clISt17integral_constantIbLb1EES10_IbLb0EEEEDaSW_SX_EUlSW_E_NS1_11comp_targetILNS1_3genE0ELNS1_11target_archE4294967295ELNS1_3gpuE0ELNS1_3repE0EEENS1_30default_config_static_selectorELNS0_4arch9wavefront6targetE0EEEvT1_.has_dyn_sized_stack, 0
	.set _ZN7rocprim17ROCPRIM_400000_NS6detail17trampoline_kernelINS0_14default_configENS1_27scan_by_key_config_selectorIijEEZZNS1_16scan_by_key_implILNS1_25lookback_scan_determinismE0ELb1ES3_N6thrust23THRUST_200600_302600_NS6detail15normal_iteratorINS9_10device_ptrIiEEEENSB_INSC_IjEEEESG_jNS9_4plusIvEENS9_8equal_toIvEEjEE10hipError_tPvRmT2_T3_T4_T5_mT6_T7_P12ihipStream_tbENKUlT_T0_E_clISt17integral_constantIbLb1EES10_IbLb0EEEEDaSW_SX_EUlSW_E_NS1_11comp_targetILNS1_3genE0ELNS1_11target_archE4294967295ELNS1_3gpuE0ELNS1_3repE0EEENS1_30default_config_static_selectorELNS0_4arch9wavefront6targetE0EEEvT1_.has_recursion, 0
	.set _ZN7rocprim17ROCPRIM_400000_NS6detail17trampoline_kernelINS0_14default_configENS1_27scan_by_key_config_selectorIijEEZZNS1_16scan_by_key_implILNS1_25lookback_scan_determinismE0ELb1ES3_N6thrust23THRUST_200600_302600_NS6detail15normal_iteratorINS9_10device_ptrIiEEEENSB_INSC_IjEEEESG_jNS9_4plusIvEENS9_8equal_toIvEEjEE10hipError_tPvRmT2_T3_T4_T5_mT6_T7_P12ihipStream_tbENKUlT_T0_E_clISt17integral_constantIbLb1EES10_IbLb0EEEEDaSW_SX_EUlSW_E_NS1_11comp_targetILNS1_3genE0ELNS1_11target_archE4294967295ELNS1_3gpuE0ELNS1_3repE0EEENS1_30default_config_static_selectorELNS0_4arch9wavefront6targetE0EEEvT1_.has_indirect_call, 0
	.section	.AMDGPU.csdata,"",@progbits
; Kernel info:
; codeLenInByte = 4
; TotalNumSgprs: 0
; NumVgprs: 0
; ScratchSize: 0
; MemoryBound: 0
; FloatMode: 240
; IeeeMode: 1
; LDSByteSize: 0 bytes/workgroup (compile time only)
; SGPRBlocks: 0
; VGPRBlocks: 0
; NumSGPRsForWavesPerEU: 1
; NumVGPRsForWavesPerEU: 1
; NamedBarCnt: 0
; Occupancy: 16
; WaveLimiterHint : 0
; COMPUTE_PGM_RSRC2:SCRATCH_EN: 0
; COMPUTE_PGM_RSRC2:USER_SGPR: 2
; COMPUTE_PGM_RSRC2:TRAP_HANDLER: 0
; COMPUTE_PGM_RSRC2:TGID_X_EN: 1
; COMPUTE_PGM_RSRC2:TGID_Y_EN: 0
; COMPUTE_PGM_RSRC2:TGID_Z_EN: 0
; COMPUTE_PGM_RSRC2:TIDIG_COMP_CNT: 0
	.section	.text._ZN7rocprim17ROCPRIM_400000_NS6detail17trampoline_kernelINS0_14default_configENS1_27scan_by_key_config_selectorIijEEZZNS1_16scan_by_key_implILNS1_25lookback_scan_determinismE0ELb1ES3_N6thrust23THRUST_200600_302600_NS6detail15normal_iteratorINS9_10device_ptrIiEEEENSB_INSC_IjEEEESG_jNS9_4plusIvEENS9_8equal_toIvEEjEE10hipError_tPvRmT2_T3_T4_T5_mT6_T7_P12ihipStream_tbENKUlT_T0_E_clISt17integral_constantIbLb1EES10_IbLb0EEEEDaSW_SX_EUlSW_E_NS1_11comp_targetILNS1_3genE10ELNS1_11target_archE1201ELNS1_3gpuE5ELNS1_3repE0EEENS1_30default_config_static_selectorELNS0_4arch9wavefront6targetE0EEEvT1_,"axG",@progbits,_ZN7rocprim17ROCPRIM_400000_NS6detail17trampoline_kernelINS0_14default_configENS1_27scan_by_key_config_selectorIijEEZZNS1_16scan_by_key_implILNS1_25lookback_scan_determinismE0ELb1ES3_N6thrust23THRUST_200600_302600_NS6detail15normal_iteratorINS9_10device_ptrIiEEEENSB_INSC_IjEEEESG_jNS9_4plusIvEENS9_8equal_toIvEEjEE10hipError_tPvRmT2_T3_T4_T5_mT6_T7_P12ihipStream_tbENKUlT_T0_E_clISt17integral_constantIbLb1EES10_IbLb0EEEEDaSW_SX_EUlSW_E_NS1_11comp_targetILNS1_3genE10ELNS1_11target_archE1201ELNS1_3gpuE5ELNS1_3repE0EEENS1_30default_config_static_selectorELNS0_4arch9wavefront6targetE0EEEvT1_,comdat
	.protected	_ZN7rocprim17ROCPRIM_400000_NS6detail17trampoline_kernelINS0_14default_configENS1_27scan_by_key_config_selectorIijEEZZNS1_16scan_by_key_implILNS1_25lookback_scan_determinismE0ELb1ES3_N6thrust23THRUST_200600_302600_NS6detail15normal_iteratorINS9_10device_ptrIiEEEENSB_INSC_IjEEEESG_jNS9_4plusIvEENS9_8equal_toIvEEjEE10hipError_tPvRmT2_T3_T4_T5_mT6_T7_P12ihipStream_tbENKUlT_T0_E_clISt17integral_constantIbLb1EES10_IbLb0EEEEDaSW_SX_EUlSW_E_NS1_11comp_targetILNS1_3genE10ELNS1_11target_archE1201ELNS1_3gpuE5ELNS1_3repE0EEENS1_30default_config_static_selectorELNS0_4arch9wavefront6targetE0EEEvT1_ ; -- Begin function _ZN7rocprim17ROCPRIM_400000_NS6detail17trampoline_kernelINS0_14default_configENS1_27scan_by_key_config_selectorIijEEZZNS1_16scan_by_key_implILNS1_25lookback_scan_determinismE0ELb1ES3_N6thrust23THRUST_200600_302600_NS6detail15normal_iteratorINS9_10device_ptrIiEEEENSB_INSC_IjEEEESG_jNS9_4plusIvEENS9_8equal_toIvEEjEE10hipError_tPvRmT2_T3_T4_T5_mT6_T7_P12ihipStream_tbENKUlT_T0_E_clISt17integral_constantIbLb1EES10_IbLb0EEEEDaSW_SX_EUlSW_E_NS1_11comp_targetILNS1_3genE10ELNS1_11target_archE1201ELNS1_3gpuE5ELNS1_3repE0EEENS1_30default_config_static_selectorELNS0_4arch9wavefront6targetE0EEEvT1_
	.globl	_ZN7rocprim17ROCPRIM_400000_NS6detail17trampoline_kernelINS0_14default_configENS1_27scan_by_key_config_selectorIijEEZZNS1_16scan_by_key_implILNS1_25lookback_scan_determinismE0ELb1ES3_N6thrust23THRUST_200600_302600_NS6detail15normal_iteratorINS9_10device_ptrIiEEEENSB_INSC_IjEEEESG_jNS9_4plusIvEENS9_8equal_toIvEEjEE10hipError_tPvRmT2_T3_T4_T5_mT6_T7_P12ihipStream_tbENKUlT_T0_E_clISt17integral_constantIbLb1EES10_IbLb0EEEEDaSW_SX_EUlSW_E_NS1_11comp_targetILNS1_3genE10ELNS1_11target_archE1201ELNS1_3gpuE5ELNS1_3repE0EEENS1_30default_config_static_selectorELNS0_4arch9wavefront6targetE0EEEvT1_
	.p2align	8
	.type	_ZN7rocprim17ROCPRIM_400000_NS6detail17trampoline_kernelINS0_14default_configENS1_27scan_by_key_config_selectorIijEEZZNS1_16scan_by_key_implILNS1_25lookback_scan_determinismE0ELb1ES3_N6thrust23THRUST_200600_302600_NS6detail15normal_iteratorINS9_10device_ptrIiEEEENSB_INSC_IjEEEESG_jNS9_4plusIvEENS9_8equal_toIvEEjEE10hipError_tPvRmT2_T3_T4_T5_mT6_T7_P12ihipStream_tbENKUlT_T0_E_clISt17integral_constantIbLb1EES10_IbLb0EEEEDaSW_SX_EUlSW_E_NS1_11comp_targetILNS1_3genE10ELNS1_11target_archE1201ELNS1_3gpuE5ELNS1_3repE0EEENS1_30default_config_static_selectorELNS0_4arch9wavefront6targetE0EEEvT1_,@function
_ZN7rocprim17ROCPRIM_400000_NS6detail17trampoline_kernelINS0_14default_configENS1_27scan_by_key_config_selectorIijEEZZNS1_16scan_by_key_implILNS1_25lookback_scan_determinismE0ELb1ES3_N6thrust23THRUST_200600_302600_NS6detail15normal_iteratorINS9_10device_ptrIiEEEENSB_INSC_IjEEEESG_jNS9_4plusIvEENS9_8equal_toIvEEjEE10hipError_tPvRmT2_T3_T4_T5_mT6_T7_P12ihipStream_tbENKUlT_T0_E_clISt17integral_constantIbLb1EES10_IbLb0EEEEDaSW_SX_EUlSW_E_NS1_11comp_targetILNS1_3genE10ELNS1_11target_archE1201ELNS1_3gpuE5ELNS1_3repE0EEENS1_30default_config_static_selectorELNS0_4arch9wavefront6targetE0EEEvT1_: ; @_ZN7rocprim17ROCPRIM_400000_NS6detail17trampoline_kernelINS0_14default_configENS1_27scan_by_key_config_selectorIijEEZZNS1_16scan_by_key_implILNS1_25lookback_scan_determinismE0ELb1ES3_N6thrust23THRUST_200600_302600_NS6detail15normal_iteratorINS9_10device_ptrIiEEEENSB_INSC_IjEEEESG_jNS9_4plusIvEENS9_8equal_toIvEEjEE10hipError_tPvRmT2_T3_T4_T5_mT6_T7_P12ihipStream_tbENKUlT_T0_E_clISt17integral_constantIbLb1EES10_IbLb0EEEEDaSW_SX_EUlSW_E_NS1_11comp_targetILNS1_3genE10ELNS1_11target_archE1201ELNS1_3gpuE5ELNS1_3repE0EEENS1_30default_config_static_selectorELNS0_4arch9wavefront6targetE0EEEvT1_
; %bb.0:
	.section	.rodata,"a",@progbits
	.p2align	6, 0x0
	.amdhsa_kernel _ZN7rocprim17ROCPRIM_400000_NS6detail17trampoline_kernelINS0_14default_configENS1_27scan_by_key_config_selectorIijEEZZNS1_16scan_by_key_implILNS1_25lookback_scan_determinismE0ELb1ES3_N6thrust23THRUST_200600_302600_NS6detail15normal_iteratorINS9_10device_ptrIiEEEENSB_INSC_IjEEEESG_jNS9_4plusIvEENS9_8equal_toIvEEjEE10hipError_tPvRmT2_T3_T4_T5_mT6_T7_P12ihipStream_tbENKUlT_T0_E_clISt17integral_constantIbLb1EES10_IbLb0EEEEDaSW_SX_EUlSW_E_NS1_11comp_targetILNS1_3genE10ELNS1_11target_archE1201ELNS1_3gpuE5ELNS1_3repE0EEENS1_30default_config_static_selectorELNS0_4arch9wavefront6targetE0EEEvT1_
		.amdhsa_group_segment_fixed_size 0
		.amdhsa_private_segment_fixed_size 0
		.amdhsa_kernarg_size 112
		.amdhsa_user_sgpr_count 2
		.amdhsa_user_sgpr_dispatch_ptr 0
		.amdhsa_user_sgpr_queue_ptr 0
		.amdhsa_user_sgpr_kernarg_segment_ptr 1
		.amdhsa_user_sgpr_dispatch_id 0
		.amdhsa_user_sgpr_kernarg_preload_length 0
		.amdhsa_user_sgpr_kernarg_preload_offset 0
		.amdhsa_user_sgpr_private_segment_size 0
		.amdhsa_wavefront_size32 1
		.amdhsa_uses_dynamic_stack 0
		.amdhsa_enable_private_segment 0
		.amdhsa_system_sgpr_workgroup_id_x 1
		.amdhsa_system_sgpr_workgroup_id_y 0
		.amdhsa_system_sgpr_workgroup_id_z 0
		.amdhsa_system_sgpr_workgroup_info 0
		.amdhsa_system_vgpr_workitem_id 0
		.amdhsa_next_free_vgpr 1
		.amdhsa_next_free_sgpr 1
		.amdhsa_named_barrier_count 0
		.amdhsa_reserve_vcc 0
		.amdhsa_float_round_mode_32 0
		.amdhsa_float_round_mode_16_64 0
		.amdhsa_float_denorm_mode_32 3
		.amdhsa_float_denorm_mode_16_64 3
		.amdhsa_fp16_overflow 0
		.amdhsa_memory_ordered 1
		.amdhsa_forward_progress 1
		.amdhsa_inst_pref_size 0
		.amdhsa_round_robin_scheduling 0
		.amdhsa_exception_fp_ieee_invalid_op 0
		.amdhsa_exception_fp_denorm_src 0
		.amdhsa_exception_fp_ieee_div_zero 0
		.amdhsa_exception_fp_ieee_overflow 0
		.amdhsa_exception_fp_ieee_underflow 0
		.amdhsa_exception_fp_ieee_inexact 0
		.amdhsa_exception_int_div_zero 0
	.end_amdhsa_kernel
	.section	.text._ZN7rocprim17ROCPRIM_400000_NS6detail17trampoline_kernelINS0_14default_configENS1_27scan_by_key_config_selectorIijEEZZNS1_16scan_by_key_implILNS1_25lookback_scan_determinismE0ELb1ES3_N6thrust23THRUST_200600_302600_NS6detail15normal_iteratorINS9_10device_ptrIiEEEENSB_INSC_IjEEEESG_jNS9_4plusIvEENS9_8equal_toIvEEjEE10hipError_tPvRmT2_T3_T4_T5_mT6_T7_P12ihipStream_tbENKUlT_T0_E_clISt17integral_constantIbLb1EES10_IbLb0EEEEDaSW_SX_EUlSW_E_NS1_11comp_targetILNS1_3genE10ELNS1_11target_archE1201ELNS1_3gpuE5ELNS1_3repE0EEENS1_30default_config_static_selectorELNS0_4arch9wavefront6targetE0EEEvT1_,"axG",@progbits,_ZN7rocprim17ROCPRIM_400000_NS6detail17trampoline_kernelINS0_14default_configENS1_27scan_by_key_config_selectorIijEEZZNS1_16scan_by_key_implILNS1_25lookback_scan_determinismE0ELb1ES3_N6thrust23THRUST_200600_302600_NS6detail15normal_iteratorINS9_10device_ptrIiEEEENSB_INSC_IjEEEESG_jNS9_4plusIvEENS9_8equal_toIvEEjEE10hipError_tPvRmT2_T3_T4_T5_mT6_T7_P12ihipStream_tbENKUlT_T0_E_clISt17integral_constantIbLb1EES10_IbLb0EEEEDaSW_SX_EUlSW_E_NS1_11comp_targetILNS1_3genE10ELNS1_11target_archE1201ELNS1_3gpuE5ELNS1_3repE0EEENS1_30default_config_static_selectorELNS0_4arch9wavefront6targetE0EEEvT1_,comdat
.Lfunc_end1518:
	.size	_ZN7rocprim17ROCPRIM_400000_NS6detail17trampoline_kernelINS0_14default_configENS1_27scan_by_key_config_selectorIijEEZZNS1_16scan_by_key_implILNS1_25lookback_scan_determinismE0ELb1ES3_N6thrust23THRUST_200600_302600_NS6detail15normal_iteratorINS9_10device_ptrIiEEEENSB_INSC_IjEEEESG_jNS9_4plusIvEENS9_8equal_toIvEEjEE10hipError_tPvRmT2_T3_T4_T5_mT6_T7_P12ihipStream_tbENKUlT_T0_E_clISt17integral_constantIbLb1EES10_IbLb0EEEEDaSW_SX_EUlSW_E_NS1_11comp_targetILNS1_3genE10ELNS1_11target_archE1201ELNS1_3gpuE5ELNS1_3repE0EEENS1_30default_config_static_selectorELNS0_4arch9wavefront6targetE0EEEvT1_, .Lfunc_end1518-_ZN7rocprim17ROCPRIM_400000_NS6detail17trampoline_kernelINS0_14default_configENS1_27scan_by_key_config_selectorIijEEZZNS1_16scan_by_key_implILNS1_25lookback_scan_determinismE0ELb1ES3_N6thrust23THRUST_200600_302600_NS6detail15normal_iteratorINS9_10device_ptrIiEEEENSB_INSC_IjEEEESG_jNS9_4plusIvEENS9_8equal_toIvEEjEE10hipError_tPvRmT2_T3_T4_T5_mT6_T7_P12ihipStream_tbENKUlT_T0_E_clISt17integral_constantIbLb1EES10_IbLb0EEEEDaSW_SX_EUlSW_E_NS1_11comp_targetILNS1_3genE10ELNS1_11target_archE1201ELNS1_3gpuE5ELNS1_3repE0EEENS1_30default_config_static_selectorELNS0_4arch9wavefront6targetE0EEEvT1_
                                        ; -- End function
	.set _ZN7rocprim17ROCPRIM_400000_NS6detail17trampoline_kernelINS0_14default_configENS1_27scan_by_key_config_selectorIijEEZZNS1_16scan_by_key_implILNS1_25lookback_scan_determinismE0ELb1ES3_N6thrust23THRUST_200600_302600_NS6detail15normal_iteratorINS9_10device_ptrIiEEEENSB_INSC_IjEEEESG_jNS9_4plusIvEENS9_8equal_toIvEEjEE10hipError_tPvRmT2_T3_T4_T5_mT6_T7_P12ihipStream_tbENKUlT_T0_E_clISt17integral_constantIbLb1EES10_IbLb0EEEEDaSW_SX_EUlSW_E_NS1_11comp_targetILNS1_3genE10ELNS1_11target_archE1201ELNS1_3gpuE5ELNS1_3repE0EEENS1_30default_config_static_selectorELNS0_4arch9wavefront6targetE0EEEvT1_.num_vgpr, 0
	.set _ZN7rocprim17ROCPRIM_400000_NS6detail17trampoline_kernelINS0_14default_configENS1_27scan_by_key_config_selectorIijEEZZNS1_16scan_by_key_implILNS1_25lookback_scan_determinismE0ELb1ES3_N6thrust23THRUST_200600_302600_NS6detail15normal_iteratorINS9_10device_ptrIiEEEENSB_INSC_IjEEEESG_jNS9_4plusIvEENS9_8equal_toIvEEjEE10hipError_tPvRmT2_T3_T4_T5_mT6_T7_P12ihipStream_tbENKUlT_T0_E_clISt17integral_constantIbLb1EES10_IbLb0EEEEDaSW_SX_EUlSW_E_NS1_11comp_targetILNS1_3genE10ELNS1_11target_archE1201ELNS1_3gpuE5ELNS1_3repE0EEENS1_30default_config_static_selectorELNS0_4arch9wavefront6targetE0EEEvT1_.num_agpr, 0
	.set _ZN7rocprim17ROCPRIM_400000_NS6detail17trampoline_kernelINS0_14default_configENS1_27scan_by_key_config_selectorIijEEZZNS1_16scan_by_key_implILNS1_25lookback_scan_determinismE0ELb1ES3_N6thrust23THRUST_200600_302600_NS6detail15normal_iteratorINS9_10device_ptrIiEEEENSB_INSC_IjEEEESG_jNS9_4plusIvEENS9_8equal_toIvEEjEE10hipError_tPvRmT2_T3_T4_T5_mT6_T7_P12ihipStream_tbENKUlT_T0_E_clISt17integral_constantIbLb1EES10_IbLb0EEEEDaSW_SX_EUlSW_E_NS1_11comp_targetILNS1_3genE10ELNS1_11target_archE1201ELNS1_3gpuE5ELNS1_3repE0EEENS1_30default_config_static_selectorELNS0_4arch9wavefront6targetE0EEEvT1_.numbered_sgpr, 0
	.set _ZN7rocprim17ROCPRIM_400000_NS6detail17trampoline_kernelINS0_14default_configENS1_27scan_by_key_config_selectorIijEEZZNS1_16scan_by_key_implILNS1_25lookback_scan_determinismE0ELb1ES3_N6thrust23THRUST_200600_302600_NS6detail15normal_iteratorINS9_10device_ptrIiEEEENSB_INSC_IjEEEESG_jNS9_4plusIvEENS9_8equal_toIvEEjEE10hipError_tPvRmT2_T3_T4_T5_mT6_T7_P12ihipStream_tbENKUlT_T0_E_clISt17integral_constantIbLb1EES10_IbLb0EEEEDaSW_SX_EUlSW_E_NS1_11comp_targetILNS1_3genE10ELNS1_11target_archE1201ELNS1_3gpuE5ELNS1_3repE0EEENS1_30default_config_static_selectorELNS0_4arch9wavefront6targetE0EEEvT1_.num_named_barrier, 0
	.set _ZN7rocprim17ROCPRIM_400000_NS6detail17trampoline_kernelINS0_14default_configENS1_27scan_by_key_config_selectorIijEEZZNS1_16scan_by_key_implILNS1_25lookback_scan_determinismE0ELb1ES3_N6thrust23THRUST_200600_302600_NS6detail15normal_iteratorINS9_10device_ptrIiEEEENSB_INSC_IjEEEESG_jNS9_4plusIvEENS9_8equal_toIvEEjEE10hipError_tPvRmT2_T3_T4_T5_mT6_T7_P12ihipStream_tbENKUlT_T0_E_clISt17integral_constantIbLb1EES10_IbLb0EEEEDaSW_SX_EUlSW_E_NS1_11comp_targetILNS1_3genE10ELNS1_11target_archE1201ELNS1_3gpuE5ELNS1_3repE0EEENS1_30default_config_static_selectorELNS0_4arch9wavefront6targetE0EEEvT1_.private_seg_size, 0
	.set _ZN7rocprim17ROCPRIM_400000_NS6detail17trampoline_kernelINS0_14default_configENS1_27scan_by_key_config_selectorIijEEZZNS1_16scan_by_key_implILNS1_25lookback_scan_determinismE0ELb1ES3_N6thrust23THRUST_200600_302600_NS6detail15normal_iteratorINS9_10device_ptrIiEEEENSB_INSC_IjEEEESG_jNS9_4plusIvEENS9_8equal_toIvEEjEE10hipError_tPvRmT2_T3_T4_T5_mT6_T7_P12ihipStream_tbENKUlT_T0_E_clISt17integral_constantIbLb1EES10_IbLb0EEEEDaSW_SX_EUlSW_E_NS1_11comp_targetILNS1_3genE10ELNS1_11target_archE1201ELNS1_3gpuE5ELNS1_3repE0EEENS1_30default_config_static_selectorELNS0_4arch9wavefront6targetE0EEEvT1_.uses_vcc, 0
	.set _ZN7rocprim17ROCPRIM_400000_NS6detail17trampoline_kernelINS0_14default_configENS1_27scan_by_key_config_selectorIijEEZZNS1_16scan_by_key_implILNS1_25lookback_scan_determinismE0ELb1ES3_N6thrust23THRUST_200600_302600_NS6detail15normal_iteratorINS9_10device_ptrIiEEEENSB_INSC_IjEEEESG_jNS9_4plusIvEENS9_8equal_toIvEEjEE10hipError_tPvRmT2_T3_T4_T5_mT6_T7_P12ihipStream_tbENKUlT_T0_E_clISt17integral_constantIbLb1EES10_IbLb0EEEEDaSW_SX_EUlSW_E_NS1_11comp_targetILNS1_3genE10ELNS1_11target_archE1201ELNS1_3gpuE5ELNS1_3repE0EEENS1_30default_config_static_selectorELNS0_4arch9wavefront6targetE0EEEvT1_.uses_flat_scratch, 0
	.set _ZN7rocprim17ROCPRIM_400000_NS6detail17trampoline_kernelINS0_14default_configENS1_27scan_by_key_config_selectorIijEEZZNS1_16scan_by_key_implILNS1_25lookback_scan_determinismE0ELb1ES3_N6thrust23THRUST_200600_302600_NS6detail15normal_iteratorINS9_10device_ptrIiEEEENSB_INSC_IjEEEESG_jNS9_4plusIvEENS9_8equal_toIvEEjEE10hipError_tPvRmT2_T3_T4_T5_mT6_T7_P12ihipStream_tbENKUlT_T0_E_clISt17integral_constantIbLb1EES10_IbLb0EEEEDaSW_SX_EUlSW_E_NS1_11comp_targetILNS1_3genE10ELNS1_11target_archE1201ELNS1_3gpuE5ELNS1_3repE0EEENS1_30default_config_static_selectorELNS0_4arch9wavefront6targetE0EEEvT1_.has_dyn_sized_stack, 0
	.set _ZN7rocprim17ROCPRIM_400000_NS6detail17trampoline_kernelINS0_14default_configENS1_27scan_by_key_config_selectorIijEEZZNS1_16scan_by_key_implILNS1_25lookback_scan_determinismE0ELb1ES3_N6thrust23THRUST_200600_302600_NS6detail15normal_iteratorINS9_10device_ptrIiEEEENSB_INSC_IjEEEESG_jNS9_4plusIvEENS9_8equal_toIvEEjEE10hipError_tPvRmT2_T3_T4_T5_mT6_T7_P12ihipStream_tbENKUlT_T0_E_clISt17integral_constantIbLb1EES10_IbLb0EEEEDaSW_SX_EUlSW_E_NS1_11comp_targetILNS1_3genE10ELNS1_11target_archE1201ELNS1_3gpuE5ELNS1_3repE0EEENS1_30default_config_static_selectorELNS0_4arch9wavefront6targetE0EEEvT1_.has_recursion, 0
	.set _ZN7rocprim17ROCPRIM_400000_NS6detail17trampoline_kernelINS0_14default_configENS1_27scan_by_key_config_selectorIijEEZZNS1_16scan_by_key_implILNS1_25lookback_scan_determinismE0ELb1ES3_N6thrust23THRUST_200600_302600_NS6detail15normal_iteratorINS9_10device_ptrIiEEEENSB_INSC_IjEEEESG_jNS9_4plusIvEENS9_8equal_toIvEEjEE10hipError_tPvRmT2_T3_T4_T5_mT6_T7_P12ihipStream_tbENKUlT_T0_E_clISt17integral_constantIbLb1EES10_IbLb0EEEEDaSW_SX_EUlSW_E_NS1_11comp_targetILNS1_3genE10ELNS1_11target_archE1201ELNS1_3gpuE5ELNS1_3repE0EEENS1_30default_config_static_selectorELNS0_4arch9wavefront6targetE0EEEvT1_.has_indirect_call, 0
	.section	.AMDGPU.csdata,"",@progbits
; Kernel info:
; codeLenInByte = 0
; TotalNumSgprs: 0
; NumVgprs: 0
; ScratchSize: 0
; MemoryBound: 0
; FloatMode: 240
; IeeeMode: 1
; LDSByteSize: 0 bytes/workgroup (compile time only)
; SGPRBlocks: 0
; VGPRBlocks: 0
; NumSGPRsForWavesPerEU: 1
; NumVGPRsForWavesPerEU: 1
; NamedBarCnt: 0
; Occupancy: 16
; WaveLimiterHint : 0
; COMPUTE_PGM_RSRC2:SCRATCH_EN: 0
; COMPUTE_PGM_RSRC2:USER_SGPR: 2
; COMPUTE_PGM_RSRC2:TRAP_HANDLER: 0
; COMPUTE_PGM_RSRC2:TGID_X_EN: 1
; COMPUTE_PGM_RSRC2:TGID_Y_EN: 0
; COMPUTE_PGM_RSRC2:TGID_Z_EN: 0
; COMPUTE_PGM_RSRC2:TIDIG_COMP_CNT: 0
	.section	.text._ZN7rocprim17ROCPRIM_400000_NS6detail17trampoline_kernelINS0_14default_configENS1_27scan_by_key_config_selectorIijEEZZNS1_16scan_by_key_implILNS1_25lookback_scan_determinismE0ELb1ES3_N6thrust23THRUST_200600_302600_NS6detail15normal_iteratorINS9_10device_ptrIiEEEENSB_INSC_IjEEEESG_jNS9_4plusIvEENS9_8equal_toIvEEjEE10hipError_tPvRmT2_T3_T4_T5_mT6_T7_P12ihipStream_tbENKUlT_T0_E_clISt17integral_constantIbLb1EES10_IbLb0EEEEDaSW_SX_EUlSW_E_NS1_11comp_targetILNS1_3genE5ELNS1_11target_archE942ELNS1_3gpuE9ELNS1_3repE0EEENS1_30default_config_static_selectorELNS0_4arch9wavefront6targetE0EEEvT1_,"axG",@progbits,_ZN7rocprim17ROCPRIM_400000_NS6detail17trampoline_kernelINS0_14default_configENS1_27scan_by_key_config_selectorIijEEZZNS1_16scan_by_key_implILNS1_25lookback_scan_determinismE0ELb1ES3_N6thrust23THRUST_200600_302600_NS6detail15normal_iteratorINS9_10device_ptrIiEEEENSB_INSC_IjEEEESG_jNS9_4plusIvEENS9_8equal_toIvEEjEE10hipError_tPvRmT2_T3_T4_T5_mT6_T7_P12ihipStream_tbENKUlT_T0_E_clISt17integral_constantIbLb1EES10_IbLb0EEEEDaSW_SX_EUlSW_E_NS1_11comp_targetILNS1_3genE5ELNS1_11target_archE942ELNS1_3gpuE9ELNS1_3repE0EEENS1_30default_config_static_selectorELNS0_4arch9wavefront6targetE0EEEvT1_,comdat
	.protected	_ZN7rocprim17ROCPRIM_400000_NS6detail17trampoline_kernelINS0_14default_configENS1_27scan_by_key_config_selectorIijEEZZNS1_16scan_by_key_implILNS1_25lookback_scan_determinismE0ELb1ES3_N6thrust23THRUST_200600_302600_NS6detail15normal_iteratorINS9_10device_ptrIiEEEENSB_INSC_IjEEEESG_jNS9_4plusIvEENS9_8equal_toIvEEjEE10hipError_tPvRmT2_T3_T4_T5_mT6_T7_P12ihipStream_tbENKUlT_T0_E_clISt17integral_constantIbLb1EES10_IbLb0EEEEDaSW_SX_EUlSW_E_NS1_11comp_targetILNS1_3genE5ELNS1_11target_archE942ELNS1_3gpuE9ELNS1_3repE0EEENS1_30default_config_static_selectorELNS0_4arch9wavefront6targetE0EEEvT1_ ; -- Begin function _ZN7rocprim17ROCPRIM_400000_NS6detail17trampoline_kernelINS0_14default_configENS1_27scan_by_key_config_selectorIijEEZZNS1_16scan_by_key_implILNS1_25lookback_scan_determinismE0ELb1ES3_N6thrust23THRUST_200600_302600_NS6detail15normal_iteratorINS9_10device_ptrIiEEEENSB_INSC_IjEEEESG_jNS9_4plusIvEENS9_8equal_toIvEEjEE10hipError_tPvRmT2_T3_T4_T5_mT6_T7_P12ihipStream_tbENKUlT_T0_E_clISt17integral_constantIbLb1EES10_IbLb0EEEEDaSW_SX_EUlSW_E_NS1_11comp_targetILNS1_3genE5ELNS1_11target_archE942ELNS1_3gpuE9ELNS1_3repE0EEENS1_30default_config_static_selectorELNS0_4arch9wavefront6targetE0EEEvT1_
	.globl	_ZN7rocprim17ROCPRIM_400000_NS6detail17trampoline_kernelINS0_14default_configENS1_27scan_by_key_config_selectorIijEEZZNS1_16scan_by_key_implILNS1_25lookback_scan_determinismE0ELb1ES3_N6thrust23THRUST_200600_302600_NS6detail15normal_iteratorINS9_10device_ptrIiEEEENSB_INSC_IjEEEESG_jNS9_4plusIvEENS9_8equal_toIvEEjEE10hipError_tPvRmT2_T3_T4_T5_mT6_T7_P12ihipStream_tbENKUlT_T0_E_clISt17integral_constantIbLb1EES10_IbLb0EEEEDaSW_SX_EUlSW_E_NS1_11comp_targetILNS1_3genE5ELNS1_11target_archE942ELNS1_3gpuE9ELNS1_3repE0EEENS1_30default_config_static_selectorELNS0_4arch9wavefront6targetE0EEEvT1_
	.p2align	8
	.type	_ZN7rocprim17ROCPRIM_400000_NS6detail17trampoline_kernelINS0_14default_configENS1_27scan_by_key_config_selectorIijEEZZNS1_16scan_by_key_implILNS1_25lookback_scan_determinismE0ELb1ES3_N6thrust23THRUST_200600_302600_NS6detail15normal_iteratorINS9_10device_ptrIiEEEENSB_INSC_IjEEEESG_jNS9_4plusIvEENS9_8equal_toIvEEjEE10hipError_tPvRmT2_T3_T4_T5_mT6_T7_P12ihipStream_tbENKUlT_T0_E_clISt17integral_constantIbLb1EES10_IbLb0EEEEDaSW_SX_EUlSW_E_NS1_11comp_targetILNS1_3genE5ELNS1_11target_archE942ELNS1_3gpuE9ELNS1_3repE0EEENS1_30default_config_static_selectorELNS0_4arch9wavefront6targetE0EEEvT1_,@function
_ZN7rocprim17ROCPRIM_400000_NS6detail17trampoline_kernelINS0_14default_configENS1_27scan_by_key_config_selectorIijEEZZNS1_16scan_by_key_implILNS1_25lookback_scan_determinismE0ELb1ES3_N6thrust23THRUST_200600_302600_NS6detail15normal_iteratorINS9_10device_ptrIiEEEENSB_INSC_IjEEEESG_jNS9_4plusIvEENS9_8equal_toIvEEjEE10hipError_tPvRmT2_T3_T4_T5_mT6_T7_P12ihipStream_tbENKUlT_T0_E_clISt17integral_constantIbLb1EES10_IbLb0EEEEDaSW_SX_EUlSW_E_NS1_11comp_targetILNS1_3genE5ELNS1_11target_archE942ELNS1_3gpuE9ELNS1_3repE0EEENS1_30default_config_static_selectorELNS0_4arch9wavefront6targetE0EEEvT1_: ; @_ZN7rocprim17ROCPRIM_400000_NS6detail17trampoline_kernelINS0_14default_configENS1_27scan_by_key_config_selectorIijEEZZNS1_16scan_by_key_implILNS1_25lookback_scan_determinismE0ELb1ES3_N6thrust23THRUST_200600_302600_NS6detail15normal_iteratorINS9_10device_ptrIiEEEENSB_INSC_IjEEEESG_jNS9_4plusIvEENS9_8equal_toIvEEjEE10hipError_tPvRmT2_T3_T4_T5_mT6_T7_P12ihipStream_tbENKUlT_T0_E_clISt17integral_constantIbLb1EES10_IbLb0EEEEDaSW_SX_EUlSW_E_NS1_11comp_targetILNS1_3genE5ELNS1_11target_archE942ELNS1_3gpuE9ELNS1_3repE0EEENS1_30default_config_static_selectorELNS0_4arch9wavefront6targetE0EEEvT1_
; %bb.0:
	.section	.rodata,"a",@progbits
	.p2align	6, 0x0
	.amdhsa_kernel _ZN7rocprim17ROCPRIM_400000_NS6detail17trampoline_kernelINS0_14default_configENS1_27scan_by_key_config_selectorIijEEZZNS1_16scan_by_key_implILNS1_25lookback_scan_determinismE0ELb1ES3_N6thrust23THRUST_200600_302600_NS6detail15normal_iteratorINS9_10device_ptrIiEEEENSB_INSC_IjEEEESG_jNS9_4plusIvEENS9_8equal_toIvEEjEE10hipError_tPvRmT2_T3_T4_T5_mT6_T7_P12ihipStream_tbENKUlT_T0_E_clISt17integral_constantIbLb1EES10_IbLb0EEEEDaSW_SX_EUlSW_E_NS1_11comp_targetILNS1_3genE5ELNS1_11target_archE942ELNS1_3gpuE9ELNS1_3repE0EEENS1_30default_config_static_selectorELNS0_4arch9wavefront6targetE0EEEvT1_
		.amdhsa_group_segment_fixed_size 0
		.amdhsa_private_segment_fixed_size 0
		.amdhsa_kernarg_size 112
		.amdhsa_user_sgpr_count 2
		.amdhsa_user_sgpr_dispatch_ptr 0
		.amdhsa_user_sgpr_queue_ptr 0
		.amdhsa_user_sgpr_kernarg_segment_ptr 1
		.amdhsa_user_sgpr_dispatch_id 0
		.amdhsa_user_sgpr_kernarg_preload_length 0
		.amdhsa_user_sgpr_kernarg_preload_offset 0
		.amdhsa_user_sgpr_private_segment_size 0
		.amdhsa_wavefront_size32 1
		.amdhsa_uses_dynamic_stack 0
		.amdhsa_enable_private_segment 0
		.amdhsa_system_sgpr_workgroup_id_x 1
		.amdhsa_system_sgpr_workgroup_id_y 0
		.amdhsa_system_sgpr_workgroup_id_z 0
		.amdhsa_system_sgpr_workgroup_info 0
		.amdhsa_system_vgpr_workitem_id 0
		.amdhsa_next_free_vgpr 1
		.amdhsa_next_free_sgpr 1
		.amdhsa_named_barrier_count 0
		.amdhsa_reserve_vcc 0
		.amdhsa_float_round_mode_32 0
		.amdhsa_float_round_mode_16_64 0
		.amdhsa_float_denorm_mode_32 3
		.amdhsa_float_denorm_mode_16_64 3
		.amdhsa_fp16_overflow 0
		.amdhsa_memory_ordered 1
		.amdhsa_forward_progress 1
		.amdhsa_inst_pref_size 0
		.amdhsa_round_robin_scheduling 0
		.amdhsa_exception_fp_ieee_invalid_op 0
		.amdhsa_exception_fp_denorm_src 0
		.amdhsa_exception_fp_ieee_div_zero 0
		.amdhsa_exception_fp_ieee_overflow 0
		.amdhsa_exception_fp_ieee_underflow 0
		.amdhsa_exception_fp_ieee_inexact 0
		.amdhsa_exception_int_div_zero 0
	.end_amdhsa_kernel
	.section	.text._ZN7rocprim17ROCPRIM_400000_NS6detail17trampoline_kernelINS0_14default_configENS1_27scan_by_key_config_selectorIijEEZZNS1_16scan_by_key_implILNS1_25lookback_scan_determinismE0ELb1ES3_N6thrust23THRUST_200600_302600_NS6detail15normal_iteratorINS9_10device_ptrIiEEEENSB_INSC_IjEEEESG_jNS9_4plusIvEENS9_8equal_toIvEEjEE10hipError_tPvRmT2_T3_T4_T5_mT6_T7_P12ihipStream_tbENKUlT_T0_E_clISt17integral_constantIbLb1EES10_IbLb0EEEEDaSW_SX_EUlSW_E_NS1_11comp_targetILNS1_3genE5ELNS1_11target_archE942ELNS1_3gpuE9ELNS1_3repE0EEENS1_30default_config_static_selectorELNS0_4arch9wavefront6targetE0EEEvT1_,"axG",@progbits,_ZN7rocprim17ROCPRIM_400000_NS6detail17trampoline_kernelINS0_14default_configENS1_27scan_by_key_config_selectorIijEEZZNS1_16scan_by_key_implILNS1_25lookback_scan_determinismE0ELb1ES3_N6thrust23THRUST_200600_302600_NS6detail15normal_iteratorINS9_10device_ptrIiEEEENSB_INSC_IjEEEESG_jNS9_4plusIvEENS9_8equal_toIvEEjEE10hipError_tPvRmT2_T3_T4_T5_mT6_T7_P12ihipStream_tbENKUlT_T0_E_clISt17integral_constantIbLb1EES10_IbLb0EEEEDaSW_SX_EUlSW_E_NS1_11comp_targetILNS1_3genE5ELNS1_11target_archE942ELNS1_3gpuE9ELNS1_3repE0EEENS1_30default_config_static_selectorELNS0_4arch9wavefront6targetE0EEEvT1_,comdat
.Lfunc_end1519:
	.size	_ZN7rocprim17ROCPRIM_400000_NS6detail17trampoline_kernelINS0_14default_configENS1_27scan_by_key_config_selectorIijEEZZNS1_16scan_by_key_implILNS1_25lookback_scan_determinismE0ELb1ES3_N6thrust23THRUST_200600_302600_NS6detail15normal_iteratorINS9_10device_ptrIiEEEENSB_INSC_IjEEEESG_jNS9_4plusIvEENS9_8equal_toIvEEjEE10hipError_tPvRmT2_T3_T4_T5_mT6_T7_P12ihipStream_tbENKUlT_T0_E_clISt17integral_constantIbLb1EES10_IbLb0EEEEDaSW_SX_EUlSW_E_NS1_11comp_targetILNS1_3genE5ELNS1_11target_archE942ELNS1_3gpuE9ELNS1_3repE0EEENS1_30default_config_static_selectorELNS0_4arch9wavefront6targetE0EEEvT1_, .Lfunc_end1519-_ZN7rocprim17ROCPRIM_400000_NS6detail17trampoline_kernelINS0_14default_configENS1_27scan_by_key_config_selectorIijEEZZNS1_16scan_by_key_implILNS1_25lookback_scan_determinismE0ELb1ES3_N6thrust23THRUST_200600_302600_NS6detail15normal_iteratorINS9_10device_ptrIiEEEENSB_INSC_IjEEEESG_jNS9_4plusIvEENS9_8equal_toIvEEjEE10hipError_tPvRmT2_T3_T4_T5_mT6_T7_P12ihipStream_tbENKUlT_T0_E_clISt17integral_constantIbLb1EES10_IbLb0EEEEDaSW_SX_EUlSW_E_NS1_11comp_targetILNS1_3genE5ELNS1_11target_archE942ELNS1_3gpuE9ELNS1_3repE0EEENS1_30default_config_static_selectorELNS0_4arch9wavefront6targetE0EEEvT1_
                                        ; -- End function
	.set _ZN7rocprim17ROCPRIM_400000_NS6detail17trampoline_kernelINS0_14default_configENS1_27scan_by_key_config_selectorIijEEZZNS1_16scan_by_key_implILNS1_25lookback_scan_determinismE0ELb1ES3_N6thrust23THRUST_200600_302600_NS6detail15normal_iteratorINS9_10device_ptrIiEEEENSB_INSC_IjEEEESG_jNS9_4plusIvEENS9_8equal_toIvEEjEE10hipError_tPvRmT2_T3_T4_T5_mT6_T7_P12ihipStream_tbENKUlT_T0_E_clISt17integral_constantIbLb1EES10_IbLb0EEEEDaSW_SX_EUlSW_E_NS1_11comp_targetILNS1_3genE5ELNS1_11target_archE942ELNS1_3gpuE9ELNS1_3repE0EEENS1_30default_config_static_selectorELNS0_4arch9wavefront6targetE0EEEvT1_.num_vgpr, 0
	.set _ZN7rocprim17ROCPRIM_400000_NS6detail17trampoline_kernelINS0_14default_configENS1_27scan_by_key_config_selectorIijEEZZNS1_16scan_by_key_implILNS1_25lookback_scan_determinismE0ELb1ES3_N6thrust23THRUST_200600_302600_NS6detail15normal_iteratorINS9_10device_ptrIiEEEENSB_INSC_IjEEEESG_jNS9_4plusIvEENS9_8equal_toIvEEjEE10hipError_tPvRmT2_T3_T4_T5_mT6_T7_P12ihipStream_tbENKUlT_T0_E_clISt17integral_constantIbLb1EES10_IbLb0EEEEDaSW_SX_EUlSW_E_NS1_11comp_targetILNS1_3genE5ELNS1_11target_archE942ELNS1_3gpuE9ELNS1_3repE0EEENS1_30default_config_static_selectorELNS0_4arch9wavefront6targetE0EEEvT1_.num_agpr, 0
	.set _ZN7rocprim17ROCPRIM_400000_NS6detail17trampoline_kernelINS0_14default_configENS1_27scan_by_key_config_selectorIijEEZZNS1_16scan_by_key_implILNS1_25lookback_scan_determinismE0ELb1ES3_N6thrust23THRUST_200600_302600_NS6detail15normal_iteratorINS9_10device_ptrIiEEEENSB_INSC_IjEEEESG_jNS9_4plusIvEENS9_8equal_toIvEEjEE10hipError_tPvRmT2_T3_T4_T5_mT6_T7_P12ihipStream_tbENKUlT_T0_E_clISt17integral_constantIbLb1EES10_IbLb0EEEEDaSW_SX_EUlSW_E_NS1_11comp_targetILNS1_3genE5ELNS1_11target_archE942ELNS1_3gpuE9ELNS1_3repE0EEENS1_30default_config_static_selectorELNS0_4arch9wavefront6targetE0EEEvT1_.numbered_sgpr, 0
	.set _ZN7rocprim17ROCPRIM_400000_NS6detail17trampoline_kernelINS0_14default_configENS1_27scan_by_key_config_selectorIijEEZZNS1_16scan_by_key_implILNS1_25lookback_scan_determinismE0ELb1ES3_N6thrust23THRUST_200600_302600_NS6detail15normal_iteratorINS9_10device_ptrIiEEEENSB_INSC_IjEEEESG_jNS9_4plusIvEENS9_8equal_toIvEEjEE10hipError_tPvRmT2_T3_T4_T5_mT6_T7_P12ihipStream_tbENKUlT_T0_E_clISt17integral_constantIbLb1EES10_IbLb0EEEEDaSW_SX_EUlSW_E_NS1_11comp_targetILNS1_3genE5ELNS1_11target_archE942ELNS1_3gpuE9ELNS1_3repE0EEENS1_30default_config_static_selectorELNS0_4arch9wavefront6targetE0EEEvT1_.num_named_barrier, 0
	.set _ZN7rocprim17ROCPRIM_400000_NS6detail17trampoline_kernelINS0_14default_configENS1_27scan_by_key_config_selectorIijEEZZNS1_16scan_by_key_implILNS1_25lookback_scan_determinismE0ELb1ES3_N6thrust23THRUST_200600_302600_NS6detail15normal_iteratorINS9_10device_ptrIiEEEENSB_INSC_IjEEEESG_jNS9_4plusIvEENS9_8equal_toIvEEjEE10hipError_tPvRmT2_T3_T4_T5_mT6_T7_P12ihipStream_tbENKUlT_T0_E_clISt17integral_constantIbLb1EES10_IbLb0EEEEDaSW_SX_EUlSW_E_NS1_11comp_targetILNS1_3genE5ELNS1_11target_archE942ELNS1_3gpuE9ELNS1_3repE0EEENS1_30default_config_static_selectorELNS0_4arch9wavefront6targetE0EEEvT1_.private_seg_size, 0
	.set _ZN7rocprim17ROCPRIM_400000_NS6detail17trampoline_kernelINS0_14default_configENS1_27scan_by_key_config_selectorIijEEZZNS1_16scan_by_key_implILNS1_25lookback_scan_determinismE0ELb1ES3_N6thrust23THRUST_200600_302600_NS6detail15normal_iteratorINS9_10device_ptrIiEEEENSB_INSC_IjEEEESG_jNS9_4plusIvEENS9_8equal_toIvEEjEE10hipError_tPvRmT2_T3_T4_T5_mT6_T7_P12ihipStream_tbENKUlT_T0_E_clISt17integral_constantIbLb1EES10_IbLb0EEEEDaSW_SX_EUlSW_E_NS1_11comp_targetILNS1_3genE5ELNS1_11target_archE942ELNS1_3gpuE9ELNS1_3repE0EEENS1_30default_config_static_selectorELNS0_4arch9wavefront6targetE0EEEvT1_.uses_vcc, 0
	.set _ZN7rocprim17ROCPRIM_400000_NS6detail17trampoline_kernelINS0_14default_configENS1_27scan_by_key_config_selectorIijEEZZNS1_16scan_by_key_implILNS1_25lookback_scan_determinismE0ELb1ES3_N6thrust23THRUST_200600_302600_NS6detail15normal_iteratorINS9_10device_ptrIiEEEENSB_INSC_IjEEEESG_jNS9_4plusIvEENS9_8equal_toIvEEjEE10hipError_tPvRmT2_T3_T4_T5_mT6_T7_P12ihipStream_tbENKUlT_T0_E_clISt17integral_constantIbLb1EES10_IbLb0EEEEDaSW_SX_EUlSW_E_NS1_11comp_targetILNS1_3genE5ELNS1_11target_archE942ELNS1_3gpuE9ELNS1_3repE0EEENS1_30default_config_static_selectorELNS0_4arch9wavefront6targetE0EEEvT1_.uses_flat_scratch, 0
	.set _ZN7rocprim17ROCPRIM_400000_NS6detail17trampoline_kernelINS0_14default_configENS1_27scan_by_key_config_selectorIijEEZZNS1_16scan_by_key_implILNS1_25lookback_scan_determinismE0ELb1ES3_N6thrust23THRUST_200600_302600_NS6detail15normal_iteratorINS9_10device_ptrIiEEEENSB_INSC_IjEEEESG_jNS9_4plusIvEENS9_8equal_toIvEEjEE10hipError_tPvRmT2_T3_T4_T5_mT6_T7_P12ihipStream_tbENKUlT_T0_E_clISt17integral_constantIbLb1EES10_IbLb0EEEEDaSW_SX_EUlSW_E_NS1_11comp_targetILNS1_3genE5ELNS1_11target_archE942ELNS1_3gpuE9ELNS1_3repE0EEENS1_30default_config_static_selectorELNS0_4arch9wavefront6targetE0EEEvT1_.has_dyn_sized_stack, 0
	.set _ZN7rocprim17ROCPRIM_400000_NS6detail17trampoline_kernelINS0_14default_configENS1_27scan_by_key_config_selectorIijEEZZNS1_16scan_by_key_implILNS1_25lookback_scan_determinismE0ELb1ES3_N6thrust23THRUST_200600_302600_NS6detail15normal_iteratorINS9_10device_ptrIiEEEENSB_INSC_IjEEEESG_jNS9_4plusIvEENS9_8equal_toIvEEjEE10hipError_tPvRmT2_T3_T4_T5_mT6_T7_P12ihipStream_tbENKUlT_T0_E_clISt17integral_constantIbLb1EES10_IbLb0EEEEDaSW_SX_EUlSW_E_NS1_11comp_targetILNS1_3genE5ELNS1_11target_archE942ELNS1_3gpuE9ELNS1_3repE0EEENS1_30default_config_static_selectorELNS0_4arch9wavefront6targetE0EEEvT1_.has_recursion, 0
	.set _ZN7rocprim17ROCPRIM_400000_NS6detail17trampoline_kernelINS0_14default_configENS1_27scan_by_key_config_selectorIijEEZZNS1_16scan_by_key_implILNS1_25lookback_scan_determinismE0ELb1ES3_N6thrust23THRUST_200600_302600_NS6detail15normal_iteratorINS9_10device_ptrIiEEEENSB_INSC_IjEEEESG_jNS9_4plusIvEENS9_8equal_toIvEEjEE10hipError_tPvRmT2_T3_T4_T5_mT6_T7_P12ihipStream_tbENKUlT_T0_E_clISt17integral_constantIbLb1EES10_IbLb0EEEEDaSW_SX_EUlSW_E_NS1_11comp_targetILNS1_3genE5ELNS1_11target_archE942ELNS1_3gpuE9ELNS1_3repE0EEENS1_30default_config_static_selectorELNS0_4arch9wavefront6targetE0EEEvT1_.has_indirect_call, 0
	.section	.AMDGPU.csdata,"",@progbits
; Kernel info:
; codeLenInByte = 0
; TotalNumSgprs: 0
; NumVgprs: 0
; ScratchSize: 0
; MemoryBound: 0
; FloatMode: 240
; IeeeMode: 1
; LDSByteSize: 0 bytes/workgroup (compile time only)
; SGPRBlocks: 0
; VGPRBlocks: 0
; NumSGPRsForWavesPerEU: 1
; NumVGPRsForWavesPerEU: 1
; NamedBarCnt: 0
; Occupancy: 16
; WaveLimiterHint : 0
; COMPUTE_PGM_RSRC2:SCRATCH_EN: 0
; COMPUTE_PGM_RSRC2:USER_SGPR: 2
; COMPUTE_PGM_RSRC2:TRAP_HANDLER: 0
; COMPUTE_PGM_RSRC2:TGID_X_EN: 1
; COMPUTE_PGM_RSRC2:TGID_Y_EN: 0
; COMPUTE_PGM_RSRC2:TGID_Z_EN: 0
; COMPUTE_PGM_RSRC2:TIDIG_COMP_CNT: 0
	.section	.text._ZN7rocprim17ROCPRIM_400000_NS6detail17trampoline_kernelINS0_14default_configENS1_27scan_by_key_config_selectorIijEEZZNS1_16scan_by_key_implILNS1_25lookback_scan_determinismE0ELb1ES3_N6thrust23THRUST_200600_302600_NS6detail15normal_iteratorINS9_10device_ptrIiEEEENSB_INSC_IjEEEESG_jNS9_4plusIvEENS9_8equal_toIvEEjEE10hipError_tPvRmT2_T3_T4_T5_mT6_T7_P12ihipStream_tbENKUlT_T0_E_clISt17integral_constantIbLb1EES10_IbLb0EEEEDaSW_SX_EUlSW_E_NS1_11comp_targetILNS1_3genE4ELNS1_11target_archE910ELNS1_3gpuE8ELNS1_3repE0EEENS1_30default_config_static_selectorELNS0_4arch9wavefront6targetE0EEEvT1_,"axG",@progbits,_ZN7rocprim17ROCPRIM_400000_NS6detail17trampoline_kernelINS0_14default_configENS1_27scan_by_key_config_selectorIijEEZZNS1_16scan_by_key_implILNS1_25lookback_scan_determinismE0ELb1ES3_N6thrust23THRUST_200600_302600_NS6detail15normal_iteratorINS9_10device_ptrIiEEEENSB_INSC_IjEEEESG_jNS9_4plusIvEENS9_8equal_toIvEEjEE10hipError_tPvRmT2_T3_T4_T5_mT6_T7_P12ihipStream_tbENKUlT_T0_E_clISt17integral_constantIbLb1EES10_IbLb0EEEEDaSW_SX_EUlSW_E_NS1_11comp_targetILNS1_3genE4ELNS1_11target_archE910ELNS1_3gpuE8ELNS1_3repE0EEENS1_30default_config_static_selectorELNS0_4arch9wavefront6targetE0EEEvT1_,comdat
	.protected	_ZN7rocprim17ROCPRIM_400000_NS6detail17trampoline_kernelINS0_14default_configENS1_27scan_by_key_config_selectorIijEEZZNS1_16scan_by_key_implILNS1_25lookback_scan_determinismE0ELb1ES3_N6thrust23THRUST_200600_302600_NS6detail15normal_iteratorINS9_10device_ptrIiEEEENSB_INSC_IjEEEESG_jNS9_4plusIvEENS9_8equal_toIvEEjEE10hipError_tPvRmT2_T3_T4_T5_mT6_T7_P12ihipStream_tbENKUlT_T0_E_clISt17integral_constantIbLb1EES10_IbLb0EEEEDaSW_SX_EUlSW_E_NS1_11comp_targetILNS1_3genE4ELNS1_11target_archE910ELNS1_3gpuE8ELNS1_3repE0EEENS1_30default_config_static_selectorELNS0_4arch9wavefront6targetE0EEEvT1_ ; -- Begin function _ZN7rocprim17ROCPRIM_400000_NS6detail17trampoline_kernelINS0_14default_configENS1_27scan_by_key_config_selectorIijEEZZNS1_16scan_by_key_implILNS1_25lookback_scan_determinismE0ELb1ES3_N6thrust23THRUST_200600_302600_NS6detail15normal_iteratorINS9_10device_ptrIiEEEENSB_INSC_IjEEEESG_jNS9_4plusIvEENS9_8equal_toIvEEjEE10hipError_tPvRmT2_T3_T4_T5_mT6_T7_P12ihipStream_tbENKUlT_T0_E_clISt17integral_constantIbLb1EES10_IbLb0EEEEDaSW_SX_EUlSW_E_NS1_11comp_targetILNS1_3genE4ELNS1_11target_archE910ELNS1_3gpuE8ELNS1_3repE0EEENS1_30default_config_static_selectorELNS0_4arch9wavefront6targetE0EEEvT1_
	.globl	_ZN7rocprim17ROCPRIM_400000_NS6detail17trampoline_kernelINS0_14default_configENS1_27scan_by_key_config_selectorIijEEZZNS1_16scan_by_key_implILNS1_25lookback_scan_determinismE0ELb1ES3_N6thrust23THRUST_200600_302600_NS6detail15normal_iteratorINS9_10device_ptrIiEEEENSB_INSC_IjEEEESG_jNS9_4plusIvEENS9_8equal_toIvEEjEE10hipError_tPvRmT2_T3_T4_T5_mT6_T7_P12ihipStream_tbENKUlT_T0_E_clISt17integral_constantIbLb1EES10_IbLb0EEEEDaSW_SX_EUlSW_E_NS1_11comp_targetILNS1_3genE4ELNS1_11target_archE910ELNS1_3gpuE8ELNS1_3repE0EEENS1_30default_config_static_selectorELNS0_4arch9wavefront6targetE0EEEvT1_
	.p2align	8
	.type	_ZN7rocprim17ROCPRIM_400000_NS6detail17trampoline_kernelINS0_14default_configENS1_27scan_by_key_config_selectorIijEEZZNS1_16scan_by_key_implILNS1_25lookback_scan_determinismE0ELb1ES3_N6thrust23THRUST_200600_302600_NS6detail15normal_iteratorINS9_10device_ptrIiEEEENSB_INSC_IjEEEESG_jNS9_4plusIvEENS9_8equal_toIvEEjEE10hipError_tPvRmT2_T3_T4_T5_mT6_T7_P12ihipStream_tbENKUlT_T0_E_clISt17integral_constantIbLb1EES10_IbLb0EEEEDaSW_SX_EUlSW_E_NS1_11comp_targetILNS1_3genE4ELNS1_11target_archE910ELNS1_3gpuE8ELNS1_3repE0EEENS1_30default_config_static_selectorELNS0_4arch9wavefront6targetE0EEEvT1_,@function
_ZN7rocprim17ROCPRIM_400000_NS6detail17trampoline_kernelINS0_14default_configENS1_27scan_by_key_config_selectorIijEEZZNS1_16scan_by_key_implILNS1_25lookback_scan_determinismE0ELb1ES3_N6thrust23THRUST_200600_302600_NS6detail15normal_iteratorINS9_10device_ptrIiEEEENSB_INSC_IjEEEESG_jNS9_4plusIvEENS9_8equal_toIvEEjEE10hipError_tPvRmT2_T3_T4_T5_mT6_T7_P12ihipStream_tbENKUlT_T0_E_clISt17integral_constantIbLb1EES10_IbLb0EEEEDaSW_SX_EUlSW_E_NS1_11comp_targetILNS1_3genE4ELNS1_11target_archE910ELNS1_3gpuE8ELNS1_3repE0EEENS1_30default_config_static_selectorELNS0_4arch9wavefront6targetE0EEEvT1_: ; @_ZN7rocprim17ROCPRIM_400000_NS6detail17trampoline_kernelINS0_14default_configENS1_27scan_by_key_config_selectorIijEEZZNS1_16scan_by_key_implILNS1_25lookback_scan_determinismE0ELb1ES3_N6thrust23THRUST_200600_302600_NS6detail15normal_iteratorINS9_10device_ptrIiEEEENSB_INSC_IjEEEESG_jNS9_4plusIvEENS9_8equal_toIvEEjEE10hipError_tPvRmT2_T3_T4_T5_mT6_T7_P12ihipStream_tbENKUlT_T0_E_clISt17integral_constantIbLb1EES10_IbLb0EEEEDaSW_SX_EUlSW_E_NS1_11comp_targetILNS1_3genE4ELNS1_11target_archE910ELNS1_3gpuE8ELNS1_3repE0EEENS1_30default_config_static_selectorELNS0_4arch9wavefront6targetE0EEEvT1_
; %bb.0:
	.section	.rodata,"a",@progbits
	.p2align	6, 0x0
	.amdhsa_kernel _ZN7rocprim17ROCPRIM_400000_NS6detail17trampoline_kernelINS0_14default_configENS1_27scan_by_key_config_selectorIijEEZZNS1_16scan_by_key_implILNS1_25lookback_scan_determinismE0ELb1ES3_N6thrust23THRUST_200600_302600_NS6detail15normal_iteratorINS9_10device_ptrIiEEEENSB_INSC_IjEEEESG_jNS9_4plusIvEENS9_8equal_toIvEEjEE10hipError_tPvRmT2_T3_T4_T5_mT6_T7_P12ihipStream_tbENKUlT_T0_E_clISt17integral_constantIbLb1EES10_IbLb0EEEEDaSW_SX_EUlSW_E_NS1_11comp_targetILNS1_3genE4ELNS1_11target_archE910ELNS1_3gpuE8ELNS1_3repE0EEENS1_30default_config_static_selectorELNS0_4arch9wavefront6targetE0EEEvT1_
		.amdhsa_group_segment_fixed_size 0
		.amdhsa_private_segment_fixed_size 0
		.amdhsa_kernarg_size 112
		.amdhsa_user_sgpr_count 2
		.amdhsa_user_sgpr_dispatch_ptr 0
		.amdhsa_user_sgpr_queue_ptr 0
		.amdhsa_user_sgpr_kernarg_segment_ptr 1
		.amdhsa_user_sgpr_dispatch_id 0
		.amdhsa_user_sgpr_kernarg_preload_length 0
		.amdhsa_user_sgpr_kernarg_preload_offset 0
		.amdhsa_user_sgpr_private_segment_size 0
		.amdhsa_wavefront_size32 1
		.amdhsa_uses_dynamic_stack 0
		.amdhsa_enable_private_segment 0
		.amdhsa_system_sgpr_workgroup_id_x 1
		.amdhsa_system_sgpr_workgroup_id_y 0
		.amdhsa_system_sgpr_workgroup_id_z 0
		.amdhsa_system_sgpr_workgroup_info 0
		.amdhsa_system_vgpr_workitem_id 0
		.amdhsa_next_free_vgpr 1
		.amdhsa_next_free_sgpr 1
		.amdhsa_named_barrier_count 0
		.amdhsa_reserve_vcc 0
		.amdhsa_float_round_mode_32 0
		.amdhsa_float_round_mode_16_64 0
		.amdhsa_float_denorm_mode_32 3
		.amdhsa_float_denorm_mode_16_64 3
		.amdhsa_fp16_overflow 0
		.amdhsa_memory_ordered 1
		.amdhsa_forward_progress 1
		.amdhsa_inst_pref_size 0
		.amdhsa_round_robin_scheduling 0
		.amdhsa_exception_fp_ieee_invalid_op 0
		.amdhsa_exception_fp_denorm_src 0
		.amdhsa_exception_fp_ieee_div_zero 0
		.amdhsa_exception_fp_ieee_overflow 0
		.amdhsa_exception_fp_ieee_underflow 0
		.amdhsa_exception_fp_ieee_inexact 0
		.amdhsa_exception_int_div_zero 0
	.end_amdhsa_kernel
	.section	.text._ZN7rocprim17ROCPRIM_400000_NS6detail17trampoline_kernelINS0_14default_configENS1_27scan_by_key_config_selectorIijEEZZNS1_16scan_by_key_implILNS1_25lookback_scan_determinismE0ELb1ES3_N6thrust23THRUST_200600_302600_NS6detail15normal_iteratorINS9_10device_ptrIiEEEENSB_INSC_IjEEEESG_jNS9_4plusIvEENS9_8equal_toIvEEjEE10hipError_tPvRmT2_T3_T4_T5_mT6_T7_P12ihipStream_tbENKUlT_T0_E_clISt17integral_constantIbLb1EES10_IbLb0EEEEDaSW_SX_EUlSW_E_NS1_11comp_targetILNS1_3genE4ELNS1_11target_archE910ELNS1_3gpuE8ELNS1_3repE0EEENS1_30default_config_static_selectorELNS0_4arch9wavefront6targetE0EEEvT1_,"axG",@progbits,_ZN7rocprim17ROCPRIM_400000_NS6detail17trampoline_kernelINS0_14default_configENS1_27scan_by_key_config_selectorIijEEZZNS1_16scan_by_key_implILNS1_25lookback_scan_determinismE0ELb1ES3_N6thrust23THRUST_200600_302600_NS6detail15normal_iteratorINS9_10device_ptrIiEEEENSB_INSC_IjEEEESG_jNS9_4plusIvEENS9_8equal_toIvEEjEE10hipError_tPvRmT2_T3_T4_T5_mT6_T7_P12ihipStream_tbENKUlT_T0_E_clISt17integral_constantIbLb1EES10_IbLb0EEEEDaSW_SX_EUlSW_E_NS1_11comp_targetILNS1_3genE4ELNS1_11target_archE910ELNS1_3gpuE8ELNS1_3repE0EEENS1_30default_config_static_selectorELNS0_4arch9wavefront6targetE0EEEvT1_,comdat
.Lfunc_end1520:
	.size	_ZN7rocprim17ROCPRIM_400000_NS6detail17trampoline_kernelINS0_14default_configENS1_27scan_by_key_config_selectorIijEEZZNS1_16scan_by_key_implILNS1_25lookback_scan_determinismE0ELb1ES3_N6thrust23THRUST_200600_302600_NS6detail15normal_iteratorINS9_10device_ptrIiEEEENSB_INSC_IjEEEESG_jNS9_4plusIvEENS9_8equal_toIvEEjEE10hipError_tPvRmT2_T3_T4_T5_mT6_T7_P12ihipStream_tbENKUlT_T0_E_clISt17integral_constantIbLb1EES10_IbLb0EEEEDaSW_SX_EUlSW_E_NS1_11comp_targetILNS1_3genE4ELNS1_11target_archE910ELNS1_3gpuE8ELNS1_3repE0EEENS1_30default_config_static_selectorELNS0_4arch9wavefront6targetE0EEEvT1_, .Lfunc_end1520-_ZN7rocprim17ROCPRIM_400000_NS6detail17trampoline_kernelINS0_14default_configENS1_27scan_by_key_config_selectorIijEEZZNS1_16scan_by_key_implILNS1_25lookback_scan_determinismE0ELb1ES3_N6thrust23THRUST_200600_302600_NS6detail15normal_iteratorINS9_10device_ptrIiEEEENSB_INSC_IjEEEESG_jNS9_4plusIvEENS9_8equal_toIvEEjEE10hipError_tPvRmT2_T3_T4_T5_mT6_T7_P12ihipStream_tbENKUlT_T0_E_clISt17integral_constantIbLb1EES10_IbLb0EEEEDaSW_SX_EUlSW_E_NS1_11comp_targetILNS1_3genE4ELNS1_11target_archE910ELNS1_3gpuE8ELNS1_3repE0EEENS1_30default_config_static_selectorELNS0_4arch9wavefront6targetE0EEEvT1_
                                        ; -- End function
	.set _ZN7rocprim17ROCPRIM_400000_NS6detail17trampoline_kernelINS0_14default_configENS1_27scan_by_key_config_selectorIijEEZZNS1_16scan_by_key_implILNS1_25lookback_scan_determinismE0ELb1ES3_N6thrust23THRUST_200600_302600_NS6detail15normal_iteratorINS9_10device_ptrIiEEEENSB_INSC_IjEEEESG_jNS9_4plusIvEENS9_8equal_toIvEEjEE10hipError_tPvRmT2_T3_T4_T5_mT6_T7_P12ihipStream_tbENKUlT_T0_E_clISt17integral_constantIbLb1EES10_IbLb0EEEEDaSW_SX_EUlSW_E_NS1_11comp_targetILNS1_3genE4ELNS1_11target_archE910ELNS1_3gpuE8ELNS1_3repE0EEENS1_30default_config_static_selectorELNS0_4arch9wavefront6targetE0EEEvT1_.num_vgpr, 0
	.set _ZN7rocprim17ROCPRIM_400000_NS6detail17trampoline_kernelINS0_14default_configENS1_27scan_by_key_config_selectorIijEEZZNS1_16scan_by_key_implILNS1_25lookback_scan_determinismE0ELb1ES3_N6thrust23THRUST_200600_302600_NS6detail15normal_iteratorINS9_10device_ptrIiEEEENSB_INSC_IjEEEESG_jNS9_4plusIvEENS9_8equal_toIvEEjEE10hipError_tPvRmT2_T3_T4_T5_mT6_T7_P12ihipStream_tbENKUlT_T0_E_clISt17integral_constantIbLb1EES10_IbLb0EEEEDaSW_SX_EUlSW_E_NS1_11comp_targetILNS1_3genE4ELNS1_11target_archE910ELNS1_3gpuE8ELNS1_3repE0EEENS1_30default_config_static_selectorELNS0_4arch9wavefront6targetE0EEEvT1_.num_agpr, 0
	.set _ZN7rocprim17ROCPRIM_400000_NS6detail17trampoline_kernelINS0_14default_configENS1_27scan_by_key_config_selectorIijEEZZNS1_16scan_by_key_implILNS1_25lookback_scan_determinismE0ELb1ES3_N6thrust23THRUST_200600_302600_NS6detail15normal_iteratorINS9_10device_ptrIiEEEENSB_INSC_IjEEEESG_jNS9_4plusIvEENS9_8equal_toIvEEjEE10hipError_tPvRmT2_T3_T4_T5_mT6_T7_P12ihipStream_tbENKUlT_T0_E_clISt17integral_constantIbLb1EES10_IbLb0EEEEDaSW_SX_EUlSW_E_NS1_11comp_targetILNS1_3genE4ELNS1_11target_archE910ELNS1_3gpuE8ELNS1_3repE0EEENS1_30default_config_static_selectorELNS0_4arch9wavefront6targetE0EEEvT1_.numbered_sgpr, 0
	.set _ZN7rocprim17ROCPRIM_400000_NS6detail17trampoline_kernelINS0_14default_configENS1_27scan_by_key_config_selectorIijEEZZNS1_16scan_by_key_implILNS1_25lookback_scan_determinismE0ELb1ES3_N6thrust23THRUST_200600_302600_NS6detail15normal_iteratorINS9_10device_ptrIiEEEENSB_INSC_IjEEEESG_jNS9_4plusIvEENS9_8equal_toIvEEjEE10hipError_tPvRmT2_T3_T4_T5_mT6_T7_P12ihipStream_tbENKUlT_T0_E_clISt17integral_constantIbLb1EES10_IbLb0EEEEDaSW_SX_EUlSW_E_NS1_11comp_targetILNS1_3genE4ELNS1_11target_archE910ELNS1_3gpuE8ELNS1_3repE0EEENS1_30default_config_static_selectorELNS0_4arch9wavefront6targetE0EEEvT1_.num_named_barrier, 0
	.set _ZN7rocprim17ROCPRIM_400000_NS6detail17trampoline_kernelINS0_14default_configENS1_27scan_by_key_config_selectorIijEEZZNS1_16scan_by_key_implILNS1_25lookback_scan_determinismE0ELb1ES3_N6thrust23THRUST_200600_302600_NS6detail15normal_iteratorINS9_10device_ptrIiEEEENSB_INSC_IjEEEESG_jNS9_4plusIvEENS9_8equal_toIvEEjEE10hipError_tPvRmT2_T3_T4_T5_mT6_T7_P12ihipStream_tbENKUlT_T0_E_clISt17integral_constantIbLb1EES10_IbLb0EEEEDaSW_SX_EUlSW_E_NS1_11comp_targetILNS1_3genE4ELNS1_11target_archE910ELNS1_3gpuE8ELNS1_3repE0EEENS1_30default_config_static_selectorELNS0_4arch9wavefront6targetE0EEEvT1_.private_seg_size, 0
	.set _ZN7rocprim17ROCPRIM_400000_NS6detail17trampoline_kernelINS0_14default_configENS1_27scan_by_key_config_selectorIijEEZZNS1_16scan_by_key_implILNS1_25lookback_scan_determinismE0ELb1ES3_N6thrust23THRUST_200600_302600_NS6detail15normal_iteratorINS9_10device_ptrIiEEEENSB_INSC_IjEEEESG_jNS9_4plusIvEENS9_8equal_toIvEEjEE10hipError_tPvRmT2_T3_T4_T5_mT6_T7_P12ihipStream_tbENKUlT_T0_E_clISt17integral_constantIbLb1EES10_IbLb0EEEEDaSW_SX_EUlSW_E_NS1_11comp_targetILNS1_3genE4ELNS1_11target_archE910ELNS1_3gpuE8ELNS1_3repE0EEENS1_30default_config_static_selectorELNS0_4arch9wavefront6targetE0EEEvT1_.uses_vcc, 0
	.set _ZN7rocprim17ROCPRIM_400000_NS6detail17trampoline_kernelINS0_14default_configENS1_27scan_by_key_config_selectorIijEEZZNS1_16scan_by_key_implILNS1_25lookback_scan_determinismE0ELb1ES3_N6thrust23THRUST_200600_302600_NS6detail15normal_iteratorINS9_10device_ptrIiEEEENSB_INSC_IjEEEESG_jNS9_4plusIvEENS9_8equal_toIvEEjEE10hipError_tPvRmT2_T3_T4_T5_mT6_T7_P12ihipStream_tbENKUlT_T0_E_clISt17integral_constantIbLb1EES10_IbLb0EEEEDaSW_SX_EUlSW_E_NS1_11comp_targetILNS1_3genE4ELNS1_11target_archE910ELNS1_3gpuE8ELNS1_3repE0EEENS1_30default_config_static_selectorELNS0_4arch9wavefront6targetE0EEEvT1_.uses_flat_scratch, 0
	.set _ZN7rocprim17ROCPRIM_400000_NS6detail17trampoline_kernelINS0_14default_configENS1_27scan_by_key_config_selectorIijEEZZNS1_16scan_by_key_implILNS1_25lookback_scan_determinismE0ELb1ES3_N6thrust23THRUST_200600_302600_NS6detail15normal_iteratorINS9_10device_ptrIiEEEENSB_INSC_IjEEEESG_jNS9_4plusIvEENS9_8equal_toIvEEjEE10hipError_tPvRmT2_T3_T4_T5_mT6_T7_P12ihipStream_tbENKUlT_T0_E_clISt17integral_constantIbLb1EES10_IbLb0EEEEDaSW_SX_EUlSW_E_NS1_11comp_targetILNS1_3genE4ELNS1_11target_archE910ELNS1_3gpuE8ELNS1_3repE0EEENS1_30default_config_static_selectorELNS0_4arch9wavefront6targetE0EEEvT1_.has_dyn_sized_stack, 0
	.set _ZN7rocprim17ROCPRIM_400000_NS6detail17trampoline_kernelINS0_14default_configENS1_27scan_by_key_config_selectorIijEEZZNS1_16scan_by_key_implILNS1_25lookback_scan_determinismE0ELb1ES3_N6thrust23THRUST_200600_302600_NS6detail15normal_iteratorINS9_10device_ptrIiEEEENSB_INSC_IjEEEESG_jNS9_4plusIvEENS9_8equal_toIvEEjEE10hipError_tPvRmT2_T3_T4_T5_mT6_T7_P12ihipStream_tbENKUlT_T0_E_clISt17integral_constantIbLb1EES10_IbLb0EEEEDaSW_SX_EUlSW_E_NS1_11comp_targetILNS1_3genE4ELNS1_11target_archE910ELNS1_3gpuE8ELNS1_3repE0EEENS1_30default_config_static_selectorELNS0_4arch9wavefront6targetE0EEEvT1_.has_recursion, 0
	.set _ZN7rocprim17ROCPRIM_400000_NS6detail17trampoline_kernelINS0_14default_configENS1_27scan_by_key_config_selectorIijEEZZNS1_16scan_by_key_implILNS1_25lookback_scan_determinismE0ELb1ES3_N6thrust23THRUST_200600_302600_NS6detail15normal_iteratorINS9_10device_ptrIiEEEENSB_INSC_IjEEEESG_jNS9_4plusIvEENS9_8equal_toIvEEjEE10hipError_tPvRmT2_T3_T4_T5_mT6_T7_P12ihipStream_tbENKUlT_T0_E_clISt17integral_constantIbLb1EES10_IbLb0EEEEDaSW_SX_EUlSW_E_NS1_11comp_targetILNS1_3genE4ELNS1_11target_archE910ELNS1_3gpuE8ELNS1_3repE0EEENS1_30default_config_static_selectorELNS0_4arch9wavefront6targetE0EEEvT1_.has_indirect_call, 0
	.section	.AMDGPU.csdata,"",@progbits
; Kernel info:
; codeLenInByte = 0
; TotalNumSgprs: 0
; NumVgprs: 0
; ScratchSize: 0
; MemoryBound: 0
; FloatMode: 240
; IeeeMode: 1
; LDSByteSize: 0 bytes/workgroup (compile time only)
; SGPRBlocks: 0
; VGPRBlocks: 0
; NumSGPRsForWavesPerEU: 1
; NumVGPRsForWavesPerEU: 1
; NamedBarCnt: 0
; Occupancy: 16
; WaveLimiterHint : 0
; COMPUTE_PGM_RSRC2:SCRATCH_EN: 0
; COMPUTE_PGM_RSRC2:USER_SGPR: 2
; COMPUTE_PGM_RSRC2:TRAP_HANDLER: 0
; COMPUTE_PGM_RSRC2:TGID_X_EN: 1
; COMPUTE_PGM_RSRC2:TGID_Y_EN: 0
; COMPUTE_PGM_RSRC2:TGID_Z_EN: 0
; COMPUTE_PGM_RSRC2:TIDIG_COMP_CNT: 0
	.section	.text._ZN7rocprim17ROCPRIM_400000_NS6detail17trampoline_kernelINS0_14default_configENS1_27scan_by_key_config_selectorIijEEZZNS1_16scan_by_key_implILNS1_25lookback_scan_determinismE0ELb1ES3_N6thrust23THRUST_200600_302600_NS6detail15normal_iteratorINS9_10device_ptrIiEEEENSB_INSC_IjEEEESG_jNS9_4plusIvEENS9_8equal_toIvEEjEE10hipError_tPvRmT2_T3_T4_T5_mT6_T7_P12ihipStream_tbENKUlT_T0_E_clISt17integral_constantIbLb1EES10_IbLb0EEEEDaSW_SX_EUlSW_E_NS1_11comp_targetILNS1_3genE3ELNS1_11target_archE908ELNS1_3gpuE7ELNS1_3repE0EEENS1_30default_config_static_selectorELNS0_4arch9wavefront6targetE0EEEvT1_,"axG",@progbits,_ZN7rocprim17ROCPRIM_400000_NS6detail17trampoline_kernelINS0_14default_configENS1_27scan_by_key_config_selectorIijEEZZNS1_16scan_by_key_implILNS1_25lookback_scan_determinismE0ELb1ES3_N6thrust23THRUST_200600_302600_NS6detail15normal_iteratorINS9_10device_ptrIiEEEENSB_INSC_IjEEEESG_jNS9_4plusIvEENS9_8equal_toIvEEjEE10hipError_tPvRmT2_T3_T4_T5_mT6_T7_P12ihipStream_tbENKUlT_T0_E_clISt17integral_constantIbLb1EES10_IbLb0EEEEDaSW_SX_EUlSW_E_NS1_11comp_targetILNS1_3genE3ELNS1_11target_archE908ELNS1_3gpuE7ELNS1_3repE0EEENS1_30default_config_static_selectorELNS0_4arch9wavefront6targetE0EEEvT1_,comdat
	.protected	_ZN7rocprim17ROCPRIM_400000_NS6detail17trampoline_kernelINS0_14default_configENS1_27scan_by_key_config_selectorIijEEZZNS1_16scan_by_key_implILNS1_25lookback_scan_determinismE0ELb1ES3_N6thrust23THRUST_200600_302600_NS6detail15normal_iteratorINS9_10device_ptrIiEEEENSB_INSC_IjEEEESG_jNS9_4plusIvEENS9_8equal_toIvEEjEE10hipError_tPvRmT2_T3_T4_T5_mT6_T7_P12ihipStream_tbENKUlT_T0_E_clISt17integral_constantIbLb1EES10_IbLb0EEEEDaSW_SX_EUlSW_E_NS1_11comp_targetILNS1_3genE3ELNS1_11target_archE908ELNS1_3gpuE7ELNS1_3repE0EEENS1_30default_config_static_selectorELNS0_4arch9wavefront6targetE0EEEvT1_ ; -- Begin function _ZN7rocprim17ROCPRIM_400000_NS6detail17trampoline_kernelINS0_14default_configENS1_27scan_by_key_config_selectorIijEEZZNS1_16scan_by_key_implILNS1_25lookback_scan_determinismE0ELb1ES3_N6thrust23THRUST_200600_302600_NS6detail15normal_iteratorINS9_10device_ptrIiEEEENSB_INSC_IjEEEESG_jNS9_4plusIvEENS9_8equal_toIvEEjEE10hipError_tPvRmT2_T3_T4_T5_mT6_T7_P12ihipStream_tbENKUlT_T0_E_clISt17integral_constantIbLb1EES10_IbLb0EEEEDaSW_SX_EUlSW_E_NS1_11comp_targetILNS1_3genE3ELNS1_11target_archE908ELNS1_3gpuE7ELNS1_3repE0EEENS1_30default_config_static_selectorELNS0_4arch9wavefront6targetE0EEEvT1_
	.globl	_ZN7rocprim17ROCPRIM_400000_NS6detail17trampoline_kernelINS0_14default_configENS1_27scan_by_key_config_selectorIijEEZZNS1_16scan_by_key_implILNS1_25lookback_scan_determinismE0ELb1ES3_N6thrust23THRUST_200600_302600_NS6detail15normal_iteratorINS9_10device_ptrIiEEEENSB_INSC_IjEEEESG_jNS9_4plusIvEENS9_8equal_toIvEEjEE10hipError_tPvRmT2_T3_T4_T5_mT6_T7_P12ihipStream_tbENKUlT_T0_E_clISt17integral_constantIbLb1EES10_IbLb0EEEEDaSW_SX_EUlSW_E_NS1_11comp_targetILNS1_3genE3ELNS1_11target_archE908ELNS1_3gpuE7ELNS1_3repE0EEENS1_30default_config_static_selectorELNS0_4arch9wavefront6targetE0EEEvT1_
	.p2align	8
	.type	_ZN7rocprim17ROCPRIM_400000_NS6detail17trampoline_kernelINS0_14default_configENS1_27scan_by_key_config_selectorIijEEZZNS1_16scan_by_key_implILNS1_25lookback_scan_determinismE0ELb1ES3_N6thrust23THRUST_200600_302600_NS6detail15normal_iteratorINS9_10device_ptrIiEEEENSB_INSC_IjEEEESG_jNS9_4plusIvEENS9_8equal_toIvEEjEE10hipError_tPvRmT2_T3_T4_T5_mT6_T7_P12ihipStream_tbENKUlT_T0_E_clISt17integral_constantIbLb1EES10_IbLb0EEEEDaSW_SX_EUlSW_E_NS1_11comp_targetILNS1_3genE3ELNS1_11target_archE908ELNS1_3gpuE7ELNS1_3repE0EEENS1_30default_config_static_selectorELNS0_4arch9wavefront6targetE0EEEvT1_,@function
_ZN7rocprim17ROCPRIM_400000_NS6detail17trampoline_kernelINS0_14default_configENS1_27scan_by_key_config_selectorIijEEZZNS1_16scan_by_key_implILNS1_25lookback_scan_determinismE0ELb1ES3_N6thrust23THRUST_200600_302600_NS6detail15normal_iteratorINS9_10device_ptrIiEEEENSB_INSC_IjEEEESG_jNS9_4plusIvEENS9_8equal_toIvEEjEE10hipError_tPvRmT2_T3_T4_T5_mT6_T7_P12ihipStream_tbENKUlT_T0_E_clISt17integral_constantIbLb1EES10_IbLb0EEEEDaSW_SX_EUlSW_E_NS1_11comp_targetILNS1_3genE3ELNS1_11target_archE908ELNS1_3gpuE7ELNS1_3repE0EEENS1_30default_config_static_selectorELNS0_4arch9wavefront6targetE0EEEvT1_: ; @_ZN7rocprim17ROCPRIM_400000_NS6detail17trampoline_kernelINS0_14default_configENS1_27scan_by_key_config_selectorIijEEZZNS1_16scan_by_key_implILNS1_25lookback_scan_determinismE0ELb1ES3_N6thrust23THRUST_200600_302600_NS6detail15normal_iteratorINS9_10device_ptrIiEEEENSB_INSC_IjEEEESG_jNS9_4plusIvEENS9_8equal_toIvEEjEE10hipError_tPvRmT2_T3_T4_T5_mT6_T7_P12ihipStream_tbENKUlT_T0_E_clISt17integral_constantIbLb1EES10_IbLb0EEEEDaSW_SX_EUlSW_E_NS1_11comp_targetILNS1_3genE3ELNS1_11target_archE908ELNS1_3gpuE7ELNS1_3repE0EEENS1_30default_config_static_selectorELNS0_4arch9wavefront6targetE0EEEvT1_
; %bb.0:
	.section	.rodata,"a",@progbits
	.p2align	6, 0x0
	.amdhsa_kernel _ZN7rocprim17ROCPRIM_400000_NS6detail17trampoline_kernelINS0_14default_configENS1_27scan_by_key_config_selectorIijEEZZNS1_16scan_by_key_implILNS1_25lookback_scan_determinismE0ELb1ES3_N6thrust23THRUST_200600_302600_NS6detail15normal_iteratorINS9_10device_ptrIiEEEENSB_INSC_IjEEEESG_jNS9_4plusIvEENS9_8equal_toIvEEjEE10hipError_tPvRmT2_T3_T4_T5_mT6_T7_P12ihipStream_tbENKUlT_T0_E_clISt17integral_constantIbLb1EES10_IbLb0EEEEDaSW_SX_EUlSW_E_NS1_11comp_targetILNS1_3genE3ELNS1_11target_archE908ELNS1_3gpuE7ELNS1_3repE0EEENS1_30default_config_static_selectorELNS0_4arch9wavefront6targetE0EEEvT1_
		.amdhsa_group_segment_fixed_size 0
		.amdhsa_private_segment_fixed_size 0
		.amdhsa_kernarg_size 112
		.amdhsa_user_sgpr_count 2
		.amdhsa_user_sgpr_dispatch_ptr 0
		.amdhsa_user_sgpr_queue_ptr 0
		.amdhsa_user_sgpr_kernarg_segment_ptr 1
		.amdhsa_user_sgpr_dispatch_id 0
		.amdhsa_user_sgpr_kernarg_preload_length 0
		.amdhsa_user_sgpr_kernarg_preload_offset 0
		.amdhsa_user_sgpr_private_segment_size 0
		.amdhsa_wavefront_size32 1
		.amdhsa_uses_dynamic_stack 0
		.amdhsa_enable_private_segment 0
		.amdhsa_system_sgpr_workgroup_id_x 1
		.amdhsa_system_sgpr_workgroup_id_y 0
		.amdhsa_system_sgpr_workgroup_id_z 0
		.amdhsa_system_sgpr_workgroup_info 0
		.amdhsa_system_vgpr_workitem_id 0
		.amdhsa_next_free_vgpr 1
		.amdhsa_next_free_sgpr 1
		.amdhsa_named_barrier_count 0
		.amdhsa_reserve_vcc 0
		.amdhsa_float_round_mode_32 0
		.amdhsa_float_round_mode_16_64 0
		.amdhsa_float_denorm_mode_32 3
		.amdhsa_float_denorm_mode_16_64 3
		.amdhsa_fp16_overflow 0
		.amdhsa_memory_ordered 1
		.amdhsa_forward_progress 1
		.amdhsa_inst_pref_size 0
		.amdhsa_round_robin_scheduling 0
		.amdhsa_exception_fp_ieee_invalid_op 0
		.amdhsa_exception_fp_denorm_src 0
		.amdhsa_exception_fp_ieee_div_zero 0
		.amdhsa_exception_fp_ieee_overflow 0
		.amdhsa_exception_fp_ieee_underflow 0
		.amdhsa_exception_fp_ieee_inexact 0
		.amdhsa_exception_int_div_zero 0
	.end_amdhsa_kernel
	.section	.text._ZN7rocprim17ROCPRIM_400000_NS6detail17trampoline_kernelINS0_14default_configENS1_27scan_by_key_config_selectorIijEEZZNS1_16scan_by_key_implILNS1_25lookback_scan_determinismE0ELb1ES3_N6thrust23THRUST_200600_302600_NS6detail15normal_iteratorINS9_10device_ptrIiEEEENSB_INSC_IjEEEESG_jNS9_4plusIvEENS9_8equal_toIvEEjEE10hipError_tPvRmT2_T3_T4_T5_mT6_T7_P12ihipStream_tbENKUlT_T0_E_clISt17integral_constantIbLb1EES10_IbLb0EEEEDaSW_SX_EUlSW_E_NS1_11comp_targetILNS1_3genE3ELNS1_11target_archE908ELNS1_3gpuE7ELNS1_3repE0EEENS1_30default_config_static_selectorELNS0_4arch9wavefront6targetE0EEEvT1_,"axG",@progbits,_ZN7rocprim17ROCPRIM_400000_NS6detail17trampoline_kernelINS0_14default_configENS1_27scan_by_key_config_selectorIijEEZZNS1_16scan_by_key_implILNS1_25lookback_scan_determinismE0ELb1ES3_N6thrust23THRUST_200600_302600_NS6detail15normal_iteratorINS9_10device_ptrIiEEEENSB_INSC_IjEEEESG_jNS9_4plusIvEENS9_8equal_toIvEEjEE10hipError_tPvRmT2_T3_T4_T5_mT6_T7_P12ihipStream_tbENKUlT_T0_E_clISt17integral_constantIbLb1EES10_IbLb0EEEEDaSW_SX_EUlSW_E_NS1_11comp_targetILNS1_3genE3ELNS1_11target_archE908ELNS1_3gpuE7ELNS1_3repE0EEENS1_30default_config_static_selectorELNS0_4arch9wavefront6targetE0EEEvT1_,comdat
.Lfunc_end1521:
	.size	_ZN7rocprim17ROCPRIM_400000_NS6detail17trampoline_kernelINS0_14default_configENS1_27scan_by_key_config_selectorIijEEZZNS1_16scan_by_key_implILNS1_25lookback_scan_determinismE0ELb1ES3_N6thrust23THRUST_200600_302600_NS6detail15normal_iteratorINS9_10device_ptrIiEEEENSB_INSC_IjEEEESG_jNS9_4plusIvEENS9_8equal_toIvEEjEE10hipError_tPvRmT2_T3_T4_T5_mT6_T7_P12ihipStream_tbENKUlT_T0_E_clISt17integral_constantIbLb1EES10_IbLb0EEEEDaSW_SX_EUlSW_E_NS1_11comp_targetILNS1_3genE3ELNS1_11target_archE908ELNS1_3gpuE7ELNS1_3repE0EEENS1_30default_config_static_selectorELNS0_4arch9wavefront6targetE0EEEvT1_, .Lfunc_end1521-_ZN7rocprim17ROCPRIM_400000_NS6detail17trampoline_kernelINS0_14default_configENS1_27scan_by_key_config_selectorIijEEZZNS1_16scan_by_key_implILNS1_25lookback_scan_determinismE0ELb1ES3_N6thrust23THRUST_200600_302600_NS6detail15normal_iteratorINS9_10device_ptrIiEEEENSB_INSC_IjEEEESG_jNS9_4plusIvEENS9_8equal_toIvEEjEE10hipError_tPvRmT2_T3_T4_T5_mT6_T7_P12ihipStream_tbENKUlT_T0_E_clISt17integral_constantIbLb1EES10_IbLb0EEEEDaSW_SX_EUlSW_E_NS1_11comp_targetILNS1_3genE3ELNS1_11target_archE908ELNS1_3gpuE7ELNS1_3repE0EEENS1_30default_config_static_selectorELNS0_4arch9wavefront6targetE0EEEvT1_
                                        ; -- End function
	.set _ZN7rocprim17ROCPRIM_400000_NS6detail17trampoline_kernelINS0_14default_configENS1_27scan_by_key_config_selectorIijEEZZNS1_16scan_by_key_implILNS1_25lookback_scan_determinismE0ELb1ES3_N6thrust23THRUST_200600_302600_NS6detail15normal_iteratorINS9_10device_ptrIiEEEENSB_INSC_IjEEEESG_jNS9_4plusIvEENS9_8equal_toIvEEjEE10hipError_tPvRmT2_T3_T4_T5_mT6_T7_P12ihipStream_tbENKUlT_T0_E_clISt17integral_constantIbLb1EES10_IbLb0EEEEDaSW_SX_EUlSW_E_NS1_11comp_targetILNS1_3genE3ELNS1_11target_archE908ELNS1_3gpuE7ELNS1_3repE0EEENS1_30default_config_static_selectorELNS0_4arch9wavefront6targetE0EEEvT1_.num_vgpr, 0
	.set _ZN7rocprim17ROCPRIM_400000_NS6detail17trampoline_kernelINS0_14default_configENS1_27scan_by_key_config_selectorIijEEZZNS1_16scan_by_key_implILNS1_25lookback_scan_determinismE0ELb1ES3_N6thrust23THRUST_200600_302600_NS6detail15normal_iteratorINS9_10device_ptrIiEEEENSB_INSC_IjEEEESG_jNS9_4plusIvEENS9_8equal_toIvEEjEE10hipError_tPvRmT2_T3_T4_T5_mT6_T7_P12ihipStream_tbENKUlT_T0_E_clISt17integral_constantIbLb1EES10_IbLb0EEEEDaSW_SX_EUlSW_E_NS1_11comp_targetILNS1_3genE3ELNS1_11target_archE908ELNS1_3gpuE7ELNS1_3repE0EEENS1_30default_config_static_selectorELNS0_4arch9wavefront6targetE0EEEvT1_.num_agpr, 0
	.set _ZN7rocprim17ROCPRIM_400000_NS6detail17trampoline_kernelINS0_14default_configENS1_27scan_by_key_config_selectorIijEEZZNS1_16scan_by_key_implILNS1_25lookback_scan_determinismE0ELb1ES3_N6thrust23THRUST_200600_302600_NS6detail15normal_iteratorINS9_10device_ptrIiEEEENSB_INSC_IjEEEESG_jNS9_4plusIvEENS9_8equal_toIvEEjEE10hipError_tPvRmT2_T3_T4_T5_mT6_T7_P12ihipStream_tbENKUlT_T0_E_clISt17integral_constantIbLb1EES10_IbLb0EEEEDaSW_SX_EUlSW_E_NS1_11comp_targetILNS1_3genE3ELNS1_11target_archE908ELNS1_3gpuE7ELNS1_3repE0EEENS1_30default_config_static_selectorELNS0_4arch9wavefront6targetE0EEEvT1_.numbered_sgpr, 0
	.set _ZN7rocprim17ROCPRIM_400000_NS6detail17trampoline_kernelINS0_14default_configENS1_27scan_by_key_config_selectorIijEEZZNS1_16scan_by_key_implILNS1_25lookback_scan_determinismE0ELb1ES3_N6thrust23THRUST_200600_302600_NS6detail15normal_iteratorINS9_10device_ptrIiEEEENSB_INSC_IjEEEESG_jNS9_4plusIvEENS9_8equal_toIvEEjEE10hipError_tPvRmT2_T3_T4_T5_mT6_T7_P12ihipStream_tbENKUlT_T0_E_clISt17integral_constantIbLb1EES10_IbLb0EEEEDaSW_SX_EUlSW_E_NS1_11comp_targetILNS1_3genE3ELNS1_11target_archE908ELNS1_3gpuE7ELNS1_3repE0EEENS1_30default_config_static_selectorELNS0_4arch9wavefront6targetE0EEEvT1_.num_named_barrier, 0
	.set _ZN7rocprim17ROCPRIM_400000_NS6detail17trampoline_kernelINS0_14default_configENS1_27scan_by_key_config_selectorIijEEZZNS1_16scan_by_key_implILNS1_25lookback_scan_determinismE0ELb1ES3_N6thrust23THRUST_200600_302600_NS6detail15normal_iteratorINS9_10device_ptrIiEEEENSB_INSC_IjEEEESG_jNS9_4plusIvEENS9_8equal_toIvEEjEE10hipError_tPvRmT2_T3_T4_T5_mT6_T7_P12ihipStream_tbENKUlT_T0_E_clISt17integral_constantIbLb1EES10_IbLb0EEEEDaSW_SX_EUlSW_E_NS1_11comp_targetILNS1_3genE3ELNS1_11target_archE908ELNS1_3gpuE7ELNS1_3repE0EEENS1_30default_config_static_selectorELNS0_4arch9wavefront6targetE0EEEvT1_.private_seg_size, 0
	.set _ZN7rocprim17ROCPRIM_400000_NS6detail17trampoline_kernelINS0_14default_configENS1_27scan_by_key_config_selectorIijEEZZNS1_16scan_by_key_implILNS1_25lookback_scan_determinismE0ELb1ES3_N6thrust23THRUST_200600_302600_NS6detail15normal_iteratorINS9_10device_ptrIiEEEENSB_INSC_IjEEEESG_jNS9_4plusIvEENS9_8equal_toIvEEjEE10hipError_tPvRmT2_T3_T4_T5_mT6_T7_P12ihipStream_tbENKUlT_T0_E_clISt17integral_constantIbLb1EES10_IbLb0EEEEDaSW_SX_EUlSW_E_NS1_11comp_targetILNS1_3genE3ELNS1_11target_archE908ELNS1_3gpuE7ELNS1_3repE0EEENS1_30default_config_static_selectorELNS0_4arch9wavefront6targetE0EEEvT1_.uses_vcc, 0
	.set _ZN7rocprim17ROCPRIM_400000_NS6detail17trampoline_kernelINS0_14default_configENS1_27scan_by_key_config_selectorIijEEZZNS1_16scan_by_key_implILNS1_25lookback_scan_determinismE0ELb1ES3_N6thrust23THRUST_200600_302600_NS6detail15normal_iteratorINS9_10device_ptrIiEEEENSB_INSC_IjEEEESG_jNS9_4plusIvEENS9_8equal_toIvEEjEE10hipError_tPvRmT2_T3_T4_T5_mT6_T7_P12ihipStream_tbENKUlT_T0_E_clISt17integral_constantIbLb1EES10_IbLb0EEEEDaSW_SX_EUlSW_E_NS1_11comp_targetILNS1_3genE3ELNS1_11target_archE908ELNS1_3gpuE7ELNS1_3repE0EEENS1_30default_config_static_selectorELNS0_4arch9wavefront6targetE0EEEvT1_.uses_flat_scratch, 0
	.set _ZN7rocprim17ROCPRIM_400000_NS6detail17trampoline_kernelINS0_14default_configENS1_27scan_by_key_config_selectorIijEEZZNS1_16scan_by_key_implILNS1_25lookback_scan_determinismE0ELb1ES3_N6thrust23THRUST_200600_302600_NS6detail15normal_iteratorINS9_10device_ptrIiEEEENSB_INSC_IjEEEESG_jNS9_4plusIvEENS9_8equal_toIvEEjEE10hipError_tPvRmT2_T3_T4_T5_mT6_T7_P12ihipStream_tbENKUlT_T0_E_clISt17integral_constantIbLb1EES10_IbLb0EEEEDaSW_SX_EUlSW_E_NS1_11comp_targetILNS1_3genE3ELNS1_11target_archE908ELNS1_3gpuE7ELNS1_3repE0EEENS1_30default_config_static_selectorELNS0_4arch9wavefront6targetE0EEEvT1_.has_dyn_sized_stack, 0
	.set _ZN7rocprim17ROCPRIM_400000_NS6detail17trampoline_kernelINS0_14default_configENS1_27scan_by_key_config_selectorIijEEZZNS1_16scan_by_key_implILNS1_25lookback_scan_determinismE0ELb1ES3_N6thrust23THRUST_200600_302600_NS6detail15normal_iteratorINS9_10device_ptrIiEEEENSB_INSC_IjEEEESG_jNS9_4plusIvEENS9_8equal_toIvEEjEE10hipError_tPvRmT2_T3_T4_T5_mT6_T7_P12ihipStream_tbENKUlT_T0_E_clISt17integral_constantIbLb1EES10_IbLb0EEEEDaSW_SX_EUlSW_E_NS1_11comp_targetILNS1_3genE3ELNS1_11target_archE908ELNS1_3gpuE7ELNS1_3repE0EEENS1_30default_config_static_selectorELNS0_4arch9wavefront6targetE0EEEvT1_.has_recursion, 0
	.set _ZN7rocprim17ROCPRIM_400000_NS6detail17trampoline_kernelINS0_14default_configENS1_27scan_by_key_config_selectorIijEEZZNS1_16scan_by_key_implILNS1_25lookback_scan_determinismE0ELb1ES3_N6thrust23THRUST_200600_302600_NS6detail15normal_iteratorINS9_10device_ptrIiEEEENSB_INSC_IjEEEESG_jNS9_4plusIvEENS9_8equal_toIvEEjEE10hipError_tPvRmT2_T3_T4_T5_mT6_T7_P12ihipStream_tbENKUlT_T0_E_clISt17integral_constantIbLb1EES10_IbLb0EEEEDaSW_SX_EUlSW_E_NS1_11comp_targetILNS1_3genE3ELNS1_11target_archE908ELNS1_3gpuE7ELNS1_3repE0EEENS1_30default_config_static_selectorELNS0_4arch9wavefront6targetE0EEEvT1_.has_indirect_call, 0
	.section	.AMDGPU.csdata,"",@progbits
; Kernel info:
; codeLenInByte = 0
; TotalNumSgprs: 0
; NumVgprs: 0
; ScratchSize: 0
; MemoryBound: 0
; FloatMode: 240
; IeeeMode: 1
; LDSByteSize: 0 bytes/workgroup (compile time only)
; SGPRBlocks: 0
; VGPRBlocks: 0
; NumSGPRsForWavesPerEU: 1
; NumVGPRsForWavesPerEU: 1
; NamedBarCnt: 0
; Occupancy: 16
; WaveLimiterHint : 0
; COMPUTE_PGM_RSRC2:SCRATCH_EN: 0
; COMPUTE_PGM_RSRC2:USER_SGPR: 2
; COMPUTE_PGM_RSRC2:TRAP_HANDLER: 0
; COMPUTE_PGM_RSRC2:TGID_X_EN: 1
; COMPUTE_PGM_RSRC2:TGID_Y_EN: 0
; COMPUTE_PGM_RSRC2:TGID_Z_EN: 0
; COMPUTE_PGM_RSRC2:TIDIG_COMP_CNT: 0
	.section	.text._ZN7rocprim17ROCPRIM_400000_NS6detail17trampoline_kernelINS0_14default_configENS1_27scan_by_key_config_selectorIijEEZZNS1_16scan_by_key_implILNS1_25lookback_scan_determinismE0ELb1ES3_N6thrust23THRUST_200600_302600_NS6detail15normal_iteratorINS9_10device_ptrIiEEEENSB_INSC_IjEEEESG_jNS9_4plusIvEENS9_8equal_toIvEEjEE10hipError_tPvRmT2_T3_T4_T5_mT6_T7_P12ihipStream_tbENKUlT_T0_E_clISt17integral_constantIbLb1EES10_IbLb0EEEEDaSW_SX_EUlSW_E_NS1_11comp_targetILNS1_3genE2ELNS1_11target_archE906ELNS1_3gpuE6ELNS1_3repE0EEENS1_30default_config_static_selectorELNS0_4arch9wavefront6targetE0EEEvT1_,"axG",@progbits,_ZN7rocprim17ROCPRIM_400000_NS6detail17trampoline_kernelINS0_14default_configENS1_27scan_by_key_config_selectorIijEEZZNS1_16scan_by_key_implILNS1_25lookback_scan_determinismE0ELb1ES3_N6thrust23THRUST_200600_302600_NS6detail15normal_iteratorINS9_10device_ptrIiEEEENSB_INSC_IjEEEESG_jNS9_4plusIvEENS9_8equal_toIvEEjEE10hipError_tPvRmT2_T3_T4_T5_mT6_T7_P12ihipStream_tbENKUlT_T0_E_clISt17integral_constantIbLb1EES10_IbLb0EEEEDaSW_SX_EUlSW_E_NS1_11comp_targetILNS1_3genE2ELNS1_11target_archE906ELNS1_3gpuE6ELNS1_3repE0EEENS1_30default_config_static_selectorELNS0_4arch9wavefront6targetE0EEEvT1_,comdat
	.protected	_ZN7rocprim17ROCPRIM_400000_NS6detail17trampoline_kernelINS0_14default_configENS1_27scan_by_key_config_selectorIijEEZZNS1_16scan_by_key_implILNS1_25lookback_scan_determinismE0ELb1ES3_N6thrust23THRUST_200600_302600_NS6detail15normal_iteratorINS9_10device_ptrIiEEEENSB_INSC_IjEEEESG_jNS9_4plusIvEENS9_8equal_toIvEEjEE10hipError_tPvRmT2_T3_T4_T5_mT6_T7_P12ihipStream_tbENKUlT_T0_E_clISt17integral_constantIbLb1EES10_IbLb0EEEEDaSW_SX_EUlSW_E_NS1_11comp_targetILNS1_3genE2ELNS1_11target_archE906ELNS1_3gpuE6ELNS1_3repE0EEENS1_30default_config_static_selectorELNS0_4arch9wavefront6targetE0EEEvT1_ ; -- Begin function _ZN7rocprim17ROCPRIM_400000_NS6detail17trampoline_kernelINS0_14default_configENS1_27scan_by_key_config_selectorIijEEZZNS1_16scan_by_key_implILNS1_25lookback_scan_determinismE0ELb1ES3_N6thrust23THRUST_200600_302600_NS6detail15normal_iteratorINS9_10device_ptrIiEEEENSB_INSC_IjEEEESG_jNS9_4plusIvEENS9_8equal_toIvEEjEE10hipError_tPvRmT2_T3_T4_T5_mT6_T7_P12ihipStream_tbENKUlT_T0_E_clISt17integral_constantIbLb1EES10_IbLb0EEEEDaSW_SX_EUlSW_E_NS1_11comp_targetILNS1_3genE2ELNS1_11target_archE906ELNS1_3gpuE6ELNS1_3repE0EEENS1_30default_config_static_selectorELNS0_4arch9wavefront6targetE0EEEvT1_
	.globl	_ZN7rocprim17ROCPRIM_400000_NS6detail17trampoline_kernelINS0_14default_configENS1_27scan_by_key_config_selectorIijEEZZNS1_16scan_by_key_implILNS1_25lookback_scan_determinismE0ELb1ES3_N6thrust23THRUST_200600_302600_NS6detail15normal_iteratorINS9_10device_ptrIiEEEENSB_INSC_IjEEEESG_jNS9_4plusIvEENS9_8equal_toIvEEjEE10hipError_tPvRmT2_T3_T4_T5_mT6_T7_P12ihipStream_tbENKUlT_T0_E_clISt17integral_constantIbLb1EES10_IbLb0EEEEDaSW_SX_EUlSW_E_NS1_11comp_targetILNS1_3genE2ELNS1_11target_archE906ELNS1_3gpuE6ELNS1_3repE0EEENS1_30default_config_static_selectorELNS0_4arch9wavefront6targetE0EEEvT1_
	.p2align	8
	.type	_ZN7rocprim17ROCPRIM_400000_NS6detail17trampoline_kernelINS0_14default_configENS1_27scan_by_key_config_selectorIijEEZZNS1_16scan_by_key_implILNS1_25lookback_scan_determinismE0ELb1ES3_N6thrust23THRUST_200600_302600_NS6detail15normal_iteratorINS9_10device_ptrIiEEEENSB_INSC_IjEEEESG_jNS9_4plusIvEENS9_8equal_toIvEEjEE10hipError_tPvRmT2_T3_T4_T5_mT6_T7_P12ihipStream_tbENKUlT_T0_E_clISt17integral_constantIbLb1EES10_IbLb0EEEEDaSW_SX_EUlSW_E_NS1_11comp_targetILNS1_3genE2ELNS1_11target_archE906ELNS1_3gpuE6ELNS1_3repE0EEENS1_30default_config_static_selectorELNS0_4arch9wavefront6targetE0EEEvT1_,@function
_ZN7rocprim17ROCPRIM_400000_NS6detail17trampoline_kernelINS0_14default_configENS1_27scan_by_key_config_selectorIijEEZZNS1_16scan_by_key_implILNS1_25lookback_scan_determinismE0ELb1ES3_N6thrust23THRUST_200600_302600_NS6detail15normal_iteratorINS9_10device_ptrIiEEEENSB_INSC_IjEEEESG_jNS9_4plusIvEENS9_8equal_toIvEEjEE10hipError_tPvRmT2_T3_T4_T5_mT6_T7_P12ihipStream_tbENKUlT_T0_E_clISt17integral_constantIbLb1EES10_IbLb0EEEEDaSW_SX_EUlSW_E_NS1_11comp_targetILNS1_3genE2ELNS1_11target_archE906ELNS1_3gpuE6ELNS1_3repE0EEENS1_30default_config_static_selectorELNS0_4arch9wavefront6targetE0EEEvT1_: ; @_ZN7rocprim17ROCPRIM_400000_NS6detail17trampoline_kernelINS0_14default_configENS1_27scan_by_key_config_selectorIijEEZZNS1_16scan_by_key_implILNS1_25lookback_scan_determinismE0ELb1ES3_N6thrust23THRUST_200600_302600_NS6detail15normal_iteratorINS9_10device_ptrIiEEEENSB_INSC_IjEEEESG_jNS9_4plusIvEENS9_8equal_toIvEEjEE10hipError_tPvRmT2_T3_T4_T5_mT6_T7_P12ihipStream_tbENKUlT_T0_E_clISt17integral_constantIbLb1EES10_IbLb0EEEEDaSW_SX_EUlSW_E_NS1_11comp_targetILNS1_3genE2ELNS1_11target_archE906ELNS1_3gpuE6ELNS1_3repE0EEENS1_30default_config_static_selectorELNS0_4arch9wavefront6targetE0EEEvT1_
; %bb.0:
	.section	.rodata,"a",@progbits
	.p2align	6, 0x0
	.amdhsa_kernel _ZN7rocprim17ROCPRIM_400000_NS6detail17trampoline_kernelINS0_14default_configENS1_27scan_by_key_config_selectorIijEEZZNS1_16scan_by_key_implILNS1_25lookback_scan_determinismE0ELb1ES3_N6thrust23THRUST_200600_302600_NS6detail15normal_iteratorINS9_10device_ptrIiEEEENSB_INSC_IjEEEESG_jNS9_4plusIvEENS9_8equal_toIvEEjEE10hipError_tPvRmT2_T3_T4_T5_mT6_T7_P12ihipStream_tbENKUlT_T0_E_clISt17integral_constantIbLb1EES10_IbLb0EEEEDaSW_SX_EUlSW_E_NS1_11comp_targetILNS1_3genE2ELNS1_11target_archE906ELNS1_3gpuE6ELNS1_3repE0EEENS1_30default_config_static_selectorELNS0_4arch9wavefront6targetE0EEEvT1_
		.amdhsa_group_segment_fixed_size 0
		.amdhsa_private_segment_fixed_size 0
		.amdhsa_kernarg_size 112
		.amdhsa_user_sgpr_count 2
		.amdhsa_user_sgpr_dispatch_ptr 0
		.amdhsa_user_sgpr_queue_ptr 0
		.amdhsa_user_sgpr_kernarg_segment_ptr 1
		.amdhsa_user_sgpr_dispatch_id 0
		.amdhsa_user_sgpr_kernarg_preload_length 0
		.amdhsa_user_sgpr_kernarg_preload_offset 0
		.amdhsa_user_sgpr_private_segment_size 0
		.amdhsa_wavefront_size32 1
		.amdhsa_uses_dynamic_stack 0
		.amdhsa_enable_private_segment 0
		.amdhsa_system_sgpr_workgroup_id_x 1
		.amdhsa_system_sgpr_workgroup_id_y 0
		.amdhsa_system_sgpr_workgroup_id_z 0
		.amdhsa_system_sgpr_workgroup_info 0
		.amdhsa_system_vgpr_workitem_id 0
		.amdhsa_next_free_vgpr 1
		.amdhsa_next_free_sgpr 1
		.amdhsa_named_barrier_count 0
		.amdhsa_reserve_vcc 0
		.amdhsa_float_round_mode_32 0
		.amdhsa_float_round_mode_16_64 0
		.amdhsa_float_denorm_mode_32 3
		.amdhsa_float_denorm_mode_16_64 3
		.amdhsa_fp16_overflow 0
		.amdhsa_memory_ordered 1
		.amdhsa_forward_progress 1
		.amdhsa_inst_pref_size 0
		.amdhsa_round_robin_scheduling 0
		.amdhsa_exception_fp_ieee_invalid_op 0
		.amdhsa_exception_fp_denorm_src 0
		.amdhsa_exception_fp_ieee_div_zero 0
		.amdhsa_exception_fp_ieee_overflow 0
		.amdhsa_exception_fp_ieee_underflow 0
		.amdhsa_exception_fp_ieee_inexact 0
		.amdhsa_exception_int_div_zero 0
	.end_amdhsa_kernel
	.section	.text._ZN7rocprim17ROCPRIM_400000_NS6detail17trampoline_kernelINS0_14default_configENS1_27scan_by_key_config_selectorIijEEZZNS1_16scan_by_key_implILNS1_25lookback_scan_determinismE0ELb1ES3_N6thrust23THRUST_200600_302600_NS6detail15normal_iteratorINS9_10device_ptrIiEEEENSB_INSC_IjEEEESG_jNS9_4plusIvEENS9_8equal_toIvEEjEE10hipError_tPvRmT2_T3_T4_T5_mT6_T7_P12ihipStream_tbENKUlT_T0_E_clISt17integral_constantIbLb1EES10_IbLb0EEEEDaSW_SX_EUlSW_E_NS1_11comp_targetILNS1_3genE2ELNS1_11target_archE906ELNS1_3gpuE6ELNS1_3repE0EEENS1_30default_config_static_selectorELNS0_4arch9wavefront6targetE0EEEvT1_,"axG",@progbits,_ZN7rocprim17ROCPRIM_400000_NS6detail17trampoline_kernelINS0_14default_configENS1_27scan_by_key_config_selectorIijEEZZNS1_16scan_by_key_implILNS1_25lookback_scan_determinismE0ELb1ES3_N6thrust23THRUST_200600_302600_NS6detail15normal_iteratorINS9_10device_ptrIiEEEENSB_INSC_IjEEEESG_jNS9_4plusIvEENS9_8equal_toIvEEjEE10hipError_tPvRmT2_T3_T4_T5_mT6_T7_P12ihipStream_tbENKUlT_T0_E_clISt17integral_constantIbLb1EES10_IbLb0EEEEDaSW_SX_EUlSW_E_NS1_11comp_targetILNS1_3genE2ELNS1_11target_archE906ELNS1_3gpuE6ELNS1_3repE0EEENS1_30default_config_static_selectorELNS0_4arch9wavefront6targetE0EEEvT1_,comdat
.Lfunc_end1522:
	.size	_ZN7rocprim17ROCPRIM_400000_NS6detail17trampoline_kernelINS0_14default_configENS1_27scan_by_key_config_selectorIijEEZZNS1_16scan_by_key_implILNS1_25lookback_scan_determinismE0ELb1ES3_N6thrust23THRUST_200600_302600_NS6detail15normal_iteratorINS9_10device_ptrIiEEEENSB_INSC_IjEEEESG_jNS9_4plusIvEENS9_8equal_toIvEEjEE10hipError_tPvRmT2_T3_T4_T5_mT6_T7_P12ihipStream_tbENKUlT_T0_E_clISt17integral_constantIbLb1EES10_IbLb0EEEEDaSW_SX_EUlSW_E_NS1_11comp_targetILNS1_3genE2ELNS1_11target_archE906ELNS1_3gpuE6ELNS1_3repE0EEENS1_30default_config_static_selectorELNS0_4arch9wavefront6targetE0EEEvT1_, .Lfunc_end1522-_ZN7rocprim17ROCPRIM_400000_NS6detail17trampoline_kernelINS0_14default_configENS1_27scan_by_key_config_selectorIijEEZZNS1_16scan_by_key_implILNS1_25lookback_scan_determinismE0ELb1ES3_N6thrust23THRUST_200600_302600_NS6detail15normal_iteratorINS9_10device_ptrIiEEEENSB_INSC_IjEEEESG_jNS9_4plusIvEENS9_8equal_toIvEEjEE10hipError_tPvRmT2_T3_T4_T5_mT6_T7_P12ihipStream_tbENKUlT_T0_E_clISt17integral_constantIbLb1EES10_IbLb0EEEEDaSW_SX_EUlSW_E_NS1_11comp_targetILNS1_3genE2ELNS1_11target_archE906ELNS1_3gpuE6ELNS1_3repE0EEENS1_30default_config_static_selectorELNS0_4arch9wavefront6targetE0EEEvT1_
                                        ; -- End function
	.set _ZN7rocprim17ROCPRIM_400000_NS6detail17trampoline_kernelINS0_14default_configENS1_27scan_by_key_config_selectorIijEEZZNS1_16scan_by_key_implILNS1_25lookback_scan_determinismE0ELb1ES3_N6thrust23THRUST_200600_302600_NS6detail15normal_iteratorINS9_10device_ptrIiEEEENSB_INSC_IjEEEESG_jNS9_4plusIvEENS9_8equal_toIvEEjEE10hipError_tPvRmT2_T3_T4_T5_mT6_T7_P12ihipStream_tbENKUlT_T0_E_clISt17integral_constantIbLb1EES10_IbLb0EEEEDaSW_SX_EUlSW_E_NS1_11comp_targetILNS1_3genE2ELNS1_11target_archE906ELNS1_3gpuE6ELNS1_3repE0EEENS1_30default_config_static_selectorELNS0_4arch9wavefront6targetE0EEEvT1_.num_vgpr, 0
	.set _ZN7rocprim17ROCPRIM_400000_NS6detail17trampoline_kernelINS0_14default_configENS1_27scan_by_key_config_selectorIijEEZZNS1_16scan_by_key_implILNS1_25lookback_scan_determinismE0ELb1ES3_N6thrust23THRUST_200600_302600_NS6detail15normal_iteratorINS9_10device_ptrIiEEEENSB_INSC_IjEEEESG_jNS9_4plusIvEENS9_8equal_toIvEEjEE10hipError_tPvRmT2_T3_T4_T5_mT6_T7_P12ihipStream_tbENKUlT_T0_E_clISt17integral_constantIbLb1EES10_IbLb0EEEEDaSW_SX_EUlSW_E_NS1_11comp_targetILNS1_3genE2ELNS1_11target_archE906ELNS1_3gpuE6ELNS1_3repE0EEENS1_30default_config_static_selectorELNS0_4arch9wavefront6targetE0EEEvT1_.num_agpr, 0
	.set _ZN7rocprim17ROCPRIM_400000_NS6detail17trampoline_kernelINS0_14default_configENS1_27scan_by_key_config_selectorIijEEZZNS1_16scan_by_key_implILNS1_25lookback_scan_determinismE0ELb1ES3_N6thrust23THRUST_200600_302600_NS6detail15normal_iteratorINS9_10device_ptrIiEEEENSB_INSC_IjEEEESG_jNS9_4plusIvEENS9_8equal_toIvEEjEE10hipError_tPvRmT2_T3_T4_T5_mT6_T7_P12ihipStream_tbENKUlT_T0_E_clISt17integral_constantIbLb1EES10_IbLb0EEEEDaSW_SX_EUlSW_E_NS1_11comp_targetILNS1_3genE2ELNS1_11target_archE906ELNS1_3gpuE6ELNS1_3repE0EEENS1_30default_config_static_selectorELNS0_4arch9wavefront6targetE0EEEvT1_.numbered_sgpr, 0
	.set _ZN7rocprim17ROCPRIM_400000_NS6detail17trampoline_kernelINS0_14default_configENS1_27scan_by_key_config_selectorIijEEZZNS1_16scan_by_key_implILNS1_25lookback_scan_determinismE0ELb1ES3_N6thrust23THRUST_200600_302600_NS6detail15normal_iteratorINS9_10device_ptrIiEEEENSB_INSC_IjEEEESG_jNS9_4plusIvEENS9_8equal_toIvEEjEE10hipError_tPvRmT2_T3_T4_T5_mT6_T7_P12ihipStream_tbENKUlT_T0_E_clISt17integral_constantIbLb1EES10_IbLb0EEEEDaSW_SX_EUlSW_E_NS1_11comp_targetILNS1_3genE2ELNS1_11target_archE906ELNS1_3gpuE6ELNS1_3repE0EEENS1_30default_config_static_selectorELNS0_4arch9wavefront6targetE0EEEvT1_.num_named_barrier, 0
	.set _ZN7rocprim17ROCPRIM_400000_NS6detail17trampoline_kernelINS0_14default_configENS1_27scan_by_key_config_selectorIijEEZZNS1_16scan_by_key_implILNS1_25lookback_scan_determinismE0ELb1ES3_N6thrust23THRUST_200600_302600_NS6detail15normal_iteratorINS9_10device_ptrIiEEEENSB_INSC_IjEEEESG_jNS9_4plusIvEENS9_8equal_toIvEEjEE10hipError_tPvRmT2_T3_T4_T5_mT6_T7_P12ihipStream_tbENKUlT_T0_E_clISt17integral_constantIbLb1EES10_IbLb0EEEEDaSW_SX_EUlSW_E_NS1_11comp_targetILNS1_3genE2ELNS1_11target_archE906ELNS1_3gpuE6ELNS1_3repE0EEENS1_30default_config_static_selectorELNS0_4arch9wavefront6targetE0EEEvT1_.private_seg_size, 0
	.set _ZN7rocprim17ROCPRIM_400000_NS6detail17trampoline_kernelINS0_14default_configENS1_27scan_by_key_config_selectorIijEEZZNS1_16scan_by_key_implILNS1_25lookback_scan_determinismE0ELb1ES3_N6thrust23THRUST_200600_302600_NS6detail15normal_iteratorINS9_10device_ptrIiEEEENSB_INSC_IjEEEESG_jNS9_4plusIvEENS9_8equal_toIvEEjEE10hipError_tPvRmT2_T3_T4_T5_mT6_T7_P12ihipStream_tbENKUlT_T0_E_clISt17integral_constantIbLb1EES10_IbLb0EEEEDaSW_SX_EUlSW_E_NS1_11comp_targetILNS1_3genE2ELNS1_11target_archE906ELNS1_3gpuE6ELNS1_3repE0EEENS1_30default_config_static_selectorELNS0_4arch9wavefront6targetE0EEEvT1_.uses_vcc, 0
	.set _ZN7rocprim17ROCPRIM_400000_NS6detail17trampoline_kernelINS0_14default_configENS1_27scan_by_key_config_selectorIijEEZZNS1_16scan_by_key_implILNS1_25lookback_scan_determinismE0ELb1ES3_N6thrust23THRUST_200600_302600_NS6detail15normal_iteratorINS9_10device_ptrIiEEEENSB_INSC_IjEEEESG_jNS9_4plusIvEENS9_8equal_toIvEEjEE10hipError_tPvRmT2_T3_T4_T5_mT6_T7_P12ihipStream_tbENKUlT_T0_E_clISt17integral_constantIbLb1EES10_IbLb0EEEEDaSW_SX_EUlSW_E_NS1_11comp_targetILNS1_3genE2ELNS1_11target_archE906ELNS1_3gpuE6ELNS1_3repE0EEENS1_30default_config_static_selectorELNS0_4arch9wavefront6targetE0EEEvT1_.uses_flat_scratch, 0
	.set _ZN7rocprim17ROCPRIM_400000_NS6detail17trampoline_kernelINS0_14default_configENS1_27scan_by_key_config_selectorIijEEZZNS1_16scan_by_key_implILNS1_25lookback_scan_determinismE0ELb1ES3_N6thrust23THRUST_200600_302600_NS6detail15normal_iteratorINS9_10device_ptrIiEEEENSB_INSC_IjEEEESG_jNS9_4plusIvEENS9_8equal_toIvEEjEE10hipError_tPvRmT2_T3_T4_T5_mT6_T7_P12ihipStream_tbENKUlT_T0_E_clISt17integral_constantIbLb1EES10_IbLb0EEEEDaSW_SX_EUlSW_E_NS1_11comp_targetILNS1_3genE2ELNS1_11target_archE906ELNS1_3gpuE6ELNS1_3repE0EEENS1_30default_config_static_selectorELNS0_4arch9wavefront6targetE0EEEvT1_.has_dyn_sized_stack, 0
	.set _ZN7rocprim17ROCPRIM_400000_NS6detail17trampoline_kernelINS0_14default_configENS1_27scan_by_key_config_selectorIijEEZZNS1_16scan_by_key_implILNS1_25lookback_scan_determinismE0ELb1ES3_N6thrust23THRUST_200600_302600_NS6detail15normal_iteratorINS9_10device_ptrIiEEEENSB_INSC_IjEEEESG_jNS9_4plusIvEENS9_8equal_toIvEEjEE10hipError_tPvRmT2_T3_T4_T5_mT6_T7_P12ihipStream_tbENKUlT_T0_E_clISt17integral_constantIbLb1EES10_IbLb0EEEEDaSW_SX_EUlSW_E_NS1_11comp_targetILNS1_3genE2ELNS1_11target_archE906ELNS1_3gpuE6ELNS1_3repE0EEENS1_30default_config_static_selectorELNS0_4arch9wavefront6targetE0EEEvT1_.has_recursion, 0
	.set _ZN7rocprim17ROCPRIM_400000_NS6detail17trampoline_kernelINS0_14default_configENS1_27scan_by_key_config_selectorIijEEZZNS1_16scan_by_key_implILNS1_25lookback_scan_determinismE0ELb1ES3_N6thrust23THRUST_200600_302600_NS6detail15normal_iteratorINS9_10device_ptrIiEEEENSB_INSC_IjEEEESG_jNS9_4plusIvEENS9_8equal_toIvEEjEE10hipError_tPvRmT2_T3_T4_T5_mT6_T7_P12ihipStream_tbENKUlT_T0_E_clISt17integral_constantIbLb1EES10_IbLb0EEEEDaSW_SX_EUlSW_E_NS1_11comp_targetILNS1_3genE2ELNS1_11target_archE906ELNS1_3gpuE6ELNS1_3repE0EEENS1_30default_config_static_selectorELNS0_4arch9wavefront6targetE0EEEvT1_.has_indirect_call, 0
	.section	.AMDGPU.csdata,"",@progbits
; Kernel info:
; codeLenInByte = 0
; TotalNumSgprs: 0
; NumVgprs: 0
; ScratchSize: 0
; MemoryBound: 0
; FloatMode: 240
; IeeeMode: 1
; LDSByteSize: 0 bytes/workgroup (compile time only)
; SGPRBlocks: 0
; VGPRBlocks: 0
; NumSGPRsForWavesPerEU: 1
; NumVGPRsForWavesPerEU: 1
; NamedBarCnt: 0
; Occupancy: 16
; WaveLimiterHint : 0
; COMPUTE_PGM_RSRC2:SCRATCH_EN: 0
; COMPUTE_PGM_RSRC2:USER_SGPR: 2
; COMPUTE_PGM_RSRC2:TRAP_HANDLER: 0
; COMPUTE_PGM_RSRC2:TGID_X_EN: 1
; COMPUTE_PGM_RSRC2:TGID_Y_EN: 0
; COMPUTE_PGM_RSRC2:TGID_Z_EN: 0
; COMPUTE_PGM_RSRC2:TIDIG_COMP_CNT: 0
	.section	.text._ZN7rocprim17ROCPRIM_400000_NS6detail17trampoline_kernelINS0_14default_configENS1_27scan_by_key_config_selectorIijEEZZNS1_16scan_by_key_implILNS1_25lookback_scan_determinismE0ELb1ES3_N6thrust23THRUST_200600_302600_NS6detail15normal_iteratorINS9_10device_ptrIiEEEENSB_INSC_IjEEEESG_jNS9_4plusIvEENS9_8equal_toIvEEjEE10hipError_tPvRmT2_T3_T4_T5_mT6_T7_P12ihipStream_tbENKUlT_T0_E_clISt17integral_constantIbLb1EES10_IbLb0EEEEDaSW_SX_EUlSW_E_NS1_11comp_targetILNS1_3genE10ELNS1_11target_archE1200ELNS1_3gpuE4ELNS1_3repE0EEENS1_30default_config_static_selectorELNS0_4arch9wavefront6targetE0EEEvT1_,"axG",@progbits,_ZN7rocprim17ROCPRIM_400000_NS6detail17trampoline_kernelINS0_14default_configENS1_27scan_by_key_config_selectorIijEEZZNS1_16scan_by_key_implILNS1_25lookback_scan_determinismE0ELb1ES3_N6thrust23THRUST_200600_302600_NS6detail15normal_iteratorINS9_10device_ptrIiEEEENSB_INSC_IjEEEESG_jNS9_4plusIvEENS9_8equal_toIvEEjEE10hipError_tPvRmT2_T3_T4_T5_mT6_T7_P12ihipStream_tbENKUlT_T0_E_clISt17integral_constantIbLb1EES10_IbLb0EEEEDaSW_SX_EUlSW_E_NS1_11comp_targetILNS1_3genE10ELNS1_11target_archE1200ELNS1_3gpuE4ELNS1_3repE0EEENS1_30default_config_static_selectorELNS0_4arch9wavefront6targetE0EEEvT1_,comdat
	.protected	_ZN7rocprim17ROCPRIM_400000_NS6detail17trampoline_kernelINS0_14default_configENS1_27scan_by_key_config_selectorIijEEZZNS1_16scan_by_key_implILNS1_25lookback_scan_determinismE0ELb1ES3_N6thrust23THRUST_200600_302600_NS6detail15normal_iteratorINS9_10device_ptrIiEEEENSB_INSC_IjEEEESG_jNS9_4plusIvEENS9_8equal_toIvEEjEE10hipError_tPvRmT2_T3_T4_T5_mT6_T7_P12ihipStream_tbENKUlT_T0_E_clISt17integral_constantIbLb1EES10_IbLb0EEEEDaSW_SX_EUlSW_E_NS1_11comp_targetILNS1_3genE10ELNS1_11target_archE1200ELNS1_3gpuE4ELNS1_3repE0EEENS1_30default_config_static_selectorELNS0_4arch9wavefront6targetE0EEEvT1_ ; -- Begin function _ZN7rocprim17ROCPRIM_400000_NS6detail17trampoline_kernelINS0_14default_configENS1_27scan_by_key_config_selectorIijEEZZNS1_16scan_by_key_implILNS1_25lookback_scan_determinismE0ELb1ES3_N6thrust23THRUST_200600_302600_NS6detail15normal_iteratorINS9_10device_ptrIiEEEENSB_INSC_IjEEEESG_jNS9_4plusIvEENS9_8equal_toIvEEjEE10hipError_tPvRmT2_T3_T4_T5_mT6_T7_P12ihipStream_tbENKUlT_T0_E_clISt17integral_constantIbLb1EES10_IbLb0EEEEDaSW_SX_EUlSW_E_NS1_11comp_targetILNS1_3genE10ELNS1_11target_archE1200ELNS1_3gpuE4ELNS1_3repE0EEENS1_30default_config_static_selectorELNS0_4arch9wavefront6targetE0EEEvT1_
	.globl	_ZN7rocprim17ROCPRIM_400000_NS6detail17trampoline_kernelINS0_14default_configENS1_27scan_by_key_config_selectorIijEEZZNS1_16scan_by_key_implILNS1_25lookback_scan_determinismE0ELb1ES3_N6thrust23THRUST_200600_302600_NS6detail15normal_iteratorINS9_10device_ptrIiEEEENSB_INSC_IjEEEESG_jNS9_4plusIvEENS9_8equal_toIvEEjEE10hipError_tPvRmT2_T3_T4_T5_mT6_T7_P12ihipStream_tbENKUlT_T0_E_clISt17integral_constantIbLb1EES10_IbLb0EEEEDaSW_SX_EUlSW_E_NS1_11comp_targetILNS1_3genE10ELNS1_11target_archE1200ELNS1_3gpuE4ELNS1_3repE0EEENS1_30default_config_static_selectorELNS0_4arch9wavefront6targetE0EEEvT1_
	.p2align	8
	.type	_ZN7rocprim17ROCPRIM_400000_NS6detail17trampoline_kernelINS0_14default_configENS1_27scan_by_key_config_selectorIijEEZZNS1_16scan_by_key_implILNS1_25lookback_scan_determinismE0ELb1ES3_N6thrust23THRUST_200600_302600_NS6detail15normal_iteratorINS9_10device_ptrIiEEEENSB_INSC_IjEEEESG_jNS9_4plusIvEENS9_8equal_toIvEEjEE10hipError_tPvRmT2_T3_T4_T5_mT6_T7_P12ihipStream_tbENKUlT_T0_E_clISt17integral_constantIbLb1EES10_IbLb0EEEEDaSW_SX_EUlSW_E_NS1_11comp_targetILNS1_3genE10ELNS1_11target_archE1200ELNS1_3gpuE4ELNS1_3repE0EEENS1_30default_config_static_selectorELNS0_4arch9wavefront6targetE0EEEvT1_,@function
_ZN7rocprim17ROCPRIM_400000_NS6detail17trampoline_kernelINS0_14default_configENS1_27scan_by_key_config_selectorIijEEZZNS1_16scan_by_key_implILNS1_25lookback_scan_determinismE0ELb1ES3_N6thrust23THRUST_200600_302600_NS6detail15normal_iteratorINS9_10device_ptrIiEEEENSB_INSC_IjEEEESG_jNS9_4plusIvEENS9_8equal_toIvEEjEE10hipError_tPvRmT2_T3_T4_T5_mT6_T7_P12ihipStream_tbENKUlT_T0_E_clISt17integral_constantIbLb1EES10_IbLb0EEEEDaSW_SX_EUlSW_E_NS1_11comp_targetILNS1_3genE10ELNS1_11target_archE1200ELNS1_3gpuE4ELNS1_3repE0EEENS1_30default_config_static_selectorELNS0_4arch9wavefront6targetE0EEEvT1_: ; @_ZN7rocprim17ROCPRIM_400000_NS6detail17trampoline_kernelINS0_14default_configENS1_27scan_by_key_config_selectorIijEEZZNS1_16scan_by_key_implILNS1_25lookback_scan_determinismE0ELb1ES3_N6thrust23THRUST_200600_302600_NS6detail15normal_iteratorINS9_10device_ptrIiEEEENSB_INSC_IjEEEESG_jNS9_4plusIvEENS9_8equal_toIvEEjEE10hipError_tPvRmT2_T3_T4_T5_mT6_T7_P12ihipStream_tbENKUlT_T0_E_clISt17integral_constantIbLb1EES10_IbLb0EEEEDaSW_SX_EUlSW_E_NS1_11comp_targetILNS1_3genE10ELNS1_11target_archE1200ELNS1_3gpuE4ELNS1_3repE0EEENS1_30default_config_static_selectorELNS0_4arch9wavefront6targetE0EEEvT1_
; %bb.0:
	.section	.rodata,"a",@progbits
	.p2align	6, 0x0
	.amdhsa_kernel _ZN7rocprim17ROCPRIM_400000_NS6detail17trampoline_kernelINS0_14default_configENS1_27scan_by_key_config_selectorIijEEZZNS1_16scan_by_key_implILNS1_25lookback_scan_determinismE0ELb1ES3_N6thrust23THRUST_200600_302600_NS6detail15normal_iteratorINS9_10device_ptrIiEEEENSB_INSC_IjEEEESG_jNS9_4plusIvEENS9_8equal_toIvEEjEE10hipError_tPvRmT2_T3_T4_T5_mT6_T7_P12ihipStream_tbENKUlT_T0_E_clISt17integral_constantIbLb1EES10_IbLb0EEEEDaSW_SX_EUlSW_E_NS1_11comp_targetILNS1_3genE10ELNS1_11target_archE1200ELNS1_3gpuE4ELNS1_3repE0EEENS1_30default_config_static_selectorELNS0_4arch9wavefront6targetE0EEEvT1_
		.amdhsa_group_segment_fixed_size 0
		.amdhsa_private_segment_fixed_size 0
		.amdhsa_kernarg_size 112
		.amdhsa_user_sgpr_count 2
		.amdhsa_user_sgpr_dispatch_ptr 0
		.amdhsa_user_sgpr_queue_ptr 0
		.amdhsa_user_sgpr_kernarg_segment_ptr 1
		.amdhsa_user_sgpr_dispatch_id 0
		.amdhsa_user_sgpr_kernarg_preload_length 0
		.amdhsa_user_sgpr_kernarg_preload_offset 0
		.amdhsa_user_sgpr_private_segment_size 0
		.amdhsa_wavefront_size32 1
		.amdhsa_uses_dynamic_stack 0
		.amdhsa_enable_private_segment 0
		.amdhsa_system_sgpr_workgroup_id_x 1
		.amdhsa_system_sgpr_workgroup_id_y 0
		.amdhsa_system_sgpr_workgroup_id_z 0
		.amdhsa_system_sgpr_workgroup_info 0
		.amdhsa_system_vgpr_workitem_id 0
		.amdhsa_next_free_vgpr 1
		.amdhsa_next_free_sgpr 1
		.amdhsa_named_barrier_count 0
		.amdhsa_reserve_vcc 0
		.amdhsa_float_round_mode_32 0
		.amdhsa_float_round_mode_16_64 0
		.amdhsa_float_denorm_mode_32 3
		.amdhsa_float_denorm_mode_16_64 3
		.amdhsa_fp16_overflow 0
		.amdhsa_memory_ordered 1
		.amdhsa_forward_progress 1
		.amdhsa_inst_pref_size 0
		.amdhsa_round_robin_scheduling 0
		.amdhsa_exception_fp_ieee_invalid_op 0
		.amdhsa_exception_fp_denorm_src 0
		.amdhsa_exception_fp_ieee_div_zero 0
		.amdhsa_exception_fp_ieee_overflow 0
		.amdhsa_exception_fp_ieee_underflow 0
		.amdhsa_exception_fp_ieee_inexact 0
		.amdhsa_exception_int_div_zero 0
	.end_amdhsa_kernel
	.section	.text._ZN7rocprim17ROCPRIM_400000_NS6detail17trampoline_kernelINS0_14default_configENS1_27scan_by_key_config_selectorIijEEZZNS1_16scan_by_key_implILNS1_25lookback_scan_determinismE0ELb1ES3_N6thrust23THRUST_200600_302600_NS6detail15normal_iteratorINS9_10device_ptrIiEEEENSB_INSC_IjEEEESG_jNS9_4plusIvEENS9_8equal_toIvEEjEE10hipError_tPvRmT2_T3_T4_T5_mT6_T7_P12ihipStream_tbENKUlT_T0_E_clISt17integral_constantIbLb1EES10_IbLb0EEEEDaSW_SX_EUlSW_E_NS1_11comp_targetILNS1_3genE10ELNS1_11target_archE1200ELNS1_3gpuE4ELNS1_3repE0EEENS1_30default_config_static_selectorELNS0_4arch9wavefront6targetE0EEEvT1_,"axG",@progbits,_ZN7rocprim17ROCPRIM_400000_NS6detail17trampoline_kernelINS0_14default_configENS1_27scan_by_key_config_selectorIijEEZZNS1_16scan_by_key_implILNS1_25lookback_scan_determinismE0ELb1ES3_N6thrust23THRUST_200600_302600_NS6detail15normal_iteratorINS9_10device_ptrIiEEEENSB_INSC_IjEEEESG_jNS9_4plusIvEENS9_8equal_toIvEEjEE10hipError_tPvRmT2_T3_T4_T5_mT6_T7_P12ihipStream_tbENKUlT_T0_E_clISt17integral_constantIbLb1EES10_IbLb0EEEEDaSW_SX_EUlSW_E_NS1_11comp_targetILNS1_3genE10ELNS1_11target_archE1200ELNS1_3gpuE4ELNS1_3repE0EEENS1_30default_config_static_selectorELNS0_4arch9wavefront6targetE0EEEvT1_,comdat
.Lfunc_end1523:
	.size	_ZN7rocprim17ROCPRIM_400000_NS6detail17trampoline_kernelINS0_14default_configENS1_27scan_by_key_config_selectorIijEEZZNS1_16scan_by_key_implILNS1_25lookback_scan_determinismE0ELb1ES3_N6thrust23THRUST_200600_302600_NS6detail15normal_iteratorINS9_10device_ptrIiEEEENSB_INSC_IjEEEESG_jNS9_4plusIvEENS9_8equal_toIvEEjEE10hipError_tPvRmT2_T3_T4_T5_mT6_T7_P12ihipStream_tbENKUlT_T0_E_clISt17integral_constantIbLb1EES10_IbLb0EEEEDaSW_SX_EUlSW_E_NS1_11comp_targetILNS1_3genE10ELNS1_11target_archE1200ELNS1_3gpuE4ELNS1_3repE0EEENS1_30default_config_static_selectorELNS0_4arch9wavefront6targetE0EEEvT1_, .Lfunc_end1523-_ZN7rocprim17ROCPRIM_400000_NS6detail17trampoline_kernelINS0_14default_configENS1_27scan_by_key_config_selectorIijEEZZNS1_16scan_by_key_implILNS1_25lookback_scan_determinismE0ELb1ES3_N6thrust23THRUST_200600_302600_NS6detail15normal_iteratorINS9_10device_ptrIiEEEENSB_INSC_IjEEEESG_jNS9_4plusIvEENS9_8equal_toIvEEjEE10hipError_tPvRmT2_T3_T4_T5_mT6_T7_P12ihipStream_tbENKUlT_T0_E_clISt17integral_constantIbLb1EES10_IbLb0EEEEDaSW_SX_EUlSW_E_NS1_11comp_targetILNS1_3genE10ELNS1_11target_archE1200ELNS1_3gpuE4ELNS1_3repE0EEENS1_30default_config_static_selectorELNS0_4arch9wavefront6targetE0EEEvT1_
                                        ; -- End function
	.set _ZN7rocprim17ROCPRIM_400000_NS6detail17trampoline_kernelINS0_14default_configENS1_27scan_by_key_config_selectorIijEEZZNS1_16scan_by_key_implILNS1_25lookback_scan_determinismE0ELb1ES3_N6thrust23THRUST_200600_302600_NS6detail15normal_iteratorINS9_10device_ptrIiEEEENSB_INSC_IjEEEESG_jNS9_4plusIvEENS9_8equal_toIvEEjEE10hipError_tPvRmT2_T3_T4_T5_mT6_T7_P12ihipStream_tbENKUlT_T0_E_clISt17integral_constantIbLb1EES10_IbLb0EEEEDaSW_SX_EUlSW_E_NS1_11comp_targetILNS1_3genE10ELNS1_11target_archE1200ELNS1_3gpuE4ELNS1_3repE0EEENS1_30default_config_static_selectorELNS0_4arch9wavefront6targetE0EEEvT1_.num_vgpr, 0
	.set _ZN7rocprim17ROCPRIM_400000_NS6detail17trampoline_kernelINS0_14default_configENS1_27scan_by_key_config_selectorIijEEZZNS1_16scan_by_key_implILNS1_25lookback_scan_determinismE0ELb1ES3_N6thrust23THRUST_200600_302600_NS6detail15normal_iteratorINS9_10device_ptrIiEEEENSB_INSC_IjEEEESG_jNS9_4plusIvEENS9_8equal_toIvEEjEE10hipError_tPvRmT2_T3_T4_T5_mT6_T7_P12ihipStream_tbENKUlT_T0_E_clISt17integral_constantIbLb1EES10_IbLb0EEEEDaSW_SX_EUlSW_E_NS1_11comp_targetILNS1_3genE10ELNS1_11target_archE1200ELNS1_3gpuE4ELNS1_3repE0EEENS1_30default_config_static_selectorELNS0_4arch9wavefront6targetE0EEEvT1_.num_agpr, 0
	.set _ZN7rocprim17ROCPRIM_400000_NS6detail17trampoline_kernelINS0_14default_configENS1_27scan_by_key_config_selectorIijEEZZNS1_16scan_by_key_implILNS1_25lookback_scan_determinismE0ELb1ES3_N6thrust23THRUST_200600_302600_NS6detail15normal_iteratorINS9_10device_ptrIiEEEENSB_INSC_IjEEEESG_jNS9_4plusIvEENS9_8equal_toIvEEjEE10hipError_tPvRmT2_T3_T4_T5_mT6_T7_P12ihipStream_tbENKUlT_T0_E_clISt17integral_constantIbLb1EES10_IbLb0EEEEDaSW_SX_EUlSW_E_NS1_11comp_targetILNS1_3genE10ELNS1_11target_archE1200ELNS1_3gpuE4ELNS1_3repE0EEENS1_30default_config_static_selectorELNS0_4arch9wavefront6targetE0EEEvT1_.numbered_sgpr, 0
	.set _ZN7rocprim17ROCPRIM_400000_NS6detail17trampoline_kernelINS0_14default_configENS1_27scan_by_key_config_selectorIijEEZZNS1_16scan_by_key_implILNS1_25lookback_scan_determinismE0ELb1ES3_N6thrust23THRUST_200600_302600_NS6detail15normal_iteratorINS9_10device_ptrIiEEEENSB_INSC_IjEEEESG_jNS9_4plusIvEENS9_8equal_toIvEEjEE10hipError_tPvRmT2_T3_T4_T5_mT6_T7_P12ihipStream_tbENKUlT_T0_E_clISt17integral_constantIbLb1EES10_IbLb0EEEEDaSW_SX_EUlSW_E_NS1_11comp_targetILNS1_3genE10ELNS1_11target_archE1200ELNS1_3gpuE4ELNS1_3repE0EEENS1_30default_config_static_selectorELNS0_4arch9wavefront6targetE0EEEvT1_.num_named_barrier, 0
	.set _ZN7rocprim17ROCPRIM_400000_NS6detail17trampoline_kernelINS0_14default_configENS1_27scan_by_key_config_selectorIijEEZZNS1_16scan_by_key_implILNS1_25lookback_scan_determinismE0ELb1ES3_N6thrust23THRUST_200600_302600_NS6detail15normal_iteratorINS9_10device_ptrIiEEEENSB_INSC_IjEEEESG_jNS9_4plusIvEENS9_8equal_toIvEEjEE10hipError_tPvRmT2_T3_T4_T5_mT6_T7_P12ihipStream_tbENKUlT_T0_E_clISt17integral_constantIbLb1EES10_IbLb0EEEEDaSW_SX_EUlSW_E_NS1_11comp_targetILNS1_3genE10ELNS1_11target_archE1200ELNS1_3gpuE4ELNS1_3repE0EEENS1_30default_config_static_selectorELNS0_4arch9wavefront6targetE0EEEvT1_.private_seg_size, 0
	.set _ZN7rocprim17ROCPRIM_400000_NS6detail17trampoline_kernelINS0_14default_configENS1_27scan_by_key_config_selectorIijEEZZNS1_16scan_by_key_implILNS1_25lookback_scan_determinismE0ELb1ES3_N6thrust23THRUST_200600_302600_NS6detail15normal_iteratorINS9_10device_ptrIiEEEENSB_INSC_IjEEEESG_jNS9_4plusIvEENS9_8equal_toIvEEjEE10hipError_tPvRmT2_T3_T4_T5_mT6_T7_P12ihipStream_tbENKUlT_T0_E_clISt17integral_constantIbLb1EES10_IbLb0EEEEDaSW_SX_EUlSW_E_NS1_11comp_targetILNS1_3genE10ELNS1_11target_archE1200ELNS1_3gpuE4ELNS1_3repE0EEENS1_30default_config_static_selectorELNS0_4arch9wavefront6targetE0EEEvT1_.uses_vcc, 0
	.set _ZN7rocprim17ROCPRIM_400000_NS6detail17trampoline_kernelINS0_14default_configENS1_27scan_by_key_config_selectorIijEEZZNS1_16scan_by_key_implILNS1_25lookback_scan_determinismE0ELb1ES3_N6thrust23THRUST_200600_302600_NS6detail15normal_iteratorINS9_10device_ptrIiEEEENSB_INSC_IjEEEESG_jNS9_4plusIvEENS9_8equal_toIvEEjEE10hipError_tPvRmT2_T3_T4_T5_mT6_T7_P12ihipStream_tbENKUlT_T0_E_clISt17integral_constantIbLb1EES10_IbLb0EEEEDaSW_SX_EUlSW_E_NS1_11comp_targetILNS1_3genE10ELNS1_11target_archE1200ELNS1_3gpuE4ELNS1_3repE0EEENS1_30default_config_static_selectorELNS0_4arch9wavefront6targetE0EEEvT1_.uses_flat_scratch, 0
	.set _ZN7rocprim17ROCPRIM_400000_NS6detail17trampoline_kernelINS0_14default_configENS1_27scan_by_key_config_selectorIijEEZZNS1_16scan_by_key_implILNS1_25lookback_scan_determinismE0ELb1ES3_N6thrust23THRUST_200600_302600_NS6detail15normal_iteratorINS9_10device_ptrIiEEEENSB_INSC_IjEEEESG_jNS9_4plusIvEENS9_8equal_toIvEEjEE10hipError_tPvRmT2_T3_T4_T5_mT6_T7_P12ihipStream_tbENKUlT_T0_E_clISt17integral_constantIbLb1EES10_IbLb0EEEEDaSW_SX_EUlSW_E_NS1_11comp_targetILNS1_3genE10ELNS1_11target_archE1200ELNS1_3gpuE4ELNS1_3repE0EEENS1_30default_config_static_selectorELNS0_4arch9wavefront6targetE0EEEvT1_.has_dyn_sized_stack, 0
	.set _ZN7rocprim17ROCPRIM_400000_NS6detail17trampoline_kernelINS0_14default_configENS1_27scan_by_key_config_selectorIijEEZZNS1_16scan_by_key_implILNS1_25lookback_scan_determinismE0ELb1ES3_N6thrust23THRUST_200600_302600_NS6detail15normal_iteratorINS9_10device_ptrIiEEEENSB_INSC_IjEEEESG_jNS9_4plusIvEENS9_8equal_toIvEEjEE10hipError_tPvRmT2_T3_T4_T5_mT6_T7_P12ihipStream_tbENKUlT_T0_E_clISt17integral_constantIbLb1EES10_IbLb0EEEEDaSW_SX_EUlSW_E_NS1_11comp_targetILNS1_3genE10ELNS1_11target_archE1200ELNS1_3gpuE4ELNS1_3repE0EEENS1_30default_config_static_selectorELNS0_4arch9wavefront6targetE0EEEvT1_.has_recursion, 0
	.set _ZN7rocprim17ROCPRIM_400000_NS6detail17trampoline_kernelINS0_14default_configENS1_27scan_by_key_config_selectorIijEEZZNS1_16scan_by_key_implILNS1_25lookback_scan_determinismE0ELb1ES3_N6thrust23THRUST_200600_302600_NS6detail15normal_iteratorINS9_10device_ptrIiEEEENSB_INSC_IjEEEESG_jNS9_4plusIvEENS9_8equal_toIvEEjEE10hipError_tPvRmT2_T3_T4_T5_mT6_T7_P12ihipStream_tbENKUlT_T0_E_clISt17integral_constantIbLb1EES10_IbLb0EEEEDaSW_SX_EUlSW_E_NS1_11comp_targetILNS1_3genE10ELNS1_11target_archE1200ELNS1_3gpuE4ELNS1_3repE0EEENS1_30default_config_static_selectorELNS0_4arch9wavefront6targetE0EEEvT1_.has_indirect_call, 0
	.section	.AMDGPU.csdata,"",@progbits
; Kernel info:
; codeLenInByte = 0
; TotalNumSgprs: 0
; NumVgprs: 0
; ScratchSize: 0
; MemoryBound: 0
; FloatMode: 240
; IeeeMode: 1
; LDSByteSize: 0 bytes/workgroup (compile time only)
; SGPRBlocks: 0
; VGPRBlocks: 0
; NumSGPRsForWavesPerEU: 1
; NumVGPRsForWavesPerEU: 1
; NamedBarCnt: 0
; Occupancy: 16
; WaveLimiterHint : 0
; COMPUTE_PGM_RSRC2:SCRATCH_EN: 0
; COMPUTE_PGM_RSRC2:USER_SGPR: 2
; COMPUTE_PGM_RSRC2:TRAP_HANDLER: 0
; COMPUTE_PGM_RSRC2:TGID_X_EN: 1
; COMPUTE_PGM_RSRC2:TGID_Y_EN: 0
; COMPUTE_PGM_RSRC2:TGID_Z_EN: 0
; COMPUTE_PGM_RSRC2:TIDIG_COMP_CNT: 0
	.section	.text._ZN7rocprim17ROCPRIM_400000_NS6detail17trampoline_kernelINS0_14default_configENS1_27scan_by_key_config_selectorIijEEZZNS1_16scan_by_key_implILNS1_25lookback_scan_determinismE0ELb1ES3_N6thrust23THRUST_200600_302600_NS6detail15normal_iteratorINS9_10device_ptrIiEEEENSB_INSC_IjEEEESG_jNS9_4plusIvEENS9_8equal_toIvEEjEE10hipError_tPvRmT2_T3_T4_T5_mT6_T7_P12ihipStream_tbENKUlT_T0_E_clISt17integral_constantIbLb1EES10_IbLb0EEEEDaSW_SX_EUlSW_E_NS1_11comp_targetILNS1_3genE9ELNS1_11target_archE1100ELNS1_3gpuE3ELNS1_3repE0EEENS1_30default_config_static_selectorELNS0_4arch9wavefront6targetE0EEEvT1_,"axG",@progbits,_ZN7rocprim17ROCPRIM_400000_NS6detail17trampoline_kernelINS0_14default_configENS1_27scan_by_key_config_selectorIijEEZZNS1_16scan_by_key_implILNS1_25lookback_scan_determinismE0ELb1ES3_N6thrust23THRUST_200600_302600_NS6detail15normal_iteratorINS9_10device_ptrIiEEEENSB_INSC_IjEEEESG_jNS9_4plusIvEENS9_8equal_toIvEEjEE10hipError_tPvRmT2_T3_T4_T5_mT6_T7_P12ihipStream_tbENKUlT_T0_E_clISt17integral_constantIbLb1EES10_IbLb0EEEEDaSW_SX_EUlSW_E_NS1_11comp_targetILNS1_3genE9ELNS1_11target_archE1100ELNS1_3gpuE3ELNS1_3repE0EEENS1_30default_config_static_selectorELNS0_4arch9wavefront6targetE0EEEvT1_,comdat
	.protected	_ZN7rocprim17ROCPRIM_400000_NS6detail17trampoline_kernelINS0_14default_configENS1_27scan_by_key_config_selectorIijEEZZNS1_16scan_by_key_implILNS1_25lookback_scan_determinismE0ELb1ES3_N6thrust23THRUST_200600_302600_NS6detail15normal_iteratorINS9_10device_ptrIiEEEENSB_INSC_IjEEEESG_jNS9_4plusIvEENS9_8equal_toIvEEjEE10hipError_tPvRmT2_T3_T4_T5_mT6_T7_P12ihipStream_tbENKUlT_T0_E_clISt17integral_constantIbLb1EES10_IbLb0EEEEDaSW_SX_EUlSW_E_NS1_11comp_targetILNS1_3genE9ELNS1_11target_archE1100ELNS1_3gpuE3ELNS1_3repE0EEENS1_30default_config_static_selectorELNS0_4arch9wavefront6targetE0EEEvT1_ ; -- Begin function _ZN7rocprim17ROCPRIM_400000_NS6detail17trampoline_kernelINS0_14default_configENS1_27scan_by_key_config_selectorIijEEZZNS1_16scan_by_key_implILNS1_25lookback_scan_determinismE0ELb1ES3_N6thrust23THRUST_200600_302600_NS6detail15normal_iteratorINS9_10device_ptrIiEEEENSB_INSC_IjEEEESG_jNS9_4plusIvEENS9_8equal_toIvEEjEE10hipError_tPvRmT2_T3_T4_T5_mT6_T7_P12ihipStream_tbENKUlT_T0_E_clISt17integral_constantIbLb1EES10_IbLb0EEEEDaSW_SX_EUlSW_E_NS1_11comp_targetILNS1_3genE9ELNS1_11target_archE1100ELNS1_3gpuE3ELNS1_3repE0EEENS1_30default_config_static_selectorELNS0_4arch9wavefront6targetE0EEEvT1_
	.globl	_ZN7rocprim17ROCPRIM_400000_NS6detail17trampoline_kernelINS0_14default_configENS1_27scan_by_key_config_selectorIijEEZZNS1_16scan_by_key_implILNS1_25lookback_scan_determinismE0ELb1ES3_N6thrust23THRUST_200600_302600_NS6detail15normal_iteratorINS9_10device_ptrIiEEEENSB_INSC_IjEEEESG_jNS9_4plusIvEENS9_8equal_toIvEEjEE10hipError_tPvRmT2_T3_T4_T5_mT6_T7_P12ihipStream_tbENKUlT_T0_E_clISt17integral_constantIbLb1EES10_IbLb0EEEEDaSW_SX_EUlSW_E_NS1_11comp_targetILNS1_3genE9ELNS1_11target_archE1100ELNS1_3gpuE3ELNS1_3repE0EEENS1_30default_config_static_selectorELNS0_4arch9wavefront6targetE0EEEvT1_
	.p2align	8
	.type	_ZN7rocprim17ROCPRIM_400000_NS6detail17trampoline_kernelINS0_14default_configENS1_27scan_by_key_config_selectorIijEEZZNS1_16scan_by_key_implILNS1_25lookback_scan_determinismE0ELb1ES3_N6thrust23THRUST_200600_302600_NS6detail15normal_iteratorINS9_10device_ptrIiEEEENSB_INSC_IjEEEESG_jNS9_4plusIvEENS9_8equal_toIvEEjEE10hipError_tPvRmT2_T3_T4_T5_mT6_T7_P12ihipStream_tbENKUlT_T0_E_clISt17integral_constantIbLb1EES10_IbLb0EEEEDaSW_SX_EUlSW_E_NS1_11comp_targetILNS1_3genE9ELNS1_11target_archE1100ELNS1_3gpuE3ELNS1_3repE0EEENS1_30default_config_static_selectorELNS0_4arch9wavefront6targetE0EEEvT1_,@function
_ZN7rocprim17ROCPRIM_400000_NS6detail17trampoline_kernelINS0_14default_configENS1_27scan_by_key_config_selectorIijEEZZNS1_16scan_by_key_implILNS1_25lookback_scan_determinismE0ELb1ES3_N6thrust23THRUST_200600_302600_NS6detail15normal_iteratorINS9_10device_ptrIiEEEENSB_INSC_IjEEEESG_jNS9_4plusIvEENS9_8equal_toIvEEjEE10hipError_tPvRmT2_T3_T4_T5_mT6_T7_P12ihipStream_tbENKUlT_T0_E_clISt17integral_constantIbLb1EES10_IbLb0EEEEDaSW_SX_EUlSW_E_NS1_11comp_targetILNS1_3genE9ELNS1_11target_archE1100ELNS1_3gpuE3ELNS1_3repE0EEENS1_30default_config_static_selectorELNS0_4arch9wavefront6targetE0EEEvT1_: ; @_ZN7rocprim17ROCPRIM_400000_NS6detail17trampoline_kernelINS0_14default_configENS1_27scan_by_key_config_selectorIijEEZZNS1_16scan_by_key_implILNS1_25lookback_scan_determinismE0ELb1ES3_N6thrust23THRUST_200600_302600_NS6detail15normal_iteratorINS9_10device_ptrIiEEEENSB_INSC_IjEEEESG_jNS9_4plusIvEENS9_8equal_toIvEEjEE10hipError_tPvRmT2_T3_T4_T5_mT6_T7_P12ihipStream_tbENKUlT_T0_E_clISt17integral_constantIbLb1EES10_IbLb0EEEEDaSW_SX_EUlSW_E_NS1_11comp_targetILNS1_3genE9ELNS1_11target_archE1100ELNS1_3gpuE3ELNS1_3repE0EEENS1_30default_config_static_selectorELNS0_4arch9wavefront6targetE0EEEvT1_
; %bb.0:
	.section	.rodata,"a",@progbits
	.p2align	6, 0x0
	.amdhsa_kernel _ZN7rocprim17ROCPRIM_400000_NS6detail17trampoline_kernelINS0_14default_configENS1_27scan_by_key_config_selectorIijEEZZNS1_16scan_by_key_implILNS1_25lookback_scan_determinismE0ELb1ES3_N6thrust23THRUST_200600_302600_NS6detail15normal_iteratorINS9_10device_ptrIiEEEENSB_INSC_IjEEEESG_jNS9_4plusIvEENS9_8equal_toIvEEjEE10hipError_tPvRmT2_T3_T4_T5_mT6_T7_P12ihipStream_tbENKUlT_T0_E_clISt17integral_constantIbLb1EES10_IbLb0EEEEDaSW_SX_EUlSW_E_NS1_11comp_targetILNS1_3genE9ELNS1_11target_archE1100ELNS1_3gpuE3ELNS1_3repE0EEENS1_30default_config_static_selectorELNS0_4arch9wavefront6targetE0EEEvT1_
		.amdhsa_group_segment_fixed_size 0
		.amdhsa_private_segment_fixed_size 0
		.amdhsa_kernarg_size 112
		.amdhsa_user_sgpr_count 2
		.amdhsa_user_sgpr_dispatch_ptr 0
		.amdhsa_user_sgpr_queue_ptr 0
		.amdhsa_user_sgpr_kernarg_segment_ptr 1
		.amdhsa_user_sgpr_dispatch_id 0
		.amdhsa_user_sgpr_kernarg_preload_length 0
		.amdhsa_user_sgpr_kernarg_preload_offset 0
		.amdhsa_user_sgpr_private_segment_size 0
		.amdhsa_wavefront_size32 1
		.amdhsa_uses_dynamic_stack 0
		.amdhsa_enable_private_segment 0
		.amdhsa_system_sgpr_workgroup_id_x 1
		.amdhsa_system_sgpr_workgroup_id_y 0
		.amdhsa_system_sgpr_workgroup_id_z 0
		.amdhsa_system_sgpr_workgroup_info 0
		.amdhsa_system_vgpr_workitem_id 0
		.amdhsa_next_free_vgpr 1
		.amdhsa_next_free_sgpr 1
		.amdhsa_named_barrier_count 0
		.amdhsa_reserve_vcc 0
		.amdhsa_float_round_mode_32 0
		.amdhsa_float_round_mode_16_64 0
		.amdhsa_float_denorm_mode_32 3
		.amdhsa_float_denorm_mode_16_64 3
		.amdhsa_fp16_overflow 0
		.amdhsa_memory_ordered 1
		.amdhsa_forward_progress 1
		.amdhsa_inst_pref_size 0
		.amdhsa_round_robin_scheduling 0
		.amdhsa_exception_fp_ieee_invalid_op 0
		.amdhsa_exception_fp_denorm_src 0
		.amdhsa_exception_fp_ieee_div_zero 0
		.amdhsa_exception_fp_ieee_overflow 0
		.amdhsa_exception_fp_ieee_underflow 0
		.amdhsa_exception_fp_ieee_inexact 0
		.amdhsa_exception_int_div_zero 0
	.end_amdhsa_kernel
	.section	.text._ZN7rocprim17ROCPRIM_400000_NS6detail17trampoline_kernelINS0_14default_configENS1_27scan_by_key_config_selectorIijEEZZNS1_16scan_by_key_implILNS1_25lookback_scan_determinismE0ELb1ES3_N6thrust23THRUST_200600_302600_NS6detail15normal_iteratorINS9_10device_ptrIiEEEENSB_INSC_IjEEEESG_jNS9_4plusIvEENS9_8equal_toIvEEjEE10hipError_tPvRmT2_T3_T4_T5_mT6_T7_P12ihipStream_tbENKUlT_T0_E_clISt17integral_constantIbLb1EES10_IbLb0EEEEDaSW_SX_EUlSW_E_NS1_11comp_targetILNS1_3genE9ELNS1_11target_archE1100ELNS1_3gpuE3ELNS1_3repE0EEENS1_30default_config_static_selectorELNS0_4arch9wavefront6targetE0EEEvT1_,"axG",@progbits,_ZN7rocprim17ROCPRIM_400000_NS6detail17trampoline_kernelINS0_14default_configENS1_27scan_by_key_config_selectorIijEEZZNS1_16scan_by_key_implILNS1_25lookback_scan_determinismE0ELb1ES3_N6thrust23THRUST_200600_302600_NS6detail15normal_iteratorINS9_10device_ptrIiEEEENSB_INSC_IjEEEESG_jNS9_4plusIvEENS9_8equal_toIvEEjEE10hipError_tPvRmT2_T3_T4_T5_mT6_T7_P12ihipStream_tbENKUlT_T0_E_clISt17integral_constantIbLb1EES10_IbLb0EEEEDaSW_SX_EUlSW_E_NS1_11comp_targetILNS1_3genE9ELNS1_11target_archE1100ELNS1_3gpuE3ELNS1_3repE0EEENS1_30default_config_static_selectorELNS0_4arch9wavefront6targetE0EEEvT1_,comdat
.Lfunc_end1524:
	.size	_ZN7rocprim17ROCPRIM_400000_NS6detail17trampoline_kernelINS0_14default_configENS1_27scan_by_key_config_selectorIijEEZZNS1_16scan_by_key_implILNS1_25lookback_scan_determinismE0ELb1ES3_N6thrust23THRUST_200600_302600_NS6detail15normal_iteratorINS9_10device_ptrIiEEEENSB_INSC_IjEEEESG_jNS9_4plusIvEENS9_8equal_toIvEEjEE10hipError_tPvRmT2_T3_T4_T5_mT6_T7_P12ihipStream_tbENKUlT_T0_E_clISt17integral_constantIbLb1EES10_IbLb0EEEEDaSW_SX_EUlSW_E_NS1_11comp_targetILNS1_3genE9ELNS1_11target_archE1100ELNS1_3gpuE3ELNS1_3repE0EEENS1_30default_config_static_selectorELNS0_4arch9wavefront6targetE0EEEvT1_, .Lfunc_end1524-_ZN7rocprim17ROCPRIM_400000_NS6detail17trampoline_kernelINS0_14default_configENS1_27scan_by_key_config_selectorIijEEZZNS1_16scan_by_key_implILNS1_25lookback_scan_determinismE0ELb1ES3_N6thrust23THRUST_200600_302600_NS6detail15normal_iteratorINS9_10device_ptrIiEEEENSB_INSC_IjEEEESG_jNS9_4plusIvEENS9_8equal_toIvEEjEE10hipError_tPvRmT2_T3_T4_T5_mT6_T7_P12ihipStream_tbENKUlT_T0_E_clISt17integral_constantIbLb1EES10_IbLb0EEEEDaSW_SX_EUlSW_E_NS1_11comp_targetILNS1_3genE9ELNS1_11target_archE1100ELNS1_3gpuE3ELNS1_3repE0EEENS1_30default_config_static_selectorELNS0_4arch9wavefront6targetE0EEEvT1_
                                        ; -- End function
	.set _ZN7rocprim17ROCPRIM_400000_NS6detail17trampoline_kernelINS0_14default_configENS1_27scan_by_key_config_selectorIijEEZZNS1_16scan_by_key_implILNS1_25lookback_scan_determinismE0ELb1ES3_N6thrust23THRUST_200600_302600_NS6detail15normal_iteratorINS9_10device_ptrIiEEEENSB_INSC_IjEEEESG_jNS9_4plusIvEENS9_8equal_toIvEEjEE10hipError_tPvRmT2_T3_T4_T5_mT6_T7_P12ihipStream_tbENKUlT_T0_E_clISt17integral_constantIbLb1EES10_IbLb0EEEEDaSW_SX_EUlSW_E_NS1_11comp_targetILNS1_3genE9ELNS1_11target_archE1100ELNS1_3gpuE3ELNS1_3repE0EEENS1_30default_config_static_selectorELNS0_4arch9wavefront6targetE0EEEvT1_.num_vgpr, 0
	.set _ZN7rocprim17ROCPRIM_400000_NS6detail17trampoline_kernelINS0_14default_configENS1_27scan_by_key_config_selectorIijEEZZNS1_16scan_by_key_implILNS1_25lookback_scan_determinismE0ELb1ES3_N6thrust23THRUST_200600_302600_NS6detail15normal_iteratorINS9_10device_ptrIiEEEENSB_INSC_IjEEEESG_jNS9_4plusIvEENS9_8equal_toIvEEjEE10hipError_tPvRmT2_T3_T4_T5_mT6_T7_P12ihipStream_tbENKUlT_T0_E_clISt17integral_constantIbLb1EES10_IbLb0EEEEDaSW_SX_EUlSW_E_NS1_11comp_targetILNS1_3genE9ELNS1_11target_archE1100ELNS1_3gpuE3ELNS1_3repE0EEENS1_30default_config_static_selectorELNS0_4arch9wavefront6targetE0EEEvT1_.num_agpr, 0
	.set _ZN7rocprim17ROCPRIM_400000_NS6detail17trampoline_kernelINS0_14default_configENS1_27scan_by_key_config_selectorIijEEZZNS1_16scan_by_key_implILNS1_25lookback_scan_determinismE0ELb1ES3_N6thrust23THRUST_200600_302600_NS6detail15normal_iteratorINS9_10device_ptrIiEEEENSB_INSC_IjEEEESG_jNS9_4plusIvEENS9_8equal_toIvEEjEE10hipError_tPvRmT2_T3_T4_T5_mT6_T7_P12ihipStream_tbENKUlT_T0_E_clISt17integral_constantIbLb1EES10_IbLb0EEEEDaSW_SX_EUlSW_E_NS1_11comp_targetILNS1_3genE9ELNS1_11target_archE1100ELNS1_3gpuE3ELNS1_3repE0EEENS1_30default_config_static_selectorELNS0_4arch9wavefront6targetE0EEEvT1_.numbered_sgpr, 0
	.set _ZN7rocprim17ROCPRIM_400000_NS6detail17trampoline_kernelINS0_14default_configENS1_27scan_by_key_config_selectorIijEEZZNS1_16scan_by_key_implILNS1_25lookback_scan_determinismE0ELb1ES3_N6thrust23THRUST_200600_302600_NS6detail15normal_iteratorINS9_10device_ptrIiEEEENSB_INSC_IjEEEESG_jNS9_4plusIvEENS9_8equal_toIvEEjEE10hipError_tPvRmT2_T3_T4_T5_mT6_T7_P12ihipStream_tbENKUlT_T0_E_clISt17integral_constantIbLb1EES10_IbLb0EEEEDaSW_SX_EUlSW_E_NS1_11comp_targetILNS1_3genE9ELNS1_11target_archE1100ELNS1_3gpuE3ELNS1_3repE0EEENS1_30default_config_static_selectorELNS0_4arch9wavefront6targetE0EEEvT1_.num_named_barrier, 0
	.set _ZN7rocprim17ROCPRIM_400000_NS6detail17trampoline_kernelINS0_14default_configENS1_27scan_by_key_config_selectorIijEEZZNS1_16scan_by_key_implILNS1_25lookback_scan_determinismE0ELb1ES3_N6thrust23THRUST_200600_302600_NS6detail15normal_iteratorINS9_10device_ptrIiEEEENSB_INSC_IjEEEESG_jNS9_4plusIvEENS9_8equal_toIvEEjEE10hipError_tPvRmT2_T3_T4_T5_mT6_T7_P12ihipStream_tbENKUlT_T0_E_clISt17integral_constantIbLb1EES10_IbLb0EEEEDaSW_SX_EUlSW_E_NS1_11comp_targetILNS1_3genE9ELNS1_11target_archE1100ELNS1_3gpuE3ELNS1_3repE0EEENS1_30default_config_static_selectorELNS0_4arch9wavefront6targetE0EEEvT1_.private_seg_size, 0
	.set _ZN7rocprim17ROCPRIM_400000_NS6detail17trampoline_kernelINS0_14default_configENS1_27scan_by_key_config_selectorIijEEZZNS1_16scan_by_key_implILNS1_25lookback_scan_determinismE0ELb1ES3_N6thrust23THRUST_200600_302600_NS6detail15normal_iteratorINS9_10device_ptrIiEEEENSB_INSC_IjEEEESG_jNS9_4plusIvEENS9_8equal_toIvEEjEE10hipError_tPvRmT2_T3_T4_T5_mT6_T7_P12ihipStream_tbENKUlT_T0_E_clISt17integral_constantIbLb1EES10_IbLb0EEEEDaSW_SX_EUlSW_E_NS1_11comp_targetILNS1_3genE9ELNS1_11target_archE1100ELNS1_3gpuE3ELNS1_3repE0EEENS1_30default_config_static_selectorELNS0_4arch9wavefront6targetE0EEEvT1_.uses_vcc, 0
	.set _ZN7rocprim17ROCPRIM_400000_NS6detail17trampoline_kernelINS0_14default_configENS1_27scan_by_key_config_selectorIijEEZZNS1_16scan_by_key_implILNS1_25lookback_scan_determinismE0ELb1ES3_N6thrust23THRUST_200600_302600_NS6detail15normal_iteratorINS9_10device_ptrIiEEEENSB_INSC_IjEEEESG_jNS9_4plusIvEENS9_8equal_toIvEEjEE10hipError_tPvRmT2_T3_T4_T5_mT6_T7_P12ihipStream_tbENKUlT_T0_E_clISt17integral_constantIbLb1EES10_IbLb0EEEEDaSW_SX_EUlSW_E_NS1_11comp_targetILNS1_3genE9ELNS1_11target_archE1100ELNS1_3gpuE3ELNS1_3repE0EEENS1_30default_config_static_selectorELNS0_4arch9wavefront6targetE0EEEvT1_.uses_flat_scratch, 0
	.set _ZN7rocprim17ROCPRIM_400000_NS6detail17trampoline_kernelINS0_14default_configENS1_27scan_by_key_config_selectorIijEEZZNS1_16scan_by_key_implILNS1_25lookback_scan_determinismE0ELb1ES3_N6thrust23THRUST_200600_302600_NS6detail15normal_iteratorINS9_10device_ptrIiEEEENSB_INSC_IjEEEESG_jNS9_4plusIvEENS9_8equal_toIvEEjEE10hipError_tPvRmT2_T3_T4_T5_mT6_T7_P12ihipStream_tbENKUlT_T0_E_clISt17integral_constantIbLb1EES10_IbLb0EEEEDaSW_SX_EUlSW_E_NS1_11comp_targetILNS1_3genE9ELNS1_11target_archE1100ELNS1_3gpuE3ELNS1_3repE0EEENS1_30default_config_static_selectorELNS0_4arch9wavefront6targetE0EEEvT1_.has_dyn_sized_stack, 0
	.set _ZN7rocprim17ROCPRIM_400000_NS6detail17trampoline_kernelINS0_14default_configENS1_27scan_by_key_config_selectorIijEEZZNS1_16scan_by_key_implILNS1_25lookback_scan_determinismE0ELb1ES3_N6thrust23THRUST_200600_302600_NS6detail15normal_iteratorINS9_10device_ptrIiEEEENSB_INSC_IjEEEESG_jNS9_4plusIvEENS9_8equal_toIvEEjEE10hipError_tPvRmT2_T3_T4_T5_mT6_T7_P12ihipStream_tbENKUlT_T0_E_clISt17integral_constantIbLb1EES10_IbLb0EEEEDaSW_SX_EUlSW_E_NS1_11comp_targetILNS1_3genE9ELNS1_11target_archE1100ELNS1_3gpuE3ELNS1_3repE0EEENS1_30default_config_static_selectorELNS0_4arch9wavefront6targetE0EEEvT1_.has_recursion, 0
	.set _ZN7rocprim17ROCPRIM_400000_NS6detail17trampoline_kernelINS0_14default_configENS1_27scan_by_key_config_selectorIijEEZZNS1_16scan_by_key_implILNS1_25lookback_scan_determinismE0ELb1ES3_N6thrust23THRUST_200600_302600_NS6detail15normal_iteratorINS9_10device_ptrIiEEEENSB_INSC_IjEEEESG_jNS9_4plusIvEENS9_8equal_toIvEEjEE10hipError_tPvRmT2_T3_T4_T5_mT6_T7_P12ihipStream_tbENKUlT_T0_E_clISt17integral_constantIbLb1EES10_IbLb0EEEEDaSW_SX_EUlSW_E_NS1_11comp_targetILNS1_3genE9ELNS1_11target_archE1100ELNS1_3gpuE3ELNS1_3repE0EEENS1_30default_config_static_selectorELNS0_4arch9wavefront6targetE0EEEvT1_.has_indirect_call, 0
	.section	.AMDGPU.csdata,"",@progbits
; Kernel info:
; codeLenInByte = 0
; TotalNumSgprs: 0
; NumVgprs: 0
; ScratchSize: 0
; MemoryBound: 0
; FloatMode: 240
; IeeeMode: 1
; LDSByteSize: 0 bytes/workgroup (compile time only)
; SGPRBlocks: 0
; VGPRBlocks: 0
; NumSGPRsForWavesPerEU: 1
; NumVGPRsForWavesPerEU: 1
; NamedBarCnt: 0
; Occupancy: 16
; WaveLimiterHint : 0
; COMPUTE_PGM_RSRC2:SCRATCH_EN: 0
; COMPUTE_PGM_RSRC2:USER_SGPR: 2
; COMPUTE_PGM_RSRC2:TRAP_HANDLER: 0
; COMPUTE_PGM_RSRC2:TGID_X_EN: 1
; COMPUTE_PGM_RSRC2:TGID_Y_EN: 0
; COMPUTE_PGM_RSRC2:TGID_Z_EN: 0
; COMPUTE_PGM_RSRC2:TIDIG_COMP_CNT: 0
	.section	.text._ZN7rocprim17ROCPRIM_400000_NS6detail17trampoline_kernelINS0_14default_configENS1_27scan_by_key_config_selectorIijEEZZNS1_16scan_by_key_implILNS1_25lookback_scan_determinismE0ELb1ES3_N6thrust23THRUST_200600_302600_NS6detail15normal_iteratorINS9_10device_ptrIiEEEENSB_INSC_IjEEEESG_jNS9_4plusIvEENS9_8equal_toIvEEjEE10hipError_tPvRmT2_T3_T4_T5_mT6_T7_P12ihipStream_tbENKUlT_T0_E_clISt17integral_constantIbLb1EES10_IbLb0EEEEDaSW_SX_EUlSW_E_NS1_11comp_targetILNS1_3genE8ELNS1_11target_archE1030ELNS1_3gpuE2ELNS1_3repE0EEENS1_30default_config_static_selectorELNS0_4arch9wavefront6targetE0EEEvT1_,"axG",@progbits,_ZN7rocprim17ROCPRIM_400000_NS6detail17trampoline_kernelINS0_14default_configENS1_27scan_by_key_config_selectorIijEEZZNS1_16scan_by_key_implILNS1_25lookback_scan_determinismE0ELb1ES3_N6thrust23THRUST_200600_302600_NS6detail15normal_iteratorINS9_10device_ptrIiEEEENSB_INSC_IjEEEESG_jNS9_4plusIvEENS9_8equal_toIvEEjEE10hipError_tPvRmT2_T3_T4_T5_mT6_T7_P12ihipStream_tbENKUlT_T0_E_clISt17integral_constantIbLb1EES10_IbLb0EEEEDaSW_SX_EUlSW_E_NS1_11comp_targetILNS1_3genE8ELNS1_11target_archE1030ELNS1_3gpuE2ELNS1_3repE0EEENS1_30default_config_static_selectorELNS0_4arch9wavefront6targetE0EEEvT1_,comdat
	.protected	_ZN7rocprim17ROCPRIM_400000_NS6detail17trampoline_kernelINS0_14default_configENS1_27scan_by_key_config_selectorIijEEZZNS1_16scan_by_key_implILNS1_25lookback_scan_determinismE0ELb1ES3_N6thrust23THRUST_200600_302600_NS6detail15normal_iteratorINS9_10device_ptrIiEEEENSB_INSC_IjEEEESG_jNS9_4plusIvEENS9_8equal_toIvEEjEE10hipError_tPvRmT2_T3_T4_T5_mT6_T7_P12ihipStream_tbENKUlT_T0_E_clISt17integral_constantIbLb1EES10_IbLb0EEEEDaSW_SX_EUlSW_E_NS1_11comp_targetILNS1_3genE8ELNS1_11target_archE1030ELNS1_3gpuE2ELNS1_3repE0EEENS1_30default_config_static_selectorELNS0_4arch9wavefront6targetE0EEEvT1_ ; -- Begin function _ZN7rocprim17ROCPRIM_400000_NS6detail17trampoline_kernelINS0_14default_configENS1_27scan_by_key_config_selectorIijEEZZNS1_16scan_by_key_implILNS1_25lookback_scan_determinismE0ELb1ES3_N6thrust23THRUST_200600_302600_NS6detail15normal_iteratorINS9_10device_ptrIiEEEENSB_INSC_IjEEEESG_jNS9_4plusIvEENS9_8equal_toIvEEjEE10hipError_tPvRmT2_T3_T4_T5_mT6_T7_P12ihipStream_tbENKUlT_T0_E_clISt17integral_constantIbLb1EES10_IbLb0EEEEDaSW_SX_EUlSW_E_NS1_11comp_targetILNS1_3genE8ELNS1_11target_archE1030ELNS1_3gpuE2ELNS1_3repE0EEENS1_30default_config_static_selectorELNS0_4arch9wavefront6targetE0EEEvT1_
	.globl	_ZN7rocprim17ROCPRIM_400000_NS6detail17trampoline_kernelINS0_14default_configENS1_27scan_by_key_config_selectorIijEEZZNS1_16scan_by_key_implILNS1_25lookback_scan_determinismE0ELb1ES3_N6thrust23THRUST_200600_302600_NS6detail15normal_iteratorINS9_10device_ptrIiEEEENSB_INSC_IjEEEESG_jNS9_4plusIvEENS9_8equal_toIvEEjEE10hipError_tPvRmT2_T3_T4_T5_mT6_T7_P12ihipStream_tbENKUlT_T0_E_clISt17integral_constantIbLb1EES10_IbLb0EEEEDaSW_SX_EUlSW_E_NS1_11comp_targetILNS1_3genE8ELNS1_11target_archE1030ELNS1_3gpuE2ELNS1_3repE0EEENS1_30default_config_static_selectorELNS0_4arch9wavefront6targetE0EEEvT1_
	.p2align	8
	.type	_ZN7rocprim17ROCPRIM_400000_NS6detail17trampoline_kernelINS0_14default_configENS1_27scan_by_key_config_selectorIijEEZZNS1_16scan_by_key_implILNS1_25lookback_scan_determinismE0ELb1ES3_N6thrust23THRUST_200600_302600_NS6detail15normal_iteratorINS9_10device_ptrIiEEEENSB_INSC_IjEEEESG_jNS9_4plusIvEENS9_8equal_toIvEEjEE10hipError_tPvRmT2_T3_T4_T5_mT6_T7_P12ihipStream_tbENKUlT_T0_E_clISt17integral_constantIbLb1EES10_IbLb0EEEEDaSW_SX_EUlSW_E_NS1_11comp_targetILNS1_3genE8ELNS1_11target_archE1030ELNS1_3gpuE2ELNS1_3repE0EEENS1_30default_config_static_selectorELNS0_4arch9wavefront6targetE0EEEvT1_,@function
_ZN7rocprim17ROCPRIM_400000_NS6detail17trampoline_kernelINS0_14default_configENS1_27scan_by_key_config_selectorIijEEZZNS1_16scan_by_key_implILNS1_25lookback_scan_determinismE0ELb1ES3_N6thrust23THRUST_200600_302600_NS6detail15normal_iteratorINS9_10device_ptrIiEEEENSB_INSC_IjEEEESG_jNS9_4plusIvEENS9_8equal_toIvEEjEE10hipError_tPvRmT2_T3_T4_T5_mT6_T7_P12ihipStream_tbENKUlT_T0_E_clISt17integral_constantIbLb1EES10_IbLb0EEEEDaSW_SX_EUlSW_E_NS1_11comp_targetILNS1_3genE8ELNS1_11target_archE1030ELNS1_3gpuE2ELNS1_3repE0EEENS1_30default_config_static_selectorELNS0_4arch9wavefront6targetE0EEEvT1_: ; @_ZN7rocprim17ROCPRIM_400000_NS6detail17trampoline_kernelINS0_14default_configENS1_27scan_by_key_config_selectorIijEEZZNS1_16scan_by_key_implILNS1_25lookback_scan_determinismE0ELb1ES3_N6thrust23THRUST_200600_302600_NS6detail15normal_iteratorINS9_10device_ptrIiEEEENSB_INSC_IjEEEESG_jNS9_4plusIvEENS9_8equal_toIvEEjEE10hipError_tPvRmT2_T3_T4_T5_mT6_T7_P12ihipStream_tbENKUlT_T0_E_clISt17integral_constantIbLb1EES10_IbLb0EEEEDaSW_SX_EUlSW_E_NS1_11comp_targetILNS1_3genE8ELNS1_11target_archE1030ELNS1_3gpuE2ELNS1_3repE0EEENS1_30default_config_static_selectorELNS0_4arch9wavefront6targetE0EEEvT1_
; %bb.0:
	.section	.rodata,"a",@progbits
	.p2align	6, 0x0
	.amdhsa_kernel _ZN7rocprim17ROCPRIM_400000_NS6detail17trampoline_kernelINS0_14default_configENS1_27scan_by_key_config_selectorIijEEZZNS1_16scan_by_key_implILNS1_25lookback_scan_determinismE0ELb1ES3_N6thrust23THRUST_200600_302600_NS6detail15normal_iteratorINS9_10device_ptrIiEEEENSB_INSC_IjEEEESG_jNS9_4plusIvEENS9_8equal_toIvEEjEE10hipError_tPvRmT2_T3_T4_T5_mT6_T7_P12ihipStream_tbENKUlT_T0_E_clISt17integral_constantIbLb1EES10_IbLb0EEEEDaSW_SX_EUlSW_E_NS1_11comp_targetILNS1_3genE8ELNS1_11target_archE1030ELNS1_3gpuE2ELNS1_3repE0EEENS1_30default_config_static_selectorELNS0_4arch9wavefront6targetE0EEEvT1_
		.amdhsa_group_segment_fixed_size 0
		.amdhsa_private_segment_fixed_size 0
		.amdhsa_kernarg_size 112
		.amdhsa_user_sgpr_count 2
		.amdhsa_user_sgpr_dispatch_ptr 0
		.amdhsa_user_sgpr_queue_ptr 0
		.amdhsa_user_sgpr_kernarg_segment_ptr 1
		.amdhsa_user_sgpr_dispatch_id 0
		.amdhsa_user_sgpr_kernarg_preload_length 0
		.amdhsa_user_sgpr_kernarg_preload_offset 0
		.amdhsa_user_sgpr_private_segment_size 0
		.amdhsa_wavefront_size32 1
		.amdhsa_uses_dynamic_stack 0
		.amdhsa_enable_private_segment 0
		.amdhsa_system_sgpr_workgroup_id_x 1
		.amdhsa_system_sgpr_workgroup_id_y 0
		.amdhsa_system_sgpr_workgroup_id_z 0
		.amdhsa_system_sgpr_workgroup_info 0
		.amdhsa_system_vgpr_workitem_id 0
		.amdhsa_next_free_vgpr 1
		.amdhsa_next_free_sgpr 1
		.amdhsa_named_barrier_count 0
		.amdhsa_reserve_vcc 0
		.amdhsa_float_round_mode_32 0
		.amdhsa_float_round_mode_16_64 0
		.amdhsa_float_denorm_mode_32 3
		.amdhsa_float_denorm_mode_16_64 3
		.amdhsa_fp16_overflow 0
		.amdhsa_memory_ordered 1
		.amdhsa_forward_progress 1
		.amdhsa_inst_pref_size 0
		.amdhsa_round_robin_scheduling 0
		.amdhsa_exception_fp_ieee_invalid_op 0
		.amdhsa_exception_fp_denorm_src 0
		.amdhsa_exception_fp_ieee_div_zero 0
		.amdhsa_exception_fp_ieee_overflow 0
		.amdhsa_exception_fp_ieee_underflow 0
		.amdhsa_exception_fp_ieee_inexact 0
		.amdhsa_exception_int_div_zero 0
	.end_amdhsa_kernel
	.section	.text._ZN7rocprim17ROCPRIM_400000_NS6detail17trampoline_kernelINS0_14default_configENS1_27scan_by_key_config_selectorIijEEZZNS1_16scan_by_key_implILNS1_25lookback_scan_determinismE0ELb1ES3_N6thrust23THRUST_200600_302600_NS6detail15normal_iteratorINS9_10device_ptrIiEEEENSB_INSC_IjEEEESG_jNS9_4plusIvEENS9_8equal_toIvEEjEE10hipError_tPvRmT2_T3_T4_T5_mT6_T7_P12ihipStream_tbENKUlT_T0_E_clISt17integral_constantIbLb1EES10_IbLb0EEEEDaSW_SX_EUlSW_E_NS1_11comp_targetILNS1_3genE8ELNS1_11target_archE1030ELNS1_3gpuE2ELNS1_3repE0EEENS1_30default_config_static_selectorELNS0_4arch9wavefront6targetE0EEEvT1_,"axG",@progbits,_ZN7rocprim17ROCPRIM_400000_NS6detail17trampoline_kernelINS0_14default_configENS1_27scan_by_key_config_selectorIijEEZZNS1_16scan_by_key_implILNS1_25lookback_scan_determinismE0ELb1ES3_N6thrust23THRUST_200600_302600_NS6detail15normal_iteratorINS9_10device_ptrIiEEEENSB_INSC_IjEEEESG_jNS9_4plusIvEENS9_8equal_toIvEEjEE10hipError_tPvRmT2_T3_T4_T5_mT6_T7_P12ihipStream_tbENKUlT_T0_E_clISt17integral_constantIbLb1EES10_IbLb0EEEEDaSW_SX_EUlSW_E_NS1_11comp_targetILNS1_3genE8ELNS1_11target_archE1030ELNS1_3gpuE2ELNS1_3repE0EEENS1_30default_config_static_selectorELNS0_4arch9wavefront6targetE0EEEvT1_,comdat
.Lfunc_end1525:
	.size	_ZN7rocprim17ROCPRIM_400000_NS6detail17trampoline_kernelINS0_14default_configENS1_27scan_by_key_config_selectorIijEEZZNS1_16scan_by_key_implILNS1_25lookback_scan_determinismE0ELb1ES3_N6thrust23THRUST_200600_302600_NS6detail15normal_iteratorINS9_10device_ptrIiEEEENSB_INSC_IjEEEESG_jNS9_4plusIvEENS9_8equal_toIvEEjEE10hipError_tPvRmT2_T3_T4_T5_mT6_T7_P12ihipStream_tbENKUlT_T0_E_clISt17integral_constantIbLb1EES10_IbLb0EEEEDaSW_SX_EUlSW_E_NS1_11comp_targetILNS1_3genE8ELNS1_11target_archE1030ELNS1_3gpuE2ELNS1_3repE0EEENS1_30default_config_static_selectorELNS0_4arch9wavefront6targetE0EEEvT1_, .Lfunc_end1525-_ZN7rocprim17ROCPRIM_400000_NS6detail17trampoline_kernelINS0_14default_configENS1_27scan_by_key_config_selectorIijEEZZNS1_16scan_by_key_implILNS1_25lookback_scan_determinismE0ELb1ES3_N6thrust23THRUST_200600_302600_NS6detail15normal_iteratorINS9_10device_ptrIiEEEENSB_INSC_IjEEEESG_jNS9_4plusIvEENS9_8equal_toIvEEjEE10hipError_tPvRmT2_T3_T4_T5_mT6_T7_P12ihipStream_tbENKUlT_T0_E_clISt17integral_constantIbLb1EES10_IbLb0EEEEDaSW_SX_EUlSW_E_NS1_11comp_targetILNS1_3genE8ELNS1_11target_archE1030ELNS1_3gpuE2ELNS1_3repE0EEENS1_30default_config_static_selectorELNS0_4arch9wavefront6targetE0EEEvT1_
                                        ; -- End function
	.set _ZN7rocprim17ROCPRIM_400000_NS6detail17trampoline_kernelINS0_14default_configENS1_27scan_by_key_config_selectorIijEEZZNS1_16scan_by_key_implILNS1_25lookback_scan_determinismE0ELb1ES3_N6thrust23THRUST_200600_302600_NS6detail15normal_iteratorINS9_10device_ptrIiEEEENSB_INSC_IjEEEESG_jNS9_4plusIvEENS9_8equal_toIvEEjEE10hipError_tPvRmT2_T3_T4_T5_mT6_T7_P12ihipStream_tbENKUlT_T0_E_clISt17integral_constantIbLb1EES10_IbLb0EEEEDaSW_SX_EUlSW_E_NS1_11comp_targetILNS1_3genE8ELNS1_11target_archE1030ELNS1_3gpuE2ELNS1_3repE0EEENS1_30default_config_static_selectorELNS0_4arch9wavefront6targetE0EEEvT1_.num_vgpr, 0
	.set _ZN7rocprim17ROCPRIM_400000_NS6detail17trampoline_kernelINS0_14default_configENS1_27scan_by_key_config_selectorIijEEZZNS1_16scan_by_key_implILNS1_25lookback_scan_determinismE0ELb1ES3_N6thrust23THRUST_200600_302600_NS6detail15normal_iteratorINS9_10device_ptrIiEEEENSB_INSC_IjEEEESG_jNS9_4plusIvEENS9_8equal_toIvEEjEE10hipError_tPvRmT2_T3_T4_T5_mT6_T7_P12ihipStream_tbENKUlT_T0_E_clISt17integral_constantIbLb1EES10_IbLb0EEEEDaSW_SX_EUlSW_E_NS1_11comp_targetILNS1_3genE8ELNS1_11target_archE1030ELNS1_3gpuE2ELNS1_3repE0EEENS1_30default_config_static_selectorELNS0_4arch9wavefront6targetE0EEEvT1_.num_agpr, 0
	.set _ZN7rocprim17ROCPRIM_400000_NS6detail17trampoline_kernelINS0_14default_configENS1_27scan_by_key_config_selectorIijEEZZNS1_16scan_by_key_implILNS1_25lookback_scan_determinismE0ELb1ES3_N6thrust23THRUST_200600_302600_NS6detail15normal_iteratorINS9_10device_ptrIiEEEENSB_INSC_IjEEEESG_jNS9_4plusIvEENS9_8equal_toIvEEjEE10hipError_tPvRmT2_T3_T4_T5_mT6_T7_P12ihipStream_tbENKUlT_T0_E_clISt17integral_constantIbLb1EES10_IbLb0EEEEDaSW_SX_EUlSW_E_NS1_11comp_targetILNS1_3genE8ELNS1_11target_archE1030ELNS1_3gpuE2ELNS1_3repE0EEENS1_30default_config_static_selectorELNS0_4arch9wavefront6targetE0EEEvT1_.numbered_sgpr, 0
	.set _ZN7rocprim17ROCPRIM_400000_NS6detail17trampoline_kernelINS0_14default_configENS1_27scan_by_key_config_selectorIijEEZZNS1_16scan_by_key_implILNS1_25lookback_scan_determinismE0ELb1ES3_N6thrust23THRUST_200600_302600_NS6detail15normal_iteratorINS9_10device_ptrIiEEEENSB_INSC_IjEEEESG_jNS9_4plusIvEENS9_8equal_toIvEEjEE10hipError_tPvRmT2_T3_T4_T5_mT6_T7_P12ihipStream_tbENKUlT_T0_E_clISt17integral_constantIbLb1EES10_IbLb0EEEEDaSW_SX_EUlSW_E_NS1_11comp_targetILNS1_3genE8ELNS1_11target_archE1030ELNS1_3gpuE2ELNS1_3repE0EEENS1_30default_config_static_selectorELNS0_4arch9wavefront6targetE0EEEvT1_.num_named_barrier, 0
	.set _ZN7rocprim17ROCPRIM_400000_NS6detail17trampoline_kernelINS0_14default_configENS1_27scan_by_key_config_selectorIijEEZZNS1_16scan_by_key_implILNS1_25lookback_scan_determinismE0ELb1ES3_N6thrust23THRUST_200600_302600_NS6detail15normal_iteratorINS9_10device_ptrIiEEEENSB_INSC_IjEEEESG_jNS9_4plusIvEENS9_8equal_toIvEEjEE10hipError_tPvRmT2_T3_T4_T5_mT6_T7_P12ihipStream_tbENKUlT_T0_E_clISt17integral_constantIbLb1EES10_IbLb0EEEEDaSW_SX_EUlSW_E_NS1_11comp_targetILNS1_3genE8ELNS1_11target_archE1030ELNS1_3gpuE2ELNS1_3repE0EEENS1_30default_config_static_selectorELNS0_4arch9wavefront6targetE0EEEvT1_.private_seg_size, 0
	.set _ZN7rocprim17ROCPRIM_400000_NS6detail17trampoline_kernelINS0_14default_configENS1_27scan_by_key_config_selectorIijEEZZNS1_16scan_by_key_implILNS1_25lookback_scan_determinismE0ELb1ES3_N6thrust23THRUST_200600_302600_NS6detail15normal_iteratorINS9_10device_ptrIiEEEENSB_INSC_IjEEEESG_jNS9_4plusIvEENS9_8equal_toIvEEjEE10hipError_tPvRmT2_T3_T4_T5_mT6_T7_P12ihipStream_tbENKUlT_T0_E_clISt17integral_constantIbLb1EES10_IbLb0EEEEDaSW_SX_EUlSW_E_NS1_11comp_targetILNS1_3genE8ELNS1_11target_archE1030ELNS1_3gpuE2ELNS1_3repE0EEENS1_30default_config_static_selectorELNS0_4arch9wavefront6targetE0EEEvT1_.uses_vcc, 0
	.set _ZN7rocprim17ROCPRIM_400000_NS6detail17trampoline_kernelINS0_14default_configENS1_27scan_by_key_config_selectorIijEEZZNS1_16scan_by_key_implILNS1_25lookback_scan_determinismE0ELb1ES3_N6thrust23THRUST_200600_302600_NS6detail15normal_iteratorINS9_10device_ptrIiEEEENSB_INSC_IjEEEESG_jNS9_4plusIvEENS9_8equal_toIvEEjEE10hipError_tPvRmT2_T3_T4_T5_mT6_T7_P12ihipStream_tbENKUlT_T0_E_clISt17integral_constantIbLb1EES10_IbLb0EEEEDaSW_SX_EUlSW_E_NS1_11comp_targetILNS1_3genE8ELNS1_11target_archE1030ELNS1_3gpuE2ELNS1_3repE0EEENS1_30default_config_static_selectorELNS0_4arch9wavefront6targetE0EEEvT1_.uses_flat_scratch, 0
	.set _ZN7rocprim17ROCPRIM_400000_NS6detail17trampoline_kernelINS0_14default_configENS1_27scan_by_key_config_selectorIijEEZZNS1_16scan_by_key_implILNS1_25lookback_scan_determinismE0ELb1ES3_N6thrust23THRUST_200600_302600_NS6detail15normal_iteratorINS9_10device_ptrIiEEEENSB_INSC_IjEEEESG_jNS9_4plusIvEENS9_8equal_toIvEEjEE10hipError_tPvRmT2_T3_T4_T5_mT6_T7_P12ihipStream_tbENKUlT_T0_E_clISt17integral_constantIbLb1EES10_IbLb0EEEEDaSW_SX_EUlSW_E_NS1_11comp_targetILNS1_3genE8ELNS1_11target_archE1030ELNS1_3gpuE2ELNS1_3repE0EEENS1_30default_config_static_selectorELNS0_4arch9wavefront6targetE0EEEvT1_.has_dyn_sized_stack, 0
	.set _ZN7rocprim17ROCPRIM_400000_NS6detail17trampoline_kernelINS0_14default_configENS1_27scan_by_key_config_selectorIijEEZZNS1_16scan_by_key_implILNS1_25lookback_scan_determinismE0ELb1ES3_N6thrust23THRUST_200600_302600_NS6detail15normal_iteratorINS9_10device_ptrIiEEEENSB_INSC_IjEEEESG_jNS9_4plusIvEENS9_8equal_toIvEEjEE10hipError_tPvRmT2_T3_T4_T5_mT6_T7_P12ihipStream_tbENKUlT_T0_E_clISt17integral_constantIbLb1EES10_IbLb0EEEEDaSW_SX_EUlSW_E_NS1_11comp_targetILNS1_3genE8ELNS1_11target_archE1030ELNS1_3gpuE2ELNS1_3repE0EEENS1_30default_config_static_selectorELNS0_4arch9wavefront6targetE0EEEvT1_.has_recursion, 0
	.set _ZN7rocprim17ROCPRIM_400000_NS6detail17trampoline_kernelINS0_14default_configENS1_27scan_by_key_config_selectorIijEEZZNS1_16scan_by_key_implILNS1_25lookback_scan_determinismE0ELb1ES3_N6thrust23THRUST_200600_302600_NS6detail15normal_iteratorINS9_10device_ptrIiEEEENSB_INSC_IjEEEESG_jNS9_4plusIvEENS9_8equal_toIvEEjEE10hipError_tPvRmT2_T3_T4_T5_mT6_T7_P12ihipStream_tbENKUlT_T0_E_clISt17integral_constantIbLb1EES10_IbLb0EEEEDaSW_SX_EUlSW_E_NS1_11comp_targetILNS1_3genE8ELNS1_11target_archE1030ELNS1_3gpuE2ELNS1_3repE0EEENS1_30default_config_static_selectorELNS0_4arch9wavefront6targetE0EEEvT1_.has_indirect_call, 0
	.section	.AMDGPU.csdata,"",@progbits
; Kernel info:
; codeLenInByte = 0
; TotalNumSgprs: 0
; NumVgprs: 0
; ScratchSize: 0
; MemoryBound: 0
; FloatMode: 240
; IeeeMode: 1
; LDSByteSize: 0 bytes/workgroup (compile time only)
; SGPRBlocks: 0
; VGPRBlocks: 0
; NumSGPRsForWavesPerEU: 1
; NumVGPRsForWavesPerEU: 1
; NamedBarCnt: 0
; Occupancy: 16
; WaveLimiterHint : 0
; COMPUTE_PGM_RSRC2:SCRATCH_EN: 0
; COMPUTE_PGM_RSRC2:USER_SGPR: 2
; COMPUTE_PGM_RSRC2:TRAP_HANDLER: 0
; COMPUTE_PGM_RSRC2:TGID_X_EN: 1
; COMPUTE_PGM_RSRC2:TGID_Y_EN: 0
; COMPUTE_PGM_RSRC2:TGID_Z_EN: 0
; COMPUTE_PGM_RSRC2:TIDIG_COMP_CNT: 0
	.section	.text._ZN7rocprim17ROCPRIM_400000_NS6detail17trampoline_kernelINS0_14default_configENS1_27scan_by_key_config_selectorIijEEZZNS1_16scan_by_key_implILNS1_25lookback_scan_determinismE0ELb1ES3_N6thrust23THRUST_200600_302600_NS6detail15normal_iteratorINS9_10device_ptrIiEEEENSB_INSC_IjEEEESG_jNS9_4plusIvEENS9_8equal_toIvEEjEE10hipError_tPvRmT2_T3_T4_T5_mT6_T7_P12ihipStream_tbENKUlT_T0_E_clISt17integral_constantIbLb0EES10_IbLb1EEEEDaSW_SX_EUlSW_E_NS1_11comp_targetILNS1_3genE0ELNS1_11target_archE4294967295ELNS1_3gpuE0ELNS1_3repE0EEENS1_30default_config_static_selectorELNS0_4arch9wavefront6targetE0EEEvT1_,"axG",@progbits,_ZN7rocprim17ROCPRIM_400000_NS6detail17trampoline_kernelINS0_14default_configENS1_27scan_by_key_config_selectorIijEEZZNS1_16scan_by_key_implILNS1_25lookback_scan_determinismE0ELb1ES3_N6thrust23THRUST_200600_302600_NS6detail15normal_iteratorINS9_10device_ptrIiEEEENSB_INSC_IjEEEESG_jNS9_4plusIvEENS9_8equal_toIvEEjEE10hipError_tPvRmT2_T3_T4_T5_mT6_T7_P12ihipStream_tbENKUlT_T0_E_clISt17integral_constantIbLb0EES10_IbLb1EEEEDaSW_SX_EUlSW_E_NS1_11comp_targetILNS1_3genE0ELNS1_11target_archE4294967295ELNS1_3gpuE0ELNS1_3repE0EEENS1_30default_config_static_selectorELNS0_4arch9wavefront6targetE0EEEvT1_,comdat
	.protected	_ZN7rocprim17ROCPRIM_400000_NS6detail17trampoline_kernelINS0_14default_configENS1_27scan_by_key_config_selectorIijEEZZNS1_16scan_by_key_implILNS1_25lookback_scan_determinismE0ELb1ES3_N6thrust23THRUST_200600_302600_NS6detail15normal_iteratorINS9_10device_ptrIiEEEENSB_INSC_IjEEEESG_jNS9_4plusIvEENS9_8equal_toIvEEjEE10hipError_tPvRmT2_T3_T4_T5_mT6_T7_P12ihipStream_tbENKUlT_T0_E_clISt17integral_constantIbLb0EES10_IbLb1EEEEDaSW_SX_EUlSW_E_NS1_11comp_targetILNS1_3genE0ELNS1_11target_archE4294967295ELNS1_3gpuE0ELNS1_3repE0EEENS1_30default_config_static_selectorELNS0_4arch9wavefront6targetE0EEEvT1_ ; -- Begin function _ZN7rocprim17ROCPRIM_400000_NS6detail17trampoline_kernelINS0_14default_configENS1_27scan_by_key_config_selectorIijEEZZNS1_16scan_by_key_implILNS1_25lookback_scan_determinismE0ELb1ES3_N6thrust23THRUST_200600_302600_NS6detail15normal_iteratorINS9_10device_ptrIiEEEENSB_INSC_IjEEEESG_jNS9_4plusIvEENS9_8equal_toIvEEjEE10hipError_tPvRmT2_T3_T4_T5_mT6_T7_P12ihipStream_tbENKUlT_T0_E_clISt17integral_constantIbLb0EES10_IbLb1EEEEDaSW_SX_EUlSW_E_NS1_11comp_targetILNS1_3genE0ELNS1_11target_archE4294967295ELNS1_3gpuE0ELNS1_3repE0EEENS1_30default_config_static_selectorELNS0_4arch9wavefront6targetE0EEEvT1_
	.globl	_ZN7rocprim17ROCPRIM_400000_NS6detail17trampoline_kernelINS0_14default_configENS1_27scan_by_key_config_selectorIijEEZZNS1_16scan_by_key_implILNS1_25lookback_scan_determinismE0ELb1ES3_N6thrust23THRUST_200600_302600_NS6detail15normal_iteratorINS9_10device_ptrIiEEEENSB_INSC_IjEEEESG_jNS9_4plusIvEENS9_8equal_toIvEEjEE10hipError_tPvRmT2_T3_T4_T5_mT6_T7_P12ihipStream_tbENKUlT_T0_E_clISt17integral_constantIbLb0EES10_IbLb1EEEEDaSW_SX_EUlSW_E_NS1_11comp_targetILNS1_3genE0ELNS1_11target_archE4294967295ELNS1_3gpuE0ELNS1_3repE0EEENS1_30default_config_static_selectorELNS0_4arch9wavefront6targetE0EEEvT1_
	.p2align	8
	.type	_ZN7rocprim17ROCPRIM_400000_NS6detail17trampoline_kernelINS0_14default_configENS1_27scan_by_key_config_selectorIijEEZZNS1_16scan_by_key_implILNS1_25lookback_scan_determinismE0ELb1ES3_N6thrust23THRUST_200600_302600_NS6detail15normal_iteratorINS9_10device_ptrIiEEEENSB_INSC_IjEEEESG_jNS9_4plusIvEENS9_8equal_toIvEEjEE10hipError_tPvRmT2_T3_T4_T5_mT6_T7_P12ihipStream_tbENKUlT_T0_E_clISt17integral_constantIbLb0EES10_IbLb1EEEEDaSW_SX_EUlSW_E_NS1_11comp_targetILNS1_3genE0ELNS1_11target_archE4294967295ELNS1_3gpuE0ELNS1_3repE0EEENS1_30default_config_static_selectorELNS0_4arch9wavefront6targetE0EEEvT1_,@function
_ZN7rocprim17ROCPRIM_400000_NS6detail17trampoline_kernelINS0_14default_configENS1_27scan_by_key_config_selectorIijEEZZNS1_16scan_by_key_implILNS1_25lookback_scan_determinismE0ELb1ES3_N6thrust23THRUST_200600_302600_NS6detail15normal_iteratorINS9_10device_ptrIiEEEENSB_INSC_IjEEEESG_jNS9_4plusIvEENS9_8equal_toIvEEjEE10hipError_tPvRmT2_T3_T4_T5_mT6_T7_P12ihipStream_tbENKUlT_T0_E_clISt17integral_constantIbLb0EES10_IbLb1EEEEDaSW_SX_EUlSW_E_NS1_11comp_targetILNS1_3genE0ELNS1_11target_archE4294967295ELNS1_3gpuE0ELNS1_3repE0EEENS1_30default_config_static_selectorELNS0_4arch9wavefront6targetE0EEEvT1_: ; @_ZN7rocprim17ROCPRIM_400000_NS6detail17trampoline_kernelINS0_14default_configENS1_27scan_by_key_config_selectorIijEEZZNS1_16scan_by_key_implILNS1_25lookback_scan_determinismE0ELb1ES3_N6thrust23THRUST_200600_302600_NS6detail15normal_iteratorINS9_10device_ptrIiEEEENSB_INSC_IjEEEESG_jNS9_4plusIvEENS9_8equal_toIvEEjEE10hipError_tPvRmT2_T3_T4_T5_mT6_T7_P12ihipStream_tbENKUlT_T0_E_clISt17integral_constantIbLb0EES10_IbLb1EEEEDaSW_SX_EUlSW_E_NS1_11comp_targetILNS1_3genE0ELNS1_11target_archE4294967295ELNS1_3gpuE0ELNS1_3repE0EEENS1_30default_config_static_selectorELNS0_4arch9wavefront6targetE0EEEvT1_
; %bb.0:
	s_clause 0x2
	s_load_b32 s33, s[0:1], 0x20
	s_load_b128 s[20:23], s[0:1], 0x28
	s_load_b64 s[30:31], s[0:1], 0x38
	v_cmp_ne_u32_e64 s3, 0, v0
	v_cmp_eq_u32_e64 s2, 0, v0
	s_and_saveexec_b32 s4, s2
	s_cbranch_execz .LBB1526_4
; %bb.1:
	s_mov_b32 s6, exec_lo
	s_mov_b32 s5, exec_lo
	v_mbcnt_lo_u32_b32 v1, s6, 0
                                        ; implicit-def: $vgpr2
	s_delay_alu instid0(VALU_DEP_1)
	v_cmpx_eq_u32_e32 0, v1
	s_cbranch_execz .LBB1526_3
; %bb.2:
	s_load_b64 s[8:9], s[0:1], 0x68
	s_bcnt1_i32_b32 s6, s6
	s_delay_alu instid0(SALU_CYCLE_1)
	v_dual_mov_b32 v2, 0 :: v_dual_mov_b32 v3, s6
	s_wait_xcnt 0x0
	s_wait_kmcnt 0x0
	global_atomic_add_u32 v2, v2, v3, s[8:9] th:TH_ATOMIC_RETURN scope:SCOPE_DEV
.LBB1526_3:
	s_wait_xcnt 0x0
	s_or_b32 exec_lo, exec_lo, s5
	s_wait_loadcnt 0x0
	v_readfirstlane_b32 s5, v2
	s_delay_alu instid0(VALU_DEP_1)
	v_dual_mov_b32 v2, 0 :: v_dual_add_nc_u32 v1, s5, v1
	ds_store_b32 v2, v1
.LBB1526_4:
	s_or_b32 exec_lo, exec_lo, s4
	v_mov_b32_e32 v3, 0
	s_clause 0x2
	s_load_b256 s[12:19], s[0:1], 0x0
	s_load_b32 s4, s[0:1], 0x40
	s_load_b128 s[24:27], s[0:1], 0x48
	s_wait_dscnt 0x0
	s_barrier_signal -1
	s_barrier_wait -1
	ds_load_b32 v2, v3
	s_mov_b32 s5, 0
	s_wait_dscnt 0x0
	s_barrier_signal -1
	s_barrier_wait -1
	s_barrier_signal -1
	s_barrier_wait -1
	s_wait_kmcnt 0x0
	s_lshl_b64 s[28:29], s[14:15], 2
	s_mul_u64 s[0:1], s[30:31], s[4:5]
	s_add_nc_u64 s[10:11], s[24:25], -1
	s_add_nc_u64 s[6:7], s[12:13], s[28:29]
	s_add_nc_u64 s[8:9], s[16:17], s[28:29]
	s_mul_i32 s23, s10, 0xfffff400
	v_add_nc_u64_e32 v[4:5], s[0:1], v[2:3]
	v_readfirstlane_b32 s36, v2
	s_mul_i32 s4, s36, 0xc00
	v_cmp_le_u64_e64 s0, s[10:11], v[4:5]
	s_lshl_b64 s[16:17], s[4:5], 2
	s_delay_alu instid0(SALU_CYCLE_1)
	s_add_nc_u64 s[34:35], s[6:7], s[16:17]
	s_add_nc_u64 s[24:25], s[8:9], s[16:17]
	s_and_b32 vcc_lo, exec_lo, s0
	s_cbranch_vccz .LBB1526_70
; %bb.5:
	flat_load_b32 v1, v3, s[34:35]
	s_add_co_i32 s15, s23, s22
	s_delay_alu instid0(SALU_CYCLE_1)
	v_cmp_gt_u32_e32 vcc_lo, s15, v0
	s_wait_loadcnt_dscnt 0x0
	v_mov_b32_e32 v2, v1
	s_and_saveexec_b32 s1, vcc_lo
	s_cbranch_execz .LBB1526_7
; %bb.6:
	flat_load_b32 v2, v0, s[34:35] scale_offset
.LBB1526_7:
	s_wait_xcnt 0x0
	s_or_b32 exec_lo, exec_lo, s1
	v_or_b32_e32 v3, 0x100, v0
	s_delay_alu instid0(VALU_DEP_1)
	v_cmp_gt_u32_e64 s1, s15, v3
	v_mov_b32_e32 v3, v1
	s_and_saveexec_b32 s4, s1
	s_cbranch_execz .LBB1526_9
; %bb.8:
	flat_load_b32 v3, v0, s[34:35] offset:1024 scale_offset
.LBB1526_9:
	s_wait_xcnt 0x0
	s_or_b32 exec_lo, exec_lo, s4
	v_or_b32_e32 v4, 0x200, v0
	s_delay_alu instid0(VALU_DEP_1)
	v_cmp_gt_u32_e64 s4, s15, v4
	v_mov_b32_e32 v4, v1
	s_and_saveexec_b32 s5, s4
	s_cbranch_execz .LBB1526_11
; %bb.10:
	flat_load_b32 v4, v0, s[34:35] offset:2048 scale_offset
.LBB1526_11:
	;; [unrolled: 11-line block ×10, first 2 shown]
	s_wait_xcnt 0x0
	s_or_b32 exec_lo, exec_lo, s13
	v_or_b32_e32 v13, 0xb00, v0
	s_delay_alu instid0(VALU_DEP_1) | instskip(SKIP_2) | instid1(SALU_CYCLE_1)
	v_cmp_gt_u32_e64 s13, s15, v13
	v_cmp_le_u32_e64 s14, s15, v13
	s_and_saveexec_b32 s37, s14
	s_xor_b32 s14, exec_lo, s37
	s_delay_alu instid0(SALU_CYCLE_1)
	s_and_not1_saveexec_b32 s14, s14
	s_cbranch_execz .LBB1526_29
; %bb.28:
	flat_load_b32 v1, v0, s[34:35] offset:11264 scale_offset
.LBB1526_29:
	s_wait_xcnt 0x0
	s_or_b32 exec_lo, exec_lo, s14
	v_lshlrev_b32_e32 v14, 2, v0
	s_mov_b32 s37, exec_lo
	s_wait_loadcnt_dscnt 0x0
	ds_store_2addr_stride64_b32 v14, v2, v3 offset1:4
	ds_store_2addr_stride64_b32 v14, v4, v5 offset0:8 offset1:12
	ds_store_2addr_stride64_b32 v14, v6, v7 offset0:16 offset1:20
	;; [unrolled: 1-line block ×5, first 2 shown]
	v_mov_b32_e32 v1, 0
	s_wait_dscnt 0x0
	s_barrier_signal -1
	s_barrier_wait -1
	flat_load_b32 v38, v1, s[34:35]
	s_wait_xcnt 0x0
	v_mad_u32_u24 v1, v0, 44, v14
	ds_load_b128 v[10:13], v1
	ds_load_b128 v[6:9], v1 offset:16
	ds_load_b128 v[2:5], v1 offset:32
	v_mad_i32_i24 v15, 0xffffffd4, v0, v1
	s_wait_dscnt 0x2
	ds_store_b32 v15, v10 offset:13312
	s_wait_loadcnt_dscnt 0x0
	s_barrier_signal -1
	s_barrier_wait -1
	v_cmpx_ne_u32_e32 0xff, v0
; %bb.30:
	v_mul_i32_i24_e32 v15, 0xffffffd4, v0
	s_delay_alu instid0(VALU_DEP_1)
	v_add_nc_u32_e32 v15, v1, v15
	ds_load_b32 v38, v15 offset:13316
; %bb.31:
	s_or_b32 exec_lo, exec_lo, s37
	s_wait_dscnt 0x0
	s_barrier_signal -1
	s_barrier_wait -1
                                        ; implicit-def: $vgpr15
	s_and_saveexec_b32 s14, vcc_lo
	s_cbranch_execz .LBB1526_106
; %bb.32:
	flat_load_b32 v15, v0, s[24:25] scale_offset
	s_wait_xcnt 0x0
	s_or_b32 exec_lo, exec_lo, s14
                                        ; implicit-def: $vgpr16
	s_and_saveexec_b32 s14, s1
	s_cbranch_execnz .LBB1526_107
.LBB1526_33:
	s_or_b32 exec_lo, exec_lo, s14
                                        ; implicit-def: $vgpr17
	s_and_saveexec_b32 s1, s4
	s_cbranch_execz .LBB1526_108
.LBB1526_34:
	flat_load_b32 v17, v0, s[24:25] offset:2048 scale_offset
	s_wait_xcnt 0x0
	s_or_b32 exec_lo, exec_lo, s1
                                        ; implicit-def: $vgpr18
	s_and_saveexec_b32 s1, s5
	s_cbranch_execnz .LBB1526_109
.LBB1526_35:
	s_or_b32 exec_lo, exec_lo, s1
                                        ; implicit-def: $vgpr19
	s_and_saveexec_b32 s1, s6
	s_cbranch_execz .LBB1526_110
.LBB1526_36:
	flat_load_b32 v19, v0, s[24:25] offset:4096 scale_offset
	s_wait_xcnt 0x0
	s_or_b32 exec_lo, exec_lo, s1
                                        ; implicit-def: $vgpr20
	s_and_saveexec_b32 s1, s7
	s_cbranch_execnz .LBB1526_111
.LBB1526_37:
	s_or_b32 exec_lo, exec_lo, s1
                                        ; implicit-def: $vgpr21
	s_and_saveexec_b32 s1, s8
	s_cbranch_execz .LBB1526_112
.LBB1526_38:
	flat_load_b32 v21, v0, s[24:25] offset:6144 scale_offset
	s_wait_xcnt 0x0
	s_or_b32 exec_lo, exec_lo, s1
                                        ; implicit-def: $vgpr22
	s_and_saveexec_b32 s1, s9
	s_cbranch_execnz .LBB1526_113
.LBB1526_39:
	s_or_b32 exec_lo, exec_lo, s1
                                        ; implicit-def: $vgpr23
	s_and_saveexec_b32 s1, s10
	s_cbranch_execz .LBB1526_114
.LBB1526_40:
	flat_load_b32 v23, v0, s[24:25] offset:8192 scale_offset
	s_wait_xcnt 0x0
	s_or_b32 exec_lo, exec_lo, s1
                                        ; implicit-def: $vgpr24
	s_and_saveexec_b32 s1, s11
	s_cbranch_execnz .LBB1526_115
.LBB1526_41:
	s_or_b32 exec_lo, exec_lo, s1
                                        ; implicit-def: $vgpr25
	s_and_saveexec_b32 s1, s12
	s_cbranch_execz .LBB1526_43
.LBB1526_42:
	flat_load_b32 v25, v0, s[24:25] offset:10240 scale_offset
.LBB1526_43:
	s_wait_xcnt 0x0
	s_or_b32 exec_lo, exec_lo, s1
	v_mul_u32_u24_e32 v39, 12, v0
                                        ; implicit-def: $vgpr26
	s_and_saveexec_b32 s1, s13
	s_cbranch_execz .LBB1526_45
; %bb.44:
	flat_load_b32 v26, v0, s[24:25] offset:11264 scale_offset
.LBB1526_45:
	s_wait_xcnt 0x0
	s_or_b32 exec_lo, exec_lo, s1
	s_wait_loadcnt_dscnt 0x0
	ds_store_2addr_stride64_b32 v14, v15, v16 offset1:4
	ds_store_2addr_stride64_b32 v14, v17, v18 offset0:8 offset1:12
	ds_store_2addr_stride64_b32 v14, v19, v20 offset0:16 offset1:20
	;; [unrolled: 1-line block ×5, first 2 shown]
	v_mov_b64_e32 v[14:15], 0
	v_mov_b64_e32 v[42:43], 0
	;; [unrolled: 1-line block ×21, first 2 shown]
	s_mov_b32 s1, 0
	s_mov_b32 s5, 0
	s_mov_b32 s4, exec_lo
	s_wait_dscnt 0x0
	s_barrier_signal -1
	s_barrier_wait -1
                                        ; implicit-def: $sgpr6
                                        ; implicit-def: $vgpr60
	v_cmpx_gt_u32_e64 s15, v39
	s_cbranch_execz .LBB1526_69
; %bb.46:
	ds_load_b32 v14, v1
	v_cmp_eq_u32_e32 vcc_lo, v10, v11
	v_or_b32_e32 v16, 1, v39
	v_mov_b64_e32 v[42:43], 0
	v_mov_b64_e32 v[40:41], 0
	;; [unrolled: 1-line block ×17, first 2 shown]
	s_wait_dscnt 0x0
	v_cndmask_b32_e32 v14, s33, v14, vcc_lo
	v_cmp_ne_u32_e32 vcc_lo, v10, v11
	v_mov_b64_e32 v[20:21], 0
	v_mov_b64_e32 v[18:19], 0
	s_mov_b32 s7, 0
	s_mov_b32 s5, exec_lo
	v_cndmask_b32_e64 v15, 0, 1, vcc_lo
                                        ; implicit-def: $sgpr6
                                        ; implicit-def: $vgpr60
	v_cmpx_gt_u32_e64 s15, v16
	s_cbranch_execz .LBB1526_68
; %bb.47:
	ds_load_2addr_b32 v[16:17], v1 offset0:1 offset1:2
	v_cmp_eq_u32_e32 vcc_lo, v11, v12
	v_or_b32_e32 v10, 2, v39
	v_mov_b64_e32 v[40:41], 0
	v_mov_b64_e32 v[44:45], 0
	;; [unrolled: 1-line block ×17, first 2 shown]
	s_wait_dscnt 0x0
	v_cndmask_b32_e32 v42, s33, v16, vcc_lo
	v_cmp_ne_u32_e32 vcc_lo, v11, v12
	s_mov_b32 s8, 0
	s_mov_b32 s7, exec_lo
                                        ; implicit-def: $sgpr6
                                        ; implicit-def: $vgpr60
	v_cndmask_b32_e64 v43, 0, 1, vcc_lo
	v_cmpx_gt_u32_e64 s15, v10
	s_cbranch_execz .LBB1526_67
; %bb.48:
	v_cmp_eq_u32_e32 vcc_lo, v12, v13
	v_mov_b64_e32 v[44:45], 0
	v_mov_b64_e32 v[46:47], 0
	;; [unrolled: 1-line block ×4, first 2 shown]
	v_dual_cndmask_b32 v40, s33, v17, vcc_lo :: v_dual_bitop2_b32 v10, 3, v39 bitop3:0x54
	v_cmp_ne_u32_e32 vcc_lo, v12, v13
	v_mov_b64_e32 v[52:53], 0
	v_mov_b64_e32 v[54:55], 0
	;; [unrolled: 1-line block ×11, first 2 shown]
	v_cndmask_b32_e64 v41, 0, 1, vcc_lo
	s_mov_b32 s9, 0
	s_mov_b32 s8, exec_lo
                                        ; implicit-def: $sgpr6
                                        ; implicit-def: $vgpr60
	v_cmpx_gt_u32_e64 s15, v10
	s_cbranch_execz .LBB1526_66
; %bb.49:
	ds_load_2addr_b32 v[10:11], v1 offset0:3 offset1:4
	v_cmp_ne_u32_e32 vcc_lo, v13, v6
	v_mov_b64_e32 v[46:47], 0
	v_mov_b64_e32 v[48:49], 0
	v_mov_b64_e32 v[50:51], 0
	v_mov_b64_e32 v[52:53], 0
	v_cndmask_b32_e64 v45, 0, 1, vcc_lo
	v_cmp_eq_u32_e32 vcc_lo, v13, v6
	v_mov_b64_e32 v[54:55], 0
	v_mov_b64_e32 v[56:57], 0
	;; [unrolled: 1-line block ×9, first 2 shown]
	v_add_nc_u32_e32 v12, 4, v39
	s_mov_b32 s10, 0
	s_mov_b32 s9, exec_lo
	s_wait_dscnt 0x0
	v_cndmask_b32_e32 v44, s33, v10, vcc_lo
                                        ; implicit-def: $sgpr6
                                        ; implicit-def: $vgpr60
	v_cmpx_gt_u32_e64 s15, v12
	s_cbranch_execz .LBB1526_65
; %bb.50:
	v_cmp_eq_u32_e32 vcc_lo, v6, v7
	v_mov_b64_e32 v[48:49], 0
	v_mov_b64_e32 v[50:51], 0
	;; [unrolled: 1-line block ×4, first 2 shown]
	v_cndmask_b32_e32 v46, s33, v11, vcc_lo
	v_cmp_ne_u32_e32 vcc_lo, v6, v7
	v_mov_b64_e32 v[56:57], 0
	v_mov_b64_e32 v[58:59], 0
	;; [unrolled: 1-line block ×7, first 2 shown]
	v_add_nc_u32_e32 v10, 5, v39
	v_cndmask_b32_e64 v47, 0, 1, vcc_lo
	s_mov_b32 s11, 0
	s_mov_b32 s10, exec_lo
                                        ; implicit-def: $sgpr6
                                        ; implicit-def: $vgpr60
	s_delay_alu instid0(VALU_DEP_2)
	v_cmpx_gt_u32_e64 s15, v10
	s_cbranch_execz .LBB1526_64
; %bb.51:
	ds_load_2addr_b32 v[10:11], v1 offset0:5 offset1:6
	v_cmp_ne_u32_e32 vcc_lo, v7, v8
	v_mov_b64_e32 v[50:51], 0
	v_mov_b64_e32 v[52:53], 0
	;; [unrolled: 1-line block ×4, first 2 shown]
	v_cndmask_b32_e64 v49, 0, 1, vcc_lo
	v_cmp_eq_u32_e32 vcc_lo, v7, v8
	v_mov_b64_e32 v[58:59], 0
	v_mov_b64_e32 v[24:25], 0
	;; [unrolled: 1-line block ×5, first 2 shown]
	v_add_nc_u32_e32 v6, 6, v39
	s_mov_b32 s12, 0
	s_mov_b32 s11, exec_lo
                                        ; implicit-def: $sgpr6
                                        ; implicit-def: $vgpr60
	s_wait_dscnt 0x0
	v_cndmask_b32_e32 v48, s33, v10, vcc_lo
	v_cmpx_gt_u32_e64 s15, v6
	s_cbranch_execz .LBB1526_63
; %bb.52:
	v_cmp_eq_u32_e32 vcc_lo, v8, v9
	v_mov_b64_e32 v[52:53], 0
	v_mov_b64_e32 v[54:55], 0
	;; [unrolled: 1-line block ×4, first 2 shown]
	v_cndmask_b32_e32 v50, s33, v11, vcc_lo
	v_cmp_ne_u32_e32 vcc_lo, v8, v9
	v_mov_b64_e32 v[22:23], 0
	v_mov_b64_e32 v[20:21], 0
	;; [unrolled: 1-line block ×3, first 2 shown]
	v_add_nc_u32_e32 v6, 7, v39
	v_cndmask_b32_e64 v51, 0, 1, vcc_lo
	s_mov_b32 s13, 0
	s_mov_b32 s12, exec_lo
                                        ; implicit-def: $sgpr6
                                        ; implicit-def: $vgpr60
	s_delay_alu instid0(VALU_DEP_2)
	v_cmpx_gt_u32_e64 s15, v6
	s_cbranch_execz .LBB1526_62
; %bb.53:
	ds_load_2addr_b32 v[6:7], v1 offset0:7 offset1:8
	v_cmp_ne_u32_e32 vcc_lo, v9, v2
	v_mov_b64_e32 v[54:55], 0
	v_mov_b64_e32 v[56:57], 0
	;; [unrolled: 1-line block ×4, first 2 shown]
	v_cndmask_b32_e64 v53, 0, 1, vcc_lo
	v_cmp_eq_u32_e32 vcc_lo, v9, v2
	v_mov_b64_e32 v[18:19], 0
	v_add_nc_u32_e32 v8, 8, v39
	s_mov_b32 s14, 0
	s_mov_b32 s13, exec_lo
                                        ; implicit-def: $sgpr6
                                        ; implicit-def: $vgpr60
	s_wait_dscnt 0x0
	v_cndmask_b32_e32 v52, s33, v6, vcc_lo
	v_cmpx_gt_u32_e64 s15, v8
	s_cbranch_execz .LBB1526_61
; %bb.54:
	v_cmp_eq_u32_e32 vcc_lo, v2, v3
	v_mov_b64_e32 v[56:57], 0
	v_mov_b64_e32 v[58:59], 0
	;; [unrolled: 1-line block ×3, first 2 shown]
	v_add_nc_u32_e32 v6, 9, v39
	v_cndmask_b32_e32 v54, s33, v7, vcc_lo
	v_cmp_ne_u32_e32 vcc_lo, v2, v3
	s_mov_b32 s37, 0
	s_mov_b32 s14, exec_lo
                                        ; implicit-def: $sgpr6
                                        ; implicit-def: $vgpr60
	v_cndmask_b32_e64 v55, 0, 1, vcc_lo
	v_cmpx_gt_u32_e64 s15, v6
	s_cbranch_execz .LBB1526_60
; %bb.55:
	ds_load_2addr_b32 v[6:7], v1 offset0:9 offset1:10
	v_cmp_ne_u32_e32 vcc_lo, v3, v4
	v_mov_b64_e32 v[58:59], 0
	s_mov_b32 s38, 0
	s_mov_b32 s37, exec_lo
                                        ; implicit-def: $sgpr6
                                        ; implicit-def: $vgpr60
	v_cndmask_b32_e64 v57, 0, 1, vcc_lo
	v_cmp_eq_u32_e32 vcc_lo, v3, v4
	s_wait_dscnt 0x0
	v_dual_add_nc_u32 v2, 10, v39 :: v_dual_cndmask_b32 v56, s33, v6, vcc_lo
	s_delay_alu instid0(VALU_DEP_1)
	v_cmpx_gt_u32_e64 s15, v2
	s_cbranch_execz .LBB1526_59
; %bb.56:
	v_cmp_eq_u32_e32 vcc_lo, v4, v5
	v_add_nc_u32_e32 v2, 11, v39
                                        ; implicit-def: $sgpr6
                                        ; implicit-def: $vgpr60
	v_cndmask_b32_e32 v58, s33, v7, vcc_lo
	v_cmp_ne_u32_e32 vcc_lo, v4, v5
	v_cndmask_b32_e64 v59, 0, 1, vcc_lo
	s_delay_alu instid0(VALU_DEP_4) | instskip(SKIP_2) | instid1(SALU_CYCLE_1)
	v_cmp_gt_u32_e32 vcc_lo, s15, v2
	s_mov_b32 s15, 0
	s_and_saveexec_b32 s38, vcc_lo
	s_xor_b32 s38, exec_lo, s38
	s_cbranch_execz .LBB1526_58
; %bb.57:
	ds_load_b32 v1, v1 offset:44
	v_cmp_ne_u32_e64 s6, v5, v38
	s_mov_b32 s15, exec_lo
	s_wait_dscnt 0x0
	v_cndmask_b32_e64 v60, v1, s33, s6
.LBB1526_58:
	s_or_b32 exec_lo, exec_lo, s38
	s_delay_alu instid0(SALU_CYCLE_1)
	s_and_b32 s38, s15, exec_lo
.LBB1526_59:
	s_or_b32 exec_lo, exec_lo, s37
	v_mov_b64_e32 v[18:19], v[58:59]
	s_and_b32 s37, s38, exec_lo
.LBB1526_60:
	s_or_b32 exec_lo, exec_lo, s14
	v_mov_b64_e32 v[20:21], v[56:57]
	s_and_b32 s14, s37, exec_lo
.LBB1526_61:
	s_or_b32 exec_lo, exec_lo, s13
	v_mov_b64_e32 v[22:23], v[54:55]
	s_and_b32 s13, s14, exec_lo
.LBB1526_62:
	s_or_b32 exec_lo, exec_lo, s12
	v_mov_b64_e32 v[24:25], v[52:53]
	s_and_b32 s12, s13, exec_lo
.LBB1526_63:
	s_or_b32 exec_lo, exec_lo, s11
	v_mov_b64_e32 v[26:27], v[50:51]
	s_and_b32 s11, s12, exec_lo
.LBB1526_64:
	s_or_b32 exec_lo, exec_lo, s10
	v_mov_b64_e32 v[28:29], v[48:49]
	s_and_b32 s10, s11, exec_lo
.LBB1526_65:
	s_or_b32 exec_lo, exec_lo, s9
	v_mov_b64_e32 v[30:31], v[46:47]
	s_and_b32 s9, s10, exec_lo
.LBB1526_66:
	s_or_b32 exec_lo, exec_lo, s8
	v_mov_b64_e32 v[32:33], v[44:45]
	s_and_b32 s8, s9, exec_lo
.LBB1526_67:
	s_or_b32 exec_lo, exec_lo, s7
	v_mov_b64_e32 v[34:35], v[40:41]
	s_and_b32 s7, s8, exec_lo
.LBB1526_68:
	s_or_b32 exec_lo, exec_lo, s5
	v_mov_b64_e32 v[36:37], v[42:43]
	s_and_b32 s5, s7, exec_lo
.LBB1526_69:
	s_or_b32 exec_lo, exec_lo, s4
	v_lshlrev_b32_e32 v16, 2, v0
	s_and_b32 vcc_lo, exec_lo, s1
	s_cbranch_vccnz .LBB1526_71
	s_branch .LBB1526_76
.LBB1526_70:
                                        ; implicit-def: $sgpr6
                                        ; implicit-def: $vgpr60
                                        ; implicit-def: $vgpr14_vgpr15
                                        ; implicit-def: $vgpr42_vgpr43
                                        ; implicit-def: $vgpr40_vgpr41
                                        ; implicit-def: $vgpr44_vgpr45
                                        ; implicit-def: $vgpr46_vgpr47
                                        ; implicit-def: $vgpr48_vgpr49
                                        ; implicit-def: $vgpr50_vgpr51
                                        ; implicit-def: $vgpr52_vgpr53
                                        ; implicit-def: $vgpr54_vgpr55
                                        ; implicit-def: $vgpr56_vgpr57
                                        ; implicit-def: $vgpr58_vgpr59
                                        ; implicit-def: $vgpr36_vgpr37
                                        ; implicit-def: $vgpr34_vgpr35
                                        ; implicit-def: $vgpr32_vgpr33
                                        ; implicit-def: $vgpr30_vgpr31
                                        ; implicit-def: $vgpr28_vgpr29
                                        ; implicit-def: $vgpr26_vgpr27
                                        ; implicit-def: $vgpr24_vgpr25
                                        ; implicit-def: $vgpr22_vgpr23
                                        ; implicit-def: $vgpr20_vgpr21
                                        ; implicit-def: $vgpr18_vgpr19
	v_lshlrev_b32_e32 v16, 2, v0
	s_cbranch_execz .LBB1526_76
.LBB1526_71:
	s_clause 0xb
	flat_load_b32 v1, v0, s[34:35] scale_offset
	flat_load_b32 v2, v0, s[34:35] offset:1024 scale_offset
	flat_load_b32 v3, v0, s[34:35] offset:2048 scale_offset
	;; [unrolled: 1-line block ×11, first 2 shown]
	v_mov_b32_e32 v13, 0
	v_mad_u32_u24 v28, v0, 44, v16
	s_mov_b32 s1, exec_lo
	s_wait_loadcnt_dscnt 0xa0a
	ds_store_2addr_stride64_b32 v16, v1, v2 offset1:4
	s_wait_loadcnt_dscnt 0x809
	ds_store_2addr_stride64_b32 v16, v3, v4 offset0:8 offset1:12
	s_wait_loadcnt_dscnt 0x608
	ds_store_2addr_stride64_b32 v16, v5, v6 offset0:16 offset1:20
	;; [unrolled: 2-line block ×5, first 2 shown]
	s_wait_dscnt 0x0
	s_barrier_signal -1
	s_barrier_wait -1
	flat_load_b32 v1, v13, s[34:35] offset:12288
	s_wait_xcnt 0x0
	ds_load_b128 v[10:13], v28
	ds_load_b128 v[6:9], v28 offset:16
	ds_load_b128 v[2:5], v28 offset:32
	v_mad_i32_i24 v14, 0xffffffd4, v0, v28
	s_wait_dscnt 0x2
	ds_store_b32 v14, v10 offset:13312
	s_wait_loadcnt_dscnt 0x0
	s_barrier_signal -1
	s_barrier_wait -1
	v_cmpx_ne_u32_e32 0xff, v0
; %bb.72:
	v_mul_i32_i24_e32 v1, 0xffffffd4, v0
	s_delay_alu instid0(VALU_DEP_1)
	v_add_nc_u32_e32 v1, v28, v1
	ds_load_b32 v1, v1 offset:13316
; %bb.73:
	s_or_b32 exec_lo, exec_lo, s1
	s_wait_dscnt 0x0
	s_barrier_signal -1
	s_barrier_wait -1
	s_clause 0xb
	flat_load_b32 v14, v0, s[24:25] scale_offset
	flat_load_b32 v15, v0, s[24:25] offset:1024 scale_offset
	flat_load_b32 v17, v0, s[24:25] offset:2048 scale_offset
	;; [unrolled: 1-line block ×11, first 2 shown]
	v_cmp_eq_u32_e32 vcc_lo, v10, v11
	v_mov_b32_e32 v10, s33
	s_wait_loadcnt_dscnt 0xa0a
	ds_store_2addr_stride64_b32 v16, v14, v15 offset1:4
	s_wait_loadcnt_dscnt 0x809
	ds_store_2addr_stride64_b32 v16, v17, v18 offset0:8 offset1:12
	s_wait_loadcnt_dscnt 0x608
	ds_store_2addr_stride64_b32 v16, v19, v20 offset0:16 offset1:20
	;; [unrolled: 2-line block ×5, first 2 shown]
	s_wait_dscnt 0x0
	s_barrier_signal -1
	s_barrier_wait -1
	ds_load_2addr_b32 v[26:27], v28 offset0:1 offset1:2
	ds_load_2addr_b32 v[24:25], v28 offset0:3 offset1:4
	;; [unrolled: 1-line block ×5, first 2 shown]
	ds_load_b32 v17, v28 offset:44
	v_mov_b64_e32 v[14:15], 0x100000000
	s_and_saveexec_b32 s1, vcc_lo
; %bb.74:
	ds_load_b32 v10, v28
	v_mov_b64_e32 v[14:15], 0
; %bb.75:
	s_or_b32 exec_lo, exec_lo, s1
	v_cmp_eq_u32_e32 vcc_lo, v11, v12
	v_cmp_ne_u32_e64 s6, v5, v1
	s_mov_b32 s5, -1
	s_wait_dscnt 0x5
	v_cndmask_b32_e32 v42, s33, v26, vcc_lo
	v_cmp_ne_u32_e32 vcc_lo, v11, v12
	s_wait_dscnt 0x0
	v_cndmask_b32_e64 v60, v17, s33, s6
	v_cndmask_b32_e64 v43, 0, 1, vcc_lo
	v_cmp_eq_u32_e32 vcc_lo, v12, v13
	v_or_b32_e32 v14, v14, v10
	s_delay_alu instid0(VALU_DEP_3) | instskip(SKIP_4) | instid1(VALU_DEP_2)
	v_mov_b64_e32 v[36:37], v[42:43]
	v_cndmask_b32_e32 v40, s33, v27, vcc_lo
	v_cmp_ne_u32_e32 vcc_lo, v12, v13
	v_cndmask_b32_e64 v41, 0, 1, vcc_lo
	v_cmp_eq_u32_e32 vcc_lo, v13, v6
	v_mov_b64_e32 v[34:35], v[40:41]
	v_cndmask_b32_e32 v44, s33, v24, vcc_lo
	v_cmp_ne_u32_e32 vcc_lo, v13, v6
	v_cndmask_b32_e64 v45, 0, 1, vcc_lo
	v_cmp_eq_u32_e32 vcc_lo, v6, v7
	s_delay_alu instid0(VALU_DEP_2) | instskip(SKIP_4) | instid1(VALU_DEP_2)
	v_mov_b64_e32 v[32:33], v[44:45]
	v_cndmask_b32_e32 v46, s33, v25, vcc_lo
	v_cmp_ne_u32_e32 vcc_lo, v6, v7
	v_cndmask_b32_e64 v47, 0, 1, vcc_lo
	v_cmp_eq_u32_e32 vcc_lo, v7, v8
	v_mov_b64_e32 v[30:31], v[46:47]
	v_cndmask_b32_e32 v48, s33, v22, vcc_lo
	v_cmp_ne_u32_e32 vcc_lo, v7, v8
	v_cndmask_b32_e64 v49, 0, 1, vcc_lo
	v_cmp_eq_u32_e32 vcc_lo, v8, v9
	s_delay_alu instid0(VALU_DEP_2) | instskip(SKIP_4) | instid1(VALU_DEP_2)
	;; [unrolled: 11-line block ×3, first 2 shown]
	v_mov_b64_e32 v[24:25], v[52:53]
	v_cndmask_b32_e32 v54, s33, v21, vcc_lo
	v_cmp_ne_u32_e32 vcc_lo, v2, v3
	v_cndmask_b32_e64 v55, 0, 1, vcc_lo
	v_cmp_eq_u32_e32 vcc_lo, v3, v4
	v_mov_b64_e32 v[22:23], v[54:55]
	v_cndmask_b32_e32 v56, s33, v18, vcc_lo
	v_cmp_ne_u32_e32 vcc_lo, v3, v4
	v_cndmask_b32_e64 v57, 0, 1, vcc_lo
	v_cmp_eq_u32_e32 vcc_lo, v4, v5
	s_delay_alu instid0(VALU_DEP_2) | instskip(SKIP_3) | instid1(VALU_DEP_1)
	v_mov_b64_e32 v[20:21], v[56:57]
	v_cndmask_b32_e32 v58, s33, v19, vcc_lo
	v_cmp_ne_u32_e32 vcc_lo, v4, v5
	v_cndmask_b32_e64 v59, 0, 1, vcc_lo
	v_mov_b64_e32 v[18:19], v[58:59]
.LBB1526_76:
	v_mov_b64_e32 v[38:39], 0
	s_and_saveexec_b32 s1, s5
	s_cbranch_execz .LBB1526_78
; %bb.77:
	v_cndmask_b32_e64 v61, 0, 1, s6
	v_mov_b64_e32 v[18:19], v[58:59]
	v_mov_b64_e32 v[20:21], v[56:57]
	;; [unrolled: 1-line block ×11, first 2 shown]
.LBB1526_78:
	s_or_b32 exec_lo, exec_lo, s1
	v_dual_lshrrev_b32 v1, 2, v0 :: v_dual_bitop2_b32 v40, v25, v23 bitop3:0x54
	s_delay_alu instid0(VALU_DEP_3)
	v_or_b32_e32 v17, v21, v19
	s_cmp_lg_u32 s36, 0
	v_cmp_gt_u32_e32 vcc_lo, 32, v0
	s_barrier_signal -1
	s_barrier_wait -1
	s_cbranch_scc0 .LBB1526_116
; %bb.79:
	s_mov_b64 s[14:15], 0x100000000
	v_or3_b32 v3, v40, v27, v29
	v_cmp_gt_u64_e64 s1, s[14:15], v[36:37]
	v_cmp_gt_u64_e64 s4, s[14:15], v[34:35]
	;; [unrolled: 1-line block ×7, first 2 shown]
	v_dual_cndmask_b32 v2, 0, v14, s1 :: v_dual_bitop2_b32 v5, 56, v1 bitop3:0x40
	v_cmp_gt_u64_e64 s9, s[14:15], v[24:25]
	v_cmp_gt_u64_e64 s10, s[14:15], v[22:23]
	;; [unrolled: 1-line block ×3, first 2 shown]
	s_delay_alu instid0(VALU_DEP_4) | instskip(SKIP_3) | instid1(VALU_DEP_4)
	v_add_nc_u32_e32 v2, v2, v36
	v_or3_b32 v3, v3, v31, v33
	v_cmp_gt_u64_e64 s12, s[14:15], v[18:19]
	v_lshl_add_u32 v5, v0, 3, v5
	v_cndmask_b32_e64 v2, 0, v2, s4
	s_delay_alu instid0(VALU_DEP_4) | instskip(NEXT) | instid1(VALU_DEP_2)
	v_or3_b32 v3, v3, v35, v37
	v_add_nc_u32_e32 v2, v2, v34
	s_delay_alu instid0(VALU_DEP_2) | instskip(NEXT) | instid1(VALU_DEP_2)
	v_or3_b32 v3, v39, v17, v3
	v_cndmask_b32_e64 v2, 0, v2, s5
	s_delay_alu instid0(VALU_DEP_2) | instskip(NEXT) | instid1(VALU_DEP_2)
	v_and_b32_e32 v3, 0xff, v3
	v_add_nc_u32_e32 v2, v2, v32
	s_delay_alu instid0(VALU_DEP_1) | instskip(NEXT) | instid1(VALU_DEP_1)
	v_cndmask_b32_e64 v2, 0, v2, s6
	v_add_nc_u32_e32 v2, v2, v30
	s_delay_alu instid0(VALU_DEP_1) | instskip(NEXT) | instid1(VALU_DEP_1)
	v_cndmask_b32_e64 v2, 0, v2, s7
	;; [unrolled: 3-line block ×7, first 2 shown]
	v_dual_add_nc_u32 v4, v2, v18 :: v_dual_mov_b32 v2, 0
	s_delay_alu instid0(VALU_DEP_1) | instskip(NEXT) | instid1(VALU_DEP_2)
	v_cndmask_b32_e64 v4, 0, v4, s13
	v_cmp_eq_u64_e64 s13, 0, v[2:3]
	s_delay_alu instid0(VALU_DEP_1)
	v_dual_add_nc_u32 v12, v4, v38 :: v_dual_cndmask_b32 v13, 1, v15, s13
	ds_store_b32 v5, v12
	ds_store_b8 v5, v13 offset:4
	s_wait_dscnt 0x0
	s_barrier_signal -1
	s_barrier_wait -1
	s_and_saveexec_b32 s14, vcc_lo
	s_cbranch_execz .LBB1526_89
; %bb.80:
	v_dual_lshlrev_b32 v2, 1, v0 :: v_dual_lshlrev_b32 v3, 6, v0
	s_mov_b32 s15, exec_lo
	s_delay_alu instid0(VALU_DEP_1) | instskip(NEXT) | instid1(VALU_DEP_1)
	v_and_b32_e32 v2, 0x1f8, v2
	v_add_nc_u32_e32 v4, v2, v3
	ds_load_u8 v5, v4 offset:12
	ds_load_b64 v[2:3], v4
	ds_load_2addr_b32 v[6:7], v4 offset0:2 offset1:4
	ds_load_u8 v10, v4 offset:20
	ds_load_u8 v11, v4 offset:28
	;; [unrolled: 1-line block ×5, first 2 shown]
	ds_load_b32 v44, v4 offset:56
	s_wait_dscnt 0x8
	v_cmp_eq_u16_e64 s13, 0, v5
	s_wait_dscnt 0x5
	s_delay_alu instid0(VALU_DEP_1)
	v_dual_cndmask_b32 v45, 0, v2, s13 :: v_dual_bitop2_b32 v5, v10, v5 bitop3:0x54
	ds_load_2addr_b32 v[8:9], v4 offset0:6 offset1:8
	v_cmp_eq_u16_e64 s13, 0, v10
	s_wait_dscnt 0x4
	v_bitop3_b16 v5, v5, v41, v11 bitop3:0xfe
	v_add_nc_u32_e32 v6, v45, v6
	s_delay_alu instid0(VALU_DEP_1) | instskip(SKIP_1) | instid1(VALU_DEP_2)
	v_cndmask_b32_e64 v6, 0, v6, s13
	v_cmp_eq_u16_e64 s13, 0, v11
	v_add_nc_u32_e32 v6, v6, v7
	s_delay_alu instid0(VALU_DEP_1)
	v_cndmask_b32_e64 v45, 0, v6, s13
	ds_load_2addr_b32 v[6:7], v4 offset0:10 offset1:12
	v_cmp_eq_u16_e64 s13, 0, v41
	s_wait_dscnt 0x1
	v_add_nc_u32_e32 v8, v45, v8
	ds_load_u8 v45, v4 offset:60
	v_cndmask_b32_e64 v8, 0, v8, s13
	v_cmp_eq_u16_e64 s13, 0, v42
	s_delay_alu instid0(VALU_DEP_2) | instskip(SKIP_1) | instid1(VALU_DEP_2)
	v_add_nc_u32_e32 v8, v8, v9
	v_bitop3_b16 v9, v5, v43, v42 bitop3:0xfe
	v_dual_cndmask_b32 v8, 0, v8, s13 :: v_dual_bitop2_b32 v5, 1, v3 bitop3:0x40
	s_delay_alu instid0(VALU_DEP_2) | instskip(SKIP_1) | instid1(VALU_DEP_2)
	v_cmp_eq_u16_e64 s13, 0, v9
	s_wait_dscnt 0x0
	v_dual_add_nc_u32 v6, v8, v6 :: v_dual_bitop2_b32 v8, 1, v45 bitop3:0x40
	s_delay_alu instid0(VALU_DEP_2) | instskip(SKIP_1) | instid1(VALU_DEP_1)
	v_cndmask_b32_e64 v9, 1, v5, s13
	v_cmp_eq_u16_e64 s13, 0, v43
	v_cndmask_b32_e64 v6, 0, v6, s13
	s_delay_alu instid0(VALU_DEP_4) | instskip(SKIP_1) | instid1(VALU_DEP_2)
	v_cmp_eq_u32_e64 s13, 1, v8
	v_mbcnt_lo_u32_b32 v8, -1, 0
	v_cndmask_b32_e64 v9, v9, 1, s13
	v_cmp_eq_u16_e64 s13, 0, v45
	s_delay_alu instid0(VALU_DEP_2) | instskip(SKIP_2) | instid1(VALU_DEP_1)
	v_and_b32_e32 v10, 0xffff, v9
	v_add_nc_u32_e32 v7, v6, v7
	v_and_b32_e32 v6, 0xffffff00, v3
	v_dual_cndmask_b32 v7, 0, v7, s13 :: v_dual_bitop2_b32 v11, v6, v10 bitop3:0x54
	v_and_b32_e32 v10, 15, v8
	s_delay_alu instid0(VALU_DEP_2) | instskip(NEXT) | instid1(VALU_DEP_3)
	v_mov_b32_dpp v42, v11 row_shr:1 row_mask:0xf bank_mask:0xf
	v_add_nc_u32_e32 v7, v7, v44
	s_delay_alu instid0(VALU_DEP_1) | instskip(NEXT) | instid1(VALU_DEP_4)
	v_mov_b32_dpp v41, v7 row_shr:1 row_mask:0xf bank_mask:0xf
	v_cmpx_ne_u32_e32 0, v10
	s_cbranch_execz .LBB1526_82
; %bb.81:
	v_and_b32_e32 v11, 1, v9
	v_and_b32_e32 v42, 1, v42
	s_delay_alu instid0(VALU_DEP_2) | instskip(NEXT) | instid1(VALU_DEP_1)
	v_cmp_eq_u32_e64 s13, 1, v11
	v_cndmask_b32_e64 v42, v42, 1, s13
	v_cmp_eq_u16_e64 s13, 0, v9
	s_delay_alu instid0(VALU_DEP_2) | instskip(NEXT) | instid1(VALU_DEP_1)
	v_and_b32_e32 v11, 0xffff, v42
	v_dual_cndmask_b32 v9, 0, v41, s13 :: v_dual_bitop2_b32 v11, v6, v11 bitop3:0x54
	s_delay_alu instid0(VALU_DEP_1)
	v_dual_add_nc_u32 v7, v9, v7 :: v_dual_mov_b32 v9, v42
.LBB1526_82:
	s_or_b32 exec_lo, exec_lo, s15
	s_delay_alu instid0(VALU_DEP_1) | instskip(NEXT) | instid1(VALU_DEP_3)
	v_mov_b32_dpp v41, v7 row_shr:2 row_mask:0xf bank_mask:0xf
	v_mov_b32_dpp v42, v11 row_shr:2 row_mask:0xf bank_mask:0xf
	s_mov_b32 s15, exec_lo
	v_cmpx_lt_u32_e32 1, v10
	s_cbranch_execz .LBB1526_84
; %bb.83:
	v_and_b32_e32 v11, 1, v9
	v_and_b32_e32 v42, 1, v42
	s_delay_alu instid0(VALU_DEP_2) | instskip(NEXT) | instid1(VALU_DEP_1)
	v_cmp_eq_u32_e64 s13, 1, v11
	v_cndmask_b32_e64 v42, v42, 1, s13
	v_cmp_eq_u16_e64 s13, 0, v9
	s_delay_alu instid0(VALU_DEP_2) | instskip(NEXT) | instid1(VALU_DEP_1)
	v_and_b32_e32 v11, 0xffff, v42
	v_dual_cndmask_b32 v9, 0, v41, s13 :: v_dual_bitop2_b32 v11, v6, v11 bitop3:0x54
	s_delay_alu instid0(VALU_DEP_1)
	v_dual_add_nc_u32 v7, v9, v7 :: v_dual_mov_b32 v9, v42
.LBB1526_84:
	s_or_b32 exec_lo, exec_lo, s15
	s_delay_alu instid0(VALU_DEP_1) | instskip(NEXT) | instid1(VALU_DEP_3)
	v_mov_b32_dpp v41, v7 row_shr:4 row_mask:0xf bank_mask:0xf
	v_mov_b32_dpp v42, v11 row_shr:4 row_mask:0xf bank_mask:0xf
	s_mov_b32 s15, exec_lo
	v_cmpx_lt_u32_e32 3, v10
	;; [unrolled: 20-line block ×3, first 2 shown]
	s_cbranch_execz .LBB1526_88
; %bb.87:
	v_and_b32_e32 v10, 1, v9
	v_and_b32_e32 v11, 1, v42
	s_delay_alu instid0(VALU_DEP_2) | instskip(NEXT) | instid1(VALU_DEP_1)
	v_cmp_eq_u32_e64 s13, 1, v10
	v_cndmask_b32_e64 v10, v11, 1, s13
	v_cmp_eq_u16_e64 s13, 0, v9
	s_delay_alu instid0(VALU_DEP_2) | instskip(NEXT) | instid1(VALU_DEP_1)
	v_and_b32_e32 v11, 0xffff, v10
	v_dual_cndmask_b32 v9, 0, v41, s13 :: v_dual_bitop2_b32 v11, v6, v11 bitop3:0x54
	s_delay_alu instid0(VALU_DEP_1)
	v_dual_add_nc_u32 v7, v9, v7 :: v_dual_mov_b32 v9, v10
.LBB1526_88:
	s_or_b32 exec_lo, exec_lo, s15
	ds_swizzle_b32 v10, v11 offset:swizzle(BROADCAST,32,15)
	ds_swizzle_b32 v11, v7 offset:swizzle(BROADCAST,32,15)
	v_and_b32_e32 v41, 1, v9
	v_bfe_i32 v43, v8, 4, 1
	v_and_b32_e32 v3, 0xff, v3
	; wave barrier
	s_delay_alu instid0(VALU_DEP_3) | instskip(SKIP_2) | instid1(VALU_DEP_1)
	v_cmp_eq_u32_e64 s13, 1, v41
	s_wait_dscnt 0x1
	v_dual_add_nc_u32 v41, -1, v8 :: v_dual_bitop2_b32 v10, 1, v10 bitop3:0x40
	v_cndmask_b32_e64 v10, v10, 1, s13
	v_and_b32_e32 v42, 16, v8
	v_cmp_eq_u16_e64 s13, 0, v9
	s_wait_dscnt 0x0
	s_delay_alu instid0(VALU_DEP_1) | instskip(NEXT) | instid1(VALU_DEP_3)
	v_cndmask_b32_e64 v11, 0, v11, s13
	v_cmp_eq_u32_e64 s13, 0, v42
	s_delay_alu instid0(VALU_DEP_1) | instskip(SKIP_1) | instid1(VALU_DEP_4)
	v_cndmask_b32_e64 v9, v10, v9, s13
	v_cmp_gt_i32_e64 s13, 0, v41
	v_and_b32_e32 v10, v43, v11
	s_delay_alu instid0(VALU_DEP_3) | instskip(NEXT) | instid1(VALU_DEP_2)
	v_and_b32_e32 v9, 0xffff, v9
	v_dual_cndmask_b32 v8, v41, v8, s13 :: v_dual_add_nc_u32 v7, v10, v7
	v_cmp_eq_u16_e64 s13, 0, v3
	s_delay_alu instid0(VALU_DEP_2)
	v_lshlrev_b32_e32 v8, 2, v8
	ds_bpermute_b32 v7, v8, v7
	s_wait_dscnt 0x0
	v_dual_cndmask_b32 v3, 0, v7, s13 :: v_dual_bitop2_b32 v6, v6, v9 bitop3:0x54
	ds_bpermute_b32 v6, v8, v6
	v_cmp_eq_u32_e64 s13, 1, v5
	v_add_nc_u32_e32 v2, v3, v2
	s_wait_dscnt 0x0
	s_delay_alu instid0(VALU_DEP_1) | instskip(NEXT) | instid1(VALU_DEP_1)
	v_dual_cndmask_b32 v5, v2, v12, s2 :: v_dual_bitop2_b32 v6, 1, v6 bitop3:0x40
	v_cndmask_b32_e64 v3, v6, 1, s13
	s_delay_alu instid0(VALU_DEP_1)
	v_cndmask_b32_e64 v8, v3, v13, s2
	ds_store_b32 v4, v5
	ds_store_b8 v4, v8 offset:4
	; wave barrier
	ds_load_u8 v9, v4 offset:12
	ds_load_2addr_b32 v[2:3], v4 offset0:2 offset1:4
	ds_load_u8 v10, v4 offset:20
	ds_load_u8 v11, v4 offset:28
	;; [unrolled: 1-line block ×5, first 2 shown]
	ds_load_b32 v44, v4 offset:56
	ds_load_u8 v45, v4 offset:60
	ds_load_2addr_b32 v[6:7], v4 offset0:6 offset1:8
	s_wait_dscnt 0x9
	v_cmp_eq_u16_e64 s13, 0, v9
	v_and_b32_e32 v9, 1, v9
	s_delay_alu instid0(VALU_DEP_2) | instskip(SKIP_2) | instid1(VALU_DEP_2)
	v_cndmask_b32_e64 v5, 0, v5, s13
	s_wait_dscnt 0x7
	v_cmp_eq_u16_e64 s13, 0, v10
	v_add_nc_u32_e32 v5, v5, v2
	s_delay_alu instid0(VALU_DEP_1) | instskip(SKIP_2) | instid1(VALU_DEP_2)
	v_cndmask_b32_e64 v2, 0, v5, s13
	s_wait_dscnt 0x6
	v_cmp_eq_u16_e64 s13, 0, v11
	v_add_nc_u32_e32 v46, v2, v3
	ds_load_2addr_b32 v[2:3], v4 offset0:10 offset1:12
	v_cndmask_b32_e64 v47, 0, v46, s13
	s_wait_dscnt 0x6
	v_cmp_eq_u16_e64 s13, 0, v41
	ds_store_2addr_b32 v4, v5, v46 offset0:2 offset1:4
	s_wait_dscnt 0x2
	v_add_nc_u32_e32 v6, v47, v6
	s_delay_alu instid0(VALU_DEP_1) | instskip(SKIP_3) | instid1(VALU_DEP_4)
	v_cndmask_b32_e64 v47, 0, v6, s13
	v_cmp_eq_u32_e64 s13, 1, v9
	v_and_b32_e32 v9, 1, v11
	v_and_b32_e32 v11, 1, v41
	v_dual_add_nc_u32 v7, v47, v7 :: v_dual_bitop2_b32 v10, 1, v10 bitop3:0x40
	s_delay_alu instid0(VALU_DEP_4) | instskip(SKIP_1) | instid1(VALU_DEP_3)
	v_cndmask_b32_e64 v8, v8, 1, s13
	v_and_b32_e32 v47, 1, v45
	v_cmp_eq_u32_e64 s13, 1, v10
	s_delay_alu instid0(VALU_DEP_1) | instskip(SKIP_1) | instid1(VALU_DEP_1)
	v_cndmask_b32_e64 v10, v8, 1, s13
	v_cmp_eq_u16_e64 s13, 0, v42
	v_dual_cndmask_b32 v41, 0, v7, s13 :: v_dual_bitop2_b32 v42, 1, v42 bitop3:0x40
	v_cmp_eq_u32_e64 s13, 1, v9
	s_wait_dscnt 0x1
	s_delay_alu instid0(VALU_DEP_2) | instskip(NEXT) | instid1(VALU_DEP_2)
	v_dual_add_nc_u32 v2, v41, v2 :: v_dual_bitop2_b32 v41, 1, v43 bitop3:0x40
	v_cndmask_b32_e64 v9, v10, 1, s13
	v_cmp_eq_u32_e64 s13, 1, v11
	s_delay_alu instid0(VALU_DEP_1) | instskip(SKIP_1) | instid1(VALU_DEP_1)
	v_cndmask_b32_e64 v11, v9, 1, s13
	v_cmp_eq_u16_e64 s13, 0, v43
	v_cndmask_b32_e64 v43, 0, v2, s13
	v_cmp_eq_u32_e64 s13, 1, v42
	s_delay_alu instid0(VALU_DEP_2) | instskip(NEXT) | instid1(VALU_DEP_2)
	v_add_nc_u32_e32 v3, v43, v3
	v_cndmask_b32_e64 v42, v11, 1, s13
	v_cmp_eq_u32_e64 s13, 1, v41
	ds_store_2addr_b32 v4, v6, v7 offset0:6 offset1:8
	ds_store_2addr_b32 v4, v2, v3 offset0:10 offset1:12
	v_cndmask_b32_e64 v41, v42, 1, s13
	v_cmp_eq_u16_e64 s13, 0, v45
	s_delay_alu instid0(VALU_DEP_1) | instskip(SKIP_1) | instid1(VALU_DEP_2)
	v_cndmask_b32_e64 v5, 0, v3, s13
	v_cmp_eq_u32_e64 s13, 1, v47
	v_add_nc_u32_e32 v2, v5, v44
	s_delay_alu instid0(VALU_DEP_2)
	v_cndmask_b32_e64 v43, v41, 1, s13
	ds_store_b8 v4, v8 offset:12
	ds_store_b8 v4, v10 offset:20
	;; [unrolled: 1-line block ×6, first 2 shown]
	ds_store_b32 v4, v2 offset:56
	ds_store_b8 v4, v43 offset:60
.LBB1526_89:
	s_or_b32 exec_lo, exec_lo, s14
	s_wait_dscnt 0x0
	s_barrier_signal -1
	s_barrier_wait -1
	s_and_saveexec_b32 s13, s3
	s_cbranch_execz .LBB1526_91
; %bb.90:
	v_add_nc_u32_e32 v2, -1, v0
	s_delay_alu instid0(VALU_DEP_1) | instskip(NEXT) | instid1(VALU_DEP_1)
	v_lshrrev_b32_e32 v3, 2, v2
	v_and_b32_e32 v3, 0x3ffffff8, v3
	s_delay_alu instid0(VALU_DEP_1)
	v_lshl_add_u32 v2, v2, 3, v3
	ds_load_b32 v12, v2
	ds_load_u8 v13, v2 offset:4
.LBB1526_91:
	s_or_b32 exec_lo, exec_lo, s13
	s_and_saveexec_b32 s34, vcc_lo
	s_cbranch_execz .LBB1526_161
; %bb.92:
	v_mov_b32_e32 v5, 0
	v_mbcnt_lo_u32_b32 v41, -1, 0
	s_mov_b32 s15, 0
	ds_load_b64 v[2:3], v5 offset:2096
	v_cmp_eq_u32_e64 s13, 0, v41
	s_and_saveexec_b32 s24, s13
	s_cbranch_execz .LBB1526_94
; %bb.93:
	s_add_co_i32 s14, s36, 32
	v_mov_b32_e32 v4, 1
	s_lshl_b64 s[14:15], s[14:15], 4
	s_delay_alu instid0(SALU_CYCLE_1) | instskip(NEXT) | instid1(SALU_CYCLE_1)
	s_add_nc_u64 s[14:15], s[20:21], s[14:15]
	v_mov_b64_e32 v[6:7], s[14:15]
	s_wait_dscnt 0x0
	;;#ASMSTART
	global_store_b128 v[6:7], v[2:5] off scope:SCOPE_DEV	
s_wait_storecnt 0x0
	;;#ASMEND
.LBB1526_94:
	s_or_b32 exec_lo, exec_lo, s24
	v_xad_u32 v8, v41, -1, s36
	s_mov_b32 s14, exec_lo
	s_delay_alu instid0(VALU_DEP_1) | instskip(NEXT) | instid1(VALU_DEP_1)
	v_add_nc_u32_e32 v4, 32, v8
	v_lshl_add_u64 v[10:11], v[4:5], 4, s[20:21]
	;;#ASMSTART
	global_load_b128 v[4:7], v[10:11] off scope:SCOPE_DEV	
s_wait_loadcnt 0x0
	;;#ASMEND
	v_and_b32_e32 v7, 0xff, v6
	v_and_b32_e32 v5, 0xff, v5
	s_delay_alu instid0(VALU_DEP_2)
	v_cmpx_eq_u16_e32 0, v7
	s_cbranch_execz .LBB1526_98
; %bb.95:
	s_mov_b32 s15, 0
.LBB1526_96:                            ; =>This Inner Loop Header: Depth=1
	;;#ASMSTART
	global_load_b128 v[4:7], v[10:11] off scope:SCOPE_DEV	
s_wait_loadcnt 0x0
	;;#ASMEND
	v_and_b32_e32 v7, 0xff, v6
	s_delay_alu instid0(VALU_DEP_1) | instskip(SKIP_1) | instid1(SALU_CYCLE_1)
	v_cmp_ne_u16_e32 vcc_lo, 0, v7
	s_or_b32 s15, vcc_lo, s15
	s_and_not1_b32 exec_lo, exec_lo, s15
	s_cbranch_execnz .LBB1526_96
; %bb.97:
	s_or_b32 exec_lo, exec_lo, s15
	v_and_b32_e32 v5, 0xff, v5
.LBB1526_98:
	s_or_b32 exec_lo, exec_lo, s14
	v_cmp_ne_u32_e32 vcc_lo, 31, v41
	v_and_b32_e32 v9, 0xff, v6
	v_lshlrev_b32_e64 v43, v41, -1
	s_mov_b64 s[24:25], 0x100000000
	v_lshl_or_b32 v52, v41, 2, 64
	v_add_co_ci_u32_e64 v7, null, 0, v41, vcc_lo
	v_cmp_eq_u16_e32 vcc_lo, 2, v9
	v_cmp_gt_u64_e64 s14, s[24:25], v[4:5]
	s_delay_alu instid0(VALU_DEP_3) | instskip(SKIP_1) | instid1(VALU_DEP_2)
	v_dual_lshlrev_b32 v42, 2, v7 :: v_dual_bitop2_b32 v10, 1, v5 bitop3:0x40
	v_and_or_b32 v9, vcc_lo, v43, 0x80000000
	v_cmp_eq_u32_e32 vcc_lo, 1, v10
	ds_bpermute_b32 v7, v42, v5
	ds_bpermute_b32 v10, v42, v4
	v_ctz_i32_b32_e32 v9, v9
	s_wait_dscnt 0x1
	v_and_b32_e32 v7, 1, v7
	s_delay_alu instid0(VALU_DEP_1) | instskip(SKIP_1) | instid1(VALU_DEP_2)
	v_cndmask_b32_e64 v7, v7, 1, vcc_lo
	v_cmp_gt_u32_e32 vcc_lo, 30, v41
	v_and_b32_e32 v45, 0xffff, v7
	v_cndmask_b32_e64 v11, 0, 2, vcc_lo
	v_cmp_lt_u32_e32 vcc_lo, v41, v9
	s_delay_alu instid0(VALU_DEP_2) | instskip(NEXT) | instid1(VALU_DEP_4)
	v_add_lshl_u32 v44, v11, v41, 2
	v_dual_cndmask_b32 v11, v5, v45, vcc_lo :: v_dual_cndmask_b32 v7, v5, v7, vcc_lo
	s_and_b32 vcc_lo, vcc_lo, s14
	s_wait_dscnt 0x0
	v_cndmask_b32_e32 v10, 0, v10, vcc_lo
	ds_bpermute_b32 v5, v44, v11
	v_and_b32_e32 v46, 1, v7
	v_and_b32_e32 v48, 0xff, v7
	v_add_nc_u32_e32 v4, v10, v4
	s_delay_alu instid0(VALU_DEP_3) | instskip(NEXT) | instid1(VALU_DEP_3)
	v_cmp_eq_u32_e32 vcc_lo, 1, v46
	v_cmp_eq_u16_e64 s14, 0, v48
	ds_bpermute_b32 v10, v44, v4
	s_wait_dscnt 0x1
	v_and_b32_e32 v5, 1, v5
	s_delay_alu instid0(VALU_DEP_1) | instskip(SKIP_2) | instid1(VALU_DEP_3)
	v_cndmask_b32_e64 v5, v5, 1, vcc_lo
	v_add_nc_u32_e32 v45, 2, v41
	v_cmp_gt_u32_e32 vcc_lo, 28, v41
	v_and_b32_e32 v47, 0xffff, v5
	v_cndmask_b32_e64 v46, 0, 4, vcc_lo
	s_delay_alu instid0(VALU_DEP_4) | instskip(NEXT) | instid1(VALU_DEP_2)
	v_cmp_gt_u32_e32 vcc_lo, v45, v9
	v_add_lshl_u32 v46, v46, v41, 2
	v_cndmask_b32_e32 v5, v5, v7, vcc_lo
	s_wait_dscnt 0x0
	v_dual_cndmask_b32 v7, v47, v11, vcc_lo :: v_dual_cndmask_b32 v10, 0, v10, s14
	s_delay_alu instid0(VALU_DEP_2) | instskip(SKIP_4) | instid1(VALU_DEP_3)
	v_and_b32_e32 v48, 1, v5
	ds_bpermute_b32 v11, v46, v7
	v_cndmask_b32_e64 v10, v10, 0, vcc_lo
	v_cmp_eq_u32_e32 vcc_lo, 1, v48
	v_and_b32_e32 v48, 0xff, v5
	v_add_nc_u32_e32 v4, v10, v4
	s_delay_alu instid0(VALU_DEP_2)
	v_cmp_eq_u16_e64 s14, 0, v48
	s_wait_dscnt 0x0
	v_and_b32_e32 v11, 1, v11
	ds_bpermute_b32 v10, v46, v4
	v_add_nc_u32_e32 v47, 4, v41
	v_cndmask_b32_e64 v11, v11, 1, vcc_lo
	v_cmp_gt_u32_e32 vcc_lo, 24, v41
	s_delay_alu instid0(VALU_DEP_2) | instskip(SKIP_1) | instid1(VALU_DEP_1)
	v_and_b32_e32 v50, 0xffff, v11
	v_cndmask_b32_e64 v49, 0, 8, vcc_lo
	v_add_lshl_u32 v48, v49, v41, 2
	s_wait_dscnt 0x0
	v_dual_add_nc_u32 v49, 8, v41 :: v_dual_cndmask_b32 v10, 0, v10, s14
	v_cmp_gt_u32_e32 vcc_lo, v47, v9
	v_dual_cndmask_b32 v5, v11, v5, vcc_lo :: v_dual_cndmask_b32 v7, v50, v7, vcc_lo
	s_delay_alu instid0(VALU_DEP_3) | instskip(NEXT) | instid1(VALU_DEP_2)
	v_cndmask_b32_e64 v10, v10, 0, vcc_lo
	v_and_b32_e32 v50, 1, v5
	ds_bpermute_b32 v11, v48, v7
	v_add_nc_u32_e32 v4, v10, v4
	v_and_b32_e32 v51, 0xff, v5
	v_cmp_eq_u32_e32 vcc_lo, 1, v50
	ds_bpermute_b32 v10, v48, v4
	s_wait_dscnt 0x1
	v_and_b32_e32 v11, 1, v11
	s_delay_alu instid0(VALU_DEP_1) | instskip(SKIP_1) | instid1(VALU_DEP_2)
	v_cndmask_b32_e64 v11, v11, 1, vcc_lo
	v_cmp_eq_u16_e32 vcc_lo, 0, v51
	v_and_b32_e32 v50, 0xffff, v11
	s_wait_dscnt 0x0
	v_cndmask_b32_e32 v10, 0, v10, vcc_lo
	v_cmp_gt_u32_e32 vcc_lo, v49, v9
	s_delay_alu instid0(VALU_DEP_3) | instskip(NEXT) | instid1(VALU_DEP_3)
	v_dual_cndmask_b32 v5, v11, v5, vcc_lo :: v_dual_cndmask_b32 v7, v50, v7, vcc_lo
	v_cndmask_b32_e64 v10, v10, 0, vcc_lo
	s_delay_alu instid0(VALU_DEP_2) | instskip(SKIP_3) | instid1(VALU_DEP_1)
	v_and_b32_e32 v50, 1, v5
	ds_bpermute_b32 v7, v52, v7
	v_add_nc_u32_e32 v4, v10, v4
	v_and_b32_e32 v11, 0xff, v5
	v_cmp_eq_u16_e32 vcc_lo, 0, v11
	s_wait_dscnt 0x0
	v_and_b32_e32 v7, 1, v7
	ds_bpermute_b32 v10, v52, v4
	s_wait_dscnt 0x0
	v_dual_cndmask_b32 v10, 0, v10 :: v_dual_add_nc_u32 v53, 16, v41
	v_cmp_eq_u32_e32 vcc_lo, 1, v50
	v_cndmask_b32_e64 v7, v7, 1, vcc_lo
	s_delay_alu instid0(VALU_DEP_3) | instskip(NEXT) | instid1(VALU_DEP_2)
	v_cmp_gt_u32_e32 vcc_lo, v53, v9
	v_dual_mov_b32 v9, 0 :: v_dual_cndmask_b32 v5, v7, v5, vcc_lo
	v_cndmask_b32_e64 v7, v10, 0, vcc_lo
	s_delay_alu instid0(VALU_DEP_1)
	v_add_nc_u32_e32 v4, v7, v4
	s_branch .LBB1526_102
.LBB1526_99:                            ;   in Loop: Header=BB1526_102 Depth=1
	s_or_b32 exec_lo, exec_lo, s15
	v_and_b32_e32 v5, 0xff, v5
.LBB1526_100:                           ;   in Loop: Header=BB1526_102 Depth=1
	s_or_b32 exec_lo, exec_lo, s14
	ds_bpermute_b32 v7, v42, v5
	v_and_b32_e32 v10, 0xff, v6
	v_cmp_gt_u64_e64 s14, s[24:25], v[4:5]
	v_subrev_nc_u32_e32 v8, 32, v8
	s_delay_alu instid0(VALU_DEP_3) | instskip(SKIP_2) | instid1(VALU_DEP_2)
	v_cmp_eq_u16_e32 vcc_lo, 2, v10
	v_and_b32_e32 v10, 1, v5
	v_and_or_b32 v11, vcc_lo, v43, 0x80000000
	v_cmp_eq_u32_e32 vcc_lo, 1, v10
	s_delay_alu instid0(VALU_DEP_2) | instskip(SKIP_3) | instid1(VALU_DEP_1)
	v_ctz_i32_b32_e32 v10, v11
	ds_bpermute_b32 v11, v42, v4
	s_wait_dscnt 0x1
	v_and_b32_e32 v7, 1, v7
	v_cndmask_b32_e64 v7, v7, 1, vcc_lo
	v_cmp_lt_u32_e32 vcc_lo, v41, v10
	s_delay_alu instid0(VALU_DEP_2) | instskip(NEXT) | instid1(VALU_DEP_1)
	v_and_b32_e32 v54, 0xffff, v7
	v_dual_cndmask_b32 v7, v5, v7 :: v_dual_cndmask_b32 v54, v5, v54
	s_and_b32 vcc_lo, vcc_lo, s14
	s_delay_alu instid0(VALU_DEP_1)
	v_and_b32_e32 v56, 0xff, v7
	v_and_b32_e32 v55, 1, v7
	ds_bpermute_b32 v5, v44, v54
	s_wait_dscnt 0x1
	v_cndmask_b32_e32 v11, 0, v11, vcc_lo
	v_cmp_eq_u16_e64 s14, 0, v56
	v_cmp_eq_u32_e32 vcc_lo, 1, v55
	s_wait_dscnt 0x0
	s_delay_alu instid0(VALU_DEP_3) | instskip(NEXT) | instid1(VALU_DEP_1)
	v_dual_add_nc_u32 v4, v11, v4 :: v_dual_bitop2_b32 v5, 1, v5 bitop3:0x40
	v_cndmask_b32_e64 v5, v5, 1, vcc_lo
	ds_bpermute_b32 v11, v44, v4
	v_cmp_gt_u32_e32 vcc_lo, v45, v10
	v_and_b32_e32 v55, 0xffff, v5
	s_delay_alu instid0(VALU_DEP_1) | instskip(NEXT) | instid1(VALU_DEP_1)
	v_dual_cndmask_b32 v5, v5, v7, vcc_lo :: v_dual_cndmask_b32 v7, v55, v54, vcc_lo
	v_and_b32_e32 v55, 1, v5
	ds_bpermute_b32 v54, v46, v7
	s_wait_dscnt 0x1
	v_cndmask_b32_e64 v11, 0, v11, s14
	s_delay_alu instid0(VALU_DEP_1) | instskip(SKIP_2) | instid1(VALU_DEP_3)
	v_cndmask_b32_e64 v11, v11, 0, vcc_lo
	v_cmp_eq_u32_e32 vcc_lo, 1, v55
	v_and_b32_e32 v55, 0xff, v5
	v_add_nc_u32_e32 v4, v11, v4
	s_delay_alu instid0(VALU_DEP_2)
	v_cmp_eq_u16_e64 s14, 0, v55
	s_wait_dscnt 0x0
	v_and_b32_e32 v54, 1, v54
	ds_bpermute_b32 v11, v46, v4
	v_cndmask_b32_e64 v54, v54, 1, vcc_lo
	v_cmp_gt_u32_e32 vcc_lo, v47, v10
	s_delay_alu instid0(VALU_DEP_2) | instskip(SKIP_3) | instid1(VALU_DEP_1)
	v_and_b32_e32 v56, 0xffff, v54
	s_wait_dscnt 0x0
	v_dual_cndmask_b32 v5, v54, v5, vcc_lo :: v_dual_cndmask_b32 v11, 0, v11, s14
	s_mov_b32 s14, 0
	v_cndmask_b32_e64 v11, v11, 0, vcc_lo
	v_cndmask_b32_e32 v7, v56, v7, vcc_lo
	s_delay_alu instid0(VALU_DEP_3) | instskip(NEXT) | instid1(VALU_DEP_3)
	v_and_b32_e32 v56, 0xff, v5
	v_add_nc_u32_e32 v4, v11, v4
	ds_bpermute_b32 v54, v48, v7
	ds_bpermute_b32 v11, v48, v4
	v_and_b32_e32 v55, 1, v5
	s_delay_alu instid0(VALU_DEP_1) | instskip(SKIP_2) | instid1(VALU_DEP_1)
	v_cmp_eq_u32_e32 vcc_lo, 1, v55
	s_wait_dscnt 0x1
	v_and_b32_e32 v54, 1, v54
	v_cndmask_b32_e64 v54, v54, 1, vcc_lo
	v_cmp_eq_u16_e32 vcc_lo, 0, v56
	s_delay_alu instid0(VALU_DEP_2) | instskip(SKIP_3) | instid1(VALU_DEP_2)
	v_and_b32_e32 v55, 0xffff, v54
	s_wait_dscnt 0x0
	v_cndmask_b32_e32 v11, 0, v11, vcc_lo
	v_cmp_gt_u32_e32 vcc_lo, v49, v10
	v_cndmask_b32_e64 v11, v11, 0, vcc_lo
	v_dual_cndmask_b32 v7, v55, v7, vcc_lo :: v_dual_cndmask_b32 v5, v54, v5, vcc_lo
	s_delay_alu instid0(VALU_DEP_2) | instskip(SKIP_4) | instid1(VALU_DEP_1)
	v_add_nc_u32_e32 v4, v11, v4
	ds_bpermute_b32 v7, v52, v7
	v_and_b32_e32 v55, 0xff, v5
	ds_bpermute_b32 v11, v52, v4
	v_and_b32_e32 v54, 1, v5
	v_cmp_eq_u32_e32 vcc_lo, 1, v54
	s_wait_dscnt 0x1
	v_cndmask_b32_e64 v7, v7, 1, vcc_lo
	v_cmp_eq_u16_e32 vcc_lo, 0, v55
	s_wait_dscnt 0x0
	v_cndmask_b32_e32 v11, 0, v11, vcc_lo
	v_cmp_gt_u32_e32 vcc_lo, v53, v10
	v_and_b32_e32 v10, 0xff, v50
	v_cndmask_b32_e32 v5, v7, v5, vcc_lo
	s_delay_alu instid0(VALU_DEP_4) | instskip(NEXT) | instid1(VALU_DEP_3)
	v_cndmask_b32_e64 v7, v11, 0, vcc_lo
	v_cmp_eq_u16_e32 vcc_lo, 0, v10
	s_delay_alu instid0(VALU_DEP_2) | instskip(NEXT) | instid1(VALU_DEP_1)
	v_dual_add_nc_u32 v4, v7, v4 :: v_dual_bitop2_b32 v7, 1, v50 bitop3:0x40
	v_dual_cndmask_b32 v4, 0, v4, vcc_lo :: v_dual_bitop2_b32 v5, 1, v5 bitop3:0x40
	s_delay_alu instid0(VALU_DEP_2) | instskip(NEXT) | instid1(VALU_DEP_2)
	v_cmp_eq_u32_e32 vcc_lo, 1, v7
	v_add_nc_u32_e32 v4, v4, v51
	s_delay_alu instid0(VALU_DEP_3)
	v_cndmask_b32_e64 v5, v5, 1, vcc_lo
.LBB1526_101:                           ;   in Loop: Header=BB1526_102 Depth=1
	s_and_b32 vcc_lo, exec_lo, s14
	s_cbranch_vccnz .LBB1526_157
.LBB1526_102:                           ; =>This Loop Header: Depth=1
                                        ;     Child Loop BB1526_105 Depth 2
	v_and_b32_e32 v6, 0xff, v6
	s_delay_alu instid0(VALU_DEP_2) | instskip(SKIP_1) | instid1(VALU_DEP_2)
	v_dual_mov_b32 v50, v5 :: v_dual_mov_b32 v51, v4
	s_mov_b32 s14, -1
                                        ; implicit-def: $vgpr5
                                        ; implicit-def: $vgpr4
	v_cmp_ne_u16_e32 vcc_lo, 2, v6
                                        ; implicit-def: $vgpr6
	s_cmp_lg_u32 vcc_lo, exec_lo
	s_cbranch_scc1 .LBB1526_101
; %bb.103:                              ;   in Loop: Header=BB1526_102 Depth=1
	v_lshl_add_u64 v[10:11], v[8:9], 4, s[20:21]
	;;#ASMSTART
	global_load_b128 v[4:7], v[10:11] off scope:SCOPE_DEV	
s_wait_loadcnt 0x0
	;;#ASMEND
	v_and_b32_e32 v7, 0xff, v6
	v_and_b32_e32 v5, 0xff, v5
	s_mov_b32 s14, exec_lo
	s_delay_alu instid0(VALU_DEP_2)
	v_cmpx_eq_u16_e32 0, v7
	s_cbranch_execz .LBB1526_100
; %bb.104:                              ;   in Loop: Header=BB1526_102 Depth=1
	s_mov_b32 s15, 0
.LBB1526_105:                           ;   Parent Loop BB1526_102 Depth=1
                                        ; =>  This Inner Loop Header: Depth=2
	;;#ASMSTART
	global_load_b128 v[4:7], v[10:11] off scope:SCOPE_DEV	
s_wait_loadcnt 0x0
	;;#ASMEND
	v_and_b32_e32 v7, 0xff, v6
	s_delay_alu instid0(VALU_DEP_1) | instskip(SKIP_1) | instid1(SALU_CYCLE_1)
	v_cmp_ne_u16_e32 vcc_lo, 0, v7
	s_or_b32 s15, vcc_lo, s15
	s_and_not1_b32 exec_lo, exec_lo, s15
	s_cbranch_execnz .LBB1526_105
	s_branch .LBB1526_99
.LBB1526_106:
	s_or_b32 exec_lo, exec_lo, s14
                                        ; implicit-def: $vgpr16
	s_and_saveexec_b32 s14, s1
	s_cbranch_execz .LBB1526_33
.LBB1526_107:
	flat_load_b32 v16, v0, s[24:25] offset:1024 scale_offset
	s_wait_xcnt 0x0
	s_or_b32 exec_lo, exec_lo, s14
                                        ; implicit-def: $vgpr17
	s_and_saveexec_b32 s1, s4
	s_cbranch_execnz .LBB1526_34
.LBB1526_108:
	s_or_b32 exec_lo, exec_lo, s1
                                        ; implicit-def: $vgpr18
	s_and_saveexec_b32 s1, s5
	s_cbranch_execz .LBB1526_35
.LBB1526_109:
	flat_load_b32 v18, v0, s[24:25] offset:3072 scale_offset
	s_wait_xcnt 0x0
	s_or_b32 exec_lo, exec_lo, s1
                                        ; implicit-def: $vgpr19
	s_and_saveexec_b32 s1, s6
	s_cbranch_execnz .LBB1526_36
.LBB1526_110:
	s_or_b32 exec_lo, exec_lo, s1
                                        ; implicit-def: $vgpr20
	s_and_saveexec_b32 s1, s7
	s_cbranch_execz .LBB1526_37
.LBB1526_111:
	flat_load_b32 v20, v0, s[24:25] offset:5120 scale_offset
	s_wait_xcnt 0x0
	s_or_b32 exec_lo, exec_lo, s1
                                        ; implicit-def: $vgpr21
	s_and_saveexec_b32 s1, s8
	s_cbranch_execnz .LBB1526_38
.LBB1526_112:
	s_or_b32 exec_lo, exec_lo, s1
                                        ; implicit-def: $vgpr22
	s_and_saveexec_b32 s1, s9
	s_cbranch_execz .LBB1526_39
.LBB1526_113:
	flat_load_b32 v22, v0, s[24:25] offset:7168 scale_offset
	s_wait_xcnt 0x0
	s_or_b32 exec_lo, exec_lo, s1
                                        ; implicit-def: $vgpr23
	s_and_saveexec_b32 s1, s10
	s_cbranch_execnz .LBB1526_40
.LBB1526_114:
	s_or_b32 exec_lo, exec_lo, s1
                                        ; implicit-def: $vgpr24
	s_and_saveexec_b32 s1, s11
	s_cbranch_execz .LBB1526_41
.LBB1526_115:
	flat_load_b32 v24, v0, s[24:25] offset:9216 scale_offset
	s_wait_xcnt 0x0
	s_or_b32 exec_lo, exec_lo, s1
                                        ; implicit-def: $vgpr25
	s_and_saveexec_b32 s1, s12
	s_cbranch_execz .LBB1526_43
	s_branch .LBB1526_42
.LBB1526_116:
                                        ; implicit-def: $vgpr13
                                        ; implicit-def: $vgpr9
                                        ; implicit-def: $vgpr5
	s_cbranch_execnz .LBB1526_162
.LBB1526_117:
	s_add_nc_u64 s[2:3], s[18:19], s[28:29]
	s_and_b32 vcc_lo, exec_lo, s0
	s_add_nc_u64 s[0:1], s[2:3], s[16:17]
	s_cbranch_vccz .LBB1526_179
.LBB1526_118:
	v_mul_u32_u24_e32 v1, 12, v0
	s_add_co_i32 s23, s23, s22
	s_mov_b32 s2, exec_lo
	s_delay_alu instid0(VALU_DEP_1)
	v_cmpx_gt_u32_e64 s23, v1
	s_cbranch_execz .LBB1526_134
; %bb.119:
	v_or_b32_e32 v14, 1, v1
	s_mov_b32 s3, exec_lo
	s_delay_alu instid0(VALU_DEP_1)
	v_cmpx_gt_u32_e64 s23, v14
	s_cbranch_execz .LBB1526_133
; %bb.120:
	v_or_b32_e32 v14, 2, v1
	;; [unrolled: 6-line block ×3, first 2 shown]
	s_mov_b32 s5, exec_lo
	s_delay_alu instid0(VALU_DEP_1)
	v_cmpx_gt_u32_e64 s23, v14
	s_cbranch_execz .LBB1526_131
; %bb.122:
	v_add_nc_u32_e32 v14, 4, v1
	s_mov_b32 s6, exec_lo
	s_delay_alu instid0(VALU_DEP_1)
	v_cmpx_gt_u32_e64 s23, v14
	s_cbranch_execz .LBB1526_130
; %bb.123:
	v_add_nc_u32_e32 v14, 5, v1
	s_mov_b32 s7, exec_lo
	s_delay_alu instid0(VALU_DEP_1)
	v_cmpx_gt_u32_e64 s23, v14
	s_cbranch_execz .LBB1526_129
; %bb.124:
	v_add_nc_u32_e32 v14, 6, v1
	s_mov_b32 s8, exec_lo
	s_delay_alu instid0(VALU_DEP_1)
	v_cmpx_gt_u32_e64 s23, v14
	s_cbranch_execz .LBB1526_128
; %bb.125:
	v_add_nc_u32_e32 v14, 7, v1
	s_mov_b32 s9, exec_lo
	s_delay_alu instid0(VALU_DEP_1)
	v_cmpx_gt_u32_e64 s23, v14
; %bb.126:
	v_add_nc_u32_e32 v14, 8, v1
	s_mov_b32 s10, exec_lo
	s_delay_alu instid0(VALU_DEP_1)
	v_cmpx_gt_u32_e64 s23, v14
	s_or_b32 exec_lo, exec_lo, s10
; %bb.127:
	s_delay_alu instid0(SALU_CYCLE_1)
	s_or_b32 exec_lo, exec_lo, s9
.LBB1526_128:
	s_delay_alu instid0(SALU_CYCLE_1)
	s_or_b32 exec_lo, exec_lo, s8
.LBB1526_129:
	s_delay_alu instid0(SALU_CYCLE_1)
	s_or_b32 exec_lo, exec_lo, s7
.LBB1526_130:
	s_delay_alu instid0(SALU_CYCLE_1)
	s_or_b32 exec_lo, exec_lo, s6
.LBB1526_131:
	s_delay_alu instid0(SALU_CYCLE_1)
	s_or_b32 exec_lo, exec_lo, s5
.LBB1526_132:
	s_delay_alu instid0(SALU_CYCLE_1)
	s_or_b32 exec_lo, exec_lo, s4
.LBB1526_133:
	s_delay_alu instid0(SALU_CYCLE_1)
	s_or_b32 exec_lo, exec_lo, s3
.LBB1526_134:
	s_delay_alu instid0(SALU_CYCLE_1) | instskip(SKIP_3) | instid1(VALU_DEP_1)
	s_or_b32 exec_lo, exec_lo, s2
	v_dual_lshlrev_b32 v1, 2, v1 :: v_dual_mov_b32 v17, 0
	s_barrier_signal -1
	s_barrier_wait -1
	v_mad_i32_i24 v14, 0xffffffd4, v0, v1
	ds_store_b128 v1, v[2:5]
	ds_store_b128 v1, v[6:9] offset:16
	ds_store_b128 v1, v[10:13] offset:32
	s_wait_dscnt 0x0
	s_barrier_signal -1
	s_barrier_wait -1
	ds_load_2addr_stride64_b32 v[26:27], v14 offset0:4 offset1:8
	ds_load_2addr_stride64_b32 v[24:25], v14 offset0:12 offset1:16
	;; [unrolled: 1-line block ×5, first 2 shown]
	ds_load_b32 v15, v14 offset:11264
	v_add_nc_u64_e32 v[16:17], s[0:1], v[16:17]
	s_mov_b32 s2, exec_lo
	v_cmpx_gt_u32_e64 s23, v0
	s_cbranch_execz .LBB1526_136
; %bb.135:
	v_mul_i32_i24_e32 v14, 0xffffffd4, v0
	s_delay_alu instid0(VALU_DEP_1)
	v_add_nc_u32_e32 v1, v1, v14
	ds_load_b32 v1, v1
	s_wait_dscnt 0x0
	flat_store_b32 v[16:17], v1
.LBB1526_136:
	s_wait_xcnt 0x0
	s_or_b32 exec_lo, exec_lo, s2
	v_or_b32_e32 v1, 0x100, v0
	s_mov_b32 s2, exec_lo
	s_delay_alu instid0(VALU_DEP_1)
	v_cmpx_gt_u32_e64 s23, v1
	s_cbranch_execz .LBB1526_138
; %bb.137:
	s_wait_dscnt 0x5
	flat_store_b32 v[16:17], v26 offset:1024
.LBB1526_138:
	s_wait_xcnt 0x0
	s_or_b32 exec_lo, exec_lo, s2
	v_or_b32_e32 v1, 0x200, v0
	s_mov_b32 s2, exec_lo
	s_delay_alu instid0(VALU_DEP_1)
	v_cmpx_gt_u32_e64 s23, v1
	s_cbranch_execz .LBB1526_140
; %bb.139:
	s_wait_dscnt 0x5
	flat_store_b32 v[16:17], v27 offset:2048
.LBB1526_140:
	;; [unrolled: 11-line block ×10, first 2 shown]
	s_wait_xcnt 0x0
	s_or_b32 exec_lo, exec_lo, s2
	v_or_b32_e32 v1, 0xb00, v0
	s_delay_alu instid0(VALU_DEP_1)
	v_cmp_gt_u32_e64 s2, s23, v1
	s_branch .LBB1526_181
.LBB1526_157:
	s_and_saveexec_b32 s14, s13
	s_cbranch_execz .LBB1526_159
; %bb.158:
	v_and_b32_e32 v4, 0xff, v3
	s_mov_b32 s25, 0
	s_add_co_i32 s24, s36, 32
	v_and_b32_e32 v5, 1, v50
	s_lshl_b64 s[24:25], s[24:25], 4
	v_cmp_eq_u32_e32 vcc_lo, 0, v4
	s_add_nc_u64 s[24:25], s[20:21], s[24:25]
	s_delay_alu instid0(SALU_CYCLE_1) | instskip(SKIP_1) | instid1(VALU_DEP_1)
	v_mov_b64_e32 v[6:7], s[24:25]
	v_cndmask_b32_e32 v4, 0, v51, vcc_lo
	v_dual_add_nc_u32 v2, v4, v2 :: v_dual_bitop2_b32 v3, 1, v3 bitop3:0x40
	s_delay_alu instid0(VALU_DEP_1)
	v_cmp_eq_u32_e32 vcc_lo, 1, v3
	v_mov_b32_e32 v4, 2
	v_cndmask_b32_e64 v3, v5, 1, vcc_lo
	v_mov_b32_e32 v5, 0
	;;#ASMSTART
	global_store_b128 v[6:7], v[2:5] off scope:SCOPE_DEV	
s_wait_storecnt 0x0
	;;#ASMEND
.LBB1526_159:
	s_or_b32 exec_lo, exec_lo, s14
	s_delay_alu instid0(SALU_CYCLE_1)
	s_and_b32 exec_lo, exec_lo, s2
	s_cbranch_execz .LBB1526_161
; %bb.160:
	v_mov_b32_e32 v2, 0
	ds_store_b32 v2, v51
	ds_store_b8 v2, v50 offset:4
.LBB1526_161:
	s_or_b32 exec_lo, exec_lo, s34
	s_wait_dscnt 0x0
	v_and_b32_e32 v3, 0xff, v13
	s_barrier_signal -1
	s_barrier_wait -1
	s_delay_alu instid0(VALU_DEP_1)
	v_cmp_eq_u16_e32 vcc_lo, 0, v3
	v_mov_b32_e32 v4, 0
	v_and_b32_e32 v5, 0xff, v15
	ds_load_b32 v2, v4
	s_wait_dscnt 0x0
	v_cndmask_b32_e32 v3, 0, v2, vcc_lo
	v_cmp_eq_u64_e32 vcc_lo, 0, v[4:5]
	s_delay_alu instid0(VALU_DEP_2) | instskip(NEXT) | instid1(VALU_DEP_1)
	v_add_nc_u32_e32 v3, v3, v12
	v_cndmask_b32_e64 v2, v3, v2, s2
	s_delay_alu instid0(VALU_DEP_1) | instskip(NEXT) | instid1(VALU_DEP_1)
	v_cndmask_b32_e32 v3, 0, v2, vcc_lo
	v_add_nc_u32_e32 v3, v3, v14
	s_delay_alu instid0(VALU_DEP_1) | instskip(NEXT) | instid1(VALU_DEP_1)
	v_cndmask_b32_e64 v4, 0, v3, s1
	v_add_nc_u32_e32 v4, v4, v36
	s_delay_alu instid0(VALU_DEP_1) | instskip(NEXT) | instid1(VALU_DEP_1)
	v_cndmask_b32_e64 v5, 0, v4, s4
	;; [unrolled: 3-line block ×10, first 2 shown]
	v_add_nc_u32_e32 v13, v13, v18
	s_branch .LBB1526_117
.LBB1526_162:
	s_cmp_eq_u64 s[30:31], 0
	v_mov_b32_e32 v41, s33
	s_cselect_b32 s1, -1, 0
	s_cmp_eq_u64 s[26:27], 0
	s_cselect_b32 s4, -1, 0
	s_delay_alu instid0(SALU_CYCLE_1) | instskip(NEXT) | instid1(SALU_CYCLE_1)
	s_or_b32 s1, s1, s4
	s_and_b32 vcc_lo, exec_lo, s1
	s_cbranch_vccnz .LBB1526_164
; %bb.163:
	v_mov_b32_e32 v2, 0
	global_load_b32 v41, v2, s[26:27]
.LBB1526_164:
	s_mov_b64 s[12:13], 0x100000000
	v_or3_b32 v3, v40, v27, v29
	v_cmp_gt_u64_e32 vcc_lo, s[12:13], v[36:37]
	v_cmp_gt_u64_e64 s1, s[12:13], v[34:35]
	v_cmp_gt_u64_e64 s4, s[12:13], v[32:33]
	;; [unrolled: 1-line block ×6, first 2 shown]
	s_wait_xcnt 0x0
	v_dual_cndmask_b32 v2, 0, v14, vcc_lo :: v_dual_bitop2_b32 v1, 56, v1 bitop3:0x40
	v_cmp_gt_u64_e64 s9, s[12:13], v[22:23]
	v_cmp_gt_u64_e64 s10, s[12:13], v[20:21]
	;; [unrolled: 1-line block ×3, first 2 shown]
	s_delay_alu instid0(VALU_DEP_4)
	v_add_nc_u32_e32 v2, v2, v36
	v_cmp_gt_u64_e64 s12, s[12:13], v[38:39]
	v_or3_b32 v3, v3, v31, v33
	v_lshl_add_u32 v1, v0, 3, v1
	s_mov_b32 s13, exec_lo
	v_cndmask_b32_e64 v2, 0, v2, s1
	s_delay_alu instid0(VALU_DEP_3) | instskip(NEXT) | instid1(VALU_DEP_2)
	v_or3_b32 v3, v3, v35, v37
	v_add_nc_u32_e32 v2, v2, v34
	s_delay_alu instid0(VALU_DEP_2) | instskip(NEXT) | instid1(VALU_DEP_2)
	v_or3_b32 v3, v39, v17, v3
	v_cndmask_b32_e64 v2, 0, v2, s4
	s_delay_alu instid0(VALU_DEP_2) | instskip(NEXT) | instid1(VALU_DEP_2)
	v_and_b32_e32 v3, 0xff, v3
	v_add_nc_u32_e32 v2, v2, v32
	s_delay_alu instid0(VALU_DEP_1) | instskip(NEXT) | instid1(VALU_DEP_1)
	v_cndmask_b32_e64 v2, 0, v2, s5
	v_add_nc_u32_e32 v2, v2, v30
	s_delay_alu instid0(VALU_DEP_1) | instskip(NEXT) | instid1(VALU_DEP_1)
	v_cndmask_b32_e64 v2, 0, v2, s6
	;; [unrolled: 3-line block ×7, first 2 shown]
	v_dual_add_nc_u32 v4, v2, v18 :: v_dual_mov_b32 v2, 0
	s_delay_alu instid0(VALU_DEP_1) | instskip(NEXT) | instid1(VALU_DEP_2)
	v_cndmask_b32_e64 v4, 0, v4, s12
	v_cmp_eq_u64_e64 s12, 0, v[2:3]
	s_delay_alu instid0(VALU_DEP_1)
	v_dual_add_nc_u32 v4, v4, v38 :: v_dual_cndmask_b32 v5, 1, v15, s12
	ds_store_b32 v1, v4
	ds_store_b8 v1, v5 offset:4
	s_wait_loadcnt_dscnt 0x0
	s_barrier_signal -1
	s_barrier_wait -1
	v_cmpx_gt_u32_e32 32, v0
	s_cbranch_execz .LBB1526_174
; %bb.165:
	v_dual_lshlrev_b32 v1, 1, v0 :: v_dual_lshlrev_b32 v2, 6, v0
	s_mov_b32 s14, exec_lo
	s_delay_alu instid0(VALU_DEP_1) | instskip(NEXT) | instid1(VALU_DEP_1)
	v_and_b32_e32 v1, 0x1f8, v1
	v_add_nc_u32_e32 v1, v1, v2
	ds_load_u8 v12, v1 offset:12
	ds_load_b64 v[2:3], v1
	ds_load_2addr_b32 v[6:7], v1 offset0:2 offset1:4
	ds_load_u8 v13, v1 offset:20
	ds_load_u8 v17, v1 offset:28
	;; [unrolled: 1-line block ×5, first 2 shown]
	ds_load_b32 v25, v1 offset:56
	s_wait_dscnt 0x8
	v_cmp_eq_u16_e64 s12, 0, v12
	s_wait_dscnt 0x7
	s_delay_alu instid0(VALU_DEP_1)
	v_cndmask_b32_e64 v10, 0, v2, s12
	ds_load_2addr_b32 v[8:9], v1 offset0:6 offset1:8
	s_wait_dscnt 0x6
	v_cmp_eq_u16_e64 s12, 0, v13
	v_add_nc_u32_e32 v6, v10, v6
	ds_load_2addr_b32 v[10:11], v1 offset0:10 offset1:12
	v_cndmask_b32_e64 v6, 0, v6, s12
	s_wait_dscnt 0x6
	v_cmp_eq_u16_e64 s12, 0, v17
	s_delay_alu instid0(VALU_DEP_2) | instskip(NEXT) | instid1(VALU_DEP_1)
	v_dual_add_nc_u32 v6, v6, v7 :: v_dual_bitop2_b32 v7, v13, v12 bitop3:0x54
	v_cndmask_b32_e64 v6, 0, v6, s12
	s_wait_dscnt 0x5
	v_cmp_eq_u16_e64 s12, 0, v19
	s_delay_alu instid0(VALU_DEP_3)
	v_bitop3_b16 v7, v7, v19, v17 bitop3:0xfe
	s_wait_dscnt 0x1
	v_add_nc_u32_e32 v6, v6, v8
	ds_load_u8 v8, v1 offset:60
	v_bitop3_b16 v7, v7, v23, v21 bitop3:0xfe
	v_cndmask_b32_e64 v6, 0, v6, s12
	v_cmp_eq_u16_e64 s12, 0, v21
	s_delay_alu instid0(VALU_DEP_2) | instskip(NEXT) | instid1(VALU_DEP_1)
	v_add_nc_u32_e32 v6, v6, v9
	v_dual_cndmask_b32 v9, 0, v6, s12 :: v_dual_bitop2_b32 v6, 1, v3 bitop3:0x40
	v_cmp_eq_u16_e64 s12, 0, v7
	s_wait_dscnt 0x0
	s_delay_alu instid0(VALU_DEP_2) | instskip(NEXT) | instid1(VALU_DEP_2)
	v_dual_add_nc_u32 v9, v9, v10 :: v_dual_bitop2_b32 v10, 1, v8 bitop3:0x40
	v_cndmask_b32_e64 v7, 1, v6, s12
	v_cmp_eq_u16_e64 s12, 0, v23
	s_delay_alu instid0(VALU_DEP_1) | instskip(NEXT) | instid1(VALU_DEP_4)
	v_cndmask_b32_e64 v9, 0, v9, s12
	v_cmp_eq_u32_e64 s12, 1, v10
	s_delay_alu instid0(VALU_DEP_2) | instskip(NEXT) | instid1(VALU_DEP_2)
	v_add_nc_u32_e32 v9, v9, v11
	v_cndmask_b32_e64 v10, v7, 1, s12
	v_cmp_eq_u16_e64 s12, 0, v8
	v_and_b32_e32 v7, 0xffffff00, v3
	s_delay_alu instid0(VALU_DEP_3) | instskip(NEXT) | instid1(VALU_DEP_3)
	v_and_b32_e32 v11, 0xffff, v10
	v_cndmask_b32_e64 v8, 0, v9, s12
	v_mbcnt_lo_u32_b32 v9, -1, 0
	s_delay_alu instid0(VALU_DEP_2) | instskip(NEXT) | instid1(VALU_DEP_2)
	v_dual_add_nc_u32 v8, v8, v25 :: v_dual_bitop2_b32 v12, v7, v11 bitop3:0x54
	v_and_b32_e32 v11, 15, v9
	s_delay_alu instid0(VALU_DEP_2) | instskip(NEXT) | instid1(VALU_DEP_3)
	v_mov_b32_dpp v17, v12 row_shr:1 row_mask:0xf bank_mask:0xf
	v_mov_b32_dpp v13, v8 row_shr:1 row_mask:0xf bank_mask:0xf
	s_delay_alu instid0(VALU_DEP_3)
	v_cmpx_ne_u32_e32 0, v11
	s_cbranch_execz .LBB1526_167
; %bb.166:
	v_and_b32_e32 v12, 1, v10
	v_and_b32_e32 v17, 1, v17
	s_delay_alu instid0(VALU_DEP_2) | instskip(NEXT) | instid1(VALU_DEP_1)
	v_cmp_eq_u32_e64 s12, 1, v12
	v_cndmask_b32_e64 v17, v17, 1, s12
	v_cmp_eq_u16_e64 s12, 0, v10
	s_delay_alu instid0(VALU_DEP_2) | instskip(NEXT) | instid1(VALU_DEP_1)
	v_and_b32_e32 v12, 0xffff, v17
	v_dual_cndmask_b32 v10, 0, v13, s12 :: v_dual_bitop2_b32 v12, v7, v12 bitop3:0x54
	s_delay_alu instid0(VALU_DEP_1)
	v_dual_add_nc_u32 v8, v10, v8 :: v_dual_mov_b32 v10, v17
.LBB1526_167:
	s_or_b32 exec_lo, exec_lo, s14
	s_delay_alu instid0(VALU_DEP_1) | instskip(NEXT) | instid1(VALU_DEP_3)
	v_mov_b32_dpp v13, v8 row_shr:2 row_mask:0xf bank_mask:0xf
	v_mov_b32_dpp v17, v12 row_shr:2 row_mask:0xf bank_mask:0xf
	s_mov_b32 s14, exec_lo
	v_cmpx_lt_u32_e32 1, v11
	s_cbranch_execz .LBB1526_169
; %bb.168:
	v_and_b32_e32 v12, 1, v10
	v_and_b32_e32 v17, 1, v17
	s_delay_alu instid0(VALU_DEP_2) | instskip(NEXT) | instid1(VALU_DEP_1)
	v_cmp_eq_u32_e64 s12, 1, v12
	v_cndmask_b32_e64 v17, v17, 1, s12
	v_cmp_eq_u16_e64 s12, 0, v10
	s_delay_alu instid0(VALU_DEP_2) | instskip(NEXT) | instid1(VALU_DEP_1)
	v_and_b32_e32 v12, 0xffff, v17
	v_dual_cndmask_b32 v10, 0, v13, s12 :: v_dual_bitop2_b32 v12, v7, v12 bitop3:0x54
	s_delay_alu instid0(VALU_DEP_1)
	v_dual_add_nc_u32 v8, v10, v8 :: v_dual_mov_b32 v10, v17
.LBB1526_169:
	s_or_b32 exec_lo, exec_lo, s14
	s_delay_alu instid0(VALU_DEP_1) | instskip(NEXT) | instid1(VALU_DEP_3)
	v_mov_b32_dpp v13, v8 row_shr:4 row_mask:0xf bank_mask:0xf
	v_mov_b32_dpp v17, v12 row_shr:4 row_mask:0xf bank_mask:0xf
	s_mov_b32 s14, exec_lo
	v_cmpx_lt_u32_e32 3, v11
	;; [unrolled: 20-line block ×3, first 2 shown]
	s_cbranch_execz .LBB1526_173
; %bb.172:
	v_and_b32_e32 v11, 1, v10
	v_and_b32_e32 v12, 1, v17
	s_delay_alu instid0(VALU_DEP_2) | instskip(NEXT) | instid1(VALU_DEP_1)
	v_cmp_eq_u32_e64 s12, 1, v11
	v_cndmask_b32_e64 v11, v12, 1, s12
	v_cmp_eq_u16_e64 s12, 0, v10
	s_delay_alu instid0(VALU_DEP_2) | instskip(NEXT) | instid1(VALU_DEP_1)
	v_and_b32_e32 v12, 0xffff, v11
	v_dual_cndmask_b32 v10, 0, v13, s12 :: v_dual_bitop2_b32 v12, v7, v12 bitop3:0x54
	s_delay_alu instid0(VALU_DEP_1)
	v_dual_add_nc_u32 v8, v10, v8 :: v_dual_mov_b32 v10, v11
.LBB1526_173:
	s_or_b32 exec_lo, exec_lo, s14
	ds_swizzle_b32 v11, v12 offset:swizzle(BROADCAST,32,15)
	ds_swizzle_b32 v12, v8 offset:swizzle(BROADCAST,32,15)
	v_and_b32_e32 v13, 1, v10
	v_bfe_i32 v19, v9, 4, 1
	v_and_b32_e32 v3, 0xff, v3
	; wave barrier
	s_delay_alu instid0(VALU_DEP_3) | instskip(SKIP_2) | instid1(VALU_DEP_1)
	v_cmp_eq_u32_e64 s12, 1, v13
	s_wait_dscnt 0x1
	v_dual_add_nc_u32 v13, -1, v9 :: v_dual_bitop2_b32 v11, 1, v11 bitop3:0x40
	v_cndmask_b32_e64 v11, v11, 1, s12
	v_and_b32_e32 v17, 16, v9
	v_cmp_eq_u16_e64 s12, 0, v10
	s_wait_dscnt 0x0
	s_delay_alu instid0(VALU_DEP_1) | instskip(NEXT) | instid1(VALU_DEP_3)
	v_cndmask_b32_e64 v12, 0, v12, s12
	v_cmp_eq_u32_e64 s12, 0, v17
	s_delay_alu instid0(VALU_DEP_1) | instskip(SKIP_1) | instid1(VALU_DEP_4)
	v_cndmask_b32_e64 v10, v11, v10, s12
	v_cmp_gt_i32_e64 s12, 0, v13
	v_and_b32_e32 v11, v19, v12
	s_delay_alu instid0(VALU_DEP_3) | instskip(NEXT) | instid1(VALU_DEP_2)
	v_and_b32_e32 v10, 0xffff, v10
	v_dual_cndmask_b32 v9, v13, v9, s12 :: v_dual_add_nc_u32 v8, v11, v8
	v_cmp_eq_u16_e64 s12, 0, v3
	s_delay_alu instid0(VALU_DEP_2)
	v_lshlrev_b32_e32 v9, 2, v9
	ds_bpermute_b32 v8, v9, v8
	s_wait_dscnt 0x0
	v_dual_cndmask_b32 v3, 0, v8, s12 :: v_dual_bitop2_b32 v7, v7, v10 bitop3:0x54
	ds_bpermute_b32 v7, v9, v7
	v_cmp_eq_u32_e64 s12, 1, v6
	s_wait_dscnt 0x0
	v_dual_add_nc_u32 v2, v3, v2 :: v_dual_bitop2_b32 v7, 1, v7 bitop3:0x40
	s_delay_alu instid0(VALU_DEP_1) | instskip(NEXT) | instid1(VALU_DEP_1)
	v_cndmask_b32_e64 v3, v7, 1, s12
	v_dual_cndmask_b32 v4, v2, v4, s2 :: v_dual_cndmask_b32 v6, v3, v5, s2
	ds_store_b32 v1, v4
	ds_store_b8 v1, v6 offset:4
	; wave barrier
	ds_load_u8 v7, v1 offset:12
	ds_load_2addr_b32 v[2:3], v1 offset0:2 offset1:4
	ds_load_u8 v8, v1 offset:20
	ds_load_u8 v9, v1 offset:28
	;; [unrolled: 1-line block ×5, first 2 shown]
	ds_load_b32 v13, v1 offset:56
	ds_load_u8 v17, v1 offset:60
	s_wait_dscnt 0x8
	v_cmp_eq_u16_e64 s12, 0, v7
	s_delay_alu instid0(VALU_DEP_1) | instskip(SKIP_4) | instid1(VALU_DEP_1)
	v_cndmask_b32_e64 v19, 0, v4, s12
	ds_load_2addr_b32 v[4:5], v1 offset0:6 offset1:8
	s_wait_dscnt 0x7
	v_cmp_eq_u16_e64 s12, 0, v8
	v_add_nc_u32_e32 v19, v19, v2
	v_cndmask_b32_e64 v2, 0, v19, s12
	s_wait_dscnt 0x6
	v_cmp_eq_u16_e64 s12, 0, v9
	s_delay_alu instid0(VALU_DEP_2)
	v_add_nc_u32_e32 v21, v2, v3
	ds_load_2addr_b32 v[2:3], v1 offset0:10 offset1:12
	v_cndmask_b32_e64 v23, 0, v21, s12
	s_wait_dscnt 0x6
	v_cmp_eq_u16_e64 s12, 0, v10
	ds_store_2addr_b32 v1, v19, v21 offset0:2 offset1:4
	s_wait_dscnt 0x2
	v_dual_add_nc_u32 v4, v23, v4 :: v_dual_bitop2_b32 v7, 1, v7 bitop3:0x40
	s_delay_alu instid0(VALU_DEP_1) | instskip(SKIP_1) | instid1(VALU_DEP_3)
	v_cndmask_b32_e64 v23, 0, v4, s12
	v_and_b32_e32 v8, 1, v8
	v_cmp_eq_u32_e64 s12, 1, v7
	v_and_b32_e32 v7, 1, v9
	s_delay_alu instid0(VALU_DEP_4) | instskip(NEXT) | instid1(VALU_DEP_3)
	v_add_nc_u32_e32 v5, v23, v5
	v_cndmask_b32_e64 v6, v6, 1, s12
	v_cmp_eq_u32_e64 s12, 1, v8
	s_delay_alu instid0(VALU_DEP_1) | instskip(SKIP_1) | instid1(VALU_DEP_1)
	v_cndmask_b32_e64 v8, v6, 1, s12
	v_cmp_eq_u16_e64 s12, 0, v11
	v_dual_cndmask_b32 v10, 0, v5, s12 :: v_dual_bitop2_b32 v9, 1, v10 bitop3:0x40
	s_wait_dscnt 0x1
	s_delay_alu instid0(VALU_DEP_1) | instskip(SKIP_2) | instid1(VALU_DEP_2)
	v_add_nc_u32_e32 v2, v10, v2
	v_cmp_eq_u32_e64 s12, 1, v7
	v_and_b32_e32 v10, 1, v12
	v_cndmask_b32_e64 v7, v8, 1, s12
	v_cmp_eq_u32_e64 s12, 1, v9
	s_delay_alu instid0(VALU_DEP_1) | instskip(SKIP_1) | instid1(VALU_DEP_1)
	v_cndmask_b32_e64 v9, v7, 1, s12
	v_cmp_eq_u16_e64 s12, 0, v12
	v_dual_cndmask_b32 v12, 0, v2, s12 :: v_dual_bitop2_b32 v11, 1, v11 bitop3:0x40
	s_delay_alu instid0(VALU_DEP_1) | instskip(NEXT) | instid1(VALU_DEP_2)
	v_cmp_eq_u32_e64 s12, 1, v11
	v_add_nc_u32_e32 v3, v12, v3
	s_delay_alu instid0(VALU_DEP_2)
	v_cndmask_b32_e64 v11, v9, 1, s12
	v_cmp_eq_u32_e64 s12, 1, v10
	ds_store_2addr_b32 v1, v4, v5 offset0:6 offset1:8
	ds_store_2addr_b32 v1, v2, v3 offset0:10 offset1:12
	v_cndmask_b32_e64 v10, v11, 1, s12
	v_cmp_eq_u16_e64 s12, 0, v17
	s_delay_alu instid0(VALU_DEP_1) | instskip(NEXT) | instid1(VALU_DEP_1)
	v_dual_cndmask_b32 v12, 0, v3, s12 :: v_dual_bitop2_b32 v23, 1, v17 bitop3:0x40
	v_cmp_eq_u32_e64 s12, 1, v23
	s_delay_alu instid0(VALU_DEP_2) | instskip(NEXT) | instid1(VALU_DEP_2)
	v_add_nc_u32_e32 v2, v12, v13
	v_cndmask_b32_e64 v17, v10, 1, s12
	ds_store_b8 v1, v6 offset:12
	ds_store_b8 v1, v8 offset:20
	;; [unrolled: 1-line block ×6, first 2 shown]
	ds_store_b32 v1, v2 offset:56
	ds_store_b8 v1, v17 offset:60
.LBB1526_174:
	s_or_b32 exec_lo, exec_lo, s13
	v_mov_b32_e32 v2, v41
	s_wait_dscnt 0x0
	s_barrier_signal -1
	s_barrier_wait -1
	s_and_saveexec_b32 s12, s3
	s_cbranch_execz .LBB1526_176
; %bb.175:
	v_add_nc_u32_e32 v1, -1, v0
	s_delay_alu instid0(VALU_DEP_1) | instskip(NEXT) | instid1(VALU_DEP_1)
	v_lshrrev_b32_e32 v2, 2, v1
	v_and_b32_e32 v2, 0x3ffffff8, v2
	s_delay_alu instid0(VALU_DEP_1) | instskip(SKIP_4) | instid1(VALU_DEP_1)
	v_lshl_add_u32 v1, v1, 3, v2
	ds_load_u8 v2, v1 offset:4
	ds_load_b32 v1, v1
	s_wait_dscnt 0x1
	v_cmp_eq_u16_e64 s3, 0, v2
	v_cndmask_b32_e64 v2, 0, v41, s3
	s_wait_dscnt 0x0
	s_delay_alu instid0(VALU_DEP_1)
	v_add_nc_u32_e32 v2, v2, v1
.LBB1526_176:
	s_or_b32 exec_lo, exec_lo, s12
	v_and_b32_e32 v39, 0xff, v15
	v_mov_b32_e32 v38, 0
	s_delay_alu instid0(VALU_DEP_1) | instskip(NEXT) | instid1(VALU_DEP_1)
	v_cmp_eq_u64_e64 s3, 0, v[38:39]
	v_cndmask_b32_e64 v1, 0, v2, s3
	s_delay_alu instid0(VALU_DEP_1) | instskip(NEXT) | instid1(VALU_DEP_1)
	v_add_nc_u32_e32 v3, v1, v14
	v_cndmask_b32_e32 v1, 0, v3, vcc_lo
	s_delay_alu instid0(VALU_DEP_1) | instskip(NEXT) | instid1(VALU_DEP_1)
	v_add_nc_u32_e32 v4, v1, v36
	v_cndmask_b32_e64 v1, 0, v4, s1
	s_delay_alu instid0(VALU_DEP_1) | instskip(NEXT) | instid1(VALU_DEP_1)
	v_add_nc_u32_e32 v5, v1, v34
	v_cndmask_b32_e64 v1, 0, v5, s4
	;; [unrolled: 3-line block ×9, first 2 shown]
	s_delay_alu instid0(VALU_DEP_1)
	v_add_nc_u32_e32 v13, v1, v18
	s_and_saveexec_b32 s1, s2
	s_cbranch_execz .LBB1526_178
; %bb.177:
	ds_load_u8 v1, v38 offset:2100
	ds_load_b32 v17, v38 offset:2096
	v_mov_b32_e32 v15, v38
	s_add_nc_u64 s[2:3], s[20:21], 0x200
	v_dual_mov_b32 v20, 2 :: v_dual_mov_b32 v21, v38
	s_wait_dscnt 0x1
	v_and_b32_e32 v14, 0xffff, v1
	s_delay_alu instid0(VALU_DEP_1) | instskip(SKIP_3) | instid1(VALU_DEP_2)
	v_cmp_eq_u64_e32 vcc_lo, 0, v[14:15]
	v_dual_cndmask_b32 v1, 0, v41, vcc_lo :: v_dual_mov_b32 v19, v14
	v_mov_b64_e32 v[14:15], s[2:3]
	s_wait_dscnt 0x0
	v_add_nc_u32_e32 v18, v1, v17
	;;#ASMSTART
	global_store_b128 v[14:15], v[18:21] off scope:SCOPE_DEV	
s_wait_storecnt 0x0
	;;#ASMEND
.LBB1526_178:
	s_or_b32 exec_lo, exec_lo, s1
	s_add_nc_u64 s[2:3], s[18:19], s[28:29]
	s_and_b32 vcc_lo, exec_lo, s0
	s_add_nc_u64 s[0:1], s[2:3], s[16:17]
	s_cbranch_vccnz .LBB1526_118
.LBB1526_179:
	s_mov_b32 s2, 0
                                        ; implicit-def: $vgpr15
	s_cbranch_execz .LBB1526_181
; %bb.180:
	v_mul_u32_u24_e32 v1, 48, v0
	v_mul_i32_i24_e32 v14, 0xffffffd4, v0
	s_wait_storecnt_dscnt 0x0
	s_barrier_signal -1
	s_barrier_wait -1
	ds_store_b128 v1, v[2:5]
	ds_store_b128 v1, v[6:9] offset:16
	ds_store_b128 v1, v[10:13] offset:32
	v_mad_u32_u24 v1, v0, 48, v14
	s_wait_dscnt 0x0
	s_barrier_signal -1
	s_barrier_wait -1
	ds_load_2addr_stride64_b32 v[2:3], v1 offset1:4
	ds_load_2addr_stride64_b32 v[4:5], v1 offset0:8 offset1:12
	ds_load_2addr_stride64_b32 v[6:7], v1 offset0:16 offset1:20
	;; [unrolled: 1-line block ×5, first 2 shown]
	s_or_b32 s2, s2, exec_lo
	s_wait_dscnt 0x5
	s_clause 0x1
	flat_store_b32 v0, v2, s[0:1] scale_offset
	flat_store_b32 v0, v3, s[0:1] offset:1024 scale_offset
	s_wait_dscnt 0x6
	s_clause 0x1
	flat_store_b32 v0, v4, s[0:1] offset:2048 scale_offset
	flat_store_b32 v0, v5, s[0:1] offset:3072 scale_offset
	s_wait_dscnt 0x7
	s_clause 0x1
	flat_store_b32 v0, v6, s[0:1] offset:4096 scale_offset
	;; [unrolled: 4-line block ×4, first 2 shown]
	flat_store_b32 v0, v11, s[0:1] offset:9216 scale_offset
	s_wait_dscnt 0xa
	flat_store_b32 v0, v14, s[0:1] offset:10240 scale_offset
.LBB1526_181:
	s_wait_xcnt 0x0
	s_delay_alu instid0(VALU_DEP_1)
	s_and_saveexec_b32 s3, s2
	s_cbranch_execz .LBB1526_183
; %bb.182:
	s_wait_dscnt 0x0
	flat_store_b32 v0, v15, s[0:1] offset:11264 scale_offset
	s_endpgm
.LBB1526_183:
	s_endpgm
	.section	.rodata,"a",@progbits
	.p2align	6, 0x0
	.amdhsa_kernel _ZN7rocprim17ROCPRIM_400000_NS6detail17trampoline_kernelINS0_14default_configENS1_27scan_by_key_config_selectorIijEEZZNS1_16scan_by_key_implILNS1_25lookback_scan_determinismE0ELb1ES3_N6thrust23THRUST_200600_302600_NS6detail15normal_iteratorINS9_10device_ptrIiEEEENSB_INSC_IjEEEESG_jNS9_4plusIvEENS9_8equal_toIvEEjEE10hipError_tPvRmT2_T3_T4_T5_mT6_T7_P12ihipStream_tbENKUlT_T0_E_clISt17integral_constantIbLb0EES10_IbLb1EEEEDaSW_SX_EUlSW_E_NS1_11comp_targetILNS1_3genE0ELNS1_11target_archE4294967295ELNS1_3gpuE0ELNS1_3repE0EEENS1_30default_config_static_selectorELNS0_4arch9wavefront6targetE0EEEvT1_
		.amdhsa_group_segment_fixed_size 14336
		.amdhsa_private_segment_fixed_size 0
		.amdhsa_kernarg_size 112
		.amdhsa_user_sgpr_count 2
		.amdhsa_user_sgpr_dispatch_ptr 0
		.amdhsa_user_sgpr_queue_ptr 0
		.amdhsa_user_sgpr_kernarg_segment_ptr 1
		.amdhsa_user_sgpr_dispatch_id 0
		.amdhsa_user_sgpr_kernarg_preload_length 0
		.amdhsa_user_sgpr_kernarg_preload_offset 0
		.amdhsa_user_sgpr_private_segment_size 0
		.amdhsa_wavefront_size32 1
		.amdhsa_uses_dynamic_stack 0
		.amdhsa_enable_private_segment 0
		.amdhsa_system_sgpr_workgroup_id_x 1
		.amdhsa_system_sgpr_workgroup_id_y 0
		.amdhsa_system_sgpr_workgroup_id_z 0
		.amdhsa_system_sgpr_workgroup_info 0
		.amdhsa_system_vgpr_workitem_id 0
		.amdhsa_next_free_vgpr 62
		.amdhsa_next_free_sgpr 39
		.amdhsa_named_barrier_count 0
		.amdhsa_reserve_vcc 1
		.amdhsa_float_round_mode_32 0
		.amdhsa_float_round_mode_16_64 0
		.amdhsa_float_denorm_mode_32 3
		.amdhsa_float_denorm_mode_16_64 3
		.amdhsa_fp16_overflow 0
		.amdhsa_memory_ordered 1
		.amdhsa_forward_progress 1
		.amdhsa_inst_pref_size 95
		.amdhsa_round_robin_scheduling 0
		.amdhsa_exception_fp_ieee_invalid_op 0
		.amdhsa_exception_fp_denorm_src 0
		.amdhsa_exception_fp_ieee_div_zero 0
		.amdhsa_exception_fp_ieee_overflow 0
		.amdhsa_exception_fp_ieee_underflow 0
		.amdhsa_exception_fp_ieee_inexact 0
		.amdhsa_exception_int_div_zero 0
	.end_amdhsa_kernel
	.section	.text._ZN7rocprim17ROCPRIM_400000_NS6detail17trampoline_kernelINS0_14default_configENS1_27scan_by_key_config_selectorIijEEZZNS1_16scan_by_key_implILNS1_25lookback_scan_determinismE0ELb1ES3_N6thrust23THRUST_200600_302600_NS6detail15normal_iteratorINS9_10device_ptrIiEEEENSB_INSC_IjEEEESG_jNS9_4plusIvEENS9_8equal_toIvEEjEE10hipError_tPvRmT2_T3_T4_T5_mT6_T7_P12ihipStream_tbENKUlT_T0_E_clISt17integral_constantIbLb0EES10_IbLb1EEEEDaSW_SX_EUlSW_E_NS1_11comp_targetILNS1_3genE0ELNS1_11target_archE4294967295ELNS1_3gpuE0ELNS1_3repE0EEENS1_30default_config_static_selectorELNS0_4arch9wavefront6targetE0EEEvT1_,"axG",@progbits,_ZN7rocprim17ROCPRIM_400000_NS6detail17trampoline_kernelINS0_14default_configENS1_27scan_by_key_config_selectorIijEEZZNS1_16scan_by_key_implILNS1_25lookback_scan_determinismE0ELb1ES3_N6thrust23THRUST_200600_302600_NS6detail15normal_iteratorINS9_10device_ptrIiEEEENSB_INSC_IjEEEESG_jNS9_4plusIvEENS9_8equal_toIvEEjEE10hipError_tPvRmT2_T3_T4_T5_mT6_T7_P12ihipStream_tbENKUlT_T0_E_clISt17integral_constantIbLb0EES10_IbLb1EEEEDaSW_SX_EUlSW_E_NS1_11comp_targetILNS1_3genE0ELNS1_11target_archE4294967295ELNS1_3gpuE0ELNS1_3repE0EEENS1_30default_config_static_selectorELNS0_4arch9wavefront6targetE0EEEvT1_,comdat
.Lfunc_end1526:
	.size	_ZN7rocprim17ROCPRIM_400000_NS6detail17trampoline_kernelINS0_14default_configENS1_27scan_by_key_config_selectorIijEEZZNS1_16scan_by_key_implILNS1_25lookback_scan_determinismE0ELb1ES3_N6thrust23THRUST_200600_302600_NS6detail15normal_iteratorINS9_10device_ptrIiEEEENSB_INSC_IjEEEESG_jNS9_4plusIvEENS9_8equal_toIvEEjEE10hipError_tPvRmT2_T3_T4_T5_mT6_T7_P12ihipStream_tbENKUlT_T0_E_clISt17integral_constantIbLb0EES10_IbLb1EEEEDaSW_SX_EUlSW_E_NS1_11comp_targetILNS1_3genE0ELNS1_11target_archE4294967295ELNS1_3gpuE0ELNS1_3repE0EEENS1_30default_config_static_selectorELNS0_4arch9wavefront6targetE0EEEvT1_, .Lfunc_end1526-_ZN7rocprim17ROCPRIM_400000_NS6detail17trampoline_kernelINS0_14default_configENS1_27scan_by_key_config_selectorIijEEZZNS1_16scan_by_key_implILNS1_25lookback_scan_determinismE0ELb1ES3_N6thrust23THRUST_200600_302600_NS6detail15normal_iteratorINS9_10device_ptrIiEEEENSB_INSC_IjEEEESG_jNS9_4plusIvEENS9_8equal_toIvEEjEE10hipError_tPvRmT2_T3_T4_T5_mT6_T7_P12ihipStream_tbENKUlT_T0_E_clISt17integral_constantIbLb0EES10_IbLb1EEEEDaSW_SX_EUlSW_E_NS1_11comp_targetILNS1_3genE0ELNS1_11target_archE4294967295ELNS1_3gpuE0ELNS1_3repE0EEENS1_30default_config_static_selectorELNS0_4arch9wavefront6targetE0EEEvT1_
                                        ; -- End function
	.set _ZN7rocprim17ROCPRIM_400000_NS6detail17trampoline_kernelINS0_14default_configENS1_27scan_by_key_config_selectorIijEEZZNS1_16scan_by_key_implILNS1_25lookback_scan_determinismE0ELb1ES3_N6thrust23THRUST_200600_302600_NS6detail15normal_iteratorINS9_10device_ptrIiEEEENSB_INSC_IjEEEESG_jNS9_4plusIvEENS9_8equal_toIvEEjEE10hipError_tPvRmT2_T3_T4_T5_mT6_T7_P12ihipStream_tbENKUlT_T0_E_clISt17integral_constantIbLb0EES10_IbLb1EEEEDaSW_SX_EUlSW_E_NS1_11comp_targetILNS1_3genE0ELNS1_11target_archE4294967295ELNS1_3gpuE0ELNS1_3repE0EEENS1_30default_config_static_selectorELNS0_4arch9wavefront6targetE0EEEvT1_.num_vgpr, 62
	.set _ZN7rocprim17ROCPRIM_400000_NS6detail17trampoline_kernelINS0_14default_configENS1_27scan_by_key_config_selectorIijEEZZNS1_16scan_by_key_implILNS1_25lookback_scan_determinismE0ELb1ES3_N6thrust23THRUST_200600_302600_NS6detail15normal_iteratorINS9_10device_ptrIiEEEENSB_INSC_IjEEEESG_jNS9_4plusIvEENS9_8equal_toIvEEjEE10hipError_tPvRmT2_T3_T4_T5_mT6_T7_P12ihipStream_tbENKUlT_T0_E_clISt17integral_constantIbLb0EES10_IbLb1EEEEDaSW_SX_EUlSW_E_NS1_11comp_targetILNS1_3genE0ELNS1_11target_archE4294967295ELNS1_3gpuE0ELNS1_3repE0EEENS1_30default_config_static_selectorELNS0_4arch9wavefront6targetE0EEEvT1_.num_agpr, 0
	.set _ZN7rocprim17ROCPRIM_400000_NS6detail17trampoline_kernelINS0_14default_configENS1_27scan_by_key_config_selectorIijEEZZNS1_16scan_by_key_implILNS1_25lookback_scan_determinismE0ELb1ES3_N6thrust23THRUST_200600_302600_NS6detail15normal_iteratorINS9_10device_ptrIiEEEENSB_INSC_IjEEEESG_jNS9_4plusIvEENS9_8equal_toIvEEjEE10hipError_tPvRmT2_T3_T4_T5_mT6_T7_P12ihipStream_tbENKUlT_T0_E_clISt17integral_constantIbLb0EES10_IbLb1EEEEDaSW_SX_EUlSW_E_NS1_11comp_targetILNS1_3genE0ELNS1_11target_archE4294967295ELNS1_3gpuE0ELNS1_3repE0EEENS1_30default_config_static_selectorELNS0_4arch9wavefront6targetE0EEEvT1_.numbered_sgpr, 39
	.set _ZN7rocprim17ROCPRIM_400000_NS6detail17trampoline_kernelINS0_14default_configENS1_27scan_by_key_config_selectorIijEEZZNS1_16scan_by_key_implILNS1_25lookback_scan_determinismE0ELb1ES3_N6thrust23THRUST_200600_302600_NS6detail15normal_iteratorINS9_10device_ptrIiEEEENSB_INSC_IjEEEESG_jNS9_4plusIvEENS9_8equal_toIvEEjEE10hipError_tPvRmT2_T3_T4_T5_mT6_T7_P12ihipStream_tbENKUlT_T0_E_clISt17integral_constantIbLb0EES10_IbLb1EEEEDaSW_SX_EUlSW_E_NS1_11comp_targetILNS1_3genE0ELNS1_11target_archE4294967295ELNS1_3gpuE0ELNS1_3repE0EEENS1_30default_config_static_selectorELNS0_4arch9wavefront6targetE0EEEvT1_.num_named_barrier, 0
	.set _ZN7rocprim17ROCPRIM_400000_NS6detail17trampoline_kernelINS0_14default_configENS1_27scan_by_key_config_selectorIijEEZZNS1_16scan_by_key_implILNS1_25lookback_scan_determinismE0ELb1ES3_N6thrust23THRUST_200600_302600_NS6detail15normal_iteratorINS9_10device_ptrIiEEEENSB_INSC_IjEEEESG_jNS9_4plusIvEENS9_8equal_toIvEEjEE10hipError_tPvRmT2_T3_T4_T5_mT6_T7_P12ihipStream_tbENKUlT_T0_E_clISt17integral_constantIbLb0EES10_IbLb1EEEEDaSW_SX_EUlSW_E_NS1_11comp_targetILNS1_3genE0ELNS1_11target_archE4294967295ELNS1_3gpuE0ELNS1_3repE0EEENS1_30default_config_static_selectorELNS0_4arch9wavefront6targetE0EEEvT1_.private_seg_size, 0
	.set _ZN7rocprim17ROCPRIM_400000_NS6detail17trampoline_kernelINS0_14default_configENS1_27scan_by_key_config_selectorIijEEZZNS1_16scan_by_key_implILNS1_25lookback_scan_determinismE0ELb1ES3_N6thrust23THRUST_200600_302600_NS6detail15normal_iteratorINS9_10device_ptrIiEEEENSB_INSC_IjEEEESG_jNS9_4plusIvEENS9_8equal_toIvEEjEE10hipError_tPvRmT2_T3_T4_T5_mT6_T7_P12ihipStream_tbENKUlT_T0_E_clISt17integral_constantIbLb0EES10_IbLb1EEEEDaSW_SX_EUlSW_E_NS1_11comp_targetILNS1_3genE0ELNS1_11target_archE4294967295ELNS1_3gpuE0ELNS1_3repE0EEENS1_30default_config_static_selectorELNS0_4arch9wavefront6targetE0EEEvT1_.uses_vcc, 1
	.set _ZN7rocprim17ROCPRIM_400000_NS6detail17trampoline_kernelINS0_14default_configENS1_27scan_by_key_config_selectorIijEEZZNS1_16scan_by_key_implILNS1_25lookback_scan_determinismE0ELb1ES3_N6thrust23THRUST_200600_302600_NS6detail15normal_iteratorINS9_10device_ptrIiEEEENSB_INSC_IjEEEESG_jNS9_4plusIvEENS9_8equal_toIvEEjEE10hipError_tPvRmT2_T3_T4_T5_mT6_T7_P12ihipStream_tbENKUlT_T0_E_clISt17integral_constantIbLb0EES10_IbLb1EEEEDaSW_SX_EUlSW_E_NS1_11comp_targetILNS1_3genE0ELNS1_11target_archE4294967295ELNS1_3gpuE0ELNS1_3repE0EEENS1_30default_config_static_selectorELNS0_4arch9wavefront6targetE0EEEvT1_.uses_flat_scratch, 1
	.set _ZN7rocprim17ROCPRIM_400000_NS6detail17trampoline_kernelINS0_14default_configENS1_27scan_by_key_config_selectorIijEEZZNS1_16scan_by_key_implILNS1_25lookback_scan_determinismE0ELb1ES3_N6thrust23THRUST_200600_302600_NS6detail15normal_iteratorINS9_10device_ptrIiEEEENSB_INSC_IjEEEESG_jNS9_4plusIvEENS9_8equal_toIvEEjEE10hipError_tPvRmT2_T3_T4_T5_mT6_T7_P12ihipStream_tbENKUlT_T0_E_clISt17integral_constantIbLb0EES10_IbLb1EEEEDaSW_SX_EUlSW_E_NS1_11comp_targetILNS1_3genE0ELNS1_11target_archE4294967295ELNS1_3gpuE0ELNS1_3repE0EEENS1_30default_config_static_selectorELNS0_4arch9wavefront6targetE0EEEvT1_.has_dyn_sized_stack, 0
	.set _ZN7rocprim17ROCPRIM_400000_NS6detail17trampoline_kernelINS0_14default_configENS1_27scan_by_key_config_selectorIijEEZZNS1_16scan_by_key_implILNS1_25lookback_scan_determinismE0ELb1ES3_N6thrust23THRUST_200600_302600_NS6detail15normal_iteratorINS9_10device_ptrIiEEEENSB_INSC_IjEEEESG_jNS9_4plusIvEENS9_8equal_toIvEEjEE10hipError_tPvRmT2_T3_T4_T5_mT6_T7_P12ihipStream_tbENKUlT_T0_E_clISt17integral_constantIbLb0EES10_IbLb1EEEEDaSW_SX_EUlSW_E_NS1_11comp_targetILNS1_3genE0ELNS1_11target_archE4294967295ELNS1_3gpuE0ELNS1_3repE0EEENS1_30default_config_static_selectorELNS0_4arch9wavefront6targetE0EEEvT1_.has_recursion, 0
	.set _ZN7rocprim17ROCPRIM_400000_NS6detail17trampoline_kernelINS0_14default_configENS1_27scan_by_key_config_selectorIijEEZZNS1_16scan_by_key_implILNS1_25lookback_scan_determinismE0ELb1ES3_N6thrust23THRUST_200600_302600_NS6detail15normal_iteratorINS9_10device_ptrIiEEEENSB_INSC_IjEEEESG_jNS9_4plusIvEENS9_8equal_toIvEEjEE10hipError_tPvRmT2_T3_T4_T5_mT6_T7_P12ihipStream_tbENKUlT_T0_E_clISt17integral_constantIbLb0EES10_IbLb1EEEEDaSW_SX_EUlSW_E_NS1_11comp_targetILNS1_3genE0ELNS1_11target_archE4294967295ELNS1_3gpuE0ELNS1_3repE0EEENS1_30default_config_static_selectorELNS0_4arch9wavefront6targetE0EEEvT1_.has_indirect_call, 0
	.section	.AMDGPU.csdata,"",@progbits
; Kernel info:
; codeLenInByte = 12140
; TotalNumSgprs: 41
; NumVgprs: 62
; ScratchSize: 0
; MemoryBound: 0
; FloatMode: 240
; IeeeMode: 1
; LDSByteSize: 14336 bytes/workgroup (compile time only)
; SGPRBlocks: 0
; VGPRBlocks: 3
; NumSGPRsForWavesPerEU: 41
; NumVGPRsForWavesPerEU: 62
; NamedBarCnt: 0
; Occupancy: 16
; WaveLimiterHint : 1
; COMPUTE_PGM_RSRC2:SCRATCH_EN: 0
; COMPUTE_PGM_RSRC2:USER_SGPR: 2
; COMPUTE_PGM_RSRC2:TRAP_HANDLER: 0
; COMPUTE_PGM_RSRC2:TGID_X_EN: 1
; COMPUTE_PGM_RSRC2:TGID_Y_EN: 0
; COMPUTE_PGM_RSRC2:TGID_Z_EN: 0
; COMPUTE_PGM_RSRC2:TIDIG_COMP_CNT: 0
	.section	.text._ZN7rocprim17ROCPRIM_400000_NS6detail17trampoline_kernelINS0_14default_configENS1_27scan_by_key_config_selectorIijEEZZNS1_16scan_by_key_implILNS1_25lookback_scan_determinismE0ELb1ES3_N6thrust23THRUST_200600_302600_NS6detail15normal_iteratorINS9_10device_ptrIiEEEENSB_INSC_IjEEEESG_jNS9_4plusIvEENS9_8equal_toIvEEjEE10hipError_tPvRmT2_T3_T4_T5_mT6_T7_P12ihipStream_tbENKUlT_T0_E_clISt17integral_constantIbLb0EES10_IbLb1EEEEDaSW_SX_EUlSW_E_NS1_11comp_targetILNS1_3genE10ELNS1_11target_archE1201ELNS1_3gpuE5ELNS1_3repE0EEENS1_30default_config_static_selectorELNS0_4arch9wavefront6targetE0EEEvT1_,"axG",@progbits,_ZN7rocprim17ROCPRIM_400000_NS6detail17trampoline_kernelINS0_14default_configENS1_27scan_by_key_config_selectorIijEEZZNS1_16scan_by_key_implILNS1_25lookback_scan_determinismE0ELb1ES3_N6thrust23THRUST_200600_302600_NS6detail15normal_iteratorINS9_10device_ptrIiEEEENSB_INSC_IjEEEESG_jNS9_4plusIvEENS9_8equal_toIvEEjEE10hipError_tPvRmT2_T3_T4_T5_mT6_T7_P12ihipStream_tbENKUlT_T0_E_clISt17integral_constantIbLb0EES10_IbLb1EEEEDaSW_SX_EUlSW_E_NS1_11comp_targetILNS1_3genE10ELNS1_11target_archE1201ELNS1_3gpuE5ELNS1_3repE0EEENS1_30default_config_static_selectorELNS0_4arch9wavefront6targetE0EEEvT1_,comdat
	.protected	_ZN7rocprim17ROCPRIM_400000_NS6detail17trampoline_kernelINS0_14default_configENS1_27scan_by_key_config_selectorIijEEZZNS1_16scan_by_key_implILNS1_25lookback_scan_determinismE0ELb1ES3_N6thrust23THRUST_200600_302600_NS6detail15normal_iteratorINS9_10device_ptrIiEEEENSB_INSC_IjEEEESG_jNS9_4plusIvEENS9_8equal_toIvEEjEE10hipError_tPvRmT2_T3_T4_T5_mT6_T7_P12ihipStream_tbENKUlT_T0_E_clISt17integral_constantIbLb0EES10_IbLb1EEEEDaSW_SX_EUlSW_E_NS1_11comp_targetILNS1_3genE10ELNS1_11target_archE1201ELNS1_3gpuE5ELNS1_3repE0EEENS1_30default_config_static_selectorELNS0_4arch9wavefront6targetE0EEEvT1_ ; -- Begin function _ZN7rocprim17ROCPRIM_400000_NS6detail17trampoline_kernelINS0_14default_configENS1_27scan_by_key_config_selectorIijEEZZNS1_16scan_by_key_implILNS1_25lookback_scan_determinismE0ELb1ES3_N6thrust23THRUST_200600_302600_NS6detail15normal_iteratorINS9_10device_ptrIiEEEENSB_INSC_IjEEEESG_jNS9_4plusIvEENS9_8equal_toIvEEjEE10hipError_tPvRmT2_T3_T4_T5_mT6_T7_P12ihipStream_tbENKUlT_T0_E_clISt17integral_constantIbLb0EES10_IbLb1EEEEDaSW_SX_EUlSW_E_NS1_11comp_targetILNS1_3genE10ELNS1_11target_archE1201ELNS1_3gpuE5ELNS1_3repE0EEENS1_30default_config_static_selectorELNS0_4arch9wavefront6targetE0EEEvT1_
	.globl	_ZN7rocprim17ROCPRIM_400000_NS6detail17trampoline_kernelINS0_14default_configENS1_27scan_by_key_config_selectorIijEEZZNS1_16scan_by_key_implILNS1_25lookback_scan_determinismE0ELb1ES3_N6thrust23THRUST_200600_302600_NS6detail15normal_iteratorINS9_10device_ptrIiEEEENSB_INSC_IjEEEESG_jNS9_4plusIvEENS9_8equal_toIvEEjEE10hipError_tPvRmT2_T3_T4_T5_mT6_T7_P12ihipStream_tbENKUlT_T0_E_clISt17integral_constantIbLb0EES10_IbLb1EEEEDaSW_SX_EUlSW_E_NS1_11comp_targetILNS1_3genE10ELNS1_11target_archE1201ELNS1_3gpuE5ELNS1_3repE0EEENS1_30default_config_static_selectorELNS0_4arch9wavefront6targetE0EEEvT1_
	.p2align	8
	.type	_ZN7rocprim17ROCPRIM_400000_NS6detail17trampoline_kernelINS0_14default_configENS1_27scan_by_key_config_selectorIijEEZZNS1_16scan_by_key_implILNS1_25lookback_scan_determinismE0ELb1ES3_N6thrust23THRUST_200600_302600_NS6detail15normal_iteratorINS9_10device_ptrIiEEEENSB_INSC_IjEEEESG_jNS9_4plusIvEENS9_8equal_toIvEEjEE10hipError_tPvRmT2_T3_T4_T5_mT6_T7_P12ihipStream_tbENKUlT_T0_E_clISt17integral_constantIbLb0EES10_IbLb1EEEEDaSW_SX_EUlSW_E_NS1_11comp_targetILNS1_3genE10ELNS1_11target_archE1201ELNS1_3gpuE5ELNS1_3repE0EEENS1_30default_config_static_selectorELNS0_4arch9wavefront6targetE0EEEvT1_,@function
_ZN7rocprim17ROCPRIM_400000_NS6detail17trampoline_kernelINS0_14default_configENS1_27scan_by_key_config_selectorIijEEZZNS1_16scan_by_key_implILNS1_25lookback_scan_determinismE0ELb1ES3_N6thrust23THRUST_200600_302600_NS6detail15normal_iteratorINS9_10device_ptrIiEEEENSB_INSC_IjEEEESG_jNS9_4plusIvEENS9_8equal_toIvEEjEE10hipError_tPvRmT2_T3_T4_T5_mT6_T7_P12ihipStream_tbENKUlT_T0_E_clISt17integral_constantIbLb0EES10_IbLb1EEEEDaSW_SX_EUlSW_E_NS1_11comp_targetILNS1_3genE10ELNS1_11target_archE1201ELNS1_3gpuE5ELNS1_3repE0EEENS1_30default_config_static_selectorELNS0_4arch9wavefront6targetE0EEEvT1_: ; @_ZN7rocprim17ROCPRIM_400000_NS6detail17trampoline_kernelINS0_14default_configENS1_27scan_by_key_config_selectorIijEEZZNS1_16scan_by_key_implILNS1_25lookback_scan_determinismE0ELb1ES3_N6thrust23THRUST_200600_302600_NS6detail15normal_iteratorINS9_10device_ptrIiEEEENSB_INSC_IjEEEESG_jNS9_4plusIvEENS9_8equal_toIvEEjEE10hipError_tPvRmT2_T3_T4_T5_mT6_T7_P12ihipStream_tbENKUlT_T0_E_clISt17integral_constantIbLb0EES10_IbLb1EEEEDaSW_SX_EUlSW_E_NS1_11comp_targetILNS1_3genE10ELNS1_11target_archE1201ELNS1_3gpuE5ELNS1_3repE0EEENS1_30default_config_static_selectorELNS0_4arch9wavefront6targetE0EEEvT1_
; %bb.0:
	.section	.rodata,"a",@progbits
	.p2align	6, 0x0
	.amdhsa_kernel _ZN7rocprim17ROCPRIM_400000_NS6detail17trampoline_kernelINS0_14default_configENS1_27scan_by_key_config_selectorIijEEZZNS1_16scan_by_key_implILNS1_25lookback_scan_determinismE0ELb1ES3_N6thrust23THRUST_200600_302600_NS6detail15normal_iteratorINS9_10device_ptrIiEEEENSB_INSC_IjEEEESG_jNS9_4plusIvEENS9_8equal_toIvEEjEE10hipError_tPvRmT2_T3_T4_T5_mT6_T7_P12ihipStream_tbENKUlT_T0_E_clISt17integral_constantIbLb0EES10_IbLb1EEEEDaSW_SX_EUlSW_E_NS1_11comp_targetILNS1_3genE10ELNS1_11target_archE1201ELNS1_3gpuE5ELNS1_3repE0EEENS1_30default_config_static_selectorELNS0_4arch9wavefront6targetE0EEEvT1_
		.amdhsa_group_segment_fixed_size 0
		.amdhsa_private_segment_fixed_size 0
		.amdhsa_kernarg_size 112
		.amdhsa_user_sgpr_count 2
		.amdhsa_user_sgpr_dispatch_ptr 0
		.amdhsa_user_sgpr_queue_ptr 0
		.amdhsa_user_sgpr_kernarg_segment_ptr 1
		.amdhsa_user_sgpr_dispatch_id 0
		.amdhsa_user_sgpr_kernarg_preload_length 0
		.amdhsa_user_sgpr_kernarg_preload_offset 0
		.amdhsa_user_sgpr_private_segment_size 0
		.amdhsa_wavefront_size32 1
		.amdhsa_uses_dynamic_stack 0
		.amdhsa_enable_private_segment 0
		.amdhsa_system_sgpr_workgroup_id_x 1
		.amdhsa_system_sgpr_workgroup_id_y 0
		.amdhsa_system_sgpr_workgroup_id_z 0
		.amdhsa_system_sgpr_workgroup_info 0
		.amdhsa_system_vgpr_workitem_id 0
		.amdhsa_next_free_vgpr 1
		.amdhsa_next_free_sgpr 1
		.amdhsa_named_barrier_count 0
		.amdhsa_reserve_vcc 0
		.amdhsa_float_round_mode_32 0
		.amdhsa_float_round_mode_16_64 0
		.amdhsa_float_denorm_mode_32 3
		.amdhsa_float_denorm_mode_16_64 3
		.amdhsa_fp16_overflow 0
		.amdhsa_memory_ordered 1
		.amdhsa_forward_progress 1
		.amdhsa_inst_pref_size 0
		.amdhsa_round_robin_scheduling 0
		.amdhsa_exception_fp_ieee_invalid_op 0
		.amdhsa_exception_fp_denorm_src 0
		.amdhsa_exception_fp_ieee_div_zero 0
		.amdhsa_exception_fp_ieee_overflow 0
		.amdhsa_exception_fp_ieee_underflow 0
		.amdhsa_exception_fp_ieee_inexact 0
		.amdhsa_exception_int_div_zero 0
	.end_amdhsa_kernel
	.section	.text._ZN7rocprim17ROCPRIM_400000_NS6detail17trampoline_kernelINS0_14default_configENS1_27scan_by_key_config_selectorIijEEZZNS1_16scan_by_key_implILNS1_25lookback_scan_determinismE0ELb1ES3_N6thrust23THRUST_200600_302600_NS6detail15normal_iteratorINS9_10device_ptrIiEEEENSB_INSC_IjEEEESG_jNS9_4plusIvEENS9_8equal_toIvEEjEE10hipError_tPvRmT2_T3_T4_T5_mT6_T7_P12ihipStream_tbENKUlT_T0_E_clISt17integral_constantIbLb0EES10_IbLb1EEEEDaSW_SX_EUlSW_E_NS1_11comp_targetILNS1_3genE10ELNS1_11target_archE1201ELNS1_3gpuE5ELNS1_3repE0EEENS1_30default_config_static_selectorELNS0_4arch9wavefront6targetE0EEEvT1_,"axG",@progbits,_ZN7rocprim17ROCPRIM_400000_NS6detail17trampoline_kernelINS0_14default_configENS1_27scan_by_key_config_selectorIijEEZZNS1_16scan_by_key_implILNS1_25lookback_scan_determinismE0ELb1ES3_N6thrust23THRUST_200600_302600_NS6detail15normal_iteratorINS9_10device_ptrIiEEEENSB_INSC_IjEEEESG_jNS9_4plusIvEENS9_8equal_toIvEEjEE10hipError_tPvRmT2_T3_T4_T5_mT6_T7_P12ihipStream_tbENKUlT_T0_E_clISt17integral_constantIbLb0EES10_IbLb1EEEEDaSW_SX_EUlSW_E_NS1_11comp_targetILNS1_3genE10ELNS1_11target_archE1201ELNS1_3gpuE5ELNS1_3repE0EEENS1_30default_config_static_selectorELNS0_4arch9wavefront6targetE0EEEvT1_,comdat
.Lfunc_end1527:
	.size	_ZN7rocprim17ROCPRIM_400000_NS6detail17trampoline_kernelINS0_14default_configENS1_27scan_by_key_config_selectorIijEEZZNS1_16scan_by_key_implILNS1_25lookback_scan_determinismE0ELb1ES3_N6thrust23THRUST_200600_302600_NS6detail15normal_iteratorINS9_10device_ptrIiEEEENSB_INSC_IjEEEESG_jNS9_4plusIvEENS9_8equal_toIvEEjEE10hipError_tPvRmT2_T3_T4_T5_mT6_T7_P12ihipStream_tbENKUlT_T0_E_clISt17integral_constantIbLb0EES10_IbLb1EEEEDaSW_SX_EUlSW_E_NS1_11comp_targetILNS1_3genE10ELNS1_11target_archE1201ELNS1_3gpuE5ELNS1_3repE0EEENS1_30default_config_static_selectorELNS0_4arch9wavefront6targetE0EEEvT1_, .Lfunc_end1527-_ZN7rocprim17ROCPRIM_400000_NS6detail17trampoline_kernelINS0_14default_configENS1_27scan_by_key_config_selectorIijEEZZNS1_16scan_by_key_implILNS1_25lookback_scan_determinismE0ELb1ES3_N6thrust23THRUST_200600_302600_NS6detail15normal_iteratorINS9_10device_ptrIiEEEENSB_INSC_IjEEEESG_jNS9_4plusIvEENS9_8equal_toIvEEjEE10hipError_tPvRmT2_T3_T4_T5_mT6_T7_P12ihipStream_tbENKUlT_T0_E_clISt17integral_constantIbLb0EES10_IbLb1EEEEDaSW_SX_EUlSW_E_NS1_11comp_targetILNS1_3genE10ELNS1_11target_archE1201ELNS1_3gpuE5ELNS1_3repE0EEENS1_30default_config_static_selectorELNS0_4arch9wavefront6targetE0EEEvT1_
                                        ; -- End function
	.set _ZN7rocprim17ROCPRIM_400000_NS6detail17trampoline_kernelINS0_14default_configENS1_27scan_by_key_config_selectorIijEEZZNS1_16scan_by_key_implILNS1_25lookback_scan_determinismE0ELb1ES3_N6thrust23THRUST_200600_302600_NS6detail15normal_iteratorINS9_10device_ptrIiEEEENSB_INSC_IjEEEESG_jNS9_4plusIvEENS9_8equal_toIvEEjEE10hipError_tPvRmT2_T3_T4_T5_mT6_T7_P12ihipStream_tbENKUlT_T0_E_clISt17integral_constantIbLb0EES10_IbLb1EEEEDaSW_SX_EUlSW_E_NS1_11comp_targetILNS1_3genE10ELNS1_11target_archE1201ELNS1_3gpuE5ELNS1_3repE0EEENS1_30default_config_static_selectorELNS0_4arch9wavefront6targetE0EEEvT1_.num_vgpr, 0
	.set _ZN7rocprim17ROCPRIM_400000_NS6detail17trampoline_kernelINS0_14default_configENS1_27scan_by_key_config_selectorIijEEZZNS1_16scan_by_key_implILNS1_25lookback_scan_determinismE0ELb1ES3_N6thrust23THRUST_200600_302600_NS6detail15normal_iteratorINS9_10device_ptrIiEEEENSB_INSC_IjEEEESG_jNS9_4plusIvEENS9_8equal_toIvEEjEE10hipError_tPvRmT2_T3_T4_T5_mT6_T7_P12ihipStream_tbENKUlT_T0_E_clISt17integral_constantIbLb0EES10_IbLb1EEEEDaSW_SX_EUlSW_E_NS1_11comp_targetILNS1_3genE10ELNS1_11target_archE1201ELNS1_3gpuE5ELNS1_3repE0EEENS1_30default_config_static_selectorELNS0_4arch9wavefront6targetE0EEEvT1_.num_agpr, 0
	.set _ZN7rocprim17ROCPRIM_400000_NS6detail17trampoline_kernelINS0_14default_configENS1_27scan_by_key_config_selectorIijEEZZNS1_16scan_by_key_implILNS1_25lookback_scan_determinismE0ELb1ES3_N6thrust23THRUST_200600_302600_NS6detail15normal_iteratorINS9_10device_ptrIiEEEENSB_INSC_IjEEEESG_jNS9_4plusIvEENS9_8equal_toIvEEjEE10hipError_tPvRmT2_T3_T4_T5_mT6_T7_P12ihipStream_tbENKUlT_T0_E_clISt17integral_constantIbLb0EES10_IbLb1EEEEDaSW_SX_EUlSW_E_NS1_11comp_targetILNS1_3genE10ELNS1_11target_archE1201ELNS1_3gpuE5ELNS1_3repE0EEENS1_30default_config_static_selectorELNS0_4arch9wavefront6targetE0EEEvT1_.numbered_sgpr, 0
	.set _ZN7rocprim17ROCPRIM_400000_NS6detail17trampoline_kernelINS0_14default_configENS1_27scan_by_key_config_selectorIijEEZZNS1_16scan_by_key_implILNS1_25lookback_scan_determinismE0ELb1ES3_N6thrust23THRUST_200600_302600_NS6detail15normal_iteratorINS9_10device_ptrIiEEEENSB_INSC_IjEEEESG_jNS9_4plusIvEENS9_8equal_toIvEEjEE10hipError_tPvRmT2_T3_T4_T5_mT6_T7_P12ihipStream_tbENKUlT_T0_E_clISt17integral_constantIbLb0EES10_IbLb1EEEEDaSW_SX_EUlSW_E_NS1_11comp_targetILNS1_3genE10ELNS1_11target_archE1201ELNS1_3gpuE5ELNS1_3repE0EEENS1_30default_config_static_selectorELNS0_4arch9wavefront6targetE0EEEvT1_.num_named_barrier, 0
	.set _ZN7rocprim17ROCPRIM_400000_NS6detail17trampoline_kernelINS0_14default_configENS1_27scan_by_key_config_selectorIijEEZZNS1_16scan_by_key_implILNS1_25lookback_scan_determinismE0ELb1ES3_N6thrust23THRUST_200600_302600_NS6detail15normal_iteratorINS9_10device_ptrIiEEEENSB_INSC_IjEEEESG_jNS9_4plusIvEENS9_8equal_toIvEEjEE10hipError_tPvRmT2_T3_T4_T5_mT6_T7_P12ihipStream_tbENKUlT_T0_E_clISt17integral_constantIbLb0EES10_IbLb1EEEEDaSW_SX_EUlSW_E_NS1_11comp_targetILNS1_3genE10ELNS1_11target_archE1201ELNS1_3gpuE5ELNS1_3repE0EEENS1_30default_config_static_selectorELNS0_4arch9wavefront6targetE0EEEvT1_.private_seg_size, 0
	.set _ZN7rocprim17ROCPRIM_400000_NS6detail17trampoline_kernelINS0_14default_configENS1_27scan_by_key_config_selectorIijEEZZNS1_16scan_by_key_implILNS1_25lookback_scan_determinismE0ELb1ES3_N6thrust23THRUST_200600_302600_NS6detail15normal_iteratorINS9_10device_ptrIiEEEENSB_INSC_IjEEEESG_jNS9_4plusIvEENS9_8equal_toIvEEjEE10hipError_tPvRmT2_T3_T4_T5_mT6_T7_P12ihipStream_tbENKUlT_T0_E_clISt17integral_constantIbLb0EES10_IbLb1EEEEDaSW_SX_EUlSW_E_NS1_11comp_targetILNS1_3genE10ELNS1_11target_archE1201ELNS1_3gpuE5ELNS1_3repE0EEENS1_30default_config_static_selectorELNS0_4arch9wavefront6targetE0EEEvT1_.uses_vcc, 0
	.set _ZN7rocprim17ROCPRIM_400000_NS6detail17trampoline_kernelINS0_14default_configENS1_27scan_by_key_config_selectorIijEEZZNS1_16scan_by_key_implILNS1_25lookback_scan_determinismE0ELb1ES3_N6thrust23THRUST_200600_302600_NS6detail15normal_iteratorINS9_10device_ptrIiEEEENSB_INSC_IjEEEESG_jNS9_4plusIvEENS9_8equal_toIvEEjEE10hipError_tPvRmT2_T3_T4_T5_mT6_T7_P12ihipStream_tbENKUlT_T0_E_clISt17integral_constantIbLb0EES10_IbLb1EEEEDaSW_SX_EUlSW_E_NS1_11comp_targetILNS1_3genE10ELNS1_11target_archE1201ELNS1_3gpuE5ELNS1_3repE0EEENS1_30default_config_static_selectorELNS0_4arch9wavefront6targetE0EEEvT1_.uses_flat_scratch, 0
	.set _ZN7rocprim17ROCPRIM_400000_NS6detail17trampoline_kernelINS0_14default_configENS1_27scan_by_key_config_selectorIijEEZZNS1_16scan_by_key_implILNS1_25lookback_scan_determinismE0ELb1ES3_N6thrust23THRUST_200600_302600_NS6detail15normal_iteratorINS9_10device_ptrIiEEEENSB_INSC_IjEEEESG_jNS9_4plusIvEENS9_8equal_toIvEEjEE10hipError_tPvRmT2_T3_T4_T5_mT6_T7_P12ihipStream_tbENKUlT_T0_E_clISt17integral_constantIbLb0EES10_IbLb1EEEEDaSW_SX_EUlSW_E_NS1_11comp_targetILNS1_3genE10ELNS1_11target_archE1201ELNS1_3gpuE5ELNS1_3repE0EEENS1_30default_config_static_selectorELNS0_4arch9wavefront6targetE0EEEvT1_.has_dyn_sized_stack, 0
	.set _ZN7rocprim17ROCPRIM_400000_NS6detail17trampoline_kernelINS0_14default_configENS1_27scan_by_key_config_selectorIijEEZZNS1_16scan_by_key_implILNS1_25lookback_scan_determinismE0ELb1ES3_N6thrust23THRUST_200600_302600_NS6detail15normal_iteratorINS9_10device_ptrIiEEEENSB_INSC_IjEEEESG_jNS9_4plusIvEENS9_8equal_toIvEEjEE10hipError_tPvRmT2_T3_T4_T5_mT6_T7_P12ihipStream_tbENKUlT_T0_E_clISt17integral_constantIbLb0EES10_IbLb1EEEEDaSW_SX_EUlSW_E_NS1_11comp_targetILNS1_3genE10ELNS1_11target_archE1201ELNS1_3gpuE5ELNS1_3repE0EEENS1_30default_config_static_selectorELNS0_4arch9wavefront6targetE0EEEvT1_.has_recursion, 0
	.set _ZN7rocprim17ROCPRIM_400000_NS6detail17trampoline_kernelINS0_14default_configENS1_27scan_by_key_config_selectorIijEEZZNS1_16scan_by_key_implILNS1_25lookback_scan_determinismE0ELb1ES3_N6thrust23THRUST_200600_302600_NS6detail15normal_iteratorINS9_10device_ptrIiEEEENSB_INSC_IjEEEESG_jNS9_4plusIvEENS9_8equal_toIvEEjEE10hipError_tPvRmT2_T3_T4_T5_mT6_T7_P12ihipStream_tbENKUlT_T0_E_clISt17integral_constantIbLb0EES10_IbLb1EEEEDaSW_SX_EUlSW_E_NS1_11comp_targetILNS1_3genE10ELNS1_11target_archE1201ELNS1_3gpuE5ELNS1_3repE0EEENS1_30default_config_static_selectorELNS0_4arch9wavefront6targetE0EEEvT1_.has_indirect_call, 0
	.section	.AMDGPU.csdata,"",@progbits
; Kernel info:
; codeLenInByte = 0
; TotalNumSgprs: 0
; NumVgprs: 0
; ScratchSize: 0
; MemoryBound: 0
; FloatMode: 240
; IeeeMode: 1
; LDSByteSize: 0 bytes/workgroup (compile time only)
; SGPRBlocks: 0
; VGPRBlocks: 0
; NumSGPRsForWavesPerEU: 1
; NumVGPRsForWavesPerEU: 1
; NamedBarCnt: 0
; Occupancy: 16
; WaveLimiterHint : 0
; COMPUTE_PGM_RSRC2:SCRATCH_EN: 0
; COMPUTE_PGM_RSRC2:USER_SGPR: 2
; COMPUTE_PGM_RSRC2:TRAP_HANDLER: 0
; COMPUTE_PGM_RSRC2:TGID_X_EN: 1
; COMPUTE_PGM_RSRC2:TGID_Y_EN: 0
; COMPUTE_PGM_RSRC2:TGID_Z_EN: 0
; COMPUTE_PGM_RSRC2:TIDIG_COMP_CNT: 0
	.section	.text._ZN7rocprim17ROCPRIM_400000_NS6detail17trampoline_kernelINS0_14default_configENS1_27scan_by_key_config_selectorIijEEZZNS1_16scan_by_key_implILNS1_25lookback_scan_determinismE0ELb1ES3_N6thrust23THRUST_200600_302600_NS6detail15normal_iteratorINS9_10device_ptrIiEEEENSB_INSC_IjEEEESG_jNS9_4plusIvEENS9_8equal_toIvEEjEE10hipError_tPvRmT2_T3_T4_T5_mT6_T7_P12ihipStream_tbENKUlT_T0_E_clISt17integral_constantIbLb0EES10_IbLb1EEEEDaSW_SX_EUlSW_E_NS1_11comp_targetILNS1_3genE5ELNS1_11target_archE942ELNS1_3gpuE9ELNS1_3repE0EEENS1_30default_config_static_selectorELNS0_4arch9wavefront6targetE0EEEvT1_,"axG",@progbits,_ZN7rocprim17ROCPRIM_400000_NS6detail17trampoline_kernelINS0_14default_configENS1_27scan_by_key_config_selectorIijEEZZNS1_16scan_by_key_implILNS1_25lookback_scan_determinismE0ELb1ES3_N6thrust23THRUST_200600_302600_NS6detail15normal_iteratorINS9_10device_ptrIiEEEENSB_INSC_IjEEEESG_jNS9_4plusIvEENS9_8equal_toIvEEjEE10hipError_tPvRmT2_T3_T4_T5_mT6_T7_P12ihipStream_tbENKUlT_T0_E_clISt17integral_constantIbLb0EES10_IbLb1EEEEDaSW_SX_EUlSW_E_NS1_11comp_targetILNS1_3genE5ELNS1_11target_archE942ELNS1_3gpuE9ELNS1_3repE0EEENS1_30default_config_static_selectorELNS0_4arch9wavefront6targetE0EEEvT1_,comdat
	.protected	_ZN7rocprim17ROCPRIM_400000_NS6detail17trampoline_kernelINS0_14default_configENS1_27scan_by_key_config_selectorIijEEZZNS1_16scan_by_key_implILNS1_25lookback_scan_determinismE0ELb1ES3_N6thrust23THRUST_200600_302600_NS6detail15normal_iteratorINS9_10device_ptrIiEEEENSB_INSC_IjEEEESG_jNS9_4plusIvEENS9_8equal_toIvEEjEE10hipError_tPvRmT2_T3_T4_T5_mT6_T7_P12ihipStream_tbENKUlT_T0_E_clISt17integral_constantIbLb0EES10_IbLb1EEEEDaSW_SX_EUlSW_E_NS1_11comp_targetILNS1_3genE5ELNS1_11target_archE942ELNS1_3gpuE9ELNS1_3repE0EEENS1_30default_config_static_selectorELNS0_4arch9wavefront6targetE0EEEvT1_ ; -- Begin function _ZN7rocprim17ROCPRIM_400000_NS6detail17trampoline_kernelINS0_14default_configENS1_27scan_by_key_config_selectorIijEEZZNS1_16scan_by_key_implILNS1_25lookback_scan_determinismE0ELb1ES3_N6thrust23THRUST_200600_302600_NS6detail15normal_iteratorINS9_10device_ptrIiEEEENSB_INSC_IjEEEESG_jNS9_4plusIvEENS9_8equal_toIvEEjEE10hipError_tPvRmT2_T3_T4_T5_mT6_T7_P12ihipStream_tbENKUlT_T0_E_clISt17integral_constantIbLb0EES10_IbLb1EEEEDaSW_SX_EUlSW_E_NS1_11comp_targetILNS1_3genE5ELNS1_11target_archE942ELNS1_3gpuE9ELNS1_3repE0EEENS1_30default_config_static_selectorELNS0_4arch9wavefront6targetE0EEEvT1_
	.globl	_ZN7rocprim17ROCPRIM_400000_NS6detail17trampoline_kernelINS0_14default_configENS1_27scan_by_key_config_selectorIijEEZZNS1_16scan_by_key_implILNS1_25lookback_scan_determinismE0ELb1ES3_N6thrust23THRUST_200600_302600_NS6detail15normal_iteratorINS9_10device_ptrIiEEEENSB_INSC_IjEEEESG_jNS9_4plusIvEENS9_8equal_toIvEEjEE10hipError_tPvRmT2_T3_T4_T5_mT6_T7_P12ihipStream_tbENKUlT_T0_E_clISt17integral_constantIbLb0EES10_IbLb1EEEEDaSW_SX_EUlSW_E_NS1_11comp_targetILNS1_3genE5ELNS1_11target_archE942ELNS1_3gpuE9ELNS1_3repE0EEENS1_30default_config_static_selectorELNS0_4arch9wavefront6targetE0EEEvT1_
	.p2align	8
	.type	_ZN7rocprim17ROCPRIM_400000_NS6detail17trampoline_kernelINS0_14default_configENS1_27scan_by_key_config_selectorIijEEZZNS1_16scan_by_key_implILNS1_25lookback_scan_determinismE0ELb1ES3_N6thrust23THRUST_200600_302600_NS6detail15normal_iteratorINS9_10device_ptrIiEEEENSB_INSC_IjEEEESG_jNS9_4plusIvEENS9_8equal_toIvEEjEE10hipError_tPvRmT2_T3_T4_T5_mT6_T7_P12ihipStream_tbENKUlT_T0_E_clISt17integral_constantIbLb0EES10_IbLb1EEEEDaSW_SX_EUlSW_E_NS1_11comp_targetILNS1_3genE5ELNS1_11target_archE942ELNS1_3gpuE9ELNS1_3repE0EEENS1_30default_config_static_selectorELNS0_4arch9wavefront6targetE0EEEvT1_,@function
_ZN7rocprim17ROCPRIM_400000_NS6detail17trampoline_kernelINS0_14default_configENS1_27scan_by_key_config_selectorIijEEZZNS1_16scan_by_key_implILNS1_25lookback_scan_determinismE0ELb1ES3_N6thrust23THRUST_200600_302600_NS6detail15normal_iteratorINS9_10device_ptrIiEEEENSB_INSC_IjEEEESG_jNS9_4plusIvEENS9_8equal_toIvEEjEE10hipError_tPvRmT2_T3_T4_T5_mT6_T7_P12ihipStream_tbENKUlT_T0_E_clISt17integral_constantIbLb0EES10_IbLb1EEEEDaSW_SX_EUlSW_E_NS1_11comp_targetILNS1_3genE5ELNS1_11target_archE942ELNS1_3gpuE9ELNS1_3repE0EEENS1_30default_config_static_selectorELNS0_4arch9wavefront6targetE0EEEvT1_: ; @_ZN7rocprim17ROCPRIM_400000_NS6detail17trampoline_kernelINS0_14default_configENS1_27scan_by_key_config_selectorIijEEZZNS1_16scan_by_key_implILNS1_25lookback_scan_determinismE0ELb1ES3_N6thrust23THRUST_200600_302600_NS6detail15normal_iteratorINS9_10device_ptrIiEEEENSB_INSC_IjEEEESG_jNS9_4plusIvEENS9_8equal_toIvEEjEE10hipError_tPvRmT2_T3_T4_T5_mT6_T7_P12ihipStream_tbENKUlT_T0_E_clISt17integral_constantIbLb0EES10_IbLb1EEEEDaSW_SX_EUlSW_E_NS1_11comp_targetILNS1_3genE5ELNS1_11target_archE942ELNS1_3gpuE9ELNS1_3repE0EEENS1_30default_config_static_selectorELNS0_4arch9wavefront6targetE0EEEvT1_
; %bb.0:
	.section	.rodata,"a",@progbits
	.p2align	6, 0x0
	.amdhsa_kernel _ZN7rocprim17ROCPRIM_400000_NS6detail17trampoline_kernelINS0_14default_configENS1_27scan_by_key_config_selectorIijEEZZNS1_16scan_by_key_implILNS1_25lookback_scan_determinismE0ELb1ES3_N6thrust23THRUST_200600_302600_NS6detail15normal_iteratorINS9_10device_ptrIiEEEENSB_INSC_IjEEEESG_jNS9_4plusIvEENS9_8equal_toIvEEjEE10hipError_tPvRmT2_T3_T4_T5_mT6_T7_P12ihipStream_tbENKUlT_T0_E_clISt17integral_constantIbLb0EES10_IbLb1EEEEDaSW_SX_EUlSW_E_NS1_11comp_targetILNS1_3genE5ELNS1_11target_archE942ELNS1_3gpuE9ELNS1_3repE0EEENS1_30default_config_static_selectorELNS0_4arch9wavefront6targetE0EEEvT1_
		.amdhsa_group_segment_fixed_size 0
		.amdhsa_private_segment_fixed_size 0
		.amdhsa_kernarg_size 112
		.amdhsa_user_sgpr_count 2
		.amdhsa_user_sgpr_dispatch_ptr 0
		.amdhsa_user_sgpr_queue_ptr 0
		.amdhsa_user_sgpr_kernarg_segment_ptr 1
		.amdhsa_user_sgpr_dispatch_id 0
		.amdhsa_user_sgpr_kernarg_preload_length 0
		.amdhsa_user_sgpr_kernarg_preload_offset 0
		.amdhsa_user_sgpr_private_segment_size 0
		.amdhsa_wavefront_size32 1
		.amdhsa_uses_dynamic_stack 0
		.amdhsa_enable_private_segment 0
		.amdhsa_system_sgpr_workgroup_id_x 1
		.amdhsa_system_sgpr_workgroup_id_y 0
		.amdhsa_system_sgpr_workgroup_id_z 0
		.amdhsa_system_sgpr_workgroup_info 0
		.amdhsa_system_vgpr_workitem_id 0
		.amdhsa_next_free_vgpr 1
		.amdhsa_next_free_sgpr 1
		.amdhsa_named_barrier_count 0
		.amdhsa_reserve_vcc 0
		.amdhsa_float_round_mode_32 0
		.amdhsa_float_round_mode_16_64 0
		.amdhsa_float_denorm_mode_32 3
		.amdhsa_float_denorm_mode_16_64 3
		.amdhsa_fp16_overflow 0
		.amdhsa_memory_ordered 1
		.amdhsa_forward_progress 1
		.amdhsa_inst_pref_size 0
		.amdhsa_round_robin_scheduling 0
		.amdhsa_exception_fp_ieee_invalid_op 0
		.amdhsa_exception_fp_denorm_src 0
		.amdhsa_exception_fp_ieee_div_zero 0
		.amdhsa_exception_fp_ieee_overflow 0
		.amdhsa_exception_fp_ieee_underflow 0
		.amdhsa_exception_fp_ieee_inexact 0
		.amdhsa_exception_int_div_zero 0
	.end_amdhsa_kernel
	.section	.text._ZN7rocprim17ROCPRIM_400000_NS6detail17trampoline_kernelINS0_14default_configENS1_27scan_by_key_config_selectorIijEEZZNS1_16scan_by_key_implILNS1_25lookback_scan_determinismE0ELb1ES3_N6thrust23THRUST_200600_302600_NS6detail15normal_iteratorINS9_10device_ptrIiEEEENSB_INSC_IjEEEESG_jNS9_4plusIvEENS9_8equal_toIvEEjEE10hipError_tPvRmT2_T3_T4_T5_mT6_T7_P12ihipStream_tbENKUlT_T0_E_clISt17integral_constantIbLb0EES10_IbLb1EEEEDaSW_SX_EUlSW_E_NS1_11comp_targetILNS1_3genE5ELNS1_11target_archE942ELNS1_3gpuE9ELNS1_3repE0EEENS1_30default_config_static_selectorELNS0_4arch9wavefront6targetE0EEEvT1_,"axG",@progbits,_ZN7rocprim17ROCPRIM_400000_NS6detail17trampoline_kernelINS0_14default_configENS1_27scan_by_key_config_selectorIijEEZZNS1_16scan_by_key_implILNS1_25lookback_scan_determinismE0ELb1ES3_N6thrust23THRUST_200600_302600_NS6detail15normal_iteratorINS9_10device_ptrIiEEEENSB_INSC_IjEEEESG_jNS9_4plusIvEENS9_8equal_toIvEEjEE10hipError_tPvRmT2_T3_T4_T5_mT6_T7_P12ihipStream_tbENKUlT_T0_E_clISt17integral_constantIbLb0EES10_IbLb1EEEEDaSW_SX_EUlSW_E_NS1_11comp_targetILNS1_3genE5ELNS1_11target_archE942ELNS1_3gpuE9ELNS1_3repE0EEENS1_30default_config_static_selectorELNS0_4arch9wavefront6targetE0EEEvT1_,comdat
.Lfunc_end1528:
	.size	_ZN7rocprim17ROCPRIM_400000_NS6detail17trampoline_kernelINS0_14default_configENS1_27scan_by_key_config_selectorIijEEZZNS1_16scan_by_key_implILNS1_25lookback_scan_determinismE0ELb1ES3_N6thrust23THRUST_200600_302600_NS6detail15normal_iteratorINS9_10device_ptrIiEEEENSB_INSC_IjEEEESG_jNS9_4plusIvEENS9_8equal_toIvEEjEE10hipError_tPvRmT2_T3_T4_T5_mT6_T7_P12ihipStream_tbENKUlT_T0_E_clISt17integral_constantIbLb0EES10_IbLb1EEEEDaSW_SX_EUlSW_E_NS1_11comp_targetILNS1_3genE5ELNS1_11target_archE942ELNS1_3gpuE9ELNS1_3repE0EEENS1_30default_config_static_selectorELNS0_4arch9wavefront6targetE0EEEvT1_, .Lfunc_end1528-_ZN7rocprim17ROCPRIM_400000_NS6detail17trampoline_kernelINS0_14default_configENS1_27scan_by_key_config_selectorIijEEZZNS1_16scan_by_key_implILNS1_25lookback_scan_determinismE0ELb1ES3_N6thrust23THRUST_200600_302600_NS6detail15normal_iteratorINS9_10device_ptrIiEEEENSB_INSC_IjEEEESG_jNS9_4plusIvEENS9_8equal_toIvEEjEE10hipError_tPvRmT2_T3_T4_T5_mT6_T7_P12ihipStream_tbENKUlT_T0_E_clISt17integral_constantIbLb0EES10_IbLb1EEEEDaSW_SX_EUlSW_E_NS1_11comp_targetILNS1_3genE5ELNS1_11target_archE942ELNS1_3gpuE9ELNS1_3repE0EEENS1_30default_config_static_selectorELNS0_4arch9wavefront6targetE0EEEvT1_
                                        ; -- End function
	.set _ZN7rocprim17ROCPRIM_400000_NS6detail17trampoline_kernelINS0_14default_configENS1_27scan_by_key_config_selectorIijEEZZNS1_16scan_by_key_implILNS1_25lookback_scan_determinismE0ELb1ES3_N6thrust23THRUST_200600_302600_NS6detail15normal_iteratorINS9_10device_ptrIiEEEENSB_INSC_IjEEEESG_jNS9_4plusIvEENS9_8equal_toIvEEjEE10hipError_tPvRmT2_T3_T4_T5_mT6_T7_P12ihipStream_tbENKUlT_T0_E_clISt17integral_constantIbLb0EES10_IbLb1EEEEDaSW_SX_EUlSW_E_NS1_11comp_targetILNS1_3genE5ELNS1_11target_archE942ELNS1_3gpuE9ELNS1_3repE0EEENS1_30default_config_static_selectorELNS0_4arch9wavefront6targetE0EEEvT1_.num_vgpr, 0
	.set _ZN7rocprim17ROCPRIM_400000_NS6detail17trampoline_kernelINS0_14default_configENS1_27scan_by_key_config_selectorIijEEZZNS1_16scan_by_key_implILNS1_25lookback_scan_determinismE0ELb1ES3_N6thrust23THRUST_200600_302600_NS6detail15normal_iteratorINS9_10device_ptrIiEEEENSB_INSC_IjEEEESG_jNS9_4plusIvEENS9_8equal_toIvEEjEE10hipError_tPvRmT2_T3_T4_T5_mT6_T7_P12ihipStream_tbENKUlT_T0_E_clISt17integral_constantIbLb0EES10_IbLb1EEEEDaSW_SX_EUlSW_E_NS1_11comp_targetILNS1_3genE5ELNS1_11target_archE942ELNS1_3gpuE9ELNS1_3repE0EEENS1_30default_config_static_selectorELNS0_4arch9wavefront6targetE0EEEvT1_.num_agpr, 0
	.set _ZN7rocprim17ROCPRIM_400000_NS6detail17trampoline_kernelINS0_14default_configENS1_27scan_by_key_config_selectorIijEEZZNS1_16scan_by_key_implILNS1_25lookback_scan_determinismE0ELb1ES3_N6thrust23THRUST_200600_302600_NS6detail15normal_iteratorINS9_10device_ptrIiEEEENSB_INSC_IjEEEESG_jNS9_4plusIvEENS9_8equal_toIvEEjEE10hipError_tPvRmT2_T3_T4_T5_mT6_T7_P12ihipStream_tbENKUlT_T0_E_clISt17integral_constantIbLb0EES10_IbLb1EEEEDaSW_SX_EUlSW_E_NS1_11comp_targetILNS1_3genE5ELNS1_11target_archE942ELNS1_3gpuE9ELNS1_3repE0EEENS1_30default_config_static_selectorELNS0_4arch9wavefront6targetE0EEEvT1_.numbered_sgpr, 0
	.set _ZN7rocprim17ROCPRIM_400000_NS6detail17trampoline_kernelINS0_14default_configENS1_27scan_by_key_config_selectorIijEEZZNS1_16scan_by_key_implILNS1_25lookback_scan_determinismE0ELb1ES3_N6thrust23THRUST_200600_302600_NS6detail15normal_iteratorINS9_10device_ptrIiEEEENSB_INSC_IjEEEESG_jNS9_4plusIvEENS9_8equal_toIvEEjEE10hipError_tPvRmT2_T3_T4_T5_mT6_T7_P12ihipStream_tbENKUlT_T0_E_clISt17integral_constantIbLb0EES10_IbLb1EEEEDaSW_SX_EUlSW_E_NS1_11comp_targetILNS1_3genE5ELNS1_11target_archE942ELNS1_3gpuE9ELNS1_3repE0EEENS1_30default_config_static_selectorELNS0_4arch9wavefront6targetE0EEEvT1_.num_named_barrier, 0
	.set _ZN7rocprim17ROCPRIM_400000_NS6detail17trampoline_kernelINS0_14default_configENS1_27scan_by_key_config_selectorIijEEZZNS1_16scan_by_key_implILNS1_25lookback_scan_determinismE0ELb1ES3_N6thrust23THRUST_200600_302600_NS6detail15normal_iteratorINS9_10device_ptrIiEEEENSB_INSC_IjEEEESG_jNS9_4plusIvEENS9_8equal_toIvEEjEE10hipError_tPvRmT2_T3_T4_T5_mT6_T7_P12ihipStream_tbENKUlT_T0_E_clISt17integral_constantIbLb0EES10_IbLb1EEEEDaSW_SX_EUlSW_E_NS1_11comp_targetILNS1_3genE5ELNS1_11target_archE942ELNS1_3gpuE9ELNS1_3repE0EEENS1_30default_config_static_selectorELNS0_4arch9wavefront6targetE0EEEvT1_.private_seg_size, 0
	.set _ZN7rocprim17ROCPRIM_400000_NS6detail17trampoline_kernelINS0_14default_configENS1_27scan_by_key_config_selectorIijEEZZNS1_16scan_by_key_implILNS1_25lookback_scan_determinismE0ELb1ES3_N6thrust23THRUST_200600_302600_NS6detail15normal_iteratorINS9_10device_ptrIiEEEENSB_INSC_IjEEEESG_jNS9_4plusIvEENS9_8equal_toIvEEjEE10hipError_tPvRmT2_T3_T4_T5_mT6_T7_P12ihipStream_tbENKUlT_T0_E_clISt17integral_constantIbLb0EES10_IbLb1EEEEDaSW_SX_EUlSW_E_NS1_11comp_targetILNS1_3genE5ELNS1_11target_archE942ELNS1_3gpuE9ELNS1_3repE0EEENS1_30default_config_static_selectorELNS0_4arch9wavefront6targetE0EEEvT1_.uses_vcc, 0
	.set _ZN7rocprim17ROCPRIM_400000_NS6detail17trampoline_kernelINS0_14default_configENS1_27scan_by_key_config_selectorIijEEZZNS1_16scan_by_key_implILNS1_25lookback_scan_determinismE0ELb1ES3_N6thrust23THRUST_200600_302600_NS6detail15normal_iteratorINS9_10device_ptrIiEEEENSB_INSC_IjEEEESG_jNS9_4plusIvEENS9_8equal_toIvEEjEE10hipError_tPvRmT2_T3_T4_T5_mT6_T7_P12ihipStream_tbENKUlT_T0_E_clISt17integral_constantIbLb0EES10_IbLb1EEEEDaSW_SX_EUlSW_E_NS1_11comp_targetILNS1_3genE5ELNS1_11target_archE942ELNS1_3gpuE9ELNS1_3repE0EEENS1_30default_config_static_selectorELNS0_4arch9wavefront6targetE0EEEvT1_.uses_flat_scratch, 0
	.set _ZN7rocprim17ROCPRIM_400000_NS6detail17trampoline_kernelINS0_14default_configENS1_27scan_by_key_config_selectorIijEEZZNS1_16scan_by_key_implILNS1_25lookback_scan_determinismE0ELb1ES3_N6thrust23THRUST_200600_302600_NS6detail15normal_iteratorINS9_10device_ptrIiEEEENSB_INSC_IjEEEESG_jNS9_4plusIvEENS9_8equal_toIvEEjEE10hipError_tPvRmT2_T3_T4_T5_mT6_T7_P12ihipStream_tbENKUlT_T0_E_clISt17integral_constantIbLb0EES10_IbLb1EEEEDaSW_SX_EUlSW_E_NS1_11comp_targetILNS1_3genE5ELNS1_11target_archE942ELNS1_3gpuE9ELNS1_3repE0EEENS1_30default_config_static_selectorELNS0_4arch9wavefront6targetE0EEEvT1_.has_dyn_sized_stack, 0
	.set _ZN7rocprim17ROCPRIM_400000_NS6detail17trampoline_kernelINS0_14default_configENS1_27scan_by_key_config_selectorIijEEZZNS1_16scan_by_key_implILNS1_25lookback_scan_determinismE0ELb1ES3_N6thrust23THRUST_200600_302600_NS6detail15normal_iteratorINS9_10device_ptrIiEEEENSB_INSC_IjEEEESG_jNS9_4plusIvEENS9_8equal_toIvEEjEE10hipError_tPvRmT2_T3_T4_T5_mT6_T7_P12ihipStream_tbENKUlT_T0_E_clISt17integral_constantIbLb0EES10_IbLb1EEEEDaSW_SX_EUlSW_E_NS1_11comp_targetILNS1_3genE5ELNS1_11target_archE942ELNS1_3gpuE9ELNS1_3repE0EEENS1_30default_config_static_selectorELNS0_4arch9wavefront6targetE0EEEvT1_.has_recursion, 0
	.set _ZN7rocprim17ROCPRIM_400000_NS6detail17trampoline_kernelINS0_14default_configENS1_27scan_by_key_config_selectorIijEEZZNS1_16scan_by_key_implILNS1_25lookback_scan_determinismE0ELb1ES3_N6thrust23THRUST_200600_302600_NS6detail15normal_iteratorINS9_10device_ptrIiEEEENSB_INSC_IjEEEESG_jNS9_4plusIvEENS9_8equal_toIvEEjEE10hipError_tPvRmT2_T3_T4_T5_mT6_T7_P12ihipStream_tbENKUlT_T0_E_clISt17integral_constantIbLb0EES10_IbLb1EEEEDaSW_SX_EUlSW_E_NS1_11comp_targetILNS1_3genE5ELNS1_11target_archE942ELNS1_3gpuE9ELNS1_3repE0EEENS1_30default_config_static_selectorELNS0_4arch9wavefront6targetE0EEEvT1_.has_indirect_call, 0
	.section	.AMDGPU.csdata,"",@progbits
; Kernel info:
; codeLenInByte = 0
; TotalNumSgprs: 0
; NumVgprs: 0
; ScratchSize: 0
; MemoryBound: 0
; FloatMode: 240
; IeeeMode: 1
; LDSByteSize: 0 bytes/workgroup (compile time only)
; SGPRBlocks: 0
; VGPRBlocks: 0
; NumSGPRsForWavesPerEU: 1
; NumVGPRsForWavesPerEU: 1
; NamedBarCnt: 0
; Occupancy: 16
; WaveLimiterHint : 0
; COMPUTE_PGM_RSRC2:SCRATCH_EN: 0
; COMPUTE_PGM_RSRC2:USER_SGPR: 2
; COMPUTE_PGM_RSRC2:TRAP_HANDLER: 0
; COMPUTE_PGM_RSRC2:TGID_X_EN: 1
; COMPUTE_PGM_RSRC2:TGID_Y_EN: 0
; COMPUTE_PGM_RSRC2:TGID_Z_EN: 0
; COMPUTE_PGM_RSRC2:TIDIG_COMP_CNT: 0
	.section	.text._ZN7rocprim17ROCPRIM_400000_NS6detail17trampoline_kernelINS0_14default_configENS1_27scan_by_key_config_selectorIijEEZZNS1_16scan_by_key_implILNS1_25lookback_scan_determinismE0ELb1ES3_N6thrust23THRUST_200600_302600_NS6detail15normal_iteratorINS9_10device_ptrIiEEEENSB_INSC_IjEEEESG_jNS9_4plusIvEENS9_8equal_toIvEEjEE10hipError_tPvRmT2_T3_T4_T5_mT6_T7_P12ihipStream_tbENKUlT_T0_E_clISt17integral_constantIbLb0EES10_IbLb1EEEEDaSW_SX_EUlSW_E_NS1_11comp_targetILNS1_3genE4ELNS1_11target_archE910ELNS1_3gpuE8ELNS1_3repE0EEENS1_30default_config_static_selectorELNS0_4arch9wavefront6targetE0EEEvT1_,"axG",@progbits,_ZN7rocprim17ROCPRIM_400000_NS6detail17trampoline_kernelINS0_14default_configENS1_27scan_by_key_config_selectorIijEEZZNS1_16scan_by_key_implILNS1_25lookback_scan_determinismE0ELb1ES3_N6thrust23THRUST_200600_302600_NS6detail15normal_iteratorINS9_10device_ptrIiEEEENSB_INSC_IjEEEESG_jNS9_4plusIvEENS9_8equal_toIvEEjEE10hipError_tPvRmT2_T3_T4_T5_mT6_T7_P12ihipStream_tbENKUlT_T0_E_clISt17integral_constantIbLb0EES10_IbLb1EEEEDaSW_SX_EUlSW_E_NS1_11comp_targetILNS1_3genE4ELNS1_11target_archE910ELNS1_3gpuE8ELNS1_3repE0EEENS1_30default_config_static_selectorELNS0_4arch9wavefront6targetE0EEEvT1_,comdat
	.protected	_ZN7rocprim17ROCPRIM_400000_NS6detail17trampoline_kernelINS0_14default_configENS1_27scan_by_key_config_selectorIijEEZZNS1_16scan_by_key_implILNS1_25lookback_scan_determinismE0ELb1ES3_N6thrust23THRUST_200600_302600_NS6detail15normal_iteratorINS9_10device_ptrIiEEEENSB_INSC_IjEEEESG_jNS9_4plusIvEENS9_8equal_toIvEEjEE10hipError_tPvRmT2_T3_T4_T5_mT6_T7_P12ihipStream_tbENKUlT_T0_E_clISt17integral_constantIbLb0EES10_IbLb1EEEEDaSW_SX_EUlSW_E_NS1_11comp_targetILNS1_3genE4ELNS1_11target_archE910ELNS1_3gpuE8ELNS1_3repE0EEENS1_30default_config_static_selectorELNS0_4arch9wavefront6targetE0EEEvT1_ ; -- Begin function _ZN7rocprim17ROCPRIM_400000_NS6detail17trampoline_kernelINS0_14default_configENS1_27scan_by_key_config_selectorIijEEZZNS1_16scan_by_key_implILNS1_25lookback_scan_determinismE0ELb1ES3_N6thrust23THRUST_200600_302600_NS6detail15normal_iteratorINS9_10device_ptrIiEEEENSB_INSC_IjEEEESG_jNS9_4plusIvEENS9_8equal_toIvEEjEE10hipError_tPvRmT2_T3_T4_T5_mT6_T7_P12ihipStream_tbENKUlT_T0_E_clISt17integral_constantIbLb0EES10_IbLb1EEEEDaSW_SX_EUlSW_E_NS1_11comp_targetILNS1_3genE4ELNS1_11target_archE910ELNS1_3gpuE8ELNS1_3repE0EEENS1_30default_config_static_selectorELNS0_4arch9wavefront6targetE0EEEvT1_
	.globl	_ZN7rocprim17ROCPRIM_400000_NS6detail17trampoline_kernelINS0_14default_configENS1_27scan_by_key_config_selectorIijEEZZNS1_16scan_by_key_implILNS1_25lookback_scan_determinismE0ELb1ES3_N6thrust23THRUST_200600_302600_NS6detail15normal_iteratorINS9_10device_ptrIiEEEENSB_INSC_IjEEEESG_jNS9_4plusIvEENS9_8equal_toIvEEjEE10hipError_tPvRmT2_T3_T4_T5_mT6_T7_P12ihipStream_tbENKUlT_T0_E_clISt17integral_constantIbLb0EES10_IbLb1EEEEDaSW_SX_EUlSW_E_NS1_11comp_targetILNS1_3genE4ELNS1_11target_archE910ELNS1_3gpuE8ELNS1_3repE0EEENS1_30default_config_static_selectorELNS0_4arch9wavefront6targetE0EEEvT1_
	.p2align	8
	.type	_ZN7rocprim17ROCPRIM_400000_NS6detail17trampoline_kernelINS0_14default_configENS1_27scan_by_key_config_selectorIijEEZZNS1_16scan_by_key_implILNS1_25lookback_scan_determinismE0ELb1ES3_N6thrust23THRUST_200600_302600_NS6detail15normal_iteratorINS9_10device_ptrIiEEEENSB_INSC_IjEEEESG_jNS9_4plusIvEENS9_8equal_toIvEEjEE10hipError_tPvRmT2_T3_T4_T5_mT6_T7_P12ihipStream_tbENKUlT_T0_E_clISt17integral_constantIbLb0EES10_IbLb1EEEEDaSW_SX_EUlSW_E_NS1_11comp_targetILNS1_3genE4ELNS1_11target_archE910ELNS1_3gpuE8ELNS1_3repE0EEENS1_30default_config_static_selectorELNS0_4arch9wavefront6targetE0EEEvT1_,@function
_ZN7rocprim17ROCPRIM_400000_NS6detail17trampoline_kernelINS0_14default_configENS1_27scan_by_key_config_selectorIijEEZZNS1_16scan_by_key_implILNS1_25lookback_scan_determinismE0ELb1ES3_N6thrust23THRUST_200600_302600_NS6detail15normal_iteratorINS9_10device_ptrIiEEEENSB_INSC_IjEEEESG_jNS9_4plusIvEENS9_8equal_toIvEEjEE10hipError_tPvRmT2_T3_T4_T5_mT6_T7_P12ihipStream_tbENKUlT_T0_E_clISt17integral_constantIbLb0EES10_IbLb1EEEEDaSW_SX_EUlSW_E_NS1_11comp_targetILNS1_3genE4ELNS1_11target_archE910ELNS1_3gpuE8ELNS1_3repE0EEENS1_30default_config_static_selectorELNS0_4arch9wavefront6targetE0EEEvT1_: ; @_ZN7rocprim17ROCPRIM_400000_NS6detail17trampoline_kernelINS0_14default_configENS1_27scan_by_key_config_selectorIijEEZZNS1_16scan_by_key_implILNS1_25lookback_scan_determinismE0ELb1ES3_N6thrust23THRUST_200600_302600_NS6detail15normal_iteratorINS9_10device_ptrIiEEEENSB_INSC_IjEEEESG_jNS9_4plusIvEENS9_8equal_toIvEEjEE10hipError_tPvRmT2_T3_T4_T5_mT6_T7_P12ihipStream_tbENKUlT_T0_E_clISt17integral_constantIbLb0EES10_IbLb1EEEEDaSW_SX_EUlSW_E_NS1_11comp_targetILNS1_3genE4ELNS1_11target_archE910ELNS1_3gpuE8ELNS1_3repE0EEENS1_30default_config_static_selectorELNS0_4arch9wavefront6targetE0EEEvT1_
; %bb.0:
	.section	.rodata,"a",@progbits
	.p2align	6, 0x0
	.amdhsa_kernel _ZN7rocprim17ROCPRIM_400000_NS6detail17trampoline_kernelINS0_14default_configENS1_27scan_by_key_config_selectorIijEEZZNS1_16scan_by_key_implILNS1_25lookback_scan_determinismE0ELb1ES3_N6thrust23THRUST_200600_302600_NS6detail15normal_iteratorINS9_10device_ptrIiEEEENSB_INSC_IjEEEESG_jNS9_4plusIvEENS9_8equal_toIvEEjEE10hipError_tPvRmT2_T3_T4_T5_mT6_T7_P12ihipStream_tbENKUlT_T0_E_clISt17integral_constantIbLb0EES10_IbLb1EEEEDaSW_SX_EUlSW_E_NS1_11comp_targetILNS1_3genE4ELNS1_11target_archE910ELNS1_3gpuE8ELNS1_3repE0EEENS1_30default_config_static_selectorELNS0_4arch9wavefront6targetE0EEEvT1_
		.amdhsa_group_segment_fixed_size 0
		.amdhsa_private_segment_fixed_size 0
		.amdhsa_kernarg_size 112
		.amdhsa_user_sgpr_count 2
		.amdhsa_user_sgpr_dispatch_ptr 0
		.amdhsa_user_sgpr_queue_ptr 0
		.amdhsa_user_sgpr_kernarg_segment_ptr 1
		.amdhsa_user_sgpr_dispatch_id 0
		.amdhsa_user_sgpr_kernarg_preload_length 0
		.amdhsa_user_sgpr_kernarg_preload_offset 0
		.amdhsa_user_sgpr_private_segment_size 0
		.amdhsa_wavefront_size32 1
		.amdhsa_uses_dynamic_stack 0
		.amdhsa_enable_private_segment 0
		.amdhsa_system_sgpr_workgroup_id_x 1
		.amdhsa_system_sgpr_workgroup_id_y 0
		.amdhsa_system_sgpr_workgroup_id_z 0
		.amdhsa_system_sgpr_workgroup_info 0
		.amdhsa_system_vgpr_workitem_id 0
		.amdhsa_next_free_vgpr 1
		.amdhsa_next_free_sgpr 1
		.amdhsa_named_barrier_count 0
		.amdhsa_reserve_vcc 0
		.amdhsa_float_round_mode_32 0
		.amdhsa_float_round_mode_16_64 0
		.amdhsa_float_denorm_mode_32 3
		.amdhsa_float_denorm_mode_16_64 3
		.amdhsa_fp16_overflow 0
		.amdhsa_memory_ordered 1
		.amdhsa_forward_progress 1
		.amdhsa_inst_pref_size 0
		.amdhsa_round_robin_scheduling 0
		.amdhsa_exception_fp_ieee_invalid_op 0
		.amdhsa_exception_fp_denorm_src 0
		.amdhsa_exception_fp_ieee_div_zero 0
		.amdhsa_exception_fp_ieee_overflow 0
		.amdhsa_exception_fp_ieee_underflow 0
		.amdhsa_exception_fp_ieee_inexact 0
		.amdhsa_exception_int_div_zero 0
	.end_amdhsa_kernel
	.section	.text._ZN7rocprim17ROCPRIM_400000_NS6detail17trampoline_kernelINS0_14default_configENS1_27scan_by_key_config_selectorIijEEZZNS1_16scan_by_key_implILNS1_25lookback_scan_determinismE0ELb1ES3_N6thrust23THRUST_200600_302600_NS6detail15normal_iteratorINS9_10device_ptrIiEEEENSB_INSC_IjEEEESG_jNS9_4plusIvEENS9_8equal_toIvEEjEE10hipError_tPvRmT2_T3_T4_T5_mT6_T7_P12ihipStream_tbENKUlT_T0_E_clISt17integral_constantIbLb0EES10_IbLb1EEEEDaSW_SX_EUlSW_E_NS1_11comp_targetILNS1_3genE4ELNS1_11target_archE910ELNS1_3gpuE8ELNS1_3repE0EEENS1_30default_config_static_selectorELNS0_4arch9wavefront6targetE0EEEvT1_,"axG",@progbits,_ZN7rocprim17ROCPRIM_400000_NS6detail17trampoline_kernelINS0_14default_configENS1_27scan_by_key_config_selectorIijEEZZNS1_16scan_by_key_implILNS1_25lookback_scan_determinismE0ELb1ES3_N6thrust23THRUST_200600_302600_NS6detail15normal_iteratorINS9_10device_ptrIiEEEENSB_INSC_IjEEEESG_jNS9_4plusIvEENS9_8equal_toIvEEjEE10hipError_tPvRmT2_T3_T4_T5_mT6_T7_P12ihipStream_tbENKUlT_T0_E_clISt17integral_constantIbLb0EES10_IbLb1EEEEDaSW_SX_EUlSW_E_NS1_11comp_targetILNS1_3genE4ELNS1_11target_archE910ELNS1_3gpuE8ELNS1_3repE0EEENS1_30default_config_static_selectorELNS0_4arch9wavefront6targetE0EEEvT1_,comdat
.Lfunc_end1529:
	.size	_ZN7rocprim17ROCPRIM_400000_NS6detail17trampoline_kernelINS0_14default_configENS1_27scan_by_key_config_selectorIijEEZZNS1_16scan_by_key_implILNS1_25lookback_scan_determinismE0ELb1ES3_N6thrust23THRUST_200600_302600_NS6detail15normal_iteratorINS9_10device_ptrIiEEEENSB_INSC_IjEEEESG_jNS9_4plusIvEENS9_8equal_toIvEEjEE10hipError_tPvRmT2_T3_T4_T5_mT6_T7_P12ihipStream_tbENKUlT_T0_E_clISt17integral_constantIbLb0EES10_IbLb1EEEEDaSW_SX_EUlSW_E_NS1_11comp_targetILNS1_3genE4ELNS1_11target_archE910ELNS1_3gpuE8ELNS1_3repE0EEENS1_30default_config_static_selectorELNS0_4arch9wavefront6targetE0EEEvT1_, .Lfunc_end1529-_ZN7rocprim17ROCPRIM_400000_NS6detail17trampoline_kernelINS0_14default_configENS1_27scan_by_key_config_selectorIijEEZZNS1_16scan_by_key_implILNS1_25lookback_scan_determinismE0ELb1ES3_N6thrust23THRUST_200600_302600_NS6detail15normal_iteratorINS9_10device_ptrIiEEEENSB_INSC_IjEEEESG_jNS9_4plusIvEENS9_8equal_toIvEEjEE10hipError_tPvRmT2_T3_T4_T5_mT6_T7_P12ihipStream_tbENKUlT_T0_E_clISt17integral_constantIbLb0EES10_IbLb1EEEEDaSW_SX_EUlSW_E_NS1_11comp_targetILNS1_3genE4ELNS1_11target_archE910ELNS1_3gpuE8ELNS1_3repE0EEENS1_30default_config_static_selectorELNS0_4arch9wavefront6targetE0EEEvT1_
                                        ; -- End function
	.set _ZN7rocprim17ROCPRIM_400000_NS6detail17trampoline_kernelINS0_14default_configENS1_27scan_by_key_config_selectorIijEEZZNS1_16scan_by_key_implILNS1_25lookback_scan_determinismE0ELb1ES3_N6thrust23THRUST_200600_302600_NS6detail15normal_iteratorINS9_10device_ptrIiEEEENSB_INSC_IjEEEESG_jNS9_4plusIvEENS9_8equal_toIvEEjEE10hipError_tPvRmT2_T3_T4_T5_mT6_T7_P12ihipStream_tbENKUlT_T0_E_clISt17integral_constantIbLb0EES10_IbLb1EEEEDaSW_SX_EUlSW_E_NS1_11comp_targetILNS1_3genE4ELNS1_11target_archE910ELNS1_3gpuE8ELNS1_3repE0EEENS1_30default_config_static_selectorELNS0_4arch9wavefront6targetE0EEEvT1_.num_vgpr, 0
	.set _ZN7rocprim17ROCPRIM_400000_NS6detail17trampoline_kernelINS0_14default_configENS1_27scan_by_key_config_selectorIijEEZZNS1_16scan_by_key_implILNS1_25lookback_scan_determinismE0ELb1ES3_N6thrust23THRUST_200600_302600_NS6detail15normal_iteratorINS9_10device_ptrIiEEEENSB_INSC_IjEEEESG_jNS9_4plusIvEENS9_8equal_toIvEEjEE10hipError_tPvRmT2_T3_T4_T5_mT6_T7_P12ihipStream_tbENKUlT_T0_E_clISt17integral_constantIbLb0EES10_IbLb1EEEEDaSW_SX_EUlSW_E_NS1_11comp_targetILNS1_3genE4ELNS1_11target_archE910ELNS1_3gpuE8ELNS1_3repE0EEENS1_30default_config_static_selectorELNS0_4arch9wavefront6targetE0EEEvT1_.num_agpr, 0
	.set _ZN7rocprim17ROCPRIM_400000_NS6detail17trampoline_kernelINS0_14default_configENS1_27scan_by_key_config_selectorIijEEZZNS1_16scan_by_key_implILNS1_25lookback_scan_determinismE0ELb1ES3_N6thrust23THRUST_200600_302600_NS6detail15normal_iteratorINS9_10device_ptrIiEEEENSB_INSC_IjEEEESG_jNS9_4plusIvEENS9_8equal_toIvEEjEE10hipError_tPvRmT2_T3_T4_T5_mT6_T7_P12ihipStream_tbENKUlT_T0_E_clISt17integral_constantIbLb0EES10_IbLb1EEEEDaSW_SX_EUlSW_E_NS1_11comp_targetILNS1_3genE4ELNS1_11target_archE910ELNS1_3gpuE8ELNS1_3repE0EEENS1_30default_config_static_selectorELNS0_4arch9wavefront6targetE0EEEvT1_.numbered_sgpr, 0
	.set _ZN7rocprim17ROCPRIM_400000_NS6detail17trampoline_kernelINS0_14default_configENS1_27scan_by_key_config_selectorIijEEZZNS1_16scan_by_key_implILNS1_25lookback_scan_determinismE0ELb1ES3_N6thrust23THRUST_200600_302600_NS6detail15normal_iteratorINS9_10device_ptrIiEEEENSB_INSC_IjEEEESG_jNS9_4plusIvEENS9_8equal_toIvEEjEE10hipError_tPvRmT2_T3_T4_T5_mT6_T7_P12ihipStream_tbENKUlT_T0_E_clISt17integral_constantIbLb0EES10_IbLb1EEEEDaSW_SX_EUlSW_E_NS1_11comp_targetILNS1_3genE4ELNS1_11target_archE910ELNS1_3gpuE8ELNS1_3repE0EEENS1_30default_config_static_selectorELNS0_4arch9wavefront6targetE0EEEvT1_.num_named_barrier, 0
	.set _ZN7rocprim17ROCPRIM_400000_NS6detail17trampoline_kernelINS0_14default_configENS1_27scan_by_key_config_selectorIijEEZZNS1_16scan_by_key_implILNS1_25lookback_scan_determinismE0ELb1ES3_N6thrust23THRUST_200600_302600_NS6detail15normal_iteratorINS9_10device_ptrIiEEEENSB_INSC_IjEEEESG_jNS9_4plusIvEENS9_8equal_toIvEEjEE10hipError_tPvRmT2_T3_T4_T5_mT6_T7_P12ihipStream_tbENKUlT_T0_E_clISt17integral_constantIbLb0EES10_IbLb1EEEEDaSW_SX_EUlSW_E_NS1_11comp_targetILNS1_3genE4ELNS1_11target_archE910ELNS1_3gpuE8ELNS1_3repE0EEENS1_30default_config_static_selectorELNS0_4arch9wavefront6targetE0EEEvT1_.private_seg_size, 0
	.set _ZN7rocprim17ROCPRIM_400000_NS6detail17trampoline_kernelINS0_14default_configENS1_27scan_by_key_config_selectorIijEEZZNS1_16scan_by_key_implILNS1_25lookback_scan_determinismE0ELb1ES3_N6thrust23THRUST_200600_302600_NS6detail15normal_iteratorINS9_10device_ptrIiEEEENSB_INSC_IjEEEESG_jNS9_4plusIvEENS9_8equal_toIvEEjEE10hipError_tPvRmT2_T3_T4_T5_mT6_T7_P12ihipStream_tbENKUlT_T0_E_clISt17integral_constantIbLb0EES10_IbLb1EEEEDaSW_SX_EUlSW_E_NS1_11comp_targetILNS1_3genE4ELNS1_11target_archE910ELNS1_3gpuE8ELNS1_3repE0EEENS1_30default_config_static_selectorELNS0_4arch9wavefront6targetE0EEEvT1_.uses_vcc, 0
	.set _ZN7rocprim17ROCPRIM_400000_NS6detail17trampoline_kernelINS0_14default_configENS1_27scan_by_key_config_selectorIijEEZZNS1_16scan_by_key_implILNS1_25lookback_scan_determinismE0ELb1ES3_N6thrust23THRUST_200600_302600_NS6detail15normal_iteratorINS9_10device_ptrIiEEEENSB_INSC_IjEEEESG_jNS9_4plusIvEENS9_8equal_toIvEEjEE10hipError_tPvRmT2_T3_T4_T5_mT6_T7_P12ihipStream_tbENKUlT_T0_E_clISt17integral_constantIbLb0EES10_IbLb1EEEEDaSW_SX_EUlSW_E_NS1_11comp_targetILNS1_3genE4ELNS1_11target_archE910ELNS1_3gpuE8ELNS1_3repE0EEENS1_30default_config_static_selectorELNS0_4arch9wavefront6targetE0EEEvT1_.uses_flat_scratch, 0
	.set _ZN7rocprim17ROCPRIM_400000_NS6detail17trampoline_kernelINS0_14default_configENS1_27scan_by_key_config_selectorIijEEZZNS1_16scan_by_key_implILNS1_25lookback_scan_determinismE0ELb1ES3_N6thrust23THRUST_200600_302600_NS6detail15normal_iteratorINS9_10device_ptrIiEEEENSB_INSC_IjEEEESG_jNS9_4plusIvEENS9_8equal_toIvEEjEE10hipError_tPvRmT2_T3_T4_T5_mT6_T7_P12ihipStream_tbENKUlT_T0_E_clISt17integral_constantIbLb0EES10_IbLb1EEEEDaSW_SX_EUlSW_E_NS1_11comp_targetILNS1_3genE4ELNS1_11target_archE910ELNS1_3gpuE8ELNS1_3repE0EEENS1_30default_config_static_selectorELNS0_4arch9wavefront6targetE0EEEvT1_.has_dyn_sized_stack, 0
	.set _ZN7rocprim17ROCPRIM_400000_NS6detail17trampoline_kernelINS0_14default_configENS1_27scan_by_key_config_selectorIijEEZZNS1_16scan_by_key_implILNS1_25lookback_scan_determinismE0ELb1ES3_N6thrust23THRUST_200600_302600_NS6detail15normal_iteratorINS9_10device_ptrIiEEEENSB_INSC_IjEEEESG_jNS9_4plusIvEENS9_8equal_toIvEEjEE10hipError_tPvRmT2_T3_T4_T5_mT6_T7_P12ihipStream_tbENKUlT_T0_E_clISt17integral_constantIbLb0EES10_IbLb1EEEEDaSW_SX_EUlSW_E_NS1_11comp_targetILNS1_3genE4ELNS1_11target_archE910ELNS1_3gpuE8ELNS1_3repE0EEENS1_30default_config_static_selectorELNS0_4arch9wavefront6targetE0EEEvT1_.has_recursion, 0
	.set _ZN7rocprim17ROCPRIM_400000_NS6detail17trampoline_kernelINS0_14default_configENS1_27scan_by_key_config_selectorIijEEZZNS1_16scan_by_key_implILNS1_25lookback_scan_determinismE0ELb1ES3_N6thrust23THRUST_200600_302600_NS6detail15normal_iteratorINS9_10device_ptrIiEEEENSB_INSC_IjEEEESG_jNS9_4plusIvEENS9_8equal_toIvEEjEE10hipError_tPvRmT2_T3_T4_T5_mT6_T7_P12ihipStream_tbENKUlT_T0_E_clISt17integral_constantIbLb0EES10_IbLb1EEEEDaSW_SX_EUlSW_E_NS1_11comp_targetILNS1_3genE4ELNS1_11target_archE910ELNS1_3gpuE8ELNS1_3repE0EEENS1_30default_config_static_selectorELNS0_4arch9wavefront6targetE0EEEvT1_.has_indirect_call, 0
	.section	.AMDGPU.csdata,"",@progbits
; Kernel info:
; codeLenInByte = 0
; TotalNumSgprs: 0
; NumVgprs: 0
; ScratchSize: 0
; MemoryBound: 0
; FloatMode: 240
; IeeeMode: 1
; LDSByteSize: 0 bytes/workgroup (compile time only)
; SGPRBlocks: 0
; VGPRBlocks: 0
; NumSGPRsForWavesPerEU: 1
; NumVGPRsForWavesPerEU: 1
; NamedBarCnt: 0
; Occupancy: 16
; WaveLimiterHint : 0
; COMPUTE_PGM_RSRC2:SCRATCH_EN: 0
; COMPUTE_PGM_RSRC2:USER_SGPR: 2
; COMPUTE_PGM_RSRC2:TRAP_HANDLER: 0
; COMPUTE_PGM_RSRC2:TGID_X_EN: 1
; COMPUTE_PGM_RSRC2:TGID_Y_EN: 0
; COMPUTE_PGM_RSRC2:TGID_Z_EN: 0
; COMPUTE_PGM_RSRC2:TIDIG_COMP_CNT: 0
	.section	.text._ZN7rocprim17ROCPRIM_400000_NS6detail17trampoline_kernelINS0_14default_configENS1_27scan_by_key_config_selectorIijEEZZNS1_16scan_by_key_implILNS1_25lookback_scan_determinismE0ELb1ES3_N6thrust23THRUST_200600_302600_NS6detail15normal_iteratorINS9_10device_ptrIiEEEENSB_INSC_IjEEEESG_jNS9_4plusIvEENS9_8equal_toIvEEjEE10hipError_tPvRmT2_T3_T4_T5_mT6_T7_P12ihipStream_tbENKUlT_T0_E_clISt17integral_constantIbLb0EES10_IbLb1EEEEDaSW_SX_EUlSW_E_NS1_11comp_targetILNS1_3genE3ELNS1_11target_archE908ELNS1_3gpuE7ELNS1_3repE0EEENS1_30default_config_static_selectorELNS0_4arch9wavefront6targetE0EEEvT1_,"axG",@progbits,_ZN7rocprim17ROCPRIM_400000_NS6detail17trampoline_kernelINS0_14default_configENS1_27scan_by_key_config_selectorIijEEZZNS1_16scan_by_key_implILNS1_25lookback_scan_determinismE0ELb1ES3_N6thrust23THRUST_200600_302600_NS6detail15normal_iteratorINS9_10device_ptrIiEEEENSB_INSC_IjEEEESG_jNS9_4plusIvEENS9_8equal_toIvEEjEE10hipError_tPvRmT2_T3_T4_T5_mT6_T7_P12ihipStream_tbENKUlT_T0_E_clISt17integral_constantIbLb0EES10_IbLb1EEEEDaSW_SX_EUlSW_E_NS1_11comp_targetILNS1_3genE3ELNS1_11target_archE908ELNS1_3gpuE7ELNS1_3repE0EEENS1_30default_config_static_selectorELNS0_4arch9wavefront6targetE0EEEvT1_,comdat
	.protected	_ZN7rocprim17ROCPRIM_400000_NS6detail17trampoline_kernelINS0_14default_configENS1_27scan_by_key_config_selectorIijEEZZNS1_16scan_by_key_implILNS1_25lookback_scan_determinismE0ELb1ES3_N6thrust23THRUST_200600_302600_NS6detail15normal_iteratorINS9_10device_ptrIiEEEENSB_INSC_IjEEEESG_jNS9_4plusIvEENS9_8equal_toIvEEjEE10hipError_tPvRmT2_T3_T4_T5_mT6_T7_P12ihipStream_tbENKUlT_T0_E_clISt17integral_constantIbLb0EES10_IbLb1EEEEDaSW_SX_EUlSW_E_NS1_11comp_targetILNS1_3genE3ELNS1_11target_archE908ELNS1_3gpuE7ELNS1_3repE0EEENS1_30default_config_static_selectorELNS0_4arch9wavefront6targetE0EEEvT1_ ; -- Begin function _ZN7rocprim17ROCPRIM_400000_NS6detail17trampoline_kernelINS0_14default_configENS1_27scan_by_key_config_selectorIijEEZZNS1_16scan_by_key_implILNS1_25lookback_scan_determinismE0ELb1ES3_N6thrust23THRUST_200600_302600_NS6detail15normal_iteratorINS9_10device_ptrIiEEEENSB_INSC_IjEEEESG_jNS9_4plusIvEENS9_8equal_toIvEEjEE10hipError_tPvRmT2_T3_T4_T5_mT6_T7_P12ihipStream_tbENKUlT_T0_E_clISt17integral_constantIbLb0EES10_IbLb1EEEEDaSW_SX_EUlSW_E_NS1_11comp_targetILNS1_3genE3ELNS1_11target_archE908ELNS1_3gpuE7ELNS1_3repE0EEENS1_30default_config_static_selectorELNS0_4arch9wavefront6targetE0EEEvT1_
	.globl	_ZN7rocprim17ROCPRIM_400000_NS6detail17trampoline_kernelINS0_14default_configENS1_27scan_by_key_config_selectorIijEEZZNS1_16scan_by_key_implILNS1_25lookback_scan_determinismE0ELb1ES3_N6thrust23THRUST_200600_302600_NS6detail15normal_iteratorINS9_10device_ptrIiEEEENSB_INSC_IjEEEESG_jNS9_4plusIvEENS9_8equal_toIvEEjEE10hipError_tPvRmT2_T3_T4_T5_mT6_T7_P12ihipStream_tbENKUlT_T0_E_clISt17integral_constantIbLb0EES10_IbLb1EEEEDaSW_SX_EUlSW_E_NS1_11comp_targetILNS1_3genE3ELNS1_11target_archE908ELNS1_3gpuE7ELNS1_3repE0EEENS1_30default_config_static_selectorELNS0_4arch9wavefront6targetE0EEEvT1_
	.p2align	8
	.type	_ZN7rocprim17ROCPRIM_400000_NS6detail17trampoline_kernelINS0_14default_configENS1_27scan_by_key_config_selectorIijEEZZNS1_16scan_by_key_implILNS1_25lookback_scan_determinismE0ELb1ES3_N6thrust23THRUST_200600_302600_NS6detail15normal_iteratorINS9_10device_ptrIiEEEENSB_INSC_IjEEEESG_jNS9_4plusIvEENS9_8equal_toIvEEjEE10hipError_tPvRmT2_T3_T4_T5_mT6_T7_P12ihipStream_tbENKUlT_T0_E_clISt17integral_constantIbLb0EES10_IbLb1EEEEDaSW_SX_EUlSW_E_NS1_11comp_targetILNS1_3genE3ELNS1_11target_archE908ELNS1_3gpuE7ELNS1_3repE0EEENS1_30default_config_static_selectorELNS0_4arch9wavefront6targetE0EEEvT1_,@function
_ZN7rocprim17ROCPRIM_400000_NS6detail17trampoline_kernelINS0_14default_configENS1_27scan_by_key_config_selectorIijEEZZNS1_16scan_by_key_implILNS1_25lookback_scan_determinismE0ELb1ES3_N6thrust23THRUST_200600_302600_NS6detail15normal_iteratorINS9_10device_ptrIiEEEENSB_INSC_IjEEEESG_jNS9_4plusIvEENS9_8equal_toIvEEjEE10hipError_tPvRmT2_T3_T4_T5_mT6_T7_P12ihipStream_tbENKUlT_T0_E_clISt17integral_constantIbLb0EES10_IbLb1EEEEDaSW_SX_EUlSW_E_NS1_11comp_targetILNS1_3genE3ELNS1_11target_archE908ELNS1_3gpuE7ELNS1_3repE0EEENS1_30default_config_static_selectorELNS0_4arch9wavefront6targetE0EEEvT1_: ; @_ZN7rocprim17ROCPRIM_400000_NS6detail17trampoline_kernelINS0_14default_configENS1_27scan_by_key_config_selectorIijEEZZNS1_16scan_by_key_implILNS1_25lookback_scan_determinismE0ELb1ES3_N6thrust23THRUST_200600_302600_NS6detail15normal_iteratorINS9_10device_ptrIiEEEENSB_INSC_IjEEEESG_jNS9_4plusIvEENS9_8equal_toIvEEjEE10hipError_tPvRmT2_T3_T4_T5_mT6_T7_P12ihipStream_tbENKUlT_T0_E_clISt17integral_constantIbLb0EES10_IbLb1EEEEDaSW_SX_EUlSW_E_NS1_11comp_targetILNS1_3genE3ELNS1_11target_archE908ELNS1_3gpuE7ELNS1_3repE0EEENS1_30default_config_static_selectorELNS0_4arch9wavefront6targetE0EEEvT1_
; %bb.0:
	.section	.rodata,"a",@progbits
	.p2align	6, 0x0
	.amdhsa_kernel _ZN7rocprim17ROCPRIM_400000_NS6detail17trampoline_kernelINS0_14default_configENS1_27scan_by_key_config_selectorIijEEZZNS1_16scan_by_key_implILNS1_25lookback_scan_determinismE0ELb1ES3_N6thrust23THRUST_200600_302600_NS6detail15normal_iteratorINS9_10device_ptrIiEEEENSB_INSC_IjEEEESG_jNS9_4plusIvEENS9_8equal_toIvEEjEE10hipError_tPvRmT2_T3_T4_T5_mT6_T7_P12ihipStream_tbENKUlT_T0_E_clISt17integral_constantIbLb0EES10_IbLb1EEEEDaSW_SX_EUlSW_E_NS1_11comp_targetILNS1_3genE3ELNS1_11target_archE908ELNS1_3gpuE7ELNS1_3repE0EEENS1_30default_config_static_selectorELNS0_4arch9wavefront6targetE0EEEvT1_
		.amdhsa_group_segment_fixed_size 0
		.amdhsa_private_segment_fixed_size 0
		.amdhsa_kernarg_size 112
		.amdhsa_user_sgpr_count 2
		.amdhsa_user_sgpr_dispatch_ptr 0
		.amdhsa_user_sgpr_queue_ptr 0
		.amdhsa_user_sgpr_kernarg_segment_ptr 1
		.amdhsa_user_sgpr_dispatch_id 0
		.amdhsa_user_sgpr_kernarg_preload_length 0
		.amdhsa_user_sgpr_kernarg_preload_offset 0
		.amdhsa_user_sgpr_private_segment_size 0
		.amdhsa_wavefront_size32 1
		.amdhsa_uses_dynamic_stack 0
		.amdhsa_enable_private_segment 0
		.amdhsa_system_sgpr_workgroup_id_x 1
		.amdhsa_system_sgpr_workgroup_id_y 0
		.amdhsa_system_sgpr_workgroup_id_z 0
		.amdhsa_system_sgpr_workgroup_info 0
		.amdhsa_system_vgpr_workitem_id 0
		.amdhsa_next_free_vgpr 1
		.amdhsa_next_free_sgpr 1
		.amdhsa_named_barrier_count 0
		.amdhsa_reserve_vcc 0
		.amdhsa_float_round_mode_32 0
		.amdhsa_float_round_mode_16_64 0
		.amdhsa_float_denorm_mode_32 3
		.amdhsa_float_denorm_mode_16_64 3
		.amdhsa_fp16_overflow 0
		.amdhsa_memory_ordered 1
		.amdhsa_forward_progress 1
		.amdhsa_inst_pref_size 0
		.amdhsa_round_robin_scheduling 0
		.amdhsa_exception_fp_ieee_invalid_op 0
		.amdhsa_exception_fp_denorm_src 0
		.amdhsa_exception_fp_ieee_div_zero 0
		.amdhsa_exception_fp_ieee_overflow 0
		.amdhsa_exception_fp_ieee_underflow 0
		.amdhsa_exception_fp_ieee_inexact 0
		.amdhsa_exception_int_div_zero 0
	.end_amdhsa_kernel
	.section	.text._ZN7rocprim17ROCPRIM_400000_NS6detail17trampoline_kernelINS0_14default_configENS1_27scan_by_key_config_selectorIijEEZZNS1_16scan_by_key_implILNS1_25lookback_scan_determinismE0ELb1ES3_N6thrust23THRUST_200600_302600_NS6detail15normal_iteratorINS9_10device_ptrIiEEEENSB_INSC_IjEEEESG_jNS9_4plusIvEENS9_8equal_toIvEEjEE10hipError_tPvRmT2_T3_T4_T5_mT6_T7_P12ihipStream_tbENKUlT_T0_E_clISt17integral_constantIbLb0EES10_IbLb1EEEEDaSW_SX_EUlSW_E_NS1_11comp_targetILNS1_3genE3ELNS1_11target_archE908ELNS1_3gpuE7ELNS1_3repE0EEENS1_30default_config_static_selectorELNS0_4arch9wavefront6targetE0EEEvT1_,"axG",@progbits,_ZN7rocprim17ROCPRIM_400000_NS6detail17trampoline_kernelINS0_14default_configENS1_27scan_by_key_config_selectorIijEEZZNS1_16scan_by_key_implILNS1_25lookback_scan_determinismE0ELb1ES3_N6thrust23THRUST_200600_302600_NS6detail15normal_iteratorINS9_10device_ptrIiEEEENSB_INSC_IjEEEESG_jNS9_4plusIvEENS9_8equal_toIvEEjEE10hipError_tPvRmT2_T3_T4_T5_mT6_T7_P12ihipStream_tbENKUlT_T0_E_clISt17integral_constantIbLb0EES10_IbLb1EEEEDaSW_SX_EUlSW_E_NS1_11comp_targetILNS1_3genE3ELNS1_11target_archE908ELNS1_3gpuE7ELNS1_3repE0EEENS1_30default_config_static_selectorELNS0_4arch9wavefront6targetE0EEEvT1_,comdat
.Lfunc_end1530:
	.size	_ZN7rocprim17ROCPRIM_400000_NS6detail17trampoline_kernelINS0_14default_configENS1_27scan_by_key_config_selectorIijEEZZNS1_16scan_by_key_implILNS1_25lookback_scan_determinismE0ELb1ES3_N6thrust23THRUST_200600_302600_NS6detail15normal_iteratorINS9_10device_ptrIiEEEENSB_INSC_IjEEEESG_jNS9_4plusIvEENS9_8equal_toIvEEjEE10hipError_tPvRmT2_T3_T4_T5_mT6_T7_P12ihipStream_tbENKUlT_T0_E_clISt17integral_constantIbLb0EES10_IbLb1EEEEDaSW_SX_EUlSW_E_NS1_11comp_targetILNS1_3genE3ELNS1_11target_archE908ELNS1_3gpuE7ELNS1_3repE0EEENS1_30default_config_static_selectorELNS0_4arch9wavefront6targetE0EEEvT1_, .Lfunc_end1530-_ZN7rocprim17ROCPRIM_400000_NS6detail17trampoline_kernelINS0_14default_configENS1_27scan_by_key_config_selectorIijEEZZNS1_16scan_by_key_implILNS1_25lookback_scan_determinismE0ELb1ES3_N6thrust23THRUST_200600_302600_NS6detail15normal_iteratorINS9_10device_ptrIiEEEENSB_INSC_IjEEEESG_jNS9_4plusIvEENS9_8equal_toIvEEjEE10hipError_tPvRmT2_T3_T4_T5_mT6_T7_P12ihipStream_tbENKUlT_T0_E_clISt17integral_constantIbLb0EES10_IbLb1EEEEDaSW_SX_EUlSW_E_NS1_11comp_targetILNS1_3genE3ELNS1_11target_archE908ELNS1_3gpuE7ELNS1_3repE0EEENS1_30default_config_static_selectorELNS0_4arch9wavefront6targetE0EEEvT1_
                                        ; -- End function
	.set _ZN7rocprim17ROCPRIM_400000_NS6detail17trampoline_kernelINS0_14default_configENS1_27scan_by_key_config_selectorIijEEZZNS1_16scan_by_key_implILNS1_25lookback_scan_determinismE0ELb1ES3_N6thrust23THRUST_200600_302600_NS6detail15normal_iteratorINS9_10device_ptrIiEEEENSB_INSC_IjEEEESG_jNS9_4plusIvEENS9_8equal_toIvEEjEE10hipError_tPvRmT2_T3_T4_T5_mT6_T7_P12ihipStream_tbENKUlT_T0_E_clISt17integral_constantIbLb0EES10_IbLb1EEEEDaSW_SX_EUlSW_E_NS1_11comp_targetILNS1_3genE3ELNS1_11target_archE908ELNS1_3gpuE7ELNS1_3repE0EEENS1_30default_config_static_selectorELNS0_4arch9wavefront6targetE0EEEvT1_.num_vgpr, 0
	.set _ZN7rocprim17ROCPRIM_400000_NS6detail17trampoline_kernelINS0_14default_configENS1_27scan_by_key_config_selectorIijEEZZNS1_16scan_by_key_implILNS1_25lookback_scan_determinismE0ELb1ES3_N6thrust23THRUST_200600_302600_NS6detail15normal_iteratorINS9_10device_ptrIiEEEENSB_INSC_IjEEEESG_jNS9_4plusIvEENS9_8equal_toIvEEjEE10hipError_tPvRmT2_T3_T4_T5_mT6_T7_P12ihipStream_tbENKUlT_T0_E_clISt17integral_constantIbLb0EES10_IbLb1EEEEDaSW_SX_EUlSW_E_NS1_11comp_targetILNS1_3genE3ELNS1_11target_archE908ELNS1_3gpuE7ELNS1_3repE0EEENS1_30default_config_static_selectorELNS0_4arch9wavefront6targetE0EEEvT1_.num_agpr, 0
	.set _ZN7rocprim17ROCPRIM_400000_NS6detail17trampoline_kernelINS0_14default_configENS1_27scan_by_key_config_selectorIijEEZZNS1_16scan_by_key_implILNS1_25lookback_scan_determinismE0ELb1ES3_N6thrust23THRUST_200600_302600_NS6detail15normal_iteratorINS9_10device_ptrIiEEEENSB_INSC_IjEEEESG_jNS9_4plusIvEENS9_8equal_toIvEEjEE10hipError_tPvRmT2_T3_T4_T5_mT6_T7_P12ihipStream_tbENKUlT_T0_E_clISt17integral_constantIbLb0EES10_IbLb1EEEEDaSW_SX_EUlSW_E_NS1_11comp_targetILNS1_3genE3ELNS1_11target_archE908ELNS1_3gpuE7ELNS1_3repE0EEENS1_30default_config_static_selectorELNS0_4arch9wavefront6targetE0EEEvT1_.numbered_sgpr, 0
	.set _ZN7rocprim17ROCPRIM_400000_NS6detail17trampoline_kernelINS0_14default_configENS1_27scan_by_key_config_selectorIijEEZZNS1_16scan_by_key_implILNS1_25lookback_scan_determinismE0ELb1ES3_N6thrust23THRUST_200600_302600_NS6detail15normal_iteratorINS9_10device_ptrIiEEEENSB_INSC_IjEEEESG_jNS9_4plusIvEENS9_8equal_toIvEEjEE10hipError_tPvRmT2_T3_T4_T5_mT6_T7_P12ihipStream_tbENKUlT_T0_E_clISt17integral_constantIbLb0EES10_IbLb1EEEEDaSW_SX_EUlSW_E_NS1_11comp_targetILNS1_3genE3ELNS1_11target_archE908ELNS1_3gpuE7ELNS1_3repE0EEENS1_30default_config_static_selectorELNS0_4arch9wavefront6targetE0EEEvT1_.num_named_barrier, 0
	.set _ZN7rocprim17ROCPRIM_400000_NS6detail17trampoline_kernelINS0_14default_configENS1_27scan_by_key_config_selectorIijEEZZNS1_16scan_by_key_implILNS1_25lookback_scan_determinismE0ELb1ES3_N6thrust23THRUST_200600_302600_NS6detail15normal_iteratorINS9_10device_ptrIiEEEENSB_INSC_IjEEEESG_jNS9_4plusIvEENS9_8equal_toIvEEjEE10hipError_tPvRmT2_T3_T4_T5_mT6_T7_P12ihipStream_tbENKUlT_T0_E_clISt17integral_constantIbLb0EES10_IbLb1EEEEDaSW_SX_EUlSW_E_NS1_11comp_targetILNS1_3genE3ELNS1_11target_archE908ELNS1_3gpuE7ELNS1_3repE0EEENS1_30default_config_static_selectorELNS0_4arch9wavefront6targetE0EEEvT1_.private_seg_size, 0
	.set _ZN7rocprim17ROCPRIM_400000_NS6detail17trampoline_kernelINS0_14default_configENS1_27scan_by_key_config_selectorIijEEZZNS1_16scan_by_key_implILNS1_25lookback_scan_determinismE0ELb1ES3_N6thrust23THRUST_200600_302600_NS6detail15normal_iteratorINS9_10device_ptrIiEEEENSB_INSC_IjEEEESG_jNS9_4plusIvEENS9_8equal_toIvEEjEE10hipError_tPvRmT2_T3_T4_T5_mT6_T7_P12ihipStream_tbENKUlT_T0_E_clISt17integral_constantIbLb0EES10_IbLb1EEEEDaSW_SX_EUlSW_E_NS1_11comp_targetILNS1_3genE3ELNS1_11target_archE908ELNS1_3gpuE7ELNS1_3repE0EEENS1_30default_config_static_selectorELNS0_4arch9wavefront6targetE0EEEvT1_.uses_vcc, 0
	.set _ZN7rocprim17ROCPRIM_400000_NS6detail17trampoline_kernelINS0_14default_configENS1_27scan_by_key_config_selectorIijEEZZNS1_16scan_by_key_implILNS1_25lookback_scan_determinismE0ELb1ES3_N6thrust23THRUST_200600_302600_NS6detail15normal_iteratorINS9_10device_ptrIiEEEENSB_INSC_IjEEEESG_jNS9_4plusIvEENS9_8equal_toIvEEjEE10hipError_tPvRmT2_T3_T4_T5_mT6_T7_P12ihipStream_tbENKUlT_T0_E_clISt17integral_constantIbLb0EES10_IbLb1EEEEDaSW_SX_EUlSW_E_NS1_11comp_targetILNS1_3genE3ELNS1_11target_archE908ELNS1_3gpuE7ELNS1_3repE0EEENS1_30default_config_static_selectorELNS0_4arch9wavefront6targetE0EEEvT1_.uses_flat_scratch, 0
	.set _ZN7rocprim17ROCPRIM_400000_NS6detail17trampoline_kernelINS0_14default_configENS1_27scan_by_key_config_selectorIijEEZZNS1_16scan_by_key_implILNS1_25lookback_scan_determinismE0ELb1ES3_N6thrust23THRUST_200600_302600_NS6detail15normal_iteratorINS9_10device_ptrIiEEEENSB_INSC_IjEEEESG_jNS9_4plusIvEENS9_8equal_toIvEEjEE10hipError_tPvRmT2_T3_T4_T5_mT6_T7_P12ihipStream_tbENKUlT_T0_E_clISt17integral_constantIbLb0EES10_IbLb1EEEEDaSW_SX_EUlSW_E_NS1_11comp_targetILNS1_3genE3ELNS1_11target_archE908ELNS1_3gpuE7ELNS1_3repE0EEENS1_30default_config_static_selectorELNS0_4arch9wavefront6targetE0EEEvT1_.has_dyn_sized_stack, 0
	.set _ZN7rocprim17ROCPRIM_400000_NS6detail17trampoline_kernelINS0_14default_configENS1_27scan_by_key_config_selectorIijEEZZNS1_16scan_by_key_implILNS1_25lookback_scan_determinismE0ELb1ES3_N6thrust23THRUST_200600_302600_NS6detail15normal_iteratorINS9_10device_ptrIiEEEENSB_INSC_IjEEEESG_jNS9_4plusIvEENS9_8equal_toIvEEjEE10hipError_tPvRmT2_T3_T4_T5_mT6_T7_P12ihipStream_tbENKUlT_T0_E_clISt17integral_constantIbLb0EES10_IbLb1EEEEDaSW_SX_EUlSW_E_NS1_11comp_targetILNS1_3genE3ELNS1_11target_archE908ELNS1_3gpuE7ELNS1_3repE0EEENS1_30default_config_static_selectorELNS0_4arch9wavefront6targetE0EEEvT1_.has_recursion, 0
	.set _ZN7rocprim17ROCPRIM_400000_NS6detail17trampoline_kernelINS0_14default_configENS1_27scan_by_key_config_selectorIijEEZZNS1_16scan_by_key_implILNS1_25lookback_scan_determinismE0ELb1ES3_N6thrust23THRUST_200600_302600_NS6detail15normal_iteratorINS9_10device_ptrIiEEEENSB_INSC_IjEEEESG_jNS9_4plusIvEENS9_8equal_toIvEEjEE10hipError_tPvRmT2_T3_T4_T5_mT6_T7_P12ihipStream_tbENKUlT_T0_E_clISt17integral_constantIbLb0EES10_IbLb1EEEEDaSW_SX_EUlSW_E_NS1_11comp_targetILNS1_3genE3ELNS1_11target_archE908ELNS1_3gpuE7ELNS1_3repE0EEENS1_30default_config_static_selectorELNS0_4arch9wavefront6targetE0EEEvT1_.has_indirect_call, 0
	.section	.AMDGPU.csdata,"",@progbits
; Kernel info:
; codeLenInByte = 0
; TotalNumSgprs: 0
; NumVgprs: 0
; ScratchSize: 0
; MemoryBound: 0
; FloatMode: 240
; IeeeMode: 1
; LDSByteSize: 0 bytes/workgroup (compile time only)
; SGPRBlocks: 0
; VGPRBlocks: 0
; NumSGPRsForWavesPerEU: 1
; NumVGPRsForWavesPerEU: 1
; NamedBarCnt: 0
; Occupancy: 16
; WaveLimiterHint : 0
; COMPUTE_PGM_RSRC2:SCRATCH_EN: 0
; COMPUTE_PGM_RSRC2:USER_SGPR: 2
; COMPUTE_PGM_RSRC2:TRAP_HANDLER: 0
; COMPUTE_PGM_RSRC2:TGID_X_EN: 1
; COMPUTE_PGM_RSRC2:TGID_Y_EN: 0
; COMPUTE_PGM_RSRC2:TGID_Z_EN: 0
; COMPUTE_PGM_RSRC2:TIDIG_COMP_CNT: 0
	.section	.text._ZN7rocprim17ROCPRIM_400000_NS6detail17trampoline_kernelINS0_14default_configENS1_27scan_by_key_config_selectorIijEEZZNS1_16scan_by_key_implILNS1_25lookback_scan_determinismE0ELb1ES3_N6thrust23THRUST_200600_302600_NS6detail15normal_iteratorINS9_10device_ptrIiEEEENSB_INSC_IjEEEESG_jNS9_4plusIvEENS9_8equal_toIvEEjEE10hipError_tPvRmT2_T3_T4_T5_mT6_T7_P12ihipStream_tbENKUlT_T0_E_clISt17integral_constantIbLb0EES10_IbLb1EEEEDaSW_SX_EUlSW_E_NS1_11comp_targetILNS1_3genE2ELNS1_11target_archE906ELNS1_3gpuE6ELNS1_3repE0EEENS1_30default_config_static_selectorELNS0_4arch9wavefront6targetE0EEEvT1_,"axG",@progbits,_ZN7rocprim17ROCPRIM_400000_NS6detail17trampoline_kernelINS0_14default_configENS1_27scan_by_key_config_selectorIijEEZZNS1_16scan_by_key_implILNS1_25lookback_scan_determinismE0ELb1ES3_N6thrust23THRUST_200600_302600_NS6detail15normal_iteratorINS9_10device_ptrIiEEEENSB_INSC_IjEEEESG_jNS9_4plusIvEENS9_8equal_toIvEEjEE10hipError_tPvRmT2_T3_T4_T5_mT6_T7_P12ihipStream_tbENKUlT_T0_E_clISt17integral_constantIbLb0EES10_IbLb1EEEEDaSW_SX_EUlSW_E_NS1_11comp_targetILNS1_3genE2ELNS1_11target_archE906ELNS1_3gpuE6ELNS1_3repE0EEENS1_30default_config_static_selectorELNS0_4arch9wavefront6targetE0EEEvT1_,comdat
	.protected	_ZN7rocprim17ROCPRIM_400000_NS6detail17trampoline_kernelINS0_14default_configENS1_27scan_by_key_config_selectorIijEEZZNS1_16scan_by_key_implILNS1_25lookback_scan_determinismE0ELb1ES3_N6thrust23THRUST_200600_302600_NS6detail15normal_iteratorINS9_10device_ptrIiEEEENSB_INSC_IjEEEESG_jNS9_4plusIvEENS9_8equal_toIvEEjEE10hipError_tPvRmT2_T3_T4_T5_mT6_T7_P12ihipStream_tbENKUlT_T0_E_clISt17integral_constantIbLb0EES10_IbLb1EEEEDaSW_SX_EUlSW_E_NS1_11comp_targetILNS1_3genE2ELNS1_11target_archE906ELNS1_3gpuE6ELNS1_3repE0EEENS1_30default_config_static_selectorELNS0_4arch9wavefront6targetE0EEEvT1_ ; -- Begin function _ZN7rocprim17ROCPRIM_400000_NS6detail17trampoline_kernelINS0_14default_configENS1_27scan_by_key_config_selectorIijEEZZNS1_16scan_by_key_implILNS1_25lookback_scan_determinismE0ELb1ES3_N6thrust23THRUST_200600_302600_NS6detail15normal_iteratorINS9_10device_ptrIiEEEENSB_INSC_IjEEEESG_jNS9_4plusIvEENS9_8equal_toIvEEjEE10hipError_tPvRmT2_T3_T4_T5_mT6_T7_P12ihipStream_tbENKUlT_T0_E_clISt17integral_constantIbLb0EES10_IbLb1EEEEDaSW_SX_EUlSW_E_NS1_11comp_targetILNS1_3genE2ELNS1_11target_archE906ELNS1_3gpuE6ELNS1_3repE0EEENS1_30default_config_static_selectorELNS0_4arch9wavefront6targetE0EEEvT1_
	.globl	_ZN7rocprim17ROCPRIM_400000_NS6detail17trampoline_kernelINS0_14default_configENS1_27scan_by_key_config_selectorIijEEZZNS1_16scan_by_key_implILNS1_25lookback_scan_determinismE0ELb1ES3_N6thrust23THRUST_200600_302600_NS6detail15normal_iteratorINS9_10device_ptrIiEEEENSB_INSC_IjEEEESG_jNS9_4plusIvEENS9_8equal_toIvEEjEE10hipError_tPvRmT2_T3_T4_T5_mT6_T7_P12ihipStream_tbENKUlT_T0_E_clISt17integral_constantIbLb0EES10_IbLb1EEEEDaSW_SX_EUlSW_E_NS1_11comp_targetILNS1_3genE2ELNS1_11target_archE906ELNS1_3gpuE6ELNS1_3repE0EEENS1_30default_config_static_selectorELNS0_4arch9wavefront6targetE0EEEvT1_
	.p2align	8
	.type	_ZN7rocprim17ROCPRIM_400000_NS6detail17trampoline_kernelINS0_14default_configENS1_27scan_by_key_config_selectorIijEEZZNS1_16scan_by_key_implILNS1_25lookback_scan_determinismE0ELb1ES3_N6thrust23THRUST_200600_302600_NS6detail15normal_iteratorINS9_10device_ptrIiEEEENSB_INSC_IjEEEESG_jNS9_4plusIvEENS9_8equal_toIvEEjEE10hipError_tPvRmT2_T3_T4_T5_mT6_T7_P12ihipStream_tbENKUlT_T0_E_clISt17integral_constantIbLb0EES10_IbLb1EEEEDaSW_SX_EUlSW_E_NS1_11comp_targetILNS1_3genE2ELNS1_11target_archE906ELNS1_3gpuE6ELNS1_3repE0EEENS1_30default_config_static_selectorELNS0_4arch9wavefront6targetE0EEEvT1_,@function
_ZN7rocprim17ROCPRIM_400000_NS6detail17trampoline_kernelINS0_14default_configENS1_27scan_by_key_config_selectorIijEEZZNS1_16scan_by_key_implILNS1_25lookback_scan_determinismE0ELb1ES3_N6thrust23THRUST_200600_302600_NS6detail15normal_iteratorINS9_10device_ptrIiEEEENSB_INSC_IjEEEESG_jNS9_4plusIvEENS9_8equal_toIvEEjEE10hipError_tPvRmT2_T3_T4_T5_mT6_T7_P12ihipStream_tbENKUlT_T0_E_clISt17integral_constantIbLb0EES10_IbLb1EEEEDaSW_SX_EUlSW_E_NS1_11comp_targetILNS1_3genE2ELNS1_11target_archE906ELNS1_3gpuE6ELNS1_3repE0EEENS1_30default_config_static_selectorELNS0_4arch9wavefront6targetE0EEEvT1_: ; @_ZN7rocprim17ROCPRIM_400000_NS6detail17trampoline_kernelINS0_14default_configENS1_27scan_by_key_config_selectorIijEEZZNS1_16scan_by_key_implILNS1_25lookback_scan_determinismE0ELb1ES3_N6thrust23THRUST_200600_302600_NS6detail15normal_iteratorINS9_10device_ptrIiEEEENSB_INSC_IjEEEESG_jNS9_4plusIvEENS9_8equal_toIvEEjEE10hipError_tPvRmT2_T3_T4_T5_mT6_T7_P12ihipStream_tbENKUlT_T0_E_clISt17integral_constantIbLb0EES10_IbLb1EEEEDaSW_SX_EUlSW_E_NS1_11comp_targetILNS1_3genE2ELNS1_11target_archE906ELNS1_3gpuE6ELNS1_3repE0EEENS1_30default_config_static_selectorELNS0_4arch9wavefront6targetE0EEEvT1_
; %bb.0:
	.section	.rodata,"a",@progbits
	.p2align	6, 0x0
	.amdhsa_kernel _ZN7rocprim17ROCPRIM_400000_NS6detail17trampoline_kernelINS0_14default_configENS1_27scan_by_key_config_selectorIijEEZZNS1_16scan_by_key_implILNS1_25lookback_scan_determinismE0ELb1ES3_N6thrust23THRUST_200600_302600_NS6detail15normal_iteratorINS9_10device_ptrIiEEEENSB_INSC_IjEEEESG_jNS9_4plusIvEENS9_8equal_toIvEEjEE10hipError_tPvRmT2_T3_T4_T5_mT6_T7_P12ihipStream_tbENKUlT_T0_E_clISt17integral_constantIbLb0EES10_IbLb1EEEEDaSW_SX_EUlSW_E_NS1_11comp_targetILNS1_3genE2ELNS1_11target_archE906ELNS1_3gpuE6ELNS1_3repE0EEENS1_30default_config_static_selectorELNS0_4arch9wavefront6targetE0EEEvT1_
		.amdhsa_group_segment_fixed_size 0
		.amdhsa_private_segment_fixed_size 0
		.amdhsa_kernarg_size 112
		.amdhsa_user_sgpr_count 2
		.amdhsa_user_sgpr_dispatch_ptr 0
		.amdhsa_user_sgpr_queue_ptr 0
		.amdhsa_user_sgpr_kernarg_segment_ptr 1
		.amdhsa_user_sgpr_dispatch_id 0
		.amdhsa_user_sgpr_kernarg_preload_length 0
		.amdhsa_user_sgpr_kernarg_preload_offset 0
		.amdhsa_user_sgpr_private_segment_size 0
		.amdhsa_wavefront_size32 1
		.amdhsa_uses_dynamic_stack 0
		.amdhsa_enable_private_segment 0
		.amdhsa_system_sgpr_workgroup_id_x 1
		.amdhsa_system_sgpr_workgroup_id_y 0
		.amdhsa_system_sgpr_workgroup_id_z 0
		.amdhsa_system_sgpr_workgroup_info 0
		.amdhsa_system_vgpr_workitem_id 0
		.amdhsa_next_free_vgpr 1
		.amdhsa_next_free_sgpr 1
		.amdhsa_named_barrier_count 0
		.amdhsa_reserve_vcc 0
		.amdhsa_float_round_mode_32 0
		.amdhsa_float_round_mode_16_64 0
		.amdhsa_float_denorm_mode_32 3
		.amdhsa_float_denorm_mode_16_64 3
		.amdhsa_fp16_overflow 0
		.amdhsa_memory_ordered 1
		.amdhsa_forward_progress 1
		.amdhsa_inst_pref_size 0
		.amdhsa_round_robin_scheduling 0
		.amdhsa_exception_fp_ieee_invalid_op 0
		.amdhsa_exception_fp_denorm_src 0
		.amdhsa_exception_fp_ieee_div_zero 0
		.amdhsa_exception_fp_ieee_overflow 0
		.amdhsa_exception_fp_ieee_underflow 0
		.amdhsa_exception_fp_ieee_inexact 0
		.amdhsa_exception_int_div_zero 0
	.end_amdhsa_kernel
	.section	.text._ZN7rocprim17ROCPRIM_400000_NS6detail17trampoline_kernelINS0_14default_configENS1_27scan_by_key_config_selectorIijEEZZNS1_16scan_by_key_implILNS1_25lookback_scan_determinismE0ELb1ES3_N6thrust23THRUST_200600_302600_NS6detail15normal_iteratorINS9_10device_ptrIiEEEENSB_INSC_IjEEEESG_jNS9_4plusIvEENS9_8equal_toIvEEjEE10hipError_tPvRmT2_T3_T4_T5_mT6_T7_P12ihipStream_tbENKUlT_T0_E_clISt17integral_constantIbLb0EES10_IbLb1EEEEDaSW_SX_EUlSW_E_NS1_11comp_targetILNS1_3genE2ELNS1_11target_archE906ELNS1_3gpuE6ELNS1_3repE0EEENS1_30default_config_static_selectorELNS0_4arch9wavefront6targetE0EEEvT1_,"axG",@progbits,_ZN7rocprim17ROCPRIM_400000_NS6detail17trampoline_kernelINS0_14default_configENS1_27scan_by_key_config_selectorIijEEZZNS1_16scan_by_key_implILNS1_25lookback_scan_determinismE0ELb1ES3_N6thrust23THRUST_200600_302600_NS6detail15normal_iteratorINS9_10device_ptrIiEEEENSB_INSC_IjEEEESG_jNS9_4plusIvEENS9_8equal_toIvEEjEE10hipError_tPvRmT2_T3_T4_T5_mT6_T7_P12ihipStream_tbENKUlT_T0_E_clISt17integral_constantIbLb0EES10_IbLb1EEEEDaSW_SX_EUlSW_E_NS1_11comp_targetILNS1_3genE2ELNS1_11target_archE906ELNS1_3gpuE6ELNS1_3repE0EEENS1_30default_config_static_selectorELNS0_4arch9wavefront6targetE0EEEvT1_,comdat
.Lfunc_end1531:
	.size	_ZN7rocprim17ROCPRIM_400000_NS6detail17trampoline_kernelINS0_14default_configENS1_27scan_by_key_config_selectorIijEEZZNS1_16scan_by_key_implILNS1_25lookback_scan_determinismE0ELb1ES3_N6thrust23THRUST_200600_302600_NS6detail15normal_iteratorINS9_10device_ptrIiEEEENSB_INSC_IjEEEESG_jNS9_4plusIvEENS9_8equal_toIvEEjEE10hipError_tPvRmT2_T3_T4_T5_mT6_T7_P12ihipStream_tbENKUlT_T0_E_clISt17integral_constantIbLb0EES10_IbLb1EEEEDaSW_SX_EUlSW_E_NS1_11comp_targetILNS1_3genE2ELNS1_11target_archE906ELNS1_3gpuE6ELNS1_3repE0EEENS1_30default_config_static_selectorELNS0_4arch9wavefront6targetE0EEEvT1_, .Lfunc_end1531-_ZN7rocprim17ROCPRIM_400000_NS6detail17trampoline_kernelINS0_14default_configENS1_27scan_by_key_config_selectorIijEEZZNS1_16scan_by_key_implILNS1_25lookback_scan_determinismE0ELb1ES3_N6thrust23THRUST_200600_302600_NS6detail15normal_iteratorINS9_10device_ptrIiEEEENSB_INSC_IjEEEESG_jNS9_4plusIvEENS9_8equal_toIvEEjEE10hipError_tPvRmT2_T3_T4_T5_mT6_T7_P12ihipStream_tbENKUlT_T0_E_clISt17integral_constantIbLb0EES10_IbLb1EEEEDaSW_SX_EUlSW_E_NS1_11comp_targetILNS1_3genE2ELNS1_11target_archE906ELNS1_3gpuE6ELNS1_3repE0EEENS1_30default_config_static_selectorELNS0_4arch9wavefront6targetE0EEEvT1_
                                        ; -- End function
	.set _ZN7rocprim17ROCPRIM_400000_NS6detail17trampoline_kernelINS0_14default_configENS1_27scan_by_key_config_selectorIijEEZZNS1_16scan_by_key_implILNS1_25lookback_scan_determinismE0ELb1ES3_N6thrust23THRUST_200600_302600_NS6detail15normal_iteratorINS9_10device_ptrIiEEEENSB_INSC_IjEEEESG_jNS9_4plusIvEENS9_8equal_toIvEEjEE10hipError_tPvRmT2_T3_T4_T5_mT6_T7_P12ihipStream_tbENKUlT_T0_E_clISt17integral_constantIbLb0EES10_IbLb1EEEEDaSW_SX_EUlSW_E_NS1_11comp_targetILNS1_3genE2ELNS1_11target_archE906ELNS1_3gpuE6ELNS1_3repE0EEENS1_30default_config_static_selectorELNS0_4arch9wavefront6targetE0EEEvT1_.num_vgpr, 0
	.set _ZN7rocprim17ROCPRIM_400000_NS6detail17trampoline_kernelINS0_14default_configENS1_27scan_by_key_config_selectorIijEEZZNS1_16scan_by_key_implILNS1_25lookback_scan_determinismE0ELb1ES3_N6thrust23THRUST_200600_302600_NS6detail15normal_iteratorINS9_10device_ptrIiEEEENSB_INSC_IjEEEESG_jNS9_4plusIvEENS9_8equal_toIvEEjEE10hipError_tPvRmT2_T3_T4_T5_mT6_T7_P12ihipStream_tbENKUlT_T0_E_clISt17integral_constantIbLb0EES10_IbLb1EEEEDaSW_SX_EUlSW_E_NS1_11comp_targetILNS1_3genE2ELNS1_11target_archE906ELNS1_3gpuE6ELNS1_3repE0EEENS1_30default_config_static_selectorELNS0_4arch9wavefront6targetE0EEEvT1_.num_agpr, 0
	.set _ZN7rocprim17ROCPRIM_400000_NS6detail17trampoline_kernelINS0_14default_configENS1_27scan_by_key_config_selectorIijEEZZNS1_16scan_by_key_implILNS1_25lookback_scan_determinismE0ELb1ES3_N6thrust23THRUST_200600_302600_NS6detail15normal_iteratorINS9_10device_ptrIiEEEENSB_INSC_IjEEEESG_jNS9_4plusIvEENS9_8equal_toIvEEjEE10hipError_tPvRmT2_T3_T4_T5_mT6_T7_P12ihipStream_tbENKUlT_T0_E_clISt17integral_constantIbLb0EES10_IbLb1EEEEDaSW_SX_EUlSW_E_NS1_11comp_targetILNS1_3genE2ELNS1_11target_archE906ELNS1_3gpuE6ELNS1_3repE0EEENS1_30default_config_static_selectorELNS0_4arch9wavefront6targetE0EEEvT1_.numbered_sgpr, 0
	.set _ZN7rocprim17ROCPRIM_400000_NS6detail17trampoline_kernelINS0_14default_configENS1_27scan_by_key_config_selectorIijEEZZNS1_16scan_by_key_implILNS1_25lookback_scan_determinismE0ELb1ES3_N6thrust23THRUST_200600_302600_NS6detail15normal_iteratorINS9_10device_ptrIiEEEENSB_INSC_IjEEEESG_jNS9_4plusIvEENS9_8equal_toIvEEjEE10hipError_tPvRmT2_T3_T4_T5_mT6_T7_P12ihipStream_tbENKUlT_T0_E_clISt17integral_constantIbLb0EES10_IbLb1EEEEDaSW_SX_EUlSW_E_NS1_11comp_targetILNS1_3genE2ELNS1_11target_archE906ELNS1_3gpuE6ELNS1_3repE0EEENS1_30default_config_static_selectorELNS0_4arch9wavefront6targetE0EEEvT1_.num_named_barrier, 0
	.set _ZN7rocprim17ROCPRIM_400000_NS6detail17trampoline_kernelINS0_14default_configENS1_27scan_by_key_config_selectorIijEEZZNS1_16scan_by_key_implILNS1_25lookback_scan_determinismE0ELb1ES3_N6thrust23THRUST_200600_302600_NS6detail15normal_iteratorINS9_10device_ptrIiEEEENSB_INSC_IjEEEESG_jNS9_4plusIvEENS9_8equal_toIvEEjEE10hipError_tPvRmT2_T3_T4_T5_mT6_T7_P12ihipStream_tbENKUlT_T0_E_clISt17integral_constantIbLb0EES10_IbLb1EEEEDaSW_SX_EUlSW_E_NS1_11comp_targetILNS1_3genE2ELNS1_11target_archE906ELNS1_3gpuE6ELNS1_3repE0EEENS1_30default_config_static_selectorELNS0_4arch9wavefront6targetE0EEEvT1_.private_seg_size, 0
	.set _ZN7rocprim17ROCPRIM_400000_NS6detail17trampoline_kernelINS0_14default_configENS1_27scan_by_key_config_selectorIijEEZZNS1_16scan_by_key_implILNS1_25lookback_scan_determinismE0ELb1ES3_N6thrust23THRUST_200600_302600_NS6detail15normal_iteratorINS9_10device_ptrIiEEEENSB_INSC_IjEEEESG_jNS9_4plusIvEENS9_8equal_toIvEEjEE10hipError_tPvRmT2_T3_T4_T5_mT6_T7_P12ihipStream_tbENKUlT_T0_E_clISt17integral_constantIbLb0EES10_IbLb1EEEEDaSW_SX_EUlSW_E_NS1_11comp_targetILNS1_3genE2ELNS1_11target_archE906ELNS1_3gpuE6ELNS1_3repE0EEENS1_30default_config_static_selectorELNS0_4arch9wavefront6targetE0EEEvT1_.uses_vcc, 0
	.set _ZN7rocprim17ROCPRIM_400000_NS6detail17trampoline_kernelINS0_14default_configENS1_27scan_by_key_config_selectorIijEEZZNS1_16scan_by_key_implILNS1_25lookback_scan_determinismE0ELb1ES3_N6thrust23THRUST_200600_302600_NS6detail15normal_iteratorINS9_10device_ptrIiEEEENSB_INSC_IjEEEESG_jNS9_4plusIvEENS9_8equal_toIvEEjEE10hipError_tPvRmT2_T3_T4_T5_mT6_T7_P12ihipStream_tbENKUlT_T0_E_clISt17integral_constantIbLb0EES10_IbLb1EEEEDaSW_SX_EUlSW_E_NS1_11comp_targetILNS1_3genE2ELNS1_11target_archE906ELNS1_3gpuE6ELNS1_3repE0EEENS1_30default_config_static_selectorELNS0_4arch9wavefront6targetE0EEEvT1_.uses_flat_scratch, 0
	.set _ZN7rocprim17ROCPRIM_400000_NS6detail17trampoline_kernelINS0_14default_configENS1_27scan_by_key_config_selectorIijEEZZNS1_16scan_by_key_implILNS1_25lookback_scan_determinismE0ELb1ES3_N6thrust23THRUST_200600_302600_NS6detail15normal_iteratorINS9_10device_ptrIiEEEENSB_INSC_IjEEEESG_jNS9_4plusIvEENS9_8equal_toIvEEjEE10hipError_tPvRmT2_T3_T4_T5_mT6_T7_P12ihipStream_tbENKUlT_T0_E_clISt17integral_constantIbLb0EES10_IbLb1EEEEDaSW_SX_EUlSW_E_NS1_11comp_targetILNS1_3genE2ELNS1_11target_archE906ELNS1_3gpuE6ELNS1_3repE0EEENS1_30default_config_static_selectorELNS0_4arch9wavefront6targetE0EEEvT1_.has_dyn_sized_stack, 0
	.set _ZN7rocprim17ROCPRIM_400000_NS6detail17trampoline_kernelINS0_14default_configENS1_27scan_by_key_config_selectorIijEEZZNS1_16scan_by_key_implILNS1_25lookback_scan_determinismE0ELb1ES3_N6thrust23THRUST_200600_302600_NS6detail15normal_iteratorINS9_10device_ptrIiEEEENSB_INSC_IjEEEESG_jNS9_4plusIvEENS9_8equal_toIvEEjEE10hipError_tPvRmT2_T3_T4_T5_mT6_T7_P12ihipStream_tbENKUlT_T0_E_clISt17integral_constantIbLb0EES10_IbLb1EEEEDaSW_SX_EUlSW_E_NS1_11comp_targetILNS1_3genE2ELNS1_11target_archE906ELNS1_3gpuE6ELNS1_3repE0EEENS1_30default_config_static_selectorELNS0_4arch9wavefront6targetE0EEEvT1_.has_recursion, 0
	.set _ZN7rocprim17ROCPRIM_400000_NS6detail17trampoline_kernelINS0_14default_configENS1_27scan_by_key_config_selectorIijEEZZNS1_16scan_by_key_implILNS1_25lookback_scan_determinismE0ELb1ES3_N6thrust23THRUST_200600_302600_NS6detail15normal_iteratorINS9_10device_ptrIiEEEENSB_INSC_IjEEEESG_jNS9_4plusIvEENS9_8equal_toIvEEjEE10hipError_tPvRmT2_T3_T4_T5_mT6_T7_P12ihipStream_tbENKUlT_T0_E_clISt17integral_constantIbLb0EES10_IbLb1EEEEDaSW_SX_EUlSW_E_NS1_11comp_targetILNS1_3genE2ELNS1_11target_archE906ELNS1_3gpuE6ELNS1_3repE0EEENS1_30default_config_static_selectorELNS0_4arch9wavefront6targetE0EEEvT1_.has_indirect_call, 0
	.section	.AMDGPU.csdata,"",@progbits
; Kernel info:
; codeLenInByte = 0
; TotalNumSgprs: 0
; NumVgprs: 0
; ScratchSize: 0
; MemoryBound: 0
; FloatMode: 240
; IeeeMode: 1
; LDSByteSize: 0 bytes/workgroup (compile time only)
; SGPRBlocks: 0
; VGPRBlocks: 0
; NumSGPRsForWavesPerEU: 1
; NumVGPRsForWavesPerEU: 1
; NamedBarCnt: 0
; Occupancy: 16
; WaveLimiterHint : 0
; COMPUTE_PGM_RSRC2:SCRATCH_EN: 0
; COMPUTE_PGM_RSRC2:USER_SGPR: 2
; COMPUTE_PGM_RSRC2:TRAP_HANDLER: 0
; COMPUTE_PGM_RSRC2:TGID_X_EN: 1
; COMPUTE_PGM_RSRC2:TGID_Y_EN: 0
; COMPUTE_PGM_RSRC2:TGID_Z_EN: 0
; COMPUTE_PGM_RSRC2:TIDIG_COMP_CNT: 0
	.section	.text._ZN7rocprim17ROCPRIM_400000_NS6detail17trampoline_kernelINS0_14default_configENS1_27scan_by_key_config_selectorIijEEZZNS1_16scan_by_key_implILNS1_25lookback_scan_determinismE0ELb1ES3_N6thrust23THRUST_200600_302600_NS6detail15normal_iteratorINS9_10device_ptrIiEEEENSB_INSC_IjEEEESG_jNS9_4plusIvEENS9_8equal_toIvEEjEE10hipError_tPvRmT2_T3_T4_T5_mT6_T7_P12ihipStream_tbENKUlT_T0_E_clISt17integral_constantIbLb0EES10_IbLb1EEEEDaSW_SX_EUlSW_E_NS1_11comp_targetILNS1_3genE10ELNS1_11target_archE1200ELNS1_3gpuE4ELNS1_3repE0EEENS1_30default_config_static_selectorELNS0_4arch9wavefront6targetE0EEEvT1_,"axG",@progbits,_ZN7rocprim17ROCPRIM_400000_NS6detail17trampoline_kernelINS0_14default_configENS1_27scan_by_key_config_selectorIijEEZZNS1_16scan_by_key_implILNS1_25lookback_scan_determinismE0ELb1ES3_N6thrust23THRUST_200600_302600_NS6detail15normal_iteratorINS9_10device_ptrIiEEEENSB_INSC_IjEEEESG_jNS9_4plusIvEENS9_8equal_toIvEEjEE10hipError_tPvRmT2_T3_T4_T5_mT6_T7_P12ihipStream_tbENKUlT_T0_E_clISt17integral_constantIbLb0EES10_IbLb1EEEEDaSW_SX_EUlSW_E_NS1_11comp_targetILNS1_3genE10ELNS1_11target_archE1200ELNS1_3gpuE4ELNS1_3repE0EEENS1_30default_config_static_selectorELNS0_4arch9wavefront6targetE0EEEvT1_,comdat
	.protected	_ZN7rocprim17ROCPRIM_400000_NS6detail17trampoline_kernelINS0_14default_configENS1_27scan_by_key_config_selectorIijEEZZNS1_16scan_by_key_implILNS1_25lookback_scan_determinismE0ELb1ES3_N6thrust23THRUST_200600_302600_NS6detail15normal_iteratorINS9_10device_ptrIiEEEENSB_INSC_IjEEEESG_jNS9_4plusIvEENS9_8equal_toIvEEjEE10hipError_tPvRmT2_T3_T4_T5_mT6_T7_P12ihipStream_tbENKUlT_T0_E_clISt17integral_constantIbLb0EES10_IbLb1EEEEDaSW_SX_EUlSW_E_NS1_11comp_targetILNS1_3genE10ELNS1_11target_archE1200ELNS1_3gpuE4ELNS1_3repE0EEENS1_30default_config_static_selectorELNS0_4arch9wavefront6targetE0EEEvT1_ ; -- Begin function _ZN7rocprim17ROCPRIM_400000_NS6detail17trampoline_kernelINS0_14default_configENS1_27scan_by_key_config_selectorIijEEZZNS1_16scan_by_key_implILNS1_25lookback_scan_determinismE0ELb1ES3_N6thrust23THRUST_200600_302600_NS6detail15normal_iteratorINS9_10device_ptrIiEEEENSB_INSC_IjEEEESG_jNS9_4plusIvEENS9_8equal_toIvEEjEE10hipError_tPvRmT2_T3_T4_T5_mT6_T7_P12ihipStream_tbENKUlT_T0_E_clISt17integral_constantIbLb0EES10_IbLb1EEEEDaSW_SX_EUlSW_E_NS1_11comp_targetILNS1_3genE10ELNS1_11target_archE1200ELNS1_3gpuE4ELNS1_3repE0EEENS1_30default_config_static_selectorELNS0_4arch9wavefront6targetE0EEEvT1_
	.globl	_ZN7rocprim17ROCPRIM_400000_NS6detail17trampoline_kernelINS0_14default_configENS1_27scan_by_key_config_selectorIijEEZZNS1_16scan_by_key_implILNS1_25lookback_scan_determinismE0ELb1ES3_N6thrust23THRUST_200600_302600_NS6detail15normal_iteratorINS9_10device_ptrIiEEEENSB_INSC_IjEEEESG_jNS9_4plusIvEENS9_8equal_toIvEEjEE10hipError_tPvRmT2_T3_T4_T5_mT6_T7_P12ihipStream_tbENKUlT_T0_E_clISt17integral_constantIbLb0EES10_IbLb1EEEEDaSW_SX_EUlSW_E_NS1_11comp_targetILNS1_3genE10ELNS1_11target_archE1200ELNS1_3gpuE4ELNS1_3repE0EEENS1_30default_config_static_selectorELNS0_4arch9wavefront6targetE0EEEvT1_
	.p2align	8
	.type	_ZN7rocprim17ROCPRIM_400000_NS6detail17trampoline_kernelINS0_14default_configENS1_27scan_by_key_config_selectorIijEEZZNS1_16scan_by_key_implILNS1_25lookback_scan_determinismE0ELb1ES3_N6thrust23THRUST_200600_302600_NS6detail15normal_iteratorINS9_10device_ptrIiEEEENSB_INSC_IjEEEESG_jNS9_4plusIvEENS9_8equal_toIvEEjEE10hipError_tPvRmT2_T3_T4_T5_mT6_T7_P12ihipStream_tbENKUlT_T0_E_clISt17integral_constantIbLb0EES10_IbLb1EEEEDaSW_SX_EUlSW_E_NS1_11comp_targetILNS1_3genE10ELNS1_11target_archE1200ELNS1_3gpuE4ELNS1_3repE0EEENS1_30default_config_static_selectorELNS0_4arch9wavefront6targetE0EEEvT1_,@function
_ZN7rocprim17ROCPRIM_400000_NS6detail17trampoline_kernelINS0_14default_configENS1_27scan_by_key_config_selectorIijEEZZNS1_16scan_by_key_implILNS1_25lookback_scan_determinismE0ELb1ES3_N6thrust23THRUST_200600_302600_NS6detail15normal_iteratorINS9_10device_ptrIiEEEENSB_INSC_IjEEEESG_jNS9_4plusIvEENS9_8equal_toIvEEjEE10hipError_tPvRmT2_T3_T4_T5_mT6_T7_P12ihipStream_tbENKUlT_T0_E_clISt17integral_constantIbLb0EES10_IbLb1EEEEDaSW_SX_EUlSW_E_NS1_11comp_targetILNS1_3genE10ELNS1_11target_archE1200ELNS1_3gpuE4ELNS1_3repE0EEENS1_30default_config_static_selectorELNS0_4arch9wavefront6targetE0EEEvT1_: ; @_ZN7rocprim17ROCPRIM_400000_NS6detail17trampoline_kernelINS0_14default_configENS1_27scan_by_key_config_selectorIijEEZZNS1_16scan_by_key_implILNS1_25lookback_scan_determinismE0ELb1ES3_N6thrust23THRUST_200600_302600_NS6detail15normal_iteratorINS9_10device_ptrIiEEEENSB_INSC_IjEEEESG_jNS9_4plusIvEENS9_8equal_toIvEEjEE10hipError_tPvRmT2_T3_T4_T5_mT6_T7_P12ihipStream_tbENKUlT_T0_E_clISt17integral_constantIbLb0EES10_IbLb1EEEEDaSW_SX_EUlSW_E_NS1_11comp_targetILNS1_3genE10ELNS1_11target_archE1200ELNS1_3gpuE4ELNS1_3repE0EEENS1_30default_config_static_selectorELNS0_4arch9wavefront6targetE0EEEvT1_
; %bb.0:
	.section	.rodata,"a",@progbits
	.p2align	6, 0x0
	.amdhsa_kernel _ZN7rocprim17ROCPRIM_400000_NS6detail17trampoline_kernelINS0_14default_configENS1_27scan_by_key_config_selectorIijEEZZNS1_16scan_by_key_implILNS1_25lookback_scan_determinismE0ELb1ES3_N6thrust23THRUST_200600_302600_NS6detail15normal_iteratorINS9_10device_ptrIiEEEENSB_INSC_IjEEEESG_jNS9_4plusIvEENS9_8equal_toIvEEjEE10hipError_tPvRmT2_T3_T4_T5_mT6_T7_P12ihipStream_tbENKUlT_T0_E_clISt17integral_constantIbLb0EES10_IbLb1EEEEDaSW_SX_EUlSW_E_NS1_11comp_targetILNS1_3genE10ELNS1_11target_archE1200ELNS1_3gpuE4ELNS1_3repE0EEENS1_30default_config_static_selectorELNS0_4arch9wavefront6targetE0EEEvT1_
		.amdhsa_group_segment_fixed_size 0
		.amdhsa_private_segment_fixed_size 0
		.amdhsa_kernarg_size 112
		.amdhsa_user_sgpr_count 2
		.amdhsa_user_sgpr_dispatch_ptr 0
		.amdhsa_user_sgpr_queue_ptr 0
		.amdhsa_user_sgpr_kernarg_segment_ptr 1
		.amdhsa_user_sgpr_dispatch_id 0
		.amdhsa_user_sgpr_kernarg_preload_length 0
		.amdhsa_user_sgpr_kernarg_preload_offset 0
		.amdhsa_user_sgpr_private_segment_size 0
		.amdhsa_wavefront_size32 1
		.amdhsa_uses_dynamic_stack 0
		.amdhsa_enable_private_segment 0
		.amdhsa_system_sgpr_workgroup_id_x 1
		.amdhsa_system_sgpr_workgroup_id_y 0
		.amdhsa_system_sgpr_workgroup_id_z 0
		.amdhsa_system_sgpr_workgroup_info 0
		.amdhsa_system_vgpr_workitem_id 0
		.amdhsa_next_free_vgpr 1
		.amdhsa_next_free_sgpr 1
		.amdhsa_named_barrier_count 0
		.amdhsa_reserve_vcc 0
		.amdhsa_float_round_mode_32 0
		.amdhsa_float_round_mode_16_64 0
		.amdhsa_float_denorm_mode_32 3
		.amdhsa_float_denorm_mode_16_64 3
		.amdhsa_fp16_overflow 0
		.amdhsa_memory_ordered 1
		.amdhsa_forward_progress 1
		.amdhsa_inst_pref_size 0
		.amdhsa_round_robin_scheduling 0
		.amdhsa_exception_fp_ieee_invalid_op 0
		.amdhsa_exception_fp_denorm_src 0
		.amdhsa_exception_fp_ieee_div_zero 0
		.amdhsa_exception_fp_ieee_overflow 0
		.amdhsa_exception_fp_ieee_underflow 0
		.amdhsa_exception_fp_ieee_inexact 0
		.amdhsa_exception_int_div_zero 0
	.end_amdhsa_kernel
	.section	.text._ZN7rocprim17ROCPRIM_400000_NS6detail17trampoline_kernelINS0_14default_configENS1_27scan_by_key_config_selectorIijEEZZNS1_16scan_by_key_implILNS1_25lookback_scan_determinismE0ELb1ES3_N6thrust23THRUST_200600_302600_NS6detail15normal_iteratorINS9_10device_ptrIiEEEENSB_INSC_IjEEEESG_jNS9_4plusIvEENS9_8equal_toIvEEjEE10hipError_tPvRmT2_T3_T4_T5_mT6_T7_P12ihipStream_tbENKUlT_T0_E_clISt17integral_constantIbLb0EES10_IbLb1EEEEDaSW_SX_EUlSW_E_NS1_11comp_targetILNS1_3genE10ELNS1_11target_archE1200ELNS1_3gpuE4ELNS1_3repE0EEENS1_30default_config_static_selectorELNS0_4arch9wavefront6targetE0EEEvT1_,"axG",@progbits,_ZN7rocprim17ROCPRIM_400000_NS6detail17trampoline_kernelINS0_14default_configENS1_27scan_by_key_config_selectorIijEEZZNS1_16scan_by_key_implILNS1_25lookback_scan_determinismE0ELb1ES3_N6thrust23THRUST_200600_302600_NS6detail15normal_iteratorINS9_10device_ptrIiEEEENSB_INSC_IjEEEESG_jNS9_4plusIvEENS9_8equal_toIvEEjEE10hipError_tPvRmT2_T3_T4_T5_mT6_T7_P12ihipStream_tbENKUlT_T0_E_clISt17integral_constantIbLb0EES10_IbLb1EEEEDaSW_SX_EUlSW_E_NS1_11comp_targetILNS1_3genE10ELNS1_11target_archE1200ELNS1_3gpuE4ELNS1_3repE0EEENS1_30default_config_static_selectorELNS0_4arch9wavefront6targetE0EEEvT1_,comdat
.Lfunc_end1532:
	.size	_ZN7rocprim17ROCPRIM_400000_NS6detail17trampoline_kernelINS0_14default_configENS1_27scan_by_key_config_selectorIijEEZZNS1_16scan_by_key_implILNS1_25lookback_scan_determinismE0ELb1ES3_N6thrust23THRUST_200600_302600_NS6detail15normal_iteratorINS9_10device_ptrIiEEEENSB_INSC_IjEEEESG_jNS9_4plusIvEENS9_8equal_toIvEEjEE10hipError_tPvRmT2_T3_T4_T5_mT6_T7_P12ihipStream_tbENKUlT_T0_E_clISt17integral_constantIbLb0EES10_IbLb1EEEEDaSW_SX_EUlSW_E_NS1_11comp_targetILNS1_3genE10ELNS1_11target_archE1200ELNS1_3gpuE4ELNS1_3repE0EEENS1_30default_config_static_selectorELNS0_4arch9wavefront6targetE0EEEvT1_, .Lfunc_end1532-_ZN7rocprim17ROCPRIM_400000_NS6detail17trampoline_kernelINS0_14default_configENS1_27scan_by_key_config_selectorIijEEZZNS1_16scan_by_key_implILNS1_25lookback_scan_determinismE0ELb1ES3_N6thrust23THRUST_200600_302600_NS6detail15normal_iteratorINS9_10device_ptrIiEEEENSB_INSC_IjEEEESG_jNS9_4plusIvEENS9_8equal_toIvEEjEE10hipError_tPvRmT2_T3_T4_T5_mT6_T7_P12ihipStream_tbENKUlT_T0_E_clISt17integral_constantIbLb0EES10_IbLb1EEEEDaSW_SX_EUlSW_E_NS1_11comp_targetILNS1_3genE10ELNS1_11target_archE1200ELNS1_3gpuE4ELNS1_3repE0EEENS1_30default_config_static_selectorELNS0_4arch9wavefront6targetE0EEEvT1_
                                        ; -- End function
	.set _ZN7rocprim17ROCPRIM_400000_NS6detail17trampoline_kernelINS0_14default_configENS1_27scan_by_key_config_selectorIijEEZZNS1_16scan_by_key_implILNS1_25lookback_scan_determinismE0ELb1ES3_N6thrust23THRUST_200600_302600_NS6detail15normal_iteratorINS9_10device_ptrIiEEEENSB_INSC_IjEEEESG_jNS9_4plusIvEENS9_8equal_toIvEEjEE10hipError_tPvRmT2_T3_T4_T5_mT6_T7_P12ihipStream_tbENKUlT_T0_E_clISt17integral_constantIbLb0EES10_IbLb1EEEEDaSW_SX_EUlSW_E_NS1_11comp_targetILNS1_3genE10ELNS1_11target_archE1200ELNS1_3gpuE4ELNS1_3repE0EEENS1_30default_config_static_selectorELNS0_4arch9wavefront6targetE0EEEvT1_.num_vgpr, 0
	.set _ZN7rocprim17ROCPRIM_400000_NS6detail17trampoline_kernelINS0_14default_configENS1_27scan_by_key_config_selectorIijEEZZNS1_16scan_by_key_implILNS1_25lookback_scan_determinismE0ELb1ES3_N6thrust23THRUST_200600_302600_NS6detail15normal_iteratorINS9_10device_ptrIiEEEENSB_INSC_IjEEEESG_jNS9_4plusIvEENS9_8equal_toIvEEjEE10hipError_tPvRmT2_T3_T4_T5_mT6_T7_P12ihipStream_tbENKUlT_T0_E_clISt17integral_constantIbLb0EES10_IbLb1EEEEDaSW_SX_EUlSW_E_NS1_11comp_targetILNS1_3genE10ELNS1_11target_archE1200ELNS1_3gpuE4ELNS1_3repE0EEENS1_30default_config_static_selectorELNS0_4arch9wavefront6targetE0EEEvT1_.num_agpr, 0
	.set _ZN7rocprim17ROCPRIM_400000_NS6detail17trampoline_kernelINS0_14default_configENS1_27scan_by_key_config_selectorIijEEZZNS1_16scan_by_key_implILNS1_25lookback_scan_determinismE0ELb1ES3_N6thrust23THRUST_200600_302600_NS6detail15normal_iteratorINS9_10device_ptrIiEEEENSB_INSC_IjEEEESG_jNS9_4plusIvEENS9_8equal_toIvEEjEE10hipError_tPvRmT2_T3_T4_T5_mT6_T7_P12ihipStream_tbENKUlT_T0_E_clISt17integral_constantIbLb0EES10_IbLb1EEEEDaSW_SX_EUlSW_E_NS1_11comp_targetILNS1_3genE10ELNS1_11target_archE1200ELNS1_3gpuE4ELNS1_3repE0EEENS1_30default_config_static_selectorELNS0_4arch9wavefront6targetE0EEEvT1_.numbered_sgpr, 0
	.set _ZN7rocprim17ROCPRIM_400000_NS6detail17trampoline_kernelINS0_14default_configENS1_27scan_by_key_config_selectorIijEEZZNS1_16scan_by_key_implILNS1_25lookback_scan_determinismE0ELb1ES3_N6thrust23THRUST_200600_302600_NS6detail15normal_iteratorINS9_10device_ptrIiEEEENSB_INSC_IjEEEESG_jNS9_4plusIvEENS9_8equal_toIvEEjEE10hipError_tPvRmT2_T3_T4_T5_mT6_T7_P12ihipStream_tbENKUlT_T0_E_clISt17integral_constantIbLb0EES10_IbLb1EEEEDaSW_SX_EUlSW_E_NS1_11comp_targetILNS1_3genE10ELNS1_11target_archE1200ELNS1_3gpuE4ELNS1_3repE0EEENS1_30default_config_static_selectorELNS0_4arch9wavefront6targetE0EEEvT1_.num_named_barrier, 0
	.set _ZN7rocprim17ROCPRIM_400000_NS6detail17trampoline_kernelINS0_14default_configENS1_27scan_by_key_config_selectorIijEEZZNS1_16scan_by_key_implILNS1_25lookback_scan_determinismE0ELb1ES3_N6thrust23THRUST_200600_302600_NS6detail15normal_iteratorINS9_10device_ptrIiEEEENSB_INSC_IjEEEESG_jNS9_4plusIvEENS9_8equal_toIvEEjEE10hipError_tPvRmT2_T3_T4_T5_mT6_T7_P12ihipStream_tbENKUlT_T0_E_clISt17integral_constantIbLb0EES10_IbLb1EEEEDaSW_SX_EUlSW_E_NS1_11comp_targetILNS1_3genE10ELNS1_11target_archE1200ELNS1_3gpuE4ELNS1_3repE0EEENS1_30default_config_static_selectorELNS0_4arch9wavefront6targetE0EEEvT1_.private_seg_size, 0
	.set _ZN7rocprim17ROCPRIM_400000_NS6detail17trampoline_kernelINS0_14default_configENS1_27scan_by_key_config_selectorIijEEZZNS1_16scan_by_key_implILNS1_25lookback_scan_determinismE0ELb1ES3_N6thrust23THRUST_200600_302600_NS6detail15normal_iteratorINS9_10device_ptrIiEEEENSB_INSC_IjEEEESG_jNS9_4plusIvEENS9_8equal_toIvEEjEE10hipError_tPvRmT2_T3_T4_T5_mT6_T7_P12ihipStream_tbENKUlT_T0_E_clISt17integral_constantIbLb0EES10_IbLb1EEEEDaSW_SX_EUlSW_E_NS1_11comp_targetILNS1_3genE10ELNS1_11target_archE1200ELNS1_3gpuE4ELNS1_3repE0EEENS1_30default_config_static_selectorELNS0_4arch9wavefront6targetE0EEEvT1_.uses_vcc, 0
	.set _ZN7rocprim17ROCPRIM_400000_NS6detail17trampoline_kernelINS0_14default_configENS1_27scan_by_key_config_selectorIijEEZZNS1_16scan_by_key_implILNS1_25lookback_scan_determinismE0ELb1ES3_N6thrust23THRUST_200600_302600_NS6detail15normal_iteratorINS9_10device_ptrIiEEEENSB_INSC_IjEEEESG_jNS9_4plusIvEENS9_8equal_toIvEEjEE10hipError_tPvRmT2_T3_T4_T5_mT6_T7_P12ihipStream_tbENKUlT_T0_E_clISt17integral_constantIbLb0EES10_IbLb1EEEEDaSW_SX_EUlSW_E_NS1_11comp_targetILNS1_3genE10ELNS1_11target_archE1200ELNS1_3gpuE4ELNS1_3repE0EEENS1_30default_config_static_selectorELNS0_4arch9wavefront6targetE0EEEvT1_.uses_flat_scratch, 0
	.set _ZN7rocprim17ROCPRIM_400000_NS6detail17trampoline_kernelINS0_14default_configENS1_27scan_by_key_config_selectorIijEEZZNS1_16scan_by_key_implILNS1_25lookback_scan_determinismE0ELb1ES3_N6thrust23THRUST_200600_302600_NS6detail15normal_iteratorINS9_10device_ptrIiEEEENSB_INSC_IjEEEESG_jNS9_4plusIvEENS9_8equal_toIvEEjEE10hipError_tPvRmT2_T3_T4_T5_mT6_T7_P12ihipStream_tbENKUlT_T0_E_clISt17integral_constantIbLb0EES10_IbLb1EEEEDaSW_SX_EUlSW_E_NS1_11comp_targetILNS1_3genE10ELNS1_11target_archE1200ELNS1_3gpuE4ELNS1_3repE0EEENS1_30default_config_static_selectorELNS0_4arch9wavefront6targetE0EEEvT1_.has_dyn_sized_stack, 0
	.set _ZN7rocprim17ROCPRIM_400000_NS6detail17trampoline_kernelINS0_14default_configENS1_27scan_by_key_config_selectorIijEEZZNS1_16scan_by_key_implILNS1_25lookback_scan_determinismE0ELb1ES3_N6thrust23THRUST_200600_302600_NS6detail15normal_iteratorINS9_10device_ptrIiEEEENSB_INSC_IjEEEESG_jNS9_4plusIvEENS9_8equal_toIvEEjEE10hipError_tPvRmT2_T3_T4_T5_mT6_T7_P12ihipStream_tbENKUlT_T0_E_clISt17integral_constantIbLb0EES10_IbLb1EEEEDaSW_SX_EUlSW_E_NS1_11comp_targetILNS1_3genE10ELNS1_11target_archE1200ELNS1_3gpuE4ELNS1_3repE0EEENS1_30default_config_static_selectorELNS0_4arch9wavefront6targetE0EEEvT1_.has_recursion, 0
	.set _ZN7rocprim17ROCPRIM_400000_NS6detail17trampoline_kernelINS0_14default_configENS1_27scan_by_key_config_selectorIijEEZZNS1_16scan_by_key_implILNS1_25lookback_scan_determinismE0ELb1ES3_N6thrust23THRUST_200600_302600_NS6detail15normal_iteratorINS9_10device_ptrIiEEEENSB_INSC_IjEEEESG_jNS9_4plusIvEENS9_8equal_toIvEEjEE10hipError_tPvRmT2_T3_T4_T5_mT6_T7_P12ihipStream_tbENKUlT_T0_E_clISt17integral_constantIbLb0EES10_IbLb1EEEEDaSW_SX_EUlSW_E_NS1_11comp_targetILNS1_3genE10ELNS1_11target_archE1200ELNS1_3gpuE4ELNS1_3repE0EEENS1_30default_config_static_selectorELNS0_4arch9wavefront6targetE0EEEvT1_.has_indirect_call, 0
	.section	.AMDGPU.csdata,"",@progbits
; Kernel info:
; codeLenInByte = 0
; TotalNumSgprs: 0
; NumVgprs: 0
; ScratchSize: 0
; MemoryBound: 0
; FloatMode: 240
; IeeeMode: 1
; LDSByteSize: 0 bytes/workgroup (compile time only)
; SGPRBlocks: 0
; VGPRBlocks: 0
; NumSGPRsForWavesPerEU: 1
; NumVGPRsForWavesPerEU: 1
; NamedBarCnt: 0
; Occupancy: 16
; WaveLimiterHint : 0
; COMPUTE_PGM_RSRC2:SCRATCH_EN: 0
; COMPUTE_PGM_RSRC2:USER_SGPR: 2
; COMPUTE_PGM_RSRC2:TRAP_HANDLER: 0
; COMPUTE_PGM_RSRC2:TGID_X_EN: 1
; COMPUTE_PGM_RSRC2:TGID_Y_EN: 0
; COMPUTE_PGM_RSRC2:TGID_Z_EN: 0
; COMPUTE_PGM_RSRC2:TIDIG_COMP_CNT: 0
	.section	.text._ZN7rocprim17ROCPRIM_400000_NS6detail17trampoline_kernelINS0_14default_configENS1_27scan_by_key_config_selectorIijEEZZNS1_16scan_by_key_implILNS1_25lookback_scan_determinismE0ELb1ES3_N6thrust23THRUST_200600_302600_NS6detail15normal_iteratorINS9_10device_ptrIiEEEENSB_INSC_IjEEEESG_jNS9_4plusIvEENS9_8equal_toIvEEjEE10hipError_tPvRmT2_T3_T4_T5_mT6_T7_P12ihipStream_tbENKUlT_T0_E_clISt17integral_constantIbLb0EES10_IbLb1EEEEDaSW_SX_EUlSW_E_NS1_11comp_targetILNS1_3genE9ELNS1_11target_archE1100ELNS1_3gpuE3ELNS1_3repE0EEENS1_30default_config_static_selectorELNS0_4arch9wavefront6targetE0EEEvT1_,"axG",@progbits,_ZN7rocprim17ROCPRIM_400000_NS6detail17trampoline_kernelINS0_14default_configENS1_27scan_by_key_config_selectorIijEEZZNS1_16scan_by_key_implILNS1_25lookback_scan_determinismE0ELb1ES3_N6thrust23THRUST_200600_302600_NS6detail15normal_iteratorINS9_10device_ptrIiEEEENSB_INSC_IjEEEESG_jNS9_4plusIvEENS9_8equal_toIvEEjEE10hipError_tPvRmT2_T3_T4_T5_mT6_T7_P12ihipStream_tbENKUlT_T0_E_clISt17integral_constantIbLb0EES10_IbLb1EEEEDaSW_SX_EUlSW_E_NS1_11comp_targetILNS1_3genE9ELNS1_11target_archE1100ELNS1_3gpuE3ELNS1_3repE0EEENS1_30default_config_static_selectorELNS0_4arch9wavefront6targetE0EEEvT1_,comdat
	.protected	_ZN7rocprim17ROCPRIM_400000_NS6detail17trampoline_kernelINS0_14default_configENS1_27scan_by_key_config_selectorIijEEZZNS1_16scan_by_key_implILNS1_25lookback_scan_determinismE0ELb1ES3_N6thrust23THRUST_200600_302600_NS6detail15normal_iteratorINS9_10device_ptrIiEEEENSB_INSC_IjEEEESG_jNS9_4plusIvEENS9_8equal_toIvEEjEE10hipError_tPvRmT2_T3_T4_T5_mT6_T7_P12ihipStream_tbENKUlT_T0_E_clISt17integral_constantIbLb0EES10_IbLb1EEEEDaSW_SX_EUlSW_E_NS1_11comp_targetILNS1_3genE9ELNS1_11target_archE1100ELNS1_3gpuE3ELNS1_3repE0EEENS1_30default_config_static_selectorELNS0_4arch9wavefront6targetE0EEEvT1_ ; -- Begin function _ZN7rocprim17ROCPRIM_400000_NS6detail17trampoline_kernelINS0_14default_configENS1_27scan_by_key_config_selectorIijEEZZNS1_16scan_by_key_implILNS1_25lookback_scan_determinismE0ELb1ES3_N6thrust23THRUST_200600_302600_NS6detail15normal_iteratorINS9_10device_ptrIiEEEENSB_INSC_IjEEEESG_jNS9_4plusIvEENS9_8equal_toIvEEjEE10hipError_tPvRmT2_T3_T4_T5_mT6_T7_P12ihipStream_tbENKUlT_T0_E_clISt17integral_constantIbLb0EES10_IbLb1EEEEDaSW_SX_EUlSW_E_NS1_11comp_targetILNS1_3genE9ELNS1_11target_archE1100ELNS1_3gpuE3ELNS1_3repE0EEENS1_30default_config_static_selectorELNS0_4arch9wavefront6targetE0EEEvT1_
	.globl	_ZN7rocprim17ROCPRIM_400000_NS6detail17trampoline_kernelINS0_14default_configENS1_27scan_by_key_config_selectorIijEEZZNS1_16scan_by_key_implILNS1_25lookback_scan_determinismE0ELb1ES3_N6thrust23THRUST_200600_302600_NS6detail15normal_iteratorINS9_10device_ptrIiEEEENSB_INSC_IjEEEESG_jNS9_4plusIvEENS9_8equal_toIvEEjEE10hipError_tPvRmT2_T3_T4_T5_mT6_T7_P12ihipStream_tbENKUlT_T0_E_clISt17integral_constantIbLb0EES10_IbLb1EEEEDaSW_SX_EUlSW_E_NS1_11comp_targetILNS1_3genE9ELNS1_11target_archE1100ELNS1_3gpuE3ELNS1_3repE0EEENS1_30default_config_static_selectorELNS0_4arch9wavefront6targetE0EEEvT1_
	.p2align	8
	.type	_ZN7rocprim17ROCPRIM_400000_NS6detail17trampoline_kernelINS0_14default_configENS1_27scan_by_key_config_selectorIijEEZZNS1_16scan_by_key_implILNS1_25lookback_scan_determinismE0ELb1ES3_N6thrust23THRUST_200600_302600_NS6detail15normal_iteratorINS9_10device_ptrIiEEEENSB_INSC_IjEEEESG_jNS9_4plusIvEENS9_8equal_toIvEEjEE10hipError_tPvRmT2_T3_T4_T5_mT6_T7_P12ihipStream_tbENKUlT_T0_E_clISt17integral_constantIbLb0EES10_IbLb1EEEEDaSW_SX_EUlSW_E_NS1_11comp_targetILNS1_3genE9ELNS1_11target_archE1100ELNS1_3gpuE3ELNS1_3repE0EEENS1_30default_config_static_selectorELNS0_4arch9wavefront6targetE0EEEvT1_,@function
_ZN7rocprim17ROCPRIM_400000_NS6detail17trampoline_kernelINS0_14default_configENS1_27scan_by_key_config_selectorIijEEZZNS1_16scan_by_key_implILNS1_25lookback_scan_determinismE0ELb1ES3_N6thrust23THRUST_200600_302600_NS6detail15normal_iteratorINS9_10device_ptrIiEEEENSB_INSC_IjEEEESG_jNS9_4plusIvEENS9_8equal_toIvEEjEE10hipError_tPvRmT2_T3_T4_T5_mT6_T7_P12ihipStream_tbENKUlT_T0_E_clISt17integral_constantIbLb0EES10_IbLb1EEEEDaSW_SX_EUlSW_E_NS1_11comp_targetILNS1_3genE9ELNS1_11target_archE1100ELNS1_3gpuE3ELNS1_3repE0EEENS1_30default_config_static_selectorELNS0_4arch9wavefront6targetE0EEEvT1_: ; @_ZN7rocprim17ROCPRIM_400000_NS6detail17trampoline_kernelINS0_14default_configENS1_27scan_by_key_config_selectorIijEEZZNS1_16scan_by_key_implILNS1_25lookback_scan_determinismE0ELb1ES3_N6thrust23THRUST_200600_302600_NS6detail15normal_iteratorINS9_10device_ptrIiEEEENSB_INSC_IjEEEESG_jNS9_4plusIvEENS9_8equal_toIvEEjEE10hipError_tPvRmT2_T3_T4_T5_mT6_T7_P12ihipStream_tbENKUlT_T0_E_clISt17integral_constantIbLb0EES10_IbLb1EEEEDaSW_SX_EUlSW_E_NS1_11comp_targetILNS1_3genE9ELNS1_11target_archE1100ELNS1_3gpuE3ELNS1_3repE0EEENS1_30default_config_static_selectorELNS0_4arch9wavefront6targetE0EEEvT1_
; %bb.0:
	.section	.rodata,"a",@progbits
	.p2align	6, 0x0
	.amdhsa_kernel _ZN7rocprim17ROCPRIM_400000_NS6detail17trampoline_kernelINS0_14default_configENS1_27scan_by_key_config_selectorIijEEZZNS1_16scan_by_key_implILNS1_25lookback_scan_determinismE0ELb1ES3_N6thrust23THRUST_200600_302600_NS6detail15normal_iteratorINS9_10device_ptrIiEEEENSB_INSC_IjEEEESG_jNS9_4plusIvEENS9_8equal_toIvEEjEE10hipError_tPvRmT2_T3_T4_T5_mT6_T7_P12ihipStream_tbENKUlT_T0_E_clISt17integral_constantIbLb0EES10_IbLb1EEEEDaSW_SX_EUlSW_E_NS1_11comp_targetILNS1_3genE9ELNS1_11target_archE1100ELNS1_3gpuE3ELNS1_3repE0EEENS1_30default_config_static_selectorELNS0_4arch9wavefront6targetE0EEEvT1_
		.amdhsa_group_segment_fixed_size 0
		.amdhsa_private_segment_fixed_size 0
		.amdhsa_kernarg_size 112
		.amdhsa_user_sgpr_count 2
		.amdhsa_user_sgpr_dispatch_ptr 0
		.amdhsa_user_sgpr_queue_ptr 0
		.amdhsa_user_sgpr_kernarg_segment_ptr 1
		.amdhsa_user_sgpr_dispatch_id 0
		.amdhsa_user_sgpr_kernarg_preload_length 0
		.amdhsa_user_sgpr_kernarg_preload_offset 0
		.amdhsa_user_sgpr_private_segment_size 0
		.amdhsa_wavefront_size32 1
		.amdhsa_uses_dynamic_stack 0
		.amdhsa_enable_private_segment 0
		.amdhsa_system_sgpr_workgroup_id_x 1
		.amdhsa_system_sgpr_workgroup_id_y 0
		.amdhsa_system_sgpr_workgroup_id_z 0
		.amdhsa_system_sgpr_workgroup_info 0
		.amdhsa_system_vgpr_workitem_id 0
		.amdhsa_next_free_vgpr 1
		.amdhsa_next_free_sgpr 1
		.amdhsa_named_barrier_count 0
		.amdhsa_reserve_vcc 0
		.amdhsa_float_round_mode_32 0
		.amdhsa_float_round_mode_16_64 0
		.amdhsa_float_denorm_mode_32 3
		.amdhsa_float_denorm_mode_16_64 3
		.amdhsa_fp16_overflow 0
		.amdhsa_memory_ordered 1
		.amdhsa_forward_progress 1
		.amdhsa_inst_pref_size 0
		.amdhsa_round_robin_scheduling 0
		.amdhsa_exception_fp_ieee_invalid_op 0
		.amdhsa_exception_fp_denorm_src 0
		.amdhsa_exception_fp_ieee_div_zero 0
		.amdhsa_exception_fp_ieee_overflow 0
		.amdhsa_exception_fp_ieee_underflow 0
		.amdhsa_exception_fp_ieee_inexact 0
		.amdhsa_exception_int_div_zero 0
	.end_amdhsa_kernel
	.section	.text._ZN7rocprim17ROCPRIM_400000_NS6detail17trampoline_kernelINS0_14default_configENS1_27scan_by_key_config_selectorIijEEZZNS1_16scan_by_key_implILNS1_25lookback_scan_determinismE0ELb1ES3_N6thrust23THRUST_200600_302600_NS6detail15normal_iteratorINS9_10device_ptrIiEEEENSB_INSC_IjEEEESG_jNS9_4plusIvEENS9_8equal_toIvEEjEE10hipError_tPvRmT2_T3_T4_T5_mT6_T7_P12ihipStream_tbENKUlT_T0_E_clISt17integral_constantIbLb0EES10_IbLb1EEEEDaSW_SX_EUlSW_E_NS1_11comp_targetILNS1_3genE9ELNS1_11target_archE1100ELNS1_3gpuE3ELNS1_3repE0EEENS1_30default_config_static_selectorELNS0_4arch9wavefront6targetE0EEEvT1_,"axG",@progbits,_ZN7rocprim17ROCPRIM_400000_NS6detail17trampoline_kernelINS0_14default_configENS1_27scan_by_key_config_selectorIijEEZZNS1_16scan_by_key_implILNS1_25lookback_scan_determinismE0ELb1ES3_N6thrust23THRUST_200600_302600_NS6detail15normal_iteratorINS9_10device_ptrIiEEEENSB_INSC_IjEEEESG_jNS9_4plusIvEENS9_8equal_toIvEEjEE10hipError_tPvRmT2_T3_T4_T5_mT6_T7_P12ihipStream_tbENKUlT_T0_E_clISt17integral_constantIbLb0EES10_IbLb1EEEEDaSW_SX_EUlSW_E_NS1_11comp_targetILNS1_3genE9ELNS1_11target_archE1100ELNS1_3gpuE3ELNS1_3repE0EEENS1_30default_config_static_selectorELNS0_4arch9wavefront6targetE0EEEvT1_,comdat
.Lfunc_end1533:
	.size	_ZN7rocprim17ROCPRIM_400000_NS6detail17trampoline_kernelINS0_14default_configENS1_27scan_by_key_config_selectorIijEEZZNS1_16scan_by_key_implILNS1_25lookback_scan_determinismE0ELb1ES3_N6thrust23THRUST_200600_302600_NS6detail15normal_iteratorINS9_10device_ptrIiEEEENSB_INSC_IjEEEESG_jNS9_4plusIvEENS9_8equal_toIvEEjEE10hipError_tPvRmT2_T3_T4_T5_mT6_T7_P12ihipStream_tbENKUlT_T0_E_clISt17integral_constantIbLb0EES10_IbLb1EEEEDaSW_SX_EUlSW_E_NS1_11comp_targetILNS1_3genE9ELNS1_11target_archE1100ELNS1_3gpuE3ELNS1_3repE0EEENS1_30default_config_static_selectorELNS0_4arch9wavefront6targetE0EEEvT1_, .Lfunc_end1533-_ZN7rocprim17ROCPRIM_400000_NS6detail17trampoline_kernelINS0_14default_configENS1_27scan_by_key_config_selectorIijEEZZNS1_16scan_by_key_implILNS1_25lookback_scan_determinismE0ELb1ES3_N6thrust23THRUST_200600_302600_NS6detail15normal_iteratorINS9_10device_ptrIiEEEENSB_INSC_IjEEEESG_jNS9_4plusIvEENS9_8equal_toIvEEjEE10hipError_tPvRmT2_T3_T4_T5_mT6_T7_P12ihipStream_tbENKUlT_T0_E_clISt17integral_constantIbLb0EES10_IbLb1EEEEDaSW_SX_EUlSW_E_NS1_11comp_targetILNS1_3genE9ELNS1_11target_archE1100ELNS1_3gpuE3ELNS1_3repE0EEENS1_30default_config_static_selectorELNS0_4arch9wavefront6targetE0EEEvT1_
                                        ; -- End function
	.set _ZN7rocprim17ROCPRIM_400000_NS6detail17trampoline_kernelINS0_14default_configENS1_27scan_by_key_config_selectorIijEEZZNS1_16scan_by_key_implILNS1_25lookback_scan_determinismE0ELb1ES3_N6thrust23THRUST_200600_302600_NS6detail15normal_iteratorINS9_10device_ptrIiEEEENSB_INSC_IjEEEESG_jNS9_4plusIvEENS9_8equal_toIvEEjEE10hipError_tPvRmT2_T3_T4_T5_mT6_T7_P12ihipStream_tbENKUlT_T0_E_clISt17integral_constantIbLb0EES10_IbLb1EEEEDaSW_SX_EUlSW_E_NS1_11comp_targetILNS1_3genE9ELNS1_11target_archE1100ELNS1_3gpuE3ELNS1_3repE0EEENS1_30default_config_static_selectorELNS0_4arch9wavefront6targetE0EEEvT1_.num_vgpr, 0
	.set _ZN7rocprim17ROCPRIM_400000_NS6detail17trampoline_kernelINS0_14default_configENS1_27scan_by_key_config_selectorIijEEZZNS1_16scan_by_key_implILNS1_25lookback_scan_determinismE0ELb1ES3_N6thrust23THRUST_200600_302600_NS6detail15normal_iteratorINS9_10device_ptrIiEEEENSB_INSC_IjEEEESG_jNS9_4plusIvEENS9_8equal_toIvEEjEE10hipError_tPvRmT2_T3_T4_T5_mT6_T7_P12ihipStream_tbENKUlT_T0_E_clISt17integral_constantIbLb0EES10_IbLb1EEEEDaSW_SX_EUlSW_E_NS1_11comp_targetILNS1_3genE9ELNS1_11target_archE1100ELNS1_3gpuE3ELNS1_3repE0EEENS1_30default_config_static_selectorELNS0_4arch9wavefront6targetE0EEEvT1_.num_agpr, 0
	.set _ZN7rocprim17ROCPRIM_400000_NS6detail17trampoline_kernelINS0_14default_configENS1_27scan_by_key_config_selectorIijEEZZNS1_16scan_by_key_implILNS1_25lookback_scan_determinismE0ELb1ES3_N6thrust23THRUST_200600_302600_NS6detail15normal_iteratorINS9_10device_ptrIiEEEENSB_INSC_IjEEEESG_jNS9_4plusIvEENS9_8equal_toIvEEjEE10hipError_tPvRmT2_T3_T4_T5_mT6_T7_P12ihipStream_tbENKUlT_T0_E_clISt17integral_constantIbLb0EES10_IbLb1EEEEDaSW_SX_EUlSW_E_NS1_11comp_targetILNS1_3genE9ELNS1_11target_archE1100ELNS1_3gpuE3ELNS1_3repE0EEENS1_30default_config_static_selectorELNS0_4arch9wavefront6targetE0EEEvT1_.numbered_sgpr, 0
	.set _ZN7rocprim17ROCPRIM_400000_NS6detail17trampoline_kernelINS0_14default_configENS1_27scan_by_key_config_selectorIijEEZZNS1_16scan_by_key_implILNS1_25lookback_scan_determinismE0ELb1ES3_N6thrust23THRUST_200600_302600_NS6detail15normal_iteratorINS9_10device_ptrIiEEEENSB_INSC_IjEEEESG_jNS9_4plusIvEENS9_8equal_toIvEEjEE10hipError_tPvRmT2_T3_T4_T5_mT6_T7_P12ihipStream_tbENKUlT_T0_E_clISt17integral_constantIbLb0EES10_IbLb1EEEEDaSW_SX_EUlSW_E_NS1_11comp_targetILNS1_3genE9ELNS1_11target_archE1100ELNS1_3gpuE3ELNS1_3repE0EEENS1_30default_config_static_selectorELNS0_4arch9wavefront6targetE0EEEvT1_.num_named_barrier, 0
	.set _ZN7rocprim17ROCPRIM_400000_NS6detail17trampoline_kernelINS0_14default_configENS1_27scan_by_key_config_selectorIijEEZZNS1_16scan_by_key_implILNS1_25lookback_scan_determinismE0ELb1ES3_N6thrust23THRUST_200600_302600_NS6detail15normal_iteratorINS9_10device_ptrIiEEEENSB_INSC_IjEEEESG_jNS9_4plusIvEENS9_8equal_toIvEEjEE10hipError_tPvRmT2_T3_T4_T5_mT6_T7_P12ihipStream_tbENKUlT_T0_E_clISt17integral_constantIbLb0EES10_IbLb1EEEEDaSW_SX_EUlSW_E_NS1_11comp_targetILNS1_3genE9ELNS1_11target_archE1100ELNS1_3gpuE3ELNS1_3repE0EEENS1_30default_config_static_selectorELNS0_4arch9wavefront6targetE0EEEvT1_.private_seg_size, 0
	.set _ZN7rocprim17ROCPRIM_400000_NS6detail17trampoline_kernelINS0_14default_configENS1_27scan_by_key_config_selectorIijEEZZNS1_16scan_by_key_implILNS1_25lookback_scan_determinismE0ELb1ES3_N6thrust23THRUST_200600_302600_NS6detail15normal_iteratorINS9_10device_ptrIiEEEENSB_INSC_IjEEEESG_jNS9_4plusIvEENS9_8equal_toIvEEjEE10hipError_tPvRmT2_T3_T4_T5_mT6_T7_P12ihipStream_tbENKUlT_T0_E_clISt17integral_constantIbLb0EES10_IbLb1EEEEDaSW_SX_EUlSW_E_NS1_11comp_targetILNS1_3genE9ELNS1_11target_archE1100ELNS1_3gpuE3ELNS1_3repE0EEENS1_30default_config_static_selectorELNS0_4arch9wavefront6targetE0EEEvT1_.uses_vcc, 0
	.set _ZN7rocprim17ROCPRIM_400000_NS6detail17trampoline_kernelINS0_14default_configENS1_27scan_by_key_config_selectorIijEEZZNS1_16scan_by_key_implILNS1_25lookback_scan_determinismE0ELb1ES3_N6thrust23THRUST_200600_302600_NS6detail15normal_iteratorINS9_10device_ptrIiEEEENSB_INSC_IjEEEESG_jNS9_4plusIvEENS9_8equal_toIvEEjEE10hipError_tPvRmT2_T3_T4_T5_mT6_T7_P12ihipStream_tbENKUlT_T0_E_clISt17integral_constantIbLb0EES10_IbLb1EEEEDaSW_SX_EUlSW_E_NS1_11comp_targetILNS1_3genE9ELNS1_11target_archE1100ELNS1_3gpuE3ELNS1_3repE0EEENS1_30default_config_static_selectorELNS0_4arch9wavefront6targetE0EEEvT1_.uses_flat_scratch, 0
	.set _ZN7rocprim17ROCPRIM_400000_NS6detail17trampoline_kernelINS0_14default_configENS1_27scan_by_key_config_selectorIijEEZZNS1_16scan_by_key_implILNS1_25lookback_scan_determinismE0ELb1ES3_N6thrust23THRUST_200600_302600_NS6detail15normal_iteratorINS9_10device_ptrIiEEEENSB_INSC_IjEEEESG_jNS9_4plusIvEENS9_8equal_toIvEEjEE10hipError_tPvRmT2_T3_T4_T5_mT6_T7_P12ihipStream_tbENKUlT_T0_E_clISt17integral_constantIbLb0EES10_IbLb1EEEEDaSW_SX_EUlSW_E_NS1_11comp_targetILNS1_3genE9ELNS1_11target_archE1100ELNS1_3gpuE3ELNS1_3repE0EEENS1_30default_config_static_selectorELNS0_4arch9wavefront6targetE0EEEvT1_.has_dyn_sized_stack, 0
	.set _ZN7rocprim17ROCPRIM_400000_NS6detail17trampoline_kernelINS0_14default_configENS1_27scan_by_key_config_selectorIijEEZZNS1_16scan_by_key_implILNS1_25lookback_scan_determinismE0ELb1ES3_N6thrust23THRUST_200600_302600_NS6detail15normal_iteratorINS9_10device_ptrIiEEEENSB_INSC_IjEEEESG_jNS9_4plusIvEENS9_8equal_toIvEEjEE10hipError_tPvRmT2_T3_T4_T5_mT6_T7_P12ihipStream_tbENKUlT_T0_E_clISt17integral_constantIbLb0EES10_IbLb1EEEEDaSW_SX_EUlSW_E_NS1_11comp_targetILNS1_3genE9ELNS1_11target_archE1100ELNS1_3gpuE3ELNS1_3repE0EEENS1_30default_config_static_selectorELNS0_4arch9wavefront6targetE0EEEvT1_.has_recursion, 0
	.set _ZN7rocprim17ROCPRIM_400000_NS6detail17trampoline_kernelINS0_14default_configENS1_27scan_by_key_config_selectorIijEEZZNS1_16scan_by_key_implILNS1_25lookback_scan_determinismE0ELb1ES3_N6thrust23THRUST_200600_302600_NS6detail15normal_iteratorINS9_10device_ptrIiEEEENSB_INSC_IjEEEESG_jNS9_4plusIvEENS9_8equal_toIvEEjEE10hipError_tPvRmT2_T3_T4_T5_mT6_T7_P12ihipStream_tbENKUlT_T0_E_clISt17integral_constantIbLb0EES10_IbLb1EEEEDaSW_SX_EUlSW_E_NS1_11comp_targetILNS1_3genE9ELNS1_11target_archE1100ELNS1_3gpuE3ELNS1_3repE0EEENS1_30default_config_static_selectorELNS0_4arch9wavefront6targetE0EEEvT1_.has_indirect_call, 0
	.section	.AMDGPU.csdata,"",@progbits
; Kernel info:
; codeLenInByte = 0
; TotalNumSgprs: 0
; NumVgprs: 0
; ScratchSize: 0
; MemoryBound: 0
; FloatMode: 240
; IeeeMode: 1
; LDSByteSize: 0 bytes/workgroup (compile time only)
; SGPRBlocks: 0
; VGPRBlocks: 0
; NumSGPRsForWavesPerEU: 1
; NumVGPRsForWavesPerEU: 1
; NamedBarCnt: 0
; Occupancy: 16
; WaveLimiterHint : 0
; COMPUTE_PGM_RSRC2:SCRATCH_EN: 0
; COMPUTE_PGM_RSRC2:USER_SGPR: 2
; COMPUTE_PGM_RSRC2:TRAP_HANDLER: 0
; COMPUTE_PGM_RSRC2:TGID_X_EN: 1
; COMPUTE_PGM_RSRC2:TGID_Y_EN: 0
; COMPUTE_PGM_RSRC2:TGID_Z_EN: 0
; COMPUTE_PGM_RSRC2:TIDIG_COMP_CNT: 0
	.section	.text._ZN7rocprim17ROCPRIM_400000_NS6detail17trampoline_kernelINS0_14default_configENS1_27scan_by_key_config_selectorIijEEZZNS1_16scan_by_key_implILNS1_25lookback_scan_determinismE0ELb1ES3_N6thrust23THRUST_200600_302600_NS6detail15normal_iteratorINS9_10device_ptrIiEEEENSB_INSC_IjEEEESG_jNS9_4plusIvEENS9_8equal_toIvEEjEE10hipError_tPvRmT2_T3_T4_T5_mT6_T7_P12ihipStream_tbENKUlT_T0_E_clISt17integral_constantIbLb0EES10_IbLb1EEEEDaSW_SX_EUlSW_E_NS1_11comp_targetILNS1_3genE8ELNS1_11target_archE1030ELNS1_3gpuE2ELNS1_3repE0EEENS1_30default_config_static_selectorELNS0_4arch9wavefront6targetE0EEEvT1_,"axG",@progbits,_ZN7rocprim17ROCPRIM_400000_NS6detail17trampoline_kernelINS0_14default_configENS1_27scan_by_key_config_selectorIijEEZZNS1_16scan_by_key_implILNS1_25lookback_scan_determinismE0ELb1ES3_N6thrust23THRUST_200600_302600_NS6detail15normal_iteratorINS9_10device_ptrIiEEEENSB_INSC_IjEEEESG_jNS9_4plusIvEENS9_8equal_toIvEEjEE10hipError_tPvRmT2_T3_T4_T5_mT6_T7_P12ihipStream_tbENKUlT_T0_E_clISt17integral_constantIbLb0EES10_IbLb1EEEEDaSW_SX_EUlSW_E_NS1_11comp_targetILNS1_3genE8ELNS1_11target_archE1030ELNS1_3gpuE2ELNS1_3repE0EEENS1_30default_config_static_selectorELNS0_4arch9wavefront6targetE0EEEvT1_,comdat
	.protected	_ZN7rocprim17ROCPRIM_400000_NS6detail17trampoline_kernelINS0_14default_configENS1_27scan_by_key_config_selectorIijEEZZNS1_16scan_by_key_implILNS1_25lookback_scan_determinismE0ELb1ES3_N6thrust23THRUST_200600_302600_NS6detail15normal_iteratorINS9_10device_ptrIiEEEENSB_INSC_IjEEEESG_jNS9_4plusIvEENS9_8equal_toIvEEjEE10hipError_tPvRmT2_T3_T4_T5_mT6_T7_P12ihipStream_tbENKUlT_T0_E_clISt17integral_constantIbLb0EES10_IbLb1EEEEDaSW_SX_EUlSW_E_NS1_11comp_targetILNS1_3genE8ELNS1_11target_archE1030ELNS1_3gpuE2ELNS1_3repE0EEENS1_30default_config_static_selectorELNS0_4arch9wavefront6targetE0EEEvT1_ ; -- Begin function _ZN7rocprim17ROCPRIM_400000_NS6detail17trampoline_kernelINS0_14default_configENS1_27scan_by_key_config_selectorIijEEZZNS1_16scan_by_key_implILNS1_25lookback_scan_determinismE0ELb1ES3_N6thrust23THRUST_200600_302600_NS6detail15normal_iteratorINS9_10device_ptrIiEEEENSB_INSC_IjEEEESG_jNS9_4plusIvEENS9_8equal_toIvEEjEE10hipError_tPvRmT2_T3_T4_T5_mT6_T7_P12ihipStream_tbENKUlT_T0_E_clISt17integral_constantIbLb0EES10_IbLb1EEEEDaSW_SX_EUlSW_E_NS1_11comp_targetILNS1_3genE8ELNS1_11target_archE1030ELNS1_3gpuE2ELNS1_3repE0EEENS1_30default_config_static_selectorELNS0_4arch9wavefront6targetE0EEEvT1_
	.globl	_ZN7rocprim17ROCPRIM_400000_NS6detail17trampoline_kernelINS0_14default_configENS1_27scan_by_key_config_selectorIijEEZZNS1_16scan_by_key_implILNS1_25lookback_scan_determinismE0ELb1ES3_N6thrust23THRUST_200600_302600_NS6detail15normal_iteratorINS9_10device_ptrIiEEEENSB_INSC_IjEEEESG_jNS9_4plusIvEENS9_8equal_toIvEEjEE10hipError_tPvRmT2_T3_T4_T5_mT6_T7_P12ihipStream_tbENKUlT_T0_E_clISt17integral_constantIbLb0EES10_IbLb1EEEEDaSW_SX_EUlSW_E_NS1_11comp_targetILNS1_3genE8ELNS1_11target_archE1030ELNS1_3gpuE2ELNS1_3repE0EEENS1_30default_config_static_selectorELNS0_4arch9wavefront6targetE0EEEvT1_
	.p2align	8
	.type	_ZN7rocprim17ROCPRIM_400000_NS6detail17trampoline_kernelINS0_14default_configENS1_27scan_by_key_config_selectorIijEEZZNS1_16scan_by_key_implILNS1_25lookback_scan_determinismE0ELb1ES3_N6thrust23THRUST_200600_302600_NS6detail15normal_iteratorINS9_10device_ptrIiEEEENSB_INSC_IjEEEESG_jNS9_4plusIvEENS9_8equal_toIvEEjEE10hipError_tPvRmT2_T3_T4_T5_mT6_T7_P12ihipStream_tbENKUlT_T0_E_clISt17integral_constantIbLb0EES10_IbLb1EEEEDaSW_SX_EUlSW_E_NS1_11comp_targetILNS1_3genE8ELNS1_11target_archE1030ELNS1_3gpuE2ELNS1_3repE0EEENS1_30default_config_static_selectorELNS0_4arch9wavefront6targetE0EEEvT1_,@function
_ZN7rocprim17ROCPRIM_400000_NS6detail17trampoline_kernelINS0_14default_configENS1_27scan_by_key_config_selectorIijEEZZNS1_16scan_by_key_implILNS1_25lookback_scan_determinismE0ELb1ES3_N6thrust23THRUST_200600_302600_NS6detail15normal_iteratorINS9_10device_ptrIiEEEENSB_INSC_IjEEEESG_jNS9_4plusIvEENS9_8equal_toIvEEjEE10hipError_tPvRmT2_T3_T4_T5_mT6_T7_P12ihipStream_tbENKUlT_T0_E_clISt17integral_constantIbLb0EES10_IbLb1EEEEDaSW_SX_EUlSW_E_NS1_11comp_targetILNS1_3genE8ELNS1_11target_archE1030ELNS1_3gpuE2ELNS1_3repE0EEENS1_30default_config_static_selectorELNS0_4arch9wavefront6targetE0EEEvT1_: ; @_ZN7rocprim17ROCPRIM_400000_NS6detail17trampoline_kernelINS0_14default_configENS1_27scan_by_key_config_selectorIijEEZZNS1_16scan_by_key_implILNS1_25lookback_scan_determinismE0ELb1ES3_N6thrust23THRUST_200600_302600_NS6detail15normal_iteratorINS9_10device_ptrIiEEEENSB_INSC_IjEEEESG_jNS9_4plusIvEENS9_8equal_toIvEEjEE10hipError_tPvRmT2_T3_T4_T5_mT6_T7_P12ihipStream_tbENKUlT_T0_E_clISt17integral_constantIbLb0EES10_IbLb1EEEEDaSW_SX_EUlSW_E_NS1_11comp_targetILNS1_3genE8ELNS1_11target_archE1030ELNS1_3gpuE2ELNS1_3repE0EEENS1_30default_config_static_selectorELNS0_4arch9wavefront6targetE0EEEvT1_
; %bb.0:
	.section	.rodata,"a",@progbits
	.p2align	6, 0x0
	.amdhsa_kernel _ZN7rocprim17ROCPRIM_400000_NS6detail17trampoline_kernelINS0_14default_configENS1_27scan_by_key_config_selectorIijEEZZNS1_16scan_by_key_implILNS1_25lookback_scan_determinismE0ELb1ES3_N6thrust23THRUST_200600_302600_NS6detail15normal_iteratorINS9_10device_ptrIiEEEENSB_INSC_IjEEEESG_jNS9_4plusIvEENS9_8equal_toIvEEjEE10hipError_tPvRmT2_T3_T4_T5_mT6_T7_P12ihipStream_tbENKUlT_T0_E_clISt17integral_constantIbLb0EES10_IbLb1EEEEDaSW_SX_EUlSW_E_NS1_11comp_targetILNS1_3genE8ELNS1_11target_archE1030ELNS1_3gpuE2ELNS1_3repE0EEENS1_30default_config_static_selectorELNS0_4arch9wavefront6targetE0EEEvT1_
		.amdhsa_group_segment_fixed_size 0
		.amdhsa_private_segment_fixed_size 0
		.amdhsa_kernarg_size 112
		.amdhsa_user_sgpr_count 2
		.amdhsa_user_sgpr_dispatch_ptr 0
		.amdhsa_user_sgpr_queue_ptr 0
		.amdhsa_user_sgpr_kernarg_segment_ptr 1
		.amdhsa_user_sgpr_dispatch_id 0
		.amdhsa_user_sgpr_kernarg_preload_length 0
		.amdhsa_user_sgpr_kernarg_preload_offset 0
		.amdhsa_user_sgpr_private_segment_size 0
		.amdhsa_wavefront_size32 1
		.amdhsa_uses_dynamic_stack 0
		.amdhsa_enable_private_segment 0
		.amdhsa_system_sgpr_workgroup_id_x 1
		.amdhsa_system_sgpr_workgroup_id_y 0
		.amdhsa_system_sgpr_workgroup_id_z 0
		.amdhsa_system_sgpr_workgroup_info 0
		.amdhsa_system_vgpr_workitem_id 0
		.amdhsa_next_free_vgpr 1
		.amdhsa_next_free_sgpr 1
		.amdhsa_named_barrier_count 0
		.amdhsa_reserve_vcc 0
		.amdhsa_float_round_mode_32 0
		.amdhsa_float_round_mode_16_64 0
		.amdhsa_float_denorm_mode_32 3
		.amdhsa_float_denorm_mode_16_64 3
		.amdhsa_fp16_overflow 0
		.amdhsa_memory_ordered 1
		.amdhsa_forward_progress 1
		.amdhsa_inst_pref_size 0
		.amdhsa_round_robin_scheduling 0
		.amdhsa_exception_fp_ieee_invalid_op 0
		.amdhsa_exception_fp_denorm_src 0
		.amdhsa_exception_fp_ieee_div_zero 0
		.amdhsa_exception_fp_ieee_overflow 0
		.amdhsa_exception_fp_ieee_underflow 0
		.amdhsa_exception_fp_ieee_inexact 0
		.amdhsa_exception_int_div_zero 0
	.end_amdhsa_kernel
	.section	.text._ZN7rocprim17ROCPRIM_400000_NS6detail17trampoline_kernelINS0_14default_configENS1_27scan_by_key_config_selectorIijEEZZNS1_16scan_by_key_implILNS1_25lookback_scan_determinismE0ELb1ES3_N6thrust23THRUST_200600_302600_NS6detail15normal_iteratorINS9_10device_ptrIiEEEENSB_INSC_IjEEEESG_jNS9_4plusIvEENS9_8equal_toIvEEjEE10hipError_tPvRmT2_T3_T4_T5_mT6_T7_P12ihipStream_tbENKUlT_T0_E_clISt17integral_constantIbLb0EES10_IbLb1EEEEDaSW_SX_EUlSW_E_NS1_11comp_targetILNS1_3genE8ELNS1_11target_archE1030ELNS1_3gpuE2ELNS1_3repE0EEENS1_30default_config_static_selectorELNS0_4arch9wavefront6targetE0EEEvT1_,"axG",@progbits,_ZN7rocprim17ROCPRIM_400000_NS6detail17trampoline_kernelINS0_14default_configENS1_27scan_by_key_config_selectorIijEEZZNS1_16scan_by_key_implILNS1_25lookback_scan_determinismE0ELb1ES3_N6thrust23THRUST_200600_302600_NS6detail15normal_iteratorINS9_10device_ptrIiEEEENSB_INSC_IjEEEESG_jNS9_4plusIvEENS9_8equal_toIvEEjEE10hipError_tPvRmT2_T3_T4_T5_mT6_T7_P12ihipStream_tbENKUlT_T0_E_clISt17integral_constantIbLb0EES10_IbLb1EEEEDaSW_SX_EUlSW_E_NS1_11comp_targetILNS1_3genE8ELNS1_11target_archE1030ELNS1_3gpuE2ELNS1_3repE0EEENS1_30default_config_static_selectorELNS0_4arch9wavefront6targetE0EEEvT1_,comdat
.Lfunc_end1534:
	.size	_ZN7rocprim17ROCPRIM_400000_NS6detail17trampoline_kernelINS0_14default_configENS1_27scan_by_key_config_selectorIijEEZZNS1_16scan_by_key_implILNS1_25lookback_scan_determinismE0ELb1ES3_N6thrust23THRUST_200600_302600_NS6detail15normal_iteratorINS9_10device_ptrIiEEEENSB_INSC_IjEEEESG_jNS9_4plusIvEENS9_8equal_toIvEEjEE10hipError_tPvRmT2_T3_T4_T5_mT6_T7_P12ihipStream_tbENKUlT_T0_E_clISt17integral_constantIbLb0EES10_IbLb1EEEEDaSW_SX_EUlSW_E_NS1_11comp_targetILNS1_3genE8ELNS1_11target_archE1030ELNS1_3gpuE2ELNS1_3repE0EEENS1_30default_config_static_selectorELNS0_4arch9wavefront6targetE0EEEvT1_, .Lfunc_end1534-_ZN7rocprim17ROCPRIM_400000_NS6detail17trampoline_kernelINS0_14default_configENS1_27scan_by_key_config_selectorIijEEZZNS1_16scan_by_key_implILNS1_25lookback_scan_determinismE0ELb1ES3_N6thrust23THRUST_200600_302600_NS6detail15normal_iteratorINS9_10device_ptrIiEEEENSB_INSC_IjEEEESG_jNS9_4plusIvEENS9_8equal_toIvEEjEE10hipError_tPvRmT2_T3_T4_T5_mT6_T7_P12ihipStream_tbENKUlT_T0_E_clISt17integral_constantIbLb0EES10_IbLb1EEEEDaSW_SX_EUlSW_E_NS1_11comp_targetILNS1_3genE8ELNS1_11target_archE1030ELNS1_3gpuE2ELNS1_3repE0EEENS1_30default_config_static_selectorELNS0_4arch9wavefront6targetE0EEEvT1_
                                        ; -- End function
	.set _ZN7rocprim17ROCPRIM_400000_NS6detail17trampoline_kernelINS0_14default_configENS1_27scan_by_key_config_selectorIijEEZZNS1_16scan_by_key_implILNS1_25lookback_scan_determinismE0ELb1ES3_N6thrust23THRUST_200600_302600_NS6detail15normal_iteratorINS9_10device_ptrIiEEEENSB_INSC_IjEEEESG_jNS9_4plusIvEENS9_8equal_toIvEEjEE10hipError_tPvRmT2_T3_T4_T5_mT6_T7_P12ihipStream_tbENKUlT_T0_E_clISt17integral_constantIbLb0EES10_IbLb1EEEEDaSW_SX_EUlSW_E_NS1_11comp_targetILNS1_3genE8ELNS1_11target_archE1030ELNS1_3gpuE2ELNS1_3repE0EEENS1_30default_config_static_selectorELNS0_4arch9wavefront6targetE0EEEvT1_.num_vgpr, 0
	.set _ZN7rocprim17ROCPRIM_400000_NS6detail17trampoline_kernelINS0_14default_configENS1_27scan_by_key_config_selectorIijEEZZNS1_16scan_by_key_implILNS1_25lookback_scan_determinismE0ELb1ES3_N6thrust23THRUST_200600_302600_NS6detail15normal_iteratorINS9_10device_ptrIiEEEENSB_INSC_IjEEEESG_jNS9_4plusIvEENS9_8equal_toIvEEjEE10hipError_tPvRmT2_T3_T4_T5_mT6_T7_P12ihipStream_tbENKUlT_T0_E_clISt17integral_constantIbLb0EES10_IbLb1EEEEDaSW_SX_EUlSW_E_NS1_11comp_targetILNS1_3genE8ELNS1_11target_archE1030ELNS1_3gpuE2ELNS1_3repE0EEENS1_30default_config_static_selectorELNS0_4arch9wavefront6targetE0EEEvT1_.num_agpr, 0
	.set _ZN7rocprim17ROCPRIM_400000_NS6detail17trampoline_kernelINS0_14default_configENS1_27scan_by_key_config_selectorIijEEZZNS1_16scan_by_key_implILNS1_25lookback_scan_determinismE0ELb1ES3_N6thrust23THRUST_200600_302600_NS6detail15normal_iteratorINS9_10device_ptrIiEEEENSB_INSC_IjEEEESG_jNS9_4plusIvEENS9_8equal_toIvEEjEE10hipError_tPvRmT2_T3_T4_T5_mT6_T7_P12ihipStream_tbENKUlT_T0_E_clISt17integral_constantIbLb0EES10_IbLb1EEEEDaSW_SX_EUlSW_E_NS1_11comp_targetILNS1_3genE8ELNS1_11target_archE1030ELNS1_3gpuE2ELNS1_3repE0EEENS1_30default_config_static_selectorELNS0_4arch9wavefront6targetE0EEEvT1_.numbered_sgpr, 0
	.set _ZN7rocprim17ROCPRIM_400000_NS6detail17trampoline_kernelINS0_14default_configENS1_27scan_by_key_config_selectorIijEEZZNS1_16scan_by_key_implILNS1_25lookback_scan_determinismE0ELb1ES3_N6thrust23THRUST_200600_302600_NS6detail15normal_iteratorINS9_10device_ptrIiEEEENSB_INSC_IjEEEESG_jNS9_4plusIvEENS9_8equal_toIvEEjEE10hipError_tPvRmT2_T3_T4_T5_mT6_T7_P12ihipStream_tbENKUlT_T0_E_clISt17integral_constantIbLb0EES10_IbLb1EEEEDaSW_SX_EUlSW_E_NS1_11comp_targetILNS1_3genE8ELNS1_11target_archE1030ELNS1_3gpuE2ELNS1_3repE0EEENS1_30default_config_static_selectorELNS0_4arch9wavefront6targetE0EEEvT1_.num_named_barrier, 0
	.set _ZN7rocprim17ROCPRIM_400000_NS6detail17trampoline_kernelINS0_14default_configENS1_27scan_by_key_config_selectorIijEEZZNS1_16scan_by_key_implILNS1_25lookback_scan_determinismE0ELb1ES3_N6thrust23THRUST_200600_302600_NS6detail15normal_iteratorINS9_10device_ptrIiEEEENSB_INSC_IjEEEESG_jNS9_4plusIvEENS9_8equal_toIvEEjEE10hipError_tPvRmT2_T3_T4_T5_mT6_T7_P12ihipStream_tbENKUlT_T0_E_clISt17integral_constantIbLb0EES10_IbLb1EEEEDaSW_SX_EUlSW_E_NS1_11comp_targetILNS1_3genE8ELNS1_11target_archE1030ELNS1_3gpuE2ELNS1_3repE0EEENS1_30default_config_static_selectorELNS0_4arch9wavefront6targetE0EEEvT1_.private_seg_size, 0
	.set _ZN7rocprim17ROCPRIM_400000_NS6detail17trampoline_kernelINS0_14default_configENS1_27scan_by_key_config_selectorIijEEZZNS1_16scan_by_key_implILNS1_25lookback_scan_determinismE0ELb1ES3_N6thrust23THRUST_200600_302600_NS6detail15normal_iteratorINS9_10device_ptrIiEEEENSB_INSC_IjEEEESG_jNS9_4plusIvEENS9_8equal_toIvEEjEE10hipError_tPvRmT2_T3_T4_T5_mT6_T7_P12ihipStream_tbENKUlT_T0_E_clISt17integral_constantIbLb0EES10_IbLb1EEEEDaSW_SX_EUlSW_E_NS1_11comp_targetILNS1_3genE8ELNS1_11target_archE1030ELNS1_3gpuE2ELNS1_3repE0EEENS1_30default_config_static_selectorELNS0_4arch9wavefront6targetE0EEEvT1_.uses_vcc, 0
	.set _ZN7rocprim17ROCPRIM_400000_NS6detail17trampoline_kernelINS0_14default_configENS1_27scan_by_key_config_selectorIijEEZZNS1_16scan_by_key_implILNS1_25lookback_scan_determinismE0ELb1ES3_N6thrust23THRUST_200600_302600_NS6detail15normal_iteratorINS9_10device_ptrIiEEEENSB_INSC_IjEEEESG_jNS9_4plusIvEENS9_8equal_toIvEEjEE10hipError_tPvRmT2_T3_T4_T5_mT6_T7_P12ihipStream_tbENKUlT_T0_E_clISt17integral_constantIbLb0EES10_IbLb1EEEEDaSW_SX_EUlSW_E_NS1_11comp_targetILNS1_3genE8ELNS1_11target_archE1030ELNS1_3gpuE2ELNS1_3repE0EEENS1_30default_config_static_selectorELNS0_4arch9wavefront6targetE0EEEvT1_.uses_flat_scratch, 0
	.set _ZN7rocprim17ROCPRIM_400000_NS6detail17trampoline_kernelINS0_14default_configENS1_27scan_by_key_config_selectorIijEEZZNS1_16scan_by_key_implILNS1_25lookback_scan_determinismE0ELb1ES3_N6thrust23THRUST_200600_302600_NS6detail15normal_iteratorINS9_10device_ptrIiEEEENSB_INSC_IjEEEESG_jNS9_4plusIvEENS9_8equal_toIvEEjEE10hipError_tPvRmT2_T3_T4_T5_mT6_T7_P12ihipStream_tbENKUlT_T0_E_clISt17integral_constantIbLb0EES10_IbLb1EEEEDaSW_SX_EUlSW_E_NS1_11comp_targetILNS1_3genE8ELNS1_11target_archE1030ELNS1_3gpuE2ELNS1_3repE0EEENS1_30default_config_static_selectorELNS0_4arch9wavefront6targetE0EEEvT1_.has_dyn_sized_stack, 0
	.set _ZN7rocprim17ROCPRIM_400000_NS6detail17trampoline_kernelINS0_14default_configENS1_27scan_by_key_config_selectorIijEEZZNS1_16scan_by_key_implILNS1_25lookback_scan_determinismE0ELb1ES3_N6thrust23THRUST_200600_302600_NS6detail15normal_iteratorINS9_10device_ptrIiEEEENSB_INSC_IjEEEESG_jNS9_4plusIvEENS9_8equal_toIvEEjEE10hipError_tPvRmT2_T3_T4_T5_mT6_T7_P12ihipStream_tbENKUlT_T0_E_clISt17integral_constantIbLb0EES10_IbLb1EEEEDaSW_SX_EUlSW_E_NS1_11comp_targetILNS1_3genE8ELNS1_11target_archE1030ELNS1_3gpuE2ELNS1_3repE0EEENS1_30default_config_static_selectorELNS0_4arch9wavefront6targetE0EEEvT1_.has_recursion, 0
	.set _ZN7rocprim17ROCPRIM_400000_NS6detail17trampoline_kernelINS0_14default_configENS1_27scan_by_key_config_selectorIijEEZZNS1_16scan_by_key_implILNS1_25lookback_scan_determinismE0ELb1ES3_N6thrust23THRUST_200600_302600_NS6detail15normal_iteratorINS9_10device_ptrIiEEEENSB_INSC_IjEEEESG_jNS9_4plusIvEENS9_8equal_toIvEEjEE10hipError_tPvRmT2_T3_T4_T5_mT6_T7_P12ihipStream_tbENKUlT_T0_E_clISt17integral_constantIbLb0EES10_IbLb1EEEEDaSW_SX_EUlSW_E_NS1_11comp_targetILNS1_3genE8ELNS1_11target_archE1030ELNS1_3gpuE2ELNS1_3repE0EEENS1_30default_config_static_selectorELNS0_4arch9wavefront6targetE0EEEvT1_.has_indirect_call, 0
	.section	.AMDGPU.csdata,"",@progbits
; Kernel info:
; codeLenInByte = 0
; TotalNumSgprs: 0
; NumVgprs: 0
; ScratchSize: 0
; MemoryBound: 0
; FloatMode: 240
; IeeeMode: 1
; LDSByteSize: 0 bytes/workgroup (compile time only)
; SGPRBlocks: 0
; VGPRBlocks: 0
; NumSGPRsForWavesPerEU: 1
; NumVGPRsForWavesPerEU: 1
; NamedBarCnt: 0
; Occupancy: 16
; WaveLimiterHint : 0
; COMPUTE_PGM_RSRC2:SCRATCH_EN: 0
; COMPUTE_PGM_RSRC2:USER_SGPR: 2
; COMPUTE_PGM_RSRC2:TRAP_HANDLER: 0
; COMPUTE_PGM_RSRC2:TGID_X_EN: 1
; COMPUTE_PGM_RSRC2:TGID_Y_EN: 0
; COMPUTE_PGM_RSRC2:TGID_Z_EN: 0
; COMPUTE_PGM_RSRC2:TIDIG_COMP_CNT: 0
	.section	.text._ZN7rocprim17ROCPRIM_400000_NS6detail17trampoline_kernelINS0_14default_configENS1_27scan_by_key_config_selectorIitEEZZNS1_16scan_by_key_implILNS1_25lookback_scan_determinismE0ELb1ES3_N6thrust23THRUST_200600_302600_NS6detail15normal_iteratorINS9_10device_ptrIiEEEENSB_INSC_ItEEEESG_tNS9_4plusIvEENS9_8equal_toIvEEtEE10hipError_tPvRmT2_T3_T4_T5_mT6_T7_P12ihipStream_tbENKUlT_T0_E_clISt17integral_constantIbLb0EES11_EEDaSW_SX_EUlSW_E_NS1_11comp_targetILNS1_3genE0ELNS1_11target_archE4294967295ELNS1_3gpuE0ELNS1_3repE0EEENS1_30default_config_static_selectorELNS0_4arch9wavefront6targetE0EEEvT1_,"axG",@progbits,_ZN7rocprim17ROCPRIM_400000_NS6detail17trampoline_kernelINS0_14default_configENS1_27scan_by_key_config_selectorIitEEZZNS1_16scan_by_key_implILNS1_25lookback_scan_determinismE0ELb1ES3_N6thrust23THRUST_200600_302600_NS6detail15normal_iteratorINS9_10device_ptrIiEEEENSB_INSC_ItEEEESG_tNS9_4plusIvEENS9_8equal_toIvEEtEE10hipError_tPvRmT2_T3_T4_T5_mT6_T7_P12ihipStream_tbENKUlT_T0_E_clISt17integral_constantIbLb0EES11_EEDaSW_SX_EUlSW_E_NS1_11comp_targetILNS1_3genE0ELNS1_11target_archE4294967295ELNS1_3gpuE0ELNS1_3repE0EEENS1_30default_config_static_selectorELNS0_4arch9wavefront6targetE0EEEvT1_,comdat
	.protected	_ZN7rocprim17ROCPRIM_400000_NS6detail17trampoline_kernelINS0_14default_configENS1_27scan_by_key_config_selectorIitEEZZNS1_16scan_by_key_implILNS1_25lookback_scan_determinismE0ELb1ES3_N6thrust23THRUST_200600_302600_NS6detail15normal_iteratorINS9_10device_ptrIiEEEENSB_INSC_ItEEEESG_tNS9_4plusIvEENS9_8equal_toIvEEtEE10hipError_tPvRmT2_T3_T4_T5_mT6_T7_P12ihipStream_tbENKUlT_T0_E_clISt17integral_constantIbLb0EES11_EEDaSW_SX_EUlSW_E_NS1_11comp_targetILNS1_3genE0ELNS1_11target_archE4294967295ELNS1_3gpuE0ELNS1_3repE0EEENS1_30default_config_static_selectorELNS0_4arch9wavefront6targetE0EEEvT1_ ; -- Begin function _ZN7rocprim17ROCPRIM_400000_NS6detail17trampoline_kernelINS0_14default_configENS1_27scan_by_key_config_selectorIitEEZZNS1_16scan_by_key_implILNS1_25lookback_scan_determinismE0ELb1ES3_N6thrust23THRUST_200600_302600_NS6detail15normal_iteratorINS9_10device_ptrIiEEEENSB_INSC_ItEEEESG_tNS9_4plusIvEENS9_8equal_toIvEEtEE10hipError_tPvRmT2_T3_T4_T5_mT6_T7_P12ihipStream_tbENKUlT_T0_E_clISt17integral_constantIbLb0EES11_EEDaSW_SX_EUlSW_E_NS1_11comp_targetILNS1_3genE0ELNS1_11target_archE4294967295ELNS1_3gpuE0ELNS1_3repE0EEENS1_30default_config_static_selectorELNS0_4arch9wavefront6targetE0EEEvT1_
	.globl	_ZN7rocprim17ROCPRIM_400000_NS6detail17trampoline_kernelINS0_14default_configENS1_27scan_by_key_config_selectorIitEEZZNS1_16scan_by_key_implILNS1_25lookback_scan_determinismE0ELb1ES3_N6thrust23THRUST_200600_302600_NS6detail15normal_iteratorINS9_10device_ptrIiEEEENSB_INSC_ItEEEESG_tNS9_4plusIvEENS9_8equal_toIvEEtEE10hipError_tPvRmT2_T3_T4_T5_mT6_T7_P12ihipStream_tbENKUlT_T0_E_clISt17integral_constantIbLb0EES11_EEDaSW_SX_EUlSW_E_NS1_11comp_targetILNS1_3genE0ELNS1_11target_archE4294967295ELNS1_3gpuE0ELNS1_3repE0EEENS1_30default_config_static_selectorELNS0_4arch9wavefront6targetE0EEEvT1_
	.p2align	8
	.type	_ZN7rocprim17ROCPRIM_400000_NS6detail17trampoline_kernelINS0_14default_configENS1_27scan_by_key_config_selectorIitEEZZNS1_16scan_by_key_implILNS1_25lookback_scan_determinismE0ELb1ES3_N6thrust23THRUST_200600_302600_NS6detail15normal_iteratorINS9_10device_ptrIiEEEENSB_INSC_ItEEEESG_tNS9_4plusIvEENS9_8equal_toIvEEtEE10hipError_tPvRmT2_T3_T4_T5_mT6_T7_P12ihipStream_tbENKUlT_T0_E_clISt17integral_constantIbLb0EES11_EEDaSW_SX_EUlSW_E_NS1_11comp_targetILNS1_3genE0ELNS1_11target_archE4294967295ELNS1_3gpuE0ELNS1_3repE0EEENS1_30default_config_static_selectorELNS0_4arch9wavefront6targetE0EEEvT1_,@function
_ZN7rocprim17ROCPRIM_400000_NS6detail17trampoline_kernelINS0_14default_configENS1_27scan_by_key_config_selectorIitEEZZNS1_16scan_by_key_implILNS1_25lookback_scan_determinismE0ELb1ES3_N6thrust23THRUST_200600_302600_NS6detail15normal_iteratorINS9_10device_ptrIiEEEENSB_INSC_ItEEEESG_tNS9_4plusIvEENS9_8equal_toIvEEtEE10hipError_tPvRmT2_T3_T4_T5_mT6_T7_P12ihipStream_tbENKUlT_T0_E_clISt17integral_constantIbLb0EES11_EEDaSW_SX_EUlSW_E_NS1_11comp_targetILNS1_3genE0ELNS1_11target_archE4294967295ELNS1_3gpuE0ELNS1_3repE0EEENS1_30default_config_static_selectorELNS0_4arch9wavefront6targetE0EEEvT1_: ; @_ZN7rocprim17ROCPRIM_400000_NS6detail17trampoline_kernelINS0_14default_configENS1_27scan_by_key_config_selectorIitEEZZNS1_16scan_by_key_implILNS1_25lookback_scan_determinismE0ELb1ES3_N6thrust23THRUST_200600_302600_NS6detail15normal_iteratorINS9_10device_ptrIiEEEENSB_INSC_ItEEEESG_tNS9_4plusIvEENS9_8equal_toIvEEtEE10hipError_tPvRmT2_T3_T4_T5_mT6_T7_P12ihipStream_tbENKUlT_T0_E_clISt17integral_constantIbLb0EES11_EEDaSW_SX_EUlSW_E_NS1_11comp_targetILNS1_3genE0ELNS1_11target_archE4294967295ELNS1_3gpuE0ELNS1_3repE0EEENS1_30default_config_static_selectorELNS0_4arch9wavefront6targetE0EEEvT1_
; %bb.0:
	s_clause 0x2
	s_load_b96 s[24:26], s[0:1], 0x38
	s_load_b256 s[8:15], s[0:1], 0x0
	s_load_b128 s[20:23], s[0:1], 0x48
	s_bfe_u32 s4, ttmp6, 0x4000c
	s_barrier_signal -1
	s_add_co_i32 s4, s4, 1
	s_clause 0x1
	s_load_b32 s33, s[0:1], 0x20
	s_load_b128 s[16:19], s[0:1], 0x28
	s_and_b32 s2, ttmp6, 15
	s_wait_xcnt 0x0
	s_mul_i32 s0, ttmp9, s4
	s_getreg_b32 s5, hwreg(HW_REG_IB_STS2, 6, 4)
	s_add_co_i32 s6, s2, s0
	s_mov_b32 s3, 0
	s_barrier_wait -1
	s_mov_b32 s29, s3
	s_wait_kmcnt 0x0
	s_mov_b32 s2, s26
	s_lshl_b64 s[0:1], s[10:11], 2
	s_lshl_b64 s[26:27], s[10:11], 1
	s_cmp_eq_u32 s5, 0
	s_mul_u64 s[4:5], s[24:25], s[2:3]
	s_cselect_b32 s28, ttmp9, s6
	s_add_nc_u64 s[0:1], s[8:9], s[0:1]
	s_add_nc_u64 s[4:5], s[4:5], s[28:29]
	s_add_nc_u64 s[8:9], s[20:21], -1
	s_mul_i32 s2, s28, 0xe00
	v_cmp_ge_u64_e64 s19, s[4:5], s[8:9]
	s_add_nc_u64 s[6:7], s[12:13], s[26:27]
	s_lshl_b64 s[4:5], s[2:3], 2
	s_lshl_b64 s[20:21], s[2:3], 1
	s_add_nc_u64 s[34:35], s[0:1], s[4:5]
	s_add_nc_u64 s[30:31], s[6:7], s[20:21]
	s_mul_i32 s29, s8, 0xfffff200
	s_and_b32 vcc_lo, exec_lo, s19
	s_cbranch_vccz .LBB1535_76
; %bb.1:
	v_mov_b32_e32 v1, 0
	s_add_co_i32 s36, s29, s18
	s_delay_alu instid0(SALU_CYCLE_1)
	v_cmp_gt_u32_e32 vcc_lo, s36, v0
	flat_load_b32 v1, v1, s[34:35]
	s_wait_loadcnt_dscnt 0x0
	v_mov_b32_e32 v2, v1
	s_and_saveexec_b32 s0, vcc_lo
	s_cbranch_execz .LBB1535_3
; %bb.2:
	flat_load_b32 v2, v0, s[34:35] scale_offset
.LBB1535_3:
	s_wait_xcnt 0x0
	s_or_b32 exec_lo, exec_lo, s0
	v_or_b32_e32 v3, 0x100, v0
	s_delay_alu instid0(VALU_DEP_1)
	v_cmp_gt_u32_e64 s0, s36, v3
	v_mov_b32_e32 v3, v1
	s_and_saveexec_b32 s1, s0
	s_cbranch_execz .LBB1535_5
; %bb.4:
	flat_load_b32 v3, v0, s[34:35] offset:1024 scale_offset
.LBB1535_5:
	s_wait_xcnt 0x0
	s_or_b32 exec_lo, exec_lo, s1
	v_or_b32_e32 v4, 0x200, v0
	s_delay_alu instid0(VALU_DEP_1)
	v_cmp_gt_u32_e64 s1, s36, v4
	v_mov_b32_e32 v4, v1
	s_and_saveexec_b32 s2, s1
	s_cbranch_execz .LBB1535_7
; %bb.6:
	flat_load_b32 v4, v0, s[34:35] offset:2048 scale_offset
.LBB1535_7:
	;; [unrolled: 11-line block ×12, first 2 shown]
	s_wait_xcnt 0x0
	s_or_b32 exec_lo, exec_lo, s12
	v_or_b32_e32 v15, 0xd00, v0
	s_delay_alu instid0(VALU_DEP_1) | instskip(SKIP_2) | instid1(SALU_CYCLE_1)
	v_cmp_gt_u32_e64 s12, s36, v15
	v_cmp_le_u32_e64 s13, s36, v15
	s_and_saveexec_b32 s37, s13
	s_xor_b32 s13, exec_lo, s37
	s_delay_alu instid0(SALU_CYCLE_1)
	s_and_not1_saveexec_b32 s13, s13
	s_cbranch_execz .LBB1535_29
; %bb.28:
	flat_load_b32 v1, v0, s[34:35] offset:13312 scale_offset
.LBB1535_29:
	s_wait_xcnt 0x0
	s_or_b32 exec_lo, exec_lo, s13
	v_lshlrev_b32_e32 v15, 2, v0
	s_mov_b32 s37, exec_lo
	s_wait_loadcnt_dscnt 0x0
	ds_store_2addr_stride64_b32 v15, v2, v3 offset1:4
	ds_store_2addr_stride64_b32 v15, v4, v5 offset0:8 offset1:12
	ds_store_2addr_stride64_b32 v15, v6, v7 offset0:16 offset1:20
	;; [unrolled: 1-line block ×6, first 2 shown]
	v_mov_b32_e32 v1, 0
	s_wait_dscnt 0x0
	s_barrier_signal -1
	s_barrier_wait -1
	flat_load_b32 v42, v1, s[34:35]
	s_wait_xcnt 0x0
	v_mad_u32_u24 v1, v0, 52, v15
	ds_load_2addr_b64 v[10:13], v1 offset1:1
	ds_load_2addr_b64 v[6:9], v1 offset0:2 offset1:3
	ds_load_2addr_b64 v[2:5], v1 offset0:4 offset1:5
	ds_load_b64 v[40:41], v1 offset:48
	v_mad_i32_i24 v1, 0xffffffcc, v0, v1
	s_wait_dscnt 0x3
	ds_store_b32 v1, v10 offset:15360
	s_wait_loadcnt_dscnt 0x0
	s_barrier_signal -1
	s_barrier_wait -1
	v_cmpx_ne_u32_e32 0xff, v0
; %bb.30:
	ds_load_b32 v42, v1 offset:15364
; %bb.31:
	s_or_b32 exec_lo, exec_lo, s37
	s_wait_dscnt 0x0
	s_barrier_signal -1
	s_barrier_wait -1
                                        ; implicit-def: $vgpr14
	s_and_saveexec_b32 s13, vcc_lo
	s_cbranch_execz .LBB1535_134
; %bb.32:
	flat_load_u16 v14, v0, s[30:31] scale_offset
	s_wait_xcnt 0x0
	s_or_b32 exec_lo, exec_lo, s13
                                        ; implicit-def: $vgpr15
	s_and_saveexec_b32 s13, s0
	s_cbranch_execnz .LBB1535_135
.LBB1535_33:
	s_or_b32 exec_lo, exec_lo, s13
                                        ; implicit-def: $vgpr16
	s_and_saveexec_b32 s0, s1
	s_cbranch_execz .LBB1535_136
.LBB1535_34:
	flat_load_u16 v16, v0, s[30:31] offset:1024 scale_offset
	s_wait_xcnt 0x0
	s_or_b32 exec_lo, exec_lo, s0
                                        ; implicit-def: $vgpr17
	s_and_saveexec_b32 s0, s2
	s_cbranch_execnz .LBB1535_137
.LBB1535_35:
	s_or_b32 exec_lo, exec_lo, s0
                                        ; implicit-def: $vgpr18
	s_and_saveexec_b32 s0, s3
	s_cbranch_execz .LBB1535_138
.LBB1535_36:
	flat_load_u16 v18, v0, s[30:31] offset:2048 scale_offset
	s_wait_xcnt 0x0
	s_or_b32 exec_lo, exec_lo, s0
                                        ; implicit-def: $vgpr19
	s_and_saveexec_b32 s0, s4
	s_cbranch_execnz .LBB1535_139
.LBB1535_37:
	s_or_b32 exec_lo, exec_lo, s0
                                        ; implicit-def: $vgpr20
	s_and_saveexec_b32 s0, s5
	s_cbranch_execz .LBB1535_140
.LBB1535_38:
	flat_load_u16 v20, v0, s[30:31] offset:3072 scale_offset
	s_wait_xcnt 0x0
	s_or_b32 exec_lo, exec_lo, s0
                                        ; implicit-def: $vgpr21
	s_and_saveexec_b32 s0, s6
	s_cbranch_execnz .LBB1535_141
.LBB1535_39:
	s_or_b32 exec_lo, exec_lo, s0
                                        ; implicit-def: $vgpr22
	s_and_saveexec_b32 s0, s7
	s_cbranch_execz .LBB1535_142
.LBB1535_40:
	flat_load_u16 v22, v0, s[30:31] offset:4096 scale_offset
	s_wait_xcnt 0x0
	s_or_b32 exec_lo, exec_lo, s0
                                        ; implicit-def: $vgpr23
	s_and_saveexec_b32 s0, s8
	s_cbranch_execnz .LBB1535_143
.LBB1535_41:
	s_or_b32 exec_lo, exec_lo, s0
                                        ; implicit-def: $vgpr24
	s_and_saveexec_b32 s0, s9
	s_cbranch_execz .LBB1535_144
.LBB1535_42:
	flat_load_u16 v24, v0, s[30:31] offset:5120 scale_offset
	s_wait_xcnt 0x0
	s_or_b32 exec_lo, exec_lo, s0
                                        ; implicit-def: $vgpr25
	s_and_saveexec_b32 s0, s10
	s_cbranch_execnz .LBB1535_145
.LBB1535_43:
	s_or_b32 exec_lo, exec_lo, s0
                                        ; implicit-def: $vgpr26
	s_and_saveexec_b32 s0, s11
	s_cbranch_execz .LBB1535_45
.LBB1535_44:
	flat_load_u16 v26, v0, s[30:31] offset:6144 scale_offset
.LBB1535_45:
	s_wait_xcnt 0x0
	s_or_b32 exec_lo, exec_lo, s0
	v_mul_u32_u24_e32 v44, 14, v0
                                        ; implicit-def: $vgpr27
	s_and_saveexec_b32 s0, s12
	s_cbranch_execz .LBB1535_47
; %bb.46:
	flat_load_u16 v27, v0, s[30:31] offset:6656 scale_offset
.LBB1535_47:
	s_wait_xcnt 0x0
	s_or_b32 exec_lo, exec_lo, s0
	v_lshlrev_b32_e32 v28, 1, v0
	v_mov_b64_e32 v[34:35], 0
	v_mov_b64_e32 v[38:39], 0
	;; [unrolled: 1-line block ×4, first 2 shown]
	v_sub_nc_u32_e32 v45, v1, v28
	v_mov_b64_e32 v[30:31], 0
	v_mov_b64_e32 v[28:29], 0
	v_mov_b32_e32 v1, 0
	s_mov_b32 s0, 0
	s_wait_loadcnt_dscnt 0x0
	ds_store_b16 v45, v14
	ds_store_b16 v45, v15 offset:512
	ds_store_b16 v45, v16 offset:1024
	;; [unrolled: 1-line block ×13, first 2 shown]
	v_mov_b64_e32 v[18:19], 0
	v_mov_b64_e32 v[20:21], 0
	v_mov_b64_e32 v[22:23], 0
	v_mov_b64_e32 v[24:25], 0
	v_mov_b64_e32 v[26:27], 0
	v_mov_b64_e32 v[14:15], 0
	s_mov_b32 s3, 0
	s_mov_b32 s1, exec_lo
	s_wait_dscnt 0x0
	s_barrier_signal -1
	s_barrier_wait -1
                                        ; implicit-def: $sgpr4
                                        ; implicit-def: $vgpr43
	v_cmpx_gt_u32_e64 s36, v44
	s_cbranch_execz .LBB1535_75
; %bb.48:
	v_mad_u32_u24 v1, v0, 26, v45
	v_cmp_eq_u32_e32 vcc_lo, v10, v11
	v_mov_b64_e32 v[34:35], 0
	v_mov_b64_e32 v[38:39], 0
	;; [unrolled: 1-line block ×3, first 2 shown]
	ds_load_u16 v1, v1
	v_or_b32_e32 v16, 1, v44
	v_mov_b64_e32 v[32:33], 0
	v_mov_b64_e32 v[30:31], 0
	;; [unrolled: 1-line block ×9, first 2 shown]
	s_mov_b32 s2, exec_lo
                                        ; implicit-def: $sgpr4
                                        ; implicit-def: $vgpr43
	s_wait_dscnt 0x0
	v_cndmask_b32_e32 v10, s33, v1, vcc_lo
	v_cndmask_b32_e64 v1, 0x10000, 0, vcc_lo
	s_delay_alu instid0(VALU_DEP_2)
	v_and_b32_e32 v10, 0xffff, v10
	v_cmpx_gt_u32_e64 s36, v16
	s_cbranch_execz .LBB1535_74
; %bb.49:
	v_mul_u32_u24_e32 v14, 26, v0
	v_cmp_eq_u32_e32 vcc_lo, v11, v12
	v_mov_b64_e32 v[34:35], 0
	v_mov_b64_e32 v[38:39], 0
	;; [unrolled: 1-line block ×3, first 2 shown]
	v_dual_add_nc_u32 v45, v45, v14 :: v_dual_add_nc_u32 v28, 2, v44
	v_cndmask_b32_e64 v29, 0x10000, 0, vcc_lo
	v_mov_b64_e32 v[32:33], 0
	v_mov_b64_e32 v[30:31], 0
	ds_load_b128 v[14:17], v45 offset:2
	v_mov_b64_e32 v[18:19], 0
	v_mov_b64_e32 v[20:21], 0
	;; [unrolled: 1-line block ×5, first 2 shown]
	s_mov_b32 s5, 0
                                        ; implicit-def: $sgpr4
                                        ; implicit-def: $vgpr43
	s_wait_dscnt 0x0
	v_cndmask_b32_e32 v11, s33, v14, vcc_lo
	v_cmp_gt_u32_e32 vcc_lo, s36, v28
	s_delay_alu instid0(VALU_DEP_2) | instskip(NEXT) | instid1(VALU_DEP_1)
	v_and_b32_e32 v11, 0xffff, v11
	v_dual_mov_b32 v29, 0 :: v_dual_bitop2_b32 v28, v29, v11 bitop3:0x54
	s_and_saveexec_b32 s3, vcc_lo
	s_cbranch_execz .LBB1535_73
; %bb.50:
	v_dual_lshrrev_b32 v11, 16, v14 :: v_dual_add_nc_u32 v14, 3, v44
	v_cmp_eq_u32_e32 vcc_lo, v12, v13
	v_mov_b64_e32 v[34:35], 0
	v_mov_b64_e32 v[38:39], 0
	;; [unrolled: 1-line block ×4, first 2 shown]
	v_cndmask_b32_e32 v11, s33, v11, vcc_lo
	v_cndmask_b32_e64 v12, 0x10000, 0, vcc_lo
	v_mov_b64_e32 v[30:31], 0
	v_mov_b64_e32 v[18:19], 0
	;; [unrolled: 1-line block ×3, first 2 shown]
	v_and_b32_e32 v11, 0xffff, v11
	v_mov_b64_e32 v[22:23], 0
	v_mov_b64_e32 v[24:25], 0
	;; [unrolled: 1-line block ×3, first 2 shown]
	s_mov_b32 s6, 0
	v_or_b32_e32 v29, v12, v11
	s_mov_b32 s5, exec_lo
                                        ; implicit-def: $sgpr4
                                        ; implicit-def: $vgpr43
	v_cmpx_gt_u32_e64 s36, v14
	s_cbranch_execz .LBB1535_72
; %bb.51:
	v_cmp_eq_u32_e32 vcc_lo, v13, v6
	v_mov_b64_e32 v[34:35], 0
	v_mov_b64_e32 v[38:39], 0
	;; [unrolled: 1-line block ×4, first 2 shown]
	v_dual_cndmask_b32 v11, s33, v15 :: v_dual_add_nc_u32 v12, 4, v44
	v_cndmask_b32_e64 v13, 0x10000, 0, vcc_lo
	v_mov_b64_e32 v[18:19], 0
	v_mov_b64_e32 v[20:21], 0
	s_delay_alu instid0(VALU_DEP_4)
	v_and_b32_e32 v11, 0xffff, v11
	v_mov_b64_e32 v[22:23], 0
	v_mov_b64_e32 v[24:25], 0
	s_mov_b32 s7, 0
	s_mov_b32 s6, exec_lo
	v_dual_mov_b32 v31, 0 :: v_dual_bitop2_b32 v30, v13, v11 bitop3:0x54
                                        ; implicit-def: $sgpr4
                                        ; implicit-def: $vgpr43
	v_cmpx_gt_u32_e64 s36, v12
	s_cbranch_execz .LBB1535_71
; %bb.52:
	v_dual_lshrrev_b32 v11, 16, v15 :: v_dual_add_nc_u32 v12, 5, v44
	v_cmp_eq_u32_e32 vcc_lo, v6, v7
	v_mov_b64_e32 v[34:35], 0
	v_mov_b64_e32 v[38:39], 0
	;; [unrolled: 1-line block ×4, first 2 shown]
	v_cndmask_b32_e32 v6, s33, v11, vcc_lo
	v_cndmask_b32_e64 v11, 0x10000, 0, vcc_lo
	v_mov_b64_e32 v[18:19], 0
	v_mov_b64_e32 v[20:21], 0
	;; [unrolled: 1-line block ×3, first 2 shown]
	v_and_b32_e32 v6, 0xffff, v6
	v_mov_b64_e32 v[24:25], 0
	s_mov_b32 s8, 0
	s_mov_b32 s7, exec_lo
                                        ; implicit-def: $sgpr4
                                        ; implicit-def: $vgpr43
	s_delay_alu instid0(VALU_DEP_2)
	v_or_b32_e32 v31, v11, v6
	v_cmpx_gt_u32_e64 s36, v12
	s_cbranch_execz .LBB1535_70
; %bb.53:
	v_cmp_eq_u32_e32 vcc_lo, v7, v8
	v_mov_b64_e32 v[34:35], 0
	v_mov_b64_e32 v[38:39], 0
	;; [unrolled: 1-line block ×4, first 2 shown]
	v_dual_cndmask_b32 v6, s33, v16 :: v_dual_mov_b32 v33, 0
	v_cndmask_b32_e64 v11, 0x10000, 0, vcc_lo
	v_mov_b64_e32 v[20:21], 0
	v_mov_b64_e32 v[22:23], 0
	s_delay_alu instid0(VALU_DEP_4) | instskip(SKIP_3) | instid1(VALU_DEP_2)
	v_and_b32_e32 v6, 0xffff, v6
	v_add_nc_u32_e32 v7, 6, v44
	s_mov_b32 s9, 0
	s_mov_b32 s8, exec_lo
                                        ; implicit-def: $sgpr4
                                        ; implicit-def: $vgpr43
	v_or_b32_e32 v32, v11, v6
	s_delay_alu instid0(VALU_DEP_2)
	v_cmpx_gt_u32_e64 s36, v7
	s_cbranch_execz .LBB1535_69
; %bb.54:
	v_lshrrev_b32_e32 v6, 16, v16
	v_cmp_eq_u32_e32 vcc_lo, v8, v9
	v_mov_b64_e32 v[34:35], 0
	v_mov_b64_e32 v[38:39], 0
	;; [unrolled: 1-line block ×3, first 2 shown]
	v_dual_cndmask_b32 v6, s33, v6 :: v_dual_add_nc_u32 v7, 7, v44
	v_cndmask_b32_e64 v8, 0x10000, 0, vcc_lo
	v_mov_b64_e32 v[18:19], 0
	v_mov_b64_e32 v[20:21], 0
	;; [unrolled: 1-line block ×3, first 2 shown]
	v_and_b32_e32 v6, 0xffff, v6
	s_mov_b32 s10, 0
	s_mov_b32 s9, exec_lo
                                        ; implicit-def: $sgpr4
                                        ; implicit-def: $vgpr43
	s_delay_alu instid0(VALU_DEP_1)
	v_or_b32_e32 v33, v8, v6
	v_cmpx_gt_u32_e64 s36, v7
	s_cbranch_execz .LBB1535_68
; %bb.55:
	v_cmp_eq_u32_e32 vcc_lo, v9, v2
	v_mov_b64_e32 v[34:35], 0
	v_mov_b64_e32 v[38:39], 0
	;; [unrolled: 1-line block ×4, first 2 shown]
	v_dual_cndmask_b32 v6, s33, v17 :: v_dual_add_nc_u32 v7, 8, v44
	v_cndmask_b32_e64 v8, 0x10000, 0, vcc_lo
	s_mov_b32 s11, 0
	s_mov_b32 s10, exec_lo
	s_delay_alu instid0(VALU_DEP_2) | instskip(NEXT) | instid1(VALU_DEP_1)
	v_and_b32_e32 v6, 0xffff, v6
                                        ; implicit-def: $sgpr4
                                        ; implicit-def: $vgpr43
	v_dual_mov_b32 v37, 0 :: v_dual_bitop2_b32 v36, v8, v6 bitop3:0x54
	v_cmpx_gt_u32_e64 s36, v7
	s_cbranch_execz .LBB1535_67
; %bb.56:
	v_cmp_eq_u32_e32 vcc_lo, v2, v3
	v_mov_b64_e32 v[34:35], 0
	v_mov_b64_e32 v[38:39], 0
	;; [unrolled: 1-line block ×4, first 2 shown]
	v_cndmask_b32_e64 v7, 0x10000, 0, vcc_lo
	v_lshrrev_b32_e32 v6, 16, v17
	s_mov_b32 s12, 0
	s_mov_b32 s11, exec_lo
                                        ; implicit-def: $sgpr4
                                        ; implicit-def: $vgpr43
	s_delay_alu instid0(VALU_DEP_1) | instskip(NEXT) | instid1(VALU_DEP_1)
	v_dual_cndmask_b32 v2, s33, v6, vcc_lo :: v_dual_add_nc_u32 v6, 9, v44
	v_and_b32_e32 v2, 0xffff, v2
	s_delay_alu instid0(VALU_DEP_1) | instskip(NEXT) | instid1(VALU_DEP_3)
	v_or_b32_e32 v37, v7, v2
	v_cmpx_gt_u32_e64 s36, v6
	s_cbranch_execz .LBB1535_66
; %bb.57:
	ds_load_b64 v[6:7], v45 offset:18
	v_cmp_eq_u32_e32 vcc_lo, v3, v4
	v_mov_b64_e32 v[34:35], 0
	v_mov_b64_e32 v[18:19], 0
	s_mov_b32 s13, 0
	s_mov_b32 s12, exec_lo
	v_cndmask_b32_e64 v8, 0x10000, 0, vcc_lo
                                        ; implicit-def: $sgpr4
                                        ; implicit-def: $vgpr43
	v_dual_add_nc_u32 v3, 10, v44 :: v_dual_mov_b32 v39, 0
	s_wait_dscnt 0x0
	v_cndmask_b32_e32 v2, s33, v6, vcc_lo
	s_delay_alu instid0(VALU_DEP_1) | instskip(NEXT) | instid1(VALU_DEP_1)
	v_and_b32_e32 v2, 0xffff, v2
	v_or_b32_e32 v38, v8, v2
	v_cmpx_gt_u32_e64 s36, v3
	s_cbranch_execz .LBB1535_65
; %bb.58:
	v_lshrrev_b32_e32 v2, 16, v6
	v_cmp_eq_u32_e32 vcc_lo, v4, v5
	v_add_nc_u32_e32 v4, 11, v44
	v_mov_b64_e32 v[34:35], 0
	s_mov_b32 s37, 0
	s_mov_b32 s13, exec_lo
	v_cndmask_b32_e32 v2, s33, v2, vcc_lo
	v_cndmask_b32_e64 v3, 0x10000, 0, vcc_lo
                                        ; implicit-def: $sgpr4
                                        ; implicit-def: $vgpr43
	s_delay_alu instid0(VALU_DEP_2) | instskip(NEXT) | instid1(VALU_DEP_1)
	v_and_b32_e32 v2, 0xffff, v2
	v_or_b32_e32 v39, v3, v2
	v_cmpx_gt_u32_e64 s36, v4
	s_cbranch_execz .LBB1535_64
; %bb.59:
	v_cmp_eq_u32_e32 vcc_lo, v5, v40
	s_mov_b32 s38, 0
	s_mov_b32 s37, exec_lo
                                        ; implicit-def: $sgpr4
                                        ; implicit-def: $vgpr43
	v_dual_add_nc_u32 v3, 12, v44 :: v_dual_mov_b32 v35, 0
	v_cndmask_b32_e32 v2, s33, v7, vcc_lo
	v_cndmask_b32_e64 v4, 0x10000, 0, vcc_lo
	s_delay_alu instid0(VALU_DEP_2) | instskip(NEXT) | instid1(VALU_DEP_1)
	v_and_b32_e32 v2, 0xffff, v2
	v_or_b32_e32 v34, v4, v2
	v_cmpx_gt_u32_e64 s36, v3
	s_cbranch_execz .LBB1535_63
; %bb.60:
	v_dual_lshrrev_b32 v2, 16, v7 :: v_dual_add_nc_u32 v4, 13, v44
	v_cmp_eq_u32_e32 vcc_lo, v40, v41
                                        ; implicit-def: $sgpr4
                                        ; implicit-def: $vgpr43
	s_delay_alu instid0(VALU_DEP_2) | instskip(SKIP_1) | instid1(VALU_DEP_4)
	v_cndmask_b32_e32 v2, s33, v2, vcc_lo
	v_cndmask_b32_e64 v3, 0x10000, 0, vcc_lo
	v_cmp_gt_u32_e32 vcc_lo, s36, v4
	s_mov_b32 s36, 0
	s_delay_alu instid0(VALU_DEP_3) | instskip(NEXT) | instid1(VALU_DEP_1)
	v_and_b32_e32 v2, 0xffff, v2
	v_or_b32_e32 v35, v3, v2
	s_and_saveexec_b32 s38, vcc_lo
	s_delay_alu instid0(SALU_CYCLE_1)
	s_xor_b32 s38, exec_lo, s38
	s_cbranch_execz .LBB1535_62
; %bb.61:
	ds_load_u16 v2, v45 offset:26
	v_cmp_ne_u32_e64 s4, v41, v42
	s_mov_b32 s36, exec_lo
	s_wait_dscnt 0x0
	v_cndmask_b32_e64 v43, v2, s33, s4
.LBB1535_62:
	s_or_b32 exec_lo, exec_lo, s38
	s_delay_alu instid0(SALU_CYCLE_1)
	s_and_b32 s38, s36, exec_lo
.LBB1535_63:
	s_or_b32 exec_lo, exec_lo, s37
	s_delay_alu instid0(SALU_CYCLE_1)
	s_and_b32 s37, s38, exec_lo
.LBB1535_64:
	s_or_b32 exec_lo, exec_lo, s13
	v_mov_b64_e32 v[18:19], v[34:35]
	s_and_b32 s13, s37, exec_lo
.LBB1535_65:
	s_or_b32 exec_lo, exec_lo, s12
	s_delay_alu instid0(VALU_DEP_2)
	v_mov_b64_e32 v[20:21], v[38:39]
	s_and_b32 s12, s13, exec_lo
.LBB1535_66:
	s_or_b32 exec_lo, exec_lo, s11
	s_delay_alu instid0(SALU_CYCLE_1)
	s_and_b32 s11, s12, exec_lo
.LBB1535_67:
	s_or_b32 exec_lo, exec_lo, s10
	s_delay_alu instid0(VALU_DEP_2)
	v_mov_b64_e32 v[22:23], v[36:37]
	s_and_b32 s10, s11, exec_lo
.LBB1535_68:
	s_or_b32 exec_lo, exec_lo, s9
	s_delay_alu instid0(SALU_CYCLE_1)
	s_and_b32 s9, s10, exec_lo
.LBB1535_69:
	s_or_b32 exec_lo, exec_lo, s8
	s_delay_alu instid0(VALU_DEP_2)
	v_mov_b64_e32 v[24:25], v[32:33]
	s_and_b32 s8, s9, exec_lo
.LBB1535_70:
	s_or_b32 exec_lo, exec_lo, s7
	s_delay_alu instid0(SALU_CYCLE_1)
	s_and_b32 s7, s8, exec_lo
.LBB1535_71:
	s_or_b32 exec_lo, exec_lo, s6
	s_delay_alu instid0(VALU_DEP_2)
	v_mov_b64_e32 v[26:27], v[30:31]
	s_and_b32 s6, s7, exec_lo
.LBB1535_72:
	s_or_b32 exec_lo, exec_lo, s5
	s_delay_alu instid0(SALU_CYCLE_1)
	s_and_b32 s5, s6, exec_lo
.LBB1535_73:
	s_or_b32 exec_lo, exec_lo, s3
	s_delay_alu instid0(VALU_DEP_1)
	v_mov_b64_e32 v[14:15], v[28:29]
	s_and_b32 s3, s5, exec_lo
.LBB1535_74:
	s_or_b32 exec_lo, exec_lo, s2
	s_delay_alu instid0(VALU_DEP_2)
	v_or_b32_e32 v1, v1, v10
	s_and_b32 s3, s3, exec_lo
.LBB1535_75:
	s_or_b32 exec_lo, exec_lo, s1
	s_delay_alu instid0(SALU_CYCLE_1)
	s_and_b32 vcc_lo, exec_lo, s0
	s_cbranch_vccnz .LBB1535_77
	s_branch .LBB1535_82
.LBB1535_76:
                                        ; implicit-def: $sgpr4
                                        ; implicit-def: $vgpr34_vgpr35
                                        ; implicit-def: $vgpr38_vgpr39
                                        ; implicit-def: $vgpr36_vgpr37
                                        ; implicit-def: $vgpr32_vgpr33
                                        ; implicit-def: $vgpr30_vgpr31
                                        ; implicit-def: $vgpr28_vgpr29
                                        ; implicit-def: $vgpr43
                                        ; implicit-def: $vgpr1
                                        ; implicit-def: $vgpr18_vgpr19
                                        ; implicit-def: $vgpr20_vgpr21
                                        ; implicit-def: $vgpr22_vgpr23
                                        ; implicit-def: $vgpr24_vgpr25
                                        ; implicit-def: $vgpr26_vgpr27
                                        ; implicit-def: $vgpr14_vgpr15
	s_cbranch_execz .LBB1535_82
.LBB1535_77:
	s_clause 0xd
	flat_load_b32 v1, v0, s[34:35] scale_offset
	flat_load_b32 v2, v0, s[34:35] offset:1024 scale_offset
	flat_load_b32 v3, v0, s[34:35] offset:2048 scale_offset
	;; [unrolled: 1-line block ×13, first 2 shown]
	v_dual_mov_b32 v16, 0 :: v_dual_lshlrev_b32 v15, 2, v0
	s_mov_b32 s0, exec_lo
	s_wait_loadcnt_dscnt 0xc0c
	ds_store_2addr_stride64_b32 v15, v1, v2 offset1:4
	s_wait_loadcnt_dscnt 0xa0b
	ds_store_2addr_stride64_b32 v15, v3, v4 offset0:8 offset1:12
	s_wait_loadcnt_dscnt 0x80a
	ds_store_2addr_stride64_b32 v15, v5, v6 offset0:16 offset1:20
	;; [unrolled: 2-line block ×6, first 2 shown]
	s_wait_dscnt 0x0
	s_barrier_signal -1
	s_barrier_wait -1
	flat_load_b32 v22, v16, s[34:35] offset:14336
	v_mad_u32_u24 v14, v0, 52, v15
	ds_load_b32 v1, v14
	ds_load_2addr_b32 v[20:21], v14 offset0:1 offset1:2
	ds_load_2addr_b64 v[6:9], v14 offset0:1 offset1:2
	ds_load_2addr_b64 v[10:13], v14 offset0:3 offset1:4
	;; [unrolled: 1-line block ×3, first 2 shown]
	v_mad_i32_i24 v14, 0xffffffcc, v0, v14
	s_wait_dscnt 0x4
	ds_store_b32 v14, v1 offset:15360
	s_wait_loadcnt_dscnt 0x0
	s_barrier_signal -1
	s_barrier_wait -1
	v_cmpx_ne_u32_e32 0xff, v0
; %bb.78:
	ds_load_b32 v22, v14 offset:15364
; %bb.79:
	s_or_b32 exec_lo, exec_lo, s0
	s_wait_dscnt 0x0
	s_barrier_signal -1
	s_barrier_wait -1
	s_clause 0xd
	flat_load_u16 v15, v0, s[30:31] scale_offset
	flat_load_u16 v16, v0, s[30:31] offset:512 scale_offset
	flat_load_u16 v17, v0, s[30:31] offset:1024 scale_offset
	;; [unrolled: 1-line block ×13, first 2 shown]
	v_lshlrev_b32_e32 v25, 1, v0
	v_cmp_eq_u32_e32 vcc_lo, v1, v20
	v_mov_b32_e32 v1, 0x10000
	s_delay_alu instid0(VALU_DEP_3)
	v_sub_nc_u32_e32 v25, v14, v25
	s_wait_loadcnt_dscnt 0xd0d
	ds_store_b16 v25, v15
	s_wait_loadcnt_dscnt 0xc0d
	ds_store_b16 v25, v16 offset:512
	s_wait_loadcnt_dscnt 0xb0d
	ds_store_b16 v25, v17 offset:1024
	;; [unrolled: 2-line block ×13, first 2 shown]
	v_mad_u32_u24 v33, v0, 26, v25
	s_wait_dscnt 0x0
	s_barrier_signal -1
	s_barrier_wait -1
	ds_load_b128 v[14:17], v33 offset:2
	ds_load_b64 v[18:19], v33 offset:18
	ds_load_u16 v23, v33 offset:26
	v_mov_b32_e32 v24, s33
	s_and_saveexec_b32 s0, vcc_lo
	s_cbranch_execz .LBB1535_81
; %bb.80:
	v_mul_u32_u24_e32 v1, 26, v0
	s_delay_alu instid0(VALU_DEP_1)
	v_add_nc_u32_e32 v1, v25, v1
	ds_load_u16 v24, v1
	v_mov_b32_e32 v1, 0
.LBB1535_81:
	s_or_b32 exec_lo, exec_lo, s0
	v_cmp_eq_u32_e32 vcc_lo, v20, v6
	s_wait_dscnt 0x2
	v_lshrrev_b32_e32 v6, 16, v14
	v_cmp_eq_u32_e64 s0, v21, v7
	v_cmp_eq_u32_e64 s1, v7, v8
	v_lshrrev_b32_e32 v7, 16, v15
	v_cmp_eq_u32_e64 s5, v13, v2
	v_cmp_eq_u32_e64 s6, v2, v3
	;; [unrolled: 1-line block ×3, first 2 shown]
	s_wait_dscnt 0x1
	v_dual_cndmask_b32 v2, s33, v6, s0 :: v_dual_lshrrev_b32 v20, 16, v19
	v_cndmask_b32_e32 v3, s33, v14, vcc_lo
	v_cmp_eq_u32_e64 s2, v8, v9
	v_cmp_eq_u32_e64 s4, v12, v13
	s_wait_dscnt 0x0
	v_and_b32_e32 v6, 0xffff, v24
	v_cndmask_b32_e64 v13, 0x10000, 0, s0
	v_cndmask_b32_e64 v14, 0x10000, 0, vcc_lo
	v_and_b32_e32 v2, 0xffff, v2
	v_cmp_eq_u32_e32 vcc_lo, v4, v5
	v_lshrrev_b32_e32 v4, 16, v16
	v_and_b32_e32 v3, 0xffff, v3
	v_or_b32_e32 v1, v1, v6
	v_dual_cndmask_b32 v2, s33, v7, s2 :: v_dual_bitop2_b32 v29, v13, v2 bitop3:0x54
	v_cndmask_b32_e64 v7, 0x10000, 0, s1
	v_cmp_eq_u32_e64 s0, v10, v11
	v_or_b32_e32 v28, v14, v3
	v_cndmask_b32_e64 v3, s33, v15, s1
	v_cmp_eq_u32_e64 s1, v9, v10
	v_lshrrev_b32_e32 v8, 16, v17
	v_cndmask_b32_e64 v6, 0x10000, 0, s2
	v_and_b32_e32 v2, 0xffff, v2
	v_and_b32_e32 v3, 0xffff, v3
	v_cndmask_b32_e64 v9, s33, v16, s1
	v_cmp_eq_u32_e64 s3, v11, v12
	v_dual_lshrrev_b32 v12, 16, v18 :: v_dual_cndmask_b32 v4, s33, v4, s0
	v_or_b32_e32 v31, v6, v2
	v_cndmask_b32_e64 v2, 0x10000, 0, s1
	v_and_b32_e32 v6, 0xffff, v9
	v_dual_cndmask_b32 v3, s33, v8, s4 :: v_dual_bitop2_b32 v30, v7, v3 bitop3:0x54
	v_cndmask_b32_e64 v10, 0x10000, 0, s0
	v_and_b32_e32 v4, 0xffff, v4
	s_delay_alu instid0(VALU_DEP_4) | instskip(SKIP_2) | instid1(VALU_DEP_4)
	v_dual_cndmask_b32 v7, s33, v12, s6 :: v_dual_bitop2_b32 v32, v2, v6 bitop3:0x54
	v_cndmask_b32_e64 v2, 0x10000, 0, s4
	v_and_b32_e32 v3, 0xffff, v3
	v_dual_cndmask_b32 v8, s33, v18, s5 :: v_dual_bitop2_b32 v33, v10, v4 bitop3:0x54
	v_cndmask_b32_e64 v4, s33, v17, s3
	v_cndmask_b32_e64 v9, 0x10000, 0, s6
	;; [unrolled: 1-line block ×3, first 2 shown]
	v_and_b32_e32 v7, 0xffff, v7
	v_dual_cndmask_b32 v11, s33, v20, vcc_lo :: v_dual_bitop2_b32 v37, v2, v3 bitop3:0x54
	v_and_b32_e32 v8, 0xffff, v8
	v_cndmask_b32_e64 v12, s33, v19, s7
	v_cndmask_b32_e64 v6, 0x10000, 0, s3
	v_and_b32_e32 v4, 0xffff, v4
	v_cndmask_b32_e64 v13, 0x10000, 0, vcc_lo
	v_cndmask_b32_e64 v14, 0x10000, 0, s7
	v_or_b32_e32 v39, v9, v7
	v_and_b32_e32 v11, 0xffff, v11
	v_or_b32_e32 v38, v10, v8
	v_and_b32_e32 v12, 0xffff, v12
	v_or_b32_e32 v36, v6, v4
	v_cmp_ne_u32_e64 s4, v5, v22
	v_or_b32_e32 v35, v13, v11
	v_mov_b64_e32 v[20:21], v[38:39]
	v_or_b32_e32 v34, v14, v12
	v_mov_b64_e32 v[24:25], v[32:33]
	v_cndmask_b32_e64 v43, v23, s33, s4
	v_mov_b64_e32 v[22:23], v[36:37]
	v_mov_b64_e32 v[26:27], v[30:31]
	;; [unrolled: 1-line block ×4, first 2 shown]
	s_mov_b32 s3, -1
.LBB1535_82:
	v_mov_b32_e32 v10, 0
	s_and_saveexec_b32 s0, s3
	s_cbranch_execz .LBB1535_84
; %bb.83:
	v_and_b32_e32 v2, 0xffff, v43
	v_cndmask_b32_e64 v3, 0, 0x10000, s4
	v_mov_b64_e32 v[14:15], v[28:29]
	v_mov_b64_e32 v[26:27], v[30:31]
	v_mov_b64_e32 v[24:25], v[32:33]
	v_mov_b64_e32 v[22:23], v[36:37]
	v_mov_b64_e32 v[20:21], v[38:39]
	v_mov_b64_e32 v[18:19], v[34:35]
	v_or_b32_e32 v10, v3, v2
.LBB1535_84:
	s_or_b32 exec_lo, exec_lo, s0
	s_delay_alu instid0(VALU_DEP_2)
	v_cmp_gt_u32_e64 s11, 0x10000, v14
	v_cmp_gt_u32_e64 s10, 0x10000, v15
	;; [unrolled: 1-line block ×8, first 2 shown]
	v_dual_lshrrev_b32 v11, 16, v1 :: v_dual_bitop2_b32 v16, v22, v23 bitop3:0x54
	v_cmp_gt_u32_e64 s4, 0x10000, v20
	v_cmp_gt_u32_e64 s2, 0x10000, v21
	;; [unrolled: 1-line block ×4, first 2 shown]
	v_or3_b32 v13, v18, v19, v21
	v_cmp_gt_u32_e64 s12, 0x10000, v10
	v_lshrrev_b32_e32 v12, 3, v0
	s_cmp_lg_u32 s28, 0
	v_cmp_gt_u32_e32 vcc_lo, 32, v0
	s_barrier_signal -1
	s_barrier_wait -1
	s_cbranch_scc0 .LBB1535_146
; %bb.85:
	v_dual_cndmask_b32 v2, 0, v1, s11 :: v_dual_bitop2_b32 v5, 28, v12 bitop3:0x40
	v_or3_b32 v3, v16, v25, v24
	v_or3_b32 v4, v13, v20, v10
	s_delay_alu instid0(VALU_DEP_3) | instskip(NEXT) | instid1(VALU_DEP_3)
	v_add_nc_u16 v2, v2, v14
	v_or3_b32 v3, v3, v27, v26
	s_delay_alu instid0(VALU_DEP_2) | instskip(NEXT) | instid1(VALU_DEP_2)
	v_cndmask_b32_e64 v2, 0, v2, s10
	v_or3_b32 v3, v3, v15, v14
	s_delay_alu instid0(VALU_DEP_2) | instskip(NEXT) | instid1(VALU_DEP_2)
	v_add_nc_u16 v2, v2, v15
	v_bitop3_b32 v3, v4, 0xff0000, v3 bitop3:0xc8
	v_lshl_add_u32 v4, v0, 2, v5
	s_delay_alu instid0(VALU_DEP_3) | instskip(NEXT) | instid1(VALU_DEP_1)
	v_cndmask_b32_e64 v2, 0, v2, s9
	v_add_nc_u16 v2, v2, v26
	s_delay_alu instid0(VALU_DEP_1) | instskip(NEXT) | instid1(VALU_DEP_1)
	v_cndmask_b32_e64 v2, 0, v2, s8
	v_add_nc_u16 v2, v2, v27
	s_delay_alu instid0(VALU_DEP_1) | instskip(NEXT) | instid1(VALU_DEP_1)
	;; [unrolled: 3-line block ×9, first 2 shown]
	v_cndmask_b32_e64 v2, 0, v2, s0
	v_add_nc_u16 v2, v2, v19
	s_delay_alu instid0(VALU_DEP_1) | instskip(SKIP_1) | instid1(VALU_DEP_2)
	v_cndmask_b32_e64 v2, 0, v2, s12
	v_cmp_eq_u32_e64 s12, 0, v3
	v_add_nc_u16 v17, v2, v10
	s_delay_alu instid0(VALU_DEP_2)
	v_cndmask_b32_e64 v28, 1, v11, s12
	ds_store_b16 v4, v17
	ds_store_b8 v4, v28 offset:2
	s_wait_dscnt 0x0
	s_barrier_signal -1
	s_barrier_wait -1
	s_and_saveexec_b32 s13, vcc_lo
	s_cbranch_execz .LBB1535_97
; %bb.86:
	v_and_b32_e32 v2, 0xfc, v0
	v_lshlrev_b32_e32 v3, 5, v0
	s_mov_b32 s30, exec_lo
	s_delay_alu instid0(VALU_DEP_1)
	v_add_nc_u32_e32 v2, v2, v3
	ds_load_u8 v4, v2 offset:6
	ds_load_b32 v3, v2
	ds_load_u16 v5, v2 offset:4
	ds_load_u8 v6, v2 offset:10
	ds_load_u16 v7, v2 offset:8
	ds_load_u16 v8, v2 offset:12
	ds_load_u8 v9, v2 offset:14
	ds_load_u16 v29, v2 offset:16
	s_wait_dscnt 0x7
	v_cmp_eq_u16_e64 s12, 0, v4
	s_wait_dscnt 0x4
	s_delay_alu instid0(VALU_DEP_1) | instskip(SKIP_1) | instid1(VALU_DEP_2)
	v_dual_cndmask_b32 v30, 0, v3, s12 :: v_dual_bitop2_b32 v4, v6, v4 bitop3:0x54
	v_cmp_eq_u16_e64 s12, 0, v6
	v_add_nc_u16 v5, v30, v5
	ds_load_u8 v30, v2 offset:18
	v_cndmask_b32_e64 v5, 0, v5, s12
	s_wait_dscnt 0x2
	v_cmp_eq_u16_e64 s12, 0, v9
	s_delay_alu instid0(VALU_DEP_2) | instskip(SKIP_2) | instid1(VALU_DEP_1)
	v_add_nc_u16 v5, v5, v7
	ds_load_u8 v7, v2 offset:22
	v_cndmask_b32_e64 v5, 0, v5, s12
	v_add_nc_u16 v5, v5, v8
	ds_load_u16 v8, v2 offset:20
	ds_load_u16 v31, v2 offset:24
	ds_load_u8 v32, v2 offset:26
	ds_load_u16 v33, v2 offset:28
	ds_load_u8 v34, v2 offset:30
	s_wait_dscnt 0x6
	v_cmp_eq_u16_e64 s12, 0, v30
	v_bitop3_b16 v6, v4, v30, v9 bitop3:0xfe
	v_and_b32_e32 v4, 0x10000, v3
	s_delay_alu instid0(VALU_DEP_3)
	v_cndmask_b32_e64 v5, 0, v5, s12
	s_wait_dscnt 0x5
	v_cmp_eq_u16_e64 s12, 0, v7
	s_wait_dscnt 0x2
	v_bitop3_b16 v6, v6, v32, v7 bitop3:0xfe
	s_wait_dscnt 0x0
	v_and_b32_e32 v7, 1, v34
	v_add_nc_u16 v5, v5, v29
	s_delay_alu instid0(VALU_DEP_1) | instskip(SKIP_1) | instid1(VALU_DEP_2)
	v_cndmask_b32_e64 v5, 0, v5, s12
	v_cmp_eq_u16_e64 s12, 0, v32
	v_add_nc_u16 v5, v5, v8
	s_delay_alu instid0(VALU_DEP_1) | instskip(SKIP_1) | instid1(VALU_DEP_2)
	v_cndmask_b32_e64 v5, 0, v5, s12
	v_cmp_eq_u16_e64 s12, 0, v34
	;; [unrolled: 4-line block ×3, first 2 shown]
	v_add_nc_u16 v6, v5, v33
	s_delay_alu instid0(VALU_DEP_2) | instskip(SKIP_4) | instid1(VALU_DEP_4)
	v_cndmask_b32_e64 v8, 0x10000, v4, s12
	v_cmp_eq_u32_e64 s12, 1, v7
	v_and_b32_e32 v5, 0xff000000, v3
	v_mbcnt_lo_u32_b32 v7, -1, 0
	v_and_b32_e32 v9, 0xffff, v6
	v_cndmask_b32_e64 v8, v8, 0x10000, s12
	s_delay_alu instid0(VALU_DEP_1) | instskip(NEXT) | instid1(VALU_DEP_3)
	v_or_b32_e32 v29, v8, v5
	v_or3_b32 v30, v5, v9, v8
	s_delay_alu instid0(VALU_DEP_2) | instskip(NEXT) | instid1(VALU_DEP_2)
	v_dual_lshrrev_b32 v9, 16, v29 :: v_dual_bitop2_b32 v8, 15, v7 bitop3:0x40
	v_mov_b32_dpp v31, v30 row_shr:1 row_mask:0xf bank_mask:0xf
	s_delay_alu instid0(VALU_DEP_2)
	v_cmpx_ne_u32_e32 0, v8
	s_cbranch_execz .LBB1535_88
; %bb.87:
	s_delay_alu instid0(VALU_DEP_2) | instskip(SKIP_1) | instid1(VALU_DEP_2)
	v_dual_lshrrev_b32 v9, 16, v29 :: v_dual_lshrrev_b32 v30, 16, v31
	v_and_b32_e32 v29, 0x10000, v29
	v_and_b32_e32 v9, 0xff, v9
	s_delay_alu instid0(VALU_DEP_1) | instskip(NEXT) | instid1(VALU_DEP_1)
	v_cmp_eq_u16_e64 s12, 0, v9
	v_dual_cndmask_b32 v31, 0, v31, s12 :: v_dual_bitop2_b32 v30, 1, v30 bitop3:0x40
	s_delay_alu instid0(VALU_DEP_4) | instskip(NEXT) | instid1(VALU_DEP_2)
	v_cmp_ne_u32_e64 s12, 0, v29
	v_add_nc_u16 v6, v31, v6
	s_delay_alu instid0(VALU_DEP_2) | instskip(NEXT) | instid1(VALU_DEP_2)
	v_cndmask_b32_e64 v9, v30, 1, s12
	v_and_b32_e32 v30, 0xffff, v6
	s_delay_alu instid0(VALU_DEP_2) | instskip(NEXT) | instid1(VALU_DEP_1)
	v_lshlrev_b32_e32 v29, 16, v9
	v_or3_b32 v30, v29, v30, v5
.LBB1535_88:
	s_or_b32 exec_lo, exec_lo, s30
	s_delay_alu instid0(VALU_DEP_1)
	v_lshrrev_b32_e32 v29, 16, v30
	v_mov_b32_dpp v31, v30 row_shr:2 row_mask:0xf bank_mask:0xf
	s_mov_b32 s30, exec_lo
	v_cmpx_lt_u32_e32 1, v8
	s_cbranch_execz .LBB1535_90
; %bb.89:
	v_and_b32_e32 v29, 0xff, v29
	v_and_b32_e32 v30, 0x10000, v30
	s_delay_alu instid0(VALU_DEP_2) | instskip(NEXT) | instid1(VALU_DEP_1)
	v_cmp_eq_u16_e64 s12, 0, v29
	v_dual_lshrrev_b32 v9, 16, v31 :: v_dual_cndmask_b32 v29, 0, v31, s12
	s_delay_alu instid0(VALU_DEP_1) | instskip(NEXT) | instid1(VALU_DEP_4)
	v_and_b32_e32 v9, 1, v9
	v_cmp_ne_u32_e64 s12, 0, v30
	s_delay_alu instid0(VALU_DEP_3) | instskip(NEXT) | instid1(VALU_DEP_2)
	v_add_nc_u16 v6, v29, v6
	v_cndmask_b32_e64 v9, v9, 1, s12
	s_delay_alu instid0(VALU_DEP_2) | instskip(NEXT) | instid1(VALU_DEP_2)
	v_and_b32_e32 v30, 0xffff, v6
	v_lshlrev_b32_e32 v29, 16, v9
	s_delay_alu instid0(VALU_DEP_1)
	v_or3_b32 v30, v29, v30, v5
	v_mov_b32_e32 v29, v9
.LBB1535_90:
	s_or_b32 exec_lo, exec_lo, s30
	s_delay_alu instid0(VALU_DEP_2)
	v_mov_b32_dpp v31, v30 row_shr:4 row_mask:0xf bank_mask:0xf
	s_mov_b32 s30, exec_lo
	v_cmpx_lt_u32_e32 3, v8
	s_cbranch_execz .LBB1535_92
; %bb.91:
	v_and_b32_e32 v30, 0xff, v29
	v_dual_lshrrev_b32 v9, 16, v31 :: v_dual_bitop2_b32 v29, 1, v29 bitop3:0x40
	s_delay_alu instid0(VALU_DEP_2) | instskip(NEXT) | instid1(VALU_DEP_1)
	v_cmp_eq_u16_e64 s12, 0, v30
	v_dual_cndmask_b32 v30, 0, v31, s12 :: v_dual_bitop2_b32 v9, 1, v9 bitop3:0x40
	s_delay_alu instid0(VALU_DEP_3) | instskip(NEXT) | instid1(VALU_DEP_2)
	v_cmp_eq_u32_e64 s12, 1, v29
	v_add_nc_u16 v6, v30, v6
	s_delay_alu instid0(VALU_DEP_2) | instskip(NEXT) | instid1(VALU_DEP_2)
	v_cndmask_b32_e64 v9, v9, 1, s12
	v_and_b32_e32 v30, 0xffff, v6
	s_delay_alu instid0(VALU_DEP_2) | instskip(NEXT) | instid1(VALU_DEP_1)
	v_lshlrev_b32_e32 v29, 16, v9
	v_or3_b32 v30, v29, v30, v5
	v_mov_b32_e32 v29, v9
.LBB1535_92:
	s_or_b32 exec_lo, exec_lo, s30
	s_delay_alu instid0(VALU_DEP_2)
	v_mov_b32_dpp v31, v30 row_shr:8 row_mask:0xf bank_mask:0xf
	s_mov_b32 s30, exec_lo
	v_cmpx_lt_u32_e32 7, v8
	s_cbranch_execz .LBB1535_94
; %bb.93:
	v_and_b32_e32 v9, 0xff, v29
	v_dual_lshrrev_b32 v8, 16, v31 :: v_dual_bitop2_b32 v29, 1, v29 bitop3:0x40
	s_delay_alu instid0(VALU_DEP_2) | instskip(NEXT) | instid1(VALU_DEP_1)
	v_cmp_eq_u16_e64 s12, 0, v9
	v_dual_cndmask_b32 v30, 0, v31, s12 :: v_dual_bitop2_b32 v8, 1, v8 bitop3:0x40
	s_delay_alu instid0(VALU_DEP_3) | instskip(NEXT) | instid1(VALU_DEP_2)
	v_cmp_eq_u32_e64 s12, 1, v29
	v_add_nc_u16 v6, v30, v6
	s_delay_alu instid0(VALU_DEP_2) | instskip(NEXT) | instid1(VALU_DEP_2)
	v_cndmask_b32_e64 v9, v8, 1, s12
	v_and_b32_e32 v29, 0xffff, v6
	s_delay_alu instid0(VALU_DEP_2) | instskip(NEXT) | instid1(VALU_DEP_1)
	v_lshlrev_b32_e32 v8, 16, v9
	v_or3_b32 v30, v8, v29, v5
	v_mov_b32_e32 v29, v9
.LBB1535_94:
	s_or_b32 exec_lo, exec_lo, s30
	ds_swizzle_b32 v8, v30 offset:swizzle(BROADCAST,32,15)
	v_and_b32_e32 v30, 16, v7
	s_mov_b32 s30, exec_lo
	s_delay_alu instid0(VALU_DEP_1)
	v_cmpx_ne_u32_e32 0, v30
	s_cbranch_execz .LBB1535_96
; %bb.95:
	v_and_b32_e32 v9, 0xff, v29
	s_delay_alu instid0(VALU_DEP_1) | instskip(SKIP_2) | instid1(VALU_DEP_1)
	v_cmp_eq_u16_e64 s12, 0, v9
	s_wait_dscnt 0x0
	v_dual_lshrrev_b32 v30, 16, v8 :: v_dual_bitop2_b32 v9, 1, v29 bitop3:0x40
	v_dual_cndmask_b32 v8, 0, v8, s12 :: v_dual_bitop2_b32 v29, 1, v30 bitop3:0x40
	s_delay_alu instid0(VALU_DEP_2) | instskip(NEXT) | instid1(VALU_DEP_2)
	v_cmp_eq_u32_e64 s12, 1, v9
	v_add_nc_u16 v6, v8, v6
	s_delay_alu instid0(VALU_DEP_2)
	v_cndmask_b32_e64 v9, v29, 1, s12
.LBB1535_96:
	s_or_b32 exec_lo, exec_lo, s30
	s_wait_dscnt 0x0
	s_delay_alu instid0(VALU_DEP_1) | instskip(SKIP_2) | instid1(VALU_DEP_3)
	v_and_b32_e32 v8, 0xff, v9
	v_add_nc_u32_e32 v9, -1, v7
	v_and_b32_e32 v6, 0xffff, v6
	; wave barrier
	v_lshlrev_b32_e32 v8, 16, v8
	s_delay_alu instid0(VALU_DEP_3) | instskip(NEXT) | instid1(VALU_DEP_2)
	v_cmp_gt_i32_e64 s12, 0, v9
	v_or3_b32 v5, v8, v6, v5
	s_delay_alu instid0(VALU_DEP_2) | instskip(NEXT) | instid1(VALU_DEP_1)
	v_cndmask_b32_e64 v7, v9, v7, s12
	v_lshlrev_b32_e32 v6, 2, v7
	ds_bpermute_b32 v5, v6, v5
	v_and_b32_e32 v6, 0xff0000, v3
	s_delay_alu instid0(VALU_DEP_1) | instskip(SKIP_1) | instid1(VALU_DEP_1)
	v_cmp_eq_u32_e64 s12, 0, v6
	s_wait_dscnt 0x0
	v_dual_lshrrev_b32 v7, 16, v5 :: v_dual_cndmask_b32 v5, 0, v5, s12
	v_cmp_eq_u32_e64 s12, 0, v4
	s_delay_alu instid0(VALU_DEP_2) | instskip(NEXT) | instid1(VALU_DEP_3)
	v_add_nc_u16 v3, v5, v3
	v_and_b32_e32 v6, 1, v7
	s_delay_alu instid0(VALU_DEP_1) | instskip(SKIP_1) | instid1(VALU_DEP_1)
	v_cndmask_b32_e64 v4, 1, v6, s12
	v_cmp_eq_u32_e64 s12, 0, v0
	v_dual_cndmask_b32 v3, v3, v17, s12 :: v_dual_cndmask_b32 v4, v4, v28, s12
	ds_store_b16 v2, v3
	ds_store_b8 v2, v4 offset:2
	; wave barrier
	ds_load_u8 v5, v2 offset:6
	ds_load_u16 v6, v2 offset:4
	ds_load_u8 v7, v2 offset:10
	ds_load_u16 v8, v2 offset:8
	ds_load_u16 v9, v2 offset:12
	ds_load_u8 v29, v2 offset:14
	ds_load_u16 v30, v2 offset:16
	ds_load_u8 v31, v2 offset:18
	s_wait_dscnt 0x7
	v_cmp_eq_u16_e64 s12, 0, v5
	s_delay_alu instid0(VALU_DEP_1) | instskip(SKIP_2) | instid1(VALU_DEP_2)
	v_cndmask_b32_e64 v3, 0, v3, s12
	s_wait_dscnt 0x5
	v_cmp_eq_u16_e64 s12, 0, v7
	v_add_nc_u16 v3, v3, v6
	s_delay_alu instid0(VALU_DEP_1) | instskip(SKIP_2) | instid1(VALU_DEP_2)
	v_cndmask_b32_e64 v6, 0, v3, s12
	s_wait_dscnt 0x2
	v_cmp_eq_u16_e64 s12, 0, v29
	v_add_nc_u16 v6, v6, v8
	v_and_b32_e32 v5, 1, v5
	ds_load_u8 v8, v2 offset:22
	ds_load_u16 v33, v2 offset:20
	ds_load_u8 v34, v2 offset:26
	ds_load_u8 v35, v2 offset:30
	v_cndmask_b32_e64 v32, 0, v6, s12
	v_cmp_eq_u32_e64 s12, 1, v5
	v_and_b32_e32 v5, 1, v29
	s_delay_alu instid0(VALU_DEP_3) | instskip(NEXT) | instid1(VALU_DEP_3)
	v_add_nc_u16 v9, v32, v9
	v_cndmask_b32_e64 v4, v4, 1, s12
	s_wait_dscnt 0x4
	v_cmp_eq_u16_e64 s12, 0, v31
	v_and_b32_e32 v7, 1, v7
	ds_load_u16 v32, v2 offset:24
	ds_load_u16 v36, v2 offset:28
	v_cndmask_b32_e64 v29, 0, v9, s12
	v_cmp_eq_u32_e64 s12, 1, v7
	s_delay_alu instid0(VALU_DEP_2) | instskip(NEXT) | instid1(VALU_DEP_2)
	v_add_nc_u16 v29, v29, v30
	v_cndmask_b32_e64 v7, v4, 1, s12
	v_cmp_eq_u32_e64 s12, 1, v5
	v_and_b32_e32 v30, 1, v31
	s_wait_dscnt 0x2
	v_and_b32_e32 v37, 1, v35
	s_delay_alu instid0(VALU_DEP_3) | instskip(SKIP_1) | instid1(VALU_DEP_1)
	v_cndmask_b32_e64 v5, v7, 1, s12
	v_cmp_eq_u16_e64 s12, 0, v8
	v_dual_cndmask_b32 v31, 0, v29, s12 :: v_dual_bitop2_b32 v8, 1, v8 bitop3:0x40
	v_cmp_eq_u32_e64 s12, 1, v30
	s_delay_alu instid0(VALU_DEP_2) | instskip(NEXT) | instid1(VALU_DEP_2)
	v_add_nc_u16 v31, v31, v33
	v_cndmask_b32_e64 v30, v5, 1, s12
	s_delay_alu instid0(VALU_DEP_4)
	v_cmp_eq_u32_e64 s12, 1, v8
	v_and_b32_e32 v33, 1, v34
	ds_store_b16 v2, v3 offset:4
	ds_store_b8 v2, v4 offset:6
	ds_store_b16 v2, v6 offset:8
	ds_store_b8 v2, v7 offset:10
	ds_store_b16 v2, v9 offset:12
	ds_store_b8 v2, v5 offset:14
	ds_store_b16 v2, v29 offset:16
	ds_store_b8 v2, v30 offset:18
	v_cndmask_b32_e64 v8, v30, 1, s12
	v_cmp_eq_u16_e64 s12, 0, v34
	s_delay_alu instid0(VALU_DEP_1) | instskip(SKIP_2) | instid1(VALU_DEP_2)
	v_cndmask_b32_e64 v34, 0, v31, s12
	v_cmp_eq_u32_e64 s12, 1, v33
	s_wait_dscnt 0x9
	v_add_nc_u16 v32, v34, v32
	s_delay_alu instid0(VALU_DEP_2) | instskip(SKIP_1) | instid1(VALU_DEP_1)
	v_cndmask_b32_e64 v33, v8, 1, s12
	v_cmp_eq_u32_e64 s12, 1, v37
	v_cndmask_b32_e64 v34, v33, 1, s12
	v_cmp_eq_u16_e64 s12, 0, v35
	s_delay_alu instid0(VALU_DEP_1) | instskip(SKIP_1) | instid1(VALU_DEP_1)
	v_cndmask_b32_e64 v35, 0, v32, s12
	s_wait_dscnt 0x8
	v_add_nc_u16 v3, v35, v36
	ds_store_b16 v2, v31 offset:20
	ds_store_b8 v2, v8 offset:22
	ds_store_b16 v2, v32 offset:24
	ds_store_b8 v2, v33 offset:26
	;; [unrolled: 2-line block ×3, first 2 shown]
.LBB1535_97:
	s_or_b32 exec_lo, exec_lo, s13
	v_cmp_eq_u32_e64 s12, 0, v0
	s_mov_b32 s30, exec_lo
	s_wait_dscnt 0x0
	s_barrier_signal -1
	s_barrier_wait -1
	v_cmpx_ne_u32_e32 0, v0
	s_cbranch_execz .LBB1535_99
; %bb.98:
	v_add_nc_u32_e32 v2, -1, v0
	s_delay_alu instid0(VALU_DEP_1) | instskip(NEXT) | instid1(VALU_DEP_1)
	v_lshrrev_b32_e32 v3, 3, v2
	v_and_b32_e32 v3, 0x1ffffffc, v3
	s_delay_alu instid0(VALU_DEP_1)
	v_lshl_add_u32 v2, v2, 2, v3
	ds_load_u16 v17, v2
	ds_load_u8 v28, v2 offset:2
.LBB1535_99:
	s_or_b32 exec_lo, exec_lo, s30
	s_and_saveexec_b32 s30, vcc_lo
	s_cbranch_execz .LBB1535_151
; %bb.100:
	v_mov_b32_e32 v9, 0
	v_mbcnt_lo_u32_b32 v29, -1, 0
	ds_load_b32 v2, v9 offset:1048
	v_cmp_eq_u32_e64 s13, 0, v29
	s_and_saveexec_b32 s31, s13
	s_cbranch_execz .LBB1535_102
; %bb.101:
	s_add_co_i32 s34, s28, 32
	s_delay_alu instid0(SALU_CYCLE_1)
	v_dual_mov_b32 v3, 1 :: v_dual_mov_b32 v4, s34
	s_wait_dscnt 0x0
	global_store_b64 v4, v[2:3], s[16:17] scale_offset scope:SCOPE_DEV
.LBB1535_102:
	s_wait_xcnt 0x0
	s_or_b32 exec_lo, exec_lo, s31
	v_xad_u32 v4, v29, -1, s28
	s_mov_b32 s31, exec_lo
	s_delay_alu instid0(VALU_DEP_1) | instskip(SKIP_4) | instid1(VALU_DEP_1)
	v_add_nc_u32_e32 v8, 32, v4
	global_load_b64 v[6:7], v8, s[16:17] scale_offset scope:SCOPE_DEV
	s_wait_loadcnt 0x0
	v_and_b32_e32 v3, 0xff, v7
	s_wait_xcnt 0x0
	v_cmpx_eq_u16_e32 0, v3
	s_cbranch_execz .LBB1535_106
; %bb.103:
	v_lshl_add_u64 v[8:9], v[8:9], 3, s[16:17]
	s_mov_b32 s34, 0
.LBB1535_104:                           ; =>This Inner Loop Header: Depth=1
	global_load_b64 v[6:7], v[8:9], off scope:SCOPE_DEV
	s_wait_loadcnt 0x0
	v_and_b32_e32 v3, 0xff, v7
	s_delay_alu instid0(VALU_DEP_1)
	v_cmp_ne_u16_e32 vcc_lo, 0, v3
	s_or_b32 s34, vcc_lo, s34
	s_wait_xcnt 0x0
	s_and_not1_b32 exec_lo, exec_lo, s34
	s_cbranch_execnz .LBB1535_104
; %bb.105:
	s_or_b32 exec_lo, exec_lo, s34
.LBB1535_106:
	s_delay_alu instid0(SALU_CYCLE_1)
	s_or_b32 exec_lo, exec_lo, s31
	v_cmp_ne_u32_e32 vcc_lo, 31, v29
	v_and_b32_e32 v38, 0xffffff, v6
	v_and_b32_e32 v5, 0xff, v7
	v_lshlrev_b32_e64 v30, v29, -1
	v_bfe_u32 v9, v6, 16, 8
	v_add_co_ci_u32_e64 v3, null, 0, v29, vcc_lo
	s_delay_alu instid0(VALU_DEP_4) | instskip(SKIP_1) | instid1(VALU_DEP_2)
	v_cmp_eq_u16_e32 vcc_lo, 2, v5
	s_mov_b32 s31, exec_lo
	v_dual_lshrrev_b32 v8, 16, v6 :: v_dual_lshlrev_b32 v3, 2, v3
	v_and_or_b32 v5, vcc_lo, v30, 0x80000000
	ds_bpermute_b32 v31, v3, v38
	v_ctz_i32_b32_e32 v5, v5
	s_delay_alu instid0(VALU_DEP_1)
	v_cmpx_lt_u32_e64 v29, v5
	s_cbranch_execz .LBB1535_108
; %bb.107:
	v_and_b32_e32 v8, 0xff0000, v6
	s_delay_alu instid0(VALU_DEP_1) | instskip(SKIP_3) | instid1(VALU_DEP_1)
	v_and_b32_e32 v32, 0x10000, v8
	v_cmp_eq_u32_e32 vcc_lo, 0, v8
	s_wait_dscnt 0x0
	v_dual_lshrrev_b32 v9, 16, v31 :: v_dual_cndmask_b32 v31, 0, v31, vcc_lo
	v_and_b32_e32 v9, 1, v9
	v_cmp_ne_u32_e32 vcc_lo, 0, v32
	s_delay_alu instid0(VALU_DEP_3) | instskip(NEXT) | instid1(VALU_DEP_3)
	v_add_nc_u16 v6, v31, v6
	v_cndmask_b32_e64 v8, v9, 1, vcc_lo
	s_delay_alu instid0(VALU_DEP_2) | instskip(NEXT) | instid1(VALU_DEP_2)
	v_and_b32_e32 v31, 0xffff, v6
	v_lshlrev_b32_e32 v9, 16, v8
	s_delay_alu instid0(VALU_DEP_1)
	v_dual_mov_b32 v9, v8 :: v_dual_bitop2_b32 v38, v9, v31 bitop3:0x54
.LBB1535_108:
	s_or_b32 exec_lo, exec_lo, s31
	v_cmp_gt_u32_e32 vcc_lo, 30, v29
	v_add_nc_u32_e32 v32, 2, v29
	s_mov_b32 s31, exec_lo
	s_wait_dscnt 0x0
	v_cndmask_b32_e64 v31, 0, 2, vcc_lo
	s_delay_alu instid0(VALU_DEP_1)
	v_add_lshl_u32 v31, v31, v29, 2
	ds_bpermute_b32 v33, v31, v38
	v_cmpx_le_u32_e64 v32, v5
	s_cbranch_execz .LBB1535_110
; %bb.109:
	v_cmp_eq_u16_e32 vcc_lo, 0, v9
	s_wait_dscnt 0x0
	v_lshrrev_b32_e32 v8, 16, v33
	v_and_b32_e32 v9, 1, v9
	s_delay_alu instid0(VALU_DEP_2) | instskip(NEXT) | instid1(VALU_DEP_2)
	v_dual_cndmask_b32 v33, 0, v33, vcc_lo :: v_dual_bitop2_b32 v8, 1, v8 bitop3:0x40
	v_cmp_eq_u32_e32 vcc_lo, 1, v9
	s_delay_alu instid0(VALU_DEP_2) | instskip(NEXT) | instid1(VALU_DEP_3)
	v_add_nc_u16 v6, v33, v6
	v_cndmask_b32_e64 v8, v8, 1, vcc_lo
	s_delay_alu instid0(VALU_DEP_2) | instskip(NEXT) | instid1(VALU_DEP_2)
	v_and_b32_e32 v9, 0xffff, v6
	v_lshlrev_b32_e32 v33, 16, v8
	s_delay_alu instid0(VALU_DEP_1)
	v_dual_mov_b32 v9, v8 :: v_dual_bitop2_b32 v38, v33, v9 bitop3:0x54
.LBB1535_110:
	s_or_b32 exec_lo, exec_lo, s31
	v_cmp_gt_u32_e32 vcc_lo, 28, v29
	v_add_nc_u32_e32 v34, 4, v29
	s_mov_b32 s31, exec_lo
	s_wait_dscnt 0x0
	v_cndmask_b32_e64 v33, 0, 4, vcc_lo
	s_delay_alu instid0(VALU_DEP_1)
	v_add_lshl_u32 v33, v33, v29, 2
	ds_bpermute_b32 v35, v33, v38
	v_cmpx_le_u32_e64 v34, v5
	s_cbranch_execz .LBB1535_112
; %bb.111:
	v_cmp_eq_u16_e32 vcc_lo, 0, v9
	s_wait_dscnt 0x0
	v_dual_lshrrev_b32 v8, 16, v35 :: v_dual_bitop2_b32 v9, 1, v9 bitop3:0x40
	s_delay_alu instid0(VALU_DEP_1) | instskip(NEXT) | instid1(VALU_DEP_2)
	v_dual_cndmask_b32 v35, 0, v35, vcc_lo :: v_dual_bitop2_b32 v8, 1, v8 bitop3:0x40
	v_cmp_eq_u32_e32 vcc_lo, 1, v9
	s_delay_alu instid0(VALU_DEP_2) | instskip(NEXT) | instid1(VALU_DEP_3)
	v_add_nc_u16 v6, v35, v6
	v_cndmask_b32_e64 v8, v8, 1, vcc_lo
	s_delay_alu instid0(VALU_DEP_2) | instskip(NEXT) | instid1(VALU_DEP_2)
	v_and_b32_e32 v9, 0xffff, v6
	v_lshlrev_b32_e32 v35, 16, v8
	s_delay_alu instid0(VALU_DEP_1)
	v_dual_mov_b32 v9, v8 :: v_dual_bitop2_b32 v38, v35, v9 bitop3:0x54
.LBB1535_112:
	s_or_b32 exec_lo, exec_lo, s31
	v_cmp_gt_u32_e32 vcc_lo, 24, v29
	v_add_nc_u32_e32 v36, 8, v29
	s_mov_b32 s31, exec_lo
	s_wait_dscnt 0x0
	v_cndmask_b32_e64 v35, 0, 8, vcc_lo
	s_delay_alu instid0(VALU_DEP_1)
	v_add_lshl_u32 v35, v35, v29, 2
	ds_bpermute_b32 v37, v35, v38
	v_cmpx_le_u32_e64 v36, v5
	s_cbranch_execz .LBB1535_114
; %bb.113:
	v_cmp_eq_u16_e32 vcc_lo, 0, v9
	s_wait_dscnt 0x0
	v_lshrrev_b32_e32 v8, 16, v37
	v_and_b32_e32 v9, 1, v9
	s_delay_alu instid0(VALU_DEP_2) | instskip(NEXT) | instid1(VALU_DEP_2)
	v_dual_cndmask_b32 v37, 0, v37, vcc_lo :: v_dual_bitop2_b32 v8, 1, v8 bitop3:0x40
	v_cmp_eq_u32_e32 vcc_lo, 1, v9
	s_delay_alu instid0(VALU_DEP_2) | instskip(NEXT) | instid1(VALU_DEP_3)
	v_add_nc_u16 v6, v37, v6
	v_cndmask_b32_e64 v8, v8, 1, vcc_lo
	s_delay_alu instid0(VALU_DEP_2) | instskip(NEXT) | instid1(VALU_DEP_2)
	v_and_b32_e32 v9, 0xffff, v6
	v_lshlrev_b32_e32 v37, 16, v8
	s_delay_alu instid0(VALU_DEP_1)
	v_dual_mov_b32 v9, v8 :: v_dual_bitop2_b32 v38, v37, v9 bitop3:0x54
.LBB1535_114:
	s_or_b32 exec_lo, exec_lo, s31
	s_wait_dscnt 0x0
	v_lshl_or_b32 v37, v29, 2, 64
	v_add_nc_u32_e32 v39, 16, v29
	s_mov_b32 s31, exec_lo
	ds_bpermute_b32 v38, v37, v38
	v_cmpx_le_u32_e64 v39, v5
	s_cbranch_execz .LBB1535_116
; %bb.115:
	v_cmp_eq_u16_e32 vcc_lo, 0, v9
	s_wait_dscnt 0x0
	v_dual_lshrrev_b32 v5, 16, v38 :: v_dual_bitop2_b32 v9, 1, v9 bitop3:0x40
	s_delay_alu instid0(VALU_DEP_1) | instskip(NEXT) | instid1(VALU_DEP_2)
	v_dual_cndmask_b32 v8, 0, v38, vcc_lo :: v_dual_bitop2_b32 v5, 1, v5 bitop3:0x40
	v_cmp_eq_u32_e32 vcc_lo, 1, v9
	s_delay_alu instid0(VALU_DEP_2) | instskip(NEXT) | instid1(VALU_DEP_3)
	v_add_nc_u16 v6, v8, v6
	v_cndmask_b32_e64 v8, v5, 1, vcc_lo
.LBB1535_116:
	s_or_b32 exec_lo, exec_lo, s31
	v_mov_b32_e32 v5, 0
	s_branch .LBB1535_119
.LBB1535_117:                           ;   in Loop: Header=BB1535_119 Depth=1
	s_or_b32 exec_lo, exec_lo, s31
	v_and_b32_e32 v8, 0xff, v38
	v_subrev_nc_u32_e32 v4, 32, v4
	s_mov_b32 s31, 0
	v_and_b32_e32 v9, 1, v9
	s_delay_alu instid0(VALU_DEP_3) | instskip(SKIP_2) | instid1(VALU_DEP_2)
	v_cmp_eq_u16_e32 vcc_lo, 0, v8
	v_and_b32_e32 v8, 1, v38
	v_cndmask_b32_e32 v6, 0, v6, vcc_lo
	v_cmp_eq_u32_e32 vcc_lo, 1, v8
	s_delay_alu instid0(VALU_DEP_2)
	v_add_nc_u16 v6, v6, v40
	v_cndmask_b32_e64 v8, v9, 1, vcc_lo
.LBB1535_118:                           ;   in Loop: Header=BB1535_119 Depth=1
	s_and_b32 vcc_lo, exec_lo, s31
	s_cbranch_vccnz .LBB1535_147
.LBB1535_119:                           ; =>This Loop Header: Depth=1
                                        ;     Child Loop BB1535_122 Depth 2
	v_and_b32_e32 v7, 0xff, v7
	s_wait_dscnt 0x0
	v_dual_mov_b32 v38, v8 :: v_dual_mov_b32 v40, v6
	s_mov_b32 s31, -1
                                        ; implicit-def: $vgpr8
	s_delay_alu instid0(VALU_DEP_2)
	v_cmp_ne_u16_e32 vcc_lo, 2, v7
                                        ; implicit-def: $vgpr6
	s_cmp_lg_u32 vcc_lo, exec_lo
	s_cbranch_scc1 .LBB1535_118
; %bb.120:                              ;   in Loop: Header=BB1535_119 Depth=1
	global_load_b64 v[6:7], v4, s[16:17] scale_offset scope:SCOPE_DEV
	s_mov_b32 s31, exec_lo
	s_wait_loadcnt 0x0
	v_and_b32_e32 v8, 0xff, v7
	s_wait_xcnt 0x0
	s_delay_alu instid0(VALU_DEP_1)
	v_cmpx_eq_u16_e32 0, v8
	s_cbranch_execz .LBB1535_124
; %bb.121:                              ;   in Loop: Header=BB1535_119 Depth=1
	v_lshl_add_u64 v[8:9], v[4:5], 3, s[16:17]
	s_mov_b32 s34, 0
.LBB1535_122:                           ;   Parent Loop BB1535_119 Depth=1
                                        ; =>  This Inner Loop Header: Depth=2
	global_load_b64 v[6:7], v[8:9], off scope:SCOPE_DEV
	s_wait_loadcnt 0x0
	v_and_b32_e32 v41, 0xff, v7
	s_delay_alu instid0(VALU_DEP_1)
	v_cmp_ne_u16_e32 vcc_lo, 0, v41
	s_or_b32 s34, vcc_lo, s34
	s_wait_xcnt 0x0
	s_and_not1_b32 exec_lo, exec_lo, s34
	s_cbranch_execnz .LBB1535_122
; %bb.123:                              ;   in Loop: Header=BB1535_119 Depth=1
	s_or_b32 exec_lo, exec_lo, s34
.LBB1535_124:                           ;   in Loop: Header=BB1535_119 Depth=1
	s_delay_alu instid0(SALU_CYCLE_1)
	s_or_b32 exec_lo, exec_lo, s31
	v_and_b32_e32 v42, 0xffffff, v6
	v_and_b32_e32 v8, 0xff, v7
	v_lshrrev_b32_e32 v9, 16, v6
	v_bfe_u32 v41, v6, 16, 8
	s_mov_b32 s31, exec_lo
	ds_bpermute_b32 v43, v3, v42
	v_cmp_eq_u16_e32 vcc_lo, 2, v8
	v_and_or_b32 v8, vcc_lo, v30, 0x80000000
	s_delay_alu instid0(VALU_DEP_1) | instskip(NEXT) | instid1(VALU_DEP_1)
	v_ctz_i32_b32_e32 v8, v8
	v_cmpx_lt_u32_e64 v29, v8
	s_cbranch_execz .LBB1535_126
; %bb.125:                              ;   in Loop: Header=BB1535_119 Depth=1
	v_and_b32_e32 v9, 0xff0000, v6
	s_delay_alu instid0(VALU_DEP_1) | instskip(SKIP_3) | instid1(VALU_DEP_1)
	v_and_b32_e32 v42, 0x10000, v9
	v_cmp_eq_u32_e32 vcc_lo, 0, v9
	s_wait_dscnt 0x0
	v_dual_lshrrev_b32 v41, 16, v43 :: v_dual_cndmask_b32 v43, 0, v43, vcc_lo
	v_and_b32_e32 v41, 1, v41
	v_cmp_ne_u32_e32 vcc_lo, 0, v42
	s_delay_alu instid0(VALU_DEP_3) | instskip(NEXT) | instid1(VALU_DEP_3)
	v_add_nc_u16 v6, v43, v6
	v_cndmask_b32_e64 v9, v41, 1, vcc_lo
	s_delay_alu instid0(VALU_DEP_2) | instskip(NEXT) | instid1(VALU_DEP_2)
	v_and_b32_e32 v42, 0xffff, v6
	v_lshlrev_b32_e32 v41, 16, v9
	s_delay_alu instid0(VALU_DEP_1)
	v_or_b32_e32 v42, v41, v42
	v_mov_b32_e32 v41, v9
.LBB1535_126:                           ;   in Loop: Header=BB1535_119 Depth=1
	s_or_b32 exec_lo, exec_lo, s31
	s_wait_dscnt 0x0
	ds_bpermute_b32 v43, v31, v42
	s_mov_b32 s31, exec_lo
	v_cmpx_le_u32_e64 v32, v8
	s_cbranch_execz .LBB1535_128
; %bb.127:                              ;   in Loop: Header=BB1535_119 Depth=1
	v_cmp_eq_u16_e32 vcc_lo, 0, v41
	s_wait_dscnt 0x0
	v_dual_lshrrev_b32 v9, 16, v43 :: v_dual_bitop2_b32 v41, 1, v41 bitop3:0x40
	s_delay_alu instid0(VALU_DEP_1) | instskip(NEXT) | instid1(VALU_DEP_2)
	v_dual_cndmask_b32 v42, 0, v43, vcc_lo :: v_dual_bitop2_b32 v9, 1, v9 bitop3:0x40
	v_cmp_eq_u32_e32 vcc_lo, 1, v41
	s_delay_alu instid0(VALU_DEP_2) | instskip(NEXT) | instid1(VALU_DEP_3)
	v_add_nc_u16 v6, v42, v6
	v_cndmask_b32_e64 v9, v9, 1, vcc_lo
	s_delay_alu instid0(VALU_DEP_2) | instskip(NEXT) | instid1(VALU_DEP_2)
	v_and_b32_e32 v41, 0xffff, v6
	v_lshlrev_b32_e32 v42, 16, v9
	s_delay_alu instid0(VALU_DEP_1)
	v_dual_mov_b32 v41, v9 :: v_dual_bitop2_b32 v42, v42, v41 bitop3:0x54
.LBB1535_128:                           ;   in Loop: Header=BB1535_119 Depth=1
	s_or_b32 exec_lo, exec_lo, s31
	s_wait_dscnt 0x0
	ds_bpermute_b32 v43, v33, v42
	s_mov_b32 s31, exec_lo
	v_cmpx_le_u32_e64 v34, v8
	s_cbranch_execz .LBB1535_130
; %bb.129:                              ;   in Loop: Header=BB1535_119 Depth=1
	v_cmp_eq_u16_e32 vcc_lo, 0, v41
	s_wait_dscnt 0x0
	v_dual_lshrrev_b32 v9, 16, v43 :: v_dual_bitop2_b32 v41, 1, v41 bitop3:0x40
	s_delay_alu instid0(VALU_DEP_1) | instskip(NEXT) | instid1(VALU_DEP_2)
	v_dual_cndmask_b32 v42, 0, v43, vcc_lo :: v_dual_bitop2_b32 v9, 1, v9 bitop3:0x40
	v_cmp_eq_u32_e32 vcc_lo, 1, v41
	s_delay_alu instid0(VALU_DEP_2) | instskip(NEXT) | instid1(VALU_DEP_3)
	v_add_nc_u16 v6, v42, v6
	v_cndmask_b32_e64 v9, v9, 1, vcc_lo
	s_delay_alu instid0(VALU_DEP_2) | instskip(NEXT) | instid1(VALU_DEP_2)
	v_and_b32_e32 v41, 0xffff, v6
	v_lshlrev_b32_e32 v42, 16, v9
	s_delay_alu instid0(VALU_DEP_1)
	v_dual_mov_b32 v41, v9 :: v_dual_bitop2_b32 v42, v42, v41 bitop3:0x54
.LBB1535_130:                           ;   in Loop: Header=BB1535_119 Depth=1
	;; [unrolled: 22-line block ×3, first 2 shown]
	s_or_b32 exec_lo, exec_lo, s31
	ds_bpermute_b32 v42, v37, v42
	s_mov_b32 s31, exec_lo
	v_cmpx_le_u32_e64 v39, v8
	s_cbranch_execz .LBB1535_117
; %bb.133:                              ;   in Loop: Header=BB1535_119 Depth=1
	v_cmp_eq_u16_e32 vcc_lo, 0, v41
	s_wait_dscnt 0x0
	v_dual_lshrrev_b32 v41, 16, v42 :: v_dual_bitop2_b32 v9, 1, v41 bitop3:0x40
	v_cndmask_b32_e32 v8, 0, v42, vcc_lo
	s_delay_alu instid0(VALU_DEP_2) | instskip(NEXT) | instid1(VALU_DEP_2)
	v_cmp_eq_u32_e32 vcc_lo, 1, v9
	v_add_nc_u16 v6, v8, v6
	s_delay_alu instid0(VALU_DEP_4)
	v_cndmask_b32_e64 v9, v41, 1, vcc_lo
	s_branch .LBB1535_117
.LBB1535_134:
	s_or_b32 exec_lo, exec_lo, s13
                                        ; implicit-def: $vgpr15
	s_and_saveexec_b32 s13, s0
	s_cbranch_execz .LBB1535_33
.LBB1535_135:
	flat_load_u16 v15, v0, s[30:31] offset:512 scale_offset
	s_wait_xcnt 0x0
	s_or_b32 exec_lo, exec_lo, s13
                                        ; implicit-def: $vgpr16
	s_and_saveexec_b32 s0, s1
	s_cbranch_execnz .LBB1535_34
.LBB1535_136:
	s_or_b32 exec_lo, exec_lo, s0
                                        ; implicit-def: $vgpr17
	s_and_saveexec_b32 s0, s2
	s_cbranch_execz .LBB1535_35
.LBB1535_137:
	flat_load_u16 v17, v0, s[30:31] offset:1536 scale_offset
	s_wait_xcnt 0x0
	s_or_b32 exec_lo, exec_lo, s0
                                        ; implicit-def: $vgpr18
	s_and_saveexec_b32 s0, s3
	s_cbranch_execnz .LBB1535_36
.LBB1535_138:
	s_or_b32 exec_lo, exec_lo, s0
                                        ; implicit-def: $vgpr19
	s_and_saveexec_b32 s0, s4
	s_cbranch_execz .LBB1535_37
.LBB1535_139:
	flat_load_u16 v19, v0, s[30:31] offset:2560 scale_offset
	s_wait_xcnt 0x0
	s_or_b32 exec_lo, exec_lo, s0
                                        ; implicit-def: $vgpr20
	s_and_saveexec_b32 s0, s5
	s_cbranch_execnz .LBB1535_38
.LBB1535_140:
	s_or_b32 exec_lo, exec_lo, s0
                                        ; implicit-def: $vgpr21
	s_and_saveexec_b32 s0, s6
	s_cbranch_execz .LBB1535_39
.LBB1535_141:
	flat_load_u16 v21, v0, s[30:31] offset:3584 scale_offset
	s_wait_xcnt 0x0
	s_or_b32 exec_lo, exec_lo, s0
                                        ; implicit-def: $vgpr22
	s_and_saveexec_b32 s0, s7
	s_cbranch_execnz .LBB1535_40
.LBB1535_142:
	s_or_b32 exec_lo, exec_lo, s0
                                        ; implicit-def: $vgpr23
	s_and_saveexec_b32 s0, s8
	s_cbranch_execz .LBB1535_41
.LBB1535_143:
	flat_load_u16 v23, v0, s[30:31] offset:4608 scale_offset
	s_wait_xcnt 0x0
	s_or_b32 exec_lo, exec_lo, s0
                                        ; implicit-def: $vgpr24
	s_and_saveexec_b32 s0, s9
	s_cbranch_execnz .LBB1535_42
.LBB1535_144:
	s_or_b32 exec_lo, exec_lo, s0
                                        ; implicit-def: $vgpr25
	s_and_saveexec_b32 s0, s10
	s_cbranch_execz .LBB1535_43
.LBB1535_145:
	flat_load_u16 v25, v0, s[30:31] offset:5632 scale_offset
	s_wait_xcnt 0x0
	s_or_b32 exec_lo, exec_lo, s0
                                        ; implicit-def: $vgpr26
	s_and_saveexec_b32 s0, s11
	s_cbranch_execz .LBB1535_45
	s_branch .LBB1535_44
.LBB1535_146:
                                        ; implicit-def: $vgpr4
                                        ; implicit-def: $vgpr5
                                        ; implicit-def: $vgpr6
                                        ; implicit-def: $vgpr7
                                        ; implicit-def: $vgpr8
                                        ; implicit-def: $vgpr9
                                        ; implicit-def: $vgpr17
                                        ; implicit-def: $vgpr28
                                        ; implicit-def: $vgpr29
                                        ; implicit-def: $vgpr30
                                        ; implicit-def: $vgpr31
                                        ; implicit-def: $vgpr32
                                        ; implicit-def: $vgpr33
                                        ; implicit-def: $vgpr34
	s_cbranch_execnz .LBB1535_152
	s_branch .LBB1535_171
.LBB1535_147:
	s_and_saveexec_b32 s31, s13
	s_cbranch_execz .LBB1535_149
; %bb.148:
	v_and_b32_e32 v3, 0xff0000, v2
	v_and_b32_e32 v5, 0x10000, v2
	s_add_co_i32 s13, s28, 32
	s_delay_alu instid0(VALU_DEP_2) | instskip(SKIP_1) | instid1(VALU_DEP_1)
	v_cmp_eq_u32_e32 vcc_lo, 0, v3
	v_dual_cndmask_b32 v3, 0, v40, vcc_lo :: v_dual_bitop2_b32 v4, 1, v38 bitop3:0x40
	v_lshlrev_b32_e32 v4, 16, v4
	v_cmp_eq_u32_e32 vcc_lo, 0, v5
	s_delay_alu instid0(VALU_DEP_3) | instskip(NEXT) | instid1(VALU_DEP_3)
	v_add_nc_u16 v2, v3, v2
	v_dual_mov_b32 v3, 2 :: v_dual_cndmask_b32 v4, 0x10000, v4
	s_delay_alu instid0(VALU_DEP_2) | instskip(NEXT) | instid1(VALU_DEP_1)
	v_and_b32_e32 v2, 0xffff, v2
	v_dual_mov_b32 v4, s13 :: v_dual_bitop2_b32 v2, v4, v2 bitop3:0x54
	global_store_b64 v4, v[2:3], s[16:17] scale_offset scope:SCOPE_DEV
.LBB1535_149:
	s_wait_xcnt 0x0
	s_or_b32 exec_lo, exec_lo, s31
	s_delay_alu instid0(SALU_CYCLE_1)
	s_and_b32 exec_lo, exec_lo, s12
	s_cbranch_execz .LBB1535_151
; %bb.150:
	v_mov_b32_e32 v2, 0
	ds_store_b16 v2, v40
	ds_store_b8 v2, v38 offset:2
.LBB1535_151:
	s_or_b32 exec_lo, exec_lo, s30
	v_mov_b32_e32 v2, 0
	s_wait_storecnt_dscnt 0x0
	s_barrier_signal -1
	s_barrier_wait -1
	ds_load_b32 v2, v2
	v_and_b32_e32 v3, 0xff, v28
	v_and_b32_e32 v5, 0xff0000, v1
	s_delay_alu instid0(VALU_DEP_2) | instskip(SKIP_2) | instid1(VALU_DEP_3)
	v_cmp_eq_u16_e32 vcc_lo, 0, v3
	s_wait_dscnt 0x0
	v_cndmask_b32_e32 v3, 0, v2, vcc_lo
	v_cmp_eq_u32_e32 vcc_lo, 0, v5
	s_delay_alu instid0(VALU_DEP_2) | instskip(NEXT) | instid1(VALU_DEP_1)
	v_add_nc_u16 v3, v3, v17
	v_cndmask_b32_e64 v4, v3, v2, s12
	s_delay_alu instid0(VALU_DEP_1) | instskip(NEXT) | instid1(VALU_DEP_1)
	v_cndmask_b32_e32 v2, 0, v4, vcc_lo
	v_add_nc_u16 v5, v2, v1
	s_delay_alu instid0(VALU_DEP_1) | instskip(NEXT) | instid1(VALU_DEP_1)
	v_cndmask_b32_e64 v2, 0, v5, s11
	v_add_nc_u16 v6, v2, v14
	s_delay_alu instid0(VALU_DEP_1) | instskip(NEXT) | instid1(VALU_DEP_1)
	v_cndmask_b32_e64 v2, 0, v6, s10
	v_add_nc_u16 v7, v2, v15
	s_delay_alu instid0(VALU_DEP_1) | instskip(NEXT) | instid1(VALU_DEP_1)
	v_cndmask_b32_e64 v2, 0, v7, s9
	v_add_nc_u16 v8, v2, v26
	s_delay_alu instid0(VALU_DEP_1) | instskip(NEXT) | instid1(VALU_DEP_1)
	v_cndmask_b32_e64 v2, 0, v8, s8
	v_add_nc_u16 v9, v2, v27
	s_delay_alu instid0(VALU_DEP_1) | instskip(NEXT) | instid1(VALU_DEP_1)
	v_cndmask_b32_e64 v2, 0, v9, s7
	v_add_nc_u16 v17, v2, v24
	s_delay_alu instid0(VALU_DEP_1) | instskip(NEXT) | instid1(VALU_DEP_1)
	v_cndmask_b32_e64 v2, 0, v17, s6
	v_add_nc_u16 v28, v2, v25
	s_delay_alu instid0(VALU_DEP_1) | instskip(NEXT) | instid1(VALU_DEP_1)
	v_cndmask_b32_e64 v2, 0, v28, s5
	v_add_nc_u16 v29, v2, v22
	s_delay_alu instid0(VALU_DEP_1) | instskip(NEXT) | instid1(VALU_DEP_1)
	v_cndmask_b32_e64 v2, 0, v29, s3
	v_add_nc_u16 v30, v2, v23
	s_delay_alu instid0(VALU_DEP_1) | instskip(NEXT) | instid1(VALU_DEP_1)
	v_cndmask_b32_e64 v2, 0, v30, s4
	v_add_nc_u16 v31, v2, v20
	s_delay_alu instid0(VALU_DEP_1) | instskip(NEXT) | instid1(VALU_DEP_1)
	v_cndmask_b32_e64 v2, 0, v31, s2
	v_add_nc_u16 v32, v2, v21
	s_delay_alu instid0(VALU_DEP_1) | instskip(NEXT) | instid1(VALU_DEP_1)
	v_cndmask_b32_e64 v2, 0, v32, s1
	v_add_nc_u16 v33, v2, v18
	s_delay_alu instid0(VALU_DEP_1) | instskip(NEXT) | instid1(VALU_DEP_1)
	v_cndmask_b32_e64 v2, 0, v33, s0
	v_add_nc_u16 v34, v2, v19
	s_branch .LBB1535_171
.LBB1535_152:
	s_cmp_eq_u64 s[24:25], 0
	v_mov_b32_e32 v2, s33
	s_cselect_b32 s0, -1, 0
	s_cmp_eq_u64 s[22:23], 0
	s_cselect_b32 s1, -1, 0
	s_delay_alu instid0(SALU_CYCLE_1) | instskip(NEXT) | instid1(SALU_CYCLE_1)
	s_or_b32 s0, s0, s1
	s_and_b32 vcc_lo, exec_lo, s0
	s_cbranch_vccnz .LBB1535_154
; %bb.153:
	v_mov_b32_e32 v2, 0
	global_load_u16 v2, v2, s[22:23]
.LBB1535_154:
	v_cmp_gt_u32_e32 vcc_lo, 0x10000, v14
	v_cmp_gt_u32_e64 s0, 0x10000, v15
	v_cmp_gt_u32_e64 s1, 0x10000, v26
	;; [unrolled: 1-line block ×4, first 2 shown]
	v_dual_cndmask_b32 v3, 0, v1, vcc_lo :: v_dual_bitop2_b32 v6, 28, v12 bitop3:0x40
	v_cmp_gt_u32_e64 s4, 0x10000, v25
	v_cmp_gt_u32_e64 s5, 0x10000, v22
	;; [unrolled: 1-line block ×3, first 2 shown]
	s_delay_alu instid0(VALU_DEP_4)
	v_add_nc_u16 v3, v3, v14
	v_cmp_gt_u32_e64 s7, 0x10000, v20
	v_cmp_gt_u32_e64 s8, 0x10000, v21
	;; [unrolled: 1-line block ×3, first 2 shown]
	v_or3_b32 v4, v16, v25, v24
	v_cndmask_b32_e64 v3, 0, v3, s0
	v_cmp_gt_u32_e64 s10, 0x10000, v19
	v_or3_b32 v5, v13, v20, v10
	v_cmp_gt_u32_e64 s11, 0x10000, v10
	v_or3_b32 v4, v4, v27, v26
	v_add_nc_u16 v3, v3, v15
	v_lshl_add_u32 v6, v0, 2, v6
	s_mov_b32 s12, exec_lo
	s_delay_alu instid0(VALU_DEP_3) | instskip(NEXT) | instid1(VALU_DEP_3)
	v_or3_b32 v4, v4, v15, v14
	v_cndmask_b32_e64 v3, 0, v3, s1
	s_delay_alu instid0(VALU_DEP_2) | instskip(NEXT) | instid1(VALU_DEP_2)
	v_bitop3_b32 v5, v5, 0xff0000, v4 bitop3:0xc8
	v_add_nc_u16 v3, v3, v26
	s_delay_alu instid0(VALU_DEP_1) | instskip(NEXT) | instid1(VALU_DEP_1)
	v_cndmask_b32_e64 v3, 0, v3, s2
	v_add_nc_u16 v3, v3, v27
	s_delay_alu instid0(VALU_DEP_1) | instskip(NEXT) | instid1(VALU_DEP_1)
	v_cndmask_b32_e64 v3, 0, v3, s3
	;; [unrolled: 3-line block ×9, first 2 shown]
	v_add_nc_u16 v3, v3, v19
	s_delay_alu instid0(VALU_DEP_1) | instskip(SKIP_1) | instid1(VALU_DEP_2)
	v_cndmask_b32_e64 v3, 0, v3, s11
	v_cmp_eq_u32_e64 s11, 0, v5
	v_add_nc_u16 v4, v3, v10
	s_delay_alu instid0(VALU_DEP_2)
	v_cndmask_b32_e64 v5, 1, v11, s11
	ds_store_b16 v6, v4
	ds_store_b8 v6, v5 offset:2
	s_wait_loadcnt_dscnt 0x0
	s_barrier_signal -1
	s_barrier_wait -1
	v_cmpx_gt_u32_e32 32, v0
	s_cbranch_execz .LBB1535_166
; %bb.155:
	v_and_b32_e32 v3, 0xfc, v0
	v_lshlrev_b32_e32 v6, 5, v0
	s_mov_b32 s13, exec_lo
	s_delay_alu instid0(VALU_DEP_1)
	v_add_nc_u32_e32 v3, v3, v6
	ds_load_u8 v7, v3 offset:6
	ds_load_b32 v6, v3
	ds_load_u16 v8, v3 offset:4
	ds_load_u8 v9, v3 offset:10
	ds_load_u16 v10, v3 offset:8
	ds_load_u16 v11, v3 offset:12
	ds_load_u8 v12, v3 offset:14
	ds_load_u16 v13, v3 offset:16
	s_wait_dscnt 0x7
	v_cmp_eq_u16_e64 s11, 0, v7
	s_wait_dscnt 0x4
	s_delay_alu instid0(VALU_DEP_1) | instskip(SKIP_1) | instid1(VALU_DEP_2)
	v_dual_cndmask_b32 v16, 0, v6, s11 :: v_dual_bitop2_b32 v7, v9, v7 bitop3:0x54
	v_cmp_eq_u16_e64 s11, 0, v9
	v_add_nc_u16 v8, v16, v8
	ds_load_u8 v16, v3 offset:18
	v_cndmask_b32_e64 v8, 0, v8, s11
	s_wait_dscnt 0x2
	v_cmp_eq_u16_e64 s11, 0, v12
	s_delay_alu instid0(VALU_DEP_2) | instskip(SKIP_2) | instid1(VALU_DEP_1)
	v_add_nc_u16 v8, v8, v10
	ds_load_u8 v10, v3 offset:22
	v_cndmask_b32_e64 v8, 0, v8, s11
	v_add_nc_u16 v8, v8, v11
	s_wait_dscnt 0x1
	v_cmp_eq_u16_e64 s11, 0, v16
	ds_load_u16 v11, v3 offset:20
	ds_load_u16 v17, v3 offset:24
	ds_load_u8 v28, v3 offset:26
	ds_load_u16 v29, v3 offset:28
	ds_load_u8 v30, v3 offset:30
	v_bitop3_b16 v9, v7, v16, v12 bitop3:0xfe
	v_and_b32_e32 v7, 0x10000, v6
	v_cndmask_b32_e64 v8, 0, v8, s11
	s_delay_alu instid0(VALU_DEP_1) | instskip(SKIP_2) | instid1(VALU_DEP_1)
	v_add_nc_u16 v8, v8, v13
	s_wait_dscnt 0x5
	v_cmp_eq_u16_e64 s11, 0, v10
	v_cndmask_b32_e64 v8, 0, v8, s11
	s_wait_dscnt 0x2
	v_cmp_eq_u16_e64 s11, 0, v28
	v_bitop3_b16 v9, v9, v28, v10 bitop3:0xfe
	s_delay_alu instid0(VALU_DEP_3) | instskip(SKIP_1) | instid1(VALU_DEP_1)
	v_add_nc_u16 v8, v8, v11
	s_wait_dscnt 0x0
	v_dual_cndmask_b32 v8, 0, v8, s11 :: v_dual_bitop2_b32 v10, 1, v30 bitop3:0x40
	v_cmp_eq_u16_e64 s11, 0, v30
	s_delay_alu instid0(VALU_DEP_2) | instskip(NEXT) | instid1(VALU_DEP_1)
	v_add_nc_u16 v8, v8, v17
	v_cndmask_b32_e64 v8, 0, v8, s11
	v_cmp_eq_u16_e64 s11, 0, v9
	s_delay_alu instid0(VALU_DEP_2) | instskip(NEXT) | instid1(VALU_DEP_2)
	v_add_nc_u16 v9, v8, v29
	v_cndmask_b32_e64 v11, 0x10000, v7, s11
	v_cmp_eq_u32_e64 s11, 1, v10
	v_and_b32_e32 v8, 0xff000000, v6
	v_mbcnt_lo_u32_b32 v10, -1, 0
	v_and_b32_e32 v12, 0xffff, v9
	s_delay_alu instid0(VALU_DEP_4) | instskip(NEXT) | instid1(VALU_DEP_1)
	v_cndmask_b32_e64 v11, v11, 0x10000, s11
	v_or_b32_e32 v13, v11, v8
	s_delay_alu instid0(VALU_DEP_3) | instskip(NEXT) | instid1(VALU_DEP_2)
	v_or3_b32 v16, v8, v12, v11
	v_dual_lshrrev_b32 v12, 16, v13 :: v_dual_bitop2_b32 v11, 15, v10 bitop3:0x40
	s_delay_alu instid0(VALU_DEP_2) | instskip(NEXT) | instid1(VALU_DEP_2)
	v_mov_b32_dpp v17, v16 row_shr:1 row_mask:0xf bank_mask:0xf
	v_cmpx_ne_u32_e32 0, v11
	s_cbranch_execz .LBB1535_157
; %bb.156:
	s_delay_alu instid0(VALU_DEP_2) | instskip(SKIP_2) | instid1(VALU_DEP_3)
	v_lshrrev_b32_e32 v16, 16, v17
	v_lshrrev_b32_e32 v12, 16, v13
	v_and_b32_e32 v13, 0x10000, v13
	v_and_b32_e32 v16, 1, v16
	s_delay_alu instid0(VALU_DEP_3) | instskip(NEXT) | instid1(VALU_DEP_1)
	v_and_b32_e32 v12, 0xff, v12
	v_cmp_eq_u16_e64 s11, 0, v12
	s_delay_alu instid0(VALU_DEP_1) | instskip(SKIP_1) | instid1(VALU_DEP_2)
	v_cndmask_b32_e64 v17, 0, v17, s11
	v_cmp_ne_u32_e64 s11, 0, v13
	v_add_nc_u16 v9, v17, v9
	s_delay_alu instid0(VALU_DEP_2) | instskip(NEXT) | instid1(VALU_DEP_2)
	v_cndmask_b32_e64 v12, v16, 1, s11
	v_and_b32_e32 v16, 0xffff, v9
	s_delay_alu instid0(VALU_DEP_2) | instskip(NEXT) | instid1(VALU_DEP_1)
	v_lshlrev_b32_e32 v13, 16, v12
	v_or3_b32 v16, v13, v16, v8
.LBB1535_157:
	s_or_b32 exec_lo, exec_lo, s13
	s_delay_alu instid0(VALU_DEP_1)
	v_lshrrev_b32_e32 v13, 16, v16
	v_mov_b32_dpp v17, v16 row_shr:2 row_mask:0xf bank_mask:0xf
	s_mov_b32 s13, exec_lo
	v_cmpx_lt_u32_e32 1, v11
	s_cbranch_execz .LBB1535_159
; %bb.158:
	v_and_b32_e32 v13, 0xff, v13
	v_and_b32_e32 v16, 0x10000, v16
	s_delay_alu instid0(VALU_DEP_2) | instskip(NEXT) | instid1(VALU_DEP_1)
	v_cmp_eq_u16_e64 s11, 0, v13
	v_dual_lshrrev_b32 v12, 16, v17 :: v_dual_cndmask_b32 v13, 0, v17, s11
	s_delay_alu instid0(VALU_DEP_1) | instskip(NEXT) | instid1(VALU_DEP_4)
	v_and_b32_e32 v12, 1, v12
	v_cmp_ne_u32_e64 s11, 0, v16
	s_delay_alu instid0(VALU_DEP_3) | instskip(NEXT) | instid1(VALU_DEP_2)
	v_add_nc_u16 v9, v13, v9
	v_cndmask_b32_e64 v12, v12, 1, s11
	s_delay_alu instid0(VALU_DEP_2) | instskip(NEXT) | instid1(VALU_DEP_2)
	v_and_b32_e32 v16, 0xffff, v9
	v_lshlrev_b32_e32 v13, 16, v12
	s_delay_alu instid0(VALU_DEP_1)
	v_or3_b32 v16, v13, v16, v8
	v_mov_b32_e32 v13, v12
.LBB1535_159:
	s_or_b32 exec_lo, exec_lo, s13
	s_delay_alu instid0(VALU_DEP_2)
	v_mov_b32_dpp v17, v16 row_shr:4 row_mask:0xf bank_mask:0xf
	s_mov_b32 s13, exec_lo
	v_cmpx_lt_u32_e32 3, v11
	s_cbranch_execz .LBB1535_161
; %bb.160:
	v_and_b32_e32 v16, 0xff, v13
	v_and_b32_e32 v13, 1, v13
	s_delay_alu instid0(VALU_DEP_2) | instskip(NEXT) | instid1(VALU_DEP_1)
	v_cmp_eq_u16_e64 s11, 0, v16
	v_dual_lshrrev_b32 v12, 16, v17 :: v_dual_cndmask_b32 v16, 0, v17, s11
	s_delay_alu instid0(VALU_DEP_1) | instskip(NEXT) | instid1(VALU_DEP_4)
	v_and_b32_e32 v12, 1, v12
	v_cmp_eq_u32_e64 s11, 1, v13
	s_delay_alu instid0(VALU_DEP_3) | instskip(NEXT) | instid1(VALU_DEP_2)
	v_add_nc_u16 v9, v16, v9
	v_cndmask_b32_e64 v12, v12, 1, s11
	s_delay_alu instid0(VALU_DEP_2) | instskip(NEXT) | instid1(VALU_DEP_2)
	v_and_b32_e32 v16, 0xffff, v9
	v_lshlrev_b32_e32 v13, 16, v12
	s_delay_alu instid0(VALU_DEP_1)
	v_or3_b32 v16, v13, v16, v8
	v_mov_b32_e32 v13, v12
.LBB1535_161:
	s_or_b32 exec_lo, exec_lo, s13
	s_delay_alu instid0(VALU_DEP_2)
	v_mov_b32_dpp v17, v16 row_shr:8 row_mask:0xf bank_mask:0xf
	s_mov_b32 s13, exec_lo
	v_cmpx_lt_u32_e32 7, v11
	s_cbranch_execz .LBB1535_163
; %bb.162:
	v_and_b32_e32 v12, 0xff, v13
	v_and_b32_e32 v13, 1, v13
	s_delay_alu instid0(VALU_DEP_2) | instskip(NEXT) | instid1(VALU_DEP_1)
	v_cmp_eq_u16_e64 s11, 0, v12
	v_dual_lshrrev_b32 v11, 16, v17 :: v_dual_cndmask_b32 v16, 0, v17, s11
	s_delay_alu instid0(VALU_DEP_1) | instskip(NEXT) | instid1(VALU_DEP_4)
	v_and_b32_e32 v11, 1, v11
	v_cmp_eq_u32_e64 s11, 1, v13
	s_delay_alu instid0(VALU_DEP_3) | instskip(NEXT) | instid1(VALU_DEP_2)
	v_add_nc_u16 v9, v16, v9
	v_cndmask_b32_e64 v12, v11, 1, s11
	s_delay_alu instid0(VALU_DEP_2) | instskip(NEXT) | instid1(VALU_DEP_2)
	v_and_b32_e32 v13, 0xffff, v9
	v_lshlrev_b32_e32 v11, 16, v12
	s_delay_alu instid0(VALU_DEP_1)
	v_or3_b32 v16, v11, v13, v8
	v_mov_b32_e32 v13, v12
.LBB1535_163:
	s_or_b32 exec_lo, exec_lo, s13
	ds_swizzle_b32 v11, v16 offset:swizzle(BROADCAST,32,15)
	v_and_b32_e32 v16, 16, v10
	s_mov_b32 s13, exec_lo
	s_delay_alu instid0(VALU_DEP_1)
	v_cmpx_ne_u32_e32 0, v16
	s_cbranch_execz .LBB1535_165
; %bb.164:
	v_and_b32_e32 v12, 0xff, v13
	s_delay_alu instid0(VALU_DEP_1) | instskip(SKIP_2) | instid1(VALU_DEP_1)
	v_cmp_eq_u16_e64 s11, 0, v12
	s_wait_dscnt 0x0
	v_dual_lshrrev_b32 v16, 16, v11 :: v_dual_bitop2_b32 v12, 1, v13 bitop3:0x40
	v_dual_cndmask_b32 v11, 0, v11, s11 :: v_dual_bitop2_b32 v13, 1, v16 bitop3:0x40
	s_delay_alu instid0(VALU_DEP_2) | instskip(NEXT) | instid1(VALU_DEP_2)
	v_cmp_eq_u32_e64 s11, 1, v12
	v_add_nc_u16 v9, v11, v9
	s_delay_alu instid0(VALU_DEP_2)
	v_cndmask_b32_e64 v12, v13, 1, s11
.LBB1535_165:
	s_or_b32 exec_lo, exec_lo, s13
	s_wait_dscnt 0x0
	s_delay_alu instid0(VALU_DEP_1) | instskip(SKIP_2) | instid1(VALU_DEP_3)
	v_and_b32_e32 v11, 0xff, v12
	v_add_nc_u32_e32 v12, -1, v10
	v_and_b32_e32 v9, 0xffff, v9
	; wave barrier
	v_lshlrev_b32_e32 v11, 16, v11
	s_delay_alu instid0(VALU_DEP_3) | instskip(NEXT) | instid1(VALU_DEP_2)
	v_cmp_gt_i32_e64 s11, 0, v12
	v_or3_b32 v8, v11, v9, v8
	s_delay_alu instid0(VALU_DEP_2) | instskip(NEXT) | instid1(VALU_DEP_1)
	v_cndmask_b32_e64 v10, v12, v10, s11
	v_lshlrev_b32_e32 v9, 2, v10
	ds_bpermute_b32 v8, v9, v8
	v_and_b32_e32 v9, 0xff0000, v6
	s_delay_alu instid0(VALU_DEP_1) | instskip(SKIP_1) | instid1(VALU_DEP_1)
	v_cmp_eq_u32_e64 s11, 0, v9
	s_wait_dscnt 0x0
	v_dual_lshrrev_b32 v10, 16, v8 :: v_dual_cndmask_b32 v8, 0, v8, s11
	v_cmp_eq_u32_e64 s11, 0, v7
	s_delay_alu instid0(VALU_DEP_2) | instskip(NEXT) | instid1(VALU_DEP_3)
	v_add_nc_u16 v6, v8, v6
	v_and_b32_e32 v9, 1, v10
	s_delay_alu instid0(VALU_DEP_1) | instskip(SKIP_1) | instid1(VALU_DEP_1)
	v_cndmask_b32_e64 v7, 1, v9, s11
	v_cmp_eq_u32_e64 s11, 0, v0
	v_dual_cndmask_b32 v4, v6, v4, s11 :: v_dual_cndmask_b32 v5, v7, v5, s11
	ds_store_b16 v3, v4
	ds_store_b8 v3, v5 offset:2
	; wave barrier
	ds_load_u8 v6, v3 offset:6
	ds_load_u16 v7, v3 offset:4
	ds_load_u8 v8, v3 offset:10
	ds_load_u16 v9, v3 offset:8
	ds_load_u16 v10, v3 offset:12
	ds_load_u8 v11, v3 offset:14
	ds_load_u16 v12, v3 offset:16
	ds_load_u8 v13, v3 offset:18
	s_wait_dscnt 0x7
	v_cmp_eq_u16_e64 s11, 0, v6
	s_delay_alu instid0(VALU_DEP_1) | instskip(SKIP_2) | instid1(VALU_DEP_2)
	v_cndmask_b32_e64 v4, 0, v4, s11
	s_wait_dscnt 0x5
	v_cmp_eq_u16_e64 s11, 0, v8
	v_add_nc_u16 v4, v4, v7
	s_delay_alu instid0(VALU_DEP_1) | instskip(SKIP_2) | instid1(VALU_DEP_2)
	v_cndmask_b32_e64 v7, 0, v4, s11
	s_wait_dscnt 0x2
	v_cmp_eq_u16_e64 s11, 0, v11
	v_add_nc_u16 v7, v7, v9
	v_and_b32_e32 v6, 1, v6
	ds_load_u8 v9, v3 offset:22
	ds_load_u16 v17, v3 offset:20
	ds_load_u8 v28, v3 offset:26
	ds_load_u8 v29, v3 offset:30
	v_cndmask_b32_e64 v16, 0, v7, s11
	v_cmp_eq_u32_e64 s11, 1, v6
	v_and_b32_e32 v6, 1, v11
	s_delay_alu instid0(VALU_DEP_3) | instskip(NEXT) | instid1(VALU_DEP_3)
	v_add_nc_u16 v10, v16, v10
	v_cndmask_b32_e64 v5, v5, 1, s11
	s_wait_dscnt 0x4
	v_cmp_eq_u16_e64 s11, 0, v13
	v_and_b32_e32 v8, 1, v8
	ds_load_u16 v16, v3 offset:24
	ds_load_u16 v30, v3 offset:28
	v_cndmask_b32_e64 v11, 0, v10, s11
	v_cmp_eq_u32_e64 s11, 1, v8
	s_delay_alu instid0(VALU_DEP_2) | instskip(NEXT) | instid1(VALU_DEP_2)
	v_add_nc_u16 v11, v11, v12
	v_cndmask_b32_e64 v8, v5, 1, s11
	v_cmp_eq_u32_e64 s11, 1, v6
	v_and_b32_e32 v12, 1, v13
	s_wait_dscnt 0x2
	v_and_b32_e32 v31, 1, v29
	s_delay_alu instid0(VALU_DEP_3) | instskip(SKIP_1) | instid1(VALU_DEP_1)
	v_cndmask_b32_e64 v6, v8, 1, s11
	v_cmp_eq_u16_e64 s11, 0, v9
	v_dual_cndmask_b32 v13, 0, v11, s11 :: v_dual_bitop2_b32 v9, 1, v9 bitop3:0x40
	v_cmp_eq_u32_e64 s11, 1, v12
	s_delay_alu instid0(VALU_DEP_2) | instskip(NEXT) | instid1(VALU_DEP_2)
	v_add_nc_u16 v13, v13, v17
	v_cndmask_b32_e64 v12, v6, 1, s11
	s_delay_alu instid0(VALU_DEP_4)
	v_cmp_eq_u32_e64 s11, 1, v9
	v_and_b32_e32 v17, 1, v28
	ds_store_b16 v3, v4 offset:4
	ds_store_b8 v3, v5 offset:6
	ds_store_b16 v3, v7 offset:8
	ds_store_b8 v3, v8 offset:10
	;; [unrolled: 2-line block ×4, first 2 shown]
	v_cndmask_b32_e64 v9, v12, 1, s11
	v_cmp_eq_u16_e64 s11, 0, v28
	s_delay_alu instid0(VALU_DEP_1) | instskip(SKIP_2) | instid1(VALU_DEP_2)
	v_cndmask_b32_e64 v28, 0, v13, s11
	v_cmp_eq_u32_e64 s11, 1, v17
	s_wait_dscnt 0x9
	v_add_nc_u16 v16, v28, v16
	s_delay_alu instid0(VALU_DEP_2) | instskip(SKIP_1) | instid1(VALU_DEP_1)
	v_cndmask_b32_e64 v17, v9, 1, s11
	v_cmp_eq_u32_e64 s11, 1, v31
	v_cndmask_b32_e64 v28, v17, 1, s11
	v_cmp_eq_u16_e64 s11, 0, v29
	s_delay_alu instid0(VALU_DEP_1) | instskip(SKIP_1) | instid1(VALU_DEP_1)
	v_cndmask_b32_e64 v29, 0, v16, s11
	s_wait_dscnt 0x8
	v_add_nc_u16 v4, v29, v30
	ds_store_b16 v3, v13 offset:20
	ds_store_b8 v3, v9 offset:22
	ds_store_b16 v3, v16 offset:24
	ds_store_b8 v3, v17 offset:26
	;; [unrolled: 2-line block ×3, first 2 shown]
.LBB1535_166:
	s_or_b32 exec_lo, exec_lo, s12
	v_cmp_eq_u32_e64 s11, 0, v0
	v_mov_b32_e32 v4, v2
	s_mov_b32 s13, exec_lo
	s_wait_dscnt 0x0
	s_barrier_signal -1
	s_barrier_wait -1
	v_cmpx_ne_u32_e32 0, v0
	s_cbranch_execz .LBB1535_168
; %bb.167:
	v_add_nc_u32_e32 v3, -1, v0
	s_delay_alu instid0(VALU_DEP_1) | instskip(NEXT) | instid1(VALU_DEP_1)
	v_lshrrev_b32_e32 v4, 3, v3
	v_and_b32_e32 v4, 0x1ffffffc, v4
	s_delay_alu instid0(VALU_DEP_1) | instskip(SKIP_4) | instid1(VALU_DEP_1)
	v_lshl_add_u32 v3, v3, 2, v4
	ds_load_u8 v4, v3 offset:2
	ds_load_u16 v3, v3
	s_wait_dscnt 0x1
	v_cmp_eq_u16_e64 s12, 0, v4
	v_cndmask_b32_e64 v4, 0, v2, s12
	s_wait_dscnt 0x0
	s_delay_alu instid0(VALU_DEP_1)
	v_add_nc_u16 v4, v4, v3
.LBB1535_168:
	s_or_b32 exec_lo, exec_lo, s13
	v_and_b32_e32 v3, 0xff0000, v1
	s_delay_alu instid0(VALU_DEP_1) | instskip(NEXT) | instid1(VALU_DEP_1)
	v_cmp_eq_u32_e64 s12, 0, v3
	v_cndmask_b32_e64 v3, 0, v4, s12
	s_delay_alu instid0(VALU_DEP_1) | instskip(NEXT) | instid1(VALU_DEP_1)
	v_add_nc_u16 v5, v3, v1
	v_cndmask_b32_e32 v1, 0, v5, vcc_lo
	s_delay_alu instid0(VALU_DEP_1) | instskip(NEXT) | instid1(VALU_DEP_1)
	v_add_nc_u16 v6, v1, v14
	v_cndmask_b32_e64 v1, 0, v6, s0
	s_delay_alu instid0(VALU_DEP_1) | instskip(NEXT) | instid1(VALU_DEP_1)
	v_add_nc_u16 v7, v1, v15
	v_cndmask_b32_e64 v1, 0, v7, s1
	;; [unrolled: 3-line block ×11, first 2 shown]
	s_and_saveexec_b32 s0, s11
	s_cbranch_execz .LBB1535_170
; %bb.169:
	v_mov_b32_e32 v10, 0
	ds_load_u8 v3, v10 offset:1050
	ds_load_u16 v11, v10 offset:1048
	s_wait_dscnt 0x1
	v_cmp_eq_u32_e32 vcc_lo, 0, v3
	v_dual_cndmask_b32 v2, 0, v2 :: v_dual_lshlrev_b32 v3, 16, v3
	s_wait_dscnt 0x0
	s_delay_alu instid0(VALU_DEP_1) | instskip(NEXT) | instid1(VALU_DEP_1)
	v_add_nc_u32_e32 v2, v2, v11
	v_and_b32_e32 v2, 0xffff, v2
	s_delay_alu instid0(VALU_DEP_1)
	v_dual_mov_b32 v3, 2 :: v_dual_bitop2_b32 v2, v3, v2 bitop3:0x54
	global_store_b64 v10, v[2:3], s[16:17] offset:256 scope:SCOPE_DEV
.LBB1535_170:
	s_wait_xcnt 0x0
	s_or_b32 exec_lo, exec_lo, s0
	v_add_nc_u16 v34, v1, v19
.LBB1535_171:
	v_mov_b32_e32 v1, 0
	s_add_nc_u64 s[0:1], s[14:15], s[26:27]
	s_and_b32 vcc_lo, exec_lo, s19
	s_add_nc_u64 s[0:1], s[0:1], s[20:21]
	s_cbranch_vccz .LBB1535_227
; %bb.172:
	v_mul_u32_u24_e32 v2, 14, v0
	v_dual_mov_b32 v3, 0 :: v_dual_mov_b32 v10, 0
	v_dual_mov_b32 v11, 0 :: v_dual_mov_b32 v12, 0
	;; [unrolled: 1-line block ×3, first 2 shown]
	s_add_co_i32 s29, s29, s18
	s_mov_b32 s2, exec_lo
	v_cmpx_gt_u32_e64 s29, v2
	s_cbranch_execz .LBB1535_200
; %bb.173:
	v_dual_mov_b32 v3, 0 :: v_dual_bitop2_b32 v12, 1, v2 bitop3:0x54
	v_and_b32_e32 v1, 0xffff, v4
	v_dual_mov_b32 v10, 0 :: v_dual_mov_b32 v11, 0
	s_delay_alu instid0(VALU_DEP_3)
	v_cmp_gt_u32_e32 vcc_lo, s29, v12
	v_dual_mov_b32 v12, 0 :: v_dual_mov_b32 v13, 0
	v_mov_b32_e32 v14, 0
	s_and_saveexec_b32 s3, vcc_lo
	s_cbranch_execz .LBB1535_199
; %bb.174:
	v_perm_b32 v1, v5, v1, 0x5040100
	v_dual_mov_b32 v14, 0 :: v_dual_mov_b32 v13, 0
	v_dual_mov_b32 v12, 0 :: v_dual_add_nc_u32 v15, 2, v2
	v_dual_mov_b32 v11, 0 :: v_dual_mov_b32 v10, 0
	v_mov_b32_e32 v3, 0
	s_mov_b32 s4, exec_lo
	s_delay_alu instid0(VALU_DEP_3)
	v_cmpx_gt_u32_e64 s29, v15
	s_cbranch_execz .LBB1535_198
; %bb.175:
	v_bfi_b32 v3, 0xffff, v6, 0
	v_dual_mov_b32 v14, 0 :: v_dual_add_nc_u32 v15, 3, v2
	v_dual_mov_b32 v13, 0 :: v_dual_mov_b32 v12, 0
	v_dual_mov_b32 v11, 0 :: v_dual_mov_b32 v10, 0
	s_mov_b32 s5, exec_lo
	s_delay_alu instid0(VALU_DEP_3)
	v_cmpx_gt_u32_e64 s29, v15
	s_cbranch_execz .LBB1535_197
; %bb.176:
	v_perm_b32 v3, v7, v3, 0x5040100
	v_dual_mov_b32 v14, 0 :: v_dual_add_nc_u32 v15, 4, v2
	v_dual_mov_b32 v13, 0 :: v_dual_mov_b32 v12, 0
	v_dual_mov_b32 v11, 0 :: v_dual_mov_b32 v10, 0
	s_mov_b32 s6, exec_lo
	s_delay_alu instid0(VALU_DEP_3)
	v_cmpx_gt_u32_e64 s29, v15
	s_cbranch_execz .LBB1535_196
; %bb.177:
	v_bfi_b32 v10, 0xffff, v8, 0
	v_dual_mov_b32 v14, 0 :: v_dual_add_nc_u32 v15, 5, v2
	v_dual_mov_b32 v13, 0 :: v_dual_mov_b32 v12, 0
	v_mov_b32_e32 v11, 0
	s_mov_b32 s7, exec_lo
	s_delay_alu instid0(VALU_DEP_3)
	v_cmpx_gt_u32_e64 s29, v15
	s_cbranch_execz .LBB1535_195
; %bb.178:
	v_perm_b32 v10, v9, v10, 0x5040100
	v_dual_mov_b32 v14, 0 :: v_dual_add_nc_u32 v15, 6, v2
	v_dual_mov_b32 v13, 0 :: v_dual_mov_b32 v12, 0
	v_mov_b32_e32 v11, 0
	s_mov_b32 s8, exec_lo
	s_delay_alu instid0(VALU_DEP_3)
	v_cmpx_gt_u32_e64 s29, v15
	s_cbranch_execz .LBB1535_194
; %bb.179:
	v_dual_mov_b32 v14, 0 :: v_dual_add_nc_u32 v15, 7, v2
	v_bfi_b32 v11, 0xffff, v17, 0
	v_dual_mov_b32 v13, 0 :: v_dual_mov_b32 v12, 0
	s_mov_b32 s9, exec_lo
	s_delay_alu instid0(VALU_DEP_3)
	v_cmpx_gt_u32_e64 s29, v15
	s_cbranch_execz .LBB1535_193
; %bb.180:
	v_dual_mov_b32 v14, 0 :: v_dual_add_nc_u32 v15, 8, v2
	v_perm_b32 v11, v28, v11, 0x5040100
	v_dual_mov_b32 v13, 0 :: v_dual_mov_b32 v12, 0
	s_mov_b32 s10, exec_lo
	s_delay_alu instid0(VALU_DEP_3)
	v_cmpx_gt_u32_e64 s29, v15
	s_cbranch_execz .LBB1535_192
; %bb.181:
	v_dual_mov_b32 v14, 0 :: v_dual_add_nc_u32 v15, 9, v2
	v_bfi_b32 v12, 0xffff, v29, 0
	v_mov_b32_e32 v13, 0
	s_mov_b32 s11, exec_lo
	s_delay_alu instid0(VALU_DEP_3)
	v_cmpx_gt_u32_e64 s29, v15
	s_cbranch_execz .LBB1535_191
; %bb.182:
	v_dual_mov_b32 v14, 0 :: v_dual_add_nc_u32 v15, 10, v2
	v_perm_b32 v12, v30, v12, 0x5040100
	v_mov_b32_e32 v13, 0
	s_mov_b32 s12, exec_lo
	s_delay_alu instid0(VALU_DEP_3)
	v_cmpx_gt_u32_e64 s29, v15
	s_cbranch_execz .LBB1535_190
; %bb.183:
	v_dual_mov_b32 v14, 0 :: v_dual_add_nc_u32 v15, 11, v2
	v_bfi_b32 v13, 0xffff, v31, 0
	s_mov_b32 s13, exec_lo
	s_delay_alu instid0(VALU_DEP_2)
	v_cmpx_gt_u32_e64 s29, v15
	s_cbranch_execz .LBB1535_189
; %bb.184:
	v_dual_mov_b32 v14, 0 :: v_dual_add_nc_u32 v15, 12, v2
	v_perm_b32 v13, v32, v13, 0x5040100
	s_mov_b32 s14, exec_lo
	s_delay_alu instid0(VALU_DEP_2)
	v_cmpx_gt_u32_e64 s29, v15
	s_cbranch_execz .LBB1535_188
; %bb.185:
	v_add_nc_u32_e32 v15, 13, v2
	v_bfi_b32 v14, 0xffff, v33, 0
	s_mov_b32 s15, exec_lo
	s_delay_alu instid0(VALU_DEP_2)
	v_cmpx_gt_u32_e64 s29, v15
; %bb.186:
	s_delay_alu instid0(VALU_DEP_2)
	v_perm_b32 v14, v34, v14, 0x5040100
; %bb.187:
	s_or_b32 exec_lo, exec_lo, s15
.LBB1535_188:
	s_delay_alu instid0(SALU_CYCLE_1)
	s_or_b32 exec_lo, exec_lo, s14
.LBB1535_189:
	s_delay_alu instid0(SALU_CYCLE_1)
	s_or_b32 exec_lo, exec_lo, s13
.LBB1535_190:
	s_delay_alu instid0(SALU_CYCLE_1)
	s_or_b32 exec_lo, exec_lo, s12
.LBB1535_191:
	s_delay_alu instid0(SALU_CYCLE_1)
	s_or_b32 exec_lo, exec_lo, s11
.LBB1535_192:
	s_delay_alu instid0(SALU_CYCLE_1)
	s_or_b32 exec_lo, exec_lo, s10
.LBB1535_193:
	s_delay_alu instid0(SALU_CYCLE_1)
	s_or_b32 exec_lo, exec_lo, s9
.LBB1535_194:
	s_delay_alu instid0(SALU_CYCLE_1)
	s_or_b32 exec_lo, exec_lo, s8
.LBB1535_195:
	s_delay_alu instid0(SALU_CYCLE_1)
	s_or_b32 exec_lo, exec_lo, s7
.LBB1535_196:
	s_delay_alu instid0(SALU_CYCLE_1)
	s_or_b32 exec_lo, exec_lo, s6
.LBB1535_197:
	s_delay_alu instid0(SALU_CYCLE_1)
	s_or_b32 exec_lo, exec_lo, s5
.LBB1535_198:
	s_delay_alu instid0(SALU_CYCLE_1)
	s_or_b32 exec_lo, exec_lo, s4
.LBB1535_199:
	s_delay_alu instid0(SALU_CYCLE_1)
	s_or_b32 exec_lo, exec_lo, s3
.LBB1535_200:
	s_delay_alu instid0(SALU_CYCLE_1)
	s_or_b32 exec_lo, exec_lo, s2
	v_lshlrev_b32_e32 v22, 1, v2
	s_wait_storecnt 0x0
	s_barrier_signal -1
	s_barrier_wait -1
	ds_store_2addr_b32 v22, v1, v3 offset1:1
	ds_store_2addr_b32 v22, v10, v11 offset0:2 offset1:3
	ds_store_2addr_b32 v22, v12, v13 offset0:4 offset1:5
	ds_store_b32 v22, v14 offset:24
	v_mov_b32_e32 v3, 0
	v_mad_i32_i24 v1, 0xffffffe6, v0, v22
	s_wait_dscnt 0x0
	s_barrier_signal -1
	s_barrier_wait -1
	ds_load_u16 v23, v1 offset:512
	ds_load_u16 v21, v1 offset:1024
	;; [unrolled: 1-line block ×13, first 2 shown]
	v_lshlrev_b32_e32 v2, 1, v0
	s_mov_b32 s2, exec_lo
	s_delay_alu instid0(VALU_DEP_1)
	v_add_nc_u64_e32 v[2:3], s[0:1], v[2:3]
	v_cmpx_gt_u32_e64 s29, v0
	s_cbranch_execz .LBB1535_202
; %bb.201:
	v_mul_i32_i24_e32 v24, 0xffffffe6, v0
	s_delay_alu instid0(VALU_DEP_1)
	v_add_nc_u32_e32 v22, v22, v24
	ds_load_u16 v22, v22
	s_wait_dscnt 0x0
	flat_store_b16 v[2:3], v22
.LBB1535_202:
	s_wait_xcnt 0x0
	s_or_b32 exec_lo, exec_lo, s2
	v_or_b32_e32 v22, 0x100, v0
	s_mov_b32 s2, exec_lo
	s_delay_alu instid0(VALU_DEP_1)
	v_cmpx_gt_u32_e64 s29, v22
	s_cbranch_execz .LBB1535_204
; %bb.203:
	s_wait_dscnt 0xc
	flat_store_b16 v[2:3], v23 offset:512
.LBB1535_204:
	s_wait_xcnt 0x0
	s_or_b32 exec_lo, exec_lo, s2
	v_or_b32_e32 v22, 0x200, v0
	s_mov_b32 s2, exec_lo
	s_delay_alu instid0(VALU_DEP_1)
	v_cmpx_gt_u32_e64 s29, v22
	s_cbranch_execz .LBB1535_206
; %bb.205:
	s_wait_dscnt 0xb
	flat_store_b16 v[2:3], v21 offset:1024
.LBB1535_206:
	s_wait_xcnt 0x0
	s_or_b32 exec_lo, exec_lo, s2
	s_wait_dscnt 0xb
	v_or_b32_e32 v21, 0x300, v0
	s_mov_b32 s2, exec_lo
	s_delay_alu instid0(VALU_DEP_1)
	v_cmpx_gt_u32_e64 s29, v21
	s_cbranch_execz .LBB1535_208
; %bb.207:
	s_wait_dscnt 0xa
	flat_store_b16 v[2:3], v20 offset:1536
.LBB1535_208:
	s_wait_xcnt 0x0
	s_or_b32 exec_lo, exec_lo, s2
	s_wait_dscnt 0xa
	;; [unrolled: 12-line block ×10, first 2 shown]
	v_or_b32_e32 v11, 0xc00, v0
	s_mov_b32 s2, exec_lo
	s_delay_alu instid0(VALU_DEP_1)
	v_cmpx_gt_u32_e64 s29, v11
	s_cbranch_execz .LBB1535_226
; %bb.225:
	s_wait_dscnt 0x1
	flat_store_b16 v[2:3], v10 offset:6144
.LBB1535_226:
	s_wait_xcnt 0x0
	s_or_b32 exec_lo, exec_lo, s2
	v_or_b32_e32 v2, 0xd00, v0
	s_delay_alu instid0(VALU_DEP_1)
	v_cmp_gt_u32_e64 s2, s29, v2
	s_branch .LBB1535_229
.LBB1535_227:
	s_mov_b32 s2, 0
                                        ; implicit-def: $vgpr1
	s_cbranch_execz .LBB1535_229
; %bb.228:
	s_wait_dscnt 0x0
	v_mul_u32_u24_e32 v1, 28, v0
	v_perm_b32 v2, v7, v6, 0x5040100
	v_perm_b32 v3, v5, v4, 0x5040100
	;; [unrolled: 1-line block ×3, first 2 shown]
	v_mul_i32_i24_e32 v9, 0xffffffe6, v0
	v_perm_b32 v4, v28, v17, 0x5040100
	v_perm_b32 v6, v32, v31, 0x5040100
	;; [unrolled: 1-line block ×4, first 2 shown]
	s_wait_storecnt 0x0
	s_barrier_signal -1
	s_barrier_wait -1
	ds_store_2addr_b32 v1, v3, v2 offset1:1
	ds_store_2addr_b32 v1, v5, v4 offset0:2 offset1:3
	ds_store_2addr_b32 v1, v7, v6 offset0:4 offset1:5
	ds_store_b32 v1, v8 offset:24
	v_mad_u32_u24 v1, v0, 28, v9
	s_wait_dscnt 0x0
	s_barrier_signal -1
	s_barrier_wait -1
	ds_load_u16 v2, v1
	ds_load_u16 v3, v1 offset:512
	ds_load_u16 v4, v1 offset:1024
	ds_load_u16 v5, v1 offset:1536
	ds_load_u16 v6, v1 offset:2048
	ds_load_u16 v7, v1 offset:2560
	ds_load_u16 v8, v1 offset:3072
	ds_load_u16 v9, v1 offset:3584
	ds_load_u16 v10, v1 offset:4096
	ds_load_u16 v11, v1 offset:4608
	ds_load_u16 v12, v1 offset:5120
	ds_load_u16 v13, v1 offset:5632
	ds_load_u16 v14, v1 offset:6144
	ds_load_u16 v1, v1 offset:6656
	s_or_b32 s2, s2, exec_lo
	s_wait_dscnt 0xd
	flat_store_b16 v0, v2, s[0:1] scale_offset
	s_wait_dscnt 0xd
	flat_store_b16 v0, v3, s[0:1] offset:512 scale_offset
	s_wait_dscnt 0xd
	flat_store_b16 v0, v4, s[0:1] offset:1024 scale_offset
	;; [unrolled: 2-line block ×12, first 2 shown]
.LBB1535_229:
	s_wait_xcnt 0x0
	s_delay_alu instid0(VALU_DEP_1)
	s_and_saveexec_b32 s3, s2
	s_cbranch_execz .LBB1535_231
; %bb.230:
	s_wait_dscnt 0x0
	flat_store_b16 v0, v1, s[0:1] offset:6656 scale_offset
	s_endpgm
.LBB1535_231:
	s_endpgm
	.section	.rodata,"a",@progbits
	.p2align	6, 0x0
	.amdhsa_kernel _ZN7rocprim17ROCPRIM_400000_NS6detail17trampoline_kernelINS0_14default_configENS1_27scan_by_key_config_selectorIitEEZZNS1_16scan_by_key_implILNS1_25lookback_scan_determinismE0ELb1ES3_N6thrust23THRUST_200600_302600_NS6detail15normal_iteratorINS9_10device_ptrIiEEEENSB_INSC_ItEEEESG_tNS9_4plusIvEENS9_8equal_toIvEEtEE10hipError_tPvRmT2_T3_T4_T5_mT6_T7_P12ihipStream_tbENKUlT_T0_E_clISt17integral_constantIbLb0EES11_EEDaSW_SX_EUlSW_E_NS1_11comp_targetILNS1_3genE0ELNS1_11target_archE4294967295ELNS1_3gpuE0ELNS1_3repE0EEENS1_30default_config_static_selectorELNS0_4arch9wavefront6targetE0EEEvT1_
		.amdhsa_group_segment_fixed_size 16384
		.amdhsa_private_segment_fixed_size 0
		.amdhsa_kernarg_size 112
		.amdhsa_user_sgpr_count 2
		.amdhsa_user_sgpr_dispatch_ptr 0
		.amdhsa_user_sgpr_queue_ptr 0
		.amdhsa_user_sgpr_kernarg_segment_ptr 1
		.amdhsa_user_sgpr_dispatch_id 0
		.amdhsa_user_sgpr_kernarg_preload_length 0
		.amdhsa_user_sgpr_kernarg_preload_offset 0
		.amdhsa_user_sgpr_private_segment_size 0
		.amdhsa_wavefront_size32 1
		.amdhsa_uses_dynamic_stack 0
		.amdhsa_enable_private_segment 0
		.amdhsa_system_sgpr_workgroup_id_x 1
		.amdhsa_system_sgpr_workgroup_id_y 0
		.amdhsa_system_sgpr_workgroup_id_z 0
		.amdhsa_system_sgpr_workgroup_info 0
		.amdhsa_system_vgpr_workitem_id 0
		.amdhsa_next_free_vgpr 46
		.amdhsa_next_free_sgpr 39
		.amdhsa_named_barrier_count 0
		.amdhsa_reserve_vcc 1
		.amdhsa_float_round_mode_32 0
		.amdhsa_float_round_mode_16_64 0
		.amdhsa_float_denorm_mode_32 3
		.amdhsa_float_denorm_mode_16_64 3
		.amdhsa_fp16_overflow 0
		.amdhsa_memory_ordered 1
		.amdhsa_forward_progress 1
		.amdhsa_inst_pref_size 118
		.amdhsa_round_robin_scheduling 0
		.amdhsa_exception_fp_ieee_invalid_op 0
		.amdhsa_exception_fp_denorm_src 0
		.amdhsa_exception_fp_ieee_div_zero 0
		.amdhsa_exception_fp_ieee_overflow 0
		.amdhsa_exception_fp_ieee_underflow 0
		.amdhsa_exception_fp_ieee_inexact 0
		.amdhsa_exception_int_div_zero 0
	.end_amdhsa_kernel
	.section	.text._ZN7rocprim17ROCPRIM_400000_NS6detail17trampoline_kernelINS0_14default_configENS1_27scan_by_key_config_selectorIitEEZZNS1_16scan_by_key_implILNS1_25lookback_scan_determinismE0ELb1ES3_N6thrust23THRUST_200600_302600_NS6detail15normal_iteratorINS9_10device_ptrIiEEEENSB_INSC_ItEEEESG_tNS9_4plusIvEENS9_8equal_toIvEEtEE10hipError_tPvRmT2_T3_T4_T5_mT6_T7_P12ihipStream_tbENKUlT_T0_E_clISt17integral_constantIbLb0EES11_EEDaSW_SX_EUlSW_E_NS1_11comp_targetILNS1_3genE0ELNS1_11target_archE4294967295ELNS1_3gpuE0ELNS1_3repE0EEENS1_30default_config_static_selectorELNS0_4arch9wavefront6targetE0EEEvT1_,"axG",@progbits,_ZN7rocprim17ROCPRIM_400000_NS6detail17trampoline_kernelINS0_14default_configENS1_27scan_by_key_config_selectorIitEEZZNS1_16scan_by_key_implILNS1_25lookback_scan_determinismE0ELb1ES3_N6thrust23THRUST_200600_302600_NS6detail15normal_iteratorINS9_10device_ptrIiEEEENSB_INSC_ItEEEESG_tNS9_4plusIvEENS9_8equal_toIvEEtEE10hipError_tPvRmT2_T3_T4_T5_mT6_T7_P12ihipStream_tbENKUlT_T0_E_clISt17integral_constantIbLb0EES11_EEDaSW_SX_EUlSW_E_NS1_11comp_targetILNS1_3genE0ELNS1_11target_archE4294967295ELNS1_3gpuE0ELNS1_3repE0EEENS1_30default_config_static_selectorELNS0_4arch9wavefront6targetE0EEEvT1_,comdat
.Lfunc_end1535:
	.size	_ZN7rocprim17ROCPRIM_400000_NS6detail17trampoline_kernelINS0_14default_configENS1_27scan_by_key_config_selectorIitEEZZNS1_16scan_by_key_implILNS1_25lookback_scan_determinismE0ELb1ES3_N6thrust23THRUST_200600_302600_NS6detail15normal_iteratorINS9_10device_ptrIiEEEENSB_INSC_ItEEEESG_tNS9_4plusIvEENS9_8equal_toIvEEtEE10hipError_tPvRmT2_T3_T4_T5_mT6_T7_P12ihipStream_tbENKUlT_T0_E_clISt17integral_constantIbLb0EES11_EEDaSW_SX_EUlSW_E_NS1_11comp_targetILNS1_3genE0ELNS1_11target_archE4294967295ELNS1_3gpuE0ELNS1_3repE0EEENS1_30default_config_static_selectorELNS0_4arch9wavefront6targetE0EEEvT1_, .Lfunc_end1535-_ZN7rocprim17ROCPRIM_400000_NS6detail17trampoline_kernelINS0_14default_configENS1_27scan_by_key_config_selectorIitEEZZNS1_16scan_by_key_implILNS1_25lookback_scan_determinismE0ELb1ES3_N6thrust23THRUST_200600_302600_NS6detail15normal_iteratorINS9_10device_ptrIiEEEENSB_INSC_ItEEEESG_tNS9_4plusIvEENS9_8equal_toIvEEtEE10hipError_tPvRmT2_T3_T4_T5_mT6_T7_P12ihipStream_tbENKUlT_T0_E_clISt17integral_constantIbLb0EES11_EEDaSW_SX_EUlSW_E_NS1_11comp_targetILNS1_3genE0ELNS1_11target_archE4294967295ELNS1_3gpuE0ELNS1_3repE0EEENS1_30default_config_static_selectorELNS0_4arch9wavefront6targetE0EEEvT1_
                                        ; -- End function
	.set _ZN7rocprim17ROCPRIM_400000_NS6detail17trampoline_kernelINS0_14default_configENS1_27scan_by_key_config_selectorIitEEZZNS1_16scan_by_key_implILNS1_25lookback_scan_determinismE0ELb1ES3_N6thrust23THRUST_200600_302600_NS6detail15normal_iteratorINS9_10device_ptrIiEEEENSB_INSC_ItEEEESG_tNS9_4plusIvEENS9_8equal_toIvEEtEE10hipError_tPvRmT2_T3_T4_T5_mT6_T7_P12ihipStream_tbENKUlT_T0_E_clISt17integral_constantIbLb0EES11_EEDaSW_SX_EUlSW_E_NS1_11comp_targetILNS1_3genE0ELNS1_11target_archE4294967295ELNS1_3gpuE0ELNS1_3repE0EEENS1_30default_config_static_selectorELNS0_4arch9wavefront6targetE0EEEvT1_.num_vgpr, 46
	.set _ZN7rocprim17ROCPRIM_400000_NS6detail17trampoline_kernelINS0_14default_configENS1_27scan_by_key_config_selectorIitEEZZNS1_16scan_by_key_implILNS1_25lookback_scan_determinismE0ELb1ES3_N6thrust23THRUST_200600_302600_NS6detail15normal_iteratorINS9_10device_ptrIiEEEENSB_INSC_ItEEEESG_tNS9_4plusIvEENS9_8equal_toIvEEtEE10hipError_tPvRmT2_T3_T4_T5_mT6_T7_P12ihipStream_tbENKUlT_T0_E_clISt17integral_constantIbLb0EES11_EEDaSW_SX_EUlSW_E_NS1_11comp_targetILNS1_3genE0ELNS1_11target_archE4294967295ELNS1_3gpuE0ELNS1_3repE0EEENS1_30default_config_static_selectorELNS0_4arch9wavefront6targetE0EEEvT1_.num_agpr, 0
	.set _ZN7rocprim17ROCPRIM_400000_NS6detail17trampoline_kernelINS0_14default_configENS1_27scan_by_key_config_selectorIitEEZZNS1_16scan_by_key_implILNS1_25lookback_scan_determinismE0ELb1ES3_N6thrust23THRUST_200600_302600_NS6detail15normal_iteratorINS9_10device_ptrIiEEEENSB_INSC_ItEEEESG_tNS9_4plusIvEENS9_8equal_toIvEEtEE10hipError_tPvRmT2_T3_T4_T5_mT6_T7_P12ihipStream_tbENKUlT_T0_E_clISt17integral_constantIbLb0EES11_EEDaSW_SX_EUlSW_E_NS1_11comp_targetILNS1_3genE0ELNS1_11target_archE4294967295ELNS1_3gpuE0ELNS1_3repE0EEENS1_30default_config_static_selectorELNS0_4arch9wavefront6targetE0EEEvT1_.numbered_sgpr, 39
	.set _ZN7rocprim17ROCPRIM_400000_NS6detail17trampoline_kernelINS0_14default_configENS1_27scan_by_key_config_selectorIitEEZZNS1_16scan_by_key_implILNS1_25lookback_scan_determinismE0ELb1ES3_N6thrust23THRUST_200600_302600_NS6detail15normal_iteratorINS9_10device_ptrIiEEEENSB_INSC_ItEEEESG_tNS9_4plusIvEENS9_8equal_toIvEEtEE10hipError_tPvRmT2_T3_T4_T5_mT6_T7_P12ihipStream_tbENKUlT_T0_E_clISt17integral_constantIbLb0EES11_EEDaSW_SX_EUlSW_E_NS1_11comp_targetILNS1_3genE0ELNS1_11target_archE4294967295ELNS1_3gpuE0ELNS1_3repE0EEENS1_30default_config_static_selectorELNS0_4arch9wavefront6targetE0EEEvT1_.num_named_barrier, 0
	.set _ZN7rocprim17ROCPRIM_400000_NS6detail17trampoline_kernelINS0_14default_configENS1_27scan_by_key_config_selectorIitEEZZNS1_16scan_by_key_implILNS1_25lookback_scan_determinismE0ELb1ES3_N6thrust23THRUST_200600_302600_NS6detail15normal_iteratorINS9_10device_ptrIiEEEENSB_INSC_ItEEEESG_tNS9_4plusIvEENS9_8equal_toIvEEtEE10hipError_tPvRmT2_T3_T4_T5_mT6_T7_P12ihipStream_tbENKUlT_T0_E_clISt17integral_constantIbLb0EES11_EEDaSW_SX_EUlSW_E_NS1_11comp_targetILNS1_3genE0ELNS1_11target_archE4294967295ELNS1_3gpuE0ELNS1_3repE0EEENS1_30default_config_static_selectorELNS0_4arch9wavefront6targetE0EEEvT1_.private_seg_size, 0
	.set _ZN7rocprim17ROCPRIM_400000_NS6detail17trampoline_kernelINS0_14default_configENS1_27scan_by_key_config_selectorIitEEZZNS1_16scan_by_key_implILNS1_25lookback_scan_determinismE0ELb1ES3_N6thrust23THRUST_200600_302600_NS6detail15normal_iteratorINS9_10device_ptrIiEEEENSB_INSC_ItEEEESG_tNS9_4plusIvEENS9_8equal_toIvEEtEE10hipError_tPvRmT2_T3_T4_T5_mT6_T7_P12ihipStream_tbENKUlT_T0_E_clISt17integral_constantIbLb0EES11_EEDaSW_SX_EUlSW_E_NS1_11comp_targetILNS1_3genE0ELNS1_11target_archE4294967295ELNS1_3gpuE0ELNS1_3repE0EEENS1_30default_config_static_selectorELNS0_4arch9wavefront6targetE0EEEvT1_.uses_vcc, 1
	.set _ZN7rocprim17ROCPRIM_400000_NS6detail17trampoline_kernelINS0_14default_configENS1_27scan_by_key_config_selectorIitEEZZNS1_16scan_by_key_implILNS1_25lookback_scan_determinismE0ELb1ES3_N6thrust23THRUST_200600_302600_NS6detail15normal_iteratorINS9_10device_ptrIiEEEENSB_INSC_ItEEEESG_tNS9_4plusIvEENS9_8equal_toIvEEtEE10hipError_tPvRmT2_T3_T4_T5_mT6_T7_P12ihipStream_tbENKUlT_T0_E_clISt17integral_constantIbLb0EES11_EEDaSW_SX_EUlSW_E_NS1_11comp_targetILNS1_3genE0ELNS1_11target_archE4294967295ELNS1_3gpuE0ELNS1_3repE0EEENS1_30default_config_static_selectorELNS0_4arch9wavefront6targetE0EEEvT1_.uses_flat_scratch, 1
	.set _ZN7rocprim17ROCPRIM_400000_NS6detail17trampoline_kernelINS0_14default_configENS1_27scan_by_key_config_selectorIitEEZZNS1_16scan_by_key_implILNS1_25lookback_scan_determinismE0ELb1ES3_N6thrust23THRUST_200600_302600_NS6detail15normal_iteratorINS9_10device_ptrIiEEEENSB_INSC_ItEEEESG_tNS9_4plusIvEENS9_8equal_toIvEEtEE10hipError_tPvRmT2_T3_T4_T5_mT6_T7_P12ihipStream_tbENKUlT_T0_E_clISt17integral_constantIbLb0EES11_EEDaSW_SX_EUlSW_E_NS1_11comp_targetILNS1_3genE0ELNS1_11target_archE4294967295ELNS1_3gpuE0ELNS1_3repE0EEENS1_30default_config_static_selectorELNS0_4arch9wavefront6targetE0EEEvT1_.has_dyn_sized_stack, 0
	.set _ZN7rocprim17ROCPRIM_400000_NS6detail17trampoline_kernelINS0_14default_configENS1_27scan_by_key_config_selectorIitEEZZNS1_16scan_by_key_implILNS1_25lookback_scan_determinismE0ELb1ES3_N6thrust23THRUST_200600_302600_NS6detail15normal_iteratorINS9_10device_ptrIiEEEENSB_INSC_ItEEEESG_tNS9_4plusIvEENS9_8equal_toIvEEtEE10hipError_tPvRmT2_T3_T4_T5_mT6_T7_P12ihipStream_tbENKUlT_T0_E_clISt17integral_constantIbLb0EES11_EEDaSW_SX_EUlSW_E_NS1_11comp_targetILNS1_3genE0ELNS1_11target_archE4294967295ELNS1_3gpuE0ELNS1_3repE0EEENS1_30default_config_static_selectorELNS0_4arch9wavefront6targetE0EEEvT1_.has_recursion, 0
	.set _ZN7rocprim17ROCPRIM_400000_NS6detail17trampoline_kernelINS0_14default_configENS1_27scan_by_key_config_selectorIitEEZZNS1_16scan_by_key_implILNS1_25lookback_scan_determinismE0ELb1ES3_N6thrust23THRUST_200600_302600_NS6detail15normal_iteratorINS9_10device_ptrIiEEEENSB_INSC_ItEEEESG_tNS9_4plusIvEENS9_8equal_toIvEEtEE10hipError_tPvRmT2_T3_T4_T5_mT6_T7_P12ihipStream_tbENKUlT_T0_E_clISt17integral_constantIbLb0EES11_EEDaSW_SX_EUlSW_E_NS1_11comp_targetILNS1_3genE0ELNS1_11target_archE4294967295ELNS1_3gpuE0ELNS1_3repE0EEENS1_30default_config_static_selectorELNS0_4arch9wavefront6targetE0EEEvT1_.has_indirect_call, 0
	.section	.AMDGPU.csdata,"",@progbits
; Kernel info:
; codeLenInByte = 15088
; TotalNumSgprs: 41
; NumVgprs: 46
; ScratchSize: 0
; MemoryBound: 0
; FloatMode: 240
; IeeeMode: 1
; LDSByteSize: 16384 bytes/workgroup (compile time only)
; SGPRBlocks: 0
; VGPRBlocks: 2
; NumSGPRsForWavesPerEU: 41
; NumVGPRsForWavesPerEU: 46
; NamedBarCnt: 0
; Occupancy: 16
; WaveLimiterHint : 1
; COMPUTE_PGM_RSRC2:SCRATCH_EN: 0
; COMPUTE_PGM_RSRC2:USER_SGPR: 2
; COMPUTE_PGM_RSRC2:TRAP_HANDLER: 0
; COMPUTE_PGM_RSRC2:TGID_X_EN: 1
; COMPUTE_PGM_RSRC2:TGID_Y_EN: 0
; COMPUTE_PGM_RSRC2:TGID_Z_EN: 0
; COMPUTE_PGM_RSRC2:TIDIG_COMP_CNT: 0
	.section	.text._ZN7rocprim17ROCPRIM_400000_NS6detail17trampoline_kernelINS0_14default_configENS1_27scan_by_key_config_selectorIitEEZZNS1_16scan_by_key_implILNS1_25lookback_scan_determinismE0ELb1ES3_N6thrust23THRUST_200600_302600_NS6detail15normal_iteratorINS9_10device_ptrIiEEEENSB_INSC_ItEEEESG_tNS9_4plusIvEENS9_8equal_toIvEEtEE10hipError_tPvRmT2_T3_T4_T5_mT6_T7_P12ihipStream_tbENKUlT_T0_E_clISt17integral_constantIbLb0EES11_EEDaSW_SX_EUlSW_E_NS1_11comp_targetILNS1_3genE10ELNS1_11target_archE1201ELNS1_3gpuE5ELNS1_3repE0EEENS1_30default_config_static_selectorELNS0_4arch9wavefront6targetE0EEEvT1_,"axG",@progbits,_ZN7rocprim17ROCPRIM_400000_NS6detail17trampoline_kernelINS0_14default_configENS1_27scan_by_key_config_selectorIitEEZZNS1_16scan_by_key_implILNS1_25lookback_scan_determinismE0ELb1ES3_N6thrust23THRUST_200600_302600_NS6detail15normal_iteratorINS9_10device_ptrIiEEEENSB_INSC_ItEEEESG_tNS9_4plusIvEENS9_8equal_toIvEEtEE10hipError_tPvRmT2_T3_T4_T5_mT6_T7_P12ihipStream_tbENKUlT_T0_E_clISt17integral_constantIbLb0EES11_EEDaSW_SX_EUlSW_E_NS1_11comp_targetILNS1_3genE10ELNS1_11target_archE1201ELNS1_3gpuE5ELNS1_3repE0EEENS1_30default_config_static_selectorELNS0_4arch9wavefront6targetE0EEEvT1_,comdat
	.protected	_ZN7rocprim17ROCPRIM_400000_NS6detail17trampoline_kernelINS0_14default_configENS1_27scan_by_key_config_selectorIitEEZZNS1_16scan_by_key_implILNS1_25lookback_scan_determinismE0ELb1ES3_N6thrust23THRUST_200600_302600_NS6detail15normal_iteratorINS9_10device_ptrIiEEEENSB_INSC_ItEEEESG_tNS9_4plusIvEENS9_8equal_toIvEEtEE10hipError_tPvRmT2_T3_T4_T5_mT6_T7_P12ihipStream_tbENKUlT_T0_E_clISt17integral_constantIbLb0EES11_EEDaSW_SX_EUlSW_E_NS1_11comp_targetILNS1_3genE10ELNS1_11target_archE1201ELNS1_3gpuE5ELNS1_3repE0EEENS1_30default_config_static_selectorELNS0_4arch9wavefront6targetE0EEEvT1_ ; -- Begin function _ZN7rocprim17ROCPRIM_400000_NS6detail17trampoline_kernelINS0_14default_configENS1_27scan_by_key_config_selectorIitEEZZNS1_16scan_by_key_implILNS1_25lookback_scan_determinismE0ELb1ES3_N6thrust23THRUST_200600_302600_NS6detail15normal_iteratorINS9_10device_ptrIiEEEENSB_INSC_ItEEEESG_tNS9_4plusIvEENS9_8equal_toIvEEtEE10hipError_tPvRmT2_T3_T4_T5_mT6_T7_P12ihipStream_tbENKUlT_T0_E_clISt17integral_constantIbLb0EES11_EEDaSW_SX_EUlSW_E_NS1_11comp_targetILNS1_3genE10ELNS1_11target_archE1201ELNS1_3gpuE5ELNS1_3repE0EEENS1_30default_config_static_selectorELNS0_4arch9wavefront6targetE0EEEvT1_
	.globl	_ZN7rocprim17ROCPRIM_400000_NS6detail17trampoline_kernelINS0_14default_configENS1_27scan_by_key_config_selectorIitEEZZNS1_16scan_by_key_implILNS1_25lookback_scan_determinismE0ELb1ES3_N6thrust23THRUST_200600_302600_NS6detail15normal_iteratorINS9_10device_ptrIiEEEENSB_INSC_ItEEEESG_tNS9_4plusIvEENS9_8equal_toIvEEtEE10hipError_tPvRmT2_T3_T4_T5_mT6_T7_P12ihipStream_tbENKUlT_T0_E_clISt17integral_constantIbLb0EES11_EEDaSW_SX_EUlSW_E_NS1_11comp_targetILNS1_3genE10ELNS1_11target_archE1201ELNS1_3gpuE5ELNS1_3repE0EEENS1_30default_config_static_selectorELNS0_4arch9wavefront6targetE0EEEvT1_
	.p2align	8
	.type	_ZN7rocprim17ROCPRIM_400000_NS6detail17trampoline_kernelINS0_14default_configENS1_27scan_by_key_config_selectorIitEEZZNS1_16scan_by_key_implILNS1_25lookback_scan_determinismE0ELb1ES3_N6thrust23THRUST_200600_302600_NS6detail15normal_iteratorINS9_10device_ptrIiEEEENSB_INSC_ItEEEESG_tNS9_4plusIvEENS9_8equal_toIvEEtEE10hipError_tPvRmT2_T3_T4_T5_mT6_T7_P12ihipStream_tbENKUlT_T0_E_clISt17integral_constantIbLb0EES11_EEDaSW_SX_EUlSW_E_NS1_11comp_targetILNS1_3genE10ELNS1_11target_archE1201ELNS1_3gpuE5ELNS1_3repE0EEENS1_30default_config_static_selectorELNS0_4arch9wavefront6targetE0EEEvT1_,@function
_ZN7rocprim17ROCPRIM_400000_NS6detail17trampoline_kernelINS0_14default_configENS1_27scan_by_key_config_selectorIitEEZZNS1_16scan_by_key_implILNS1_25lookback_scan_determinismE0ELb1ES3_N6thrust23THRUST_200600_302600_NS6detail15normal_iteratorINS9_10device_ptrIiEEEENSB_INSC_ItEEEESG_tNS9_4plusIvEENS9_8equal_toIvEEtEE10hipError_tPvRmT2_T3_T4_T5_mT6_T7_P12ihipStream_tbENKUlT_T0_E_clISt17integral_constantIbLb0EES11_EEDaSW_SX_EUlSW_E_NS1_11comp_targetILNS1_3genE10ELNS1_11target_archE1201ELNS1_3gpuE5ELNS1_3repE0EEENS1_30default_config_static_selectorELNS0_4arch9wavefront6targetE0EEEvT1_: ; @_ZN7rocprim17ROCPRIM_400000_NS6detail17trampoline_kernelINS0_14default_configENS1_27scan_by_key_config_selectorIitEEZZNS1_16scan_by_key_implILNS1_25lookback_scan_determinismE0ELb1ES3_N6thrust23THRUST_200600_302600_NS6detail15normal_iteratorINS9_10device_ptrIiEEEENSB_INSC_ItEEEESG_tNS9_4plusIvEENS9_8equal_toIvEEtEE10hipError_tPvRmT2_T3_T4_T5_mT6_T7_P12ihipStream_tbENKUlT_T0_E_clISt17integral_constantIbLb0EES11_EEDaSW_SX_EUlSW_E_NS1_11comp_targetILNS1_3genE10ELNS1_11target_archE1201ELNS1_3gpuE5ELNS1_3repE0EEENS1_30default_config_static_selectorELNS0_4arch9wavefront6targetE0EEEvT1_
; %bb.0:
	.section	.rodata,"a",@progbits
	.p2align	6, 0x0
	.amdhsa_kernel _ZN7rocprim17ROCPRIM_400000_NS6detail17trampoline_kernelINS0_14default_configENS1_27scan_by_key_config_selectorIitEEZZNS1_16scan_by_key_implILNS1_25lookback_scan_determinismE0ELb1ES3_N6thrust23THRUST_200600_302600_NS6detail15normal_iteratorINS9_10device_ptrIiEEEENSB_INSC_ItEEEESG_tNS9_4plusIvEENS9_8equal_toIvEEtEE10hipError_tPvRmT2_T3_T4_T5_mT6_T7_P12ihipStream_tbENKUlT_T0_E_clISt17integral_constantIbLb0EES11_EEDaSW_SX_EUlSW_E_NS1_11comp_targetILNS1_3genE10ELNS1_11target_archE1201ELNS1_3gpuE5ELNS1_3repE0EEENS1_30default_config_static_selectorELNS0_4arch9wavefront6targetE0EEEvT1_
		.amdhsa_group_segment_fixed_size 0
		.amdhsa_private_segment_fixed_size 0
		.amdhsa_kernarg_size 112
		.amdhsa_user_sgpr_count 2
		.amdhsa_user_sgpr_dispatch_ptr 0
		.amdhsa_user_sgpr_queue_ptr 0
		.amdhsa_user_sgpr_kernarg_segment_ptr 1
		.amdhsa_user_sgpr_dispatch_id 0
		.amdhsa_user_sgpr_kernarg_preload_length 0
		.amdhsa_user_sgpr_kernarg_preload_offset 0
		.amdhsa_user_sgpr_private_segment_size 0
		.amdhsa_wavefront_size32 1
		.amdhsa_uses_dynamic_stack 0
		.amdhsa_enable_private_segment 0
		.amdhsa_system_sgpr_workgroup_id_x 1
		.amdhsa_system_sgpr_workgroup_id_y 0
		.amdhsa_system_sgpr_workgroup_id_z 0
		.amdhsa_system_sgpr_workgroup_info 0
		.amdhsa_system_vgpr_workitem_id 0
		.amdhsa_next_free_vgpr 1
		.amdhsa_next_free_sgpr 1
		.amdhsa_named_barrier_count 0
		.amdhsa_reserve_vcc 0
		.amdhsa_float_round_mode_32 0
		.amdhsa_float_round_mode_16_64 0
		.amdhsa_float_denorm_mode_32 3
		.amdhsa_float_denorm_mode_16_64 3
		.amdhsa_fp16_overflow 0
		.amdhsa_memory_ordered 1
		.amdhsa_forward_progress 1
		.amdhsa_inst_pref_size 0
		.amdhsa_round_robin_scheduling 0
		.amdhsa_exception_fp_ieee_invalid_op 0
		.amdhsa_exception_fp_denorm_src 0
		.amdhsa_exception_fp_ieee_div_zero 0
		.amdhsa_exception_fp_ieee_overflow 0
		.amdhsa_exception_fp_ieee_underflow 0
		.amdhsa_exception_fp_ieee_inexact 0
		.amdhsa_exception_int_div_zero 0
	.end_amdhsa_kernel
	.section	.text._ZN7rocprim17ROCPRIM_400000_NS6detail17trampoline_kernelINS0_14default_configENS1_27scan_by_key_config_selectorIitEEZZNS1_16scan_by_key_implILNS1_25lookback_scan_determinismE0ELb1ES3_N6thrust23THRUST_200600_302600_NS6detail15normal_iteratorINS9_10device_ptrIiEEEENSB_INSC_ItEEEESG_tNS9_4plusIvEENS9_8equal_toIvEEtEE10hipError_tPvRmT2_T3_T4_T5_mT6_T7_P12ihipStream_tbENKUlT_T0_E_clISt17integral_constantIbLb0EES11_EEDaSW_SX_EUlSW_E_NS1_11comp_targetILNS1_3genE10ELNS1_11target_archE1201ELNS1_3gpuE5ELNS1_3repE0EEENS1_30default_config_static_selectorELNS0_4arch9wavefront6targetE0EEEvT1_,"axG",@progbits,_ZN7rocprim17ROCPRIM_400000_NS6detail17trampoline_kernelINS0_14default_configENS1_27scan_by_key_config_selectorIitEEZZNS1_16scan_by_key_implILNS1_25lookback_scan_determinismE0ELb1ES3_N6thrust23THRUST_200600_302600_NS6detail15normal_iteratorINS9_10device_ptrIiEEEENSB_INSC_ItEEEESG_tNS9_4plusIvEENS9_8equal_toIvEEtEE10hipError_tPvRmT2_T3_T4_T5_mT6_T7_P12ihipStream_tbENKUlT_T0_E_clISt17integral_constantIbLb0EES11_EEDaSW_SX_EUlSW_E_NS1_11comp_targetILNS1_3genE10ELNS1_11target_archE1201ELNS1_3gpuE5ELNS1_3repE0EEENS1_30default_config_static_selectorELNS0_4arch9wavefront6targetE0EEEvT1_,comdat
.Lfunc_end1536:
	.size	_ZN7rocprim17ROCPRIM_400000_NS6detail17trampoline_kernelINS0_14default_configENS1_27scan_by_key_config_selectorIitEEZZNS1_16scan_by_key_implILNS1_25lookback_scan_determinismE0ELb1ES3_N6thrust23THRUST_200600_302600_NS6detail15normal_iteratorINS9_10device_ptrIiEEEENSB_INSC_ItEEEESG_tNS9_4plusIvEENS9_8equal_toIvEEtEE10hipError_tPvRmT2_T3_T4_T5_mT6_T7_P12ihipStream_tbENKUlT_T0_E_clISt17integral_constantIbLb0EES11_EEDaSW_SX_EUlSW_E_NS1_11comp_targetILNS1_3genE10ELNS1_11target_archE1201ELNS1_3gpuE5ELNS1_3repE0EEENS1_30default_config_static_selectorELNS0_4arch9wavefront6targetE0EEEvT1_, .Lfunc_end1536-_ZN7rocprim17ROCPRIM_400000_NS6detail17trampoline_kernelINS0_14default_configENS1_27scan_by_key_config_selectorIitEEZZNS1_16scan_by_key_implILNS1_25lookback_scan_determinismE0ELb1ES3_N6thrust23THRUST_200600_302600_NS6detail15normal_iteratorINS9_10device_ptrIiEEEENSB_INSC_ItEEEESG_tNS9_4plusIvEENS9_8equal_toIvEEtEE10hipError_tPvRmT2_T3_T4_T5_mT6_T7_P12ihipStream_tbENKUlT_T0_E_clISt17integral_constantIbLb0EES11_EEDaSW_SX_EUlSW_E_NS1_11comp_targetILNS1_3genE10ELNS1_11target_archE1201ELNS1_3gpuE5ELNS1_3repE0EEENS1_30default_config_static_selectorELNS0_4arch9wavefront6targetE0EEEvT1_
                                        ; -- End function
	.set _ZN7rocprim17ROCPRIM_400000_NS6detail17trampoline_kernelINS0_14default_configENS1_27scan_by_key_config_selectorIitEEZZNS1_16scan_by_key_implILNS1_25lookback_scan_determinismE0ELb1ES3_N6thrust23THRUST_200600_302600_NS6detail15normal_iteratorINS9_10device_ptrIiEEEENSB_INSC_ItEEEESG_tNS9_4plusIvEENS9_8equal_toIvEEtEE10hipError_tPvRmT2_T3_T4_T5_mT6_T7_P12ihipStream_tbENKUlT_T0_E_clISt17integral_constantIbLb0EES11_EEDaSW_SX_EUlSW_E_NS1_11comp_targetILNS1_3genE10ELNS1_11target_archE1201ELNS1_3gpuE5ELNS1_3repE0EEENS1_30default_config_static_selectorELNS0_4arch9wavefront6targetE0EEEvT1_.num_vgpr, 0
	.set _ZN7rocprim17ROCPRIM_400000_NS6detail17trampoline_kernelINS0_14default_configENS1_27scan_by_key_config_selectorIitEEZZNS1_16scan_by_key_implILNS1_25lookback_scan_determinismE0ELb1ES3_N6thrust23THRUST_200600_302600_NS6detail15normal_iteratorINS9_10device_ptrIiEEEENSB_INSC_ItEEEESG_tNS9_4plusIvEENS9_8equal_toIvEEtEE10hipError_tPvRmT2_T3_T4_T5_mT6_T7_P12ihipStream_tbENKUlT_T0_E_clISt17integral_constantIbLb0EES11_EEDaSW_SX_EUlSW_E_NS1_11comp_targetILNS1_3genE10ELNS1_11target_archE1201ELNS1_3gpuE5ELNS1_3repE0EEENS1_30default_config_static_selectorELNS0_4arch9wavefront6targetE0EEEvT1_.num_agpr, 0
	.set _ZN7rocprim17ROCPRIM_400000_NS6detail17trampoline_kernelINS0_14default_configENS1_27scan_by_key_config_selectorIitEEZZNS1_16scan_by_key_implILNS1_25lookback_scan_determinismE0ELb1ES3_N6thrust23THRUST_200600_302600_NS6detail15normal_iteratorINS9_10device_ptrIiEEEENSB_INSC_ItEEEESG_tNS9_4plusIvEENS9_8equal_toIvEEtEE10hipError_tPvRmT2_T3_T4_T5_mT6_T7_P12ihipStream_tbENKUlT_T0_E_clISt17integral_constantIbLb0EES11_EEDaSW_SX_EUlSW_E_NS1_11comp_targetILNS1_3genE10ELNS1_11target_archE1201ELNS1_3gpuE5ELNS1_3repE0EEENS1_30default_config_static_selectorELNS0_4arch9wavefront6targetE0EEEvT1_.numbered_sgpr, 0
	.set _ZN7rocprim17ROCPRIM_400000_NS6detail17trampoline_kernelINS0_14default_configENS1_27scan_by_key_config_selectorIitEEZZNS1_16scan_by_key_implILNS1_25lookback_scan_determinismE0ELb1ES3_N6thrust23THRUST_200600_302600_NS6detail15normal_iteratorINS9_10device_ptrIiEEEENSB_INSC_ItEEEESG_tNS9_4plusIvEENS9_8equal_toIvEEtEE10hipError_tPvRmT2_T3_T4_T5_mT6_T7_P12ihipStream_tbENKUlT_T0_E_clISt17integral_constantIbLb0EES11_EEDaSW_SX_EUlSW_E_NS1_11comp_targetILNS1_3genE10ELNS1_11target_archE1201ELNS1_3gpuE5ELNS1_3repE0EEENS1_30default_config_static_selectorELNS0_4arch9wavefront6targetE0EEEvT1_.num_named_barrier, 0
	.set _ZN7rocprim17ROCPRIM_400000_NS6detail17trampoline_kernelINS0_14default_configENS1_27scan_by_key_config_selectorIitEEZZNS1_16scan_by_key_implILNS1_25lookback_scan_determinismE0ELb1ES3_N6thrust23THRUST_200600_302600_NS6detail15normal_iteratorINS9_10device_ptrIiEEEENSB_INSC_ItEEEESG_tNS9_4plusIvEENS9_8equal_toIvEEtEE10hipError_tPvRmT2_T3_T4_T5_mT6_T7_P12ihipStream_tbENKUlT_T0_E_clISt17integral_constantIbLb0EES11_EEDaSW_SX_EUlSW_E_NS1_11comp_targetILNS1_3genE10ELNS1_11target_archE1201ELNS1_3gpuE5ELNS1_3repE0EEENS1_30default_config_static_selectorELNS0_4arch9wavefront6targetE0EEEvT1_.private_seg_size, 0
	.set _ZN7rocprim17ROCPRIM_400000_NS6detail17trampoline_kernelINS0_14default_configENS1_27scan_by_key_config_selectorIitEEZZNS1_16scan_by_key_implILNS1_25lookback_scan_determinismE0ELb1ES3_N6thrust23THRUST_200600_302600_NS6detail15normal_iteratorINS9_10device_ptrIiEEEENSB_INSC_ItEEEESG_tNS9_4plusIvEENS9_8equal_toIvEEtEE10hipError_tPvRmT2_T3_T4_T5_mT6_T7_P12ihipStream_tbENKUlT_T0_E_clISt17integral_constantIbLb0EES11_EEDaSW_SX_EUlSW_E_NS1_11comp_targetILNS1_3genE10ELNS1_11target_archE1201ELNS1_3gpuE5ELNS1_3repE0EEENS1_30default_config_static_selectorELNS0_4arch9wavefront6targetE0EEEvT1_.uses_vcc, 0
	.set _ZN7rocprim17ROCPRIM_400000_NS6detail17trampoline_kernelINS0_14default_configENS1_27scan_by_key_config_selectorIitEEZZNS1_16scan_by_key_implILNS1_25lookback_scan_determinismE0ELb1ES3_N6thrust23THRUST_200600_302600_NS6detail15normal_iteratorINS9_10device_ptrIiEEEENSB_INSC_ItEEEESG_tNS9_4plusIvEENS9_8equal_toIvEEtEE10hipError_tPvRmT2_T3_T4_T5_mT6_T7_P12ihipStream_tbENKUlT_T0_E_clISt17integral_constantIbLb0EES11_EEDaSW_SX_EUlSW_E_NS1_11comp_targetILNS1_3genE10ELNS1_11target_archE1201ELNS1_3gpuE5ELNS1_3repE0EEENS1_30default_config_static_selectorELNS0_4arch9wavefront6targetE0EEEvT1_.uses_flat_scratch, 0
	.set _ZN7rocprim17ROCPRIM_400000_NS6detail17trampoline_kernelINS0_14default_configENS1_27scan_by_key_config_selectorIitEEZZNS1_16scan_by_key_implILNS1_25lookback_scan_determinismE0ELb1ES3_N6thrust23THRUST_200600_302600_NS6detail15normal_iteratorINS9_10device_ptrIiEEEENSB_INSC_ItEEEESG_tNS9_4plusIvEENS9_8equal_toIvEEtEE10hipError_tPvRmT2_T3_T4_T5_mT6_T7_P12ihipStream_tbENKUlT_T0_E_clISt17integral_constantIbLb0EES11_EEDaSW_SX_EUlSW_E_NS1_11comp_targetILNS1_3genE10ELNS1_11target_archE1201ELNS1_3gpuE5ELNS1_3repE0EEENS1_30default_config_static_selectorELNS0_4arch9wavefront6targetE0EEEvT1_.has_dyn_sized_stack, 0
	.set _ZN7rocprim17ROCPRIM_400000_NS6detail17trampoline_kernelINS0_14default_configENS1_27scan_by_key_config_selectorIitEEZZNS1_16scan_by_key_implILNS1_25lookback_scan_determinismE0ELb1ES3_N6thrust23THRUST_200600_302600_NS6detail15normal_iteratorINS9_10device_ptrIiEEEENSB_INSC_ItEEEESG_tNS9_4plusIvEENS9_8equal_toIvEEtEE10hipError_tPvRmT2_T3_T4_T5_mT6_T7_P12ihipStream_tbENKUlT_T0_E_clISt17integral_constantIbLb0EES11_EEDaSW_SX_EUlSW_E_NS1_11comp_targetILNS1_3genE10ELNS1_11target_archE1201ELNS1_3gpuE5ELNS1_3repE0EEENS1_30default_config_static_selectorELNS0_4arch9wavefront6targetE0EEEvT1_.has_recursion, 0
	.set _ZN7rocprim17ROCPRIM_400000_NS6detail17trampoline_kernelINS0_14default_configENS1_27scan_by_key_config_selectorIitEEZZNS1_16scan_by_key_implILNS1_25lookback_scan_determinismE0ELb1ES3_N6thrust23THRUST_200600_302600_NS6detail15normal_iteratorINS9_10device_ptrIiEEEENSB_INSC_ItEEEESG_tNS9_4plusIvEENS9_8equal_toIvEEtEE10hipError_tPvRmT2_T3_T4_T5_mT6_T7_P12ihipStream_tbENKUlT_T0_E_clISt17integral_constantIbLb0EES11_EEDaSW_SX_EUlSW_E_NS1_11comp_targetILNS1_3genE10ELNS1_11target_archE1201ELNS1_3gpuE5ELNS1_3repE0EEENS1_30default_config_static_selectorELNS0_4arch9wavefront6targetE0EEEvT1_.has_indirect_call, 0
	.section	.AMDGPU.csdata,"",@progbits
; Kernel info:
; codeLenInByte = 0
; TotalNumSgprs: 0
; NumVgprs: 0
; ScratchSize: 0
; MemoryBound: 0
; FloatMode: 240
; IeeeMode: 1
; LDSByteSize: 0 bytes/workgroup (compile time only)
; SGPRBlocks: 0
; VGPRBlocks: 0
; NumSGPRsForWavesPerEU: 1
; NumVGPRsForWavesPerEU: 1
; NamedBarCnt: 0
; Occupancy: 16
; WaveLimiterHint : 0
; COMPUTE_PGM_RSRC2:SCRATCH_EN: 0
; COMPUTE_PGM_RSRC2:USER_SGPR: 2
; COMPUTE_PGM_RSRC2:TRAP_HANDLER: 0
; COMPUTE_PGM_RSRC2:TGID_X_EN: 1
; COMPUTE_PGM_RSRC2:TGID_Y_EN: 0
; COMPUTE_PGM_RSRC2:TGID_Z_EN: 0
; COMPUTE_PGM_RSRC2:TIDIG_COMP_CNT: 0
	.section	.text._ZN7rocprim17ROCPRIM_400000_NS6detail17trampoline_kernelINS0_14default_configENS1_27scan_by_key_config_selectorIitEEZZNS1_16scan_by_key_implILNS1_25lookback_scan_determinismE0ELb1ES3_N6thrust23THRUST_200600_302600_NS6detail15normal_iteratorINS9_10device_ptrIiEEEENSB_INSC_ItEEEESG_tNS9_4plusIvEENS9_8equal_toIvEEtEE10hipError_tPvRmT2_T3_T4_T5_mT6_T7_P12ihipStream_tbENKUlT_T0_E_clISt17integral_constantIbLb0EES11_EEDaSW_SX_EUlSW_E_NS1_11comp_targetILNS1_3genE5ELNS1_11target_archE942ELNS1_3gpuE9ELNS1_3repE0EEENS1_30default_config_static_selectorELNS0_4arch9wavefront6targetE0EEEvT1_,"axG",@progbits,_ZN7rocprim17ROCPRIM_400000_NS6detail17trampoline_kernelINS0_14default_configENS1_27scan_by_key_config_selectorIitEEZZNS1_16scan_by_key_implILNS1_25lookback_scan_determinismE0ELb1ES3_N6thrust23THRUST_200600_302600_NS6detail15normal_iteratorINS9_10device_ptrIiEEEENSB_INSC_ItEEEESG_tNS9_4plusIvEENS9_8equal_toIvEEtEE10hipError_tPvRmT2_T3_T4_T5_mT6_T7_P12ihipStream_tbENKUlT_T0_E_clISt17integral_constantIbLb0EES11_EEDaSW_SX_EUlSW_E_NS1_11comp_targetILNS1_3genE5ELNS1_11target_archE942ELNS1_3gpuE9ELNS1_3repE0EEENS1_30default_config_static_selectorELNS0_4arch9wavefront6targetE0EEEvT1_,comdat
	.protected	_ZN7rocprim17ROCPRIM_400000_NS6detail17trampoline_kernelINS0_14default_configENS1_27scan_by_key_config_selectorIitEEZZNS1_16scan_by_key_implILNS1_25lookback_scan_determinismE0ELb1ES3_N6thrust23THRUST_200600_302600_NS6detail15normal_iteratorINS9_10device_ptrIiEEEENSB_INSC_ItEEEESG_tNS9_4plusIvEENS9_8equal_toIvEEtEE10hipError_tPvRmT2_T3_T4_T5_mT6_T7_P12ihipStream_tbENKUlT_T0_E_clISt17integral_constantIbLb0EES11_EEDaSW_SX_EUlSW_E_NS1_11comp_targetILNS1_3genE5ELNS1_11target_archE942ELNS1_3gpuE9ELNS1_3repE0EEENS1_30default_config_static_selectorELNS0_4arch9wavefront6targetE0EEEvT1_ ; -- Begin function _ZN7rocprim17ROCPRIM_400000_NS6detail17trampoline_kernelINS0_14default_configENS1_27scan_by_key_config_selectorIitEEZZNS1_16scan_by_key_implILNS1_25lookback_scan_determinismE0ELb1ES3_N6thrust23THRUST_200600_302600_NS6detail15normal_iteratorINS9_10device_ptrIiEEEENSB_INSC_ItEEEESG_tNS9_4plusIvEENS9_8equal_toIvEEtEE10hipError_tPvRmT2_T3_T4_T5_mT6_T7_P12ihipStream_tbENKUlT_T0_E_clISt17integral_constantIbLb0EES11_EEDaSW_SX_EUlSW_E_NS1_11comp_targetILNS1_3genE5ELNS1_11target_archE942ELNS1_3gpuE9ELNS1_3repE0EEENS1_30default_config_static_selectorELNS0_4arch9wavefront6targetE0EEEvT1_
	.globl	_ZN7rocprim17ROCPRIM_400000_NS6detail17trampoline_kernelINS0_14default_configENS1_27scan_by_key_config_selectorIitEEZZNS1_16scan_by_key_implILNS1_25lookback_scan_determinismE0ELb1ES3_N6thrust23THRUST_200600_302600_NS6detail15normal_iteratorINS9_10device_ptrIiEEEENSB_INSC_ItEEEESG_tNS9_4plusIvEENS9_8equal_toIvEEtEE10hipError_tPvRmT2_T3_T4_T5_mT6_T7_P12ihipStream_tbENKUlT_T0_E_clISt17integral_constantIbLb0EES11_EEDaSW_SX_EUlSW_E_NS1_11comp_targetILNS1_3genE5ELNS1_11target_archE942ELNS1_3gpuE9ELNS1_3repE0EEENS1_30default_config_static_selectorELNS0_4arch9wavefront6targetE0EEEvT1_
	.p2align	8
	.type	_ZN7rocprim17ROCPRIM_400000_NS6detail17trampoline_kernelINS0_14default_configENS1_27scan_by_key_config_selectorIitEEZZNS1_16scan_by_key_implILNS1_25lookback_scan_determinismE0ELb1ES3_N6thrust23THRUST_200600_302600_NS6detail15normal_iteratorINS9_10device_ptrIiEEEENSB_INSC_ItEEEESG_tNS9_4plusIvEENS9_8equal_toIvEEtEE10hipError_tPvRmT2_T3_T4_T5_mT6_T7_P12ihipStream_tbENKUlT_T0_E_clISt17integral_constantIbLb0EES11_EEDaSW_SX_EUlSW_E_NS1_11comp_targetILNS1_3genE5ELNS1_11target_archE942ELNS1_3gpuE9ELNS1_3repE0EEENS1_30default_config_static_selectorELNS0_4arch9wavefront6targetE0EEEvT1_,@function
_ZN7rocprim17ROCPRIM_400000_NS6detail17trampoline_kernelINS0_14default_configENS1_27scan_by_key_config_selectorIitEEZZNS1_16scan_by_key_implILNS1_25lookback_scan_determinismE0ELb1ES3_N6thrust23THRUST_200600_302600_NS6detail15normal_iteratorINS9_10device_ptrIiEEEENSB_INSC_ItEEEESG_tNS9_4plusIvEENS9_8equal_toIvEEtEE10hipError_tPvRmT2_T3_T4_T5_mT6_T7_P12ihipStream_tbENKUlT_T0_E_clISt17integral_constantIbLb0EES11_EEDaSW_SX_EUlSW_E_NS1_11comp_targetILNS1_3genE5ELNS1_11target_archE942ELNS1_3gpuE9ELNS1_3repE0EEENS1_30default_config_static_selectorELNS0_4arch9wavefront6targetE0EEEvT1_: ; @_ZN7rocprim17ROCPRIM_400000_NS6detail17trampoline_kernelINS0_14default_configENS1_27scan_by_key_config_selectorIitEEZZNS1_16scan_by_key_implILNS1_25lookback_scan_determinismE0ELb1ES3_N6thrust23THRUST_200600_302600_NS6detail15normal_iteratorINS9_10device_ptrIiEEEENSB_INSC_ItEEEESG_tNS9_4plusIvEENS9_8equal_toIvEEtEE10hipError_tPvRmT2_T3_T4_T5_mT6_T7_P12ihipStream_tbENKUlT_T0_E_clISt17integral_constantIbLb0EES11_EEDaSW_SX_EUlSW_E_NS1_11comp_targetILNS1_3genE5ELNS1_11target_archE942ELNS1_3gpuE9ELNS1_3repE0EEENS1_30default_config_static_selectorELNS0_4arch9wavefront6targetE0EEEvT1_
; %bb.0:
	.section	.rodata,"a",@progbits
	.p2align	6, 0x0
	.amdhsa_kernel _ZN7rocprim17ROCPRIM_400000_NS6detail17trampoline_kernelINS0_14default_configENS1_27scan_by_key_config_selectorIitEEZZNS1_16scan_by_key_implILNS1_25lookback_scan_determinismE0ELb1ES3_N6thrust23THRUST_200600_302600_NS6detail15normal_iteratorINS9_10device_ptrIiEEEENSB_INSC_ItEEEESG_tNS9_4plusIvEENS9_8equal_toIvEEtEE10hipError_tPvRmT2_T3_T4_T5_mT6_T7_P12ihipStream_tbENKUlT_T0_E_clISt17integral_constantIbLb0EES11_EEDaSW_SX_EUlSW_E_NS1_11comp_targetILNS1_3genE5ELNS1_11target_archE942ELNS1_3gpuE9ELNS1_3repE0EEENS1_30default_config_static_selectorELNS0_4arch9wavefront6targetE0EEEvT1_
		.amdhsa_group_segment_fixed_size 0
		.amdhsa_private_segment_fixed_size 0
		.amdhsa_kernarg_size 112
		.amdhsa_user_sgpr_count 2
		.amdhsa_user_sgpr_dispatch_ptr 0
		.amdhsa_user_sgpr_queue_ptr 0
		.amdhsa_user_sgpr_kernarg_segment_ptr 1
		.amdhsa_user_sgpr_dispatch_id 0
		.amdhsa_user_sgpr_kernarg_preload_length 0
		.amdhsa_user_sgpr_kernarg_preload_offset 0
		.amdhsa_user_sgpr_private_segment_size 0
		.amdhsa_wavefront_size32 1
		.amdhsa_uses_dynamic_stack 0
		.amdhsa_enable_private_segment 0
		.amdhsa_system_sgpr_workgroup_id_x 1
		.amdhsa_system_sgpr_workgroup_id_y 0
		.amdhsa_system_sgpr_workgroup_id_z 0
		.amdhsa_system_sgpr_workgroup_info 0
		.amdhsa_system_vgpr_workitem_id 0
		.amdhsa_next_free_vgpr 1
		.amdhsa_next_free_sgpr 1
		.amdhsa_named_barrier_count 0
		.amdhsa_reserve_vcc 0
		.amdhsa_float_round_mode_32 0
		.amdhsa_float_round_mode_16_64 0
		.amdhsa_float_denorm_mode_32 3
		.amdhsa_float_denorm_mode_16_64 3
		.amdhsa_fp16_overflow 0
		.amdhsa_memory_ordered 1
		.amdhsa_forward_progress 1
		.amdhsa_inst_pref_size 0
		.amdhsa_round_robin_scheduling 0
		.amdhsa_exception_fp_ieee_invalid_op 0
		.amdhsa_exception_fp_denorm_src 0
		.amdhsa_exception_fp_ieee_div_zero 0
		.amdhsa_exception_fp_ieee_overflow 0
		.amdhsa_exception_fp_ieee_underflow 0
		.amdhsa_exception_fp_ieee_inexact 0
		.amdhsa_exception_int_div_zero 0
	.end_amdhsa_kernel
	.section	.text._ZN7rocprim17ROCPRIM_400000_NS6detail17trampoline_kernelINS0_14default_configENS1_27scan_by_key_config_selectorIitEEZZNS1_16scan_by_key_implILNS1_25lookback_scan_determinismE0ELb1ES3_N6thrust23THRUST_200600_302600_NS6detail15normal_iteratorINS9_10device_ptrIiEEEENSB_INSC_ItEEEESG_tNS9_4plusIvEENS9_8equal_toIvEEtEE10hipError_tPvRmT2_T3_T4_T5_mT6_T7_P12ihipStream_tbENKUlT_T0_E_clISt17integral_constantIbLb0EES11_EEDaSW_SX_EUlSW_E_NS1_11comp_targetILNS1_3genE5ELNS1_11target_archE942ELNS1_3gpuE9ELNS1_3repE0EEENS1_30default_config_static_selectorELNS0_4arch9wavefront6targetE0EEEvT1_,"axG",@progbits,_ZN7rocprim17ROCPRIM_400000_NS6detail17trampoline_kernelINS0_14default_configENS1_27scan_by_key_config_selectorIitEEZZNS1_16scan_by_key_implILNS1_25lookback_scan_determinismE0ELb1ES3_N6thrust23THRUST_200600_302600_NS6detail15normal_iteratorINS9_10device_ptrIiEEEENSB_INSC_ItEEEESG_tNS9_4plusIvEENS9_8equal_toIvEEtEE10hipError_tPvRmT2_T3_T4_T5_mT6_T7_P12ihipStream_tbENKUlT_T0_E_clISt17integral_constantIbLb0EES11_EEDaSW_SX_EUlSW_E_NS1_11comp_targetILNS1_3genE5ELNS1_11target_archE942ELNS1_3gpuE9ELNS1_3repE0EEENS1_30default_config_static_selectorELNS0_4arch9wavefront6targetE0EEEvT1_,comdat
.Lfunc_end1537:
	.size	_ZN7rocprim17ROCPRIM_400000_NS6detail17trampoline_kernelINS0_14default_configENS1_27scan_by_key_config_selectorIitEEZZNS1_16scan_by_key_implILNS1_25lookback_scan_determinismE0ELb1ES3_N6thrust23THRUST_200600_302600_NS6detail15normal_iteratorINS9_10device_ptrIiEEEENSB_INSC_ItEEEESG_tNS9_4plusIvEENS9_8equal_toIvEEtEE10hipError_tPvRmT2_T3_T4_T5_mT6_T7_P12ihipStream_tbENKUlT_T0_E_clISt17integral_constantIbLb0EES11_EEDaSW_SX_EUlSW_E_NS1_11comp_targetILNS1_3genE5ELNS1_11target_archE942ELNS1_3gpuE9ELNS1_3repE0EEENS1_30default_config_static_selectorELNS0_4arch9wavefront6targetE0EEEvT1_, .Lfunc_end1537-_ZN7rocprim17ROCPRIM_400000_NS6detail17trampoline_kernelINS0_14default_configENS1_27scan_by_key_config_selectorIitEEZZNS1_16scan_by_key_implILNS1_25lookback_scan_determinismE0ELb1ES3_N6thrust23THRUST_200600_302600_NS6detail15normal_iteratorINS9_10device_ptrIiEEEENSB_INSC_ItEEEESG_tNS9_4plusIvEENS9_8equal_toIvEEtEE10hipError_tPvRmT2_T3_T4_T5_mT6_T7_P12ihipStream_tbENKUlT_T0_E_clISt17integral_constantIbLb0EES11_EEDaSW_SX_EUlSW_E_NS1_11comp_targetILNS1_3genE5ELNS1_11target_archE942ELNS1_3gpuE9ELNS1_3repE0EEENS1_30default_config_static_selectorELNS0_4arch9wavefront6targetE0EEEvT1_
                                        ; -- End function
	.set _ZN7rocprim17ROCPRIM_400000_NS6detail17trampoline_kernelINS0_14default_configENS1_27scan_by_key_config_selectorIitEEZZNS1_16scan_by_key_implILNS1_25lookback_scan_determinismE0ELb1ES3_N6thrust23THRUST_200600_302600_NS6detail15normal_iteratorINS9_10device_ptrIiEEEENSB_INSC_ItEEEESG_tNS9_4plusIvEENS9_8equal_toIvEEtEE10hipError_tPvRmT2_T3_T4_T5_mT6_T7_P12ihipStream_tbENKUlT_T0_E_clISt17integral_constantIbLb0EES11_EEDaSW_SX_EUlSW_E_NS1_11comp_targetILNS1_3genE5ELNS1_11target_archE942ELNS1_3gpuE9ELNS1_3repE0EEENS1_30default_config_static_selectorELNS0_4arch9wavefront6targetE0EEEvT1_.num_vgpr, 0
	.set _ZN7rocprim17ROCPRIM_400000_NS6detail17trampoline_kernelINS0_14default_configENS1_27scan_by_key_config_selectorIitEEZZNS1_16scan_by_key_implILNS1_25lookback_scan_determinismE0ELb1ES3_N6thrust23THRUST_200600_302600_NS6detail15normal_iteratorINS9_10device_ptrIiEEEENSB_INSC_ItEEEESG_tNS9_4plusIvEENS9_8equal_toIvEEtEE10hipError_tPvRmT2_T3_T4_T5_mT6_T7_P12ihipStream_tbENKUlT_T0_E_clISt17integral_constantIbLb0EES11_EEDaSW_SX_EUlSW_E_NS1_11comp_targetILNS1_3genE5ELNS1_11target_archE942ELNS1_3gpuE9ELNS1_3repE0EEENS1_30default_config_static_selectorELNS0_4arch9wavefront6targetE0EEEvT1_.num_agpr, 0
	.set _ZN7rocprim17ROCPRIM_400000_NS6detail17trampoline_kernelINS0_14default_configENS1_27scan_by_key_config_selectorIitEEZZNS1_16scan_by_key_implILNS1_25lookback_scan_determinismE0ELb1ES3_N6thrust23THRUST_200600_302600_NS6detail15normal_iteratorINS9_10device_ptrIiEEEENSB_INSC_ItEEEESG_tNS9_4plusIvEENS9_8equal_toIvEEtEE10hipError_tPvRmT2_T3_T4_T5_mT6_T7_P12ihipStream_tbENKUlT_T0_E_clISt17integral_constantIbLb0EES11_EEDaSW_SX_EUlSW_E_NS1_11comp_targetILNS1_3genE5ELNS1_11target_archE942ELNS1_3gpuE9ELNS1_3repE0EEENS1_30default_config_static_selectorELNS0_4arch9wavefront6targetE0EEEvT1_.numbered_sgpr, 0
	.set _ZN7rocprim17ROCPRIM_400000_NS6detail17trampoline_kernelINS0_14default_configENS1_27scan_by_key_config_selectorIitEEZZNS1_16scan_by_key_implILNS1_25lookback_scan_determinismE0ELb1ES3_N6thrust23THRUST_200600_302600_NS6detail15normal_iteratorINS9_10device_ptrIiEEEENSB_INSC_ItEEEESG_tNS9_4plusIvEENS9_8equal_toIvEEtEE10hipError_tPvRmT2_T3_T4_T5_mT6_T7_P12ihipStream_tbENKUlT_T0_E_clISt17integral_constantIbLb0EES11_EEDaSW_SX_EUlSW_E_NS1_11comp_targetILNS1_3genE5ELNS1_11target_archE942ELNS1_3gpuE9ELNS1_3repE0EEENS1_30default_config_static_selectorELNS0_4arch9wavefront6targetE0EEEvT1_.num_named_barrier, 0
	.set _ZN7rocprim17ROCPRIM_400000_NS6detail17trampoline_kernelINS0_14default_configENS1_27scan_by_key_config_selectorIitEEZZNS1_16scan_by_key_implILNS1_25lookback_scan_determinismE0ELb1ES3_N6thrust23THRUST_200600_302600_NS6detail15normal_iteratorINS9_10device_ptrIiEEEENSB_INSC_ItEEEESG_tNS9_4plusIvEENS9_8equal_toIvEEtEE10hipError_tPvRmT2_T3_T4_T5_mT6_T7_P12ihipStream_tbENKUlT_T0_E_clISt17integral_constantIbLb0EES11_EEDaSW_SX_EUlSW_E_NS1_11comp_targetILNS1_3genE5ELNS1_11target_archE942ELNS1_3gpuE9ELNS1_3repE0EEENS1_30default_config_static_selectorELNS0_4arch9wavefront6targetE0EEEvT1_.private_seg_size, 0
	.set _ZN7rocprim17ROCPRIM_400000_NS6detail17trampoline_kernelINS0_14default_configENS1_27scan_by_key_config_selectorIitEEZZNS1_16scan_by_key_implILNS1_25lookback_scan_determinismE0ELb1ES3_N6thrust23THRUST_200600_302600_NS6detail15normal_iteratorINS9_10device_ptrIiEEEENSB_INSC_ItEEEESG_tNS9_4plusIvEENS9_8equal_toIvEEtEE10hipError_tPvRmT2_T3_T4_T5_mT6_T7_P12ihipStream_tbENKUlT_T0_E_clISt17integral_constantIbLb0EES11_EEDaSW_SX_EUlSW_E_NS1_11comp_targetILNS1_3genE5ELNS1_11target_archE942ELNS1_3gpuE9ELNS1_3repE0EEENS1_30default_config_static_selectorELNS0_4arch9wavefront6targetE0EEEvT1_.uses_vcc, 0
	.set _ZN7rocprim17ROCPRIM_400000_NS6detail17trampoline_kernelINS0_14default_configENS1_27scan_by_key_config_selectorIitEEZZNS1_16scan_by_key_implILNS1_25lookback_scan_determinismE0ELb1ES3_N6thrust23THRUST_200600_302600_NS6detail15normal_iteratorINS9_10device_ptrIiEEEENSB_INSC_ItEEEESG_tNS9_4plusIvEENS9_8equal_toIvEEtEE10hipError_tPvRmT2_T3_T4_T5_mT6_T7_P12ihipStream_tbENKUlT_T0_E_clISt17integral_constantIbLb0EES11_EEDaSW_SX_EUlSW_E_NS1_11comp_targetILNS1_3genE5ELNS1_11target_archE942ELNS1_3gpuE9ELNS1_3repE0EEENS1_30default_config_static_selectorELNS0_4arch9wavefront6targetE0EEEvT1_.uses_flat_scratch, 0
	.set _ZN7rocprim17ROCPRIM_400000_NS6detail17trampoline_kernelINS0_14default_configENS1_27scan_by_key_config_selectorIitEEZZNS1_16scan_by_key_implILNS1_25lookback_scan_determinismE0ELb1ES3_N6thrust23THRUST_200600_302600_NS6detail15normal_iteratorINS9_10device_ptrIiEEEENSB_INSC_ItEEEESG_tNS9_4plusIvEENS9_8equal_toIvEEtEE10hipError_tPvRmT2_T3_T4_T5_mT6_T7_P12ihipStream_tbENKUlT_T0_E_clISt17integral_constantIbLb0EES11_EEDaSW_SX_EUlSW_E_NS1_11comp_targetILNS1_3genE5ELNS1_11target_archE942ELNS1_3gpuE9ELNS1_3repE0EEENS1_30default_config_static_selectorELNS0_4arch9wavefront6targetE0EEEvT1_.has_dyn_sized_stack, 0
	.set _ZN7rocprim17ROCPRIM_400000_NS6detail17trampoline_kernelINS0_14default_configENS1_27scan_by_key_config_selectorIitEEZZNS1_16scan_by_key_implILNS1_25lookback_scan_determinismE0ELb1ES3_N6thrust23THRUST_200600_302600_NS6detail15normal_iteratorINS9_10device_ptrIiEEEENSB_INSC_ItEEEESG_tNS9_4plusIvEENS9_8equal_toIvEEtEE10hipError_tPvRmT2_T3_T4_T5_mT6_T7_P12ihipStream_tbENKUlT_T0_E_clISt17integral_constantIbLb0EES11_EEDaSW_SX_EUlSW_E_NS1_11comp_targetILNS1_3genE5ELNS1_11target_archE942ELNS1_3gpuE9ELNS1_3repE0EEENS1_30default_config_static_selectorELNS0_4arch9wavefront6targetE0EEEvT1_.has_recursion, 0
	.set _ZN7rocprim17ROCPRIM_400000_NS6detail17trampoline_kernelINS0_14default_configENS1_27scan_by_key_config_selectorIitEEZZNS1_16scan_by_key_implILNS1_25lookback_scan_determinismE0ELb1ES3_N6thrust23THRUST_200600_302600_NS6detail15normal_iteratorINS9_10device_ptrIiEEEENSB_INSC_ItEEEESG_tNS9_4plusIvEENS9_8equal_toIvEEtEE10hipError_tPvRmT2_T3_T4_T5_mT6_T7_P12ihipStream_tbENKUlT_T0_E_clISt17integral_constantIbLb0EES11_EEDaSW_SX_EUlSW_E_NS1_11comp_targetILNS1_3genE5ELNS1_11target_archE942ELNS1_3gpuE9ELNS1_3repE0EEENS1_30default_config_static_selectorELNS0_4arch9wavefront6targetE0EEEvT1_.has_indirect_call, 0
	.section	.AMDGPU.csdata,"",@progbits
; Kernel info:
; codeLenInByte = 0
; TotalNumSgprs: 0
; NumVgprs: 0
; ScratchSize: 0
; MemoryBound: 0
; FloatMode: 240
; IeeeMode: 1
; LDSByteSize: 0 bytes/workgroup (compile time only)
; SGPRBlocks: 0
; VGPRBlocks: 0
; NumSGPRsForWavesPerEU: 1
; NumVGPRsForWavesPerEU: 1
; NamedBarCnt: 0
; Occupancy: 16
; WaveLimiterHint : 0
; COMPUTE_PGM_RSRC2:SCRATCH_EN: 0
; COMPUTE_PGM_RSRC2:USER_SGPR: 2
; COMPUTE_PGM_RSRC2:TRAP_HANDLER: 0
; COMPUTE_PGM_RSRC2:TGID_X_EN: 1
; COMPUTE_PGM_RSRC2:TGID_Y_EN: 0
; COMPUTE_PGM_RSRC2:TGID_Z_EN: 0
; COMPUTE_PGM_RSRC2:TIDIG_COMP_CNT: 0
	.section	.text._ZN7rocprim17ROCPRIM_400000_NS6detail17trampoline_kernelINS0_14default_configENS1_27scan_by_key_config_selectorIitEEZZNS1_16scan_by_key_implILNS1_25lookback_scan_determinismE0ELb1ES3_N6thrust23THRUST_200600_302600_NS6detail15normal_iteratorINS9_10device_ptrIiEEEENSB_INSC_ItEEEESG_tNS9_4plusIvEENS9_8equal_toIvEEtEE10hipError_tPvRmT2_T3_T4_T5_mT6_T7_P12ihipStream_tbENKUlT_T0_E_clISt17integral_constantIbLb0EES11_EEDaSW_SX_EUlSW_E_NS1_11comp_targetILNS1_3genE4ELNS1_11target_archE910ELNS1_3gpuE8ELNS1_3repE0EEENS1_30default_config_static_selectorELNS0_4arch9wavefront6targetE0EEEvT1_,"axG",@progbits,_ZN7rocprim17ROCPRIM_400000_NS6detail17trampoline_kernelINS0_14default_configENS1_27scan_by_key_config_selectorIitEEZZNS1_16scan_by_key_implILNS1_25lookback_scan_determinismE0ELb1ES3_N6thrust23THRUST_200600_302600_NS6detail15normal_iteratorINS9_10device_ptrIiEEEENSB_INSC_ItEEEESG_tNS9_4plusIvEENS9_8equal_toIvEEtEE10hipError_tPvRmT2_T3_T4_T5_mT6_T7_P12ihipStream_tbENKUlT_T0_E_clISt17integral_constantIbLb0EES11_EEDaSW_SX_EUlSW_E_NS1_11comp_targetILNS1_3genE4ELNS1_11target_archE910ELNS1_3gpuE8ELNS1_3repE0EEENS1_30default_config_static_selectorELNS0_4arch9wavefront6targetE0EEEvT1_,comdat
	.protected	_ZN7rocprim17ROCPRIM_400000_NS6detail17trampoline_kernelINS0_14default_configENS1_27scan_by_key_config_selectorIitEEZZNS1_16scan_by_key_implILNS1_25lookback_scan_determinismE0ELb1ES3_N6thrust23THRUST_200600_302600_NS6detail15normal_iteratorINS9_10device_ptrIiEEEENSB_INSC_ItEEEESG_tNS9_4plusIvEENS9_8equal_toIvEEtEE10hipError_tPvRmT2_T3_T4_T5_mT6_T7_P12ihipStream_tbENKUlT_T0_E_clISt17integral_constantIbLb0EES11_EEDaSW_SX_EUlSW_E_NS1_11comp_targetILNS1_3genE4ELNS1_11target_archE910ELNS1_3gpuE8ELNS1_3repE0EEENS1_30default_config_static_selectorELNS0_4arch9wavefront6targetE0EEEvT1_ ; -- Begin function _ZN7rocprim17ROCPRIM_400000_NS6detail17trampoline_kernelINS0_14default_configENS1_27scan_by_key_config_selectorIitEEZZNS1_16scan_by_key_implILNS1_25lookback_scan_determinismE0ELb1ES3_N6thrust23THRUST_200600_302600_NS6detail15normal_iteratorINS9_10device_ptrIiEEEENSB_INSC_ItEEEESG_tNS9_4plusIvEENS9_8equal_toIvEEtEE10hipError_tPvRmT2_T3_T4_T5_mT6_T7_P12ihipStream_tbENKUlT_T0_E_clISt17integral_constantIbLb0EES11_EEDaSW_SX_EUlSW_E_NS1_11comp_targetILNS1_3genE4ELNS1_11target_archE910ELNS1_3gpuE8ELNS1_3repE0EEENS1_30default_config_static_selectorELNS0_4arch9wavefront6targetE0EEEvT1_
	.globl	_ZN7rocprim17ROCPRIM_400000_NS6detail17trampoline_kernelINS0_14default_configENS1_27scan_by_key_config_selectorIitEEZZNS1_16scan_by_key_implILNS1_25lookback_scan_determinismE0ELb1ES3_N6thrust23THRUST_200600_302600_NS6detail15normal_iteratorINS9_10device_ptrIiEEEENSB_INSC_ItEEEESG_tNS9_4plusIvEENS9_8equal_toIvEEtEE10hipError_tPvRmT2_T3_T4_T5_mT6_T7_P12ihipStream_tbENKUlT_T0_E_clISt17integral_constantIbLb0EES11_EEDaSW_SX_EUlSW_E_NS1_11comp_targetILNS1_3genE4ELNS1_11target_archE910ELNS1_3gpuE8ELNS1_3repE0EEENS1_30default_config_static_selectorELNS0_4arch9wavefront6targetE0EEEvT1_
	.p2align	8
	.type	_ZN7rocprim17ROCPRIM_400000_NS6detail17trampoline_kernelINS0_14default_configENS1_27scan_by_key_config_selectorIitEEZZNS1_16scan_by_key_implILNS1_25lookback_scan_determinismE0ELb1ES3_N6thrust23THRUST_200600_302600_NS6detail15normal_iteratorINS9_10device_ptrIiEEEENSB_INSC_ItEEEESG_tNS9_4plusIvEENS9_8equal_toIvEEtEE10hipError_tPvRmT2_T3_T4_T5_mT6_T7_P12ihipStream_tbENKUlT_T0_E_clISt17integral_constantIbLb0EES11_EEDaSW_SX_EUlSW_E_NS1_11comp_targetILNS1_3genE4ELNS1_11target_archE910ELNS1_3gpuE8ELNS1_3repE0EEENS1_30default_config_static_selectorELNS0_4arch9wavefront6targetE0EEEvT1_,@function
_ZN7rocprim17ROCPRIM_400000_NS6detail17trampoline_kernelINS0_14default_configENS1_27scan_by_key_config_selectorIitEEZZNS1_16scan_by_key_implILNS1_25lookback_scan_determinismE0ELb1ES3_N6thrust23THRUST_200600_302600_NS6detail15normal_iteratorINS9_10device_ptrIiEEEENSB_INSC_ItEEEESG_tNS9_4plusIvEENS9_8equal_toIvEEtEE10hipError_tPvRmT2_T3_T4_T5_mT6_T7_P12ihipStream_tbENKUlT_T0_E_clISt17integral_constantIbLb0EES11_EEDaSW_SX_EUlSW_E_NS1_11comp_targetILNS1_3genE4ELNS1_11target_archE910ELNS1_3gpuE8ELNS1_3repE0EEENS1_30default_config_static_selectorELNS0_4arch9wavefront6targetE0EEEvT1_: ; @_ZN7rocprim17ROCPRIM_400000_NS6detail17trampoline_kernelINS0_14default_configENS1_27scan_by_key_config_selectorIitEEZZNS1_16scan_by_key_implILNS1_25lookback_scan_determinismE0ELb1ES3_N6thrust23THRUST_200600_302600_NS6detail15normal_iteratorINS9_10device_ptrIiEEEENSB_INSC_ItEEEESG_tNS9_4plusIvEENS9_8equal_toIvEEtEE10hipError_tPvRmT2_T3_T4_T5_mT6_T7_P12ihipStream_tbENKUlT_T0_E_clISt17integral_constantIbLb0EES11_EEDaSW_SX_EUlSW_E_NS1_11comp_targetILNS1_3genE4ELNS1_11target_archE910ELNS1_3gpuE8ELNS1_3repE0EEENS1_30default_config_static_selectorELNS0_4arch9wavefront6targetE0EEEvT1_
; %bb.0:
	.section	.rodata,"a",@progbits
	.p2align	6, 0x0
	.amdhsa_kernel _ZN7rocprim17ROCPRIM_400000_NS6detail17trampoline_kernelINS0_14default_configENS1_27scan_by_key_config_selectorIitEEZZNS1_16scan_by_key_implILNS1_25lookback_scan_determinismE0ELb1ES3_N6thrust23THRUST_200600_302600_NS6detail15normal_iteratorINS9_10device_ptrIiEEEENSB_INSC_ItEEEESG_tNS9_4plusIvEENS9_8equal_toIvEEtEE10hipError_tPvRmT2_T3_T4_T5_mT6_T7_P12ihipStream_tbENKUlT_T0_E_clISt17integral_constantIbLb0EES11_EEDaSW_SX_EUlSW_E_NS1_11comp_targetILNS1_3genE4ELNS1_11target_archE910ELNS1_3gpuE8ELNS1_3repE0EEENS1_30default_config_static_selectorELNS0_4arch9wavefront6targetE0EEEvT1_
		.amdhsa_group_segment_fixed_size 0
		.amdhsa_private_segment_fixed_size 0
		.amdhsa_kernarg_size 112
		.amdhsa_user_sgpr_count 2
		.amdhsa_user_sgpr_dispatch_ptr 0
		.amdhsa_user_sgpr_queue_ptr 0
		.amdhsa_user_sgpr_kernarg_segment_ptr 1
		.amdhsa_user_sgpr_dispatch_id 0
		.amdhsa_user_sgpr_kernarg_preload_length 0
		.amdhsa_user_sgpr_kernarg_preload_offset 0
		.amdhsa_user_sgpr_private_segment_size 0
		.amdhsa_wavefront_size32 1
		.amdhsa_uses_dynamic_stack 0
		.amdhsa_enable_private_segment 0
		.amdhsa_system_sgpr_workgroup_id_x 1
		.amdhsa_system_sgpr_workgroup_id_y 0
		.amdhsa_system_sgpr_workgroup_id_z 0
		.amdhsa_system_sgpr_workgroup_info 0
		.amdhsa_system_vgpr_workitem_id 0
		.amdhsa_next_free_vgpr 1
		.amdhsa_next_free_sgpr 1
		.amdhsa_named_barrier_count 0
		.amdhsa_reserve_vcc 0
		.amdhsa_float_round_mode_32 0
		.amdhsa_float_round_mode_16_64 0
		.amdhsa_float_denorm_mode_32 3
		.amdhsa_float_denorm_mode_16_64 3
		.amdhsa_fp16_overflow 0
		.amdhsa_memory_ordered 1
		.amdhsa_forward_progress 1
		.amdhsa_inst_pref_size 0
		.amdhsa_round_robin_scheduling 0
		.amdhsa_exception_fp_ieee_invalid_op 0
		.amdhsa_exception_fp_denorm_src 0
		.amdhsa_exception_fp_ieee_div_zero 0
		.amdhsa_exception_fp_ieee_overflow 0
		.amdhsa_exception_fp_ieee_underflow 0
		.amdhsa_exception_fp_ieee_inexact 0
		.amdhsa_exception_int_div_zero 0
	.end_amdhsa_kernel
	.section	.text._ZN7rocprim17ROCPRIM_400000_NS6detail17trampoline_kernelINS0_14default_configENS1_27scan_by_key_config_selectorIitEEZZNS1_16scan_by_key_implILNS1_25lookback_scan_determinismE0ELb1ES3_N6thrust23THRUST_200600_302600_NS6detail15normal_iteratorINS9_10device_ptrIiEEEENSB_INSC_ItEEEESG_tNS9_4plusIvEENS9_8equal_toIvEEtEE10hipError_tPvRmT2_T3_T4_T5_mT6_T7_P12ihipStream_tbENKUlT_T0_E_clISt17integral_constantIbLb0EES11_EEDaSW_SX_EUlSW_E_NS1_11comp_targetILNS1_3genE4ELNS1_11target_archE910ELNS1_3gpuE8ELNS1_3repE0EEENS1_30default_config_static_selectorELNS0_4arch9wavefront6targetE0EEEvT1_,"axG",@progbits,_ZN7rocprim17ROCPRIM_400000_NS6detail17trampoline_kernelINS0_14default_configENS1_27scan_by_key_config_selectorIitEEZZNS1_16scan_by_key_implILNS1_25lookback_scan_determinismE0ELb1ES3_N6thrust23THRUST_200600_302600_NS6detail15normal_iteratorINS9_10device_ptrIiEEEENSB_INSC_ItEEEESG_tNS9_4plusIvEENS9_8equal_toIvEEtEE10hipError_tPvRmT2_T3_T4_T5_mT6_T7_P12ihipStream_tbENKUlT_T0_E_clISt17integral_constantIbLb0EES11_EEDaSW_SX_EUlSW_E_NS1_11comp_targetILNS1_3genE4ELNS1_11target_archE910ELNS1_3gpuE8ELNS1_3repE0EEENS1_30default_config_static_selectorELNS0_4arch9wavefront6targetE0EEEvT1_,comdat
.Lfunc_end1538:
	.size	_ZN7rocprim17ROCPRIM_400000_NS6detail17trampoline_kernelINS0_14default_configENS1_27scan_by_key_config_selectorIitEEZZNS1_16scan_by_key_implILNS1_25lookback_scan_determinismE0ELb1ES3_N6thrust23THRUST_200600_302600_NS6detail15normal_iteratorINS9_10device_ptrIiEEEENSB_INSC_ItEEEESG_tNS9_4plusIvEENS9_8equal_toIvEEtEE10hipError_tPvRmT2_T3_T4_T5_mT6_T7_P12ihipStream_tbENKUlT_T0_E_clISt17integral_constantIbLb0EES11_EEDaSW_SX_EUlSW_E_NS1_11comp_targetILNS1_3genE4ELNS1_11target_archE910ELNS1_3gpuE8ELNS1_3repE0EEENS1_30default_config_static_selectorELNS0_4arch9wavefront6targetE0EEEvT1_, .Lfunc_end1538-_ZN7rocprim17ROCPRIM_400000_NS6detail17trampoline_kernelINS0_14default_configENS1_27scan_by_key_config_selectorIitEEZZNS1_16scan_by_key_implILNS1_25lookback_scan_determinismE0ELb1ES3_N6thrust23THRUST_200600_302600_NS6detail15normal_iteratorINS9_10device_ptrIiEEEENSB_INSC_ItEEEESG_tNS9_4plusIvEENS9_8equal_toIvEEtEE10hipError_tPvRmT2_T3_T4_T5_mT6_T7_P12ihipStream_tbENKUlT_T0_E_clISt17integral_constantIbLb0EES11_EEDaSW_SX_EUlSW_E_NS1_11comp_targetILNS1_3genE4ELNS1_11target_archE910ELNS1_3gpuE8ELNS1_3repE0EEENS1_30default_config_static_selectorELNS0_4arch9wavefront6targetE0EEEvT1_
                                        ; -- End function
	.set _ZN7rocprim17ROCPRIM_400000_NS6detail17trampoline_kernelINS0_14default_configENS1_27scan_by_key_config_selectorIitEEZZNS1_16scan_by_key_implILNS1_25lookback_scan_determinismE0ELb1ES3_N6thrust23THRUST_200600_302600_NS6detail15normal_iteratorINS9_10device_ptrIiEEEENSB_INSC_ItEEEESG_tNS9_4plusIvEENS9_8equal_toIvEEtEE10hipError_tPvRmT2_T3_T4_T5_mT6_T7_P12ihipStream_tbENKUlT_T0_E_clISt17integral_constantIbLb0EES11_EEDaSW_SX_EUlSW_E_NS1_11comp_targetILNS1_3genE4ELNS1_11target_archE910ELNS1_3gpuE8ELNS1_3repE0EEENS1_30default_config_static_selectorELNS0_4arch9wavefront6targetE0EEEvT1_.num_vgpr, 0
	.set _ZN7rocprim17ROCPRIM_400000_NS6detail17trampoline_kernelINS0_14default_configENS1_27scan_by_key_config_selectorIitEEZZNS1_16scan_by_key_implILNS1_25lookback_scan_determinismE0ELb1ES3_N6thrust23THRUST_200600_302600_NS6detail15normal_iteratorINS9_10device_ptrIiEEEENSB_INSC_ItEEEESG_tNS9_4plusIvEENS9_8equal_toIvEEtEE10hipError_tPvRmT2_T3_T4_T5_mT6_T7_P12ihipStream_tbENKUlT_T0_E_clISt17integral_constantIbLb0EES11_EEDaSW_SX_EUlSW_E_NS1_11comp_targetILNS1_3genE4ELNS1_11target_archE910ELNS1_3gpuE8ELNS1_3repE0EEENS1_30default_config_static_selectorELNS0_4arch9wavefront6targetE0EEEvT1_.num_agpr, 0
	.set _ZN7rocprim17ROCPRIM_400000_NS6detail17trampoline_kernelINS0_14default_configENS1_27scan_by_key_config_selectorIitEEZZNS1_16scan_by_key_implILNS1_25lookback_scan_determinismE0ELb1ES3_N6thrust23THRUST_200600_302600_NS6detail15normal_iteratorINS9_10device_ptrIiEEEENSB_INSC_ItEEEESG_tNS9_4plusIvEENS9_8equal_toIvEEtEE10hipError_tPvRmT2_T3_T4_T5_mT6_T7_P12ihipStream_tbENKUlT_T0_E_clISt17integral_constantIbLb0EES11_EEDaSW_SX_EUlSW_E_NS1_11comp_targetILNS1_3genE4ELNS1_11target_archE910ELNS1_3gpuE8ELNS1_3repE0EEENS1_30default_config_static_selectorELNS0_4arch9wavefront6targetE0EEEvT1_.numbered_sgpr, 0
	.set _ZN7rocprim17ROCPRIM_400000_NS6detail17trampoline_kernelINS0_14default_configENS1_27scan_by_key_config_selectorIitEEZZNS1_16scan_by_key_implILNS1_25lookback_scan_determinismE0ELb1ES3_N6thrust23THRUST_200600_302600_NS6detail15normal_iteratorINS9_10device_ptrIiEEEENSB_INSC_ItEEEESG_tNS9_4plusIvEENS9_8equal_toIvEEtEE10hipError_tPvRmT2_T3_T4_T5_mT6_T7_P12ihipStream_tbENKUlT_T0_E_clISt17integral_constantIbLb0EES11_EEDaSW_SX_EUlSW_E_NS1_11comp_targetILNS1_3genE4ELNS1_11target_archE910ELNS1_3gpuE8ELNS1_3repE0EEENS1_30default_config_static_selectorELNS0_4arch9wavefront6targetE0EEEvT1_.num_named_barrier, 0
	.set _ZN7rocprim17ROCPRIM_400000_NS6detail17trampoline_kernelINS0_14default_configENS1_27scan_by_key_config_selectorIitEEZZNS1_16scan_by_key_implILNS1_25lookback_scan_determinismE0ELb1ES3_N6thrust23THRUST_200600_302600_NS6detail15normal_iteratorINS9_10device_ptrIiEEEENSB_INSC_ItEEEESG_tNS9_4plusIvEENS9_8equal_toIvEEtEE10hipError_tPvRmT2_T3_T4_T5_mT6_T7_P12ihipStream_tbENKUlT_T0_E_clISt17integral_constantIbLb0EES11_EEDaSW_SX_EUlSW_E_NS1_11comp_targetILNS1_3genE4ELNS1_11target_archE910ELNS1_3gpuE8ELNS1_3repE0EEENS1_30default_config_static_selectorELNS0_4arch9wavefront6targetE0EEEvT1_.private_seg_size, 0
	.set _ZN7rocprim17ROCPRIM_400000_NS6detail17trampoline_kernelINS0_14default_configENS1_27scan_by_key_config_selectorIitEEZZNS1_16scan_by_key_implILNS1_25lookback_scan_determinismE0ELb1ES3_N6thrust23THRUST_200600_302600_NS6detail15normal_iteratorINS9_10device_ptrIiEEEENSB_INSC_ItEEEESG_tNS9_4plusIvEENS9_8equal_toIvEEtEE10hipError_tPvRmT2_T3_T4_T5_mT6_T7_P12ihipStream_tbENKUlT_T0_E_clISt17integral_constantIbLb0EES11_EEDaSW_SX_EUlSW_E_NS1_11comp_targetILNS1_3genE4ELNS1_11target_archE910ELNS1_3gpuE8ELNS1_3repE0EEENS1_30default_config_static_selectorELNS0_4arch9wavefront6targetE0EEEvT1_.uses_vcc, 0
	.set _ZN7rocprim17ROCPRIM_400000_NS6detail17trampoline_kernelINS0_14default_configENS1_27scan_by_key_config_selectorIitEEZZNS1_16scan_by_key_implILNS1_25lookback_scan_determinismE0ELb1ES3_N6thrust23THRUST_200600_302600_NS6detail15normal_iteratorINS9_10device_ptrIiEEEENSB_INSC_ItEEEESG_tNS9_4plusIvEENS9_8equal_toIvEEtEE10hipError_tPvRmT2_T3_T4_T5_mT6_T7_P12ihipStream_tbENKUlT_T0_E_clISt17integral_constantIbLb0EES11_EEDaSW_SX_EUlSW_E_NS1_11comp_targetILNS1_3genE4ELNS1_11target_archE910ELNS1_3gpuE8ELNS1_3repE0EEENS1_30default_config_static_selectorELNS0_4arch9wavefront6targetE0EEEvT1_.uses_flat_scratch, 0
	.set _ZN7rocprim17ROCPRIM_400000_NS6detail17trampoline_kernelINS0_14default_configENS1_27scan_by_key_config_selectorIitEEZZNS1_16scan_by_key_implILNS1_25lookback_scan_determinismE0ELb1ES3_N6thrust23THRUST_200600_302600_NS6detail15normal_iteratorINS9_10device_ptrIiEEEENSB_INSC_ItEEEESG_tNS9_4plusIvEENS9_8equal_toIvEEtEE10hipError_tPvRmT2_T3_T4_T5_mT6_T7_P12ihipStream_tbENKUlT_T0_E_clISt17integral_constantIbLb0EES11_EEDaSW_SX_EUlSW_E_NS1_11comp_targetILNS1_3genE4ELNS1_11target_archE910ELNS1_3gpuE8ELNS1_3repE0EEENS1_30default_config_static_selectorELNS0_4arch9wavefront6targetE0EEEvT1_.has_dyn_sized_stack, 0
	.set _ZN7rocprim17ROCPRIM_400000_NS6detail17trampoline_kernelINS0_14default_configENS1_27scan_by_key_config_selectorIitEEZZNS1_16scan_by_key_implILNS1_25lookback_scan_determinismE0ELb1ES3_N6thrust23THRUST_200600_302600_NS6detail15normal_iteratorINS9_10device_ptrIiEEEENSB_INSC_ItEEEESG_tNS9_4plusIvEENS9_8equal_toIvEEtEE10hipError_tPvRmT2_T3_T4_T5_mT6_T7_P12ihipStream_tbENKUlT_T0_E_clISt17integral_constantIbLb0EES11_EEDaSW_SX_EUlSW_E_NS1_11comp_targetILNS1_3genE4ELNS1_11target_archE910ELNS1_3gpuE8ELNS1_3repE0EEENS1_30default_config_static_selectorELNS0_4arch9wavefront6targetE0EEEvT1_.has_recursion, 0
	.set _ZN7rocprim17ROCPRIM_400000_NS6detail17trampoline_kernelINS0_14default_configENS1_27scan_by_key_config_selectorIitEEZZNS1_16scan_by_key_implILNS1_25lookback_scan_determinismE0ELb1ES3_N6thrust23THRUST_200600_302600_NS6detail15normal_iteratorINS9_10device_ptrIiEEEENSB_INSC_ItEEEESG_tNS9_4plusIvEENS9_8equal_toIvEEtEE10hipError_tPvRmT2_T3_T4_T5_mT6_T7_P12ihipStream_tbENKUlT_T0_E_clISt17integral_constantIbLb0EES11_EEDaSW_SX_EUlSW_E_NS1_11comp_targetILNS1_3genE4ELNS1_11target_archE910ELNS1_3gpuE8ELNS1_3repE0EEENS1_30default_config_static_selectorELNS0_4arch9wavefront6targetE0EEEvT1_.has_indirect_call, 0
	.section	.AMDGPU.csdata,"",@progbits
; Kernel info:
; codeLenInByte = 0
; TotalNumSgprs: 0
; NumVgprs: 0
; ScratchSize: 0
; MemoryBound: 0
; FloatMode: 240
; IeeeMode: 1
; LDSByteSize: 0 bytes/workgroup (compile time only)
; SGPRBlocks: 0
; VGPRBlocks: 0
; NumSGPRsForWavesPerEU: 1
; NumVGPRsForWavesPerEU: 1
; NamedBarCnt: 0
; Occupancy: 16
; WaveLimiterHint : 0
; COMPUTE_PGM_RSRC2:SCRATCH_EN: 0
; COMPUTE_PGM_RSRC2:USER_SGPR: 2
; COMPUTE_PGM_RSRC2:TRAP_HANDLER: 0
; COMPUTE_PGM_RSRC2:TGID_X_EN: 1
; COMPUTE_PGM_RSRC2:TGID_Y_EN: 0
; COMPUTE_PGM_RSRC2:TGID_Z_EN: 0
; COMPUTE_PGM_RSRC2:TIDIG_COMP_CNT: 0
	.section	.text._ZN7rocprim17ROCPRIM_400000_NS6detail17trampoline_kernelINS0_14default_configENS1_27scan_by_key_config_selectorIitEEZZNS1_16scan_by_key_implILNS1_25lookback_scan_determinismE0ELb1ES3_N6thrust23THRUST_200600_302600_NS6detail15normal_iteratorINS9_10device_ptrIiEEEENSB_INSC_ItEEEESG_tNS9_4plusIvEENS9_8equal_toIvEEtEE10hipError_tPvRmT2_T3_T4_T5_mT6_T7_P12ihipStream_tbENKUlT_T0_E_clISt17integral_constantIbLb0EES11_EEDaSW_SX_EUlSW_E_NS1_11comp_targetILNS1_3genE3ELNS1_11target_archE908ELNS1_3gpuE7ELNS1_3repE0EEENS1_30default_config_static_selectorELNS0_4arch9wavefront6targetE0EEEvT1_,"axG",@progbits,_ZN7rocprim17ROCPRIM_400000_NS6detail17trampoline_kernelINS0_14default_configENS1_27scan_by_key_config_selectorIitEEZZNS1_16scan_by_key_implILNS1_25lookback_scan_determinismE0ELb1ES3_N6thrust23THRUST_200600_302600_NS6detail15normal_iteratorINS9_10device_ptrIiEEEENSB_INSC_ItEEEESG_tNS9_4plusIvEENS9_8equal_toIvEEtEE10hipError_tPvRmT2_T3_T4_T5_mT6_T7_P12ihipStream_tbENKUlT_T0_E_clISt17integral_constantIbLb0EES11_EEDaSW_SX_EUlSW_E_NS1_11comp_targetILNS1_3genE3ELNS1_11target_archE908ELNS1_3gpuE7ELNS1_3repE0EEENS1_30default_config_static_selectorELNS0_4arch9wavefront6targetE0EEEvT1_,comdat
	.protected	_ZN7rocprim17ROCPRIM_400000_NS6detail17trampoline_kernelINS0_14default_configENS1_27scan_by_key_config_selectorIitEEZZNS1_16scan_by_key_implILNS1_25lookback_scan_determinismE0ELb1ES3_N6thrust23THRUST_200600_302600_NS6detail15normal_iteratorINS9_10device_ptrIiEEEENSB_INSC_ItEEEESG_tNS9_4plusIvEENS9_8equal_toIvEEtEE10hipError_tPvRmT2_T3_T4_T5_mT6_T7_P12ihipStream_tbENKUlT_T0_E_clISt17integral_constantIbLb0EES11_EEDaSW_SX_EUlSW_E_NS1_11comp_targetILNS1_3genE3ELNS1_11target_archE908ELNS1_3gpuE7ELNS1_3repE0EEENS1_30default_config_static_selectorELNS0_4arch9wavefront6targetE0EEEvT1_ ; -- Begin function _ZN7rocprim17ROCPRIM_400000_NS6detail17trampoline_kernelINS0_14default_configENS1_27scan_by_key_config_selectorIitEEZZNS1_16scan_by_key_implILNS1_25lookback_scan_determinismE0ELb1ES3_N6thrust23THRUST_200600_302600_NS6detail15normal_iteratorINS9_10device_ptrIiEEEENSB_INSC_ItEEEESG_tNS9_4plusIvEENS9_8equal_toIvEEtEE10hipError_tPvRmT2_T3_T4_T5_mT6_T7_P12ihipStream_tbENKUlT_T0_E_clISt17integral_constantIbLb0EES11_EEDaSW_SX_EUlSW_E_NS1_11comp_targetILNS1_3genE3ELNS1_11target_archE908ELNS1_3gpuE7ELNS1_3repE0EEENS1_30default_config_static_selectorELNS0_4arch9wavefront6targetE0EEEvT1_
	.globl	_ZN7rocprim17ROCPRIM_400000_NS6detail17trampoline_kernelINS0_14default_configENS1_27scan_by_key_config_selectorIitEEZZNS1_16scan_by_key_implILNS1_25lookback_scan_determinismE0ELb1ES3_N6thrust23THRUST_200600_302600_NS6detail15normal_iteratorINS9_10device_ptrIiEEEENSB_INSC_ItEEEESG_tNS9_4plusIvEENS9_8equal_toIvEEtEE10hipError_tPvRmT2_T3_T4_T5_mT6_T7_P12ihipStream_tbENKUlT_T0_E_clISt17integral_constantIbLb0EES11_EEDaSW_SX_EUlSW_E_NS1_11comp_targetILNS1_3genE3ELNS1_11target_archE908ELNS1_3gpuE7ELNS1_3repE0EEENS1_30default_config_static_selectorELNS0_4arch9wavefront6targetE0EEEvT1_
	.p2align	8
	.type	_ZN7rocprim17ROCPRIM_400000_NS6detail17trampoline_kernelINS0_14default_configENS1_27scan_by_key_config_selectorIitEEZZNS1_16scan_by_key_implILNS1_25lookback_scan_determinismE0ELb1ES3_N6thrust23THRUST_200600_302600_NS6detail15normal_iteratorINS9_10device_ptrIiEEEENSB_INSC_ItEEEESG_tNS9_4plusIvEENS9_8equal_toIvEEtEE10hipError_tPvRmT2_T3_T4_T5_mT6_T7_P12ihipStream_tbENKUlT_T0_E_clISt17integral_constantIbLb0EES11_EEDaSW_SX_EUlSW_E_NS1_11comp_targetILNS1_3genE3ELNS1_11target_archE908ELNS1_3gpuE7ELNS1_3repE0EEENS1_30default_config_static_selectorELNS0_4arch9wavefront6targetE0EEEvT1_,@function
_ZN7rocprim17ROCPRIM_400000_NS6detail17trampoline_kernelINS0_14default_configENS1_27scan_by_key_config_selectorIitEEZZNS1_16scan_by_key_implILNS1_25lookback_scan_determinismE0ELb1ES3_N6thrust23THRUST_200600_302600_NS6detail15normal_iteratorINS9_10device_ptrIiEEEENSB_INSC_ItEEEESG_tNS9_4plusIvEENS9_8equal_toIvEEtEE10hipError_tPvRmT2_T3_T4_T5_mT6_T7_P12ihipStream_tbENKUlT_T0_E_clISt17integral_constantIbLb0EES11_EEDaSW_SX_EUlSW_E_NS1_11comp_targetILNS1_3genE3ELNS1_11target_archE908ELNS1_3gpuE7ELNS1_3repE0EEENS1_30default_config_static_selectorELNS0_4arch9wavefront6targetE0EEEvT1_: ; @_ZN7rocprim17ROCPRIM_400000_NS6detail17trampoline_kernelINS0_14default_configENS1_27scan_by_key_config_selectorIitEEZZNS1_16scan_by_key_implILNS1_25lookback_scan_determinismE0ELb1ES3_N6thrust23THRUST_200600_302600_NS6detail15normal_iteratorINS9_10device_ptrIiEEEENSB_INSC_ItEEEESG_tNS9_4plusIvEENS9_8equal_toIvEEtEE10hipError_tPvRmT2_T3_T4_T5_mT6_T7_P12ihipStream_tbENKUlT_T0_E_clISt17integral_constantIbLb0EES11_EEDaSW_SX_EUlSW_E_NS1_11comp_targetILNS1_3genE3ELNS1_11target_archE908ELNS1_3gpuE7ELNS1_3repE0EEENS1_30default_config_static_selectorELNS0_4arch9wavefront6targetE0EEEvT1_
; %bb.0:
	.section	.rodata,"a",@progbits
	.p2align	6, 0x0
	.amdhsa_kernel _ZN7rocprim17ROCPRIM_400000_NS6detail17trampoline_kernelINS0_14default_configENS1_27scan_by_key_config_selectorIitEEZZNS1_16scan_by_key_implILNS1_25lookback_scan_determinismE0ELb1ES3_N6thrust23THRUST_200600_302600_NS6detail15normal_iteratorINS9_10device_ptrIiEEEENSB_INSC_ItEEEESG_tNS9_4plusIvEENS9_8equal_toIvEEtEE10hipError_tPvRmT2_T3_T4_T5_mT6_T7_P12ihipStream_tbENKUlT_T0_E_clISt17integral_constantIbLb0EES11_EEDaSW_SX_EUlSW_E_NS1_11comp_targetILNS1_3genE3ELNS1_11target_archE908ELNS1_3gpuE7ELNS1_3repE0EEENS1_30default_config_static_selectorELNS0_4arch9wavefront6targetE0EEEvT1_
		.amdhsa_group_segment_fixed_size 0
		.amdhsa_private_segment_fixed_size 0
		.amdhsa_kernarg_size 112
		.amdhsa_user_sgpr_count 2
		.amdhsa_user_sgpr_dispatch_ptr 0
		.amdhsa_user_sgpr_queue_ptr 0
		.amdhsa_user_sgpr_kernarg_segment_ptr 1
		.amdhsa_user_sgpr_dispatch_id 0
		.amdhsa_user_sgpr_kernarg_preload_length 0
		.amdhsa_user_sgpr_kernarg_preload_offset 0
		.amdhsa_user_sgpr_private_segment_size 0
		.amdhsa_wavefront_size32 1
		.amdhsa_uses_dynamic_stack 0
		.amdhsa_enable_private_segment 0
		.amdhsa_system_sgpr_workgroup_id_x 1
		.amdhsa_system_sgpr_workgroup_id_y 0
		.amdhsa_system_sgpr_workgroup_id_z 0
		.amdhsa_system_sgpr_workgroup_info 0
		.amdhsa_system_vgpr_workitem_id 0
		.amdhsa_next_free_vgpr 1
		.amdhsa_next_free_sgpr 1
		.amdhsa_named_barrier_count 0
		.amdhsa_reserve_vcc 0
		.amdhsa_float_round_mode_32 0
		.amdhsa_float_round_mode_16_64 0
		.amdhsa_float_denorm_mode_32 3
		.amdhsa_float_denorm_mode_16_64 3
		.amdhsa_fp16_overflow 0
		.amdhsa_memory_ordered 1
		.amdhsa_forward_progress 1
		.amdhsa_inst_pref_size 0
		.amdhsa_round_robin_scheduling 0
		.amdhsa_exception_fp_ieee_invalid_op 0
		.amdhsa_exception_fp_denorm_src 0
		.amdhsa_exception_fp_ieee_div_zero 0
		.amdhsa_exception_fp_ieee_overflow 0
		.amdhsa_exception_fp_ieee_underflow 0
		.amdhsa_exception_fp_ieee_inexact 0
		.amdhsa_exception_int_div_zero 0
	.end_amdhsa_kernel
	.section	.text._ZN7rocprim17ROCPRIM_400000_NS6detail17trampoline_kernelINS0_14default_configENS1_27scan_by_key_config_selectorIitEEZZNS1_16scan_by_key_implILNS1_25lookback_scan_determinismE0ELb1ES3_N6thrust23THRUST_200600_302600_NS6detail15normal_iteratorINS9_10device_ptrIiEEEENSB_INSC_ItEEEESG_tNS9_4plusIvEENS9_8equal_toIvEEtEE10hipError_tPvRmT2_T3_T4_T5_mT6_T7_P12ihipStream_tbENKUlT_T0_E_clISt17integral_constantIbLb0EES11_EEDaSW_SX_EUlSW_E_NS1_11comp_targetILNS1_3genE3ELNS1_11target_archE908ELNS1_3gpuE7ELNS1_3repE0EEENS1_30default_config_static_selectorELNS0_4arch9wavefront6targetE0EEEvT1_,"axG",@progbits,_ZN7rocprim17ROCPRIM_400000_NS6detail17trampoline_kernelINS0_14default_configENS1_27scan_by_key_config_selectorIitEEZZNS1_16scan_by_key_implILNS1_25lookback_scan_determinismE0ELb1ES3_N6thrust23THRUST_200600_302600_NS6detail15normal_iteratorINS9_10device_ptrIiEEEENSB_INSC_ItEEEESG_tNS9_4plusIvEENS9_8equal_toIvEEtEE10hipError_tPvRmT2_T3_T4_T5_mT6_T7_P12ihipStream_tbENKUlT_T0_E_clISt17integral_constantIbLb0EES11_EEDaSW_SX_EUlSW_E_NS1_11comp_targetILNS1_3genE3ELNS1_11target_archE908ELNS1_3gpuE7ELNS1_3repE0EEENS1_30default_config_static_selectorELNS0_4arch9wavefront6targetE0EEEvT1_,comdat
.Lfunc_end1539:
	.size	_ZN7rocprim17ROCPRIM_400000_NS6detail17trampoline_kernelINS0_14default_configENS1_27scan_by_key_config_selectorIitEEZZNS1_16scan_by_key_implILNS1_25lookback_scan_determinismE0ELb1ES3_N6thrust23THRUST_200600_302600_NS6detail15normal_iteratorINS9_10device_ptrIiEEEENSB_INSC_ItEEEESG_tNS9_4plusIvEENS9_8equal_toIvEEtEE10hipError_tPvRmT2_T3_T4_T5_mT6_T7_P12ihipStream_tbENKUlT_T0_E_clISt17integral_constantIbLb0EES11_EEDaSW_SX_EUlSW_E_NS1_11comp_targetILNS1_3genE3ELNS1_11target_archE908ELNS1_3gpuE7ELNS1_3repE0EEENS1_30default_config_static_selectorELNS0_4arch9wavefront6targetE0EEEvT1_, .Lfunc_end1539-_ZN7rocprim17ROCPRIM_400000_NS6detail17trampoline_kernelINS0_14default_configENS1_27scan_by_key_config_selectorIitEEZZNS1_16scan_by_key_implILNS1_25lookback_scan_determinismE0ELb1ES3_N6thrust23THRUST_200600_302600_NS6detail15normal_iteratorINS9_10device_ptrIiEEEENSB_INSC_ItEEEESG_tNS9_4plusIvEENS9_8equal_toIvEEtEE10hipError_tPvRmT2_T3_T4_T5_mT6_T7_P12ihipStream_tbENKUlT_T0_E_clISt17integral_constantIbLb0EES11_EEDaSW_SX_EUlSW_E_NS1_11comp_targetILNS1_3genE3ELNS1_11target_archE908ELNS1_3gpuE7ELNS1_3repE0EEENS1_30default_config_static_selectorELNS0_4arch9wavefront6targetE0EEEvT1_
                                        ; -- End function
	.set _ZN7rocprim17ROCPRIM_400000_NS6detail17trampoline_kernelINS0_14default_configENS1_27scan_by_key_config_selectorIitEEZZNS1_16scan_by_key_implILNS1_25lookback_scan_determinismE0ELb1ES3_N6thrust23THRUST_200600_302600_NS6detail15normal_iteratorINS9_10device_ptrIiEEEENSB_INSC_ItEEEESG_tNS9_4plusIvEENS9_8equal_toIvEEtEE10hipError_tPvRmT2_T3_T4_T5_mT6_T7_P12ihipStream_tbENKUlT_T0_E_clISt17integral_constantIbLb0EES11_EEDaSW_SX_EUlSW_E_NS1_11comp_targetILNS1_3genE3ELNS1_11target_archE908ELNS1_3gpuE7ELNS1_3repE0EEENS1_30default_config_static_selectorELNS0_4arch9wavefront6targetE0EEEvT1_.num_vgpr, 0
	.set _ZN7rocprim17ROCPRIM_400000_NS6detail17trampoline_kernelINS0_14default_configENS1_27scan_by_key_config_selectorIitEEZZNS1_16scan_by_key_implILNS1_25lookback_scan_determinismE0ELb1ES3_N6thrust23THRUST_200600_302600_NS6detail15normal_iteratorINS9_10device_ptrIiEEEENSB_INSC_ItEEEESG_tNS9_4plusIvEENS9_8equal_toIvEEtEE10hipError_tPvRmT2_T3_T4_T5_mT6_T7_P12ihipStream_tbENKUlT_T0_E_clISt17integral_constantIbLb0EES11_EEDaSW_SX_EUlSW_E_NS1_11comp_targetILNS1_3genE3ELNS1_11target_archE908ELNS1_3gpuE7ELNS1_3repE0EEENS1_30default_config_static_selectorELNS0_4arch9wavefront6targetE0EEEvT1_.num_agpr, 0
	.set _ZN7rocprim17ROCPRIM_400000_NS6detail17trampoline_kernelINS0_14default_configENS1_27scan_by_key_config_selectorIitEEZZNS1_16scan_by_key_implILNS1_25lookback_scan_determinismE0ELb1ES3_N6thrust23THRUST_200600_302600_NS6detail15normal_iteratorINS9_10device_ptrIiEEEENSB_INSC_ItEEEESG_tNS9_4plusIvEENS9_8equal_toIvEEtEE10hipError_tPvRmT2_T3_T4_T5_mT6_T7_P12ihipStream_tbENKUlT_T0_E_clISt17integral_constantIbLb0EES11_EEDaSW_SX_EUlSW_E_NS1_11comp_targetILNS1_3genE3ELNS1_11target_archE908ELNS1_3gpuE7ELNS1_3repE0EEENS1_30default_config_static_selectorELNS0_4arch9wavefront6targetE0EEEvT1_.numbered_sgpr, 0
	.set _ZN7rocprim17ROCPRIM_400000_NS6detail17trampoline_kernelINS0_14default_configENS1_27scan_by_key_config_selectorIitEEZZNS1_16scan_by_key_implILNS1_25lookback_scan_determinismE0ELb1ES3_N6thrust23THRUST_200600_302600_NS6detail15normal_iteratorINS9_10device_ptrIiEEEENSB_INSC_ItEEEESG_tNS9_4plusIvEENS9_8equal_toIvEEtEE10hipError_tPvRmT2_T3_T4_T5_mT6_T7_P12ihipStream_tbENKUlT_T0_E_clISt17integral_constantIbLb0EES11_EEDaSW_SX_EUlSW_E_NS1_11comp_targetILNS1_3genE3ELNS1_11target_archE908ELNS1_3gpuE7ELNS1_3repE0EEENS1_30default_config_static_selectorELNS0_4arch9wavefront6targetE0EEEvT1_.num_named_barrier, 0
	.set _ZN7rocprim17ROCPRIM_400000_NS6detail17trampoline_kernelINS0_14default_configENS1_27scan_by_key_config_selectorIitEEZZNS1_16scan_by_key_implILNS1_25lookback_scan_determinismE0ELb1ES3_N6thrust23THRUST_200600_302600_NS6detail15normal_iteratorINS9_10device_ptrIiEEEENSB_INSC_ItEEEESG_tNS9_4plusIvEENS9_8equal_toIvEEtEE10hipError_tPvRmT2_T3_T4_T5_mT6_T7_P12ihipStream_tbENKUlT_T0_E_clISt17integral_constantIbLb0EES11_EEDaSW_SX_EUlSW_E_NS1_11comp_targetILNS1_3genE3ELNS1_11target_archE908ELNS1_3gpuE7ELNS1_3repE0EEENS1_30default_config_static_selectorELNS0_4arch9wavefront6targetE0EEEvT1_.private_seg_size, 0
	.set _ZN7rocprim17ROCPRIM_400000_NS6detail17trampoline_kernelINS0_14default_configENS1_27scan_by_key_config_selectorIitEEZZNS1_16scan_by_key_implILNS1_25lookback_scan_determinismE0ELb1ES3_N6thrust23THRUST_200600_302600_NS6detail15normal_iteratorINS9_10device_ptrIiEEEENSB_INSC_ItEEEESG_tNS9_4plusIvEENS9_8equal_toIvEEtEE10hipError_tPvRmT2_T3_T4_T5_mT6_T7_P12ihipStream_tbENKUlT_T0_E_clISt17integral_constantIbLb0EES11_EEDaSW_SX_EUlSW_E_NS1_11comp_targetILNS1_3genE3ELNS1_11target_archE908ELNS1_3gpuE7ELNS1_3repE0EEENS1_30default_config_static_selectorELNS0_4arch9wavefront6targetE0EEEvT1_.uses_vcc, 0
	.set _ZN7rocprim17ROCPRIM_400000_NS6detail17trampoline_kernelINS0_14default_configENS1_27scan_by_key_config_selectorIitEEZZNS1_16scan_by_key_implILNS1_25lookback_scan_determinismE0ELb1ES3_N6thrust23THRUST_200600_302600_NS6detail15normal_iteratorINS9_10device_ptrIiEEEENSB_INSC_ItEEEESG_tNS9_4plusIvEENS9_8equal_toIvEEtEE10hipError_tPvRmT2_T3_T4_T5_mT6_T7_P12ihipStream_tbENKUlT_T0_E_clISt17integral_constantIbLb0EES11_EEDaSW_SX_EUlSW_E_NS1_11comp_targetILNS1_3genE3ELNS1_11target_archE908ELNS1_3gpuE7ELNS1_3repE0EEENS1_30default_config_static_selectorELNS0_4arch9wavefront6targetE0EEEvT1_.uses_flat_scratch, 0
	.set _ZN7rocprim17ROCPRIM_400000_NS6detail17trampoline_kernelINS0_14default_configENS1_27scan_by_key_config_selectorIitEEZZNS1_16scan_by_key_implILNS1_25lookback_scan_determinismE0ELb1ES3_N6thrust23THRUST_200600_302600_NS6detail15normal_iteratorINS9_10device_ptrIiEEEENSB_INSC_ItEEEESG_tNS9_4plusIvEENS9_8equal_toIvEEtEE10hipError_tPvRmT2_T3_T4_T5_mT6_T7_P12ihipStream_tbENKUlT_T0_E_clISt17integral_constantIbLb0EES11_EEDaSW_SX_EUlSW_E_NS1_11comp_targetILNS1_3genE3ELNS1_11target_archE908ELNS1_3gpuE7ELNS1_3repE0EEENS1_30default_config_static_selectorELNS0_4arch9wavefront6targetE0EEEvT1_.has_dyn_sized_stack, 0
	.set _ZN7rocprim17ROCPRIM_400000_NS6detail17trampoline_kernelINS0_14default_configENS1_27scan_by_key_config_selectorIitEEZZNS1_16scan_by_key_implILNS1_25lookback_scan_determinismE0ELb1ES3_N6thrust23THRUST_200600_302600_NS6detail15normal_iteratorINS9_10device_ptrIiEEEENSB_INSC_ItEEEESG_tNS9_4plusIvEENS9_8equal_toIvEEtEE10hipError_tPvRmT2_T3_T4_T5_mT6_T7_P12ihipStream_tbENKUlT_T0_E_clISt17integral_constantIbLb0EES11_EEDaSW_SX_EUlSW_E_NS1_11comp_targetILNS1_3genE3ELNS1_11target_archE908ELNS1_3gpuE7ELNS1_3repE0EEENS1_30default_config_static_selectorELNS0_4arch9wavefront6targetE0EEEvT1_.has_recursion, 0
	.set _ZN7rocprim17ROCPRIM_400000_NS6detail17trampoline_kernelINS0_14default_configENS1_27scan_by_key_config_selectorIitEEZZNS1_16scan_by_key_implILNS1_25lookback_scan_determinismE0ELb1ES3_N6thrust23THRUST_200600_302600_NS6detail15normal_iteratorINS9_10device_ptrIiEEEENSB_INSC_ItEEEESG_tNS9_4plusIvEENS9_8equal_toIvEEtEE10hipError_tPvRmT2_T3_T4_T5_mT6_T7_P12ihipStream_tbENKUlT_T0_E_clISt17integral_constantIbLb0EES11_EEDaSW_SX_EUlSW_E_NS1_11comp_targetILNS1_3genE3ELNS1_11target_archE908ELNS1_3gpuE7ELNS1_3repE0EEENS1_30default_config_static_selectorELNS0_4arch9wavefront6targetE0EEEvT1_.has_indirect_call, 0
	.section	.AMDGPU.csdata,"",@progbits
; Kernel info:
; codeLenInByte = 0
; TotalNumSgprs: 0
; NumVgprs: 0
; ScratchSize: 0
; MemoryBound: 0
; FloatMode: 240
; IeeeMode: 1
; LDSByteSize: 0 bytes/workgroup (compile time only)
; SGPRBlocks: 0
; VGPRBlocks: 0
; NumSGPRsForWavesPerEU: 1
; NumVGPRsForWavesPerEU: 1
; NamedBarCnt: 0
; Occupancy: 16
; WaveLimiterHint : 0
; COMPUTE_PGM_RSRC2:SCRATCH_EN: 0
; COMPUTE_PGM_RSRC2:USER_SGPR: 2
; COMPUTE_PGM_RSRC2:TRAP_HANDLER: 0
; COMPUTE_PGM_RSRC2:TGID_X_EN: 1
; COMPUTE_PGM_RSRC2:TGID_Y_EN: 0
; COMPUTE_PGM_RSRC2:TGID_Z_EN: 0
; COMPUTE_PGM_RSRC2:TIDIG_COMP_CNT: 0
	.section	.text._ZN7rocprim17ROCPRIM_400000_NS6detail17trampoline_kernelINS0_14default_configENS1_27scan_by_key_config_selectorIitEEZZNS1_16scan_by_key_implILNS1_25lookback_scan_determinismE0ELb1ES3_N6thrust23THRUST_200600_302600_NS6detail15normal_iteratorINS9_10device_ptrIiEEEENSB_INSC_ItEEEESG_tNS9_4plusIvEENS9_8equal_toIvEEtEE10hipError_tPvRmT2_T3_T4_T5_mT6_T7_P12ihipStream_tbENKUlT_T0_E_clISt17integral_constantIbLb0EES11_EEDaSW_SX_EUlSW_E_NS1_11comp_targetILNS1_3genE2ELNS1_11target_archE906ELNS1_3gpuE6ELNS1_3repE0EEENS1_30default_config_static_selectorELNS0_4arch9wavefront6targetE0EEEvT1_,"axG",@progbits,_ZN7rocprim17ROCPRIM_400000_NS6detail17trampoline_kernelINS0_14default_configENS1_27scan_by_key_config_selectorIitEEZZNS1_16scan_by_key_implILNS1_25lookback_scan_determinismE0ELb1ES3_N6thrust23THRUST_200600_302600_NS6detail15normal_iteratorINS9_10device_ptrIiEEEENSB_INSC_ItEEEESG_tNS9_4plusIvEENS9_8equal_toIvEEtEE10hipError_tPvRmT2_T3_T4_T5_mT6_T7_P12ihipStream_tbENKUlT_T0_E_clISt17integral_constantIbLb0EES11_EEDaSW_SX_EUlSW_E_NS1_11comp_targetILNS1_3genE2ELNS1_11target_archE906ELNS1_3gpuE6ELNS1_3repE0EEENS1_30default_config_static_selectorELNS0_4arch9wavefront6targetE0EEEvT1_,comdat
	.protected	_ZN7rocprim17ROCPRIM_400000_NS6detail17trampoline_kernelINS0_14default_configENS1_27scan_by_key_config_selectorIitEEZZNS1_16scan_by_key_implILNS1_25lookback_scan_determinismE0ELb1ES3_N6thrust23THRUST_200600_302600_NS6detail15normal_iteratorINS9_10device_ptrIiEEEENSB_INSC_ItEEEESG_tNS9_4plusIvEENS9_8equal_toIvEEtEE10hipError_tPvRmT2_T3_T4_T5_mT6_T7_P12ihipStream_tbENKUlT_T0_E_clISt17integral_constantIbLb0EES11_EEDaSW_SX_EUlSW_E_NS1_11comp_targetILNS1_3genE2ELNS1_11target_archE906ELNS1_3gpuE6ELNS1_3repE0EEENS1_30default_config_static_selectorELNS0_4arch9wavefront6targetE0EEEvT1_ ; -- Begin function _ZN7rocprim17ROCPRIM_400000_NS6detail17trampoline_kernelINS0_14default_configENS1_27scan_by_key_config_selectorIitEEZZNS1_16scan_by_key_implILNS1_25lookback_scan_determinismE0ELb1ES3_N6thrust23THRUST_200600_302600_NS6detail15normal_iteratorINS9_10device_ptrIiEEEENSB_INSC_ItEEEESG_tNS9_4plusIvEENS9_8equal_toIvEEtEE10hipError_tPvRmT2_T3_T4_T5_mT6_T7_P12ihipStream_tbENKUlT_T0_E_clISt17integral_constantIbLb0EES11_EEDaSW_SX_EUlSW_E_NS1_11comp_targetILNS1_3genE2ELNS1_11target_archE906ELNS1_3gpuE6ELNS1_3repE0EEENS1_30default_config_static_selectorELNS0_4arch9wavefront6targetE0EEEvT1_
	.globl	_ZN7rocprim17ROCPRIM_400000_NS6detail17trampoline_kernelINS0_14default_configENS1_27scan_by_key_config_selectorIitEEZZNS1_16scan_by_key_implILNS1_25lookback_scan_determinismE0ELb1ES3_N6thrust23THRUST_200600_302600_NS6detail15normal_iteratorINS9_10device_ptrIiEEEENSB_INSC_ItEEEESG_tNS9_4plusIvEENS9_8equal_toIvEEtEE10hipError_tPvRmT2_T3_T4_T5_mT6_T7_P12ihipStream_tbENKUlT_T0_E_clISt17integral_constantIbLb0EES11_EEDaSW_SX_EUlSW_E_NS1_11comp_targetILNS1_3genE2ELNS1_11target_archE906ELNS1_3gpuE6ELNS1_3repE0EEENS1_30default_config_static_selectorELNS0_4arch9wavefront6targetE0EEEvT1_
	.p2align	8
	.type	_ZN7rocprim17ROCPRIM_400000_NS6detail17trampoline_kernelINS0_14default_configENS1_27scan_by_key_config_selectorIitEEZZNS1_16scan_by_key_implILNS1_25lookback_scan_determinismE0ELb1ES3_N6thrust23THRUST_200600_302600_NS6detail15normal_iteratorINS9_10device_ptrIiEEEENSB_INSC_ItEEEESG_tNS9_4plusIvEENS9_8equal_toIvEEtEE10hipError_tPvRmT2_T3_T4_T5_mT6_T7_P12ihipStream_tbENKUlT_T0_E_clISt17integral_constantIbLb0EES11_EEDaSW_SX_EUlSW_E_NS1_11comp_targetILNS1_3genE2ELNS1_11target_archE906ELNS1_3gpuE6ELNS1_3repE0EEENS1_30default_config_static_selectorELNS0_4arch9wavefront6targetE0EEEvT1_,@function
_ZN7rocprim17ROCPRIM_400000_NS6detail17trampoline_kernelINS0_14default_configENS1_27scan_by_key_config_selectorIitEEZZNS1_16scan_by_key_implILNS1_25lookback_scan_determinismE0ELb1ES3_N6thrust23THRUST_200600_302600_NS6detail15normal_iteratorINS9_10device_ptrIiEEEENSB_INSC_ItEEEESG_tNS9_4plusIvEENS9_8equal_toIvEEtEE10hipError_tPvRmT2_T3_T4_T5_mT6_T7_P12ihipStream_tbENKUlT_T0_E_clISt17integral_constantIbLb0EES11_EEDaSW_SX_EUlSW_E_NS1_11comp_targetILNS1_3genE2ELNS1_11target_archE906ELNS1_3gpuE6ELNS1_3repE0EEENS1_30default_config_static_selectorELNS0_4arch9wavefront6targetE0EEEvT1_: ; @_ZN7rocprim17ROCPRIM_400000_NS6detail17trampoline_kernelINS0_14default_configENS1_27scan_by_key_config_selectorIitEEZZNS1_16scan_by_key_implILNS1_25lookback_scan_determinismE0ELb1ES3_N6thrust23THRUST_200600_302600_NS6detail15normal_iteratorINS9_10device_ptrIiEEEENSB_INSC_ItEEEESG_tNS9_4plusIvEENS9_8equal_toIvEEtEE10hipError_tPvRmT2_T3_T4_T5_mT6_T7_P12ihipStream_tbENKUlT_T0_E_clISt17integral_constantIbLb0EES11_EEDaSW_SX_EUlSW_E_NS1_11comp_targetILNS1_3genE2ELNS1_11target_archE906ELNS1_3gpuE6ELNS1_3repE0EEENS1_30default_config_static_selectorELNS0_4arch9wavefront6targetE0EEEvT1_
; %bb.0:
	.section	.rodata,"a",@progbits
	.p2align	6, 0x0
	.amdhsa_kernel _ZN7rocprim17ROCPRIM_400000_NS6detail17trampoline_kernelINS0_14default_configENS1_27scan_by_key_config_selectorIitEEZZNS1_16scan_by_key_implILNS1_25lookback_scan_determinismE0ELb1ES3_N6thrust23THRUST_200600_302600_NS6detail15normal_iteratorINS9_10device_ptrIiEEEENSB_INSC_ItEEEESG_tNS9_4plusIvEENS9_8equal_toIvEEtEE10hipError_tPvRmT2_T3_T4_T5_mT6_T7_P12ihipStream_tbENKUlT_T0_E_clISt17integral_constantIbLb0EES11_EEDaSW_SX_EUlSW_E_NS1_11comp_targetILNS1_3genE2ELNS1_11target_archE906ELNS1_3gpuE6ELNS1_3repE0EEENS1_30default_config_static_selectorELNS0_4arch9wavefront6targetE0EEEvT1_
		.amdhsa_group_segment_fixed_size 0
		.amdhsa_private_segment_fixed_size 0
		.amdhsa_kernarg_size 112
		.amdhsa_user_sgpr_count 2
		.amdhsa_user_sgpr_dispatch_ptr 0
		.amdhsa_user_sgpr_queue_ptr 0
		.amdhsa_user_sgpr_kernarg_segment_ptr 1
		.amdhsa_user_sgpr_dispatch_id 0
		.amdhsa_user_sgpr_kernarg_preload_length 0
		.amdhsa_user_sgpr_kernarg_preload_offset 0
		.amdhsa_user_sgpr_private_segment_size 0
		.amdhsa_wavefront_size32 1
		.amdhsa_uses_dynamic_stack 0
		.amdhsa_enable_private_segment 0
		.amdhsa_system_sgpr_workgroup_id_x 1
		.amdhsa_system_sgpr_workgroup_id_y 0
		.amdhsa_system_sgpr_workgroup_id_z 0
		.amdhsa_system_sgpr_workgroup_info 0
		.amdhsa_system_vgpr_workitem_id 0
		.amdhsa_next_free_vgpr 1
		.amdhsa_next_free_sgpr 1
		.amdhsa_named_barrier_count 0
		.amdhsa_reserve_vcc 0
		.amdhsa_float_round_mode_32 0
		.amdhsa_float_round_mode_16_64 0
		.amdhsa_float_denorm_mode_32 3
		.amdhsa_float_denorm_mode_16_64 3
		.amdhsa_fp16_overflow 0
		.amdhsa_memory_ordered 1
		.amdhsa_forward_progress 1
		.amdhsa_inst_pref_size 0
		.amdhsa_round_robin_scheduling 0
		.amdhsa_exception_fp_ieee_invalid_op 0
		.amdhsa_exception_fp_denorm_src 0
		.amdhsa_exception_fp_ieee_div_zero 0
		.amdhsa_exception_fp_ieee_overflow 0
		.amdhsa_exception_fp_ieee_underflow 0
		.amdhsa_exception_fp_ieee_inexact 0
		.amdhsa_exception_int_div_zero 0
	.end_amdhsa_kernel
	.section	.text._ZN7rocprim17ROCPRIM_400000_NS6detail17trampoline_kernelINS0_14default_configENS1_27scan_by_key_config_selectorIitEEZZNS1_16scan_by_key_implILNS1_25lookback_scan_determinismE0ELb1ES3_N6thrust23THRUST_200600_302600_NS6detail15normal_iteratorINS9_10device_ptrIiEEEENSB_INSC_ItEEEESG_tNS9_4plusIvEENS9_8equal_toIvEEtEE10hipError_tPvRmT2_T3_T4_T5_mT6_T7_P12ihipStream_tbENKUlT_T0_E_clISt17integral_constantIbLb0EES11_EEDaSW_SX_EUlSW_E_NS1_11comp_targetILNS1_3genE2ELNS1_11target_archE906ELNS1_3gpuE6ELNS1_3repE0EEENS1_30default_config_static_selectorELNS0_4arch9wavefront6targetE0EEEvT1_,"axG",@progbits,_ZN7rocprim17ROCPRIM_400000_NS6detail17trampoline_kernelINS0_14default_configENS1_27scan_by_key_config_selectorIitEEZZNS1_16scan_by_key_implILNS1_25lookback_scan_determinismE0ELb1ES3_N6thrust23THRUST_200600_302600_NS6detail15normal_iteratorINS9_10device_ptrIiEEEENSB_INSC_ItEEEESG_tNS9_4plusIvEENS9_8equal_toIvEEtEE10hipError_tPvRmT2_T3_T4_T5_mT6_T7_P12ihipStream_tbENKUlT_T0_E_clISt17integral_constantIbLb0EES11_EEDaSW_SX_EUlSW_E_NS1_11comp_targetILNS1_3genE2ELNS1_11target_archE906ELNS1_3gpuE6ELNS1_3repE0EEENS1_30default_config_static_selectorELNS0_4arch9wavefront6targetE0EEEvT1_,comdat
.Lfunc_end1540:
	.size	_ZN7rocprim17ROCPRIM_400000_NS6detail17trampoline_kernelINS0_14default_configENS1_27scan_by_key_config_selectorIitEEZZNS1_16scan_by_key_implILNS1_25lookback_scan_determinismE0ELb1ES3_N6thrust23THRUST_200600_302600_NS6detail15normal_iteratorINS9_10device_ptrIiEEEENSB_INSC_ItEEEESG_tNS9_4plusIvEENS9_8equal_toIvEEtEE10hipError_tPvRmT2_T3_T4_T5_mT6_T7_P12ihipStream_tbENKUlT_T0_E_clISt17integral_constantIbLb0EES11_EEDaSW_SX_EUlSW_E_NS1_11comp_targetILNS1_3genE2ELNS1_11target_archE906ELNS1_3gpuE6ELNS1_3repE0EEENS1_30default_config_static_selectorELNS0_4arch9wavefront6targetE0EEEvT1_, .Lfunc_end1540-_ZN7rocprim17ROCPRIM_400000_NS6detail17trampoline_kernelINS0_14default_configENS1_27scan_by_key_config_selectorIitEEZZNS1_16scan_by_key_implILNS1_25lookback_scan_determinismE0ELb1ES3_N6thrust23THRUST_200600_302600_NS6detail15normal_iteratorINS9_10device_ptrIiEEEENSB_INSC_ItEEEESG_tNS9_4plusIvEENS9_8equal_toIvEEtEE10hipError_tPvRmT2_T3_T4_T5_mT6_T7_P12ihipStream_tbENKUlT_T0_E_clISt17integral_constantIbLb0EES11_EEDaSW_SX_EUlSW_E_NS1_11comp_targetILNS1_3genE2ELNS1_11target_archE906ELNS1_3gpuE6ELNS1_3repE0EEENS1_30default_config_static_selectorELNS0_4arch9wavefront6targetE0EEEvT1_
                                        ; -- End function
	.set _ZN7rocprim17ROCPRIM_400000_NS6detail17trampoline_kernelINS0_14default_configENS1_27scan_by_key_config_selectorIitEEZZNS1_16scan_by_key_implILNS1_25lookback_scan_determinismE0ELb1ES3_N6thrust23THRUST_200600_302600_NS6detail15normal_iteratorINS9_10device_ptrIiEEEENSB_INSC_ItEEEESG_tNS9_4plusIvEENS9_8equal_toIvEEtEE10hipError_tPvRmT2_T3_T4_T5_mT6_T7_P12ihipStream_tbENKUlT_T0_E_clISt17integral_constantIbLb0EES11_EEDaSW_SX_EUlSW_E_NS1_11comp_targetILNS1_3genE2ELNS1_11target_archE906ELNS1_3gpuE6ELNS1_3repE0EEENS1_30default_config_static_selectorELNS0_4arch9wavefront6targetE0EEEvT1_.num_vgpr, 0
	.set _ZN7rocprim17ROCPRIM_400000_NS6detail17trampoline_kernelINS0_14default_configENS1_27scan_by_key_config_selectorIitEEZZNS1_16scan_by_key_implILNS1_25lookback_scan_determinismE0ELb1ES3_N6thrust23THRUST_200600_302600_NS6detail15normal_iteratorINS9_10device_ptrIiEEEENSB_INSC_ItEEEESG_tNS9_4plusIvEENS9_8equal_toIvEEtEE10hipError_tPvRmT2_T3_T4_T5_mT6_T7_P12ihipStream_tbENKUlT_T0_E_clISt17integral_constantIbLb0EES11_EEDaSW_SX_EUlSW_E_NS1_11comp_targetILNS1_3genE2ELNS1_11target_archE906ELNS1_3gpuE6ELNS1_3repE0EEENS1_30default_config_static_selectorELNS0_4arch9wavefront6targetE0EEEvT1_.num_agpr, 0
	.set _ZN7rocprim17ROCPRIM_400000_NS6detail17trampoline_kernelINS0_14default_configENS1_27scan_by_key_config_selectorIitEEZZNS1_16scan_by_key_implILNS1_25lookback_scan_determinismE0ELb1ES3_N6thrust23THRUST_200600_302600_NS6detail15normal_iteratorINS9_10device_ptrIiEEEENSB_INSC_ItEEEESG_tNS9_4plusIvEENS9_8equal_toIvEEtEE10hipError_tPvRmT2_T3_T4_T5_mT6_T7_P12ihipStream_tbENKUlT_T0_E_clISt17integral_constantIbLb0EES11_EEDaSW_SX_EUlSW_E_NS1_11comp_targetILNS1_3genE2ELNS1_11target_archE906ELNS1_3gpuE6ELNS1_3repE0EEENS1_30default_config_static_selectorELNS0_4arch9wavefront6targetE0EEEvT1_.numbered_sgpr, 0
	.set _ZN7rocprim17ROCPRIM_400000_NS6detail17trampoline_kernelINS0_14default_configENS1_27scan_by_key_config_selectorIitEEZZNS1_16scan_by_key_implILNS1_25lookback_scan_determinismE0ELb1ES3_N6thrust23THRUST_200600_302600_NS6detail15normal_iteratorINS9_10device_ptrIiEEEENSB_INSC_ItEEEESG_tNS9_4plusIvEENS9_8equal_toIvEEtEE10hipError_tPvRmT2_T3_T4_T5_mT6_T7_P12ihipStream_tbENKUlT_T0_E_clISt17integral_constantIbLb0EES11_EEDaSW_SX_EUlSW_E_NS1_11comp_targetILNS1_3genE2ELNS1_11target_archE906ELNS1_3gpuE6ELNS1_3repE0EEENS1_30default_config_static_selectorELNS0_4arch9wavefront6targetE0EEEvT1_.num_named_barrier, 0
	.set _ZN7rocprim17ROCPRIM_400000_NS6detail17trampoline_kernelINS0_14default_configENS1_27scan_by_key_config_selectorIitEEZZNS1_16scan_by_key_implILNS1_25lookback_scan_determinismE0ELb1ES3_N6thrust23THRUST_200600_302600_NS6detail15normal_iteratorINS9_10device_ptrIiEEEENSB_INSC_ItEEEESG_tNS9_4plusIvEENS9_8equal_toIvEEtEE10hipError_tPvRmT2_T3_T4_T5_mT6_T7_P12ihipStream_tbENKUlT_T0_E_clISt17integral_constantIbLb0EES11_EEDaSW_SX_EUlSW_E_NS1_11comp_targetILNS1_3genE2ELNS1_11target_archE906ELNS1_3gpuE6ELNS1_3repE0EEENS1_30default_config_static_selectorELNS0_4arch9wavefront6targetE0EEEvT1_.private_seg_size, 0
	.set _ZN7rocprim17ROCPRIM_400000_NS6detail17trampoline_kernelINS0_14default_configENS1_27scan_by_key_config_selectorIitEEZZNS1_16scan_by_key_implILNS1_25lookback_scan_determinismE0ELb1ES3_N6thrust23THRUST_200600_302600_NS6detail15normal_iteratorINS9_10device_ptrIiEEEENSB_INSC_ItEEEESG_tNS9_4plusIvEENS9_8equal_toIvEEtEE10hipError_tPvRmT2_T3_T4_T5_mT6_T7_P12ihipStream_tbENKUlT_T0_E_clISt17integral_constantIbLb0EES11_EEDaSW_SX_EUlSW_E_NS1_11comp_targetILNS1_3genE2ELNS1_11target_archE906ELNS1_3gpuE6ELNS1_3repE0EEENS1_30default_config_static_selectorELNS0_4arch9wavefront6targetE0EEEvT1_.uses_vcc, 0
	.set _ZN7rocprim17ROCPRIM_400000_NS6detail17trampoline_kernelINS0_14default_configENS1_27scan_by_key_config_selectorIitEEZZNS1_16scan_by_key_implILNS1_25lookback_scan_determinismE0ELb1ES3_N6thrust23THRUST_200600_302600_NS6detail15normal_iteratorINS9_10device_ptrIiEEEENSB_INSC_ItEEEESG_tNS9_4plusIvEENS9_8equal_toIvEEtEE10hipError_tPvRmT2_T3_T4_T5_mT6_T7_P12ihipStream_tbENKUlT_T0_E_clISt17integral_constantIbLb0EES11_EEDaSW_SX_EUlSW_E_NS1_11comp_targetILNS1_3genE2ELNS1_11target_archE906ELNS1_3gpuE6ELNS1_3repE0EEENS1_30default_config_static_selectorELNS0_4arch9wavefront6targetE0EEEvT1_.uses_flat_scratch, 0
	.set _ZN7rocprim17ROCPRIM_400000_NS6detail17trampoline_kernelINS0_14default_configENS1_27scan_by_key_config_selectorIitEEZZNS1_16scan_by_key_implILNS1_25lookback_scan_determinismE0ELb1ES3_N6thrust23THRUST_200600_302600_NS6detail15normal_iteratorINS9_10device_ptrIiEEEENSB_INSC_ItEEEESG_tNS9_4plusIvEENS9_8equal_toIvEEtEE10hipError_tPvRmT2_T3_T4_T5_mT6_T7_P12ihipStream_tbENKUlT_T0_E_clISt17integral_constantIbLb0EES11_EEDaSW_SX_EUlSW_E_NS1_11comp_targetILNS1_3genE2ELNS1_11target_archE906ELNS1_3gpuE6ELNS1_3repE0EEENS1_30default_config_static_selectorELNS0_4arch9wavefront6targetE0EEEvT1_.has_dyn_sized_stack, 0
	.set _ZN7rocprim17ROCPRIM_400000_NS6detail17trampoline_kernelINS0_14default_configENS1_27scan_by_key_config_selectorIitEEZZNS1_16scan_by_key_implILNS1_25lookback_scan_determinismE0ELb1ES3_N6thrust23THRUST_200600_302600_NS6detail15normal_iteratorINS9_10device_ptrIiEEEENSB_INSC_ItEEEESG_tNS9_4plusIvEENS9_8equal_toIvEEtEE10hipError_tPvRmT2_T3_T4_T5_mT6_T7_P12ihipStream_tbENKUlT_T0_E_clISt17integral_constantIbLb0EES11_EEDaSW_SX_EUlSW_E_NS1_11comp_targetILNS1_3genE2ELNS1_11target_archE906ELNS1_3gpuE6ELNS1_3repE0EEENS1_30default_config_static_selectorELNS0_4arch9wavefront6targetE0EEEvT1_.has_recursion, 0
	.set _ZN7rocprim17ROCPRIM_400000_NS6detail17trampoline_kernelINS0_14default_configENS1_27scan_by_key_config_selectorIitEEZZNS1_16scan_by_key_implILNS1_25lookback_scan_determinismE0ELb1ES3_N6thrust23THRUST_200600_302600_NS6detail15normal_iteratorINS9_10device_ptrIiEEEENSB_INSC_ItEEEESG_tNS9_4plusIvEENS9_8equal_toIvEEtEE10hipError_tPvRmT2_T3_T4_T5_mT6_T7_P12ihipStream_tbENKUlT_T0_E_clISt17integral_constantIbLb0EES11_EEDaSW_SX_EUlSW_E_NS1_11comp_targetILNS1_3genE2ELNS1_11target_archE906ELNS1_3gpuE6ELNS1_3repE0EEENS1_30default_config_static_selectorELNS0_4arch9wavefront6targetE0EEEvT1_.has_indirect_call, 0
	.section	.AMDGPU.csdata,"",@progbits
; Kernel info:
; codeLenInByte = 0
; TotalNumSgprs: 0
; NumVgprs: 0
; ScratchSize: 0
; MemoryBound: 0
; FloatMode: 240
; IeeeMode: 1
; LDSByteSize: 0 bytes/workgroup (compile time only)
; SGPRBlocks: 0
; VGPRBlocks: 0
; NumSGPRsForWavesPerEU: 1
; NumVGPRsForWavesPerEU: 1
; NamedBarCnt: 0
; Occupancy: 16
; WaveLimiterHint : 0
; COMPUTE_PGM_RSRC2:SCRATCH_EN: 0
; COMPUTE_PGM_RSRC2:USER_SGPR: 2
; COMPUTE_PGM_RSRC2:TRAP_HANDLER: 0
; COMPUTE_PGM_RSRC2:TGID_X_EN: 1
; COMPUTE_PGM_RSRC2:TGID_Y_EN: 0
; COMPUTE_PGM_RSRC2:TGID_Z_EN: 0
; COMPUTE_PGM_RSRC2:TIDIG_COMP_CNT: 0
	.section	.text._ZN7rocprim17ROCPRIM_400000_NS6detail17trampoline_kernelINS0_14default_configENS1_27scan_by_key_config_selectorIitEEZZNS1_16scan_by_key_implILNS1_25lookback_scan_determinismE0ELb1ES3_N6thrust23THRUST_200600_302600_NS6detail15normal_iteratorINS9_10device_ptrIiEEEENSB_INSC_ItEEEESG_tNS9_4plusIvEENS9_8equal_toIvEEtEE10hipError_tPvRmT2_T3_T4_T5_mT6_T7_P12ihipStream_tbENKUlT_T0_E_clISt17integral_constantIbLb0EES11_EEDaSW_SX_EUlSW_E_NS1_11comp_targetILNS1_3genE10ELNS1_11target_archE1200ELNS1_3gpuE4ELNS1_3repE0EEENS1_30default_config_static_selectorELNS0_4arch9wavefront6targetE0EEEvT1_,"axG",@progbits,_ZN7rocprim17ROCPRIM_400000_NS6detail17trampoline_kernelINS0_14default_configENS1_27scan_by_key_config_selectorIitEEZZNS1_16scan_by_key_implILNS1_25lookback_scan_determinismE0ELb1ES3_N6thrust23THRUST_200600_302600_NS6detail15normal_iteratorINS9_10device_ptrIiEEEENSB_INSC_ItEEEESG_tNS9_4plusIvEENS9_8equal_toIvEEtEE10hipError_tPvRmT2_T3_T4_T5_mT6_T7_P12ihipStream_tbENKUlT_T0_E_clISt17integral_constantIbLb0EES11_EEDaSW_SX_EUlSW_E_NS1_11comp_targetILNS1_3genE10ELNS1_11target_archE1200ELNS1_3gpuE4ELNS1_3repE0EEENS1_30default_config_static_selectorELNS0_4arch9wavefront6targetE0EEEvT1_,comdat
	.protected	_ZN7rocprim17ROCPRIM_400000_NS6detail17trampoline_kernelINS0_14default_configENS1_27scan_by_key_config_selectorIitEEZZNS1_16scan_by_key_implILNS1_25lookback_scan_determinismE0ELb1ES3_N6thrust23THRUST_200600_302600_NS6detail15normal_iteratorINS9_10device_ptrIiEEEENSB_INSC_ItEEEESG_tNS9_4plusIvEENS9_8equal_toIvEEtEE10hipError_tPvRmT2_T3_T4_T5_mT6_T7_P12ihipStream_tbENKUlT_T0_E_clISt17integral_constantIbLb0EES11_EEDaSW_SX_EUlSW_E_NS1_11comp_targetILNS1_3genE10ELNS1_11target_archE1200ELNS1_3gpuE4ELNS1_3repE0EEENS1_30default_config_static_selectorELNS0_4arch9wavefront6targetE0EEEvT1_ ; -- Begin function _ZN7rocprim17ROCPRIM_400000_NS6detail17trampoline_kernelINS0_14default_configENS1_27scan_by_key_config_selectorIitEEZZNS1_16scan_by_key_implILNS1_25lookback_scan_determinismE0ELb1ES3_N6thrust23THRUST_200600_302600_NS6detail15normal_iteratorINS9_10device_ptrIiEEEENSB_INSC_ItEEEESG_tNS9_4plusIvEENS9_8equal_toIvEEtEE10hipError_tPvRmT2_T3_T4_T5_mT6_T7_P12ihipStream_tbENKUlT_T0_E_clISt17integral_constantIbLb0EES11_EEDaSW_SX_EUlSW_E_NS1_11comp_targetILNS1_3genE10ELNS1_11target_archE1200ELNS1_3gpuE4ELNS1_3repE0EEENS1_30default_config_static_selectorELNS0_4arch9wavefront6targetE0EEEvT1_
	.globl	_ZN7rocprim17ROCPRIM_400000_NS6detail17trampoline_kernelINS0_14default_configENS1_27scan_by_key_config_selectorIitEEZZNS1_16scan_by_key_implILNS1_25lookback_scan_determinismE0ELb1ES3_N6thrust23THRUST_200600_302600_NS6detail15normal_iteratorINS9_10device_ptrIiEEEENSB_INSC_ItEEEESG_tNS9_4plusIvEENS9_8equal_toIvEEtEE10hipError_tPvRmT2_T3_T4_T5_mT6_T7_P12ihipStream_tbENKUlT_T0_E_clISt17integral_constantIbLb0EES11_EEDaSW_SX_EUlSW_E_NS1_11comp_targetILNS1_3genE10ELNS1_11target_archE1200ELNS1_3gpuE4ELNS1_3repE0EEENS1_30default_config_static_selectorELNS0_4arch9wavefront6targetE0EEEvT1_
	.p2align	8
	.type	_ZN7rocprim17ROCPRIM_400000_NS6detail17trampoline_kernelINS0_14default_configENS1_27scan_by_key_config_selectorIitEEZZNS1_16scan_by_key_implILNS1_25lookback_scan_determinismE0ELb1ES3_N6thrust23THRUST_200600_302600_NS6detail15normal_iteratorINS9_10device_ptrIiEEEENSB_INSC_ItEEEESG_tNS9_4plusIvEENS9_8equal_toIvEEtEE10hipError_tPvRmT2_T3_T4_T5_mT6_T7_P12ihipStream_tbENKUlT_T0_E_clISt17integral_constantIbLb0EES11_EEDaSW_SX_EUlSW_E_NS1_11comp_targetILNS1_3genE10ELNS1_11target_archE1200ELNS1_3gpuE4ELNS1_3repE0EEENS1_30default_config_static_selectorELNS0_4arch9wavefront6targetE0EEEvT1_,@function
_ZN7rocprim17ROCPRIM_400000_NS6detail17trampoline_kernelINS0_14default_configENS1_27scan_by_key_config_selectorIitEEZZNS1_16scan_by_key_implILNS1_25lookback_scan_determinismE0ELb1ES3_N6thrust23THRUST_200600_302600_NS6detail15normal_iteratorINS9_10device_ptrIiEEEENSB_INSC_ItEEEESG_tNS9_4plusIvEENS9_8equal_toIvEEtEE10hipError_tPvRmT2_T3_T4_T5_mT6_T7_P12ihipStream_tbENKUlT_T0_E_clISt17integral_constantIbLb0EES11_EEDaSW_SX_EUlSW_E_NS1_11comp_targetILNS1_3genE10ELNS1_11target_archE1200ELNS1_3gpuE4ELNS1_3repE0EEENS1_30default_config_static_selectorELNS0_4arch9wavefront6targetE0EEEvT1_: ; @_ZN7rocprim17ROCPRIM_400000_NS6detail17trampoline_kernelINS0_14default_configENS1_27scan_by_key_config_selectorIitEEZZNS1_16scan_by_key_implILNS1_25lookback_scan_determinismE0ELb1ES3_N6thrust23THRUST_200600_302600_NS6detail15normal_iteratorINS9_10device_ptrIiEEEENSB_INSC_ItEEEESG_tNS9_4plusIvEENS9_8equal_toIvEEtEE10hipError_tPvRmT2_T3_T4_T5_mT6_T7_P12ihipStream_tbENKUlT_T0_E_clISt17integral_constantIbLb0EES11_EEDaSW_SX_EUlSW_E_NS1_11comp_targetILNS1_3genE10ELNS1_11target_archE1200ELNS1_3gpuE4ELNS1_3repE0EEENS1_30default_config_static_selectorELNS0_4arch9wavefront6targetE0EEEvT1_
; %bb.0:
	.section	.rodata,"a",@progbits
	.p2align	6, 0x0
	.amdhsa_kernel _ZN7rocprim17ROCPRIM_400000_NS6detail17trampoline_kernelINS0_14default_configENS1_27scan_by_key_config_selectorIitEEZZNS1_16scan_by_key_implILNS1_25lookback_scan_determinismE0ELb1ES3_N6thrust23THRUST_200600_302600_NS6detail15normal_iteratorINS9_10device_ptrIiEEEENSB_INSC_ItEEEESG_tNS9_4plusIvEENS9_8equal_toIvEEtEE10hipError_tPvRmT2_T3_T4_T5_mT6_T7_P12ihipStream_tbENKUlT_T0_E_clISt17integral_constantIbLb0EES11_EEDaSW_SX_EUlSW_E_NS1_11comp_targetILNS1_3genE10ELNS1_11target_archE1200ELNS1_3gpuE4ELNS1_3repE0EEENS1_30default_config_static_selectorELNS0_4arch9wavefront6targetE0EEEvT1_
		.amdhsa_group_segment_fixed_size 0
		.amdhsa_private_segment_fixed_size 0
		.amdhsa_kernarg_size 112
		.amdhsa_user_sgpr_count 2
		.amdhsa_user_sgpr_dispatch_ptr 0
		.amdhsa_user_sgpr_queue_ptr 0
		.amdhsa_user_sgpr_kernarg_segment_ptr 1
		.amdhsa_user_sgpr_dispatch_id 0
		.amdhsa_user_sgpr_kernarg_preload_length 0
		.amdhsa_user_sgpr_kernarg_preload_offset 0
		.amdhsa_user_sgpr_private_segment_size 0
		.amdhsa_wavefront_size32 1
		.amdhsa_uses_dynamic_stack 0
		.amdhsa_enable_private_segment 0
		.amdhsa_system_sgpr_workgroup_id_x 1
		.amdhsa_system_sgpr_workgroup_id_y 0
		.amdhsa_system_sgpr_workgroup_id_z 0
		.amdhsa_system_sgpr_workgroup_info 0
		.amdhsa_system_vgpr_workitem_id 0
		.amdhsa_next_free_vgpr 1
		.amdhsa_next_free_sgpr 1
		.amdhsa_named_barrier_count 0
		.amdhsa_reserve_vcc 0
		.amdhsa_float_round_mode_32 0
		.amdhsa_float_round_mode_16_64 0
		.amdhsa_float_denorm_mode_32 3
		.amdhsa_float_denorm_mode_16_64 3
		.amdhsa_fp16_overflow 0
		.amdhsa_memory_ordered 1
		.amdhsa_forward_progress 1
		.amdhsa_inst_pref_size 0
		.amdhsa_round_robin_scheduling 0
		.amdhsa_exception_fp_ieee_invalid_op 0
		.amdhsa_exception_fp_denorm_src 0
		.amdhsa_exception_fp_ieee_div_zero 0
		.amdhsa_exception_fp_ieee_overflow 0
		.amdhsa_exception_fp_ieee_underflow 0
		.amdhsa_exception_fp_ieee_inexact 0
		.amdhsa_exception_int_div_zero 0
	.end_amdhsa_kernel
	.section	.text._ZN7rocprim17ROCPRIM_400000_NS6detail17trampoline_kernelINS0_14default_configENS1_27scan_by_key_config_selectorIitEEZZNS1_16scan_by_key_implILNS1_25lookback_scan_determinismE0ELb1ES3_N6thrust23THRUST_200600_302600_NS6detail15normal_iteratorINS9_10device_ptrIiEEEENSB_INSC_ItEEEESG_tNS9_4plusIvEENS9_8equal_toIvEEtEE10hipError_tPvRmT2_T3_T4_T5_mT6_T7_P12ihipStream_tbENKUlT_T0_E_clISt17integral_constantIbLb0EES11_EEDaSW_SX_EUlSW_E_NS1_11comp_targetILNS1_3genE10ELNS1_11target_archE1200ELNS1_3gpuE4ELNS1_3repE0EEENS1_30default_config_static_selectorELNS0_4arch9wavefront6targetE0EEEvT1_,"axG",@progbits,_ZN7rocprim17ROCPRIM_400000_NS6detail17trampoline_kernelINS0_14default_configENS1_27scan_by_key_config_selectorIitEEZZNS1_16scan_by_key_implILNS1_25lookback_scan_determinismE0ELb1ES3_N6thrust23THRUST_200600_302600_NS6detail15normal_iteratorINS9_10device_ptrIiEEEENSB_INSC_ItEEEESG_tNS9_4plusIvEENS9_8equal_toIvEEtEE10hipError_tPvRmT2_T3_T4_T5_mT6_T7_P12ihipStream_tbENKUlT_T0_E_clISt17integral_constantIbLb0EES11_EEDaSW_SX_EUlSW_E_NS1_11comp_targetILNS1_3genE10ELNS1_11target_archE1200ELNS1_3gpuE4ELNS1_3repE0EEENS1_30default_config_static_selectorELNS0_4arch9wavefront6targetE0EEEvT1_,comdat
.Lfunc_end1541:
	.size	_ZN7rocprim17ROCPRIM_400000_NS6detail17trampoline_kernelINS0_14default_configENS1_27scan_by_key_config_selectorIitEEZZNS1_16scan_by_key_implILNS1_25lookback_scan_determinismE0ELb1ES3_N6thrust23THRUST_200600_302600_NS6detail15normal_iteratorINS9_10device_ptrIiEEEENSB_INSC_ItEEEESG_tNS9_4plusIvEENS9_8equal_toIvEEtEE10hipError_tPvRmT2_T3_T4_T5_mT6_T7_P12ihipStream_tbENKUlT_T0_E_clISt17integral_constantIbLb0EES11_EEDaSW_SX_EUlSW_E_NS1_11comp_targetILNS1_3genE10ELNS1_11target_archE1200ELNS1_3gpuE4ELNS1_3repE0EEENS1_30default_config_static_selectorELNS0_4arch9wavefront6targetE0EEEvT1_, .Lfunc_end1541-_ZN7rocprim17ROCPRIM_400000_NS6detail17trampoline_kernelINS0_14default_configENS1_27scan_by_key_config_selectorIitEEZZNS1_16scan_by_key_implILNS1_25lookback_scan_determinismE0ELb1ES3_N6thrust23THRUST_200600_302600_NS6detail15normal_iteratorINS9_10device_ptrIiEEEENSB_INSC_ItEEEESG_tNS9_4plusIvEENS9_8equal_toIvEEtEE10hipError_tPvRmT2_T3_T4_T5_mT6_T7_P12ihipStream_tbENKUlT_T0_E_clISt17integral_constantIbLb0EES11_EEDaSW_SX_EUlSW_E_NS1_11comp_targetILNS1_3genE10ELNS1_11target_archE1200ELNS1_3gpuE4ELNS1_3repE0EEENS1_30default_config_static_selectorELNS0_4arch9wavefront6targetE0EEEvT1_
                                        ; -- End function
	.set _ZN7rocprim17ROCPRIM_400000_NS6detail17trampoline_kernelINS0_14default_configENS1_27scan_by_key_config_selectorIitEEZZNS1_16scan_by_key_implILNS1_25lookback_scan_determinismE0ELb1ES3_N6thrust23THRUST_200600_302600_NS6detail15normal_iteratorINS9_10device_ptrIiEEEENSB_INSC_ItEEEESG_tNS9_4plusIvEENS9_8equal_toIvEEtEE10hipError_tPvRmT2_T3_T4_T5_mT6_T7_P12ihipStream_tbENKUlT_T0_E_clISt17integral_constantIbLb0EES11_EEDaSW_SX_EUlSW_E_NS1_11comp_targetILNS1_3genE10ELNS1_11target_archE1200ELNS1_3gpuE4ELNS1_3repE0EEENS1_30default_config_static_selectorELNS0_4arch9wavefront6targetE0EEEvT1_.num_vgpr, 0
	.set _ZN7rocprim17ROCPRIM_400000_NS6detail17trampoline_kernelINS0_14default_configENS1_27scan_by_key_config_selectorIitEEZZNS1_16scan_by_key_implILNS1_25lookback_scan_determinismE0ELb1ES3_N6thrust23THRUST_200600_302600_NS6detail15normal_iteratorINS9_10device_ptrIiEEEENSB_INSC_ItEEEESG_tNS9_4plusIvEENS9_8equal_toIvEEtEE10hipError_tPvRmT2_T3_T4_T5_mT6_T7_P12ihipStream_tbENKUlT_T0_E_clISt17integral_constantIbLb0EES11_EEDaSW_SX_EUlSW_E_NS1_11comp_targetILNS1_3genE10ELNS1_11target_archE1200ELNS1_3gpuE4ELNS1_3repE0EEENS1_30default_config_static_selectorELNS0_4arch9wavefront6targetE0EEEvT1_.num_agpr, 0
	.set _ZN7rocprim17ROCPRIM_400000_NS6detail17trampoline_kernelINS0_14default_configENS1_27scan_by_key_config_selectorIitEEZZNS1_16scan_by_key_implILNS1_25lookback_scan_determinismE0ELb1ES3_N6thrust23THRUST_200600_302600_NS6detail15normal_iteratorINS9_10device_ptrIiEEEENSB_INSC_ItEEEESG_tNS9_4plusIvEENS9_8equal_toIvEEtEE10hipError_tPvRmT2_T3_T4_T5_mT6_T7_P12ihipStream_tbENKUlT_T0_E_clISt17integral_constantIbLb0EES11_EEDaSW_SX_EUlSW_E_NS1_11comp_targetILNS1_3genE10ELNS1_11target_archE1200ELNS1_3gpuE4ELNS1_3repE0EEENS1_30default_config_static_selectorELNS0_4arch9wavefront6targetE0EEEvT1_.numbered_sgpr, 0
	.set _ZN7rocprim17ROCPRIM_400000_NS6detail17trampoline_kernelINS0_14default_configENS1_27scan_by_key_config_selectorIitEEZZNS1_16scan_by_key_implILNS1_25lookback_scan_determinismE0ELb1ES3_N6thrust23THRUST_200600_302600_NS6detail15normal_iteratorINS9_10device_ptrIiEEEENSB_INSC_ItEEEESG_tNS9_4plusIvEENS9_8equal_toIvEEtEE10hipError_tPvRmT2_T3_T4_T5_mT6_T7_P12ihipStream_tbENKUlT_T0_E_clISt17integral_constantIbLb0EES11_EEDaSW_SX_EUlSW_E_NS1_11comp_targetILNS1_3genE10ELNS1_11target_archE1200ELNS1_3gpuE4ELNS1_3repE0EEENS1_30default_config_static_selectorELNS0_4arch9wavefront6targetE0EEEvT1_.num_named_barrier, 0
	.set _ZN7rocprim17ROCPRIM_400000_NS6detail17trampoline_kernelINS0_14default_configENS1_27scan_by_key_config_selectorIitEEZZNS1_16scan_by_key_implILNS1_25lookback_scan_determinismE0ELb1ES3_N6thrust23THRUST_200600_302600_NS6detail15normal_iteratorINS9_10device_ptrIiEEEENSB_INSC_ItEEEESG_tNS9_4plusIvEENS9_8equal_toIvEEtEE10hipError_tPvRmT2_T3_T4_T5_mT6_T7_P12ihipStream_tbENKUlT_T0_E_clISt17integral_constantIbLb0EES11_EEDaSW_SX_EUlSW_E_NS1_11comp_targetILNS1_3genE10ELNS1_11target_archE1200ELNS1_3gpuE4ELNS1_3repE0EEENS1_30default_config_static_selectorELNS0_4arch9wavefront6targetE0EEEvT1_.private_seg_size, 0
	.set _ZN7rocprim17ROCPRIM_400000_NS6detail17trampoline_kernelINS0_14default_configENS1_27scan_by_key_config_selectorIitEEZZNS1_16scan_by_key_implILNS1_25lookback_scan_determinismE0ELb1ES3_N6thrust23THRUST_200600_302600_NS6detail15normal_iteratorINS9_10device_ptrIiEEEENSB_INSC_ItEEEESG_tNS9_4plusIvEENS9_8equal_toIvEEtEE10hipError_tPvRmT2_T3_T4_T5_mT6_T7_P12ihipStream_tbENKUlT_T0_E_clISt17integral_constantIbLb0EES11_EEDaSW_SX_EUlSW_E_NS1_11comp_targetILNS1_3genE10ELNS1_11target_archE1200ELNS1_3gpuE4ELNS1_3repE0EEENS1_30default_config_static_selectorELNS0_4arch9wavefront6targetE0EEEvT1_.uses_vcc, 0
	.set _ZN7rocprim17ROCPRIM_400000_NS6detail17trampoline_kernelINS0_14default_configENS1_27scan_by_key_config_selectorIitEEZZNS1_16scan_by_key_implILNS1_25lookback_scan_determinismE0ELb1ES3_N6thrust23THRUST_200600_302600_NS6detail15normal_iteratorINS9_10device_ptrIiEEEENSB_INSC_ItEEEESG_tNS9_4plusIvEENS9_8equal_toIvEEtEE10hipError_tPvRmT2_T3_T4_T5_mT6_T7_P12ihipStream_tbENKUlT_T0_E_clISt17integral_constantIbLb0EES11_EEDaSW_SX_EUlSW_E_NS1_11comp_targetILNS1_3genE10ELNS1_11target_archE1200ELNS1_3gpuE4ELNS1_3repE0EEENS1_30default_config_static_selectorELNS0_4arch9wavefront6targetE0EEEvT1_.uses_flat_scratch, 0
	.set _ZN7rocprim17ROCPRIM_400000_NS6detail17trampoline_kernelINS0_14default_configENS1_27scan_by_key_config_selectorIitEEZZNS1_16scan_by_key_implILNS1_25lookback_scan_determinismE0ELb1ES3_N6thrust23THRUST_200600_302600_NS6detail15normal_iteratorINS9_10device_ptrIiEEEENSB_INSC_ItEEEESG_tNS9_4plusIvEENS9_8equal_toIvEEtEE10hipError_tPvRmT2_T3_T4_T5_mT6_T7_P12ihipStream_tbENKUlT_T0_E_clISt17integral_constantIbLb0EES11_EEDaSW_SX_EUlSW_E_NS1_11comp_targetILNS1_3genE10ELNS1_11target_archE1200ELNS1_3gpuE4ELNS1_3repE0EEENS1_30default_config_static_selectorELNS0_4arch9wavefront6targetE0EEEvT1_.has_dyn_sized_stack, 0
	.set _ZN7rocprim17ROCPRIM_400000_NS6detail17trampoline_kernelINS0_14default_configENS1_27scan_by_key_config_selectorIitEEZZNS1_16scan_by_key_implILNS1_25lookback_scan_determinismE0ELb1ES3_N6thrust23THRUST_200600_302600_NS6detail15normal_iteratorINS9_10device_ptrIiEEEENSB_INSC_ItEEEESG_tNS9_4plusIvEENS9_8equal_toIvEEtEE10hipError_tPvRmT2_T3_T4_T5_mT6_T7_P12ihipStream_tbENKUlT_T0_E_clISt17integral_constantIbLb0EES11_EEDaSW_SX_EUlSW_E_NS1_11comp_targetILNS1_3genE10ELNS1_11target_archE1200ELNS1_3gpuE4ELNS1_3repE0EEENS1_30default_config_static_selectorELNS0_4arch9wavefront6targetE0EEEvT1_.has_recursion, 0
	.set _ZN7rocprim17ROCPRIM_400000_NS6detail17trampoline_kernelINS0_14default_configENS1_27scan_by_key_config_selectorIitEEZZNS1_16scan_by_key_implILNS1_25lookback_scan_determinismE0ELb1ES3_N6thrust23THRUST_200600_302600_NS6detail15normal_iteratorINS9_10device_ptrIiEEEENSB_INSC_ItEEEESG_tNS9_4plusIvEENS9_8equal_toIvEEtEE10hipError_tPvRmT2_T3_T4_T5_mT6_T7_P12ihipStream_tbENKUlT_T0_E_clISt17integral_constantIbLb0EES11_EEDaSW_SX_EUlSW_E_NS1_11comp_targetILNS1_3genE10ELNS1_11target_archE1200ELNS1_3gpuE4ELNS1_3repE0EEENS1_30default_config_static_selectorELNS0_4arch9wavefront6targetE0EEEvT1_.has_indirect_call, 0
	.section	.AMDGPU.csdata,"",@progbits
; Kernel info:
; codeLenInByte = 0
; TotalNumSgprs: 0
; NumVgprs: 0
; ScratchSize: 0
; MemoryBound: 0
; FloatMode: 240
; IeeeMode: 1
; LDSByteSize: 0 bytes/workgroup (compile time only)
; SGPRBlocks: 0
; VGPRBlocks: 0
; NumSGPRsForWavesPerEU: 1
; NumVGPRsForWavesPerEU: 1
; NamedBarCnt: 0
; Occupancy: 16
; WaveLimiterHint : 0
; COMPUTE_PGM_RSRC2:SCRATCH_EN: 0
; COMPUTE_PGM_RSRC2:USER_SGPR: 2
; COMPUTE_PGM_RSRC2:TRAP_HANDLER: 0
; COMPUTE_PGM_RSRC2:TGID_X_EN: 1
; COMPUTE_PGM_RSRC2:TGID_Y_EN: 0
; COMPUTE_PGM_RSRC2:TGID_Z_EN: 0
; COMPUTE_PGM_RSRC2:TIDIG_COMP_CNT: 0
	.section	.text._ZN7rocprim17ROCPRIM_400000_NS6detail17trampoline_kernelINS0_14default_configENS1_27scan_by_key_config_selectorIitEEZZNS1_16scan_by_key_implILNS1_25lookback_scan_determinismE0ELb1ES3_N6thrust23THRUST_200600_302600_NS6detail15normal_iteratorINS9_10device_ptrIiEEEENSB_INSC_ItEEEESG_tNS9_4plusIvEENS9_8equal_toIvEEtEE10hipError_tPvRmT2_T3_T4_T5_mT6_T7_P12ihipStream_tbENKUlT_T0_E_clISt17integral_constantIbLb0EES11_EEDaSW_SX_EUlSW_E_NS1_11comp_targetILNS1_3genE9ELNS1_11target_archE1100ELNS1_3gpuE3ELNS1_3repE0EEENS1_30default_config_static_selectorELNS0_4arch9wavefront6targetE0EEEvT1_,"axG",@progbits,_ZN7rocprim17ROCPRIM_400000_NS6detail17trampoline_kernelINS0_14default_configENS1_27scan_by_key_config_selectorIitEEZZNS1_16scan_by_key_implILNS1_25lookback_scan_determinismE0ELb1ES3_N6thrust23THRUST_200600_302600_NS6detail15normal_iteratorINS9_10device_ptrIiEEEENSB_INSC_ItEEEESG_tNS9_4plusIvEENS9_8equal_toIvEEtEE10hipError_tPvRmT2_T3_T4_T5_mT6_T7_P12ihipStream_tbENKUlT_T0_E_clISt17integral_constantIbLb0EES11_EEDaSW_SX_EUlSW_E_NS1_11comp_targetILNS1_3genE9ELNS1_11target_archE1100ELNS1_3gpuE3ELNS1_3repE0EEENS1_30default_config_static_selectorELNS0_4arch9wavefront6targetE0EEEvT1_,comdat
	.protected	_ZN7rocprim17ROCPRIM_400000_NS6detail17trampoline_kernelINS0_14default_configENS1_27scan_by_key_config_selectorIitEEZZNS1_16scan_by_key_implILNS1_25lookback_scan_determinismE0ELb1ES3_N6thrust23THRUST_200600_302600_NS6detail15normal_iteratorINS9_10device_ptrIiEEEENSB_INSC_ItEEEESG_tNS9_4plusIvEENS9_8equal_toIvEEtEE10hipError_tPvRmT2_T3_T4_T5_mT6_T7_P12ihipStream_tbENKUlT_T0_E_clISt17integral_constantIbLb0EES11_EEDaSW_SX_EUlSW_E_NS1_11comp_targetILNS1_3genE9ELNS1_11target_archE1100ELNS1_3gpuE3ELNS1_3repE0EEENS1_30default_config_static_selectorELNS0_4arch9wavefront6targetE0EEEvT1_ ; -- Begin function _ZN7rocprim17ROCPRIM_400000_NS6detail17trampoline_kernelINS0_14default_configENS1_27scan_by_key_config_selectorIitEEZZNS1_16scan_by_key_implILNS1_25lookback_scan_determinismE0ELb1ES3_N6thrust23THRUST_200600_302600_NS6detail15normal_iteratorINS9_10device_ptrIiEEEENSB_INSC_ItEEEESG_tNS9_4plusIvEENS9_8equal_toIvEEtEE10hipError_tPvRmT2_T3_T4_T5_mT6_T7_P12ihipStream_tbENKUlT_T0_E_clISt17integral_constantIbLb0EES11_EEDaSW_SX_EUlSW_E_NS1_11comp_targetILNS1_3genE9ELNS1_11target_archE1100ELNS1_3gpuE3ELNS1_3repE0EEENS1_30default_config_static_selectorELNS0_4arch9wavefront6targetE0EEEvT1_
	.globl	_ZN7rocprim17ROCPRIM_400000_NS6detail17trampoline_kernelINS0_14default_configENS1_27scan_by_key_config_selectorIitEEZZNS1_16scan_by_key_implILNS1_25lookback_scan_determinismE0ELb1ES3_N6thrust23THRUST_200600_302600_NS6detail15normal_iteratorINS9_10device_ptrIiEEEENSB_INSC_ItEEEESG_tNS9_4plusIvEENS9_8equal_toIvEEtEE10hipError_tPvRmT2_T3_T4_T5_mT6_T7_P12ihipStream_tbENKUlT_T0_E_clISt17integral_constantIbLb0EES11_EEDaSW_SX_EUlSW_E_NS1_11comp_targetILNS1_3genE9ELNS1_11target_archE1100ELNS1_3gpuE3ELNS1_3repE0EEENS1_30default_config_static_selectorELNS0_4arch9wavefront6targetE0EEEvT1_
	.p2align	8
	.type	_ZN7rocprim17ROCPRIM_400000_NS6detail17trampoline_kernelINS0_14default_configENS1_27scan_by_key_config_selectorIitEEZZNS1_16scan_by_key_implILNS1_25lookback_scan_determinismE0ELb1ES3_N6thrust23THRUST_200600_302600_NS6detail15normal_iteratorINS9_10device_ptrIiEEEENSB_INSC_ItEEEESG_tNS9_4plusIvEENS9_8equal_toIvEEtEE10hipError_tPvRmT2_T3_T4_T5_mT6_T7_P12ihipStream_tbENKUlT_T0_E_clISt17integral_constantIbLb0EES11_EEDaSW_SX_EUlSW_E_NS1_11comp_targetILNS1_3genE9ELNS1_11target_archE1100ELNS1_3gpuE3ELNS1_3repE0EEENS1_30default_config_static_selectorELNS0_4arch9wavefront6targetE0EEEvT1_,@function
_ZN7rocprim17ROCPRIM_400000_NS6detail17trampoline_kernelINS0_14default_configENS1_27scan_by_key_config_selectorIitEEZZNS1_16scan_by_key_implILNS1_25lookback_scan_determinismE0ELb1ES3_N6thrust23THRUST_200600_302600_NS6detail15normal_iteratorINS9_10device_ptrIiEEEENSB_INSC_ItEEEESG_tNS9_4plusIvEENS9_8equal_toIvEEtEE10hipError_tPvRmT2_T3_T4_T5_mT6_T7_P12ihipStream_tbENKUlT_T0_E_clISt17integral_constantIbLb0EES11_EEDaSW_SX_EUlSW_E_NS1_11comp_targetILNS1_3genE9ELNS1_11target_archE1100ELNS1_3gpuE3ELNS1_3repE0EEENS1_30default_config_static_selectorELNS0_4arch9wavefront6targetE0EEEvT1_: ; @_ZN7rocprim17ROCPRIM_400000_NS6detail17trampoline_kernelINS0_14default_configENS1_27scan_by_key_config_selectorIitEEZZNS1_16scan_by_key_implILNS1_25lookback_scan_determinismE0ELb1ES3_N6thrust23THRUST_200600_302600_NS6detail15normal_iteratorINS9_10device_ptrIiEEEENSB_INSC_ItEEEESG_tNS9_4plusIvEENS9_8equal_toIvEEtEE10hipError_tPvRmT2_T3_T4_T5_mT6_T7_P12ihipStream_tbENKUlT_T0_E_clISt17integral_constantIbLb0EES11_EEDaSW_SX_EUlSW_E_NS1_11comp_targetILNS1_3genE9ELNS1_11target_archE1100ELNS1_3gpuE3ELNS1_3repE0EEENS1_30default_config_static_selectorELNS0_4arch9wavefront6targetE0EEEvT1_
; %bb.0:
	.section	.rodata,"a",@progbits
	.p2align	6, 0x0
	.amdhsa_kernel _ZN7rocprim17ROCPRIM_400000_NS6detail17trampoline_kernelINS0_14default_configENS1_27scan_by_key_config_selectorIitEEZZNS1_16scan_by_key_implILNS1_25lookback_scan_determinismE0ELb1ES3_N6thrust23THRUST_200600_302600_NS6detail15normal_iteratorINS9_10device_ptrIiEEEENSB_INSC_ItEEEESG_tNS9_4plusIvEENS9_8equal_toIvEEtEE10hipError_tPvRmT2_T3_T4_T5_mT6_T7_P12ihipStream_tbENKUlT_T0_E_clISt17integral_constantIbLb0EES11_EEDaSW_SX_EUlSW_E_NS1_11comp_targetILNS1_3genE9ELNS1_11target_archE1100ELNS1_3gpuE3ELNS1_3repE0EEENS1_30default_config_static_selectorELNS0_4arch9wavefront6targetE0EEEvT1_
		.amdhsa_group_segment_fixed_size 0
		.amdhsa_private_segment_fixed_size 0
		.amdhsa_kernarg_size 112
		.amdhsa_user_sgpr_count 2
		.amdhsa_user_sgpr_dispatch_ptr 0
		.amdhsa_user_sgpr_queue_ptr 0
		.amdhsa_user_sgpr_kernarg_segment_ptr 1
		.amdhsa_user_sgpr_dispatch_id 0
		.amdhsa_user_sgpr_kernarg_preload_length 0
		.amdhsa_user_sgpr_kernarg_preload_offset 0
		.amdhsa_user_sgpr_private_segment_size 0
		.amdhsa_wavefront_size32 1
		.amdhsa_uses_dynamic_stack 0
		.amdhsa_enable_private_segment 0
		.amdhsa_system_sgpr_workgroup_id_x 1
		.amdhsa_system_sgpr_workgroup_id_y 0
		.amdhsa_system_sgpr_workgroup_id_z 0
		.amdhsa_system_sgpr_workgroup_info 0
		.amdhsa_system_vgpr_workitem_id 0
		.amdhsa_next_free_vgpr 1
		.amdhsa_next_free_sgpr 1
		.amdhsa_named_barrier_count 0
		.amdhsa_reserve_vcc 0
		.amdhsa_float_round_mode_32 0
		.amdhsa_float_round_mode_16_64 0
		.amdhsa_float_denorm_mode_32 3
		.amdhsa_float_denorm_mode_16_64 3
		.amdhsa_fp16_overflow 0
		.amdhsa_memory_ordered 1
		.amdhsa_forward_progress 1
		.amdhsa_inst_pref_size 0
		.amdhsa_round_robin_scheduling 0
		.amdhsa_exception_fp_ieee_invalid_op 0
		.amdhsa_exception_fp_denorm_src 0
		.amdhsa_exception_fp_ieee_div_zero 0
		.amdhsa_exception_fp_ieee_overflow 0
		.amdhsa_exception_fp_ieee_underflow 0
		.amdhsa_exception_fp_ieee_inexact 0
		.amdhsa_exception_int_div_zero 0
	.end_amdhsa_kernel
	.section	.text._ZN7rocprim17ROCPRIM_400000_NS6detail17trampoline_kernelINS0_14default_configENS1_27scan_by_key_config_selectorIitEEZZNS1_16scan_by_key_implILNS1_25lookback_scan_determinismE0ELb1ES3_N6thrust23THRUST_200600_302600_NS6detail15normal_iteratorINS9_10device_ptrIiEEEENSB_INSC_ItEEEESG_tNS9_4plusIvEENS9_8equal_toIvEEtEE10hipError_tPvRmT2_T3_T4_T5_mT6_T7_P12ihipStream_tbENKUlT_T0_E_clISt17integral_constantIbLb0EES11_EEDaSW_SX_EUlSW_E_NS1_11comp_targetILNS1_3genE9ELNS1_11target_archE1100ELNS1_3gpuE3ELNS1_3repE0EEENS1_30default_config_static_selectorELNS0_4arch9wavefront6targetE0EEEvT1_,"axG",@progbits,_ZN7rocprim17ROCPRIM_400000_NS6detail17trampoline_kernelINS0_14default_configENS1_27scan_by_key_config_selectorIitEEZZNS1_16scan_by_key_implILNS1_25lookback_scan_determinismE0ELb1ES3_N6thrust23THRUST_200600_302600_NS6detail15normal_iteratorINS9_10device_ptrIiEEEENSB_INSC_ItEEEESG_tNS9_4plusIvEENS9_8equal_toIvEEtEE10hipError_tPvRmT2_T3_T4_T5_mT6_T7_P12ihipStream_tbENKUlT_T0_E_clISt17integral_constantIbLb0EES11_EEDaSW_SX_EUlSW_E_NS1_11comp_targetILNS1_3genE9ELNS1_11target_archE1100ELNS1_3gpuE3ELNS1_3repE0EEENS1_30default_config_static_selectorELNS0_4arch9wavefront6targetE0EEEvT1_,comdat
.Lfunc_end1542:
	.size	_ZN7rocprim17ROCPRIM_400000_NS6detail17trampoline_kernelINS0_14default_configENS1_27scan_by_key_config_selectorIitEEZZNS1_16scan_by_key_implILNS1_25lookback_scan_determinismE0ELb1ES3_N6thrust23THRUST_200600_302600_NS6detail15normal_iteratorINS9_10device_ptrIiEEEENSB_INSC_ItEEEESG_tNS9_4plusIvEENS9_8equal_toIvEEtEE10hipError_tPvRmT2_T3_T4_T5_mT6_T7_P12ihipStream_tbENKUlT_T0_E_clISt17integral_constantIbLb0EES11_EEDaSW_SX_EUlSW_E_NS1_11comp_targetILNS1_3genE9ELNS1_11target_archE1100ELNS1_3gpuE3ELNS1_3repE0EEENS1_30default_config_static_selectorELNS0_4arch9wavefront6targetE0EEEvT1_, .Lfunc_end1542-_ZN7rocprim17ROCPRIM_400000_NS6detail17trampoline_kernelINS0_14default_configENS1_27scan_by_key_config_selectorIitEEZZNS1_16scan_by_key_implILNS1_25lookback_scan_determinismE0ELb1ES3_N6thrust23THRUST_200600_302600_NS6detail15normal_iteratorINS9_10device_ptrIiEEEENSB_INSC_ItEEEESG_tNS9_4plusIvEENS9_8equal_toIvEEtEE10hipError_tPvRmT2_T3_T4_T5_mT6_T7_P12ihipStream_tbENKUlT_T0_E_clISt17integral_constantIbLb0EES11_EEDaSW_SX_EUlSW_E_NS1_11comp_targetILNS1_3genE9ELNS1_11target_archE1100ELNS1_3gpuE3ELNS1_3repE0EEENS1_30default_config_static_selectorELNS0_4arch9wavefront6targetE0EEEvT1_
                                        ; -- End function
	.set _ZN7rocprim17ROCPRIM_400000_NS6detail17trampoline_kernelINS0_14default_configENS1_27scan_by_key_config_selectorIitEEZZNS1_16scan_by_key_implILNS1_25lookback_scan_determinismE0ELb1ES3_N6thrust23THRUST_200600_302600_NS6detail15normal_iteratorINS9_10device_ptrIiEEEENSB_INSC_ItEEEESG_tNS9_4plusIvEENS9_8equal_toIvEEtEE10hipError_tPvRmT2_T3_T4_T5_mT6_T7_P12ihipStream_tbENKUlT_T0_E_clISt17integral_constantIbLb0EES11_EEDaSW_SX_EUlSW_E_NS1_11comp_targetILNS1_3genE9ELNS1_11target_archE1100ELNS1_3gpuE3ELNS1_3repE0EEENS1_30default_config_static_selectorELNS0_4arch9wavefront6targetE0EEEvT1_.num_vgpr, 0
	.set _ZN7rocprim17ROCPRIM_400000_NS6detail17trampoline_kernelINS0_14default_configENS1_27scan_by_key_config_selectorIitEEZZNS1_16scan_by_key_implILNS1_25lookback_scan_determinismE0ELb1ES3_N6thrust23THRUST_200600_302600_NS6detail15normal_iteratorINS9_10device_ptrIiEEEENSB_INSC_ItEEEESG_tNS9_4plusIvEENS9_8equal_toIvEEtEE10hipError_tPvRmT2_T3_T4_T5_mT6_T7_P12ihipStream_tbENKUlT_T0_E_clISt17integral_constantIbLb0EES11_EEDaSW_SX_EUlSW_E_NS1_11comp_targetILNS1_3genE9ELNS1_11target_archE1100ELNS1_3gpuE3ELNS1_3repE0EEENS1_30default_config_static_selectorELNS0_4arch9wavefront6targetE0EEEvT1_.num_agpr, 0
	.set _ZN7rocprim17ROCPRIM_400000_NS6detail17trampoline_kernelINS0_14default_configENS1_27scan_by_key_config_selectorIitEEZZNS1_16scan_by_key_implILNS1_25lookback_scan_determinismE0ELb1ES3_N6thrust23THRUST_200600_302600_NS6detail15normal_iteratorINS9_10device_ptrIiEEEENSB_INSC_ItEEEESG_tNS9_4plusIvEENS9_8equal_toIvEEtEE10hipError_tPvRmT2_T3_T4_T5_mT6_T7_P12ihipStream_tbENKUlT_T0_E_clISt17integral_constantIbLb0EES11_EEDaSW_SX_EUlSW_E_NS1_11comp_targetILNS1_3genE9ELNS1_11target_archE1100ELNS1_3gpuE3ELNS1_3repE0EEENS1_30default_config_static_selectorELNS0_4arch9wavefront6targetE0EEEvT1_.numbered_sgpr, 0
	.set _ZN7rocprim17ROCPRIM_400000_NS6detail17trampoline_kernelINS0_14default_configENS1_27scan_by_key_config_selectorIitEEZZNS1_16scan_by_key_implILNS1_25lookback_scan_determinismE0ELb1ES3_N6thrust23THRUST_200600_302600_NS6detail15normal_iteratorINS9_10device_ptrIiEEEENSB_INSC_ItEEEESG_tNS9_4plusIvEENS9_8equal_toIvEEtEE10hipError_tPvRmT2_T3_T4_T5_mT6_T7_P12ihipStream_tbENKUlT_T0_E_clISt17integral_constantIbLb0EES11_EEDaSW_SX_EUlSW_E_NS1_11comp_targetILNS1_3genE9ELNS1_11target_archE1100ELNS1_3gpuE3ELNS1_3repE0EEENS1_30default_config_static_selectorELNS0_4arch9wavefront6targetE0EEEvT1_.num_named_barrier, 0
	.set _ZN7rocprim17ROCPRIM_400000_NS6detail17trampoline_kernelINS0_14default_configENS1_27scan_by_key_config_selectorIitEEZZNS1_16scan_by_key_implILNS1_25lookback_scan_determinismE0ELb1ES3_N6thrust23THRUST_200600_302600_NS6detail15normal_iteratorINS9_10device_ptrIiEEEENSB_INSC_ItEEEESG_tNS9_4plusIvEENS9_8equal_toIvEEtEE10hipError_tPvRmT2_T3_T4_T5_mT6_T7_P12ihipStream_tbENKUlT_T0_E_clISt17integral_constantIbLb0EES11_EEDaSW_SX_EUlSW_E_NS1_11comp_targetILNS1_3genE9ELNS1_11target_archE1100ELNS1_3gpuE3ELNS1_3repE0EEENS1_30default_config_static_selectorELNS0_4arch9wavefront6targetE0EEEvT1_.private_seg_size, 0
	.set _ZN7rocprim17ROCPRIM_400000_NS6detail17trampoline_kernelINS0_14default_configENS1_27scan_by_key_config_selectorIitEEZZNS1_16scan_by_key_implILNS1_25lookback_scan_determinismE0ELb1ES3_N6thrust23THRUST_200600_302600_NS6detail15normal_iteratorINS9_10device_ptrIiEEEENSB_INSC_ItEEEESG_tNS9_4plusIvEENS9_8equal_toIvEEtEE10hipError_tPvRmT2_T3_T4_T5_mT6_T7_P12ihipStream_tbENKUlT_T0_E_clISt17integral_constantIbLb0EES11_EEDaSW_SX_EUlSW_E_NS1_11comp_targetILNS1_3genE9ELNS1_11target_archE1100ELNS1_3gpuE3ELNS1_3repE0EEENS1_30default_config_static_selectorELNS0_4arch9wavefront6targetE0EEEvT1_.uses_vcc, 0
	.set _ZN7rocprim17ROCPRIM_400000_NS6detail17trampoline_kernelINS0_14default_configENS1_27scan_by_key_config_selectorIitEEZZNS1_16scan_by_key_implILNS1_25lookback_scan_determinismE0ELb1ES3_N6thrust23THRUST_200600_302600_NS6detail15normal_iteratorINS9_10device_ptrIiEEEENSB_INSC_ItEEEESG_tNS9_4plusIvEENS9_8equal_toIvEEtEE10hipError_tPvRmT2_T3_T4_T5_mT6_T7_P12ihipStream_tbENKUlT_T0_E_clISt17integral_constantIbLb0EES11_EEDaSW_SX_EUlSW_E_NS1_11comp_targetILNS1_3genE9ELNS1_11target_archE1100ELNS1_3gpuE3ELNS1_3repE0EEENS1_30default_config_static_selectorELNS0_4arch9wavefront6targetE0EEEvT1_.uses_flat_scratch, 0
	.set _ZN7rocprim17ROCPRIM_400000_NS6detail17trampoline_kernelINS0_14default_configENS1_27scan_by_key_config_selectorIitEEZZNS1_16scan_by_key_implILNS1_25lookback_scan_determinismE0ELb1ES3_N6thrust23THRUST_200600_302600_NS6detail15normal_iteratorINS9_10device_ptrIiEEEENSB_INSC_ItEEEESG_tNS9_4plusIvEENS9_8equal_toIvEEtEE10hipError_tPvRmT2_T3_T4_T5_mT6_T7_P12ihipStream_tbENKUlT_T0_E_clISt17integral_constantIbLb0EES11_EEDaSW_SX_EUlSW_E_NS1_11comp_targetILNS1_3genE9ELNS1_11target_archE1100ELNS1_3gpuE3ELNS1_3repE0EEENS1_30default_config_static_selectorELNS0_4arch9wavefront6targetE0EEEvT1_.has_dyn_sized_stack, 0
	.set _ZN7rocprim17ROCPRIM_400000_NS6detail17trampoline_kernelINS0_14default_configENS1_27scan_by_key_config_selectorIitEEZZNS1_16scan_by_key_implILNS1_25lookback_scan_determinismE0ELb1ES3_N6thrust23THRUST_200600_302600_NS6detail15normal_iteratorINS9_10device_ptrIiEEEENSB_INSC_ItEEEESG_tNS9_4plusIvEENS9_8equal_toIvEEtEE10hipError_tPvRmT2_T3_T4_T5_mT6_T7_P12ihipStream_tbENKUlT_T0_E_clISt17integral_constantIbLb0EES11_EEDaSW_SX_EUlSW_E_NS1_11comp_targetILNS1_3genE9ELNS1_11target_archE1100ELNS1_3gpuE3ELNS1_3repE0EEENS1_30default_config_static_selectorELNS0_4arch9wavefront6targetE0EEEvT1_.has_recursion, 0
	.set _ZN7rocprim17ROCPRIM_400000_NS6detail17trampoline_kernelINS0_14default_configENS1_27scan_by_key_config_selectorIitEEZZNS1_16scan_by_key_implILNS1_25lookback_scan_determinismE0ELb1ES3_N6thrust23THRUST_200600_302600_NS6detail15normal_iteratorINS9_10device_ptrIiEEEENSB_INSC_ItEEEESG_tNS9_4plusIvEENS9_8equal_toIvEEtEE10hipError_tPvRmT2_T3_T4_T5_mT6_T7_P12ihipStream_tbENKUlT_T0_E_clISt17integral_constantIbLb0EES11_EEDaSW_SX_EUlSW_E_NS1_11comp_targetILNS1_3genE9ELNS1_11target_archE1100ELNS1_3gpuE3ELNS1_3repE0EEENS1_30default_config_static_selectorELNS0_4arch9wavefront6targetE0EEEvT1_.has_indirect_call, 0
	.section	.AMDGPU.csdata,"",@progbits
; Kernel info:
; codeLenInByte = 0
; TotalNumSgprs: 0
; NumVgprs: 0
; ScratchSize: 0
; MemoryBound: 0
; FloatMode: 240
; IeeeMode: 1
; LDSByteSize: 0 bytes/workgroup (compile time only)
; SGPRBlocks: 0
; VGPRBlocks: 0
; NumSGPRsForWavesPerEU: 1
; NumVGPRsForWavesPerEU: 1
; NamedBarCnt: 0
; Occupancy: 16
; WaveLimiterHint : 0
; COMPUTE_PGM_RSRC2:SCRATCH_EN: 0
; COMPUTE_PGM_RSRC2:USER_SGPR: 2
; COMPUTE_PGM_RSRC2:TRAP_HANDLER: 0
; COMPUTE_PGM_RSRC2:TGID_X_EN: 1
; COMPUTE_PGM_RSRC2:TGID_Y_EN: 0
; COMPUTE_PGM_RSRC2:TGID_Z_EN: 0
; COMPUTE_PGM_RSRC2:TIDIG_COMP_CNT: 0
	.section	.text._ZN7rocprim17ROCPRIM_400000_NS6detail17trampoline_kernelINS0_14default_configENS1_27scan_by_key_config_selectorIitEEZZNS1_16scan_by_key_implILNS1_25lookback_scan_determinismE0ELb1ES3_N6thrust23THRUST_200600_302600_NS6detail15normal_iteratorINS9_10device_ptrIiEEEENSB_INSC_ItEEEESG_tNS9_4plusIvEENS9_8equal_toIvEEtEE10hipError_tPvRmT2_T3_T4_T5_mT6_T7_P12ihipStream_tbENKUlT_T0_E_clISt17integral_constantIbLb0EES11_EEDaSW_SX_EUlSW_E_NS1_11comp_targetILNS1_3genE8ELNS1_11target_archE1030ELNS1_3gpuE2ELNS1_3repE0EEENS1_30default_config_static_selectorELNS0_4arch9wavefront6targetE0EEEvT1_,"axG",@progbits,_ZN7rocprim17ROCPRIM_400000_NS6detail17trampoline_kernelINS0_14default_configENS1_27scan_by_key_config_selectorIitEEZZNS1_16scan_by_key_implILNS1_25lookback_scan_determinismE0ELb1ES3_N6thrust23THRUST_200600_302600_NS6detail15normal_iteratorINS9_10device_ptrIiEEEENSB_INSC_ItEEEESG_tNS9_4plusIvEENS9_8equal_toIvEEtEE10hipError_tPvRmT2_T3_T4_T5_mT6_T7_P12ihipStream_tbENKUlT_T0_E_clISt17integral_constantIbLb0EES11_EEDaSW_SX_EUlSW_E_NS1_11comp_targetILNS1_3genE8ELNS1_11target_archE1030ELNS1_3gpuE2ELNS1_3repE0EEENS1_30default_config_static_selectorELNS0_4arch9wavefront6targetE0EEEvT1_,comdat
	.protected	_ZN7rocprim17ROCPRIM_400000_NS6detail17trampoline_kernelINS0_14default_configENS1_27scan_by_key_config_selectorIitEEZZNS1_16scan_by_key_implILNS1_25lookback_scan_determinismE0ELb1ES3_N6thrust23THRUST_200600_302600_NS6detail15normal_iteratorINS9_10device_ptrIiEEEENSB_INSC_ItEEEESG_tNS9_4plusIvEENS9_8equal_toIvEEtEE10hipError_tPvRmT2_T3_T4_T5_mT6_T7_P12ihipStream_tbENKUlT_T0_E_clISt17integral_constantIbLb0EES11_EEDaSW_SX_EUlSW_E_NS1_11comp_targetILNS1_3genE8ELNS1_11target_archE1030ELNS1_3gpuE2ELNS1_3repE0EEENS1_30default_config_static_selectorELNS0_4arch9wavefront6targetE0EEEvT1_ ; -- Begin function _ZN7rocprim17ROCPRIM_400000_NS6detail17trampoline_kernelINS0_14default_configENS1_27scan_by_key_config_selectorIitEEZZNS1_16scan_by_key_implILNS1_25lookback_scan_determinismE0ELb1ES3_N6thrust23THRUST_200600_302600_NS6detail15normal_iteratorINS9_10device_ptrIiEEEENSB_INSC_ItEEEESG_tNS9_4plusIvEENS9_8equal_toIvEEtEE10hipError_tPvRmT2_T3_T4_T5_mT6_T7_P12ihipStream_tbENKUlT_T0_E_clISt17integral_constantIbLb0EES11_EEDaSW_SX_EUlSW_E_NS1_11comp_targetILNS1_3genE8ELNS1_11target_archE1030ELNS1_3gpuE2ELNS1_3repE0EEENS1_30default_config_static_selectorELNS0_4arch9wavefront6targetE0EEEvT1_
	.globl	_ZN7rocprim17ROCPRIM_400000_NS6detail17trampoline_kernelINS0_14default_configENS1_27scan_by_key_config_selectorIitEEZZNS1_16scan_by_key_implILNS1_25lookback_scan_determinismE0ELb1ES3_N6thrust23THRUST_200600_302600_NS6detail15normal_iteratorINS9_10device_ptrIiEEEENSB_INSC_ItEEEESG_tNS9_4plusIvEENS9_8equal_toIvEEtEE10hipError_tPvRmT2_T3_T4_T5_mT6_T7_P12ihipStream_tbENKUlT_T0_E_clISt17integral_constantIbLb0EES11_EEDaSW_SX_EUlSW_E_NS1_11comp_targetILNS1_3genE8ELNS1_11target_archE1030ELNS1_3gpuE2ELNS1_3repE0EEENS1_30default_config_static_selectorELNS0_4arch9wavefront6targetE0EEEvT1_
	.p2align	8
	.type	_ZN7rocprim17ROCPRIM_400000_NS6detail17trampoline_kernelINS0_14default_configENS1_27scan_by_key_config_selectorIitEEZZNS1_16scan_by_key_implILNS1_25lookback_scan_determinismE0ELb1ES3_N6thrust23THRUST_200600_302600_NS6detail15normal_iteratorINS9_10device_ptrIiEEEENSB_INSC_ItEEEESG_tNS9_4plusIvEENS9_8equal_toIvEEtEE10hipError_tPvRmT2_T3_T4_T5_mT6_T7_P12ihipStream_tbENKUlT_T0_E_clISt17integral_constantIbLb0EES11_EEDaSW_SX_EUlSW_E_NS1_11comp_targetILNS1_3genE8ELNS1_11target_archE1030ELNS1_3gpuE2ELNS1_3repE0EEENS1_30default_config_static_selectorELNS0_4arch9wavefront6targetE0EEEvT1_,@function
_ZN7rocprim17ROCPRIM_400000_NS6detail17trampoline_kernelINS0_14default_configENS1_27scan_by_key_config_selectorIitEEZZNS1_16scan_by_key_implILNS1_25lookback_scan_determinismE0ELb1ES3_N6thrust23THRUST_200600_302600_NS6detail15normal_iteratorINS9_10device_ptrIiEEEENSB_INSC_ItEEEESG_tNS9_4plusIvEENS9_8equal_toIvEEtEE10hipError_tPvRmT2_T3_T4_T5_mT6_T7_P12ihipStream_tbENKUlT_T0_E_clISt17integral_constantIbLb0EES11_EEDaSW_SX_EUlSW_E_NS1_11comp_targetILNS1_3genE8ELNS1_11target_archE1030ELNS1_3gpuE2ELNS1_3repE0EEENS1_30default_config_static_selectorELNS0_4arch9wavefront6targetE0EEEvT1_: ; @_ZN7rocprim17ROCPRIM_400000_NS6detail17trampoline_kernelINS0_14default_configENS1_27scan_by_key_config_selectorIitEEZZNS1_16scan_by_key_implILNS1_25lookback_scan_determinismE0ELb1ES3_N6thrust23THRUST_200600_302600_NS6detail15normal_iteratorINS9_10device_ptrIiEEEENSB_INSC_ItEEEESG_tNS9_4plusIvEENS9_8equal_toIvEEtEE10hipError_tPvRmT2_T3_T4_T5_mT6_T7_P12ihipStream_tbENKUlT_T0_E_clISt17integral_constantIbLb0EES11_EEDaSW_SX_EUlSW_E_NS1_11comp_targetILNS1_3genE8ELNS1_11target_archE1030ELNS1_3gpuE2ELNS1_3repE0EEENS1_30default_config_static_selectorELNS0_4arch9wavefront6targetE0EEEvT1_
; %bb.0:
	.section	.rodata,"a",@progbits
	.p2align	6, 0x0
	.amdhsa_kernel _ZN7rocprim17ROCPRIM_400000_NS6detail17trampoline_kernelINS0_14default_configENS1_27scan_by_key_config_selectorIitEEZZNS1_16scan_by_key_implILNS1_25lookback_scan_determinismE0ELb1ES3_N6thrust23THRUST_200600_302600_NS6detail15normal_iteratorINS9_10device_ptrIiEEEENSB_INSC_ItEEEESG_tNS9_4plusIvEENS9_8equal_toIvEEtEE10hipError_tPvRmT2_T3_T4_T5_mT6_T7_P12ihipStream_tbENKUlT_T0_E_clISt17integral_constantIbLb0EES11_EEDaSW_SX_EUlSW_E_NS1_11comp_targetILNS1_3genE8ELNS1_11target_archE1030ELNS1_3gpuE2ELNS1_3repE0EEENS1_30default_config_static_selectorELNS0_4arch9wavefront6targetE0EEEvT1_
		.amdhsa_group_segment_fixed_size 0
		.amdhsa_private_segment_fixed_size 0
		.amdhsa_kernarg_size 112
		.amdhsa_user_sgpr_count 2
		.amdhsa_user_sgpr_dispatch_ptr 0
		.amdhsa_user_sgpr_queue_ptr 0
		.amdhsa_user_sgpr_kernarg_segment_ptr 1
		.amdhsa_user_sgpr_dispatch_id 0
		.amdhsa_user_sgpr_kernarg_preload_length 0
		.amdhsa_user_sgpr_kernarg_preload_offset 0
		.amdhsa_user_sgpr_private_segment_size 0
		.amdhsa_wavefront_size32 1
		.amdhsa_uses_dynamic_stack 0
		.amdhsa_enable_private_segment 0
		.amdhsa_system_sgpr_workgroup_id_x 1
		.amdhsa_system_sgpr_workgroup_id_y 0
		.amdhsa_system_sgpr_workgroup_id_z 0
		.amdhsa_system_sgpr_workgroup_info 0
		.amdhsa_system_vgpr_workitem_id 0
		.amdhsa_next_free_vgpr 1
		.amdhsa_next_free_sgpr 1
		.amdhsa_named_barrier_count 0
		.amdhsa_reserve_vcc 0
		.amdhsa_float_round_mode_32 0
		.amdhsa_float_round_mode_16_64 0
		.amdhsa_float_denorm_mode_32 3
		.amdhsa_float_denorm_mode_16_64 3
		.amdhsa_fp16_overflow 0
		.amdhsa_memory_ordered 1
		.amdhsa_forward_progress 1
		.amdhsa_inst_pref_size 0
		.amdhsa_round_robin_scheduling 0
		.amdhsa_exception_fp_ieee_invalid_op 0
		.amdhsa_exception_fp_denorm_src 0
		.amdhsa_exception_fp_ieee_div_zero 0
		.amdhsa_exception_fp_ieee_overflow 0
		.amdhsa_exception_fp_ieee_underflow 0
		.amdhsa_exception_fp_ieee_inexact 0
		.amdhsa_exception_int_div_zero 0
	.end_amdhsa_kernel
	.section	.text._ZN7rocprim17ROCPRIM_400000_NS6detail17trampoline_kernelINS0_14default_configENS1_27scan_by_key_config_selectorIitEEZZNS1_16scan_by_key_implILNS1_25lookback_scan_determinismE0ELb1ES3_N6thrust23THRUST_200600_302600_NS6detail15normal_iteratorINS9_10device_ptrIiEEEENSB_INSC_ItEEEESG_tNS9_4plusIvEENS9_8equal_toIvEEtEE10hipError_tPvRmT2_T3_T4_T5_mT6_T7_P12ihipStream_tbENKUlT_T0_E_clISt17integral_constantIbLb0EES11_EEDaSW_SX_EUlSW_E_NS1_11comp_targetILNS1_3genE8ELNS1_11target_archE1030ELNS1_3gpuE2ELNS1_3repE0EEENS1_30default_config_static_selectorELNS0_4arch9wavefront6targetE0EEEvT1_,"axG",@progbits,_ZN7rocprim17ROCPRIM_400000_NS6detail17trampoline_kernelINS0_14default_configENS1_27scan_by_key_config_selectorIitEEZZNS1_16scan_by_key_implILNS1_25lookback_scan_determinismE0ELb1ES3_N6thrust23THRUST_200600_302600_NS6detail15normal_iteratorINS9_10device_ptrIiEEEENSB_INSC_ItEEEESG_tNS9_4plusIvEENS9_8equal_toIvEEtEE10hipError_tPvRmT2_T3_T4_T5_mT6_T7_P12ihipStream_tbENKUlT_T0_E_clISt17integral_constantIbLb0EES11_EEDaSW_SX_EUlSW_E_NS1_11comp_targetILNS1_3genE8ELNS1_11target_archE1030ELNS1_3gpuE2ELNS1_3repE0EEENS1_30default_config_static_selectorELNS0_4arch9wavefront6targetE0EEEvT1_,comdat
.Lfunc_end1543:
	.size	_ZN7rocprim17ROCPRIM_400000_NS6detail17trampoline_kernelINS0_14default_configENS1_27scan_by_key_config_selectorIitEEZZNS1_16scan_by_key_implILNS1_25lookback_scan_determinismE0ELb1ES3_N6thrust23THRUST_200600_302600_NS6detail15normal_iteratorINS9_10device_ptrIiEEEENSB_INSC_ItEEEESG_tNS9_4plusIvEENS9_8equal_toIvEEtEE10hipError_tPvRmT2_T3_T4_T5_mT6_T7_P12ihipStream_tbENKUlT_T0_E_clISt17integral_constantIbLb0EES11_EEDaSW_SX_EUlSW_E_NS1_11comp_targetILNS1_3genE8ELNS1_11target_archE1030ELNS1_3gpuE2ELNS1_3repE0EEENS1_30default_config_static_selectorELNS0_4arch9wavefront6targetE0EEEvT1_, .Lfunc_end1543-_ZN7rocprim17ROCPRIM_400000_NS6detail17trampoline_kernelINS0_14default_configENS1_27scan_by_key_config_selectorIitEEZZNS1_16scan_by_key_implILNS1_25lookback_scan_determinismE0ELb1ES3_N6thrust23THRUST_200600_302600_NS6detail15normal_iteratorINS9_10device_ptrIiEEEENSB_INSC_ItEEEESG_tNS9_4plusIvEENS9_8equal_toIvEEtEE10hipError_tPvRmT2_T3_T4_T5_mT6_T7_P12ihipStream_tbENKUlT_T0_E_clISt17integral_constantIbLb0EES11_EEDaSW_SX_EUlSW_E_NS1_11comp_targetILNS1_3genE8ELNS1_11target_archE1030ELNS1_3gpuE2ELNS1_3repE0EEENS1_30default_config_static_selectorELNS0_4arch9wavefront6targetE0EEEvT1_
                                        ; -- End function
	.set _ZN7rocprim17ROCPRIM_400000_NS6detail17trampoline_kernelINS0_14default_configENS1_27scan_by_key_config_selectorIitEEZZNS1_16scan_by_key_implILNS1_25lookback_scan_determinismE0ELb1ES3_N6thrust23THRUST_200600_302600_NS6detail15normal_iteratorINS9_10device_ptrIiEEEENSB_INSC_ItEEEESG_tNS9_4plusIvEENS9_8equal_toIvEEtEE10hipError_tPvRmT2_T3_T4_T5_mT6_T7_P12ihipStream_tbENKUlT_T0_E_clISt17integral_constantIbLb0EES11_EEDaSW_SX_EUlSW_E_NS1_11comp_targetILNS1_3genE8ELNS1_11target_archE1030ELNS1_3gpuE2ELNS1_3repE0EEENS1_30default_config_static_selectorELNS0_4arch9wavefront6targetE0EEEvT1_.num_vgpr, 0
	.set _ZN7rocprim17ROCPRIM_400000_NS6detail17trampoline_kernelINS0_14default_configENS1_27scan_by_key_config_selectorIitEEZZNS1_16scan_by_key_implILNS1_25lookback_scan_determinismE0ELb1ES3_N6thrust23THRUST_200600_302600_NS6detail15normal_iteratorINS9_10device_ptrIiEEEENSB_INSC_ItEEEESG_tNS9_4plusIvEENS9_8equal_toIvEEtEE10hipError_tPvRmT2_T3_T4_T5_mT6_T7_P12ihipStream_tbENKUlT_T0_E_clISt17integral_constantIbLb0EES11_EEDaSW_SX_EUlSW_E_NS1_11comp_targetILNS1_3genE8ELNS1_11target_archE1030ELNS1_3gpuE2ELNS1_3repE0EEENS1_30default_config_static_selectorELNS0_4arch9wavefront6targetE0EEEvT1_.num_agpr, 0
	.set _ZN7rocprim17ROCPRIM_400000_NS6detail17trampoline_kernelINS0_14default_configENS1_27scan_by_key_config_selectorIitEEZZNS1_16scan_by_key_implILNS1_25lookback_scan_determinismE0ELb1ES3_N6thrust23THRUST_200600_302600_NS6detail15normal_iteratorINS9_10device_ptrIiEEEENSB_INSC_ItEEEESG_tNS9_4plusIvEENS9_8equal_toIvEEtEE10hipError_tPvRmT2_T3_T4_T5_mT6_T7_P12ihipStream_tbENKUlT_T0_E_clISt17integral_constantIbLb0EES11_EEDaSW_SX_EUlSW_E_NS1_11comp_targetILNS1_3genE8ELNS1_11target_archE1030ELNS1_3gpuE2ELNS1_3repE0EEENS1_30default_config_static_selectorELNS0_4arch9wavefront6targetE0EEEvT1_.numbered_sgpr, 0
	.set _ZN7rocprim17ROCPRIM_400000_NS6detail17trampoline_kernelINS0_14default_configENS1_27scan_by_key_config_selectorIitEEZZNS1_16scan_by_key_implILNS1_25lookback_scan_determinismE0ELb1ES3_N6thrust23THRUST_200600_302600_NS6detail15normal_iteratorINS9_10device_ptrIiEEEENSB_INSC_ItEEEESG_tNS9_4plusIvEENS9_8equal_toIvEEtEE10hipError_tPvRmT2_T3_T4_T5_mT6_T7_P12ihipStream_tbENKUlT_T0_E_clISt17integral_constantIbLb0EES11_EEDaSW_SX_EUlSW_E_NS1_11comp_targetILNS1_3genE8ELNS1_11target_archE1030ELNS1_3gpuE2ELNS1_3repE0EEENS1_30default_config_static_selectorELNS0_4arch9wavefront6targetE0EEEvT1_.num_named_barrier, 0
	.set _ZN7rocprim17ROCPRIM_400000_NS6detail17trampoline_kernelINS0_14default_configENS1_27scan_by_key_config_selectorIitEEZZNS1_16scan_by_key_implILNS1_25lookback_scan_determinismE0ELb1ES3_N6thrust23THRUST_200600_302600_NS6detail15normal_iteratorINS9_10device_ptrIiEEEENSB_INSC_ItEEEESG_tNS9_4plusIvEENS9_8equal_toIvEEtEE10hipError_tPvRmT2_T3_T4_T5_mT6_T7_P12ihipStream_tbENKUlT_T0_E_clISt17integral_constantIbLb0EES11_EEDaSW_SX_EUlSW_E_NS1_11comp_targetILNS1_3genE8ELNS1_11target_archE1030ELNS1_3gpuE2ELNS1_3repE0EEENS1_30default_config_static_selectorELNS0_4arch9wavefront6targetE0EEEvT1_.private_seg_size, 0
	.set _ZN7rocprim17ROCPRIM_400000_NS6detail17trampoline_kernelINS0_14default_configENS1_27scan_by_key_config_selectorIitEEZZNS1_16scan_by_key_implILNS1_25lookback_scan_determinismE0ELb1ES3_N6thrust23THRUST_200600_302600_NS6detail15normal_iteratorINS9_10device_ptrIiEEEENSB_INSC_ItEEEESG_tNS9_4plusIvEENS9_8equal_toIvEEtEE10hipError_tPvRmT2_T3_T4_T5_mT6_T7_P12ihipStream_tbENKUlT_T0_E_clISt17integral_constantIbLb0EES11_EEDaSW_SX_EUlSW_E_NS1_11comp_targetILNS1_3genE8ELNS1_11target_archE1030ELNS1_3gpuE2ELNS1_3repE0EEENS1_30default_config_static_selectorELNS0_4arch9wavefront6targetE0EEEvT1_.uses_vcc, 0
	.set _ZN7rocprim17ROCPRIM_400000_NS6detail17trampoline_kernelINS0_14default_configENS1_27scan_by_key_config_selectorIitEEZZNS1_16scan_by_key_implILNS1_25lookback_scan_determinismE0ELb1ES3_N6thrust23THRUST_200600_302600_NS6detail15normal_iteratorINS9_10device_ptrIiEEEENSB_INSC_ItEEEESG_tNS9_4plusIvEENS9_8equal_toIvEEtEE10hipError_tPvRmT2_T3_T4_T5_mT6_T7_P12ihipStream_tbENKUlT_T0_E_clISt17integral_constantIbLb0EES11_EEDaSW_SX_EUlSW_E_NS1_11comp_targetILNS1_3genE8ELNS1_11target_archE1030ELNS1_3gpuE2ELNS1_3repE0EEENS1_30default_config_static_selectorELNS0_4arch9wavefront6targetE0EEEvT1_.uses_flat_scratch, 0
	.set _ZN7rocprim17ROCPRIM_400000_NS6detail17trampoline_kernelINS0_14default_configENS1_27scan_by_key_config_selectorIitEEZZNS1_16scan_by_key_implILNS1_25lookback_scan_determinismE0ELb1ES3_N6thrust23THRUST_200600_302600_NS6detail15normal_iteratorINS9_10device_ptrIiEEEENSB_INSC_ItEEEESG_tNS9_4plusIvEENS9_8equal_toIvEEtEE10hipError_tPvRmT2_T3_T4_T5_mT6_T7_P12ihipStream_tbENKUlT_T0_E_clISt17integral_constantIbLb0EES11_EEDaSW_SX_EUlSW_E_NS1_11comp_targetILNS1_3genE8ELNS1_11target_archE1030ELNS1_3gpuE2ELNS1_3repE0EEENS1_30default_config_static_selectorELNS0_4arch9wavefront6targetE0EEEvT1_.has_dyn_sized_stack, 0
	.set _ZN7rocprim17ROCPRIM_400000_NS6detail17trampoline_kernelINS0_14default_configENS1_27scan_by_key_config_selectorIitEEZZNS1_16scan_by_key_implILNS1_25lookback_scan_determinismE0ELb1ES3_N6thrust23THRUST_200600_302600_NS6detail15normal_iteratorINS9_10device_ptrIiEEEENSB_INSC_ItEEEESG_tNS9_4plusIvEENS9_8equal_toIvEEtEE10hipError_tPvRmT2_T3_T4_T5_mT6_T7_P12ihipStream_tbENKUlT_T0_E_clISt17integral_constantIbLb0EES11_EEDaSW_SX_EUlSW_E_NS1_11comp_targetILNS1_3genE8ELNS1_11target_archE1030ELNS1_3gpuE2ELNS1_3repE0EEENS1_30default_config_static_selectorELNS0_4arch9wavefront6targetE0EEEvT1_.has_recursion, 0
	.set _ZN7rocprim17ROCPRIM_400000_NS6detail17trampoline_kernelINS0_14default_configENS1_27scan_by_key_config_selectorIitEEZZNS1_16scan_by_key_implILNS1_25lookback_scan_determinismE0ELb1ES3_N6thrust23THRUST_200600_302600_NS6detail15normal_iteratorINS9_10device_ptrIiEEEENSB_INSC_ItEEEESG_tNS9_4plusIvEENS9_8equal_toIvEEtEE10hipError_tPvRmT2_T3_T4_T5_mT6_T7_P12ihipStream_tbENKUlT_T0_E_clISt17integral_constantIbLb0EES11_EEDaSW_SX_EUlSW_E_NS1_11comp_targetILNS1_3genE8ELNS1_11target_archE1030ELNS1_3gpuE2ELNS1_3repE0EEENS1_30default_config_static_selectorELNS0_4arch9wavefront6targetE0EEEvT1_.has_indirect_call, 0
	.section	.AMDGPU.csdata,"",@progbits
; Kernel info:
; codeLenInByte = 0
; TotalNumSgprs: 0
; NumVgprs: 0
; ScratchSize: 0
; MemoryBound: 0
; FloatMode: 240
; IeeeMode: 1
; LDSByteSize: 0 bytes/workgroup (compile time only)
; SGPRBlocks: 0
; VGPRBlocks: 0
; NumSGPRsForWavesPerEU: 1
; NumVGPRsForWavesPerEU: 1
; NamedBarCnt: 0
; Occupancy: 16
; WaveLimiterHint : 0
; COMPUTE_PGM_RSRC2:SCRATCH_EN: 0
; COMPUTE_PGM_RSRC2:USER_SGPR: 2
; COMPUTE_PGM_RSRC2:TRAP_HANDLER: 0
; COMPUTE_PGM_RSRC2:TGID_X_EN: 1
; COMPUTE_PGM_RSRC2:TGID_Y_EN: 0
; COMPUTE_PGM_RSRC2:TGID_Z_EN: 0
; COMPUTE_PGM_RSRC2:TIDIG_COMP_CNT: 0
	.section	.text._ZN7rocprim17ROCPRIM_400000_NS6detail17trampoline_kernelINS0_14default_configENS1_27scan_by_key_config_selectorIitEEZZNS1_16scan_by_key_implILNS1_25lookback_scan_determinismE0ELb1ES3_N6thrust23THRUST_200600_302600_NS6detail15normal_iteratorINS9_10device_ptrIiEEEENSB_INSC_ItEEEESG_tNS9_4plusIvEENS9_8equal_toIvEEtEE10hipError_tPvRmT2_T3_T4_T5_mT6_T7_P12ihipStream_tbENKUlT_T0_E_clISt17integral_constantIbLb1EES11_EEDaSW_SX_EUlSW_E_NS1_11comp_targetILNS1_3genE0ELNS1_11target_archE4294967295ELNS1_3gpuE0ELNS1_3repE0EEENS1_30default_config_static_selectorELNS0_4arch9wavefront6targetE0EEEvT1_,"axG",@progbits,_ZN7rocprim17ROCPRIM_400000_NS6detail17trampoline_kernelINS0_14default_configENS1_27scan_by_key_config_selectorIitEEZZNS1_16scan_by_key_implILNS1_25lookback_scan_determinismE0ELb1ES3_N6thrust23THRUST_200600_302600_NS6detail15normal_iteratorINS9_10device_ptrIiEEEENSB_INSC_ItEEEESG_tNS9_4plusIvEENS9_8equal_toIvEEtEE10hipError_tPvRmT2_T3_T4_T5_mT6_T7_P12ihipStream_tbENKUlT_T0_E_clISt17integral_constantIbLb1EES11_EEDaSW_SX_EUlSW_E_NS1_11comp_targetILNS1_3genE0ELNS1_11target_archE4294967295ELNS1_3gpuE0ELNS1_3repE0EEENS1_30default_config_static_selectorELNS0_4arch9wavefront6targetE0EEEvT1_,comdat
	.protected	_ZN7rocprim17ROCPRIM_400000_NS6detail17trampoline_kernelINS0_14default_configENS1_27scan_by_key_config_selectorIitEEZZNS1_16scan_by_key_implILNS1_25lookback_scan_determinismE0ELb1ES3_N6thrust23THRUST_200600_302600_NS6detail15normal_iteratorINS9_10device_ptrIiEEEENSB_INSC_ItEEEESG_tNS9_4plusIvEENS9_8equal_toIvEEtEE10hipError_tPvRmT2_T3_T4_T5_mT6_T7_P12ihipStream_tbENKUlT_T0_E_clISt17integral_constantIbLb1EES11_EEDaSW_SX_EUlSW_E_NS1_11comp_targetILNS1_3genE0ELNS1_11target_archE4294967295ELNS1_3gpuE0ELNS1_3repE0EEENS1_30default_config_static_selectorELNS0_4arch9wavefront6targetE0EEEvT1_ ; -- Begin function _ZN7rocprim17ROCPRIM_400000_NS6detail17trampoline_kernelINS0_14default_configENS1_27scan_by_key_config_selectorIitEEZZNS1_16scan_by_key_implILNS1_25lookback_scan_determinismE0ELb1ES3_N6thrust23THRUST_200600_302600_NS6detail15normal_iteratorINS9_10device_ptrIiEEEENSB_INSC_ItEEEESG_tNS9_4plusIvEENS9_8equal_toIvEEtEE10hipError_tPvRmT2_T3_T4_T5_mT6_T7_P12ihipStream_tbENKUlT_T0_E_clISt17integral_constantIbLb1EES11_EEDaSW_SX_EUlSW_E_NS1_11comp_targetILNS1_3genE0ELNS1_11target_archE4294967295ELNS1_3gpuE0ELNS1_3repE0EEENS1_30default_config_static_selectorELNS0_4arch9wavefront6targetE0EEEvT1_
	.globl	_ZN7rocprim17ROCPRIM_400000_NS6detail17trampoline_kernelINS0_14default_configENS1_27scan_by_key_config_selectorIitEEZZNS1_16scan_by_key_implILNS1_25lookback_scan_determinismE0ELb1ES3_N6thrust23THRUST_200600_302600_NS6detail15normal_iteratorINS9_10device_ptrIiEEEENSB_INSC_ItEEEESG_tNS9_4plusIvEENS9_8equal_toIvEEtEE10hipError_tPvRmT2_T3_T4_T5_mT6_T7_P12ihipStream_tbENKUlT_T0_E_clISt17integral_constantIbLb1EES11_EEDaSW_SX_EUlSW_E_NS1_11comp_targetILNS1_3genE0ELNS1_11target_archE4294967295ELNS1_3gpuE0ELNS1_3repE0EEENS1_30default_config_static_selectorELNS0_4arch9wavefront6targetE0EEEvT1_
	.p2align	8
	.type	_ZN7rocprim17ROCPRIM_400000_NS6detail17trampoline_kernelINS0_14default_configENS1_27scan_by_key_config_selectorIitEEZZNS1_16scan_by_key_implILNS1_25lookback_scan_determinismE0ELb1ES3_N6thrust23THRUST_200600_302600_NS6detail15normal_iteratorINS9_10device_ptrIiEEEENSB_INSC_ItEEEESG_tNS9_4plusIvEENS9_8equal_toIvEEtEE10hipError_tPvRmT2_T3_T4_T5_mT6_T7_P12ihipStream_tbENKUlT_T0_E_clISt17integral_constantIbLb1EES11_EEDaSW_SX_EUlSW_E_NS1_11comp_targetILNS1_3genE0ELNS1_11target_archE4294967295ELNS1_3gpuE0ELNS1_3repE0EEENS1_30default_config_static_selectorELNS0_4arch9wavefront6targetE0EEEvT1_,@function
_ZN7rocprim17ROCPRIM_400000_NS6detail17trampoline_kernelINS0_14default_configENS1_27scan_by_key_config_selectorIitEEZZNS1_16scan_by_key_implILNS1_25lookback_scan_determinismE0ELb1ES3_N6thrust23THRUST_200600_302600_NS6detail15normal_iteratorINS9_10device_ptrIiEEEENSB_INSC_ItEEEESG_tNS9_4plusIvEENS9_8equal_toIvEEtEE10hipError_tPvRmT2_T3_T4_T5_mT6_T7_P12ihipStream_tbENKUlT_T0_E_clISt17integral_constantIbLb1EES11_EEDaSW_SX_EUlSW_E_NS1_11comp_targetILNS1_3genE0ELNS1_11target_archE4294967295ELNS1_3gpuE0ELNS1_3repE0EEENS1_30default_config_static_selectorELNS0_4arch9wavefront6targetE0EEEvT1_: ; @_ZN7rocprim17ROCPRIM_400000_NS6detail17trampoline_kernelINS0_14default_configENS1_27scan_by_key_config_selectorIitEEZZNS1_16scan_by_key_implILNS1_25lookback_scan_determinismE0ELb1ES3_N6thrust23THRUST_200600_302600_NS6detail15normal_iteratorINS9_10device_ptrIiEEEENSB_INSC_ItEEEESG_tNS9_4plusIvEENS9_8equal_toIvEEtEE10hipError_tPvRmT2_T3_T4_T5_mT6_T7_P12ihipStream_tbENKUlT_T0_E_clISt17integral_constantIbLb1EES11_EEDaSW_SX_EUlSW_E_NS1_11comp_targetILNS1_3genE0ELNS1_11target_archE4294967295ELNS1_3gpuE0ELNS1_3repE0EEENS1_30default_config_static_selectorELNS0_4arch9wavefront6targetE0EEEvT1_
; %bb.0:
	s_endpgm
	.section	.rodata,"a",@progbits
	.p2align	6, 0x0
	.amdhsa_kernel _ZN7rocprim17ROCPRIM_400000_NS6detail17trampoline_kernelINS0_14default_configENS1_27scan_by_key_config_selectorIitEEZZNS1_16scan_by_key_implILNS1_25lookback_scan_determinismE0ELb1ES3_N6thrust23THRUST_200600_302600_NS6detail15normal_iteratorINS9_10device_ptrIiEEEENSB_INSC_ItEEEESG_tNS9_4plusIvEENS9_8equal_toIvEEtEE10hipError_tPvRmT2_T3_T4_T5_mT6_T7_P12ihipStream_tbENKUlT_T0_E_clISt17integral_constantIbLb1EES11_EEDaSW_SX_EUlSW_E_NS1_11comp_targetILNS1_3genE0ELNS1_11target_archE4294967295ELNS1_3gpuE0ELNS1_3repE0EEENS1_30default_config_static_selectorELNS0_4arch9wavefront6targetE0EEEvT1_
		.amdhsa_group_segment_fixed_size 0
		.amdhsa_private_segment_fixed_size 0
		.amdhsa_kernarg_size 112
		.amdhsa_user_sgpr_count 2
		.amdhsa_user_sgpr_dispatch_ptr 0
		.amdhsa_user_sgpr_queue_ptr 0
		.amdhsa_user_sgpr_kernarg_segment_ptr 1
		.amdhsa_user_sgpr_dispatch_id 0
		.amdhsa_user_sgpr_kernarg_preload_length 0
		.amdhsa_user_sgpr_kernarg_preload_offset 0
		.amdhsa_user_sgpr_private_segment_size 0
		.amdhsa_wavefront_size32 1
		.amdhsa_uses_dynamic_stack 0
		.amdhsa_enable_private_segment 0
		.amdhsa_system_sgpr_workgroup_id_x 1
		.amdhsa_system_sgpr_workgroup_id_y 0
		.amdhsa_system_sgpr_workgroup_id_z 0
		.amdhsa_system_sgpr_workgroup_info 0
		.amdhsa_system_vgpr_workitem_id 0
		.amdhsa_next_free_vgpr 1
		.amdhsa_next_free_sgpr 1
		.amdhsa_named_barrier_count 0
		.amdhsa_reserve_vcc 0
		.amdhsa_float_round_mode_32 0
		.amdhsa_float_round_mode_16_64 0
		.amdhsa_float_denorm_mode_32 3
		.amdhsa_float_denorm_mode_16_64 3
		.amdhsa_fp16_overflow 0
		.amdhsa_memory_ordered 1
		.amdhsa_forward_progress 1
		.amdhsa_inst_pref_size 1
		.amdhsa_round_robin_scheduling 0
		.amdhsa_exception_fp_ieee_invalid_op 0
		.amdhsa_exception_fp_denorm_src 0
		.amdhsa_exception_fp_ieee_div_zero 0
		.amdhsa_exception_fp_ieee_overflow 0
		.amdhsa_exception_fp_ieee_underflow 0
		.amdhsa_exception_fp_ieee_inexact 0
		.amdhsa_exception_int_div_zero 0
	.end_amdhsa_kernel
	.section	.text._ZN7rocprim17ROCPRIM_400000_NS6detail17trampoline_kernelINS0_14default_configENS1_27scan_by_key_config_selectorIitEEZZNS1_16scan_by_key_implILNS1_25lookback_scan_determinismE0ELb1ES3_N6thrust23THRUST_200600_302600_NS6detail15normal_iteratorINS9_10device_ptrIiEEEENSB_INSC_ItEEEESG_tNS9_4plusIvEENS9_8equal_toIvEEtEE10hipError_tPvRmT2_T3_T4_T5_mT6_T7_P12ihipStream_tbENKUlT_T0_E_clISt17integral_constantIbLb1EES11_EEDaSW_SX_EUlSW_E_NS1_11comp_targetILNS1_3genE0ELNS1_11target_archE4294967295ELNS1_3gpuE0ELNS1_3repE0EEENS1_30default_config_static_selectorELNS0_4arch9wavefront6targetE0EEEvT1_,"axG",@progbits,_ZN7rocprim17ROCPRIM_400000_NS6detail17trampoline_kernelINS0_14default_configENS1_27scan_by_key_config_selectorIitEEZZNS1_16scan_by_key_implILNS1_25lookback_scan_determinismE0ELb1ES3_N6thrust23THRUST_200600_302600_NS6detail15normal_iteratorINS9_10device_ptrIiEEEENSB_INSC_ItEEEESG_tNS9_4plusIvEENS9_8equal_toIvEEtEE10hipError_tPvRmT2_T3_T4_T5_mT6_T7_P12ihipStream_tbENKUlT_T0_E_clISt17integral_constantIbLb1EES11_EEDaSW_SX_EUlSW_E_NS1_11comp_targetILNS1_3genE0ELNS1_11target_archE4294967295ELNS1_3gpuE0ELNS1_3repE0EEENS1_30default_config_static_selectorELNS0_4arch9wavefront6targetE0EEEvT1_,comdat
.Lfunc_end1544:
	.size	_ZN7rocprim17ROCPRIM_400000_NS6detail17trampoline_kernelINS0_14default_configENS1_27scan_by_key_config_selectorIitEEZZNS1_16scan_by_key_implILNS1_25lookback_scan_determinismE0ELb1ES3_N6thrust23THRUST_200600_302600_NS6detail15normal_iteratorINS9_10device_ptrIiEEEENSB_INSC_ItEEEESG_tNS9_4plusIvEENS9_8equal_toIvEEtEE10hipError_tPvRmT2_T3_T4_T5_mT6_T7_P12ihipStream_tbENKUlT_T0_E_clISt17integral_constantIbLb1EES11_EEDaSW_SX_EUlSW_E_NS1_11comp_targetILNS1_3genE0ELNS1_11target_archE4294967295ELNS1_3gpuE0ELNS1_3repE0EEENS1_30default_config_static_selectorELNS0_4arch9wavefront6targetE0EEEvT1_, .Lfunc_end1544-_ZN7rocprim17ROCPRIM_400000_NS6detail17trampoline_kernelINS0_14default_configENS1_27scan_by_key_config_selectorIitEEZZNS1_16scan_by_key_implILNS1_25lookback_scan_determinismE0ELb1ES3_N6thrust23THRUST_200600_302600_NS6detail15normal_iteratorINS9_10device_ptrIiEEEENSB_INSC_ItEEEESG_tNS9_4plusIvEENS9_8equal_toIvEEtEE10hipError_tPvRmT2_T3_T4_T5_mT6_T7_P12ihipStream_tbENKUlT_T0_E_clISt17integral_constantIbLb1EES11_EEDaSW_SX_EUlSW_E_NS1_11comp_targetILNS1_3genE0ELNS1_11target_archE4294967295ELNS1_3gpuE0ELNS1_3repE0EEENS1_30default_config_static_selectorELNS0_4arch9wavefront6targetE0EEEvT1_
                                        ; -- End function
	.set _ZN7rocprim17ROCPRIM_400000_NS6detail17trampoline_kernelINS0_14default_configENS1_27scan_by_key_config_selectorIitEEZZNS1_16scan_by_key_implILNS1_25lookback_scan_determinismE0ELb1ES3_N6thrust23THRUST_200600_302600_NS6detail15normal_iteratorINS9_10device_ptrIiEEEENSB_INSC_ItEEEESG_tNS9_4plusIvEENS9_8equal_toIvEEtEE10hipError_tPvRmT2_T3_T4_T5_mT6_T7_P12ihipStream_tbENKUlT_T0_E_clISt17integral_constantIbLb1EES11_EEDaSW_SX_EUlSW_E_NS1_11comp_targetILNS1_3genE0ELNS1_11target_archE4294967295ELNS1_3gpuE0ELNS1_3repE0EEENS1_30default_config_static_selectorELNS0_4arch9wavefront6targetE0EEEvT1_.num_vgpr, 0
	.set _ZN7rocprim17ROCPRIM_400000_NS6detail17trampoline_kernelINS0_14default_configENS1_27scan_by_key_config_selectorIitEEZZNS1_16scan_by_key_implILNS1_25lookback_scan_determinismE0ELb1ES3_N6thrust23THRUST_200600_302600_NS6detail15normal_iteratorINS9_10device_ptrIiEEEENSB_INSC_ItEEEESG_tNS9_4plusIvEENS9_8equal_toIvEEtEE10hipError_tPvRmT2_T3_T4_T5_mT6_T7_P12ihipStream_tbENKUlT_T0_E_clISt17integral_constantIbLb1EES11_EEDaSW_SX_EUlSW_E_NS1_11comp_targetILNS1_3genE0ELNS1_11target_archE4294967295ELNS1_3gpuE0ELNS1_3repE0EEENS1_30default_config_static_selectorELNS0_4arch9wavefront6targetE0EEEvT1_.num_agpr, 0
	.set _ZN7rocprim17ROCPRIM_400000_NS6detail17trampoline_kernelINS0_14default_configENS1_27scan_by_key_config_selectorIitEEZZNS1_16scan_by_key_implILNS1_25lookback_scan_determinismE0ELb1ES3_N6thrust23THRUST_200600_302600_NS6detail15normal_iteratorINS9_10device_ptrIiEEEENSB_INSC_ItEEEESG_tNS9_4plusIvEENS9_8equal_toIvEEtEE10hipError_tPvRmT2_T3_T4_T5_mT6_T7_P12ihipStream_tbENKUlT_T0_E_clISt17integral_constantIbLb1EES11_EEDaSW_SX_EUlSW_E_NS1_11comp_targetILNS1_3genE0ELNS1_11target_archE4294967295ELNS1_3gpuE0ELNS1_3repE0EEENS1_30default_config_static_selectorELNS0_4arch9wavefront6targetE0EEEvT1_.numbered_sgpr, 0
	.set _ZN7rocprim17ROCPRIM_400000_NS6detail17trampoline_kernelINS0_14default_configENS1_27scan_by_key_config_selectorIitEEZZNS1_16scan_by_key_implILNS1_25lookback_scan_determinismE0ELb1ES3_N6thrust23THRUST_200600_302600_NS6detail15normal_iteratorINS9_10device_ptrIiEEEENSB_INSC_ItEEEESG_tNS9_4plusIvEENS9_8equal_toIvEEtEE10hipError_tPvRmT2_T3_T4_T5_mT6_T7_P12ihipStream_tbENKUlT_T0_E_clISt17integral_constantIbLb1EES11_EEDaSW_SX_EUlSW_E_NS1_11comp_targetILNS1_3genE0ELNS1_11target_archE4294967295ELNS1_3gpuE0ELNS1_3repE0EEENS1_30default_config_static_selectorELNS0_4arch9wavefront6targetE0EEEvT1_.num_named_barrier, 0
	.set _ZN7rocprim17ROCPRIM_400000_NS6detail17trampoline_kernelINS0_14default_configENS1_27scan_by_key_config_selectorIitEEZZNS1_16scan_by_key_implILNS1_25lookback_scan_determinismE0ELb1ES3_N6thrust23THRUST_200600_302600_NS6detail15normal_iteratorINS9_10device_ptrIiEEEENSB_INSC_ItEEEESG_tNS9_4plusIvEENS9_8equal_toIvEEtEE10hipError_tPvRmT2_T3_T4_T5_mT6_T7_P12ihipStream_tbENKUlT_T0_E_clISt17integral_constantIbLb1EES11_EEDaSW_SX_EUlSW_E_NS1_11comp_targetILNS1_3genE0ELNS1_11target_archE4294967295ELNS1_3gpuE0ELNS1_3repE0EEENS1_30default_config_static_selectorELNS0_4arch9wavefront6targetE0EEEvT1_.private_seg_size, 0
	.set _ZN7rocprim17ROCPRIM_400000_NS6detail17trampoline_kernelINS0_14default_configENS1_27scan_by_key_config_selectorIitEEZZNS1_16scan_by_key_implILNS1_25lookback_scan_determinismE0ELb1ES3_N6thrust23THRUST_200600_302600_NS6detail15normal_iteratorINS9_10device_ptrIiEEEENSB_INSC_ItEEEESG_tNS9_4plusIvEENS9_8equal_toIvEEtEE10hipError_tPvRmT2_T3_T4_T5_mT6_T7_P12ihipStream_tbENKUlT_T0_E_clISt17integral_constantIbLb1EES11_EEDaSW_SX_EUlSW_E_NS1_11comp_targetILNS1_3genE0ELNS1_11target_archE4294967295ELNS1_3gpuE0ELNS1_3repE0EEENS1_30default_config_static_selectorELNS0_4arch9wavefront6targetE0EEEvT1_.uses_vcc, 0
	.set _ZN7rocprim17ROCPRIM_400000_NS6detail17trampoline_kernelINS0_14default_configENS1_27scan_by_key_config_selectorIitEEZZNS1_16scan_by_key_implILNS1_25lookback_scan_determinismE0ELb1ES3_N6thrust23THRUST_200600_302600_NS6detail15normal_iteratorINS9_10device_ptrIiEEEENSB_INSC_ItEEEESG_tNS9_4plusIvEENS9_8equal_toIvEEtEE10hipError_tPvRmT2_T3_T4_T5_mT6_T7_P12ihipStream_tbENKUlT_T0_E_clISt17integral_constantIbLb1EES11_EEDaSW_SX_EUlSW_E_NS1_11comp_targetILNS1_3genE0ELNS1_11target_archE4294967295ELNS1_3gpuE0ELNS1_3repE0EEENS1_30default_config_static_selectorELNS0_4arch9wavefront6targetE0EEEvT1_.uses_flat_scratch, 0
	.set _ZN7rocprim17ROCPRIM_400000_NS6detail17trampoline_kernelINS0_14default_configENS1_27scan_by_key_config_selectorIitEEZZNS1_16scan_by_key_implILNS1_25lookback_scan_determinismE0ELb1ES3_N6thrust23THRUST_200600_302600_NS6detail15normal_iteratorINS9_10device_ptrIiEEEENSB_INSC_ItEEEESG_tNS9_4plusIvEENS9_8equal_toIvEEtEE10hipError_tPvRmT2_T3_T4_T5_mT6_T7_P12ihipStream_tbENKUlT_T0_E_clISt17integral_constantIbLb1EES11_EEDaSW_SX_EUlSW_E_NS1_11comp_targetILNS1_3genE0ELNS1_11target_archE4294967295ELNS1_3gpuE0ELNS1_3repE0EEENS1_30default_config_static_selectorELNS0_4arch9wavefront6targetE0EEEvT1_.has_dyn_sized_stack, 0
	.set _ZN7rocprim17ROCPRIM_400000_NS6detail17trampoline_kernelINS0_14default_configENS1_27scan_by_key_config_selectorIitEEZZNS1_16scan_by_key_implILNS1_25lookback_scan_determinismE0ELb1ES3_N6thrust23THRUST_200600_302600_NS6detail15normal_iteratorINS9_10device_ptrIiEEEENSB_INSC_ItEEEESG_tNS9_4plusIvEENS9_8equal_toIvEEtEE10hipError_tPvRmT2_T3_T4_T5_mT6_T7_P12ihipStream_tbENKUlT_T0_E_clISt17integral_constantIbLb1EES11_EEDaSW_SX_EUlSW_E_NS1_11comp_targetILNS1_3genE0ELNS1_11target_archE4294967295ELNS1_3gpuE0ELNS1_3repE0EEENS1_30default_config_static_selectorELNS0_4arch9wavefront6targetE0EEEvT1_.has_recursion, 0
	.set _ZN7rocprim17ROCPRIM_400000_NS6detail17trampoline_kernelINS0_14default_configENS1_27scan_by_key_config_selectorIitEEZZNS1_16scan_by_key_implILNS1_25lookback_scan_determinismE0ELb1ES3_N6thrust23THRUST_200600_302600_NS6detail15normal_iteratorINS9_10device_ptrIiEEEENSB_INSC_ItEEEESG_tNS9_4plusIvEENS9_8equal_toIvEEtEE10hipError_tPvRmT2_T3_T4_T5_mT6_T7_P12ihipStream_tbENKUlT_T0_E_clISt17integral_constantIbLb1EES11_EEDaSW_SX_EUlSW_E_NS1_11comp_targetILNS1_3genE0ELNS1_11target_archE4294967295ELNS1_3gpuE0ELNS1_3repE0EEENS1_30default_config_static_selectorELNS0_4arch9wavefront6targetE0EEEvT1_.has_indirect_call, 0
	.section	.AMDGPU.csdata,"",@progbits
; Kernel info:
; codeLenInByte = 4
; TotalNumSgprs: 0
; NumVgprs: 0
; ScratchSize: 0
; MemoryBound: 0
; FloatMode: 240
; IeeeMode: 1
; LDSByteSize: 0 bytes/workgroup (compile time only)
; SGPRBlocks: 0
; VGPRBlocks: 0
; NumSGPRsForWavesPerEU: 1
; NumVGPRsForWavesPerEU: 1
; NamedBarCnt: 0
; Occupancy: 16
; WaveLimiterHint : 0
; COMPUTE_PGM_RSRC2:SCRATCH_EN: 0
; COMPUTE_PGM_RSRC2:USER_SGPR: 2
; COMPUTE_PGM_RSRC2:TRAP_HANDLER: 0
; COMPUTE_PGM_RSRC2:TGID_X_EN: 1
; COMPUTE_PGM_RSRC2:TGID_Y_EN: 0
; COMPUTE_PGM_RSRC2:TGID_Z_EN: 0
; COMPUTE_PGM_RSRC2:TIDIG_COMP_CNT: 0
	.section	.text._ZN7rocprim17ROCPRIM_400000_NS6detail17trampoline_kernelINS0_14default_configENS1_27scan_by_key_config_selectorIitEEZZNS1_16scan_by_key_implILNS1_25lookback_scan_determinismE0ELb1ES3_N6thrust23THRUST_200600_302600_NS6detail15normal_iteratorINS9_10device_ptrIiEEEENSB_INSC_ItEEEESG_tNS9_4plusIvEENS9_8equal_toIvEEtEE10hipError_tPvRmT2_T3_T4_T5_mT6_T7_P12ihipStream_tbENKUlT_T0_E_clISt17integral_constantIbLb1EES11_EEDaSW_SX_EUlSW_E_NS1_11comp_targetILNS1_3genE10ELNS1_11target_archE1201ELNS1_3gpuE5ELNS1_3repE0EEENS1_30default_config_static_selectorELNS0_4arch9wavefront6targetE0EEEvT1_,"axG",@progbits,_ZN7rocprim17ROCPRIM_400000_NS6detail17trampoline_kernelINS0_14default_configENS1_27scan_by_key_config_selectorIitEEZZNS1_16scan_by_key_implILNS1_25lookback_scan_determinismE0ELb1ES3_N6thrust23THRUST_200600_302600_NS6detail15normal_iteratorINS9_10device_ptrIiEEEENSB_INSC_ItEEEESG_tNS9_4plusIvEENS9_8equal_toIvEEtEE10hipError_tPvRmT2_T3_T4_T5_mT6_T7_P12ihipStream_tbENKUlT_T0_E_clISt17integral_constantIbLb1EES11_EEDaSW_SX_EUlSW_E_NS1_11comp_targetILNS1_3genE10ELNS1_11target_archE1201ELNS1_3gpuE5ELNS1_3repE0EEENS1_30default_config_static_selectorELNS0_4arch9wavefront6targetE0EEEvT1_,comdat
	.protected	_ZN7rocprim17ROCPRIM_400000_NS6detail17trampoline_kernelINS0_14default_configENS1_27scan_by_key_config_selectorIitEEZZNS1_16scan_by_key_implILNS1_25lookback_scan_determinismE0ELb1ES3_N6thrust23THRUST_200600_302600_NS6detail15normal_iteratorINS9_10device_ptrIiEEEENSB_INSC_ItEEEESG_tNS9_4plusIvEENS9_8equal_toIvEEtEE10hipError_tPvRmT2_T3_T4_T5_mT6_T7_P12ihipStream_tbENKUlT_T0_E_clISt17integral_constantIbLb1EES11_EEDaSW_SX_EUlSW_E_NS1_11comp_targetILNS1_3genE10ELNS1_11target_archE1201ELNS1_3gpuE5ELNS1_3repE0EEENS1_30default_config_static_selectorELNS0_4arch9wavefront6targetE0EEEvT1_ ; -- Begin function _ZN7rocprim17ROCPRIM_400000_NS6detail17trampoline_kernelINS0_14default_configENS1_27scan_by_key_config_selectorIitEEZZNS1_16scan_by_key_implILNS1_25lookback_scan_determinismE0ELb1ES3_N6thrust23THRUST_200600_302600_NS6detail15normal_iteratorINS9_10device_ptrIiEEEENSB_INSC_ItEEEESG_tNS9_4plusIvEENS9_8equal_toIvEEtEE10hipError_tPvRmT2_T3_T4_T5_mT6_T7_P12ihipStream_tbENKUlT_T0_E_clISt17integral_constantIbLb1EES11_EEDaSW_SX_EUlSW_E_NS1_11comp_targetILNS1_3genE10ELNS1_11target_archE1201ELNS1_3gpuE5ELNS1_3repE0EEENS1_30default_config_static_selectorELNS0_4arch9wavefront6targetE0EEEvT1_
	.globl	_ZN7rocprim17ROCPRIM_400000_NS6detail17trampoline_kernelINS0_14default_configENS1_27scan_by_key_config_selectorIitEEZZNS1_16scan_by_key_implILNS1_25lookback_scan_determinismE0ELb1ES3_N6thrust23THRUST_200600_302600_NS6detail15normal_iteratorINS9_10device_ptrIiEEEENSB_INSC_ItEEEESG_tNS9_4plusIvEENS9_8equal_toIvEEtEE10hipError_tPvRmT2_T3_T4_T5_mT6_T7_P12ihipStream_tbENKUlT_T0_E_clISt17integral_constantIbLb1EES11_EEDaSW_SX_EUlSW_E_NS1_11comp_targetILNS1_3genE10ELNS1_11target_archE1201ELNS1_3gpuE5ELNS1_3repE0EEENS1_30default_config_static_selectorELNS0_4arch9wavefront6targetE0EEEvT1_
	.p2align	8
	.type	_ZN7rocprim17ROCPRIM_400000_NS6detail17trampoline_kernelINS0_14default_configENS1_27scan_by_key_config_selectorIitEEZZNS1_16scan_by_key_implILNS1_25lookback_scan_determinismE0ELb1ES3_N6thrust23THRUST_200600_302600_NS6detail15normal_iteratorINS9_10device_ptrIiEEEENSB_INSC_ItEEEESG_tNS9_4plusIvEENS9_8equal_toIvEEtEE10hipError_tPvRmT2_T3_T4_T5_mT6_T7_P12ihipStream_tbENKUlT_T0_E_clISt17integral_constantIbLb1EES11_EEDaSW_SX_EUlSW_E_NS1_11comp_targetILNS1_3genE10ELNS1_11target_archE1201ELNS1_3gpuE5ELNS1_3repE0EEENS1_30default_config_static_selectorELNS0_4arch9wavefront6targetE0EEEvT1_,@function
_ZN7rocprim17ROCPRIM_400000_NS6detail17trampoline_kernelINS0_14default_configENS1_27scan_by_key_config_selectorIitEEZZNS1_16scan_by_key_implILNS1_25lookback_scan_determinismE0ELb1ES3_N6thrust23THRUST_200600_302600_NS6detail15normal_iteratorINS9_10device_ptrIiEEEENSB_INSC_ItEEEESG_tNS9_4plusIvEENS9_8equal_toIvEEtEE10hipError_tPvRmT2_T3_T4_T5_mT6_T7_P12ihipStream_tbENKUlT_T0_E_clISt17integral_constantIbLb1EES11_EEDaSW_SX_EUlSW_E_NS1_11comp_targetILNS1_3genE10ELNS1_11target_archE1201ELNS1_3gpuE5ELNS1_3repE0EEENS1_30default_config_static_selectorELNS0_4arch9wavefront6targetE0EEEvT1_: ; @_ZN7rocprim17ROCPRIM_400000_NS6detail17trampoline_kernelINS0_14default_configENS1_27scan_by_key_config_selectorIitEEZZNS1_16scan_by_key_implILNS1_25lookback_scan_determinismE0ELb1ES3_N6thrust23THRUST_200600_302600_NS6detail15normal_iteratorINS9_10device_ptrIiEEEENSB_INSC_ItEEEESG_tNS9_4plusIvEENS9_8equal_toIvEEtEE10hipError_tPvRmT2_T3_T4_T5_mT6_T7_P12ihipStream_tbENKUlT_T0_E_clISt17integral_constantIbLb1EES11_EEDaSW_SX_EUlSW_E_NS1_11comp_targetILNS1_3genE10ELNS1_11target_archE1201ELNS1_3gpuE5ELNS1_3repE0EEENS1_30default_config_static_selectorELNS0_4arch9wavefront6targetE0EEEvT1_
; %bb.0:
	.section	.rodata,"a",@progbits
	.p2align	6, 0x0
	.amdhsa_kernel _ZN7rocprim17ROCPRIM_400000_NS6detail17trampoline_kernelINS0_14default_configENS1_27scan_by_key_config_selectorIitEEZZNS1_16scan_by_key_implILNS1_25lookback_scan_determinismE0ELb1ES3_N6thrust23THRUST_200600_302600_NS6detail15normal_iteratorINS9_10device_ptrIiEEEENSB_INSC_ItEEEESG_tNS9_4plusIvEENS9_8equal_toIvEEtEE10hipError_tPvRmT2_T3_T4_T5_mT6_T7_P12ihipStream_tbENKUlT_T0_E_clISt17integral_constantIbLb1EES11_EEDaSW_SX_EUlSW_E_NS1_11comp_targetILNS1_3genE10ELNS1_11target_archE1201ELNS1_3gpuE5ELNS1_3repE0EEENS1_30default_config_static_selectorELNS0_4arch9wavefront6targetE0EEEvT1_
		.amdhsa_group_segment_fixed_size 0
		.amdhsa_private_segment_fixed_size 0
		.amdhsa_kernarg_size 112
		.amdhsa_user_sgpr_count 2
		.amdhsa_user_sgpr_dispatch_ptr 0
		.amdhsa_user_sgpr_queue_ptr 0
		.amdhsa_user_sgpr_kernarg_segment_ptr 1
		.amdhsa_user_sgpr_dispatch_id 0
		.amdhsa_user_sgpr_kernarg_preload_length 0
		.amdhsa_user_sgpr_kernarg_preload_offset 0
		.amdhsa_user_sgpr_private_segment_size 0
		.amdhsa_wavefront_size32 1
		.amdhsa_uses_dynamic_stack 0
		.amdhsa_enable_private_segment 0
		.amdhsa_system_sgpr_workgroup_id_x 1
		.amdhsa_system_sgpr_workgroup_id_y 0
		.amdhsa_system_sgpr_workgroup_id_z 0
		.amdhsa_system_sgpr_workgroup_info 0
		.amdhsa_system_vgpr_workitem_id 0
		.amdhsa_next_free_vgpr 1
		.amdhsa_next_free_sgpr 1
		.amdhsa_named_barrier_count 0
		.amdhsa_reserve_vcc 0
		.amdhsa_float_round_mode_32 0
		.amdhsa_float_round_mode_16_64 0
		.amdhsa_float_denorm_mode_32 3
		.amdhsa_float_denorm_mode_16_64 3
		.amdhsa_fp16_overflow 0
		.amdhsa_memory_ordered 1
		.amdhsa_forward_progress 1
		.amdhsa_inst_pref_size 0
		.amdhsa_round_robin_scheduling 0
		.amdhsa_exception_fp_ieee_invalid_op 0
		.amdhsa_exception_fp_denorm_src 0
		.amdhsa_exception_fp_ieee_div_zero 0
		.amdhsa_exception_fp_ieee_overflow 0
		.amdhsa_exception_fp_ieee_underflow 0
		.amdhsa_exception_fp_ieee_inexact 0
		.amdhsa_exception_int_div_zero 0
	.end_amdhsa_kernel
	.section	.text._ZN7rocprim17ROCPRIM_400000_NS6detail17trampoline_kernelINS0_14default_configENS1_27scan_by_key_config_selectorIitEEZZNS1_16scan_by_key_implILNS1_25lookback_scan_determinismE0ELb1ES3_N6thrust23THRUST_200600_302600_NS6detail15normal_iteratorINS9_10device_ptrIiEEEENSB_INSC_ItEEEESG_tNS9_4plusIvEENS9_8equal_toIvEEtEE10hipError_tPvRmT2_T3_T4_T5_mT6_T7_P12ihipStream_tbENKUlT_T0_E_clISt17integral_constantIbLb1EES11_EEDaSW_SX_EUlSW_E_NS1_11comp_targetILNS1_3genE10ELNS1_11target_archE1201ELNS1_3gpuE5ELNS1_3repE0EEENS1_30default_config_static_selectorELNS0_4arch9wavefront6targetE0EEEvT1_,"axG",@progbits,_ZN7rocprim17ROCPRIM_400000_NS6detail17trampoline_kernelINS0_14default_configENS1_27scan_by_key_config_selectorIitEEZZNS1_16scan_by_key_implILNS1_25lookback_scan_determinismE0ELb1ES3_N6thrust23THRUST_200600_302600_NS6detail15normal_iteratorINS9_10device_ptrIiEEEENSB_INSC_ItEEEESG_tNS9_4plusIvEENS9_8equal_toIvEEtEE10hipError_tPvRmT2_T3_T4_T5_mT6_T7_P12ihipStream_tbENKUlT_T0_E_clISt17integral_constantIbLb1EES11_EEDaSW_SX_EUlSW_E_NS1_11comp_targetILNS1_3genE10ELNS1_11target_archE1201ELNS1_3gpuE5ELNS1_3repE0EEENS1_30default_config_static_selectorELNS0_4arch9wavefront6targetE0EEEvT1_,comdat
.Lfunc_end1545:
	.size	_ZN7rocprim17ROCPRIM_400000_NS6detail17trampoline_kernelINS0_14default_configENS1_27scan_by_key_config_selectorIitEEZZNS1_16scan_by_key_implILNS1_25lookback_scan_determinismE0ELb1ES3_N6thrust23THRUST_200600_302600_NS6detail15normal_iteratorINS9_10device_ptrIiEEEENSB_INSC_ItEEEESG_tNS9_4plusIvEENS9_8equal_toIvEEtEE10hipError_tPvRmT2_T3_T4_T5_mT6_T7_P12ihipStream_tbENKUlT_T0_E_clISt17integral_constantIbLb1EES11_EEDaSW_SX_EUlSW_E_NS1_11comp_targetILNS1_3genE10ELNS1_11target_archE1201ELNS1_3gpuE5ELNS1_3repE0EEENS1_30default_config_static_selectorELNS0_4arch9wavefront6targetE0EEEvT1_, .Lfunc_end1545-_ZN7rocprim17ROCPRIM_400000_NS6detail17trampoline_kernelINS0_14default_configENS1_27scan_by_key_config_selectorIitEEZZNS1_16scan_by_key_implILNS1_25lookback_scan_determinismE0ELb1ES3_N6thrust23THRUST_200600_302600_NS6detail15normal_iteratorINS9_10device_ptrIiEEEENSB_INSC_ItEEEESG_tNS9_4plusIvEENS9_8equal_toIvEEtEE10hipError_tPvRmT2_T3_T4_T5_mT6_T7_P12ihipStream_tbENKUlT_T0_E_clISt17integral_constantIbLb1EES11_EEDaSW_SX_EUlSW_E_NS1_11comp_targetILNS1_3genE10ELNS1_11target_archE1201ELNS1_3gpuE5ELNS1_3repE0EEENS1_30default_config_static_selectorELNS0_4arch9wavefront6targetE0EEEvT1_
                                        ; -- End function
	.set _ZN7rocprim17ROCPRIM_400000_NS6detail17trampoline_kernelINS0_14default_configENS1_27scan_by_key_config_selectorIitEEZZNS1_16scan_by_key_implILNS1_25lookback_scan_determinismE0ELb1ES3_N6thrust23THRUST_200600_302600_NS6detail15normal_iteratorINS9_10device_ptrIiEEEENSB_INSC_ItEEEESG_tNS9_4plusIvEENS9_8equal_toIvEEtEE10hipError_tPvRmT2_T3_T4_T5_mT6_T7_P12ihipStream_tbENKUlT_T0_E_clISt17integral_constantIbLb1EES11_EEDaSW_SX_EUlSW_E_NS1_11comp_targetILNS1_3genE10ELNS1_11target_archE1201ELNS1_3gpuE5ELNS1_3repE0EEENS1_30default_config_static_selectorELNS0_4arch9wavefront6targetE0EEEvT1_.num_vgpr, 0
	.set _ZN7rocprim17ROCPRIM_400000_NS6detail17trampoline_kernelINS0_14default_configENS1_27scan_by_key_config_selectorIitEEZZNS1_16scan_by_key_implILNS1_25lookback_scan_determinismE0ELb1ES3_N6thrust23THRUST_200600_302600_NS6detail15normal_iteratorINS9_10device_ptrIiEEEENSB_INSC_ItEEEESG_tNS9_4plusIvEENS9_8equal_toIvEEtEE10hipError_tPvRmT2_T3_T4_T5_mT6_T7_P12ihipStream_tbENKUlT_T0_E_clISt17integral_constantIbLb1EES11_EEDaSW_SX_EUlSW_E_NS1_11comp_targetILNS1_3genE10ELNS1_11target_archE1201ELNS1_3gpuE5ELNS1_3repE0EEENS1_30default_config_static_selectorELNS0_4arch9wavefront6targetE0EEEvT1_.num_agpr, 0
	.set _ZN7rocprim17ROCPRIM_400000_NS6detail17trampoline_kernelINS0_14default_configENS1_27scan_by_key_config_selectorIitEEZZNS1_16scan_by_key_implILNS1_25lookback_scan_determinismE0ELb1ES3_N6thrust23THRUST_200600_302600_NS6detail15normal_iteratorINS9_10device_ptrIiEEEENSB_INSC_ItEEEESG_tNS9_4plusIvEENS9_8equal_toIvEEtEE10hipError_tPvRmT2_T3_T4_T5_mT6_T7_P12ihipStream_tbENKUlT_T0_E_clISt17integral_constantIbLb1EES11_EEDaSW_SX_EUlSW_E_NS1_11comp_targetILNS1_3genE10ELNS1_11target_archE1201ELNS1_3gpuE5ELNS1_3repE0EEENS1_30default_config_static_selectorELNS0_4arch9wavefront6targetE0EEEvT1_.numbered_sgpr, 0
	.set _ZN7rocprim17ROCPRIM_400000_NS6detail17trampoline_kernelINS0_14default_configENS1_27scan_by_key_config_selectorIitEEZZNS1_16scan_by_key_implILNS1_25lookback_scan_determinismE0ELb1ES3_N6thrust23THRUST_200600_302600_NS6detail15normal_iteratorINS9_10device_ptrIiEEEENSB_INSC_ItEEEESG_tNS9_4plusIvEENS9_8equal_toIvEEtEE10hipError_tPvRmT2_T3_T4_T5_mT6_T7_P12ihipStream_tbENKUlT_T0_E_clISt17integral_constantIbLb1EES11_EEDaSW_SX_EUlSW_E_NS1_11comp_targetILNS1_3genE10ELNS1_11target_archE1201ELNS1_3gpuE5ELNS1_3repE0EEENS1_30default_config_static_selectorELNS0_4arch9wavefront6targetE0EEEvT1_.num_named_barrier, 0
	.set _ZN7rocprim17ROCPRIM_400000_NS6detail17trampoline_kernelINS0_14default_configENS1_27scan_by_key_config_selectorIitEEZZNS1_16scan_by_key_implILNS1_25lookback_scan_determinismE0ELb1ES3_N6thrust23THRUST_200600_302600_NS6detail15normal_iteratorINS9_10device_ptrIiEEEENSB_INSC_ItEEEESG_tNS9_4plusIvEENS9_8equal_toIvEEtEE10hipError_tPvRmT2_T3_T4_T5_mT6_T7_P12ihipStream_tbENKUlT_T0_E_clISt17integral_constantIbLb1EES11_EEDaSW_SX_EUlSW_E_NS1_11comp_targetILNS1_3genE10ELNS1_11target_archE1201ELNS1_3gpuE5ELNS1_3repE0EEENS1_30default_config_static_selectorELNS0_4arch9wavefront6targetE0EEEvT1_.private_seg_size, 0
	.set _ZN7rocprim17ROCPRIM_400000_NS6detail17trampoline_kernelINS0_14default_configENS1_27scan_by_key_config_selectorIitEEZZNS1_16scan_by_key_implILNS1_25lookback_scan_determinismE0ELb1ES3_N6thrust23THRUST_200600_302600_NS6detail15normal_iteratorINS9_10device_ptrIiEEEENSB_INSC_ItEEEESG_tNS9_4plusIvEENS9_8equal_toIvEEtEE10hipError_tPvRmT2_T3_T4_T5_mT6_T7_P12ihipStream_tbENKUlT_T0_E_clISt17integral_constantIbLb1EES11_EEDaSW_SX_EUlSW_E_NS1_11comp_targetILNS1_3genE10ELNS1_11target_archE1201ELNS1_3gpuE5ELNS1_3repE0EEENS1_30default_config_static_selectorELNS0_4arch9wavefront6targetE0EEEvT1_.uses_vcc, 0
	.set _ZN7rocprim17ROCPRIM_400000_NS6detail17trampoline_kernelINS0_14default_configENS1_27scan_by_key_config_selectorIitEEZZNS1_16scan_by_key_implILNS1_25lookback_scan_determinismE0ELb1ES3_N6thrust23THRUST_200600_302600_NS6detail15normal_iteratorINS9_10device_ptrIiEEEENSB_INSC_ItEEEESG_tNS9_4plusIvEENS9_8equal_toIvEEtEE10hipError_tPvRmT2_T3_T4_T5_mT6_T7_P12ihipStream_tbENKUlT_T0_E_clISt17integral_constantIbLb1EES11_EEDaSW_SX_EUlSW_E_NS1_11comp_targetILNS1_3genE10ELNS1_11target_archE1201ELNS1_3gpuE5ELNS1_3repE0EEENS1_30default_config_static_selectorELNS0_4arch9wavefront6targetE0EEEvT1_.uses_flat_scratch, 0
	.set _ZN7rocprim17ROCPRIM_400000_NS6detail17trampoline_kernelINS0_14default_configENS1_27scan_by_key_config_selectorIitEEZZNS1_16scan_by_key_implILNS1_25lookback_scan_determinismE0ELb1ES3_N6thrust23THRUST_200600_302600_NS6detail15normal_iteratorINS9_10device_ptrIiEEEENSB_INSC_ItEEEESG_tNS9_4plusIvEENS9_8equal_toIvEEtEE10hipError_tPvRmT2_T3_T4_T5_mT6_T7_P12ihipStream_tbENKUlT_T0_E_clISt17integral_constantIbLb1EES11_EEDaSW_SX_EUlSW_E_NS1_11comp_targetILNS1_3genE10ELNS1_11target_archE1201ELNS1_3gpuE5ELNS1_3repE0EEENS1_30default_config_static_selectorELNS0_4arch9wavefront6targetE0EEEvT1_.has_dyn_sized_stack, 0
	.set _ZN7rocprim17ROCPRIM_400000_NS6detail17trampoline_kernelINS0_14default_configENS1_27scan_by_key_config_selectorIitEEZZNS1_16scan_by_key_implILNS1_25lookback_scan_determinismE0ELb1ES3_N6thrust23THRUST_200600_302600_NS6detail15normal_iteratorINS9_10device_ptrIiEEEENSB_INSC_ItEEEESG_tNS9_4plusIvEENS9_8equal_toIvEEtEE10hipError_tPvRmT2_T3_T4_T5_mT6_T7_P12ihipStream_tbENKUlT_T0_E_clISt17integral_constantIbLb1EES11_EEDaSW_SX_EUlSW_E_NS1_11comp_targetILNS1_3genE10ELNS1_11target_archE1201ELNS1_3gpuE5ELNS1_3repE0EEENS1_30default_config_static_selectorELNS0_4arch9wavefront6targetE0EEEvT1_.has_recursion, 0
	.set _ZN7rocprim17ROCPRIM_400000_NS6detail17trampoline_kernelINS0_14default_configENS1_27scan_by_key_config_selectorIitEEZZNS1_16scan_by_key_implILNS1_25lookback_scan_determinismE0ELb1ES3_N6thrust23THRUST_200600_302600_NS6detail15normal_iteratorINS9_10device_ptrIiEEEENSB_INSC_ItEEEESG_tNS9_4plusIvEENS9_8equal_toIvEEtEE10hipError_tPvRmT2_T3_T4_T5_mT6_T7_P12ihipStream_tbENKUlT_T0_E_clISt17integral_constantIbLb1EES11_EEDaSW_SX_EUlSW_E_NS1_11comp_targetILNS1_3genE10ELNS1_11target_archE1201ELNS1_3gpuE5ELNS1_3repE0EEENS1_30default_config_static_selectorELNS0_4arch9wavefront6targetE0EEEvT1_.has_indirect_call, 0
	.section	.AMDGPU.csdata,"",@progbits
; Kernel info:
; codeLenInByte = 0
; TotalNumSgprs: 0
; NumVgprs: 0
; ScratchSize: 0
; MemoryBound: 0
; FloatMode: 240
; IeeeMode: 1
; LDSByteSize: 0 bytes/workgroup (compile time only)
; SGPRBlocks: 0
; VGPRBlocks: 0
; NumSGPRsForWavesPerEU: 1
; NumVGPRsForWavesPerEU: 1
; NamedBarCnt: 0
; Occupancy: 16
; WaveLimiterHint : 0
; COMPUTE_PGM_RSRC2:SCRATCH_EN: 0
; COMPUTE_PGM_RSRC2:USER_SGPR: 2
; COMPUTE_PGM_RSRC2:TRAP_HANDLER: 0
; COMPUTE_PGM_RSRC2:TGID_X_EN: 1
; COMPUTE_PGM_RSRC2:TGID_Y_EN: 0
; COMPUTE_PGM_RSRC2:TGID_Z_EN: 0
; COMPUTE_PGM_RSRC2:TIDIG_COMP_CNT: 0
	.section	.text._ZN7rocprim17ROCPRIM_400000_NS6detail17trampoline_kernelINS0_14default_configENS1_27scan_by_key_config_selectorIitEEZZNS1_16scan_by_key_implILNS1_25lookback_scan_determinismE0ELb1ES3_N6thrust23THRUST_200600_302600_NS6detail15normal_iteratorINS9_10device_ptrIiEEEENSB_INSC_ItEEEESG_tNS9_4plusIvEENS9_8equal_toIvEEtEE10hipError_tPvRmT2_T3_T4_T5_mT6_T7_P12ihipStream_tbENKUlT_T0_E_clISt17integral_constantIbLb1EES11_EEDaSW_SX_EUlSW_E_NS1_11comp_targetILNS1_3genE5ELNS1_11target_archE942ELNS1_3gpuE9ELNS1_3repE0EEENS1_30default_config_static_selectorELNS0_4arch9wavefront6targetE0EEEvT1_,"axG",@progbits,_ZN7rocprim17ROCPRIM_400000_NS6detail17trampoline_kernelINS0_14default_configENS1_27scan_by_key_config_selectorIitEEZZNS1_16scan_by_key_implILNS1_25lookback_scan_determinismE0ELb1ES3_N6thrust23THRUST_200600_302600_NS6detail15normal_iteratorINS9_10device_ptrIiEEEENSB_INSC_ItEEEESG_tNS9_4plusIvEENS9_8equal_toIvEEtEE10hipError_tPvRmT2_T3_T4_T5_mT6_T7_P12ihipStream_tbENKUlT_T0_E_clISt17integral_constantIbLb1EES11_EEDaSW_SX_EUlSW_E_NS1_11comp_targetILNS1_3genE5ELNS1_11target_archE942ELNS1_3gpuE9ELNS1_3repE0EEENS1_30default_config_static_selectorELNS0_4arch9wavefront6targetE0EEEvT1_,comdat
	.protected	_ZN7rocprim17ROCPRIM_400000_NS6detail17trampoline_kernelINS0_14default_configENS1_27scan_by_key_config_selectorIitEEZZNS1_16scan_by_key_implILNS1_25lookback_scan_determinismE0ELb1ES3_N6thrust23THRUST_200600_302600_NS6detail15normal_iteratorINS9_10device_ptrIiEEEENSB_INSC_ItEEEESG_tNS9_4plusIvEENS9_8equal_toIvEEtEE10hipError_tPvRmT2_T3_T4_T5_mT6_T7_P12ihipStream_tbENKUlT_T0_E_clISt17integral_constantIbLb1EES11_EEDaSW_SX_EUlSW_E_NS1_11comp_targetILNS1_3genE5ELNS1_11target_archE942ELNS1_3gpuE9ELNS1_3repE0EEENS1_30default_config_static_selectorELNS0_4arch9wavefront6targetE0EEEvT1_ ; -- Begin function _ZN7rocprim17ROCPRIM_400000_NS6detail17trampoline_kernelINS0_14default_configENS1_27scan_by_key_config_selectorIitEEZZNS1_16scan_by_key_implILNS1_25lookback_scan_determinismE0ELb1ES3_N6thrust23THRUST_200600_302600_NS6detail15normal_iteratorINS9_10device_ptrIiEEEENSB_INSC_ItEEEESG_tNS9_4plusIvEENS9_8equal_toIvEEtEE10hipError_tPvRmT2_T3_T4_T5_mT6_T7_P12ihipStream_tbENKUlT_T0_E_clISt17integral_constantIbLb1EES11_EEDaSW_SX_EUlSW_E_NS1_11comp_targetILNS1_3genE5ELNS1_11target_archE942ELNS1_3gpuE9ELNS1_3repE0EEENS1_30default_config_static_selectorELNS0_4arch9wavefront6targetE0EEEvT1_
	.globl	_ZN7rocprim17ROCPRIM_400000_NS6detail17trampoline_kernelINS0_14default_configENS1_27scan_by_key_config_selectorIitEEZZNS1_16scan_by_key_implILNS1_25lookback_scan_determinismE0ELb1ES3_N6thrust23THRUST_200600_302600_NS6detail15normal_iteratorINS9_10device_ptrIiEEEENSB_INSC_ItEEEESG_tNS9_4plusIvEENS9_8equal_toIvEEtEE10hipError_tPvRmT2_T3_T4_T5_mT6_T7_P12ihipStream_tbENKUlT_T0_E_clISt17integral_constantIbLb1EES11_EEDaSW_SX_EUlSW_E_NS1_11comp_targetILNS1_3genE5ELNS1_11target_archE942ELNS1_3gpuE9ELNS1_3repE0EEENS1_30default_config_static_selectorELNS0_4arch9wavefront6targetE0EEEvT1_
	.p2align	8
	.type	_ZN7rocprim17ROCPRIM_400000_NS6detail17trampoline_kernelINS0_14default_configENS1_27scan_by_key_config_selectorIitEEZZNS1_16scan_by_key_implILNS1_25lookback_scan_determinismE0ELb1ES3_N6thrust23THRUST_200600_302600_NS6detail15normal_iteratorINS9_10device_ptrIiEEEENSB_INSC_ItEEEESG_tNS9_4plusIvEENS9_8equal_toIvEEtEE10hipError_tPvRmT2_T3_T4_T5_mT6_T7_P12ihipStream_tbENKUlT_T0_E_clISt17integral_constantIbLb1EES11_EEDaSW_SX_EUlSW_E_NS1_11comp_targetILNS1_3genE5ELNS1_11target_archE942ELNS1_3gpuE9ELNS1_3repE0EEENS1_30default_config_static_selectorELNS0_4arch9wavefront6targetE0EEEvT1_,@function
_ZN7rocprim17ROCPRIM_400000_NS6detail17trampoline_kernelINS0_14default_configENS1_27scan_by_key_config_selectorIitEEZZNS1_16scan_by_key_implILNS1_25lookback_scan_determinismE0ELb1ES3_N6thrust23THRUST_200600_302600_NS6detail15normal_iteratorINS9_10device_ptrIiEEEENSB_INSC_ItEEEESG_tNS9_4plusIvEENS9_8equal_toIvEEtEE10hipError_tPvRmT2_T3_T4_T5_mT6_T7_P12ihipStream_tbENKUlT_T0_E_clISt17integral_constantIbLb1EES11_EEDaSW_SX_EUlSW_E_NS1_11comp_targetILNS1_3genE5ELNS1_11target_archE942ELNS1_3gpuE9ELNS1_3repE0EEENS1_30default_config_static_selectorELNS0_4arch9wavefront6targetE0EEEvT1_: ; @_ZN7rocprim17ROCPRIM_400000_NS6detail17trampoline_kernelINS0_14default_configENS1_27scan_by_key_config_selectorIitEEZZNS1_16scan_by_key_implILNS1_25lookback_scan_determinismE0ELb1ES3_N6thrust23THRUST_200600_302600_NS6detail15normal_iteratorINS9_10device_ptrIiEEEENSB_INSC_ItEEEESG_tNS9_4plusIvEENS9_8equal_toIvEEtEE10hipError_tPvRmT2_T3_T4_T5_mT6_T7_P12ihipStream_tbENKUlT_T0_E_clISt17integral_constantIbLb1EES11_EEDaSW_SX_EUlSW_E_NS1_11comp_targetILNS1_3genE5ELNS1_11target_archE942ELNS1_3gpuE9ELNS1_3repE0EEENS1_30default_config_static_selectorELNS0_4arch9wavefront6targetE0EEEvT1_
; %bb.0:
	.section	.rodata,"a",@progbits
	.p2align	6, 0x0
	.amdhsa_kernel _ZN7rocprim17ROCPRIM_400000_NS6detail17trampoline_kernelINS0_14default_configENS1_27scan_by_key_config_selectorIitEEZZNS1_16scan_by_key_implILNS1_25lookback_scan_determinismE0ELb1ES3_N6thrust23THRUST_200600_302600_NS6detail15normal_iteratorINS9_10device_ptrIiEEEENSB_INSC_ItEEEESG_tNS9_4plusIvEENS9_8equal_toIvEEtEE10hipError_tPvRmT2_T3_T4_T5_mT6_T7_P12ihipStream_tbENKUlT_T0_E_clISt17integral_constantIbLb1EES11_EEDaSW_SX_EUlSW_E_NS1_11comp_targetILNS1_3genE5ELNS1_11target_archE942ELNS1_3gpuE9ELNS1_3repE0EEENS1_30default_config_static_selectorELNS0_4arch9wavefront6targetE0EEEvT1_
		.amdhsa_group_segment_fixed_size 0
		.amdhsa_private_segment_fixed_size 0
		.amdhsa_kernarg_size 112
		.amdhsa_user_sgpr_count 2
		.amdhsa_user_sgpr_dispatch_ptr 0
		.amdhsa_user_sgpr_queue_ptr 0
		.amdhsa_user_sgpr_kernarg_segment_ptr 1
		.amdhsa_user_sgpr_dispatch_id 0
		.amdhsa_user_sgpr_kernarg_preload_length 0
		.amdhsa_user_sgpr_kernarg_preload_offset 0
		.amdhsa_user_sgpr_private_segment_size 0
		.amdhsa_wavefront_size32 1
		.amdhsa_uses_dynamic_stack 0
		.amdhsa_enable_private_segment 0
		.amdhsa_system_sgpr_workgroup_id_x 1
		.amdhsa_system_sgpr_workgroup_id_y 0
		.amdhsa_system_sgpr_workgroup_id_z 0
		.amdhsa_system_sgpr_workgroup_info 0
		.amdhsa_system_vgpr_workitem_id 0
		.amdhsa_next_free_vgpr 1
		.amdhsa_next_free_sgpr 1
		.amdhsa_named_barrier_count 0
		.amdhsa_reserve_vcc 0
		.amdhsa_float_round_mode_32 0
		.amdhsa_float_round_mode_16_64 0
		.amdhsa_float_denorm_mode_32 3
		.amdhsa_float_denorm_mode_16_64 3
		.amdhsa_fp16_overflow 0
		.amdhsa_memory_ordered 1
		.amdhsa_forward_progress 1
		.amdhsa_inst_pref_size 0
		.amdhsa_round_robin_scheduling 0
		.amdhsa_exception_fp_ieee_invalid_op 0
		.amdhsa_exception_fp_denorm_src 0
		.amdhsa_exception_fp_ieee_div_zero 0
		.amdhsa_exception_fp_ieee_overflow 0
		.amdhsa_exception_fp_ieee_underflow 0
		.amdhsa_exception_fp_ieee_inexact 0
		.amdhsa_exception_int_div_zero 0
	.end_amdhsa_kernel
	.section	.text._ZN7rocprim17ROCPRIM_400000_NS6detail17trampoline_kernelINS0_14default_configENS1_27scan_by_key_config_selectorIitEEZZNS1_16scan_by_key_implILNS1_25lookback_scan_determinismE0ELb1ES3_N6thrust23THRUST_200600_302600_NS6detail15normal_iteratorINS9_10device_ptrIiEEEENSB_INSC_ItEEEESG_tNS9_4plusIvEENS9_8equal_toIvEEtEE10hipError_tPvRmT2_T3_T4_T5_mT6_T7_P12ihipStream_tbENKUlT_T0_E_clISt17integral_constantIbLb1EES11_EEDaSW_SX_EUlSW_E_NS1_11comp_targetILNS1_3genE5ELNS1_11target_archE942ELNS1_3gpuE9ELNS1_3repE0EEENS1_30default_config_static_selectorELNS0_4arch9wavefront6targetE0EEEvT1_,"axG",@progbits,_ZN7rocprim17ROCPRIM_400000_NS6detail17trampoline_kernelINS0_14default_configENS1_27scan_by_key_config_selectorIitEEZZNS1_16scan_by_key_implILNS1_25lookback_scan_determinismE0ELb1ES3_N6thrust23THRUST_200600_302600_NS6detail15normal_iteratorINS9_10device_ptrIiEEEENSB_INSC_ItEEEESG_tNS9_4plusIvEENS9_8equal_toIvEEtEE10hipError_tPvRmT2_T3_T4_T5_mT6_T7_P12ihipStream_tbENKUlT_T0_E_clISt17integral_constantIbLb1EES11_EEDaSW_SX_EUlSW_E_NS1_11comp_targetILNS1_3genE5ELNS1_11target_archE942ELNS1_3gpuE9ELNS1_3repE0EEENS1_30default_config_static_selectorELNS0_4arch9wavefront6targetE0EEEvT1_,comdat
.Lfunc_end1546:
	.size	_ZN7rocprim17ROCPRIM_400000_NS6detail17trampoline_kernelINS0_14default_configENS1_27scan_by_key_config_selectorIitEEZZNS1_16scan_by_key_implILNS1_25lookback_scan_determinismE0ELb1ES3_N6thrust23THRUST_200600_302600_NS6detail15normal_iteratorINS9_10device_ptrIiEEEENSB_INSC_ItEEEESG_tNS9_4plusIvEENS9_8equal_toIvEEtEE10hipError_tPvRmT2_T3_T4_T5_mT6_T7_P12ihipStream_tbENKUlT_T0_E_clISt17integral_constantIbLb1EES11_EEDaSW_SX_EUlSW_E_NS1_11comp_targetILNS1_3genE5ELNS1_11target_archE942ELNS1_3gpuE9ELNS1_3repE0EEENS1_30default_config_static_selectorELNS0_4arch9wavefront6targetE0EEEvT1_, .Lfunc_end1546-_ZN7rocprim17ROCPRIM_400000_NS6detail17trampoline_kernelINS0_14default_configENS1_27scan_by_key_config_selectorIitEEZZNS1_16scan_by_key_implILNS1_25lookback_scan_determinismE0ELb1ES3_N6thrust23THRUST_200600_302600_NS6detail15normal_iteratorINS9_10device_ptrIiEEEENSB_INSC_ItEEEESG_tNS9_4plusIvEENS9_8equal_toIvEEtEE10hipError_tPvRmT2_T3_T4_T5_mT6_T7_P12ihipStream_tbENKUlT_T0_E_clISt17integral_constantIbLb1EES11_EEDaSW_SX_EUlSW_E_NS1_11comp_targetILNS1_3genE5ELNS1_11target_archE942ELNS1_3gpuE9ELNS1_3repE0EEENS1_30default_config_static_selectorELNS0_4arch9wavefront6targetE0EEEvT1_
                                        ; -- End function
	.set _ZN7rocprim17ROCPRIM_400000_NS6detail17trampoline_kernelINS0_14default_configENS1_27scan_by_key_config_selectorIitEEZZNS1_16scan_by_key_implILNS1_25lookback_scan_determinismE0ELb1ES3_N6thrust23THRUST_200600_302600_NS6detail15normal_iteratorINS9_10device_ptrIiEEEENSB_INSC_ItEEEESG_tNS9_4plusIvEENS9_8equal_toIvEEtEE10hipError_tPvRmT2_T3_T4_T5_mT6_T7_P12ihipStream_tbENKUlT_T0_E_clISt17integral_constantIbLb1EES11_EEDaSW_SX_EUlSW_E_NS1_11comp_targetILNS1_3genE5ELNS1_11target_archE942ELNS1_3gpuE9ELNS1_3repE0EEENS1_30default_config_static_selectorELNS0_4arch9wavefront6targetE0EEEvT1_.num_vgpr, 0
	.set _ZN7rocprim17ROCPRIM_400000_NS6detail17trampoline_kernelINS0_14default_configENS1_27scan_by_key_config_selectorIitEEZZNS1_16scan_by_key_implILNS1_25lookback_scan_determinismE0ELb1ES3_N6thrust23THRUST_200600_302600_NS6detail15normal_iteratorINS9_10device_ptrIiEEEENSB_INSC_ItEEEESG_tNS9_4plusIvEENS9_8equal_toIvEEtEE10hipError_tPvRmT2_T3_T4_T5_mT6_T7_P12ihipStream_tbENKUlT_T0_E_clISt17integral_constantIbLb1EES11_EEDaSW_SX_EUlSW_E_NS1_11comp_targetILNS1_3genE5ELNS1_11target_archE942ELNS1_3gpuE9ELNS1_3repE0EEENS1_30default_config_static_selectorELNS0_4arch9wavefront6targetE0EEEvT1_.num_agpr, 0
	.set _ZN7rocprim17ROCPRIM_400000_NS6detail17trampoline_kernelINS0_14default_configENS1_27scan_by_key_config_selectorIitEEZZNS1_16scan_by_key_implILNS1_25lookback_scan_determinismE0ELb1ES3_N6thrust23THRUST_200600_302600_NS6detail15normal_iteratorINS9_10device_ptrIiEEEENSB_INSC_ItEEEESG_tNS9_4plusIvEENS9_8equal_toIvEEtEE10hipError_tPvRmT2_T3_T4_T5_mT6_T7_P12ihipStream_tbENKUlT_T0_E_clISt17integral_constantIbLb1EES11_EEDaSW_SX_EUlSW_E_NS1_11comp_targetILNS1_3genE5ELNS1_11target_archE942ELNS1_3gpuE9ELNS1_3repE0EEENS1_30default_config_static_selectorELNS0_4arch9wavefront6targetE0EEEvT1_.numbered_sgpr, 0
	.set _ZN7rocprim17ROCPRIM_400000_NS6detail17trampoline_kernelINS0_14default_configENS1_27scan_by_key_config_selectorIitEEZZNS1_16scan_by_key_implILNS1_25lookback_scan_determinismE0ELb1ES3_N6thrust23THRUST_200600_302600_NS6detail15normal_iteratorINS9_10device_ptrIiEEEENSB_INSC_ItEEEESG_tNS9_4plusIvEENS9_8equal_toIvEEtEE10hipError_tPvRmT2_T3_T4_T5_mT6_T7_P12ihipStream_tbENKUlT_T0_E_clISt17integral_constantIbLb1EES11_EEDaSW_SX_EUlSW_E_NS1_11comp_targetILNS1_3genE5ELNS1_11target_archE942ELNS1_3gpuE9ELNS1_3repE0EEENS1_30default_config_static_selectorELNS0_4arch9wavefront6targetE0EEEvT1_.num_named_barrier, 0
	.set _ZN7rocprim17ROCPRIM_400000_NS6detail17trampoline_kernelINS0_14default_configENS1_27scan_by_key_config_selectorIitEEZZNS1_16scan_by_key_implILNS1_25lookback_scan_determinismE0ELb1ES3_N6thrust23THRUST_200600_302600_NS6detail15normal_iteratorINS9_10device_ptrIiEEEENSB_INSC_ItEEEESG_tNS9_4plusIvEENS9_8equal_toIvEEtEE10hipError_tPvRmT2_T3_T4_T5_mT6_T7_P12ihipStream_tbENKUlT_T0_E_clISt17integral_constantIbLb1EES11_EEDaSW_SX_EUlSW_E_NS1_11comp_targetILNS1_3genE5ELNS1_11target_archE942ELNS1_3gpuE9ELNS1_3repE0EEENS1_30default_config_static_selectorELNS0_4arch9wavefront6targetE0EEEvT1_.private_seg_size, 0
	.set _ZN7rocprim17ROCPRIM_400000_NS6detail17trampoline_kernelINS0_14default_configENS1_27scan_by_key_config_selectorIitEEZZNS1_16scan_by_key_implILNS1_25lookback_scan_determinismE0ELb1ES3_N6thrust23THRUST_200600_302600_NS6detail15normal_iteratorINS9_10device_ptrIiEEEENSB_INSC_ItEEEESG_tNS9_4plusIvEENS9_8equal_toIvEEtEE10hipError_tPvRmT2_T3_T4_T5_mT6_T7_P12ihipStream_tbENKUlT_T0_E_clISt17integral_constantIbLb1EES11_EEDaSW_SX_EUlSW_E_NS1_11comp_targetILNS1_3genE5ELNS1_11target_archE942ELNS1_3gpuE9ELNS1_3repE0EEENS1_30default_config_static_selectorELNS0_4arch9wavefront6targetE0EEEvT1_.uses_vcc, 0
	.set _ZN7rocprim17ROCPRIM_400000_NS6detail17trampoline_kernelINS0_14default_configENS1_27scan_by_key_config_selectorIitEEZZNS1_16scan_by_key_implILNS1_25lookback_scan_determinismE0ELb1ES3_N6thrust23THRUST_200600_302600_NS6detail15normal_iteratorINS9_10device_ptrIiEEEENSB_INSC_ItEEEESG_tNS9_4plusIvEENS9_8equal_toIvEEtEE10hipError_tPvRmT2_T3_T4_T5_mT6_T7_P12ihipStream_tbENKUlT_T0_E_clISt17integral_constantIbLb1EES11_EEDaSW_SX_EUlSW_E_NS1_11comp_targetILNS1_3genE5ELNS1_11target_archE942ELNS1_3gpuE9ELNS1_3repE0EEENS1_30default_config_static_selectorELNS0_4arch9wavefront6targetE0EEEvT1_.uses_flat_scratch, 0
	.set _ZN7rocprim17ROCPRIM_400000_NS6detail17trampoline_kernelINS0_14default_configENS1_27scan_by_key_config_selectorIitEEZZNS1_16scan_by_key_implILNS1_25lookback_scan_determinismE0ELb1ES3_N6thrust23THRUST_200600_302600_NS6detail15normal_iteratorINS9_10device_ptrIiEEEENSB_INSC_ItEEEESG_tNS9_4plusIvEENS9_8equal_toIvEEtEE10hipError_tPvRmT2_T3_T4_T5_mT6_T7_P12ihipStream_tbENKUlT_T0_E_clISt17integral_constantIbLb1EES11_EEDaSW_SX_EUlSW_E_NS1_11comp_targetILNS1_3genE5ELNS1_11target_archE942ELNS1_3gpuE9ELNS1_3repE0EEENS1_30default_config_static_selectorELNS0_4arch9wavefront6targetE0EEEvT1_.has_dyn_sized_stack, 0
	.set _ZN7rocprim17ROCPRIM_400000_NS6detail17trampoline_kernelINS0_14default_configENS1_27scan_by_key_config_selectorIitEEZZNS1_16scan_by_key_implILNS1_25lookback_scan_determinismE0ELb1ES3_N6thrust23THRUST_200600_302600_NS6detail15normal_iteratorINS9_10device_ptrIiEEEENSB_INSC_ItEEEESG_tNS9_4plusIvEENS9_8equal_toIvEEtEE10hipError_tPvRmT2_T3_T4_T5_mT6_T7_P12ihipStream_tbENKUlT_T0_E_clISt17integral_constantIbLb1EES11_EEDaSW_SX_EUlSW_E_NS1_11comp_targetILNS1_3genE5ELNS1_11target_archE942ELNS1_3gpuE9ELNS1_3repE0EEENS1_30default_config_static_selectorELNS0_4arch9wavefront6targetE0EEEvT1_.has_recursion, 0
	.set _ZN7rocprim17ROCPRIM_400000_NS6detail17trampoline_kernelINS0_14default_configENS1_27scan_by_key_config_selectorIitEEZZNS1_16scan_by_key_implILNS1_25lookback_scan_determinismE0ELb1ES3_N6thrust23THRUST_200600_302600_NS6detail15normal_iteratorINS9_10device_ptrIiEEEENSB_INSC_ItEEEESG_tNS9_4plusIvEENS9_8equal_toIvEEtEE10hipError_tPvRmT2_T3_T4_T5_mT6_T7_P12ihipStream_tbENKUlT_T0_E_clISt17integral_constantIbLb1EES11_EEDaSW_SX_EUlSW_E_NS1_11comp_targetILNS1_3genE5ELNS1_11target_archE942ELNS1_3gpuE9ELNS1_3repE0EEENS1_30default_config_static_selectorELNS0_4arch9wavefront6targetE0EEEvT1_.has_indirect_call, 0
	.section	.AMDGPU.csdata,"",@progbits
; Kernel info:
; codeLenInByte = 0
; TotalNumSgprs: 0
; NumVgprs: 0
; ScratchSize: 0
; MemoryBound: 0
; FloatMode: 240
; IeeeMode: 1
; LDSByteSize: 0 bytes/workgroup (compile time only)
; SGPRBlocks: 0
; VGPRBlocks: 0
; NumSGPRsForWavesPerEU: 1
; NumVGPRsForWavesPerEU: 1
; NamedBarCnt: 0
; Occupancy: 16
; WaveLimiterHint : 0
; COMPUTE_PGM_RSRC2:SCRATCH_EN: 0
; COMPUTE_PGM_RSRC2:USER_SGPR: 2
; COMPUTE_PGM_RSRC2:TRAP_HANDLER: 0
; COMPUTE_PGM_RSRC2:TGID_X_EN: 1
; COMPUTE_PGM_RSRC2:TGID_Y_EN: 0
; COMPUTE_PGM_RSRC2:TGID_Z_EN: 0
; COMPUTE_PGM_RSRC2:TIDIG_COMP_CNT: 0
	.section	.text._ZN7rocprim17ROCPRIM_400000_NS6detail17trampoline_kernelINS0_14default_configENS1_27scan_by_key_config_selectorIitEEZZNS1_16scan_by_key_implILNS1_25lookback_scan_determinismE0ELb1ES3_N6thrust23THRUST_200600_302600_NS6detail15normal_iteratorINS9_10device_ptrIiEEEENSB_INSC_ItEEEESG_tNS9_4plusIvEENS9_8equal_toIvEEtEE10hipError_tPvRmT2_T3_T4_T5_mT6_T7_P12ihipStream_tbENKUlT_T0_E_clISt17integral_constantIbLb1EES11_EEDaSW_SX_EUlSW_E_NS1_11comp_targetILNS1_3genE4ELNS1_11target_archE910ELNS1_3gpuE8ELNS1_3repE0EEENS1_30default_config_static_selectorELNS0_4arch9wavefront6targetE0EEEvT1_,"axG",@progbits,_ZN7rocprim17ROCPRIM_400000_NS6detail17trampoline_kernelINS0_14default_configENS1_27scan_by_key_config_selectorIitEEZZNS1_16scan_by_key_implILNS1_25lookback_scan_determinismE0ELb1ES3_N6thrust23THRUST_200600_302600_NS6detail15normal_iteratorINS9_10device_ptrIiEEEENSB_INSC_ItEEEESG_tNS9_4plusIvEENS9_8equal_toIvEEtEE10hipError_tPvRmT2_T3_T4_T5_mT6_T7_P12ihipStream_tbENKUlT_T0_E_clISt17integral_constantIbLb1EES11_EEDaSW_SX_EUlSW_E_NS1_11comp_targetILNS1_3genE4ELNS1_11target_archE910ELNS1_3gpuE8ELNS1_3repE0EEENS1_30default_config_static_selectorELNS0_4arch9wavefront6targetE0EEEvT1_,comdat
	.protected	_ZN7rocprim17ROCPRIM_400000_NS6detail17trampoline_kernelINS0_14default_configENS1_27scan_by_key_config_selectorIitEEZZNS1_16scan_by_key_implILNS1_25lookback_scan_determinismE0ELb1ES3_N6thrust23THRUST_200600_302600_NS6detail15normal_iteratorINS9_10device_ptrIiEEEENSB_INSC_ItEEEESG_tNS9_4plusIvEENS9_8equal_toIvEEtEE10hipError_tPvRmT2_T3_T4_T5_mT6_T7_P12ihipStream_tbENKUlT_T0_E_clISt17integral_constantIbLb1EES11_EEDaSW_SX_EUlSW_E_NS1_11comp_targetILNS1_3genE4ELNS1_11target_archE910ELNS1_3gpuE8ELNS1_3repE0EEENS1_30default_config_static_selectorELNS0_4arch9wavefront6targetE0EEEvT1_ ; -- Begin function _ZN7rocprim17ROCPRIM_400000_NS6detail17trampoline_kernelINS0_14default_configENS1_27scan_by_key_config_selectorIitEEZZNS1_16scan_by_key_implILNS1_25lookback_scan_determinismE0ELb1ES3_N6thrust23THRUST_200600_302600_NS6detail15normal_iteratorINS9_10device_ptrIiEEEENSB_INSC_ItEEEESG_tNS9_4plusIvEENS9_8equal_toIvEEtEE10hipError_tPvRmT2_T3_T4_T5_mT6_T7_P12ihipStream_tbENKUlT_T0_E_clISt17integral_constantIbLb1EES11_EEDaSW_SX_EUlSW_E_NS1_11comp_targetILNS1_3genE4ELNS1_11target_archE910ELNS1_3gpuE8ELNS1_3repE0EEENS1_30default_config_static_selectorELNS0_4arch9wavefront6targetE0EEEvT1_
	.globl	_ZN7rocprim17ROCPRIM_400000_NS6detail17trampoline_kernelINS0_14default_configENS1_27scan_by_key_config_selectorIitEEZZNS1_16scan_by_key_implILNS1_25lookback_scan_determinismE0ELb1ES3_N6thrust23THRUST_200600_302600_NS6detail15normal_iteratorINS9_10device_ptrIiEEEENSB_INSC_ItEEEESG_tNS9_4plusIvEENS9_8equal_toIvEEtEE10hipError_tPvRmT2_T3_T4_T5_mT6_T7_P12ihipStream_tbENKUlT_T0_E_clISt17integral_constantIbLb1EES11_EEDaSW_SX_EUlSW_E_NS1_11comp_targetILNS1_3genE4ELNS1_11target_archE910ELNS1_3gpuE8ELNS1_3repE0EEENS1_30default_config_static_selectorELNS0_4arch9wavefront6targetE0EEEvT1_
	.p2align	8
	.type	_ZN7rocprim17ROCPRIM_400000_NS6detail17trampoline_kernelINS0_14default_configENS1_27scan_by_key_config_selectorIitEEZZNS1_16scan_by_key_implILNS1_25lookback_scan_determinismE0ELb1ES3_N6thrust23THRUST_200600_302600_NS6detail15normal_iteratorINS9_10device_ptrIiEEEENSB_INSC_ItEEEESG_tNS9_4plusIvEENS9_8equal_toIvEEtEE10hipError_tPvRmT2_T3_T4_T5_mT6_T7_P12ihipStream_tbENKUlT_T0_E_clISt17integral_constantIbLb1EES11_EEDaSW_SX_EUlSW_E_NS1_11comp_targetILNS1_3genE4ELNS1_11target_archE910ELNS1_3gpuE8ELNS1_3repE0EEENS1_30default_config_static_selectorELNS0_4arch9wavefront6targetE0EEEvT1_,@function
_ZN7rocprim17ROCPRIM_400000_NS6detail17trampoline_kernelINS0_14default_configENS1_27scan_by_key_config_selectorIitEEZZNS1_16scan_by_key_implILNS1_25lookback_scan_determinismE0ELb1ES3_N6thrust23THRUST_200600_302600_NS6detail15normal_iteratorINS9_10device_ptrIiEEEENSB_INSC_ItEEEESG_tNS9_4plusIvEENS9_8equal_toIvEEtEE10hipError_tPvRmT2_T3_T4_T5_mT6_T7_P12ihipStream_tbENKUlT_T0_E_clISt17integral_constantIbLb1EES11_EEDaSW_SX_EUlSW_E_NS1_11comp_targetILNS1_3genE4ELNS1_11target_archE910ELNS1_3gpuE8ELNS1_3repE0EEENS1_30default_config_static_selectorELNS0_4arch9wavefront6targetE0EEEvT1_: ; @_ZN7rocprim17ROCPRIM_400000_NS6detail17trampoline_kernelINS0_14default_configENS1_27scan_by_key_config_selectorIitEEZZNS1_16scan_by_key_implILNS1_25lookback_scan_determinismE0ELb1ES3_N6thrust23THRUST_200600_302600_NS6detail15normal_iteratorINS9_10device_ptrIiEEEENSB_INSC_ItEEEESG_tNS9_4plusIvEENS9_8equal_toIvEEtEE10hipError_tPvRmT2_T3_T4_T5_mT6_T7_P12ihipStream_tbENKUlT_T0_E_clISt17integral_constantIbLb1EES11_EEDaSW_SX_EUlSW_E_NS1_11comp_targetILNS1_3genE4ELNS1_11target_archE910ELNS1_3gpuE8ELNS1_3repE0EEENS1_30default_config_static_selectorELNS0_4arch9wavefront6targetE0EEEvT1_
; %bb.0:
	.section	.rodata,"a",@progbits
	.p2align	6, 0x0
	.amdhsa_kernel _ZN7rocprim17ROCPRIM_400000_NS6detail17trampoline_kernelINS0_14default_configENS1_27scan_by_key_config_selectorIitEEZZNS1_16scan_by_key_implILNS1_25lookback_scan_determinismE0ELb1ES3_N6thrust23THRUST_200600_302600_NS6detail15normal_iteratorINS9_10device_ptrIiEEEENSB_INSC_ItEEEESG_tNS9_4plusIvEENS9_8equal_toIvEEtEE10hipError_tPvRmT2_T3_T4_T5_mT6_T7_P12ihipStream_tbENKUlT_T0_E_clISt17integral_constantIbLb1EES11_EEDaSW_SX_EUlSW_E_NS1_11comp_targetILNS1_3genE4ELNS1_11target_archE910ELNS1_3gpuE8ELNS1_3repE0EEENS1_30default_config_static_selectorELNS0_4arch9wavefront6targetE0EEEvT1_
		.amdhsa_group_segment_fixed_size 0
		.amdhsa_private_segment_fixed_size 0
		.amdhsa_kernarg_size 112
		.amdhsa_user_sgpr_count 2
		.amdhsa_user_sgpr_dispatch_ptr 0
		.amdhsa_user_sgpr_queue_ptr 0
		.amdhsa_user_sgpr_kernarg_segment_ptr 1
		.amdhsa_user_sgpr_dispatch_id 0
		.amdhsa_user_sgpr_kernarg_preload_length 0
		.amdhsa_user_sgpr_kernarg_preload_offset 0
		.amdhsa_user_sgpr_private_segment_size 0
		.amdhsa_wavefront_size32 1
		.amdhsa_uses_dynamic_stack 0
		.amdhsa_enable_private_segment 0
		.amdhsa_system_sgpr_workgroup_id_x 1
		.amdhsa_system_sgpr_workgroup_id_y 0
		.amdhsa_system_sgpr_workgroup_id_z 0
		.amdhsa_system_sgpr_workgroup_info 0
		.amdhsa_system_vgpr_workitem_id 0
		.amdhsa_next_free_vgpr 1
		.amdhsa_next_free_sgpr 1
		.amdhsa_named_barrier_count 0
		.amdhsa_reserve_vcc 0
		.amdhsa_float_round_mode_32 0
		.amdhsa_float_round_mode_16_64 0
		.amdhsa_float_denorm_mode_32 3
		.amdhsa_float_denorm_mode_16_64 3
		.amdhsa_fp16_overflow 0
		.amdhsa_memory_ordered 1
		.amdhsa_forward_progress 1
		.amdhsa_inst_pref_size 0
		.amdhsa_round_robin_scheduling 0
		.amdhsa_exception_fp_ieee_invalid_op 0
		.amdhsa_exception_fp_denorm_src 0
		.amdhsa_exception_fp_ieee_div_zero 0
		.amdhsa_exception_fp_ieee_overflow 0
		.amdhsa_exception_fp_ieee_underflow 0
		.amdhsa_exception_fp_ieee_inexact 0
		.amdhsa_exception_int_div_zero 0
	.end_amdhsa_kernel
	.section	.text._ZN7rocprim17ROCPRIM_400000_NS6detail17trampoline_kernelINS0_14default_configENS1_27scan_by_key_config_selectorIitEEZZNS1_16scan_by_key_implILNS1_25lookback_scan_determinismE0ELb1ES3_N6thrust23THRUST_200600_302600_NS6detail15normal_iteratorINS9_10device_ptrIiEEEENSB_INSC_ItEEEESG_tNS9_4plusIvEENS9_8equal_toIvEEtEE10hipError_tPvRmT2_T3_T4_T5_mT6_T7_P12ihipStream_tbENKUlT_T0_E_clISt17integral_constantIbLb1EES11_EEDaSW_SX_EUlSW_E_NS1_11comp_targetILNS1_3genE4ELNS1_11target_archE910ELNS1_3gpuE8ELNS1_3repE0EEENS1_30default_config_static_selectorELNS0_4arch9wavefront6targetE0EEEvT1_,"axG",@progbits,_ZN7rocprim17ROCPRIM_400000_NS6detail17trampoline_kernelINS0_14default_configENS1_27scan_by_key_config_selectorIitEEZZNS1_16scan_by_key_implILNS1_25lookback_scan_determinismE0ELb1ES3_N6thrust23THRUST_200600_302600_NS6detail15normal_iteratorINS9_10device_ptrIiEEEENSB_INSC_ItEEEESG_tNS9_4plusIvEENS9_8equal_toIvEEtEE10hipError_tPvRmT2_T3_T4_T5_mT6_T7_P12ihipStream_tbENKUlT_T0_E_clISt17integral_constantIbLb1EES11_EEDaSW_SX_EUlSW_E_NS1_11comp_targetILNS1_3genE4ELNS1_11target_archE910ELNS1_3gpuE8ELNS1_3repE0EEENS1_30default_config_static_selectorELNS0_4arch9wavefront6targetE0EEEvT1_,comdat
.Lfunc_end1547:
	.size	_ZN7rocprim17ROCPRIM_400000_NS6detail17trampoline_kernelINS0_14default_configENS1_27scan_by_key_config_selectorIitEEZZNS1_16scan_by_key_implILNS1_25lookback_scan_determinismE0ELb1ES3_N6thrust23THRUST_200600_302600_NS6detail15normal_iteratorINS9_10device_ptrIiEEEENSB_INSC_ItEEEESG_tNS9_4plusIvEENS9_8equal_toIvEEtEE10hipError_tPvRmT2_T3_T4_T5_mT6_T7_P12ihipStream_tbENKUlT_T0_E_clISt17integral_constantIbLb1EES11_EEDaSW_SX_EUlSW_E_NS1_11comp_targetILNS1_3genE4ELNS1_11target_archE910ELNS1_3gpuE8ELNS1_3repE0EEENS1_30default_config_static_selectorELNS0_4arch9wavefront6targetE0EEEvT1_, .Lfunc_end1547-_ZN7rocprim17ROCPRIM_400000_NS6detail17trampoline_kernelINS0_14default_configENS1_27scan_by_key_config_selectorIitEEZZNS1_16scan_by_key_implILNS1_25lookback_scan_determinismE0ELb1ES3_N6thrust23THRUST_200600_302600_NS6detail15normal_iteratorINS9_10device_ptrIiEEEENSB_INSC_ItEEEESG_tNS9_4plusIvEENS9_8equal_toIvEEtEE10hipError_tPvRmT2_T3_T4_T5_mT6_T7_P12ihipStream_tbENKUlT_T0_E_clISt17integral_constantIbLb1EES11_EEDaSW_SX_EUlSW_E_NS1_11comp_targetILNS1_3genE4ELNS1_11target_archE910ELNS1_3gpuE8ELNS1_3repE0EEENS1_30default_config_static_selectorELNS0_4arch9wavefront6targetE0EEEvT1_
                                        ; -- End function
	.set _ZN7rocprim17ROCPRIM_400000_NS6detail17trampoline_kernelINS0_14default_configENS1_27scan_by_key_config_selectorIitEEZZNS1_16scan_by_key_implILNS1_25lookback_scan_determinismE0ELb1ES3_N6thrust23THRUST_200600_302600_NS6detail15normal_iteratorINS9_10device_ptrIiEEEENSB_INSC_ItEEEESG_tNS9_4plusIvEENS9_8equal_toIvEEtEE10hipError_tPvRmT2_T3_T4_T5_mT6_T7_P12ihipStream_tbENKUlT_T0_E_clISt17integral_constantIbLb1EES11_EEDaSW_SX_EUlSW_E_NS1_11comp_targetILNS1_3genE4ELNS1_11target_archE910ELNS1_3gpuE8ELNS1_3repE0EEENS1_30default_config_static_selectorELNS0_4arch9wavefront6targetE0EEEvT1_.num_vgpr, 0
	.set _ZN7rocprim17ROCPRIM_400000_NS6detail17trampoline_kernelINS0_14default_configENS1_27scan_by_key_config_selectorIitEEZZNS1_16scan_by_key_implILNS1_25lookback_scan_determinismE0ELb1ES3_N6thrust23THRUST_200600_302600_NS6detail15normal_iteratorINS9_10device_ptrIiEEEENSB_INSC_ItEEEESG_tNS9_4plusIvEENS9_8equal_toIvEEtEE10hipError_tPvRmT2_T3_T4_T5_mT6_T7_P12ihipStream_tbENKUlT_T0_E_clISt17integral_constantIbLb1EES11_EEDaSW_SX_EUlSW_E_NS1_11comp_targetILNS1_3genE4ELNS1_11target_archE910ELNS1_3gpuE8ELNS1_3repE0EEENS1_30default_config_static_selectorELNS0_4arch9wavefront6targetE0EEEvT1_.num_agpr, 0
	.set _ZN7rocprim17ROCPRIM_400000_NS6detail17trampoline_kernelINS0_14default_configENS1_27scan_by_key_config_selectorIitEEZZNS1_16scan_by_key_implILNS1_25lookback_scan_determinismE0ELb1ES3_N6thrust23THRUST_200600_302600_NS6detail15normal_iteratorINS9_10device_ptrIiEEEENSB_INSC_ItEEEESG_tNS9_4plusIvEENS9_8equal_toIvEEtEE10hipError_tPvRmT2_T3_T4_T5_mT6_T7_P12ihipStream_tbENKUlT_T0_E_clISt17integral_constantIbLb1EES11_EEDaSW_SX_EUlSW_E_NS1_11comp_targetILNS1_3genE4ELNS1_11target_archE910ELNS1_3gpuE8ELNS1_3repE0EEENS1_30default_config_static_selectorELNS0_4arch9wavefront6targetE0EEEvT1_.numbered_sgpr, 0
	.set _ZN7rocprim17ROCPRIM_400000_NS6detail17trampoline_kernelINS0_14default_configENS1_27scan_by_key_config_selectorIitEEZZNS1_16scan_by_key_implILNS1_25lookback_scan_determinismE0ELb1ES3_N6thrust23THRUST_200600_302600_NS6detail15normal_iteratorINS9_10device_ptrIiEEEENSB_INSC_ItEEEESG_tNS9_4plusIvEENS9_8equal_toIvEEtEE10hipError_tPvRmT2_T3_T4_T5_mT6_T7_P12ihipStream_tbENKUlT_T0_E_clISt17integral_constantIbLb1EES11_EEDaSW_SX_EUlSW_E_NS1_11comp_targetILNS1_3genE4ELNS1_11target_archE910ELNS1_3gpuE8ELNS1_3repE0EEENS1_30default_config_static_selectorELNS0_4arch9wavefront6targetE0EEEvT1_.num_named_barrier, 0
	.set _ZN7rocprim17ROCPRIM_400000_NS6detail17trampoline_kernelINS0_14default_configENS1_27scan_by_key_config_selectorIitEEZZNS1_16scan_by_key_implILNS1_25lookback_scan_determinismE0ELb1ES3_N6thrust23THRUST_200600_302600_NS6detail15normal_iteratorINS9_10device_ptrIiEEEENSB_INSC_ItEEEESG_tNS9_4plusIvEENS9_8equal_toIvEEtEE10hipError_tPvRmT2_T3_T4_T5_mT6_T7_P12ihipStream_tbENKUlT_T0_E_clISt17integral_constantIbLb1EES11_EEDaSW_SX_EUlSW_E_NS1_11comp_targetILNS1_3genE4ELNS1_11target_archE910ELNS1_3gpuE8ELNS1_3repE0EEENS1_30default_config_static_selectorELNS0_4arch9wavefront6targetE0EEEvT1_.private_seg_size, 0
	.set _ZN7rocprim17ROCPRIM_400000_NS6detail17trampoline_kernelINS0_14default_configENS1_27scan_by_key_config_selectorIitEEZZNS1_16scan_by_key_implILNS1_25lookback_scan_determinismE0ELb1ES3_N6thrust23THRUST_200600_302600_NS6detail15normal_iteratorINS9_10device_ptrIiEEEENSB_INSC_ItEEEESG_tNS9_4plusIvEENS9_8equal_toIvEEtEE10hipError_tPvRmT2_T3_T4_T5_mT6_T7_P12ihipStream_tbENKUlT_T0_E_clISt17integral_constantIbLb1EES11_EEDaSW_SX_EUlSW_E_NS1_11comp_targetILNS1_3genE4ELNS1_11target_archE910ELNS1_3gpuE8ELNS1_3repE0EEENS1_30default_config_static_selectorELNS0_4arch9wavefront6targetE0EEEvT1_.uses_vcc, 0
	.set _ZN7rocprim17ROCPRIM_400000_NS6detail17trampoline_kernelINS0_14default_configENS1_27scan_by_key_config_selectorIitEEZZNS1_16scan_by_key_implILNS1_25lookback_scan_determinismE0ELb1ES3_N6thrust23THRUST_200600_302600_NS6detail15normal_iteratorINS9_10device_ptrIiEEEENSB_INSC_ItEEEESG_tNS9_4plusIvEENS9_8equal_toIvEEtEE10hipError_tPvRmT2_T3_T4_T5_mT6_T7_P12ihipStream_tbENKUlT_T0_E_clISt17integral_constantIbLb1EES11_EEDaSW_SX_EUlSW_E_NS1_11comp_targetILNS1_3genE4ELNS1_11target_archE910ELNS1_3gpuE8ELNS1_3repE0EEENS1_30default_config_static_selectorELNS0_4arch9wavefront6targetE0EEEvT1_.uses_flat_scratch, 0
	.set _ZN7rocprim17ROCPRIM_400000_NS6detail17trampoline_kernelINS0_14default_configENS1_27scan_by_key_config_selectorIitEEZZNS1_16scan_by_key_implILNS1_25lookback_scan_determinismE0ELb1ES3_N6thrust23THRUST_200600_302600_NS6detail15normal_iteratorINS9_10device_ptrIiEEEENSB_INSC_ItEEEESG_tNS9_4plusIvEENS9_8equal_toIvEEtEE10hipError_tPvRmT2_T3_T4_T5_mT6_T7_P12ihipStream_tbENKUlT_T0_E_clISt17integral_constantIbLb1EES11_EEDaSW_SX_EUlSW_E_NS1_11comp_targetILNS1_3genE4ELNS1_11target_archE910ELNS1_3gpuE8ELNS1_3repE0EEENS1_30default_config_static_selectorELNS0_4arch9wavefront6targetE0EEEvT1_.has_dyn_sized_stack, 0
	.set _ZN7rocprim17ROCPRIM_400000_NS6detail17trampoline_kernelINS0_14default_configENS1_27scan_by_key_config_selectorIitEEZZNS1_16scan_by_key_implILNS1_25lookback_scan_determinismE0ELb1ES3_N6thrust23THRUST_200600_302600_NS6detail15normal_iteratorINS9_10device_ptrIiEEEENSB_INSC_ItEEEESG_tNS9_4plusIvEENS9_8equal_toIvEEtEE10hipError_tPvRmT2_T3_T4_T5_mT6_T7_P12ihipStream_tbENKUlT_T0_E_clISt17integral_constantIbLb1EES11_EEDaSW_SX_EUlSW_E_NS1_11comp_targetILNS1_3genE4ELNS1_11target_archE910ELNS1_3gpuE8ELNS1_3repE0EEENS1_30default_config_static_selectorELNS0_4arch9wavefront6targetE0EEEvT1_.has_recursion, 0
	.set _ZN7rocprim17ROCPRIM_400000_NS6detail17trampoline_kernelINS0_14default_configENS1_27scan_by_key_config_selectorIitEEZZNS1_16scan_by_key_implILNS1_25lookback_scan_determinismE0ELb1ES3_N6thrust23THRUST_200600_302600_NS6detail15normal_iteratorINS9_10device_ptrIiEEEENSB_INSC_ItEEEESG_tNS9_4plusIvEENS9_8equal_toIvEEtEE10hipError_tPvRmT2_T3_T4_T5_mT6_T7_P12ihipStream_tbENKUlT_T0_E_clISt17integral_constantIbLb1EES11_EEDaSW_SX_EUlSW_E_NS1_11comp_targetILNS1_3genE4ELNS1_11target_archE910ELNS1_3gpuE8ELNS1_3repE0EEENS1_30default_config_static_selectorELNS0_4arch9wavefront6targetE0EEEvT1_.has_indirect_call, 0
	.section	.AMDGPU.csdata,"",@progbits
; Kernel info:
; codeLenInByte = 0
; TotalNumSgprs: 0
; NumVgprs: 0
; ScratchSize: 0
; MemoryBound: 0
; FloatMode: 240
; IeeeMode: 1
; LDSByteSize: 0 bytes/workgroup (compile time only)
; SGPRBlocks: 0
; VGPRBlocks: 0
; NumSGPRsForWavesPerEU: 1
; NumVGPRsForWavesPerEU: 1
; NamedBarCnt: 0
; Occupancy: 16
; WaveLimiterHint : 0
; COMPUTE_PGM_RSRC2:SCRATCH_EN: 0
; COMPUTE_PGM_RSRC2:USER_SGPR: 2
; COMPUTE_PGM_RSRC2:TRAP_HANDLER: 0
; COMPUTE_PGM_RSRC2:TGID_X_EN: 1
; COMPUTE_PGM_RSRC2:TGID_Y_EN: 0
; COMPUTE_PGM_RSRC2:TGID_Z_EN: 0
; COMPUTE_PGM_RSRC2:TIDIG_COMP_CNT: 0
	.section	.text._ZN7rocprim17ROCPRIM_400000_NS6detail17trampoline_kernelINS0_14default_configENS1_27scan_by_key_config_selectorIitEEZZNS1_16scan_by_key_implILNS1_25lookback_scan_determinismE0ELb1ES3_N6thrust23THRUST_200600_302600_NS6detail15normal_iteratorINS9_10device_ptrIiEEEENSB_INSC_ItEEEESG_tNS9_4plusIvEENS9_8equal_toIvEEtEE10hipError_tPvRmT2_T3_T4_T5_mT6_T7_P12ihipStream_tbENKUlT_T0_E_clISt17integral_constantIbLb1EES11_EEDaSW_SX_EUlSW_E_NS1_11comp_targetILNS1_3genE3ELNS1_11target_archE908ELNS1_3gpuE7ELNS1_3repE0EEENS1_30default_config_static_selectorELNS0_4arch9wavefront6targetE0EEEvT1_,"axG",@progbits,_ZN7rocprim17ROCPRIM_400000_NS6detail17trampoline_kernelINS0_14default_configENS1_27scan_by_key_config_selectorIitEEZZNS1_16scan_by_key_implILNS1_25lookback_scan_determinismE0ELb1ES3_N6thrust23THRUST_200600_302600_NS6detail15normal_iteratorINS9_10device_ptrIiEEEENSB_INSC_ItEEEESG_tNS9_4plusIvEENS9_8equal_toIvEEtEE10hipError_tPvRmT2_T3_T4_T5_mT6_T7_P12ihipStream_tbENKUlT_T0_E_clISt17integral_constantIbLb1EES11_EEDaSW_SX_EUlSW_E_NS1_11comp_targetILNS1_3genE3ELNS1_11target_archE908ELNS1_3gpuE7ELNS1_3repE0EEENS1_30default_config_static_selectorELNS0_4arch9wavefront6targetE0EEEvT1_,comdat
	.protected	_ZN7rocprim17ROCPRIM_400000_NS6detail17trampoline_kernelINS0_14default_configENS1_27scan_by_key_config_selectorIitEEZZNS1_16scan_by_key_implILNS1_25lookback_scan_determinismE0ELb1ES3_N6thrust23THRUST_200600_302600_NS6detail15normal_iteratorINS9_10device_ptrIiEEEENSB_INSC_ItEEEESG_tNS9_4plusIvEENS9_8equal_toIvEEtEE10hipError_tPvRmT2_T3_T4_T5_mT6_T7_P12ihipStream_tbENKUlT_T0_E_clISt17integral_constantIbLb1EES11_EEDaSW_SX_EUlSW_E_NS1_11comp_targetILNS1_3genE3ELNS1_11target_archE908ELNS1_3gpuE7ELNS1_3repE0EEENS1_30default_config_static_selectorELNS0_4arch9wavefront6targetE0EEEvT1_ ; -- Begin function _ZN7rocprim17ROCPRIM_400000_NS6detail17trampoline_kernelINS0_14default_configENS1_27scan_by_key_config_selectorIitEEZZNS1_16scan_by_key_implILNS1_25lookback_scan_determinismE0ELb1ES3_N6thrust23THRUST_200600_302600_NS6detail15normal_iteratorINS9_10device_ptrIiEEEENSB_INSC_ItEEEESG_tNS9_4plusIvEENS9_8equal_toIvEEtEE10hipError_tPvRmT2_T3_T4_T5_mT6_T7_P12ihipStream_tbENKUlT_T0_E_clISt17integral_constantIbLb1EES11_EEDaSW_SX_EUlSW_E_NS1_11comp_targetILNS1_3genE3ELNS1_11target_archE908ELNS1_3gpuE7ELNS1_3repE0EEENS1_30default_config_static_selectorELNS0_4arch9wavefront6targetE0EEEvT1_
	.globl	_ZN7rocprim17ROCPRIM_400000_NS6detail17trampoline_kernelINS0_14default_configENS1_27scan_by_key_config_selectorIitEEZZNS1_16scan_by_key_implILNS1_25lookback_scan_determinismE0ELb1ES3_N6thrust23THRUST_200600_302600_NS6detail15normal_iteratorINS9_10device_ptrIiEEEENSB_INSC_ItEEEESG_tNS9_4plusIvEENS9_8equal_toIvEEtEE10hipError_tPvRmT2_T3_T4_T5_mT6_T7_P12ihipStream_tbENKUlT_T0_E_clISt17integral_constantIbLb1EES11_EEDaSW_SX_EUlSW_E_NS1_11comp_targetILNS1_3genE3ELNS1_11target_archE908ELNS1_3gpuE7ELNS1_3repE0EEENS1_30default_config_static_selectorELNS0_4arch9wavefront6targetE0EEEvT1_
	.p2align	8
	.type	_ZN7rocprim17ROCPRIM_400000_NS6detail17trampoline_kernelINS0_14default_configENS1_27scan_by_key_config_selectorIitEEZZNS1_16scan_by_key_implILNS1_25lookback_scan_determinismE0ELb1ES3_N6thrust23THRUST_200600_302600_NS6detail15normal_iteratorINS9_10device_ptrIiEEEENSB_INSC_ItEEEESG_tNS9_4plusIvEENS9_8equal_toIvEEtEE10hipError_tPvRmT2_T3_T4_T5_mT6_T7_P12ihipStream_tbENKUlT_T0_E_clISt17integral_constantIbLb1EES11_EEDaSW_SX_EUlSW_E_NS1_11comp_targetILNS1_3genE3ELNS1_11target_archE908ELNS1_3gpuE7ELNS1_3repE0EEENS1_30default_config_static_selectorELNS0_4arch9wavefront6targetE0EEEvT1_,@function
_ZN7rocprim17ROCPRIM_400000_NS6detail17trampoline_kernelINS0_14default_configENS1_27scan_by_key_config_selectorIitEEZZNS1_16scan_by_key_implILNS1_25lookback_scan_determinismE0ELb1ES3_N6thrust23THRUST_200600_302600_NS6detail15normal_iteratorINS9_10device_ptrIiEEEENSB_INSC_ItEEEESG_tNS9_4plusIvEENS9_8equal_toIvEEtEE10hipError_tPvRmT2_T3_T4_T5_mT6_T7_P12ihipStream_tbENKUlT_T0_E_clISt17integral_constantIbLb1EES11_EEDaSW_SX_EUlSW_E_NS1_11comp_targetILNS1_3genE3ELNS1_11target_archE908ELNS1_3gpuE7ELNS1_3repE0EEENS1_30default_config_static_selectorELNS0_4arch9wavefront6targetE0EEEvT1_: ; @_ZN7rocprim17ROCPRIM_400000_NS6detail17trampoline_kernelINS0_14default_configENS1_27scan_by_key_config_selectorIitEEZZNS1_16scan_by_key_implILNS1_25lookback_scan_determinismE0ELb1ES3_N6thrust23THRUST_200600_302600_NS6detail15normal_iteratorINS9_10device_ptrIiEEEENSB_INSC_ItEEEESG_tNS9_4plusIvEENS9_8equal_toIvEEtEE10hipError_tPvRmT2_T3_T4_T5_mT6_T7_P12ihipStream_tbENKUlT_T0_E_clISt17integral_constantIbLb1EES11_EEDaSW_SX_EUlSW_E_NS1_11comp_targetILNS1_3genE3ELNS1_11target_archE908ELNS1_3gpuE7ELNS1_3repE0EEENS1_30default_config_static_selectorELNS0_4arch9wavefront6targetE0EEEvT1_
; %bb.0:
	.section	.rodata,"a",@progbits
	.p2align	6, 0x0
	.amdhsa_kernel _ZN7rocprim17ROCPRIM_400000_NS6detail17trampoline_kernelINS0_14default_configENS1_27scan_by_key_config_selectorIitEEZZNS1_16scan_by_key_implILNS1_25lookback_scan_determinismE0ELb1ES3_N6thrust23THRUST_200600_302600_NS6detail15normal_iteratorINS9_10device_ptrIiEEEENSB_INSC_ItEEEESG_tNS9_4plusIvEENS9_8equal_toIvEEtEE10hipError_tPvRmT2_T3_T4_T5_mT6_T7_P12ihipStream_tbENKUlT_T0_E_clISt17integral_constantIbLb1EES11_EEDaSW_SX_EUlSW_E_NS1_11comp_targetILNS1_3genE3ELNS1_11target_archE908ELNS1_3gpuE7ELNS1_3repE0EEENS1_30default_config_static_selectorELNS0_4arch9wavefront6targetE0EEEvT1_
		.amdhsa_group_segment_fixed_size 0
		.amdhsa_private_segment_fixed_size 0
		.amdhsa_kernarg_size 112
		.amdhsa_user_sgpr_count 2
		.amdhsa_user_sgpr_dispatch_ptr 0
		.amdhsa_user_sgpr_queue_ptr 0
		.amdhsa_user_sgpr_kernarg_segment_ptr 1
		.amdhsa_user_sgpr_dispatch_id 0
		.amdhsa_user_sgpr_kernarg_preload_length 0
		.amdhsa_user_sgpr_kernarg_preload_offset 0
		.amdhsa_user_sgpr_private_segment_size 0
		.amdhsa_wavefront_size32 1
		.amdhsa_uses_dynamic_stack 0
		.amdhsa_enable_private_segment 0
		.amdhsa_system_sgpr_workgroup_id_x 1
		.amdhsa_system_sgpr_workgroup_id_y 0
		.amdhsa_system_sgpr_workgroup_id_z 0
		.amdhsa_system_sgpr_workgroup_info 0
		.amdhsa_system_vgpr_workitem_id 0
		.amdhsa_next_free_vgpr 1
		.amdhsa_next_free_sgpr 1
		.amdhsa_named_barrier_count 0
		.amdhsa_reserve_vcc 0
		.amdhsa_float_round_mode_32 0
		.amdhsa_float_round_mode_16_64 0
		.amdhsa_float_denorm_mode_32 3
		.amdhsa_float_denorm_mode_16_64 3
		.amdhsa_fp16_overflow 0
		.amdhsa_memory_ordered 1
		.amdhsa_forward_progress 1
		.amdhsa_inst_pref_size 0
		.amdhsa_round_robin_scheduling 0
		.amdhsa_exception_fp_ieee_invalid_op 0
		.amdhsa_exception_fp_denorm_src 0
		.amdhsa_exception_fp_ieee_div_zero 0
		.amdhsa_exception_fp_ieee_overflow 0
		.amdhsa_exception_fp_ieee_underflow 0
		.amdhsa_exception_fp_ieee_inexact 0
		.amdhsa_exception_int_div_zero 0
	.end_amdhsa_kernel
	.section	.text._ZN7rocprim17ROCPRIM_400000_NS6detail17trampoline_kernelINS0_14default_configENS1_27scan_by_key_config_selectorIitEEZZNS1_16scan_by_key_implILNS1_25lookback_scan_determinismE0ELb1ES3_N6thrust23THRUST_200600_302600_NS6detail15normal_iteratorINS9_10device_ptrIiEEEENSB_INSC_ItEEEESG_tNS9_4plusIvEENS9_8equal_toIvEEtEE10hipError_tPvRmT2_T3_T4_T5_mT6_T7_P12ihipStream_tbENKUlT_T0_E_clISt17integral_constantIbLb1EES11_EEDaSW_SX_EUlSW_E_NS1_11comp_targetILNS1_3genE3ELNS1_11target_archE908ELNS1_3gpuE7ELNS1_3repE0EEENS1_30default_config_static_selectorELNS0_4arch9wavefront6targetE0EEEvT1_,"axG",@progbits,_ZN7rocprim17ROCPRIM_400000_NS6detail17trampoline_kernelINS0_14default_configENS1_27scan_by_key_config_selectorIitEEZZNS1_16scan_by_key_implILNS1_25lookback_scan_determinismE0ELb1ES3_N6thrust23THRUST_200600_302600_NS6detail15normal_iteratorINS9_10device_ptrIiEEEENSB_INSC_ItEEEESG_tNS9_4plusIvEENS9_8equal_toIvEEtEE10hipError_tPvRmT2_T3_T4_T5_mT6_T7_P12ihipStream_tbENKUlT_T0_E_clISt17integral_constantIbLb1EES11_EEDaSW_SX_EUlSW_E_NS1_11comp_targetILNS1_3genE3ELNS1_11target_archE908ELNS1_3gpuE7ELNS1_3repE0EEENS1_30default_config_static_selectorELNS0_4arch9wavefront6targetE0EEEvT1_,comdat
.Lfunc_end1548:
	.size	_ZN7rocprim17ROCPRIM_400000_NS6detail17trampoline_kernelINS0_14default_configENS1_27scan_by_key_config_selectorIitEEZZNS1_16scan_by_key_implILNS1_25lookback_scan_determinismE0ELb1ES3_N6thrust23THRUST_200600_302600_NS6detail15normal_iteratorINS9_10device_ptrIiEEEENSB_INSC_ItEEEESG_tNS9_4plusIvEENS9_8equal_toIvEEtEE10hipError_tPvRmT2_T3_T4_T5_mT6_T7_P12ihipStream_tbENKUlT_T0_E_clISt17integral_constantIbLb1EES11_EEDaSW_SX_EUlSW_E_NS1_11comp_targetILNS1_3genE3ELNS1_11target_archE908ELNS1_3gpuE7ELNS1_3repE0EEENS1_30default_config_static_selectorELNS0_4arch9wavefront6targetE0EEEvT1_, .Lfunc_end1548-_ZN7rocprim17ROCPRIM_400000_NS6detail17trampoline_kernelINS0_14default_configENS1_27scan_by_key_config_selectorIitEEZZNS1_16scan_by_key_implILNS1_25lookback_scan_determinismE0ELb1ES3_N6thrust23THRUST_200600_302600_NS6detail15normal_iteratorINS9_10device_ptrIiEEEENSB_INSC_ItEEEESG_tNS9_4plusIvEENS9_8equal_toIvEEtEE10hipError_tPvRmT2_T3_T4_T5_mT6_T7_P12ihipStream_tbENKUlT_T0_E_clISt17integral_constantIbLb1EES11_EEDaSW_SX_EUlSW_E_NS1_11comp_targetILNS1_3genE3ELNS1_11target_archE908ELNS1_3gpuE7ELNS1_3repE0EEENS1_30default_config_static_selectorELNS0_4arch9wavefront6targetE0EEEvT1_
                                        ; -- End function
	.set _ZN7rocprim17ROCPRIM_400000_NS6detail17trampoline_kernelINS0_14default_configENS1_27scan_by_key_config_selectorIitEEZZNS1_16scan_by_key_implILNS1_25lookback_scan_determinismE0ELb1ES3_N6thrust23THRUST_200600_302600_NS6detail15normal_iteratorINS9_10device_ptrIiEEEENSB_INSC_ItEEEESG_tNS9_4plusIvEENS9_8equal_toIvEEtEE10hipError_tPvRmT2_T3_T4_T5_mT6_T7_P12ihipStream_tbENKUlT_T0_E_clISt17integral_constantIbLb1EES11_EEDaSW_SX_EUlSW_E_NS1_11comp_targetILNS1_3genE3ELNS1_11target_archE908ELNS1_3gpuE7ELNS1_3repE0EEENS1_30default_config_static_selectorELNS0_4arch9wavefront6targetE0EEEvT1_.num_vgpr, 0
	.set _ZN7rocprim17ROCPRIM_400000_NS6detail17trampoline_kernelINS0_14default_configENS1_27scan_by_key_config_selectorIitEEZZNS1_16scan_by_key_implILNS1_25lookback_scan_determinismE0ELb1ES3_N6thrust23THRUST_200600_302600_NS6detail15normal_iteratorINS9_10device_ptrIiEEEENSB_INSC_ItEEEESG_tNS9_4plusIvEENS9_8equal_toIvEEtEE10hipError_tPvRmT2_T3_T4_T5_mT6_T7_P12ihipStream_tbENKUlT_T0_E_clISt17integral_constantIbLb1EES11_EEDaSW_SX_EUlSW_E_NS1_11comp_targetILNS1_3genE3ELNS1_11target_archE908ELNS1_3gpuE7ELNS1_3repE0EEENS1_30default_config_static_selectorELNS0_4arch9wavefront6targetE0EEEvT1_.num_agpr, 0
	.set _ZN7rocprim17ROCPRIM_400000_NS6detail17trampoline_kernelINS0_14default_configENS1_27scan_by_key_config_selectorIitEEZZNS1_16scan_by_key_implILNS1_25lookback_scan_determinismE0ELb1ES3_N6thrust23THRUST_200600_302600_NS6detail15normal_iteratorINS9_10device_ptrIiEEEENSB_INSC_ItEEEESG_tNS9_4plusIvEENS9_8equal_toIvEEtEE10hipError_tPvRmT2_T3_T4_T5_mT6_T7_P12ihipStream_tbENKUlT_T0_E_clISt17integral_constantIbLb1EES11_EEDaSW_SX_EUlSW_E_NS1_11comp_targetILNS1_3genE3ELNS1_11target_archE908ELNS1_3gpuE7ELNS1_3repE0EEENS1_30default_config_static_selectorELNS0_4arch9wavefront6targetE0EEEvT1_.numbered_sgpr, 0
	.set _ZN7rocprim17ROCPRIM_400000_NS6detail17trampoline_kernelINS0_14default_configENS1_27scan_by_key_config_selectorIitEEZZNS1_16scan_by_key_implILNS1_25lookback_scan_determinismE0ELb1ES3_N6thrust23THRUST_200600_302600_NS6detail15normal_iteratorINS9_10device_ptrIiEEEENSB_INSC_ItEEEESG_tNS9_4plusIvEENS9_8equal_toIvEEtEE10hipError_tPvRmT2_T3_T4_T5_mT6_T7_P12ihipStream_tbENKUlT_T0_E_clISt17integral_constantIbLb1EES11_EEDaSW_SX_EUlSW_E_NS1_11comp_targetILNS1_3genE3ELNS1_11target_archE908ELNS1_3gpuE7ELNS1_3repE0EEENS1_30default_config_static_selectorELNS0_4arch9wavefront6targetE0EEEvT1_.num_named_barrier, 0
	.set _ZN7rocprim17ROCPRIM_400000_NS6detail17trampoline_kernelINS0_14default_configENS1_27scan_by_key_config_selectorIitEEZZNS1_16scan_by_key_implILNS1_25lookback_scan_determinismE0ELb1ES3_N6thrust23THRUST_200600_302600_NS6detail15normal_iteratorINS9_10device_ptrIiEEEENSB_INSC_ItEEEESG_tNS9_4plusIvEENS9_8equal_toIvEEtEE10hipError_tPvRmT2_T3_T4_T5_mT6_T7_P12ihipStream_tbENKUlT_T0_E_clISt17integral_constantIbLb1EES11_EEDaSW_SX_EUlSW_E_NS1_11comp_targetILNS1_3genE3ELNS1_11target_archE908ELNS1_3gpuE7ELNS1_3repE0EEENS1_30default_config_static_selectorELNS0_4arch9wavefront6targetE0EEEvT1_.private_seg_size, 0
	.set _ZN7rocprim17ROCPRIM_400000_NS6detail17trampoline_kernelINS0_14default_configENS1_27scan_by_key_config_selectorIitEEZZNS1_16scan_by_key_implILNS1_25lookback_scan_determinismE0ELb1ES3_N6thrust23THRUST_200600_302600_NS6detail15normal_iteratorINS9_10device_ptrIiEEEENSB_INSC_ItEEEESG_tNS9_4plusIvEENS9_8equal_toIvEEtEE10hipError_tPvRmT2_T3_T4_T5_mT6_T7_P12ihipStream_tbENKUlT_T0_E_clISt17integral_constantIbLb1EES11_EEDaSW_SX_EUlSW_E_NS1_11comp_targetILNS1_3genE3ELNS1_11target_archE908ELNS1_3gpuE7ELNS1_3repE0EEENS1_30default_config_static_selectorELNS0_4arch9wavefront6targetE0EEEvT1_.uses_vcc, 0
	.set _ZN7rocprim17ROCPRIM_400000_NS6detail17trampoline_kernelINS0_14default_configENS1_27scan_by_key_config_selectorIitEEZZNS1_16scan_by_key_implILNS1_25lookback_scan_determinismE0ELb1ES3_N6thrust23THRUST_200600_302600_NS6detail15normal_iteratorINS9_10device_ptrIiEEEENSB_INSC_ItEEEESG_tNS9_4plusIvEENS9_8equal_toIvEEtEE10hipError_tPvRmT2_T3_T4_T5_mT6_T7_P12ihipStream_tbENKUlT_T0_E_clISt17integral_constantIbLb1EES11_EEDaSW_SX_EUlSW_E_NS1_11comp_targetILNS1_3genE3ELNS1_11target_archE908ELNS1_3gpuE7ELNS1_3repE0EEENS1_30default_config_static_selectorELNS0_4arch9wavefront6targetE0EEEvT1_.uses_flat_scratch, 0
	.set _ZN7rocprim17ROCPRIM_400000_NS6detail17trampoline_kernelINS0_14default_configENS1_27scan_by_key_config_selectorIitEEZZNS1_16scan_by_key_implILNS1_25lookback_scan_determinismE0ELb1ES3_N6thrust23THRUST_200600_302600_NS6detail15normal_iteratorINS9_10device_ptrIiEEEENSB_INSC_ItEEEESG_tNS9_4plusIvEENS9_8equal_toIvEEtEE10hipError_tPvRmT2_T3_T4_T5_mT6_T7_P12ihipStream_tbENKUlT_T0_E_clISt17integral_constantIbLb1EES11_EEDaSW_SX_EUlSW_E_NS1_11comp_targetILNS1_3genE3ELNS1_11target_archE908ELNS1_3gpuE7ELNS1_3repE0EEENS1_30default_config_static_selectorELNS0_4arch9wavefront6targetE0EEEvT1_.has_dyn_sized_stack, 0
	.set _ZN7rocprim17ROCPRIM_400000_NS6detail17trampoline_kernelINS0_14default_configENS1_27scan_by_key_config_selectorIitEEZZNS1_16scan_by_key_implILNS1_25lookback_scan_determinismE0ELb1ES3_N6thrust23THRUST_200600_302600_NS6detail15normal_iteratorINS9_10device_ptrIiEEEENSB_INSC_ItEEEESG_tNS9_4plusIvEENS9_8equal_toIvEEtEE10hipError_tPvRmT2_T3_T4_T5_mT6_T7_P12ihipStream_tbENKUlT_T0_E_clISt17integral_constantIbLb1EES11_EEDaSW_SX_EUlSW_E_NS1_11comp_targetILNS1_3genE3ELNS1_11target_archE908ELNS1_3gpuE7ELNS1_3repE0EEENS1_30default_config_static_selectorELNS0_4arch9wavefront6targetE0EEEvT1_.has_recursion, 0
	.set _ZN7rocprim17ROCPRIM_400000_NS6detail17trampoline_kernelINS0_14default_configENS1_27scan_by_key_config_selectorIitEEZZNS1_16scan_by_key_implILNS1_25lookback_scan_determinismE0ELb1ES3_N6thrust23THRUST_200600_302600_NS6detail15normal_iteratorINS9_10device_ptrIiEEEENSB_INSC_ItEEEESG_tNS9_4plusIvEENS9_8equal_toIvEEtEE10hipError_tPvRmT2_T3_T4_T5_mT6_T7_P12ihipStream_tbENKUlT_T0_E_clISt17integral_constantIbLb1EES11_EEDaSW_SX_EUlSW_E_NS1_11comp_targetILNS1_3genE3ELNS1_11target_archE908ELNS1_3gpuE7ELNS1_3repE0EEENS1_30default_config_static_selectorELNS0_4arch9wavefront6targetE0EEEvT1_.has_indirect_call, 0
	.section	.AMDGPU.csdata,"",@progbits
; Kernel info:
; codeLenInByte = 0
; TotalNumSgprs: 0
; NumVgprs: 0
; ScratchSize: 0
; MemoryBound: 0
; FloatMode: 240
; IeeeMode: 1
; LDSByteSize: 0 bytes/workgroup (compile time only)
; SGPRBlocks: 0
; VGPRBlocks: 0
; NumSGPRsForWavesPerEU: 1
; NumVGPRsForWavesPerEU: 1
; NamedBarCnt: 0
; Occupancy: 16
; WaveLimiterHint : 0
; COMPUTE_PGM_RSRC2:SCRATCH_EN: 0
; COMPUTE_PGM_RSRC2:USER_SGPR: 2
; COMPUTE_PGM_RSRC2:TRAP_HANDLER: 0
; COMPUTE_PGM_RSRC2:TGID_X_EN: 1
; COMPUTE_PGM_RSRC2:TGID_Y_EN: 0
; COMPUTE_PGM_RSRC2:TGID_Z_EN: 0
; COMPUTE_PGM_RSRC2:TIDIG_COMP_CNT: 0
	.section	.text._ZN7rocprim17ROCPRIM_400000_NS6detail17trampoline_kernelINS0_14default_configENS1_27scan_by_key_config_selectorIitEEZZNS1_16scan_by_key_implILNS1_25lookback_scan_determinismE0ELb1ES3_N6thrust23THRUST_200600_302600_NS6detail15normal_iteratorINS9_10device_ptrIiEEEENSB_INSC_ItEEEESG_tNS9_4plusIvEENS9_8equal_toIvEEtEE10hipError_tPvRmT2_T3_T4_T5_mT6_T7_P12ihipStream_tbENKUlT_T0_E_clISt17integral_constantIbLb1EES11_EEDaSW_SX_EUlSW_E_NS1_11comp_targetILNS1_3genE2ELNS1_11target_archE906ELNS1_3gpuE6ELNS1_3repE0EEENS1_30default_config_static_selectorELNS0_4arch9wavefront6targetE0EEEvT1_,"axG",@progbits,_ZN7rocprim17ROCPRIM_400000_NS6detail17trampoline_kernelINS0_14default_configENS1_27scan_by_key_config_selectorIitEEZZNS1_16scan_by_key_implILNS1_25lookback_scan_determinismE0ELb1ES3_N6thrust23THRUST_200600_302600_NS6detail15normal_iteratorINS9_10device_ptrIiEEEENSB_INSC_ItEEEESG_tNS9_4plusIvEENS9_8equal_toIvEEtEE10hipError_tPvRmT2_T3_T4_T5_mT6_T7_P12ihipStream_tbENKUlT_T0_E_clISt17integral_constantIbLb1EES11_EEDaSW_SX_EUlSW_E_NS1_11comp_targetILNS1_3genE2ELNS1_11target_archE906ELNS1_3gpuE6ELNS1_3repE0EEENS1_30default_config_static_selectorELNS0_4arch9wavefront6targetE0EEEvT1_,comdat
	.protected	_ZN7rocprim17ROCPRIM_400000_NS6detail17trampoline_kernelINS0_14default_configENS1_27scan_by_key_config_selectorIitEEZZNS1_16scan_by_key_implILNS1_25lookback_scan_determinismE0ELb1ES3_N6thrust23THRUST_200600_302600_NS6detail15normal_iteratorINS9_10device_ptrIiEEEENSB_INSC_ItEEEESG_tNS9_4plusIvEENS9_8equal_toIvEEtEE10hipError_tPvRmT2_T3_T4_T5_mT6_T7_P12ihipStream_tbENKUlT_T0_E_clISt17integral_constantIbLb1EES11_EEDaSW_SX_EUlSW_E_NS1_11comp_targetILNS1_3genE2ELNS1_11target_archE906ELNS1_3gpuE6ELNS1_3repE0EEENS1_30default_config_static_selectorELNS0_4arch9wavefront6targetE0EEEvT1_ ; -- Begin function _ZN7rocprim17ROCPRIM_400000_NS6detail17trampoline_kernelINS0_14default_configENS1_27scan_by_key_config_selectorIitEEZZNS1_16scan_by_key_implILNS1_25lookback_scan_determinismE0ELb1ES3_N6thrust23THRUST_200600_302600_NS6detail15normal_iteratorINS9_10device_ptrIiEEEENSB_INSC_ItEEEESG_tNS9_4plusIvEENS9_8equal_toIvEEtEE10hipError_tPvRmT2_T3_T4_T5_mT6_T7_P12ihipStream_tbENKUlT_T0_E_clISt17integral_constantIbLb1EES11_EEDaSW_SX_EUlSW_E_NS1_11comp_targetILNS1_3genE2ELNS1_11target_archE906ELNS1_3gpuE6ELNS1_3repE0EEENS1_30default_config_static_selectorELNS0_4arch9wavefront6targetE0EEEvT1_
	.globl	_ZN7rocprim17ROCPRIM_400000_NS6detail17trampoline_kernelINS0_14default_configENS1_27scan_by_key_config_selectorIitEEZZNS1_16scan_by_key_implILNS1_25lookback_scan_determinismE0ELb1ES3_N6thrust23THRUST_200600_302600_NS6detail15normal_iteratorINS9_10device_ptrIiEEEENSB_INSC_ItEEEESG_tNS9_4plusIvEENS9_8equal_toIvEEtEE10hipError_tPvRmT2_T3_T4_T5_mT6_T7_P12ihipStream_tbENKUlT_T0_E_clISt17integral_constantIbLb1EES11_EEDaSW_SX_EUlSW_E_NS1_11comp_targetILNS1_3genE2ELNS1_11target_archE906ELNS1_3gpuE6ELNS1_3repE0EEENS1_30default_config_static_selectorELNS0_4arch9wavefront6targetE0EEEvT1_
	.p2align	8
	.type	_ZN7rocprim17ROCPRIM_400000_NS6detail17trampoline_kernelINS0_14default_configENS1_27scan_by_key_config_selectorIitEEZZNS1_16scan_by_key_implILNS1_25lookback_scan_determinismE0ELb1ES3_N6thrust23THRUST_200600_302600_NS6detail15normal_iteratorINS9_10device_ptrIiEEEENSB_INSC_ItEEEESG_tNS9_4plusIvEENS9_8equal_toIvEEtEE10hipError_tPvRmT2_T3_T4_T5_mT6_T7_P12ihipStream_tbENKUlT_T0_E_clISt17integral_constantIbLb1EES11_EEDaSW_SX_EUlSW_E_NS1_11comp_targetILNS1_3genE2ELNS1_11target_archE906ELNS1_3gpuE6ELNS1_3repE0EEENS1_30default_config_static_selectorELNS0_4arch9wavefront6targetE0EEEvT1_,@function
_ZN7rocprim17ROCPRIM_400000_NS6detail17trampoline_kernelINS0_14default_configENS1_27scan_by_key_config_selectorIitEEZZNS1_16scan_by_key_implILNS1_25lookback_scan_determinismE0ELb1ES3_N6thrust23THRUST_200600_302600_NS6detail15normal_iteratorINS9_10device_ptrIiEEEENSB_INSC_ItEEEESG_tNS9_4plusIvEENS9_8equal_toIvEEtEE10hipError_tPvRmT2_T3_T4_T5_mT6_T7_P12ihipStream_tbENKUlT_T0_E_clISt17integral_constantIbLb1EES11_EEDaSW_SX_EUlSW_E_NS1_11comp_targetILNS1_3genE2ELNS1_11target_archE906ELNS1_3gpuE6ELNS1_3repE0EEENS1_30default_config_static_selectorELNS0_4arch9wavefront6targetE0EEEvT1_: ; @_ZN7rocprim17ROCPRIM_400000_NS6detail17trampoline_kernelINS0_14default_configENS1_27scan_by_key_config_selectorIitEEZZNS1_16scan_by_key_implILNS1_25lookback_scan_determinismE0ELb1ES3_N6thrust23THRUST_200600_302600_NS6detail15normal_iteratorINS9_10device_ptrIiEEEENSB_INSC_ItEEEESG_tNS9_4plusIvEENS9_8equal_toIvEEtEE10hipError_tPvRmT2_T3_T4_T5_mT6_T7_P12ihipStream_tbENKUlT_T0_E_clISt17integral_constantIbLb1EES11_EEDaSW_SX_EUlSW_E_NS1_11comp_targetILNS1_3genE2ELNS1_11target_archE906ELNS1_3gpuE6ELNS1_3repE0EEENS1_30default_config_static_selectorELNS0_4arch9wavefront6targetE0EEEvT1_
; %bb.0:
	.section	.rodata,"a",@progbits
	.p2align	6, 0x0
	.amdhsa_kernel _ZN7rocprim17ROCPRIM_400000_NS6detail17trampoline_kernelINS0_14default_configENS1_27scan_by_key_config_selectorIitEEZZNS1_16scan_by_key_implILNS1_25lookback_scan_determinismE0ELb1ES3_N6thrust23THRUST_200600_302600_NS6detail15normal_iteratorINS9_10device_ptrIiEEEENSB_INSC_ItEEEESG_tNS9_4plusIvEENS9_8equal_toIvEEtEE10hipError_tPvRmT2_T3_T4_T5_mT6_T7_P12ihipStream_tbENKUlT_T0_E_clISt17integral_constantIbLb1EES11_EEDaSW_SX_EUlSW_E_NS1_11comp_targetILNS1_3genE2ELNS1_11target_archE906ELNS1_3gpuE6ELNS1_3repE0EEENS1_30default_config_static_selectorELNS0_4arch9wavefront6targetE0EEEvT1_
		.amdhsa_group_segment_fixed_size 0
		.amdhsa_private_segment_fixed_size 0
		.amdhsa_kernarg_size 112
		.amdhsa_user_sgpr_count 2
		.amdhsa_user_sgpr_dispatch_ptr 0
		.amdhsa_user_sgpr_queue_ptr 0
		.amdhsa_user_sgpr_kernarg_segment_ptr 1
		.amdhsa_user_sgpr_dispatch_id 0
		.amdhsa_user_sgpr_kernarg_preload_length 0
		.amdhsa_user_sgpr_kernarg_preload_offset 0
		.amdhsa_user_sgpr_private_segment_size 0
		.amdhsa_wavefront_size32 1
		.amdhsa_uses_dynamic_stack 0
		.amdhsa_enable_private_segment 0
		.amdhsa_system_sgpr_workgroup_id_x 1
		.amdhsa_system_sgpr_workgroup_id_y 0
		.amdhsa_system_sgpr_workgroup_id_z 0
		.amdhsa_system_sgpr_workgroup_info 0
		.amdhsa_system_vgpr_workitem_id 0
		.amdhsa_next_free_vgpr 1
		.amdhsa_next_free_sgpr 1
		.amdhsa_named_barrier_count 0
		.amdhsa_reserve_vcc 0
		.amdhsa_float_round_mode_32 0
		.amdhsa_float_round_mode_16_64 0
		.amdhsa_float_denorm_mode_32 3
		.amdhsa_float_denorm_mode_16_64 3
		.amdhsa_fp16_overflow 0
		.amdhsa_memory_ordered 1
		.amdhsa_forward_progress 1
		.amdhsa_inst_pref_size 0
		.amdhsa_round_robin_scheduling 0
		.amdhsa_exception_fp_ieee_invalid_op 0
		.amdhsa_exception_fp_denorm_src 0
		.amdhsa_exception_fp_ieee_div_zero 0
		.amdhsa_exception_fp_ieee_overflow 0
		.amdhsa_exception_fp_ieee_underflow 0
		.amdhsa_exception_fp_ieee_inexact 0
		.amdhsa_exception_int_div_zero 0
	.end_amdhsa_kernel
	.section	.text._ZN7rocprim17ROCPRIM_400000_NS6detail17trampoline_kernelINS0_14default_configENS1_27scan_by_key_config_selectorIitEEZZNS1_16scan_by_key_implILNS1_25lookback_scan_determinismE0ELb1ES3_N6thrust23THRUST_200600_302600_NS6detail15normal_iteratorINS9_10device_ptrIiEEEENSB_INSC_ItEEEESG_tNS9_4plusIvEENS9_8equal_toIvEEtEE10hipError_tPvRmT2_T3_T4_T5_mT6_T7_P12ihipStream_tbENKUlT_T0_E_clISt17integral_constantIbLb1EES11_EEDaSW_SX_EUlSW_E_NS1_11comp_targetILNS1_3genE2ELNS1_11target_archE906ELNS1_3gpuE6ELNS1_3repE0EEENS1_30default_config_static_selectorELNS0_4arch9wavefront6targetE0EEEvT1_,"axG",@progbits,_ZN7rocprim17ROCPRIM_400000_NS6detail17trampoline_kernelINS0_14default_configENS1_27scan_by_key_config_selectorIitEEZZNS1_16scan_by_key_implILNS1_25lookback_scan_determinismE0ELb1ES3_N6thrust23THRUST_200600_302600_NS6detail15normal_iteratorINS9_10device_ptrIiEEEENSB_INSC_ItEEEESG_tNS9_4plusIvEENS9_8equal_toIvEEtEE10hipError_tPvRmT2_T3_T4_T5_mT6_T7_P12ihipStream_tbENKUlT_T0_E_clISt17integral_constantIbLb1EES11_EEDaSW_SX_EUlSW_E_NS1_11comp_targetILNS1_3genE2ELNS1_11target_archE906ELNS1_3gpuE6ELNS1_3repE0EEENS1_30default_config_static_selectorELNS0_4arch9wavefront6targetE0EEEvT1_,comdat
.Lfunc_end1549:
	.size	_ZN7rocprim17ROCPRIM_400000_NS6detail17trampoline_kernelINS0_14default_configENS1_27scan_by_key_config_selectorIitEEZZNS1_16scan_by_key_implILNS1_25lookback_scan_determinismE0ELb1ES3_N6thrust23THRUST_200600_302600_NS6detail15normal_iteratorINS9_10device_ptrIiEEEENSB_INSC_ItEEEESG_tNS9_4plusIvEENS9_8equal_toIvEEtEE10hipError_tPvRmT2_T3_T4_T5_mT6_T7_P12ihipStream_tbENKUlT_T0_E_clISt17integral_constantIbLb1EES11_EEDaSW_SX_EUlSW_E_NS1_11comp_targetILNS1_3genE2ELNS1_11target_archE906ELNS1_3gpuE6ELNS1_3repE0EEENS1_30default_config_static_selectorELNS0_4arch9wavefront6targetE0EEEvT1_, .Lfunc_end1549-_ZN7rocprim17ROCPRIM_400000_NS6detail17trampoline_kernelINS0_14default_configENS1_27scan_by_key_config_selectorIitEEZZNS1_16scan_by_key_implILNS1_25lookback_scan_determinismE0ELb1ES3_N6thrust23THRUST_200600_302600_NS6detail15normal_iteratorINS9_10device_ptrIiEEEENSB_INSC_ItEEEESG_tNS9_4plusIvEENS9_8equal_toIvEEtEE10hipError_tPvRmT2_T3_T4_T5_mT6_T7_P12ihipStream_tbENKUlT_T0_E_clISt17integral_constantIbLb1EES11_EEDaSW_SX_EUlSW_E_NS1_11comp_targetILNS1_3genE2ELNS1_11target_archE906ELNS1_3gpuE6ELNS1_3repE0EEENS1_30default_config_static_selectorELNS0_4arch9wavefront6targetE0EEEvT1_
                                        ; -- End function
	.set _ZN7rocprim17ROCPRIM_400000_NS6detail17trampoline_kernelINS0_14default_configENS1_27scan_by_key_config_selectorIitEEZZNS1_16scan_by_key_implILNS1_25lookback_scan_determinismE0ELb1ES3_N6thrust23THRUST_200600_302600_NS6detail15normal_iteratorINS9_10device_ptrIiEEEENSB_INSC_ItEEEESG_tNS9_4plusIvEENS9_8equal_toIvEEtEE10hipError_tPvRmT2_T3_T4_T5_mT6_T7_P12ihipStream_tbENKUlT_T0_E_clISt17integral_constantIbLb1EES11_EEDaSW_SX_EUlSW_E_NS1_11comp_targetILNS1_3genE2ELNS1_11target_archE906ELNS1_3gpuE6ELNS1_3repE0EEENS1_30default_config_static_selectorELNS0_4arch9wavefront6targetE0EEEvT1_.num_vgpr, 0
	.set _ZN7rocprim17ROCPRIM_400000_NS6detail17trampoline_kernelINS0_14default_configENS1_27scan_by_key_config_selectorIitEEZZNS1_16scan_by_key_implILNS1_25lookback_scan_determinismE0ELb1ES3_N6thrust23THRUST_200600_302600_NS6detail15normal_iteratorINS9_10device_ptrIiEEEENSB_INSC_ItEEEESG_tNS9_4plusIvEENS9_8equal_toIvEEtEE10hipError_tPvRmT2_T3_T4_T5_mT6_T7_P12ihipStream_tbENKUlT_T0_E_clISt17integral_constantIbLb1EES11_EEDaSW_SX_EUlSW_E_NS1_11comp_targetILNS1_3genE2ELNS1_11target_archE906ELNS1_3gpuE6ELNS1_3repE0EEENS1_30default_config_static_selectorELNS0_4arch9wavefront6targetE0EEEvT1_.num_agpr, 0
	.set _ZN7rocprim17ROCPRIM_400000_NS6detail17trampoline_kernelINS0_14default_configENS1_27scan_by_key_config_selectorIitEEZZNS1_16scan_by_key_implILNS1_25lookback_scan_determinismE0ELb1ES3_N6thrust23THRUST_200600_302600_NS6detail15normal_iteratorINS9_10device_ptrIiEEEENSB_INSC_ItEEEESG_tNS9_4plusIvEENS9_8equal_toIvEEtEE10hipError_tPvRmT2_T3_T4_T5_mT6_T7_P12ihipStream_tbENKUlT_T0_E_clISt17integral_constantIbLb1EES11_EEDaSW_SX_EUlSW_E_NS1_11comp_targetILNS1_3genE2ELNS1_11target_archE906ELNS1_3gpuE6ELNS1_3repE0EEENS1_30default_config_static_selectorELNS0_4arch9wavefront6targetE0EEEvT1_.numbered_sgpr, 0
	.set _ZN7rocprim17ROCPRIM_400000_NS6detail17trampoline_kernelINS0_14default_configENS1_27scan_by_key_config_selectorIitEEZZNS1_16scan_by_key_implILNS1_25lookback_scan_determinismE0ELb1ES3_N6thrust23THRUST_200600_302600_NS6detail15normal_iteratorINS9_10device_ptrIiEEEENSB_INSC_ItEEEESG_tNS9_4plusIvEENS9_8equal_toIvEEtEE10hipError_tPvRmT2_T3_T4_T5_mT6_T7_P12ihipStream_tbENKUlT_T0_E_clISt17integral_constantIbLb1EES11_EEDaSW_SX_EUlSW_E_NS1_11comp_targetILNS1_3genE2ELNS1_11target_archE906ELNS1_3gpuE6ELNS1_3repE0EEENS1_30default_config_static_selectorELNS0_4arch9wavefront6targetE0EEEvT1_.num_named_barrier, 0
	.set _ZN7rocprim17ROCPRIM_400000_NS6detail17trampoline_kernelINS0_14default_configENS1_27scan_by_key_config_selectorIitEEZZNS1_16scan_by_key_implILNS1_25lookback_scan_determinismE0ELb1ES3_N6thrust23THRUST_200600_302600_NS6detail15normal_iteratorINS9_10device_ptrIiEEEENSB_INSC_ItEEEESG_tNS9_4plusIvEENS9_8equal_toIvEEtEE10hipError_tPvRmT2_T3_T4_T5_mT6_T7_P12ihipStream_tbENKUlT_T0_E_clISt17integral_constantIbLb1EES11_EEDaSW_SX_EUlSW_E_NS1_11comp_targetILNS1_3genE2ELNS1_11target_archE906ELNS1_3gpuE6ELNS1_3repE0EEENS1_30default_config_static_selectorELNS0_4arch9wavefront6targetE0EEEvT1_.private_seg_size, 0
	.set _ZN7rocprim17ROCPRIM_400000_NS6detail17trampoline_kernelINS0_14default_configENS1_27scan_by_key_config_selectorIitEEZZNS1_16scan_by_key_implILNS1_25lookback_scan_determinismE0ELb1ES3_N6thrust23THRUST_200600_302600_NS6detail15normal_iteratorINS9_10device_ptrIiEEEENSB_INSC_ItEEEESG_tNS9_4plusIvEENS9_8equal_toIvEEtEE10hipError_tPvRmT2_T3_T4_T5_mT6_T7_P12ihipStream_tbENKUlT_T0_E_clISt17integral_constantIbLb1EES11_EEDaSW_SX_EUlSW_E_NS1_11comp_targetILNS1_3genE2ELNS1_11target_archE906ELNS1_3gpuE6ELNS1_3repE0EEENS1_30default_config_static_selectorELNS0_4arch9wavefront6targetE0EEEvT1_.uses_vcc, 0
	.set _ZN7rocprim17ROCPRIM_400000_NS6detail17trampoline_kernelINS0_14default_configENS1_27scan_by_key_config_selectorIitEEZZNS1_16scan_by_key_implILNS1_25lookback_scan_determinismE0ELb1ES3_N6thrust23THRUST_200600_302600_NS6detail15normal_iteratorINS9_10device_ptrIiEEEENSB_INSC_ItEEEESG_tNS9_4plusIvEENS9_8equal_toIvEEtEE10hipError_tPvRmT2_T3_T4_T5_mT6_T7_P12ihipStream_tbENKUlT_T0_E_clISt17integral_constantIbLb1EES11_EEDaSW_SX_EUlSW_E_NS1_11comp_targetILNS1_3genE2ELNS1_11target_archE906ELNS1_3gpuE6ELNS1_3repE0EEENS1_30default_config_static_selectorELNS0_4arch9wavefront6targetE0EEEvT1_.uses_flat_scratch, 0
	.set _ZN7rocprim17ROCPRIM_400000_NS6detail17trampoline_kernelINS0_14default_configENS1_27scan_by_key_config_selectorIitEEZZNS1_16scan_by_key_implILNS1_25lookback_scan_determinismE0ELb1ES3_N6thrust23THRUST_200600_302600_NS6detail15normal_iteratorINS9_10device_ptrIiEEEENSB_INSC_ItEEEESG_tNS9_4plusIvEENS9_8equal_toIvEEtEE10hipError_tPvRmT2_T3_T4_T5_mT6_T7_P12ihipStream_tbENKUlT_T0_E_clISt17integral_constantIbLb1EES11_EEDaSW_SX_EUlSW_E_NS1_11comp_targetILNS1_3genE2ELNS1_11target_archE906ELNS1_3gpuE6ELNS1_3repE0EEENS1_30default_config_static_selectorELNS0_4arch9wavefront6targetE0EEEvT1_.has_dyn_sized_stack, 0
	.set _ZN7rocprim17ROCPRIM_400000_NS6detail17trampoline_kernelINS0_14default_configENS1_27scan_by_key_config_selectorIitEEZZNS1_16scan_by_key_implILNS1_25lookback_scan_determinismE0ELb1ES3_N6thrust23THRUST_200600_302600_NS6detail15normal_iteratorINS9_10device_ptrIiEEEENSB_INSC_ItEEEESG_tNS9_4plusIvEENS9_8equal_toIvEEtEE10hipError_tPvRmT2_T3_T4_T5_mT6_T7_P12ihipStream_tbENKUlT_T0_E_clISt17integral_constantIbLb1EES11_EEDaSW_SX_EUlSW_E_NS1_11comp_targetILNS1_3genE2ELNS1_11target_archE906ELNS1_3gpuE6ELNS1_3repE0EEENS1_30default_config_static_selectorELNS0_4arch9wavefront6targetE0EEEvT1_.has_recursion, 0
	.set _ZN7rocprim17ROCPRIM_400000_NS6detail17trampoline_kernelINS0_14default_configENS1_27scan_by_key_config_selectorIitEEZZNS1_16scan_by_key_implILNS1_25lookback_scan_determinismE0ELb1ES3_N6thrust23THRUST_200600_302600_NS6detail15normal_iteratorINS9_10device_ptrIiEEEENSB_INSC_ItEEEESG_tNS9_4plusIvEENS9_8equal_toIvEEtEE10hipError_tPvRmT2_T3_T4_T5_mT6_T7_P12ihipStream_tbENKUlT_T0_E_clISt17integral_constantIbLb1EES11_EEDaSW_SX_EUlSW_E_NS1_11comp_targetILNS1_3genE2ELNS1_11target_archE906ELNS1_3gpuE6ELNS1_3repE0EEENS1_30default_config_static_selectorELNS0_4arch9wavefront6targetE0EEEvT1_.has_indirect_call, 0
	.section	.AMDGPU.csdata,"",@progbits
; Kernel info:
; codeLenInByte = 0
; TotalNumSgprs: 0
; NumVgprs: 0
; ScratchSize: 0
; MemoryBound: 0
; FloatMode: 240
; IeeeMode: 1
; LDSByteSize: 0 bytes/workgroup (compile time only)
; SGPRBlocks: 0
; VGPRBlocks: 0
; NumSGPRsForWavesPerEU: 1
; NumVGPRsForWavesPerEU: 1
; NamedBarCnt: 0
; Occupancy: 16
; WaveLimiterHint : 0
; COMPUTE_PGM_RSRC2:SCRATCH_EN: 0
; COMPUTE_PGM_RSRC2:USER_SGPR: 2
; COMPUTE_PGM_RSRC2:TRAP_HANDLER: 0
; COMPUTE_PGM_RSRC2:TGID_X_EN: 1
; COMPUTE_PGM_RSRC2:TGID_Y_EN: 0
; COMPUTE_PGM_RSRC2:TGID_Z_EN: 0
; COMPUTE_PGM_RSRC2:TIDIG_COMP_CNT: 0
	.section	.text._ZN7rocprim17ROCPRIM_400000_NS6detail17trampoline_kernelINS0_14default_configENS1_27scan_by_key_config_selectorIitEEZZNS1_16scan_by_key_implILNS1_25lookback_scan_determinismE0ELb1ES3_N6thrust23THRUST_200600_302600_NS6detail15normal_iteratorINS9_10device_ptrIiEEEENSB_INSC_ItEEEESG_tNS9_4plusIvEENS9_8equal_toIvEEtEE10hipError_tPvRmT2_T3_T4_T5_mT6_T7_P12ihipStream_tbENKUlT_T0_E_clISt17integral_constantIbLb1EES11_EEDaSW_SX_EUlSW_E_NS1_11comp_targetILNS1_3genE10ELNS1_11target_archE1200ELNS1_3gpuE4ELNS1_3repE0EEENS1_30default_config_static_selectorELNS0_4arch9wavefront6targetE0EEEvT1_,"axG",@progbits,_ZN7rocprim17ROCPRIM_400000_NS6detail17trampoline_kernelINS0_14default_configENS1_27scan_by_key_config_selectorIitEEZZNS1_16scan_by_key_implILNS1_25lookback_scan_determinismE0ELb1ES3_N6thrust23THRUST_200600_302600_NS6detail15normal_iteratorINS9_10device_ptrIiEEEENSB_INSC_ItEEEESG_tNS9_4plusIvEENS9_8equal_toIvEEtEE10hipError_tPvRmT2_T3_T4_T5_mT6_T7_P12ihipStream_tbENKUlT_T0_E_clISt17integral_constantIbLb1EES11_EEDaSW_SX_EUlSW_E_NS1_11comp_targetILNS1_3genE10ELNS1_11target_archE1200ELNS1_3gpuE4ELNS1_3repE0EEENS1_30default_config_static_selectorELNS0_4arch9wavefront6targetE0EEEvT1_,comdat
	.protected	_ZN7rocprim17ROCPRIM_400000_NS6detail17trampoline_kernelINS0_14default_configENS1_27scan_by_key_config_selectorIitEEZZNS1_16scan_by_key_implILNS1_25lookback_scan_determinismE0ELb1ES3_N6thrust23THRUST_200600_302600_NS6detail15normal_iteratorINS9_10device_ptrIiEEEENSB_INSC_ItEEEESG_tNS9_4plusIvEENS9_8equal_toIvEEtEE10hipError_tPvRmT2_T3_T4_T5_mT6_T7_P12ihipStream_tbENKUlT_T0_E_clISt17integral_constantIbLb1EES11_EEDaSW_SX_EUlSW_E_NS1_11comp_targetILNS1_3genE10ELNS1_11target_archE1200ELNS1_3gpuE4ELNS1_3repE0EEENS1_30default_config_static_selectorELNS0_4arch9wavefront6targetE0EEEvT1_ ; -- Begin function _ZN7rocprim17ROCPRIM_400000_NS6detail17trampoline_kernelINS0_14default_configENS1_27scan_by_key_config_selectorIitEEZZNS1_16scan_by_key_implILNS1_25lookback_scan_determinismE0ELb1ES3_N6thrust23THRUST_200600_302600_NS6detail15normal_iteratorINS9_10device_ptrIiEEEENSB_INSC_ItEEEESG_tNS9_4plusIvEENS9_8equal_toIvEEtEE10hipError_tPvRmT2_T3_T4_T5_mT6_T7_P12ihipStream_tbENKUlT_T0_E_clISt17integral_constantIbLb1EES11_EEDaSW_SX_EUlSW_E_NS1_11comp_targetILNS1_3genE10ELNS1_11target_archE1200ELNS1_3gpuE4ELNS1_3repE0EEENS1_30default_config_static_selectorELNS0_4arch9wavefront6targetE0EEEvT1_
	.globl	_ZN7rocprim17ROCPRIM_400000_NS6detail17trampoline_kernelINS0_14default_configENS1_27scan_by_key_config_selectorIitEEZZNS1_16scan_by_key_implILNS1_25lookback_scan_determinismE0ELb1ES3_N6thrust23THRUST_200600_302600_NS6detail15normal_iteratorINS9_10device_ptrIiEEEENSB_INSC_ItEEEESG_tNS9_4plusIvEENS9_8equal_toIvEEtEE10hipError_tPvRmT2_T3_T4_T5_mT6_T7_P12ihipStream_tbENKUlT_T0_E_clISt17integral_constantIbLb1EES11_EEDaSW_SX_EUlSW_E_NS1_11comp_targetILNS1_3genE10ELNS1_11target_archE1200ELNS1_3gpuE4ELNS1_3repE0EEENS1_30default_config_static_selectorELNS0_4arch9wavefront6targetE0EEEvT1_
	.p2align	8
	.type	_ZN7rocprim17ROCPRIM_400000_NS6detail17trampoline_kernelINS0_14default_configENS1_27scan_by_key_config_selectorIitEEZZNS1_16scan_by_key_implILNS1_25lookback_scan_determinismE0ELb1ES3_N6thrust23THRUST_200600_302600_NS6detail15normal_iteratorINS9_10device_ptrIiEEEENSB_INSC_ItEEEESG_tNS9_4plusIvEENS9_8equal_toIvEEtEE10hipError_tPvRmT2_T3_T4_T5_mT6_T7_P12ihipStream_tbENKUlT_T0_E_clISt17integral_constantIbLb1EES11_EEDaSW_SX_EUlSW_E_NS1_11comp_targetILNS1_3genE10ELNS1_11target_archE1200ELNS1_3gpuE4ELNS1_3repE0EEENS1_30default_config_static_selectorELNS0_4arch9wavefront6targetE0EEEvT1_,@function
_ZN7rocprim17ROCPRIM_400000_NS6detail17trampoline_kernelINS0_14default_configENS1_27scan_by_key_config_selectorIitEEZZNS1_16scan_by_key_implILNS1_25lookback_scan_determinismE0ELb1ES3_N6thrust23THRUST_200600_302600_NS6detail15normal_iteratorINS9_10device_ptrIiEEEENSB_INSC_ItEEEESG_tNS9_4plusIvEENS9_8equal_toIvEEtEE10hipError_tPvRmT2_T3_T4_T5_mT6_T7_P12ihipStream_tbENKUlT_T0_E_clISt17integral_constantIbLb1EES11_EEDaSW_SX_EUlSW_E_NS1_11comp_targetILNS1_3genE10ELNS1_11target_archE1200ELNS1_3gpuE4ELNS1_3repE0EEENS1_30default_config_static_selectorELNS0_4arch9wavefront6targetE0EEEvT1_: ; @_ZN7rocprim17ROCPRIM_400000_NS6detail17trampoline_kernelINS0_14default_configENS1_27scan_by_key_config_selectorIitEEZZNS1_16scan_by_key_implILNS1_25lookback_scan_determinismE0ELb1ES3_N6thrust23THRUST_200600_302600_NS6detail15normal_iteratorINS9_10device_ptrIiEEEENSB_INSC_ItEEEESG_tNS9_4plusIvEENS9_8equal_toIvEEtEE10hipError_tPvRmT2_T3_T4_T5_mT6_T7_P12ihipStream_tbENKUlT_T0_E_clISt17integral_constantIbLb1EES11_EEDaSW_SX_EUlSW_E_NS1_11comp_targetILNS1_3genE10ELNS1_11target_archE1200ELNS1_3gpuE4ELNS1_3repE0EEENS1_30default_config_static_selectorELNS0_4arch9wavefront6targetE0EEEvT1_
; %bb.0:
	.section	.rodata,"a",@progbits
	.p2align	6, 0x0
	.amdhsa_kernel _ZN7rocprim17ROCPRIM_400000_NS6detail17trampoline_kernelINS0_14default_configENS1_27scan_by_key_config_selectorIitEEZZNS1_16scan_by_key_implILNS1_25lookback_scan_determinismE0ELb1ES3_N6thrust23THRUST_200600_302600_NS6detail15normal_iteratorINS9_10device_ptrIiEEEENSB_INSC_ItEEEESG_tNS9_4plusIvEENS9_8equal_toIvEEtEE10hipError_tPvRmT2_T3_T4_T5_mT6_T7_P12ihipStream_tbENKUlT_T0_E_clISt17integral_constantIbLb1EES11_EEDaSW_SX_EUlSW_E_NS1_11comp_targetILNS1_3genE10ELNS1_11target_archE1200ELNS1_3gpuE4ELNS1_3repE0EEENS1_30default_config_static_selectorELNS0_4arch9wavefront6targetE0EEEvT1_
		.amdhsa_group_segment_fixed_size 0
		.amdhsa_private_segment_fixed_size 0
		.amdhsa_kernarg_size 112
		.amdhsa_user_sgpr_count 2
		.amdhsa_user_sgpr_dispatch_ptr 0
		.amdhsa_user_sgpr_queue_ptr 0
		.amdhsa_user_sgpr_kernarg_segment_ptr 1
		.amdhsa_user_sgpr_dispatch_id 0
		.amdhsa_user_sgpr_kernarg_preload_length 0
		.amdhsa_user_sgpr_kernarg_preload_offset 0
		.amdhsa_user_sgpr_private_segment_size 0
		.amdhsa_wavefront_size32 1
		.amdhsa_uses_dynamic_stack 0
		.amdhsa_enable_private_segment 0
		.amdhsa_system_sgpr_workgroup_id_x 1
		.amdhsa_system_sgpr_workgroup_id_y 0
		.amdhsa_system_sgpr_workgroup_id_z 0
		.amdhsa_system_sgpr_workgroup_info 0
		.amdhsa_system_vgpr_workitem_id 0
		.amdhsa_next_free_vgpr 1
		.amdhsa_next_free_sgpr 1
		.amdhsa_named_barrier_count 0
		.amdhsa_reserve_vcc 0
		.amdhsa_float_round_mode_32 0
		.amdhsa_float_round_mode_16_64 0
		.amdhsa_float_denorm_mode_32 3
		.amdhsa_float_denorm_mode_16_64 3
		.amdhsa_fp16_overflow 0
		.amdhsa_memory_ordered 1
		.amdhsa_forward_progress 1
		.amdhsa_inst_pref_size 0
		.amdhsa_round_robin_scheduling 0
		.amdhsa_exception_fp_ieee_invalid_op 0
		.amdhsa_exception_fp_denorm_src 0
		.amdhsa_exception_fp_ieee_div_zero 0
		.amdhsa_exception_fp_ieee_overflow 0
		.amdhsa_exception_fp_ieee_underflow 0
		.amdhsa_exception_fp_ieee_inexact 0
		.amdhsa_exception_int_div_zero 0
	.end_amdhsa_kernel
	.section	.text._ZN7rocprim17ROCPRIM_400000_NS6detail17trampoline_kernelINS0_14default_configENS1_27scan_by_key_config_selectorIitEEZZNS1_16scan_by_key_implILNS1_25lookback_scan_determinismE0ELb1ES3_N6thrust23THRUST_200600_302600_NS6detail15normal_iteratorINS9_10device_ptrIiEEEENSB_INSC_ItEEEESG_tNS9_4plusIvEENS9_8equal_toIvEEtEE10hipError_tPvRmT2_T3_T4_T5_mT6_T7_P12ihipStream_tbENKUlT_T0_E_clISt17integral_constantIbLb1EES11_EEDaSW_SX_EUlSW_E_NS1_11comp_targetILNS1_3genE10ELNS1_11target_archE1200ELNS1_3gpuE4ELNS1_3repE0EEENS1_30default_config_static_selectorELNS0_4arch9wavefront6targetE0EEEvT1_,"axG",@progbits,_ZN7rocprim17ROCPRIM_400000_NS6detail17trampoline_kernelINS0_14default_configENS1_27scan_by_key_config_selectorIitEEZZNS1_16scan_by_key_implILNS1_25lookback_scan_determinismE0ELb1ES3_N6thrust23THRUST_200600_302600_NS6detail15normal_iteratorINS9_10device_ptrIiEEEENSB_INSC_ItEEEESG_tNS9_4plusIvEENS9_8equal_toIvEEtEE10hipError_tPvRmT2_T3_T4_T5_mT6_T7_P12ihipStream_tbENKUlT_T0_E_clISt17integral_constantIbLb1EES11_EEDaSW_SX_EUlSW_E_NS1_11comp_targetILNS1_3genE10ELNS1_11target_archE1200ELNS1_3gpuE4ELNS1_3repE0EEENS1_30default_config_static_selectorELNS0_4arch9wavefront6targetE0EEEvT1_,comdat
.Lfunc_end1550:
	.size	_ZN7rocprim17ROCPRIM_400000_NS6detail17trampoline_kernelINS0_14default_configENS1_27scan_by_key_config_selectorIitEEZZNS1_16scan_by_key_implILNS1_25lookback_scan_determinismE0ELb1ES3_N6thrust23THRUST_200600_302600_NS6detail15normal_iteratorINS9_10device_ptrIiEEEENSB_INSC_ItEEEESG_tNS9_4plusIvEENS9_8equal_toIvEEtEE10hipError_tPvRmT2_T3_T4_T5_mT6_T7_P12ihipStream_tbENKUlT_T0_E_clISt17integral_constantIbLb1EES11_EEDaSW_SX_EUlSW_E_NS1_11comp_targetILNS1_3genE10ELNS1_11target_archE1200ELNS1_3gpuE4ELNS1_3repE0EEENS1_30default_config_static_selectorELNS0_4arch9wavefront6targetE0EEEvT1_, .Lfunc_end1550-_ZN7rocprim17ROCPRIM_400000_NS6detail17trampoline_kernelINS0_14default_configENS1_27scan_by_key_config_selectorIitEEZZNS1_16scan_by_key_implILNS1_25lookback_scan_determinismE0ELb1ES3_N6thrust23THRUST_200600_302600_NS6detail15normal_iteratorINS9_10device_ptrIiEEEENSB_INSC_ItEEEESG_tNS9_4plusIvEENS9_8equal_toIvEEtEE10hipError_tPvRmT2_T3_T4_T5_mT6_T7_P12ihipStream_tbENKUlT_T0_E_clISt17integral_constantIbLb1EES11_EEDaSW_SX_EUlSW_E_NS1_11comp_targetILNS1_3genE10ELNS1_11target_archE1200ELNS1_3gpuE4ELNS1_3repE0EEENS1_30default_config_static_selectorELNS0_4arch9wavefront6targetE0EEEvT1_
                                        ; -- End function
	.set _ZN7rocprim17ROCPRIM_400000_NS6detail17trampoline_kernelINS0_14default_configENS1_27scan_by_key_config_selectorIitEEZZNS1_16scan_by_key_implILNS1_25lookback_scan_determinismE0ELb1ES3_N6thrust23THRUST_200600_302600_NS6detail15normal_iteratorINS9_10device_ptrIiEEEENSB_INSC_ItEEEESG_tNS9_4plusIvEENS9_8equal_toIvEEtEE10hipError_tPvRmT2_T3_T4_T5_mT6_T7_P12ihipStream_tbENKUlT_T0_E_clISt17integral_constantIbLb1EES11_EEDaSW_SX_EUlSW_E_NS1_11comp_targetILNS1_3genE10ELNS1_11target_archE1200ELNS1_3gpuE4ELNS1_3repE0EEENS1_30default_config_static_selectorELNS0_4arch9wavefront6targetE0EEEvT1_.num_vgpr, 0
	.set _ZN7rocprim17ROCPRIM_400000_NS6detail17trampoline_kernelINS0_14default_configENS1_27scan_by_key_config_selectorIitEEZZNS1_16scan_by_key_implILNS1_25lookback_scan_determinismE0ELb1ES3_N6thrust23THRUST_200600_302600_NS6detail15normal_iteratorINS9_10device_ptrIiEEEENSB_INSC_ItEEEESG_tNS9_4plusIvEENS9_8equal_toIvEEtEE10hipError_tPvRmT2_T3_T4_T5_mT6_T7_P12ihipStream_tbENKUlT_T0_E_clISt17integral_constantIbLb1EES11_EEDaSW_SX_EUlSW_E_NS1_11comp_targetILNS1_3genE10ELNS1_11target_archE1200ELNS1_3gpuE4ELNS1_3repE0EEENS1_30default_config_static_selectorELNS0_4arch9wavefront6targetE0EEEvT1_.num_agpr, 0
	.set _ZN7rocprim17ROCPRIM_400000_NS6detail17trampoline_kernelINS0_14default_configENS1_27scan_by_key_config_selectorIitEEZZNS1_16scan_by_key_implILNS1_25lookback_scan_determinismE0ELb1ES3_N6thrust23THRUST_200600_302600_NS6detail15normal_iteratorINS9_10device_ptrIiEEEENSB_INSC_ItEEEESG_tNS9_4plusIvEENS9_8equal_toIvEEtEE10hipError_tPvRmT2_T3_T4_T5_mT6_T7_P12ihipStream_tbENKUlT_T0_E_clISt17integral_constantIbLb1EES11_EEDaSW_SX_EUlSW_E_NS1_11comp_targetILNS1_3genE10ELNS1_11target_archE1200ELNS1_3gpuE4ELNS1_3repE0EEENS1_30default_config_static_selectorELNS0_4arch9wavefront6targetE0EEEvT1_.numbered_sgpr, 0
	.set _ZN7rocprim17ROCPRIM_400000_NS6detail17trampoline_kernelINS0_14default_configENS1_27scan_by_key_config_selectorIitEEZZNS1_16scan_by_key_implILNS1_25lookback_scan_determinismE0ELb1ES3_N6thrust23THRUST_200600_302600_NS6detail15normal_iteratorINS9_10device_ptrIiEEEENSB_INSC_ItEEEESG_tNS9_4plusIvEENS9_8equal_toIvEEtEE10hipError_tPvRmT2_T3_T4_T5_mT6_T7_P12ihipStream_tbENKUlT_T0_E_clISt17integral_constantIbLb1EES11_EEDaSW_SX_EUlSW_E_NS1_11comp_targetILNS1_3genE10ELNS1_11target_archE1200ELNS1_3gpuE4ELNS1_3repE0EEENS1_30default_config_static_selectorELNS0_4arch9wavefront6targetE0EEEvT1_.num_named_barrier, 0
	.set _ZN7rocprim17ROCPRIM_400000_NS6detail17trampoline_kernelINS0_14default_configENS1_27scan_by_key_config_selectorIitEEZZNS1_16scan_by_key_implILNS1_25lookback_scan_determinismE0ELb1ES3_N6thrust23THRUST_200600_302600_NS6detail15normal_iteratorINS9_10device_ptrIiEEEENSB_INSC_ItEEEESG_tNS9_4plusIvEENS9_8equal_toIvEEtEE10hipError_tPvRmT2_T3_T4_T5_mT6_T7_P12ihipStream_tbENKUlT_T0_E_clISt17integral_constantIbLb1EES11_EEDaSW_SX_EUlSW_E_NS1_11comp_targetILNS1_3genE10ELNS1_11target_archE1200ELNS1_3gpuE4ELNS1_3repE0EEENS1_30default_config_static_selectorELNS0_4arch9wavefront6targetE0EEEvT1_.private_seg_size, 0
	.set _ZN7rocprim17ROCPRIM_400000_NS6detail17trampoline_kernelINS0_14default_configENS1_27scan_by_key_config_selectorIitEEZZNS1_16scan_by_key_implILNS1_25lookback_scan_determinismE0ELb1ES3_N6thrust23THRUST_200600_302600_NS6detail15normal_iteratorINS9_10device_ptrIiEEEENSB_INSC_ItEEEESG_tNS9_4plusIvEENS9_8equal_toIvEEtEE10hipError_tPvRmT2_T3_T4_T5_mT6_T7_P12ihipStream_tbENKUlT_T0_E_clISt17integral_constantIbLb1EES11_EEDaSW_SX_EUlSW_E_NS1_11comp_targetILNS1_3genE10ELNS1_11target_archE1200ELNS1_3gpuE4ELNS1_3repE0EEENS1_30default_config_static_selectorELNS0_4arch9wavefront6targetE0EEEvT1_.uses_vcc, 0
	.set _ZN7rocprim17ROCPRIM_400000_NS6detail17trampoline_kernelINS0_14default_configENS1_27scan_by_key_config_selectorIitEEZZNS1_16scan_by_key_implILNS1_25lookback_scan_determinismE0ELb1ES3_N6thrust23THRUST_200600_302600_NS6detail15normal_iteratorINS9_10device_ptrIiEEEENSB_INSC_ItEEEESG_tNS9_4plusIvEENS9_8equal_toIvEEtEE10hipError_tPvRmT2_T3_T4_T5_mT6_T7_P12ihipStream_tbENKUlT_T0_E_clISt17integral_constantIbLb1EES11_EEDaSW_SX_EUlSW_E_NS1_11comp_targetILNS1_3genE10ELNS1_11target_archE1200ELNS1_3gpuE4ELNS1_3repE0EEENS1_30default_config_static_selectorELNS0_4arch9wavefront6targetE0EEEvT1_.uses_flat_scratch, 0
	.set _ZN7rocprim17ROCPRIM_400000_NS6detail17trampoline_kernelINS0_14default_configENS1_27scan_by_key_config_selectorIitEEZZNS1_16scan_by_key_implILNS1_25lookback_scan_determinismE0ELb1ES3_N6thrust23THRUST_200600_302600_NS6detail15normal_iteratorINS9_10device_ptrIiEEEENSB_INSC_ItEEEESG_tNS9_4plusIvEENS9_8equal_toIvEEtEE10hipError_tPvRmT2_T3_T4_T5_mT6_T7_P12ihipStream_tbENKUlT_T0_E_clISt17integral_constantIbLb1EES11_EEDaSW_SX_EUlSW_E_NS1_11comp_targetILNS1_3genE10ELNS1_11target_archE1200ELNS1_3gpuE4ELNS1_3repE0EEENS1_30default_config_static_selectorELNS0_4arch9wavefront6targetE0EEEvT1_.has_dyn_sized_stack, 0
	.set _ZN7rocprim17ROCPRIM_400000_NS6detail17trampoline_kernelINS0_14default_configENS1_27scan_by_key_config_selectorIitEEZZNS1_16scan_by_key_implILNS1_25lookback_scan_determinismE0ELb1ES3_N6thrust23THRUST_200600_302600_NS6detail15normal_iteratorINS9_10device_ptrIiEEEENSB_INSC_ItEEEESG_tNS9_4plusIvEENS9_8equal_toIvEEtEE10hipError_tPvRmT2_T3_T4_T5_mT6_T7_P12ihipStream_tbENKUlT_T0_E_clISt17integral_constantIbLb1EES11_EEDaSW_SX_EUlSW_E_NS1_11comp_targetILNS1_3genE10ELNS1_11target_archE1200ELNS1_3gpuE4ELNS1_3repE0EEENS1_30default_config_static_selectorELNS0_4arch9wavefront6targetE0EEEvT1_.has_recursion, 0
	.set _ZN7rocprim17ROCPRIM_400000_NS6detail17trampoline_kernelINS0_14default_configENS1_27scan_by_key_config_selectorIitEEZZNS1_16scan_by_key_implILNS1_25lookback_scan_determinismE0ELb1ES3_N6thrust23THRUST_200600_302600_NS6detail15normal_iteratorINS9_10device_ptrIiEEEENSB_INSC_ItEEEESG_tNS9_4plusIvEENS9_8equal_toIvEEtEE10hipError_tPvRmT2_T3_T4_T5_mT6_T7_P12ihipStream_tbENKUlT_T0_E_clISt17integral_constantIbLb1EES11_EEDaSW_SX_EUlSW_E_NS1_11comp_targetILNS1_3genE10ELNS1_11target_archE1200ELNS1_3gpuE4ELNS1_3repE0EEENS1_30default_config_static_selectorELNS0_4arch9wavefront6targetE0EEEvT1_.has_indirect_call, 0
	.section	.AMDGPU.csdata,"",@progbits
; Kernel info:
; codeLenInByte = 0
; TotalNumSgprs: 0
; NumVgprs: 0
; ScratchSize: 0
; MemoryBound: 0
; FloatMode: 240
; IeeeMode: 1
; LDSByteSize: 0 bytes/workgroup (compile time only)
; SGPRBlocks: 0
; VGPRBlocks: 0
; NumSGPRsForWavesPerEU: 1
; NumVGPRsForWavesPerEU: 1
; NamedBarCnt: 0
; Occupancy: 16
; WaveLimiterHint : 0
; COMPUTE_PGM_RSRC2:SCRATCH_EN: 0
; COMPUTE_PGM_RSRC2:USER_SGPR: 2
; COMPUTE_PGM_RSRC2:TRAP_HANDLER: 0
; COMPUTE_PGM_RSRC2:TGID_X_EN: 1
; COMPUTE_PGM_RSRC2:TGID_Y_EN: 0
; COMPUTE_PGM_RSRC2:TGID_Z_EN: 0
; COMPUTE_PGM_RSRC2:TIDIG_COMP_CNT: 0
	.section	.text._ZN7rocprim17ROCPRIM_400000_NS6detail17trampoline_kernelINS0_14default_configENS1_27scan_by_key_config_selectorIitEEZZNS1_16scan_by_key_implILNS1_25lookback_scan_determinismE0ELb1ES3_N6thrust23THRUST_200600_302600_NS6detail15normal_iteratorINS9_10device_ptrIiEEEENSB_INSC_ItEEEESG_tNS9_4plusIvEENS9_8equal_toIvEEtEE10hipError_tPvRmT2_T3_T4_T5_mT6_T7_P12ihipStream_tbENKUlT_T0_E_clISt17integral_constantIbLb1EES11_EEDaSW_SX_EUlSW_E_NS1_11comp_targetILNS1_3genE9ELNS1_11target_archE1100ELNS1_3gpuE3ELNS1_3repE0EEENS1_30default_config_static_selectorELNS0_4arch9wavefront6targetE0EEEvT1_,"axG",@progbits,_ZN7rocprim17ROCPRIM_400000_NS6detail17trampoline_kernelINS0_14default_configENS1_27scan_by_key_config_selectorIitEEZZNS1_16scan_by_key_implILNS1_25lookback_scan_determinismE0ELb1ES3_N6thrust23THRUST_200600_302600_NS6detail15normal_iteratorINS9_10device_ptrIiEEEENSB_INSC_ItEEEESG_tNS9_4plusIvEENS9_8equal_toIvEEtEE10hipError_tPvRmT2_T3_T4_T5_mT6_T7_P12ihipStream_tbENKUlT_T0_E_clISt17integral_constantIbLb1EES11_EEDaSW_SX_EUlSW_E_NS1_11comp_targetILNS1_3genE9ELNS1_11target_archE1100ELNS1_3gpuE3ELNS1_3repE0EEENS1_30default_config_static_selectorELNS0_4arch9wavefront6targetE0EEEvT1_,comdat
	.protected	_ZN7rocprim17ROCPRIM_400000_NS6detail17trampoline_kernelINS0_14default_configENS1_27scan_by_key_config_selectorIitEEZZNS1_16scan_by_key_implILNS1_25lookback_scan_determinismE0ELb1ES3_N6thrust23THRUST_200600_302600_NS6detail15normal_iteratorINS9_10device_ptrIiEEEENSB_INSC_ItEEEESG_tNS9_4plusIvEENS9_8equal_toIvEEtEE10hipError_tPvRmT2_T3_T4_T5_mT6_T7_P12ihipStream_tbENKUlT_T0_E_clISt17integral_constantIbLb1EES11_EEDaSW_SX_EUlSW_E_NS1_11comp_targetILNS1_3genE9ELNS1_11target_archE1100ELNS1_3gpuE3ELNS1_3repE0EEENS1_30default_config_static_selectorELNS0_4arch9wavefront6targetE0EEEvT1_ ; -- Begin function _ZN7rocprim17ROCPRIM_400000_NS6detail17trampoline_kernelINS0_14default_configENS1_27scan_by_key_config_selectorIitEEZZNS1_16scan_by_key_implILNS1_25lookback_scan_determinismE0ELb1ES3_N6thrust23THRUST_200600_302600_NS6detail15normal_iteratorINS9_10device_ptrIiEEEENSB_INSC_ItEEEESG_tNS9_4plusIvEENS9_8equal_toIvEEtEE10hipError_tPvRmT2_T3_T4_T5_mT6_T7_P12ihipStream_tbENKUlT_T0_E_clISt17integral_constantIbLb1EES11_EEDaSW_SX_EUlSW_E_NS1_11comp_targetILNS1_3genE9ELNS1_11target_archE1100ELNS1_3gpuE3ELNS1_3repE0EEENS1_30default_config_static_selectorELNS0_4arch9wavefront6targetE0EEEvT1_
	.globl	_ZN7rocprim17ROCPRIM_400000_NS6detail17trampoline_kernelINS0_14default_configENS1_27scan_by_key_config_selectorIitEEZZNS1_16scan_by_key_implILNS1_25lookback_scan_determinismE0ELb1ES3_N6thrust23THRUST_200600_302600_NS6detail15normal_iteratorINS9_10device_ptrIiEEEENSB_INSC_ItEEEESG_tNS9_4plusIvEENS9_8equal_toIvEEtEE10hipError_tPvRmT2_T3_T4_T5_mT6_T7_P12ihipStream_tbENKUlT_T0_E_clISt17integral_constantIbLb1EES11_EEDaSW_SX_EUlSW_E_NS1_11comp_targetILNS1_3genE9ELNS1_11target_archE1100ELNS1_3gpuE3ELNS1_3repE0EEENS1_30default_config_static_selectorELNS0_4arch9wavefront6targetE0EEEvT1_
	.p2align	8
	.type	_ZN7rocprim17ROCPRIM_400000_NS6detail17trampoline_kernelINS0_14default_configENS1_27scan_by_key_config_selectorIitEEZZNS1_16scan_by_key_implILNS1_25lookback_scan_determinismE0ELb1ES3_N6thrust23THRUST_200600_302600_NS6detail15normal_iteratorINS9_10device_ptrIiEEEENSB_INSC_ItEEEESG_tNS9_4plusIvEENS9_8equal_toIvEEtEE10hipError_tPvRmT2_T3_T4_T5_mT6_T7_P12ihipStream_tbENKUlT_T0_E_clISt17integral_constantIbLb1EES11_EEDaSW_SX_EUlSW_E_NS1_11comp_targetILNS1_3genE9ELNS1_11target_archE1100ELNS1_3gpuE3ELNS1_3repE0EEENS1_30default_config_static_selectorELNS0_4arch9wavefront6targetE0EEEvT1_,@function
_ZN7rocprim17ROCPRIM_400000_NS6detail17trampoline_kernelINS0_14default_configENS1_27scan_by_key_config_selectorIitEEZZNS1_16scan_by_key_implILNS1_25lookback_scan_determinismE0ELb1ES3_N6thrust23THRUST_200600_302600_NS6detail15normal_iteratorINS9_10device_ptrIiEEEENSB_INSC_ItEEEESG_tNS9_4plusIvEENS9_8equal_toIvEEtEE10hipError_tPvRmT2_T3_T4_T5_mT6_T7_P12ihipStream_tbENKUlT_T0_E_clISt17integral_constantIbLb1EES11_EEDaSW_SX_EUlSW_E_NS1_11comp_targetILNS1_3genE9ELNS1_11target_archE1100ELNS1_3gpuE3ELNS1_3repE0EEENS1_30default_config_static_selectorELNS0_4arch9wavefront6targetE0EEEvT1_: ; @_ZN7rocprim17ROCPRIM_400000_NS6detail17trampoline_kernelINS0_14default_configENS1_27scan_by_key_config_selectorIitEEZZNS1_16scan_by_key_implILNS1_25lookback_scan_determinismE0ELb1ES3_N6thrust23THRUST_200600_302600_NS6detail15normal_iteratorINS9_10device_ptrIiEEEENSB_INSC_ItEEEESG_tNS9_4plusIvEENS9_8equal_toIvEEtEE10hipError_tPvRmT2_T3_T4_T5_mT6_T7_P12ihipStream_tbENKUlT_T0_E_clISt17integral_constantIbLb1EES11_EEDaSW_SX_EUlSW_E_NS1_11comp_targetILNS1_3genE9ELNS1_11target_archE1100ELNS1_3gpuE3ELNS1_3repE0EEENS1_30default_config_static_selectorELNS0_4arch9wavefront6targetE0EEEvT1_
; %bb.0:
	.section	.rodata,"a",@progbits
	.p2align	6, 0x0
	.amdhsa_kernel _ZN7rocprim17ROCPRIM_400000_NS6detail17trampoline_kernelINS0_14default_configENS1_27scan_by_key_config_selectorIitEEZZNS1_16scan_by_key_implILNS1_25lookback_scan_determinismE0ELb1ES3_N6thrust23THRUST_200600_302600_NS6detail15normal_iteratorINS9_10device_ptrIiEEEENSB_INSC_ItEEEESG_tNS9_4plusIvEENS9_8equal_toIvEEtEE10hipError_tPvRmT2_T3_T4_T5_mT6_T7_P12ihipStream_tbENKUlT_T0_E_clISt17integral_constantIbLb1EES11_EEDaSW_SX_EUlSW_E_NS1_11comp_targetILNS1_3genE9ELNS1_11target_archE1100ELNS1_3gpuE3ELNS1_3repE0EEENS1_30default_config_static_selectorELNS0_4arch9wavefront6targetE0EEEvT1_
		.amdhsa_group_segment_fixed_size 0
		.amdhsa_private_segment_fixed_size 0
		.amdhsa_kernarg_size 112
		.amdhsa_user_sgpr_count 2
		.amdhsa_user_sgpr_dispatch_ptr 0
		.amdhsa_user_sgpr_queue_ptr 0
		.amdhsa_user_sgpr_kernarg_segment_ptr 1
		.amdhsa_user_sgpr_dispatch_id 0
		.amdhsa_user_sgpr_kernarg_preload_length 0
		.amdhsa_user_sgpr_kernarg_preload_offset 0
		.amdhsa_user_sgpr_private_segment_size 0
		.amdhsa_wavefront_size32 1
		.amdhsa_uses_dynamic_stack 0
		.amdhsa_enable_private_segment 0
		.amdhsa_system_sgpr_workgroup_id_x 1
		.amdhsa_system_sgpr_workgroup_id_y 0
		.amdhsa_system_sgpr_workgroup_id_z 0
		.amdhsa_system_sgpr_workgroup_info 0
		.amdhsa_system_vgpr_workitem_id 0
		.amdhsa_next_free_vgpr 1
		.amdhsa_next_free_sgpr 1
		.amdhsa_named_barrier_count 0
		.amdhsa_reserve_vcc 0
		.amdhsa_float_round_mode_32 0
		.amdhsa_float_round_mode_16_64 0
		.amdhsa_float_denorm_mode_32 3
		.amdhsa_float_denorm_mode_16_64 3
		.amdhsa_fp16_overflow 0
		.amdhsa_memory_ordered 1
		.amdhsa_forward_progress 1
		.amdhsa_inst_pref_size 0
		.amdhsa_round_robin_scheduling 0
		.amdhsa_exception_fp_ieee_invalid_op 0
		.amdhsa_exception_fp_denorm_src 0
		.amdhsa_exception_fp_ieee_div_zero 0
		.amdhsa_exception_fp_ieee_overflow 0
		.amdhsa_exception_fp_ieee_underflow 0
		.amdhsa_exception_fp_ieee_inexact 0
		.amdhsa_exception_int_div_zero 0
	.end_amdhsa_kernel
	.section	.text._ZN7rocprim17ROCPRIM_400000_NS6detail17trampoline_kernelINS0_14default_configENS1_27scan_by_key_config_selectorIitEEZZNS1_16scan_by_key_implILNS1_25lookback_scan_determinismE0ELb1ES3_N6thrust23THRUST_200600_302600_NS6detail15normal_iteratorINS9_10device_ptrIiEEEENSB_INSC_ItEEEESG_tNS9_4plusIvEENS9_8equal_toIvEEtEE10hipError_tPvRmT2_T3_T4_T5_mT6_T7_P12ihipStream_tbENKUlT_T0_E_clISt17integral_constantIbLb1EES11_EEDaSW_SX_EUlSW_E_NS1_11comp_targetILNS1_3genE9ELNS1_11target_archE1100ELNS1_3gpuE3ELNS1_3repE0EEENS1_30default_config_static_selectorELNS0_4arch9wavefront6targetE0EEEvT1_,"axG",@progbits,_ZN7rocprim17ROCPRIM_400000_NS6detail17trampoline_kernelINS0_14default_configENS1_27scan_by_key_config_selectorIitEEZZNS1_16scan_by_key_implILNS1_25lookback_scan_determinismE0ELb1ES3_N6thrust23THRUST_200600_302600_NS6detail15normal_iteratorINS9_10device_ptrIiEEEENSB_INSC_ItEEEESG_tNS9_4plusIvEENS9_8equal_toIvEEtEE10hipError_tPvRmT2_T3_T4_T5_mT6_T7_P12ihipStream_tbENKUlT_T0_E_clISt17integral_constantIbLb1EES11_EEDaSW_SX_EUlSW_E_NS1_11comp_targetILNS1_3genE9ELNS1_11target_archE1100ELNS1_3gpuE3ELNS1_3repE0EEENS1_30default_config_static_selectorELNS0_4arch9wavefront6targetE0EEEvT1_,comdat
.Lfunc_end1551:
	.size	_ZN7rocprim17ROCPRIM_400000_NS6detail17trampoline_kernelINS0_14default_configENS1_27scan_by_key_config_selectorIitEEZZNS1_16scan_by_key_implILNS1_25lookback_scan_determinismE0ELb1ES3_N6thrust23THRUST_200600_302600_NS6detail15normal_iteratorINS9_10device_ptrIiEEEENSB_INSC_ItEEEESG_tNS9_4plusIvEENS9_8equal_toIvEEtEE10hipError_tPvRmT2_T3_T4_T5_mT6_T7_P12ihipStream_tbENKUlT_T0_E_clISt17integral_constantIbLb1EES11_EEDaSW_SX_EUlSW_E_NS1_11comp_targetILNS1_3genE9ELNS1_11target_archE1100ELNS1_3gpuE3ELNS1_3repE0EEENS1_30default_config_static_selectorELNS0_4arch9wavefront6targetE0EEEvT1_, .Lfunc_end1551-_ZN7rocprim17ROCPRIM_400000_NS6detail17trampoline_kernelINS0_14default_configENS1_27scan_by_key_config_selectorIitEEZZNS1_16scan_by_key_implILNS1_25lookback_scan_determinismE0ELb1ES3_N6thrust23THRUST_200600_302600_NS6detail15normal_iteratorINS9_10device_ptrIiEEEENSB_INSC_ItEEEESG_tNS9_4plusIvEENS9_8equal_toIvEEtEE10hipError_tPvRmT2_T3_T4_T5_mT6_T7_P12ihipStream_tbENKUlT_T0_E_clISt17integral_constantIbLb1EES11_EEDaSW_SX_EUlSW_E_NS1_11comp_targetILNS1_3genE9ELNS1_11target_archE1100ELNS1_3gpuE3ELNS1_3repE0EEENS1_30default_config_static_selectorELNS0_4arch9wavefront6targetE0EEEvT1_
                                        ; -- End function
	.set _ZN7rocprim17ROCPRIM_400000_NS6detail17trampoline_kernelINS0_14default_configENS1_27scan_by_key_config_selectorIitEEZZNS1_16scan_by_key_implILNS1_25lookback_scan_determinismE0ELb1ES3_N6thrust23THRUST_200600_302600_NS6detail15normal_iteratorINS9_10device_ptrIiEEEENSB_INSC_ItEEEESG_tNS9_4plusIvEENS9_8equal_toIvEEtEE10hipError_tPvRmT2_T3_T4_T5_mT6_T7_P12ihipStream_tbENKUlT_T0_E_clISt17integral_constantIbLb1EES11_EEDaSW_SX_EUlSW_E_NS1_11comp_targetILNS1_3genE9ELNS1_11target_archE1100ELNS1_3gpuE3ELNS1_3repE0EEENS1_30default_config_static_selectorELNS0_4arch9wavefront6targetE0EEEvT1_.num_vgpr, 0
	.set _ZN7rocprim17ROCPRIM_400000_NS6detail17trampoline_kernelINS0_14default_configENS1_27scan_by_key_config_selectorIitEEZZNS1_16scan_by_key_implILNS1_25lookback_scan_determinismE0ELb1ES3_N6thrust23THRUST_200600_302600_NS6detail15normal_iteratorINS9_10device_ptrIiEEEENSB_INSC_ItEEEESG_tNS9_4plusIvEENS9_8equal_toIvEEtEE10hipError_tPvRmT2_T3_T4_T5_mT6_T7_P12ihipStream_tbENKUlT_T0_E_clISt17integral_constantIbLb1EES11_EEDaSW_SX_EUlSW_E_NS1_11comp_targetILNS1_3genE9ELNS1_11target_archE1100ELNS1_3gpuE3ELNS1_3repE0EEENS1_30default_config_static_selectorELNS0_4arch9wavefront6targetE0EEEvT1_.num_agpr, 0
	.set _ZN7rocprim17ROCPRIM_400000_NS6detail17trampoline_kernelINS0_14default_configENS1_27scan_by_key_config_selectorIitEEZZNS1_16scan_by_key_implILNS1_25lookback_scan_determinismE0ELb1ES3_N6thrust23THRUST_200600_302600_NS6detail15normal_iteratorINS9_10device_ptrIiEEEENSB_INSC_ItEEEESG_tNS9_4plusIvEENS9_8equal_toIvEEtEE10hipError_tPvRmT2_T3_T4_T5_mT6_T7_P12ihipStream_tbENKUlT_T0_E_clISt17integral_constantIbLb1EES11_EEDaSW_SX_EUlSW_E_NS1_11comp_targetILNS1_3genE9ELNS1_11target_archE1100ELNS1_3gpuE3ELNS1_3repE0EEENS1_30default_config_static_selectorELNS0_4arch9wavefront6targetE0EEEvT1_.numbered_sgpr, 0
	.set _ZN7rocprim17ROCPRIM_400000_NS6detail17trampoline_kernelINS0_14default_configENS1_27scan_by_key_config_selectorIitEEZZNS1_16scan_by_key_implILNS1_25lookback_scan_determinismE0ELb1ES3_N6thrust23THRUST_200600_302600_NS6detail15normal_iteratorINS9_10device_ptrIiEEEENSB_INSC_ItEEEESG_tNS9_4plusIvEENS9_8equal_toIvEEtEE10hipError_tPvRmT2_T3_T4_T5_mT6_T7_P12ihipStream_tbENKUlT_T0_E_clISt17integral_constantIbLb1EES11_EEDaSW_SX_EUlSW_E_NS1_11comp_targetILNS1_3genE9ELNS1_11target_archE1100ELNS1_3gpuE3ELNS1_3repE0EEENS1_30default_config_static_selectorELNS0_4arch9wavefront6targetE0EEEvT1_.num_named_barrier, 0
	.set _ZN7rocprim17ROCPRIM_400000_NS6detail17trampoline_kernelINS0_14default_configENS1_27scan_by_key_config_selectorIitEEZZNS1_16scan_by_key_implILNS1_25lookback_scan_determinismE0ELb1ES3_N6thrust23THRUST_200600_302600_NS6detail15normal_iteratorINS9_10device_ptrIiEEEENSB_INSC_ItEEEESG_tNS9_4plusIvEENS9_8equal_toIvEEtEE10hipError_tPvRmT2_T3_T4_T5_mT6_T7_P12ihipStream_tbENKUlT_T0_E_clISt17integral_constantIbLb1EES11_EEDaSW_SX_EUlSW_E_NS1_11comp_targetILNS1_3genE9ELNS1_11target_archE1100ELNS1_3gpuE3ELNS1_3repE0EEENS1_30default_config_static_selectorELNS0_4arch9wavefront6targetE0EEEvT1_.private_seg_size, 0
	.set _ZN7rocprim17ROCPRIM_400000_NS6detail17trampoline_kernelINS0_14default_configENS1_27scan_by_key_config_selectorIitEEZZNS1_16scan_by_key_implILNS1_25lookback_scan_determinismE0ELb1ES3_N6thrust23THRUST_200600_302600_NS6detail15normal_iteratorINS9_10device_ptrIiEEEENSB_INSC_ItEEEESG_tNS9_4plusIvEENS9_8equal_toIvEEtEE10hipError_tPvRmT2_T3_T4_T5_mT6_T7_P12ihipStream_tbENKUlT_T0_E_clISt17integral_constantIbLb1EES11_EEDaSW_SX_EUlSW_E_NS1_11comp_targetILNS1_3genE9ELNS1_11target_archE1100ELNS1_3gpuE3ELNS1_3repE0EEENS1_30default_config_static_selectorELNS0_4arch9wavefront6targetE0EEEvT1_.uses_vcc, 0
	.set _ZN7rocprim17ROCPRIM_400000_NS6detail17trampoline_kernelINS0_14default_configENS1_27scan_by_key_config_selectorIitEEZZNS1_16scan_by_key_implILNS1_25lookback_scan_determinismE0ELb1ES3_N6thrust23THRUST_200600_302600_NS6detail15normal_iteratorINS9_10device_ptrIiEEEENSB_INSC_ItEEEESG_tNS9_4plusIvEENS9_8equal_toIvEEtEE10hipError_tPvRmT2_T3_T4_T5_mT6_T7_P12ihipStream_tbENKUlT_T0_E_clISt17integral_constantIbLb1EES11_EEDaSW_SX_EUlSW_E_NS1_11comp_targetILNS1_3genE9ELNS1_11target_archE1100ELNS1_3gpuE3ELNS1_3repE0EEENS1_30default_config_static_selectorELNS0_4arch9wavefront6targetE0EEEvT1_.uses_flat_scratch, 0
	.set _ZN7rocprim17ROCPRIM_400000_NS6detail17trampoline_kernelINS0_14default_configENS1_27scan_by_key_config_selectorIitEEZZNS1_16scan_by_key_implILNS1_25lookback_scan_determinismE0ELb1ES3_N6thrust23THRUST_200600_302600_NS6detail15normal_iteratorINS9_10device_ptrIiEEEENSB_INSC_ItEEEESG_tNS9_4plusIvEENS9_8equal_toIvEEtEE10hipError_tPvRmT2_T3_T4_T5_mT6_T7_P12ihipStream_tbENKUlT_T0_E_clISt17integral_constantIbLb1EES11_EEDaSW_SX_EUlSW_E_NS1_11comp_targetILNS1_3genE9ELNS1_11target_archE1100ELNS1_3gpuE3ELNS1_3repE0EEENS1_30default_config_static_selectorELNS0_4arch9wavefront6targetE0EEEvT1_.has_dyn_sized_stack, 0
	.set _ZN7rocprim17ROCPRIM_400000_NS6detail17trampoline_kernelINS0_14default_configENS1_27scan_by_key_config_selectorIitEEZZNS1_16scan_by_key_implILNS1_25lookback_scan_determinismE0ELb1ES3_N6thrust23THRUST_200600_302600_NS6detail15normal_iteratorINS9_10device_ptrIiEEEENSB_INSC_ItEEEESG_tNS9_4plusIvEENS9_8equal_toIvEEtEE10hipError_tPvRmT2_T3_T4_T5_mT6_T7_P12ihipStream_tbENKUlT_T0_E_clISt17integral_constantIbLb1EES11_EEDaSW_SX_EUlSW_E_NS1_11comp_targetILNS1_3genE9ELNS1_11target_archE1100ELNS1_3gpuE3ELNS1_3repE0EEENS1_30default_config_static_selectorELNS0_4arch9wavefront6targetE0EEEvT1_.has_recursion, 0
	.set _ZN7rocprim17ROCPRIM_400000_NS6detail17trampoline_kernelINS0_14default_configENS1_27scan_by_key_config_selectorIitEEZZNS1_16scan_by_key_implILNS1_25lookback_scan_determinismE0ELb1ES3_N6thrust23THRUST_200600_302600_NS6detail15normal_iteratorINS9_10device_ptrIiEEEENSB_INSC_ItEEEESG_tNS9_4plusIvEENS9_8equal_toIvEEtEE10hipError_tPvRmT2_T3_T4_T5_mT6_T7_P12ihipStream_tbENKUlT_T0_E_clISt17integral_constantIbLb1EES11_EEDaSW_SX_EUlSW_E_NS1_11comp_targetILNS1_3genE9ELNS1_11target_archE1100ELNS1_3gpuE3ELNS1_3repE0EEENS1_30default_config_static_selectorELNS0_4arch9wavefront6targetE0EEEvT1_.has_indirect_call, 0
	.section	.AMDGPU.csdata,"",@progbits
; Kernel info:
; codeLenInByte = 0
; TotalNumSgprs: 0
; NumVgprs: 0
; ScratchSize: 0
; MemoryBound: 0
; FloatMode: 240
; IeeeMode: 1
; LDSByteSize: 0 bytes/workgroup (compile time only)
; SGPRBlocks: 0
; VGPRBlocks: 0
; NumSGPRsForWavesPerEU: 1
; NumVGPRsForWavesPerEU: 1
; NamedBarCnt: 0
; Occupancy: 16
; WaveLimiterHint : 0
; COMPUTE_PGM_RSRC2:SCRATCH_EN: 0
; COMPUTE_PGM_RSRC2:USER_SGPR: 2
; COMPUTE_PGM_RSRC2:TRAP_HANDLER: 0
; COMPUTE_PGM_RSRC2:TGID_X_EN: 1
; COMPUTE_PGM_RSRC2:TGID_Y_EN: 0
; COMPUTE_PGM_RSRC2:TGID_Z_EN: 0
; COMPUTE_PGM_RSRC2:TIDIG_COMP_CNT: 0
	.section	.text._ZN7rocprim17ROCPRIM_400000_NS6detail17trampoline_kernelINS0_14default_configENS1_27scan_by_key_config_selectorIitEEZZNS1_16scan_by_key_implILNS1_25lookback_scan_determinismE0ELb1ES3_N6thrust23THRUST_200600_302600_NS6detail15normal_iteratorINS9_10device_ptrIiEEEENSB_INSC_ItEEEESG_tNS9_4plusIvEENS9_8equal_toIvEEtEE10hipError_tPvRmT2_T3_T4_T5_mT6_T7_P12ihipStream_tbENKUlT_T0_E_clISt17integral_constantIbLb1EES11_EEDaSW_SX_EUlSW_E_NS1_11comp_targetILNS1_3genE8ELNS1_11target_archE1030ELNS1_3gpuE2ELNS1_3repE0EEENS1_30default_config_static_selectorELNS0_4arch9wavefront6targetE0EEEvT1_,"axG",@progbits,_ZN7rocprim17ROCPRIM_400000_NS6detail17trampoline_kernelINS0_14default_configENS1_27scan_by_key_config_selectorIitEEZZNS1_16scan_by_key_implILNS1_25lookback_scan_determinismE0ELb1ES3_N6thrust23THRUST_200600_302600_NS6detail15normal_iteratorINS9_10device_ptrIiEEEENSB_INSC_ItEEEESG_tNS9_4plusIvEENS9_8equal_toIvEEtEE10hipError_tPvRmT2_T3_T4_T5_mT6_T7_P12ihipStream_tbENKUlT_T0_E_clISt17integral_constantIbLb1EES11_EEDaSW_SX_EUlSW_E_NS1_11comp_targetILNS1_3genE8ELNS1_11target_archE1030ELNS1_3gpuE2ELNS1_3repE0EEENS1_30default_config_static_selectorELNS0_4arch9wavefront6targetE0EEEvT1_,comdat
	.protected	_ZN7rocprim17ROCPRIM_400000_NS6detail17trampoline_kernelINS0_14default_configENS1_27scan_by_key_config_selectorIitEEZZNS1_16scan_by_key_implILNS1_25lookback_scan_determinismE0ELb1ES3_N6thrust23THRUST_200600_302600_NS6detail15normal_iteratorINS9_10device_ptrIiEEEENSB_INSC_ItEEEESG_tNS9_4plusIvEENS9_8equal_toIvEEtEE10hipError_tPvRmT2_T3_T4_T5_mT6_T7_P12ihipStream_tbENKUlT_T0_E_clISt17integral_constantIbLb1EES11_EEDaSW_SX_EUlSW_E_NS1_11comp_targetILNS1_3genE8ELNS1_11target_archE1030ELNS1_3gpuE2ELNS1_3repE0EEENS1_30default_config_static_selectorELNS0_4arch9wavefront6targetE0EEEvT1_ ; -- Begin function _ZN7rocprim17ROCPRIM_400000_NS6detail17trampoline_kernelINS0_14default_configENS1_27scan_by_key_config_selectorIitEEZZNS1_16scan_by_key_implILNS1_25lookback_scan_determinismE0ELb1ES3_N6thrust23THRUST_200600_302600_NS6detail15normal_iteratorINS9_10device_ptrIiEEEENSB_INSC_ItEEEESG_tNS9_4plusIvEENS9_8equal_toIvEEtEE10hipError_tPvRmT2_T3_T4_T5_mT6_T7_P12ihipStream_tbENKUlT_T0_E_clISt17integral_constantIbLb1EES11_EEDaSW_SX_EUlSW_E_NS1_11comp_targetILNS1_3genE8ELNS1_11target_archE1030ELNS1_3gpuE2ELNS1_3repE0EEENS1_30default_config_static_selectorELNS0_4arch9wavefront6targetE0EEEvT1_
	.globl	_ZN7rocprim17ROCPRIM_400000_NS6detail17trampoline_kernelINS0_14default_configENS1_27scan_by_key_config_selectorIitEEZZNS1_16scan_by_key_implILNS1_25lookback_scan_determinismE0ELb1ES3_N6thrust23THRUST_200600_302600_NS6detail15normal_iteratorINS9_10device_ptrIiEEEENSB_INSC_ItEEEESG_tNS9_4plusIvEENS9_8equal_toIvEEtEE10hipError_tPvRmT2_T3_T4_T5_mT6_T7_P12ihipStream_tbENKUlT_T0_E_clISt17integral_constantIbLb1EES11_EEDaSW_SX_EUlSW_E_NS1_11comp_targetILNS1_3genE8ELNS1_11target_archE1030ELNS1_3gpuE2ELNS1_3repE0EEENS1_30default_config_static_selectorELNS0_4arch9wavefront6targetE0EEEvT1_
	.p2align	8
	.type	_ZN7rocprim17ROCPRIM_400000_NS6detail17trampoline_kernelINS0_14default_configENS1_27scan_by_key_config_selectorIitEEZZNS1_16scan_by_key_implILNS1_25lookback_scan_determinismE0ELb1ES3_N6thrust23THRUST_200600_302600_NS6detail15normal_iteratorINS9_10device_ptrIiEEEENSB_INSC_ItEEEESG_tNS9_4plusIvEENS9_8equal_toIvEEtEE10hipError_tPvRmT2_T3_T4_T5_mT6_T7_P12ihipStream_tbENKUlT_T0_E_clISt17integral_constantIbLb1EES11_EEDaSW_SX_EUlSW_E_NS1_11comp_targetILNS1_3genE8ELNS1_11target_archE1030ELNS1_3gpuE2ELNS1_3repE0EEENS1_30default_config_static_selectorELNS0_4arch9wavefront6targetE0EEEvT1_,@function
_ZN7rocprim17ROCPRIM_400000_NS6detail17trampoline_kernelINS0_14default_configENS1_27scan_by_key_config_selectorIitEEZZNS1_16scan_by_key_implILNS1_25lookback_scan_determinismE0ELb1ES3_N6thrust23THRUST_200600_302600_NS6detail15normal_iteratorINS9_10device_ptrIiEEEENSB_INSC_ItEEEESG_tNS9_4plusIvEENS9_8equal_toIvEEtEE10hipError_tPvRmT2_T3_T4_T5_mT6_T7_P12ihipStream_tbENKUlT_T0_E_clISt17integral_constantIbLb1EES11_EEDaSW_SX_EUlSW_E_NS1_11comp_targetILNS1_3genE8ELNS1_11target_archE1030ELNS1_3gpuE2ELNS1_3repE0EEENS1_30default_config_static_selectorELNS0_4arch9wavefront6targetE0EEEvT1_: ; @_ZN7rocprim17ROCPRIM_400000_NS6detail17trampoline_kernelINS0_14default_configENS1_27scan_by_key_config_selectorIitEEZZNS1_16scan_by_key_implILNS1_25lookback_scan_determinismE0ELb1ES3_N6thrust23THRUST_200600_302600_NS6detail15normal_iteratorINS9_10device_ptrIiEEEENSB_INSC_ItEEEESG_tNS9_4plusIvEENS9_8equal_toIvEEtEE10hipError_tPvRmT2_T3_T4_T5_mT6_T7_P12ihipStream_tbENKUlT_T0_E_clISt17integral_constantIbLb1EES11_EEDaSW_SX_EUlSW_E_NS1_11comp_targetILNS1_3genE8ELNS1_11target_archE1030ELNS1_3gpuE2ELNS1_3repE0EEENS1_30default_config_static_selectorELNS0_4arch9wavefront6targetE0EEEvT1_
; %bb.0:
	.section	.rodata,"a",@progbits
	.p2align	6, 0x0
	.amdhsa_kernel _ZN7rocprim17ROCPRIM_400000_NS6detail17trampoline_kernelINS0_14default_configENS1_27scan_by_key_config_selectorIitEEZZNS1_16scan_by_key_implILNS1_25lookback_scan_determinismE0ELb1ES3_N6thrust23THRUST_200600_302600_NS6detail15normal_iteratorINS9_10device_ptrIiEEEENSB_INSC_ItEEEESG_tNS9_4plusIvEENS9_8equal_toIvEEtEE10hipError_tPvRmT2_T3_T4_T5_mT6_T7_P12ihipStream_tbENKUlT_T0_E_clISt17integral_constantIbLb1EES11_EEDaSW_SX_EUlSW_E_NS1_11comp_targetILNS1_3genE8ELNS1_11target_archE1030ELNS1_3gpuE2ELNS1_3repE0EEENS1_30default_config_static_selectorELNS0_4arch9wavefront6targetE0EEEvT1_
		.amdhsa_group_segment_fixed_size 0
		.amdhsa_private_segment_fixed_size 0
		.amdhsa_kernarg_size 112
		.amdhsa_user_sgpr_count 2
		.amdhsa_user_sgpr_dispatch_ptr 0
		.amdhsa_user_sgpr_queue_ptr 0
		.amdhsa_user_sgpr_kernarg_segment_ptr 1
		.amdhsa_user_sgpr_dispatch_id 0
		.amdhsa_user_sgpr_kernarg_preload_length 0
		.amdhsa_user_sgpr_kernarg_preload_offset 0
		.amdhsa_user_sgpr_private_segment_size 0
		.amdhsa_wavefront_size32 1
		.amdhsa_uses_dynamic_stack 0
		.amdhsa_enable_private_segment 0
		.amdhsa_system_sgpr_workgroup_id_x 1
		.amdhsa_system_sgpr_workgroup_id_y 0
		.amdhsa_system_sgpr_workgroup_id_z 0
		.amdhsa_system_sgpr_workgroup_info 0
		.amdhsa_system_vgpr_workitem_id 0
		.amdhsa_next_free_vgpr 1
		.amdhsa_next_free_sgpr 1
		.amdhsa_named_barrier_count 0
		.amdhsa_reserve_vcc 0
		.amdhsa_float_round_mode_32 0
		.amdhsa_float_round_mode_16_64 0
		.amdhsa_float_denorm_mode_32 3
		.amdhsa_float_denorm_mode_16_64 3
		.amdhsa_fp16_overflow 0
		.amdhsa_memory_ordered 1
		.amdhsa_forward_progress 1
		.amdhsa_inst_pref_size 0
		.amdhsa_round_robin_scheduling 0
		.amdhsa_exception_fp_ieee_invalid_op 0
		.amdhsa_exception_fp_denorm_src 0
		.amdhsa_exception_fp_ieee_div_zero 0
		.amdhsa_exception_fp_ieee_overflow 0
		.amdhsa_exception_fp_ieee_underflow 0
		.amdhsa_exception_fp_ieee_inexact 0
		.amdhsa_exception_int_div_zero 0
	.end_amdhsa_kernel
	.section	.text._ZN7rocprim17ROCPRIM_400000_NS6detail17trampoline_kernelINS0_14default_configENS1_27scan_by_key_config_selectorIitEEZZNS1_16scan_by_key_implILNS1_25lookback_scan_determinismE0ELb1ES3_N6thrust23THRUST_200600_302600_NS6detail15normal_iteratorINS9_10device_ptrIiEEEENSB_INSC_ItEEEESG_tNS9_4plusIvEENS9_8equal_toIvEEtEE10hipError_tPvRmT2_T3_T4_T5_mT6_T7_P12ihipStream_tbENKUlT_T0_E_clISt17integral_constantIbLb1EES11_EEDaSW_SX_EUlSW_E_NS1_11comp_targetILNS1_3genE8ELNS1_11target_archE1030ELNS1_3gpuE2ELNS1_3repE0EEENS1_30default_config_static_selectorELNS0_4arch9wavefront6targetE0EEEvT1_,"axG",@progbits,_ZN7rocprim17ROCPRIM_400000_NS6detail17trampoline_kernelINS0_14default_configENS1_27scan_by_key_config_selectorIitEEZZNS1_16scan_by_key_implILNS1_25lookback_scan_determinismE0ELb1ES3_N6thrust23THRUST_200600_302600_NS6detail15normal_iteratorINS9_10device_ptrIiEEEENSB_INSC_ItEEEESG_tNS9_4plusIvEENS9_8equal_toIvEEtEE10hipError_tPvRmT2_T3_T4_T5_mT6_T7_P12ihipStream_tbENKUlT_T0_E_clISt17integral_constantIbLb1EES11_EEDaSW_SX_EUlSW_E_NS1_11comp_targetILNS1_3genE8ELNS1_11target_archE1030ELNS1_3gpuE2ELNS1_3repE0EEENS1_30default_config_static_selectorELNS0_4arch9wavefront6targetE0EEEvT1_,comdat
.Lfunc_end1552:
	.size	_ZN7rocprim17ROCPRIM_400000_NS6detail17trampoline_kernelINS0_14default_configENS1_27scan_by_key_config_selectorIitEEZZNS1_16scan_by_key_implILNS1_25lookback_scan_determinismE0ELb1ES3_N6thrust23THRUST_200600_302600_NS6detail15normal_iteratorINS9_10device_ptrIiEEEENSB_INSC_ItEEEESG_tNS9_4plusIvEENS9_8equal_toIvEEtEE10hipError_tPvRmT2_T3_T4_T5_mT6_T7_P12ihipStream_tbENKUlT_T0_E_clISt17integral_constantIbLb1EES11_EEDaSW_SX_EUlSW_E_NS1_11comp_targetILNS1_3genE8ELNS1_11target_archE1030ELNS1_3gpuE2ELNS1_3repE0EEENS1_30default_config_static_selectorELNS0_4arch9wavefront6targetE0EEEvT1_, .Lfunc_end1552-_ZN7rocprim17ROCPRIM_400000_NS6detail17trampoline_kernelINS0_14default_configENS1_27scan_by_key_config_selectorIitEEZZNS1_16scan_by_key_implILNS1_25lookback_scan_determinismE0ELb1ES3_N6thrust23THRUST_200600_302600_NS6detail15normal_iteratorINS9_10device_ptrIiEEEENSB_INSC_ItEEEESG_tNS9_4plusIvEENS9_8equal_toIvEEtEE10hipError_tPvRmT2_T3_T4_T5_mT6_T7_P12ihipStream_tbENKUlT_T0_E_clISt17integral_constantIbLb1EES11_EEDaSW_SX_EUlSW_E_NS1_11comp_targetILNS1_3genE8ELNS1_11target_archE1030ELNS1_3gpuE2ELNS1_3repE0EEENS1_30default_config_static_selectorELNS0_4arch9wavefront6targetE0EEEvT1_
                                        ; -- End function
	.set _ZN7rocprim17ROCPRIM_400000_NS6detail17trampoline_kernelINS0_14default_configENS1_27scan_by_key_config_selectorIitEEZZNS1_16scan_by_key_implILNS1_25lookback_scan_determinismE0ELb1ES3_N6thrust23THRUST_200600_302600_NS6detail15normal_iteratorINS9_10device_ptrIiEEEENSB_INSC_ItEEEESG_tNS9_4plusIvEENS9_8equal_toIvEEtEE10hipError_tPvRmT2_T3_T4_T5_mT6_T7_P12ihipStream_tbENKUlT_T0_E_clISt17integral_constantIbLb1EES11_EEDaSW_SX_EUlSW_E_NS1_11comp_targetILNS1_3genE8ELNS1_11target_archE1030ELNS1_3gpuE2ELNS1_3repE0EEENS1_30default_config_static_selectorELNS0_4arch9wavefront6targetE0EEEvT1_.num_vgpr, 0
	.set _ZN7rocprim17ROCPRIM_400000_NS6detail17trampoline_kernelINS0_14default_configENS1_27scan_by_key_config_selectorIitEEZZNS1_16scan_by_key_implILNS1_25lookback_scan_determinismE0ELb1ES3_N6thrust23THRUST_200600_302600_NS6detail15normal_iteratorINS9_10device_ptrIiEEEENSB_INSC_ItEEEESG_tNS9_4plusIvEENS9_8equal_toIvEEtEE10hipError_tPvRmT2_T3_T4_T5_mT6_T7_P12ihipStream_tbENKUlT_T0_E_clISt17integral_constantIbLb1EES11_EEDaSW_SX_EUlSW_E_NS1_11comp_targetILNS1_3genE8ELNS1_11target_archE1030ELNS1_3gpuE2ELNS1_3repE0EEENS1_30default_config_static_selectorELNS0_4arch9wavefront6targetE0EEEvT1_.num_agpr, 0
	.set _ZN7rocprim17ROCPRIM_400000_NS6detail17trampoline_kernelINS0_14default_configENS1_27scan_by_key_config_selectorIitEEZZNS1_16scan_by_key_implILNS1_25lookback_scan_determinismE0ELb1ES3_N6thrust23THRUST_200600_302600_NS6detail15normal_iteratorINS9_10device_ptrIiEEEENSB_INSC_ItEEEESG_tNS9_4plusIvEENS9_8equal_toIvEEtEE10hipError_tPvRmT2_T3_T4_T5_mT6_T7_P12ihipStream_tbENKUlT_T0_E_clISt17integral_constantIbLb1EES11_EEDaSW_SX_EUlSW_E_NS1_11comp_targetILNS1_3genE8ELNS1_11target_archE1030ELNS1_3gpuE2ELNS1_3repE0EEENS1_30default_config_static_selectorELNS0_4arch9wavefront6targetE0EEEvT1_.numbered_sgpr, 0
	.set _ZN7rocprim17ROCPRIM_400000_NS6detail17trampoline_kernelINS0_14default_configENS1_27scan_by_key_config_selectorIitEEZZNS1_16scan_by_key_implILNS1_25lookback_scan_determinismE0ELb1ES3_N6thrust23THRUST_200600_302600_NS6detail15normal_iteratorINS9_10device_ptrIiEEEENSB_INSC_ItEEEESG_tNS9_4plusIvEENS9_8equal_toIvEEtEE10hipError_tPvRmT2_T3_T4_T5_mT6_T7_P12ihipStream_tbENKUlT_T0_E_clISt17integral_constantIbLb1EES11_EEDaSW_SX_EUlSW_E_NS1_11comp_targetILNS1_3genE8ELNS1_11target_archE1030ELNS1_3gpuE2ELNS1_3repE0EEENS1_30default_config_static_selectorELNS0_4arch9wavefront6targetE0EEEvT1_.num_named_barrier, 0
	.set _ZN7rocprim17ROCPRIM_400000_NS6detail17trampoline_kernelINS0_14default_configENS1_27scan_by_key_config_selectorIitEEZZNS1_16scan_by_key_implILNS1_25lookback_scan_determinismE0ELb1ES3_N6thrust23THRUST_200600_302600_NS6detail15normal_iteratorINS9_10device_ptrIiEEEENSB_INSC_ItEEEESG_tNS9_4plusIvEENS9_8equal_toIvEEtEE10hipError_tPvRmT2_T3_T4_T5_mT6_T7_P12ihipStream_tbENKUlT_T0_E_clISt17integral_constantIbLb1EES11_EEDaSW_SX_EUlSW_E_NS1_11comp_targetILNS1_3genE8ELNS1_11target_archE1030ELNS1_3gpuE2ELNS1_3repE0EEENS1_30default_config_static_selectorELNS0_4arch9wavefront6targetE0EEEvT1_.private_seg_size, 0
	.set _ZN7rocprim17ROCPRIM_400000_NS6detail17trampoline_kernelINS0_14default_configENS1_27scan_by_key_config_selectorIitEEZZNS1_16scan_by_key_implILNS1_25lookback_scan_determinismE0ELb1ES3_N6thrust23THRUST_200600_302600_NS6detail15normal_iteratorINS9_10device_ptrIiEEEENSB_INSC_ItEEEESG_tNS9_4plusIvEENS9_8equal_toIvEEtEE10hipError_tPvRmT2_T3_T4_T5_mT6_T7_P12ihipStream_tbENKUlT_T0_E_clISt17integral_constantIbLb1EES11_EEDaSW_SX_EUlSW_E_NS1_11comp_targetILNS1_3genE8ELNS1_11target_archE1030ELNS1_3gpuE2ELNS1_3repE0EEENS1_30default_config_static_selectorELNS0_4arch9wavefront6targetE0EEEvT1_.uses_vcc, 0
	.set _ZN7rocprim17ROCPRIM_400000_NS6detail17trampoline_kernelINS0_14default_configENS1_27scan_by_key_config_selectorIitEEZZNS1_16scan_by_key_implILNS1_25lookback_scan_determinismE0ELb1ES3_N6thrust23THRUST_200600_302600_NS6detail15normal_iteratorINS9_10device_ptrIiEEEENSB_INSC_ItEEEESG_tNS9_4plusIvEENS9_8equal_toIvEEtEE10hipError_tPvRmT2_T3_T4_T5_mT6_T7_P12ihipStream_tbENKUlT_T0_E_clISt17integral_constantIbLb1EES11_EEDaSW_SX_EUlSW_E_NS1_11comp_targetILNS1_3genE8ELNS1_11target_archE1030ELNS1_3gpuE2ELNS1_3repE0EEENS1_30default_config_static_selectorELNS0_4arch9wavefront6targetE0EEEvT1_.uses_flat_scratch, 0
	.set _ZN7rocprim17ROCPRIM_400000_NS6detail17trampoline_kernelINS0_14default_configENS1_27scan_by_key_config_selectorIitEEZZNS1_16scan_by_key_implILNS1_25lookback_scan_determinismE0ELb1ES3_N6thrust23THRUST_200600_302600_NS6detail15normal_iteratorINS9_10device_ptrIiEEEENSB_INSC_ItEEEESG_tNS9_4plusIvEENS9_8equal_toIvEEtEE10hipError_tPvRmT2_T3_T4_T5_mT6_T7_P12ihipStream_tbENKUlT_T0_E_clISt17integral_constantIbLb1EES11_EEDaSW_SX_EUlSW_E_NS1_11comp_targetILNS1_3genE8ELNS1_11target_archE1030ELNS1_3gpuE2ELNS1_3repE0EEENS1_30default_config_static_selectorELNS0_4arch9wavefront6targetE0EEEvT1_.has_dyn_sized_stack, 0
	.set _ZN7rocprim17ROCPRIM_400000_NS6detail17trampoline_kernelINS0_14default_configENS1_27scan_by_key_config_selectorIitEEZZNS1_16scan_by_key_implILNS1_25lookback_scan_determinismE0ELb1ES3_N6thrust23THRUST_200600_302600_NS6detail15normal_iteratorINS9_10device_ptrIiEEEENSB_INSC_ItEEEESG_tNS9_4plusIvEENS9_8equal_toIvEEtEE10hipError_tPvRmT2_T3_T4_T5_mT6_T7_P12ihipStream_tbENKUlT_T0_E_clISt17integral_constantIbLb1EES11_EEDaSW_SX_EUlSW_E_NS1_11comp_targetILNS1_3genE8ELNS1_11target_archE1030ELNS1_3gpuE2ELNS1_3repE0EEENS1_30default_config_static_selectorELNS0_4arch9wavefront6targetE0EEEvT1_.has_recursion, 0
	.set _ZN7rocprim17ROCPRIM_400000_NS6detail17trampoline_kernelINS0_14default_configENS1_27scan_by_key_config_selectorIitEEZZNS1_16scan_by_key_implILNS1_25lookback_scan_determinismE0ELb1ES3_N6thrust23THRUST_200600_302600_NS6detail15normal_iteratorINS9_10device_ptrIiEEEENSB_INSC_ItEEEESG_tNS9_4plusIvEENS9_8equal_toIvEEtEE10hipError_tPvRmT2_T3_T4_T5_mT6_T7_P12ihipStream_tbENKUlT_T0_E_clISt17integral_constantIbLb1EES11_EEDaSW_SX_EUlSW_E_NS1_11comp_targetILNS1_3genE8ELNS1_11target_archE1030ELNS1_3gpuE2ELNS1_3repE0EEENS1_30default_config_static_selectorELNS0_4arch9wavefront6targetE0EEEvT1_.has_indirect_call, 0
	.section	.AMDGPU.csdata,"",@progbits
; Kernel info:
; codeLenInByte = 0
; TotalNumSgprs: 0
; NumVgprs: 0
; ScratchSize: 0
; MemoryBound: 0
; FloatMode: 240
; IeeeMode: 1
; LDSByteSize: 0 bytes/workgroup (compile time only)
; SGPRBlocks: 0
; VGPRBlocks: 0
; NumSGPRsForWavesPerEU: 1
; NumVGPRsForWavesPerEU: 1
; NamedBarCnt: 0
; Occupancy: 16
; WaveLimiterHint : 0
; COMPUTE_PGM_RSRC2:SCRATCH_EN: 0
; COMPUTE_PGM_RSRC2:USER_SGPR: 2
; COMPUTE_PGM_RSRC2:TRAP_HANDLER: 0
; COMPUTE_PGM_RSRC2:TGID_X_EN: 1
; COMPUTE_PGM_RSRC2:TGID_Y_EN: 0
; COMPUTE_PGM_RSRC2:TGID_Z_EN: 0
; COMPUTE_PGM_RSRC2:TIDIG_COMP_CNT: 0
	.section	.text._ZN7rocprim17ROCPRIM_400000_NS6detail17trampoline_kernelINS0_14default_configENS1_27scan_by_key_config_selectorIitEEZZNS1_16scan_by_key_implILNS1_25lookback_scan_determinismE0ELb1ES3_N6thrust23THRUST_200600_302600_NS6detail15normal_iteratorINS9_10device_ptrIiEEEENSB_INSC_ItEEEESG_tNS9_4plusIvEENS9_8equal_toIvEEtEE10hipError_tPvRmT2_T3_T4_T5_mT6_T7_P12ihipStream_tbENKUlT_T0_E_clISt17integral_constantIbLb1EES10_IbLb0EEEEDaSW_SX_EUlSW_E_NS1_11comp_targetILNS1_3genE0ELNS1_11target_archE4294967295ELNS1_3gpuE0ELNS1_3repE0EEENS1_30default_config_static_selectorELNS0_4arch9wavefront6targetE0EEEvT1_,"axG",@progbits,_ZN7rocprim17ROCPRIM_400000_NS6detail17trampoline_kernelINS0_14default_configENS1_27scan_by_key_config_selectorIitEEZZNS1_16scan_by_key_implILNS1_25lookback_scan_determinismE0ELb1ES3_N6thrust23THRUST_200600_302600_NS6detail15normal_iteratorINS9_10device_ptrIiEEEENSB_INSC_ItEEEESG_tNS9_4plusIvEENS9_8equal_toIvEEtEE10hipError_tPvRmT2_T3_T4_T5_mT6_T7_P12ihipStream_tbENKUlT_T0_E_clISt17integral_constantIbLb1EES10_IbLb0EEEEDaSW_SX_EUlSW_E_NS1_11comp_targetILNS1_3genE0ELNS1_11target_archE4294967295ELNS1_3gpuE0ELNS1_3repE0EEENS1_30default_config_static_selectorELNS0_4arch9wavefront6targetE0EEEvT1_,comdat
	.protected	_ZN7rocprim17ROCPRIM_400000_NS6detail17trampoline_kernelINS0_14default_configENS1_27scan_by_key_config_selectorIitEEZZNS1_16scan_by_key_implILNS1_25lookback_scan_determinismE0ELb1ES3_N6thrust23THRUST_200600_302600_NS6detail15normal_iteratorINS9_10device_ptrIiEEEENSB_INSC_ItEEEESG_tNS9_4plusIvEENS9_8equal_toIvEEtEE10hipError_tPvRmT2_T3_T4_T5_mT6_T7_P12ihipStream_tbENKUlT_T0_E_clISt17integral_constantIbLb1EES10_IbLb0EEEEDaSW_SX_EUlSW_E_NS1_11comp_targetILNS1_3genE0ELNS1_11target_archE4294967295ELNS1_3gpuE0ELNS1_3repE0EEENS1_30default_config_static_selectorELNS0_4arch9wavefront6targetE0EEEvT1_ ; -- Begin function _ZN7rocprim17ROCPRIM_400000_NS6detail17trampoline_kernelINS0_14default_configENS1_27scan_by_key_config_selectorIitEEZZNS1_16scan_by_key_implILNS1_25lookback_scan_determinismE0ELb1ES3_N6thrust23THRUST_200600_302600_NS6detail15normal_iteratorINS9_10device_ptrIiEEEENSB_INSC_ItEEEESG_tNS9_4plusIvEENS9_8equal_toIvEEtEE10hipError_tPvRmT2_T3_T4_T5_mT6_T7_P12ihipStream_tbENKUlT_T0_E_clISt17integral_constantIbLb1EES10_IbLb0EEEEDaSW_SX_EUlSW_E_NS1_11comp_targetILNS1_3genE0ELNS1_11target_archE4294967295ELNS1_3gpuE0ELNS1_3repE0EEENS1_30default_config_static_selectorELNS0_4arch9wavefront6targetE0EEEvT1_
	.globl	_ZN7rocprim17ROCPRIM_400000_NS6detail17trampoline_kernelINS0_14default_configENS1_27scan_by_key_config_selectorIitEEZZNS1_16scan_by_key_implILNS1_25lookback_scan_determinismE0ELb1ES3_N6thrust23THRUST_200600_302600_NS6detail15normal_iteratorINS9_10device_ptrIiEEEENSB_INSC_ItEEEESG_tNS9_4plusIvEENS9_8equal_toIvEEtEE10hipError_tPvRmT2_T3_T4_T5_mT6_T7_P12ihipStream_tbENKUlT_T0_E_clISt17integral_constantIbLb1EES10_IbLb0EEEEDaSW_SX_EUlSW_E_NS1_11comp_targetILNS1_3genE0ELNS1_11target_archE4294967295ELNS1_3gpuE0ELNS1_3repE0EEENS1_30default_config_static_selectorELNS0_4arch9wavefront6targetE0EEEvT1_
	.p2align	8
	.type	_ZN7rocprim17ROCPRIM_400000_NS6detail17trampoline_kernelINS0_14default_configENS1_27scan_by_key_config_selectorIitEEZZNS1_16scan_by_key_implILNS1_25lookback_scan_determinismE0ELb1ES3_N6thrust23THRUST_200600_302600_NS6detail15normal_iteratorINS9_10device_ptrIiEEEENSB_INSC_ItEEEESG_tNS9_4plusIvEENS9_8equal_toIvEEtEE10hipError_tPvRmT2_T3_T4_T5_mT6_T7_P12ihipStream_tbENKUlT_T0_E_clISt17integral_constantIbLb1EES10_IbLb0EEEEDaSW_SX_EUlSW_E_NS1_11comp_targetILNS1_3genE0ELNS1_11target_archE4294967295ELNS1_3gpuE0ELNS1_3repE0EEENS1_30default_config_static_selectorELNS0_4arch9wavefront6targetE0EEEvT1_,@function
_ZN7rocprim17ROCPRIM_400000_NS6detail17trampoline_kernelINS0_14default_configENS1_27scan_by_key_config_selectorIitEEZZNS1_16scan_by_key_implILNS1_25lookback_scan_determinismE0ELb1ES3_N6thrust23THRUST_200600_302600_NS6detail15normal_iteratorINS9_10device_ptrIiEEEENSB_INSC_ItEEEESG_tNS9_4plusIvEENS9_8equal_toIvEEtEE10hipError_tPvRmT2_T3_T4_T5_mT6_T7_P12ihipStream_tbENKUlT_T0_E_clISt17integral_constantIbLb1EES10_IbLb0EEEEDaSW_SX_EUlSW_E_NS1_11comp_targetILNS1_3genE0ELNS1_11target_archE4294967295ELNS1_3gpuE0ELNS1_3repE0EEENS1_30default_config_static_selectorELNS0_4arch9wavefront6targetE0EEEvT1_: ; @_ZN7rocprim17ROCPRIM_400000_NS6detail17trampoline_kernelINS0_14default_configENS1_27scan_by_key_config_selectorIitEEZZNS1_16scan_by_key_implILNS1_25lookback_scan_determinismE0ELb1ES3_N6thrust23THRUST_200600_302600_NS6detail15normal_iteratorINS9_10device_ptrIiEEEENSB_INSC_ItEEEESG_tNS9_4plusIvEENS9_8equal_toIvEEtEE10hipError_tPvRmT2_T3_T4_T5_mT6_T7_P12ihipStream_tbENKUlT_T0_E_clISt17integral_constantIbLb1EES10_IbLb0EEEEDaSW_SX_EUlSW_E_NS1_11comp_targetILNS1_3genE0ELNS1_11target_archE4294967295ELNS1_3gpuE0ELNS1_3repE0EEENS1_30default_config_static_selectorELNS0_4arch9wavefront6targetE0EEEvT1_
; %bb.0:
	s_endpgm
	.section	.rodata,"a",@progbits
	.p2align	6, 0x0
	.amdhsa_kernel _ZN7rocprim17ROCPRIM_400000_NS6detail17trampoline_kernelINS0_14default_configENS1_27scan_by_key_config_selectorIitEEZZNS1_16scan_by_key_implILNS1_25lookback_scan_determinismE0ELb1ES3_N6thrust23THRUST_200600_302600_NS6detail15normal_iteratorINS9_10device_ptrIiEEEENSB_INSC_ItEEEESG_tNS9_4plusIvEENS9_8equal_toIvEEtEE10hipError_tPvRmT2_T3_T4_T5_mT6_T7_P12ihipStream_tbENKUlT_T0_E_clISt17integral_constantIbLb1EES10_IbLb0EEEEDaSW_SX_EUlSW_E_NS1_11comp_targetILNS1_3genE0ELNS1_11target_archE4294967295ELNS1_3gpuE0ELNS1_3repE0EEENS1_30default_config_static_selectorELNS0_4arch9wavefront6targetE0EEEvT1_
		.amdhsa_group_segment_fixed_size 0
		.amdhsa_private_segment_fixed_size 0
		.amdhsa_kernarg_size 112
		.amdhsa_user_sgpr_count 2
		.amdhsa_user_sgpr_dispatch_ptr 0
		.amdhsa_user_sgpr_queue_ptr 0
		.amdhsa_user_sgpr_kernarg_segment_ptr 1
		.amdhsa_user_sgpr_dispatch_id 0
		.amdhsa_user_sgpr_kernarg_preload_length 0
		.amdhsa_user_sgpr_kernarg_preload_offset 0
		.amdhsa_user_sgpr_private_segment_size 0
		.amdhsa_wavefront_size32 1
		.amdhsa_uses_dynamic_stack 0
		.amdhsa_enable_private_segment 0
		.amdhsa_system_sgpr_workgroup_id_x 1
		.amdhsa_system_sgpr_workgroup_id_y 0
		.amdhsa_system_sgpr_workgroup_id_z 0
		.amdhsa_system_sgpr_workgroup_info 0
		.amdhsa_system_vgpr_workitem_id 0
		.amdhsa_next_free_vgpr 1
		.amdhsa_next_free_sgpr 1
		.amdhsa_named_barrier_count 0
		.amdhsa_reserve_vcc 0
		.amdhsa_float_round_mode_32 0
		.amdhsa_float_round_mode_16_64 0
		.amdhsa_float_denorm_mode_32 3
		.amdhsa_float_denorm_mode_16_64 3
		.amdhsa_fp16_overflow 0
		.amdhsa_memory_ordered 1
		.amdhsa_forward_progress 1
		.amdhsa_inst_pref_size 1
		.amdhsa_round_robin_scheduling 0
		.amdhsa_exception_fp_ieee_invalid_op 0
		.amdhsa_exception_fp_denorm_src 0
		.amdhsa_exception_fp_ieee_div_zero 0
		.amdhsa_exception_fp_ieee_overflow 0
		.amdhsa_exception_fp_ieee_underflow 0
		.amdhsa_exception_fp_ieee_inexact 0
		.amdhsa_exception_int_div_zero 0
	.end_amdhsa_kernel
	.section	.text._ZN7rocprim17ROCPRIM_400000_NS6detail17trampoline_kernelINS0_14default_configENS1_27scan_by_key_config_selectorIitEEZZNS1_16scan_by_key_implILNS1_25lookback_scan_determinismE0ELb1ES3_N6thrust23THRUST_200600_302600_NS6detail15normal_iteratorINS9_10device_ptrIiEEEENSB_INSC_ItEEEESG_tNS9_4plusIvEENS9_8equal_toIvEEtEE10hipError_tPvRmT2_T3_T4_T5_mT6_T7_P12ihipStream_tbENKUlT_T0_E_clISt17integral_constantIbLb1EES10_IbLb0EEEEDaSW_SX_EUlSW_E_NS1_11comp_targetILNS1_3genE0ELNS1_11target_archE4294967295ELNS1_3gpuE0ELNS1_3repE0EEENS1_30default_config_static_selectorELNS0_4arch9wavefront6targetE0EEEvT1_,"axG",@progbits,_ZN7rocprim17ROCPRIM_400000_NS6detail17trampoline_kernelINS0_14default_configENS1_27scan_by_key_config_selectorIitEEZZNS1_16scan_by_key_implILNS1_25lookback_scan_determinismE0ELb1ES3_N6thrust23THRUST_200600_302600_NS6detail15normal_iteratorINS9_10device_ptrIiEEEENSB_INSC_ItEEEESG_tNS9_4plusIvEENS9_8equal_toIvEEtEE10hipError_tPvRmT2_T3_T4_T5_mT6_T7_P12ihipStream_tbENKUlT_T0_E_clISt17integral_constantIbLb1EES10_IbLb0EEEEDaSW_SX_EUlSW_E_NS1_11comp_targetILNS1_3genE0ELNS1_11target_archE4294967295ELNS1_3gpuE0ELNS1_3repE0EEENS1_30default_config_static_selectorELNS0_4arch9wavefront6targetE0EEEvT1_,comdat
.Lfunc_end1553:
	.size	_ZN7rocprim17ROCPRIM_400000_NS6detail17trampoline_kernelINS0_14default_configENS1_27scan_by_key_config_selectorIitEEZZNS1_16scan_by_key_implILNS1_25lookback_scan_determinismE0ELb1ES3_N6thrust23THRUST_200600_302600_NS6detail15normal_iteratorINS9_10device_ptrIiEEEENSB_INSC_ItEEEESG_tNS9_4plusIvEENS9_8equal_toIvEEtEE10hipError_tPvRmT2_T3_T4_T5_mT6_T7_P12ihipStream_tbENKUlT_T0_E_clISt17integral_constantIbLb1EES10_IbLb0EEEEDaSW_SX_EUlSW_E_NS1_11comp_targetILNS1_3genE0ELNS1_11target_archE4294967295ELNS1_3gpuE0ELNS1_3repE0EEENS1_30default_config_static_selectorELNS0_4arch9wavefront6targetE0EEEvT1_, .Lfunc_end1553-_ZN7rocprim17ROCPRIM_400000_NS6detail17trampoline_kernelINS0_14default_configENS1_27scan_by_key_config_selectorIitEEZZNS1_16scan_by_key_implILNS1_25lookback_scan_determinismE0ELb1ES3_N6thrust23THRUST_200600_302600_NS6detail15normal_iteratorINS9_10device_ptrIiEEEENSB_INSC_ItEEEESG_tNS9_4plusIvEENS9_8equal_toIvEEtEE10hipError_tPvRmT2_T3_T4_T5_mT6_T7_P12ihipStream_tbENKUlT_T0_E_clISt17integral_constantIbLb1EES10_IbLb0EEEEDaSW_SX_EUlSW_E_NS1_11comp_targetILNS1_3genE0ELNS1_11target_archE4294967295ELNS1_3gpuE0ELNS1_3repE0EEENS1_30default_config_static_selectorELNS0_4arch9wavefront6targetE0EEEvT1_
                                        ; -- End function
	.set _ZN7rocprim17ROCPRIM_400000_NS6detail17trampoline_kernelINS0_14default_configENS1_27scan_by_key_config_selectorIitEEZZNS1_16scan_by_key_implILNS1_25lookback_scan_determinismE0ELb1ES3_N6thrust23THRUST_200600_302600_NS6detail15normal_iteratorINS9_10device_ptrIiEEEENSB_INSC_ItEEEESG_tNS9_4plusIvEENS9_8equal_toIvEEtEE10hipError_tPvRmT2_T3_T4_T5_mT6_T7_P12ihipStream_tbENKUlT_T0_E_clISt17integral_constantIbLb1EES10_IbLb0EEEEDaSW_SX_EUlSW_E_NS1_11comp_targetILNS1_3genE0ELNS1_11target_archE4294967295ELNS1_3gpuE0ELNS1_3repE0EEENS1_30default_config_static_selectorELNS0_4arch9wavefront6targetE0EEEvT1_.num_vgpr, 0
	.set _ZN7rocprim17ROCPRIM_400000_NS6detail17trampoline_kernelINS0_14default_configENS1_27scan_by_key_config_selectorIitEEZZNS1_16scan_by_key_implILNS1_25lookback_scan_determinismE0ELb1ES3_N6thrust23THRUST_200600_302600_NS6detail15normal_iteratorINS9_10device_ptrIiEEEENSB_INSC_ItEEEESG_tNS9_4plusIvEENS9_8equal_toIvEEtEE10hipError_tPvRmT2_T3_T4_T5_mT6_T7_P12ihipStream_tbENKUlT_T0_E_clISt17integral_constantIbLb1EES10_IbLb0EEEEDaSW_SX_EUlSW_E_NS1_11comp_targetILNS1_3genE0ELNS1_11target_archE4294967295ELNS1_3gpuE0ELNS1_3repE0EEENS1_30default_config_static_selectorELNS0_4arch9wavefront6targetE0EEEvT1_.num_agpr, 0
	.set _ZN7rocprim17ROCPRIM_400000_NS6detail17trampoline_kernelINS0_14default_configENS1_27scan_by_key_config_selectorIitEEZZNS1_16scan_by_key_implILNS1_25lookback_scan_determinismE0ELb1ES3_N6thrust23THRUST_200600_302600_NS6detail15normal_iteratorINS9_10device_ptrIiEEEENSB_INSC_ItEEEESG_tNS9_4plusIvEENS9_8equal_toIvEEtEE10hipError_tPvRmT2_T3_T4_T5_mT6_T7_P12ihipStream_tbENKUlT_T0_E_clISt17integral_constantIbLb1EES10_IbLb0EEEEDaSW_SX_EUlSW_E_NS1_11comp_targetILNS1_3genE0ELNS1_11target_archE4294967295ELNS1_3gpuE0ELNS1_3repE0EEENS1_30default_config_static_selectorELNS0_4arch9wavefront6targetE0EEEvT1_.numbered_sgpr, 0
	.set _ZN7rocprim17ROCPRIM_400000_NS6detail17trampoline_kernelINS0_14default_configENS1_27scan_by_key_config_selectorIitEEZZNS1_16scan_by_key_implILNS1_25lookback_scan_determinismE0ELb1ES3_N6thrust23THRUST_200600_302600_NS6detail15normal_iteratorINS9_10device_ptrIiEEEENSB_INSC_ItEEEESG_tNS9_4plusIvEENS9_8equal_toIvEEtEE10hipError_tPvRmT2_T3_T4_T5_mT6_T7_P12ihipStream_tbENKUlT_T0_E_clISt17integral_constantIbLb1EES10_IbLb0EEEEDaSW_SX_EUlSW_E_NS1_11comp_targetILNS1_3genE0ELNS1_11target_archE4294967295ELNS1_3gpuE0ELNS1_3repE0EEENS1_30default_config_static_selectorELNS0_4arch9wavefront6targetE0EEEvT1_.num_named_barrier, 0
	.set _ZN7rocprim17ROCPRIM_400000_NS6detail17trampoline_kernelINS0_14default_configENS1_27scan_by_key_config_selectorIitEEZZNS1_16scan_by_key_implILNS1_25lookback_scan_determinismE0ELb1ES3_N6thrust23THRUST_200600_302600_NS6detail15normal_iteratorINS9_10device_ptrIiEEEENSB_INSC_ItEEEESG_tNS9_4plusIvEENS9_8equal_toIvEEtEE10hipError_tPvRmT2_T3_T4_T5_mT6_T7_P12ihipStream_tbENKUlT_T0_E_clISt17integral_constantIbLb1EES10_IbLb0EEEEDaSW_SX_EUlSW_E_NS1_11comp_targetILNS1_3genE0ELNS1_11target_archE4294967295ELNS1_3gpuE0ELNS1_3repE0EEENS1_30default_config_static_selectorELNS0_4arch9wavefront6targetE0EEEvT1_.private_seg_size, 0
	.set _ZN7rocprim17ROCPRIM_400000_NS6detail17trampoline_kernelINS0_14default_configENS1_27scan_by_key_config_selectorIitEEZZNS1_16scan_by_key_implILNS1_25lookback_scan_determinismE0ELb1ES3_N6thrust23THRUST_200600_302600_NS6detail15normal_iteratorINS9_10device_ptrIiEEEENSB_INSC_ItEEEESG_tNS9_4plusIvEENS9_8equal_toIvEEtEE10hipError_tPvRmT2_T3_T4_T5_mT6_T7_P12ihipStream_tbENKUlT_T0_E_clISt17integral_constantIbLb1EES10_IbLb0EEEEDaSW_SX_EUlSW_E_NS1_11comp_targetILNS1_3genE0ELNS1_11target_archE4294967295ELNS1_3gpuE0ELNS1_3repE0EEENS1_30default_config_static_selectorELNS0_4arch9wavefront6targetE0EEEvT1_.uses_vcc, 0
	.set _ZN7rocprim17ROCPRIM_400000_NS6detail17trampoline_kernelINS0_14default_configENS1_27scan_by_key_config_selectorIitEEZZNS1_16scan_by_key_implILNS1_25lookback_scan_determinismE0ELb1ES3_N6thrust23THRUST_200600_302600_NS6detail15normal_iteratorINS9_10device_ptrIiEEEENSB_INSC_ItEEEESG_tNS9_4plusIvEENS9_8equal_toIvEEtEE10hipError_tPvRmT2_T3_T4_T5_mT6_T7_P12ihipStream_tbENKUlT_T0_E_clISt17integral_constantIbLb1EES10_IbLb0EEEEDaSW_SX_EUlSW_E_NS1_11comp_targetILNS1_3genE0ELNS1_11target_archE4294967295ELNS1_3gpuE0ELNS1_3repE0EEENS1_30default_config_static_selectorELNS0_4arch9wavefront6targetE0EEEvT1_.uses_flat_scratch, 0
	.set _ZN7rocprim17ROCPRIM_400000_NS6detail17trampoline_kernelINS0_14default_configENS1_27scan_by_key_config_selectorIitEEZZNS1_16scan_by_key_implILNS1_25lookback_scan_determinismE0ELb1ES3_N6thrust23THRUST_200600_302600_NS6detail15normal_iteratorINS9_10device_ptrIiEEEENSB_INSC_ItEEEESG_tNS9_4plusIvEENS9_8equal_toIvEEtEE10hipError_tPvRmT2_T3_T4_T5_mT6_T7_P12ihipStream_tbENKUlT_T0_E_clISt17integral_constantIbLb1EES10_IbLb0EEEEDaSW_SX_EUlSW_E_NS1_11comp_targetILNS1_3genE0ELNS1_11target_archE4294967295ELNS1_3gpuE0ELNS1_3repE0EEENS1_30default_config_static_selectorELNS0_4arch9wavefront6targetE0EEEvT1_.has_dyn_sized_stack, 0
	.set _ZN7rocprim17ROCPRIM_400000_NS6detail17trampoline_kernelINS0_14default_configENS1_27scan_by_key_config_selectorIitEEZZNS1_16scan_by_key_implILNS1_25lookback_scan_determinismE0ELb1ES3_N6thrust23THRUST_200600_302600_NS6detail15normal_iteratorINS9_10device_ptrIiEEEENSB_INSC_ItEEEESG_tNS9_4plusIvEENS9_8equal_toIvEEtEE10hipError_tPvRmT2_T3_T4_T5_mT6_T7_P12ihipStream_tbENKUlT_T0_E_clISt17integral_constantIbLb1EES10_IbLb0EEEEDaSW_SX_EUlSW_E_NS1_11comp_targetILNS1_3genE0ELNS1_11target_archE4294967295ELNS1_3gpuE0ELNS1_3repE0EEENS1_30default_config_static_selectorELNS0_4arch9wavefront6targetE0EEEvT1_.has_recursion, 0
	.set _ZN7rocprim17ROCPRIM_400000_NS6detail17trampoline_kernelINS0_14default_configENS1_27scan_by_key_config_selectorIitEEZZNS1_16scan_by_key_implILNS1_25lookback_scan_determinismE0ELb1ES3_N6thrust23THRUST_200600_302600_NS6detail15normal_iteratorINS9_10device_ptrIiEEEENSB_INSC_ItEEEESG_tNS9_4plusIvEENS9_8equal_toIvEEtEE10hipError_tPvRmT2_T3_T4_T5_mT6_T7_P12ihipStream_tbENKUlT_T0_E_clISt17integral_constantIbLb1EES10_IbLb0EEEEDaSW_SX_EUlSW_E_NS1_11comp_targetILNS1_3genE0ELNS1_11target_archE4294967295ELNS1_3gpuE0ELNS1_3repE0EEENS1_30default_config_static_selectorELNS0_4arch9wavefront6targetE0EEEvT1_.has_indirect_call, 0
	.section	.AMDGPU.csdata,"",@progbits
; Kernel info:
; codeLenInByte = 4
; TotalNumSgprs: 0
; NumVgprs: 0
; ScratchSize: 0
; MemoryBound: 0
; FloatMode: 240
; IeeeMode: 1
; LDSByteSize: 0 bytes/workgroup (compile time only)
; SGPRBlocks: 0
; VGPRBlocks: 0
; NumSGPRsForWavesPerEU: 1
; NumVGPRsForWavesPerEU: 1
; NamedBarCnt: 0
; Occupancy: 16
; WaveLimiterHint : 0
; COMPUTE_PGM_RSRC2:SCRATCH_EN: 0
; COMPUTE_PGM_RSRC2:USER_SGPR: 2
; COMPUTE_PGM_RSRC2:TRAP_HANDLER: 0
; COMPUTE_PGM_RSRC2:TGID_X_EN: 1
; COMPUTE_PGM_RSRC2:TGID_Y_EN: 0
; COMPUTE_PGM_RSRC2:TGID_Z_EN: 0
; COMPUTE_PGM_RSRC2:TIDIG_COMP_CNT: 0
	.section	.text._ZN7rocprim17ROCPRIM_400000_NS6detail17trampoline_kernelINS0_14default_configENS1_27scan_by_key_config_selectorIitEEZZNS1_16scan_by_key_implILNS1_25lookback_scan_determinismE0ELb1ES3_N6thrust23THRUST_200600_302600_NS6detail15normal_iteratorINS9_10device_ptrIiEEEENSB_INSC_ItEEEESG_tNS9_4plusIvEENS9_8equal_toIvEEtEE10hipError_tPvRmT2_T3_T4_T5_mT6_T7_P12ihipStream_tbENKUlT_T0_E_clISt17integral_constantIbLb1EES10_IbLb0EEEEDaSW_SX_EUlSW_E_NS1_11comp_targetILNS1_3genE10ELNS1_11target_archE1201ELNS1_3gpuE5ELNS1_3repE0EEENS1_30default_config_static_selectorELNS0_4arch9wavefront6targetE0EEEvT1_,"axG",@progbits,_ZN7rocprim17ROCPRIM_400000_NS6detail17trampoline_kernelINS0_14default_configENS1_27scan_by_key_config_selectorIitEEZZNS1_16scan_by_key_implILNS1_25lookback_scan_determinismE0ELb1ES3_N6thrust23THRUST_200600_302600_NS6detail15normal_iteratorINS9_10device_ptrIiEEEENSB_INSC_ItEEEESG_tNS9_4plusIvEENS9_8equal_toIvEEtEE10hipError_tPvRmT2_T3_T4_T5_mT6_T7_P12ihipStream_tbENKUlT_T0_E_clISt17integral_constantIbLb1EES10_IbLb0EEEEDaSW_SX_EUlSW_E_NS1_11comp_targetILNS1_3genE10ELNS1_11target_archE1201ELNS1_3gpuE5ELNS1_3repE0EEENS1_30default_config_static_selectorELNS0_4arch9wavefront6targetE0EEEvT1_,comdat
	.protected	_ZN7rocprim17ROCPRIM_400000_NS6detail17trampoline_kernelINS0_14default_configENS1_27scan_by_key_config_selectorIitEEZZNS1_16scan_by_key_implILNS1_25lookback_scan_determinismE0ELb1ES3_N6thrust23THRUST_200600_302600_NS6detail15normal_iteratorINS9_10device_ptrIiEEEENSB_INSC_ItEEEESG_tNS9_4plusIvEENS9_8equal_toIvEEtEE10hipError_tPvRmT2_T3_T4_T5_mT6_T7_P12ihipStream_tbENKUlT_T0_E_clISt17integral_constantIbLb1EES10_IbLb0EEEEDaSW_SX_EUlSW_E_NS1_11comp_targetILNS1_3genE10ELNS1_11target_archE1201ELNS1_3gpuE5ELNS1_3repE0EEENS1_30default_config_static_selectorELNS0_4arch9wavefront6targetE0EEEvT1_ ; -- Begin function _ZN7rocprim17ROCPRIM_400000_NS6detail17trampoline_kernelINS0_14default_configENS1_27scan_by_key_config_selectorIitEEZZNS1_16scan_by_key_implILNS1_25lookback_scan_determinismE0ELb1ES3_N6thrust23THRUST_200600_302600_NS6detail15normal_iteratorINS9_10device_ptrIiEEEENSB_INSC_ItEEEESG_tNS9_4plusIvEENS9_8equal_toIvEEtEE10hipError_tPvRmT2_T3_T4_T5_mT6_T7_P12ihipStream_tbENKUlT_T0_E_clISt17integral_constantIbLb1EES10_IbLb0EEEEDaSW_SX_EUlSW_E_NS1_11comp_targetILNS1_3genE10ELNS1_11target_archE1201ELNS1_3gpuE5ELNS1_3repE0EEENS1_30default_config_static_selectorELNS0_4arch9wavefront6targetE0EEEvT1_
	.globl	_ZN7rocprim17ROCPRIM_400000_NS6detail17trampoline_kernelINS0_14default_configENS1_27scan_by_key_config_selectorIitEEZZNS1_16scan_by_key_implILNS1_25lookback_scan_determinismE0ELb1ES3_N6thrust23THRUST_200600_302600_NS6detail15normal_iteratorINS9_10device_ptrIiEEEENSB_INSC_ItEEEESG_tNS9_4plusIvEENS9_8equal_toIvEEtEE10hipError_tPvRmT2_T3_T4_T5_mT6_T7_P12ihipStream_tbENKUlT_T0_E_clISt17integral_constantIbLb1EES10_IbLb0EEEEDaSW_SX_EUlSW_E_NS1_11comp_targetILNS1_3genE10ELNS1_11target_archE1201ELNS1_3gpuE5ELNS1_3repE0EEENS1_30default_config_static_selectorELNS0_4arch9wavefront6targetE0EEEvT1_
	.p2align	8
	.type	_ZN7rocprim17ROCPRIM_400000_NS6detail17trampoline_kernelINS0_14default_configENS1_27scan_by_key_config_selectorIitEEZZNS1_16scan_by_key_implILNS1_25lookback_scan_determinismE0ELb1ES3_N6thrust23THRUST_200600_302600_NS6detail15normal_iteratorINS9_10device_ptrIiEEEENSB_INSC_ItEEEESG_tNS9_4plusIvEENS9_8equal_toIvEEtEE10hipError_tPvRmT2_T3_T4_T5_mT6_T7_P12ihipStream_tbENKUlT_T0_E_clISt17integral_constantIbLb1EES10_IbLb0EEEEDaSW_SX_EUlSW_E_NS1_11comp_targetILNS1_3genE10ELNS1_11target_archE1201ELNS1_3gpuE5ELNS1_3repE0EEENS1_30default_config_static_selectorELNS0_4arch9wavefront6targetE0EEEvT1_,@function
_ZN7rocprim17ROCPRIM_400000_NS6detail17trampoline_kernelINS0_14default_configENS1_27scan_by_key_config_selectorIitEEZZNS1_16scan_by_key_implILNS1_25lookback_scan_determinismE0ELb1ES3_N6thrust23THRUST_200600_302600_NS6detail15normal_iteratorINS9_10device_ptrIiEEEENSB_INSC_ItEEEESG_tNS9_4plusIvEENS9_8equal_toIvEEtEE10hipError_tPvRmT2_T3_T4_T5_mT6_T7_P12ihipStream_tbENKUlT_T0_E_clISt17integral_constantIbLb1EES10_IbLb0EEEEDaSW_SX_EUlSW_E_NS1_11comp_targetILNS1_3genE10ELNS1_11target_archE1201ELNS1_3gpuE5ELNS1_3repE0EEENS1_30default_config_static_selectorELNS0_4arch9wavefront6targetE0EEEvT1_: ; @_ZN7rocprim17ROCPRIM_400000_NS6detail17trampoline_kernelINS0_14default_configENS1_27scan_by_key_config_selectorIitEEZZNS1_16scan_by_key_implILNS1_25lookback_scan_determinismE0ELb1ES3_N6thrust23THRUST_200600_302600_NS6detail15normal_iteratorINS9_10device_ptrIiEEEENSB_INSC_ItEEEESG_tNS9_4plusIvEENS9_8equal_toIvEEtEE10hipError_tPvRmT2_T3_T4_T5_mT6_T7_P12ihipStream_tbENKUlT_T0_E_clISt17integral_constantIbLb1EES10_IbLb0EEEEDaSW_SX_EUlSW_E_NS1_11comp_targetILNS1_3genE10ELNS1_11target_archE1201ELNS1_3gpuE5ELNS1_3repE0EEENS1_30default_config_static_selectorELNS0_4arch9wavefront6targetE0EEEvT1_
; %bb.0:
	.section	.rodata,"a",@progbits
	.p2align	6, 0x0
	.amdhsa_kernel _ZN7rocprim17ROCPRIM_400000_NS6detail17trampoline_kernelINS0_14default_configENS1_27scan_by_key_config_selectorIitEEZZNS1_16scan_by_key_implILNS1_25lookback_scan_determinismE0ELb1ES3_N6thrust23THRUST_200600_302600_NS6detail15normal_iteratorINS9_10device_ptrIiEEEENSB_INSC_ItEEEESG_tNS9_4plusIvEENS9_8equal_toIvEEtEE10hipError_tPvRmT2_T3_T4_T5_mT6_T7_P12ihipStream_tbENKUlT_T0_E_clISt17integral_constantIbLb1EES10_IbLb0EEEEDaSW_SX_EUlSW_E_NS1_11comp_targetILNS1_3genE10ELNS1_11target_archE1201ELNS1_3gpuE5ELNS1_3repE0EEENS1_30default_config_static_selectorELNS0_4arch9wavefront6targetE0EEEvT1_
		.amdhsa_group_segment_fixed_size 0
		.amdhsa_private_segment_fixed_size 0
		.amdhsa_kernarg_size 112
		.amdhsa_user_sgpr_count 2
		.amdhsa_user_sgpr_dispatch_ptr 0
		.amdhsa_user_sgpr_queue_ptr 0
		.amdhsa_user_sgpr_kernarg_segment_ptr 1
		.amdhsa_user_sgpr_dispatch_id 0
		.amdhsa_user_sgpr_kernarg_preload_length 0
		.amdhsa_user_sgpr_kernarg_preload_offset 0
		.amdhsa_user_sgpr_private_segment_size 0
		.amdhsa_wavefront_size32 1
		.amdhsa_uses_dynamic_stack 0
		.amdhsa_enable_private_segment 0
		.amdhsa_system_sgpr_workgroup_id_x 1
		.amdhsa_system_sgpr_workgroup_id_y 0
		.amdhsa_system_sgpr_workgroup_id_z 0
		.amdhsa_system_sgpr_workgroup_info 0
		.amdhsa_system_vgpr_workitem_id 0
		.amdhsa_next_free_vgpr 1
		.amdhsa_next_free_sgpr 1
		.amdhsa_named_barrier_count 0
		.amdhsa_reserve_vcc 0
		.amdhsa_float_round_mode_32 0
		.amdhsa_float_round_mode_16_64 0
		.amdhsa_float_denorm_mode_32 3
		.amdhsa_float_denorm_mode_16_64 3
		.amdhsa_fp16_overflow 0
		.amdhsa_memory_ordered 1
		.amdhsa_forward_progress 1
		.amdhsa_inst_pref_size 0
		.amdhsa_round_robin_scheduling 0
		.amdhsa_exception_fp_ieee_invalid_op 0
		.amdhsa_exception_fp_denorm_src 0
		.amdhsa_exception_fp_ieee_div_zero 0
		.amdhsa_exception_fp_ieee_overflow 0
		.amdhsa_exception_fp_ieee_underflow 0
		.amdhsa_exception_fp_ieee_inexact 0
		.amdhsa_exception_int_div_zero 0
	.end_amdhsa_kernel
	.section	.text._ZN7rocprim17ROCPRIM_400000_NS6detail17trampoline_kernelINS0_14default_configENS1_27scan_by_key_config_selectorIitEEZZNS1_16scan_by_key_implILNS1_25lookback_scan_determinismE0ELb1ES3_N6thrust23THRUST_200600_302600_NS6detail15normal_iteratorINS9_10device_ptrIiEEEENSB_INSC_ItEEEESG_tNS9_4plusIvEENS9_8equal_toIvEEtEE10hipError_tPvRmT2_T3_T4_T5_mT6_T7_P12ihipStream_tbENKUlT_T0_E_clISt17integral_constantIbLb1EES10_IbLb0EEEEDaSW_SX_EUlSW_E_NS1_11comp_targetILNS1_3genE10ELNS1_11target_archE1201ELNS1_3gpuE5ELNS1_3repE0EEENS1_30default_config_static_selectorELNS0_4arch9wavefront6targetE0EEEvT1_,"axG",@progbits,_ZN7rocprim17ROCPRIM_400000_NS6detail17trampoline_kernelINS0_14default_configENS1_27scan_by_key_config_selectorIitEEZZNS1_16scan_by_key_implILNS1_25lookback_scan_determinismE0ELb1ES3_N6thrust23THRUST_200600_302600_NS6detail15normal_iteratorINS9_10device_ptrIiEEEENSB_INSC_ItEEEESG_tNS9_4plusIvEENS9_8equal_toIvEEtEE10hipError_tPvRmT2_T3_T4_T5_mT6_T7_P12ihipStream_tbENKUlT_T0_E_clISt17integral_constantIbLb1EES10_IbLb0EEEEDaSW_SX_EUlSW_E_NS1_11comp_targetILNS1_3genE10ELNS1_11target_archE1201ELNS1_3gpuE5ELNS1_3repE0EEENS1_30default_config_static_selectorELNS0_4arch9wavefront6targetE0EEEvT1_,comdat
.Lfunc_end1554:
	.size	_ZN7rocprim17ROCPRIM_400000_NS6detail17trampoline_kernelINS0_14default_configENS1_27scan_by_key_config_selectorIitEEZZNS1_16scan_by_key_implILNS1_25lookback_scan_determinismE0ELb1ES3_N6thrust23THRUST_200600_302600_NS6detail15normal_iteratorINS9_10device_ptrIiEEEENSB_INSC_ItEEEESG_tNS9_4plusIvEENS9_8equal_toIvEEtEE10hipError_tPvRmT2_T3_T4_T5_mT6_T7_P12ihipStream_tbENKUlT_T0_E_clISt17integral_constantIbLb1EES10_IbLb0EEEEDaSW_SX_EUlSW_E_NS1_11comp_targetILNS1_3genE10ELNS1_11target_archE1201ELNS1_3gpuE5ELNS1_3repE0EEENS1_30default_config_static_selectorELNS0_4arch9wavefront6targetE0EEEvT1_, .Lfunc_end1554-_ZN7rocprim17ROCPRIM_400000_NS6detail17trampoline_kernelINS0_14default_configENS1_27scan_by_key_config_selectorIitEEZZNS1_16scan_by_key_implILNS1_25lookback_scan_determinismE0ELb1ES3_N6thrust23THRUST_200600_302600_NS6detail15normal_iteratorINS9_10device_ptrIiEEEENSB_INSC_ItEEEESG_tNS9_4plusIvEENS9_8equal_toIvEEtEE10hipError_tPvRmT2_T3_T4_T5_mT6_T7_P12ihipStream_tbENKUlT_T0_E_clISt17integral_constantIbLb1EES10_IbLb0EEEEDaSW_SX_EUlSW_E_NS1_11comp_targetILNS1_3genE10ELNS1_11target_archE1201ELNS1_3gpuE5ELNS1_3repE0EEENS1_30default_config_static_selectorELNS0_4arch9wavefront6targetE0EEEvT1_
                                        ; -- End function
	.set _ZN7rocprim17ROCPRIM_400000_NS6detail17trampoline_kernelINS0_14default_configENS1_27scan_by_key_config_selectorIitEEZZNS1_16scan_by_key_implILNS1_25lookback_scan_determinismE0ELb1ES3_N6thrust23THRUST_200600_302600_NS6detail15normal_iteratorINS9_10device_ptrIiEEEENSB_INSC_ItEEEESG_tNS9_4plusIvEENS9_8equal_toIvEEtEE10hipError_tPvRmT2_T3_T4_T5_mT6_T7_P12ihipStream_tbENKUlT_T0_E_clISt17integral_constantIbLb1EES10_IbLb0EEEEDaSW_SX_EUlSW_E_NS1_11comp_targetILNS1_3genE10ELNS1_11target_archE1201ELNS1_3gpuE5ELNS1_3repE0EEENS1_30default_config_static_selectorELNS0_4arch9wavefront6targetE0EEEvT1_.num_vgpr, 0
	.set _ZN7rocprim17ROCPRIM_400000_NS6detail17trampoline_kernelINS0_14default_configENS1_27scan_by_key_config_selectorIitEEZZNS1_16scan_by_key_implILNS1_25lookback_scan_determinismE0ELb1ES3_N6thrust23THRUST_200600_302600_NS6detail15normal_iteratorINS9_10device_ptrIiEEEENSB_INSC_ItEEEESG_tNS9_4plusIvEENS9_8equal_toIvEEtEE10hipError_tPvRmT2_T3_T4_T5_mT6_T7_P12ihipStream_tbENKUlT_T0_E_clISt17integral_constantIbLb1EES10_IbLb0EEEEDaSW_SX_EUlSW_E_NS1_11comp_targetILNS1_3genE10ELNS1_11target_archE1201ELNS1_3gpuE5ELNS1_3repE0EEENS1_30default_config_static_selectorELNS0_4arch9wavefront6targetE0EEEvT1_.num_agpr, 0
	.set _ZN7rocprim17ROCPRIM_400000_NS6detail17trampoline_kernelINS0_14default_configENS1_27scan_by_key_config_selectorIitEEZZNS1_16scan_by_key_implILNS1_25lookback_scan_determinismE0ELb1ES3_N6thrust23THRUST_200600_302600_NS6detail15normal_iteratorINS9_10device_ptrIiEEEENSB_INSC_ItEEEESG_tNS9_4plusIvEENS9_8equal_toIvEEtEE10hipError_tPvRmT2_T3_T4_T5_mT6_T7_P12ihipStream_tbENKUlT_T0_E_clISt17integral_constantIbLb1EES10_IbLb0EEEEDaSW_SX_EUlSW_E_NS1_11comp_targetILNS1_3genE10ELNS1_11target_archE1201ELNS1_3gpuE5ELNS1_3repE0EEENS1_30default_config_static_selectorELNS0_4arch9wavefront6targetE0EEEvT1_.numbered_sgpr, 0
	.set _ZN7rocprim17ROCPRIM_400000_NS6detail17trampoline_kernelINS0_14default_configENS1_27scan_by_key_config_selectorIitEEZZNS1_16scan_by_key_implILNS1_25lookback_scan_determinismE0ELb1ES3_N6thrust23THRUST_200600_302600_NS6detail15normal_iteratorINS9_10device_ptrIiEEEENSB_INSC_ItEEEESG_tNS9_4plusIvEENS9_8equal_toIvEEtEE10hipError_tPvRmT2_T3_T4_T5_mT6_T7_P12ihipStream_tbENKUlT_T0_E_clISt17integral_constantIbLb1EES10_IbLb0EEEEDaSW_SX_EUlSW_E_NS1_11comp_targetILNS1_3genE10ELNS1_11target_archE1201ELNS1_3gpuE5ELNS1_3repE0EEENS1_30default_config_static_selectorELNS0_4arch9wavefront6targetE0EEEvT1_.num_named_barrier, 0
	.set _ZN7rocprim17ROCPRIM_400000_NS6detail17trampoline_kernelINS0_14default_configENS1_27scan_by_key_config_selectorIitEEZZNS1_16scan_by_key_implILNS1_25lookback_scan_determinismE0ELb1ES3_N6thrust23THRUST_200600_302600_NS6detail15normal_iteratorINS9_10device_ptrIiEEEENSB_INSC_ItEEEESG_tNS9_4plusIvEENS9_8equal_toIvEEtEE10hipError_tPvRmT2_T3_T4_T5_mT6_T7_P12ihipStream_tbENKUlT_T0_E_clISt17integral_constantIbLb1EES10_IbLb0EEEEDaSW_SX_EUlSW_E_NS1_11comp_targetILNS1_3genE10ELNS1_11target_archE1201ELNS1_3gpuE5ELNS1_3repE0EEENS1_30default_config_static_selectorELNS0_4arch9wavefront6targetE0EEEvT1_.private_seg_size, 0
	.set _ZN7rocprim17ROCPRIM_400000_NS6detail17trampoline_kernelINS0_14default_configENS1_27scan_by_key_config_selectorIitEEZZNS1_16scan_by_key_implILNS1_25lookback_scan_determinismE0ELb1ES3_N6thrust23THRUST_200600_302600_NS6detail15normal_iteratorINS9_10device_ptrIiEEEENSB_INSC_ItEEEESG_tNS9_4plusIvEENS9_8equal_toIvEEtEE10hipError_tPvRmT2_T3_T4_T5_mT6_T7_P12ihipStream_tbENKUlT_T0_E_clISt17integral_constantIbLb1EES10_IbLb0EEEEDaSW_SX_EUlSW_E_NS1_11comp_targetILNS1_3genE10ELNS1_11target_archE1201ELNS1_3gpuE5ELNS1_3repE0EEENS1_30default_config_static_selectorELNS0_4arch9wavefront6targetE0EEEvT1_.uses_vcc, 0
	.set _ZN7rocprim17ROCPRIM_400000_NS6detail17trampoline_kernelINS0_14default_configENS1_27scan_by_key_config_selectorIitEEZZNS1_16scan_by_key_implILNS1_25lookback_scan_determinismE0ELb1ES3_N6thrust23THRUST_200600_302600_NS6detail15normal_iteratorINS9_10device_ptrIiEEEENSB_INSC_ItEEEESG_tNS9_4plusIvEENS9_8equal_toIvEEtEE10hipError_tPvRmT2_T3_T4_T5_mT6_T7_P12ihipStream_tbENKUlT_T0_E_clISt17integral_constantIbLb1EES10_IbLb0EEEEDaSW_SX_EUlSW_E_NS1_11comp_targetILNS1_3genE10ELNS1_11target_archE1201ELNS1_3gpuE5ELNS1_3repE0EEENS1_30default_config_static_selectorELNS0_4arch9wavefront6targetE0EEEvT1_.uses_flat_scratch, 0
	.set _ZN7rocprim17ROCPRIM_400000_NS6detail17trampoline_kernelINS0_14default_configENS1_27scan_by_key_config_selectorIitEEZZNS1_16scan_by_key_implILNS1_25lookback_scan_determinismE0ELb1ES3_N6thrust23THRUST_200600_302600_NS6detail15normal_iteratorINS9_10device_ptrIiEEEENSB_INSC_ItEEEESG_tNS9_4plusIvEENS9_8equal_toIvEEtEE10hipError_tPvRmT2_T3_T4_T5_mT6_T7_P12ihipStream_tbENKUlT_T0_E_clISt17integral_constantIbLb1EES10_IbLb0EEEEDaSW_SX_EUlSW_E_NS1_11comp_targetILNS1_3genE10ELNS1_11target_archE1201ELNS1_3gpuE5ELNS1_3repE0EEENS1_30default_config_static_selectorELNS0_4arch9wavefront6targetE0EEEvT1_.has_dyn_sized_stack, 0
	.set _ZN7rocprim17ROCPRIM_400000_NS6detail17trampoline_kernelINS0_14default_configENS1_27scan_by_key_config_selectorIitEEZZNS1_16scan_by_key_implILNS1_25lookback_scan_determinismE0ELb1ES3_N6thrust23THRUST_200600_302600_NS6detail15normal_iteratorINS9_10device_ptrIiEEEENSB_INSC_ItEEEESG_tNS9_4plusIvEENS9_8equal_toIvEEtEE10hipError_tPvRmT2_T3_T4_T5_mT6_T7_P12ihipStream_tbENKUlT_T0_E_clISt17integral_constantIbLb1EES10_IbLb0EEEEDaSW_SX_EUlSW_E_NS1_11comp_targetILNS1_3genE10ELNS1_11target_archE1201ELNS1_3gpuE5ELNS1_3repE0EEENS1_30default_config_static_selectorELNS0_4arch9wavefront6targetE0EEEvT1_.has_recursion, 0
	.set _ZN7rocprim17ROCPRIM_400000_NS6detail17trampoline_kernelINS0_14default_configENS1_27scan_by_key_config_selectorIitEEZZNS1_16scan_by_key_implILNS1_25lookback_scan_determinismE0ELb1ES3_N6thrust23THRUST_200600_302600_NS6detail15normal_iteratorINS9_10device_ptrIiEEEENSB_INSC_ItEEEESG_tNS9_4plusIvEENS9_8equal_toIvEEtEE10hipError_tPvRmT2_T3_T4_T5_mT6_T7_P12ihipStream_tbENKUlT_T0_E_clISt17integral_constantIbLb1EES10_IbLb0EEEEDaSW_SX_EUlSW_E_NS1_11comp_targetILNS1_3genE10ELNS1_11target_archE1201ELNS1_3gpuE5ELNS1_3repE0EEENS1_30default_config_static_selectorELNS0_4arch9wavefront6targetE0EEEvT1_.has_indirect_call, 0
	.section	.AMDGPU.csdata,"",@progbits
; Kernel info:
; codeLenInByte = 0
; TotalNumSgprs: 0
; NumVgprs: 0
; ScratchSize: 0
; MemoryBound: 0
; FloatMode: 240
; IeeeMode: 1
; LDSByteSize: 0 bytes/workgroup (compile time only)
; SGPRBlocks: 0
; VGPRBlocks: 0
; NumSGPRsForWavesPerEU: 1
; NumVGPRsForWavesPerEU: 1
; NamedBarCnt: 0
; Occupancy: 16
; WaveLimiterHint : 0
; COMPUTE_PGM_RSRC2:SCRATCH_EN: 0
; COMPUTE_PGM_RSRC2:USER_SGPR: 2
; COMPUTE_PGM_RSRC2:TRAP_HANDLER: 0
; COMPUTE_PGM_RSRC2:TGID_X_EN: 1
; COMPUTE_PGM_RSRC2:TGID_Y_EN: 0
; COMPUTE_PGM_RSRC2:TGID_Z_EN: 0
; COMPUTE_PGM_RSRC2:TIDIG_COMP_CNT: 0
	.section	.text._ZN7rocprim17ROCPRIM_400000_NS6detail17trampoline_kernelINS0_14default_configENS1_27scan_by_key_config_selectorIitEEZZNS1_16scan_by_key_implILNS1_25lookback_scan_determinismE0ELb1ES3_N6thrust23THRUST_200600_302600_NS6detail15normal_iteratorINS9_10device_ptrIiEEEENSB_INSC_ItEEEESG_tNS9_4plusIvEENS9_8equal_toIvEEtEE10hipError_tPvRmT2_T3_T4_T5_mT6_T7_P12ihipStream_tbENKUlT_T0_E_clISt17integral_constantIbLb1EES10_IbLb0EEEEDaSW_SX_EUlSW_E_NS1_11comp_targetILNS1_3genE5ELNS1_11target_archE942ELNS1_3gpuE9ELNS1_3repE0EEENS1_30default_config_static_selectorELNS0_4arch9wavefront6targetE0EEEvT1_,"axG",@progbits,_ZN7rocprim17ROCPRIM_400000_NS6detail17trampoline_kernelINS0_14default_configENS1_27scan_by_key_config_selectorIitEEZZNS1_16scan_by_key_implILNS1_25lookback_scan_determinismE0ELb1ES3_N6thrust23THRUST_200600_302600_NS6detail15normal_iteratorINS9_10device_ptrIiEEEENSB_INSC_ItEEEESG_tNS9_4plusIvEENS9_8equal_toIvEEtEE10hipError_tPvRmT2_T3_T4_T5_mT6_T7_P12ihipStream_tbENKUlT_T0_E_clISt17integral_constantIbLb1EES10_IbLb0EEEEDaSW_SX_EUlSW_E_NS1_11comp_targetILNS1_3genE5ELNS1_11target_archE942ELNS1_3gpuE9ELNS1_3repE0EEENS1_30default_config_static_selectorELNS0_4arch9wavefront6targetE0EEEvT1_,comdat
	.protected	_ZN7rocprim17ROCPRIM_400000_NS6detail17trampoline_kernelINS0_14default_configENS1_27scan_by_key_config_selectorIitEEZZNS1_16scan_by_key_implILNS1_25lookback_scan_determinismE0ELb1ES3_N6thrust23THRUST_200600_302600_NS6detail15normal_iteratorINS9_10device_ptrIiEEEENSB_INSC_ItEEEESG_tNS9_4plusIvEENS9_8equal_toIvEEtEE10hipError_tPvRmT2_T3_T4_T5_mT6_T7_P12ihipStream_tbENKUlT_T0_E_clISt17integral_constantIbLb1EES10_IbLb0EEEEDaSW_SX_EUlSW_E_NS1_11comp_targetILNS1_3genE5ELNS1_11target_archE942ELNS1_3gpuE9ELNS1_3repE0EEENS1_30default_config_static_selectorELNS0_4arch9wavefront6targetE0EEEvT1_ ; -- Begin function _ZN7rocprim17ROCPRIM_400000_NS6detail17trampoline_kernelINS0_14default_configENS1_27scan_by_key_config_selectorIitEEZZNS1_16scan_by_key_implILNS1_25lookback_scan_determinismE0ELb1ES3_N6thrust23THRUST_200600_302600_NS6detail15normal_iteratorINS9_10device_ptrIiEEEENSB_INSC_ItEEEESG_tNS9_4plusIvEENS9_8equal_toIvEEtEE10hipError_tPvRmT2_T3_T4_T5_mT6_T7_P12ihipStream_tbENKUlT_T0_E_clISt17integral_constantIbLb1EES10_IbLb0EEEEDaSW_SX_EUlSW_E_NS1_11comp_targetILNS1_3genE5ELNS1_11target_archE942ELNS1_3gpuE9ELNS1_3repE0EEENS1_30default_config_static_selectorELNS0_4arch9wavefront6targetE0EEEvT1_
	.globl	_ZN7rocprim17ROCPRIM_400000_NS6detail17trampoline_kernelINS0_14default_configENS1_27scan_by_key_config_selectorIitEEZZNS1_16scan_by_key_implILNS1_25lookback_scan_determinismE0ELb1ES3_N6thrust23THRUST_200600_302600_NS6detail15normal_iteratorINS9_10device_ptrIiEEEENSB_INSC_ItEEEESG_tNS9_4plusIvEENS9_8equal_toIvEEtEE10hipError_tPvRmT2_T3_T4_T5_mT6_T7_P12ihipStream_tbENKUlT_T0_E_clISt17integral_constantIbLb1EES10_IbLb0EEEEDaSW_SX_EUlSW_E_NS1_11comp_targetILNS1_3genE5ELNS1_11target_archE942ELNS1_3gpuE9ELNS1_3repE0EEENS1_30default_config_static_selectorELNS0_4arch9wavefront6targetE0EEEvT1_
	.p2align	8
	.type	_ZN7rocprim17ROCPRIM_400000_NS6detail17trampoline_kernelINS0_14default_configENS1_27scan_by_key_config_selectorIitEEZZNS1_16scan_by_key_implILNS1_25lookback_scan_determinismE0ELb1ES3_N6thrust23THRUST_200600_302600_NS6detail15normal_iteratorINS9_10device_ptrIiEEEENSB_INSC_ItEEEESG_tNS9_4plusIvEENS9_8equal_toIvEEtEE10hipError_tPvRmT2_T3_T4_T5_mT6_T7_P12ihipStream_tbENKUlT_T0_E_clISt17integral_constantIbLb1EES10_IbLb0EEEEDaSW_SX_EUlSW_E_NS1_11comp_targetILNS1_3genE5ELNS1_11target_archE942ELNS1_3gpuE9ELNS1_3repE0EEENS1_30default_config_static_selectorELNS0_4arch9wavefront6targetE0EEEvT1_,@function
_ZN7rocprim17ROCPRIM_400000_NS6detail17trampoline_kernelINS0_14default_configENS1_27scan_by_key_config_selectorIitEEZZNS1_16scan_by_key_implILNS1_25lookback_scan_determinismE0ELb1ES3_N6thrust23THRUST_200600_302600_NS6detail15normal_iteratorINS9_10device_ptrIiEEEENSB_INSC_ItEEEESG_tNS9_4plusIvEENS9_8equal_toIvEEtEE10hipError_tPvRmT2_T3_T4_T5_mT6_T7_P12ihipStream_tbENKUlT_T0_E_clISt17integral_constantIbLb1EES10_IbLb0EEEEDaSW_SX_EUlSW_E_NS1_11comp_targetILNS1_3genE5ELNS1_11target_archE942ELNS1_3gpuE9ELNS1_3repE0EEENS1_30default_config_static_selectorELNS0_4arch9wavefront6targetE0EEEvT1_: ; @_ZN7rocprim17ROCPRIM_400000_NS6detail17trampoline_kernelINS0_14default_configENS1_27scan_by_key_config_selectorIitEEZZNS1_16scan_by_key_implILNS1_25lookback_scan_determinismE0ELb1ES3_N6thrust23THRUST_200600_302600_NS6detail15normal_iteratorINS9_10device_ptrIiEEEENSB_INSC_ItEEEESG_tNS9_4plusIvEENS9_8equal_toIvEEtEE10hipError_tPvRmT2_T3_T4_T5_mT6_T7_P12ihipStream_tbENKUlT_T0_E_clISt17integral_constantIbLb1EES10_IbLb0EEEEDaSW_SX_EUlSW_E_NS1_11comp_targetILNS1_3genE5ELNS1_11target_archE942ELNS1_3gpuE9ELNS1_3repE0EEENS1_30default_config_static_selectorELNS0_4arch9wavefront6targetE0EEEvT1_
; %bb.0:
	.section	.rodata,"a",@progbits
	.p2align	6, 0x0
	.amdhsa_kernel _ZN7rocprim17ROCPRIM_400000_NS6detail17trampoline_kernelINS0_14default_configENS1_27scan_by_key_config_selectorIitEEZZNS1_16scan_by_key_implILNS1_25lookback_scan_determinismE0ELb1ES3_N6thrust23THRUST_200600_302600_NS6detail15normal_iteratorINS9_10device_ptrIiEEEENSB_INSC_ItEEEESG_tNS9_4plusIvEENS9_8equal_toIvEEtEE10hipError_tPvRmT2_T3_T4_T5_mT6_T7_P12ihipStream_tbENKUlT_T0_E_clISt17integral_constantIbLb1EES10_IbLb0EEEEDaSW_SX_EUlSW_E_NS1_11comp_targetILNS1_3genE5ELNS1_11target_archE942ELNS1_3gpuE9ELNS1_3repE0EEENS1_30default_config_static_selectorELNS0_4arch9wavefront6targetE0EEEvT1_
		.amdhsa_group_segment_fixed_size 0
		.amdhsa_private_segment_fixed_size 0
		.amdhsa_kernarg_size 112
		.amdhsa_user_sgpr_count 2
		.amdhsa_user_sgpr_dispatch_ptr 0
		.amdhsa_user_sgpr_queue_ptr 0
		.amdhsa_user_sgpr_kernarg_segment_ptr 1
		.amdhsa_user_sgpr_dispatch_id 0
		.amdhsa_user_sgpr_kernarg_preload_length 0
		.amdhsa_user_sgpr_kernarg_preload_offset 0
		.amdhsa_user_sgpr_private_segment_size 0
		.amdhsa_wavefront_size32 1
		.amdhsa_uses_dynamic_stack 0
		.amdhsa_enable_private_segment 0
		.amdhsa_system_sgpr_workgroup_id_x 1
		.amdhsa_system_sgpr_workgroup_id_y 0
		.amdhsa_system_sgpr_workgroup_id_z 0
		.amdhsa_system_sgpr_workgroup_info 0
		.amdhsa_system_vgpr_workitem_id 0
		.amdhsa_next_free_vgpr 1
		.amdhsa_next_free_sgpr 1
		.amdhsa_named_barrier_count 0
		.amdhsa_reserve_vcc 0
		.amdhsa_float_round_mode_32 0
		.amdhsa_float_round_mode_16_64 0
		.amdhsa_float_denorm_mode_32 3
		.amdhsa_float_denorm_mode_16_64 3
		.amdhsa_fp16_overflow 0
		.amdhsa_memory_ordered 1
		.amdhsa_forward_progress 1
		.amdhsa_inst_pref_size 0
		.amdhsa_round_robin_scheduling 0
		.amdhsa_exception_fp_ieee_invalid_op 0
		.amdhsa_exception_fp_denorm_src 0
		.amdhsa_exception_fp_ieee_div_zero 0
		.amdhsa_exception_fp_ieee_overflow 0
		.amdhsa_exception_fp_ieee_underflow 0
		.amdhsa_exception_fp_ieee_inexact 0
		.amdhsa_exception_int_div_zero 0
	.end_amdhsa_kernel
	.section	.text._ZN7rocprim17ROCPRIM_400000_NS6detail17trampoline_kernelINS0_14default_configENS1_27scan_by_key_config_selectorIitEEZZNS1_16scan_by_key_implILNS1_25lookback_scan_determinismE0ELb1ES3_N6thrust23THRUST_200600_302600_NS6detail15normal_iteratorINS9_10device_ptrIiEEEENSB_INSC_ItEEEESG_tNS9_4plusIvEENS9_8equal_toIvEEtEE10hipError_tPvRmT2_T3_T4_T5_mT6_T7_P12ihipStream_tbENKUlT_T0_E_clISt17integral_constantIbLb1EES10_IbLb0EEEEDaSW_SX_EUlSW_E_NS1_11comp_targetILNS1_3genE5ELNS1_11target_archE942ELNS1_3gpuE9ELNS1_3repE0EEENS1_30default_config_static_selectorELNS0_4arch9wavefront6targetE0EEEvT1_,"axG",@progbits,_ZN7rocprim17ROCPRIM_400000_NS6detail17trampoline_kernelINS0_14default_configENS1_27scan_by_key_config_selectorIitEEZZNS1_16scan_by_key_implILNS1_25lookback_scan_determinismE0ELb1ES3_N6thrust23THRUST_200600_302600_NS6detail15normal_iteratorINS9_10device_ptrIiEEEENSB_INSC_ItEEEESG_tNS9_4plusIvEENS9_8equal_toIvEEtEE10hipError_tPvRmT2_T3_T4_T5_mT6_T7_P12ihipStream_tbENKUlT_T0_E_clISt17integral_constantIbLb1EES10_IbLb0EEEEDaSW_SX_EUlSW_E_NS1_11comp_targetILNS1_3genE5ELNS1_11target_archE942ELNS1_3gpuE9ELNS1_3repE0EEENS1_30default_config_static_selectorELNS0_4arch9wavefront6targetE0EEEvT1_,comdat
.Lfunc_end1555:
	.size	_ZN7rocprim17ROCPRIM_400000_NS6detail17trampoline_kernelINS0_14default_configENS1_27scan_by_key_config_selectorIitEEZZNS1_16scan_by_key_implILNS1_25lookback_scan_determinismE0ELb1ES3_N6thrust23THRUST_200600_302600_NS6detail15normal_iteratorINS9_10device_ptrIiEEEENSB_INSC_ItEEEESG_tNS9_4plusIvEENS9_8equal_toIvEEtEE10hipError_tPvRmT2_T3_T4_T5_mT6_T7_P12ihipStream_tbENKUlT_T0_E_clISt17integral_constantIbLb1EES10_IbLb0EEEEDaSW_SX_EUlSW_E_NS1_11comp_targetILNS1_3genE5ELNS1_11target_archE942ELNS1_3gpuE9ELNS1_3repE0EEENS1_30default_config_static_selectorELNS0_4arch9wavefront6targetE0EEEvT1_, .Lfunc_end1555-_ZN7rocprim17ROCPRIM_400000_NS6detail17trampoline_kernelINS0_14default_configENS1_27scan_by_key_config_selectorIitEEZZNS1_16scan_by_key_implILNS1_25lookback_scan_determinismE0ELb1ES3_N6thrust23THRUST_200600_302600_NS6detail15normal_iteratorINS9_10device_ptrIiEEEENSB_INSC_ItEEEESG_tNS9_4plusIvEENS9_8equal_toIvEEtEE10hipError_tPvRmT2_T3_T4_T5_mT6_T7_P12ihipStream_tbENKUlT_T0_E_clISt17integral_constantIbLb1EES10_IbLb0EEEEDaSW_SX_EUlSW_E_NS1_11comp_targetILNS1_3genE5ELNS1_11target_archE942ELNS1_3gpuE9ELNS1_3repE0EEENS1_30default_config_static_selectorELNS0_4arch9wavefront6targetE0EEEvT1_
                                        ; -- End function
	.set _ZN7rocprim17ROCPRIM_400000_NS6detail17trampoline_kernelINS0_14default_configENS1_27scan_by_key_config_selectorIitEEZZNS1_16scan_by_key_implILNS1_25lookback_scan_determinismE0ELb1ES3_N6thrust23THRUST_200600_302600_NS6detail15normal_iteratorINS9_10device_ptrIiEEEENSB_INSC_ItEEEESG_tNS9_4plusIvEENS9_8equal_toIvEEtEE10hipError_tPvRmT2_T3_T4_T5_mT6_T7_P12ihipStream_tbENKUlT_T0_E_clISt17integral_constantIbLb1EES10_IbLb0EEEEDaSW_SX_EUlSW_E_NS1_11comp_targetILNS1_3genE5ELNS1_11target_archE942ELNS1_3gpuE9ELNS1_3repE0EEENS1_30default_config_static_selectorELNS0_4arch9wavefront6targetE0EEEvT1_.num_vgpr, 0
	.set _ZN7rocprim17ROCPRIM_400000_NS6detail17trampoline_kernelINS0_14default_configENS1_27scan_by_key_config_selectorIitEEZZNS1_16scan_by_key_implILNS1_25lookback_scan_determinismE0ELb1ES3_N6thrust23THRUST_200600_302600_NS6detail15normal_iteratorINS9_10device_ptrIiEEEENSB_INSC_ItEEEESG_tNS9_4plusIvEENS9_8equal_toIvEEtEE10hipError_tPvRmT2_T3_T4_T5_mT6_T7_P12ihipStream_tbENKUlT_T0_E_clISt17integral_constantIbLb1EES10_IbLb0EEEEDaSW_SX_EUlSW_E_NS1_11comp_targetILNS1_3genE5ELNS1_11target_archE942ELNS1_3gpuE9ELNS1_3repE0EEENS1_30default_config_static_selectorELNS0_4arch9wavefront6targetE0EEEvT1_.num_agpr, 0
	.set _ZN7rocprim17ROCPRIM_400000_NS6detail17trampoline_kernelINS0_14default_configENS1_27scan_by_key_config_selectorIitEEZZNS1_16scan_by_key_implILNS1_25lookback_scan_determinismE0ELb1ES3_N6thrust23THRUST_200600_302600_NS6detail15normal_iteratorINS9_10device_ptrIiEEEENSB_INSC_ItEEEESG_tNS9_4plusIvEENS9_8equal_toIvEEtEE10hipError_tPvRmT2_T3_T4_T5_mT6_T7_P12ihipStream_tbENKUlT_T0_E_clISt17integral_constantIbLb1EES10_IbLb0EEEEDaSW_SX_EUlSW_E_NS1_11comp_targetILNS1_3genE5ELNS1_11target_archE942ELNS1_3gpuE9ELNS1_3repE0EEENS1_30default_config_static_selectorELNS0_4arch9wavefront6targetE0EEEvT1_.numbered_sgpr, 0
	.set _ZN7rocprim17ROCPRIM_400000_NS6detail17trampoline_kernelINS0_14default_configENS1_27scan_by_key_config_selectorIitEEZZNS1_16scan_by_key_implILNS1_25lookback_scan_determinismE0ELb1ES3_N6thrust23THRUST_200600_302600_NS6detail15normal_iteratorINS9_10device_ptrIiEEEENSB_INSC_ItEEEESG_tNS9_4plusIvEENS9_8equal_toIvEEtEE10hipError_tPvRmT2_T3_T4_T5_mT6_T7_P12ihipStream_tbENKUlT_T0_E_clISt17integral_constantIbLb1EES10_IbLb0EEEEDaSW_SX_EUlSW_E_NS1_11comp_targetILNS1_3genE5ELNS1_11target_archE942ELNS1_3gpuE9ELNS1_3repE0EEENS1_30default_config_static_selectorELNS0_4arch9wavefront6targetE0EEEvT1_.num_named_barrier, 0
	.set _ZN7rocprim17ROCPRIM_400000_NS6detail17trampoline_kernelINS0_14default_configENS1_27scan_by_key_config_selectorIitEEZZNS1_16scan_by_key_implILNS1_25lookback_scan_determinismE0ELb1ES3_N6thrust23THRUST_200600_302600_NS6detail15normal_iteratorINS9_10device_ptrIiEEEENSB_INSC_ItEEEESG_tNS9_4plusIvEENS9_8equal_toIvEEtEE10hipError_tPvRmT2_T3_T4_T5_mT6_T7_P12ihipStream_tbENKUlT_T0_E_clISt17integral_constantIbLb1EES10_IbLb0EEEEDaSW_SX_EUlSW_E_NS1_11comp_targetILNS1_3genE5ELNS1_11target_archE942ELNS1_3gpuE9ELNS1_3repE0EEENS1_30default_config_static_selectorELNS0_4arch9wavefront6targetE0EEEvT1_.private_seg_size, 0
	.set _ZN7rocprim17ROCPRIM_400000_NS6detail17trampoline_kernelINS0_14default_configENS1_27scan_by_key_config_selectorIitEEZZNS1_16scan_by_key_implILNS1_25lookback_scan_determinismE0ELb1ES3_N6thrust23THRUST_200600_302600_NS6detail15normal_iteratorINS9_10device_ptrIiEEEENSB_INSC_ItEEEESG_tNS9_4plusIvEENS9_8equal_toIvEEtEE10hipError_tPvRmT2_T3_T4_T5_mT6_T7_P12ihipStream_tbENKUlT_T0_E_clISt17integral_constantIbLb1EES10_IbLb0EEEEDaSW_SX_EUlSW_E_NS1_11comp_targetILNS1_3genE5ELNS1_11target_archE942ELNS1_3gpuE9ELNS1_3repE0EEENS1_30default_config_static_selectorELNS0_4arch9wavefront6targetE0EEEvT1_.uses_vcc, 0
	.set _ZN7rocprim17ROCPRIM_400000_NS6detail17trampoline_kernelINS0_14default_configENS1_27scan_by_key_config_selectorIitEEZZNS1_16scan_by_key_implILNS1_25lookback_scan_determinismE0ELb1ES3_N6thrust23THRUST_200600_302600_NS6detail15normal_iteratorINS9_10device_ptrIiEEEENSB_INSC_ItEEEESG_tNS9_4plusIvEENS9_8equal_toIvEEtEE10hipError_tPvRmT2_T3_T4_T5_mT6_T7_P12ihipStream_tbENKUlT_T0_E_clISt17integral_constantIbLb1EES10_IbLb0EEEEDaSW_SX_EUlSW_E_NS1_11comp_targetILNS1_3genE5ELNS1_11target_archE942ELNS1_3gpuE9ELNS1_3repE0EEENS1_30default_config_static_selectorELNS0_4arch9wavefront6targetE0EEEvT1_.uses_flat_scratch, 0
	.set _ZN7rocprim17ROCPRIM_400000_NS6detail17trampoline_kernelINS0_14default_configENS1_27scan_by_key_config_selectorIitEEZZNS1_16scan_by_key_implILNS1_25lookback_scan_determinismE0ELb1ES3_N6thrust23THRUST_200600_302600_NS6detail15normal_iteratorINS9_10device_ptrIiEEEENSB_INSC_ItEEEESG_tNS9_4plusIvEENS9_8equal_toIvEEtEE10hipError_tPvRmT2_T3_T4_T5_mT6_T7_P12ihipStream_tbENKUlT_T0_E_clISt17integral_constantIbLb1EES10_IbLb0EEEEDaSW_SX_EUlSW_E_NS1_11comp_targetILNS1_3genE5ELNS1_11target_archE942ELNS1_3gpuE9ELNS1_3repE0EEENS1_30default_config_static_selectorELNS0_4arch9wavefront6targetE0EEEvT1_.has_dyn_sized_stack, 0
	.set _ZN7rocprim17ROCPRIM_400000_NS6detail17trampoline_kernelINS0_14default_configENS1_27scan_by_key_config_selectorIitEEZZNS1_16scan_by_key_implILNS1_25lookback_scan_determinismE0ELb1ES3_N6thrust23THRUST_200600_302600_NS6detail15normal_iteratorINS9_10device_ptrIiEEEENSB_INSC_ItEEEESG_tNS9_4plusIvEENS9_8equal_toIvEEtEE10hipError_tPvRmT2_T3_T4_T5_mT6_T7_P12ihipStream_tbENKUlT_T0_E_clISt17integral_constantIbLb1EES10_IbLb0EEEEDaSW_SX_EUlSW_E_NS1_11comp_targetILNS1_3genE5ELNS1_11target_archE942ELNS1_3gpuE9ELNS1_3repE0EEENS1_30default_config_static_selectorELNS0_4arch9wavefront6targetE0EEEvT1_.has_recursion, 0
	.set _ZN7rocprim17ROCPRIM_400000_NS6detail17trampoline_kernelINS0_14default_configENS1_27scan_by_key_config_selectorIitEEZZNS1_16scan_by_key_implILNS1_25lookback_scan_determinismE0ELb1ES3_N6thrust23THRUST_200600_302600_NS6detail15normal_iteratorINS9_10device_ptrIiEEEENSB_INSC_ItEEEESG_tNS9_4plusIvEENS9_8equal_toIvEEtEE10hipError_tPvRmT2_T3_T4_T5_mT6_T7_P12ihipStream_tbENKUlT_T0_E_clISt17integral_constantIbLb1EES10_IbLb0EEEEDaSW_SX_EUlSW_E_NS1_11comp_targetILNS1_3genE5ELNS1_11target_archE942ELNS1_3gpuE9ELNS1_3repE0EEENS1_30default_config_static_selectorELNS0_4arch9wavefront6targetE0EEEvT1_.has_indirect_call, 0
	.section	.AMDGPU.csdata,"",@progbits
; Kernel info:
; codeLenInByte = 0
; TotalNumSgprs: 0
; NumVgprs: 0
; ScratchSize: 0
; MemoryBound: 0
; FloatMode: 240
; IeeeMode: 1
; LDSByteSize: 0 bytes/workgroup (compile time only)
; SGPRBlocks: 0
; VGPRBlocks: 0
; NumSGPRsForWavesPerEU: 1
; NumVGPRsForWavesPerEU: 1
; NamedBarCnt: 0
; Occupancy: 16
; WaveLimiterHint : 0
; COMPUTE_PGM_RSRC2:SCRATCH_EN: 0
; COMPUTE_PGM_RSRC2:USER_SGPR: 2
; COMPUTE_PGM_RSRC2:TRAP_HANDLER: 0
; COMPUTE_PGM_RSRC2:TGID_X_EN: 1
; COMPUTE_PGM_RSRC2:TGID_Y_EN: 0
; COMPUTE_PGM_RSRC2:TGID_Z_EN: 0
; COMPUTE_PGM_RSRC2:TIDIG_COMP_CNT: 0
	.section	.text._ZN7rocprim17ROCPRIM_400000_NS6detail17trampoline_kernelINS0_14default_configENS1_27scan_by_key_config_selectorIitEEZZNS1_16scan_by_key_implILNS1_25lookback_scan_determinismE0ELb1ES3_N6thrust23THRUST_200600_302600_NS6detail15normal_iteratorINS9_10device_ptrIiEEEENSB_INSC_ItEEEESG_tNS9_4plusIvEENS9_8equal_toIvEEtEE10hipError_tPvRmT2_T3_T4_T5_mT6_T7_P12ihipStream_tbENKUlT_T0_E_clISt17integral_constantIbLb1EES10_IbLb0EEEEDaSW_SX_EUlSW_E_NS1_11comp_targetILNS1_3genE4ELNS1_11target_archE910ELNS1_3gpuE8ELNS1_3repE0EEENS1_30default_config_static_selectorELNS0_4arch9wavefront6targetE0EEEvT1_,"axG",@progbits,_ZN7rocprim17ROCPRIM_400000_NS6detail17trampoline_kernelINS0_14default_configENS1_27scan_by_key_config_selectorIitEEZZNS1_16scan_by_key_implILNS1_25lookback_scan_determinismE0ELb1ES3_N6thrust23THRUST_200600_302600_NS6detail15normal_iteratorINS9_10device_ptrIiEEEENSB_INSC_ItEEEESG_tNS9_4plusIvEENS9_8equal_toIvEEtEE10hipError_tPvRmT2_T3_T4_T5_mT6_T7_P12ihipStream_tbENKUlT_T0_E_clISt17integral_constantIbLb1EES10_IbLb0EEEEDaSW_SX_EUlSW_E_NS1_11comp_targetILNS1_3genE4ELNS1_11target_archE910ELNS1_3gpuE8ELNS1_3repE0EEENS1_30default_config_static_selectorELNS0_4arch9wavefront6targetE0EEEvT1_,comdat
	.protected	_ZN7rocprim17ROCPRIM_400000_NS6detail17trampoline_kernelINS0_14default_configENS1_27scan_by_key_config_selectorIitEEZZNS1_16scan_by_key_implILNS1_25lookback_scan_determinismE0ELb1ES3_N6thrust23THRUST_200600_302600_NS6detail15normal_iteratorINS9_10device_ptrIiEEEENSB_INSC_ItEEEESG_tNS9_4plusIvEENS9_8equal_toIvEEtEE10hipError_tPvRmT2_T3_T4_T5_mT6_T7_P12ihipStream_tbENKUlT_T0_E_clISt17integral_constantIbLb1EES10_IbLb0EEEEDaSW_SX_EUlSW_E_NS1_11comp_targetILNS1_3genE4ELNS1_11target_archE910ELNS1_3gpuE8ELNS1_3repE0EEENS1_30default_config_static_selectorELNS0_4arch9wavefront6targetE0EEEvT1_ ; -- Begin function _ZN7rocprim17ROCPRIM_400000_NS6detail17trampoline_kernelINS0_14default_configENS1_27scan_by_key_config_selectorIitEEZZNS1_16scan_by_key_implILNS1_25lookback_scan_determinismE0ELb1ES3_N6thrust23THRUST_200600_302600_NS6detail15normal_iteratorINS9_10device_ptrIiEEEENSB_INSC_ItEEEESG_tNS9_4plusIvEENS9_8equal_toIvEEtEE10hipError_tPvRmT2_T3_T4_T5_mT6_T7_P12ihipStream_tbENKUlT_T0_E_clISt17integral_constantIbLb1EES10_IbLb0EEEEDaSW_SX_EUlSW_E_NS1_11comp_targetILNS1_3genE4ELNS1_11target_archE910ELNS1_3gpuE8ELNS1_3repE0EEENS1_30default_config_static_selectorELNS0_4arch9wavefront6targetE0EEEvT1_
	.globl	_ZN7rocprim17ROCPRIM_400000_NS6detail17trampoline_kernelINS0_14default_configENS1_27scan_by_key_config_selectorIitEEZZNS1_16scan_by_key_implILNS1_25lookback_scan_determinismE0ELb1ES3_N6thrust23THRUST_200600_302600_NS6detail15normal_iteratorINS9_10device_ptrIiEEEENSB_INSC_ItEEEESG_tNS9_4plusIvEENS9_8equal_toIvEEtEE10hipError_tPvRmT2_T3_T4_T5_mT6_T7_P12ihipStream_tbENKUlT_T0_E_clISt17integral_constantIbLb1EES10_IbLb0EEEEDaSW_SX_EUlSW_E_NS1_11comp_targetILNS1_3genE4ELNS1_11target_archE910ELNS1_3gpuE8ELNS1_3repE0EEENS1_30default_config_static_selectorELNS0_4arch9wavefront6targetE0EEEvT1_
	.p2align	8
	.type	_ZN7rocprim17ROCPRIM_400000_NS6detail17trampoline_kernelINS0_14default_configENS1_27scan_by_key_config_selectorIitEEZZNS1_16scan_by_key_implILNS1_25lookback_scan_determinismE0ELb1ES3_N6thrust23THRUST_200600_302600_NS6detail15normal_iteratorINS9_10device_ptrIiEEEENSB_INSC_ItEEEESG_tNS9_4plusIvEENS9_8equal_toIvEEtEE10hipError_tPvRmT2_T3_T4_T5_mT6_T7_P12ihipStream_tbENKUlT_T0_E_clISt17integral_constantIbLb1EES10_IbLb0EEEEDaSW_SX_EUlSW_E_NS1_11comp_targetILNS1_3genE4ELNS1_11target_archE910ELNS1_3gpuE8ELNS1_3repE0EEENS1_30default_config_static_selectorELNS0_4arch9wavefront6targetE0EEEvT1_,@function
_ZN7rocprim17ROCPRIM_400000_NS6detail17trampoline_kernelINS0_14default_configENS1_27scan_by_key_config_selectorIitEEZZNS1_16scan_by_key_implILNS1_25lookback_scan_determinismE0ELb1ES3_N6thrust23THRUST_200600_302600_NS6detail15normal_iteratorINS9_10device_ptrIiEEEENSB_INSC_ItEEEESG_tNS9_4plusIvEENS9_8equal_toIvEEtEE10hipError_tPvRmT2_T3_T4_T5_mT6_T7_P12ihipStream_tbENKUlT_T0_E_clISt17integral_constantIbLb1EES10_IbLb0EEEEDaSW_SX_EUlSW_E_NS1_11comp_targetILNS1_3genE4ELNS1_11target_archE910ELNS1_3gpuE8ELNS1_3repE0EEENS1_30default_config_static_selectorELNS0_4arch9wavefront6targetE0EEEvT1_: ; @_ZN7rocprim17ROCPRIM_400000_NS6detail17trampoline_kernelINS0_14default_configENS1_27scan_by_key_config_selectorIitEEZZNS1_16scan_by_key_implILNS1_25lookback_scan_determinismE0ELb1ES3_N6thrust23THRUST_200600_302600_NS6detail15normal_iteratorINS9_10device_ptrIiEEEENSB_INSC_ItEEEESG_tNS9_4plusIvEENS9_8equal_toIvEEtEE10hipError_tPvRmT2_T3_T4_T5_mT6_T7_P12ihipStream_tbENKUlT_T0_E_clISt17integral_constantIbLb1EES10_IbLb0EEEEDaSW_SX_EUlSW_E_NS1_11comp_targetILNS1_3genE4ELNS1_11target_archE910ELNS1_3gpuE8ELNS1_3repE0EEENS1_30default_config_static_selectorELNS0_4arch9wavefront6targetE0EEEvT1_
; %bb.0:
	.section	.rodata,"a",@progbits
	.p2align	6, 0x0
	.amdhsa_kernel _ZN7rocprim17ROCPRIM_400000_NS6detail17trampoline_kernelINS0_14default_configENS1_27scan_by_key_config_selectorIitEEZZNS1_16scan_by_key_implILNS1_25lookback_scan_determinismE0ELb1ES3_N6thrust23THRUST_200600_302600_NS6detail15normal_iteratorINS9_10device_ptrIiEEEENSB_INSC_ItEEEESG_tNS9_4plusIvEENS9_8equal_toIvEEtEE10hipError_tPvRmT2_T3_T4_T5_mT6_T7_P12ihipStream_tbENKUlT_T0_E_clISt17integral_constantIbLb1EES10_IbLb0EEEEDaSW_SX_EUlSW_E_NS1_11comp_targetILNS1_3genE4ELNS1_11target_archE910ELNS1_3gpuE8ELNS1_3repE0EEENS1_30default_config_static_selectorELNS0_4arch9wavefront6targetE0EEEvT1_
		.amdhsa_group_segment_fixed_size 0
		.amdhsa_private_segment_fixed_size 0
		.amdhsa_kernarg_size 112
		.amdhsa_user_sgpr_count 2
		.amdhsa_user_sgpr_dispatch_ptr 0
		.amdhsa_user_sgpr_queue_ptr 0
		.amdhsa_user_sgpr_kernarg_segment_ptr 1
		.amdhsa_user_sgpr_dispatch_id 0
		.amdhsa_user_sgpr_kernarg_preload_length 0
		.amdhsa_user_sgpr_kernarg_preload_offset 0
		.amdhsa_user_sgpr_private_segment_size 0
		.amdhsa_wavefront_size32 1
		.amdhsa_uses_dynamic_stack 0
		.amdhsa_enable_private_segment 0
		.amdhsa_system_sgpr_workgroup_id_x 1
		.amdhsa_system_sgpr_workgroup_id_y 0
		.amdhsa_system_sgpr_workgroup_id_z 0
		.amdhsa_system_sgpr_workgroup_info 0
		.amdhsa_system_vgpr_workitem_id 0
		.amdhsa_next_free_vgpr 1
		.amdhsa_next_free_sgpr 1
		.amdhsa_named_barrier_count 0
		.amdhsa_reserve_vcc 0
		.amdhsa_float_round_mode_32 0
		.amdhsa_float_round_mode_16_64 0
		.amdhsa_float_denorm_mode_32 3
		.amdhsa_float_denorm_mode_16_64 3
		.amdhsa_fp16_overflow 0
		.amdhsa_memory_ordered 1
		.amdhsa_forward_progress 1
		.amdhsa_inst_pref_size 0
		.amdhsa_round_robin_scheduling 0
		.amdhsa_exception_fp_ieee_invalid_op 0
		.amdhsa_exception_fp_denorm_src 0
		.amdhsa_exception_fp_ieee_div_zero 0
		.amdhsa_exception_fp_ieee_overflow 0
		.amdhsa_exception_fp_ieee_underflow 0
		.amdhsa_exception_fp_ieee_inexact 0
		.amdhsa_exception_int_div_zero 0
	.end_amdhsa_kernel
	.section	.text._ZN7rocprim17ROCPRIM_400000_NS6detail17trampoline_kernelINS0_14default_configENS1_27scan_by_key_config_selectorIitEEZZNS1_16scan_by_key_implILNS1_25lookback_scan_determinismE0ELb1ES3_N6thrust23THRUST_200600_302600_NS6detail15normal_iteratorINS9_10device_ptrIiEEEENSB_INSC_ItEEEESG_tNS9_4plusIvEENS9_8equal_toIvEEtEE10hipError_tPvRmT2_T3_T4_T5_mT6_T7_P12ihipStream_tbENKUlT_T0_E_clISt17integral_constantIbLb1EES10_IbLb0EEEEDaSW_SX_EUlSW_E_NS1_11comp_targetILNS1_3genE4ELNS1_11target_archE910ELNS1_3gpuE8ELNS1_3repE0EEENS1_30default_config_static_selectorELNS0_4arch9wavefront6targetE0EEEvT1_,"axG",@progbits,_ZN7rocprim17ROCPRIM_400000_NS6detail17trampoline_kernelINS0_14default_configENS1_27scan_by_key_config_selectorIitEEZZNS1_16scan_by_key_implILNS1_25lookback_scan_determinismE0ELb1ES3_N6thrust23THRUST_200600_302600_NS6detail15normal_iteratorINS9_10device_ptrIiEEEENSB_INSC_ItEEEESG_tNS9_4plusIvEENS9_8equal_toIvEEtEE10hipError_tPvRmT2_T3_T4_T5_mT6_T7_P12ihipStream_tbENKUlT_T0_E_clISt17integral_constantIbLb1EES10_IbLb0EEEEDaSW_SX_EUlSW_E_NS1_11comp_targetILNS1_3genE4ELNS1_11target_archE910ELNS1_3gpuE8ELNS1_3repE0EEENS1_30default_config_static_selectorELNS0_4arch9wavefront6targetE0EEEvT1_,comdat
.Lfunc_end1556:
	.size	_ZN7rocprim17ROCPRIM_400000_NS6detail17trampoline_kernelINS0_14default_configENS1_27scan_by_key_config_selectorIitEEZZNS1_16scan_by_key_implILNS1_25lookback_scan_determinismE0ELb1ES3_N6thrust23THRUST_200600_302600_NS6detail15normal_iteratorINS9_10device_ptrIiEEEENSB_INSC_ItEEEESG_tNS9_4plusIvEENS9_8equal_toIvEEtEE10hipError_tPvRmT2_T3_T4_T5_mT6_T7_P12ihipStream_tbENKUlT_T0_E_clISt17integral_constantIbLb1EES10_IbLb0EEEEDaSW_SX_EUlSW_E_NS1_11comp_targetILNS1_3genE4ELNS1_11target_archE910ELNS1_3gpuE8ELNS1_3repE0EEENS1_30default_config_static_selectorELNS0_4arch9wavefront6targetE0EEEvT1_, .Lfunc_end1556-_ZN7rocprim17ROCPRIM_400000_NS6detail17trampoline_kernelINS0_14default_configENS1_27scan_by_key_config_selectorIitEEZZNS1_16scan_by_key_implILNS1_25lookback_scan_determinismE0ELb1ES3_N6thrust23THRUST_200600_302600_NS6detail15normal_iteratorINS9_10device_ptrIiEEEENSB_INSC_ItEEEESG_tNS9_4plusIvEENS9_8equal_toIvEEtEE10hipError_tPvRmT2_T3_T4_T5_mT6_T7_P12ihipStream_tbENKUlT_T0_E_clISt17integral_constantIbLb1EES10_IbLb0EEEEDaSW_SX_EUlSW_E_NS1_11comp_targetILNS1_3genE4ELNS1_11target_archE910ELNS1_3gpuE8ELNS1_3repE0EEENS1_30default_config_static_selectorELNS0_4arch9wavefront6targetE0EEEvT1_
                                        ; -- End function
	.set _ZN7rocprim17ROCPRIM_400000_NS6detail17trampoline_kernelINS0_14default_configENS1_27scan_by_key_config_selectorIitEEZZNS1_16scan_by_key_implILNS1_25lookback_scan_determinismE0ELb1ES3_N6thrust23THRUST_200600_302600_NS6detail15normal_iteratorINS9_10device_ptrIiEEEENSB_INSC_ItEEEESG_tNS9_4plusIvEENS9_8equal_toIvEEtEE10hipError_tPvRmT2_T3_T4_T5_mT6_T7_P12ihipStream_tbENKUlT_T0_E_clISt17integral_constantIbLb1EES10_IbLb0EEEEDaSW_SX_EUlSW_E_NS1_11comp_targetILNS1_3genE4ELNS1_11target_archE910ELNS1_3gpuE8ELNS1_3repE0EEENS1_30default_config_static_selectorELNS0_4arch9wavefront6targetE0EEEvT1_.num_vgpr, 0
	.set _ZN7rocprim17ROCPRIM_400000_NS6detail17trampoline_kernelINS0_14default_configENS1_27scan_by_key_config_selectorIitEEZZNS1_16scan_by_key_implILNS1_25lookback_scan_determinismE0ELb1ES3_N6thrust23THRUST_200600_302600_NS6detail15normal_iteratorINS9_10device_ptrIiEEEENSB_INSC_ItEEEESG_tNS9_4plusIvEENS9_8equal_toIvEEtEE10hipError_tPvRmT2_T3_T4_T5_mT6_T7_P12ihipStream_tbENKUlT_T0_E_clISt17integral_constantIbLb1EES10_IbLb0EEEEDaSW_SX_EUlSW_E_NS1_11comp_targetILNS1_3genE4ELNS1_11target_archE910ELNS1_3gpuE8ELNS1_3repE0EEENS1_30default_config_static_selectorELNS0_4arch9wavefront6targetE0EEEvT1_.num_agpr, 0
	.set _ZN7rocprim17ROCPRIM_400000_NS6detail17trampoline_kernelINS0_14default_configENS1_27scan_by_key_config_selectorIitEEZZNS1_16scan_by_key_implILNS1_25lookback_scan_determinismE0ELb1ES3_N6thrust23THRUST_200600_302600_NS6detail15normal_iteratorINS9_10device_ptrIiEEEENSB_INSC_ItEEEESG_tNS9_4plusIvEENS9_8equal_toIvEEtEE10hipError_tPvRmT2_T3_T4_T5_mT6_T7_P12ihipStream_tbENKUlT_T0_E_clISt17integral_constantIbLb1EES10_IbLb0EEEEDaSW_SX_EUlSW_E_NS1_11comp_targetILNS1_3genE4ELNS1_11target_archE910ELNS1_3gpuE8ELNS1_3repE0EEENS1_30default_config_static_selectorELNS0_4arch9wavefront6targetE0EEEvT1_.numbered_sgpr, 0
	.set _ZN7rocprim17ROCPRIM_400000_NS6detail17trampoline_kernelINS0_14default_configENS1_27scan_by_key_config_selectorIitEEZZNS1_16scan_by_key_implILNS1_25lookback_scan_determinismE0ELb1ES3_N6thrust23THRUST_200600_302600_NS6detail15normal_iteratorINS9_10device_ptrIiEEEENSB_INSC_ItEEEESG_tNS9_4plusIvEENS9_8equal_toIvEEtEE10hipError_tPvRmT2_T3_T4_T5_mT6_T7_P12ihipStream_tbENKUlT_T0_E_clISt17integral_constantIbLb1EES10_IbLb0EEEEDaSW_SX_EUlSW_E_NS1_11comp_targetILNS1_3genE4ELNS1_11target_archE910ELNS1_3gpuE8ELNS1_3repE0EEENS1_30default_config_static_selectorELNS0_4arch9wavefront6targetE0EEEvT1_.num_named_barrier, 0
	.set _ZN7rocprim17ROCPRIM_400000_NS6detail17trampoline_kernelINS0_14default_configENS1_27scan_by_key_config_selectorIitEEZZNS1_16scan_by_key_implILNS1_25lookback_scan_determinismE0ELb1ES3_N6thrust23THRUST_200600_302600_NS6detail15normal_iteratorINS9_10device_ptrIiEEEENSB_INSC_ItEEEESG_tNS9_4plusIvEENS9_8equal_toIvEEtEE10hipError_tPvRmT2_T3_T4_T5_mT6_T7_P12ihipStream_tbENKUlT_T0_E_clISt17integral_constantIbLb1EES10_IbLb0EEEEDaSW_SX_EUlSW_E_NS1_11comp_targetILNS1_3genE4ELNS1_11target_archE910ELNS1_3gpuE8ELNS1_3repE0EEENS1_30default_config_static_selectorELNS0_4arch9wavefront6targetE0EEEvT1_.private_seg_size, 0
	.set _ZN7rocprim17ROCPRIM_400000_NS6detail17trampoline_kernelINS0_14default_configENS1_27scan_by_key_config_selectorIitEEZZNS1_16scan_by_key_implILNS1_25lookback_scan_determinismE0ELb1ES3_N6thrust23THRUST_200600_302600_NS6detail15normal_iteratorINS9_10device_ptrIiEEEENSB_INSC_ItEEEESG_tNS9_4plusIvEENS9_8equal_toIvEEtEE10hipError_tPvRmT2_T3_T4_T5_mT6_T7_P12ihipStream_tbENKUlT_T0_E_clISt17integral_constantIbLb1EES10_IbLb0EEEEDaSW_SX_EUlSW_E_NS1_11comp_targetILNS1_3genE4ELNS1_11target_archE910ELNS1_3gpuE8ELNS1_3repE0EEENS1_30default_config_static_selectorELNS0_4arch9wavefront6targetE0EEEvT1_.uses_vcc, 0
	.set _ZN7rocprim17ROCPRIM_400000_NS6detail17trampoline_kernelINS0_14default_configENS1_27scan_by_key_config_selectorIitEEZZNS1_16scan_by_key_implILNS1_25lookback_scan_determinismE0ELb1ES3_N6thrust23THRUST_200600_302600_NS6detail15normal_iteratorINS9_10device_ptrIiEEEENSB_INSC_ItEEEESG_tNS9_4plusIvEENS9_8equal_toIvEEtEE10hipError_tPvRmT2_T3_T4_T5_mT6_T7_P12ihipStream_tbENKUlT_T0_E_clISt17integral_constantIbLb1EES10_IbLb0EEEEDaSW_SX_EUlSW_E_NS1_11comp_targetILNS1_3genE4ELNS1_11target_archE910ELNS1_3gpuE8ELNS1_3repE0EEENS1_30default_config_static_selectorELNS0_4arch9wavefront6targetE0EEEvT1_.uses_flat_scratch, 0
	.set _ZN7rocprim17ROCPRIM_400000_NS6detail17trampoline_kernelINS0_14default_configENS1_27scan_by_key_config_selectorIitEEZZNS1_16scan_by_key_implILNS1_25lookback_scan_determinismE0ELb1ES3_N6thrust23THRUST_200600_302600_NS6detail15normal_iteratorINS9_10device_ptrIiEEEENSB_INSC_ItEEEESG_tNS9_4plusIvEENS9_8equal_toIvEEtEE10hipError_tPvRmT2_T3_T4_T5_mT6_T7_P12ihipStream_tbENKUlT_T0_E_clISt17integral_constantIbLb1EES10_IbLb0EEEEDaSW_SX_EUlSW_E_NS1_11comp_targetILNS1_3genE4ELNS1_11target_archE910ELNS1_3gpuE8ELNS1_3repE0EEENS1_30default_config_static_selectorELNS0_4arch9wavefront6targetE0EEEvT1_.has_dyn_sized_stack, 0
	.set _ZN7rocprim17ROCPRIM_400000_NS6detail17trampoline_kernelINS0_14default_configENS1_27scan_by_key_config_selectorIitEEZZNS1_16scan_by_key_implILNS1_25lookback_scan_determinismE0ELb1ES3_N6thrust23THRUST_200600_302600_NS6detail15normal_iteratorINS9_10device_ptrIiEEEENSB_INSC_ItEEEESG_tNS9_4plusIvEENS9_8equal_toIvEEtEE10hipError_tPvRmT2_T3_T4_T5_mT6_T7_P12ihipStream_tbENKUlT_T0_E_clISt17integral_constantIbLb1EES10_IbLb0EEEEDaSW_SX_EUlSW_E_NS1_11comp_targetILNS1_3genE4ELNS1_11target_archE910ELNS1_3gpuE8ELNS1_3repE0EEENS1_30default_config_static_selectorELNS0_4arch9wavefront6targetE0EEEvT1_.has_recursion, 0
	.set _ZN7rocprim17ROCPRIM_400000_NS6detail17trampoline_kernelINS0_14default_configENS1_27scan_by_key_config_selectorIitEEZZNS1_16scan_by_key_implILNS1_25lookback_scan_determinismE0ELb1ES3_N6thrust23THRUST_200600_302600_NS6detail15normal_iteratorINS9_10device_ptrIiEEEENSB_INSC_ItEEEESG_tNS9_4plusIvEENS9_8equal_toIvEEtEE10hipError_tPvRmT2_T3_T4_T5_mT6_T7_P12ihipStream_tbENKUlT_T0_E_clISt17integral_constantIbLb1EES10_IbLb0EEEEDaSW_SX_EUlSW_E_NS1_11comp_targetILNS1_3genE4ELNS1_11target_archE910ELNS1_3gpuE8ELNS1_3repE0EEENS1_30default_config_static_selectorELNS0_4arch9wavefront6targetE0EEEvT1_.has_indirect_call, 0
	.section	.AMDGPU.csdata,"",@progbits
; Kernel info:
; codeLenInByte = 0
; TotalNumSgprs: 0
; NumVgprs: 0
; ScratchSize: 0
; MemoryBound: 0
; FloatMode: 240
; IeeeMode: 1
; LDSByteSize: 0 bytes/workgroup (compile time only)
; SGPRBlocks: 0
; VGPRBlocks: 0
; NumSGPRsForWavesPerEU: 1
; NumVGPRsForWavesPerEU: 1
; NamedBarCnt: 0
; Occupancy: 16
; WaveLimiterHint : 0
; COMPUTE_PGM_RSRC2:SCRATCH_EN: 0
; COMPUTE_PGM_RSRC2:USER_SGPR: 2
; COMPUTE_PGM_RSRC2:TRAP_HANDLER: 0
; COMPUTE_PGM_RSRC2:TGID_X_EN: 1
; COMPUTE_PGM_RSRC2:TGID_Y_EN: 0
; COMPUTE_PGM_RSRC2:TGID_Z_EN: 0
; COMPUTE_PGM_RSRC2:TIDIG_COMP_CNT: 0
	.section	.text._ZN7rocprim17ROCPRIM_400000_NS6detail17trampoline_kernelINS0_14default_configENS1_27scan_by_key_config_selectorIitEEZZNS1_16scan_by_key_implILNS1_25lookback_scan_determinismE0ELb1ES3_N6thrust23THRUST_200600_302600_NS6detail15normal_iteratorINS9_10device_ptrIiEEEENSB_INSC_ItEEEESG_tNS9_4plusIvEENS9_8equal_toIvEEtEE10hipError_tPvRmT2_T3_T4_T5_mT6_T7_P12ihipStream_tbENKUlT_T0_E_clISt17integral_constantIbLb1EES10_IbLb0EEEEDaSW_SX_EUlSW_E_NS1_11comp_targetILNS1_3genE3ELNS1_11target_archE908ELNS1_3gpuE7ELNS1_3repE0EEENS1_30default_config_static_selectorELNS0_4arch9wavefront6targetE0EEEvT1_,"axG",@progbits,_ZN7rocprim17ROCPRIM_400000_NS6detail17trampoline_kernelINS0_14default_configENS1_27scan_by_key_config_selectorIitEEZZNS1_16scan_by_key_implILNS1_25lookback_scan_determinismE0ELb1ES3_N6thrust23THRUST_200600_302600_NS6detail15normal_iteratorINS9_10device_ptrIiEEEENSB_INSC_ItEEEESG_tNS9_4plusIvEENS9_8equal_toIvEEtEE10hipError_tPvRmT2_T3_T4_T5_mT6_T7_P12ihipStream_tbENKUlT_T0_E_clISt17integral_constantIbLb1EES10_IbLb0EEEEDaSW_SX_EUlSW_E_NS1_11comp_targetILNS1_3genE3ELNS1_11target_archE908ELNS1_3gpuE7ELNS1_3repE0EEENS1_30default_config_static_selectorELNS0_4arch9wavefront6targetE0EEEvT1_,comdat
	.protected	_ZN7rocprim17ROCPRIM_400000_NS6detail17trampoline_kernelINS0_14default_configENS1_27scan_by_key_config_selectorIitEEZZNS1_16scan_by_key_implILNS1_25lookback_scan_determinismE0ELb1ES3_N6thrust23THRUST_200600_302600_NS6detail15normal_iteratorINS9_10device_ptrIiEEEENSB_INSC_ItEEEESG_tNS9_4plusIvEENS9_8equal_toIvEEtEE10hipError_tPvRmT2_T3_T4_T5_mT6_T7_P12ihipStream_tbENKUlT_T0_E_clISt17integral_constantIbLb1EES10_IbLb0EEEEDaSW_SX_EUlSW_E_NS1_11comp_targetILNS1_3genE3ELNS1_11target_archE908ELNS1_3gpuE7ELNS1_3repE0EEENS1_30default_config_static_selectorELNS0_4arch9wavefront6targetE0EEEvT1_ ; -- Begin function _ZN7rocprim17ROCPRIM_400000_NS6detail17trampoline_kernelINS0_14default_configENS1_27scan_by_key_config_selectorIitEEZZNS1_16scan_by_key_implILNS1_25lookback_scan_determinismE0ELb1ES3_N6thrust23THRUST_200600_302600_NS6detail15normal_iteratorINS9_10device_ptrIiEEEENSB_INSC_ItEEEESG_tNS9_4plusIvEENS9_8equal_toIvEEtEE10hipError_tPvRmT2_T3_T4_T5_mT6_T7_P12ihipStream_tbENKUlT_T0_E_clISt17integral_constantIbLb1EES10_IbLb0EEEEDaSW_SX_EUlSW_E_NS1_11comp_targetILNS1_3genE3ELNS1_11target_archE908ELNS1_3gpuE7ELNS1_3repE0EEENS1_30default_config_static_selectorELNS0_4arch9wavefront6targetE0EEEvT1_
	.globl	_ZN7rocprim17ROCPRIM_400000_NS6detail17trampoline_kernelINS0_14default_configENS1_27scan_by_key_config_selectorIitEEZZNS1_16scan_by_key_implILNS1_25lookback_scan_determinismE0ELb1ES3_N6thrust23THRUST_200600_302600_NS6detail15normal_iteratorINS9_10device_ptrIiEEEENSB_INSC_ItEEEESG_tNS9_4plusIvEENS9_8equal_toIvEEtEE10hipError_tPvRmT2_T3_T4_T5_mT6_T7_P12ihipStream_tbENKUlT_T0_E_clISt17integral_constantIbLb1EES10_IbLb0EEEEDaSW_SX_EUlSW_E_NS1_11comp_targetILNS1_3genE3ELNS1_11target_archE908ELNS1_3gpuE7ELNS1_3repE0EEENS1_30default_config_static_selectorELNS0_4arch9wavefront6targetE0EEEvT1_
	.p2align	8
	.type	_ZN7rocprim17ROCPRIM_400000_NS6detail17trampoline_kernelINS0_14default_configENS1_27scan_by_key_config_selectorIitEEZZNS1_16scan_by_key_implILNS1_25lookback_scan_determinismE0ELb1ES3_N6thrust23THRUST_200600_302600_NS6detail15normal_iteratorINS9_10device_ptrIiEEEENSB_INSC_ItEEEESG_tNS9_4plusIvEENS9_8equal_toIvEEtEE10hipError_tPvRmT2_T3_T4_T5_mT6_T7_P12ihipStream_tbENKUlT_T0_E_clISt17integral_constantIbLb1EES10_IbLb0EEEEDaSW_SX_EUlSW_E_NS1_11comp_targetILNS1_3genE3ELNS1_11target_archE908ELNS1_3gpuE7ELNS1_3repE0EEENS1_30default_config_static_selectorELNS0_4arch9wavefront6targetE0EEEvT1_,@function
_ZN7rocprim17ROCPRIM_400000_NS6detail17trampoline_kernelINS0_14default_configENS1_27scan_by_key_config_selectorIitEEZZNS1_16scan_by_key_implILNS1_25lookback_scan_determinismE0ELb1ES3_N6thrust23THRUST_200600_302600_NS6detail15normal_iteratorINS9_10device_ptrIiEEEENSB_INSC_ItEEEESG_tNS9_4plusIvEENS9_8equal_toIvEEtEE10hipError_tPvRmT2_T3_T4_T5_mT6_T7_P12ihipStream_tbENKUlT_T0_E_clISt17integral_constantIbLb1EES10_IbLb0EEEEDaSW_SX_EUlSW_E_NS1_11comp_targetILNS1_3genE3ELNS1_11target_archE908ELNS1_3gpuE7ELNS1_3repE0EEENS1_30default_config_static_selectorELNS0_4arch9wavefront6targetE0EEEvT1_: ; @_ZN7rocprim17ROCPRIM_400000_NS6detail17trampoline_kernelINS0_14default_configENS1_27scan_by_key_config_selectorIitEEZZNS1_16scan_by_key_implILNS1_25lookback_scan_determinismE0ELb1ES3_N6thrust23THRUST_200600_302600_NS6detail15normal_iteratorINS9_10device_ptrIiEEEENSB_INSC_ItEEEESG_tNS9_4plusIvEENS9_8equal_toIvEEtEE10hipError_tPvRmT2_T3_T4_T5_mT6_T7_P12ihipStream_tbENKUlT_T0_E_clISt17integral_constantIbLb1EES10_IbLb0EEEEDaSW_SX_EUlSW_E_NS1_11comp_targetILNS1_3genE3ELNS1_11target_archE908ELNS1_3gpuE7ELNS1_3repE0EEENS1_30default_config_static_selectorELNS0_4arch9wavefront6targetE0EEEvT1_
; %bb.0:
	.section	.rodata,"a",@progbits
	.p2align	6, 0x0
	.amdhsa_kernel _ZN7rocprim17ROCPRIM_400000_NS6detail17trampoline_kernelINS0_14default_configENS1_27scan_by_key_config_selectorIitEEZZNS1_16scan_by_key_implILNS1_25lookback_scan_determinismE0ELb1ES3_N6thrust23THRUST_200600_302600_NS6detail15normal_iteratorINS9_10device_ptrIiEEEENSB_INSC_ItEEEESG_tNS9_4plusIvEENS9_8equal_toIvEEtEE10hipError_tPvRmT2_T3_T4_T5_mT6_T7_P12ihipStream_tbENKUlT_T0_E_clISt17integral_constantIbLb1EES10_IbLb0EEEEDaSW_SX_EUlSW_E_NS1_11comp_targetILNS1_3genE3ELNS1_11target_archE908ELNS1_3gpuE7ELNS1_3repE0EEENS1_30default_config_static_selectorELNS0_4arch9wavefront6targetE0EEEvT1_
		.amdhsa_group_segment_fixed_size 0
		.amdhsa_private_segment_fixed_size 0
		.amdhsa_kernarg_size 112
		.amdhsa_user_sgpr_count 2
		.amdhsa_user_sgpr_dispatch_ptr 0
		.amdhsa_user_sgpr_queue_ptr 0
		.amdhsa_user_sgpr_kernarg_segment_ptr 1
		.amdhsa_user_sgpr_dispatch_id 0
		.amdhsa_user_sgpr_kernarg_preload_length 0
		.amdhsa_user_sgpr_kernarg_preload_offset 0
		.amdhsa_user_sgpr_private_segment_size 0
		.amdhsa_wavefront_size32 1
		.amdhsa_uses_dynamic_stack 0
		.amdhsa_enable_private_segment 0
		.amdhsa_system_sgpr_workgroup_id_x 1
		.amdhsa_system_sgpr_workgroup_id_y 0
		.amdhsa_system_sgpr_workgroup_id_z 0
		.amdhsa_system_sgpr_workgroup_info 0
		.amdhsa_system_vgpr_workitem_id 0
		.amdhsa_next_free_vgpr 1
		.amdhsa_next_free_sgpr 1
		.amdhsa_named_barrier_count 0
		.amdhsa_reserve_vcc 0
		.amdhsa_float_round_mode_32 0
		.amdhsa_float_round_mode_16_64 0
		.amdhsa_float_denorm_mode_32 3
		.amdhsa_float_denorm_mode_16_64 3
		.amdhsa_fp16_overflow 0
		.amdhsa_memory_ordered 1
		.amdhsa_forward_progress 1
		.amdhsa_inst_pref_size 0
		.amdhsa_round_robin_scheduling 0
		.amdhsa_exception_fp_ieee_invalid_op 0
		.amdhsa_exception_fp_denorm_src 0
		.amdhsa_exception_fp_ieee_div_zero 0
		.amdhsa_exception_fp_ieee_overflow 0
		.amdhsa_exception_fp_ieee_underflow 0
		.amdhsa_exception_fp_ieee_inexact 0
		.amdhsa_exception_int_div_zero 0
	.end_amdhsa_kernel
	.section	.text._ZN7rocprim17ROCPRIM_400000_NS6detail17trampoline_kernelINS0_14default_configENS1_27scan_by_key_config_selectorIitEEZZNS1_16scan_by_key_implILNS1_25lookback_scan_determinismE0ELb1ES3_N6thrust23THRUST_200600_302600_NS6detail15normal_iteratorINS9_10device_ptrIiEEEENSB_INSC_ItEEEESG_tNS9_4plusIvEENS9_8equal_toIvEEtEE10hipError_tPvRmT2_T3_T4_T5_mT6_T7_P12ihipStream_tbENKUlT_T0_E_clISt17integral_constantIbLb1EES10_IbLb0EEEEDaSW_SX_EUlSW_E_NS1_11comp_targetILNS1_3genE3ELNS1_11target_archE908ELNS1_3gpuE7ELNS1_3repE0EEENS1_30default_config_static_selectorELNS0_4arch9wavefront6targetE0EEEvT1_,"axG",@progbits,_ZN7rocprim17ROCPRIM_400000_NS6detail17trampoline_kernelINS0_14default_configENS1_27scan_by_key_config_selectorIitEEZZNS1_16scan_by_key_implILNS1_25lookback_scan_determinismE0ELb1ES3_N6thrust23THRUST_200600_302600_NS6detail15normal_iteratorINS9_10device_ptrIiEEEENSB_INSC_ItEEEESG_tNS9_4plusIvEENS9_8equal_toIvEEtEE10hipError_tPvRmT2_T3_T4_T5_mT6_T7_P12ihipStream_tbENKUlT_T0_E_clISt17integral_constantIbLb1EES10_IbLb0EEEEDaSW_SX_EUlSW_E_NS1_11comp_targetILNS1_3genE3ELNS1_11target_archE908ELNS1_3gpuE7ELNS1_3repE0EEENS1_30default_config_static_selectorELNS0_4arch9wavefront6targetE0EEEvT1_,comdat
.Lfunc_end1557:
	.size	_ZN7rocprim17ROCPRIM_400000_NS6detail17trampoline_kernelINS0_14default_configENS1_27scan_by_key_config_selectorIitEEZZNS1_16scan_by_key_implILNS1_25lookback_scan_determinismE0ELb1ES3_N6thrust23THRUST_200600_302600_NS6detail15normal_iteratorINS9_10device_ptrIiEEEENSB_INSC_ItEEEESG_tNS9_4plusIvEENS9_8equal_toIvEEtEE10hipError_tPvRmT2_T3_T4_T5_mT6_T7_P12ihipStream_tbENKUlT_T0_E_clISt17integral_constantIbLb1EES10_IbLb0EEEEDaSW_SX_EUlSW_E_NS1_11comp_targetILNS1_3genE3ELNS1_11target_archE908ELNS1_3gpuE7ELNS1_3repE0EEENS1_30default_config_static_selectorELNS0_4arch9wavefront6targetE0EEEvT1_, .Lfunc_end1557-_ZN7rocprim17ROCPRIM_400000_NS6detail17trampoline_kernelINS0_14default_configENS1_27scan_by_key_config_selectorIitEEZZNS1_16scan_by_key_implILNS1_25lookback_scan_determinismE0ELb1ES3_N6thrust23THRUST_200600_302600_NS6detail15normal_iteratorINS9_10device_ptrIiEEEENSB_INSC_ItEEEESG_tNS9_4plusIvEENS9_8equal_toIvEEtEE10hipError_tPvRmT2_T3_T4_T5_mT6_T7_P12ihipStream_tbENKUlT_T0_E_clISt17integral_constantIbLb1EES10_IbLb0EEEEDaSW_SX_EUlSW_E_NS1_11comp_targetILNS1_3genE3ELNS1_11target_archE908ELNS1_3gpuE7ELNS1_3repE0EEENS1_30default_config_static_selectorELNS0_4arch9wavefront6targetE0EEEvT1_
                                        ; -- End function
	.set _ZN7rocprim17ROCPRIM_400000_NS6detail17trampoline_kernelINS0_14default_configENS1_27scan_by_key_config_selectorIitEEZZNS1_16scan_by_key_implILNS1_25lookback_scan_determinismE0ELb1ES3_N6thrust23THRUST_200600_302600_NS6detail15normal_iteratorINS9_10device_ptrIiEEEENSB_INSC_ItEEEESG_tNS9_4plusIvEENS9_8equal_toIvEEtEE10hipError_tPvRmT2_T3_T4_T5_mT6_T7_P12ihipStream_tbENKUlT_T0_E_clISt17integral_constantIbLb1EES10_IbLb0EEEEDaSW_SX_EUlSW_E_NS1_11comp_targetILNS1_3genE3ELNS1_11target_archE908ELNS1_3gpuE7ELNS1_3repE0EEENS1_30default_config_static_selectorELNS0_4arch9wavefront6targetE0EEEvT1_.num_vgpr, 0
	.set _ZN7rocprim17ROCPRIM_400000_NS6detail17trampoline_kernelINS0_14default_configENS1_27scan_by_key_config_selectorIitEEZZNS1_16scan_by_key_implILNS1_25lookback_scan_determinismE0ELb1ES3_N6thrust23THRUST_200600_302600_NS6detail15normal_iteratorINS9_10device_ptrIiEEEENSB_INSC_ItEEEESG_tNS9_4plusIvEENS9_8equal_toIvEEtEE10hipError_tPvRmT2_T3_T4_T5_mT6_T7_P12ihipStream_tbENKUlT_T0_E_clISt17integral_constantIbLb1EES10_IbLb0EEEEDaSW_SX_EUlSW_E_NS1_11comp_targetILNS1_3genE3ELNS1_11target_archE908ELNS1_3gpuE7ELNS1_3repE0EEENS1_30default_config_static_selectorELNS0_4arch9wavefront6targetE0EEEvT1_.num_agpr, 0
	.set _ZN7rocprim17ROCPRIM_400000_NS6detail17trampoline_kernelINS0_14default_configENS1_27scan_by_key_config_selectorIitEEZZNS1_16scan_by_key_implILNS1_25lookback_scan_determinismE0ELb1ES3_N6thrust23THRUST_200600_302600_NS6detail15normal_iteratorINS9_10device_ptrIiEEEENSB_INSC_ItEEEESG_tNS9_4plusIvEENS9_8equal_toIvEEtEE10hipError_tPvRmT2_T3_T4_T5_mT6_T7_P12ihipStream_tbENKUlT_T0_E_clISt17integral_constantIbLb1EES10_IbLb0EEEEDaSW_SX_EUlSW_E_NS1_11comp_targetILNS1_3genE3ELNS1_11target_archE908ELNS1_3gpuE7ELNS1_3repE0EEENS1_30default_config_static_selectorELNS0_4arch9wavefront6targetE0EEEvT1_.numbered_sgpr, 0
	.set _ZN7rocprim17ROCPRIM_400000_NS6detail17trampoline_kernelINS0_14default_configENS1_27scan_by_key_config_selectorIitEEZZNS1_16scan_by_key_implILNS1_25lookback_scan_determinismE0ELb1ES3_N6thrust23THRUST_200600_302600_NS6detail15normal_iteratorINS9_10device_ptrIiEEEENSB_INSC_ItEEEESG_tNS9_4plusIvEENS9_8equal_toIvEEtEE10hipError_tPvRmT2_T3_T4_T5_mT6_T7_P12ihipStream_tbENKUlT_T0_E_clISt17integral_constantIbLb1EES10_IbLb0EEEEDaSW_SX_EUlSW_E_NS1_11comp_targetILNS1_3genE3ELNS1_11target_archE908ELNS1_3gpuE7ELNS1_3repE0EEENS1_30default_config_static_selectorELNS0_4arch9wavefront6targetE0EEEvT1_.num_named_barrier, 0
	.set _ZN7rocprim17ROCPRIM_400000_NS6detail17trampoline_kernelINS0_14default_configENS1_27scan_by_key_config_selectorIitEEZZNS1_16scan_by_key_implILNS1_25lookback_scan_determinismE0ELb1ES3_N6thrust23THRUST_200600_302600_NS6detail15normal_iteratorINS9_10device_ptrIiEEEENSB_INSC_ItEEEESG_tNS9_4plusIvEENS9_8equal_toIvEEtEE10hipError_tPvRmT2_T3_T4_T5_mT6_T7_P12ihipStream_tbENKUlT_T0_E_clISt17integral_constantIbLb1EES10_IbLb0EEEEDaSW_SX_EUlSW_E_NS1_11comp_targetILNS1_3genE3ELNS1_11target_archE908ELNS1_3gpuE7ELNS1_3repE0EEENS1_30default_config_static_selectorELNS0_4arch9wavefront6targetE0EEEvT1_.private_seg_size, 0
	.set _ZN7rocprim17ROCPRIM_400000_NS6detail17trampoline_kernelINS0_14default_configENS1_27scan_by_key_config_selectorIitEEZZNS1_16scan_by_key_implILNS1_25lookback_scan_determinismE0ELb1ES3_N6thrust23THRUST_200600_302600_NS6detail15normal_iteratorINS9_10device_ptrIiEEEENSB_INSC_ItEEEESG_tNS9_4plusIvEENS9_8equal_toIvEEtEE10hipError_tPvRmT2_T3_T4_T5_mT6_T7_P12ihipStream_tbENKUlT_T0_E_clISt17integral_constantIbLb1EES10_IbLb0EEEEDaSW_SX_EUlSW_E_NS1_11comp_targetILNS1_3genE3ELNS1_11target_archE908ELNS1_3gpuE7ELNS1_3repE0EEENS1_30default_config_static_selectorELNS0_4arch9wavefront6targetE0EEEvT1_.uses_vcc, 0
	.set _ZN7rocprim17ROCPRIM_400000_NS6detail17trampoline_kernelINS0_14default_configENS1_27scan_by_key_config_selectorIitEEZZNS1_16scan_by_key_implILNS1_25lookback_scan_determinismE0ELb1ES3_N6thrust23THRUST_200600_302600_NS6detail15normal_iteratorINS9_10device_ptrIiEEEENSB_INSC_ItEEEESG_tNS9_4plusIvEENS9_8equal_toIvEEtEE10hipError_tPvRmT2_T3_T4_T5_mT6_T7_P12ihipStream_tbENKUlT_T0_E_clISt17integral_constantIbLb1EES10_IbLb0EEEEDaSW_SX_EUlSW_E_NS1_11comp_targetILNS1_3genE3ELNS1_11target_archE908ELNS1_3gpuE7ELNS1_3repE0EEENS1_30default_config_static_selectorELNS0_4arch9wavefront6targetE0EEEvT1_.uses_flat_scratch, 0
	.set _ZN7rocprim17ROCPRIM_400000_NS6detail17trampoline_kernelINS0_14default_configENS1_27scan_by_key_config_selectorIitEEZZNS1_16scan_by_key_implILNS1_25lookback_scan_determinismE0ELb1ES3_N6thrust23THRUST_200600_302600_NS6detail15normal_iteratorINS9_10device_ptrIiEEEENSB_INSC_ItEEEESG_tNS9_4plusIvEENS9_8equal_toIvEEtEE10hipError_tPvRmT2_T3_T4_T5_mT6_T7_P12ihipStream_tbENKUlT_T0_E_clISt17integral_constantIbLb1EES10_IbLb0EEEEDaSW_SX_EUlSW_E_NS1_11comp_targetILNS1_3genE3ELNS1_11target_archE908ELNS1_3gpuE7ELNS1_3repE0EEENS1_30default_config_static_selectorELNS0_4arch9wavefront6targetE0EEEvT1_.has_dyn_sized_stack, 0
	.set _ZN7rocprim17ROCPRIM_400000_NS6detail17trampoline_kernelINS0_14default_configENS1_27scan_by_key_config_selectorIitEEZZNS1_16scan_by_key_implILNS1_25lookback_scan_determinismE0ELb1ES3_N6thrust23THRUST_200600_302600_NS6detail15normal_iteratorINS9_10device_ptrIiEEEENSB_INSC_ItEEEESG_tNS9_4plusIvEENS9_8equal_toIvEEtEE10hipError_tPvRmT2_T3_T4_T5_mT6_T7_P12ihipStream_tbENKUlT_T0_E_clISt17integral_constantIbLb1EES10_IbLb0EEEEDaSW_SX_EUlSW_E_NS1_11comp_targetILNS1_3genE3ELNS1_11target_archE908ELNS1_3gpuE7ELNS1_3repE0EEENS1_30default_config_static_selectorELNS0_4arch9wavefront6targetE0EEEvT1_.has_recursion, 0
	.set _ZN7rocprim17ROCPRIM_400000_NS6detail17trampoline_kernelINS0_14default_configENS1_27scan_by_key_config_selectorIitEEZZNS1_16scan_by_key_implILNS1_25lookback_scan_determinismE0ELb1ES3_N6thrust23THRUST_200600_302600_NS6detail15normal_iteratorINS9_10device_ptrIiEEEENSB_INSC_ItEEEESG_tNS9_4plusIvEENS9_8equal_toIvEEtEE10hipError_tPvRmT2_T3_T4_T5_mT6_T7_P12ihipStream_tbENKUlT_T0_E_clISt17integral_constantIbLb1EES10_IbLb0EEEEDaSW_SX_EUlSW_E_NS1_11comp_targetILNS1_3genE3ELNS1_11target_archE908ELNS1_3gpuE7ELNS1_3repE0EEENS1_30default_config_static_selectorELNS0_4arch9wavefront6targetE0EEEvT1_.has_indirect_call, 0
	.section	.AMDGPU.csdata,"",@progbits
; Kernel info:
; codeLenInByte = 0
; TotalNumSgprs: 0
; NumVgprs: 0
; ScratchSize: 0
; MemoryBound: 0
; FloatMode: 240
; IeeeMode: 1
; LDSByteSize: 0 bytes/workgroup (compile time only)
; SGPRBlocks: 0
; VGPRBlocks: 0
; NumSGPRsForWavesPerEU: 1
; NumVGPRsForWavesPerEU: 1
; NamedBarCnt: 0
; Occupancy: 16
; WaveLimiterHint : 0
; COMPUTE_PGM_RSRC2:SCRATCH_EN: 0
; COMPUTE_PGM_RSRC2:USER_SGPR: 2
; COMPUTE_PGM_RSRC2:TRAP_HANDLER: 0
; COMPUTE_PGM_RSRC2:TGID_X_EN: 1
; COMPUTE_PGM_RSRC2:TGID_Y_EN: 0
; COMPUTE_PGM_RSRC2:TGID_Z_EN: 0
; COMPUTE_PGM_RSRC2:TIDIG_COMP_CNT: 0
	.section	.text._ZN7rocprim17ROCPRIM_400000_NS6detail17trampoline_kernelINS0_14default_configENS1_27scan_by_key_config_selectorIitEEZZNS1_16scan_by_key_implILNS1_25lookback_scan_determinismE0ELb1ES3_N6thrust23THRUST_200600_302600_NS6detail15normal_iteratorINS9_10device_ptrIiEEEENSB_INSC_ItEEEESG_tNS9_4plusIvEENS9_8equal_toIvEEtEE10hipError_tPvRmT2_T3_T4_T5_mT6_T7_P12ihipStream_tbENKUlT_T0_E_clISt17integral_constantIbLb1EES10_IbLb0EEEEDaSW_SX_EUlSW_E_NS1_11comp_targetILNS1_3genE2ELNS1_11target_archE906ELNS1_3gpuE6ELNS1_3repE0EEENS1_30default_config_static_selectorELNS0_4arch9wavefront6targetE0EEEvT1_,"axG",@progbits,_ZN7rocprim17ROCPRIM_400000_NS6detail17trampoline_kernelINS0_14default_configENS1_27scan_by_key_config_selectorIitEEZZNS1_16scan_by_key_implILNS1_25lookback_scan_determinismE0ELb1ES3_N6thrust23THRUST_200600_302600_NS6detail15normal_iteratorINS9_10device_ptrIiEEEENSB_INSC_ItEEEESG_tNS9_4plusIvEENS9_8equal_toIvEEtEE10hipError_tPvRmT2_T3_T4_T5_mT6_T7_P12ihipStream_tbENKUlT_T0_E_clISt17integral_constantIbLb1EES10_IbLb0EEEEDaSW_SX_EUlSW_E_NS1_11comp_targetILNS1_3genE2ELNS1_11target_archE906ELNS1_3gpuE6ELNS1_3repE0EEENS1_30default_config_static_selectorELNS0_4arch9wavefront6targetE0EEEvT1_,comdat
	.protected	_ZN7rocprim17ROCPRIM_400000_NS6detail17trampoline_kernelINS0_14default_configENS1_27scan_by_key_config_selectorIitEEZZNS1_16scan_by_key_implILNS1_25lookback_scan_determinismE0ELb1ES3_N6thrust23THRUST_200600_302600_NS6detail15normal_iteratorINS9_10device_ptrIiEEEENSB_INSC_ItEEEESG_tNS9_4plusIvEENS9_8equal_toIvEEtEE10hipError_tPvRmT2_T3_T4_T5_mT6_T7_P12ihipStream_tbENKUlT_T0_E_clISt17integral_constantIbLb1EES10_IbLb0EEEEDaSW_SX_EUlSW_E_NS1_11comp_targetILNS1_3genE2ELNS1_11target_archE906ELNS1_3gpuE6ELNS1_3repE0EEENS1_30default_config_static_selectorELNS0_4arch9wavefront6targetE0EEEvT1_ ; -- Begin function _ZN7rocprim17ROCPRIM_400000_NS6detail17trampoline_kernelINS0_14default_configENS1_27scan_by_key_config_selectorIitEEZZNS1_16scan_by_key_implILNS1_25lookback_scan_determinismE0ELb1ES3_N6thrust23THRUST_200600_302600_NS6detail15normal_iteratorINS9_10device_ptrIiEEEENSB_INSC_ItEEEESG_tNS9_4plusIvEENS9_8equal_toIvEEtEE10hipError_tPvRmT2_T3_T4_T5_mT6_T7_P12ihipStream_tbENKUlT_T0_E_clISt17integral_constantIbLb1EES10_IbLb0EEEEDaSW_SX_EUlSW_E_NS1_11comp_targetILNS1_3genE2ELNS1_11target_archE906ELNS1_3gpuE6ELNS1_3repE0EEENS1_30default_config_static_selectorELNS0_4arch9wavefront6targetE0EEEvT1_
	.globl	_ZN7rocprim17ROCPRIM_400000_NS6detail17trampoline_kernelINS0_14default_configENS1_27scan_by_key_config_selectorIitEEZZNS1_16scan_by_key_implILNS1_25lookback_scan_determinismE0ELb1ES3_N6thrust23THRUST_200600_302600_NS6detail15normal_iteratorINS9_10device_ptrIiEEEENSB_INSC_ItEEEESG_tNS9_4plusIvEENS9_8equal_toIvEEtEE10hipError_tPvRmT2_T3_T4_T5_mT6_T7_P12ihipStream_tbENKUlT_T0_E_clISt17integral_constantIbLb1EES10_IbLb0EEEEDaSW_SX_EUlSW_E_NS1_11comp_targetILNS1_3genE2ELNS1_11target_archE906ELNS1_3gpuE6ELNS1_3repE0EEENS1_30default_config_static_selectorELNS0_4arch9wavefront6targetE0EEEvT1_
	.p2align	8
	.type	_ZN7rocprim17ROCPRIM_400000_NS6detail17trampoline_kernelINS0_14default_configENS1_27scan_by_key_config_selectorIitEEZZNS1_16scan_by_key_implILNS1_25lookback_scan_determinismE0ELb1ES3_N6thrust23THRUST_200600_302600_NS6detail15normal_iteratorINS9_10device_ptrIiEEEENSB_INSC_ItEEEESG_tNS9_4plusIvEENS9_8equal_toIvEEtEE10hipError_tPvRmT2_T3_T4_T5_mT6_T7_P12ihipStream_tbENKUlT_T0_E_clISt17integral_constantIbLb1EES10_IbLb0EEEEDaSW_SX_EUlSW_E_NS1_11comp_targetILNS1_3genE2ELNS1_11target_archE906ELNS1_3gpuE6ELNS1_3repE0EEENS1_30default_config_static_selectorELNS0_4arch9wavefront6targetE0EEEvT1_,@function
_ZN7rocprim17ROCPRIM_400000_NS6detail17trampoline_kernelINS0_14default_configENS1_27scan_by_key_config_selectorIitEEZZNS1_16scan_by_key_implILNS1_25lookback_scan_determinismE0ELb1ES3_N6thrust23THRUST_200600_302600_NS6detail15normal_iteratorINS9_10device_ptrIiEEEENSB_INSC_ItEEEESG_tNS9_4plusIvEENS9_8equal_toIvEEtEE10hipError_tPvRmT2_T3_T4_T5_mT6_T7_P12ihipStream_tbENKUlT_T0_E_clISt17integral_constantIbLb1EES10_IbLb0EEEEDaSW_SX_EUlSW_E_NS1_11comp_targetILNS1_3genE2ELNS1_11target_archE906ELNS1_3gpuE6ELNS1_3repE0EEENS1_30default_config_static_selectorELNS0_4arch9wavefront6targetE0EEEvT1_: ; @_ZN7rocprim17ROCPRIM_400000_NS6detail17trampoline_kernelINS0_14default_configENS1_27scan_by_key_config_selectorIitEEZZNS1_16scan_by_key_implILNS1_25lookback_scan_determinismE0ELb1ES3_N6thrust23THRUST_200600_302600_NS6detail15normal_iteratorINS9_10device_ptrIiEEEENSB_INSC_ItEEEESG_tNS9_4plusIvEENS9_8equal_toIvEEtEE10hipError_tPvRmT2_T3_T4_T5_mT6_T7_P12ihipStream_tbENKUlT_T0_E_clISt17integral_constantIbLb1EES10_IbLb0EEEEDaSW_SX_EUlSW_E_NS1_11comp_targetILNS1_3genE2ELNS1_11target_archE906ELNS1_3gpuE6ELNS1_3repE0EEENS1_30default_config_static_selectorELNS0_4arch9wavefront6targetE0EEEvT1_
; %bb.0:
	.section	.rodata,"a",@progbits
	.p2align	6, 0x0
	.amdhsa_kernel _ZN7rocprim17ROCPRIM_400000_NS6detail17trampoline_kernelINS0_14default_configENS1_27scan_by_key_config_selectorIitEEZZNS1_16scan_by_key_implILNS1_25lookback_scan_determinismE0ELb1ES3_N6thrust23THRUST_200600_302600_NS6detail15normal_iteratorINS9_10device_ptrIiEEEENSB_INSC_ItEEEESG_tNS9_4plusIvEENS9_8equal_toIvEEtEE10hipError_tPvRmT2_T3_T4_T5_mT6_T7_P12ihipStream_tbENKUlT_T0_E_clISt17integral_constantIbLb1EES10_IbLb0EEEEDaSW_SX_EUlSW_E_NS1_11comp_targetILNS1_3genE2ELNS1_11target_archE906ELNS1_3gpuE6ELNS1_3repE0EEENS1_30default_config_static_selectorELNS0_4arch9wavefront6targetE0EEEvT1_
		.amdhsa_group_segment_fixed_size 0
		.amdhsa_private_segment_fixed_size 0
		.amdhsa_kernarg_size 112
		.amdhsa_user_sgpr_count 2
		.amdhsa_user_sgpr_dispatch_ptr 0
		.amdhsa_user_sgpr_queue_ptr 0
		.amdhsa_user_sgpr_kernarg_segment_ptr 1
		.amdhsa_user_sgpr_dispatch_id 0
		.amdhsa_user_sgpr_kernarg_preload_length 0
		.amdhsa_user_sgpr_kernarg_preload_offset 0
		.amdhsa_user_sgpr_private_segment_size 0
		.amdhsa_wavefront_size32 1
		.amdhsa_uses_dynamic_stack 0
		.amdhsa_enable_private_segment 0
		.amdhsa_system_sgpr_workgroup_id_x 1
		.amdhsa_system_sgpr_workgroup_id_y 0
		.amdhsa_system_sgpr_workgroup_id_z 0
		.amdhsa_system_sgpr_workgroup_info 0
		.amdhsa_system_vgpr_workitem_id 0
		.amdhsa_next_free_vgpr 1
		.amdhsa_next_free_sgpr 1
		.amdhsa_named_barrier_count 0
		.amdhsa_reserve_vcc 0
		.amdhsa_float_round_mode_32 0
		.amdhsa_float_round_mode_16_64 0
		.amdhsa_float_denorm_mode_32 3
		.amdhsa_float_denorm_mode_16_64 3
		.amdhsa_fp16_overflow 0
		.amdhsa_memory_ordered 1
		.amdhsa_forward_progress 1
		.amdhsa_inst_pref_size 0
		.amdhsa_round_robin_scheduling 0
		.amdhsa_exception_fp_ieee_invalid_op 0
		.amdhsa_exception_fp_denorm_src 0
		.amdhsa_exception_fp_ieee_div_zero 0
		.amdhsa_exception_fp_ieee_overflow 0
		.amdhsa_exception_fp_ieee_underflow 0
		.amdhsa_exception_fp_ieee_inexact 0
		.amdhsa_exception_int_div_zero 0
	.end_amdhsa_kernel
	.section	.text._ZN7rocprim17ROCPRIM_400000_NS6detail17trampoline_kernelINS0_14default_configENS1_27scan_by_key_config_selectorIitEEZZNS1_16scan_by_key_implILNS1_25lookback_scan_determinismE0ELb1ES3_N6thrust23THRUST_200600_302600_NS6detail15normal_iteratorINS9_10device_ptrIiEEEENSB_INSC_ItEEEESG_tNS9_4plusIvEENS9_8equal_toIvEEtEE10hipError_tPvRmT2_T3_T4_T5_mT6_T7_P12ihipStream_tbENKUlT_T0_E_clISt17integral_constantIbLb1EES10_IbLb0EEEEDaSW_SX_EUlSW_E_NS1_11comp_targetILNS1_3genE2ELNS1_11target_archE906ELNS1_3gpuE6ELNS1_3repE0EEENS1_30default_config_static_selectorELNS0_4arch9wavefront6targetE0EEEvT1_,"axG",@progbits,_ZN7rocprim17ROCPRIM_400000_NS6detail17trampoline_kernelINS0_14default_configENS1_27scan_by_key_config_selectorIitEEZZNS1_16scan_by_key_implILNS1_25lookback_scan_determinismE0ELb1ES3_N6thrust23THRUST_200600_302600_NS6detail15normal_iteratorINS9_10device_ptrIiEEEENSB_INSC_ItEEEESG_tNS9_4plusIvEENS9_8equal_toIvEEtEE10hipError_tPvRmT2_T3_T4_T5_mT6_T7_P12ihipStream_tbENKUlT_T0_E_clISt17integral_constantIbLb1EES10_IbLb0EEEEDaSW_SX_EUlSW_E_NS1_11comp_targetILNS1_3genE2ELNS1_11target_archE906ELNS1_3gpuE6ELNS1_3repE0EEENS1_30default_config_static_selectorELNS0_4arch9wavefront6targetE0EEEvT1_,comdat
.Lfunc_end1558:
	.size	_ZN7rocprim17ROCPRIM_400000_NS6detail17trampoline_kernelINS0_14default_configENS1_27scan_by_key_config_selectorIitEEZZNS1_16scan_by_key_implILNS1_25lookback_scan_determinismE0ELb1ES3_N6thrust23THRUST_200600_302600_NS6detail15normal_iteratorINS9_10device_ptrIiEEEENSB_INSC_ItEEEESG_tNS9_4plusIvEENS9_8equal_toIvEEtEE10hipError_tPvRmT2_T3_T4_T5_mT6_T7_P12ihipStream_tbENKUlT_T0_E_clISt17integral_constantIbLb1EES10_IbLb0EEEEDaSW_SX_EUlSW_E_NS1_11comp_targetILNS1_3genE2ELNS1_11target_archE906ELNS1_3gpuE6ELNS1_3repE0EEENS1_30default_config_static_selectorELNS0_4arch9wavefront6targetE0EEEvT1_, .Lfunc_end1558-_ZN7rocprim17ROCPRIM_400000_NS6detail17trampoline_kernelINS0_14default_configENS1_27scan_by_key_config_selectorIitEEZZNS1_16scan_by_key_implILNS1_25lookback_scan_determinismE0ELb1ES3_N6thrust23THRUST_200600_302600_NS6detail15normal_iteratorINS9_10device_ptrIiEEEENSB_INSC_ItEEEESG_tNS9_4plusIvEENS9_8equal_toIvEEtEE10hipError_tPvRmT2_T3_T4_T5_mT6_T7_P12ihipStream_tbENKUlT_T0_E_clISt17integral_constantIbLb1EES10_IbLb0EEEEDaSW_SX_EUlSW_E_NS1_11comp_targetILNS1_3genE2ELNS1_11target_archE906ELNS1_3gpuE6ELNS1_3repE0EEENS1_30default_config_static_selectorELNS0_4arch9wavefront6targetE0EEEvT1_
                                        ; -- End function
	.set _ZN7rocprim17ROCPRIM_400000_NS6detail17trampoline_kernelINS0_14default_configENS1_27scan_by_key_config_selectorIitEEZZNS1_16scan_by_key_implILNS1_25lookback_scan_determinismE0ELb1ES3_N6thrust23THRUST_200600_302600_NS6detail15normal_iteratorINS9_10device_ptrIiEEEENSB_INSC_ItEEEESG_tNS9_4plusIvEENS9_8equal_toIvEEtEE10hipError_tPvRmT2_T3_T4_T5_mT6_T7_P12ihipStream_tbENKUlT_T0_E_clISt17integral_constantIbLb1EES10_IbLb0EEEEDaSW_SX_EUlSW_E_NS1_11comp_targetILNS1_3genE2ELNS1_11target_archE906ELNS1_3gpuE6ELNS1_3repE0EEENS1_30default_config_static_selectorELNS0_4arch9wavefront6targetE0EEEvT1_.num_vgpr, 0
	.set _ZN7rocprim17ROCPRIM_400000_NS6detail17trampoline_kernelINS0_14default_configENS1_27scan_by_key_config_selectorIitEEZZNS1_16scan_by_key_implILNS1_25lookback_scan_determinismE0ELb1ES3_N6thrust23THRUST_200600_302600_NS6detail15normal_iteratorINS9_10device_ptrIiEEEENSB_INSC_ItEEEESG_tNS9_4plusIvEENS9_8equal_toIvEEtEE10hipError_tPvRmT2_T3_T4_T5_mT6_T7_P12ihipStream_tbENKUlT_T0_E_clISt17integral_constantIbLb1EES10_IbLb0EEEEDaSW_SX_EUlSW_E_NS1_11comp_targetILNS1_3genE2ELNS1_11target_archE906ELNS1_3gpuE6ELNS1_3repE0EEENS1_30default_config_static_selectorELNS0_4arch9wavefront6targetE0EEEvT1_.num_agpr, 0
	.set _ZN7rocprim17ROCPRIM_400000_NS6detail17trampoline_kernelINS0_14default_configENS1_27scan_by_key_config_selectorIitEEZZNS1_16scan_by_key_implILNS1_25lookback_scan_determinismE0ELb1ES3_N6thrust23THRUST_200600_302600_NS6detail15normal_iteratorINS9_10device_ptrIiEEEENSB_INSC_ItEEEESG_tNS9_4plusIvEENS9_8equal_toIvEEtEE10hipError_tPvRmT2_T3_T4_T5_mT6_T7_P12ihipStream_tbENKUlT_T0_E_clISt17integral_constantIbLb1EES10_IbLb0EEEEDaSW_SX_EUlSW_E_NS1_11comp_targetILNS1_3genE2ELNS1_11target_archE906ELNS1_3gpuE6ELNS1_3repE0EEENS1_30default_config_static_selectorELNS0_4arch9wavefront6targetE0EEEvT1_.numbered_sgpr, 0
	.set _ZN7rocprim17ROCPRIM_400000_NS6detail17trampoline_kernelINS0_14default_configENS1_27scan_by_key_config_selectorIitEEZZNS1_16scan_by_key_implILNS1_25lookback_scan_determinismE0ELb1ES3_N6thrust23THRUST_200600_302600_NS6detail15normal_iteratorINS9_10device_ptrIiEEEENSB_INSC_ItEEEESG_tNS9_4plusIvEENS9_8equal_toIvEEtEE10hipError_tPvRmT2_T3_T4_T5_mT6_T7_P12ihipStream_tbENKUlT_T0_E_clISt17integral_constantIbLb1EES10_IbLb0EEEEDaSW_SX_EUlSW_E_NS1_11comp_targetILNS1_3genE2ELNS1_11target_archE906ELNS1_3gpuE6ELNS1_3repE0EEENS1_30default_config_static_selectorELNS0_4arch9wavefront6targetE0EEEvT1_.num_named_barrier, 0
	.set _ZN7rocprim17ROCPRIM_400000_NS6detail17trampoline_kernelINS0_14default_configENS1_27scan_by_key_config_selectorIitEEZZNS1_16scan_by_key_implILNS1_25lookback_scan_determinismE0ELb1ES3_N6thrust23THRUST_200600_302600_NS6detail15normal_iteratorINS9_10device_ptrIiEEEENSB_INSC_ItEEEESG_tNS9_4plusIvEENS9_8equal_toIvEEtEE10hipError_tPvRmT2_T3_T4_T5_mT6_T7_P12ihipStream_tbENKUlT_T0_E_clISt17integral_constantIbLb1EES10_IbLb0EEEEDaSW_SX_EUlSW_E_NS1_11comp_targetILNS1_3genE2ELNS1_11target_archE906ELNS1_3gpuE6ELNS1_3repE0EEENS1_30default_config_static_selectorELNS0_4arch9wavefront6targetE0EEEvT1_.private_seg_size, 0
	.set _ZN7rocprim17ROCPRIM_400000_NS6detail17trampoline_kernelINS0_14default_configENS1_27scan_by_key_config_selectorIitEEZZNS1_16scan_by_key_implILNS1_25lookback_scan_determinismE0ELb1ES3_N6thrust23THRUST_200600_302600_NS6detail15normal_iteratorINS9_10device_ptrIiEEEENSB_INSC_ItEEEESG_tNS9_4plusIvEENS9_8equal_toIvEEtEE10hipError_tPvRmT2_T3_T4_T5_mT6_T7_P12ihipStream_tbENKUlT_T0_E_clISt17integral_constantIbLb1EES10_IbLb0EEEEDaSW_SX_EUlSW_E_NS1_11comp_targetILNS1_3genE2ELNS1_11target_archE906ELNS1_3gpuE6ELNS1_3repE0EEENS1_30default_config_static_selectorELNS0_4arch9wavefront6targetE0EEEvT1_.uses_vcc, 0
	.set _ZN7rocprim17ROCPRIM_400000_NS6detail17trampoline_kernelINS0_14default_configENS1_27scan_by_key_config_selectorIitEEZZNS1_16scan_by_key_implILNS1_25lookback_scan_determinismE0ELb1ES3_N6thrust23THRUST_200600_302600_NS6detail15normal_iteratorINS9_10device_ptrIiEEEENSB_INSC_ItEEEESG_tNS9_4plusIvEENS9_8equal_toIvEEtEE10hipError_tPvRmT2_T3_T4_T5_mT6_T7_P12ihipStream_tbENKUlT_T0_E_clISt17integral_constantIbLb1EES10_IbLb0EEEEDaSW_SX_EUlSW_E_NS1_11comp_targetILNS1_3genE2ELNS1_11target_archE906ELNS1_3gpuE6ELNS1_3repE0EEENS1_30default_config_static_selectorELNS0_4arch9wavefront6targetE0EEEvT1_.uses_flat_scratch, 0
	.set _ZN7rocprim17ROCPRIM_400000_NS6detail17trampoline_kernelINS0_14default_configENS1_27scan_by_key_config_selectorIitEEZZNS1_16scan_by_key_implILNS1_25lookback_scan_determinismE0ELb1ES3_N6thrust23THRUST_200600_302600_NS6detail15normal_iteratorINS9_10device_ptrIiEEEENSB_INSC_ItEEEESG_tNS9_4plusIvEENS9_8equal_toIvEEtEE10hipError_tPvRmT2_T3_T4_T5_mT6_T7_P12ihipStream_tbENKUlT_T0_E_clISt17integral_constantIbLb1EES10_IbLb0EEEEDaSW_SX_EUlSW_E_NS1_11comp_targetILNS1_3genE2ELNS1_11target_archE906ELNS1_3gpuE6ELNS1_3repE0EEENS1_30default_config_static_selectorELNS0_4arch9wavefront6targetE0EEEvT1_.has_dyn_sized_stack, 0
	.set _ZN7rocprim17ROCPRIM_400000_NS6detail17trampoline_kernelINS0_14default_configENS1_27scan_by_key_config_selectorIitEEZZNS1_16scan_by_key_implILNS1_25lookback_scan_determinismE0ELb1ES3_N6thrust23THRUST_200600_302600_NS6detail15normal_iteratorINS9_10device_ptrIiEEEENSB_INSC_ItEEEESG_tNS9_4plusIvEENS9_8equal_toIvEEtEE10hipError_tPvRmT2_T3_T4_T5_mT6_T7_P12ihipStream_tbENKUlT_T0_E_clISt17integral_constantIbLb1EES10_IbLb0EEEEDaSW_SX_EUlSW_E_NS1_11comp_targetILNS1_3genE2ELNS1_11target_archE906ELNS1_3gpuE6ELNS1_3repE0EEENS1_30default_config_static_selectorELNS0_4arch9wavefront6targetE0EEEvT1_.has_recursion, 0
	.set _ZN7rocprim17ROCPRIM_400000_NS6detail17trampoline_kernelINS0_14default_configENS1_27scan_by_key_config_selectorIitEEZZNS1_16scan_by_key_implILNS1_25lookback_scan_determinismE0ELb1ES3_N6thrust23THRUST_200600_302600_NS6detail15normal_iteratorINS9_10device_ptrIiEEEENSB_INSC_ItEEEESG_tNS9_4plusIvEENS9_8equal_toIvEEtEE10hipError_tPvRmT2_T3_T4_T5_mT6_T7_P12ihipStream_tbENKUlT_T0_E_clISt17integral_constantIbLb1EES10_IbLb0EEEEDaSW_SX_EUlSW_E_NS1_11comp_targetILNS1_3genE2ELNS1_11target_archE906ELNS1_3gpuE6ELNS1_3repE0EEENS1_30default_config_static_selectorELNS0_4arch9wavefront6targetE0EEEvT1_.has_indirect_call, 0
	.section	.AMDGPU.csdata,"",@progbits
; Kernel info:
; codeLenInByte = 0
; TotalNumSgprs: 0
; NumVgprs: 0
; ScratchSize: 0
; MemoryBound: 0
; FloatMode: 240
; IeeeMode: 1
; LDSByteSize: 0 bytes/workgroup (compile time only)
; SGPRBlocks: 0
; VGPRBlocks: 0
; NumSGPRsForWavesPerEU: 1
; NumVGPRsForWavesPerEU: 1
; NamedBarCnt: 0
; Occupancy: 16
; WaveLimiterHint : 0
; COMPUTE_PGM_RSRC2:SCRATCH_EN: 0
; COMPUTE_PGM_RSRC2:USER_SGPR: 2
; COMPUTE_PGM_RSRC2:TRAP_HANDLER: 0
; COMPUTE_PGM_RSRC2:TGID_X_EN: 1
; COMPUTE_PGM_RSRC2:TGID_Y_EN: 0
; COMPUTE_PGM_RSRC2:TGID_Z_EN: 0
; COMPUTE_PGM_RSRC2:TIDIG_COMP_CNT: 0
	.section	.text._ZN7rocprim17ROCPRIM_400000_NS6detail17trampoline_kernelINS0_14default_configENS1_27scan_by_key_config_selectorIitEEZZNS1_16scan_by_key_implILNS1_25lookback_scan_determinismE0ELb1ES3_N6thrust23THRUST_200600_302600_NS6detail15normal_iteratorINS9_10device_ptrIiEEEENSB_INSC_ItEEEESG_tNS9_4plusIvEENS9_8equal_toIvEEtEE10hipError_tPvRmT2_T3_T4_T5_mT6_T7_P12ihipStream_tbENKUlT_T0_E_clISt17integral_constantIbLb1EES10_IbLb0EEEEDaSW_SX_EUlSW_E_NS1_11comp_targetILNS1_3genE10ELNS1_11target_archE1200ELNS1_3gpuE4ELNS1_3repE0EEENS1_30default_config_static_selectorELNS0_4arch9wavefront6targetE0EEEvT1_,"axG",@progbits,_ZN7rocprim17ROCPRIM_400000_NS6detail17trampoline_kernelINS0_14default_configENS1_27scan_by_key_config_selectorIitEEZZNS1_16scan_by_key_implILNS1_25lookback_scan_determinismE0ELb1ES3_N6thrust23THRUST_200600_302600_NS6detail15normal_iteratorINS9_10device_ptrIiEEEENSB_INSC_ItEEEESG_tNS9_4plusIvEENS9_8equal_toIvEEtEE10hipError_tPvRmT2_T3_T4_T5_mT6_T7_P12ihipStream_tbENKUlT_T0_E_clISt17integral_constantIbLb1EES10_IbLb0EEEEDaSW_SX_EUlSW_E_NS1_11comp_targetILNS1_3genE10ELNS1_11target_archE1200ELNS1_3gpuE4ELNS1_3repE0EEENS1_30default_config_static_selectorELNS0_4arch9wavefront6targetE0EEEvT1_,comdat
	.protected	_ZN7rocprim17ROCPRIM_400000_NS6detail17trampoline_kernelINS0_14default_configENS1_27scan_by_key_config_selectorIitEEZZNS1_16scan_by_key_implILNS1_25lookback_scan_determinismE0ELb1ES3_N6thrust23THRUST_200600_302600_NS6detail15normal_iteratorINS9_10device_ptrIiEEEENSB_INSC_ItEEEESG_tNS9_4plusIvEENS9_8equal_toIvEEtEE10hipError_tPvRmT2_T3_T4_T5_mT6_T7_P12ihipStream_tbENKUlT_T0_E_clISt17integral_constantIbLb1EES10_IbLb0EEEEDaSW_SX_EUlSW_E_NS1_11comp_targetILNS1_3genE10ELNS1_11target_archE1200ELNS1_3gpuE4ELNS1_3repE0EEENS1_30default_config_static_selectorELNS0_4arch9wavefront6targetE0EEEvT1_ ; -- Begin function _ZN7rocprim17ROCPRIM_400000_NS6detail17trampoline_kernelINS0_14default_configENS1_27scan_by_key_config_selectorIitEEZZNS1_16scan_by_key_implILNS1_25lookback_scan_determinismE0ELb1ES3_N6thrust23THRUST_200600_302600_NS6detail15normal_iteratorINS9_10device_ptrIiEEEENSB_INSC_ItEEEESG_tNS9_4plusIvEENS9_8equal_toIvEEtEE10hipError_tPvRmT2_T3_T4_T5_mT6_T7_P12ihipStream_tbENKUlT_T0_E_clISt17integral_constantIbLb1EES10_IbLb0EEEEDaSW_SX_EUlSW_E_NS1_11comp_targetILNS1_3genE10ELNS1_11target_archE1200ELNS1_3gpuE4ELNS1_3repE0EEENS1_30default_config_static_selectorELNS0_4arch9wavefront6targetE0EEEvT1_
	.globl	_ZN7rocprim17ROCPRIM_400000_NS6detail17trampoline_kernelINS0_14default_configENS1_27scan_by_key_config_selectorIitEEZZNS1_16scan_by_key_implILNS1_25lookback_scan_determinismE0ELb1ES3_N6thrust23THRUST_200600_302600_NS6detail15normal_iteratorINS9_10device_ptrIiEEEENSB_INSC_ItEEEESG_tNS9_4plusIvEENS9_8equal_toIvEEtEE10hipError_tPvRmT2_T3_T4_T5_mT6_T7_P12ihipStream_tbENKUlT_T0_E_clISt17integral_constantIbLb1EES10_IbLb0EEEEDaSW_SX_EUlSW_E_NS1_11comp_targetILNS1_3genE10ELNS1_11target_archE1200ELNS1_3gpuE4ELNS1_3repE0EEENS1_30default_config_static_selectorELNS0_4arch9wavefront6targetE0EEEvT1_
	.p2align	8
	.type	_ZN7rocprim17ROCPRIM_400000_NS6detail17trampoline_kernelINS0_14default_configENS1_27scan_by_key_config_selectorIitEEZZNS1_16scan_by_key_implILNS1_25lookback_scan_determinismE0ELb1ES3_N6thrust23THRUST_200600_302600_NS6detail15normal_iteratorINS9_10device_ptrIiEEEENSB_INSC_ItEEEESG_tNS9_4plusIvEENS9_8equal_toIvEEtEE10hipError_tPvRmT2_T3_T4_T5_mT6_T7_P12ihipStream_tbENKUlT_T0_E_clISt17integral_constantIbLb1EES10_IbLb0EEEEDaSW_SX_EUlSW_E_NS1_11comp_targetILNS1_3genE10ELNS1_11target_archE1200ELNS1_3gpuE4ELNS1_3repE0EEENS1_30default_config_static_selectorELNS0_4arch9wavefront6targetE0EEEvT1_,@function
_ZN7rocprim17ROCPRIM_400000_NS6detail17trampoline_kernelINS0_14default_configENS1_27scan_by_key_config_selectorIitEEZZNS1_16scan_by_key_implILNS1_25lookback_scan_determinismE0ELb1ES3_N6thrust23THRUST_200600_302600_NS6detail15normal_iteratorINS9_10device_ptrIiEEEENSB_INSC_ItEEEESG_tNS9_4plusIvEENS9_8equal_toIvEEtEE10hipError_tPvRmT2_T3_T4_T5_mT6_T7_P12ihipStream_tbENKUlT_T0_E_clISt17integral_constantIbLb1EES10_IbLb0EEEEDaSW_SX_EUlSW_E_NS1_11comp_targetILNS1_3genE10ELNS1_11target_archE1200ELNS1_3gpuE4ELNS1_3repE0EEENS1_30default_config_static_selectorELNS0_4arch9wavefront6targetE0EEEvT1_: ; @_ZN7rocprim17ROCPRIM_400000_NS6detail17trampoline_kernelINS0_14default_configENS1_27scan_by_key_config_selectorIitEEZZNS1_16scan_by_key_implILNS1_25lookback_scan_determinismE0ELb1ES3_N6thrust23THRUST_200600_302600_NS6detail15normal_iteratorINS9_10device_ptrIiEEEENSB_INSC_ItEEEESG_tNS9_4plusIvEENS9_8equal_toIvEEtEE10hipError_tPvRmT2_T3_T4_T5_mT6_T7_P12ihipStream_tbENKUlT_T0_E_clISt17integral_constantIbLb1EES10_IbLb0EEEEDaSW_SX_EUlSW_E_NS1_11comp_targetILNS1_3genE10ELNS1_11target_archE1200ELNS1_3gpuE4ELNS1_3repE0EEENS1_30default_config_static_selectorELNS0_4arch9wavefront6targetE0EEEvT1_
; %bb.0:
	.section	.rodata,"a",@progbits
	.p2align	6, 0x0
	.amdhsa_kernel _ZN7rocprim17ROCPRIM_400000_NS6detail17trampoline_kernelINS0_14default_configENS1_27scan_by_key_config_selectorIitEEZZNS1_16scan_by_key_implILNS1_25lookback_scan_determinismE0ELb1ES3_N6thrust23THRUST_200600_302600_NS6detail15normal_iteratorINS9_10device_ptrIiEEEENSB_INSC_ItEEEESG_tNS9_4plusIvEENS9_8equal_toIvEEtEE10hipError_tPvRmT2_T3_T4_T5_mT6_T7_P12ihipStream_tbENKUlT_T0_E_clISt17integral_constantIbLb1EES10_IbLb0EEEEDaSW_SX_EUlSW_E_NS1_11comp_targetILNS1_3genE10ELNS1_11target_archE1200ELNS1_3gpuE4ELNS1_3repE0EEENS1_30default_config_static_selectorELNS0_4arch9wavefront6targetE0EEEvT1_
		.amdhsa_group_segment_fixed_size 0
		.amdhsa_private_segment_fixed_size 0
		.amdhsa_kernarg_size 112
		.amdhsa_user_sgpr_count 2
		.amdhsa_user_sgpr_dispatch_ptr 0
		.amdhsa_user_sgpr_queue_ptr 0
		.amdhsa_user_sgpr_kernarg_segment_ptr 1
		.amdhsa_user_sgpr_dispatch_id 0
		.amdhsa_user_sgpr_kernarg_preload_length 0
		.amdhsa_user_sgpr_kernarg_preload_offset 0
		.amdhsa_user_sgpr_private_segment_size 0
		.amdhsa_wavefront_size32 1
		.amdhsa_uses_dynamic_stack 0
		.amdhsa_enable_private_segment 0
		.amdhsa_system_sgpr_workgroup_id_x 1
		.amdhsa_system_sgpr_workgroup_id_y 0
		.amdhsa_system_sgpr_workgroup_id_z 0
		.amdhsa_system_sgpr_workgroup_info 0
		.amdhsa_system_vgpr_workitem_id 0
		.amdhsa_next_free_vgpr 1
		.amdhsa_next_free_sgpr 1
		.amdhsa_named_barrier_count 0
		.amdhsa_reserve_vcc 0
		.amdhsa_float_round_mode_32 0
		.amdhsa_float_round_mode_16_64 0
		.amdhsa_float_denorm_mode_32 3
		.amdhsa_float_denorm_mode_16_64 3
		.amdhsa_fp16_overflow 0
		.amdhsa_memory_ordered 1
		.amdhsa_forward_progress 1
		.amdhsa_inst_pref_size 0
		.amdhsa_round_robin_scheduling 0
		.amdhsa_exception_fp_ieee_invalid_op 0
		.amdhsa_exception_fp_denorm_src 0
		.amdhsa_exception_fp_ieee_div_zero 0
		.amdhsa_exception_fp_ieee_overflow 0
		.amdhsa_exception_fp_ieee_underflow 0
		.amdhsa_exception_fp_ieee_inexact 0
		.amdhsa_exception_int_div_zero 0
	.end_amdhsa_kernel
	.section	.text._ZN7rocprim17ROCPRIM_400000_NS6detail17trampoline_kernelINS0_14default_configENS1_27scan_by_key_config_selectorIitEEZZNS1_16scan_by_key_implILNS1_25lookback_scan_determinismE0ELb1ES3_N6thrust23THRUST_200600_302600_NS6detail15normal_iteratorINS9_10device_ptrIiEEEENSB_INSC_ItEEEESG_tNS9_4plusIvEENS9_8equal_toIvEEtEE10hipError_tPvRmT2_T3_T4_T5_mT6_T7_P12ihipStream_tbENKUlT_T0_E_clISt17integral_constantIbLb1EES10_IbLb0EEEEDaSW_SX_EUlSW_E_NS1_11comp_targetILNS1_3genE10ELNS1_11target_archE1200ELNS1_3gpuE4ELNS1_3repE0EEENS1_30default_config_static_selectorELNS0_4arch9wavefront6targetE0EEEvT1_,"axG",@progbits,_ZN7rocprim17ROCPRIM_400000_NS6detail17trampoline_kernelINS0_14default_configENS1_27scan_by_key_config_selectorIitEEZZNS1_16scan_by_key_implILNS1_25lookback_scan_determinismE0ELb1ES3_N6thrust23THRUST_200600_302600_NS6detail15normal_iteratorINS9_10device_ptrIiEEEENSB_INSC_ItEEEESG_tNS9_4plusIvEENS9_8equal_toIvEEtEE10hipError_tPvRmT2_T3_T4_T5_mT6_T7_P12ihipStream_tbENKUlT_T0_E_clISt17integral_constantIbLb1EES10_IbLb0EEEEDaSW_SX_EUlSW_E_NS1_11comp_targetILNS1_3genE10ELNS1_11target_archE1200ELNS1_3gpuE4ELNS1_3repE0EEENS1_30default_config_static_selectorELNS0_4arch9wavefront6targetE0EEEvT1_,comdat
.Lfunc_end1559:
	.size	_ZN7rocprim17ROCPRIM_400000_NS6detail17trampoline_kernelINS0_14default_configENS1_27scan_by_key_config_selectorIitEEZZNS1_16scan_by_key_implILNS1_25lookback_scan_determinismE0ELb1ES3_N6thrust23THRUST_200600_302600_NS6detail15normal_iteratorINS9_10device_ptrIiEEEENSB_INSC_ItEEEESG_tNS9_4plusIvEENS9_8equal_toIvEEtEE10hipError_tPvRmT2_T3_T4_T5_mT6_T7_P12ihipStream_tbENKUlT_T0_E_clISt17integral_constantIbLb1EES10_IbLb0EEEEDaSW_SX_EUlSW_E_NS1_11comp_targetILNS1_3genE10ELNS1_11target_archE1200ELNS1_3gpuE4ELNS1_3repE0EEENS1_30default_config_static_selectorELNS0_4arch9wavefront6targetE0EEEvT1_, .Lfunc_end1559-_ZN7rocprim17ROCPRIM_400000_NS6detail17trampoline_kernelINS0_14default_configENS1_27scan_by_key_config_selectorIitEEZZNS1_16scan_by_key_implILNS1_25lookback_scan_determinismE0ELb1ES3_N6thrust23THRUST_200600_302600_NS6detail15normal_iteratorINS9_10device_ptrIiEEEENSB_INSC_ItEEEESG_tNS9_4plusIvEENS9_8equal_toIvEEtEE10hipError_tPvRmT2_T3_T4_T5_mT6_T7_P12ihipStream_tbENKUlT_T0_E_clISt17integral_constantIbLb1EES10_IbLb0EEEEDaSW_SX_EUlSW_E_NS1_11comp_targetILNS1_3genE10ELNS1_11target_archE1200ELNS1_3gpuE4ELNS1_3repE0EEENS1_30default_config_static_selectorELNS0_4arch9wavefront6targetE0EEEvT1_
                                        ; -- End function
	.set _ZN7rocprim17ROCPRIM_400000_NS6detail17trampoline_kernelINS0_14default_configENS1_27scan_by_key_config_selectorIitEEZZNS1_16scan_by_key_implILNS1_25lookback_scan_determinismE0ELb1ES3_N6thrust23THRUST_200600_302600_NS6detail15normal_iteratorINS9_10device_ptrIiEEEENSB_INSC_ItEEEESG_tNS9_4plusIvEENS9_8equal_toIvEEtEE10hipError_tPvRmT2_T3_T4_T5_mT6_T7_P12ihipStream_tbENKUlT_T0_E_clISt17integral_constantIbLb1EES10_IbLb0EEEEDaSW_SX_EUlSW_E_NS1_11comp_targetILNS1_3genE10ELNS1_11target_archE1200ELNS1_3gpuE4ELNS1_3repE0EEENS1_30default_config_static_selectorELNS0_4arch9wavefront6targetE0EEEvT1_.num_vgpr, 0
	.set _ZN7rocprim17ROCPRIM_400000_NS6detail17trampoline_kernelINS0_14default_configENS1_27scan_by_key_config_selectorIitEEZZNS1_16scan_by_key_implILNS1_25lookback_scan_determinismE0ELb1ES3_N6thrust23THRUST_200600_302600_NS6detail15normal_iteratorINS9_10device_ptrIiEEEENSB_INSC_ItEEEESG_tNS9_4plusIvEENS9_8equal_toIvEEtEE10hipError_tPvRmT2_T3_T4_T5_mT6_T7_P12ihipStream_tbENKUlT_T0_E_clISt17integral_constantIbLb1EES10_IbLb0EEEEDaSW_SX_EUlSW_E_NS1_11comp_targetILNS1_3genE10ELNS1_11target_archE1200ELNS1_3gpuE4ELNS1_3repE0EEENS1_30default_config_static_selectorELNS0_4arch9wavefront6targetE0EEEvT1_.num_agpr, 0
	.set _ZN7rocprim17ROCPRIM_400000_NS6detail17trampoline_kernelINS0_14default_configENS1_27scan_by_key_config_selectorIitEEZZNS1_16scan_by_key_implILNS1_25lookback_scan_determinismE0ELb1ES3_N6thrust23THRUST_200600_302600_NS6detail15normal_iteratorINS9_10device_ptrIiEEEENSB_INSC_ItEEEESG_tNS9_4plusIvEENS9_8equal_toIvEEtEE10hipError_tPvRmT2_T3_T4_T5_mT6_T7_P12ihipStream_tbENKUlT_T0_E_clISt17integral_constantIbLb1EES10_IbLb0EEEEDaSW_SX_EUlSW_E_NS1_11comp_targetILNS1_3genE10ELNS1_11target_archE1200ELNS1_3gpuE4ELNS1_3repE0EEENS1_30default_config_static_selectorELNS0_4arch9wavefront6targetE0EEEvT1_.numbered_sgpr, 0
	.set _ZN7rocprim17ROCPRIM_400000_NS6detail17trampoline_kernelINS0_14default_configENS1_27scan_by_key_config_selectorIitEEZZNS1_16scan_by_key_implILNS1_25lookback_scan_determinismE0ELb1ES3_N6thrust23THRUST_200600_302600_NS6detail15normal_iteratorINS9_10device_ptrIiEEEENSB_INSC_ItEEEESG_tNS9_4plusIvEENS9_8equal_toIvEEtEE10hipError_tPvRmT2_T3_T4_T5_mT6_T7_P12ihipStream_tbENKUlT_T0_E_clISt17integral_constantIbLb1EES10_IbLb0EEEEDaSW_SX_EUlSW_E_NS1_11comp_targetILNS1_3genE10ELNS1_11target_archE1200ELNS1_3gpuE4ELNS1_3repE0EEENS1_30default_config_static_selectorELNS0_4arch9wavefront6targetE0EEEvT1_.num_named_barrier, 0
	.set _ZN7rocprim17ROCPRIM_400000_NS6detail17trampoline_kernelINS0_14default_configENS1_27scan_by_key_config_selectorIitEEZZNS1_16scan_by_key_implILNS1_25lookback_scan_determinismE0ELb1ES3_N6thrust23THRUST_200600_302600_NS6detail15normal_iteratorINS9_10device_ptrIiEEEENSB_INSC_ItEEEESG_tNS9_4plusIvEENS9_8equal_toIvEEtEE10hipError_tPvRmT2_T3_T4_T5_mT6_T7_P12ihipStream_tbENKUlT_T0_E_clISt17integral_constantIbLb1EES10_IbLb0EEEEDaSW_SX_EUlSW_E_NS1_11comp_targetILNS1_3genE10ELNS1_11target_archE1200ELNS1_3gpuE4ELNS1_3repE0EEENS1_30default_config_static_selectorELNS0_4arch9wavefront6targetE0EEEvT1_.private_seg_size, 0
	.set _ZN7rocprim17ROCPRIM_400000_NS6detail17trampoline_kernelINS0_14default_configENS1_27scan_by_key_config_selectorIitEEZZNS1_16scan_by_key_implILNS1_25lookback_scan_determinismE0ELb1ES3_N6thrust23THRUST_200600_302600_NS6detail15normal_iteratorINS9_10device_ptrIiEEEENSB_INSC_ItEEEESG_tNS9_4plusIvEENS9_8equal_toIvEEtEE10hipError_tPvRmT2_T3_T4_T5_mT6_T7_P12ihipStream_tbENKUlT_T0_E_clISt17integral_constantIbLb1EES10_IbLb0EEEEDaSW_SX_EUlSW_E_NS1_11comp_targetILNS1_3genE10ELNS1_11target_archE1200ELNS1_3gpuE4ELNS1_3repE0EEENS1_30default_config_static_selectorELNS0_4arch9wavefront6targetE0EEEvT1_.uses_vcc, 0
	.set _ZN7rocprim17ROCPRIM_400000_NS6detail17trampoline_kernelINS0_14default_configENS1_27scan_by_key_config_selectorIitEEZZNS1_16scan_by_key_implILNS1_25lookback_scan_determinismE0ELb1ES3_N6thrust23THRUST_200600_302600_NS6detail15normal_iteratorINS9_10device_ptrIiEEEENSB_INSC_ItEEEESG_tNS9_4plusIvEENS9_8equal_toIvEEtEE10hipError_tPvRmT2_T3_T4_T5_mT6_T7_P12ihipStream_tbENKUlT_T0_E_clISt17integral_constantIbLb1EES10_IbLb0EEEEDaSW_SX_EUlSW_E_NS1_11comp_targetILNS1_3genE10ELNS1_11target_archE1200ELNS1_3gpuE4ELNS1_3repE0EEENS1_30default_config_static_selectorELNS0_4arch9wavefront6targetE0EEEvT1_.uses_flat_scratch, 0
	.set _ZN7rocprim17ROCPRIM_400000_NS6detail17trampoline_kernelINS0_14default_configENS1_27scan_by_key_config_selectorIitEEZZNS1_16scan_by_key_implILNS1_25lookback_scan_determinismE0ELb1ES3_N6thrust23THRUST_200600_302600_NS6detail15normal_iteratorINS9_10device_ptrIiEEEENSB_INSC_ItEEEESG_tNS9_4plusIvEENS9_8equal_toIvEEtEE10hipError_tPvRmT2_T3_T4_T5_mT6_T7_P12ihipStream_tbENKUlT_T0_E_clISt17integral_constantIbLb1EES10_IbLb0EEEEDaSW_SX_EUlSW_E_NS1_11comp_targetILNS1_3genE10ELNS1_11target_archE1200ELNS1_3gpuE4ELNS1_3repE0EEENS1_30default_config_static_selectorELNS0_4arch9wavefront6targetE0EEEvT1_.has_dyn_sized_stack, 0
	.set _ZN7rocprim17ROCPRIM_400000_NS6detail17trampoline_kernelINS0_14default_configENS1_27scan_by_key_config_selectorIitEEZZNS1_16scan_by_key_implILNS1_25lookback_scan_determinismE0ELb1ES3_N6thrust23THRUST_200600_302600_NS6detail15normal_iteratorINS9_10device_ptrIiEEEENSB_INSC_ItEEEESG_tNS9_4plusIvEENS9_8equal_toIvEEtEE10hipError_tPvRmT2_T3_T4_T5_mT6_T7_P12ihipStream_tbENKUlT_T0_E_clISt17integral_constantIbLb1EES10_IbLb0EEEEDaSW_SX_EUlSW_E_NS1_11comp_targetILNS1_3genE10ELNS1_11target_archE1200ELNS1_3gpuE4ELNS1_3repE0EEENS1_30default_config_static_selectorELNS0_4arch9wavefront6targetE0EEEvT1_.has_recursion, 0
	.set _ZN7rocprim17ROCPRIM_400000_NS6detail17trampoline_kernelINS0_14default_configENS1_27scan_by_key_config_selectorIitEEZZNS1_16scan_by_key_implILNS1_25lookback_scan_determinismE0ELb1ES3_N6thrust23THRUST_200600_302600_NS6detail15normal_iteratorINS9_10device_ptrIiEEEENSB_INSC_ItEEEESG_tNS9_4plusIvEENS9_8equal_toIvEEtEE10hipError_tPvRmT2_T3_T4_T5_mT6_T7_P12ihipStream_tbENKUlT_T0_E_clISt17integral_constantIbLb1EES10_IbLb0EEEEDaSW_SX_EUlSW_E_NS1_11comp_targetILNS1_3genE10ELNS1_11target_archE1200ELNS1_3gpuE4ELNS1_3repE0EEENS1_30default_config_static_selectorELNS0_4arch9wavefront6targetE0EEEvT1_.has_indirect_call, 0
	.section	.AMDGPU.csdata,"",@progbits
; Kernel info:
; codeLenInByte = 0
; TotalNumSgprs: 0
; NumVgprs: 0
; ScratchSize: 0
; MemoryBound: 0
; FloatMode: 240
; IeeeMode: 1
; LDSByteSize: 0 bytes/workgroup (compile time only)
; SGPRBlocks: 0
; VGPRBlocks: 0
; NumSGPRsForWavesPerEU: 1
; NumVGPRsForWavesPerEU: 1
; NamedBarCnt: 0
; Occupancy: 16
; WaveLimiterHint : 0
; COMPUTE_PGM_RSRC2:SCRATCH_EN: 0
; COMPUTE_PGM_RSRC2:USER_SGPR: 2
; COMPUTE_PGM_RSRC2:TRAP_HANDLER: 0
; COMPUTE_PGM_RSRC2:TGID_X_EN: 1
; COMPUTE_PGM_RSRC2:TGID_Y_EN: 0
; COMPUTE_PGM_RSRC2:TGID_Z_EN: 0
; COMPUTE_PGM_RSRC2:TIDIG_COMP_CNT: 0
	.section	.text._ZN7rocprim17ROCPRIM_400000_NS6detail17trampoline_kernelINS0_14default_configENS1_27scan_by_key_config_selectorIitEEZZNS1_16scan_by_key_implILNS1_25lookback_scan_determinismE0ELb1ES3_N6thrust23THRUST_200600_302600_NS6detail15normal_iteratorINS9_10device_ptrIiEEEENSB_INSC_ItEEEESG_tNS9_4plusIvEENS9_8equal_toIvEEtEE10hipError_tPvRmT2_T3_T4_T5_mT6_T7_P12ihipStream_tbENKUlT_T0_E_clISt17integral_constantIbLb1EES10_IbLb0EEEEDaSW_SX_EUlSW_E_NS1_11comp_targetILNS1_3genE9ELNS1_11target_archE1100ELNS1_3gpuE3ELNS1_3repE0EEENS1_30default_config_static_selectorELNS0_4arch9wavefront6targetE0EEEvT1_,"axG",@progbits,_ZN7rocprim17ROCPRIM_400000_NS6detail17trampoline_kernelINS0_14default_configENS1_27scan_by_key_config_selectorIitEEZZNS1_16scan_by_key_implILNS1_25lookback_scan_determinismE0ELb1ES3_N6thrust23THRUST_200600_302600_NS6detail15normal_iteratorINS9_10device_ptrIiEEEENSB_INSC_ItEEEESG_tNS9_4plusIvEENS9_8equal_toIvEEtEE10hipError_tPvRmT2_T3_T4_T5_mT6_T7_P12ihipStream_tbENKUlT_T0_E_clISt17integral_constantIbLb1EES10_IbLb0EEEEDaSW_SX_EUlSW_E_NS1_11comp_targetILNS1_3genE9ELNS1_11target_archE1100ELNS1_3gpuE3ELNS1_3repE0EEENS1_30default_config_static_selectorELNS0_4arch9wavefront6targetE0EEEvT1_,comdat
	.protected	_ZN7rocprim17ROCPRIM_400000_NS6detail17trampoline_kernelINS0_14default_configENS1_27scan_by_key_config_selectorIitEEZZNS1_16scan_by_key_implILNS1_25lookback_scan_determinismE0ELb1ES3_N6thrust23THRUST_200600_302600_NS6detail15normal_iteratorINS9_10device_ptrIiEEEENSB_INSC_ItEEEESG_tNS9_4plusIvEENS9_8equal_toIvEEtEE10hipError_tPvRmT2_T3_T4_T5_mT6_T7_P12ihipStream_tbENKUlT_T0_E_clISt17integral_constantIbLb1EES10_IbLb0EEEEDaSW_SX_EUlSW_E_NS1_11comp_targetILNS1_3genE9ELNS1_11target_archE1100ELNS1_3gpuE3ELNS1_3repE0EEENS1_30default_config_static_selectorELNS0_4arch9wavefront6targetE0EEEvT1_ ; -- Begin function _ZN7rocprim17ROCPRIM_400000_NS6detail17trampoline_kernelINS0_14default_configENS1_27scan_by_key_config_selectorIitEEZZNS1_16scan_by_key_implILNS1_25lookback_scan_determinismE0ELb1ES3_N6thrust23THRUST_200600_302600_NS6detail15normal_iteratorINS9_10device_ptrIiEEEENSB_INSC_ItEEEESG_tNS9_4plusIvEENS9_8equal_toIvEEtEE10hipError_tPvRmT2_T3_T4_T5_mT6_T7_P12ihipStream_tbENKUlT_T0_E_clISt17integral_constantIbLb1EES10_IbLb0EEEEDaSW_SX_EUlSW_E_NS1_11comp_targetILNS1_3genE9ELNS1_11target_archE1100ELNS1_3gpuE3ELNS1_3repE0EEENS1_30default_config_static_selectorELNS0_4arch9wavefront6targetE0EEEvT1_
	.globl	_ZN7rocprim17ROCPRIM_400000_NS6detail17trampoline_kernelINS0_14default_configENS1_27scan_by_key_config_selectorIitEEZZNS1_16scan_by_key_implILNS1_25lookback_scan_determinismE0ELb1ES3_N6thrust23THRUST_200600_302600_NS6detail15normal_iteratorINS9_10device_ptrIiEEEENSB_INSC_ItEEEESG_tNS9_4plusIvEENS9_8equal_toIvEEtEE10hipError_tPvRmT2_T3_T4_T5_mT6_T7_P12ihipStream_tbENKUlT_T0_E_clISt17integral_constantIbLb1EES10_IbLb0EEEEDaSW_SX_EUlSW_E_NS1_11comp_targetILNS1_3genE9ELNS1_11target_archE1100ELNS1_3gpuE3ELNS1_3repE0EEENS1_30default_config_static_selectorELNS0_4arch9wavefront6targetE0EEEvT1_
	.p2align	8
	.type	_ZN7rocprim17ROCPRIM_400000_NS6detail17trampoline_kernelINS0_14default_configENS1_27scan_by_key_config_selectorIitEEZZNS1_16scan_by_key_implILNS1_25lookback_scan_determinismE0ELb1ES3_N6thrust23THRUST_200600_302600_NS6detail15normal_iteratorINS9_10device_ptrIiEEEENSB_INSC_ItEEEESG_tNS9_4plusIvEENS9_8equal_toIvEEtEE10hipError_tPvRmT2_T3_T4_T5_mT6_T7_P12ihipStream_tbENKUlT_T0_E_clISt17integral_constantIbLb1EES10_IbLb0EEEEDaSW_SX_EUlSW_E_NS1_11comp_targetILNS1_3genE9ELNS1_11target_archE1100ELNS1_3gpuE3ELNS1_3repE0EEENS1_30default_config_static_selectorELNS0_4arch9wavefront6targetE0EEEvT1_,@function
_ZN7rocprim17ROCPRIM_400000_NS6detail17trampoline_kernelINS0_14default_configENS1_27scan_by_key_config_selectorIitEEZZNS1_16scan_by_key_implILNS1_25lookback_scan_determinismE0ELb1ES3_N6thrust23THRUST_200600_302600_NS6detail15normal_iteratorINS9_10device_ptrIiEEEENSB_INSC_ItEEEESG_tNS9_4plusIvEENS9_8equal_toIvEEtEE10hipError_tPvRmT2_T3_T4_T5_mT6_T7_P12ihipStream_tbENKUlT_T0_E_clISt17integral_constantIbLb1EES10_IbLb0EEEEDaSW_SX_EUlSW_E_NS1_11comp_targetILNS1_3genE9ELNS1_11target_archE1100ELNS1_3gpuE3ELNS1_3repE0EEENS1_30default_config_static_selectorELNS0_4arch9wavefront6targetE0EEEvT1_: ; @_ZN7rocprim17ROCPRIM_400000_NS6detail17trampoline_kernelINS0_14default_configENS1_27scan_by_key_config_selectorIitEEZZNS1_16scan_by_key_implILNS1_25lookback_scan_determinismE0ELb1ES3_N6thrust23THRUST_200600_302600_NS6detail15normal_iteratorINS9_10device_ptrIiEEEENSB_INSC_ItEEEESG_tNS9_4plusIvEENS9_8equal_toIvEEtEE10hipError_tPvRmT2_T3_T4_T5_mT6_T7_P12ihipStream_tbENKUlT_T0_E_clISt17integral_constantIbLb1EES10_IbLb0EEEEDaSW_SX_EUlSW_E_NS1_11comp_targetILNS1_3genE9ELNS1_11target_archE1100ELNS1_3gpuE3ELNS1_3repE0EEENS1_30default_config_static_selectorELNS0_4arch9wavefront6targetE0EEEvT1_
; %bb.0:
	.section	.rodata,"a",@progbits
	.p2align	6, 0x0
	.amdhsa_kernel _ZN7rocprim17ROCPRIM_400000_NS6detail17trampoline_kernelINS0_14default_configENS1_27scan_by_key_config_selectorIitEEZZNS1_16scan_by_key_implILNS1_25lookback_scan_determinismE0ELb1ES3_N6thrust23THRUST_200600_302600_NS6detail15normal_iteratorINS9_10device_ptrIiEEEENSB_INSC_ItEEEESG_tNS9_4plusIvEENS9_8equal_toIvEEtEE10hipError_tPvRmT2_T3_T4_T5_mT6_T7_P12ihipStream_tbENKUlT_T0_E_clISt17integral_constantIbLb1EES10_IbLb0EEEEDaSW_SX_EUlSW_E_NS1_11comp_targetILNS1_3genE9ELNS1_11target_archE1100ELNS1_3gpuE3ELNS1_3repE0EEENS1_30default_config_static_selectorELNS0_4arch9wavefront6targetE0EEEvT1_
		.amdhsa_group_segment_fixed_size 0
		.amdhsa_private_segment_fixed_size 0
		.amdhsa_kernarg_size 112
		.amdhsa_user_sgpr_count 2
		.amdhsa_user_sgpr_dispatch_ptr 0
		.amdhsa_user_sgpr_queue_ptr 0
		.amdhsa_user_sgpr_kernarg_segment_ptr 1
		.amdhsa_user_sgpr_dispatch_id 0
		.amdhsa_user_sgpr_kernarg_preload_length 0
		.amdhsa_user_sgpr_kernarg_preload_offset 0
		.amdhsa_user_sgpr_private_segment_size 0
		.amdhsa_wavefront_size32 1
		.amdhsa_uses_dynamic_stack 0
		.amdhsa_enable_private_segment 0
		.amdhsa_system_sgpr_workgroup_id_x 1
		.amdhsa_system_sgpr_workgroup_id_y 0
		.amdhsa_system_sgpr_workgroup_id_z 0
		.amdhsa_system_sgpr_workgroup_info 0
		.amdhsa_system_vgpr_workitem_id 0
		.amdhsa_next_free_vgpr 1
		.amdhsa_next_free_sgpr 1
		.amdhsa_named_barrier_count 0
		.amdhsa_reserve_vcc 0
		.amdhsa_float_round_mode_32 0
		.amdhsa_float_round_mode_16_64 0
		.amdhsa_float_denorm_mode_32 3
		.amdhsa_float_denorm_mode_16_64 3
		.amdhsa_fp16_overflow 0
		.amdhsa_memory_ordered 1
		.amdhsa_forward_progress 1
		.amdhsa_inst_pref_size 0
		.amdhsa_round_robin_scheduling 0
		.amdhsa_exception_fp_ieee_invalid_op 0
		.amdhsa_exception_fp_denorm_src 0
		.amdhsa_exception_fp_ieee_div_zero 0
		.amdhsa_exception_fp_ieee_overflow 0
		.amdhsa_exception_fp_ieee_underflow 0
		.amdhsa_exception_fp_ieee_inexact 0
		.amdhsa_exception_int_div_zero 0
	.end_amdhsa_kernel
	.section	.text._ZN7rocprim17ROCPRIM_400000_NS6detail17trampoline_kernelINS0_14default_configENS1_27scan_by_key_config_selectorIitEEZZNS1_16scan_by_key_implILNS1_25lookback_scan_determinismE0ELb1ES3_N6thrust23THRUST_200600_302600_NS6detail15normal_iteratorINS9_10device_ptrIiEEEENSB_INSC_ItEEEESG_tNS9_4plusIvEENS9_8equal_toIvEEtEE10hipError_tPvRmT2_T3_T4_T5_mT6_T7_P12ihipStream_tbENKUlT_T0_E_clISt17integral_constantIbLb1EES10_IbLb0EEEEDaSW_SX_EUlSW_E_NS1_11comp_targetILNS1_3genE9ELNS1_11target_archE1100ELNS1_3gpuE3ELNS1_3repE0EEENS1_30default_config_static_selectorELNS0_4arch9wavefront6targetE0EEEvT1_,"axG",@progbits,_ZN7rocprim17ROCPRIM_400000_NS6detail17trampoline_kernelINS0_14default_configENS1_27scan_by_key_config_selectorIitEEZZNS1_16scan_by_key_implILNS1_25lookback_scan_determinismE0ELb1ES3_N6thrust23THRUST_200600_302600_NS6detail15normal_iteratorINS9_10device_ptrIiEEEENSB_INSC_ItEEEESG_tNS9_4plusIvEENS9_8equal_toIvEEtEE10hipError_tPvRmT2_T3_T4_T5_mT6_T7_P12ihipStream_tbENKUlT_T0_E_clISt17integral_constantIbLb1EES10_IbLb0EEEEDaSW_SX_EUlSW_E_NS1_11comp_targetILNS1_3genE9ELNS1_11target_archE1100ELNS1_3gpuE3ELNS1_3repE0EEENS1_30default_config_static_selectorELNS0_4arch9wavefront6targetE0EEEvT1_,comdat
.Lfunc_end1560:
	.size	_ZN7rocprim17ROCPRIM_400000_NS6detail17trampoline_kernelINS0_14default_configENS1_27scan_by_key_config_selectorIitEEZZNS1_16scan_by_key_implILNS1_25lookback_scan_determinismE0ELb1ES3_N6thrust23THRUST_200600_302600_NS6detail15normal_iteratorINS9_10device_ptrIiEEEENSB_INSC_ItEEEESG_tNS9_4plusIvEENS9_8equal_toIvEEtEE10hipError_tPvRmT2_T3_T4_T5_mT6_T7_P12ihipStream_tbENKUlT_T0_E_clISt17integral_constantIbLb1EES10_IbLb0EEEEDaSW_SX_EUlSW_E_NS1_11comp_targetILNS1_3genE9ELNS1_11target_archE1100ELNS1_3gpuE3ELNS1_3repE0EEENS1_30default_config_static_selectorELNS0_4arch9wavefront6targetE0EEEvT1_, .Lfunc_end1560-_ZN7rocprim17ROCPRIM_400000_NS6detail17trampoline_kernelINS0_14default_configENS1_27scan_by_key_config_selectorIitEEZZNS1_16scan_by_key_implILNS1_25lookback_scan_determinismE0ELb1ES3_N6thrust23THRUST_200600_302600_NS6detail15normal_iteratorINS9_10device_ptrIiEEEENSB_INSC_ItEEEESG_tNS9_4plusIvEENS9_8equal_toIvEEtEE10hipError_tPvRmT2_T3_T4_T5_mT6_T7_P12ihipStream_tbENKUlT_T0_E_clISt17integral_constantIbLb1EES10_IbLb0EEEEDaSW_SX_EUlSW_E_NS1_11comp_targetILNS1_3genE9ELNS1_11target_archE1100ELNS1_3gpuE3ELNS1_3repE0EEENS1_30default_config_static_selectorELNS0_4arch9wavefront6targetE0EEEvT1_
                                        ; -- End function
	.set _ZN7rocprim17ROCPRIM_400000_NS6detail17trampoline_kernelINS0_14default_configENS1_27scan_by_key_config_selectorIitEEZZNS1_16scan_by_key_implILNS1_25lookback_scan_determinismE0ELb1ES3_N6thrust23THRUST_200600_302600_NS6detail15normal_iteratorINS9_10device_ptrIiEEEENSB_INSC_ItEEEESG_tNS9_4plusIvEENS9_8equal_toIvEEtEE10hipError_tPvRmT2_T3_T4_T5_mT6_T7_P12ihipStream_tbENKUlT_T0_E_clISt17integral_constantIbLb1EES10_IbLb0EEEEDaSW_SX_EUlSW_E_NS1_11comp_targetILNS1_3genE9ELNS1_11target_archE1100ELNS1_3gpuE3ELNS1_3repE0EEENS1_30default_config_static_selectorELNS0_4arch9wavefront6targetE0EEEvT1_.num_vgpr, 0
	.set _ZN7rocprim17ROCPRIM_400000_NS6detail17trampoline_kernelINS0_14default_configENS1_27scan_by_key_config_selectorIitEEZZNS1_16scan_by_key_implILNS1_25lookback_scan_determinismE0ELb1ES3_N6thrust23THRUST_200600_302600_NS6detail15normal_iteratorINS9_10device_ptrIiEEEENSB_INSC_ItEEEESG_tNS9_4plusIvEENS9_8equal_toIvEEtEE10hipError_tPvRmT2_T3_T4_T5_mT6_T7_P12ihipStream_tbENKUlT_T0_E_clISt17integral_constantIbLb1EES10_IbLb0EEEEDaSW_SX_EUlSW_E_NS1_11comp_targetILNS1_3genE9ELNS1_11target_archE1100ELNS1_3gpuE3ELNS1_3repE0EEENS1_30default_config_static_selectorELNS0_4arch9wavefront6targetE0EEEvT1_.num_agpr, 0
	.set _ZN7rocprim17ROCPRIM_400000_NS6detail17trampoline_kernelINS0_14default_configENS1_27scan_by_key_config_selectorIitEEZZNS1_16scan_by_key_implILNS1_25lookback_scan_determinismE0ELb1ES3_N6thrust23THRUST_200600_302600_NS6detail15normal_iteratorINS9_10device_ptrIiEEEENSB_INSC_ItEEEESG_tNS9_4plusIvEENS9_8equal_toIvEEtEE10hipError_tPvRmT2_T3_T4_T5_mT6_T7_P12ihipStream_tbENKUlT_T0_E_clISt17integral_constantIbLb1EES10_IbLb0EEEEDaSW_SX_EUlSW_E_NS1_11comp_targetILNS1_3genE9ELNS1_11target_archE1100ELNS1_3gpuE3ELNS1_3repE0EEENS1_30default_config_static_selectorELNS0_4arch9wavefront6targetE0EEEvT1_.numbered_sgpr, 0
	.set _ZN7rocprim17ROCPRIM_400000_NS6detail17trampoline_kernelINS0_14default_configENS1_27scan_by_key_config_selectorIitEEZZNS1_16scan_by_key_implILNS1_25lookback_scan_determinismE0ELb1ES3_N6thrust23THRUST_200600_302600_NS6detail15normal_iteratorINS9_10device_ptrIiEEEENSB_INSC_ItEEEESG_tNS9_4plusIvEENS9_8equal_toIvEEtEE10hipError_tPvRmT2_T3_T4_T5_mT6_T7_P12ihipStream_tbENKUlT_T0_E_clISt17integral_constantIbLb1EES10_IbLb0EEEEDaSW_SX_EUlSW_E_NS1_11comp_targetILNS1_3genE9ELNS1_11target_archE1100ELNS1_3gpuE3ELNS1_3repE0EEENS1_30default_config_static_selectorELNS0_4arch9wavefront6targetE0EEEvT1_.num_named_barrier, 0
	.set _ZN7rocprim17ROCPRIM_400000_NS6detail17trampoline_kernelINS0_14default_configENS1_27scan_by_key_config_selectorIitEEZZNS1_16scan_by_key_implILNS1_25lookback_scan_determinismE0ELb1ES3_N6thrust23THRUST_200600_302600_NS6detail15normal_iteratorINS9_10device_ptrIiEEEENSB_INSC_ItEEEESG_tNS9_4plusIvEENS9_8equal_toIvEEtEE10hipError_tPvRmT2_T3_T4_T5_mT6_T7_P12ihipStream_tbENKUlT_T0_E_clISt17integral_constantIbLb1EES10_IbLb0EEEEDaSW_SX_EUlSW_E_NS1_11comp_targetILNS1_3genE9ELNS1_11target_archE1100ELNS1_3gpuE3ELNS1_3repE0EEENS1_30default_config_static_selectorELNS0_4arch9wavefront6targetE0EEEvT1_.private_seg_size, 0
	.set _ZN7rocprim17ROCPRIM_400000_NS6detail17trampoline_kernelINS0_14default_configENS1_27scan_by_key_config_selectorIitEEZZNS1_16scan_by_key_implILNS1_25lookback_scan_determinismE0ELb1ES3_N6thrust23THRUST_200600_302600_NS6detail15normal_iteratorINS9_10device_ptrIiEEEENSB_INSC_ItEEEESG_tNS9_4plusIvEENS9_8equal_toIvEEtEE10hipError_tPvRmT2_T3_T4_T5_mT6_T7_P12ihipStream_tbENKUlT_T0_E_clISt17integral_constantIbLb1EES10_IbLb0EEEEDaSW_SX_EUlSW_E_NS1_11comp_targetILNS1_3genE9ELNS1_11target_archE1100ELNS1_3gpuE3ELNS1_3repE0EEENS1_30default_config_static_selectorELNS0_4arch9wavefront6targetE0EEEvT1_.uses_vcc, 0
	.set _ZN7rocprim17ROCPRIM_400000_NS6detail17trampoline_kernelINS0_14default_configENS1_27scan_by_key_config_selectorIitEEZZNS1_16scan_by_key_implILNS1_25lookback_scan_determinismE0ELb1ES3_N6thrust23THRUST_200600_302600_NS6detail15normal_iteratorINS9_10device_ptrIiEEEENSB_INSC_ItEEEESG_tNS9_4plusIvEENS9_8equal_toIvEEtEE10hipError_tPvRmT2_T3_T4_T5_mT6_T7_P12ihipStream_tbENKUlT_T0_E_clISt17integral_constantIbLb1EES10_IbLb0EEEEDaSW_SX_EUlSW_E_NS1_11comp_targetILNS1_3genE9ELNS1_11target_archE1100ELNS1_3gpuE3ELNS1_3repE0EEENS1_30default_config_static_selectorELNS0_4arch9wavefront6targetE0EEEvT1_.uses_flat_scratch, 0
	.set _ZN7rocprim17ROCPRIM_400000_NS6detail17trampoline_kernelINS0_14default_configENS1_27scan_by_key_config_selectorIitEEZZNS1_16scan_by_key_implILNS1_25lookback_scan_determinismE0ELb1ES3_N6thrust23THRUST_200600_302600_NS6detail15normal_iteratorINS9_10device_ptrIiEEEENSB_INSC_ItEEEESG_tNS9_4plusIvEENS9_8equal_toIvEEtEE10hipError_tPvRmT2_T3_T4_T5_mT6_T7_P12ihipStream_tbENKUlT_T0_E_clISt17integral_constantIbLb1EES10_IbLb0EEEEDaSW_SX_EUlSW_E_NS1_11comp_targetILNS1_3genE9ELNS1_11target_archE1100ELNS1_3gpuE3ELNS1_3repE0EEENS1_30default_config_static_selectorELNS0_4arch9wavefront6targetE0EEEvT1_.has_dyn_sized_stack, 0
	.set _ZN7rocprim17ROCPRIM_400000_NS6detail17trampoline_kernelINS0_14default_configENS1_27scan_by_key_config_selectorIitEEZZNS1_16scan_by_key_implILNS1_25lookback_scan_determinismE0ELb1ES3_N6thrust23THRUST_200600_302600_NS6detail15normal_iteratorINS9_10device_ptrIiEEEENSB_INSC_ItEEEESG_tNS9_4plusIvEENS9_8equal_toIvEEtEE10hipError_tPvRmT2_T3_T4_T5_mT6_T7_P12ihipStream_tbENKUlT_T0_E_clISt17integral_constantIbLb1EES10_IbLb0EEEEDaSW_SX_EUlSW_E_NS1_11comp_targetILNS1_3genE9ELNS1_11target_archE1100ELNS1_3gpuE3ELNS1_3repE0EEENS1_30default_config_static_selectorELNS0_4arch9wavefront6targetE0EEEvT1_.has_recursion, 0
	.set _ZN7rocprim17ROCPRIM_400000_NS6detail17trampoline_kernelINS0_14default_configENS1_27scan_by_key_config_selectorIitEEZZNS1_16scan_by_key_implILNS1_25lookback_scan_determinismE0ELb1ES3_N6thrust23THRUST_200600_302600_NS6detail15normal_iteratorINS9_10device_ptrIiEEEENSB_INSC_ItEEEESG_tNS9_4plusIvEENS9_8equal_toIvEEtEE10hipError_tPvRmT2_T3_T4_T5_mT6_T7_P12ihipStream_tbENKUlT_T0_E_clISt17integral_constantIbLb1EES10_IbLb0EEEEDaSW_SX_EUlSW_E_NS1_11comp_targetILNS1_3genE9ELNS1_11target_archE1100ELNS1_3gpuE3ELNS1_3repE0EEENS1_30default_config_static_selectorELNS0_4arch9wavefront6targetE0EEEvT1_.has_indirect_call, 0
	.section	.AMDGPU.csdata,"",@progbits
; Kernel info:
; codeLenInByte = 0
; TotalNumSgprs: 0
; NumVgprs: 0
; ScratchSize: 0
; MemoryBound: 0
; FloatMode: 240
; IeeeMode: 1
; LDSByteSize: 0 bytes/workgroup (compile time only)
; SGPRBlocks: 0
; VGPRBlocks: 0
; NumSGPRsForWavesPerEU: 1
; NumVGPRsForWavesPerEU: 1
; NamedBarCnt: 0
; Occupancy: 16
; WaveLimiterHint : 0
; COMPUTE_PGM_RSRC2:SCRATCH_EN: 0
; COMPUTE_PGM_RSRC2:USER_SGPR: 2
; COMPUTE_PGM_RSRC2:TRAP_HANDLER: 0
; COMPUTE_PGM_RSRC2:TGID_X_EN: 1
; COMPUTE_PGM_RSRC2:TGID_Y_EN: 0
; COMPUTE_PGM_RSRC2:TGID_Z_EN: 0
; COMPUTE_PGM_RSRC2:TIDIG_COMP_CNT: 0
	.section	.text._ZN7rocprim17ROCPRIM_400000_NS6detail17trampoline_kernelINS0_14default_configENS1_27scan_by_key_config_selectorIitEEZZNS1_16scan_by_key_implILNS1_25lookback_scan_determinismE0ELb1ES3_N6thrust23THRUST_200600_302600_NS6detail15normal_iteratorINS9_10device_ptrIiEEEENSB_INSC_ItEEEESG_tNS9_4plusIvEENS9_8equal_toIvEEtEE10hipError_tPvRmT2_T3_T4_T5_mT6_T7_P12ihipStream_tbENKUlT_T0_E_clISt17integral_constantIbLb1EES10_IbLb0EEEEDaSW_SX_EUlSW_E_NS1_11comp_targetILNS1_3genE8ELNS1_11target_archE1030ELNS1_3gpuE2ELNS1_3repE0EEENS1_30default_config_static_selectorELNS0_4arch9wavefront6targetE0EEEvT1_,"axG",@progbits,_ZN7rocprim17ROCPRIM_400000_NS6detail17trampoline_kernelINS0_14default_configENS1_27scan_by_key_config_selectorIitEEZZNS1_16scan_by_key_implILNS1_25lookback_scan_determinismE0ELb1ES3_N6thrust23THRUST_200600_302600_NS6detail15normal_iteratorINS9_10device_ptrIiEEEENSB_INSC_ItEEEESG_tNS9_4plusIvEENS9_8equal_toIvEEtEE10hipError_tPvRmT2_T3_T4_T5_mT6_T7_P12ihipStream_tbENKUlT_T0_E_clISt17integral_constantIbLb1EES10_IbLb0EEEEDaSW_SX_EUlSW_E_NS1_11comp_targetILNS1_3genE8ELNS1_11target_archE1030ELNS1_3gpuE2ELNS1_3repE0EEENS1_30default_config_static_selectorELNS0_4arch9wavefront6targetE0EEEvT1_,comdat
	.protected	_ZN7rocprim17ROCPRIM_400000_NS6detail17trampoline_kernelINS0_14default_configENS1_27scan_by_key_config_selectorIitEEZZNS1_16scan_by_key_implILNS1_25lookback_scan_determinismE0ELb1ES3_N6thrust23THRUST_200600_302600_NS6detail15normal_iteratorINS9_10device_ptrIiEEEENSB_INSC_ItEEEESG_tNS9_4plusIvEENS9_8equal_toIvEEtEE10hipError_tPvRmT2_T3_T4_T5_mT6_T7_P12ihipStream_tbENKUlT_T0_E_clISt17integral_constantIbLb1EES10_IbLb0EEEEDaSW_SX_EUlSW_E_NS1_11comp_targetILNS1_3genE8ELNS1_11target_archE1030ELNS1_3gpuE2ELNS1_3repE0EEENS1_30default_config_static_selectorELNS0_4arch9wavefront6targetE0EEEvT1_ ; -- Begin function _ZN7rocprim17ROCPRIM_400000_NS6detail17trampoline_kernelINS0_14default_configENS1_27scan_by_key_config_selectorIitEEZZNS1_16scan_by_key_implILNS1_25lookback_scan_determinismE0ELb1ES3_N6thrust23THRUST_200600_302600_NS6detail15normal_iteratorINS9_10device_ptrIiEEEENSB_INSC_ItEEEESG_tNS9_4plusIvEENS9_8equal_toIvEEtEE10hipError_tPvRmT2_T3_T4_T5_mT6_T7_P12ihipStream_tbENKUlT_T0_E_clISt17integral_constantIbLb1EES10_IbLb0EEEEDaSW_SX_EUlSW_E_NS1_11comp_targetILNS1_3genE8ELNS1_11target_archE1030ELNS1_3gpuE2ELNS1_3repE0EEENS1_30default_config_static_selectorELNS0_4arch9wavefront6targetE0EEEvT1_
	.globl	_ZN7rocprim17ROCPRIM_400000_NS6detail17trampoline_kernelINS0_14default_configENS1_27scan_by_key_config_selectorIitEEZZNS1_16scan_by_key_implILNS1_25lookback_scan_determinismE0ELb1ES3_N6thrust23THRUST_200600_302600_NS6detail15normal_iteratorINS9_10device_ptrIiEEEENSB_INSC_ItEEEESG_tNS9_4plusIvEENS9_8equal_toIvEEtEE10hipError_tPvRmT2_T3_T4_T5_mT6_T7_P12ihipStream_tbENKUlT_T0_E_clISt17integral_constantIbLb1EES10_IbLb0EEEEDaSW_SX_EUlSW_E_NS1_11comp_targetILNS1_3genE8ELNS1_11target_archE1030ELNS1_3gpuE2ELNS1_3repE0EEENS1_30default_config_static_selectorELNS0_4arch9wavefront6targetE0EEEvT1_
	.p2align	8
	.type	_ZN7rocprim17ROCPRIM_400000_NS6detail17trampoline_kernelINS0_14default_configENS1_27scan_by_key_config_selectorIitEEZZNS1_16scan_by_key_implILNS1_25lookback_scan_determinismE0ELb1ES3_N6thrust23THRUST_200600_302600_NS6detail15normal_iteratorINS9_10device_ptrIiEEEENSB_INSC_ItEEEESG_tNS9_4plusIvEENS9_8equal_toIvEEtEE10hipError_tPvRmT2_T3_T4_T5_mT6_T7_P12ihipStream_tbENKUlT_T0_E_clISt17integral_constantIbLb1EES10_IbLb0EEEEDaSW_SX_EUlSW_E_NS1_11comp_targetILNS1_3genE8ELNS1_11target_archE1030ELNS1_3gpuE2ELNS1_3repE0EEENS1_30default_config_static_selectorELNS0_4arch9wavefront6targetE0EEEvT1_,@function
_ZN7rocprim17ROCPRIM_400000_NS6detail17trampoline_kernelINS0_14default_configENS1_27scan_by_key_config_selectorIitEEZZNS1_16scan_by_key_implILNS1_25lookback_scan_determinismE0ELb1ES3_N6thrust23THRUST_200600_302600_NS6detail15normal_iteratorINS9_10device_ptrIiEEEENSB_INSC_ItEEEESG_tNS9_4plusIvEENS9_8equal_toIvEEtEE10hipError_tPvRmT2_T3_T4_T5_mT6_T7_P12ihipStream_tbENKUlT_T0_E_clISt17integral_constantIbLb1EES10_IbLb0EEEEDaSW_SX_EUlSW_E_NS1_11comp_targetILNS1_3genE8ELNS1_11target_archE1030ELNS1_3gpuE2ELNS1_3repE0EEENS1_30default_config_static_selectorELNS0_4arch9wavefront6targetE0EEEvT1_: ; @_ZN7rocprim17ROCPRIM_400000_NS6detail17trampoline_kernelINS0_14default_configENS1_27scan_by_key_config_selectorIitEEZZNS1_16scan_by_key_implILNS1_25lookback_scan_determinismE0ELb1ES3_N6thrust23THRUST_200600_302600_NS6detail15normal_iteratorINS9_10device_ptrIiEEEENSB_INSC_ItEEEESG_tNS9_4plusIvEENS9_8equal_toIvEEtEE10hipError_tPvRmT2_T3_T4_T5_mT6_T7_P12ihipStream_tbENKUlT_T0_E_clISt17integral_constantIbLb1EES10_IbLb0EEEEDaSW_SX_EUlSW_E_NS1_11comp_targetILNS1_3genE8ELNS1_11target_archE1030ELNS1_3gpuE2ELNS1_3repE0EEENS1_30default_config_static_selectorELNS0_4arch9wavefront6targetE0EEEvT1_
; %bb.0:
	.section	.rodata,"a",@progbits
	.p2align	6, 0x0
	.amdhsa_kernel _ZN7rocprim17ROCPRIM_400000_NS6detail17trampoline_kernelINS0_14default_configENS1_27scan_by_key_config_selectorIitEEZZNS1_16scan_by_key_implILNS1_25lookback_scan_determinismE0ELb1ES3_N6thrust23THRUST_200600_302600_NS6detail15normal_iteratorINS9_10device_ptrIiEEEENSB_INSC_ItEEEESG_tNS9_4plusIvEENS9_8equal_toIvEEtEE10hipError_tPvRmT2_T3_T4_T5_mT6_T7_P12ihipStream_tbENKUlT_T0_E_clISt17integral_constantIbLb1EES10_IbLb0EEEEDaSW_SX_EUlSW_E_NS1_11comp_targetILNS1_3genE8ELNS1_11target_archE1030ELNS1_3gpuE2ELNS1_3repE0EEENS1_30default_config_static_selectorELNS0_4arch9wavefront6targetE0EEEvT1_
		.amdhsa_group_segment_fixed_size 0
		.amdhsa_private_segment_fixed_size 0
		.amdhsa_kernarg_size 112
		.amdhsa_user_sgpr_count 2
		.amdhsa_user_sgpr_dispatch_ptr 0
		.amdhsa_user_sgpr_queue_ptr 0
		.amdhsa_user_sgpr_kernarg_segment_ptr 1
		.amdhsa_user_sgpr_dispatch_id 0
		.amdhsa_user_sgpr_kernarg_preload_length 0
		.amdhsa_user_sgpr_kernarg_preload_offset 0
		.amdhsa_user_sgpr_private_segment_size 0
		.amdhsa_wavefront_size32 1
		.amdhsa_uses_dynamic_stack 0
		.amdhsa_enable_private_segment 0
		.amdhsa_system_sgpr_workgroup_id_x 1
		.amdhsa_system_sgpr_workgroup_id_y 0
		.amdhsa_system_sgpr_workgroup_id_z 0
		.amdhsa_system_sgpr_workgroup_info 0
		.amdhsa_system_vgpr_workitem_id 0
		.amdhsa_next_free_vgpr 1
		.amdhsa_next_free_sgpr 1
		.amdhsa_named_barrier_count 0
		.amdhsa_reserve_vcc 0
		.amdhsa_float_round_mode_32 0
		.amdhsa_float_round_mode_16_64 0
		.amdhsa_float_denorm_mode_32 3
		.amdhsa_float_denorm_mode_16_64 3
		.amdhsa_fp16_overflow 0
		.amdhsa_memory_ordered 1
		.amdhsa_forward_progress 1
		.amdhsa_inst_pref_size 0
		.amdhsa_round_robin_scheduling 0
		.amdhsa_exception_fp_ieee_invalid_op 0
		.amdhsa_exception_fp_denorm_src 0
		.amdhsa_exception_fp_ieee_div_zero 0
		.amdhsa_exception_fp_ieee_overflow 0
		.amdhsa_exception_fp_ieee_underflow 0
		.amdhsa_exception_fp_ieee_inexact 0
		.amdhsa_exception_int_div_zero 0
	.end_amdhsa_kernel
	.section	.text._ZN7rocprim17ROCPRIM_400000_NS6detail17trampoline_kernelINS0_14default_configENS1_27scan_by_key_config_selectorIitEEZZNS1_16scan_by_key_implILNS1_25lookback_scan_determinismE0ELb1ES3_N6thrust23THRUST_200600_302600_NS6detail15normal_iteratorINS9_10device_ptrIiEEEENSB_INSC_ItEEEESG_tNS9_4plusIvEENS9_8equal_toIvEEtEE10hipError_tPvRmT2_T3_T4_T5_mT6_T7_P12ihipStream_tbENKUlT_T0_E_clISt17integral_constantIbLb1EES10_IbLb0EEEEDaSW_SX_EUlSW_E_NS1_11comp_targetILNS1_3genE8ELNS1_11target_archE1030ELNS1_3gpuE2ELNS1_3repE0EEENS1_30default_config_static_selectorELNS0_4arch9wavefront6targetE0EEEvT1_,"axG",@progbits,_ZN7rocprim17ROCPRIM_400000_NS6detail17trampoline_kernelINS0_14default_configENS1_27scan_by_key_config_selectorIitEEZZNS1_16scan_by_key_implILNS1_25lookback_scan_determinismE0ELb1ES3_N6thrust23THRUST_200600_302600_NS6detail15normal_iteratorINS9_10device_ptrIiEEEENSB_INSC_ItEEEESG_tNS9_4plusIvEENS9_8equal_toIvEEtEE10hipError_tPvRmT2_T3_T4_T5_mT6_T7_P12ihipStream_tbENKUlT_T0_E_clISt17integral_constantIbLb1EES10_IbLb0EEEEDaSW_SX_EUlSW_E_NS1_11comp_targetILNS1_3genE8ELNS1_11target_archE1030ELNS1_3gpuE2ELNS1_3repE0EEENS1_30default_config_static_selectorELNS0_4arch9wavefront6targetE0EEEvT1_,comdat
.Lfunc_end1561:
	.size	_ZN7rocprim17ROCPRIM_400000_NS6detail17trampoline_kernelINS0_14default_configENS1_27scan_by_key_config_selectorIitEEZZNS1_16scan_by_key_implILNS1_25lookback_scan_determinismE0ELb1ES3_N6thrust23THRUST_200600_302600_NS6detail15normal_iteratorINS9_10device_ptrIiEEEENSB_INSC_ItEEEESG_tNS9_4plusIvEENS9_8equal_toIvEEtEE10hipError_tPvRmT2_T3_T4_T5_mT6_T7_P12ihipStream_tbENKUlT_T0_E_clISt17integral_constantIbLb1EES10_IbLb0EEEEDaSW_SX_EUlSW_E_NS1_11comp_targetILNS1_3genE8ELNS1_11target_archE1030ELNS1_3gpuE2ELNS1_3repE0EEENS1_30default_config_static_selectorELNS0_4arch9wavefront6targetE0EEEvT1_, .Lfunc_end1561-_ZN7rocprim17ROCPRIM_400000_NS6detail17trampoline_kernelINS0_14default_configENS1_27scan_by_key_config_selectorIitEEZZNS1_16scan_by_key_implILNS1_25lookback_scan_determinismE0ELb1ES3_N6thrust23THRUST_200600_302600_NS6detail15normal_iteratorINS9_10device_ptrIiEEEENSB_INSC_ItEEEESG_tNS9_4plusIvEENS9_8equal_toIvEEtEE10hipError_tPvRmT2_T3_T4_T5_mT6_T7_P12ihipStream_tbENKUlT_T0_E_clISt17integral_constantIbLb1EES10_IbLb0EEEEDaSW_SX_EUlSW_E_NS1_11comp_targetILNS1_3genE8ELNS1_11target_archE1030ELNS1_3gpuE2ELNS1_3repE0EEENS1_30default_config_static_selectorELNS0_4arch9wavefront6targetE0EEEvT1_
                                        ; -- End function
	.set _ZN7rocprim17ROCPRIM_400000_NS6detail17trampoline_kernelINS0_14default_configENS1_27scan_by_key_config_selectorIitEEZZNS1_16scan_by_key_implILNS1_25lookback_scan_determinismE0ELb1ES3_N6thrust23THRUST_200600_302600_NS6detail15normal_iteratorINS9_10device_ptrIiEEEENSB_INSC_ItEEEESG_tNS9_4plusIvEENS9_8equal_toIvEEtEE10hipError_tPvRmT2_T3_T4_T5_mT6_T7_P12ihipStream_tbENKUlT_T0_E_clISt17integral_constantIbLb1EES10_IbLb0EEEEDaSW_SX_EUlSW_E_NS1_11comp_targetILNS1_3genE8ELNS1_11target_archE1030ELNS1_3gpuE2ELNS1_3repE0EEENS1_30default_config_static_selectorELNS0_4arch9wavefront6targetE0EEEvT1_.num_vgpr, 0
	.set _ZN7rocprim17ROCPRIM_400000_NS6detail17trampoline_kernelINS0_14default_configENS1_27scan_by_key_config_selectorIitEEZZNS1_16scan_by_key_implILNS1_25lookback_scan_determinismE0ELb1ES3_N6thrust23THRUST_200600_302600_NS6detail15normal_iteratorINS9_10device_ptrIiEEEENSB_INSC_ItEEEESG_tNS9_4plusIvEENS9_8equal_toIvEEtEE10hipError_tPvRmT2_T3_T4_T5_mT6_T7_P12ihipStream_tbENKUlT_T0_E_clISt17integral_constantIbLb1EES10_IbLb0EEEEDaSW_SX_EUlSW_E_NS1_11comp_targetILNS1_3genE8ELNS1_11target_archE1030ELNS1_3gpuE2ELNS1_3repE0EEENS1_30default_config_static_selectorELNS0_4arch9wavefront6targetE0EEEvT1_.num_agpr, 0
	.set _ZN7rocprim17ROCPRIM_400000_NS6detail17trampoline_kernelINS0_14default_configENS1_27scan_by_key_config_selectorIitEEZZNS1_16scan_by_key_implILNS1_25lookback_scan_determinismE0ELb1ES3_N6thrust23THRUST_200600_302600_NS6detail15normal_iteratorINS9_10device_ptrIiEEEENSB_INSC_ItEEEESG_tNS9_4plusIvEENS9_8equal_toIvEEtEE10hipError_tPvRmT2_T3_T4_T5_mT6_T7_P12ihipStream_tbENKUlT_T0_E_clISt17integral_constantIbLb1EES10_IbLb0EEEEDaSW_SX_EUlSW_E_NS1_11comp_targetILNS1_3genE8ELNS1_11target_archE1030ELNS1_3gpuE2ELNS1_3repE0EEENS1_30default_config_static_selectorELNS0_4arch9wavefront6targetE0EEEvT1_.numbered_sgpr, 0
	.set _ZN7rocprim17ROCPRIM_400000_NS6detail17trampoline_kernelINS0_14default_configENS1_27scan_by_key_config_selectorIitEEZZNS1_16scan_by_key_implILNS1_25lookback_scan_determinismE0ELb1ES3_N6thrust23THRUST_200600_302600_NS6detail15normal_iteratorINS9_10device_ptrIiEEEENSB_INSC_ItEEEESG_tNS9_4plusIvEENS9_8equal_toIvEEtEE10hipError_tPvRmT2_T3_T4_T5_mT6_T7_P12ihipStream_tbENKUlT_T0_E_clISt17integral_constantIbLb1EES10_IbLb0EEEEDaSW_SX_EUlSW_E_NS1_11comp_targetILNS1_3genE8ELNS1_11target_archE1030ELNS1_3gpuE2ELNS1_3repE0EEENS1_30default_config_static_selectorELNS0_4arch9wavefront6targetE0EEEvT1_.num_named_barrier, 0
	.set _ZN7rocprim17ROCPRIM_400000_NS6detail17trampoline_kernelINS0_14default_configENS1_27scan_by_key_config_selectorIitEEZZNS1_16scan_by_key_implILNS1_25lookback_scan_determinismE0ELb1ES3_N6thrust23THRUST_200600_302600_NS6detail15normal_iteratorINS9_10device_ptrIiEEEENSB_INSC_ItEEEESG_tNS9_4plusIvEENS9_8equal_toIvEEtEE10hipError_tPvRmT2_T3_T4_T5_mT6_T7_P12ihipStream_tbENKUlT_T0_E_clISt17integral_constantIbLb1EES10_IbLb0EEEEDaSW_SX_EUlSW_E_NS1_11comp_targetILNS1_3genE8ELNS1_11target_archE1030ELNS1_3gpuE2ELNS1_3repE0EEENS1_30default_config_static_selectorELNS0_4arch9wavefront6targetE0EEEvT1_.private_seg_size, 0
	.set _ZN7rocprim17ROCPRIM_400000_NS6detail17trampoline_kernelINS0_14default_configENS1_27scan_by_key_config_selectorIitEEZZNS1_16scan_by_key_implILNS1_25lookback_scan_determinismE0ELb1ES3_N6thrust23THRUST_200600_302600_NS6detail15normal_iteratorINS9_10device_ptrIiEEEENSB_INSC_ItEEEESG_tNS9_4plusIvEENS9_8equal_toIvEEtEE10hipError_tPvRmT2_T3_T4_T5_mT6_T7_P12ihipStream_tbENKUlT_T0_E_clISt17integral_constantIbLb1EES10_IbLb0EEEEDaSW_SX_EUlSW_E_NS1_11comp_targetILNS1_3genE8ELNS1_11target_archE1030ELNS1_3gpuE2ELNS1_3repE0EEENS1_30default_config_static_selectorELNS0_4arch9wavefront6targetE0EEEvT1_.uses_vcc, 0
	.set _ZN7rocprim17ROCPRIM_400000_NS6detail17trampoline_kernelINS0_14default_configENS1_27scan_by_key_config_selectorIitEEZZNS1_16scan_by_key_implILNS1_25lookback_scan_determinismE0ELb1ES3_N6thrust23THRUST_200600_302600_NS6detail15normal_iteratorINS9_10device_ptrIiEEEENSB_INSC_ItEEEESG_tNS9_4plusIvEENS9_8equal_toIvEEtEE10hipError_tPvRmT2_T3_T4_T5_mT6_T7_P12ihipStream_tbENKUlT_T0_E_clISt17integral_constantIbLb1EES10_IbLb0EEEEDaSW_SX_EUlSW_E_NS1_11comp_targetILNS1_3genE8ELNS1_11target_archE1030ELNS1_3gpuE2ELNS1_3repE0EEENS1_30default_config_static_selectorELNS0_4arch9wavefront6targetE0EEEvT1_.uses_flat_scratch, 0
	.set _ZN7rocprim17ROCPRIM_400000_NS6detail17trampoline_kernelINS0_14default_configENS1_27scan_by_key_config_selectorIitEEZZNS1_16scan_by_key_implILNS1_25lookback_scan_determinismE0ELb1ES3_N6thrust23THRUST_200600_302600_NS6detail15normal_iteratorINS9_10device_ptrIiEEEENSB_INSC_ItEEEESG_tNS9_4plusIvEENS9_8equal_toIvEEtEE10hipError_tPvRmT2_T3_T4_T5_mT6_T7_P12ihipStream_tbENKUlT_T0_E_clISt17integral_constantIbLb1EES10_IbLb0EEEEDaSW_SX_EUlSW_E_NS1_11comp_targetILNS1_3genE8ELNS1_11target_archE1030ELNS1_3gpuE2ELNS1_3repE0EEENS1_30default_config_static_selectorELNS0_4arch9wavefront6targetE0EEEvT1_.has_dyn_sized_stack, 0
	.set _ZN7rocprim17ROCPRIM_400000_NS6detail17trampoline_kernelINS0_14default_configENS1_27scan_by_key_config_selectorIitEEZZNS1_16scan_by_key_implILNS1_25lookback_scan_determinismE0ELb1ES3_N6thrust23THRUST_200600_302600_NS6detail15normal_iteratorINS9_10device_ptrIiEEEENSB_INSC_ItEEEESG_tNS9_4plusIvEENS9_8equal_toIvEEtEE10hipError_tPvRmT2_T3_T4_T5_mT6_T7_P12ihipStream_tbENKUlT_T0_E_clISt17integral_constantIbLb1EES10_IbLb0EEEEDaSW_SX_EUlSW_E_NS1_11comp_targetILNS1_3genE8ELNS1_11target_archE1030ELNS1_3gpuE2ELNS1_3repE0EEENS1_30default_config_static_selectorELNS0_4arch9wavefront6targetE0EEEvT1_.has_recursion, 0
	.set _ZN7rocprim17ROCPRIM_400000_NS6detail17trampoline_kernelINS0_14default_configENS1_27scan_by_key_config_selectorIitEEZZNS1_16scan_by_key_implILNS1_25lookback_scan_determinismE0ELb1ES3_N6thrust23THRUST_200600_302600_NS6detail15normal_iteratorINS9_10device_ptrIiEEEENSB_INSC_ItEEEESG_tNS9_4plusIvEENS9_8equal_toIvEEtEE10hipError_tPvRmT2_T3_T4_T5_mT6_T7_P12ihipStream_tbENKUlT_T0_E_clISt17integral_constantIbLb1EES10_IbLb0EEEEDaSW_SX_EUlSW_E_NS1_11comp_targetILNS1_3genE8ELNS1_11target_archE1030ELNS1_3gpuE2ELNS1_3repE0EEENS1_30default_config_static_selectorELNS0_4arch9wavefront6targetE0EEEvT1_.has_indirect_call, 0
	.section	.AMDGPU.csdata,"",@progbits
; Kernel info:
; codeLenInByte = 0
; TotalNumSgprs: 0
; NumVgprs: 0
; ScratchSize: 0
; MemoryBound: 0
; FloatMode: 240
; IeeeMode: 1
; LDSByteSize: 0 bytes/workgroup (compile time only)
; SGPRBlocks: 0
; VGPRBlocks: 0
; NumSGPRsForWavesPerEU: 1
; NumVGPRsForWavesPerEU: 1
; NamedBarCnt: 0
; Occupancy: 16
; WaveLimiterHint : 0
; COMPUTE_PGM_RSRC2:SCRATCH_EN: 0
; COMPUTE_PGM_RSRC2:USER_SGPR: 2
; COMPUTE_PGM_RSRC2:TRAP_HANDLER: 0
; COMPUTE_PGM_RSRC2:TGID_X_EN: 1
; COMPUTE_PGM_RSRC2:TGID_Y_EN: 0
; COMPUTE_PGM_RSRC2:TGID_Z_EN: 0
; COMPUTE_PGM_RSRC2:TIDIG_COMP_CNT: 0
	.section	.text._ZN7rocprim17ROCPRIM_400000_NS6detail17trampoline_kernelINS0_14default_configENS1_27scan_by_key_config_selectorIitEEZZNS1_16scan_by_key_implILNS1_25lookback_scan_determinismE0ELb1ES3_N6thrust23THRUST_200600_302600_NS6detail15normal_iteratorINS9_10device_ptrIiEEEENSB_INSC_ItEEEESG_tNS9_4plusIvEENS9_8equal_toIvEEtEE10hipError_tPvRmT2_T3_T4_T5_mT6_T7_P12ihipStream_tbENKUlT_T0_E_clISt17integral_constantIbLb0EES10_IbLb1EEEEDaSW_SX_EUlSW_E_NS1_11comp_targetILNS1_3genE0ELNS1_11target_archE4294967295ELNS1_3gpuE0ELNS1_3repE0EEENS1_30default_config_static_selectorELNS0_4arch9wavefront6targetE0EEEvT1_,"axG",@progbits,_ZN7rocprim17ROCPRIM_400000_NS6detail17trampoline_kernelINS0_14default_configENS1_27scan_by_key_config_selectorIitEEZZNS1_16scan_by_key_implILNS1_25lookback_scan_determinismE0ELb1ES3_N6thrust23THRUST_200600_302600_NS6detail15normal_iteratorINS9_10device_ptrIiEEEENSB_INSC_ItEEEESG_tNS9_4plusIvEENS9_8equal_toIvEEtEE10hipError_tPvRmT2_T3_T4_T5_mT6_T7_P12ihipStream_tbENKUlT_T0_E_clISt17integral_constantIbLb0EES10_IbLb1EEEEDaSW_SX_EUlSW_E_NS1_11comp_targetILNS1_3genE0ELNS1_11target_archE4294967295ELNS1_3gpuE0ELNS1_3repE0EEENS1_30default_config_static_selectorELNS0_4arch9wavefront6targetE0EEEvT1_,comdat
	.protected	_ZN7rocprim17ROCPRIM_400000_NS6detail17trampoline_kernelINS0_14default_configENS1_27scan_by_key_config_selectorIitEEZZNS1_16scan_by_key_implILNS1_25lookback_scan_determinismE0ELb1ES3_N6thrust23THRUST_200600_302600_NS6detail15normal_iteratorINS9_10device_ptrIiEEEENSB_INSC_ItEEEESG_tNS9_4plusIvEENS9_8equal_toIvEEtEE10hipError_tPvRmT2_T3_T4_T5_mT6_T7_P12ihipStream_tbENKUlT_T0_E_clISt17integral_constantIbLb0EES10_IbLb1EEEEDaSW_SX_EUlSW_E_NS1_11comp_targetILNS1_3genE0ELNS1_11target_archE4294967295ELNS1_3gpuE0ELNS1_3repE0EEENS1_30default_config_static_selectorELNS0_4arch9wavefront6targetE0EEEvT1_ ; -- Begin function _ZN7rocprim17ROCPRIM_400000_NS6detail17trampoline_kernelINS0_14default_configENS1_27scan_by_key_config_selectorIitEEZZNS1_16scan_by_key_implILNS1_25lookback_scan_determinismE0ELb1ES3_N6thrust23THRUST_200600_302600_NS6detail15normal_iteratorINS9_10device_ptrIiEEEENSB_INSC_ItEEEESG_tNS9_4plusIvEENS9_8equal_toIvEEtEE10hipError_tPvRmT2_T3_T4_T5_mT6_T7_P12ihipStream_tbENKUlT_T0_E_clISt17integral_constantIbLb0EES10_IbLb1EEEEDaSW_SX_EUlSW_E_NS1_11comp_targetILNS1_3genE0ELNS1_11target_archE4294967295ELNS1_3gpuE0ELNS1_3repE0EEENS1_30default_config_static_selectorELNS0_4arch9wavefront6targetE0EEEvT1_
	.globl	_ZN7rocprim17ROCPRIM_400000_NS6detail17trampoline_kernelINS0_14default_configENS1_27scan_by_key_config_selectorIitEEZZNS1_16scan_by_key_implILNS1_25lookback_scan_determinismE0ELb1ES3_N6thrust23THRUST_200600_302600_NS6detail15normal_iteratorINS9_10device_ptrIiEEEENSB_INSC_ItEEEESG_tNS9_4plusIvEENS9_8equal_toIvEEtEE10hipError_tPvRmT2_T3_T4_T5_mT6_T7_P12ihipStream_tbENKUlT_T0_E_clISt17integral_constantIbLb0EES10_IbLb1EEEEDaSW_SX_EUlSW_E_NS1_11comp_targetILNS1_3genE0ELNS1_11target_archE4294967295ELNS1_3gpuE0ELNS1_3repE0EEENS1_30default_config_static_selectorELNS0_4arch9wavefront6targetE0EEEvT1_
	.p2align	8
	.type	_ZN7rocprim17ROCPRIM_400000_NS6detail17trampoline_kernelINS0_14default_configENS1_27scan_by_key_config_selectorIitEEZZNS1_16scan_by_key_implILNS1_25lookback_scan_determinismE0ELb1ES3_N6thrust23THRUST_200600_302600_NS6detail15normal_iteratorINS9_10device_ptrIiEEEENSB_INSC_ItEEEESG_tNS9_4plusIvEENS9_8equal_toIvEEtEE10hipError_tPvRmT2_T3_T4_T5_mT6_T7_P12ihipStream_tbENKUlT_T0_E_clISt17integral_constantIbLb0EES10_IbLb1EEEEDaSW_SX_EUlSW_E_NS1_11comp_targetILNS1_3genE0ELNS1_11target_archE4294967295ELNS1_3gpuE0ELNS1_3repE0EEENS1_30default_config_static_selectorELNS0_4arch9wavefront6targetE0EEEvT1_,@function
_ZN7rocprim17ROCPRIM_400000_NS6detail17trampoline_kernelINS0_14default_configENS1_27scan_by_key_config_selectorIitEEZZNS1_16scan_by_key_implILNS1_25lookback_scan_determinismE0ELb1ES3_N6thrust23THRUST_200600_302600_NS6detail15normal_iteratorINS9_10device_ptrIiEEEENSB_INSC_ItEEEESG_tNS9_4plusIvEENS9_8equal_toIvEEtEE10hipError_tPvRmT2_T3_T4_T5_mT6_T7_P12ihipStream_tbENKUlT_T0_E_clISt17integral_constantIbLb0EES10_IbLb1EEEEDaSW_SX_EUlSW_E_NS1_11comp_targetILNS1_3genE0ELNS1_11target_archE4294967295ELNS1_3gpuE0ELNS1_3repE0EEENS1_30default_config_static_selectorELNS0_4arch9wavefront6targetE0EEEvT1_: ; @_ZN7rocprim17ROCPRIM_400000_NS6detail17trampoline_kernelINS0_14default_configENS1_27scan_by_key_config_selectorIitEEZZNS1_16scan_by_key_implILNS1_25lookback_scan_determinismE0ELb1ES3_N6thrust23THRUST_200600_302600_NS6detail15normal_iteratorINS9_10device_ptrIiEEEENSB_INSC_ItEEEESG_tNS9_4plusIvEENS9_8equal_toIvEEtEE10hipError_tPvRmT2_T3_T4_T5_mT6_T7_P12ihipStream_tbENKUlT_T0_E_clISt17integral_constantIbLb0EES10_IbLb1EEEEDaSW_SX_EUlSW_E_NS1_11comp_targetILNS1_3genE0ELNS1_11target_archE4294967295ELNS1_3gpuE0ELNS1_3repE0EEENS1_30default_config_static_selectorELNS0_4arch9wavefront6targetE0EEEvT1_
; %bb.0:
	s_clause 0x2
	s_load_b32 s33, s[0:1], 0x20
	s_load_b128 s[20:23], s[0:1], 0x28
	s_load_b64 s[30:31], s[0:1], 0x38
	v_cmp_ne_u32_e64 s3, 0, v0
	v_cmp_eq_u32_e64 s2, 0, v0
	s_and_saveexec_b32 s4, s2
	s_cbranch_execz .LBB1562_4
; %bb.1:
	s_mov_b32 s6, exec_lo
	s_mov_b32 s5, exec_lo
	v_mbcnt_lo_u32_b32 v1, s6, 0
                                        ; implicit-def: $vgpr2
	s_delay_alu instid0(VALU_DEP_1)
	v_cmpx_eq_u32_e32 0, v1
	s_cbranch_execz .LBB1562_3
; %bb.2:
	s_load_b64 s[8:9], s[0:1], 0x68
	s_bcnt1_i32_b32 s6, s6
	s_delay_alu instid0(SALU_CYCLE_1)
	v_dual_mov_b32 v2, 0 :: v_dual_mov_b32 v3, s6
	s_wait_xcnt 0x0
	s_wait_kmcnt 0x0
	global_atomic_add_u32 v2, v2, v3, s[8:9] th:TH_ATOMIC_RETURN scope:SCOPE_DEV
.LBB1562_3:
	s_wait_xcnt 0x0
	s_or_b32 exec_lo, exec_lo, s5
	s_wait_loadcnt 0x0
	v_readfirstlane_b32 s5, v2
	s_delay_alu instid0(VALU_DEP_1)
	v_dual_mov_b32 v2, 0 :: v_dual_add_nc_u32 v1, s5, v1
	ds_store_b32 v2, v1
.LBB1562_4:
	s_or_b32 exec_lo, exec_lo, s4
	v_mov_b32_e32 v23, 0
	s_clause 0x2
	s_load_b256 s[12:19], s[0:1], 0x0
	s_load_b32 s4, s[0:1], 0x40
	s_load_b128 s[24:27], s[0:1], 0x48
	s_wait_dscnt 0x0
	s_barrier_signal -1
	s_barrier_wait -1
	ds_load_b32 v22, v23
	s_mov_b32 s5, 0
	s_wait_dscnt 0x0
	s_barrier_signal -1
	s_barrier_wait -1
	s_barrier_signal -1
	s_barrier_wait -1
	s_wait_kmcnt 0x0
	s_lshl_b64 s[0:1], s[14:15], 2
	s_lshl_b64 s[28:29], s[14:15], 1
	s_add_nc_u64 s[6:7], s[12:13], s[0:1]
	s_mul_u64 s[0:1], s[30:31], s[4:5]
	s_add_nc_u64 s[10:11], s[24:25], -1
	s_add_nc_u64 s[8:9], s[16:17], s[28:29]
	s_mul_i32 s17, s10, 0xfffff200
	v_add_nc_u64_e32 v[2:3], s[0:1], v[22:23]
	v_readfirstlane_b32 s1, v22
	s_mul_i32 s4, s1, 0xe00
	v_cmp_le_u64_e64 s0, s[10:11], v[2:3]
	s_lshl_b64 s[12:13], s[4:5], 2
	s_lshl_b64 s[24:25], s[4:5], 1
	s_add_nc_u64 s[36:37], s[6:7], s[12:13]
	s_add_nc_u64 s[34:35], s[8:9], s[24:25]
	s_and_b32 vcc_lo, exec_lo, s0
	s_cbranch_vccz .LBB1562_80
; %bb.5:
	flat_load_b32 v1, v23, s[36:37]
	s_add_co_i32 s23, s17, s22
	s_delay_alu instid0(SALU_CYCLE_1)
	v_cmp_gt_u32_e32 vcc_lo, s23, v0
	s_wait_loadcnt_dscnt 0x0
	v_mov_b32_e32 v2, v1
	s_and_saveexec_b32 s1, vcc_lo
	s_cbranch_execz .LBB1562_7
; %bb.6:
	flat_load_b32 v2, v0, s[36:37] scale_offset
.LBB1562_7:
	s_wait_xcnt 0x0
	s_or_b32 exec_lo, exec_lo, s1
	v_or_b32_e32 v3, 0x100, v0
	s_delay_alu instid0(VALU_DEP_1)
	v_cmp_gt_u32_e64 s1, s23, v3
	v_mov_b32_e32 v3, v1
	s_and_saveexec_b32 s4, s1
	s_cbranch_execz .LBB1562_9
; %bb.8:
	flat_load_b32 v3, v0, s[36:37] offset:1024 scale_offset
.LBB1562_9:
	s_wait_xcnt 0x0
	s_or_b32 exec_lo, exec_lo, s4
	v_or_b32_e32 v4, 0x200, v0
	s_delay_alu instid0(VALU_DEP_1)
	v_cmp_gt_u32_e64 s4, s23, v4
	v_mov_b32_e32 v4, v1
	s_and_saveexec_b32 s5, s4
	s_cbranch_execz .LBB1562_11
; %bb.10:
	flat_load_b32 v4, v0, s[36:37] offset:2048 scale_offset
.LBB1562_11:
	;; [unrolled: 11-line block ×12, first 2 shown]
	s_wait_xcnt 0x0
	s_or_b32 exec_lo, exec_lo, s15
	v_or_b32_e32 v15, 0xd00, v0
	s_delay_alu instid0(VALU_DEP_1) | instskip(SKIP_2) | instid1(SALU_CYCLE_1)
	v_cmp_gt_u32_e64 s15, s23, v15
	v_cmp_le_u32_e64 s16, s23, v15
	s_and_saveexec_b32 s38, s16
	s_xor_b32 s16, exec_lo, s38
	s_delay_alu instid0(SALU_CYCLE_1)
	s_and_not1_saveexec_b32 s16, s16
	s_cbranch_execz .LBB1562_33
; %bb.32:
	flat_load_b32 v1, v0, s[36:37] offset:13312 scale_offset
.LBB1562_33:
	s_wait_xcnt 0x0
	s_or_b32 exec_lo, exec_lo, s16
	v_lshlrev_b32_e32 v15, 2, v0
	s_mov_b32 s38, exec_lo
	s_wait_loadcnt_dscnt 0x0
	ds_store_2addr_stride64_b32 v15, v2, v3 offset1:4
	ds_store_2addr_stride64_b32 v15, v4, v5 offset0:8 offset1:12
	ds_store_2addr_stride64_b32 v15, v6, v7 offset0:16 offset1:20
	;; [unrolled: 1-line block ×6, first 2 shown]
	v_mov_b32_e32 v1, 0
	s_wait_dscnt 0x0
	s_barrier_signal -1
	s_barrier_wait -1
	flat_load_b32 v23, v1, s[36:37]
	s_wait_xcnt 0x0
	v_mad_u32_u24 v1, v0, 52, v15
	ds_load_2addr_b64 v[10:13], v1 offset1:1
	ds_load_2addr_b64 v[6:9], v1 offset0:2 offset1:3
	ds_load_2addr_b64 v[2:5], v1 offset0:4 offset1:5
	ds_load_b64 v[42:43], v1 offset:48
	v_mad_i32_i24 v1, 0xffffffcc, v0, v1
	s_wait_dscnt 0x3
	ds_store_b32 v1, v10 offset:15360
	s_wait_loadcnt_dscnt 0x0
	s_barrier_signal -1
	s_barrier_wait -1
	v_cmpx_ne_u32_e32 0xff, v0
; %bb.34:
	ds_load_b32 v23, v1 offset:15364
; %bb.35:
	s_or_b32 exec_lo, exec_lo, s38
	s_wait_dscnt 0x0
	s_barrier_signal -1
	s_barrier_wait -1
                                        ; implicit-def: $vgpr14
	s_and_saveexec_b32 s16, vcc_lo
	s_cbranch_execz .LBB1562_138
; %bb.36:
	flat_load_u16 v14, v0, s[34:35] scale_offset
	s_wait_xcnt 0x0
	s_or_b32 exec_lo, exec_lo, s16
                                        ; implicit-def: $vgpr15
	s_and_saveexec_b32 s16, s1
	s_cbranch_execnz .LBB1562_139
.LBB1562_37:
	s_or_b32 exec_lo, exec_lo, s16
                                        ; implicit-def: $vgpr16
	s_and_saveexec_b32 s1, s4
	s_cbranch_execz .LBB1562_140
.LBB1562_38:
	flat_load_u16 v16, v0, s[34:35] offset:1024 scale_offset
	s_wait_xcnt 0x0
	s_or_b32 exec_lo, exec_lo, s1
                                        ; implicit-def: $vgpr17
	s_and_saveexec_b32 s1, s5
	s_cbranch_execnz .LBB1562_141
.LBB1562_39:
	s_or_b32 exec_lo, exec_lo, s1
                                        ; implicit-def: $vgpr18
	s_and_saveexec_b32 s1, s6
	s_cbranch_execz .LBB1562_142
.LBB1562_40:
	flat_load_u16 v18, v0, s[34:35] offset:2048 scale_offset
	s_wait_xcnt 0x0
	s_or_b32 exec_lo, exec_lo, s1
                                        ; implicit-def: $vgpr19
	s_and_saveexec_b32 s1, s7
	s_cbranch_execnz .LBB1562_143
.LBB1562_41:
	s_or_b32 exec_lo, exec_lo, s1
                                        ; implicit-def: $vgpr20
	s_and_saveexec_b32 s1, s8
	s_cbranch_execz .LBB1562_144
.LBB1562_42:
	flat_load_u16 v20, v0, s[34:35] offset:3072 scale_offset
	s_wait_xcnt 0x0
	s_or_b32 exec_lo, exec_lo, s1
                                        ; implicit-def: $vgpr21
	s_and_saveexec_b32 s1, s9
	s_cbranch_execnz .LBB1562_145
.LBB1562_43:
	s_or_b32 exec_lo, exec_lo, s1
                                        ; implicit-def: $vgpr24
	s_and_saveexec_b32 s1, s10
	s_cbranch_execz .LBB1562_146
.LBB1562_44:
	flat_load_u16 v24, v0, s[34:35] offset:4096 scale_offset
	s_wait_xcnt 0x0
	s_or_b32 exec_lo, exec_lo, s1
                                        ; implicit-def: $vgpr25
	s_and_saveexec_b32 s1, s11
	s_cbranch_execnz .LBB1562_147
.LBB1562_45:
	s_or_b32 exec_lo, exec_lo, s1
                                        ; implicit-def: $vgpr26
	s_and_saveexec_b32 s1, s12
	s_cbranch_execz .LBB1562_148
.LBB1562_46:
	flat_load_u16 v26, v0, s[34:35] offset:5120 scale_offset
	s_wait_xcnt 0x0
	s_or_b32 exec_lo, exec_lo, s1
                                        ; implicit-def: $vgpr27
	s_and_saveexec_b32 s1, s13
	s_cbranch_execnz .LBB1562_149
.LBB1562_47:
	s_or_b32 exec_lo, exec_lo, s1
                                        ; implicit-def: $vgpr28
	s_and_saveexec_b32 s1, s14
	s_cbranch_execz .LBB1562_49
.LBB1562_48:
	flat_load_u16 v28, v0, s[34:35] offset:6144 scale_offset
.LBB1562_49:
	s_wait_xcnt 0x0
	s_or_b32 exec_lo, exec_lo, s1
	v_mul_u32_u24_e32 v45, 14, v0
                                        ; implicit-def: $vgpr29
	s_and_saveexec_b32 s1, s15
	s_cbranch_execz .LBB1562_51
; %bb.50:
	flat_load_u16 v29, v0, s[34:35] offset:6656 scale_offset
.LBB1562_51:
	s_wait_xcnt 0x0
	s_or_b32 exec_lo, exec_lo, s1
	v_lshlrev_b32_e32 v30, 1, v0
	v_mov_b64_e32 v[36:37], 0
	v_mov_b64_e32 v[40:41], 0
	;; [unrolled: 1-line block ×4, first 2 shown]
	v_sub_nc_u32_e32 v46, v1, v30
	v_mov_b64_e32 v[32:33], 0
	v_mov_b64_e32 v[30:31], 0
	v_mov_b32_e32 v1, 0
	s_mov_b32 s1, 0
	s_wait_loadcnt_dscnt 0x0
	ds_store_b16 v46, v14
	ds_store_b16 v46, v15 offset:512
	ds_store_b16 v46, v16 offset:1024
	;; [unrolled: 1-line block ×13, first 2 shown]
	v_mov_b64_e32 v[18:19], 0
	v_mov_b64_e32 v[20:21], 0
	;; [unrolled: 1-line block ×6, first 2 shown]
	s_mov_b32 s5, 0
	s_mov_b32 s4, exec_lo
	s_wait_dscnt 0x0
	s_barrier_signal -1
	s_barrier_wait -1
                                        ; implicit-def: $sgpr7
                                        ; implicit-def: $vgpr44
	v_cmpx_gt_u32_e64 s23, v45
	s_cbranch_execz .LBB1562_79
; %bb.52:
	v_mad_u32_u24 v1, v0, 26, v46
	v_cmp_eq_u32_e32 vcc_lo, v10, v11
	v_mov_b64_e32 v[36:37], 0
	v_mov_b64_e32 v[40:41], 0
	;; [unrolled: 1-line block ×3, first 2 shown]
	ds_load_u16 v1, v1
	v_mov_b64_e32 v[34:35], 0
	v_mov_b64_e32 v[32:33], 0
	;; [unrolled: 1-line block ×9, first 2 shown]
	v_or_b32_e32 v16, 1, v45
	s_mov_b32 s6, 0
	s_mov_b32 s5, exec_lo
                                        ; implicit-def: $sgpr7
                                        ; implicit-def: $vgpr44
	s_wait_dscnt 0x0
	v_cndmask_b32_e32 v10, s33, v1, vcc_lo
	v_cndmask_b32_e64 v1, 0x10000, 0, vcc_lo
	s_delay_alu instid0(VALU_DEP_2)
	v_and_b32_e32 v10, 0xffff, v10
	v_cmpx_gt_u32_e64 s23, v16
	s_cbranch_execz .LBB1562_78
; %bb.53:
	v_mul_u32_u24_e32 v14, 26, v0
	v_cmp_eq_u32_e32 vcc_lo, v11, v12
	v_mov_b64_e32 v[36:37], 0
	v_mov_b64_e32 v[40:41], 0
	;; [unrolled: 1-line block ×3, first 2 shown]
	v_dual_add_nc_u32 v46, v46, v14 :: v_dual_add_nc_u32 v30, 2, v45
	v_cndmask_b32_e64 v31, 0x10000, 0, vcc_lo
	v_mov_b64_e32 v[34:35], 0
	v_mov_b64_e32 v[32:33], 0
	ds_load_b128 v[14:17], v46 offset:2
	v_mov_b64_e32 v[18:19], 0
	v_mov_b64_e32 v[20:21], 0
	;; [unrolled: 1-line block ×5, first 2 shown]
	s_mov_b32 s8, 0
                                        ; implicit-def: $sgpr7
                                        ; implicit-def: $vgpr44
	s_wait_dscnt 0x0
	v_cndmask_b32_e32 v11, s33, v14, vcc_lo
	v_cmp_gt_u32_e32 vcc_lo, s23, v30
	s_delay_alu instid0(VALU_DEP_2) | instskip(NEXT) | instid1(VALU_DEP_1)
	v_and_b32_e32 v11, 0xffff, v11
	v_dual_mov_b32 v31, 0 :: v_dual_bitop2_b32 v30, v31, v11 bitop3:0x54
	s_and_saveexec_b32 s6, vcc_lo
	s_cbranch_execz .LBB1562_77
; %bb.54:
	v_dual_lshrrev_b32 v11, 16, v14 :: v_dual_add_nc_u32 v14, 3, v45
	v_cmp_eq_u32_e32 vcc_lo, v12, v13
	v_mov_b64_e32 v[36:37], 0
	v_mov_b64_e32 v[40:41], 0
	;; [unrolled: 1-line block ×4, first 2 shown]
	v_cndmask_b32_e32 v11, s33, v11, vcc_lo
	v_cndmask_b32_e64 v12, 0x10000, 0, vcc_lo
	v_mov_b64_e32 v[32:33], 0
	v_mov_b64_e32 v[18:19], 0
	v_mov_b64_e32 v[20:21], 0
	v_and_b32_e32 v11, 0xffff, v11
	v_mov_b64_e32 v[24:25], 0
	v_mov_b64_e32 v[26:27], 0
	;; [unrolled: 1-line block ×3, first 2 shown]
	s_mov_b32 s9, 0
	v_or_b32_e32 v31, v12, v11
	s_mov_b32 s8, exec_lo
                                        ; implicit-def: $sgpr7
                                        ; implicit-def: $vgpr44
	v_cmpx_gt_u32_e64 s23, v14
	s_cbranch_execz .LBB1562_76
; %bb.55:
	v_cmp_eq_u32_e32 vcc_lo, v13, v6
	v_mov_b64_e32 v[36:37], 0
	v_mov_b64_e32 v[40:41], 0
	;; [unrolled: 1-line block ×4, first 2 shown]
	v_dual_cndmask_b32 v11, s33, v15 :: v_dual_add_nc_u32 v12, 4, v45
	v_cndmask_b32_e64 v13, 0x10000, 0, vcc_lo
	v_mov_b64_e32 v[18:19], 0
	v_mov_b64_e32 v[20:21], 0
	s_delay_alu instid0(VALU_DEP_4)
	v_and_b32_e32 v11, 0xffff, v11
	v_mov_b64_e32 v[24:25], 0
	v_mov_b64_e32 v[26:27], 0
	s_mov_b32 s10, 0
	s_mov_b32 s9, exec_lo
	v_dual_mov_b32 v33, 0 :: v_dual_bitop2_b32 v32, v13, v11 bitop3:0x54
                                        ; implicit-def: $sgpr7
                                        ; implicit-def: $vgpr44
	v_cmpx_gt_u32_e64 s23, v12
	s_cbranch_execz .LBB1562_75
; %bb.56:
	v_dual_lshrrev_b32 v11, 16, v15 :: v_dual_add_nc_u32 v12, 5, v45
	v_cmp_eq_u32_e32 vcc_lo, v6, v7
	v_mov_b64_e32 v[36:37], 0
	v_mov_b64_e32 v[40:41], 0
	;; [unrolled: 1-line block ×4, first 2 shown]
	v_cndmask_b32_e32 v6, s33, v11, vcc_lo
	v_cndmask_b32_e64 v11, 0x10000, 0, vcc_lo
	v_mov_b64_e32 v[18:19], 0
	v_mov_b64_e32 v[20:21], 0
	;; [unrolled: 1-line block ×3, first 2 shown]
	v_and_b32_e32 v6, 0xffff, v6
	v_mov_b64_e32 v[26:27], 0
	s_mov_b32 s11, 0
	s_mov_b32 s10, exec_lo
                                        ; implicit-def: $sgpr7
                                        ; implicit-def: $vgpr44
	s_delay_alu instid0(VALU_DEP_2)
	v_or_b32_e32 v33, v11, v6
	v_cmpx_gt_u32_e64 s23, v12
	s_cbranch_execz .LBB1562_74
; %bb.57:
	v_cmp_eq_u32_e32 vcc_lo, v7, v8
	v_mov_b64_e32 v[36:37], 0
	v_mov_b64_e32 v[40:41], 0
	;; [unrolled: 1-line block ×4, first 2 shown]
	v_dual_cndmask_b32 v6, s33, v16 :: v_dual_add_nc_u32 v7, 6, v45
	v_cndmask_b32_e64 v11, 0x10000, 0, vcc_lo
	v_mov_b64_e32 v[20:21], 0
	v_mov_b64_e32 v[24:25], 0
	s_delay_alu instid0(VALU_DEP_4) | instskip(SKIP_2) | instid1(VALU_DEP_1)
	v_and_b32_e32 v6, 0xffff, v6
	s_mov_b32 s12, 0
	s_mov_b32 s11, exec_lo
                                        ; implicit-def: $sgpr7
                                        ; implicit-def: $vgpr44
	v_dual_mov_b32 v35, 0 :: v_dual_bitop2_b32 v34, v11, v6 bitop3:0x54
	v_cmpx_gt_u32_e64 s23, v7
	s_cbranch_execz .LBB1562_73
; %bb.58:
	v_dual_lshrrev_b32 v6, 16, v16 :: v_dual_add_nc_u32 v7, 7, v45
	v_cmp_eq_u32_e32 vcc_lo, v8, v9
	v_mov_b64_e32 v[36:37], 0
	v_mov_b64_e32 v[40:41], 0
	;; [unrolled: 1-line block ×4, first 2 shown]
	v_cndmask_b32_e32 v6, s33, v6, vcc_lo
	v_cndmask_b32_e64 v8, 0x10000, 0, vcc_lo
	v_mov_b64_e32 v[20:21], 0
	v_mov_b64_e32 v[24:25], 0
	s_mov_b32 s13, 0
	v_and_b32_e32 v6, 0xffff, v6
	s_mov_b32 s12, exec_lo
                                        ; implicit-def: $sgpr7
                                        ; implicit-def: $vgpr44
	s_delay_alu instid0(VALU_DEP_1)
	v_or_b32_e32 v35, v8, v6
	v_cmpx_gt_u32_e64 s23, v7
	s_cbranch_execz .LBB1562_72
; %bb.59:
	v_cmp_eq_u32_e32 vcc_lo, v9, v2
	v_mov_b64_e32 v[36:37], 0
	v_mov_b64_e32 v[40:41], 0
	;; [unrolled: 1-line block ×4, first 2 shown]
	v_dual_cndmask_b32 v6, s33, v17 :: v_dual_mov_b32 v39, 0
	v_cndmask_b32_e64 v8, 0x10000, 0, vcc_lo
	s_mov_b32 s14, 0
	s_mov_b32 s13, exec_lo
	s_delay_alu instid0(VALU_DEP_2) | instskip(SKIP_1) | instid1(VALU_DEP_2)
	v_and_b32_e32 v6, 0xffff, v6
	v_add_nc_u32_e32 v7, 8, v45
                                        ; implicit-def: $sgpr7
                                        ; implicit-def: $vgpr44
	v_or_b32_e32 v38, v8, v6
	s_delay_alu instid0(VALU_DEP_2)
	v_cmpx_gt_u32_e64 s23, v7
	s_cbranch_execz .LBB1562_71
; %bb.60:
	v_cmp_eq_u32_e32 vcc_lo, v2, v3
	v_mov_b64_e32 v[36:37], 0
	v_mov_b64_e32 v[40:41], 0
	;; [unrolled: 1-line block ×4, first 2 shown]
	v_cndmask_b32_e64 v7, 0x10000, 0, vcc_lo
	v_lshrrev_b32_e32 v6, 16, v17
	s_mov_b32 s15, 0
	s_mov_b32 s14, exec_lo
                                        ; implicit-def: $sgpr7
                                        ; implicit-def: $vgpr44
	s_delay_alu instid0(VALU_DEP_1) | instskip(NEXT) | instid1(VALU_DEP_1)
	v_dual_cndmask_b32 v2, s33, v6, vcc_lo :: v_dual_add_nc_u32 v6, 9, v45
	v_and_b32_e32 v2, 0xffff, v2
	s_delay_alu instid0(VALU_DEP_1) | instskip(NEXT) | instid1(VALU_DEP_3)
	v_or_b32_e32 v39, v7, v2
	v_cmpx_gt_u32_e64 s23, v6
	s_cbranch_execz .LBB1562_70
; %bb.61:
	ds_load_b64 v[6:7], v46 offset:18
	v_cmp_eq_u32_e32 vcc_lo, v3, v4
	v_mov_b64_e32 v[36:37], 0
	v_mov_b64_e32 v[18:19], 0
	s_mov_b32 s16, 0
	s_mov_b32 s15, exec_lo
	v_cndmask_b32_e64 v8, 0x10000, 0, vcc_lo
                                        ; implicit-def: $sgpr7
                                        ; implicit-def: $vgpr44
	v_dual_add_nc_u32 v3, 10, v45 :: v_dual_mov_b32 v41, 0
	s_wait_dscnt 0x0
	v_cndmask_b32_e32 v2, s33, v6, vcc_lo
	s_delay_alu instid0(VALU_DEP_1) | instskip(NEXT) | instid1(VALU_DEP_1)
	v_and_b32_e32 v2, 0xffff, v2
	v_or_b32_e32 v40, v8, v2
	v_cmpx_gt_u32_e64 s23, v3
	s_cbranch_execz .LBB1562_69
; %bb.62:
	v_lshrrev_b32_e32 v2, 16, v6
	v_cmp_eq_u32_e32 vcc_lo, v4, v5
	v_add_nc_u32_e32 v4, 11, v45
	v_mov_b64_e32 v[36:37], 0
	s_mov_b32 s38, 0
	s_mov_b32 s16, exec_lo
	v_cndmask_b32_e32 v2, s33, v2, vcc_lo
	v_cndmask_b32_e64 v3, 0x10000, 0, vcc_lo
                                        ; implicit-def: $sgpr7
                                        ; implicit-def: $vgpr44
	s_delay_alu instid0(VALU_DEP_2) | instskip(NEXT) | instid1(VALU_DEP_1)
	v_and_b32_e32 v2, 0xffff, v2
	v_or_b32_e32 v41, v3, v2
	v_cmpx_gt_u32_e64 s23, v4
	s_cbranch_execz .LBB1562_68
; %bb.63:
	v_cmp_eq_u32_e32 vcc_lo, v5, v42
	s_mov_b32 s39, 0
	s_mov_b32 s38, exec_lo
                                        ; implicit-def: $sgpr7
                                        ; implicit-def: $vgpr44
	v_dual_add_nc_u32 v3, 12, v45 :: v_dual_mov_b32 v37, 0
	v_cndmask_b32_e32 v2, s33, v7, vcc_lo
	v_cndmask_b32_e64 v4, 0x10000, 0, vcc_lo
	s_delay_alu instid0(VALU_DEP_2) | instskip(NEXT) | instid1(VALU_DEP_1)
	v_and_b32_e32 v2, 0xffff, v2
	v_or_b32_e32 v36, v4, v2
	v_cmpx_gt_u32_e64 s23, v3
	s_cbranch_execz .LBB1562_67
; %bb.64:
	v_dual_lshrrev_b32 v2, 16, v7 :: v_dual_add_nc_u32 v4, 13, v45
	v_cmp_eq_u32_e32 vcc_lo, v42, v43
                                        ; implicit-def: $sgpr7
                                        ; implicit-def: $vgpr44
	s_delay_alu instid0(VALU_DEP_2) | instskip(SKIP_1) | instid1(VALU_DEP_4)
	v_cndmask_b32_e32 v2, s33, v2, vcc_lo
	v_cndmask_b32_e64 v3, 0x10000, 0, vcc_lo
	v_cmp_gt_u32_e32 vcc_lo, s23, v4
	s_mov_b32 s23, 0
	s_delay_alu instid0(VALU_DEP_3) | instskip(NEXT) | instid1(VALU_DEP_1)
	v_and_b32_e32 v2, 0xffff, v2
	v_or_b32_e32 v37, v3, v2
	s_and_saveexec_b32 s39, vcc_lo
	s_delay_alu instid0(SALU_CYCLE_1)
	s_xor_b32 s39, exec_lo, s39
	s_cbranch_execz .LBB1562_66
; %bb.65:
	ds_load_u16 v2, v46 offset:26
	v_cmp_ne_u32_e64 s7, v43, v23
	s_mov_b32 s23, exec_lo
	s_wait_dscnt 0x0
	v_cndmask_b32_e64 v44, v2, s33, s7
.LBB1562_66:
	s_or_b32 exec_lo, exec_lo, s39
	s_delay_alu instid0(SALU_CYCLE_1)
	s_and_b32 s39, s23, exec_lo
.LBB1562_67:
	s_or_b32 exec_lo, exec_lo, s38
	s_delay_alu instid0(SALU_CYCLE_1)
	s_and_b32 s38, s39, exec_lo
.LBB1562_68:
	s_or_b32 exec_lo, exec_lo, s16
	v_mov_b64_e32 v[18:19], v[36:37]
	s_and_b32 s16, s38, exec_lo
.LBB1562_69:
	s_or_b32 exec_lo, exec_lo, s15
	s_delay_alu instid0(VALU_DEP_2)
	v_mov_b64_e32 v[20:21], v[40:41]
	s_and_b32 s15, s16, exec_lo
.LBB1562_70:
	s_or_b32 exec_lo, exec_lo, s14
	s_delay_alu instid0(SALU_CYCLE_1)
	s_and_b32 s14, s15, exec_lo
.LBB1562_71:
	s_or_b32 exec_lo, exec_lo, s13
	s_delay_alu instid0(VALU_DEP_2)
	v_mov_b64_e32 v[24:25], v[38:39]
	s_and_b32 s13, s14, exec_lo
.LBB1562_72:
	s_or_b32 exec_lo, exec_lo, s12
	s_delay_alu instid0(SALU_CYCLE_1)
	s_and_b32 s12, s13, exec_lo
.LBB1562_73:
	s_or_b32 exec_lo, exec_lo, s11
	s_delay_alu instid0(VALU_DEP_2)
	v_mov_b64_e32 v[26:27], v[34:35]
	s_and_b32 s11, s12, exec_lo
.LBB1562_74:
	s_or_b32 exec_lo, exec_lo, s10
	s_delay_alu instid0(SALU_CYCLE_1)
	s_and_b32 s10, s11, exec_lo
.LBB1562_75:
	s_or_b32 exec_lo, exec_lo, s9
	s_delay_alu instid0(VALU_DEP_2)
	v_mov_b64_e32 v[28:29], v[32:33]
	s_and_b32 s9, s10, exec_lo
.LBB1562_76:
	s_or_b32 exec_lo, exec_lo, s8
	s_delay_alu instid0(SALU_CYCLE_1)
	s_and_b32 s8, s9, exec_lo
.LBB1562_77:
	s_or_b32 exec_lo, exec_lo, s6
	s_delay_alu instid0(VALU_DEP_1)
	v_mov_b64_e32 v[14:15], v[30:31]
	s_and_b32 s6, s8, exec_lo
.LBB1562_78:
	s_or_b32 exec_lo, exec_lo, s5
	s_delay_alu instid0(VALU_DEP_2)
	v_or_b32_e32 v1, v1, v10
	s_and_b32 s5, s6, exec_lo
.LBB1562_79:
	s_or_b32 exec_lo, exec_lo, s4
	s_delay_alu instid0(SALU_CYCLE_1)
	s_and_b32 vcc_lo, exec_lo, s1
	s_cbranch_vccnz .LBB1562_81
	s_branch .LBB1562_86
.LBB1562_80:
                                        ; implicit-def: $sgpr7
                                        ; implicit-def: $vgpr36_vgpr37
                                        ; implicit-def: $vgpr40_vgpr41
                                        ; implicit-def: $vgpr38_vgpr39
                                        ; implicit-def: $vgpr34_vgpr35
                                        ; implicit-def: $vgpr32_vgpr33
                                        ; implicit-def: $vgpr30_vgpr31
                                        ; implicit-def: $vgpr44
                                        ; implicit-def: $vgpr1
                                        ; implicit-def: $vgpr18_vgpr19
                                        ; implicit-def: $vgpr20_vgpr21
                                        ; implicit-def: $vgpr24_vgpr25
                                        ; implicit-def: $vgpr26_vgpr27
                                        ; implicit-def: $vgpr28_vgpr29
                                        ; implicit-def: $vgpr14_vgpr15
	s_cbranch_execz .LBB1562_86
.LBB1562_81:
	s_clause 0xd
	flat_load_b32 v1, v0, s[36:37] scale_offset
	flat_load_b32 v2, v0, s[36:37] offset:1024 scale_offset
	flat_load_b32 v3, v0, s[36:37] offset:2048 scale_offset
	;; [unrolled: 1-line block ×13, first 2 shown]
	v_dual_mov_b32 v16, 0 :: v_dual_lshlrev_b32 v15, 2, v0
	s_mov_b32 s1, exec_lo
	s_wait_loadcnt_dscnt 0xc0c
	ds_store_2addr_stride64_b32 v15, v1, v2 offset1:4
	s_wait_loadcnt_dscnt 0xa0b
	ds_store_2addr_stride64_b32 v15, v3, v4 offset0:8 offset1:12
	s_wait_loadcnt_dscnt 0x80a
	ds_store_2addr_stride64_b32 v15, v5, v6 offset0:16 offset1:20
	;; [unrolled: 2-line block ×6, first 2 shown]
	s_wait_dscnt 0x0
	s_barrier_signal -1
	s_barrier_wait -1
	flat_load_b32 v23, v16, s[36:37] offset:14336
	v_mad_u32_u24 v14, v0, 52, v15
	ds_load_b32 v1, v14
	ds_load_2addr_b32 v[20:21], v14 offset0:1 offset1:2
	ds_load_2addr_b64 v[6:9], v14 offset0:1 offset1:2
	ds_load_2addr_b64 v[10:13], v14 offset0:3 offset1:4
	;; [unrolled: 1-line block ×3, first 2 shown]
	v_mad_i32_i24 v14, 0xffffffcc, v0, v14
	s_wait_dscnt 0x4
	ds_store_b32 v14, v1 offset:15360
	s_wait_loadcnt_dscnt 0x0
	s_barrier_signal -1
	s_barrier_wait -1
	v_cmpx_ne_u32_e32 0xff, v0
; %bb.82:
	ds_load_b32 v23, v14 offset:15364
; %bb.83:
	s_or_b32 exec_lo, exec_lo, s1
	s_wait_dscnt 0x0
	s_barrier_signal -1
	s_barrier_wait -1
	s_clause 0xd
	flat_load_u16 v15, v0, s[34:35] scale_offset
	flat_load_u16 v16, v0, s[34:35] offset:512 scale_offset
	flat_load_u16 v17, v0, s[34:35] offset:1024 scale_offset
	;; [unrolled: 1-line block ×13, first 2 shown]
	v_lshlrev_b32_e32 v26, 1, v0
	v_cmp_eq_u32_e32 vcc_lo, v1, v20
	s_delay_alu instid0(VALU_DEP_2)
	v_dual_mov_b32 v1, 0x10000 :: v_dual_sub_nc_u32 v26, v14, v26
	s_wait_loadcnt_dscnt 0xd0d
	ds_store_b16 v26, v15
	s_wait_loadcnt_dscnt 0xc0d
	ds_store_b16 v26, v16 offset:512
	s_wait_loadcnt_dscnt 0xb0d
	ds_store_b16 v26, v17 offset:1024
	;; [unrolled: 2-line block ×13, first 2 shown]
	v_mov_b32_e32 v25, s33
	v_mad_u32_u24 v34, v0, 26, v26
	s_wait_dscnt 0x0
	s_barrier_signal -1
	s_barrier_wait -1
	ds_load_b128 v[14:17], v34 offset:2
	ds_load_b64 v[18:19], v34 offset:18
	ds_load_u16 v24, v34 offset:26
	s_and_saveexec_b32 s1, vcc_lo
	s_cbranch_execz .LBB1562_85
; %bb.84:
	v_mul_u32_u24_e32 v1, 26, v0
	s_delay_alu instid0(VALU_DEP_1)
	v_add_nc_u32_e32 v1, v26, v1
	ds_load_u16 v25, v1
	v_mov_b32_e32 v1, 0
.LBB1562_85:
	s_or_b32 exec_lo, exec_lo, s1
	v_cmp_eq_u32_e32 vcc_lo, v20, v6
	s_wait_dscnt 0x2
	v_lshrrev_b32_e32 v6, 16, v14
	v_cmp_eq_u32_e64 s1, v21, v7
	v_cmp_eq_u32_e64 s4, v7, v8
	v_lshrrev_b32_e32 v7, 16, v15
	v_cmp_eq_u32_e64 s8, v13, v2
	v_cmp_eq_u32_e64 s9, v2, v3
	;; [unrolled: 1-line block ×3, first 2 shown]
	s_wait_dscnt 0x1
	v_dual_cndmask_b32 v2, s33, v6, s1 :: v_dual_lshrrev_b32 v20, 16, v19
	v_cndmask_b32_e32 v3, s33, v14, vcc_lo
	v_cmp_eq_u32_e64 s5, v8, v9
	v_cmp_eq_u32_e64 s7, v12, v13
	s_wait_dscnt 0x0
	v_and_b32_e32 v6, 0xffff, v25
	v_cndmask_b32_e64 v13, 0x10000, 0, s1
	v_cndmask_b32_e64 v14, 0x10000, 0, vcc_lo
	v_and_b32_e32 v2, 0xffff, v2
	v_cmp_eq_u32_e32 vcc_lo, v4, v5
	v_lshrrev_b32_e32 v4, 16, v16
	v_and_b32_e32 v3, 0xffff, v3
	v_or_b32_e32 v1, v1, v6
	v_dual_cndmask_b32 v2, s33, v7, s5 :: v_dual_bitop2_b32 v31, v13, v2 bitop3:0x54
	v_cndmask_b32_e64 v7, 0x10000, 0, s4
	v_cmp_eq_u32_e64 s1, v10, v11
	v_or_b32_e32 v30, v14, v3
	v_cndmask_b32_e64 v3, s33, v15, s4
	v_cmp_eq_u32_e64 s4, v9, v10
	v_lshrrev_b32_e32 v8, 16, v17
	v_cndmask_b32_e64 v6, 0x10000, 0, s5
	v_and_b32_e32 v2, 0xffff, v2
	v_and_b32_e32 v3, 0xffff, v3
	v_cndmask_b32_e64 v9, s33, v16, s4
	v_cmp_eq_u32_e64 s6, v11, v12
	v_dual_lshrrev_b32 v12, 16, v18 :: v_dual_cndmask_b32 v4, s33, v4, s1
	v_or_b32_e32 v33, v6, v2
	v_cndmask_b32_e64 v2, 0x10000, 0, s4
	v_and_b32_e32 v6, 0xffff, v9
	v_dual_cndmask_b32 v3, s33, v8, s7 :: v_dual_bitop2_b32 v32, v7, v3 bitop3:0x54
	v_cndmask_b32_e64 v10, 0x10000, 0, s1
	v_and_b32_e32 v4, 0xffff, v4
	s_delay_alu instid0(VALU_DEP_4) | instskip(SKIP_2) | instid1(VALU_DEP_4)
	v_dual_cndmask_b32 v7, s33, v12, s9 :: v_dual_bitop2_b32 v34, v2, v6 bitop3:0x54
	v_cndmask_b32_e64 v2, 0x10000, 0, s7
	v_and_b32_e32 v3, 0xffff, v3
	v_dual_cndmask_b32 v8, s33, v18, s8 :: v_dual_bitop2_b32 v35, v10, v4 bitop3:0x54
	v_cndmask_b32_e64 v4, s33, v17, s6
	v_cndmask_b32_e64 v9, 0x10000, 0, s9
	;; [unrolled: 1-line block ×3, first 2 shown]
	v_and_b32_e32 v7, 0xffff, v7
	v_dual_cndmask_b32 v11, s33, v20, vcc_lo :: v_dual_bitop2_b32 v39, v2, v3 bitop3:0x54
	v_and_b32_e32 v8, 0xffff, v8
	v_cndmask_b32_e64 v12, s33, v19, s10
	v_cndmask_b32_e64 v6, 0x10000, 0, s6
	v_and_b32_e32 v4, 0xffff, v4
	v_cndmask_b32_e64 v13, 0x10000, 0, vcc_lo
	v_cndmask_b32_e64 v14, 0x10000, 0, s10
	v_or_b32_e32 v41, v9, v7
	v_and_b32_e32 v11, 0xffff, v11
	v_or_b32_e32 v40, v10, v8
	v_and_b32_e32 v12, 0xffff, v12
	v_or_b32_e32 v38, v6, v4
	v_cmp_ne_u32_e64 s7, v5, v23
	v_or_b32_e32 v37, v13, v11
	v_mov_b64_e32 v[20:21], v[40:41]
	v_or_b32_e32 v36, v14, v12
	v_mov_b64_e32 v[26:27], v[34:35]
	v_cndmask_b32_e64 v44, v24, s33, s7
	v_mov_b64_e32 v[24:25], v[38:39]
	v_mov_b64_e32 v[28:29], v[32:33]
	;; [unrolled: 1-line block ×4, first 2 shown]
	s_mov_b32 s5, -1
.LBB1562_86:
	v_mov_b32_e32 v10, 0
	s_and_saveexec_b32 s1, s5
	s_cbranch_execz .LBB1562_88
; %bb.87:
	v_and_b32_e32 v2, 0xffff, v44
	v_cndmask_b32_e64 v3, 0, 0x10000, s7
	v_mov_b64_e32 v[14:15], v[30:31]
	v_mov_b64_e32 v[28:29], v[32:33]
	;; [unrolled: 1-line block ×6, first 2 shown]
	v_or_b32_e32 v10, v3, v2
.LBB1562_88:
	s_or_b32 exec_lo, exec_lo, s1
	v_cmp_ne_u32_e32 vcc_lo, 0, v22
	v_cmp_gt_u32_e64 s14, 0x10000, v14
	v_cmp_gt_u32_e64 s13, 0x10000, v15
	;; [unrolled: 1-line block ×8, first 2 shown]
	v_dual_lshrrev_b32 v12, 3, v0 :: v_dual_bitop2_b32 v16, v24, v25 bitop3:0x54
	v_cmp_gt_u32_e64 s7, 0x10000, v20
	v_cmp_gt_u32_e64 s5, 0x10000, v21
	;; [unrolled: 1-line block ×4, first 2 shown]
	v_or3_b32 v13, v18, v19, v21
	v_cmp_gt_u32_e64 s16, 0x10000, v10
	v_lshrrev_b32_e32 v11, 16, v1
	v_cmp_gt_u32_e64 s15, 32, v0
	s_barrier_signal -1
	s_barrier_wait -1
	s_cbranch_vccz .LBB1562_150
; %bb.89:
	v_or3_b32 v3, v16, v27, v26
	v_dual_cndmask_b32 v2, 0, v1, s14 :: v_dual_bitop2_b32 v5, 28, v12 bitop3:0x40
	v_or3_b32 v4, v13, v20, v10
	s_delay_alu instid0(VALU_DEP_3) | instskip(NEXT) | instid1(VALU_DEP_3)
	v_or3_b32 v3, v3, v29, v28
	v_add_nc_u16 v2, v2, v14
	s_delay_alu instid0(VALU_DEP_2) | instskip(NEXT) | instid1(VALU_DEP_1)
	v_or3_b32 v3, v3, v15, v14
	v_bitop3_b32 v3, v4, 0xff0000, v3 bitop3:0xc8
	v_lshl_add_u32 v4, v0, 2, v5
	s_delay_alu instid0(VALU_DEP_2) | instskip(SKIP_1) | instid1(VALU_DEP_1)
	v_cmp_eq_u32_e32 vcc_lo, 0, v3
	v_dual_cndmask_b32 v2, 0, v2, s13 :: v_dual_cndmask_b32 v23, 1, v11, vcc_lo
	v_add_nc_u16 v2, v2, v15
	s_delay_alu instid0(VALU_DEP_1) | instskip(NEXT) | instid1(VALU_DEP_1)
	v_cndmask_b32_e64 v2, 0, v2, s12
	v_add_nc_u16 v2, v2, v28
	s_delay_alu instid0(VALU_DEP_1) | instskip(NEXT) | instid1(VALU_DEP_1)
	v_cndmask_b32_e64 v2, 0, v2, s11
	;; [unrolled: 3-line block ×11, first 2 shown]
	v_add_nc_u16 v17, v2, v10
	ds_store_b16 v4, v17
	ds_store_b8 v4, v23 offset:2
	s_wait_dscnt 0x0
	s_barrier_signal -1
	s_barrier_wait -1
	s_and_saveexec_b32 s16, s15
	s_cbranch_execz .LBB1562_101
; %bb.90:
	v_and_b32_e32 v2, 0xfc, v0
	v_lshlrev_b32_e32 v3, 5, v0
	s_mov_b32 s23, exec_lo
	s_delay_alu instid0(VALU_DEP_1)
	v_add_nc_u32_e32 v2, v2, v3
	ds_load_u8 v4, v2 offset:6
	ds_load_b32 v3, v2
	ds_load_u16 v5, v2 offset:4
	ds_load_u8 v6, v2 offset:10
	ds_load_u16 v7, v2 offset:8
	ds_load_u16 v8, v2 offset:12
	ds_load_u8 v9, v2 offset:14
	ds_load_u16 v30, v2 offset:16
	s_wait_dscnt 0x7
	v_cmp_eq_u16_e32 vcc_lo, 0, v4
	s_wait_dscnt 0x4
	v_dual_cndmask_b32 v31, 0, v3, vcc_lo :: v_dual_bitop2_b32 v4, v6, v4 bitop3:0x54
	v_cmp_eq_u16_e32 vcc_lo, 0, v6
	s_delay_alu instid0(VALU_DEP_2) | instskip(SKIP_4) | instid1(VALU_DEP_2)
	v_add_nc_u16 v5, v31, v5
	ds_load_u8 v31, v2 offset:18
	v_cndmask_b32_e32 v5, 0, v5, vcc_lo
	s_wait_dscnt 0x2
	v_cmp_eq_u16_e32 vcc_lo, 0, v9
	v_add_nc_u16 v5, v5, v7
	ds_load_u8 v7, v2 offset:22
	v_cndmask_b32_e32 v5, 0, v5, vcc_lo
	s_delay_alu instid0(VALU_DEP_1)
	v_add_nc_u16 v5, v5, v8
	ds_load_u16 v8, v2 offset:20
	ds_load_u16 v32, v2 offset:24
	ds_load_u8 v33, v2 offset:26
	ds_load_u16 v34, v2 offset:28
	ds_load_u8 v35, v2 offset:30
	s_wait_dscnt 0x6
	v_cmp_eq_u16_e32 vcc_lo, 0, v31
	v_bitop3_b16 v6, v4, v31, v9 bitop3:0xfe
	v_and_b32_e32 v4, 0x10000, v3
	v_cndmask_b32_e32 v5, 0, v5, vcc_lo
	s_wait_dscnt 0x5
	v_cmp_eq_u16_e32 vcc_lo, 0, v7
	s_wait_dscnt 0x2
	v_bitop3_b16 v6, v6, v33, v7 bitop3:0xfe
	s_wait_dscnt 0x0
	v_and_b32_e32 v7, 1, v35
	v_add_nc_u16 v5, v5, v30
	s_delay_alu instid0(VALU_DEP_1) | instskip(SKIP_1) | instid1(VALU_DEP_2)
	v_cndmask_b32_e32 v5, 0, v5, vcc_lo
	v_cmp_eq_u16_e32 vcc_lo, 0, v33
	v_add_nc_u16 v5, v5, v8
	s_delay_alu instid0(VALU_DEP_1) | instskip(SKIP_1) | instid1(VALU_DEP_2)
	v_cndmask_b32_e32 v5, 0, v5, vcc_lo
	v_cmp_eq_u16_e32 vcc_lo, 0, v35
	;; [unrolled: 4-line block ×3, first 2 shown]
	v_add_nc_u16 v6, v5, v34
	v_cndmask_b32_e32 v8, 0x10000, v4, vcc_lo
	v_cmp_eq_u32_e32 vcc_lo, 1, v7
	v_and_b32_e32 v5, 0xff000000, v3
	v_mbcnt_lo_u32_b32 v7, -1, 0
	v_and_b32_e32 v9, 0xffff, v6
	v_cndmask_b32_e64 v8, v8, 0x10000, vcc_lo
	s_delay_alu instid0(VALU_DEP_1) | instskip(NEXT) | instid1(VALU_DEP_3)
	v_or_b32_e32 v30, v8, v5
	v_or3_b32 v31, v5, v9, v8
	s_delay_alu instid0(VALU_DEP_2) | instskip(NEXT) | instid1(VALU_DEP_2)
	v_dual_lshrrev_b32 v9, 16, v30 :: v_dual_bitop2_b32 v8, 15, v7 bitop3:0x40
	v_mov_b32_dpp v32, v31 row_shr:1 row_mask:0xf bank_mask:0xf
	s_delay_alu instid0(VALU_DEP_2)
	v_cmpx_ne_u32_e32 0, v8
	s_cbranch_execz .LBB1562_92
; %bb.91:
	s_delay_alu instid0(VALU_DEP_2) | instskip(SKIP_1) | instid1(VALU_DEP_2)
	v_dual_lshrrev_b32 v9, 16, v30 :: v_dual_lshrrev_b32 v31, 16, v32
	v_and_b32_e32 v30, 0x10000, v30
	v_and_b32_e32 v9, 0xff, v9
	s_delay_alu instid0(VALU_DEP_1) | instskip(NEXT) | instid1(VALU_DEP_4)
	v_cmp_eq_u16_e32 vcc_lo, 0, v9
	v_dual_cndmask_b32 v32, 0, v32, vcc_lo :: v_dual_bitop2_b32 v31, 1, v31 bitop3:0x40
	s_delay_alu instid0(VALU_DEP_4) | instskip(NEXT) | instid1(VALU_DEP_2)
	v_cmp_ne_u32_e32 vcc_lo, 0, v30
	v_add_nc_u16 v6, v32, v6
	s_delay_alu instid0(VALU_DEP_3) | instskip(NEXT) | instid1(VALU_DEP_2)
	v_cndmask_b32_e64 v9, v31, 1, vcc_lo
	v_and_b32_e32 v31, 0xffff, v6
	s_delay_alu instid0(VALU_DEP_2) | instskip(NEXT) | instid1(VALU_DEP_1)
	v_lshlrev_b32_e32 v30, 16, v9
	v_or3_b32 v31, v30, v31, v5
.LBB1562_92:
	s_or_b32 exec_lo, exec_lo, s23
	s_delay_alu instid0(VALU_DEP_1)
	v_lshrrev_b32_e32 v30, 16, v31
	v_mov_b32_dpp v32, v31 row_shr:2 row_mask:0xf bank_mask:0xf
	s_mov_b32 s23, exec_lo
	v_cmpx_lt_u32_e32 1, v8
	s_cbranch_execz .LBB1562_94
; %bb.93:
	v_and_b32_e32 v30, 0xff, v30
	v_and_b32_e32 v31, 0x10000, v31
	s_delay_alu instid0(VALU_DEP_2) | instskip(SKIP_1) | instid1(VALU_DEP_1)
	v_cmp_eq_u16_e32 vcc_lo, 0, v30
	v_dual_cndmask_b32 v30, 0, v32 :: v_dual_lshrrev_b32 v9, 16, v32
	v_and_b32_e32 v9, 1, v9
	s_delay_alu instid0(VALU_DEP_4) | instskip(NEXT) | instid1(VALU_DEP_3)
	v_cmp_ne_u32_e32 vcc_lo, 0, v31
	v_add_nc_u16 v6, v30, v6
	s_delay_alu instid0(VALU_DEP_3) | instskip(NEXT) | instid1(VALU_DEP_2)
	v_cndmask_b32_e64 v9, v9, 1, vcc_lo
	v_and_b32_e32 v31, 0xffff, v6
	s_delay_alu instid0(VALU_DEP_2) | instskip(NEXT) | instid1(VALU_DEP_1)
	v_lshlrev_b32_e32 v30, 16, v9
	v_or3_b32 v31, v30, v31, v5
	v_mov_b32_e32 v30, v9
.LBB1562_94:
	s_or_b32 exec_lo, exec_lo, s23
	s_delay_alu instid0(VALU_DEP_2)
	v_mov_b32_dpp v32, v31 row_shr:4 row_mask:0xf bank_mask:0xf
	s_mov_b32 s23, exec_lo
	v_cmpx_lt_u32_e32 3, v8
	s_cbranch_execz .LBB1562_96
; %bb.95:
	v_and_b32_e32 v31, 0xff, v30
	v_dual_lshrrev_b32 v9, 16, v32 :: v_dual_bitop2_b32 v30, 1, v30 bitop3:0x40
	s_delay_alu instid0(VALU_DEP_2) | instskip(NEXT) | instid1(VALU_DEP_2)
	v_cmp_eq_u16_e32 vcc_lo, 0, v31
	v_dual_cndmask_b32 v31, 0, v32, vcc_lo :: v_dual_bitop2_b32 v9, 1, v9 bitop3:0x40
	s_delay_alu instid0(VALU_DEP_3) | instskip(NEXT) | instid1(VALU_DEP_2)
	v_cmp_eq_u32_e32 vcc_lo, 1, v30
	v_add_nc_u16 v6, v31, v6
	s_delay_alu instid0(VALU_DEP_3) | instskip(NEXT) | instid1(VALU_DEP_2)
	v_cndmask_b32_e64 v9, v9, 1, vcc_lo
	v_and_b32_e32 v31, 0xffff, v6
	s_delay_alu instid0(VALU_DEP_2) | instskip(NEXT) | instid1(VALU_DEP_1)
	v_lshlrev_b32_e32 v30, 16, v9
	v_or3_b32 v31, v30, v31, v5
	v_mov_b32_e32 v30, v9
.LBB1562_96:
	s_or_b32 exec_lo, exec_lo, s23
	s_delay_alu instid0(VALU_DEP_2)
	v_mov_b32_dpp v32, v31 row_shr:8 row_mask:0xf bank_mask:0xf
	s_mov_b32 s23, exec_lo
	v_cmpx_lt_u32_e32 7, v8
	s_cbranch_execz .LBB1562_98
; %bb.97:
	v_and_b32_e32 v9, 0xff, v30
	v_dual_lshrrev_b32 v8, 16, v32 :: v_dual_bitop2_b32 v30, 1, v30 bitop3:0x40
	s_delay_alu instid0(VALU_DEP_2) | instskip(NEXT) | instid1(VALU_DEP_2)
	v_cmp_eq_u16_e32 vcc_lo, 0, v9
	v_and_b32_e32 v8, 1, v8
	v_cndmask_b32_e32 v31, 0, v32, vcc_lo
	s_delay_alu instid0(VALU_DEP_4) | instskip(NEXT) | instid1(VALU_DEP_3)
	v_cmp_eq_u32_e32 vcc_lo, 1, v30
	v_cndmask_b32_e64 v9, v8, 1, vcc_lo
	s_delay_alu instid0(VALU_DEP_1) | instskip(NEXT) | instid1(VALU_DEP_4)
	v_lshlrev_b32_e32 v8, 16, v9
	v_add_nc_u16 v6, v31, v6
	s_delay_alu instid0(VALU_DEP_1) | instskip(NEXT) | instid1(VALU_DEP_1)
	v_and_b32_e32 v30, 0xffff, v6
	v_or3_b32 v31, v8, v30, v5
	v_mov_b32_e32 v30, v9
.LBB1562_98:
	s_or_b32 exec_lo, exec_lo, s23
	ds_swizzle_b32 v8, v31 offset:swizzle(BROADCAST,32,15)
	v_and_b32_e32 v31, 16, v7
	s_mov_b32 s23, exec_lo
	s_delay_alu instid0(VALU_DEP_1)
	v_cmpx_ne_u32_e32 0, v31
	s_cbranch_execz .LBB1562_100
; %bb.99:
	v_and_b32_e32 v9, 0xff, v30
	s_delay_alu instid0(VALU_DEP_1) | instskip(SKIP_2) | instid1(VALU_DEP_1)
	v_cmp_eq_u16_e32 vcc_lo, 0, v9
	s_wait_dscnt 0x0
	v_dual_lshrrev_b32 v31, 16, v8 :: v_dual_bitop2_b32 v9, 1, v30 bitop3:0x40
	v_dual_cndmask_b32 v8, 0, v8, vcc_lo :: v_dual_bitop2_b32 v30, 1, v31 bitop3:0x40
	s_delay_alu instid0(VALU_DEP_2) | instskip(NEXT) | instid1(VALU_DEP_2)
	v_cmp_eq_u32_e32 vcc_lo, 1, v9
	v_add_nc_u16 v6, v8, v6
	s_delay_alu instid0(VALU_DEP_3)
	v_cndmask_b32_e64 v9, v30, 1, vcc_lo
.LBB1562_100:
	s_or_b32 exec_lo, exec_lo, s23
	s_wait_dscnt 0x0
	s_delay_alu instid0(VALU_DEP_1) | instskip(SKIP_2) | instid1(VALU_DEP_3)
	v_and_b32_e32 v8, 0xff, v9
	v_add_nc_u32_e32 v9, -1, v7
	v_and_b32_e32 v6, 0xffff, v6
	; wave barrier
	v_lshlrev_b32_e32 v8, 16, v8
	s_delay_alu instid0(VALU_DEP_3) | instskip(NEXT) | instid1(VALU_DEP_2)
	v_cmp_gt_i32_e32 vcc_lo, 0, v9
	v_or3_b32 v5, v8, v6, v5
	v_cndmask_b32_e32 v7, v9, v7, vcc_lo
	s_delay_alu instid0(VALU_DEP_1) | instskip(SKIP_2) | instid1(VALU_DEP_1)
	v_lshlrev_b32_e32 v6, 2, v7
	ds_bpermute_b32 v5, v6, v5
	v_and_b32_e32 v6, 0xff0000, v3
	v_cmp_eq_u32_e32 vcc_lo, 0, v6
	s_wait_dscnt 0x0
	v_dual_lshrrev_b32 v7, 16, v5 :: v_dual_cndmask_b32 v5, 0, v5, vcc_lo
	v_cmp_eq_u32_e32 vcc_lo, 0, v4
	s_delay_alu instid0(VALU_DEP_2) | instskip(NEXT) | instid1(VALU_DEP_1)
	v_add_nc_u16 v3, v5, v3
	v_dual_cndmask_b32 v3, v3, v17, s2 :: v_dual_bitop2_b32 v6, 1, v7 bitop3:0x40
	s_delay_alu instid0(VALU_DEP_1) | instskip(NEXT) | instid1(VALU_DEP_1)
	v_cndmask_b32_e32 v4, 1, v6, vcc_lo
	v_cndmask_b32_e64 v4, v4, v23, s2
	ds_store_b16 v2, v3
	ds_store_b8 v2, v4 offset:2
	; wave barrier
	ds_load_u8 v5, v2 offset:6
	ds_load_u16 v6, v2 offset:4
	ds_load_u8 v7, v2 offset:10
	ds_load_u16 v8, v2 offset:8
	ds_load_u16 v9, v2 offset:12
	ds_load_u8 v30, v2 offset:14
	ds_load_u16 v31, v2 offset:16
	ds_load_u8 v32, v2 offset:18
	s_wait_dscnt 0x7
	v_cmp_eq_u16_e32 vcc_lo, 0, v5
	v_dual_cndmask_b32 v3, 0, v3, vcc_lo :: v_dual_bitop2_b32 v5, 1, v5 bitop3:0x40
	s_wait_dscnt 0x5
	v_cmp_eq_u16_e32 vcc_lo, 0, v7
	v_and_b32_e32 v7, 1, v7
	s_delay_alu instid0(VALU_DEP_3) | instskip(NEXT) | instid1(VALU_DEP_1)
	v_add_nc_u16 v3, v3, v6
	v_cndmask_b32_e32 v6, 0, v3, vcc_lo
	s_wait_dscnt 0x2
	v_cmp_eq_u16_e32 vcc_lo, 0, v30
	s_delay_alu instid0(VALU_DEP_2)
	v_add_nc_u16 v6, v6, v8
	ds_load_u8 v8, v2 offset:22
	ds_load_u16 v34, v2 offset:20
	ds_load_u8 v35, v2 offset:26
	ds_load_u8 v36, v2 offset:30
	v_cndmask_b32_e32 v33, 0, v6, vcc_lo
	v_cmp_eq_u32_e32 vcc_lo, 1, v5
	v_and_b32_e32 v5, 1, v30
	s_delay_alu instid0(VALU_DEP_3)
	v_add_nc_u16 v9, v33, v9
	v_cndmask_b32_e64 v4, v4, 1, vcc_lo
	s_wait_dscnt 0x4
	v_cmp_eq_u16_e32 vcc_lo, 0, v32
	ds_load_u16 v33, v2 offset:24
	ds_load_u16 v37, v2 offset:28
	v_cndmask_b32_e32 v30, 0, v9, vcc_lo
	v_cmp_eq_u32_e32 vcc_lo, 1, v7
	s_delay_alu instid0(VALU_DEP_2) | instskip(SKIP_3) | instid1(VALU_DEP_3)
	v_add_nc_u16 v30, v30, v31
	v_cndmask_b32_e64 v7, v4, 1, vcc_lo
	v_cmp_eq_u32_e32 vcc_lo, 1, v5
	v_and_b32_e32 v31, 1, v32
	v_cndmask_b32_e64 v5, v7, 1, vcc_lo
	s_wait_dscnt 0x5
	v_cmp_eq_u16_e32 vcc_lo, 0, v8
	v_dual_cndmask_b32 v32, 0, v30, vcc_lo :: v_dual_bitop2_b32 v8, 1, v8 bitop3:0x40
	v_cmp_eq_u32_e32 vcc_lo, 1, v31
	s_wait_dscnt 0x4
	s_delay_alu instid0(VALU_DEP_2)
	v_add_nc_u16 v32, v32, v34
	v_cndmask_b32_e64 v31, v5, 1, vcc_lo
	v_cmp_eq_u32_e32 vcc_lo, 1, v8
	ds_store_b16 v2, v3 offset:4
	ds_store_b8 v2, v4 offset:6
	ds_store_b16 v2, v6 offset:8
	ds_store_b8 v2, v7 offset:10
	;; [unrolled: 2-line block ×4, first 2 shown]
	v_cndmask_b32_e64 v8, v31, 1, vcc_lo
	s_wait_dscnt 0xb
	v_cmp_eq_u16_e32 vcc_lo, 0, v35
	v_dual_cndmask_b32 v35, 0, v32, vcc_lo :: v_dual_bitop2_b32 v34, 1, v35 bitop3:0x40
	s_delay_alu instid0(VALU_DEP_1) | instskip(SKIP_1) | instid1(VALU_DEP_2)
	v_cmp_eq_u32_e32 vcc_lo, 1, v34
	s_wait_dscnt 0x9
	v_add_nc_u16 v33, v35, v33
	v_and_b32_e32 v38, 1, v36
	v_cndmask_b32_e64 v34, v8, 1, vcc_lo
	s_delay_alu instid0(VALU_DEP_2) | instskip(NEXT) | instid1(VALU_DEP_2)
	v_cmp_eq_u32_e32 vcc_lo, 1, v38
	v_cndmask_b32_e64 v35, v34, 1, vcc_lo
	v_cmp_eq_u16_e32 vcc_lo, 0, v36
	v_cndmask_b32_e32 v36, 0, v33, vcc_lo
	s_wait_dscnt 0x8
	s_delay_alu instid0(VALU_DEP_1)
	v_add_nc_u16 v3, v36, v37
	ds_store_b16 v2, v32 offset:20
	ds_store_b8 v2, v8 offset:22
	ds_store_b16 v2, v33 offset:24
	ds_store_b8 v2, v34 offset:26
	;; [unrolled: 2-line block ×3, first 2 shown]
.LBB1562_101:
	s_or_b32 exec_lo, exec_lo, s16
	s_wait_dscnt 0x0
	s_barrier_signal -1
	s_barrier_wait -1
	s_and_saveexec_b32 s16, s3
	s_cbranch_execz .LBB1562_103
; %bb.102:
	v_add_nc_u32_e32 v2, -1, v0
	s_delay_alu instid0(VALU_DEP_1) | instskip(NEXT) | instid1(VALU_DEP_1)
	v_lshrrev_b32_e32 v3, 3, v2
	v_and_b32_e32 v3, 0x1ffffffc, v3
	s_delay_alu instid0(VALU_DEP_1)
	v_lshl_add_u32 v2, v2, 2, v3
	ds_load_u16 v17, v2
	ds_load_u8 v23, v2 offset:2
.LBB1562_103:
	s_or_b32 exec_lo, exec_lo, s16
	s_and_saveexec_b32 s16, s15
	s_cbranch_execz .LBB1562_155
; %bb.104:
	v_dual_mov_b32 v9, 0 :: v_dual_add_nc_u32 v30, 32, v22
	v_mbcnt_lo_u32_b32 v31, -1, 0
	ds_load_b32 v2, v9 offset:1048
	v_cmp_eq_u32_e64 s15, 0, v31
	s_and_saveexec_b32 s23, s15
	s_cbranch_execz .LBB1562_106
; %bb.105:
	v_mov_b32_e32 v3, 1
	s_wait_dscnt 0x0
	global_store_b64 v30, v[2:3], s[20:21] scale_offset scope:SCOPE_DEV
.LBB1562_106:
	s_wait_xcnt 0x0
	s_or_b32 exec_lo, exec_lo, s23
	v_xad_u32 v4, v31, -1, v22
	s_mov_b32 s23, exec_lo
	s_delay_alu instid0(VALU_DEP_1) | instskip(SKIP_4) | instid1(VALU_DEP_1)
	v_add_nc_u32_e32 v8, 32, v4
	global_load_b64 v[6:7], v8, s[20:21] scale_offset scope:SCOPE_DEV
	s_wait_loadcnt 0x0
	v_and_b32_e32 v3, 0xff, v7
	s_wait_xcnt 0x0
	v_cmpx_eq_u16_e32 0, v3
	s_cbranch_execz .LBB1562_110
; %bb.107:
	v_lshl_add_u64 v[8:9], v[8:9], 3, s[20:21]
	s_mov_b32 s34, 0
.LBB1562_108:                           ; =>This Inner Loop Header: Depth=1
	global_load_b64 v[6:7], v[8:9], off scope:SCOPE_DEV
	s_wait_loadcnt 0x0
	v_and_b32_e32 v3, 0xff, v7
	s_delay_alu instid0(VALU_DEP_1)
	v_cmp_ne_u16_e32 vcc_lo, 0, v3
	s_or_b32 s34, vcc_lo, s34
	s_wait_xcnt 0x0
	s_and_not1_b32 exec_lo, exec_lo, s34
	s_cbranch_execnz .LBB1562_108
; %bb.109:
	s_or_b32 exec_lo, exec_lo, s34
.LBB1562_110:
	s_delay_alu instid0(SALU_CYCLE_1)
	s_or_b32 exec_lo, exec_lo, s23
	v_cmp_ne_u32_e32 vcc_lo, 31, v31
	v_and_b32_e32 v39, 0xffffff, v6
	v_and_b32_e32 v5, 0xff, v7
	v_lshlrev_b32_e64 v22, v31, -1
	v_bfe_u32 v9, v6, 16, 8
	v_add_co_ci_u32_e64 v3, null, 0, v31, vcc_lo
	s_delay_alu instid0(VALU_DEP_4) | instskip(SKIP_1) | instid1(VALU_DEP_2)
	v_cmp_eq_u16_e32 vcc_lo, 2, v5
	s_mov_b32 s23, exec_lo
	v_dual_lshrrev_b32 v8, 16, v6 :: v_dual_lshlrev_b32 v3, 2, v3
	v_and_or_b32 v5, vcc_lo, v22, 0x80000000
	ds_bpermute_b32 v32, v3, v39
	v_ctz_i32_b32_e32 v5, v5
	s_delay_alu instid0(VALU_DEP_1)
	v_cmpx_lt_u32_e64 v31, v5
	s_cbranch_execz .LBB1562_112
; %bb.111:
	v_and_b32_e32 v8, 0xff0000, v6
	s_delay_alu instid0(VALU_DEP_1) | instskip(SKIP_3) | instid1(VALU_DEP_1)
	v_and_b32_e32 v33, 0x10000, v8
	v_cmp_eq_u32_e32 vcc_lo, 0, v8
	s_wait_dscnt 0x0
	v_dual_cndmask_b32 v32, 0, v32 :: v_dual_lshrrev_b32 v9, 16, v32
	v_and_b32_e32 v9, 1, v9
	v_cmp_ne_u32_e32 vcc_lo, 0, v33
	s_delay_alu instid0(VALU_DEP_3) | instskip(NEXT) | instid1(VALU_DEP_3)
	v_add_nc_u16 v6, v32, v6
	v_cndmask_b32_e64 v8, v9, 1, vcc_lo
	s_delay_alu instid0(VALU_DEP_2) | instskip(NEXT) | instid1(VALU_DEP_2)
	v_and_b32_e32 v32, 0xffff, v6
	v_lshlrev_b32_e32 v9, 16, v8
	s_delay_alu instid0(VALU_DEP_1)
	v_dual_mov_b32 v9, v8 :: v_dual_bitop2_b32 v39, v9, v32 bitop3:0x54
.LBB1562_112:
	s_or_b32 exec_lo, exec_lo, s23
	v_cmp_gt_u32_e32 vcc_lo, 30, v31
	v_add_nc_u32_e32 v33, 2, v31
	s_mov_b32 s23, exec_lo
	s_wait_dscnt 0x0
	v_cndmask_b32_e64 v32, 0, 2, vcc_lo
	s_delay_alu instid0(VALU_DEP_1)
	v_add_lshl_u32 v32, v32, v31, 2
	ds_bpermute_b32 v34, v32, v39
	v_cmpx_le_u32_e64 v33, v5
	s_cbranch_execz .LBB1562_114
; %bb.113:
	v_cmp_eq_u16_e32 vcc_lo, 0, v9
	s_wait_dscnt 0x0
	v_dual_lshrrev_b32 v8, 16, v34 :: v_dual_bitop2_b32 v9, 1, v9 bitop3:0x40
	s_delay_alu instid0(VALU_DEP_1) | instskip(NEXT) | instid1(VALU_DEP_2)
	v_dual_cndmask_b32 v34, 0, v34, vcc_lo :: v_dual_bitop2_b32 v8, 1, v8 bitop3:0x40
	v_cmp_eq_u32_e32 vcc_lo, 1, v9
	s_delay_alu instid0(VALU_DEP_2) | instskip(NEXT) | instid1(VALU_DEP_3)
	v_add_nc_u16 v6, v34, v6
	v_cndmask_b32_e64 v8, v8, 1, vcc_lo
	s_delay_alu instid0(VALU_DEP_2) | instskip(NEXT) | instid1(VALU_DEP_2)
	v_and_b32_e32 v9, 0xffff, v6
	v_lshlrev_b32_e32 v34, 16, v8
	s_delay_alu instid0(VALU_DEP_1)
	v_dual_mov_b32 v9, v8 :: v_dual_bitop2_b32 v39, v34, v9 bitop3:0x54
.LBB1562_114:
	s_or_b32 exec_lo, exec_lo, s23
	v_cmp_gt_u32_e32 vcc_lo, 28, v31
	v_add_nc_u32_e32 v35, 4, v31
	s_mov_b32 s23, exec_lo
	s_wait_dscnt 0x0
	v_cndmask_b32_e64 v34, 0, 4, vcc_lo
	s_delay_alu instid0(VALU_DEP_1)
	v_add_lshl_u32 v34, v34, v31, 2
	ds_bpermute_b32 v36, v34, v39
	v_cmpx_le_u32_e64 v35, v5
	s_cbranch_execz .LBB1562_116
; %bb.115:
	v_cmp_eq_u16_e32 vcc_lo, 0, v9
	s_wait_dscnt 0x0
	v_dual_lshrrev_b32 v8, 16, v36 :: v_dual_bitop2_b32 v9, 1, v9 bitop3:0x40
	v_cndmask_b32_e32 v36, 0, v36, vcc_lo
	s_delay_alu instid0(VALU_DEP_2) | instskip(NEXT) | instid1(VALU_DEP_3)
	v_and_b32_e32 v8, 1, v8
	v_cmp_eq_u32_e32 vcc_lo, 1, v9
	s_delay_alu instid0(VALU_DEP_3) | instskip(NEXT) | instid1(VALU_DEP_3)
	v_add_nc_u16 v6, v36, v6
	v_cndmask_b32_e64 v8, v8, 1, vcc_lo
	s_delay_alu instid0(VALU_DEP_2) | instskip(NEXT) | instid1(VALU_DEP_2)
	v_and_b32_e32 v9, 0xffff, v6
	v_lshlrev_b32_e32 v36, 16, v8
	s_delay_alu instid0(VALU_DEP_1)
	v_or_b32_e32 v39, v36, v9
	v_mov_b32_e32 v9, v8
.LBB1562_116:
	s_or_b32 exec_lo, exec_lo, s23
	v_cmp_gt_u32_e32 vcc_lo, 24, v31
	v_add_nc_u32_e32 v37, 8, v31
	s_mov_b32 s23, exec_lo
	s_wait_dscnt 0x0
	v_cndmask_b32_e64 v36, 0, 8, vcc_lo
	s_delay_alu instid0(VALU_DEP_1)
	v_add_lshl_u32 v36, v36, v31, 2
	ds_bpermute_b32 v38, v36, v39
	v_cmpx_le_u32_e64 v37, v5
	s_cbranch_execz .LBB1562_118
; %bb.117:
	v_cmp_eq_u16_e32 vcc_lo, 0, v9
	s_wait_dscnt 0x0
	v_dual_lshrrev_b32 v8, 16, v38 :: v_dual_bitop2_b32 v9, 1, v9 bitop3:0x40
	s_delay_alu instid0(VALU_DEP_1) | instskip(NEXT) | instid1(VALU_DEP_2)
	v_dual_cndmask_b32 v38, 0, v38, vcc_lo :: v_dual_bitop2_b32 v8, 1, v8 bitop3:0x40
	v_cmp_eq_u32_e32 vcc_lo, 1, v9
	s_delay_alu instid0(VALU_DEP_2) | instskip(NEXT) | instid1(VALU_DEP_3)
	v_add_nc_u16 v6, v38, v6
	v_cndmask_b32_e64 v8, v8, 1, vcc_lo
	s_delay_alu instid0(VALU_DEP_2) | instskip(NEXT) | instid1(VALU_DEP_2)
	v_and_b32_e32 v9, 0xffff, v6
	v_lshlrev_b32_e32 v38, 16, v8
	s_delay_alu instid0(VALU_DEP_1)
	v_dual_mov_b32 v9, v8 :: v_dual_bitop2_b32 v39, v38, v9 bitop3:0x54
.LBB1562_118:
	s_or_b32 exec_lo, exec_lo, s23
	s_wait_dscnt 0x0
	v_lshl_or_b32 v38, v31, 2, 64
	s_mov_b32 s23, exec_lo
	ds_bpermute_b32 v40, v38, v39
	v_add_nc_u32_e32 v39, 16, v31
	s_delay_alu instid0(VALU_DEP_1)
	v_cmpx_le_u32_e64 v39, v5
	s_cbranch_execz .LBB1562_120
; %bb.119:
	v_cmp_eq_u16_e32 vcc_lo, 0, v9
	s_wait_dscnt 0x0
	v_dual_lshrrev_b32 v5, 16, v40 :: v_dual_bitop2_b32 v9, 1, v9 bitop3:0x40
	s_delay_alu instid0(VALU_DEP_1) | instskip(NEXT) | instid1(VALU_DEP_2)
	v_dual_cndmask_b32 v8, 0, v40, vcc_lo :: v_dual_bitop2_b32 v5, 1, v5 bitop3:0x40
	v_cmp_eq_u32_e32 vcc_lo, 1, v9
	s_delay_alu instid0(VALU_DEP_2) | instskip(NEXT) | instid1(VALU_DEP_3)
	v_add_nc_u16 v6, v8, v6
	v_cndmask_b32_e64 v8, v5, 1, vcc_lo
.LBB1562_120:
	s_or_b32 exec_lo, exec_lo, s23
	v_mov_b32_e32 v5, 0
	s_branch .LBB1562_123
.LBB1562_121:                           ;   in Loop: Header=BB1562_123 Depth=1
	s_or_b32 exec_lo, exec_lo, s23
	v_and_b32_e32 v8, 0xff, v40
	s_delay_alu instid0(VALU_DEP_2) | instskip(SKIP_2) | instid1(VALU_DEP_3)
	v_and_b32_e32 v9, 1, v9
	v_subrev_nc_u32_e32 v4, 32, v4
	s_mov_b32 s23, 0
	v_cmp_eq_u16_e32 vcc_lo, 0, v8
	v_dual_cndmask_b32 v6, 0, v6, vcc_lo :: v_dual_bitop2_b32 v8, 1, v40 bitop3:0x40
	s_delay_alu instid0(VALU_DEP_1) | instskip(NEXT) | instid1(VALU_DEP_2)
	v_cmp_eq_u32_e32 vcc_lo, 1, v8
	v_add_nc_u16 v6, v6, v41
	v_cndmask_b32_e64 v8, v9, 1, vcc_lo
.LBB1562_122:                           ;   in Loop: Header=BB1562_123 Depth=1
	s_and_b32 vcc_lo, exec_lo, s23
	s_cbranch_vccnz .LBB1562_151
.LBB1562_123:                           ; =>This Loop Header: Depth=1
                                        ;     Child Loop BB1562_126 Depth 2
	v_and_b32_e32 v7, 0xff, v7
	s_wait_dscnt 0x0
	v_dual_mov_b32 v40, v8 :: v_dual_mov_b32 v41, v6
	s_mov_b32 s23, -1
                                        ; implicit-def: $vgpr8
	s_delay_alu instid0(VALU_DEP_2)
	v_cmp_ne_u16_e32 vcc_lo, 2, v7
                                        ; implicit-def: $vgpr6
	s_cmp_lg_u32 vcc_lo, exec_lo
	s_cbranch_scc1 .LBB1562_122
; %bb.124:                              ;   in Loop: Header=BB1562_123 Depth=1
	global_load_b64 v[6:7], v4, s[20:21] scale_offset scope:SCOPE_DEV
	s_mov_b32 s23, exec_lo
	s_wait_loadcnt 0x0
	v_and_b32_e32 v8, 0xff, v7
	s_wait_xcnt 0x0
	s_delay_alu instid0(VALU_DEP_1)
	v_cmpx_eq_u16_e32 0, v8
	s_cbranch_execz .LBB1562_128
; %bb.125:                              ;   in Loop: Header=BB1562_123 Depth=1
	v_lshl_add_u64 v[8:9], v[4:5], 3, s[20:21]
	s_mov_b32 s34, 0
.LBB1562_126:                           ;   Parent Loop BB1562_123 Depth=1
                                        ; =>  This Inner Loop Header: Depth=2
	global_load_b64 v[6:7], v[8:9], off scope:SCOPE_DEV
	s_wait_loadcnt 0x0
	v_and_b32_e32 v42, 0xff, v7
	s_delay_alu instid0(VALU_DEP_1)
	v_cmp_ne_u16_e32 vcc_lo, 0, v42
	s_or_b32 s34, vcc_lo, s34
	s_wait_xcnt 0x0
	s_and_not1_b32 exec_lo, exec_lo, s34
	s_cbranch_execnz .LBB1562_126
; %bb.127:                              ;   in Loop: Header=BB1562_123 Depth=1
	s_or_b32 exec_lo, exec_lo, s34
.LBB1562_128:                           ;   in Loop: Header=BB1562_123 Depth=1
	s_delay_alu instid0(SALU_CYCLE_1)
	s_or_b32 exec_lo, exec_lo, s23
	v_and_b32_e32 v43, 0xffffff, v6
	v_and_b32_e32 v8, 0xff, v7
	v_lshrrev_b32_e32 v9, 16, v6
	v_bfe_u32 v42, v6, 16, 8
	s_mov_b32 s23, exec_lo
	ds_bpermute_b32 v44, v3, v43
	v_cmp_eq_u16_e32 vcc_lo, 2, v8
	v_and_or_b32 v8, vcc_lo, v22, 0x80000000
	s_delay_alu instid0(VALU_DEP_1) | instskip(NEXT) | instid1(VALU_DEP_1)
	v_ctz_i32_b32_e32 v8, v8
	v_cmpx_lt_u32_e64 v31, v8
	s_cbranch_execz .LBB1562_130
; %bb.129:                              ;   in Loop: Header=BB1562_123 Depth=1
	v_and_b32_e32 v9, 0xff0000, v6
	s_delay_alu instid0(VALU_DEP_1) | instskip(SKIP_3) | instid1(VALU_DEP_1)
	v_and_b32_e32 v43, 0x10000, v9
	v_cmp_eq_u32_e32 vcc_lo, 0, v9
	s_wait_dscnt 0x0
	v_dual_lshrrev_b32 v42, 16, v44 :: v_dual_cndmask_b32 v44, 0, v44, vcc_lo
	v_and_b32_e32 v42, 1, v42
	v_cmp_ne_u32_e32 vcc_lo, 0, v43
	s_delay_alu instid0(VALU_DEP_3) | instskip(NEXT) | instid1(VALU_DEP_3)
	v_add_nc_u16 v6, v44, v6
	v_cndmask_b32_e64 v9, v42, 1, vcc_lo
	s_delay_alu instid0(VALU_DEP_2) | instskip(NEXT) | instid1(VALU_DEP_2)
	v_and_b32_e32 v43, 0xffff, v6
	v_lshlrev_b32_e32 v42, 16, v9
	s_delay_alu instid0(VALU_DEP_1)
	v_dual_mov_b32 v42, v9 :: v_dual_bitop2_b32 v43, v42, v43 bitop3:0x54
.LBB1562_130:                           ;   in Loop: Header=BB1562_123 Depth=1
	s_or_b32 exec_lo, exec_lo, s23
	s_wait_dscnt 0x0
	ds_bpermute_b32 v44, v32, v43
	s_mov_b32 s23, exec_lo
	v_cmpx_le_u32_e64 v33, v8
	s_cbranch_execz .LBB1562_132
; %bb.131:                              ;   in Loop: Header=BB1562_123 Depth=1
	v_cmp_eq_u16_e32 vcc_lo, 0, v42
	s_wait_dscnt 0x0
	v_dual_lshrrev_b32 v9, 16, v44 :: v_dual_bitop2_b32 v42, 1, v42 bitop3:0x40
	s_delay_alu instid0(VALU_DEP_1) | instskip(NEXT) | instid1(VALU_DEP_2)
	v_dual_cndmask_b32 v43, 0, v44, vcc_lo :: v_dual_bitop2_b32 v9, 1, v9 bitop3:0x40
	v_cmp_eq_u32_e32 vcc_lo, 1, v42
	s_delay_alu instid0(VALU_DEP_2) | instskip(NEXT) | instid1(VALU_DEP_3)
	v_add_nc_u16 v6, v43, v6
	v_cndmask_b32_e64 v9, v9, 1, vcc_lo
	s_delay_alu instid0(VALU_DEP_2) | instskip(NEXT) | instid1(VALU_DEP_2)
	v_and_b32_e32 v42, 0xffff, v6
	v_lshlrev_b32_e32 v43, 16, v9
	s_delay_alu instid0(VALU_DEP_1)
	v_dual_mov_b32 v42, v9 :: v_dual_bitop2_b32 v43, v43, v42 bitop3:0x54
.LBB1562_132:                           ;   in Loop: Header=BB1562_123 Depth=1
	s_or_b32 exec_lo, exec_lo, s23
	s_wait_dscnt 0x0
	ds_bpermute_b32 v44, v34, v43
	s_mov_b32 s23, exec_lo
	v_cmpx_le_u32_e64 v35, v8
	s_cbranch_execz .LBB1562_134
; %bb.133:                              ;   in Loop: Header=BB1562_123 Depth=1
	v_cmp_eq_u16_e32 vcc_lo, 0, v42
	s_wait_dscnt 0x0
	v_dual_lshrrev_b32 v9, 16, v44 :: v_dual_bitop2_b32 v42, 1, v42 bitop3:0x40
	s_delay_alu instid0(VALU_DEP_1) | instskip(NEXT) | instid1(VALU_DEP_2)
	v_dual_cndmask_b32 v43, 0, v44, vcc_lo :: v_dual_bitop2_b32 v9, 1, v9 bitop3:0x40
	v_cmp_eq_u32_e32 vcc_lo, 1, v42
	s_delay_alu instid0(VALU_DEP_2) | instskip(NEXT) | instid1(VALU_DEP_3)
	v_add_nc_u16 v6, v43, v6
	v_cndmask_b32_e64 v9, v9, 1, vcc_lo
	s_delay_alu instid0(VALU_DEP_2) | instskip(NEXT) | instid1(VALU_DEP_2)
	v_and_b32_e32 v42, 0xffff, v6
	v_lshlrev_b32_e32 v43, 16, v9
	s_delay_alu instid0(VALU_DEP_1)
	v_dual_mov_b32 v42, v9 :: v_dual_bitop2_b32 v43, v43, v42 bitop3:0x54
.LBB1562_134:                           ;   in Loop: Header=BB1562_123 Depth=1
	;; [unrolled: 22-line block ×3, first 2 shown]
	s_or_b32 exec_lo, exec_lo, s23
	ds_bpermute_b32 v43, v38, v43
	s_mov_b32 s23, exec_lo
	v_cmpx_le_u32_e64 v39, v8
	s_cbranch_execz .LBB1562_121
; %bb.137:                              ;   in Loop: Header=BB1562_123 Depth=1
	v_cmp_eq_u16_e32 vcc_lo, 0, v42
	s_wait_dscnt 0x0
	v_dual_lshrrev_b32 v42, 16, v43 :: v_dual_bitop2_b32 v9, 1, v42 bitop3:0x40
	v_cndmask_b32_e32 v8, 0, v43, vcc_lo
	s_delay_alu instid0(VALU_DEP_2) | instskip(NEXT) | instid1(VALU_DEP_2)
	v_cmp_eq_u32_e32 vcc_lo, 1, v9
	v_add_nc_u16 v6, v8, v6
	s_delay_alu instid0(VALU_DEP_4)
	v_cndmask_b32_e64 v9, v42, 1, vcc_lo
	s_branch .LBB1562_121
.LBB1562_138:
	s_or_b32 exec_lo, exec_lo, s16
                                        ; implicit-def: $vgpr15
	s_and_saveexec_b32 s16, s1
	s_cbranch_execz .LBB1562_37
.LBB1562_139:
	flat_load_u16 v15, v0, s[34:35] offset:512 scale_offset
	s_wait_xcnt 0x0
	s_or_b32 exec_lo, exec_lo, s16
                                        ; implicit-def: $vgpr16
	s_and_saveexec_b32 s1, s4
	s_cbranch_execnz .LBB1562_38
.LBB1562_140:
	s_or_b32 exec_lo, exec_lo, s1
                                        ; implicit-def: $vgpr17
	s_and_saveexec_b32 s1, s5
	s_cbranch_execz .LBB1562_39
.LBB1562_141:
	flat_load_u16 v17, v0, s[34:35] offset:1536 scale_offset
	s_wait_xcnt 0x0
	s_or_b32 exec_lo, exec_lo, s1
                                        ; implicit-def: $vgpr18
	s_and_saveexec_b32 s1, s6
	s_cbranch_execnz .LBB1562_40
.LBB1562_142:
	s_or_b32 exec_lo, exec_lo, s1
                                        ; implicit-def: $vgpr19
	s_and_saveexec_b32 s1, s7
	s_cbranch_execz .LBB1562_41
.LBB1562_143:
	flat_load_u16 v19, v0, s[34:35] offset:2560 scale_offset
	s_wait_xcnt 0x0
	s_or_b32 exec_lo, exec_lo, s1
                                        ; implicit-def: $vgpr20
	s_and_saveexec_b32 s1, s8
	s_cbranch_execnz .LBB1562_42
.LBB1562_144:
	s_or_b32 exec_lo, exec_lo, s1
                                        ; implicit-def: $vgpr21
	s_and_saveexec_b32 s1, s9
	s_cbranch_execz .LBB1562_43
.LBB1562_145:
	flat_load_u16 v21, v0, s[34:35] offset:3584 scale_offset
	s_wait_xcnt 0x0
	s_or_b32 exec_lo, exec_lo, s1
                                        ; implicit-def: $vgpr24
	s_and_saveexec_b32 s1, s10
	s_cbranch_execnz .LBB1562_44
.LBB1562_146:
	s_or_b32 exec_lo, exec_lo, s1
                                        ; implicit-def: $vgpr25
	s_and_saveexec_b32 s1, s11
	s_cbranch_execz .LBB1562_45
.LBB1562_147:
	flat_load_u16 v25, v0, s[34:35] offset:4608 scale_offset
	s_wait_xcnt 0x0
	s_or_b32 exec_lo, exec_lo, s1
                                        ; implicit-def: $vgpr26
	s_and_saveexec_b32 s1, s12
	s_cbranch_execnz .LBB1562_46
.LBB1562_148:
	s_or_b32 exec_lo, exec_lo, s1
                                        ; implicit-def: $vgpr27
	s_and_saveexec_b32 s1, s13
	s_cbranch_execz .LBB1562_47
.LBB1562_149:
	flat_load_u16 v27, v0, s[34:35] offset:5632 scale_offset
	s_wait_xcnt 0x0
	s_or_b32 exec_lo, exec_lo, s1
                                        ; implicit-def: $vgpr28
	s_and_saveexec_b32 s1, s14
	s_cbranch_execz .LBB1562_49
	s_branch .LBB1562_48
.LBB1562_150:
                                        ; implicit-def: $vgpr4
                                        ; implicit-def: $vgpr5
                                        ; implicit-def: $vgpr6
                                        ; implicit-def: $vgpr7
                                        ; implicit-def: $vgpr8
                                        ; implicit-def: $vgpr9
                                        ; implicit-def: $vgpr17
                                        ; implicit-def: $vgpr22
                                        ; implicit-def: $vgpr23
                                        ; implicit-def: $vgpr30
                                        ; implicit-def: $vgpr31
                                        ; implicit-def: $vgpr32
                                        ; implicit-def: $vgpr33
                                        ; implicit-def: $vgpr34
	s_cbranch_execnz .LBB1562_156
	s_branch .LBB1562_175
.LBB1562_151:
	s_and_saveexec_b32 s23, s15
	s_cbranch_execz .LBB1562_153
; %bb.152:
	v_and_b32_e32 v3, 0xff0000, v2
	v_and_b32_e32 v5, 0x10000, v2
	s_delay_alu instid0(VALU_DEP_2) | instskip(SKIP_1) | instid1(VALU_DEP_3)
	v_cmp_eq_u32_e32 vcc_lo, 0, v3
	v_dual_cndmask_b32 v3, 0, v41, vcc_lo :: v_dual_bitop2_b32 v4, 1, v40 bitop3:0x40
	v_cmp_eq_u32_e32 vcc_lo, 0, v5
	s_delay_alu instid0(VALU_DEP_2) | instskip(NEXT) | instid1(VALU_DEP_1)
	v_add_nc_u16 v2, v3, v2
	v_and_b32_e32 v2, 0xffff, v2
	s_delay_alu instid0(VALU_DEP_4) | instskip(NEXT) | instid1(VALU_DEP_1)
	v_lshlrev_b32_e32 v4, 16, v4
	v_cndmask_b32_e32 v3, 0x10000, v4, vcc_lo
	s_delay_alu instid0(VALU_DEP_1)
	v_dual_mov_b32 v3, 2 :: v_dual_bitop2_b32 v2, v3, v2 bitop3:0x54
	global_store_b64 v30, v[2:3], s[20:21] scale_offset scope:SCOPE_DEV
.LBB1562_153:
	s_wait_xcnt 0x0
	s_or_b32 exec_lo, exec_lo, s23
	s_delay_alu instid0(SALU_CYCLE_1)
	s_and_b32 exec_lo, exec_lo, s2
	s_cbranch_execz .LBB1562_155
; %bb.154:
	v_mov_b32_e32 v2, 0
	ds_store_b16 v2, v41
	ds_store_b8 v2, v40 offset:2
.LBB1562_155:
	s_or_b32 exec_lo, exec_lo, s16
	v_mov_b32_e32 v2, 0
	s_wait_storecnt_dscnt 0x0
	s_barrier_signal -1
	s_barrier_wait -1
	ds_load_b32 v2, v2
	v_and_b32_e32 v3, 0xff, v23
	v_and_b32_e32 v5, 0xff0000, v1
	s_delay_alu instid0(VALU_DEP_2) | instskip(SKIP_2) | instid1(VALU_DEP_3)
	v_cmp_eq_u16_e32 vcc_lo, 0, v3
	s_wait_dscnt 0x0
	v_cndmask_b32_e32 v3, 0, v2, vcc_lo
	v_cmp_eq_u32_e32 vcc_lo, 0, v5
	s_delay_alu instid0(VALU_DEP_2) | instskip(NEXT) | instid1(VALU_DEP_1)
	v_add_nc_u16 v3, v3, v17
	v_cndmask_b32_e64 v4, v3, v2, s2
	s_delay_alu instid0(VALU_DEP_1) | instskip(NEXT) | instid1(VALU_DEP_1)
	v_cndmask_b32_e32 v2, 0, v4, vcc_lo
	v_add_nc_u16 v5, v2, v1
	s_delay_alu instid0(VALU_DEP_1) | instskip(NEXT) | instid1(VALU_DEP_1)
	v_cndmask_b32_e64 v2, 0, v5, s14
	v_add_nc_u16 v6, v2, v14
	s_delay_alu instid0(VALU_DEP_1) | instskip(NEXT) | instid1(VALU_DEP_1)
	v_cndmask_b32_e64 v2, 0, v6, s13
	;; [unrolled: 3-line block ×12, first 2 shown]
	v_add_nc_u16 v34, v2, v19
	s_branch .LBB1562_175
.LBB1562_156:
	s_cmp_eq_u64 s[30:31], 0
	v_mov_b32_e32 v2, s33
	s_cselect_b32 s1, -1, 0
	s_cmp_eq_u64 s[26:27], 0
	s_cselect_b32 s4, -1, 0
	s_delay_alu instid0(SALU_CYCLE_1) | instskip(NEXT) | instid1(SALU_CYCLE_1)
	s_or_b32 s1, s1, s4
	s_and_b32 vcc_lo, exec_lo, s1
	s_cbranch_vccnz .LBB1562_158
; %bb.157:
	v_mov_b32_e32 v2, 0
	global_load_u16 v2, v2, s[26:27]
.LBB1562_158:
	v_cmp_gt_u32_e32 vcc_lo, 0x10000, v14
	v_cmp_gt_u32_e64 s1, 0x10000, v15
	v_cmp_gt_u32_e64 s4, 0x10000, v28
	;; [unrolled: 1-line block ×4, first 2 shown]
	v_dual_cndmask_b32 v3, 0, v1, vcc_lo :: v_dual_bitop2_b32 v6, 28, v12 bitop3:0x40
	v_cmp_gt_u32_e64 s7, 0x10000, v27
	v_cmp_gt_u32_e64 s8, 0x10000, v24
	;; [unrolled: 1-line block ×3, first 2 shown]
	s_delay_alu instid0(VALU_DEP_4)
	v_add_nc_u16 v3, v3, v14
	v_cmp_gt_u32_e64 s10, 0x10000, v20
	v_cmp_gt_u32_e64 s11, 0x10000, v21
	;; [unrolled: 1-line block ×3, first 2 shown]
	v_or3_b32 v4, v16, v27, v26
	v_cndmask_b32_e64 v3, 0, v3, s1
	v_cmp_gt_u32_e64 s13, 0x10000, v19
	v_or3_b32 v5, v13, v20, v10
	v_cmp_gt_u32_e64 s14, 0x10000, v10
	v_or3_b32 v4, v4, v29, v28
	v_add_nc_u16 v3, v3, v15
	v_lshl_add_u32 v6, v0, 2, v6
	s_mov_b32 s15, exec_lo
	s_delay_alu instid0(VALU_DEP_3) | instskip(NEXT) | instid1(VALU_DEP_3)
	v_or3_b32 v4, v4, v15, v14
	v_cndmask_b32_e64 v3, 0, v3, s4
	s_delay_alu instid0(VALU_DEP_2) | instskip(NEXT) | instid1(VALU_DEP_2)
	v_bitop3_b32 v5, v5, 0xff0000, v4 bitop3:0xc8
	v_add_nc_u16 v3, v3, v28
	s_delay_alu instid0(VALU_DEP_1) | instskip(NEXT) | instid1(VALU_DEP_1)
	v_cndmask_b32_e64 v3, 0, v3, s5
	v_add_nc_u16 v3, v3, v29
	s_delay_alu instid0(VALU_DEP_1) | instskip(NEXT) | instid1(VALU_DEP_1)
	v_cndmask_b32_e64 v3, 0, v3, s6
	;; [unrolled: 3-line block ×9, first 2 shown]
	v_add_nc_u16 v3, v3, v19
	s_delay_alu instid0(VALU_DEP_1) | instskip(SKIP_1) | instid1(VALU_DEP_2)
	v_cndmask_b32_e64 v3, 0, v3, s14
	v_cmp_eq_u32_e64 s14, 0, v5
	v_add_nc_u16 v4, v3, v10
	s_delay_alu instid0(VALU_DEP_2)
	v_cndmask_b32_e64 v5, 1, v11, s14
	ds_store_b16 v6, v4
	ds_store_b8 v6, v5 offset:2
	s_wait_loadcnt_dscnt 0x0
	s_barrier_signal -1
	s_barrier_wait -1
	v_cmpx_gt_u32_e32 32, v0
	s_cbranch_execz .LBB1562_170
; %bb.159:
	v_and_b32_e32 v3, 0xfc, v0
	v_lshlrev_b32_e32 v6, 5, v0
	s_mov_b32 s16, exec_lo
	s_delay_alu instid0(VALU_DEP_1)
	v_add_nc_u32_e32 v3, v3, v6
	ds_load_u8 v7, v3 offset:6
	ds_load_b32 v6, v3
	ds_load_u16 v8, v3 offset:4
	ds_load_u8 v9, v3 offset:10
	ds_load_u16 v10, v3 offset:8
	ds_load_u16 v11, v3 offset:12
	ds_load_u8 v12, v3 offset:14
	ds_load_u16 v13, v3 offset:16
	s_wait_dscnt 0x7
	v_cmp_eq_u16_e64 s14, 0, v7
	s_wait_dscnt 0x4
	s_delay_alu instid0(VALU_DEP_1) | instskip(SKIP_1) | instid1(VALU_DEP_2)
	v_dual_cndmask_b32 v16, 0, v6, s14 :: v_dual_bitop2_b32 v7, v9, v7 bitop3:0x54
	v_cmp_eq_u16_e64 s14, 0, v9
	v_add_nc_u16 v8, v16, v8
	ds_load_u8 v16, v3 offset:18
	v_cndmask_b32_e64 v8, 0, v8, s14
	s_wait_dscnt 0x2
	v_cmp_eq_u16_e64 s14, 0, v12
	s_delay_alu instid0(VALU_DEP_2) | instskip(SKIP_2) | instid1(VALU_DEP_1)
	v_add_nc_u16 v8, v8, v10
	ds_load_u8 v10, v3 offset:22
	v_cndmask_b32_e64 v8, 0, v8, s14
	v_add_nc_u16 v8, v8, v11
	s_wait_dscnt 0x1
	v_cmp_eq_u16_e64 s14, 0, v16
	ds_load_u16 v11, v3 offset:20
	ds_load_u16 v17, v3 offset:24
	ds_load_u8 v22, v3 offset:26
	ds_load_u16 v23, v3 offset:28
	ds_load_u8 v30, v3 offset:30
	v_bitop3_b16 v9, v7, v16, v12 bitop3:0xfe
	v_and_b32_e32 v7, 0x10000, v6
	v_cndmask_b32_e64 v8, 0, v8, s14
	s_delay_alu instid0(VALU_DEP_1) | instskip(SKIP_2) | instid1(VALU_DEP_1)
	v_add_nc_u16 v8, v8, v13
	s_wait_dscnt 0x5
	v_cmp_eq_u16_e64 s14, 0, v10
	v_cndmask_b32_e64 v8, 0, v8, s14
	s_wait_dscnt 0x2
	v_cmp_eq_u16_e64 s14, 0, v22
	v_bitop3_b16 v9, v9, v22, v10 bitop3:0xfe
	s_delay_alu instid0(VALU_DEP_3) | instskip(SKIP_1) | instid1(VALU_DEP_1)
	v_add_nc_u16 v8, v8, v11
	s_wait_dscnt 0x0
	v_dual_cndmask_b32 v8, 0, v8, s14 :: v_dual_bitop2_b32 v10, 1, v30 bitop3:0x40
	v_cmp_eq_u16_e64 s14, 0, v30
	s_delay_alu instid0(VALU_DEP_2) | instskip(NEXT) | instid1(VALU_DEP_1)
	v_add_nc_u16 v8, v8, v17
	v_cndmask_b32_e64 v8, 0, v8, s14
	v_cmp_eq_u16_e64 s14, 0, v9
	s_delay_alu instid0(VALU_DEP_2) | instskip(NEXT) | instid1(VALU_DEP_2)
	v_add_nc_u16 v9, v8, v23
	v_cndmask_b32_e64 v11, 0x10000, v7, s14
	v_cmp_eq_u32_e64 s14, 1, v10
	v_and_b32_e32 v8, 0xff000000, v6
	v_mbcnt_lo_u32_b32 v10, -1, 0
	v_and_b32_e32 v12, 0xffff, v9
	s_delay_alu instid0(VALU_DEP_4) | instskip(NEXT) | instid1(VALU_DEP_1)
	v_cndmask_b32_e64 v11, v11, 0x10000, s14
	v_or_b32_e32 v13, v11, v8
	s_delay_alu instid0(VALU_DEP_3) | instskip(NEXT) | instid1(VALU_DEP_2)
	v_or3_b32 v16, v8, v12, v11
	v_dual_lshrrev_b32 v12, 16, v13 :: v_dual_bitop2_b32 v11, 15, v10 bitop3:0x40
	s_delay_alu instid0(VALU_DEP_2) | instskip(NEXT) | instid1(VALU_DEP_2)
	v_mov_b32_dpp v17, v16 row_shr:1 row_mask:0xf bank_mask:0xf
	v_cmpx_ne_u32_e32 0, v11
	s_cbranch_execz .LBB1562_161
; %bb.160:
	s_delay_alu instid0(VALU_DEP_2) | instskip(SKIP_2) | instid1(VALU_DEP_3)
	v_lshrrev_b32_e32 v16, 16, v17
	v_lshrrev_b32_e32 v12, 16, v13
	v_and_b32_e32 v13, 0x10000, v13
	v_and_b32_e32 v16, 1, v16
	s_delay_alu instid0(VALU_DEP_3) | instskip(NEXT) | instid1(VALU_DEP_1)
	v_and_b32_e32 v12, 0xff, v12
	v_cmp_eq_u16_e64 s14, 0, v12
	s_delay_alu instid0(VALU_DEP_1) | instskip(SKIP_1) | instid1(VALU_DEP_2)
	v_cndmask_b32_e64 v17, 0, v17, s14
	v_cmp_ne_u32_e64 s14, 0, v13
	v_add_nc_u16 v9, v17, v9
	s_delay_alu instid0(VALU_DEP_2) | instskip(NEXT) | instid1(VALU_DEP_2)
	v_cndmask_b32_e64 v12, v16, 1, s14
	v_and_b32_e32 v16, 0xffff, v9
	s_delay_alu instid0(VALU_DEP_2) | instskip(NEXT) | instid1(VALU_DEP_1)
	v_lshlrev_b32_e32 v13, 16, v12
	v_or3_b32 v16, v13, v16, v8
.LBB1562_161:
	s_or_b32 exec_lo, exec_lo, s16
	s_delay_alu instid0(VALU_DEP_1)
	v_lshrrev_b32_e32 v13, 16, v16
	v_mov_b32_dpp v17, v16 row_shr:2 row_mask:0xf bank_mask:0xf
	s_mov_b32 s16, exec_lo
	v_cmpx_lt_u32_e32 1, v11
	s_cbranch_execz .LBB1562_163
; %bb.162:
	v_and_b32_e32 v13, 0xff, v13
	v_and_b32_e32 v16, 0x10000, v16
	s_delay_alu instid0(VALU_DEP_2) | instskip(NEXT) | instid1(VALU_DEP_1)
	v_cmp_eq_u16_e64 s14, 0, v13
	v_dual_lshrrev_b32 v12, 16, v17 :: v_dual_cndmask_b32 v13, 0, v17, s14
	s_delay_alu instid0(VALU_DEP_1) | instskip(NEXT) | instid1(VALU_DEP_4)
	v_and_b32_e32 v12, 1, v12
	v_cmp_ne_u32_e64 s14, 0, v16
	s_delay_alu instid0(VALU_DEP_3) | instskip(NEXT) | instid1(VALU_DEP_2)
	v_add_nc_u16 v9, v13, v9
	v_cndmask_b32_e64 v12, v12, 1, s14
	s_delay_alu instid0(VALU_DEP_2) | instskip(NEXT) | instid1(VALU_DEP_2)
	v_and_b32_e32 v16, 0xffff, v9
	v_lshlrev_b32_e32 v13, 16, v12
	s_delay_alu instid0(VALU_DEP_1)
	v_or3_b32 v16, v13, v16, v8
	v_mov_b32_e32 v13, v12
.LBB1562_163:
	s_or_b32 exec_lo, exec_lo, s16
	s_delay_alu instid0(VALU_DEP_2)
	v_mov_b32_dpp v17, v16 row_shr:4 row_mask:0xf bank_mask:0xf
	s_mov_b32 s16, exec_lo
	v_cmpx_lt_u32_e32 3, v11
	s_cbranch_execz .LBB1562_165
; %bb.164:
	v_and_b32_e32 v16, 0xff, v13
	v_and_b32_e32 v13, 1, v13
	s_delay_alu instid0(VALU_DEP_2) | instskip(NEXT) | instid1(VALU_DEP_1)
	v_cmp_eq_u16_e64 s14, 0, v16
	v_dual_lshrrev_b32 v12, 16, v17 :: v_dual_cndmask_b32 v16, 0, v17, s14
	s_delay_alu instid0(VALU_DEP_1) | instskip(NEXT) | instid1(VALU_DEP_4)
	v_and_b32_e32 v12, 1, v12
	v_cmp_eq_u32_e64 s14, 1, v13
	s_delay_alu instid0(VALU_DEP_3) | instskip(NEXT) | instid1(VALU_DEP_2)
	v_add_nc_u16 v9, v16, v9
	v_cndmask_b32_e64 v12, v12, 1, s14
	s_delay_alu instid0(VALU_DEP_2) | instskip(NEXT) | instid1(VALU_DEP_2)
	v_and_b32_e32 v16, 0xffff, v9
	v_lshlrev_b32_e32 v13, 16, v12
	s_delay_alu instid0(VALU_DEP_1)
	v_or3_b32 v16, v13, v16, v8
	v_mov_b32_e32 v13, v12
.LBB1562_165:
	s_or_b32 exec_lo, exec_lo, s16
	s_delay_alu instid0(VALU_DEP_2)
	v_mov_b32_dpp v17, v16 row_shr:8 row_mask:0xf bank_mask:0xf
	s_mov_b32 s16, exec_lo
	v_cmpx_lt_u32_e32 7, v11
	s_cbranch_execz .LBB1562_167
; %bb.166:
	v_and_b32_e32 v12, 0xff, v13
	v_and_b32_e32 v13, 1, v13
	s_delay_alu instid0(VALU_DEP_2) | instskip(NEXT) | instid1(VALU_DEP_1)
	v_cmp_eq_u16_e64 s14, 0, v12
	v_dual_lshrrev_b32 v11, 16, v17 :: v_dual_cndmask_b32 v16, 0, v17, s14
	s_delay_alu instid0(VALU_DEP_1) | instskip(NEXT) | instid1(VALU_DEP_4)
	v_and_b32_e32 v11, 1, v11
	v_cmp_eq_u32_e64 s14, 1, v13
	s_delay_alu instid0(VALU_DEP_3) | instskip(NEXT) | instid1(VALU_DEP_2)
	v_add_nc_u16 v9, v16, v9
	v_cndmask_b32_e64 v12, v11, 1, s14
	s_delay_alu instid0(VALU_DEP_2) | instskip(NEXT) | instid1(VALU_DEP_2)
	v_and_b32_e32 v13, 0xffff, v9
	v_lshlrev_b32_e32 v11, 16, v12
	s_delay_alu instid0(VALU_DEP_1)
	v_or3_b32 v16, v11, v13, v8
	v_mov_b32_e32 v13, v12
.LBB1562_167:
	s_or_b32 exec_lo, exec_lo, s16
	ds_swizzle_b32 v11, v16 offset:swizzle(BROADCAST,32,15)
	v_and_b32_e32 v16, 16, v10
	s_mov_b32 s16, exec_lo
	s_delay_alu instid0(VALU_DEP_1)
	v_cmpx_ne_u32_e32 0, v16
	s_cbranch_execz .LBB1562_169
; %bb.168:
	v_and_b32_e32 v12, 0xff, v13
	s_delay_alu instid0(VALU_DEP_1) | instskip(SKIP_2) | instid1(VALU_DEP_1)
	v_cmp_eq_u16_e64 s14, 0, v12
	s_wait_dscnt 0x0
	v_dual_lshrrev_b32 v16, 16, v11 :: v_dual_bitop2_b32 v12, 1, v13 bitop3:0x40
	v_dual_cndmask_b32 v11, 0, v11, s14 :: v_dual_bitop2_b32 v13, 1, v16 bitop3:0x40
	s_delay_alu instid0(VALU_DEP_2) | instskip(NEXT) | instid1(VALU_DEP_2)
	v_cmp_eq_u32_e64 s14, 1, v12
	v_add_nc_u16 v9, v11, v9
	s_delay_alu instid0(VALU_DEP_2)
	v_cndmask_b32_e64 v12, v13, 1, s14
.LBB1562_169:
	s_or_b32 exec_lo, exec_lo, s16
	s_wait_dscnt 0x0
	s_delay_alu instid0(VALU_DEP_1) | instskip(SKIP_2) | instid1(VALU_DEP_3)
	v_and_b32_e32 v11, 0xff, v12
	v_add_nc_u32_e32 v12, -1, v10
	v_and_b32_e32 v9, 0xffff, v9
	; wave barrier
	v_lshlrev_b32_e32 v11, 16, v11
	s_delay_alu instid0(VALU_DEP_3) | instskip(NEXT) | instid1(VALU_DEP_2)
	v_cmp_gt_i32_e64 s14, 0, v12
	v_or3_b32 v8, v11, v9, v8
	s_delay_alu instid0(VALU_DEP_2) | instskip(NEXT) | instid1(VALU_DEP_1)
	v_cndmask_b32_e64 v10, v12, v10, s14
	v_lshlrev_b32_e32 v9, 2, v10
	ds_bpermute_b32 v8, v9, v8
	v_and_b32_e32 v9, 0xff0000, v6
	s_delay_alu instid0(VALU_DEP_1) | instskip(SKIP_1) | instid1(VALU_DEP_1)
	v_cmp_eq_u32_e64 s14, 0, v9
	s_wait_dscnt 0x0
	v_dual_lshrrev_b32 v10, 16, v8 :: v_dual_cndmask_b32 v8, 0, v8, s14
	v_cmp_eq_u32_e64 s14, 0, v7
	s_delay_alu instid0(VALU_DEP_2) | instskip(NEXT) | instid1(VALU_DEP_1)
	v_add_nc_u16 v6, v8, v6
	v_dual_cndmask_b32 v4, v6, v4, s2 :: v_dual_bitop2_b32 v9, 1, v10 bitop3:0x40
	s_delay_alu instid0(VALU_DEP_1) | instskip(NEXT) | instid1(VALU_DEP_1)
	v_cndmask_b32_e64 v7, 1, v9, s14
	v_cndmask_b32_e64 v5, v7, v5, s2
	ds_store_b16 v3, v4
	ds_store_b8 v3, v5 offset:2
	; wave barrier
	ds_load_u8 v6, v3 offset:6
	ds_load_u16 v7, v3 offset:4
	ds_load_u8 v8, v3 offset:10
	ds_load_u16 v9, v3 offset:8
	ds_load_u16 v10, v3 offset:12
	ds_load_u8 v11, v3 offset:14
	ds_load_u16 v12, v3 offset:16
	ds_load_u8 v13, v3 offset:18
	s_wait_dscnt 0x7
	v_cmp_eq_u16_e64 s14, 0, v6
	s_delay_alu instid0(VALU_DEP_1) | instskip(SKIP_2) | instid1(VALU_DEP_2)
	v_cndmask_b32_e64 v4, 0, v4, s14
	s_wait_dscnt 0x5
	v_cmp_eq_u16_e64 s14, 0, v8
	v_add_nc_u16 v4, v4, v7
	s_delay_alu instid0(VALU_DEP_1) | instskip(SKIP_2) | instid1(VALU_DEP_2)
	v_cndmask_b32_e64 v7, 0, v4, s14
	s_wait_dscnt 0x2
	v_cmp_eq_u16_e64 s14, 0, v11
	v_add_nc_u16 v7, v7, v9
	v_and_b32_e32 v6, 1, v6
	ds_load_u8 v9, v3 offset:22
	ds_load_u16 v17, v3 offset:20
	ds_load_u8 v22, v3 offset:26
	ds_load_u8 v23, v3 offset:30
	v_cndmask_b32_e64 v16, 0, v7, s14
	v_cmp_eq_u32_e64 s14, 1, v6
	v_and_b32_e32 v6, 1, v11
	s_delay_alu instid0(VALU_DEP_3) | instskip(NEXT) | instid1(VALU_DEP_3)
	v_add_nc_u16 v10, v16, v10
	v_cndmask_b32_e64 v5, v5, 1, s14
	s_wait_dscnt 0x4
	v_cmp_eq_u16_e64 s14, 0, v13
	v_and_b32_e32 v8, 1, v8
	ds_load_u16 v16, v3 offset:24
	ds_load_u16 v30, v3 offset:28
	v_cndmask_b32_e64 v11, 0, v10, s14
	v_cmp_eq_u32_e64 s14, 1, v8
	s_delay_alu instid0(VALU_DEP_2) | instskip(NEXT) | instid1(VALU_DEP_2)
	v_add_nc_u16 v11, v11, v12
	v_cndmask_b32_e64 v8, v5, 1, s14
	v_cmp_eq_u32_e64 s14, 1, v6
	v_and_b32_e32 v12, 1, v13
	s_wait_dscnt 0x2
	v_and_b32_e32 v31, 1, v23
	s_delay_alu instid0(VALU_DEP_3) | instskip(SKIP_1) | instid1(VALU_DEP_1)
	v_cndmask_b32_e64 v6, v8, 1, s14
	v_cmp_eq_u16_e64 s14, 0, v9
	v_dual_cndmask_b32 v13, 0, v11, s14 :: v_dual_bitop2_b32 v9, 1, v9 bitop3:0x40
	v_cmp_eq_u32_e64 s14, 1, v12
	s_delay_alu instid0(VALU_DEP_2) | instskip(NEXT) | instid1(VALU_DEP_2)
	v_add_nc_u16 v13, v13, v17
	v_cndmask_b32_e64 v12, v6, 1, s14
	s_delay_alu instid0(VALU_DEP_4)
	v_cmp_eq_u32_e64 s14, 1, v9
	v_and_b32_e32 v17, 1, v22
	ds_store_b16 v3, v4 offset:4
	ds_store_b8 v3, v5 offset:6
	ds_store_b16 v3, v7 offset:8
	ds_store_b8 v3, v8 offset:10
	ds_store_b16 v3, v10 offset:12
	ds_store_b8 v3, v6 offset:14
	ds_store_b16 v3, v11 offset:16
	ds_store_b8 v3, v12 offset:18
	v_cndmask_b32_e64 v9, v12, 1, s14
	v_cmp_eq_u16_e64 s14, 0, v22
	s_delay_alu instid0(VALU_DEP_1) | instskip(SKIP_2) | instid1(VALU_DEP_2)
	v_cndmask_b32_e64 v22, 0, v13, s14
	v_cmp_eq_u32_e64 s14, 1, v17
	s_wait_dscnt 0x9
	v_add_nc_u16 v16, v22, v16
	s_delay_alu instid0(VALU_DEP_2) | instskip(SKIP_1) | instid1(VALU_DEP_1)
	v_cndmask_b32_e64 v17, v9, 1, s14
	v_cmp_eq_u32_e64 s14, 1, v31
	v_cndmask_b32_e64 v22, v17, 1, s14
	v_cmp_eq_u16_e64 s14, 0, v23
	s_delay_alu instid0(VALU_DEP_1) | instskip(SKIP_1) | instid1(VALU_DEP_1)
	v_cndmask_b32_e64 v23, 0, v16, s14
	s_wait_dscnt 0x8
	v_add_nc_u16 v4, v23, v30
	ds_store_b16 v3, v13 offset:20
	ds_store_b8 v3, v9 offset:22
	ds_store_b16 v3, v16 offset:24
	ds_store_b8 v3, v17 offset:26
	;; [unrolled: 2-line block ×3, first 2 shown]
.LBB1562_170:
	s_or_b32 exec_lo, exec_lo, s15
	v_mov_b32_e32 v4, v2
	s_wait_dscnt 0x0
	s_barrier_signal -1
	s_barrier_wait -1
	s_and_saveexec_b32 s14, s3
	s_cbranch_execz .LBB1562_172
; %bb.171:
	v_add_nc_u32_e32 v3, -1, v0
	s_delay_alu instid0(VALU_DEP_1) | instskip(NEXT) | instid1(VALU_DEP_1)
	v_lshrrev_b32_e32 v4, 3, v3
	v_and_b32_e32 v4, 0x1ffffffc, v4
	s_delay_alu instid0(VALU_DEP_1) | instskip(SKIP_4) | instid1(VALU_DEP_1)
	v_lshl_add_u32 v3, v3, 2, v4
	ds_load_u8 v4, v3 offset:2
	ds_load_u16 v3, v3
	s_wait_dscnt 0x1
	v_cmp_eq_u16_e64 s3, 0, v4
	v_cndmask_b32_e64 v4, 0, v2, s3
	s_wait_dscnt 0x0
	s_delay_alu instid0(VALU_DEP_1)
	v_add_nc_u16 v4, v4, v3
.LBB1562_172:
	s_or_b32 exec_lo, exec_lo, s14
	v_and_b32_e32 v3, 0xff0000, v1
	s_delay_alu instid0(VALU_DEP_1) | instskip(NEXT) | instid1(VALU_DEP_1)
	v_cmp_eq_u32_e64 s3, 0, v3
	v_cndmask_b32_e64 v3, 0, v4, s3
	s_delay_alu instid0(VALU_DEP_1) | instskip(NEXT) | instid1(VALU_DEP_1)
	v_add_nc_u16 v5, v3, v1
	v_cndmask_b32_e32 v1, 0, v5, vcc_lo
	s_delay_alu instid0(VALU_DEP_1) | instskip(NEXT) | instid1(VALU_DEP_1)
	v_add_nc_u16 v6, v1, v14
	v_cndmask_b32_e64 v1, 0, v6, s1
	s_delay_alu instid0(VALU_DEP_1) | instskip(NEXT) | instid1(VALU_DEP_1)
	v_add_nc_u16 v7, v1, v15
	v_cndmask_b32_e64 v1, 0, v7, s4
	;; [unrolled: 3-line block ×11, first 2 shown]
	s_and_saveexec_b32 s1, s2
	s_cbranch_execz .LBB1562_174
; %bb.173:
	v_mov_b32_e32 v10, 0
	ds_load_u8 v3, v10 offset:1050
	ds_load_u16 v11, v10 offset:1048
	s_wait_dscnt 0x1
	v_cmp_eq_u32_e32 vcc_lo, 0, v3
	v_dual_cndmask_b32 v2, 0, v2 :: v_dual_lshlrev_b32 v3, 16, v3
	s_wait_dscnt 0x0
	s_delay_alu instid0(VALU_DEP_1) | instskip(NEXT) | instid1(VALU_DEP_1)
	v_add_nc_u32_e32 v2, v2, v11
	v_and_b32_e32 v2, 0xffff, v2
	s_delay_alu instid0(VALU_DEP_1)
	v_dual_mov_b32 v3, 2 :: v_dual_bitop2_b32 v2, v3, v2 bitop3:0x54
	global_store_b64 v10, v[2:3], s[20:21] offset:256 scope:SCOPE_DEV
.LBB1562_174:
	s_wait_xcnt 0x0
	s_or_b32 exec_lo, exec_lo, s1
	v_add_nc_u16 v34, v1, v19
.LBB1562_175:
	v_mov_b32_e32 v1, 0
	s_add_nc_u64 s[2:3], s[18:19], s[28:29]
	s_and_b32 vcc_lo, exec_lo, s0
	s_add_nc_u64 s[0:1], s[2:3], s[24:25]
	s_cbranch_vccz .LBB1562_231
; %bb.176:
	v_mul_u32_u24_e32 v2, 14, v0
	v_dual_mov_b32 v3, 0 :: v_dual_mov_b32 v10, 0
	v_dual_mov_b32 v11, 0 :: v_dual_mov_b32 v12, 0
	;; [unrolled: 1-line block ×3, first 2 shown]
	s_add_co_i32 s17, s17, s22
	s_mov_b32 s2, exec_lo
	v_cmpx_gt_u32_e64 s17, v2
	s_cbranch_execz .LBB1562_204
; %bb.177:
	v_dual_mov_b32 v3, 0 :: v_dual_bitop2_b32 v12, 1, v2 bitop3:0x54
	v_and_b32_e32 v1, 0xffff, v4
	v_dual_mov_b32 v10, 0 :: v_dual_mov_b32 v11, 0
	s_delay_alu instid0(VALU_DEP_3)
	v_cmp_gt_u32_e32 vcc_lo, s17, v12
	v_dual_mov_b32 v12, 0 :: v_dual_mov_b32 v13, 0
	v_mov_b32_e32 v14, 0
	s_and_saveexec_b32 s3, vcc_lo
	s_cbranch_execz .LBB1562_203
; %bb.178:
	v_perm_b32 v1, v5, v1, 0x5040100
	v_dual_mov_b32 v14, 0 :: v_dual_mov_b32 v13, 0
	v_dual_mov_b32 v12, 0 :: v_dual_add_nc_u32 v15, 2, v2
	v_dual_mov_b32 v11, 0 :: v_dual_mov_b32 v10, 0
	v_mov_b32_e32 v3, 0
	s_mov_b32 s4, exec_lo
	s_delay_alu instid0(VALU_DEP_3)
	v_cmpx_gt_u32_e64 s17, v15
	s_cbranch_execz .LBB1562_202
; %bb.179:
	v_bfi_b32 v3, 0xffff, v6, 0
	v_dual_mov_b32 v14, 0 :: v_dual_add_nc_u32 v15, 3, v2
	v_dual_mov_b32 v13, 0 :: v_dual_mov_b32 v12, 0
	v_dual_mov_b32 v11, 0 :: v_dual_mov_b32 v10, 0
	s_mov_b32 s5, exec_lo
	s_delay_alu instid0(VALU_DEP_3)
	v_cmpx_gt_u32_e64 s17, v15
	s_cbranch_execz .LBB1562_201
; %bb.180:
	v_perm_b32 v3, v7, v3, 0x5040100
	v_dual_mov_b32 v14, 0 :: v_dual_add_nc_u32 v15, 4, v2
	v_dual_mov_b32 v13, 0 :: v_dual_mov_b32 v12, 0
	v_dual_mov_b32 v11, 0 :: v_dual_mov_b32 v10, 0
	s_mov_b32 s6, exec_lo
	s_delay_alu instid0(VALU_DEP_3)
	v_cmpx_gt_u32_e64 s17, v15
	s_cbranch_execz .LBB1562_200
; %bb.181:
	v_bfi_b32 v10, 0xffff, v8, 0
	v_dual_mov_b32 v14, 0 :: v_dual_add_nc_u32 v15, 5, v2
	v_dual_mov_b32 v13, 0 :: v_dual_mov_b32 v12, 0
	v_mov_b32_e32 v11, 0
	s_mov_b32 s7, exec_lo
	s_delay_alu instid0(VALU_DEP_3)
	v_cmpx_gt_u32_e64 s17, v15
	s_cbranch_execz .LBB1562_199
; %bb.182:
	v_perm_b32 v10, v9, v10, 0x5040100
	v_dual_mov_b32 v14, 0 :: v_dual_add_nc_u32 v15, 6, v2
	v_dual_mov_b32 v13, 0 :: v_dual_mov_b32 v12, 0
	v_mov_b32_e32 v11, 0
	s_mov_b32 s8, exec_lo
	s_delay_alu instid0(VALU_DEP_3)
	v_cmpx_gt_u32_e64 s17, v15
	s_cbranch_execz .LBB1562_198
; %bb.183:
	v_dual_mov_b32 v14, 0 :: v_dual_add_nc_u32 v15, 7, v2
	v_bfi_b32 v11, 0xffff, v17, 0
	v_dual_mov_b32 v13, 0 :: v_dual_mov_b32 v12, 0
	s_mov_b32 s9, exec_lo
	s_delay_alu instid0(VALU_DEP_3)
	v_cmpx_gt_u32_e64 s17, v15
	s_cbranch_execz .LBB1562_197
; %bb.184:
	v_dual_mov_b32 v14, 0 :: v_dual_add_nc_u32 v15, 8, v2
	v_perm_b32 v11, v22, v11, 0x5040100
	v_dual_mov_b32 v13, 0 :: v_dual_mov_b32 v12, 0
	s_mov_b32 s10, exec_lo
	s_delay_alu instid0(VALU_DEP_3)
	v_cmpx_gt_u32_e64 s17, v15
	s_cbranch_execz .LBB1562_196
; %bb.185:
	v_dual_mov_b32 v14, 0 :: v_dual_add_nc_u32 v15, 9, v2
	v_bfi_b32 v12, 0xffff, v23, 0
	v_mov_b32_e32 v13, 0
	s_mov_b32 s11, exec_lo
	s_delay_alu instid0(VALU_DEP_3)
	v_cmpx_gt_u32_e64 s17, v15
	s_cbranch_execz .LBB1562_195
; %bb.186:
	v_dual_mov_b32 v14, 0 :: v_dual_add_nc_u32 v15, 10, v2
	v_perm_b32 v12, v30, v12, 0x5040100
	v_mov_b32_e32 v13, 0
	s_mov_b32 s12, exec_lo
	s_delay_alu instid0(VALU_DEP_3)
	v_cmpx_gt_u32_e64 s17, v15
	s_cbranch_execz .LBB1562_194
; %bb.187:
	v_dual_mov_b32 v14, 0 :: v_dual_add_nc_u32 v15, 11, v2
	v_bfi_b32 v13, 0xffff, v31, 0
	s_mov_b32 s13, exec_lo
	s_delay_alu instid0(VALU_DEP_2)
	v_cmpx_gt_u32_e64 s17, v15
	s_cbranch_execz .LBB1562_193
; %bb.188:
	v_dual_mov_b32 v14, 0 :: v_dual_add_nc_u32 v15, 12, v2
	v_perm_b32 v13, v32, v13, 0x5040100
	s_mov_b32 s14, exec_lo
	s_delay_alu instid0(VALU_DEP_2)
	v_cmpx_gt_u32_e64 s17, v15
	s_cbranch_execz .LBB1562_192
; %bb.189:
	v_add_nc_u32_e32 v15, 13, v2
	v_bfi_b32 v14, 0xffff, v33, 0
	s_mov_b32 s15, exec_lo
	s_delay_alu instid0(VALU_DEP_2)
	v_cmpx_gt_u32_e64 s17, v15
; %bb.190:
	s_delay_alu instid0(VALU_DEP_2)
	v_perm_b32 v14, v34, v14, 0x5040100
; %bb.191:
	s_or_b32 exec_lo, exec_lo, s15
.LBB1562_192:
	s_delay_alu instid0(SALU_CYCLE_1)
	s_or_b32 exec_lo, exec_lo, s14
.LBB1562_193:
	s_delay_alu instid0(SALU_CYCLE_1)
	s_or_b32 exec_lo, exec_lo, s13
.LBB1562_194:
	s_delay_alu instid0(SALU_CYCLE_1)
	s_or_b32 exec_lo, exec_lo, s12
.LBB1562_195:
	s_delay_alu instid0(SALU_CYCLE_1)
	s_or_b32 exec_lo, exec_lo, s11
.LBB1562_196:
	s_delay_alu instid0(SALU_CYCLE_1)
	s_or_b32 exec_lo, exec_lo, s10
.LBB1562_197:
	s_delay_alu instid0(SALU_CYCLE_1)
	s_or_b32 exec_lo, exec_lo, s9
.LBB1562_198:
	s_delay_alu instid0(SALU_CYCLE_1)
	s_or_b32 exec_lo, exec_lo, s8
.LBB1562_199:
	s_delay_alu instid0(SALU_CYCLE_1)
	s_or_b32 exec_lo, exec_lo, s7
.LBB1562_200:
	s_delay_alu instid0(SALU_CYCLE_1)
	s_or_b32 exec_lo, exec_lo, s6
.LBB1562_201:
	s_delay_alu instid0(SALU_CYCLE_1)
	s_or_b32 exec_lo, exec_lo, s5
.LBB1562_202:
	s_delay_alu instid0(SALU_CYCLE_1)
	s_or_b32 exec_lo, exec_lo, s4
.LBB1562_203:
	s_delay_alu instid0(SALU_CYCLE_1)
	s_or_b32 exec_lo, exec_lo, s3
.LBB1562_204:
	s_delay_alu instid0(SALU_CYCLE_1)
	s_or_b32 exec_lo, exec_lo, s2
	v_lshlrev_b32_e32 v24, 1, v2
	s_wait_storecnt 0x0
	s_barrier_signal -1
	s_barrier_wait -1
	ds_store_2addr_b32 v24, v1, v3 offset1:1
	ds_store_2addr_b32 v24, v10, v11 offset0:2 offset1:3
	ds_store_2addr_b32 v24, v12, v13 offset0:4 offset1:5
	ds_store_b32 v24, v14 offset:24
	v_mov_b32_e32 v3, 0
	v_mad_i32_i24 v1, 0xffffffe6, v0, v24
	s_wait_dscnt 0x0
	s_barrier_signal -1
	s_barrier_wait -1
	ds_load_u16 v25, v1 offset:512
	ds_load_u16 v21, v1 offset:1024
	;; [unrolled: 1-line block ×13, first 2 shown]
	v_lshlrev_b32_e32 v2, 1, v0
	s_mov_b32 s2, exec_lo
	s_delay_alu instid0(VALU_DEP_1)
	v_add_nc_u64_e32 v[2:3], s[0:1], v[2:3]
	v_cmpx_gt_u32_e64 s17, v0
	s_cbranch_execz .LBB1562_206
; %bb.205:
	v_mul_i32_i24_e32 v26, 0xffffffe6, v0
	s_delay_alu instid0(VALU_DEP_1)
	v_add_nc_u32_e32 v24, v24, v26
	ds_load_u16 v24, v24
	s_wait_dscnt 0x0
	flat_store_b16 v[2:3], v24
.LBB1562_206:
	s_wait_xcnt 0x0
	s_or_b32 exec_lo, exec_lo, s2
	v_or_b32_e32 v24, 0x100, v0
	s_mov_b32 s2, exec_lo
	s_delay_alu instid0(VALU_DEP_1)
	v_cmpx_gt_u32_e64 s17, v24
	s_cbranch_execz .LBB1562_208
; %bb.207:
	s_wait_dscnt 0xc
	flat_store_b16 v[2:3], v25 offset:512
.LBB1562_208:
	s_wait_xcnt 0x0
	s_or_b32 exec_lo, exec_lo, s2
	v_or_b32_e32 v24, 0x200, v0
	s_mov_b32 s2, exec_lo
	s_delay_alu instid0(VALU_DEP_1)
	v_cmpx_gt_u32_e64 s17, v24
	s_cbranch_execz .LBB1562_210
; %bb.209:
	s_wait_dscnt 0xb
	flat_store_b16 v[2:3], v21 offset:1024
.LBB1562_210:
	s_wait_xcnt 0x0
	s_or_b32 exec_lo, exec_lo, s2
	s_wait_dscnt 0xb
	v_or_b32_e32 v21, 0x300, v0
	s_mov_b32 s2, exec_lo
	s_delay_alu instid0(VALU_DEP_1)
	v_cmpx_gt_u32_e64 s17, v21
	s_cbranch_execz .LBB1562_212
; %bb.211:
	s_wait_dscnt 0xa
	flat_store_b16 v[2:3], v20 offset:1536
.LBB1562_212:
	s_wait_xcnt 0x0
	s_or_b32 exec_lo, exec_lo, s2
	s_wait_dscnt 0xa
	;; [unrolled: 12-line block ×10, first 2 shown]
	v_or_b32_e32 v11, 0xc00, v0
	s_mov_b32 s2, exec_lo
	s_delay_alu instid0(VALU_DEP_1)
	v_cmpx_gt_u32_e64 s17, v11
	s_cbranch_execz .LBB1562_230
; %bb.229:
	s_wait_dscnt 0x1
	flat_store_b16 v[2:3], v10 offset:6144
.LBB1562_230:
	s_wait_xcnt 0x0
	s_or_b32 exec_lo, exec_lo, s2
	v_or_b32_e32 v2, 0xd00, v0
	s_delay_alu instid0(VALU_DEP_1)
	v_cmp_gt_u32_e64 s2, s17, v2
	s_branch .LBB1562_233
.LBB1562_231:
	s_mov_b32 s2, 0
                                        ; implicit-def: $vgpr1
	s_cbranch_execz .LBB1562_233
; %bb.232:
	s_wait_dscnt 0x0
	v_mul_u32_u24_e32 v1, 28, v0
	v_perm_b32 v2, v7, v6, 0x5040100
	v_perm_b32 v3, v5, v4, 0x5040100
	;; [unrolled: 1-line block ×3, first 2 shown]
	v_mul_i32_i24_e32 v9, 0xffffffe6, v0
	v_perm_b32 v4, v22, v17, 0x5040100
	v_perm_b32 v6, v32, v31, 0x5040100
	;; [unrolled: 1-line block ×4, first 2 shown]
	s_wait_storecnt 0x0
	s_barrier_signal -1
	s_barrier_wait -1
	ds_store_2addr_b32 v1, v3, v2 offset1:1
	ds_store_2addr_b32 v1, v5, v4 offset0:2 offset1:3
	ds_store_2addr_b32 v1, v7, v6 offset0:4 offset1:5
	ds_store_b32 v1, v8 offset:24
	v_mad_u32_u24 v1, v0, 28, v9
	s_wait_dscnt 0x0
	s_barrier_signal -1
	s_barrier_wait -1
	ds_load_u16 v2, v1
	ds_load_u16 v3, v1 offset:512
	ds_load_u16 v4, v1 offset:1024
	;; [unrolled: 1-line block ×13, first 2 shown]
	s_or_b32 s2, s2, exec_lo
	s_wait_dscnt 0xd
	flat_store_b16 v0, v2, s[0:1] scale_offset
	s_wait_dscnt 0xd
	flat_store_b16 v0, v3, s[0:1] offset:512 scale_offset
	s_wait_dscnt 0xd
	flat_store_b16 v0, v4, s[0:1] offset:1024 scale_offset
	;; [unrolled: 2-line block ×12, first 2 shown]
.LBB1562_233:
	s_wait_xcnt 0x0
	s_delay_alu instid0(VALU_DEP_1)
	s_and_saveexec_b32 s3, s2
	s_cbranch_execz .LBB1562_235
; %bb.234:
	s_wait_dscnt 0x0
	flat_store_b16 v0, v1, s[0:1] offset:6656 scale_offset
	s_endpgm
.LBB1562_235:
	s_endpgm
	.section	.rodata,"a",@progbits
	.p2align	6, 0x0
	.amdhsa_kernel _ZN7rocprim17ROCPRIM_400000_NS6detail17trampoline_kernelINS0_14default_configENS1_27scan_by_key_config_selectorIitEEZZNS1_16scan_by_key_implILNS1_25lookback_scan_determinismE0ELb1ES3_N6thrust23THRUST_200600_302600_NS6detail15normal_iteratorINS9_10device_ptrIiEEEENSB_INSC_ItEEEESG_tNS9_4plusIvEENS9_8equal_toIvEEtEE10hipError_tPvRmT2_T3_T4_T5_mT6_T7_P12ihipStream_tbENKUlT_T0_E_clISt17integral_constantIbLb0EES10_IbLb1EEEEDaSW_SX_EUlSW_E_NS1_11comp_targetILNS1_3genE0ELNS1_11target_archE4294967295ELNS1_3gpuE0ELNS1_3repE0EEENS1_30default_config_static_selectorELNS0_4arch9wavefront6targetE0EEEvT1_
		.amdhsa_group_segment_fixed_size 16384
		.amdhsa_private_segment_fixed_size 0
		.amdhsa_kernarg_size 112
		.amdhsa_user_sgpr_count 2
		.amdhsa_user_sgpr_dispatch_ptr 0
		.amdhsa_user_sgpr_queue_ptr 0
		.amdhsa_user_sgpr_kernarg_segment_ptr 1
		.amdhsa_user_sgpr_dispatch_id 0
		.amdhsa_user_sgpr_kernarg_preload_length 0
		.amdhsa_user_sgpr_kernarg_preload_offset 0
		.amdhsa_user_sgpr_private_segment_size 0
		.amdhsa_wavefront_size32 1
		.amdhsa_uses_dynamic_stack 0
		.amdhsa_enable_private_segment 0
		.amdhsa_system_sgpr_workgroup_id_x 1
		.amdhsa_system_sgpr_workgroup_id_y 0
		.amdhsa_system_sgpr_workgroup_id_z 0
		.amdhsa_system_sgpr_workgroup_info 0
		.amdhsa_system_vgpr_workitem_id 0
		.amdhsa_next_free_vgpr 47
		.amdhsa_next_free_sgpr 40
		.amdhsa_named_barrier_count 0
		.amdhsa_reserve_vcc 1
		.amdhsa_float_round_mode_32 0
		.amdhsa_float_round_mode_16_64 0
		.amdhsa_float_denorm_mode_32 3
		.amdhsa_float_denorm_mode_16_64 3
		.amdhsa_fp16_overflow 0
		.amdhsa_memory_ordered 1
		.amdhsa_forward_progress 1
		.amdhsa_inst_pref_size 117
		.amdhsa_round_robin_scheduling 0
		.amdhsa_exception_fp_ieee_invalid_op 0
		.amdhsa_exception_fp_denorm_src 0
		.amdhsa_exception_fp_ieee_div_zero 0
		.amdhsa_exception_fp_ieee_overflow 0
		.amdhsa_exception_fp_ieee_underflow 0
		.amdhsa_exception_fp_ieee_inexact 0
		.amdhsa_exception_int_div_zero 0
	.end_amdhsa_kernel
	.section	.text._ZN7rocprim17ROCPRIM_400000_NS6detail17trampoline_kernelINS0_14default_configENS1_27scan_by_key_config_selectorIitEEZZNS1_16scan_by_key_implILNS1_25lookback_scan_determinismE0ELb1ES3_N6thrust23THRUST_200600_302600_NS6detail15normal_iteratorINS9_10device_ptrIiEEEENSB_INSC_ItEEEESG_tNS9_4plusIvEENS9_8equal_toIvEEtEE10hipError_tPvRmT2_T3_T4_T5_mT6_T7_P12ihipStream_tbENKUlT_T0_E_clISt17integral_constantIbLb0EES10_IbLb1EEEEDaSW_SX_EUlSW_E_NS1_11comp_targetILNS1_3genE0ELNS1_11target_archE4294967295ELNS1_3gpuE0ELNS1_3repE0EEENS1_30default_config_static_selectorELNS0_4arch9wavefront6targetE0EEEvT1_,"axG",@progbits,_ZN7rocprim17ROCPRIM_400000_NS6detail17trampoline_kernelINS0_14default_configENS1_27scan_by_key_config_selectorIitEEZZNS1_16scan_by_key_implILNS1_25lookback_scan_determinismE0ELb1ES3_N6thrust23THRUST_200600_302600_NS6detail15normal_iteratorINS9_10device_ptrIiEEEENSB_INSC_ItEEEESG_tNS9_4plusIvEENS9_8equal_toIvEEtEE10hipError_tPvRmT2_T3_T4_T5_mT6_T7_P12ihipStream_tbENKUlT_T0_E_clISt17integral_constantIbLb0EES10_IbLb1EEEEDaSW_SX_EUlSW_E_NS1_11comp_targetILNS1_3genE0ELNS1_11target_archE4294967295ELNS1_3gpuE0ELNS1_3repE0EEENS1_30default_config_static_selectorELNS0_4arch9wavefront6targetE0EEEvT1_,comdat
.Lfunc_end1562:
	.size	_ZN7rocprim17ROCPRIM_400000_NS6detail17trampoline_kernelINS0_14default_configENS1_27scan_by_key_config_selectorIitEEZZNS1_16scan_by_key_implILNS1_25lookback_scan_determinismE0ELb1ES3_N6thrust23THRUST_200600_302600_NS6detail15normal_iteratorINS9_10device_ptrIiEEEENSB_INSC_ItEEEESG_tNS9_4plusIvEENS9_8equal_toIvEEtEE10hipError_tPvRmT2_T3_T4_T5_mT6_T7_P12ihipStream_tbENKUlT_T0_E_clISt17integral_constantIbLb0EES10_IbLb1EEEEDaSW_SX_EUlSW_E_NS1_11comp_targetILNS1_3genE0ELNS1_11target_archE4294967295ELNS1_3gpuE0ELNS1_3repE0EEENS1_30default_config_static_selectorELNS0_4arch9wavefront6targetE0EEEvT1_, .Lfunc_end1562-_ZN7rocprim17ROCPRIM_400000_NS6detail17trampoline_kernelINS0_14default_configENS1_27scan_by_key_config_selectorIitEEZZNS1_16scan_by_key_implILNS1_25lookback_scan_determinismE0ELb1ES3_N6thrust23THRUST_200600_302600_NS6detail15normal_iteratorINS9_10device_ptrIiEEEENSB_INSC_ItEEEESG_tNS9_4plusIvEENS9_8equal_toIvEEtEE10hipError_tPvRmT2_T3_T4_T5_mT6_T7_P12ihipStream_tbENKUlT_T0_E_clISt17integral_constantIbLb0EES10_IbLb1EEEEDaSW_SX_EUlSW_E_NS1_11comp_targetILNS1_3genE0ELNS1_11target_archE4294967295ELNS1_3gpuE0ELNS1_3repE0EEENS1_30default_config_static_selectorELNS0_4arch9wavefront6targetE0EEEvT1_
                                        ; -- End function
	.set _ZN7rocprim17ROCPRIM_400000_NS6detail17trampoline_kernelINS0_14default_configENS1_27scan_by_key_config_selectorIitEEZZNS1_16scan_by_key_implILNS1_25lookback_scan_determinismE0ELb1ES3_N6thrust23THRUST_200600_302600_NS6detail15normal_iteratorINS9_10device_ptrIiEEEENSB_INSC_ItEEEESG_tNS9_4plusIvEENS9_8equal_toIvEEtEE10hipError_tPvRmT2_T3_T4_T5_mT6_T7_P12ihipStream_tbENKUlT_T0_E_clISt17integral_constantIbLb0EES10_IbLb1EEEEDaSW_SX_EUlSW_E_NS1_11comp_targetILNS1_3genE0ELNS1_11target_archE4294967295ELNS1_3gpuE0ELNS1_3repE0EEENS1_30default_config_static_selectorELNS0_4arch9wavefront6targetE0EEEvT1_.num_vgpr, 47
	.set _ZN7rocprim17ROCPRIM_400000_NS6detail17trampoline_kernelINS0_14default_configENS1_27scan_by_key_config_selectorIitEEZZNS1_16scan_by_key_implILNS1_25lookback_scan_determinismE0ELb1ES3_N6thrust23THRUST_200600_302600_NS6detail15normal_iteratorINS9_10device_ptrIiEEEENSB_INSC_ItEEEESG_tNS9_4plusIvEENS9_8equal_toIvEEtEE10hipError_tPvRmT2_T3_T4_T5_mT6_T7_P12ihipStream_tbENKUlT_T0_E_clISt17integral_constantIbLb0EES10_IbLb1EEEEDaSW_SX_EUlSW_E_NS1_11comp_targetILNS1_3genE0ELNS1_11target_archE4294967295ELNS1_3gpuE0ELNS1_3repE0EEENS1_30default_config_static_selectorELNS0_4arch9wavefront6targetE0EEEvT1_.num_agpr, 0
	.set _ZN7rocprim17ROCPRIM_400000_NS6detail17trampoline_kernelINS0_14default_configENS1_27scan_by_key_config_selectorIitEEZZNS1_16scan_by_key_implILNS1_25lookback_scan_determinismE0ELb1ES3_N6thrust23THRUST_200600_302600_NS6detail15normal_iteratorINS9_10device_ptrIiEEEENSB_INSC_ItEEEESG_tNS9_4plusIvEENS9_8equal_toIvEEtEE10hipError_tPvRmT2_T3_T4_T5_mT6_T7_P12ihipStream_tbENKUlT_T0_E_clISt17integral_constantIbLb0EES10_IbLb1EEEEDaSW_SX_EUlSW_E_NS1_11comp_targetILNS1_3genE0ELNS1_11target_archE4294967295ELNS1_3gpuE0ELNS1_3repE0EEENS1_30default_config_static_selectorELNS0_4arch9wavefront6targetE0EEEvT1_.numbered_sgpr, 40
	.set _ZN7rocprim17ROCPRIM_400000_NS6detail17trampoline_kernelINS0_14default_configENS1_27scan_by_key_config_selectorIitEEZZNS1_16scan_by_key_implILNS1_25lookback_scan_determinismE0ELb1ES3_N6thrust23THRUST_200600_302600_NS6detail15normal_iteratorINS9_10device_ptrIiEEEENSB_INSC_ItEEEESG_tNS9_4plusIvEENS9_8equal_toIvEEtEE10hipError_tPvRmT2_T3_T4_T5_mT6_T7_P12ihipStream_tbENKUlT_T0_E_clISt17integral_constantIbLb0EES10_IbLb1EEEEDaSW_SX_EUlSW_E_NS1_11comp_targetILNS1_3genE0ELNS1_11target_archE4294967295ELNS1_3gpuE0ELNS1_3repE0EEENS1_30default_config_static_selectorELNS0_4arch9wavefront6targetE0EEEvT1_.num_named_barrier, 0
	.set _ZN7rocprim17ROCPRIM_400000_NS6detail17trampoline_kernelINS0_14default_configENS1_27scan_by_key_config_selectorIitEEZZNS1_16scan_by_key_implILNS1_25lookback_scan_determinismE0ELb1ES3_N6thrust23THRUST_200600_302600_NS6detail15normal_iteratorINS9_10device_ptrIiEEEENSB_INSC_ItEEEESG_tNS9_4plusIvEENS9_8equal_toIvEEtEE10hipError_tPvRmT2_T3_T4_T5_mT6_T7_P12ihipStream_tbENKUlT_T0_E_clISt17integral_constantIbLb0EES10_IbLb1EEEEDaSW_SX_EUlSW_E_NS1_11comp_targetILNS1_3genE0ELNS1_11target_archE4294967295ELNS1_3gpuE0ELNS1_3repE0EEENS1_30default_config_static_selectorELNS0_4arch9wavefront6targetE0EEEvT1_.private_seg_size, 0
	.set _ZN7rocprim17ROCPRIM_400000_NS6detail17trampoline_kernelINS0_14default_configENS1_27scan_by_key_config_selectorIitEEZZNS1_16scan_by_key_implILNS1_25lookback_scan_determinismE0ELb1ES3_N6thrust23THRUST_200600_302600_NS6detail15normal_iteratorINS9_10device_ptrIiEEEENSB_INSC_ItEEEESG_tNS9_4plusIvEENS9_8equal_toIvEEtEE10hipError_tPvRmT2_T3_T4_T5_mT6_T7_P12ihipStream_tbENKUlT_T0_E_clISt17integral_constantIbLb0EES10_IbLb1EEEEDaSW_SX_EUlSW_E_NS1_11comp_targetILNS1_3genE0ELNS1_11target_archE4294967295ELNS1_3gpuE0ELNS1_3repE0EEENS1_30default_config_static_selectorELNS0_4arch9wavefront6targetE0EEEvT1_.uses_vcc, 1
	.set _ZN7rocprim17ROCPRIM_400000_NS6detail17trampoline_kernelINS0_14default_configENS1_27scan_by_key_config_selectorIitEEZZNS1_16scan_by_key_implILNS1_25lookback_scan_determinismE0ELb1ES3_N6thrust23THRUST_200600_302600_NS6detail15normal_iteratorINS9_10device_ptrIiEEEENSB_INSC_ItEEEESG_tNS9_4plusIvEENS9_8equal_toIvEEtEE10hipError_tPvRmT2_T3_T4_T5_mT6_T7_P12ihipStream_tbENKUlT_T0_E_clISt17integral_constantIbLb0EES10_IbLb1EEEEDaSW_SX_EUlSW_E_NS1_11comp_targetILNS1_3genE0ELNS1_11target_archE4294967295ELNS1_3gpuE0ELNS1_3repE0EEENS1_30default_config_static_selectorELNS0_4arch9wavefront6targetE0EEEvT1_.uses_flat_scratch, 1
	.set _ZN7rocprim17ROCPRIM_400000_NS6detail17trampoline_kernelINS0_14default_configENS1_27scan_by_key_config_selectorIitEEZZNS1_16scan_by_key_implILNS1_25lookback_scan_determinismE0ELb1ES3_N6thrust23THRUST_200600_302600_NS6detail15normal_iteratorINS9_10device_ptrIiEEEENSB_INSC_ItEEEESG_tNS9_4plusIvEENS9_8equal_toIvEEtEE10hipError_tPvRmT2_T3_T4_T5_mT6_T7_P12ihipStream_tbENKUlT_T0_E_clISt17integral_constantIbLb0EES10_IbLb1EEEEDaSW_SX_EUlSW_E_NS1_11comp_targetILNS1_3genE0ELNS1_11target_archE4294967295ELNS1_3gpuE0ELNS1_3repE0EEENS1_30default_config_static_selectorELNS0_4arch9wavefront6targetE0EEEvT1_.has_dyn_sized_stack, 0
	.set _ZN7rocprim17ROCPRIM_400000_NS6detail17trampoline_kernelINS0_14default_configENS1_27scan_by_key_config_selectorIitEEZZNS1_16scan_by_key_implILNS1_25lookback_scan_determinismE0ELb1ES3_N6thrust23THRUST_200600_302600_NS6detail15normal_iteratorINS9_10device_ptrIiEEEENSB_INSC_ItEEEESG_tNS9_4plusIvEENS9_8equal_toIvEEtEE10hipError_tPvRmT2_T3_T4_T5_mT6_T7_P12ihipStream_tbENKUlT_T0_E_clISt17integral_constantIbLb0EES10_IbLb1EEEEDaSW_SX_EUlSW_E_NS1_11comp_targetILNS1_3genE0ELNS1_11target_archE4294967295ELNS1_3gpuE0ELNS1_3repE0EEENS1_30default_config_static_selectorELNS0_4arch9wavefront6targetE0EEEvT1_.has_recursion, 0
	.set _ZN7rocprim17ROCPRIM_400000_NS6detail17trampoline_kernelINS0_14default_configENS1_27scan_by_key_config_selectorIitEEZZNS1_16scan_by_key_implILNS1_25lookback_scan_determinismE0ELb1ES3_N6thrust23THRUST_200600_302600_NS6detail15normal_iteratorINS9_10device_ptrIiEEEENSB_INSC_ItEEEESG_tNS9_4plusIvEENS9_8equal_toIvEEtEE10hipError_tPvRmT2_T3_T4_T5_mT6_T7_P12ihipStream_tbENKUlT_T0_E_clISt17integral_constantIbLb0EES10_IbLb1EEEEDaSW_SX_EUlSW_E_NS1_11comp_targetILNS1_3genE0ELNS1_11target_archE4294967295ELNS1_3gpuE0ELNS1_3repE0EEENS1_30default_config_static_selectorELNS0_4arch9wavefront6targetE0EEEvT1_.has_indirect_call, 0
	.section	.AMDGPU.csdata,"",@progbits
; Kernel info:
; codeLenInByte = 14956
; TotalNumSgprs: 42
; NumVgprs: 47
; ScratchSize: 0
; MemoryBound: 0
; FloatMode: 240
; IeeeMode: 1
; LDSByteSize: 16384 bytes/workgroup (compile time only)
; SGPRBlocks: 0
; VGPRBlocks: 2
; NumSGPRsForWavesPerEU: 42
; NumVGPRsForWavesPerEU: 47
; NamedBarCnt: 0
; Occupancy: 16
; WaveLimiterHint : 1
; COMPUTE_PGM_RSRC2:SCRATCH_EN: 0
; COMPUTE_PGM_RSRC2:USER_SGPR: 2
; COMPUTE_PGM_RSRC2:TRAP_HANDLER: 0
; COMPUTE_PGM_RSRC2:TGID_X_EN: 1
; COMPUTE_PGM_RSRC2:TGID_Y_EN: 0
; COMPUTE_PGM_RSRC2:TGID_Z_EN: 0
; COMPUTE_PGM_RSRC2:TIDIG_COMP_CNT: 0
	.section	.text._ZN7rocprim17ROCPRIM_400000_NS6detail17trampoline_kernelINS0_14default_configENS1_27scan_by_key_config_selectorIitEEZZNS1_16scan_by_key_implILNS1_25lookback_scan_determinismE0ELb1ES3_N6thrust23THRUST_200600_302600_NS6detail15normal_iteratorINS9_10device_ptrIiEEEENSB_INSC_ItEEEESG_tNS9_4plusIvEENS9_8equal_toIvEEtEE10hipError_tPvRmT2_T3_T4_T5_mT6_T7_P12ihipStream_tbENKUlT_T0_E_clISt17integral_constantIbLb0EES10_IbLb1EEEEDaSW_SX_EUlSW_E_NS1_11comp_targetILNS1_3genE10ELNS1_11target_archE1201ELNS1_3gpuE5ELNS1_3repE0EEENS1_30default_config_static_selectorELNS0_4arch9wavefront6targetE0EEEvT1_,"axG",@progbits,_ZN7rocprim17ROCPRIM_400000_NS6detail17trampoline_kernelINS0_14default_configENS1_27scan_by_key_config_selectorIitEEZZNS1_16scan_by_key_implILNS1_25lookback_scan_determinismE0ELb1ES3_N6thrust23THRUST_200600_302600_NS6detail15normal_iteratorINS9_10device_ptrIiEEEENSB_INSC_ItEEEESG_tNS9_4plusIvEENS9_8equal_toIvEEtEE10hipError_tPvRmT2_T3_T4_T5_mT6_T7_P12ihipStream_tbENKUlT_T0_E_clISt17integral_constantIbLb0EES10_IbLb1EEEEDaSW_SX_EUlSW_E_NS1_11comp_targetILNS1_3genE10ELNS1_11target_archE1201ELNS1_3gpuE5ELNS1_3repE0EEENS1_30default_config_static_selectorELNS0_4arch9wavefront6targetE0EEEvT1_,comdat
	.protected	_ZN7rocprim17ROCPRIM_400000_NS6detail17trampoline_kernelINS0_14default_configENS1_27scan_by_key_config_selectorIitEEZZNS1_16scan_by_key_implILNS1_25lookback_scan_determinismE0ELb1ES3_N6thrust23THRUST_200600_302600_NS6detail15normal_iteratorINS9_10device_ptrIiEEEENSB_INSC_ItEEEESG_tNS9_4plusIvEENS9_8equal_toIvEEtEE10hipError_tPvRmT2_T3_T4_T5_mT6_T7_P12ihipStream_tbENKUlT_T0_E_clISt17integral_constantIbLb0EES10_IbLb1EEEEDaSW_SX_EUlSW_E_NS1_11comp_targetILNS1_3genE10ELNS1_11target_archE1201ELNS1_3gpuE5ELNS1_3repE0EEENS1_30default_config_static_selectorELNS0_4arch9wavefront6targetE0EEEvT1_ ; -- Begin function _ZN7rocprim17ROCPRIM_400000_NS6detail17trampoline_kernelINS0_14default_configENS1_27scan_by_key_config_selectorIitEEZZNS1_16scan_by_key_implILNS1_25lookback_scan_determinismE0ELb1ES3_N6thrust23THRUST_200600_302600_NS6detail15normal_iteratorINS9_10device_ptrIiEEEENSB_INSC_ItEEEESG_tNS9_4plusIvEENS9_8equal_toIvEEtEE10hipError_tPvRmT2_T3_T4_T5_mT6_T7_P12ihipStream_tbENKUlT_T0_E_clISt17integral_constantIbLb0EES10_IbLb1EEEEDaSW_SX_EUlSW_E_NS1_11comp_targetILNS1_3genE10ELNS1_11target_archE1201ELNS1_3gpuE5ELNS1_3repE0EEENS1_30default_config_static_selectorELNS0_4arch9wavefront6targetE0EEEvT1_
	.globl	_ZN7rocprim17ROCPRIM_400000_NS6detail17trampoline_kernelINS0_14default_configENS1_27scan_by_key_config_selectorIitEEZZNS1_16scan_by_key_implILNS1_25lookback_scan_determinismE0ELb1ES3_N6thrust23THRUST_200600_302600_NS6detail15normal_iteratorINS9_10device_ptrIiEEEENSB_INSC_ItEEEESG_tNS9_4plusIvEENS9_8equal_toIvEEtEE10hipError_tPvRmT2_T3_T4_T5_mT6_T7_P12ihipStream_tbENKUlT_T0_E_clISt17integral_constantIbLb0EES10_IbLb1EEEEDaSW_SX_EUlSW_E_NS1_11comp_targetILNS1_3genE10ELNS1_11target_archE1201ELNS1_3gpuE5ELNS1_3repE0EEENS1_30default_config_static_selectorELNS0_4arch9wavefront6targetE0EEEvT1_
	.p2align	8
	.type	_ZN7rocprim17ROCPRIM_400000_NS6detail17trampoline_kernelINS0_14default_configENS1_27scan_by_key_config_selectorIitEEZZNS1_16scan_by_key_implILNS1_25lookback_scan_determinismE0ELb1ES3_N6thrust23THRUST_200600_302600_NS6detail15normal_iteratorINS9_10device_ptrIiEEEENSB_INSC_ItEEEESG_tNS9_4plusIvEENS9_8equal_toIvEEtEE10hipError_tPvRmT2_T3_T4_T5_mT6_T7_P12ihipStream_tbENKUlT_T0_E_clISt17integral_constantIbLb0EES10_IbLb1EEEEDaSW_SX_EUlSW_E_NS1_11comp_targetILNS1_3genE10ELNS1_11target_archE1201ELNS1_3gpuE5ELNS1_3repE0EEENS1_30default_config_static_selectorELNS0_4arch9wavefront6targetE0EEEvT1_,@function
_ZN7rocprim17ROCPRIM_400000_NS6detail17trampoline_kernelINS0_14default_configENS1_27scan_by_key_config_selectorIitEEZZNS1_16scan_by_key_implILNS1_25lookback_scan_determinismE0ELb1ES3_N6thrust23THRUST_200600_302600_NS6detail15normal_iteratorINS9_10device_ptrIiEEEENSB_INSC_ItEEEESG_tNS9_4plusIvEENS9_8equal_toIvEEtEE10hipError_tPvRmT2_T3_T4_T5_mT6_T7_P12ihipStream_tbENKUlT_T0_E_clISt17integral_constantIbLb0EES10_IbLb1EEEEDaSW_SX_EUlSW_E_NS1_11comp_targetILNS1_3genE10ELNS1_11target_archE1201ELNS1_3gpuE5ELNS1_3repE0EEENS1_30default_config_static_selectorELNS0_4arch9wavefront6targetE0EEEvT1_: ; @_ZN7rocprim17ROCPRIM_400000_NS6detail17trampoline_kernelINS0_14default_configENS1_27scan_by_key_config_selectorIitEEZZNS1_16scan_by_key_implILNS1_25lookback_scan_determinismE0ELb1ES3_N6thrust23THRUST_200600_302600_NS6detail15normal_iteratorINS9_10device_ptrIiEEEENSB_INSC_ItEEEESG_tNS9_4plusIvEENS9_8equal_toIvEEtEE10hipError_tPvRmT2_T3_T4_T5_mT6_T7_P12ihipStream_tbENKUlT_T0_E_clISt17integral_constantIbLb0EES10_IbLb1EEEEDaSW_SX_EUlSW_E_NS1_11comp_targetILNS1_3genE10ELNS1_11target_archE1201ELNS1_3gpuE5ELNS1_3repE0EEENS1_30default_config_static_selectorELNS0_4arch9wavefront6targetE0EEEvT1_
; %bb.0:
	.section	.rodata,"a",@progbits
	.p2align	6, 0x0
	.amdhsa_kernel _ZN7rocprim17ROCPRIM_400000_NS6detail17trampoline_kernelINS0_14default_configENS1_27scan_by_key_config_selectorIitEEZZNS1_16scan_by_key_implILNS1_25lookback_scan_determinismE0ELb1ES3_N6thrust23THRUST_200600_302600_NS6detail15normal_iteratorINS9_10device_ptrIiEEEENSB_INSC_ItEEEESG_tNS9_4plusIvEENS9_8equal_toIvEEtEE10hipError_tPvRmT2_T3_T4_T5_mT6_T7_P12ihipStream_tbENKUlT_T0_E_clISt17integral_constantIbLb0EES10_IbLb1EEEEDaSW_SX_EUlSW_E_NS1_11comp_targetILNS1_3genE10ELNS1_11target_archE1201ELNS1_3gpuE5ELNS1_3repE0EEENS1_30default_config_static_selectorELNS0_4arch9wavefront6targetE0EEEvT1_
		.amdhsa_group_segment_fixed_size 0
		.amdhsa_private_segment_fixed_size 0
		.amdhsa_kernarg_size 112
		.amdhsa_user_sgpr_count 2
		.amdhsa_user_sgpr_dispatch_ptr 0
		.amdhsa_user_sgpr_queue_ptr 0
		.amdhsa_user_sgpr_kernarg_segment_ptr 1
		.amdhsa_user_sgpr_dispatch_id 0
		.amdhsa_user_sgpr_kernarg_preload_length 0
		.amdhsa_user_sgpr_kernarg_preload_offset 0
		.amdhsa_user_sgpr_private_segment_size 0
		.amdhsa_wavefront_size32 1
		.amdhsa_uses_dynamic_stack 0
		.amdhsa_enable_private_segment 0
		.amdhsa_system_sgpr_workgroup_id_x 1
		.amdhsa_system_sgpr_workgroup_id_y 0
		.amdhsa_system_sgpr_workgroup_id_z 0
		.amdhsa_system_sgpr_workgroup_info 0
		.amdhsa_system_vgpr_workitem_id 0
		.amdhsa_next_free_vgpr 1
		.amdhsa_next_free_sgpr 1
		.amdhsa_named_barrier_count 0
		.amdhsa_reserve_vcc 0
		.amdhsa_float_round_mode_32 0
		.amdhsa_float_round_mode_16_64 0
		.amdhsa_float_denorm_mode_32 3
		.amdhsa_float_denorm_mode_16_64 3
		.amdhsa_fp16_overflow 0
		.amdhsa_memory_ordered 1
		.amdhsa_forward_progress 1
		.amdhsa_inst_pref_size 0
		.amdhsa_round_robin_scheduling 0
		.amdhsa_exception_fp_ieee_invalid_op 0
		.amdhsa_exception_fp_denorm_src 0
		.amdhsa_exception_fp_ieee_div_zero 0
		.amdhsa_exception_fp_ieee_overflow 0
		.amdhsa_exception_fp_ieee_underflow 0
		.amdhsa_exception_fp_ieee_inexact 0
		.amdhsa_exception_int_div_zero 0
	.end_amdhsa_kernel
	.section	.text._ZN7rocprim17ROCPRIM_400000_NS6detail17trampoline_kernelINS0_14default_configENS1_27scan_by_key_config_selectorIitEEZZNS1_16scan_by_key_implILNS1_25lookback_scan_determinismE0ELb1ES3_N6thrust23THRUST_200600_302600_NS6detail15normal_iteratorINS9_10device_ptrIiEEEENSB_INSC_ItEEEESG_tNS9_4plusIvEENS9_8equal_toIvEEtEE10hipError_tPvRmT2_T3_T4_T5_mT6_T7_P12ihipStream_tbENKUlT_T0_E_clISt17integral_constantIbLb0EES10_IbLb1EEEEDaSW_SX_EUlSW_E_NS1_11comp_targetILNS1_3genE10ELNS1_11target_archE1201ELNS1_3gpuE5ELNS1_3repE0EEENS1_30default_config_static_selectorELNS0_4arch9wavefront6targetE0EEEvT1_,"axG",@progbits,_ZN7rocprim17ROCPRIM_400000_NS6detail17trampoline_kernelINS0_14default_configENS1_27scan_by_key_config_selectorIitEEZZNS1_16scan_by_key_implILNS1_25lookback_scan_determinismE0ELb1ES3_N6thrust23THRUST_200600_302600_NS6detail15normal_iteratorINS9_10device_ptrIiEEEENSB_INSC_ItEEEESG_tNS9_4plusIvEENS9_8equal_toIvEEtEE10hipError_tPvRmT2_T3_T4_T5_mT6_T7_P12ihipStream_tbENKUlT_T0_E_clISt17integral_constantIbLb0EES10_IbLb1EEEEDaSW_SX_EUlSW_E_NS1_11comp_targetILNS1_3genE10ELNS1_11target_archE1201ELNS1_3gpuE5ELNS1_3repE0EEENS1_30default_config_static_selectorELNS0_4arch9wavefront6targetE0EEEvT1_,comdat
.Lfunc_end1563:
	.size	_ZN7rocprim17ROCPRIM_400000_NS6detail17trampoline_kernelINS0_14default_configENS1_27scan_by_key_config_selectorIitEEZZNS1_16scan_by_key_implILNS1_25lookback_scan_determinismE0ELb1ES3_N6thrust23THRUST_200600_302600_NS6detail15normal_iteratorINS9_10device_ptrIiEEEENSB_INSC_ItEEEESG_tNS9_4plusIvEENS9_8equal_toIvEEtEE10hipError_tPvRmT2_T3_T4_T5_mT6_T7_P12ihipStream_tbENKUlT_T0_E_clISt17integral_constantIbLb0EES10_IbLb1EEEEDaSW_SX_EUlSW_E_NS1_11comp_targetILNS1_3genE10ELNS1_11target_archE1201ELNS1_3gpuE5ELNS1_3repE0EEENS1_30default_config_static_selectorELNS0_4arch9wavefront6targetE0EEEvT1_, .Lfunc_end1563-_ZN7rocprim17ROCPRIM_400000_NS6detail17trampoline_kernelINS0_14default_configENS1_27scan_by_key_config_selectorIitEEZZNS1_16scan_by_key_implILNS1_25lookback_scan_determinismE0ELb1ES3_N6thrust23THRUST_200600_302600_NS6detail15normal_iteratorINS9_10device_ptrIiEEEENSB_INSC_ItEEEESG_tNS9_4plusIvEENS9_8equal_toIvEEtEE10hipError_tPvRmT2_T3_T4_T5_mT6_T7_P12ihipStream_tbENKUlT_T0_E_clISt17integral_constantIbLb0EES10_IbLb1EEEEDaSW_SX_EUlSW_E_NS1_11comp_targetILNS1_3genE10ELNS1_11target_archE1201ELNS1_3gpuE5ELNS1_3repE0EEENS1_30default_config_static_selectorELNS0_4arch9wavefront6targetE0EEEvT1_
                                        ; -- End function
	.set _ZN7rocprim17ROCPRIM_400000_NS6detail17trampoline_kernelINS0_14default_configENS1_27scan_by_key_config_selectorIitEEZZNS1_16scan_by_key_implILNS1_25lookback_scan_determinismE0ELb1ES3_N6thrust23THRUST_200600_302600_NS6detail15normal_iteratorINS9_10device_ptrIiEEEENSB_INSC_ItEEEESG_tNS9_4plusIvEENS9_8equal_toIvEEtEE10hipError_tPvRmT2_T3_T4_T5_mT6_T7_P12ihipStream_tbENKUlT_T0_E_clISt17integral_constantIbLb0EES10_IbLb1EEEEDaSW_SX_EUlSW_E_NS1_11comp_targetILNS1_3genE10ELNS1_11target_archE1201ELNS1_3gpuE5ELNS1_3repE0EEENS1_30default_config_static_selectorELNS0_4arch9wavefront6targetE0EEEvT1_.num_vgpr, 0
	.set _ZN7rocprim17ROCPRIM_400000_NS6detail17trampoline_kernelINS0_14default_configENS1_27scan_by_key_config_selectorIitEEZZNS1_16scan_by_key_implILNS1_25lookback_scan_determinismE0ELb1ES3_N6thrust23THRUST_200600_302600_NS6detail15normal_iteratorINS9_10device_ptrIiEEEENSB_INSC_ItEEEESG_tNS9_4plusIvEENS9_8equal_toIvEEtEE10hipError_tPvRmT2_T3_T4_T5_mT6_T7_P12ihipStream_tbENKUlT_T0_E_clISt17integral_constantIbLb0EES10_IbLb1EEEEDaSW_SX_EUlSW_E_NS1_11comp_targetILNS1_3genE10ELNS1_11target_archE1201ELNS1_3gpuE5ELNS1_3repE0EEENS1_30default_config_static_selectorELNS0_4arch9wavefront6targetE0EEEvT1_.num_agpr, 0
	.set _ZN7rocprim17ROCPRIM_400000_NS6detail17trampoline_kernelINS0_14default_configENS1_27scan_by_key_config_selectorIitEEZZNS1_16scan_by_key_implILNS1_25lookback_scan_determinismE0ELb1ES3_N6thrust23THRUST_200600_302600_NS6detail15normal_iteratorINS9_10device_ptrIiEEEENSB_INSC_ItEEEESG_tNS9_4plusIvEENS9_8equal_toIvEEtEE10hipError_tPvRmT2_T3_T4_T5_mT6_T7_P12ihipStream_tbENKUlT_T0_E_clISt17integral_constantIbLb0EES10_IbLb1EEEEDaSW_SX_EUlSW_E_NS1_11comp_targetILNS1_3genE10ELNS1_11target_archE1201ELNS1_3gpuE5ELNS1_3repE0EEENS1_30default_config_static_selectorELNS0_4arch9wavefront6targetE0EEEvT1_.numbered_sgpr, 0
	.set _ZN7rocprim17ROCPRIM_400000_NS6detail17trampoline_kernelINS0_14default_configENS1_27scan_by_key_config_selectorIitEEZZNS1_16scan_by_key_implILNS1_25lookback_scan_determinismE0ELb1ES3_N6thrust23THRUST_200600_302600_NS6detail15normal_iteratorINS9_10device_ptrIiEEEENSB_INSC_ItEEEESG_tNS9_4plusIvEENS9_8equal_toIvEEtEE10hipError_tPvRmT2_T3_T4_T5_mT6_T7_P12ihipStream_tbENKUlT_T0_E_clISt17integral_constantIbLb0EES10_IbLb1EEEEDaSW_SX_EUlSW_E_NS1_11comp_targetILNS1_3genE10ELNS1_11target_archE1201ELNS1_3gpuE5ELNS1_3repE0EEENS1_30default_config_static_selectorELNS0_4arch9wavefront6targetE0EEEvT1_.num_named_barrier, 0
	.set _ZN7rocprim17ROCPRIM_400000_NS6detail17trampoline_kernelINS0_14default_configENS1_27scan_by_key_config_selectorIitEEZZNS1_16scan_by_key_implILNS1_25lookback_scan_determinismE0ELb1ES3_N6thrust23THRUST_200600_302600_NS6detail15normal_iteratorINS9_10device_ptrIiEEEENSB_INSC_ItEEEESG_tNS9_4plusIvEENS9_8equal_toIvEEtEE10hipError_tPvRmT2_T3_T4_T5_mT6_T7_P12ihipStream_tbENKUlT_T0_E_clISt17integral_constantIbLb0EES10_IbLb1EEEEDaSW_SX_EUlSW_E_NS1_11comp_targetILNS1_3genE10ELNS1_11target_archE1201ELNS1_3gpuE5ELNS1_3repE0EEENS1_30default_config_static_selectorELNS0_4arch9wavefront6targetE0EEEvT1_.private_seg_size, 0
	.set _ZN7rocprim17ROCPRIM_400000_NS6detail17trampoline_kernelINS0_14default_configENS1_27scan_by_key_config_selectorIitEEZZNS1_16scan_by_key_implILNS1_25lookback_scan_determinismE0ELb1ES3_N6thrust23THRUST_200600_302600_NS6detail15normal_iteratorINS9_10device_ptrIiEEEENSB_INSC_ItEEEESG_tNS9_4plusIvEENS9_8equal_toIvEEtEE10hipError_tPvRmT2_T3_T4_T5_mT6_T7_P12ihipStream_tbENKUlT_T0_E_clISt17integral_constantIbLb0EES10_IbLb1EEEEDaSW_SX_EUlSW_E_NS1_11comp_targetILNS1_3genE10ELNS1_11target_archE1201ELNS1_3gpuE5ELNS1_3repE0EEENS1_30default_config_static_selectorELNS0_4arch9wavefront6targetE0EEEvT1_.uses_vcc, 0
	.set _ZN7rocprim17ROCPRIM_400000_NS6detail17trampoline_kernelINS0_14default_configENS1_27scan_by_key_config_selectorIitEEZZNS1_16scan_by_key_implILNS1_25lookback_scan_determinismE0ELb1ES3_N6thrust23THRUST_200600_302600_NS6detail15normal_iteratorINS9_10device_ptrIiEEEENSB_INSC_ItEEEESG_tNS9_4plusIvEENS9_8equal_toIvEEtEE10hipError_tPvRmT2_T3_T4_T5_mT6_T7_P12ihipStream_tbENKUlT_T0_E_clISt17integral_constantIbLb0EES10_IbLb1EEEEDaSW_SX_EUlSW_E_NS1_11comp_targetILNS1_3genE10ELNS1_11target_archE1201ELNS1_3gpuE5ELNS1_3repE0EEENS1_30default_config_static_selectorELNS0_4arch9wavefront6targetE0EEEvT1_.uses_flat_scratch, 0
	.set _ZN7rocprim17ROCPRIM_400000_NS6detail17trampoline_kernelINS0_14default_configENS1_27scan_by_key_config_selectorIitEEZZNS1_16scan_by_key_implILNS1_25lookback_scan_determinismE0ELb1ES3_N6thrust23THRUST_200600_302600_NS6detail15normal_iteratorINS9_10device_ptrIiEEEENSB_INSC_ItEEEESG_tNS9_4plusIvEENS9_8equal_toIvEEtEE10hipError_tPvRmT2_T3_T4_T5_mT6_T7_P12ihipStream_tbENKUlT_T0_E_clISt17integral_constantIbLb0EES10_IbLb1EEEEDaSW_SX_EUlSW_E_NS1_11comp_targetILNS1_3genE10ELNS1_11target_archE1201ELNS1_3gpuE5ELNS1_3repE0EEENS1_30default_config_static_selectorELNS0_4arch9wavefront6targetE0EEEvT1_.has_dyn_sized_stack, 0
	.set _ZN7rocprim17ROCPRIM_400000_NS6detail17trampoline_kernelINS0_14default_configENS1_27scan_by_key_config_selectorIitEEZZNS1_16scan_by_key_implILNS1_25lookback_scan_determinismE0ELb1ES3_N6thrust23THRUST_200600_302600_NS6detail15normal_iteratorINS9_10device_ptrIiEEEENSB_INSC_ItEEEESG_tNS9_4plusIvEENS9_8equal_toIvEEtEE10hipError_tPvRmT2_T3_T4_T5_mT6_T7_P12ihipStream_tbENKUlT_T0_E_clISt17integral_constantIbLb0EES10_IbLb1EEEEDaSW_SX_EUlSW_E_NS1_11comp_targetILNS1_3genE10ELNS1_11target_archE1201ELNS1_3gpuE5ELNS1_3repE0EEENS1_30default_config_static_selectorELNS0_4arch9wavefront6targetE0EEEvT1_.has_recursion, 0
	.set _ZN7rocprim17ROCPRIM_400000_NS6detail17trampoline_kernelINS0_14default_configENS1_27scan_by_key_config_selectorIitEEZZNS1_16scan_by_key_implILNS1_25lookback_scan_determinismE0ELb1ES3_N6thrust23THRUST_200600_302600_NS6detail15normal_iteratorINS9_10device_ptrIiEEEENSB_INSC_ItEEEESG_tNS9_4plusIvEENS9_8equal_toIvEEtEE10hipError_tPvRmT2_T3_T4_T5_mT6_T7_P12ihipStream_tbENKUlT_T0_E_clISt17integral_constantIbLb0EES10_IbLb1EEEEDaSW_SX_EUlSW_E_NS1_11comp_targetILNS1_3genE10ELNS1_11target_archE1201ELNS1_3gpuE5ELNS1_3repE0EEENS1_30default_config_static_selectorELNS0_4arch9wavefront6targetE0EEEvT1_.has_indirect_call, 0
	.section	.AMDGPU.csdata,"",@progbits
; Kernel info:
; codeLenInByte = 0
; TotalNumSgprs: 0
; NumVgprs: 0
; ScratchSize: 0
; MemoryBound: 0
; FloatMode: 240
; IeeeMode: 1
; LDSByteSize: 0 bytes/workgroup (compile time only)
; SGPRBlocks: 0
; VGPRBlocks: 0
; NumSGPRsForWavesPerEU: 1
; NumVGPRsForWavesPerEU: 1
; NamedBarCnt: 0
; Occupancy: 16
; WaveLimiterHint : 0
; COMPUTE_PGM_RSRC2:SCRATCH_EN: 0
; COMPUTE_PGM_RSRC2:USER_SGPR: 2
; COMPUTE_PGM_RSRC2:TRAP_HANDLER: 0
; COMPUTE_PGM_RSRC2:TGID_X_EN: 1
; COMPUTE_PGM_RSRC2:TGID_Y_EN: 0
; COMPUTE_PGM_RSRC2:TGID_Z_EN: 0
; COMPUTE_PGM_RSRC2:TIDIG_COMP_CNT: 0
	.section	.text._ZN7rocprim17ROCPRIM_400000_NS6detail17trampoline_kernelINS0_14default_configENS1_27scan_by_key_config_selectorIitEEZZNS1_16scan_by_key_implILNS1_25lookback_scan_determinismE0ELb1ES3_N6thrust23THRUST_200600_302600_NS6detail15normal_iteratorINS9_10device_ptrIiEEEENSB_INSC_ItEEEESG_tNS9_4plusIvEENS9_8equal_toIvEEtEE10hipError_tPvRmT2_T3_T4_T5_mT6_T7_P12ihipStream_tbENKUlT_T0_E_clISt17integral_constantIbLb0EES10_IbLb1EEEEDaSW_SX_EUlSW_E_NS1_11comp_targetILNS1_3genE5ELNS1_11target_archE942ELNS1_3gpuE9ELNS1_3repE0EEENS1_30default_config_static_selectorELNS0_4arch9wavefront6targetE0EEEvT1_,"axG",@progbits,_ZN7rocprim17ROCPRIM_400000_NS6detail17trampoline_kernelINS0_14default_configENS1_27scan_by_key_config_selectorIitEEZZNS1_16scan_by_key_implILNS1_25lookback_scan_determinismE0ELb1ES3_N6thrust23THRUST_200600_302600_NS6detail15normal_iteratorINS9_10device_ptrIiEEEENSB_INSC_ItEEEESG_tNS9_4plusIvEENS9_8equal_toIvEEtEE10hipError_tPvRmT2_T3_T4_T5_mT6_T7_P12ihipStream_tbENKUlT_T0_E_clISt17integral_constantIbLb0EES10_IbLb1EEEEDaSW_SX_EUlSW_E_NS1_11comp_targetILNS1_3genE5ELNS1_11target_archE942ELNS1_3gpuE9ELNS1_3repE0EEENS1_30default_config_static_selectorELNS0_4arch9wavefront6targetE0EEEvT1_,comdat
	.protected	_ZN7rocprim17ROCPRIM_400000_NS6detail17trampoline_kernelINS0_14default_configENS1_27scan_by_key_config_selectorIitEEZZNS1_16scan_by_key_implILNS1_25lookback_scan_determinismE0ELb1ES3_N6thrust23THRUST_200600_302600_NS6detail15normal_iteratorINS9_10device_ptrIiEEEENSB_INSC_ItEEEESG_tNS9_4plusIvEENS9_8equal_toIvEEtEE10hipError_tPvRmT2_T3_T4_T5_mT6_T7_P12ihipStream_tbENKUlT_T0_E_clISt17integral_constantIbLb0EES10_IbLb1EEEEDaSW_SX_EUlSW_E_NS1_11comp_targetILNS1_3genE5ELNS1_11target_archE942ELNS1_3gpuE9ELNS1_3repE0EEENS1_30default_config_static_selectorELNS0_4arch9wavefront6targetE0EEEvT1_ ; -- Begin function _ZN7rocprim17ROCPRIM_400000_NS6detail17trampoline_kernelINS0_14default_configENS1_27scan_by_key_config_selectorIitEEZZNS1_16scan_by_key_implILNS1_25lookback_scan_determinismE0ELb1ES3_N6thrust23THRUST_200600_302600_NS6detail15normal_iteratorINS9_10device_ptrIiEEEENSB_INSC_ItEEEESG_tNS9_4plusIvEENS9_8equal_toIvEEtEE10hipError_tPvRmT2_T3_T4_T5_mT6_T7_P12ihipStream_tbENKUlT_T0_E_clISt17integral_constantIbLb0EES10_IbLb1EEEEDaSW_SX_EUlSW_E_NS1_11comp_targetILNS1_3genE5ELNS1_11target_archE942ELNS1_3gpuE9ELNS1_3repE0EEENS1_30default_config_static_selectorELNS0_4arch9wavefront6targetE0EEEvT1_
	.globl	_ZN7rocprim17ROCPRIM_400000_NS6detail17trampoline_kernelINS0_14default_configENS1_27scan_by_key_config_selectorIitEEZZNS1_16scan_by_key_implILNS1_25lookback_scan_determinismE0ELb1ES3_N6thrust23THRUST_200600_302600_NS6detail15normal_iteratorINS9_10device_ptrIiEEEENSB_INSC_ItEEEESG_tNS9_4plusIvEENS9_8equal_toIvEEtEE10hipError_tPvRmT2_T3_T4_T5_mT6_T7_P12ihipStream_tbENKUlT_T0_E_clISt17integral_constantIbLb0EES10_IbLb1EEEEDaSW_SX_EUlSW_E_NS1_11comp_targetILNS1_3genE5ELNS1_11target_archE942ELNS1_3gpuE9ELNS1_3repE0EEENS1_30default_config_static_selectorELNS0_4arch9wavefront6targetE0EEEvT1_
	.p2align	8
	.type	_ZN7rocprim17ROCPRIM_400000_NS6detail17trampoline_kernelINS0_14default_configENS1_27scan_by_key_config_selectorIitEEZZNS1_16scan_by_key_implILNS1_25lookback_scan_determinismE0ELb1ES3_N6thrust23THRUST_200600_302600_NS6detail15normal_iteratorINS9_10device_ptrIiEEEENSB_INSC_ItEEEESG_tNS9_4plusIvEENS9_8equal_toIvEEtEE10hipError_tPvRmT2_T3_T4_T5_mT6_T7_P12ihipStream_tbENKUlT_T0_E_clISt17integral_constantIbLb0EES10_IbLb1EEEEDaSW_SX_EUlSW_E_NS1_11comp_targetILNS1_3genE5ELNS1_11target_archE942ELNS1_3gpuE9ELNS1_3repE0EEENS1_30default_config_static_selectorELNS0_4arch9wavefront6targetE0EEEvT1_,@function
_ZN7rocprim17ROCPRIM_400000_NS6detail17trampoline_kernelINS0_14default_configENS1_27scan_by_key_config_selectorIitEEZZNS1_16scan_by_key_implILNS1_25lookback_scan_determinismE0ELb1ES3_N6thrust23THRUST_200600_302600_NS6detail15normal_iteratorINS9_10device_ptrIiEEEENSB_INSC_ItEEEESG_tNS9_4plusIvEENS9_8equal_toIvEEtEE10hipError_tPvRmT2_T3_T4_T5_mT6_T7_P12ihipStream_tbENKUlT_T0_E_clISt17integral_constantIbLb0EES10_IbLb1EEEEDaSW_SX_EUlSW_E_NS1_11comp_targetILNS1_3genE5ELNS1_11target_archE942ELNS1_3gpuE9ELNS1_3repE0EEENS1_30default_config_static_selectorELNS0_4arch9wavefront6targetE0EEEvT1_: ; @_ZN7rocprim17ROCPRIM_400000_NS6detail17trampoline_kernelINS0_14default_configENS1_27scan_by_key_config_selectorIitEEZZNS1_16scan_by_key_implILNS1_25lookback_scan_determinismE0ELb1ES3_N6thrust23THRUST_200600_302600_NS6detail15normal_iteratorINS9_10device_ptrIiEEEENSB_INSC_ItEEEESG_tNS9_4plusIvEENS9_8equal_toIvEEtEE10hipError_tPvRmT2_T3_T4_T5_mT6_T7_P12ihipStream_tbENKUlT_T0_E_clISt17integral_constantIbLb0EES10_IbLb1EEEEDaSW_SX_EUlSW_E_NS1_11comp_targetILNS1_3genE5ELNS1_11target_archE942ELNS1_3gpuE9ELNS1_3repE0EEENS1_30default_config_static_selectorELNS0_4arch9wavefront6targetE0EEEvT1_
; %bb.0:
	.section	.rodata,"a",@progbits
	.p2align	6, 0x0
	.amdhsa_kernel _ZN7rocprim17ROCPRIM_400000_NS6detail17trampoline_kernelINS0_14default_configENS1_27scan_by_key_config_selectorIitEEZZNS1_16scan_by_key_implILNS1_25lookback_scan_determinismE0ELb1ES3_N6thrust23THRUST_200600_302600_NS6detail15normal_iteratorINS9_10device_ptrIiEEEENSB_INSC_ItEEEESG_tNS9_4plusIvEENS9_8equal_toIvEEtEE10hipError_tPvRmT2_T3_T4_T5_mT6_T7_P12ihipStream_tbENKUlT_T0_E_clISt17integral_constantIbLb0EES10_IbLb1EEEEDaSW_SX_EUlSW_E_NS1_11comp_targetILNS1_3genE5ELNS1_11target_archE942ELNS1_3gpuE9ELNS1_3repE0EEENS1_30default_config_static_selectorELNS0_4arch9wavefront6targetE0EEEvT1_
		.amdhsa_group_segment_fixed_size 0
		.amdhsa_private_segment_fixed_size 0
		.amdhsa_kernarg_size 112
		.amdhsa_user_sgpr_count 2
		.amdhsa_user_sgpr_dispatch_ptr 0
		.amdhsa_user_sgpr_queue_ptr 0
		.amdhsa_user_sgpr_kernarg_segment_ptr 1
		.amdhsa_user_sgpr_dispatch_id 0
		.amdhsa_user_sgpr_kernarg_preload_length 0
		.amdhsa_user_sgpr_kernarg_preload_offset 0
		.amdhsa_user_sgpr_private_segment_size 0
		.amdhsa_wavefront_size32 1
		.amdhsa_uses_dynamic_stack 0
		.amdhsa_enable_private_segment 0
		.amdhsa_system_sgpr_workgroup_id_x 1
		.amdhsa_system_sgpr_workgroup_id_y 0
		.amdhsa_system_sgpr_workgroup_id_z 0
		.amdhsa_system_sgpr_workgroup_info 0
		.amdhsa_system_vgpr_workitem_id 0
		.amdhsa_next_free_vgpr 1
		.amdhsa_next_free_sgpr 1
		.amdhsa_named_barrier_count 0
		.amdhsa_reserve_vcc 0
		.amdhsa_float_round_mode_32 0
		.amdhsa_float_round_mode_16_64 0
		.amdhsa_float_denorm_mode_32 3
		.amdhsa_float_denorm_mode_16_64 3
		.amdhsa_fp16_overflow 0
		.amdhsa_memory_ordered 1
		.amdhsa_forward_progress 1
		.amdhsa_inst_pref_size 0
		.amdhsa_round_robin_scheduling 0
		.amdhsa_exception_fp_ieee_invalid_op 0
		.amdhsa_exception_fp_denorm_src 0
		.amdhsa_exception_fp_ieee_div_zero 0
		.amdhsa_exception_fp_ieee_overflow 0
		.amdhsa_exception_fp_ieee_underflow 0
		.amdhsa_exception_fp_ieee_inexact 0
		.amdhsa_exception_int_div_zero 0
	.end_amdhsa_kernel
	.section	.text._ZN7rocprim17ROCPRIM_400000_NS6detail17trampoline_kernelINS0_14default_configENS1_27scan_by_key_config_selectorIitEEZZNS1_16scan_by_key_implILNS1_25lookback_scan_determinismE0ELb1ES3_N6thrust23THRUST_200600_302600_NS6detail15normal_iteratorINS9_10device_ptrIiEEEENSB_INSC_ItEEEESG_tNS9_4plusIvEENS9_8equal_toIvEEtEE10hipError_tPvRmT2_T3_T4_T5_mT6_T7_P12ihipStream_tbENKUlT_T0_E_clISt17integral_constantIbLb0EES10_IbLb1EEEEDaSW_SX_EUlSW_E_NS1_11comp_targetILNS1_3genE5ELNS1_11target_archE942ELNS1_3gpuE9ELNS1_3repE0EEENS1_30default_config_static_selectorELNS0_4arch9wavefront6targetE0EEEvT1_,"axG",@progbits,_ZN7rocprim17ROCPRIM_400000_NS6detail17trampoline_kernelINS0_14default_configENS1_27scan_by_key_config_selectorIitEEZZNS1_16scan_by_key_implILNS1_25lookback_scan_determinismE0ELb1ES3_N6thrust23THRUST_200600_302600_NS6detail15normal_iteratorINS9_10device_ptrIiEEEENSB_INSC_ItEEEESG_tNS9_4plusIvEENS9_8equal_toIvEEtEE10hipError_tPvRmT2_T3_T4_T5_mT6_T7_P12ihipStream_tbENKUlT_T0_E_clISt17integral_constantIbLb0EES10_IbLb1EEEEDaSW_SX_EUlSW_E_NS1_11comp_targetILNS1_3genE5ELNS1_11target_archE942ELNS1_3gpuE9ELNS1_3repE0EEENS1_30default_config_static_selectorELNS0_4arch9wavefront6targetE0EEEvT1_,comdat
.Lfunc_end1564:
	.size	_ZN7rocprim17ROCPRIM_400000_NS6detail17trampoline_kernelINS0_14default_configENS1_27scan_by_key_config_selectorIitEEZZNS1_16scan_by_key_implILNS1_25lookback_scan_determinismE0ELb1ES3_N6thrust23THRUST_200600_302600_NS6detail15normal_iteratorINS9_10device_ptrIiEEEENSB_INSC_ItEEEESG_tNS9_4plusIvEENS9_8equal_toIvEEtEE10hipError_tPvRmT2_T3_T4_T5_mT6_T7_P12ihipStream_tbENKUlT_T0_E_clISt17integral_constantIbLb0EES10_IbLb1EEEEDaSW_SX_EUlSW_E_NS1_11comp_targetILNS1_3genE5ELNS1_11target_archE942ELNS1_3gpuE9ELNS1_3repE0EEENS1_30default_config_static_selectorELNS0_4arch9wavefront6targetE0EEEvT1_, .Lfunc_end1564-_ZN7rocprim17ROCPRIM_400000_NS6detail17trampoline_kernelINS0_14default_configENS1_27scan_by_key_config_selectorIitEEZZNS1_16scan_by_key_implILNS1_25lookback_scan_determinismE0ELb1ES3_N6thrust23THRUST_200600_302600_NS6detail15normal_iteratorINS9_10device_ptrIiEEEENSB_INSC_ItEEEESG_tNS9_4plusIvEENS9_8equal_toIvEEtEE10hipError_tPvRmT2_T3_T4_T5_mT6_T7_P12ihipStream_tbENKUlT_T0_E_clISt17integral_constantIbLb0EES10_IbLb1EEEEDaSW_SX_EUlSW_E_NS1_11comp_targetILNS1_3genE5ELNS1_11target_archE942ELNS1_3gpuE9ELNS1_3repE0EEENS1_30default_config_static_selectorELNS0_4arch9wavefront6targetE0EEEvT1_
                                        ; -- End function
	.set _ZN7rocprim17ROCPRIM_400000_NS6detail17trampoline_kernelINS0_14default_configENS1_27scan_by_key_config_selectorIitEEZZNS1_16scan_by_key_implILNS1_25lookback_scan_determinismE0ELb1ES3_N6thrust23THRUST_200600_302600_NS6detail15normal_iteratorINS9_10device_ptrIiEEEENSB_INSC_ItEEEESG_tNS9_4plusIvEENS9_8equal_toIvEEtEE10hipError_tPvRmT2_T3_T4_T5_mT6_T7_P12ihipStream_tbENKUlT_T0_E_clISt17integral_constantIbLb0EES10_IbLb1EEEEDaSW_SX_EUlSW_E_NS1_11comp_targetILNS1_3genE5ELNS1_11target_archE942ELNS1_3gpuE9ELNS1_3repE0EEENS1_30default_config_static_selectorELNS0_4arch9wavefront6targetE0EEEvT1_.num_vgpr, 0
	.set _ZN7rocprim17ROCPRIM_400000_NS6detail17trampoline_kernelINS0_14default_configENS1_27scan_by_key_config_selectorIitEEZZNS1_16scan_by_key_implILNS1_25lookback_scan_determinismE0ELb1ES3_N6thrust23THRUST_200600_302600_NS6detail15normal_iteratorINS9_10device_ptrIiEEEENSB_INSC_ItEEEESG_tNS9_4plusIvEENS9_8equal_toIvEEtEE10hipError_tPvRmT2_T3_T4_T5_mT6_T7_P12ihipStream_tbENKUlT_T0_E_clISt17integral_constantIbLb0EES10_IbLb1EEEEDaSW_SX_EUlSW_E_NS1_11comp_targetILNS1_3genE5ELNS1_11target_archE942ELNS1_3gpuE9ELNS1_3repE0EEENS1_30default_config_static_selectorELNS0_4arch9wavefront6targetE0EEEvT1_.num_agpr, 0
	.set _ZN7rocprim17ROCPRIM_400000_NS6detail17trampoline_kernelINS0_14default_configENS1_27scan_by_key_config_selectorIitEEZZNS1_16scan_by_key_implILNS1_25lookback_scan_determinismE0ELb1ES3_N6thrust23THRUST_200600_302600_NS6detail15normal_iteratorINS9_10device_ptrIiEEEENSB_INSC_ItEEEESG_tNS9_4plusIvEENS9_8equal_toIvEEtEE10hipError_tPvRmT2_T3_T4_T5_mT6_T7_P12ihipStream_tbENKUlT_T0_E_clISt17integral_constantIbLb0EES10_IbLb1EEEEDaSW_SX_EUlSW_E_NS1_11comp_targetILNS1_3genE5ELNS1_11target_archE942ELNS1_3gpuE9ELNS1_3repE0EEENS1_30default_config_static_selectorELNS0_4arch9wavefront6targetE0EEEvT1_.numbered_sgpr, 0
	.set _ZN7rocprim17ROCPRIM_400000_NS6detail17trampoline_kernelINS0_14default_configENS1_27scan_by_key_config_selectorIitEEZZNS1_16scan_by_key_implILNS1_25lookback_scan_determinismE0ELb1ES3_N6thrust23THRUST_200600_302600_NS6detail15normal_iteratorINS9_10device_ptrIiEEEENSB_INSC_ItEEEESG_tNS9_4plusIvEENS9_8equal_toIvEEtEE10hipError_tPvRmT2_T3_T4_T5_mT6_T7_P12ihipStream_tbENKUlT_T0_E_clISt17integral_constantIbLb0EES10_IbLb1EEEEDaSW_SX_EUlSW_E_NS1_11comp_targetILNS1_3genE5ELNS1_11target_archE942ELNS1_3gpuE9ELNS1_3repE0EEENS1_30default_config_static_selectorELNS0_4arch9wavefront6targetE0EEEvT1_.num_named_barrier, 0
	.set _ZN7rocprim17ROCPRIM_400000_NS6detail17trampoline_kernelINS0_14default_configENS1_27scan_by_key_config_selectorIitEEZZNS1_16scan_by_key_implILNS1_25lookback_scan_determinismE0ELb1ES3_N6thrust23THRUST_200600_302600_NS6detail15normal_iteratorINS9_10device_ptrIiEEEENSB_INSC_ItEEEESG_tNS9_4plusIvEENS9_8equal_toIvEEtEE10hipError_tPvRmT2_T3_T4_T5_mT6_T7_P12ihipStream_tbENKUlT_T0_E_clISt17integral_constantIbLb0EES10_IbLb1EEEEDaSW_SX_EUlSW_E_NS1_11comp_targetILNS1_3genE5ELNS1_11target_archE942ELNS1_3gpuE9ELNS1_3repE0EEENS1_30default_config_static_selectorELNS0_4arch9wavefront6targetE0EEEvT1_.private_seg_size, 0
	.set _ZN7rocprim17ROCPRIM_400000_NS6detail17trampoline_kernelINS0_14default_configENS1_27scan_by_key_config_selectorIitEEZZNS1_16scan_by_key_implILNS1_25lookback_scan_determinismE0ELb1ES3_N6thrust23THRUST_200600_302600_NS6detail15normal_iteratorINS9_10device_ptrIiEEEENSB_INSC_ItEEEESG_tNS9_4plusIvEENS9_8equal_toIvEEtEE10hipError_tPvRmT2_T3_T4_T5_mT6_T7_P12ihipStream_tbENKUlT_T0_E_clISt17integral_constantIbLb0EES10_IbLb1EEEEDaSW_SX_EUlSW_E_NS1_11comp_targetILNS1_3genE5ELNS1_11target_archE942ELNS1_3gpuE9ELNS1_3repE0EEENS1_30default_config_static_selectorELNS0_4arch9wavefront6targetE0EEEvT1_.uses_vcc, 0
	.set _ZN7rocprim17ROCPRIM_400000_NS6detail17trampoline_kernelINS0_14default_configENS1_27scan_by_key_config_selectorIitEEZZNS1_16scan_by_key_implILNS1_25lookback_scan_determinismE0ELb1ES3_N6thrust23THRUST_200600_302600_NS6detail15normal_iteratorINS9_10device_ptrIiEEEENSB_INSC_ItEEEESG_tNS9_4plusIvEENS9_8equal_toIvEEtEE10hipError_tPvRmT2_T3_T4_T5_mT6_T7_P12ihipStream_tbENKUlT_T0_E_clISt17integral_constantIbLb0EES10_IbLb1EEEEDaSW_SX_EUlSW_E_NS1_11comp_targetILNS1_3genE5ELNS1_11target_archE942ELNS1_3gpuE9ELNS1_3repE0EEENS1_30default_config_static_selectorELNS0_4arch9wavefront6targetE0EEEvT1_.uses_flat_scratch, 0
	.set _ZN7rocprim17ROCPRIM_400000_NS6detail17trampoline_kernelINS0_14default_configENS1_27scan_by_key_config_selectorIitEEZZNS1_16scan_by_key_implILNS1_25lookback_scan_determinismE0ELb1ES3_N6thrust23THRUST_200600_302600_NS6detail15normal_iteratorINS9_10device_ptrIiEEEENSB_INSC_ItEEEESG_tNS9_4plusIvEENS9_8equal_toIvEEtEE10hipError_tPvRmT2_T3_T4_T5_mT6_T7_P12ihipStream_tbENKUlT_T0_E_clISt17integral_constantIbLb0EES10_IbLb1EEEEDaSW_SX_EUlSW_E_NS1_11comp_targetILNS1_3genE5ELNS1_11target_archE942ELNS1_3gpuE9ELNS1_3repE0EEENS1_30default_config_static_selectorELNS0_4arch9wavefront6targetE0EEEvT1_.has_dyn_sized_stack, 0
	.set _ZN7rocprim17ROCPRIM_400000_NS6detail17trampoline_kernelINS0_14default_configENS1_27scan_by_key_config_selectorIitEEZZNS1_16scan_by_key_implILNS1_25lookback_scan_determinismE0ELb1ES3_N6thrust23THRUST_200600_302600_NS6detail15normal_iteratorINS9_10device_ptrIiEEEENSB_INSC_ItEEEESG_tNS9_4plusIvEENS9_8equal_toIvEEtEE10hipError_tPvRmT2_T3_T4_T5_mT6_T7_P12ihipStream_tbENKUlT_T0_E_clISt17integral_constantIbLb0EES10_IbLb1EEEEDaSW_SX_EUlSW_E_NS1_11comp_targetILNS1_3genE5ELNS1_11target_archE942ELNS1_3gpuE9ELNS1_3repE0EEENS1_30default_config_static_selectorELNS0_4arch9wavefront6targetE0EEEvT1_.has_recursion, 0
	.set _ZN7rocprim17ROCPRIM_400000_NS6detail17trampoline_kernelINS0_14default_configENS1_27scan_by_key_config_selectorIitEEZZNS1_16scan_by_key_implILNS1_25lookback_scan_determinismE0ELb1ES3_N6thrust23THRUST_200600_302600_NS6detail15normal_iteratorINS9_10device_ptrIiEEEENSB_INSC_ItEEEESG_tNS9_4plusIvEENS9_8equal_toIvEEtEE10hipError_tPvRmT2_T3_T4_T5_mT6_T7_P12ihipStream_tbENKUlT_T0_E_clISt17integral_constantIbLb0EES10_IbLb1EEEEDaSW_SX_EUlSW_E_NS1_11comp_targetILNS1_3genE5ELNS1_11target_archE942ELNS1_3gpuE9ELNS1_3repE0EEENS1_30default_config_static_selectorELNS0_4arch9wavefront6targetE0EEEvT1_.has_indirect_call, 0
	.section	.AMDGPU.csdata,"",@progbits
; Kernel info:
; codeLenInByte = 0
; TotalNumSgprs: 0
; NumVgprs: 0
; ScratchSize: 0
; MemoryBound: 0
; FloatMode: 240
; IeeeMode: 1
; LDSByteSize: 0 bytes/workgroup (compile time only)
; SGPRBlocks: 0
; VGPRBlocks: 0
; NumSGPRsForWavesPerEU: 1
; NumVGPRsForWavesPerEU: 1
; NamedBarCnt: 0
; Occupancy: 16
; WaveLimiterHint : 0
; COMPUTE_PGM_RSRC2:SCRATCH_EN: 0
; COMPUTE_PGM_RSRC2:USER_SGPR: 2
; COMPUTE_PGM_RSRC2:TRAP_HANDLER: 0
; COMPUTE_PGM_RSRC2:TGID_X_EN: 1
; COMPUTE_PGM_RSRC2:TGID_Y_EN: 0
; COMPUTE_PGM_RSRC2:TGID_Z_EN: 0
; COMPUTE_PGM_RSRC2:TIDIG_COMP_CNT: 0
	.section	.text._ZN7rocprim17ROCPRIM_400000_NS6detail17trampoline_kernelINS0_14default_configENS1_27scan_by_key_config_selectorIitEEZZNS1_16scan_by_key_implILNS1_25lookback_scan_determinismE0ELb1ES3_N6thrust23THRUST_200600_302600_NS6detail15normal_iteratorINS9_10device_ptrIiEEEENSB_INSC_ItEEEESG_tNS9_4plusIvEENS9_8equal_toIvEEtEE10hipError_tPvRmT2_T3_T4_T5_mT6_T7_P12ihipStream_tbENKUlT_T0_E_clISt17integral_constantIbLb0EES10_IbLb1EEEEDaSW_SX_EUlSW_E_NS1_11comp_targetILNS1_3genE4ELNS1_11target_archE910ELNS1_3gpuE8ELNS1_3repE0EEENS1_30default_config_static_selectorELNS0_4arch9wavefront6targetE0EEEvT1_,"axG",@progbits,_ZN7rocprim17ROCPRIM_400000_NS6detail17trampoline_kernelINS0_14default_configENS1_27scan_by_key_config_selectorIitEEZZNS1_16scan_by_key_implILNS1_25lookback_scan_determinismE0ELb1ES3_N6thrust23THRUST_200600_302600_NS6detail15normal_iteratorINS9_10device_ptrIiEEEENSB_INSC_ItEEEESG_tNS9_4plusIvEENS9_8equal_toIvEEtEE10hipError_tPvRmT2_T3_T4_T5_mT6_T7_P12ihipStream_tbENKUlT_T0_E_clISt17integral_constantIbLb0EES10_IbLb1EEEEDaSW_SX_EUlSW_E_NS1_11comp_targetILNS1_3genE4ELNS1_11target_archE910ELNS1_3gpuE8ELNS1_3repE0EEENS1_30default_config_static_selectorELNS0_4arch9wavefront6targetE0EEEvT1_,comdat
	.protected	_ZN7rocprim17ROCPRIM_400000_NS6detail17trampoline_kernelINS0_14default_configENS1_27scan_by_key_config_selectorIitEEZZNS1_16scan_by_key_implILNS1_25lookback_scan_determinismE0ELb1ES3_N6thrust23THRUST_200600_302600_NS6detail15normal_iteratorINS9_10device_ptrIiEEEENSB_INSC_ItEEEESG_tNS9_4plusIvEENS9_8equal_toIvEEtEE10hipError_tPvRmT2_T3_T4_T5_mT6_T7_P12ihipStream_tbENKUlT_T0_E_clISt17integral_constantIbLb0EES10_IbLb1EEEEDaSW_SX_EUlSW_E_NS1_11comp_targetILNS1_3genE4ELNS1_11target_archE910ELNS1_3gpuE8ELNS1_3repE0EEENS1_30default_config_static_selectorELNS0_4arch9wavefront6targetE0EEEvT1_ ; -- Begin function _ZN7rocprim17ROCPRIM_400000_NS6detail17trampoline_kernelINS0_14default_configENS1_27scan_by_key_config_selectorIitEEZZNS1_16scan_by_key_implILNS1_25lookback_scan_determinismE0ELb1ES3_N6thrust23THRUST_200600_302600_NS6detail15normal_iteratorINS9_10device_ptrIiEEEENSB_INSC_ItEEEESG_tNS9_4plusIvEENS9_8equal_toIvEEtEE10hipError_tPvRmT2_T3_T4_T5_mT6_T7_P12ihipStream_tbENKUlT_T0_E_clISt17integral_constantIbLb0EES10_IbLb1EEEEDaSW_SX_EUlSW_E_NS1_11comp_targetILNS1_3genE4ELNS1_11target_archE910ELNS1_3gpuE8ELNS1_3repE0EEENS1_30default_config_static_selectorELNS0_4arch9wavefront6targetE0EEEvT1_
	.globl	_ZN7rocprim17ROCPRIM_400000_NS6detail17trampoline_kernelINS0_14default_configENS1_27scan_by_key_config_selectorIitEEZZNS1_16scan_by_key_implILNS1_25lookback_scan_determinismE0ELb1ES3_N6thrust23THRUST_200600_302600_NS6detail15normal_iteratorINS9_10device_ptrIiEEEENSB_INSC_ItEEEESG_tNS9_4plusIvEENS9_8equal_toIvEEtEE10hipError_tPvRmT2_T3_T4_T5_mT6_T7_P12ihipStream_tbENKUlT_T0_E_clISt17integral_constantIbLb0EES10_IbLb1EEEEDaSW_SX_EUlSW_E_NS1_11comp_targetILNS1_3genE4ELNS1_11target_archE910ELNS1_3gpuE8ELNS1_3repE0EEENS1_30default_config_static_selectorELNS0_4arch9wavefront6targetE0EEEvT1_
	.p2align	8
	.type	_ZN7rocprim17ROCPRIM_400000_NS6detail17trampoline_kernelINS0_14default_configENS1_27scan_by_key_config_selectorIitEEZZNS1_16scan_by_key_implILNS1_25lookback_scan_determinismE0ELb1ES3_N6thrust23THRUST_200600_302600_NS6detail15normal_iteratorINS9_10device_ptrIiEEEENSB_INSC_ItEEEESG_tNS9_4plusIvEENS9_8equal_toIvEEtEE10hipError_tPvRmT2_T3_T4_T5_mT6_T7_P12ihipStream_tbENKUlT_T0_E_clISt17integral_constantIbLb0EES10_IbLb1EEEEDaSW_SX_EUlSW_E_NS1_11comp_targetILNS1_3genE4ELNS1_11target_archE910ELNS1_3gpuE8ELNS1_3repE0EEENS1_30default_config_static_selectorELNS0_4arch9wavefront6targetE0EEEvT1_,@function
_ZN7rocprim17ROCPRIM_400000_NS6detail17trampoline_kernelINS0_14default_configENS1_27scan_by_key_config_selectorIitEEZZNS1_16scan_by_key_implILNS1_25lookback_scan_determinismE0ELb1ES3_N6thrust23THRUST_200600_302600_NS6detail15normal_iteratorINS9_10device_ptrIiEEEENSB_INSC_ItEEEESG_tNS9_4plusIvEENS9_8equal_toIvEEtEE10hipError_tPvRmT2_T3_T4_T5_mT6_T7_P12ihipStream_tbENKUlT_T0_E_clISt17integral_constantIbLb0EES10_IbLb1EEEEDaSW_SX_EUlSW_E_NS1_11comp_targetILNS1_3genE4ELNS1_11target_archE910ELNS1_3gpuE8ELNS1_3repE0EEENS1_30default_config_static_selectorELNS0_4arch9wavefront6targetE0EEEvT1_: ; @_ZN7rocprim17ROCPRIM_400000_NS6detail17trampoline_kernelINS0_14default_configENS1_27scan_by_key_config_selectorIitEEZZNS1_16scan_by_key_implILNS1_25lookback_scan_determinismE0ELb1ES3_N6thrust23THRUST_200600_302600_NS6detail15normal_iteratorINS9_10device_ptrIiEEEENSB_INSC_ItEEEESG_tNS9_4plusIvEENS9_8equal_toIvEEtEE10hipError_tPvRmT2_T3_T4_T5_mT6_T7_P12ihipStream_tbENKUlT_T0_E_clISt17integral_constantIbLb0EES10_IbLb1EEEEDaSW_SX_EUlSW_E_NS1_11comp_targetILNS1_3genE4ELNS1_11target_archE910ELNS1_3gpuE8ELNS1_3repE0EEENS1_30default_config_static_selectorELNS0_4arch9wavefront6targetE0EEEvT1_
; %bb.0:
	.section	.rodata,"a",@progbits
	.p2align	6, 0x0
	.amdhsa_kernel _ZN7rocprim17ROCPRIM_400000_NS6detail17trampoline_kernelINS0_14default_configENS1_27scan_by_key_config_selectorIitEEZZNS1_16scan_by_key_implILNS1_25lookback_scan_determinismE0ELb1ES3_N6thrust23THRUST_200600_302600_NS6detail15normal_iteratorINS9_10device_ptrIiEEEENSB_INSC_ItEEEESG_tNS9_4plusIvEENS9_8equal_toIvEEtEE10hipError_tPvRmT2_T3_T4_T5_mT6_T7_P12ihipStream_tbENKUlT_T0_E_clISt17integral_constantIbLb0EES10_IbLb1EEEEDaSW_SX_EUlSW_E_NS1_11comp_targetILNS1_3genE4ELNS1_11target_archE910ELNS1_3gpuE8ELNS1_3repE0EEENS1_30default_config_static_selectorELNS0_4arch9wavefront6targetE0EEEvT1_
		.amdhsa_group_segment_fixed_size 0
		.amdhsa_private_segment_fixed_size 0
		.amdhsa_kernarg_size 112
		.amdhsa_user_sgpr_count 2
		.amdhsa_user_sgpr_dispatch_ptr 0
		.amdhsa_user_sgpr_queue_ptr 0
		.amdhsa_user_sgpr_kernarg_segment_ptr 1
		.amdhsa_user_sgpr_dispatch_id 0
		.amdhsa_user_sgpr_kernarg_preload_length 0
		.amdhsa_user_sgpr_kernarg_preload_offset 0
		.amdhsa_user_sgpr_private_segment_size 0
		.amdhsa_wavefront_size32 1
		.amdhsa_uses_dynamic_stack 0
		.amdhsa_enable_private_segment 0
		.amdhsa_system_sgpr_workgroup_id_x 1
		.amdhsa_system_sgpr_workgroup_id_y 0
		.amdhsa_system_sgpr_workgroup_id_z 0
		.amdhsa_system_sgpr_workgroup_info 0
		.amdhsa_system_vgpr_workitem_id 0
		.amdhsa_next_free_vgpr 1
		.amdhsa_next_free_sgpr 1
		.amdhsa_named_barrier_count 0
		.amdhsa_reserve_vcc 0
		.amdhsa_float_round_mode_32 0
		.amdhsa_float_round_mode_16_64 0
		.amdhsa_float_denorm_mode_32 3
		.amdhsa_float_denorm_mode_16_64 3
		.amdhsa_fp16_overflow 0
		.amdhsa_memory_ordered 1
		.amdhsa_forward_progress 1
		.amdhsa_inst_pref_size 0
		.amdhsa_round_robin_scheduling 0
		.amdhsa_exception_fp_ieee_invalid_op 0
		.amdhsa_exception_fp_denorm_src 0
		.amdhsa_exception_fp_ieee_div_zero 0
		.amdhsa_exception_fp_ieee_overflow 0
		.amdhsa_exception_fp_ieee_underflow 0
		.amdhsa_exception_fp_ieee_inexact 0
		.amdhsa_exception_int_div_zero 0
	.end_amdhsa_kernel
	.section	.text._ZN7rocprim17ROCPRIM_400000_NS6detail17trampoline_kernelINS0_14default_configENS1_27scan_by_key_config_selectorIitEEZZNS1_16scan_by_key_implILNS1_25lookback_scan_determinismE0ELb1ES3_N6thrust23THRUST_200600_302600_NS6detail15normal_iteratorINS9_10device_ptrIiEEEENSB_INSC_ItEEEESG_tNS9_4plusIvEENS9_8equal_toIvEEtEE10hipError_tPvRmT2_T3_T4_T5_mT6_T7_P12ihipStream_tbENKUlT_T0_E_clISt17integral_constantIbLb0EES10_IbLb1EEEEDaSW_SX_EUlSW_E_NS1_11comp_targetILNS1_3genE4ELNS1_11target_archE910ELNS1_3gpuE8ELNS1_3repE0EEENS1_30default_config_static_selectorELNS0_4arch9wavefront6targetE0EEEvT1_,"axG",@progbits,_ZN7rocprim17ROCPRIM_400000_NS6detail17trampoline_kernelINS0_14default_configENS1_27scan_by_key_config_selectorIitEEZZNS1_16scan_by_key_implILNS1_25lookback_scan_determinismE0ELb1ES3_N6thrust23THRUST_200600_302600_NS6detail15normal_iteratorINS9_10device_ptrIiEEEENSB_INSC_ItEEEESG_tNS9_4plusIvEENS9_8equal_toIvEEtEE10hipError_tPvRmT2_T3_T4_T5_mT6_T7_P12ihipStream_tbENKUlT_T0_E_clISt17integral_constantIbLb0EES10_IbLb1EEEEDaSW_SX_EUlSW_E_NS1_11comp_targetILNS1_3genE4ELNS1_11target_archE910ELNS1_3gpuE8ELNS1_3repE0EEENS1_30default_config_static_selectorELNS0_4arch9wavefront6targetE0EEEvT1_,comdat
.Lfunc_end1565:
	.size	_ZN7rocprim17ROCPRIM_400000_NS6detail17trampoline_kernelINS0_14default_configENS1_27scan_by_key_config_selectorIitEEZZNS1_16scan_by_key_implILNS1_25lookback_scan_determinismE0ELb1ES3_N6thrust23THRUST_200600_302600_NS6detail15normal_iteratorINS9_10device_ptrIiEEEENSB_INSC_ItEEEESG_tNS9_4plusIvEENS9_8equal_toIvEEtEE10hipError_tPvRmT2_T3_T4_T5_mT6_T7_P12ihipStream_tbENKUlT_T0_E_clISt17integral_constantIbLb0EES10_IbLb1EEEEDaSW_SX_EUlSW_E_NS1_11comp_targetILNS1_3genE4ELNS1_11target_archE910ELNS1_3gpuE8ELNS1_3repE0EEENS1_30default_config_static_selectorELNS0_4arch9wavefront6targetE0EEEvT1_, .Lfunc_end1565-_ZN7rocprim17ROCPRIM_400000_NS6detail17trampoline_kernelINS0_14default_configENS1_27scan_by_key_config_selectorIitEEZZNS1_16scan_by_key_implILNS1_25lookback_scan_determinismE0ELb1ES3_N6thrust23THRUST_200600_302600_NS6detail15normal_iteratorINS9_10device_ptrIiEEEENSB_INSC_ItEEEESG_tNS9_4plusIvEENS9_8equal_toIvEEtEE10hipError_tPvRmT2_T3_T4_T5_mT6_T7_P12ihipStream_tbENKUlT_T0_E_clISt17integral_constantIbLb0EES10_IbLb1EEEEDaSW_SX_EUlSW_E_NS1_11comp_targetILNS1_3genE4ELNS1_11target_archE910ELNS1_3gpuE8ELNS1_3repE0EEENS1_30default_config_static_selectorELNS0_4arch9wavefront6targetE0EEEvT1_
                                        ; -- End function
	.set _ZN7rocprim17ROCPRIM_400000_NS6detail17trampoline_kernelINS0_14default_configENS1_27scan_by_key_config_selectorIitEEZZNS1_16scan_by_key_implILNS1_25lookback_scan_determinismE0ELb1ES3_N6thrust23THRUST_200600_302600_NS6detail15normal_iteratorINS9_10device_ptrIiEEEENSB_INSC_ItEEEESG_tNS9_4plusIvEENS9_8equal_toIvEEtEE10hipError_tPvRmT2_T3_T4_T5_mT6_T7_P12ihipStream_tbENKUlT_T0_E_clISt17integral_constantIbLb0EES10_IbLb1EEEEDaSW_SX_EUlSW_E_NS1_11comp_targetILNS1_3genE4ELNS1_11target_archE910ELNS1_3gpuE8ELNS1_3repE0EEENS1_30default_config_static_selectorELNS0_4arch9wavefront6targetE0EEEvT1_.num_vgpr, 0
	.set _ZN7rocprim17ROCPRIM_400000_NS6detail17trampoline_kernelINS0_14default_configENS1_27scan_by_key_config_selectorIitEEZZNS1_16scan_by_key_implILNS1_25lookback_scan_determinismE0ELb1ES3_N6thrust23THRUST_200600_302600_NS6detail15normal_iteratorINS9_10device_ptrIiEEEENSB_INSC_ItEEEESG_tNS9_4plusIvEENS9_8equal_toIvEEtEE10hipError_tPvRmT2_T3_T4_T5_mT6_T7_P12ihipStream_tbENKUlT_T0_E_clISt17integral_constantIbLb0EES10_IbLb1EEEEDaSW_SX_EUlSW_E_NS1_11comp_targetILNS1_3genE4ELNS1_11target_archE910ELNS1_3gpuE8ELNS1_3repE0EEENS1_30default_config_static_selectorELNS0_4arch9wavefront6targetE0EEEvT1_.num_agpr, 0
	.set _ZN7rocprim17ROCPRIM_400000_NS6detail17trampoline_kernelINS0_14default_configENS1_27scan_by_key_config_selectorIitEEZZNS1_16scan_by_key_implILNS1_25lookback_scan_determinismE0ELb1ES3_N6thrust23THRUST_200600_302600_NS6detail15normal_iteratorINS9_10device_ptrIiEEEENSB_INSC_ItEEEESG_tNS9_4plusIvEENS9_8equal_toIvEEtEE10hipError_tPvRmT2_T3_T4_T5_mT6_T7_P12ihipStream_tbENKUlT_T0_E_clISt17integral_constantIbLb0EES10_IbLb1EEEEDaSW_SX_EUlSW_E_NS1_11comp_targetILNS1_3genE4ELNS1_11target_archE910ELNS1_3gpuE8ELNS1_3repE0EEENS1_30default_config_static_selectorELNS0_4arch9wavefront6targetE0EEEvT1_.numbered_sgpr, 0
	.set _ZN7rocprim17ROCPRIM_400000_NS6detail17trampoline_kernelINS0_14default_configENS1_27scan_by_key_config_selectorIitEEZZNS1_16scan_by_key_implILNS1_25lookback_scan_determinismE0ELb1ES3_N6thrust23THRUST_200600_302600_NS6detail15normal_iteratorINS9_10device_ptrIiEEEENSB_INSC_ItEEEESG_tNS9_4plusIvEENS9_8equal_toIvEEtEE10hipError_tPvRmT2_T3_T4_T5_mT6_T7_P12ihipStream_tbENKUlT_T0_E_clISt17integral_constantIbLb0EES10_IbLb1EEEEDaSW_SX_EUlSW_E_NS1_11comp_targetILNS1_3genE4ELNS1_11target_archE910ELNS1_3gpuE8ELNS1_3repE0EEENS1_30default_config_static_selectorELNS0_4arch9wavefront6targetE0EEEvT1_.num_named_barrier, 0
	.set _ZN7rocprim17ROCPRIM_400000_NS6detail17trampoline_kernelINS0_14default_configENS1_27scan_by_key_config_selectorIitEEZZNS1_16scan_by_key_implILNS1_25lookback_scan_determinismE0ELb1ES3_N6thrust23THRUST_200600_302600_NS6detail15normal_iteratorINS9_10device_ptrIiEEEENSB_INSC_ItEEEESG_tNS9_4plusIvEENS9_8equal_toIvEEtEE10hipError_tPvRmT2_T3_T4_T5_mT6_T7_P12ihipStream_tbENKUlT_T0_E_clISt17integral_constantIbLb0EES10_IbLb1EEEEDaSW_SX_EUlSW_E_NS1_11comp_targetILNS1_3genE4ELNS1_11target_archE910ELNS1_3gpuE8ELNS1_3repE0EEENS1_30default_config_static_selectorELNS0_4arch9wavefront6targetE0EEEvT1_.private_seg_size, 0
	.set _ZN7rocprim17ROCPRIM_400000_NS6detail17trampoline_kernelINS0_14default_configENS1_27scan_by_key_config_selectorIitEEZZNS1_16scan_by_key_implILNS1_25lookback_scan_determinismE0ELb1ES3_N6thrust23THRUST_200600_302600_NS6detail15normal_iteratorINS9_10device_ptrIiEEEENSB_INSC_ItEEEESG_tNS9_4plusIvEENS9_8equal_toIvEEtEE10hipError_tPvRmT2_T3_T4_T5_mT6_T7_P12ihipStream_tbENKUlT_T0_E_clISt17integral_constantIbLb0EES10_IbLb1EEEEDaSW_SX_EUlSW_E_NS1_11comp_targetILNS1_3genE4ELNS1_11target_archE910ELNS1_3gpuE8ELNS1_3repE0EEENS1_30default_config_static_selectorELNS0_4arch9wavefront6targetE0EEEvT1_.uses_vcc, 0
	.set _ZN7rocprim17ROCPRIM_400000_NS6detail17trampoline_kernelINS0_14default_configENS1_27scan_by_key_config_selectorIitEEZZNS1_16scan_by_key_implILNS1_25lookback_scan_determinismE0ELb1ES3_N6thrust23THRUST_200600_302600_NS6detail15normal_iteratorINS9_10device_ptrIiEEEENSB_INSC_ItEEEESG_tNS9_4plusIvEENS9_8equal_toIvEEtEE10hipError_tPvRmT2_T3_T4_T5_mT6_T7_P12ihipStream_tbENKUlT_T0_E_clISt17integral_constantIbLb0EES10_IbLb1EEEEDaSW_SX_EUlSW_E_NS1_11comp_targetILNS1_3genE4ELNS1_11target_archE910ELNS1_3gpuE8ELNS1_3repE0EEENS1_30default_config_static_selectorELNS0_4arch9wavefront6targetE0EEEvT1_.uses_flat_scratch, 0
	.set _ZN7rocprim17ROCPRIM_400000_NS6detail17trampoline_kernelINS0_14default_configENS1_27scan_by_key_config_selectorIitEEZZNS1_16scan_by_key_implILNS1_25lookback_scan_determinismE0ELb1ES3_N6thrust23THRUST_200600_302600_NS6detail15normal_iteratorINS9_10device_ptrIiEEEENSB_INSC_ItEEEESG_tNS9_4plusIvEENS9_8equal_toIvEEtEE10hipError_tPvRmT2_T3_T4_T5_mT6_T7_P12ihipStream_tbENKUlT_T0_E_clISt17integral_constantIbLb0EES10_IbLb1EEEEDaSW_SX_EUlSW_E_NS1_11comp_targetILNS1_3genE4ELNS1_11target_archE910ELNS1_3gpuE8ELNS1_3repE0EEENS1_30default_config_static_selectorELNS0_4arch9wavefront6targetE0EEEvT1_.has_dyn_sized_stack, 0
	.set _ZN7rocprim17ROCPRIM_400000_NS6detail17trampoline_kernelINS0_14default_configENS1_27scan_by_key_config_selectorIitEEZZNS1_16scan_by_key_implILNS1_25lookback_scan_determinismE0ELb1ES3_N6thrust23THRUST_200600_302600_NS6detail15normal_iteratorINS9_10device_ptrIiEEEENSB_INSC_ItEEEESG_tNS9_4plusIvEENS9_8equal_toIvEEtEE10hipError_tPvRmT2_T3_T4_T5_mT6_T7_P12ihipStream_tbENKUlT_T0_E_clISt17integral_constantIbLb0EES10_IbLb1EEEEDaSW_SX_EUlSW_E_NS1_11comp_targetILNS1_3genE4ELNS1_11target_archE910ELNS1_3gpuE8ELNS1_3repE0EEENS1_30default_config_static_selectorELNS0_4arch9wavefront6targetE0EEEvT1_.has_recursion, 0
	.set _ZN7rocprim17ROCPRIM_400000_NS6detail17trampoline_kernelINS0_14default_configENS1_27scan_by_key_config_selectorIitEEZZNS1_16scan_by_key_implILNS1_25lookback_scan_determinismE0ELb1ES3_N6thrust23THRUST_200600_302600_NS6detail15normal_iteratorINS9_10device_ptrIiEEEENSB_INSC_ItEEEESG_tNS9_4plusIvEENS9_8equal_toIvEEtEE10hipError_tPvRmT2_T3_T4_T5_mT6_T7_P12ihipStream_tbENKUlT_T0_E_clISt17integral_constantIbLb0EES10_IbLb1EEEEDaSW_SX_EUlSW_E_NS1_11comp_targetILNS1_3genE4ELNS1_11target_archE910ELNS1_3gpuE8ELNS1_3repE0EEENS1_30default_config_static_selectorELNS0_4arch9wavefront6targetE0EEEvT1_.has_indirect_call, 0
	.section	.AMDGPU.csdata,"",@progbits
; Kernel info:
; codeLenInByte = 0
; TotalNumSgprs: 0
; NumVgprs: 0
; ScratchSize: 0
; MemoryBound: 0
; FloatMode: 240
; IeeeMode: 1
; LDSByteSize: 0 bytes/workgroup (compile time only)
; SGPRBlocks: 0
; VGPRBlocks: 0
; NumSGPRsForWavesPerEU: 1
; NumVGPRsForWavesPerEU: 1
; NamedBarCnt: 0
; Occupancy: 16
; WaveLimiterHint : 0
; COMPUTE_PGM_RSRC2:SCRATCH_EN: 0
; COMPUTE_PGM_RSRC2:USER_SGPR: 2
; COMPUTE_PGM_RSRC2:TRAP_HANDLER: 0
; COMPUTE_PGM_RSRC2:TGID_X_EN: 1
; COMPUTE_PGM_RSRC2:TGID_Y_EN: 0
; COMPUTE_PGM_RSRC2:TGID_Z_EN: 0
; COMPUTE_PGM_RSRC2:TIDIG_COMP_CNT: 0
	.section	.text._ZN7rocprim17ROCPRIM_400000_NS6detail17trampoline_kernelINS0_14default_configENS1_27scan_by_key_config_selectorIitEEZZNS1_16scan_by_key_implILNS1_25lookback_scan_determinismE0ELb1ES3_N6thrust23THRUST_200600_302600_NS6detail15normal_iteratorINS9_10device_ptrIiEEEENSB_INSC_ItEEEESG_tNS9_4plusIvEENS9_8equal_toIvEEtEE10hipError_tPvRmT2_T3_T4_T5_mT6_T7_P12ihipStream_tbENKUlT_T0_E_clISt17integral_constantIbLb0EES10_IbLb1EEEEDaSW_SX_EUlSW_E_NS1_11comp_targetILNS1_3genE3ELNS1_11target_archE908ELNS1_3gpuE7ELNS1_3repE0EEENS1_30default_config_static_selectorELNS0_4arch9wavefront6targetE0EEEvT1_,"axG",@progbits,_ZN7rocprim17ROCPRIM_400000_NS6detail17trampoline_kernelINS0_14default_configENS1_27scan_by_key_config_selectorIitEEZZNS1_16scan_by_key_implILNS1_25lookback_scan_determinismE0ELb1ES3_N6thrust23THRUST_200600_302600_NS6detail15normal_iteratorINS9_10device_ptrIiEEEENSB_INSC_ItEEEESG_tNS9_4plusIvEENS9_8equal_toIvEEtEE10hipError_tPvRmT2_T3_T4_T5_mT6_T7_P12ihipStream_tbENKUlT_T0_E_clISt17integral_constantIbLb0EES10_IbLb1EEEEDaSW_SX_EUlSW_E_NS1_11comp_targetILNS1_3genE3ELNS1_11target_archE908ELNS1_3gpuE7ELNS1_3repE0EEENS1_30default_config_static_selectorELNS0_4arch9wavefront6targetE0EEEvT1_,comdat
	.protected	_ZN7rocprim17ROCPRIM_400000_NS6detail17trampoline_kernelINS0_14default_configENS1_27scan_by_key_config_selectorIitEEZZNS1_16scan_by_key_implILNS1_25lookback_scan_determinismE0ELb1ES3_N6thrust23THRUST_200600_302600_NS6detail15normal_iteratorINS9_10device_ptrIiEEEENSB_INSC_ItEEEESG_tNS9_4plusIvEENS9_8equal_toIvEEtEE10hipError_tPvRmT2_T3_T4_T5_mT6_T7_P12ihipStream_tbENKUlT_T0_E_clISt17integral_constantIbLb0EES10_IbLb1EEEEDaSW_SX_EUlSW_E_NS1_11comp_targetILNS1_3genE3ELNS1_11target_archE908ELNS1_3gpuE7ELNS1_3repE0EEENS1_30default_config_static_selectorELNS0_4arch9wavefront6targetE0EEEvT1_ ; -- Begin function _ZN7rocprim17ROCPRIM_400000_NS6detail17trampoline_kernelINS0_14default_configENS1_27scan_by_key_config_selectorIitEEZZNS1_16scan_by_key_implILNS1_25lookback_scan_determinismE0ELb1ES3_N6thrust23THRUST_200600_302600_NS6detail15normal_iteratorINS9_10device_ptrIiEEEENSB_INSC_ItEEEESG_tNS9_4plusIvEENS9_8equal_toIvEEtEE10hipError_tPvRmT2_T3_T4_T5_mT6_T7_P12ihipStream_tbENKUlT_T0_E_clISt17integral_constantIbLb0EES10_IbLb1EEEEDaSW_SX_EUlSW_E_NS1_11comp_targetILNS1_3genE3ELNS1_11target_archE908ELNS1_3gpuE7ELNS1_3repE0EEENS1_30default_config_static_selectorELNS0_4arch9wavefront6targetE0EEEvT1_
	.globl	_ZN7rocprim17ROCPRIM_400000_NS6detail17trampoline_kernelINS0_14default_configENS1_27scan_by_key_config_selectorIitEEZZNS1_16scan_by_key_implILNS1_25lookback_scan_determinismE0ELb1ES3_N6thrust23THRUST_200600_302600_NS6detail15normal_iteratorINS9_10device_ptrIiEEEENSB_INSC_ItEEEESG_tNS9_4plusIvEENS9_8equal_toIvEEtEE10hipError_tPvRmT2_T3_T4_T5_mT6_T7_P12ihipStream_tbENKUlT_T0_E_clISt17integral_constantIbLb0EES10_IbLb1EEEEDaSW_SX_EUlSW_E_NS1_11comp_targetILNS1_3genE3ELNS1_11target_archE908ELNS1_3gpuE7ELNS1_3repE0EEENS1_30default_config_static_selectorELNS0_4arch9wavefront6targetE0EEEvT1_
	.p2align	8
	.type	_ZN7rocprim17ROCPRIM_400000_NS6detail17trampoline_kernelINS0_14default_configENS1_27scan_by_key_config_selectorIitEEZZNS1_16scan_by_key_implILNS1_25lookback_scan_determinismE0ELb1ES3_N6thrust23THRUST_200600_302600_NS6detail15normal_iteratorINS9_10device_ptrIiEEEENSB_INSC_ItEEEESG_tNS9_4plusIvEENS9_8equal_toIvEEtEE10hipError_tPvRmT2_T3_T4_T5_mT6_T7_P12ihipStream_tbENKUlT_T0_E_clISt17integral_constantIbLb0EES10_IbLb1EEEEDaSW_SX_EUlSW_E_NS1_11comp_targetILNS1_3genE3ELNS1_11target_archE908ELNS1_3gpuE7ELNS1_3repE0EEENS1_30default_config_static_selectorELNS0_4arch9wavefront6targetE0EEEvT1_,@function
_ZN7rocprim17ROCPRIM_400000_NS6detail17trampoline_kernelINS0_14default_configENS1_27scan_by_key_config_selectorIitEEZZNS1_16scan_by_key_implILNS1_25lookback_scan_determinismE0ELb1ES3_N6thrust23THRUST_200600_302600_NS6detail15normal_iteratorINS9_10device_ptrIiEEEENSB_INSC_ItEEEESG_tNS9_4plusIvEENS9_8equal_toIvEEtEE10hipError_tPvRmT2_T3_T4_T5_mT6_T7_P12ihipStream_tbENKUlT_T0_E_clISt17integral_constantIbLb0EES10_IbLb1EEEEDaSW_SX_EUlSW_E_NS1_11comp_targetILNS1_3genE3ELNS1_11target_archE908ELNS1_3gpuE7ELNS1_3repE0EEENS1_30default_config_static_selectorELNS0_4arch9wavefront6targetE0EEEvT1_: ; @_ZN7rocprim17ROCPRIM_400000_NS6detail17trampoline_kernelINS0_14default_configENS1_27scan_by_key_config_selectorIitEEZZNS1_16scan_by_key_implILNS1_25lookback_scan_determinismE0ELb1ES3_N6thrust23THRUST_200600_302600_NS6detail15normal_iteratorINS9_10device_ptrIiEEEENSB_INSC_ItEEEESG_tNS9_4plusIvEENS9_8equal_toIvEEtEE10hipError_tPvRmT2_T3_T4_T5_mT6_T7_P12ihipStream_tbENKUlT_T0_E_clISt17integral_constantIbLb0EES10_IbLb1EEEEDaSW_SX_EUlSW_E_NS1_11comp_targetILNS1_3genE3ELNS1_11target_archE908ELNS1_3gpuE7ELNS1_3repE0EEENS1_30default_config_static_selectorELNS0_4arch9wavefront6targetE0EEEvT1_
; %bb.0:
	.section	.rodata,"a",@progbits
	.p2align	6, 0x0
	.amdhsa_kernel _ZN7rocprim17ROCPRIM_400000_NS6detail17trampoline_kernelINS0_14default_configENS1_27scan_by_key_config_selectorIitEEZZNS1_16scan_by_key_implILNS1_25lookback_scan_determinismE0ELb1ES3_N6thrust23THRUST_200600_302600_NS6detail15normal_iteratorINS9_10device_ptrIiEEEENSB_INSC_ItEEEESG_tNS9_4plusIvEENS9_8equal_toIvEEtEE10hipError_tPvRmT2_T3_T4_T5_mT6_T7_P12ihipStream_tbENKUlT_T0_E_clISt17integral_constantIbLb0EES10_IbLb1EEEEDaSW_SX_EUlSW_E_NS1_11comp_targetILNS1_3genE3ELNS1_11target_archE908ELNS1_3gpuE7ELNS1_3repE0EEENS1_30default_config_static_selectorELNS0_4arch9wavefront6targetE0EEEvT1_
		.amdhsa_group_segment_fixed_size 0
		.amdhsa_private_segment_fixed_size 0
		.amdhsa_kernarg_size 112
		.amdhsa_user_sgpr_count 2
		.amdhsa_user_sgpr_dispatch_ptr 0
		.amdhsa_user_sgpr_queue_ptr 0
		.amdhsa_user_sgpr_kernarg_segment_ptr 1
		.amdhsa_user_sgpr_dispatch_id 0
		.amdhsa_user_sgpr_kernarg_preload_length 0
		.amdhsa_user_sgpr_kernarg_preload_offset 0
		.amdhsa_user_sgpr_private_segment_size 0
		.amdhsa_wavefront_size32 1
		.amdhsa_uses_dynamic_stack 0
		.amdhsa_enable_private_segment 0
		.amdhsa_system_sgpr_workgroup_id_x 1
		.amdhsa_system_sgpr_workgroup_id_y 0
		.amdhsa_system_sgpr_workgroup_id_z 0
		.amdhsa_system_sgpr_workgroup_info 0
		.amdhsa_system_vgpr_workitem_id 0
		.amdhsa_next_free_vgpr 1
		.amdhsa_next_free_sgpr 1
		.amdhsa_named_barrier_count 0
		.amdhsa_reserve_vcc 0
		.amdhsa_float_round_mode_32 0
		.amdhsa_float_round_mode_16_64 0
		.amdhsa_float_denorm_mode_32 3
		.amdhsa_float_denorm_mode_16_64 3
		.amdhsa_fp16_overflow 0
		.amdhsa_memory_ordered 1
		.amdhsa_forward_progress 1
		.amdhsa_inst_pref_size 0
		.amdhsa_round_robin_scheduling 0
		.amdhsa_exception_fp_ieee_invalid_op 0
		.amdhsa_exception_fp_denorm_src 0
		.amdhsa_exception_fp_ieee_div_zero 0
		.amdhsa_exception_fp_ieee_overflow 0
		.amdhsa_exception_fp_ieee_underflow 0
		.amdhsa_exception_fp_ieee_inexact 0
		.amdhsa_exception_int_div_zero 0
	.end_amdhsa_kernel
	.section	.text._ZN7rocprim17ROCPRIM_400000_NS6detail17trampoline_kernelINS0_14default_configENS1_27scan_by_key_config_selectorIitEEZZNS1_16scan_by_key_implILNS1_25lookback_scan_determinismE0ELb1ES3_N6thrust23THRUST_200600_302600_NS6detail15normal_iteratorINS9_10device_ptrIiEEEENSB_INSC_ItEEEESG_tNS9_4plusIvEENS9_8equal_toIvEEtEE10hipError_tPvRmT2_T3_T4_T5_mT6_T7_P12ihipStream_tbENKUlT_T0_E_clISt17integral_constantIbLb0EES10_IbLb1EEEEDaSW_SX_EUlSW_E_NS1_11comp_targetILNS1_3genE3ELNS1_11target_archE908ELNS1_3gpuE7ELNS1_3repE0EEENS1_30default_config_static_selectorELNS0_4arch9wavefront6targetE0EEEvT1_,"axG",@progbits,_ZN7rocprim17ROCPRIM_400000_NS6detail17trampoline_kernelINS0_14default_configENS1_27scan_by_key_config_selectorIitEEZZNS1_16scan_by_key_implILNS1_25lookback_scan_determinismE0ELb1ES3_N6thrust23THRUST_200600_302600_NS6detail15normal_iteratorINS9_10device_ptrIiEEEENSB_INSC_ItEEEESG_tNS9_4plusIvEENS9_8equal_toIvEEtEE10hipError_tPvRmT2_T3_T4_T5_mT6_T7_P12ihipStream_tbENKUlT_T0_E_clISt17integral_constantIbLb0EES10_IbLb1EEEEDaSW_SX_EUlSW_E_NS1_11comp_targetILNS1_3genE3ELNS1_11target_archE908ELNS1_3gpuE7ELNS1_3repE0EEENS1_30default_config_static_selectorELNS0_4arch9wavefront6targetE0EEEvT1_,comdat
.Lfunc_end1566:
	.size	_ZN7rocprim17ROCPRIM_400000_NS6detail17trampoline_kernelINS0_14default_configENS1_27scan_by_key_config_selectorIitEEZZNS1_16scan_by_key_implILNS1_25lookback_scan_determinismE0ELb1ES3_N6thrust23THRUST_200600_302600_NS6detail15normal_iteratorINS9_10device_ptrIiEEEENSB_INSC_ItEEEESG_tNS9_4plusIvEENS9_8equal_toIvEEtEE10hipError_tPvRmT2_T3_T4_T5_mT6_T7_P12ihipStream_tbENKUlT_T0_E_clISt17integral_constantIbLb0EES10_IbLb1EEEEDaSW_SX_EUlSW_E_NS1_11comp_targetILNS1_3genE3ELNS1_11target_archE908ELNS1_3gpuE7ELNS1_3repE0EEENS1_30default_config_static_selectorELNS0_4arch9wavefront6targetE0EEEvT1_, .Lfunc_end1566-_ZN7rocprim17ROCPRIM_400000_NS6detail17trampoline_kernelINS0_14default_configENS1_27scan_by_key_config_selectorIitEEZZNS1_16scan_by_key_implILNS1_25lookback_scan_determinismE0ELb1ES3_N6thrust23THRUST_200600_302600_NS6detail15normal_iteratorINS9_10device_ptrIiEEEENSB_INSC_ItEEEESG_tNS9_4plusIvEENS9_8equal_toIvEEtEE10hipError_tPvRmT2_T3_T4_T5_mT6_T7_P12ihipStream_tbENKUlT_T0_E_clISt17integral_constantIbLb0EES10_IbLb1EEEEDaSW_SX_EUlSW_E_NS1_11comp_targetILNS1_3genE3ELNS1_11target_archE908ELNS1_3gpuE7ELNS1_3repE0EEENS1_30default_config_static_selectorELNS0_4arch9wavefront6targetE0EEEvT1_
                                        ; -- End function
	.set _ZN7rocprim17ROCPRIM_400000_NS6detail17trampoline_kernelINS0_14default_configENS1_27scan_by_key_config_selectorIitEEZZNS1_16scan_by_key_implILNS1_25lookback_scan_determinismE0ELb1ES3_N6thrust23THRUST_200600_302600_NS6detail15normal_iteratorINS9_10device_ptrIiEEEENSB_INSC_ItEEEESG_tNS9_4plusIvEENS9_8equal_toIvEEtEE10hipError_tPvRmT2_T3_T4_T5_mT6_T7_P12ihipStream_tbENKUlT_T0_E_clISt17integral_constantIbLb0EES10_IbLb1EEEEDaSW_SX_EUlSW_E_NS1_11comp_targetILNS1_3genE3ELNS1_11target_archE908ELNS1_3gpuE7ELNS1_3repE0EEENS1_30default_config_static_selectorELNS0_4arch9wavefront6targetE0EEEvT1_.num_vgpr, 0
	.set _ZN7rocprim17ROCPRIM_400000_NS6detail17trampoline_kernelINS0_14default_configENS1_27scan_by_key_config_selectorIitEEZZNS1_16scan_by_key_implILNS1_25lookback_scan_determinismE0ELb1ES3_N6thrust23THRUST_200600_302600_NS6detail15normal_iteratorINS9_10device_ptrIiEEEENSB_INSC_ItEEEESG_tNS9_4plusIvEENS9_8equal_toIvEEtEE10hipError_tPvRmT2_T3_T4_T5_mT6_T7_P12ihipStream_tbENKUlT_T0_E_clISt17integral_constantIbLb0EES10_IbLb1EEEEDaSW_SX_EUlSW_E_NS1_11comp_targetILNS1_3genE3ELNS1_11target_archE908ELNS1_3gpuE7ELNS1_3repE0EEENS1_30default_config_static_selectorELNS0_4arch9wavefront6targetE0EEEvT1_.num_agpr, 0
	.set _ZN7rocprim17ROCPRIM_400000_NS6detail17trampoline_kernelINS0_14default_configENS1_27scan_by_key_config_selectorIitEEZZNS1_16scan_by_key_implILNS1_25lookback_scan_determinismE0ELb1ES3_N6thrust23THRUST_200600_302600_NS6detail15normal_iteratorINS9_10device_ptrIiEEEENSB_INSC_ItEEEESG_tNS9_4plusIvEENS9_8equal_toIvEEtEE10hipError_tPvRmT2_T3_T4_T5_mT6_T7_P12ihipStream_tbENKUlT_T0_E_clISt17integral_constantIbLb0EES10_IbLb1EEEEDaSW_SX_EUlSW_E_NS1_11comp_targetILNS1_3genE3ELNS1_11target_archE908ELNS1_3gpuE7ELNS1_3repE0EEENS1_30default_config_static_selectorELNS0_4arch9wavefront6targetE0EEEvT1_.numbered_sgpr, 0
	.set _ZN7rocprim17ROCPRIM_400000_NS6detail17trampoline_kernelINS0_14default_configENS1_27scan_by_key_config_selectorIitEEZZNS1_16scan_by_key_implILNS1_25lookback_scan_determinismE0ELb1ES3_N6thrust23THRUST_200600_302600_NS6detail15normal_iteratorINS9_10device_ptrIiEEEENSB_INSC_ItEEEESG_tNS9_4plusIvEENS9_8equal_toIvEEtEE10hipError_tPvRmT2_T3_T4_T5_mT6_T7_P12ihipStream_tbENKUlT_T0_E_clISt17integral_constantIbLb0EES10_IbLb1EEEEDaSW_SX_EUlSW_E_NS1_11comp_targetILNS1_3genE3ELNS1_11target_archE908ELNS1_3gpuE7ELNS1_3repE0EEENS1_30default_config_static_selectorELNS0_4arch9wavefront6targetE0EEEvT1_.num_named_barrier, 0
	.set _ZN7rocprim17ROCPRIM_400000_NS6detail17trampoline_kernelINS0_14default_configENS1_27scan_by_key_config_selectorIitEEZZNS1_16scan_by_key_implILNS1_25lookback_scan_determinismE0ELb1ES3_N6thrust23THRUST_200600_302600_NS6detail15normal_iteratorINS9_10device_ptrIiEEEENSB_INSC_ItEEEESG_tNS9_4plusIvEENS9_8equal_toIvEEtEE10hipError_tPvRmT2_T3_T4_T5_mT6_T7_P12ihipStream_tbENKUlT_T0_E_clISt17integral_constantIbLb0EES10_IbLb1EEEEDaSW_SX_EUlSW_E_NS1_11comp_targetILNS1_3genE3ELNS1_11target_archE908ELNS1_3gpuE7ELNS1_3repE0EEENS1_30default_config_static_selectorELNS0_4arch9wavefront6targetE0EEEvT1_.private_seg_size, 0
	.set _ZN7rocprim17ROCPRIM_400000_NS6detail17trampoline_kernelINS0_14default_configENS1_27scan_by_key_config_selectorIitEEZZNS1_16scan_by_key_implILNS1_25lookback_scan_determinismE0ELb1ES3_N6thrust23THRUST_200600_302600_NS6detail15normal_iteratorINS9_10device_ptrIiEEEENSB_INSC_ItEEEESG_tNS9_4plusIvEENS9_8equal_toIvEEtEE10hipError_tPvRmT2_T3_T4_T5_mT6_T7_P12ihipStream_tbENKUlT_T0_E_clISt17integral_constantIbLb0EES10_IbLb1EEEEDaSW_SX_EUlSW_E_NS1_11comp_targetILNS1_3genE3ELNS1_11target_archE908ELNS1_3gpuE7ELNS1_3repE0EEENS1_30default_config_static_selectorELNS0_4arch9wavefront6targetE0EEEvT1_.uses_vcc, 0
	.set _ZN7rocprim17ROCPRIM_400000_NS6detail17trampoline_kernelINS0_14default_configENS1_27scan_by_key_config_selectorIitEEZZNS1_16scan_by_key_implILNS1_25lookback_scan_determinismE0ELb1ES3_N6thrust23THRUST_200600_302600_NS6detail15normal_iteratorINS9_10device_ptrIiEEEENSB_INSC_ItEEEESG_tNS9_4plusIvEENS9_8equal_toIvEEtEE10hipError_tPvRmT2_T3_T4_T5_mT6_T7_P12ihipStream_tbENKUlT_T0_E_clISt17integral_constantIbLb0EES10_IbLb1EEEEDaSW_SX_EUlSW_E_NS1_11comp_targetILNS1_3genE3ELNS1_11target_archE908ELNS1_3gpuE7ELNS1_3repE0EEENS1_30default_config_static_selectorELNS0_4arch9wavefront6targetE0EEEvT1_.uses_flat_scratch, 0
	.set _ZN7rocprim17ROCPRIM_400000_NS6detail17trampoline_kernelINS0_14default_configENS1_27scan_by_key_config_selectorIitEEZZNS1_16scan_by_key_implILNS1_25lookback_scan_determinismE0ELb1ES3_N6thrust23THRUST_200600_302600_NS6detail15normal_iteratorINS9_10device_ptrIiEEEENSB_INSC_ItEEEESG_tNS9_4plusIvEENS9_8equal_toIvEEtEE10hipError_tPvRmT2_T3_T4_T5_mT6_T7_P12ihipStream_tbENKUlT_T0_E_clISt17integral_constantIbLb0EES10_IbLb1EEEEDaSW_SX_EUlSW_E_NS1_11comp_targetILNS1_3genE3ELNS1_11target_archE908ELNS1_3gpuE7ELNS1_3repE0EEENS1_30default_config_static_selectorELNS0_4arch9wavefront6targetE0EEEvT1_.has_dyn_sized_stack, 0
	.set _ZN7rocprim17ROCPRIM_400000_NS6detail17trampoline_kernelINS0_14default_configENS1_27scan_by_key_config_selectorIitEEZZNS1_16scan_by_key_implILNS1_25lookback_scan_determinismE0ELb1ES3_N6thrust23THRUST_200600_302600_NS6detail15normal_iteratorINS9_10device_ptrIiEEEENSB_INSC_ItEEEESG_tNS9_4plusIvEENS9_8equal_toIvEEtEE10hipError_tPvRmT2_T3_T4_T5_mT6_T7_P12ihipStream_tbENKUlT_T0_E_clISt17integral_constantIbLb0EES10_IbLb1EEEEDaSW_SX_EUlSW_E_NS1_11comp_targetILNS1_3genE3ELNS1_11target_archE908ELNS1_3gpuE7ELNS1_3repE0EEENS1_30default_config_static_selectorELNS0_4arch9wavefront6targetE0EEEvT1_.has_recursion, 0
	.set _ZN7rocprim17ROCPRIM_400000_NS6detail17trampoline_kernelINS0_14default_configENS1_27scan_by_key_config_selectorIitEEZZNS1_16scan_by_key_implILNS1_25lookback_scan_determinismE0ELb1ES3_N6thrust23THRUST_200600_302600_NS6detail15normal_iteratorINS9_10device_ptrIiEEEENSB_INSC_ItEEEESG_tNS9_4plusIvEENS9_8equal_toIvEEtEE10hipError_tPvRmT2_T3_T4_T5_mT6_T7_P12ihipStream_tbENKUlT_T0_E_clISt17integral_constantIbLb0EES10_IbLb1EEEEDaSW_SX_EUlSW_E_NS1_11comp_targetILNS1_3genE3ELNS1_11target_archE908ELNS1_3gpuE7ELNS1_3repE0EEENS1_30default_config_static_selectorELNS0_4arch9wavefront6targetE0EEEvT1_.has_indirect_call, 0
	.section	.AMDGPU.csdata,"",@progbits
; Kernel info:
; codeLenInByte = 0
; TotalNumSgprs: 0
; NumVgprs: 0
; ScratchSize: 0
; MemoryBound: 0
; FloatMode: 240
; IeeeMode: 1
; LDSByteSize: 0 bytes/workgroup (compile time only)
; SGPRBlocks: 0
; VGPRBlocks: 0
; NumSGPRsForWavesPerEU: 1
; NumVGPRsForWavesPerEU: 1
; NamedBarCnt: 0
; Occupancy: 16
; WaveLimiterHint : 0
; COMPUTE_PGM_RSRC2:SCRATCH_EN: 0
; COMPUTE_PGM_RSRC2:USER_SGPR: 2
; COMPUTE_PGM_RSRC2:TRAP_HANDLER: 0
; COMPUTE_PGM_RSRC2:TGID_X_EN: 1
; COMPUTE_PGM_RSRC2:TGID_Y_EN: 0
; COMPUTE_PGM_RSRC2:TGID_Z_EN: 0
; COMPUTE_PGM_RSRC2:TIDIG_COMP_CNT: 0
	.section	.text._ZN7rocprim17ROCPRIM_400000_NS6detail17trampoline_kernelINS0_14default_configENS1_27scan_by_key_config_selectorIitEEZZNS1_16scan_by_key_implILNS1_25lookback_scan_determinismE0ELb1ES3_N6thrust23THRUST_200600_302600_NS6detail15normal_iteratorINS9_10device_ptrIiEEEENSB_INSC_ItEEEESG_tNS9_4plusIvEENS9_8equal_toIvEEtEE10hipError_tPvRmT2_T3_T4_T5_mT6_T7_P12ihipStream_tbENKUlT_T0_E_clISt17integral_constantIbLb0EES10_IbLb1EEEEDaSW_SX_EUlSW_E_NS1_11comp_targetILNS1_3genE2ELNS1_11target_archE906ELNS1_3gpuE6ELNS1_3repE0EEENS1_30default_config_static_selectorELNS0_4arch9wavefront6targetE0EEEvT1_,"axG",@progbits,_ZN7rocprim17ROCPRIM_400000_NS6detail17trampoline_kernelINS0_14default_configENS1_27scan_by_key_config_selectorIitEEZZNS1_16scan_by_key_implILNS1_25lookback_scan_determinismE0ELb1ES3_N6thrust23THRUST_200600_302600_NS6detail15normal_iteratorINS9_10device_ptrIiEEEENSB_INSC_ItEEEESG_tNS9_4plusIvEENS9_8equal_toIvEEtEE10hipError_tPvRmT2_T3_T4_T5_mT6_T7_P12ihipStream_tbENKUlT_T0_E_clISt17integral_constantIbLb0EES10_IbLb1EEEEDaSW_SX_EUlSW_E_NS1_11comp_targetILNS1_3genE2ELNS1_11target_archE906ELNS1_3gpuE6ELNS1_3repE0EEENS1_30default_config_static_selectorELNS0_4arch9wavefront6targetE0EEEvT1_,comdat
	.protected	_ZN7rocprim17ROCPRIM_400000_NS6detail17trampoline_kernelINS0_14default_configENS1_27scan_by_key_config_selectorIitEEZZNS1_16scan_by_key_implILNS1_25lookback_scan_determinismE0ELb1ES3_N6thrust23THRUST_200600_302600_NS6detail15normal_iteratorINS9_10device_ptrIiEEEENSB_INSC_ItEEEESG_tNS9_4plusIvEENS9_8equal_toIvEEtEE10hipError_tPvRmT2_T3_T4_T5_mT6_T7_P12ihipStream_tbENKUlT_T0_E_clISt17integral_constantIbLb0EES10_IbLb1EEEEDaSW_SX_EUlSW_E_NS1_11comp_targetILNS1_3genE2ELNS1_11target_archE906ELNS1_3gpuE6ELNS1_3repE0EEENS1_30default_config_static_selectorELNS0_4arch9wavefront6targetE0EEEvT1_ ; -- Begin function _ZN7rocprim17ROCPRIM_400000_NS6detail17trampoline_kernelINS0_14default_configENS1_27scan_by_key_config_selectorIitEEZZNS1_16scan_by_key_implILNS1_25lookback_scan_determinismE0ELb1ES3_N6thrust23THRUST_200600_302600_NS6detail15normal_iteratorINS9_10device_ptrIiEEEENSB_INSC_ItEEEESG_tNS9_4plusIvEENS9_8equal_toIvEEtEE10hipError_tPvRmT2_T3_T4_T5_mT6_T7_P12ihipStream_tbENKUlT_T0_E_clISt17integral_constantIbLb0EES10_IbLb1EEEEDaSW_SX_EUlSW_E_NS1_11comp_targetILNS1_3genE2ELNS1_11target_archE906ELNS1_3gpuE6ELNS1_3repE0EEENS1_30default_config_static_selectorELNS0_4arch9wavefront6targetE0EEEvT1_
	.globl	_ZN7rocprim17ROCPRIM_400000_NS6detail17trampoline_kernelINS0_14default_configENS1_27scan_by_key_config_selectorIitEEZZNS1_16scan_by_key_implILNS1_25lookback_scan_determinismE0ELb1ES3_N6thrust23THRUST_200600_302600_NS6detail15normal_iteratorINS9_10device_ptrIiEEEENSB_INSC_ItEEEESG_tNS9_4plusIvEENS9_8equal_toIvEEtEE10hipError_tPvRmT2_T3_T4_T5_mT6_T7_P12ihipStream_tbENKUlT_T0_E_clISt17integral_constantIbLb0EES10_IbLb1EEEEDaSW_SX_EUlSW_E_NS1_11comp_targetILNS1_3genE2ELNS1_11target_archE906ELNS1_3gpuE6ELNS1_3repE0EEENS1_30default_config_static_selectorELNS0_4arch9wavefront6targetE0EEEvT1_
	.p2align	8
	.type	_ZN7rocprim17ROCPRIM_400000_NS6detail17trampoline_kernelINS0_14default_configENS1_27scan_by_key_config_selectorIitEEZZNS1_16scan_by_key_implILNS1_25lookback_scan_determinismE0ELb1ES3_N6thrust23THRUST_200600_302600_NS6detail15normal_iteratorINS9_10device_ptrIiEEEENSB_INSC_ItEEEESG_tNS9_4plusIvEENS9_8equal_toIvEEtEE10hipError_tPvRmT2_T3_T4_T5_mT6_T7_P12ihipStream_tbENKUlT_T0_E_clISt17integral_constantIbLb0EES10_IbLb1EEEEDaSW_SX_EUlSW_E_NS1_11comp_targetILNS1_3genE2ELNS1_11target_archE906ELNS1_3gpuE6ELNS1_3repE0EEENS1_30default_config_static_selectorELNS0_4arch9wavefront6targetE0EEEvT1_,@function
_ZN7rocprim17ROCPRIM_400000_NS6detail17trampoline_kernelINS0_14default_configENS1_27scan_by_key_config_selectorIitEEZZNS1_16scan_by_key_implILNS1_25lookback_scan_determinismE0ELb1ES3_N6thrust23THRUST_200600_302600_NS6detail15normal_iteratorINS9_10device_ptrIiEEEENSB_INSC_ItEEEESG_tNS9_4plusIvEENS9_8equal_toIvEEtEE10hipError_tPvRmT2_T3_T4_T5_mT6_T7_P12ihipStream_tbENKUlT_T0_E_clISt17integral_constantIbLb0EES10_IbLb1EEEEDaSW_SX_EUlSW_E_NS1_11comp_targetILNS1_3genE2ELNS1_11target_archE906ELNS1_3gpuE6ELNS1_3repE0EEENS1_30default_config_static_selectorELNS0_4arch9wavefront6targetE0EEEvT1_: ; @_ZN7rocprim17ROCPRIM_400000_NS6detail17trampoline_kernelINS0_14default_configENS1_27scan_by_key_config_selectorIitEEZZNS1_16scan_by_key_implILNS1_25lookback_scan_determinismE0ELb1ES3_N6thrust23THRUST_200600_302600_NS6detail15normal_iteratorINS9_10device_ptrIiEEEENSB_INSC_ItEEEESG_tNS9_4plusIvEENS9_8equal_toIvEEtEE10hipError_tPvRmT2_T3_T4_T5_mT6_T7_P12ihipStream_tbENKUlT_T0_E_clISt17integral_constantIbLb0EES10_IbLb1EEEEDaSW_SX_EUlSW_E_NS1_11comp_targetILNS1_3genE2ELNS1_11target_archE906ELNS1_3gpuE6ELNS1_3repE0EEENS1_30default_config_static_selectorELNS0_4arch9wavefront6targetE0EEEvT1_
; %bb.0:
	.section	.rodata,"a",@progbits
	.p2align	6, 0x0
	.amdhsa_kernel _ZN7rocprim17ROCPRIM_400000_NS6detail17trampoline_kernelINS0_14default_configENS1_27scan_by_key_config_selectorIitEEZZNS1_16scan_by_key_implILNS1_25lookback_scan_determinismE0ELb1ES3_N6thrust23THRUST_200600_302600_NS6detail15normal_iteratorINS9_10device_ptrIiEEEENSB_INSC_ItEEEESG_tNS9_4plusIvEENS9_8equal_toIvEEtEE10hipError_tPvRmT2_T3_T4_T5_mT6_T7_P12ihipStream_tbENKUlT_T0_E_clISt17integral_constantIbLb0EES10_IbLb1EEEEDaSW_SX_EUlSW_E_NS1_11comp_targetILNS1_3genE2ELNS1_11target_archE906ELNS1_3gpuE6ELNS1_3repE0EEENS1_30default_config_static_selectorELNS0_4arch9wavefront6targetE0EEEvT1_
		.amdhsa_group_segment_fixed_size 0
		.amdhsa_private_segment_fixed_size 0
		.amdhsa_kernarg_size 112
		.amdhsa_user_sgpr_count 2
		.amdhsa_user_sgpr_dispatch_ptr 0
		.amdhsa_user_sgpr_queue_ptr 0
		.amdhsa_user_sgpr_kernarg_segment_ptr 1
		.amdhsa_user_sgpr_dispatch_id 0
		.amdhsa_user_sgpr_kernarg_preload_length 0
		.amdhsa_user_sgpr_kernarg_preload_offset 0
		.amdhsa_user_sgpr_private_segment_size 0
		.amdhsa_wavefront_size32 1
		.amdhsa_uses_dynamic_stack 0
		.amdhsa_enable_private_segment 0
		.amdhsa_system_sgpr_workgroup_id_x 1
		.amdhsa_system_sgpr_workgroup_id_y 0
		.amdhsa_system_sgpr_workgroup_id_z 0
		.amdhsa_system_sgpr_workgroup_info 0
		.amdhsa_system_vgpr_workitem_id 0
		.amdhsa_next_free_vgpr 1
		.amdhsa_next_free_sgpr 1
		.amdhsa_named_barrier_count 0
		.amdhsa_reserve_vcc 0
		.amdhsa_float_round_mode_32 0
		.amdhsa_float_round_mode_16_64 0
		.amdhsa_float_denorm_mode_32 3
		.amdhsa_float_denorm_mode_16_64 3
		.amdhsa_fp16_overflow 0
		.amdhsa_memory_ordered 1
		.amdhsa_forward_progress 1
		.amdhsa_inst_pref_size 0
		.amdhsa_round_robin_scheduling 0
		.amdhsa_exception_fp_ieee_invalid_op 0
		.amdhsa_exception_fp_denorm_src 0
		.amdhsa_exception_fp_ieee_div_zero 0
		.amdhsa_exception_fp_ieee_overflow 0
		.amdhsa_exception_fp_ieee_underflow 0
		.amdhsa_exception_fp_ieee_inexact 0
		.amdhsa_exception_int_div_zero 0
	.end_amdhsa_kernel
	.section	.text._ZN7rocprim17ROCPRIM_400000_NS6detail17trampoline_kernelINS0_14default_configENS1_27scan_by_key_config_selectorIitEEZZNS1_16scan_by_key_implILNS1_25lookback_scan_determinismE0ELb1ES3_N6thrust23THRUST_200600_302600_NS6detail15normal_iteratorINS9_10device_ptrIiEEEENSB_INSC_ItEEEESG_tNS9_4plusIvEENS9_8equal_toIvEEtEE10hipError_tPvRmT2_T3_T4_T5_mT6_T7_P12ihipStream_tbENKUlT_T0_E_clISt17integral_constantIbLb0EES10_IbLb1EEEEDaSW_SX_EUlSW_E_NS1_11comp_targetILNS1_3genE2ELNS1_11target_archE906ELNS1_3gpuE6ELNS1_3repE0EEENS1_30default_config_static_selectorELNS0_4arch9wavefront6targetE0EEEvT1_,"axG",@progbits,_ZN7rocprim17ROCPRIM_400000_NS6detail17trampoline_kernelINS0_14default_configENS1_27scan_by_key_config_selectorIitEEZZNS1_16scan_by_key_implILNS1_25lookback_scan_determinismE0ELb1ES3_N6thrust23THRUST_200600_302600_NS6detail15normal_iteratorINS9_10device_ptrIiEEEENSB_INSC_ItEEEESG_tNS9_4plusIvEENS9_8equal_toIvEEtEE10hipError_tPvRmT2_T3_T4_T5_mT6_T7_P12ihipStream_tbENKUlT_T0_E_clISt17integral_constantIbLb0EES10_IbLb1EEEEDaSW_SX_EUlSW_E_NS1_11comp_targetILNS1_3genE2ELNS1_11target_archE906ELNS1_3gpuE6ELNS1_3repE0EEENS1_30default_config_static_selectorELNS0_4arch9wavefront6targetE0EEEvT1_,comdat
.Lfunc_end1567:
	.size	_ZN7rocprim17ROCPRIM_400000_NS6detail17trampoline_kernelINS0_14default_configENS1_27scan_by_key_config_selectorIitEEZZNS1_16scan_by_key_implILNS1_25lookback_scan_determinismE0ELb1ES3_N6thrust23THRUST_200600_302600_NS6detail15normal_iteratorINS9_10device_ptrIiEEEENSB_INSC_ItEEEESG_tNS9_4plusIvEENS9_8equal_toIvEEtEE10hipError_tPvRmT2_T3_T4_T5_mT6_T7_P12ihipStream_tbENKUlT_T0_E_clISt17integral_constantIbLb0EES10_IbLb1EEEEDaSW_SX_EUlSW_E_NS1_11comp_targetILNS1_3genE2ELNS1_11target_archE906ELNS1_3gpuE6ELNS1_3repE0EEENS1_30default_config_static_selectorELNS0_4arch9wavefront6targetE0EEEvT1_, .Lfunc_end1567-_ZN7rocprim17ROCPRIM_400000_NS6detail17trampoline_kernelINS0_14default_configENS1_27scan_by_key_config_selectorIitEEZZNS1_16scan_by_key_implILNS1_25lookback_scan_determinismE0ELb1ES3_N6thrust23THRUST_200600_302600_NS6detail15normal_iteratorINS9_10device_ptrIiEEEENSB_INSC_ItEEEESG_tNS9_4plusIvEENS9_8equal_toIvEEtEE10hipError_tPvRmT2_T3_T4_T5_mT6_T7_P12ihipStream_tbENKUlT_T0_E_clISt17integral_constantIbLb0EES10_IbLb1EEEEDaSW_SX_EUlSW_E_NS1_11comp_targetILNS1_3genE2ELNS1_11target_archE906ELNS1_3gpuE6ELNS1_3repE0EEENS1_30default_config_static_selectorELNS0_4arch9wavefront6targetE0EEEvT1_
                                        ; -- End function
	.set _ZN7rocprim17ROCPRIM_400000_NS6detail17trampoline_kernelINS0_14default_configENS1_27scan_by_key_config_selectorIitEEZZNS1_16scan_by_key_implILNS1_25lookback_scan_determinismE0ELb1ES3_N6thrust23THRUST_200600_302600_NS6detail15normal_iteratorINS9_10device_ptrIiEEEENSB_INSC_ItEEEESG_tNS9_4plusIvEENS9_8equal_toIvEEtEE10hipError_tPvRmT2_T3_T4_T5_mT6_T7_P12ihipStream_tbENKUlT_T0_E_clISt17integral_constantIbLb0EES10_IbLb1EEEEDaSW_SX_EUlSW_E_NS1_11comp_targetILNS1_3genE2ELNS1_11target_archE906ELNS1_3gpuE6ELNS1_3repE0EEENS1_30default_config_static_selectorELNS0_4arch9wavefront6targetE0EEEvT1_.num_vgpr, 0
	.set _ZN7rocprim17ROCPRIM_400000_NS6detail17trampoline_kernelINS0_14default_configENS1_27scan_by_key_config_selectorIitEEZZNS1_16scan_by_key_implILNS1_25lookback_scan_determinismE0ELb1ES3_N6thrust23THRUST_200600_302600_NS6detail15normal_iteratorINS9_10device_ptrIiEEEENSB_INSC_ItEEEESG_tNS9_4plusIvEENS9_8equal_toIvEEtEE10hipError_tPvRmT2_T3_T4_T5_mT6_T7_P12ihipStream_tbENKUlT_T0_E_clISt17integral_constantIbLb0EES10_IbLb1EEEEDaSW_SX_EUlSW_E_NS1_11comp_targetILNS1_3genE2ELNS1_11target_archE906ELNS1_3gpuE6ELNS1_3repE0EEENS1_30default_config_static_selectorELNS0_4arch9wavefront6targetE0EEEvT1_.num_agpr, 0
	.set _ZN7rocprim17ROCPRIM_400000_NS6detail17trampoline_kernelINS0_14default_configENS1_27scan_by_key_config_selectorIitEEZZNS1_16scan_by_key_implILNS1_25lookback_scan_determinismE0ELb1ES3_N6thrust23THRUST_200600_302600_NS6detail15normal_iteratorINS9_10device_ptrIiEEEENSB_INSC_ItEEEESG_tNS9_4plusIvEENS9_8equal_toIvEEtEE10hipError_tPvRmT2_T3_T4_T5_mT6_T7_P12ihipStream_tbENKUlT_T0_E_clISt17integral_constantIbLb0EES10_IbLb1EEEEDaSW_SX_EUlSW_E_NS1_11comp_targetILNS1_3genE2ELNS1_11target_archE906ELNS1_3gpuE6ELNS1_3repE0EEENS1_30default_config_static_selectorELNS0_4arch9wavefront6targetE0EEEvT1_.numbered_sgpr, 0
	.set _ZN7rocprim17ROCPRIM_400000_NS6detail17trampoline_kernelINS0_14default_configENS1_27scan_by_key_config_selectorIitEEZZNS1_16scan_by_key_implILNS1_25lookback_scan_determinismE0ELb1ES3_N6thrust23THRUST_200600_302600_NS6detail15normal_iteratorINS9_10device_ptrIiEEEENSB_INSC_ItEEEESG_tNS9_4plusIvEENS9_8equal_toIvEEtEE10hipError_tPvRmT2_T3_T4_T5_mT6_T7_P12ihipStream_tbENKUlT_T0_E_clISt17integral_constantIbLb0EES10_IbLb1EEEEDaSW_SX_EUlSW_E_NS1_11comp_targetILNS1_3genE2ELNS1_11target_archE906ELNS1_3gpuE6ELNS1_3repE0EEENS1_30default_config_static_selectorELNS0_4arch9wavefront6targetE0EEEvT1_.num_named_barrier, 0
	.set _ZN7rocprim17ROCPRIM_400000_NS6detail17trampoline_kernelINS0_14default_configENS1_27scan_by_key_config_selectorIitEEZZNS1_16scan_by_key_implILNS1_25lookback_scan_determinismE0ELb1ES3_N6thrust23THRUST_200600_302600_NS6detail15normal_iteratorINS9_10device_ptrIiEEEENSB_INSC_ItEEEESG_tNS9_4plusIvEENS9_8equal_toIvEEtEE10hipError_tPvRmT2_T3_T4_T5_mT6_T7_P12ihipStream_tbENKUlT_T0_E_clISt17integral_constantIbLb0EES10_IbLb1EEEEDaSW_SX_EUlSW_E_NS1_11comp_targetILNS1_3genE2ELNS1_11target_archE906ELNS1_3gpuE6ELNS1_3repE0EEENS1_30default_config_static_selectorELNS0_4arch9wavefront6targetE0EEEvT1_.private_seg_size, 0
	.set _ZN7rocprim17ROCPRIM_400000_NS6detail17trampoline_kernelINS0_14default_configENS1_27scan_by_key_config_selectorIitEEZZNS1_16scan_by_key_implILNS1_25lookback_scan_determinismE0ELb1ES3_N6thrust23THRUST_200600_302600_NS6detail15normal_iteratorINS9_10device_ptrIiEEEENSB_INSC_ItEEEESG_tNS9_4plusIvEENS9_8equal_toIvEEtEE10hipError_tPvRmT2_T3_T4_T5_mT6_T7_P12ihipStream_tbENKUlT_T0_E_clISt17integral_constantIbLb0EES10_IbLb1EEEEDaSW_SX_EUlSW_E_NS1_11comp_targetILNS1_3genE2ELNS1_11target_archE906ELNS1_3gpuE6ELNS1_3repE0EEENS1_30default_config_static_selectorELNS0_4arch9wavefront6targetE0EEEvT1_.uses_vcc, 0
	.set _ZN7rocprim17ROCPRIM_400000_NS6detail17trampoline_kernelINS0_14default_configENS1_27scan_by_key_config_selectorIitEEZZNS1_16scan_by_key_implILNS1_25lookback_scan_determinismE0ELb1ES3_N6thrust23THRUST_200600_302600_NS6detail15normal_iteratorINS9_10device_ptrIiEEEENSB_INSC_ItEEEESG_tNS9_4plusIvEENS9_8equal_toIvEEtEE10hipError_tPvRmT2_T3_T4_T5_mT6_T7_P12ihipStream_tbENKUlT_T0_E_clISt17integral_constantIbLb0EES10_IbLb1EEEEDaSW_SX_EUlSW_E_NS1_11comp_targetILNS1_3genE2ELNS1_11target_archE906ELNS1_3gpuE6ELNS1_3repE0EEENS1_30default_config_static_selectorELNS0_4arch9wavefront6targetE0EEEvT1_.uses_flat_scratch, 0
	.set _ZN7rocprim17ROCPRIM_400000_NS6detail17trampoline_kernelINS0_14default_configENS1_27scan_by_key_config_selectorIitEEZZNS1_16scan_by_key_implILNS1_25lookback_scan_determinismE0ELb1ES3_N6thrust23THRUST_200600_302600_NS6detail15normal_iteratorINS9_10device_ptrIiEEEENSB_INSC_ItEEEESG_tNS9_4plusIvEENS9_8equal_toIvEEtEE10hipError_tPvRmT2_T3_T4_T5_mT6_T7_P12ihipStream_tbENKUlT_T0_E_clISt17integral_constantIbLb0EES10_IbLb1EEEEDaSW_SX_EUlSW_E_NS1_11comp_targetILNS1_3genE2ELNS1_11target_archE906ELNS1_3gpuE6ELNS1_3repE0EEENS1_30default_config_static_selectorELNS0_4arch9wavefront6targetE0EEEvT1_.has_dyn_sized_stack, 0
	.set _ZN7rocprim17ROCPRIM_400000_NS6detail17trampoline_kernelINS0_14default_configENS1_27scan_by_key_config_selectorIitEEZZNS1_16scan_by_key_implILNS1_25lookback_scan_determinismE0ELb1ES3_N6thrust23THRUST_200600_302600_NS6detail15normal_iteratorINS9_10device_ptrIiEEEENSB_INSC_ItEEEESG_tNS9_4plusIvEENS9_8equal_toIvEEtEE10hipError_tPvRmT2_T3_T4_T5_mT6_T7_P12ihipStream_tbENKUlT_T0_E_clISt17integral_constantIbLb0EES10_IbLb1EEEEDaSW_SX_EUlSW_E_NS1_11comp_targetILNS1_3genE2ELNS1_11target_archE906ELNS1_3gpuE6ELNS1_3repE0EEENS1_30default_config_static_selectorELNS0_4arch9wavefront6targetE0EEEvT1_.has_recursion, 0
	.set _ZN7rocprim17ROCPRIM_400000_NS6detail17trampoline_kernelINS0_14default_configENS1_27scan_by_key_config_selectorIitEEZZNS1_16scan_by_key_implILNS1_25lookback_scan_determinismE0ELb1ES3_N6thrust23THRUST_200600_302600_NS6detail15normal_iteratorINS9_10device_ptrIiEEEENSB_INSC_ItEEEESG_tNS9_4plusIvEENS9_8equal_toIvEEtEE10hipError_tPvRmT2_T3_T4_T5_mT6_T7_P12ihipStream_tbENKUlT_T0_E_clISt17integral_constantIbLb0EES10_IbLb1EEEEDaSW_SX_EUlSW_E_NS1_11comp_targetILNS1_3genE2ELNS1_11target_archE906ELNS1_3gpuE6ELNS1_3repE0EEENS1_30default_config_static_selectorELNS0_4arch9wavefront6targetE0EEEvT1_.has_indirect_call, 0
	.section	.AMDGPU.csdata,"",@progbits
; Kernel info:
; codeLenInByte = 0
; TotalNumSgprs: 0
; NumVgprs: 0
; ScratchSize: 0
; MemoryBound: 0
; FloatMode: 240
; IeeeMode: 1
; LDSByteSize: 0 bytes/workgroup (compile time only)
; SGPRBlocks: 0
; VGPRBlocks: 0
; NumSGPRsForWavesPerEU: 1
; NumVGPRsForWavesPerEU: 1
; NamedBarCnt: 0
; Occupancy: 16
; WaveLimiterHint : 0
; COMPUTE_PGM_RSRC2:SCRATCH_EN: 0
; COMPUTE_PGM_RSRC2:USER_SGPR: 2
; COMPUTE_PGM_RSRC2:TRAP_HANDLER: 0
; COMPUTE_PGM_RSRC2:TGID_X_EN: 1
; COMPUTE_PGM_RSRC2:TGID_Y_EN: 0
; COMPUTE_PGM_RSRC2:TGID_Z_EN: 0
; COMPUTE_PGM_RSRC2:TIDIG_COMP_CNT: 0
	.section	.text._ZN7rocprim17ROCPRIM_400000_NS6detail17trampoline_kernelINS0_14default_configENS1_27scan_by_key_config_selectorIitEEZZNS1_16scan_by_key_implILNS1_25lookback_scan_determinismE0ELb1ES3_N6thrust23THRUST_200600_302600_NS6detail15normal_iteratorINS9_10device_ptrIiEEEENSB_INSC_ItEEEESG_tNS9_4plusIvEENS9_8equal_toIvEEtEE10hipError_tPvRmT2_T3_T4_T5_mT6_T7_P12ihipStream_tbENKUlT_T0_E_clISt17integral_constantIbLb0EES10_IbLb1EEEEDaSW_SX_EUlSW_E_NS1_11comp_targetILNS1_3genE10ELNS1_11target_archE1200ELNS1_3gpuE4ELNS1_3repE0EEENS1_30default_config_static_selectorELNS0_4arch9wavefront6targetE0EEEvT1_,"axG",@progbits,_ZN7rocprim17ROCPRIM_400000_NS6detail17trampoline_kernelINS0_14default_configENS1_27scan_by_key_config_selectorIitEEZZNS1_16scan_by_key_implILNS1_25lookback_scan_determinismE0ELb1ES3_N6thrust23THRUST_200600_302600_NS6detail15normal_iteratorINS9_10device_ptrIiEEEENSB_INSC_ItEEEESG_tNS9_4plusIvEENS9_8equal_toIvEEtEE10hipError_tPvRmT2_T3_T4_T5_mT6_T7_P12ihipStream_tbENKUlT_T0_E_clISt17integral_constantIbLb0EES10_IbLb1EEEEDaSW_SX_EUlSW_E_NS1_11comp_targetILNS1_3genE10ELNS1_11target_archE1200ELNS1_3gpuE4ELNS1_3repE0EEENS1_30default_config_static_selectorELNS0_4arch9wavefront6targetE0EEEvT1_,comdat
	.protected	_ZN7rocprim17ROCPRIM_400000_NS6detail17trampoline_kernelINS0_14default_configENS1_27scan_by_key_config_selectorIitEEZZNS1_16scan_by_key_implILNS1_25lookback_scan_determinismE0ELb1ES3_N6thrust23THRUST_200600_302600_NS6detail15normal_iteratorINS9_10device_ptrIiEEEENSB_INSC_ItEEEESG_tNS9_4plusIvEENS9_8equal_toIvEEtEE10hipError_tPvRmT2_T3_T4_T5_mT6_T7_P12ihipStream_tbENKUlT_T0_E_clISt17integral_constantIbLb0EES10_IbLb1EEEEDaSW_SX_EUlSW_E_NS1_11comp_targetILNS1_3genE10ELNS1_11target_archE1200ELNS1_3gpuE4ELNS1_3repE0EEENS1_30default_config_static_selectorELNS0_4arch9wavefront6targetE0EEEvT1_ ; -- Begin function _ZN7rocprim17ROCPRIM_400000_NS6detail17trampoline_kernelINS0_14default_configENS1_27scan_by_key_config_selectorIitEEZZNS1_16scan_by_key_implILNS1_25lookback_scan_determinismE0ELb1ES3_N6thrust23THRUST_200600_302600_NS6detail15normal_iteratorINS9_10device_ptrIiEEEENSB_INSC_ItEEEESG_tNS9_4plusIvEENS9_8equal_toIvEEtEE10hipError_tPvRmT2_T3_T4_T5_mT6_T7_P12ihipStream_tbENKUlT_T0_E_clISt17integral_constantIbLb0EES10_IbLb1EEEEDaSW_SX_EUlSW_E_NS1_11comp_targetILNS1_3genE10ELNS1_11target_archE1200ELNS1_3gpuE4ELNS1_3repE0EEENS1_30default_config_static_selectorELNS0_4arch9wavefront6targetE0EEEvT1_
	.globl	_ZN7rocprim17ROCPRIM_400000_NS6detail17trampoline_kernelINS0_14default_configENS1_27scan_by_key_config_selectorIitEEZZNS1_16scan_by_key_implILNS1_25lookback_scan_determinismE0ELb1ES3_N6thrust23THRUST_200600_302600_NS6detail15normal_iteratorINS9_10device_ptrIiEEEENSB_INSC_ItEEEESG_tNS9_4plusIvEENS9_8equal_toIvEEtEE10hipError_tPvRmT2_T3_T4_T5_mT6_T7_P12ihipStream_tbENKUlT_T0_E_clISt17integral_constantIbLb0EES10_IbLb1EEEEDaSW_SX_EUlSW_E_NS1_11comp_targetILNS1_3genE10ELNS1_11target_archE1200ELNS1_3gpuE4ELNS1_3repE0EEENS1_30default_config_static_selectorELNS0_4arch9wavefront6targetE0EEEvT1_
	.p2align	8
	.type	_ZN7rocprim17ROCPRIM_400000_NS6detail17trampoline_kernelINS0_14default_configENS1_27scan_by_key_config_selectorIitEEZZNS1_16scan_by_key_implILNS1_25lookback_scan_determinismE0ELb1ES3_N6thrust23THRUST_200600_302600_NS6detail15normal_iteratorINS9_10device_ptrIiEEEENSB_INSC_ItEEEESG_tNS9_4plusIvEENS9_8equal_toIvEEtEE10hipError_tPvRmT2_T3_T4_T5_mT6_T7_P12ihipStream_tbENKUlT_T0_E_clISt17integral_constantIbLb0EES10_IbLb1EEEEDaSW_SX_EUlSW_E_NS1_11comp_targetILNS1_3genE10ELNS1_11target_archE1200ELNS1_3gpuE4ELNS1_3repE0EEENS1_30default_config_static_selectorELNS0_4arch9wavefront6targetE0EEEvT1_,@function
_ZN7rocprim17ROCPRIM_400000_NS6detail17trampoline_kernelINS0_14default_configENS1_27scan_by_key_config_selectorIitEEZZNS1_16scan_by_key_implILNS1_25lookback_scan_determinismE0ELb1ES3_N6thrust23THRUST_200600_302600_NS6detail15normal_iteratorINS9_10device_ptrIiEEEENSB_INSC_ItEEEESG_tNS9_4plusIvEENS9_8equal_toIvEEtEE10hipError_tPvRmT2_T3_T4_T5_mT6_T7_P12ihipStream_tbENKUlT_T0_E_clISt17integral_constantIbLb0EES10_IbLb1EEEEDaSW_SX_EUlSW_E_NS1_11comp_targetILNS1_3genE10ELNS1_11target_archE1200ELNS1_3gpuE4ELNS1_3repE0EEENS1_30default_config_static_selectorELNS0_4arch9wavefront6targetE0EEEvT1_: ; @_ZN7rocprim17ROCPRIM_400000_NS6detail17trampoline_kernelINS0_14default_configENS1_27scan_by_key_config_selectorIitEEZZNS1_16scan_by_key_implILNS1_25lookback_scan_determinismE0ELb1ES3_N6thrust23THRUST_200600_302600_NS6detail15normal_iteratorINS9_10device_ptrIiEEEENSB_INSC_ItEEEESG_tNS9_4plusIvEENS9_8equal_toIvEEtEE10hipError_tPvRmT2_T3_T4_T5_mT6_T7_P12ihipStream_tbENKUlT_T0_E_clISt17integral_constantIbLb0EES10_IbLb1EEEEDaSW_SX_EUlSW_E_NS1_11comp_targetILNS1_3genE10ELNS1_11target_archE1200ELNS1_3gpuE4ELNS1_3repE0EEENS1_30default_config_static_selectorELNS0_4arch9wavefront6targetE0EEEvT1_
; %bb.0:
	.section	.rodata,"a",@progbits
	.p2align	6, 0x0
	.amdhsa_kernel _ZN7rocprim17ROCPRIM_400000_NS6detail17trampoline_kernelINS0_14default_configENS1_27scan_by_key_config_selectorIitEEZZNS1_16scan_by_key_implILNS1_25lookback_scan_determinismE0ELb1ES3_N6thrust23THRUST_200600_302600_NS6detail15normal_iteratorINS9_10device_ptrIiEEEENSB_INSC_ItEEEESG_tNS9_4plusIvEENS9_8equal_toIvEEtEE10hipError_tPvRmT2_T3_T4_T5_mT6_T7_P12ihipStream_tbENKUlT_T0_E_clISt17integral_constantIbLb0EES10_IbLb1EEEEDaSW_SX_EUlSW_E_NS1_11comp_targetILNS1_3genE10ELNS1_11target_archE1200ELNS1_3gpuE4ELNS1_3repE0EEENS1_30default_config_static_selectorELNS0_4arch9wavefront6targetE0EEEvT1_
		.amdhsa_group_segment_fixed_size 0
		.amdhsa_private_segment_fixed_size 0
		.amdhsa_kernarg_size 112
		.amdhsa_user_sgpr_count 2
		.amdhsa_user_sgpr_dispatch_ptr 0
		.amdhsa_user_sgpr_queue_ptr 0
		.amdhsa_user_sgpr_kernarg_segment_ptr 1
		.amdhsa_user_sgpr_dispatch_id 0
		.amdhsa_user_sgpr_kernarg_preload_length 0
		.amdhsa_user_sgpr_kernarg_preload_offset 0
		.amdhsa_user_sgpr_private_segment_size 0
		.amdhsa_wavefront_size32 1
		.amdhsa_uses_dynamic_stack 0
		.amdhsa_enable_private_segment 0
		.amdhsa_system_sgpr_workgroup_id_x 1
		.amdhsa_system_sgpr_workgroup_id_y 0
		.amdhsa_system_sgpr_workgroup_id_z 0
		.amdhsa_system_sgpr_workgroup_info 0
		.amdhsa_system_vgpr_workitem_id 0
		.amdhsa_next_free_vgpr 1
		.amdhsa_next_free_sgpr 1
		.amdhsa_named_barrier_count 0
		.amdhsa_reserve_vcc 0
		.amdhsa_float_round_mode_32 0
		.amdhsa_float_round_mode_16_64 0
		.amdhsa_float_denorm_mode_32 3
		.amdhsa_float_denorm_mode_16_64 3
		.amdhsa_fp16_overflow 0
		.amdhsa_memory_ordered 1
		.amdhsa_forward_progress 1
		.amdhsa_inst_pref_size 0
		.amdhsa_round_robin_scheduling 0
		.amdhsa_exception_fp_ieee_invalid_op 0
		.amdhsa_exception_fp_denorm_src 0
		.amdhsa_exception_fp_ieee_div_zero 0
		.amdhsa_exception_fp_ieee_overflow 0
		.amdhsa_exception_fp_ieee_underflow 0
		.amdhsa_exception_fp_ieee_inexact 0
		.amdhsa_exception_int_div_zero 0
	.end_amdhsa_kernel
	.section	.text._ZN7rocprim17ROCPRIM_400000_NS6detail17trampoline_kernelINS0_14default_configENS1_27scan_by_key_config_selectorIitEEZZNS1_16scan_by_key_implILNS1_25lookback_scan_determinismE0ELb1ES3_N6thrust23THRUST_200600_302600_NS6detail15normal_iteratorINS9_10device_ptrIiEEEENSB_INSC_ItEEEESG_tNS9_4plusIvEENS9_8equal_toIvEEtEE10hipError_tPvRmT2_T3_T4_T5_mT6_T7_P12ihipStream_tbENKUlT_T0_E_clISt17integral_constantIbLb0EES10_IbLb1EEEEDaSW_SX_EUlSW_E_NS1_11comp_targetILNS1_3genE10ELNS1_11target_archE1200ELNS1_3gpuE4ELNS1_3repE0EEENS1_30default_config_static_selectorELNS0_4arch9wavefront6targetE0EEEvT1_,"axG",@progbits,_ZN7rocprim17ROCPRIM_400000_NS6detail17trampoline_kernelINS0_14default_configENS1_27scan_by_key_config_selectorIitEEZZNS1_16scan_by_key_implILNS1_25lookback_scan_determinismE0ELb1ES3_N6thrust23THRUST_200600_302600_NS6detail15normal_iteratorINS9_10device_ptrIiEEEENSB_INSC_ItEEEESG_tNS9_4plusIvEENS9_8equal_toIvEEtEE10hipError_tPvRmT2_T3_T4_T5_mT6_T7_P12ihipStream_tbENKUlT_T0_E_clISt17integral_constantIbLb0EES10_IbLb1EEEEDaSW_SX_EUlSW_E_NS1_11comp_targetILNS1_3genE10ELNS1_11target_archE1200ELNS1_3gpuE4ELNS1_3repE0EEENS1_30default_config_static_selectorELNS0_4arch9wavefront6targetE0EEEvT1_,comdat
.Lfunc_end1568:
	.size	_ZN7rocprim17ROCPRIM_400000_NS6detail17trampoline_kernelINS0_14default_configENS1_27scan_by_key_config_selectorIitEEZZNS1_16scan_by_key_implILNS1_25lookback_scan_determinismE0ELb1ES3_N6thrust23THRUST_200600_302600_NS6detail15normal_iteratorINS9_10device_ptrIiEEEENSB_INSC_ItEEEESG_tNS9_4plusIvEENS9_8equal_toIvEEtEE10hipError_tPvRmT2_T3_T4_T5_mT6_T7_P12ihipStream_tbENKUlT_T0_E_clISt17integral_constantIbLb0EES10_IbLb1EEEEDaSW_SX_EUlSW_E_NS1_11comp_targetILNS1_3genE10ELNS1_11target_archE1200ELNS1_3gpuE4ELNS1_3repE0EEENS1_30default_config_static_selectorELNS0_4arch9wavefront6targetE0EEEvT1_, .Lfunc_end1568-_ZN7rocprim17ROCPRIM_400000_NS6detail17trampoline_kernelINS0_14default_configENS1_27scan_by_key_config_selectorIitEEZZNS1_16scan_by_key_implILNS1_25lookback_scan_determinismE0ELb1ES3_N6thrust23THRUST_200600_302600_NS6detail15normal_iteratorINS9_10device_ptrIiEEEENSB_INSC_ItEEEESG_tNS9_4plusIvEENS9_8equal_toIvEEtEE10hipError_tPvRmT2_T3_T4_T5_mT6_T7_P12ihipStream_tbENKUlT_T0_E_clISt17integral_constantIbLb0EES10_IbLb1EEEEDaSW_SX_EUlSW_E_NS1_11comp_targetILNS1_3genE10ELNS1_11target_archE1200ELNS1_3gpuE4ELNS1_3repE0EEENS1_30default_config_static_selectorELNS0_4arch9wavefront6targetE0EEEvT1_
                                        ; -- End function
	.set _ZN7rocprim17ROCPRIM_400000_NS6detail17trampoline_kernelINS0_14default_configENS1_27scan_by_key_config_selectorIitEEZZNS1_16scan_by_key_implILNS1_25lookback_scan_determinismE0ELb1ES3_N6thrust23THRUST_200600_302600_NS6detail15normal_iteratorINS9_10device_ptrIiEEEENSB_INSC_ItEEEESG_tNS9_4plusIvEENS9_8equal_toIvEEtEE10hipError_tPvRmT2_T3_T4_T5_mT6_T7_P12ihipStream_tbENKUlT_T0_E_clISt17integral_constantIbLb0EES10_IbLb1EEEEDaSW_SX_EUlSW_E_NS1_11comp_targetILNS1_3genE10ELNS1_11target_archE1200ELNS1_3gpuE4ELNS1_3repE0EEENS1_30default_config_static_selectorELNS0_4arch9wavefront6targetE0EEEvT1_.num_vgpr, 0
	.set _ZN7rocprim17ROCPRIM_400000_NS6detail17trampoline_kernelINS0_14default_configENS1_27scan_by_key_config_selectorIitEEZZNS1_16scan_by_key_implILNS1_25lookback_scan_determinismE0ELb1ES3_N6thrust23THRUST_200600_302600_NS6detail15normal_iteratorINS9_10device_ptrIiEEEENSB_INSC_ItEEEESG_tNS9_4plusIvEENS9_8equal_toIvEEtEE10hipError_tPvRmT2_T3_T4_T5_mT6_T7_P12ihipStream_tbENKUlT_T0_E_clISt17integral_constantIbLb0EES10_IbLb1EEEEDaSW_SX_EUlSW_E_NS1_11comp_targetILNS1_3genE10ELNS1_11target_archE1200ELNS1_3gpuE4ELNS1_3repE0EEENS1_30default_config_static_selectorELNS0_4arch9wavefront6targetE0EEEvT1_.num_agpr, 0
	.set _ZN7rocprim17ROCPRIM_400000_NS6detail17trampoline_kernelINS0_14default_configENS1_27scan_by_key_config_selectorIitEEZZNS1_16scan_by_key_implILNS1_25lookback_scan_determinismE0ELb1ES3_N6thrust23THRUST_200600_302600_NS6detail15normal_iteratorINS9_10device_ptrIiEEEENSB_INSC_ItEEEESG_tNS9_4plusIvEENS9_8equal_toIvEEtEE10hipError_tPvRmT2_T3_T4_T5_mT6_T7_P12ihipStream_tbENKUlT_T0_E_clISt17integral_constantIbLb0EES10_IbLb1EEEEDaSW_SX_EUlSW_E_NS1_11comp_targetILNS1_3genE10ELNS1_11target_archE1200ELNS1_3gpuE4ELNS1_3repE0EEENS1_30default_config_static_selectorELNS0_4arch9wavefront6targetE0EEEvT1_.numbered_sgpr, 0
	.set _ZN7rocprim17ROCPRIM_400000_NS6detail17trampoline_kernelINS0_14default_configENS1_27scan_by_key_config_selectorIitEEZZNS1_16scan_by_key_implILNS1_25lookback_scan_determinismE0ELb1ES3_N6thrust23THRUST_200600_302600_NS6detail15normal_iteratorINS9_10device_ptrIiEEEENSB_INSC_ItEEEESG_tNS9_4plusIvEENS9_8equal_toIvEEtEE10hipError_tPvRmT2_T3_T4_T5_mT6_T7_P12ihipStream_tbENKUlT_T0_E_clISt17integral_constantIbLb0EES10_IbLb1EEEEDaSW_SX_EUlSW_E_NS1_11comp_targetILNS1_3genE10ELNS1_11target_archE1200ELNS1_3gpuE4ELNS1_3repE0EEENS1_30default_config_static_selectorELNS0_4arch9wavefront6targetE0EEEvT1_.num_named_barrier, 0
	.set _ZN7rocprim17ROCPRIM_400000_NS6detail17trampoline_kernelINS0_14default_configENS1_27scan_by_key_config_selectorIitEEZZNS1_16scan_by_key_implILNS1_25lookback_scan_determinismE0ELb1ES3_N6thrust23THRUST_200600_302600_NS6detail15normal_iteratorINS9_10device_ptrIiEEEENSB_INSC_ItEEEESG_tNS9_4plusIvEENS9_8equal_toIvEEtEE10hipError_tPvRmT2_T3_T4_T5_mT6_T7_P12ihipStream_tbENKUlT_T0_E_clISt17integral_constantIbLb0EES10_IbLb1EEEEDaSW_SX_EUlSW_E_NS1_11comp_targetILNS1_3genE10ELNS1_11target_archE1200ELNS1_3gpuE4ELNS1_3repE0EEENS1_30default_config_static_selectorELNS0_4arch9wavefront6targetE0EEEvT1_.private_seg_size, 0
	.set _ZN7rocprim17ROCPRIM_400000_NS6detail17trampoline_kernelINS0_14default_configENS1_27scan_by_key_config_selectorIitEEZZNS1_16scan_by_key_implILNS1_25lookback_scan_determinismE0ELb1ES3_N6thrust23THRUST_200600_302600_NS6detail15normal_iteratorINS9_10device_ptrIiEEEENSB_INSC_ItEEEESG_tNS9_4plusIvEENS9_8equal_toIvEEtEE10hipError_tPvRmT2_T3_T4_T5_mT6_T7_P12ihipStream_tbENKUlT_T0_E_clISt17integral_constantIbLb0EES10_IbLb1EEEEDaSW_SX_EUlSW_E_NS1_11comp_targetILNS1_3genE10ELNS1_11target_archE1200ELNS1_3gpuE4ELNS1_3repE0EEENS1_30default_config_static_selectorELNS0_4arch9wavefront6targetE0EEEvT1_.uses_vcc, 0
	.set _ZN7rocprim17ROCPRIM_400000_NS6detail17trampoline_kernelINS0_14default_configENS1_27scan_by_key_config_selectorIitEEZZNS1_16scan_by_key_implILNS1_25lookback_scan_determinismE0ELb1ES3_N6thrust23THRUST_200600_302600_NS6detail15normal_iteratorINS9_10device_ptrIiEEEENSB_INSC_ItEEEESG_tNS9_4plusIvEENS9_8equal_toIvEEtEE10hipError_tPvRmT2_T3_T4_T5_mT6_T7_P12ihipStream_tbENKUlT_T0_E_clISt17integral_constantIbLb0EES10_IbLb1EEEEDaSW_SX_EUlSW_E_NS1_11comp_targetILNS1_3genE10ELNS1_11target_archE1200ELNS1_3gpuE4ELNS1_3repE0EEENS1_30default_config_static_selectorELNS0_4arch9wavefront6targetE0EEEvT1_.uses_flat_scratch, 0
	.set _ZN7rocprim17ROCPRIM_400000_NS6detail17trampoline_kernelINS0_14default_configENS1_27scan_by_key_config_selectorIitEEZZNS1_16scan_by_key_implILNS1_25lookback_scan_determinismE0ELb1ES3_N6thrust23THRUST_200600_302600_NS6detail15normal_iteratorINS9_10device_ptrIiEEEENSB_INSC_ItEEEESG_tNS9_4plusIvEENS9_8equal_toIvEEtEE10hipError_tPvRmT2_T3_T4_T5_mT6_T7_P12ihipStream_tbENKUlT_T0_E_clISt17integral_constantIbLb0EES10_IbLb1EEEEDaSW_SX_EUlSW_E_NS1_11comp_targetILNS1_3genE10ELNS1_11target_archE1200ELNS1_3gpuE4ELNS1_3repE0EEENS1_30default_config_static_selectorELNS0_4arch9wavefront6targetE0EEEvT1_.has_dyn_sized_stack, 0
	.set _ZN7rocprim17ROCPRIM_400000_NS6detail17trampoline_kernelINS0_14default_configENS1_27scan_by_key_config_selectorIitEEZZNS1_16scan_by_key_implILNS1_25lookback_scan_determinismE0ELb1ES3_N6thrust23THRUST_200600_302600_NS6detail15normal_iteratorINS9_10device_ptrIiEEEENSB_INSC_ItEEEESG_tNS9_4plusIvEENS9_8equal_toIvEEtEE10hipError_tPvRmT2_T3_T4_T5_mT6_T7_P12ihipStream_tbENKUlT_T0_E_clISt17integral_constantIbLb0EES10_IbLb1EEEEDaSW_SX_EUlSW_E_NS1_11comp_targetILNS1_3genE10ELNS1_11target_archE1200ELNS1_3gpuE4ELNS1_3repE0EEENS1_30default_config_static_selectorELNS0_4arch9wavefront6targetE0EEEvT1_.has_recursion, 0
	.set _ZN7rocprim17ROCPRIM_400000_NS6detail17trampoline_kernelINS0_14default_configENS1_27scan_by_key_config_selectorIitEEZZNS1_16scan_by_key_implILNS1_25lookback_scan_determinismE0ELb1ES3_N6thrust23THRUST_200600_302600_NS6detail15normal_iteratorINS9_10device_ptrIiEEEENSB_INSC_ItEEEESG_tNS9_4plusIvEENS9_8equal_toIvEEtEE10hipError_tPvRmT2_T3_T4_T5_mT6_T7_P12ihipStream_tbENKUlT_T0_E_clISt17integral_constantIbLb0EES10_IbLb1EEEEDaSW_SX_EUlSW_E_NS1_11comp_targetILNS1_3genE10ELNS1_11target_archE1200ELNS1_3gpuE4ELNS1_3repE0EEENS1_30default_config_static_selectorELNS0_4arch9wavefront6targetE0EEEvT1_.has_indirect_call, 0
	.section	.AMDGPU.csdata,"",@progbits
; Kernel info:
; codeLenInByte = 0
; TotalNumSgprs: 0
; NumVgprs: 0
; ScratchSize: 0
; MemoryBound: 0
; FloatMode: 240
; IeeeMode: 1
; LDSByteSize: 0 bytes/workgroup (compile time only)
; SGPRBlocks: 0
; VGPRBlocks: 0
; NumSGPRsForWavesPerEU: 1
; NumVGPRsForWavesPerEU: 1
; NamedBarCnt: 0
; Occupancy: 16
; WaveLimiterHint : 0
; COMPUTE_PGM_RSRC2:SCRATCH_EN: 0
; COMPUTE_PGM_RSRC2:USER_SGPR: 2
; COMPUTE_PGM_RSRC2:TRAP_HANDLER: 0
; COMPUTE_PGM_RSRC2:TGID_X_EN: 1
; COMPUTE_PGM_RSRC2:TGID_Y_EN: 0
; COMPUTE_PGM_RSRC2:TGID_Z_EN: 0
; COMPUTE_PGM_RSRC2:TIDIG_COMP_CNT: 0
	.section	.text._ZN7rocprim17ROCPRIM_400000_NS6detail17trampoline_kernelINS0_14default_configENS1_27scan_by_key_config_selectorIitEEZZNS1_16scan_by_key_implILNS1_25lookback_scan_determinismE0ELb1ES3_N6thrust23THRUST_200600_302600_NS6detail15normal_iteratorINS9_10device_ptrIiEEEENSB_INSC_ItEEEESG_tNS9_4plusIvEENS9_8equal_toIvEEtEE10hipError_tPvRmT2_T3_T4_T5_mT6_T7_P12ihipStream_tbENKUlT_T0_E_clISt17integral_constantIbLb0EES10_IbLb1EEEEDaSW_SX_EUlSW_E_NS1_11comp_targetILNS1_3genE9ELNS1_11target_archE1100ELNS1_3gpuE3ELNS1_3repE0EEENS1_30default_config_static_selectorELNS0_4arch9wavefront6targetE0EEEvT1_,"axG",@progbits,_ZN7rocprim17ROCPRIM_400000_NS6detail17trampoline_kernelINS0_14default_configENS1_27scan_by_key_config_selectorIitEEZZNS1_16scan_by_key_implILNS1_25lookback_scan_determinismE0ELb1ES3_N6thrust23THRUST_200600_302600_NS6detail15normal_iteratorINS9_10device_ptrIiEEEENSB_INSC_ItEEEESG_tNS9_4plusIvEENS9_8equal_toIvEEtEE10hipError_tPvRmT2_T3_T4_T5_mT6_T7_P12ihipStream_tbENKUlT_T0_E_clISt17integral_constantIbLb0EES10_IbLb1EEEEDaSW_SX_EUlSW_E_NS1_11comp_targetILNS1_3genE9ELNS1_11target_archE1100ELNS1_3gpuE3ELNS1_3repE0EEENS1_30default_config_static_selectorELNS0_4arch9wavefront6targetE0EEEvT1_,comdat
	.protected	_ZN7rocprim17ROCPRIM_400000_NS6detail17trampoline_kernelINS0_14default_configENS1_27scan_by_key_config_selectorIitEEZZNS1_16scan_by_key_implILNS1_25lookback_scan_determinismE0ELb1ES3_N6thrust23THRUST_200600_302600_NS6detail15normal_iteratorINS9_10device_ptrIiEEEENSB_INSC_ItEEEESG_tNS9_4plusIvEENS9_8equal_toIvEEtEE10hipError_tPvRmT2_T3_T4_T5_mT6_T7_P12ihipStream_tbENKUlT_T0_E_clISt17integral_constantIbLb0EES10_IbLb1EEEEDaSW_SX_EUlSW_E_NS1_11comp_targetILNS1_3genE9ELNS1_11target_archE1100ELNS1_3gpuE3ELNS1_3repE0EEENS1_30default_config_static_selectorELNS0_4arch9wavefront6targetE0EEEvT1_ ; -- Begin function _ZN7rocprim17ROCPRIM_400000_NS6detail17trampoline_kernelINS0_14default_configENS1_27scan_by_key_config_selectorIitEEZZNS1_16scan_by_key_implILNS1_25lookback_scan_determinismE0ELb1ES3_N6thrust23THRUST_200600_302600_NS6detail15normal_iteratorINS9_10device_ptrIiEEEENSB_INSC_ItEEEESG_tNS9_4plusIvEENS9_8equal_toIvEEtEE10hipError_tPvRmT2_T3_T4_T5_mT6_T7_P12ihipStream_tbENKUlT_T0_E_clISt17integral_constantIbLb0EES10_IbLb1EEEEDaSW_SX_EUlSW_E_NS1_11comp_targetILNS1_3genE9ELNS1_11target_archE1100ELNS1_3gpuE3ELNS1_3repE0EEENS1_30default_config_static_selectorELNS0_4arch9wavefront6targetE0EEEvT1_
	.globl	_ZN7rocprim17ROCPRIM_400000_NS6detail17trampoline_kernelINS0_14default_configENS1_27scan_by_key_config_selectorIitEEZZNS1_16scan_by_key_implILNS1_25lookback_scan_determinismE0ELb1ES3_N6thrust23THRUST_200600_302600_NS6detail15normal_iteratorINS9_10device_ptrIiEEEENSB_INSC_ItEEEESG_tNS9_4plusIvEENS9_8equal_toIvEEtEE10hipError_tPvRmT2_T3_T4_T5_mT6_T7_P12ihipStream_tbENKUlT_T0_E_clISt17integral_constantIbLb0EES10_IbLb1EEEEDaSW_SX_EUlSW_E_NS1_11comp_targetILNS1_3genE9ELNS1_11target_archE1100ELNS1_3gpuE3ELNS1_3repE0EEENS1_30default_config_static_selectorELNS0_4arch9wavefront6targetE0EEEvT1_
	.p2align	8
	.type	_ZN7rocprim17ROCPRIM_400000_NS6detail17trampoline_kernelINS0_14default_configENS1_27scan_by_key_config_selectorIitEEZZNS1_16scan_by_key_implILNS1_25lookback_scan_determinismE0ELb1ES3_N6thrust23THRUST_200600_302600_NS6detail15normal_iteratorINS9_10device_ptrIiEEEENSB_INSC_ItEEEESG_tNS9_4plusIvEENS9_8equal_toIvEEtEE10hipError_tPvRmT2_T3_T4_T5_mT6_T7_P12ihipStream_tbENKUlT_T0_E_clISt17integral_constantIbLb0EES10_IbLb1EEEEDaSW_SX_EUlSW_E_NS1_11comp_targetILNS1_3genE9ELNS1_11target_archE1100ELNS1_3gpuE3ELNS1_3repE0EEENS1_30default_config_static_selectorELNS0_4arch9wavefront6targetE0EEEvT1_,@function
_ZN7rocprim17ROCPRIM_400000_NS6detail17trampoline_kernelINS0_14default_configENS1_27scan_by_key_config_selectorIitEEZZNS1_16scan_by_key_implILNS1_25lookback_scan_determinismE0ELb1ES3_N6thrust23THRUST_200600_302600_NS6detail15normal_iteratorINS9_10device_ptrIiEEEENSB_INSC_ItEEEESG_tNS9_4plusIvEENS9_8equal_toIvEEtEE10hipError_tPvRmT2_T3_T4_T5_mT6_T7_P12ihipStream_tbENKUlT_T0_E_clISt17integral_constantIbLb0EES10_IbLb1EEEEDaSW_SX_EUlSW_E_NS1_11comp_targetILNS1_3genE9ELNS1_11target_archE1100ELNS1_3gpuE3ELNS1_3repE0EEENS1_30default_config_static_selectorELNS0_4arch9wavefront6targetE0EEEvT1_: ; @_ZN7rocprim17ROCPRIM_400000_NS6detail17trampoline_kernelINS0_14default_configENS1_27scan_by_key_config_selectorIitEEZZNS1_16scan_by_key_implILNS1_25lookback_scan_determinismE0ELb1ES3_N6thrust23THRUST_200600_302600_NS6detail15normal_iteratorINS9_10device_ptrIiEEEENSB_INSC_ItEEEESG_tNS9_4plusIvEENS9_8equal_toIvEEtEE10hipError_tPvRmT2_T3_T4_T5_mT6_T7_P12ihipStream_tbENKUlT_T0_E_clISt17integral_constantIbLb0EES10_IbLb1EEEEDaSW_SX_EUlSW_E_NS1_11comp_targetILNS1_3genE9ELNS1_11target_archE1100ELNS1_3gpuE3ELNS1_3repE0EEENS1_30default_config_static_selectorELNS0_4arch9wavefront6targetE0EEEvT1_
; %bb.0:
	.section	.rodata,"a",@progbits
	.p2align	6, 0x0
	.amdhsa_kernel _ZN7rocprim17ROCPRIM_400000_NS6detail17trampoline_kernelINS0_14default_configENS1_27scan_by_key_config_selectorIitEEZZNS1_16scan_by_key_implILNS1_25lookback_scan_determinismE0ELb1ES3_N6thrust23THRUST_200600_302600_NS6detail15normal_iteratorINS9_10device_ptrIiEEEENSB_INSC_ItEEEESG_tNS9_4plusIvEENS9_8equal_toIvEEtEE10hipError_tPvRmT2_T3_T4_T5_mT6_T7_P12ihipStream_tbENKUlT_T0_E_clISt17integral_constantIbLb0EES10_IbLb1EEEEDaSW_SX_EUlSW_E_NS1_11comp_targetILNS1_3genE9ELNS1_11target_archE1100ELNS1_3gpuE3ELNS1_3repE0EEENS1_30default_config_static_selectorELNS0_4arch9wavefront6targetE0EEEvT1_
		.amdhsa_group_segment_fixed_size 0
		.amdhsa_private_segment_fixed_size 0
		.amdhsa_kernarg_size 112
		.amdhsa_user_sgpr_count 2
		.amdhsa_user_sgpr_dispatch_ptr 0
		.amdhsa_user_sgpr_queue_ptr 0
		.amdhsa_user_sgpr_kernarg_segment_ptr 1
		.amdhsa_user_sgpr_dispatch_id 0
		.amdhsa_user_sgpr_kernarg_preload_length 0
		.amdhsa_user_sgpr_kernarg_preload_offset 0
		.amdhsa_user_sgpr_private_segment_size 0
		.amdhsa_wavefront_size32 1
		.amdhsa_uses_dynamic_stack 0
		.amdhsa_enable_private_segment 0
		.amdhsa_system_sgpr_workgroup_id_x 1
		.amdhsa_system_sgpr_workgroup_id_y 0
		.amdhsa_system_sgpr_workgroup_id_z 0
		.amdhsa_system_sgpr_workgroup_info 0
		.amdhsa_system_vgpr_workitem_id 0
		.amdhsa_next_free_vgpr 1
		.amdhsa_next_free_sgpr 1
		.amdhsa_named_barrier_count 0
		.amdhsa_reserve_vcc 0
		.amdhsa_float_round_mode_32 0
		.amdhsa_float_round_mode_16_64 0
		.amdhsa_float_denorm_mode_32 3
		.amdhsa_float_denorm_mode_16_64 3
		.amdhsa_fp16_overflow 0
		.amdhsa_memory_ordered 1
		.amdhsa_forward_progress 1
		.amdhsa_inst_pref_size 0
		.amdhsa_round_robin_scheduling 0
		.amdhsa_exception_fp_ieee_invalid_op 0
		.amdhsa_exception_fp_denorm_src 0
		.amdhsa_exception_fp_ieee_div_zero 0
		.amdhsa_exception_fp_ieee_overflow 0
		.amdhsa_exception_fp_ieee_underflow 0
		.amdhsa_exception_fp_ieee_inexact 0
		.amdhsa_exception_int_div_zero 0
	.end_amdhsa_kernel
	.section	.text._ZN7rocprim17ROCPRIM_400000_NS6detail17trampoline_kernelINS0_14default_configENS1_27scan_by_key_config_selectorIitEEZZNS1_16scan_by_key_implILNS1_25lookback_scan_determinismE0ELb1ES3_N6thrust23THRUST_200600_302600_NS6detail15normal_iteratorINS9_10device_ptrIiEEEENSB_INSC_ItEEEESG_tNS9_4plusIvEENS9_8equal_toIvEEtEE10hipError_tPvRmT2_T3_T4_T5_mT6_T7_P12ihipStream_tbENKUlT_T0_E_clISt17integral_constantIbLb0EES10_IbLb1EEEEDaSW_SX_EUlSW_E_NS1_11comp_targetILNS1_3genE9ELNS1_11target_archE1100ELNS1_3gpuE3ELNS1_3repE0EEENS1_30default_config_static_selectorELNS0_4arch9wavefront6targetE0EEEvT1_,"axG",@progbits,_ZN7rocprim17ROCPRIM_400000_NS6detail17trampoline_kernelINS0_14default_configENS1_27scan_by_key_config_selectorIitEEZZNS1_16scan_by_key_implILNS1_25lookback_scan_determinismE0ELb1ES3_N6thrust23THRUST_200600_302600_NS6detail15normal_iteratorINS9_10device_ptrIiEEEENSB_INSC_ItEEEESG_tNS9_4plusIvEENS9_8equal_toIvEEtEE10hipError_tPvRmT2_T3_T4_T5_mT6_T7_P12ihipStream_tbENKUlT_T0_E_clISt17integral_constantIbLb0EES10_IbLb1EEEEDaSW_SX_EUlSW_E_NS1_11comp_targetILNS1_3genE9ELNS1_11target_archE1100ELNS1_3gpuE3ELNS1_3repE0EEENS1_30default_config_static_selectorELNS0_4arch9wavefront6targetE0EEEvT1_,comdat
.Lfunc_end1569:
	.size	_ZN7rocprim17ROCPRIM_400000_NS6detail17trampoline_kernelINS0_14default_configENS1_27scan_by_key_config_selectorIitEEZZNS1_16scan_by_key_implILNS1_25lookback_scan_determinismE0ELb1ES3_N6thrust23THRUST_200600_302600_NS6detail15normal_iteratorINS9_10device_ptrIiEEEENSB_INSC_ItEEEESG_tNS9_4plusIvEENS9_8equal_toIvEEtEE10hipError_tPvRmT2_T3_T4_T5_mT6_T7_P12ihipStream_tbENKUlT_T0_E_clISt17integral_constantIbLb0EES10_IbLb1EEEEDaSW_SX_EUlSW_E_NS1_11comp_targetILNS1_3genE9ELNS1_11target_archE1100ELNS1_3gpuE3ELNS1_3repE0EEENS1_30default_config_static_selectorELNS0_4arch9wavefront6targetE0EEEvT1_, .Lfunc_end1569-_ZN7rocprim17ROCPRIM_400000_NS6detail17trampoline_kernelINS0_14default_configENS1_27scan_by_key_config_selectorIitEEZZNS1_16scan_by_key_implILNS1_25lookback_scan_determinismE0ELb1ES3_N6thrust23THRUST_200600_302600_NS6detail15normal_iteratorINS9_10device_ptrIiEEEENSB_INSC_ItEEEESG_tNS9_4plusIvEENS9_8equal_toIvEEtEE10hipError_tPvRmT2_T3_T4_T5_mT6_T7_P12ihipStream_tbENKUlT_T0_E_clISt17integral_constantIbLb0EES10_IbLb1EEEEDaSW_SX_EUlSW_E_NS1_11comp_targetILNS1_3genE9ELNS1_11target_archE1100ELNS1_3gpuE3ELNS1_3repE0EEENS1_30default_config_static_selectorELNS0_4arch9wavefront6targetE0EEEvT1_
                                        ; -- End function
	.set _ZN7rocprim17ROCPRIM_400000_NS6detail17trampoline_kernelINS0_14default_configENS1_27scan_by_key_config_selectorIitEEZZNS1_16scan_by_key_implILNS1_25lookback_scan_determinismE0ELb1ES3_N6thrust23THRUST_200600_302600_NS6detail15normal_iteratorINS9_10device_ptrIiEEEENSB_INSC_ItEEEESG_tNS9_4plusIvEENS9_8equal_toIvEEtEE10hipError_tPvRmT2_T3_T4_T5_mT6_T7_P12ihipStream_tbENKUlT_T0_E_clISt17integral_constantIbLb0EES10_IbLb1EEEEDaSW_SX_EUlSW_E_NS1_11comp_targetILNS1_3genE9ELNS1_11target_archE1100ELNS1_3gpuE3ELNS1_3repE0EEENS1_30default_config_static_selectorELNS0_4arch9wavefront6targetE0EEEvT1_.num_vgpr, 0
	.set _ZN7rocprim17ROCPRIM_400000_NS6detail17trampoline_kernelINS0_14default_configENS1_27scan_by_key_config_selectorIitEEZZNS1_16scan_by_key_implILNS1_25lookback_scan_determinismE0ELb1ES3_N6thrust23THRUST_200600_302600_NS6detail15normal_iteratorINS9_10device_ptrIiEEEENSB_INSC_ItEEEESG_tNS9_4plusIvEENS9_8equal_toIvEEtEE10hipError_tPvRmT2_T3_T4_T5_mT6_T7_P12ihipStream_tbENKUlT_T0_E_clISt17integral_constantIbLb0EES10_IbLb1EEEEDaSW_SX_EUlSW_E_NS1_11comp_targetILNS1_3genE9ELNS1_11target_archE1100ELNS1_3gpuE3ELNS1_3repE0EEENS1_30default_config_static_selectorELNS0_4arch9wavefront6targetE0EEEvT1_.num_agpr, 0
	.set _ZN7rocprim17ROCPRIM_400000_NS6detail17trampoline_kernelINS0_14default_configENS1_27scan_by_key_config_selectorIitEEZZNS1_16scan_by_key_implILNS1_25lookback_scan_determinismE0ELb1ES3_N6thrust23THRUST_200600_302600_NS6detail15normal_iteratorINS9_10device_ptrIiEEEENSB_INSC_ItEEEESG_tNS9_4plusIvEENS9_8equal_toIvEEtEE10hipError_tPvRmT2_T3_T4_T5_mT6_T7_P12ihipStream_tbENKUlT_T0_E_clISt17integral_constantIbLb0EES10_IbLb1EEEEDaSW_SX_EUlSW_E_NS1_11comp_targetILNS1_3genE9ELNS1_11target_archE1100ELNS1_3gpuE3ELNS1_3repE0EEENS1_30default_config_static_selectorELNS0_4arch9wavefront6targetE0EEEvT1_.numbered_sgpr, 0
	.set _ZN7rocprim17ROCPRIM_400000_NS6detail17trampoline_kernelINS0_14default_configENS1_27scan_by_key_config_selectorIitEEZZNS1_16scan_by_key_implILNS1_25lookback_scan_determinismE0ELb1ES3_N6thrust23THRUST_200600_302600_NS6detail15normal_iteratorINS9_10device_ptrIiEEEENSB_INSC_ItEEEESG_tNS9_4plusIvEENS9_8equal_toIvEEtEE10hipError_tPvRmT2_T3_T4_T5_mT6_T7_P12ihipStream_tbENKUlT_T0_E_clISt17integral_constantIbLb0EES10_IbLb1EEEEDaSW_SX_EUlSW_E_NS1_11comp_targetILNS1_3genE9ELNS1_11target_archE1100ELNS1_3gpuE3ELNS1_3repE0EEENS1_30default_config_static_selectorELNS0_4arch9wavefront6targetE0EEEvT1_.num_named_barrier, 0
	.set _ZN7rocprim17ROCPRIM_400000_NS6detail17trampoline_kernelINS0_14default_configENS1_27scan_by_key_config_selectorIitEEZZNS1_16scan_by_key_implILNS1_25lookback_scan_determinismE0ELb1ES3_N6thrust23THRUST_200600_302600_NS6detail15normal_iteratorINS9_10device_ptrIiEEEENSB_INSC_ItEEEESG_tNS9_4plusIvEENS9_8equal_toIvEEtEE10hipError_tPvRmT2_T3_T4_T5_mT6_T7_P12ihipStream_tbENKUlT_T0_E_clISt17integral_constantIbLb0EES10_IbLb1EEEEDaSW_SX_EUlSW_E_NS1_11comp_targetILNS1_3genE9ELNS1_11target_archE1100ELNS1_3gpuE3ELNS1_3repE0EEENS1_30default_config_static_selectorELNS0_4arch9wavefront6targetE0EEEvT1_.private_seg_size, 0
	.set _ZN7rocprim17ROCPRIM_400000_NS6detail17trampoline_kernelINS0_14default_configENS1_27scan_by_key_config_selectorIitEEZZNS1_16scan_by_key_implILNS1_25lookback_scan_determinismE0ELb1ES3_N6thrust23THRUST_200600_302600_NS6detail15normal_iteratorINS9_10device_ptrIiEEEENSB_INSC_ItEEEESG_tNS9_4plusIvEENS9_8equal_toIvEEtEE10hipError_tPvRmT2_T3_T4_T5_mT6_T7_P12ihipStream_tbENKUlT_T0_E_clISt17integral_constantIbLb0EES10_IbLb1EEEEDaSW_SX_EUlSW_E_NS1_11comp_targetILNS1_3genE9ELNS1_11target_archE1100ELNS1_3gpuE3ELNS1_3repE0EEENS1_30default_config_static_selectorELNS0_4arch9wavefront6targetE0EEEvT1_.uses_vcc, 0
	.set _ZN7rocprim17ROCPRIM_400000_NS6detail17trampoline_kernelINS0_14default_configENS1_27scan_by_key_config_selectorIitEEZZNS1_16scan_by_key_implILNS1_25lookback_scan_determinismE0ELb1ES3_N6thrust23THRUST_200600_302600_NS6detail15normal_iteratorINS9_10device_ptrIiEEEENSB_INSC_ItEEEESG_tNS9_4plusIvEENS9_8equal_toIvEEtEE10hipError_tPvRmT2_T3_T4_T5_mT6_T7_P12ihipStream_tbENKUlT_T0_E_clISt17integral_constantIbLb0EES10_IbLb1EEEEDaSW_SX_EUlSW_E_NS1_11comp_targetILNS1_3genE9ELNS1_11target_archE1100ELNS1_3gpuE3ELNS1_3repE0EEENS1_30default_config_static_selectorELNS0_4arch9wavefront6targetE0EEEvT1_.uses_flat_scratch, 0
	.set _ZN7rocprim17ROCPRIM_400000_NS6detail17trampoline_kernelINS0_14default_configENS1_27scan_by_key_config_selectorIitEEZZNS1_16scan_by_key_implILNS1_25lookback_scan_determinismE0ELb1ES3_N6thrust23THRUST_200600_302600_NS6detail15normal_iteratorINS9_10device_ptrIiEEEENSB_INSC_ItEEEESG_tNS9_4plusIvEENS9_8equal_toIvEEtEE10hipError_tPvRmT2_T3_T4_T5_mT6_T7_P12ihipStream_tbENKUlT_T0_E_clISt17integral_constantIbLb0EES10_IbLb1EEEEDaSW_SX_EUlSW_E_NS1_11comp_targetILNS1_3genE9ELNS1_11target_archE1100ELNS1_3gpuE3ELNS1_3repE0EEENS1_30default_config_static_selectorELNS0_4arch9wavefront6targetE0EEEvT1_.has_dyn_sized_stack, 0
	.set _ZN7rocprim17ROCPRIM_400000_NS6detail17trampoline_kernelINS0_14default_configENS1_27scan_by_key_config_selectorIitEEZZNS1_16scan_by_key_implILNS1_25lookback_scan_determinismE0ELb1ES3_N6thrust23THRUST_200600_302600_NS6detail15normal_iteratorINS9_10device_ptrIiEEEENSB_INSC_ItEEEESG_tNS9_4plusIvEENS9_8equal_toIvEEtEE10hipError_tPvRmT2_T3_T4_T5_mT6_T7_P12ihipStream_tbENKUlT_T0_E_clISt17integral_constantIbLb0EES10_IbLb1EEEEDaSW_SX_EUlSW_E_NS1_11comp_targetILNS1_3genE9ELNS1_11target_archE1100ELNS1_3gpuE3ELNS1_3repE0EEENS1_30default_config_static_selectorELNS0_4arch9wavefront6targetE0EEEvT1_.has_recursion, 0
	.set _ZN7rocprim17ROCPRIM_400000_NS6detail17trampoline_kernelINS0_14default_configENS1_27scan_by_key_config_selectorIitEEZZNS1_16scan_by_key_implILNS1_25lookback_scan_determinismE0ELb1ES3_N6thrust23THRUST_200600_302600_NS6detail15normal_iteratorINS9_10device_ptrIiEEEENSB_INSC_ItEEEESG_tNS9_4plusIvEENS9_8equal_toIvEEtEE10hipError_tPvRmT2_T3_T4_T5_mT6_T7_P12ihipStream_tbENKUlT_T0_E_clISt17integral_constantIbLb0EES10_IbLb1EEEEDaSW_SX_EUlSW_E_NS1_11comp_targetILNS1_3genE9ELNS1_11target_archE1100ELNS1_3gpuE3ELNS1_3repE0EEENS1_30default_config_static_selectorELNS0_4arch9wavefront6targetE0EEEvT1_.has_indirect_call, 0
	.section	.AMDGPU.csdata,"",@progbits
; Kernel info:
; codeLenInByte = 0
; TotalNumSgprs: 0
; NumVgprs: 0
; ScratchSize: 0
; MemoryBound: 0
; FloatMode: 240
; IeeeMode: 1
; LDSByteSize: 0 bytes/workgroup (compile time only)
; SGPRBlocks: 0
; VGPRBlocks: 0
; NumSGPRsForWavesPerEU: 1
; NumVGPRsForWavesPerEU: 1
; NamedBarCnt: 0
; Occupancy: 16
; WaveLimiterHint : 0
; COMPUTE_PGM_RSRC2:SCRATCH_EN: 0
; COMPUTE_PGM_RSRC2:USER_SGPR: 2
; COMPUTE_PGM_RSRC2:TRAP_HANDLER: 0
; COMPUTE_PGM_RSRC2:TGID_X_EN: 1
; COMPUTE_PGM_RSRC2:TGID_Y_EN: 0
; COMPUTE_PGM_RSRC2:TGID_Z_EN: 0
; COMPUTE_PGM_RSRC2:TIDIG_COMP_CNT: 0
	.section	.text._ZN7rocprim17ROCPRIM_400000_NS6detail17trampoline_kernelINS0_14default_configENS1_27scan_by_key_config_selectorIitEEZZNS1_16scan_by_key_implILNS1_25lookback_scan_determinismE0ELb1ES3_N6thrust23THRUST_200600_302600_NS6detail15normal_iteratorINS9_10device_ptrIiEEEENSB_INSC_ItEEEESG_tNS9_4plusIvEENS9_8equal_toIvEEtEE10hipError_tPvRmT2_T3_T4_T5_mT6_T7_P12ihipStream_tbENKUlT_T0_E_clISt17integral_constantIbLb0EES10_IbLb1EEEEDaSW_SX_EUlSW_E_NS1_11comp_targetILNS1_3genE8ELNS1_11target_archE1030ELNS1_3gpuE2ELNS1_3repE0EEENS1_30default_config_static_selectorELNS0_4arch9wavefront6targetE0EEEvT1_,"axG",@progbits,_ZN7rocprim17ROCPRIM_400000_NS6detail17trampoline_kernelINS0_14default_configENS1_27scan_by_key_config_selectorIitEEZZNS1_16scan_by_key_implILNS1_25lookback_scan_determinismE0ELb1ES3_N6thrust23THRUST_200600_302600_NS6detail15normal_iteratorINS9_10device_ptrIiEEEENSB_INSC_ItEEEESG_tNS9_4plusIvEENS9_8equal_toIvEEtEE10hipError_tPvRmT2_T3_T4_T5_mT6_T7_P12ihipStream_tbENKUlT_T0_E_clISt17integral_constantIbLb0EES10_IbLb1EEEEDaSW_SX_EUlSW_E_NS1_11comp_targetILNS1_3genE8ELNS1_11target_archE1030ELNS1_3gpuE2ELNS1_3repE0EEENS1_30default_config_static_selectorELNS0_4arch9wavefront6targetE0EEEvT1_,comdat
	.protected	_ZN7rocprim17ROCPRIM_400000_NS6detail17trampoline_kernelINS0_14default_configENS1_27scan_by_key_config_selectorIitEEZZNS1_16scan_by_key_implILNS1_25lookback_scan_determinismE0ELb1ES3_N6thrust23THRUST_200600_302600_NS6detail15normal_iteratorINS9_10device_ptrIiEEEENSB_INSC_ItEEEESG_tNS9_4plusIvEENS9_8equal_toIvEEtEE10hipError_tPvRmT2_T3_T4_T5_mT6_T7_P12ihipStream_tbENKUlT_T0_E_clISt17integral_constantIbLb0EES10_IbLb1EEEEDaSW_SX_EUlSW_E_NS1_11comp_targetILNS1_3genE8ELNS1_11target_archE1030ELNS1_3gpuE2ELNS1_3repE0EEENS1_30default_config_static_selectorELNS0_4arch9wavefront6targetE0EEEvT1_ ; -- Begin function _ZN7rocprim17ROCPRIM_400000_NS6detail17trampoline_kernelINS0_14default_configENS1_27scan_by_key_config_selectorIitEEZZNS1_16scan_by_key_implILNS1_25lookback_scan_determinismE0ELb1ES3_N6thrust23THRUST_200600_302600_NS6detail15normal_iteratorINS9_10device_ptrIiEEEENSB_INSC_ItEEEESG_tNS9_4plusIvEENS9_8equal_toIvEEtEE10hipError_tPvRmT2_T3_T4_T5_mT6_T7_P12ihipStream_tbENKUlT_T0_E_clISt17integral_constantIbLb0EES10_IbLb1EEEEDaSW_SX_EUlSW_E_NS1_11comp_targetILNS1_3genE8ELNS1_11target_archE1030ELNS1_3gpuE2ELNS1_3repE0EEENS1_30default_config_static_selectorELNS0_4arch9wavefront6targetE0EEEvT1_
	.globl	_ZN7rocprim17ROCPRIM_400000_NS6detail17trampoline_kernelINS0_14default_configENS1_27scan_by_key_config_selectorIitEEZZNS1_16scan_by_key_implILNS1_25lookback_scan_determinismE0ELb1ES3_N6thrust23THRUST_200600_302600_NS6detail15normal_iteratorINS9_10device_ptrIiEEEENSB_INSC_ItEEEESG_tNS9_4plusIvEENS9_8equal_toIvEEtEE10hipError_tPvRmT2_T3_T4_T5_mT6_T7_P12ihipStream_tbENKUlT_T0_E_clISt17integral_constantIbLb0EES10_IbLb1EEEEDaSW_SX_EUlSW_E_NS1_11comp_targetILNS1_3genE8ELNS1_11target_archE1030ELNS1_3gpuE2ELNS1_3repE0EEENS1_30default_config_static_selectorELNS0_4arch9wavefront6targetE0EEEvT1_
	.p2align	8
	.type	_ZN7rocprim17ROCPRIM_400000_NS6detail17trampoline_kernelINS0_14default_configENS1_27scan_by_key_config_selectorIitEEZZNS1_16scan_by_key_implILNS1_25lookback_scan_determinismE0ELb1ES3_N6thrust23THRUST_200600_302600_NS6detail15normal_iteratorINS9_10device_ptrIiEEEENSB_INSC_ItEEEESG_tNS9_4plusIvEENS9_8equal_toIvEEtEE10hipError_tPvRmT2_T3_T4_T5_mT6_T7_P12ihipStream_tbENKUlT_T0_E_clISt17integral_constantIbLb0EES10_IbLb1EEEEDaSW_SX_EUlSW_E_NS1_11comp_targetILNS1_3genE8ELNS1_11target_archE1030ELNS1_3gpuE2ELNS1_3repE0EEENS1_30default_config_static_selectorELNS0_4arch9wavefront6targetE0EEEvT1_,@function
_ZN7rocprim17ROCPRIM_400000_NS6detail17trampoline_kernelINS0_14default_configENS1_27scan_by_key_config_selectorIitEEZZNS1_16scan_by_key_implILNS1_25lookback_scan_determinismE0ELb1ES3_N6thrust23THRUST_200600_302600_NS6detail15normal_iteratorINS9_10device_ptrIiEEEENSB_INSC_ItEEEESG_tNS9_4plusIvEENS9_8equal_toIvEEtEE10hipError_tPvRmT2_T3_T4_T5_mT6_T7_P12ihipStream_tbENKUlT_T0_E_clISt17integral_constantIbLb0EES10_IbLb1EEEEDaSW_SX_EUlSW_E_NS1_11comp_targetILNS1_3genE8ELNS1_11target_archE1030ELNS1_3gpuE2ELNS1_3repE0EEENS1_30default_config_static_selectorELNS0_4arch9wavefront6targetE0EEEvT1_: ; @_ZN7rocprim17ROCPRIM_400000_NS6detail17trampoline_kernelINS0_14default_configENS1_27scan_by_key_config_selectorIitEEZZNS1_16scan_by_key_implILNS1_25lookback_scan_determinismE0ELb1ES3_N6thrust23THRUST_200600_302600_NS6detail15normal_iteratorINS9_10device_ptrIiEEEENSB_INSC_ItEEEESG_tNS9_4plusIvEENS9_8equal_toIvEEtEE10hipError_tPvRmT2_T3_T4_T5_mT6_T7_P12ihipStream_tbENKUlT_T0_E_clISt17integral_constantIbLb0EES10_IbLb1EEEEDaSW_SX_EUlSW_E_NS1_11comp_targetILNS1_3genE8ELNS1_11target_archE1030ELNS1_3gpuE2ELNS1_3repE0EEENS1_30default_config_static_selectorELNS0_4arch9wavefront6targetE0EEEvT1_
; %bb.0:
	.section	.rodata,"a",@progbits
	.p2align	6, 0x0
	.amdhsa_kernel _ZN7rocprim17ROCPRIM_400000_NS6detail17trampoline_kernelINS0_14default_configENS1_27scan_by_key_config_selectorIitEEZZNS1_16scan_by_key_implILNS1_25lookback_scan_determinismE0ELb1ES3_N6thrust23THRUST_200600_302600_NS6detail15normal_iteratorINS9_10device_ptrIiEEEENSB_INSC_ItEEEESG_tNS9_4plusIvEENS9_8equal_toIvEEtEE10hipError_tPvRmT2_T3_T4_T5_mT6_T7_P12ihipStream_tbENKUlT_T0_E_clISt17integral_constantIbLb0EES10_IbLb1EEEEDaSW_SX_EUlSW_E_NS1_11comp_targetILNS1_3genE8ELNS1_11target_archE1030ELNS1_3gpuE2ELNS1_3repE0EEENS1_30default_config_static_selectorELNS0_4arch9wavefront6targetE0EEEvT1_
		.amdhsa_group_segment_fixed_size 0
		.amdhsa_private_segment_fixed_size 0
		.amdhsa_kernarg_size 112
		.amdhsa_user_sgpr_count 2
		.amdhsa_user_sgpr_dispatch_ptr 0
		.amdhsa_user_sgpr_queue_ptr 0
		.amdhsa_user_sgpr_kernarg_segment_ptr 1
		.amdhsa_user_sgpr_dispatch_id 0
		.amdhsa_user_sgpr_kernarg_preload_length 0
		.amdhsa_user_sgpr_kernarg_preload_offset 0
		.amdhsa_user_sgpr_private_segment_size 0
		.amdhsa_wavefront_size32 1
		.amdhsa_uses_dynamic_stack 0
		.amdhsa_enable_private_segment 0
		.amdhsa_system_sgpr_workgroup_id_x 1
		.amdhsa_system_sgpr_workgroup_id_y 0
		.amdhsa_system_sgpr_workgroup_id_z 0
		.amdhsa_system_sgpr_workgroup_info 0
		.amdhsa_system_vgpr_workitem_id 0
		.amdhsa_next_free_vgpr 1
		.amdhsa_next_free_sgpr 1
		.amdhsa_named_barrier_count 0
		.amdhsa_reserve_vcc 0
		.amdhsa_float_round_mode_32 0
		.amdhsa_float_round_mode_16_64 0
		.amdhsa_float_denorm_mode_32 3
		.amdhsa_float_denorm_mode_16_64 3
		.amdhsa_fp16_overflow 0
		.amdhsa_memory_ordered 1
		.amdhsa_forward_progress 1
		.amdhsa_inst_pref_size 0
		.amdhsa_round_robin_scheduling 0
		.amdhsa_exception_fp_ieee_invalid_op 0
		.amdhsa_exception_fp_denorm_src 0
		.amdhsa_exception_fp_ieee_div_zero 0
		.amdhsa_exception_fp_ieee_overflow 0
		.amdhsa_exception_fp_ieee_underflow 0
		.amdhsa_exception_fp_ieee_inexact 0
		.amdhsa_exception_int_div_zero 0
	.end_amdhsa_kernel
	.section	.text._ZN7rocprim17ROCPRIM_400000_NS6detail17trampoline_kernelINS0_14default_configENS1_27scan_by_key_config_selectorIitEEZZNS1_16scan_by_key_implILNS1_25lookback_scan_determinismE0ELb1ES3_N6thrust23THRUST_200600_302600_NS6detail15normal_iteratorINS9_10device_ptrIiEEEENSB_INSC_ItEEEESG_tNS9_4plusIvEENS9_8equal_toIvEEtEE10hipError_tPvRmT2_T3_T4_T5_mT6_T7_P12ihipStream_tbENKUlT_T0_E_clISt17integral_constantIbLb0EES10_IbLb1EEEEDaSW_SX_EUlSW_E_NS1_11comp_targetILNS1_3genE8ELNS1_11target_archE1030ELNS1_3gpuE2ELNS1_3repE0EEENS1_30default_config_static_selectorELNS0_4arch9wavefront6targetE0EEEvT1_,"axG",@progbits,_ZN7rocprim17ROCPRIM_400000_NS6detail17trampoline_kernelINS0_14default_configENS1_27scan_by_key_config_selectorIitEEZZNS1_16scan_by_key_implILNS1_25lookback_scan_determinismE0ELb1ES3_N6thrust23THRUST_200600_302600_NS6detail15normal_iteratorINS9_10device_ptrIiEEEENSB_INSC_ItEEEESG_tNS9_4plusIvEENS9_8equal_toIvEEtEE10hipError_tPvRmT2_T3_T4_T5_mT6_T7_P12ihipStream_tbENKUlT_T0_E_clISt17integral_constantIbLb0EES10_IbLb1EEEEDaSW_SX_EUlSW_E_NS1_11comp_targetILNS1_3genE8ELNS1_11target_archE1030ELNS1_3gpuE2ELNS1_3repE0EEENS1_30default_config_static_selectorELNS0_4arch9wavefront6targetE0EEEvT1_,comdat
.Lfunc_end1570:
	.size	_ZN7rocprim17ROCPRIM_400000_NS6detail17trampoline_kernelINS0_14default_configENS1_27scan_by_key_config_selectorIitEEZZNS1_16scan_by_key_implILNS1_25lookback_scan_determinismE0ELb1ES3_N6thrust23THRUST_200600_302600_NS6detail15normal_iteratorINS9_10device_ptrIiEEEENSB_INSC_ItEEEESG_tNS9_4plusIvEENS9_8equal_toIvEEtEE10hipError_tPvRmT2_T3_T4_T5_mT6_T7_P12ihipStream_tbENKUlT_T0_E_clISt17integral_constantIbLb0EES10_IbLb1EEEEDaSW_SX_EUlSW_E_NS1_11comp_targetILNS1_3genE8ELNS1_11target_archE1030ELNS1_3gpuE2ELNS1_3repE0EEENS1_30default_config_static_selectorELNS0_4arch9wavefront6targetE0EEEvT1_, .Lfunc_end1570-_ZN7rocprim17ROCPRIM_400000_NS6detail17trampoline_kernelINS0_14default_configENS1_27scan_by_key_config_selectorIitEEZZNS1_16scan_by_key_implILNS1_25lookback_scan_determinismE0ELb1ES3_N6thrust23THRUST_200600_302600_NS6detail15normal_iteratorINS9_10device_ptrIiEEEENSB_INSC_ItEEEESG_tNS9_4plusIvEENS9_8equal_toIvEEtEE10hipError_tPvRmT2_T3_T4_T5_mT6_T7_P12ihipStream_tbENKUlT_T0_E_clISt17integral_constantIbLb0EES10_IbLb1EEEEDaSW_SX_EUlSW_E_NS1_11comp_targetILNS1_3genE8ELNS1_11target_archE1030ELNS1_3gpuE2ELNS1_3repE0EEENS1_30default_config_static_selectorELNS0_4arch9wavefront6targetE0EEEvT1_
                                        ; -- End function
	.set _ZN7rocprim17ROCPRIM_400000_NS6detail17trampoline_kernelINS0_14default_configENS1_27scan_by_key_config_selectorIitEEZZNS1_16scan_by_key_implILNS1_25lookback_scan_determinismE0ELb1ES3_N6thrust23THRUST_200600_302600_NS6detail15normal_iteratorINS9_10device_ptrIiEEEENSB_INSC_ItEEEESG_tNS9_4plusIvEENS9_8equal_toIvEEtEE10hipError_tPvRmT2_T3_T4_T5_mT6_T7_P12ihipStream_tbENKUlT_T0_E_clISt17integral_constantIbLb0EES10_IbLb1EEEEDaSW_SX_EUlSW_E_NS1_11comp_targetILNS1_3genE8ELNS1_11target_archE1030ELNS1_3gpuE2ELNS1_3repE0EEENS1_30default_config_static_selectorELNS0_4arch9wavefront6targetE0EEEvT1_.num_vgpr, 0
	.set _ZN7rocprim17ROCPRIM_400000_NS6detail17trampoline_kernelINS0_14default_configENS1_27scan_by_key_config_selectorIitEEZZNS1_16scan_by_key_implILNS1_25lookback_scan_determinismE0ELb1ES3_N6thrust23THRUST_200600_302600_NS6detail15normal_iteratorINS9_10device_ptrIiEEEENSB_INSC_ItEEEESG_tNS9_4plusIvEENS9_8equal_toIvEEtEE10hipError_tPvRmT2_T3_T4_T5_mT6_T7_P12ihipStream_tbENKUlT_T0_E_clISt17integral_constantIbLb0EES10_IbLb1EEEEDaSW_SX_EUlSW_E_NS1_11comp_targetILNS1_3genE8ELNS1_11target_archE1030ELNS1_3gpuE2ELNS1_3repE0EEENS1_30default_config_static_selectorELNS0_4arch9wavefront6targetE0EEEvT1_.num_agpr, 0
	.set _ZN7rocprim17ROCPRIM_400000_NS6detail17trampoline_kernelINS0_14default_configENS1_27scan_by_key_config_selectorIitEEZZNS1_16scan_by_key_implILNS1_25lookback_scan_determinismE0ELb1ES3_N6thrust23THRUST_200600_302600_NS6detail15normal_iteratorINS9_10device_ptrIiEEEENSB_INSC_ItEEEESG_tNS9_4plusIvEENS9_8equal_toIvEEtEE10hipError_tPvRmT2_T3_T4_T5_mT6_T7_P12ihipStream_tbENKUlT_T0_E_clISt17integral_constantIbLb0EES10_IbLb1EEEEDaSW_SX_EUlSW_E_NS1_11comp_targetILNS1_3genE8ELNS1_11target_archE1030ELNS1_3gpuE2ELNS1_3repE0EEENS1_30default_config_static_selectorELNS0_4arch9wavefront6targetE0EEEvT1_.numbered_sgpr, 0
	.set _ZN7rocprim17ROCPRIM_400000_NS6detail17trampoline_kernelINS0_14default_configENS1_27scan_by_key_config_selectorIitEEZZNS1_16scan_by_key_implILNS1_25lookback_scan_determinismE0ELb1ES3_N6thrust23THRUST_200600_302600_NS6detail15normal_iteratorINS9_10device_ptrIiEEEENSB_INSC_ItEEEESG_tNS9_4plusIvEENS9_8equal_toIvEEtEE10hipError_tPvRmT2_T3_T4_T5_mT6_T7_P12ihipStream_tbENKUlT_T0_E_clISt17integral_constantIbLb0EES10_IbLb1EEEEDaSW_SX_EUlSW_E_NS1_11comp_targetILNS1_3genE8ELNS1_11target_archE1030ELNS1_3gpuE2ELNS1_3repE0EEENS1_30default_config_static_selectorELNS0_4arch9wavefront6targetE0EEEvT1_.num_named_barrier, 0
	.set _ZN7rocprim17ROCPRIM_400000_NS6detail17trampoline_kernelINS0_14default_configENS1_27scan_by_key_config_selectorIitEEZZNS1_16scan_by_key_implILNS1_25lookback_scan_determinismE0ELb1ES3_N6thrust23THRUST_200600_302600_NS6detail15normal_iteratorINS9_10device_ptrIiEEEENSB_INSC_ItEEEESG_tNS9_4plusIvEENS9_8equal_toIvEEtEE10hipError_tPvRmT2_T3_T4_T5_mT6_T7_P12ihipStream_tbENKUlT_T0_E_clISt17integral_constantIbLb0EES10_IbLb1EEEEDaSW_SX_EUlSW_E_NS1_11comp_targetILNS1_3genE8ELNS1_11target_archE1030ELNS1_3gpuE2ELNS1_3repE0EEENS1_30default_config_static_selectorELNS0_4arch9wavefront6targetE0EEEvT1_.private_seg_size, 0
	.set _ZN7rocprim17ROCPRIM_400000_NS6detail17trampoline_kernelINS0_14default_configENS1_27scan_by_key_config_selectorIitEEZZNS1_16scan_by_key_implILNS1_25lookback_scan_determinismE0ELb1ES3_N6thrust23THRUST_200600_302600_NS6detail15normal_iteratorINS9_10device_ptrIiEEEENSB_INSC_ItEEEESG_tNS9_4plusIvEENS9_8equal_toIvEEtEE10hipError_tPvRmT2_T3_T4_T5_mT6_T7_P12ihipStream_tbENKUlT_T0_E_clISt17integral_constantIbLb0EES10_IbLb1EEEEDaSW_SX_EUlSW_E_NS1_11comp_targetILNS1_3genE8ELNS1_11target_archE1030ELNS1_3gpuE2ELNS1_3repE0EEENS1_30default_config_static_selectorELNS0_4arch9wavefront6targetE0EEEvT1_.uses_vcc, 0
	.set _ZN7rocprim17ROCPRIM_400000_NS6detail17trampoline_kernelINS0_14default_configENS1_27scan_by_key_config_selectorIitEEZZNS1_16scan_by_key_implILNS1_25lookback_scan_determinismE0ELb1ES3_N6thrust23THRUST_200600_302600_NS6detail15normal_iteratorINS9_10device_ptrIiEEEENSB_INSC_ItEEEESG_tNS9_4plusIvEENS9_8equal_toIvEEtEE10hipError_tPvRmT2_T3_T4_T5_mT6_T7_P12ihipStream_tbENKUlT_T0_E_clISt17integral_constantIbLb0EES10_IbLb1EEEEDaSW_SX_EUlSW_E_NS1_11comp_targetILNS1_3genE8ELNS1_11target_archE1030ELNS1_3gpuE2ELNS1_3repE0EEENS1_30default_config_static_selectorELNS0_4arch9wavefront6targetE0EEEvT1_.uses_flat_scratch, 0
	.set _ZN7rocprim17ROCPRIM_400000_NS6detail17trampoline_kernelINS0_14default_configENS1_27scan_by_key_config_selectorIitEEZZNS1_16scan_by_key_implILNS1_25lookback_scan_determinismE0ELb1ES3_N6thrust23THRUST_200600_302600_NS6detail15normal_iteratorINS9_10device_ptrIiEEEENSB_INSC_ItEEEESG_tNS9_4plusIvEENS9_8equal_toIvEEtEE10hipError_tPvRmT2_T3_T4_T5_mT6_T7_P12ihipStream_tbENKUlT_T0_E_clISt17integral_constantIbLb0EES10_IbLb1EEEEDaSW_SX_EUlSW_E_NS1_11comp_targetILNS1_3genE8ELNS1_11target_archE1030ELNS1_3gpuE2ELNS1_3repE0EEENS1_30default_config_static_selectorELNS0_4arch9wavefront6targetE0EEEvT1_.has_dyn_sized_stack, 0
	.set _ZN7rocprim17ROCPRIM_400000_NS6detail17trampoline_kernelINS0_14default_configENS1_27scan_by_key_config_selectorIitEEZZNS1_16scan_by_key_implILNS1_25lookback_scan_determinismE0ELb1ES3_N6thrust23THRUST_200600_302600_NS6detail15normal_iteratorINS9_10device_ptrIiEEEENSB_INSC_ItEEEESG_tNS9_4plusIvEENS9_8equal_toIvEEtEE10hipError_tPvRmT2_T3_T4_T5_mT6_T7_P12ihipStream_tbENKUlT_T0_E_clISt17integral_constantIbLb0EES10_IbLb1EEEEDaSW_SX_EUlSW_E_NS1_11comp_targetILNS1_3genE8ELNS1_11target_archE1030ELNS1_3gpuE2ELNS1_3repE0EEENS1_30default_config_static_selectorELNS0_4arch9wavefront6targetE0EEEvT1_.has_recursion, 0
	.set _ZN7rocprim17ROCPRIM_400000_NS6detail17trampoline_kernelINS0_14default_configENS1_27scan_by_key_config_selectorIitEEZZNS1_16scan_by_key_implILNS1_25lookback_scan_determinismE0ELb1ES3_N6thrust23THRUST_200600_302600_NS6detail15normal_iteratorINS9_10device_ptrIiEEEENSB_INSC_ItEEEESG_tNS9_4plusIvEENS9_8equal_toIvEEtEE10hipError_tPvRmT2_T3_T4_T5_mT6_T7_P12ihipStream_tbENKUlT_T0_E_clISt17integral_constantIbLb0EES10_IbLb1EEEEDaSW_SX_EUlSW_E_NS1_11comp_targetILNS1_3genE8ELNS1_11target_archE1030ELNS1_3gpuE2ELNS1_3repE0EEENS1_30default_config_static_selectorELNS0_4arch9wavefront6targetE0EEEvT1_.has_indirect_call, 0
	.section	.AMDGPU.csdata,"",@progbits
; Kernel info:
; codeLenInByte = 0
; TotalNumSgprs: 0
; NumVgprs: 0
; ScratchSize: 0
; MemoryBound: 0
; FloatMode: 240
; IeeeMode: 1
; LDSByteSize: 0 bytes/workgroup (compile time only)
; SGPRBlocks: 0
; VGPRBlocks: 0
; NumSGPRsForWavesPerEU: 1
; NumVGPRsForWavesPerEU: 1
; NamedBarCnt: 0
; Occupancy: 16
; WaveLimiterHint : 0
; COMPUTE_PGM_RSRC2:SCRATCH_EN: 0
; COMPUTE_PGM_RSRC2:USER_SGPR: 2
; COMPUTE_PGM_RSRC2:TRAP_HANDLER: 0
; COMPUTE_PGM_RSRC2:TGID_X_EN: 1
; COMPUTE_PGM_RSRC2:TGID_Y_EN: 0
; COMPUTE_PGM_RSRC2:TGID_Z_EN: 0
; COMPUTE_PGM_RSRC2:TIDIG_COMP_CNT: 0
	.section	.text._ZN7rocprim17ROCPRIM_400000_NS6detail17trampoline_kernelINS0_14default_configENS1_27scan_by_key_config_selectorIixEEZZNS1_16scan_by_key_implILNS1_25lookback_scan_determinismE0ELb1ES3_N6thrust23THRUST_200600_302600_NS6detail15normal_iteratorINS9_10device_ptrIiEEEENSB_INSC_IxEEEESG_xNS9_4plusIvEENS9_8equal_toIvEExEE10hipError_tPvRmT2_T3_T4_T5_mT6_T7_P12ihipStream_tbENKUlT_T0_E_clISt17integral_constantIbLb0EES11_EEDaSW_SX_EUlSW_E_NS1_11comp_targetILNS1_3genE0ELNS1_11target_archE4294967295ELNS1_3gpuE0ELNS1_3repE0EEENS1_30default_config_static_selectorELNS0_4arch9wavefront6targetE0EEEvT1_,"axG",@progbits,_ZN7rocprim17ROCPRIM_400000_NS6detail17trampoline_kernelINS0_14default_configENS1_27scan_by_key_config_selectorIixEEZZNS1_16scan_by_key_implILNS1_25lookback_scan_determinismE0ELb1ES3_N6thrust23THRUST_200600_302600_NS6detail15normal_iteratorINS9_10device_ptrIiEEEENSB_INSC_IxEEEESG_xNS9_4plusIvEENS9_8equal_toIvEExEE10hipError_tPvRmT2_T3_T4_T5_mT6_T7_P12ihipStream_tbENKUlT_T0_E_clISt17integral_constantIbLb0EES11_EEDaSW_SX_EUlSW_E_NS1_11comp_targetILNS1_3genE0ELNS1_11target_archE4294967295ELNS1_3gpuE0ELNS1_3repE0EEENS1_30default_config_static_selectorELNS0_4arch9wavefront6targetE0EEEvT1_,comdat
	.protected	_ZN7rocprim17ROCPRIM_400000_NS6detail17trampoline_kernelINS0_14default_configENS1_27scan_by_key_config_selectorIixEEZZNS1_16scan_by_key_implILNS1_25lookback_scan_determinismE0ELb1ES3_N6thrust23THRUST_200600_302600_NS6detail15normal_iteratorINS9_10device_ptrIiEEEENSB_INSC_IxEEEESG_xNS9_4plusIvEENS9_8equal_toIvEExEE10hipError_tPvRmT2_T3_T4_T5_mT6_T7_P12ihipStream_tbENKUlT_T0_E_clISt17integral_constantIbLb0EES11_EEDaSW_SX_EUlSW_E_NS1_11comp_targetILNS1_3genE0ELNS1_11target_archE4294967295ELNS1_3gpuE0ELNS1_3repE0EEENS1_30default_config_static_selectorELNS0_4arch9wavefront6targetE0EEEvT1_ ; -- Begin function _ZN7rocprim17ROCPRIM_400000_NS6detail17trampoline_kernelINS0_14default_configENS1_27scan_by_key_config_selectorIixEEZZNS1_16scan_by_key_implILNS1_25lookback_scan_determinismE0ELb1ES3_N6thrust23THRUST_200600_302600_NS6detail15normal_iteratorINS9_10device_ptrIiEEEENSB_INSC_IxEEEESG_xNS9_4plusIvEENS9_8equal_toIvEExEE10hipError_tPvRmT2_T3_T4_T5_mT6_T7_P12ihipStream_tbENKUlT_T0_E_clISt17integral_constantIbLb0EES11_EEDaSW_SX_EUlSW_E_NS1_11comp_targetILNS1_3genE0ELNS1_11target_archE4294967295ELNS1_3gpuE0ELNS1_3repE0EEENS1_30default_config_static_selectorELNS0_4arch9wavefront6targetE0EEEvT1_
	.globl	_ZN7rocprim17ROCPRIM_400000_NS6detail17trampoline_kernelINS0_14default_configENS1_27scan_by_key_config_selectorIixEEZZNS1_16scan_by_key_implILNS1_25lookback_scan_determinismE0ELb1ES3_N6thrust23THRUST_200600_302600_NS6detail15normal_iteratorINS9_10device_ptrIiEEEENSB_INSC_IxEEEESG_xNS9_4plusIvEENS9_8equal_toIvEExEE10hipError_tPvRmT2_T3_T4_T5_mT6_T7_P12ihipStream_tbENKUlT_T0_E_clISt17integral_constantIbLb0EES11_EEDaSW_SX_EUlSW_E_NS1_11comp_targetILNS1_3genE0ELNS1_11target_archE4294967295ELNS1_3gpuE0ELNS1_3repE0EEENS1_30default_config_static_selectorELNS0_4arch9wavefront6targetE0EEEvT1_
	.p2align	8
	.type	_ZN7rocprim17ROCPRIM_400000_NS6detail17trampoline_kernelINS0_14default_configENS1_27scan_by_key_config_selectorIixEEZZNS1_16scan_by_key_implILNS1_25lookback_scan_determinismE0ELb1ES3_N6thrust23THRUST_200600_302600_NS6detail15normal_iteratorINS9_10device_ptrIiEEEENSB_INSC_IxEEEESG_xNS9_4plusIvEENS9_8equal_toIvEExEE10hipError_tPvRmT2_T3_T4_T5_mT6_T7_P12ihipStream_tbENKUlT_T0_E_clISt17integral_constantIbLb0EES11_EEDaSW_SX_EUlSW_E_NS1_11comp_targetILNS1_3genE0ELNS1_11target_archE4294967295ELNS1_3gpuE0ELNS1_3repE0EEENS1_30default_config_static_selectorELNS0_4arch9wavefront6targetE0EEEvT1_,@function
_ZN7rocprim17ROCPRIM_400000_NS6detail17trampoline_kernelINS0_14default_configENS1_27scan_by_key_config_selectorIixEEZZNS1_16scan_by_key_implILNS1_25lookback_scan_determinismE0ELb1ES3_N6thrust23THRUST_200600_302600_NS6detail15normal_iteratorINS9_10device_ptrIiEEEENSB_INSC_IxEEEESG_xNS9_4plusIvEENS9_8equal_toIvEExEE10hipError_tPvRmT2_T3_T4_T5_mT6_T7_P12ihipStream_tbENKUlT_T0_E_clISt17integral_constantIbLb0EES11_EEDaSW_SX_EUlSW_E_NS1_11comp_targetILNS1_3genE0ELNS1_11target_archE4294967295ELNS1_3gpuE0ELNS1_3repE0EEENS1_30default_config_static_selectorELNS0_4arch9wavefront6targetE0EEEvT1_: ; @_ZN7rocprim17ROCPRIM_400000_NS6detail17trampoline_kernelINS0_14default_configENS1_27scan_by_key_config_selectorIixEEZZNS1_16scan_by_key_implILNS1_25lookback_scan_determinismE0ELb1ES3_N6thrust23THRUST_200600_302600_NS6detail15normal_iteratorINS9_10device_ptrIiEEEENSB_INSC_IxEEEESG_xNS9_4plusIvEENS9_8equal_toIvEExEE10hipError_tPvRmT2_T3_T4_T5_mT6_T7_P12ihipStream_tbENKUlT_T0_E_clISt17integral_constantIbLb0EES11_EEDaSW_SX_EUlSW_E_NS1_11comp_targetILNS1_3genE0ELNS1_11target_archE4294967295ELNS1_3gpuE0ELNS1_3repE0EEENS1_30default_config_static_selectorELNS0_4arch9wavefront6targetE0EEEvT1_
; %bb.0:
	s_clause 0x2
	s_load_b96 s[36:38], s[0:1], 0x50
	s_load_b256 s[12:19], s[0:1], 0x0
	s_load_b128 s[28:31], s[0:1], 0x60
	s_bfe_u32 s4, ttmp6, 0x4000c
	s_load_b64 s[40:41], s[0:1], 0x20
	s_add_co_i32 s4, s4, 1
	s_load_b256 s[20:27], s[0:1], 0x30
	s_and_b32 s2, ttmp6, 15
	s_wait_xcnt 0x0
	s_mul_i32 s0, ttmp9, s4
	s_getreg_b32 s5, hwreg(HW_REG_IB_STS2, 6, 4)
	s_add_co_i32 s6, s2, s0
	s_mov_b32 s3, 0
	s_delay_alu instid0(SALU_CYCLE_1)
	s_mov_b32 s39, s3
	s_barrier_signal -1
	s_barrier_wait -1
	s_wait_kmcnt 0x0
	s_mov_b32 s2, s38
	s_lshl_b64 s[0:1], s[14:15], 2
	s_lshl_b64 s[34:35], s[14:15], 3
	s_cmp_eq_u32 s5, 0
	s_mul_u64 s[4:5], s[36:37], s[2:3]
	s_cselect_b32 s38, ttmp9, s6
	s_add_nc_u64 s[8:9], s[28:29], -1
	s_add_nc_u64 s[4:5], s[4:5], s[38:39]
	s_mul_i32 s2, s38, 0x500
	v_cmp_ge_u64_e64 s15, s[4:5], s[8:9]
	s_add_nc_u64 s[0:1], s[12:13], s[0:1]
	s_add_nc_u64 s[6:7], s[16:17], s[34:35]
	s_lshl_b64 s[4:5], s[2:3], 2
	s_lshl_b64 s[16:17], s[2:3], 3
	s_add_nc_u64 s[12:13], s[0:1], s[4:5]
	s_add_nc_u64 s[10:11], s[6:7], s[16:17]
	s_and_b32 vcc_lo, exec_lo, s15
	s_mul_i32 s27, s8, 0xfffffb00
	s_cbranch_vccz .LBB1571_56
; %bb.1:
	v_mov_b32_e32 v1, 0
	s_add_co_i32 s29, s27, s26
	s_delay_alu instid0(SALU_CYCLE_1)
	v_cmp_gt_u32_e32 vcc_lo, s29, v0
	flat_load_b32 v1, v1, s[12:13]
	s_wait_loadcnt_dscnt 0x0
	v_mov_b32_e32 v2, v1
	s_and_saveexec_b32 s0, vcc_lo
	s_cbranch_execz .LBB1571_3
; %bb.2:
	flat_load_b32 v2, v0, s[12:13] scale_offset
.LBB1571_3:
	s_wait_xcnt 0x0
	s_or_b32 exec_lo, exec_lo, s0
	v_or_b32_e32 v3, 0x80, v0
	s_delay_alu instid0(VALU_DEP_1)
	v_cmp_gt_u32_e64 s0, s29, v3
	v_mov_b32_e32 v3, v1
	s_and_saveexec_b32 s1, s0
	s_cbranch_execz .LBB1571_5
; %bb.4:
	flat_load_b32 v3, v0, s[12:13] offset:512 scale_offset
.LBB1571_5:
	s_wait_xcnt 0x0
	s_or_b32 exec_lo, exec_lo, s1
	v_or_b32_e32 v4, 0x100, v0
	s_delay_alu instid0(VALU_DEP_1)
	v_cmp_gt_u32_e64 s1, s29, v4
	v_mov_b32_e32 v4, v1
	s_and_saveexec_b32 s2, s1
	s_cbranch_execz .LBB1571_7
; %bb.6:
	flat_load_b32 v4, v0, s[12:13] offset:1024 scale_offset
.LBB1571_7:
	s_wait_xcnt 0x0
	s_or_b32 exec_lo, exec_lo, s2
	v_or_b32_e32 v5, 0x180, v0
	s_delay_alu instid0(VALU_DEP_1)
	v_cmp_gt_u32_e64 s2, s29, v5
	v_mov_b32_e32 v5, v1
	s_and_saveexec_b32 s3, s2
	s_cbranch_execz .LBB1571_9
; %bb.8:
	flat_load_b32 v5, v0, s[12:13] offset:1536 scale_offset
.LBB1571_9:
	s_wait_xcnt 0x0
	s_or_b32 exec_lo, exec_lo, s3
	v_or_b32_e32 v6, 0x200, v0
	s_delay_alu instid0(VALU_DEP_1)
	v_cmp_gt_u32_e64 s3, s29, v6
	v_mov_b32_e32 v6, v1
	s_and_saveexec_b32 s4, s3
	s_cbranch_execz .LBB1571_11
; %bb.10:
	flat_load_b32 v6, v0, s[12:13] offset:2048 scale_offset
.LBB1571_11:
	s_wait_xcnt 0x0
	s_or_b32 exec_lo, exec_lo, s4
	v_or_b32_e32 v7, 0x280, v0
	s_delay_alu instid0(VALU_DEP_1)
	v_cmp_gt_u32_e64 s4, s29, v7
	v_mov_b32_e32 v7, v1
	s_and_saveexec_b32 s5, s4
	s_cbranch_execz .LBB1571_13
; %bb.12:
	flat_load_b32 v7, v0, s[12:13] offset:2560 scale_offset
.LBB1571_13:
	s_wait_xcnt 0x0
	s_or_b32 exec_lo, exec_lo, s5
	v_or_b32_e32 v8, 0x300, v0
	s_delay_alu instid0(VALU_DEP_1)
	v_cmp_gt_u32_e64 s5, s29, v8
	v_mov_b32_e32 v8, v1
	s_and_saveexec_b32 s6, s5
	s_cbranch_execz .LBB1571_15
; %bb.14:
	flat_load_b32 v8, v0, s[12:13] offset:3072 scale_offset
.LBB1571_15:
	s_wait_xcnt 0x0
	s_or_b32 exec_lo, exec_lo, s6
	v_or_b32_e32 v9, 0x380, v0
	s_delay_alu instid0(VALU_DEP_1)
	v_cmp_gt_u32_e64 s6, s29, v9
	v_mov_b32_e32 v9, v1
	s_and_saveexec_b32 s7, s6
	s_cbranch_execz .LBB1571_17
; %bb.16:
	flat_load_b32 v9, v0, s[12:13] offset:3584 scale_offset
.LBB1571_17:
	s_wait_xcnt 0x0
	s_or_b32 exec_lo, exec_lo, s7
	v_or_b32_e32 v10, 0x400, v0
	s_delay_alu instid0(VALU_DEP_1)
	v_cmp_gt_u32_e64 s7, s29, v10
	v_mov_b32_e32 v10, v1
	s_and_saveexec_b32 s8, s7
	s_cbranch_execz .LBB1571_19
; %bb.18:
	flat_load_b32 v10, v0, s[12:13] offset:4096 scale_offset
.LBB1571_19:
	s_wait_xcnt 0x0
	s_or_b32 exec_lo, exec_lo, s8
	v_or_b32_e32 v11, 0x480, v0
	s_delay_alu instid0(VALU_DEP_1) | instskip(SKIP_2) | instid1(SALU_CYCLE_1)
	v_cmp_gt_u32_e64 s8, s29, v11
	v_cmp_le_u32_e64 s9, s29, v11
	s_and_saveexec_b32 s14, s9
	s_xor_b32 s9, exec_lo, s14
	s_delay_alu instid0(SALU_CYCLE_1)
	s_and_not1_saveexec_b32 s9, s9
	s_cbranch_execz .LBB1571_21
; %bb.20:
	flat_load_b32 v1, v0, s[12:13] offset:4608 scale_offset
.LBB1571_21:
	s_wait_xcnt 0x0
	s_or_b32 exec_lo, exec_lo, s9
	v_lshlrev_b32_e32 v11, 2, v0
	s_mov_b32 s14, exec_lo
	s_wait_loadcnt_dscnt 0x0
	ds_store_2addr_stride64_b32 v11, v2, v3 offset1:2
	ds_store_2addr_stride64_b32 v11, v4, v5 offset0:4 offset1:6
	ds_store_2addr_stride64_b32 v11, v6, v7 offset0:8 offset1:10
	;; [unrolled: 1-line block ×4, first 2 shown]
	v_mov_b32_e32 v1, 0
	s_wait_dscnt 0x0
	s_barrier_signal -1
	s_barrier_wait -1
	flat_load_b32 v59, v1, s[12:13]
	s_wait_xcnt 0x0
	v_mad_u32_u24 v1, v0, 36, v11
	ds_load_2addr_b64 v[6:9], v1 offset1:1
	ds_load_2addr_b64 v[2:5], v1 offset0:2 offset1:3
	ds_load_b64 v[50:51], v1 offset:32
	v_mad_i32_i24 v1, 0xffffffdc, v0, v1
	s_wait_dscnt 0x2
	ds_store_b32 v1, v6 offset:5632
	s_wait_loadcnt_dscnt 0x0
	s_barrier_signal -1
	s_barrier_wait -1
	v_cmpx_ne_u32_e32 0x7f, v0
; %bb.22:
	ds_load_b32 v59, v1 offset:5636
; %bb.23:
	s_or_b32 exec_lo, exec_lo, s14
	s_wait_dscnt 0x0
	s_barrier_signal -1
	s_barrier_wait -1
                                        ; implicit-def: $vgpr10_vgpr11
	s_and_saveexec_b32 s9, vcc_lo
	s_cbranch_execz .LBB1571_120
; %bb.24:
	flat_load_b64 v[10:11], v0, s[10:11] scale_offset
	s_wait_xcnt 0x0
	s_or_b32 exec_lo, exec_lo, s9
                                        ; implicit-def: $vgpr12_vgpr13
	s_and_saveexec_b32 s9, s0
	s_cbranch_execnz .LBB1571_121
.LBB1571_25:
	s_or_b32 exec_lo, exec_lo, s9
                                        ; implicit-def: $vgpr14_vgpr15
	s_and_saveexec_b32 s0, s1
	s_cbranch_execz .LBB1571_122
.LBB1571_26:
	flat_load_b64 v[14:15], v0, s[10:11] offset:2048 scale_offset
	s_wait_xcnt 0x0
	s_or_b32 exec_lo, exec_lo, s0
                                        ; implicit-def: $vgpr16_vgpr17
	s_and_saveexec_b32 s0, s2
	s_cbranch_execnz .LBB1571_123
.LBB1571_27:
	s_or_b32 exec_lo, exec_lo, s0
                                        ; implicit-def: $vgpr18_vgpr19
	s_and_saveexec_b32 s0, s3
	s_cbranch_execz .LBB1571_124
.LBB1571_28:
	flat_load_b64 v[18:19], v0, s[10:11] offset:4096 scale_offset
	s_wait_xcnt 0x0
	s_or_b32 exec_lo, exec_lo, s0
                                        ; implicit-def: $vgpr20_vgpr21
	s_and_saveexec_b32 s0, s4
	s_cbranch_execnz .LBB1571_125
.LBB1571_29:
	s_or_b32 exec_lo, exec_lo, s0
                                        ; implicit-def: $vgpr22_vgpr23
	s_and_saveexec_b32 s0, s5
	s_cbranch_execz .LBB1571_126
.LBB1571_30:
	flat_load_b64 v[22:23], v0, s[10:11] offset:6144 scale_offset
	s_wait_xcnt 0x0
	s_or_b32 exec_lo, exec_lo, s0
                                        ; implicit-def: $vgpr24_vgpr25
	s_and_saveexec_b32 s0, s6
	s_cbranch_execnz .LBB1571_127
.LBB1571_31:
	s_or_b32 exec_lo, exec_lo, s0
                                        ; implicit-def: $vgpr26_vgpr27
	s_and_saveexec_b32 s0, s7
	s_cbranch_execz .LBB1571_33
.LBB1571_32:
	flat_load_b64 v[26:27], v0, s[10:11] offset:8192 scale_offset
.LBB1571_33:
	s_wait_xcnt 0x0
	s_or_b32 exec_lo, exec_lo, s0
	v_mul_u32_u24_e32 v67, 10, v0
                                        ; implicit-def: $vgpr28_vgpr29
	s_and_saveexec_b32 s0, s8
	s_cbranch_execz .LBB1571_35
; %bb.34:
	flat_load_b64 v[28:29], v0, s[10:11] offset:9216 scale_offset
.LBB1571_35:
	s_wait_xcnt 0x0
	s_or_b32 exec_lo, exec_lo, s0
	v_lshl_add_u32 v68, v0, 2, v1
	v_mov_b64_e32 v[48:49], 0
	v_mov_b64_e32 v[46:47], 0
	;; [unrolled: 1-line block ×4, first 2 shown]
	s_wait_loadcnt_dscnt 0x0
	ds_store_2addr_stride64_b64 v68, v[10:11], v[12:13] offset1:2
	ds_store_2addr_stride64_b64 v68, v[14:15], v[16:17] offset0:4 offset1:6
	ds_store_2addr_stride64_b64 v68, v[18:19], v[20:21] offset0:8 offset1:10
	;; [unrolled: 1-line block ×4, first 2 shown]
	v_mov_b64_e32 v[26:27], 0
	v_mov_b64_e32 v[14:15], 0
	;; [unrolled: 1-line block ×14, first 2 shown]
	v_cmp_gt_u32_e32 vcc_lo, s29, v67
	v_dual_mov_b32 v52, 0 :: v_dual_mov_b32 v53, 0
	v_dual_mov_b32 v54, 0 :: v_dual_mov_b32 v55, 0
	;; [unrolled: 1-line block ×9, first 2 shown]
	s_mov_b32 s9, 0
	s_mov_b32 s3, 0
	s_wait_dscnt 0x0
	s_barrier_signal -1
	s_barrier_wait -1
                                        ; implicit-def: $sgpr14
	s_and_saveexec_b32 s28, vcc_lo
	s_cbranch_execz .LBB1571_55
; %bb.36:
	v_mad_u32_u24 v1, 0x48, v0, v68
	v_dual_mov_b32 v52, 0 :: v_dual_bitop2_b32 v12, 1, v67 bitop3:0x54
	v_cmp_ne_u32_e32 vcc_lo, v6, v7
	v_mov_b64_e32 v[14:15], 0
	ds_load_b64 v[10:11], v1
	v_mov_b64_e32 v[48:49], 0
	v_mov_b64_e32 v[16:17], 0
	;; [unrolled: 1-line block ×16, first 2 shown]
	v_dual_mov_b32 v53, 0 :: v_dual_mov_b32 v54, 0
	v_dual_mov_b32 v55, 0 :: v_dual_mov_b32 v56, 0
	;; [unrolled: 1-line block ×4, first 2 shown]
	v_cmp_gt_u32_e64 s0, s29, v12
	s_wait_dscnt 0x0
	v_cndmask_b32_e64 v27, v11, s41, vcc_lo
	v_cndmask_b32_e64 v26, v10, s40, vcc_lo
	v_dual_mov_b32 v61, 0 :: v_dual_mov_b32 v63, 0
	v_dual_mov_b32 v64, 0 :: v_dual_mov_b32 v10, 0
	;; [unrolled: 1-line block ×3, first 2 shown]
	v_mov_b32_e32 v12, 0
	s_mov_b32 s1, 0
                                        ; implicit-def: $sgpr14
	s_and_saveexec_b32 s33, s0
	s_cbranch_execz .LBB1571_54
; %bb.37:
	v_mul_u32_u24_e32 v1, 0x48, v0
	v_cmp_ne_u32_e64 s0, v7, v8
	v_mov_b64_e32 v[14:15], 0
	v_mov_b64_e32 v[48:49], 0
	;; [unrolled: 1-line block ×3, first 2 shown]
	v_dual_add_nc_u32 v1, v68, v1 :: v_dual_mov_b32 v53, 0
	v_mov_b64_e32 v[46:47], 0
	v_mov_b64_e32 v[18:19], 0
	;; [unrolled: 1-line block ×3, first 2 shown]
	ds_load_2addr_b64 v[10:13], v1 offset0:1 offset1:2
	v_mov_b64_e32 v[40:41], 0
	v_mov_b64_e32 v[32:33], 0
	;; [unrolled: 1-line block ×9, first 2 shown]
	v_dual_add_nc_u32 v6, 2, v67 :: v_dual_mov_b32 v52, 0
	v_dual_mov_b32 v54, 0 :: v_dual_mov_b32 v55, 0
	v_dual_mov_b32 v56, 0 :: v_dual_mov_b32 v57, 0
	;; [unrolled: 1-line block ×4, first 2 shown]
	v_mov_b32_e32 v64, 0
	s_wait_dscnt 0x0
	v_cndmask_b32_e64 v43, v11, s41, s0
	v_cndmask_b32_e64 v42, v10, s40, s0
	v_dual_mov_b32 v10, 0 :: v_dual_mov_b32 v11, 0
	v_mov_b32_e32 v65, 0
	s_mov_b32 s2, 0
	s_mov_b32 s39, exec_lo
                                        ; implicit-def: $sgpr14
	v_cmpx_gt_u32_e64 s29, v6
	s_cbranch_execz .LBB1571_53
; %bb.38:
	v_cmp_ne_u32_e64 s1, v8, v9
	v_dual_add_nc_u32 v6, 3, v67 :: v_dual_mov_b32 v52, 0
	v_mov_b64_e32 v[14:15], 0
	v_mov_b64_e32 v[48:49], 0
	;; [unrolled: 1-line block ×13, first 2 shown]
	v_cndmask_b32_e64 v41, v13, s41, s1
	v_cndmask_b32_e64 v40, v12, s40, s1
	v_cmp_gt_u32_e64 s2, s29, v6
	v_dual_mov_b32 v53, 0 :: v_dual_mov_b32 v54, 0
	v_dual_mov_b32 v55, 0 :: v_dual_mov_b32 v56, 0
	;; [unrolled: 1-line block ×5, first 2 shown]
	v_mov_b32_e32 v11, 0
                                        ; implicit-def: $sgpr14
	s_and_saveexec_b32 s42, s2
	s_cbranch_execz .LBB1571_52
; %bb.39:
	ds_load_2addr_b64 v[10:13], v1 offset0:3 offset1:4
	v_cmp_ne_u32_e64 s2, v9, v2
	v_mov_b64_e32 v[14:15], 0
	v_mov_b64_e32 v[48:49], 0
	;; [unrolled: 1-line block ×11, first 2 shown]
	v_dual_add_nc_u32 v6, 4, v67 :: v_dual_mov_b32 v52, 0
	v_dual_mov_b32 v53, 0 :: v_dual_mov_b32 v54, 0
	v_dual_mov_b32 v55, 0 :: v_dual_mov_b32 v56, 0
	;; [unrolled: 1-line block ×3, first 2 shown]
	s_wait_dscnt 0x0
	v_cndmask_b32_e64 v45, v11, s41, s2
	v_cndmask_b32_e64 v44, v10, s40, s2
	v_dual_mov_b32 v63, 0 :: v_dual_mov_b32 v64, 0
	v_mov_b32_e32 v10, 0
	s_mov_b32 s4, 0
	s_mov_b32 s43, exec_lo
                                        ; implicit-def: $sgpr14
	v_cmpx_gt_u32_e64 s29, v6
	s_cbranch_execz .LBB1571_51
; %bb.40:
	v_cmp_ne_u32_e64 s3, v2, v3
	v_mov_b64_e32 v[14:15], 0
	v_mov_b64_e32 v[48:49], 0
	;; [unrolled: 1-line block ×9, first 2 shown]
	v_dual_add_nc_u32 v2, 5, v67 :: v_dual_mov_b32 v52, 0
	v_cndmask_b32_e64 v19, v13, s41, s3
	v_cndmask_b32_e64 v18, v12, s40, s3
	v_dual_mov_b32 v53, 0 :: v_dual_mov_b32 v54, 0
	v_dual_mov_b32 v55, 0 :: v_dual_mov_b32 v62, 0
	;; [unrolled: 1-line block ×3, first 2 shown]
	v_mov_b32_e32 v64, 0
	s_mov_b32 s5, 0
	s_mov_b32 s44, exec_lo
                                        ; implicit-def: $sgpr14
	v_cmpx_gt_u32_e64 s29, v2
	s_cbranch_execz .LBB1571_50
; %bb.41:
	ds_load_2addr_b64 v[6:9], v1 offset0:5 offset1:6
	v_cmp_ne_u32_e64 s4, v3, v4
	v_mov_b64_e32 v[14:15], 0
	v_mov_b64_e32 v[48:49], 0
	;; [unrolled: 1-line block ×7, first 2 shown]
	v_dual_add_nc_u32 v2, 6, v67 :: v_dual_mov_b32 v52, 0
	v_dual_mov_b32 v53, 0 :: v_dual_mov_b32 v54, 0
	v_dual_mov_b32 v62, 0 :: v_dual_mov_b32 v61, 0
	v_mov_b32_e32 v63, 0
	s_mov_b32 s6, 0
	s_mov_b32 s45, exec_lo
                                        ; implicit-def: $sgpr14
	s_wait_dscnt 0x0
	v_cndmask_b32_e64 v47, v7, s41, s4
	v_cndmask_b32_e64 v46, v6, s40, s4
	v_cmpx_gt_u32_e64 s29, v2
	s_cbranch_execz .LBB1571_49
; %bb.42:
	v_cmp_ne_u32_e64 s5, v4, v5
	v_mov_b64_e32 v[14:15], 0
	v_mov_b64_e32 v[48:49], 0
	v_mov_b64_e32 v[32:33], 0
	v_mov_b64_e32 v[22:23], 0
	v_dual_add_nc_u32 v2, 7, v67 :: v_dual_mov_b32 v52, 0
	v_cndmask_b32_e64 v17, v9, s41, s5
	v_cndmask_b32_e64 v16, v8, s40, s5
	v_dual_mov_b32 v53, 0 :: v_dual_mov_b32 v61, 0
	s_mov_b32 s7, 0
	s_mov_b32 s46, exec_lo
                                        ; implicit-def: $sgpr14
	v_cmpx_gt_u32_e64 s29, v2
	s_cbranch_execz .LBB1571_48
; %bb.43:
	ds_load_2addr_b64 v[6:9], v1 offset0:7 offset1:8
	v_cmp_ne_u32_e64 s6, v5, v50
	v_mov_b64_e32 v[14:15], 0
	v_mov_b64_e32 v[32:33], 0
	v_dual_add_nc_u32 v2, 8, v67 :: v_dual_mov_b32 v52, 0
	s_mov_b32 s8, 0
	s_mov_b32 s47, exec_lo
                                        ; implicit-def: $sgpr14
	s_wait_dscnt 0x0
	v_cndmask_b32_e64 v49, v7, s41, s6
	v_cndmask_b32_e64 v48, v6, s40, s6
	v_cmpx_gt_u32_e64 s29, v2
	s_cbranch_execz .LBB1571_47
; %bb.44:
	v_cmp_ne_u32_e64 s7, v50, v51
	v_add_nc_u32_e32 v2, 9, v67
	v_mov_b64_e32 v[32:33], 0
                                        ; implicit-def: $sgpr14
	s_delay_alu instid0(VALU_DEP_3) | instskip(SKIP_1) | instid1(VALU_DEP_4)
	v_cndmask_b32_e64 v15, v9, s41, s7
	v_cndmask_b32_e64 v14, v8, s40, s7
	v_cmp_gt_u32_e64 s8, s29, v2
	s_mov_b32 s29, 0
	s_and_saveexec_b32 s48, s8
	s_delay_alu instid0(SALU_CYCLE_1)
	s_xor_b32 s8, exec_lo, s48
	s_cbranch_execz .LBB1571_46
; %bb.45:
	ds_load_b64 v[2:3], v1 offset:72
	v_cmp_ne_u32_e64 s14, v51, v59
	s_mov_b32 s29, exec_lo
	s_wait_dscnt 0x0
	v_cndmask_b32_e64 v33, v3, s41, s14
	v_cndmask_b32_e64 v32, v2, s40, s14
.LBB1571_46:
	s_or_b32 exec_lo, exec_lo, s8
	v_cndmask_b32_e64 v52, 0, 1, s7
	s_and_b32 s8, s29, exec_lo
.LBB1571_47:
	s_or_b32 exec_lo, exec_lo, s47
	v_cndmask_b32_e64 v53, 0, 1, s6
	v_mov_b64_e32 v[22:23], v[48:49]
	s_and_b32 s7, s8, exec_lo
	s_delay_alu instid0(VALU_DEP_2)
	v_mov_b32_e32 v61, v53
.LBB1571_48:
	s_or_b32 exec_lo, exec_lo, s46
	v_cndmask_b32_e64 v54, 0, 1, s5
	v_mov_b64_e32 v[20:21], v[14:15]
	v_mov_b64_e32 v[24:25], v[16:17]
	v_mov_b32_e32 v62, v52
	s_and_b32 s6, s7, exec_lo
	v_mov_b32_e32 v63, v54
.LBB1571_49:
	s_or_b32 exec_lo, exec_lo, s45
	v_cndmask_b32_e64 v55, 0, 1, s4
	v_mov_b64_e32 v[28:29], v[46:47]
	s_and_b32 s5, s6, exec_lo
	s_delay_alu instid0(VALU_DEP_2)
	v_mov_b32_e32 v64, v55
.LBB1571_50:
	s_or_b32 exec_lo, exec_lo, s44
	v_cndmask_b32_e64 v56, 0, 1, s3
	v_mov_b64_e32 v[30:31], v[18:19]
	s_and_b32 s4, s5, exec_lo
	s_delay_alu instid0(VALU_DEP_2)
	v_mov_b32_e32 v10, v56
.LBB1571_51:
	s_or_b32 exec_lo, exec_lo, s43
	v_cndmask_b32_e64 v57, 0, 1, s2
	v_mov_b64_e32 v[34:35], v[44:45]
	s_and_b32 s3, s4, exec_lo
	s_delay_alu instid0(VALU_DEP_2)
	v_mov_b32_e32 v11, v57
.LBB1571_52:
	s_or_b32 exec_lo, exec_lo, s42
	v_cndmask_b32_e64 v58, 0, 1, s1
	v_mov_b64_e32 v[36:37], v[40:41]
	s_and_b32 s2, s3, exec_lo
	s_delay_alu instid0(VALU_DEP_2)
	v_mov_b32_e32 v65, v58
.LBB1571_53:
	s_or_b32 exec_lo, exec_lo, s39
	v_cndmask_b32_e64 v60, 0, 1, s0
	v_mov_b64_e32 v[38:39], v[42:43]
	s_and_b32 s1, s2, exec_lo
	s_delay_alu instid0(VALU_DEP_2)
	v_mov_b32_e32 v12, v60
.LBB1571_54:
	s_or_b32 exec_lo, exec_lo, s33
	v_cndmask_b32_e64 v66, 0, 1, vcc_lo
	s_and_b32 s3, s1, exec_lo
	s_delay_alu instid0(VALU_DEP_1)
	v_mov_b32_e32 v1, v66
.LBB1571_55:
	s_or_b32 exec_lo, exec_lo, s28
	s_delay_alu instid0(SALU_CYCLE_1)
	s_and_b32 vcc_lo, exec_lo, s9
	s_cbranch_vccnz .LBB1571_57
	s_branch .LBB1571_62
.LBB1571_56:
                                        ; implicit-def: $sgpr14
                                        ; implicit-def: $vgpr26_vgpr27
                                        ; implicit-def: $vgpr52
                                        ; implicit-def: $vgpr14_vgpr15
                                        ; implicit-def: $vgpr53
                                        ; implicit-def: $vgpr48_vgpr49
                                        ; implicit-def: $vgpr54
                                        ; implicit-def: $vgpr16_vgpr17
                                        ; implicit-def: $vgpr55
                                        ; implicit-def: $vgpr46_vgpr47
                                        ; implicit-def: $vgpr56
                                        ; implicit-def: $vgpr18_vgpr19
                                        ; implicit-def: $vgpr57
                                        ; implicit-def: $vgpr44_vgpr45
                                        ; implicit-def: $vgpr58
                                        ; implicit-def: $vgpr40_vgpr41
                                        ; implicit-def: $vgpr60
                                        ; implicit-def: $vgpr42_vgpr43
                                        ; implicit-def: $vgpr66
                                        ; implicit-def: $vgpr32_vgpr33
                                        ; implicit-def: $vgpr62
                                        ; implicit-def: $vgpr20_vgpr21
                                        ; implicit-def: $vgpr61
                                        ; implicit-def: $vgpr22_vgpr23
                                        ; implicit-def: $vgpr63
                                        ; implicit-def: $vgpr24_vgpr25
                                        ; implicit-def: $vgpr64
                                        ; implicit-def: $vgpr28_vgpr29
                                        ; implicit-def: $vgpr10
                                        ; implicit-def: $vgpr30_vgpr31
                                        ; implicit-def: $vgpr11
                                        ; implicit-def: $vgpr34_vgpr35
                                        ; implicit-def: $vgpr65
                                        ; implicit-def: $vgpr36_vgpr37
                                        ; implicit-def: $vgpr12
                                        ; implicit-def: $vgpr38_vgpr39
                                        ; implicit-def: $vgpr1
	s_cbranch_execz .LBB1571_62
.LBB1571_57:
	s_clause 0x9
	flat_load_b32 v1, v0, s[12:13] scale_offset
	flat_load_b32 v2, v0, s[12:13] offset:512 scale_offset
	flat_load_b32 v3, v0, s[12:13] offset:1024 scale_offset
	;; [unrolled: 1-line block ×9, first 2 shown]
	v_dual_mov_b32 v12, 0 :: v_dual_lshlrev_b32 v11, 2, v0
	s_mov_b32 s0, exec_lo
	s_wait_loadcnt_dscnt 0x808
	ds_store_2addr_stride64_b32 v11, v1, v2 offset1:2
	s_wait_loadcnt_dscnt 0x607
	ds_store_2addr_stride64_b32 v11, v3, v4 offset0:4 offset1:6
	s_wait_loadcnt_dscnt 0x406
	ds_store_2addr_stride64_b32 v11, v5, v6 offset0:8 offset1:10
	;; [unrolled: 2-line block ×4, first 2 shown]
	s_wait_dscnt 0x0
	s_barrier_signal -1
	s_barrier_wait -1
	flat_load_b32 v1, v12, s[12:13] offset:5120
	v_mad_u32_u24 v10, v0, 36, v11
	ds_load_2addr_b64 v[6:9], v10 offset1:1
	ds_load_2addr_b64 v[2:5], v10 offset0:2 offset1:3
	ds_load_b64 v[28:29], v10 offset:32
	v_mad_i32_i24 v10, 0xffffffdc, v0, v10
	s_wait_dscnt 0x2
	ds_store_b32 v10, v6 offset:5632
	s_wait_loadcnt_dscnt 0x0
	s_barrier_signal -1
	s_barrier_wait -1
	v_cmpx_ne_u32_e32 0x7f, v0
; %bb.58:
	ds_load_b32 v1, v10 offset:5636
; %bb.59:
	s_or_b32 exec_lo, exec_lo, s0
	s_wait_dscnt 0x0
	s_barrier_signal -1
	s_barrier_wait -1
	s_clause 0x9
	flat_load_b64 v[12:13], v0, s[10:11] scale_offset
	flat_load_b64 v[14:15], v0, s[10:11] offset:1024 scale_offset
	flat_load_b64 v[16:17], v0, s[10:11] offset:2048 scale_offset
	;; [unrolled: 1-line block ×9, first 2 shown]
	v_lshl_add_u32 v32, v0, 2, v10
	s_mov_b32 s1, exec_lo
	v_cmp_ne_u32_e32 vcc_lo, v6, v7
	s_wait_loadcnt_dscnt 0x808
	ds_store_2addr_stride64_b64 v32, v[12:13], v[14:15] offset1:2
	s_wait_loadcnt_dscnt 0x607
	ds_store_2addr_stride64_b64 v32, v[16:17], v[18:19] offset0:4 offset1:6
	s_wait_loadcnt_dscnt 0x406
	ds_store_2addr_stride64_b64 v32, v[20:21], v[22:23] offset0:8 offset1:10
	;; [unrolled: 2-line block ×4, first 2 shown]
	v_mad_u32_u24 v33, 0x48, v0, v32
	s_wait_dscnt 0x0
	s_barrier_signal -1
	s_barrier_wait -1
	ds_load_2addr_b64 v[22:25], v33 offset0:1 offset1:2
	ds_load_2addr_b64 v[18:21], v33 offset0:3 offset1:4
	;; [unrolled: 1-line block ×4, first 2 shown]
	ds_load_b64 v[30:31], v33 offset:72
	v_mov_b64_e32 v[26:27], s[40:41]
	v_cmpx_eq_u32_e64 v6, v7
; %bb.60:
	v_mul_u32_u24_e32 v6, 0x48, v0
	s_delay_alu instid0(VALU_DEP_1)
	v_add_nc_u32_e32 v6, v32, v6
	ds_load_b64 v[26:27], v6
; %bb.61:
	s_or_b32 exec_lo, exec_lo, s1
	v_cndmask_b32_e64 v66, 0, 1, vcc_lo
	v_cmp_ne_u32_e32 vcc_lo, v7, v8
	v_cmp_ne_u32_e64 s0, v8, v9
	v_cmp_ne_u32_e64 s1, v9, v2
	;; [unrolled: 1-line block ×8, first 2 shown]
	s_wait_dscnt 0x4
	v_cndmask_b32_e64 v43, v23, s41, vcc_lo
	v_cndmask_b32_e64 v42, v22, s40, vcc_lo
	v_cndmask_b32_e64 v41, v25, s41, s0
	v_cndmask_b32_e64 v40, v24, s40, s0
	s_wait_dscnt 0x3
	v_cndmask_b32_e64 v45, v19, s41, s1
	v_cndmask_b32_e64 v44, v18, s40, s1
	v_cndmask_b32_e64 v19, v21, s41, s2
	v_cndmask_b32_e64 v18, v20, s40, s2
	s_wait_dscnt 0x2
	v_cndmask_b32_e64 v47, v15, s41, s3
	v_cndmask_b32_e64 v46, v14, s40, s3
	;; [unrolled: 5-line block ×3, first 2 shown]
	v_cndmask_b32_e64 v14, v12, s40, s6
	v_cndmask_b32_e64 v48, v10, s40, s5
	v_cndmask_b32_e64 v60, 0, 1, vcc_lo
	v_cndmask_b32_e64 v58, 0, 1, s0
	v_cndmask_b32_e64 v57, 0, 1, s1
	;; [unrolled: 1-line block ×7, first 2 shown]
	s_wait_dscnt 0x0
	v_cndmask_b32_e64 v33, v31, s41, s14
	v_cndmask_b32_e64 v32, v30, s40, s14
	v_mov_b64_e32 v[20:21], v[14:15]
	v_mov_b64_e32 v[22:23], v[48:49]
	;; [unrolled: 1-line block ×8, first 2 shown]
	v_dual_mov_b32 v62, v52 :: v_dual_mov_b32 v61, v53
	v_dual_mov_b32 v63, v54 :: v_dual_mov_b32 v64, v55
	;; [unrolled: 1-line block ×4, first 2 shown]
	v_mov_b32_e32 v1, v66
	s_mov_b32 s3, -1
.LBB1571_62:
	v_mov_b32_e32 v50, 0
	s_and_saveexec_b32 s0, s3
	s_cbranch_execz .LBB1571_64
; %bb.63:
	v_mov_b64_e32 v[38:39], v[42:43]
	v_mov_b64_e32 v[36:37], v[40:41]
	;; [unrolled: 1-line block ×8, first 2 shown]
	v_cndmask_b32_e64 v50, 0, 1, s14
	v_dual_mov_b32 v1, v66 :: v_dual_mov_b32 v12, v60
	v_dual_mov_b32 v65, v58 :: v_dual_mov_b32 v11, v57
	v_dual_mov_b32 v10, v56 :: v_dual_mov_b32 v64, v55
	v_dual_mov_b32 v63, v54 :: v_dual_mov_b32 v61, v53
	v_mov_b32_e32 v62, v52
.LBB1571_64:
	s_or_b32 exec_lo, exec_lo, s0
	v_and_b32_e32 v47, 1, v11
	s_delay_alu instid0(VALU_DEP_3)
	v_and_b32_e32 v46, 1, v63
	v_and_b32_e32 v45, 1, v1
	;; [unrolled: 1-line block ×4, first 2 shown]
	v_bitop3_b16 v49, v65, 0xff, v12 bitop3:0xc8
	v_and_b32_e32 v58, 0xff, v11
	v_cmp_eq_u32_e64 s8, 1, v47
	v_and_b32_e32 v57, 0xff, v10
	v_and_b32_e32 v56, 0xff, v64
	v_bitop3_b16 v51, v64, 0xff, v10 bitop3:0xc8
	v_and_b32_e32 v55, 0xff, v63
	v_cmp_eq_u32_e64 s10, 1, v46
	v_and_b32_e32 v54, 0xff, v61
	v_and_b32_e32 v53, 0xff, v62
	v_bitop3_b16 v52, v62, 0xff, v61 bitop3:0xc8
	v_cmp_eq_u16_e64 s9, 0, v50
	v_and_b32_e32 v48, 1, v50
	v_mbcnt_lo_u32_b32 v44, -1, 0
	s_cmp_lg_u32 s38, 0
	v_cmp_eq_u32_e32 vcc_lo, 1, v45
	s_barrier_signal -1
	s_barrier_wait -1
	s_cbranch_scc0 .LBB1571_128
; %bb.65:
	v_cmp_eq_u16_e64 s0, 0, v60
	v_cmp_eq_u16_e64 s1, 0, v59
	;; [unrolled: 1-line block ×5, first 2 shown]
	v_dual_cndmask_b32 v3, 0, v27, s0 :: v_dual_cndmask_b32 v2, 0, v26, s0
	v_cmp_eq_u16_e64 s5, 0, v55
	v_cmp_eq_u16_e64 s6, 0, v54
	;; [unrolled: 1-line block ×3, first 2 shown]
	v_cmp_ne_u16_e64 s12, 0, v51
	v_add_nc_u64_e32 v[2:3], v[2:3], v[38:39]
	v_cmp_ne_u16_e64 s13, 0, v52
	v_cmp_eq_u32_e64 s14, 1, v48
	v_cmp_ne_u16_e64 s11, 0, v49
	s_or_b32 s10, s12, s10
	v_dual_cndmask_b32 v3, 0, v3, s1 :: v_dual_bitop2_b32 v4, 15, v44 bitop3:0x40
	v_cndmask_b32_e64 v2, 0, v2, s1
	s_or_b32 s12, s13, s14
	s_or_b32 s8, s11, s8
	;; [unrolled: 1-line block ×3, first 2 shown]
	s_delay_alu instid0(VALU_DEP_1) | instskip(SKIP_1) | instid1(SALU_CYCLE_1)
	v_add_nc_u64_e32 v[2:3], v[2:3], v[36:37]
	s_or_b32 s8, s10, s8
	s_or_b32 s8, s8, vcc_lo
	s_delay_alu instid0(SALU_CYCLE_1) | instskip(SKIP_1) | instid1(VALU_DEP_3)
	v_cndmask_b32_e64 v5, 0, 1, s8
	v_cndmask_b32_e64 v6, 0, 1, s8
	v_dual_cndmask_b32 v3, 0, v3, s2 :: v_dual_cndmask_b32 v2, 0, v2, s2
	s_delay_alu instid0(VALU_DEP_3) | instskip(NEXT) | instid1(VALU_DEP_2)
	v_mov_b32_dpp v7, v5 row_shr:1 row_mask:0xf bank_mask:0xf
	v_add_nc_u64_e32 v[2:3], v[2:3], v[34:35]
	s_delay_alu instid0(VALU_DEP_1) | instskip(NEXT) | instid1(VALU_DEP_1)
	v_dual_cndmask_b32 v3, 0, v3, s3 :: v_dual_cndmask_b32 v2, 0, v2, s3
	v_add_nc_u64_e32 v[2:3], v[2:3], v[30:31]
	s_delay_alu instid0(VALU_DEP_1) | instskip(NEXT) | instid1(VALU_DEP_1)
	v_dual_cndmask_b32 v3, 0, v3, s4 :: v_dual_cndmask_b32 v2, 0, v2, s4
	;; [unrolled: 3-line block ×5, first 2 shown]
	v_add_nc_u64_e32 v[2:3], v[2:3], v[20:21]
	s_delay_alu instid0(VALU_DEP_1) | instskip(SKIP_1) | instid1(VALU_DEP_1)
	v_dual_cndmask_b32 v3, 0, v3, s9 :: v_dual_cndmask_b32 v2, 0, v2, s9
	s_mov_b32 s9, exec_lo
	v_add_nc_u64_e32 v[2:3], v[2:3], v[32:33]
	s_delay_alu instid0(VALU_DEP_1) | instskip(NEXT) | instid1(VALU_DEP_2)
	v_mov_b32_dpp v8, v2 row_shr:1 row_mask:0xf bank_mask:0xf
	v_mov_b32_dpp v9, v3 row_shr:1 row_mask:0xf bank_mask:0xf
	v_cmpx_ne_u32_e32 0, v4
; %bb.66:
	s_delay_alu instid0(VALU_DEP_2) | instskip(NEXT) | instid1(VALU_DEP_4)
	v_cndmask_b32_e64 v9, v9, 0, s8
	v_cndmask_b32_e64 v8, v8, 0, s8
	v_bitop3_b16 v6, v7, v6, 1 bitop3:0xec
	s_delay_alu instid0(VALU_DEP_2) | instskip(NEXT) | instid1(VALU_DEP_2)
	v_add_nc_u64_e32 v[2:3], v[8:9], v[2:3]
	v_and_b32_e32 v5, 0xffff, v6
; %bb.67:
	s_or_b32 exec_lo, exec_lo, s9
	s_delay_alu instid0(VALU_DEP_2) | instskip(NEXT) | instid1(VALU_DEP_3)
	v_mov_b32_dpp v7, v2 row_shr:2 row_mask:0xf bank_mask:0xf
	v_mov_b32_dpp v8, v3 row_shr:2 row_mask:0xf bank_mask:0xf
	s_delay_alu instid0(VALU_DEP_3)
	v_mov_b32_dpp v9, v5 row_shr:2 row_mask:0xf bank_mask:0xf
	s_mov_b32 s9, exec_lo
	v_cmpx_lt_u32_e32 1, v4
	s_cbranch_execz .LBB1571_69
; %bb.68:
	v_cmp_eq_u16_e32 vcc_lo, 0, v6
	v_and_b32_e32 v5, 1, v6
	v_dual_cndmask_b32 v9, 0, v8, vcc_lo :: v_dual_bitop2_b32 v6, 1, v9 bitop3:0x40
	v_cndmask_b32_e32 v8, 0, v7, vcc_lo
	s_delay_alu instid0(VALU_DEP_3) | instskip(NEXT) | instid1(VALU_DEP_3)
	v_cmp_eq_u32_e32 vcc_lo, 1, v5
	v_cmp_eq_u32_e64 s8, 1, v6
	s_delay_alu instid0(VALU_DEP_3) | instskip(SKIP_1) | instid1(SALU_CYCLE_1)
	v_add_nc_u64_e32 v[2:3], v[8:9], v[2:3]
	s_or_b32 s8, vcc_lo, s8
	v_cndmask_b32_e64 v6, 0, 1, s8
	v_cndmask_b32_e64 v5, 0, 1, s8
.LBB1571_69:
	s_or_b32 exec_lo, exec_lo, s9
	s_delay_alu instid0(VALU_DEP_3) | instskip(NEXT) | instid1(VALU_DEP_4)
	v_mov_b32_dpp v7, v2 row_shr:4 row_mask:0xf bank_mask:0xf
	v_mov_b32_dpp v8, v3 row_shr:4 row_mask:0xf bank_mask:0xf
	s_delay_alu instid0(VALU_DEP_3)
	v_mov_b32_dpp v9, v5 row_shr:4 row_mask:0xf bank_mask:0xf
	s_mov_b32 s9, exec_lo
	v_cmpx_lt_u32_e32 3, v4
	s_cbranch_execz .LBB1571_71
; %bb.70:
	v_cmp_eq_u16_e32 vcc_lo, 0, v6
	v_and_b32_e32 v5, 1, v6
	v_dual_cndmask_b32 v9, 0, v8, vcc_lo :: v_dual_bitop2_b32 v6, 1, v9 bitop3:0x40
	v_cndmask_b32_e32 v8, 0, v7, vcc_lo
	s_delay_alu instid0(VALU_DEP_3) | instskip(NEXT) | instid1(VALU_DEP_3)
	v_cmp_eq_u32_e32 vcc_lo, 1, v5
	v_cmp_eq_u32_e64 s8, 1, v6
	s_delay_alu instid0(VALU_DEP_3) | instskip(SKIP_1) | instid1(SALU_CYCLE_1)
	v_add_nc_u64_e32 v[2:3], v[8:9], v[2:3]
	s_or_b32 s8, vcc_lo, s8
	v_cndmask_b32_e64 v6, 0, 1, s8
	v_cndmask_b32_e64 v5, 0, 1, s8
.LBB1571_71:
	s_or_b32 exec_lo, exec_lo, s9
	s_delay_alu instid0(VALU_DEP_3) | instskip(NEXT) | instid1(VALU_DEP_4)
	v_mov_b32_dpp v7, v2 row_shr:8 row_mask:0xf bank_mask:0xf
	v_mov_b32_dpp v8, v3 row_shr:8 row_mask:0xf bank_mask:0xf
	s_delay_alu instid0(VALU_DEP_3)
	v_mov_b32_dpp v9, v5 row_shr:8 row_mask:0xf bank_mask:0xf
	s_mov_b32 s9, exec_lo
	v_cmpx_lt_u32_e32 7, v4
	s_cbranch_execz .LBB1571_73
; %bb.72:
	v_cmp_eq_u16_e32 vcc_lo, 0, v6
	v_and_b32_e32 v6, 1, v6
	v_dual_cndmask_b32 v4, 0, v7, vcc_lo :: v_dual_bitop2_b32 v9, 1, v9 bitop3:0x40
	v_cndmask_b32_e32 v5, 0, v8, vcc_lo
	s_delay_alu instid0(VALU_DEP_3) | instskip(NEXT) | instid1(VALU_DEP_3)
	v_cmp_eq_u32_e32 vcc_lo, 1, v6
	v_cmp_eq_u32_e64 s8, 1, v9
	s_delay_alu instid0(VALU_DEP_3) | instskip(SKIP_1) | instid1(SALU_CYCLE_1)
	v_add_nc_u64_e32 v[2:3], v[4:5], v[2:3]
	s_or_b32 s8, vcc_lo, s8
	v_cndmask_b32_e64 v6, 0, 1, s8
	v_cndmask_b32_e64 v5, 0, 1, s8
.LBB1571_73:
	s_or_b32 exec_lo, exec_lo, s9
	ds_swizzle_b32 v4, v2 offset:swizzle(BROADCAST,32,15)
	ds_swizzle_b32 v7, v3 offset:swizzle(BROADCAST,32,15)
	;; [unrolled: 1-line block ×3, first 2 shown]
	v_and_b32_e32 v8, 16, v44
	s_mov_b32 s9, exec_lo
	s_delay_alu instid0(VALU_DEP_1)
	v_cmpx_ne_u32_e32 0, v8
	s_cbranch_execz .LBB1571_75
; %bb.74:
	v_cmp_eq_u16_e32 vcc_lo, 0, v6
	v_and_b32_e32 v6, 1, v6
	s_wait_dscnt 0x0
	v_dual_cndmask_b32 v4, 0, v4, vcc_lo :: v_dual_bitop2_b32 v8, 1, v5 bitop3:0x40
	v_cndmask_b32_e32 v5, 0, v7, vcc_lo
	s_delay_alu instid0(VALU_DEP_3) | instskip(NEXT) | instid1(VALU_DEP_3)
	v_cmp_eq_u32_e32 vcc_lo, 1, v6
	v_cmp_eq_u32_e64 s8, 1, v8
	s_delay_alu instid0(VALU_DEP_3) | instskip(SKIP_1) | instid1(SALU_CYCLE_1)
	v_add_nc_u64_e32 v[2:3], v[4:5], v[2:3]
	s_or_b32 s8, vcc_lo, s8
	v_cndmask_b32_e64 v6, 0, 1, s8
.LBB1571_75:
	s_or_b32 exec_lo, exec_lo, s9
	s_wait_dscnt 0x0
	v_dual_lshrrev_b32 v5, 5, v0 :: v_dual_bitop2_b32 v4, 31, v0 bitop3:0x54
	s_mov_b32 s8, exec_lo
	s_delay_alu instid0(VALU_DEP_1) | instskip(NEXT) | instid1(VALU_DEP_2)
	v_lshlrev_b32_e32 v7, 4, v5
	v_cmpx_eq_u32_e64 v0, v4
	s_cbranch_execz .LBB1571_77
; %bb.76:
	ds_store_b64 v7, v[2:3]
	ds_store_b8 v7, v6 offset:8
.LBB1571_77:
	s_or_b32 exec_lo, exec_lo, s8
	s_delay_alu instid0(SALU_CYCLE_1)
	s_mov_b32 s9, exec_lo
	s_wait_dscnt 0x0
	s_barrier_signal -1
	s_barrier_wait -1
	v_cmpx_gt_u32_e32 4, v0
	s_cbranch_execz .LBB1571_83
; %bb.78:
	v_lshlrev_b32_e32 v8, 4, v0
	s_mov_b32 s8, exec_lo
	ds_load_b64 v[4:5], v8
	ds_load_b32 v9, v8 offset:8
	v_and_b32_e32 v10, 3, v44
	s_wait_dscnt 0x1
	v_mov_b32_dpp v14, v4 row_shr:1 row_mask:0xf bank_mask:0xf
	v_mov_b32_dpp v15, v5 row_shr:1 row_mask:0xf bank_mask:0xf
	s_wait_dscnt 0x0
	v_mov_b32_dpp v13, v9 row_shr:1 row_mask:0xf bank_mask:0xf
	v_dual_mov_b32 v12, v9 :: v_dual_mov_b32 v11, v9
	v_cmpx_ne_u32_e32 0, v10
	s_cbranch_execz .LBB1571_80
; %bb.79:
	v_and_b32_e32 v11, 0xff, v9
	v_or_b32_e32 v12, v13, v9
	s_delay_alu instid0(VALU_DEP_2) | instskip(SKIP_1) | instid1(VALU_DEP_3)
	v_cmp_eq_u16_e32 vcc_lo, 0, v11
	v_bitop3_b32 v11, v13, 1, v9 bitop3:0xc8
	v_dual_cndmask_b32 v15, 0, v15, vcc_lo :: v_dual_bitop2_b32 v12, 1, v12 bitop3:0x40
	v_cndmask_b32_e32 v14, 0, v14, vcc_lo
	s_delay_alu instid0(VALU_DEP_3) | instskip(NEXT) | instid1(VALU_DEP_2)
	v_and_or_b32 v9, 0xffffff00, v9, v11
	v_add_nc_u64_e32 v[4:5], v[14:15], v[4:5]
.LBB1571_80:
	s_or_b32 exec_lo, exec_lo, s8
	s_delay_alu instid0(VALU_DEP_1) | instskip(NEXT) | instid1(VALU_DEP_2)
	v_mov_b32_dpp v13, v4 row_shr:2 row_mask:0xf bank_mask:0xf
	v_mov_b32_dpp v14, v5 row_shr:2 row_mask:0xf bank_mask:0xf
	;; [unrolled: 1-line block ×3, first 2 shown]
	s_mov_b32 s10, exec_lo
	v_cmpx_lt_u32_e32 1, v10
	s_cbranch_execz .LBB1571_82
; %bb.81:
	v_and_b32_e32 v10, 0xff, v11
	v_and_b32_e32 v9, 1, v9
	s_delay_alu instid0(VALU_DEP_2) | instskip(SKIP_1) | instid1(VALU_DEP_3)
	v_cmp_eq_u16_e32 vcc_lo, 0, v10
	v_and_b32_e32 v12, 1, v11
	v_cmp_eq_u32_e64 s8, 1, v9
	v_dual_cndmask_b32 v11, 0, v14 :: v_dual_cndmask_b32 v10, 0, v13
	s_delay_alu instid0(VALU_DEP_3) | instskip(NEXT) | instid1(VALU_DEP_2)
	v_cmp_eq_u32_e32 vcc_lo, 1, v12
	v_add_nc_u64_e32 v[4:5], v[10:11], v[4:5]
	s_or_b32 s8, vcc_lo, s8
	s_delay_alu instid0(SALU_CYCLE_1)
	v_cndmask_b32_e64 v12, 0, 1, s8
.LBB1571_82:
	s_or_b32 exec_lo, exec_lo, s10
	ds_store_b64 v8, v[4:5]
	ds_store_b8 v8, v12 offset:8
.LBB1571_83:
	s_or_b32 exec_lo, exec_lo, s9
	v_mov_b64_e32 v[4:5], 0
	v_mov_b32_e32 v12, 0
	s_mov_b32 s9, exec_lo
	v_cmp_gt_u32_e32 vcc_lo, 32, v0
	s_wait_dscnt 0x0
	s_barrier_signal -1
	s_barrier_wait -1
	v_cmpx_lt_u32_e32 31, v0
	s_cbranch_execz .LBB1571_85
; %bb.84:
	v_dual_add_nc_u32 v4, -16, v7 :: v_dual_add_nc_u32 v7, -8, v7
	v_cmp_eq_u16_e64 s8, 0, v6
	ds_load_b64 v[4:5], v4
	ds_load_u8 v12, v7
	s_wait_dscnt 0x1
	v_dual_cndmask_b32 v9, 0, v5, s8 :: v_dual_cndmask_b32 v8, 0, v4, s8
	s_wait_dscnt 0x0
	v_or_b32_e32 v6, v12, v6
	s_delay_alu instid0(VALU_DEP_2)
	v_add_nc_u64_e32 v[2:3], v[2:3], v[8:9]
.LBB1571_85:
	s_or_b32 exec_lo, exec_lo, s9
	v_sub_co_u32 v7, s8, v44, 1
	s_delay_alu instid0(VALU_DEP_3) | instskip(NEXT) | instid1(VALU_DEP_2)
	v_and_b32_e32 v6, 0xff, v6
	v_cmp_gt_i32_e64 s9, 0, v7
	s_delay_alu instid0(VALU_DEP_1) | instskip(NEXT) | instid1(VALU_DEP_1)
	v_cndmask_b32_e64 v7, v7, v44, s9
	v_lshlrev_b32_e32 v7, 2, v7
	ds_bpermute_b32 v13, v7, v2
	ds_bpermute_b32 v14, v7, v3
	;; [unrolled: 1-line block ×3, first 2 shown]
	s_and_saveexec_b32 s10, vcc_lo
	s_cbranch_execz .LBB1571_133
; %bb.86:
	v_mov_b32_e32 v9, 0
	ds_load_b64 v[2:3], v9 offset:48
	ds_load_u8 v16, v9 offset:56
	s_and_saveexec_b32 s9, s8
	s_cbranch_execz .LBB1571_88
; %bb.87:
	s_add_co_i32 s12, s38, 32
	s_mov_b32 s13, 0
	v_dual_mov_b32 v6, 1 :: v_dual_mov_b32 v7, s12
	s_lshl_b64 s[28:29], s[12:13], 4
	s_delay_alu instid0(SALU_CYCLE_1)
	s_add_nc_u64 s[12:13], s[20:21], s[28:29]
	s_wait_dscnt 0x1
	global_store_b64 v9, v[2:3], s[12:13]
	s_wait_dscnt 0x0
	global_store_b8 v9, v16, s[12:13] offset:8
	global_wb scope:SCOPE_DEV
	s_wait_storecnt 0x0
	global_inv scope:SCOPE_DEV
	s_wait_xcnt 0x0
	global_store_b8 v7, v6, s[24:25] scope:SCOPE_DEV
.LBB1571_88:
	s_wait_xcnt 0x0
	s_or_b32 exec_lo, exec_lo, s9
	v_xad_u32 v6, v44, -1, s38
	s_mov_b32 s11, 0
	s_mov_b32 s9, exec_lo
	s_delay_alu instid0(VALU_DEP_1)
	v_add_nc_u32_e32 v8, 32, v6
	global_load_u8 v17, v8, s[24:25] scope:SCOPE_DEV
	s_wait_loadcnt 0x0
	v_cmpx_eq_u16_e32 0, v17
	s_cbranch_execz .LBB1571_92
; %bb.89:
	v_add_nc_u64_e32 v[10:11], s[24:25], v[8:9]
.LBB1571_90:                            ; =>This Inner Loop Header: Depth=1
	global_load_u8 v17, v[10:11], off scope:SCOPE_DEV
	s_wait_loadcnt 0x0
	v_cmp_ne_u16_e32 vcc_lo, 0, v17
	s_or_b32 s11, vcc_lo, s11
	s_wait_xcnt 0x0
	s_and_not1_b32 exec_lo, exec_lo, s11
	s_cbranch_execnz .LBB1571_90
; %bb.91:
	s_or_b32 exec_lo, exec_lo, s11
.LBB1571_92:
	s_delay_alu instid0(SALU_CYCLE_1)
	s_or_b32 exec_lo, exec_lo, s9
	v_dual_mov_b32 v7, s21 :: v_dual_mov_b32 v10, s20
	v_cmp_eq_u16_e32 vcc_lo, 1, v17
	global_wb scope:SCOPE_DEV
	s_wait_storecnt_dscnt 0x0
	global_inv scope:SCOPE_DEV
	v_lshlrev_b32_e64 v19, v44, -1
	s_mov_b32 s9, exec_lo
	v_cndmask_b32_e32 v11, s23, v7, vcc_lo
	v_cndmask_b32_e32 v10, s22, v10, vcc_lo
	v_cmp_ne_u32_e32 vcc_lo, 31, v44
	v_add_co_ci_u32_e64 v7, null, 0, v44, vcc_lo
	v_cmp_eq_u16_e32 vcc_lo, 2, v17
	s_delay_alu instid0(VALU_DEP_2)
	v_lshlrev_b32_e32 v18, 2, v7
	v_lshl_add_u64 v[8:9], v[8:9], 4, v[10:11]
	s_clause 0x1
	global_load_u8 v66, v[8:9], off offset:8
	global_load_b64 v[10:11], v[8:9], off
	v_and_or_b32 v7, vcc_lo, v19, 0x80000000
	s_delay_alu instid0(VALU_DEP_1)
	v_ctz_i32_b32_e32 v7, v7
	s_wait_loadcnt 0x1
	s_wait_xcnt 0x0
	v_and_b32_e32 v8, 1, v66
	s_wait_loadcnt 0x0
	ds_bpermute_b32 v40, v18, v10
	ds_bpermute_b32 v41, v18, v11
	;; [unrolled: 1-line block ×3, first 2 shown]
	v_cmpx_lt_u32_e64 v44, v7
	s_cbranch_execz .LBB1571_94
; %bb.93:
	v_and_b32_e32 v8, 0xff, v66
	s_wait_dscnt 0x0
	v_bitop3_b16 v66, v9, v66, 1 bitop3:0xec
	s_delay_alu instid0(VALU_DEP_2) | instskip(NEXT) | instid1(VALU_DEP_2)
	v_cmp_eq_u16_e32 vcc_lo, 0, v8
	v_and_b32_e32 v8, 0xff, v66
	v_dual_cndmask_b32 v41, 0, v41 :: v_dual_cndmask_b32 v40, 0, v40
	s_delay_alu instid0(VALU_DEP_1)
	v_add_nc_u64_e32 v[10:11], v[40:41], v[10:11]
.LBB1571_94:
	s_or_b32 exec_lo, exec_lo, s9
	v_cmp_gt_u32_e32 vcc_lo, 30, v44
	s_wait_dscnt 0x1
	v_add_nc_u32_e32 v41, 2, v44
	s_mov_b32 s11, exec_lo
	s_wait_dscnt 0x0
	v_cndmask_b32_e64 v9, 0, 2, vcc_lo
	s_delay_alu instid0(VALU_DEP_1)
	v_add_lshl_u32 v40, v9, v44, 2
	ds_bpermute_b32 v9, v40, v10
	ds_bpermute_b32 v42, v40, v11
	;; [unrolled: 1-line block ×3, first 2 shown]
	v_cmpx_le_u32_e64 v41, v7
	s_cbranch_execz .LBB1571_96
; %bb.95:
	v_and_b32_e32 v8, 0xff, v66
	s_delay_alu instid0(VALU_DEP_1) | instskip(SKIP_4) | instid1(VALU_DEP_3)
	v_cmp_eq_u16_e32 vcc_lo, 0, v8
	v_and_b32_e32 v61, 1, v66
	s_wait_dscnt 0x0
	v_dual_cndmask_b32 v43, 0, v42, vcc_lo :: v_dual_bitop2_b32 v8, 1, v43 bitop3:0x40
	v_cndmask_b32_e32 v42, 0, v9, vcc_lo
	v_cmp_eq_u32_e64 s9, 1, v61
	s_delay_alu instid0(VALU_DEP_3) | instskip(NEXT) | instid1(VALU_DEP_3)
	v_cmp_eq_u32_e32 vcc_lo, 1, v8
	v_add_nc_u64_e32 v[10:11], v[42:43], v[10:11]
	s_or_b32 s9, s9, vcc_lo
	s_delay_alu instid0(SALU_CYCLE_1)
	v_cndmask_b32_e64 v66, 0, 1, s9
	v_cndmask_b32_e64 v8, 0, 1, s9
.LBB1571_96:
	s_or_b32 exec_lo, exec_lo, s11
	v_cmp_gt_u32_e32 vcc_lo, 28, v44
	s_wait_dscnt 0x0
	v_add_nc_u32_e32 v43, 4, v44
	s_mov_b32 s11, exec_lo
	v_cndmask_b32_e64 v9, 0, 4, vcc_lo
	s_delay_alu instid0(VALU_DEP_1)
	v_add_lshl_u32 v42, v9, v44, 2
	ds_bpermute_b32 v9, v42, v10
	ds_bpermute_b32 v61, v42, v11
	;; [unrolled: 1-line block ×3, first 2 shown]
	v_cmpx_le_u32_e64 v43, v7
	s_cbranch_execz .LBB1571_98
; %bb.97:
	v_and_b32_e32 v8, 0xff, v66
	s_delay_alu instid0(VALU_DEP_1) | instskip(SKIP_4) | instid1(VALU_DEP_3)
	v_cmp_eq_u16_e32 vcc_lo, 0, v8
	v_and_b32_e32 v64, 1, v66
	s_wait_dscnt 0x0
	v_dual_cndmask_b32 v62, 0, v9, vcc_lo :: v_dual_bitop2_b32 v8, 1, v62 bitop3:0x40
	v_cndmask_b32_e32 v63, 0, v61, vcc_lo
	v_cmp_eq_u32_e64 s9, 1, v64
	s_delay_alu instid0(VALU_DEP_3) | instskip(NEXT) | instid1(VALU_DEP_3)
	v_cmp_eq_u32_e32 vcc_lo, 1, v8
	v_add_nc_u64_e32 v[10:11], v[62:63], v[10:11]
	s_or_b32 s9, s9, vcc_lo
	s_delay_alu instid0(SALU_CYCLE_1)
	v_cndmask_b32_e64 v66, 0, 1, s9
	v_cndmask_b32_e64 v8, 0, 1, s9
.LBB1571_98:
	s_or_b32 exec_lo, exec_lo, s11
	v_cmp_gt_u32_e32 vcc_lo, 24, v44
	s_wait_dscnt 0x0
	v_add_nc_u32_e32 v62, 8, v44
	s_mov_b32 s11, exec_lo
	v_cndmask_b32_e64 v9, 0, 8, vcc_lo
	s_delay_alu instid0(VALU_DEP_1)
	v_add_lshl_u32 v61, v9, v44, 2
	ds_bpermute_b32 v9, v61, v10
	ds_bpermute_b32 v63, v61, v11
	;; [unrolled: 1-line block ×3, first 2 shown]
	v_cmpx_le_u32_e64 v62, v7
	s_cbranch_execz .LBB1571_100
; %bb.99:
	v_and_b32_e32 v8, 0xff, v66
	s_delay_alu instid0(VALU_DEP_1) | instskip(SKIP_4) | instid1(VALU_DEP_3)
	v_cmp_eq_u16_e32 vcc_lo, 0, v8
	v_and_b32_e32 v66, 1, v66
	s_wait_dscnt 0x0
	v_dual_cndmask_b32 v64, 0, v9, vcc_lo :: v_dual_bitop2_b32 v8, 1, v64 bitop3:0x40
	v_cndmask_b32_e32 v65, 0, v63, vcc_lo
	v_cmp_eq_u32_e64 s9, 1, v66
	s_delay_alu instid0(VALU_DEP_3) | instskip(NEXT) | instid1(VALU_DEP_3)
	v_cmp_eq_u32_e32 vcc_lo, 1, v8
	v_add_nc_u64_e32 v[10:11], v[64:65], v[10:11]
	s_or_b32 s9, s9, vcc_lo
	s_delay_alu instid0(SALU_CYCLE_1)
	v_cndmask_b32_e64 v66, 0, 1, s9
	v_cndmask_b32_e64 v8, 0, 1, s9
.LBB1571_100:
	s_or_b32 exec_lo, exec_lo, s11
	s_wait_dscnt 0x1
	v_lshl_or_b32 v63, v44, 2, 64
	v_add_nc_u32_e32 v65, 16, v44
	s_mov_b32 s11, exec_lo
	ds_bpermute_b32 v9, v63, v10
	s_wait_dscnt 0x1
	ds_bpermute_b32 v64, v63, v11
	ds_bpermute_b32 v8, v63, v8
	v_cmpx_le_u32_e64 v65, v7
	s_cbranch_execz .LBB1571_102
; %bb.101:
	v_and_b32_e32 v7, 0xff, v66
	s_delay_alu instid0(VALU_DEP_1) | instskip(SKIP_4) | instid1(VALU_DEP_3)
	v_cmp_eq_u16_e32 vcc_lo, 0, v7
	v_and_b32_e32 v7, 1, v66
	s_wait_dscnt 0x0
	v_dual_cndmask_b32 v66, 0, v9, vcc_lo :: v_dual_bitop2_b32 v8, 1, v8 bitop3:0x40
	v_cndmask_b32_e32 v67, 0, v64, vcc_lo
	v_cmp_eq_u32_e32 vcc_lo, 1, v7
	s_delay_alu instid0(VALU_DEP_3) | instskip(NEXT) | instid1(VALU_DEP_3)
	v_cmp_eq_u32_e64 s9, 1, v8
	v_add_nc_u64_e32 v[10:11], v[66:67], v[10:11]
	s_or_b32 s9, vcc_lo, s9
	s_delay_alu instid0(SALU_CYCLE_1)
	v_cndmask_b32_e64 v66, 0, 1, s9
.LBB1571_102:
	s_or_b32 exec_lo, exec_lo, s11
	v_mov_b32_e32 v7, 0
	s_branch .LBB1571_105
.LBB1571_103:                           ;   in Loop: Header=BB1571_105 Depth=1
	s_or_b32 exec_lo, exec_lo, s12
	v_and_b32_e32 v66, 0xff, v64
	v_subrev_nc_u32_e32 v6, 32, v6
	s_delay_alu instid0(VALU_DEP_2) | instskip(SKIP_2) | instid1(VALU_DEP_2)
	v_cmp_eq_u16_e32 vcc_lo, 0, v66
	v_dual_cndmask_b32 v11, 0, v11, vcc_lo :: v_dual_bitop2_b32 v66, 1, v64 bitop3:0x40
	v_cndmask_b32_e32 v10, 0, v10, vcc_lo
	v_cmp_eq_u32_e32 vcc_lo, 1, v66
	s_delay_alu instid0(VALU_DEP_2) | instskip(SKIP_1) | instid1(SALU_CYCLE_1)
	v_add_nc_u64_e32 v[10:11], v[10:11], v[8:9]
	s_or_b32 s9, vcc_lo, s11
	v_cndmask_b32_e64 v66, 0, 1, s9
	s_mov_b32 s9, 0
.LBB1571_104:                           ;   in Loop: Header=BB1571_105 Depth=1
	s_delay_alu instid0(SALU_CYCLE_1)
	s_and_b32 vcc_lo, exec_lo, s9
	s_cbranch_vccnz .LBB1571_129
.LBB1571_105:                           ; =>This Loop Header: Depth=1
                                        ;     Child Loop BB1571_108 Depth 2
	s_wait_dscnt 0x0
	v_and_b32_e32 v8, 0xff, v17
	v_mov_b32_e32 v64, v66
	s_mov_b32 s9, -1
                                        ; implicit-def: $vgpr66
                                        ; implicit-def: $vgpr17
	s_delay_alu instid0(VALU_DEP_2)
	v_cmp_ne_u16_e32 vcc_lo, 2, v8
	v_mov_b64_e32 v[8:9], v[10:11]
                                        ; implicit-def: $vgpr10_vgpr11
	s_cmp_lg_u32 vcc_lo, exec_lo
	s_cbranch_scc1 .LBB1571_104
; %bb.106:                              ;   in Loop: Header=BB1571_105 Depth=1
	global_load_u8 v17, v6, s[24:25] scope:SCOPE_DEV
	s_mov_b32 s9, exec_lo
	s_wait_loadcnt 0x0
	v_cmpx_eq_u16_e32 0, v17
	s_cbranch_execz .LBB1571_110
; %bb.107:                              ;   in Loop: Header=BB1571_105 Depth=1
	v_add_nc_u64_e32 v[10:11], s[24:25], v[6:7]
	s_mov_b32 s11, 0
.LBB1571_108:                           ;   Parent Loop BB1571_105 Depth=1
                                        ; =>  This Inner Loop Header: Depth=2
	global_load_u8 v17, v[10:11], off scope:SCOPE_DEV
	s_wait_loadcnt 0x0
	v_cmp_ne_u16_e32 vcc_lo, 0, v17
	s_or_b32 s11, vcc_lo, s11
	s_delay_alu instid0(SALU_CYCLE_1)
	s_and_not1_b32 exec_lo, exec_lo, s11
	s_cbranch_execnz .LBB1571_108
; %bb.109:                              ;   in Loop: Header=BB1571_105 Depth=1
	s_or_b32 exec_lo, exec_lo, s11
.LBB1571_110:                           ;   in Loop: Header=BB1571_105 Depth=1
	s_delay_alu instid0(SALU_CYCLE_1)
	s_or_b32 exec_lo, exec_lo, s9
	v_dual_mov_b32 v10, s21 :: v_dual_mov_b32 v66, s20
	v_cmp_eq_u16_e32 vcc_lo, 1, v17
	global_wb scope:SCOPE_DEV
	s_wait_storecnt 0x0
	global_inv scope:SCOPE_DEV
	s_mov_b32 s9, exec_lo
	v_cndmask_b32_e32 v11, s23, v10, vcc_lo
	v_cndmask_b32_e32 v10, s22, v66, vcc_lo
	v_cmp_eq_u16_e32 vcc_lo, 2, v17
	s_delay_alu instid0(VALU_DEP_2)
	v_lshl_add_u64 v[68:69], v[6:7], 4, v[10:11]
	v_and_or_b32 v66, vcc_lo, v19, 0x80000000
	s_clause 0x1
	global_load_u8 v67, v[68:69], off offset:8
	global_load_b64 v[10:11], v[68:69], off
	v_ctz_i32_b32_e32 v66, v66
	s_wait_loadcnt 0x1
	s_wait_xcnt 0x0
	v_and_b32_e32 v68, 1, v67
	s_wait_loadcnt 0x0
	ds_bpermute_b32 v70, v18, v10
	ds_bpermute_b32 v71, v18, v11
	;; [unrolled: 1-line block ×3, first 2 shown]
	v_cmpx_lt_u32_e64 v44, v66
	s_cbranch_execz .LBB1571_112
; %bb.111:                              ;   in Loop: Header=BB1571_105 Depth=1
	v_and_b32_e32 v68, 0xff, v67
	s_wait_dscnt 0x0
	v_bitop3_b16 v67, v69, v67, 1 bitop3:0xec
	s_delay_alu instid0(VALU_DEP_2) | instskip(NEXT) | instid1(VALU_DEP_2)
	v_cmp_eq_u16_e32 vcc_lo, 0, v68
	v_and_b32_e32 v68, 0xff, v67
	v_dual_cndmask_b32 v71, 0, v71 :: v_dual_cndmask_b32 v70, 0, v70
	s_delay_alu instid0(VALU_DEP_1)
	v_add_nc_u64_e32 v[10:11], v[70:71], v[10:11]
.LBB1571_112:                           ;   in Loop: Header=BB1571_105 Depth=1
	s_or_b32 exec_lo, exec_lo, s9
	s_wait_dscnt 0x0
	ds_bpermute_b32 v69, v40, v10
	ds_bpermute_b32 v70, v40, v11
	;; [unrolled: 1-line block ×3, first 2 shown]
	v_and_b32_e32 v72, 1, v67
	s_mov_b32 s9, exec_lo
	s_delay_alu instid0(VALU_DEP_1)
	v_cmp_eq_u32_e64 s11, 1, v72
	v_cmpx_le_u32_e64 v41, v66
	s_cbranch_execz .LBB1571_114
; %bb.113:                              ;   in Loop: Header=BB1571_105 Depth=1
	v_and_b32_e32 v67, 0xff, v67
	s_delay_alu instid0(VALU_DEP_1) | instskip(SKIP_3) | instid1(VALU_DEP_2)
	v_cmp_eq_u16_e32 vcc_lo, 0, v67
	s_wait_dscnt 0x0
	v_dual_cndmask_b32 v71, 0, v70, vcc_lo :: v_dual_bitop2_b32 v67, 1, v71 bitop3:0x40
	v_cndmask_b32_e32 v70, 0, v69, vcc_lo
	v_cmp_eq_u32_e32 vcc_lo, 1, v67
	s_delay_alu instid0(VALU_DEP_2)
	v_add_nc_u64_e32 v[10:11], v[70:71], v[10:11]
	s_or_b32 s12, s11, vcc_lo
	s_and_not1_b32 s11, s11, exec_lo
	v_cndmask_b32_e64 v67, 0, 1, s12
	v_cndmask_b32_e64 v68, 0, 1, s12
	s_and_b32 s12, s12, exec_lo
	s_delay_alu instid0(SALU_CYCLE_1)
	s_or_b32 s11, s11, s12
.LBB1571_114:                           ;   in Loop: Header=BB1571_105 Depth=1
	s_or_b32 exec_lo, exec_lo, s9
	s_wait_dscnt 0x2
	ds_bpermute_b32 v69, v42, v10
	s_wait_dscnt 0x2
	ds_bpermute_b32 v70, v42, v11
	;; [unrolled: 2-line block ×3, first 2 shown]
	s_mov_b32 s12, exec_lo
	v_cmpx_le_u32_e64 v43, v66
	s_cbranch_execz .LBB1571_116
; %bb.115:                              ;   in Loop: Header=BB1571_105 Depth=1
	v_and_b32_e32 v68, 0xff, v67
	s_and_not1_b32 s11, s11, exec_lo
	s_delay_alu instid0(VALU_DEP_1) | instskip(SKIP_3) | instid1(VALU_DEP_2)
	v_cmp_eq_u16_e32 vcc_lo, 0, v68
	v_and_b32_e32 v67, 1, v67
	s_wait_dscnt 0x0
	v_dual_cndmask_b32 v71, 0, v70, vcc_lo :: v_dual_bitop2_b32 v68, 1, v71 bitop3:0x40
	v_cmp_eq_u32_e64 s9, 1, v67
	v_cndmask_b32_e32 v70, 0, v69, vcc_lo
	s_delay_alu instid0(VALU_DEP_3) | instskip(NEXT) | instid1(VALU_DEP_2)
	v_cmp_eq_u32_e32 vcc_lo, 1, v68
	v_add_nc_u64_e32 v[10:11], v[70:71], v[10:11]
	s_or_b32 s9, s9, vcc_lo
	s_delay_alu instid0(SALU_CYCLE_1) | instskip(SKIP_2) | instid1(SALU_CYCLE_1)
	v_cndmask_b32_e64 v67, 0, 1, s9
	v_cndmask_b32_e64 v68, 0, 1, s9
	s_and_b32 s9, s9, exec_lo
	s_or_b32 s11, s11, s9
.LBB1571_116:                           ;   in Loop: Header=BB1571_105 Depth=1
	s_or_b32 exec_lo, exec_lo, s12
	s_wait_dscnt 0x2
	ds_bpermute_b32 v69, v61, v10
	s_wait_dscnt 0x2
	ds_bpermute_b32 v70, v61, v11
	;; [unrolled: 2-line block ×3, first 2 shown]
	s_mov_b32 s12, exec_lo
	v_cmpx_le_u32_e64 v62, v66
	s_cbranch_execz .LBB1571_118
; %bb.117:                              ;   in Loop: Header=BB1571_105 Depth=1
	v_and_b32_e32 v68, 0xff, v67
	s_and_not1_b32 s11, s11, exec_lo
	s_delay_alu instid0(VALU_DEP_1) | instskip(SKIP_3) | instid1(VALU_DEP_2)
	v_cmp_eq_u16_e32 vcc_lo, 0, v68
	v_and_b32_e32 v67, 1, v67
	s_wait_dscnt 0x0
	v_dual_cndmask_b32 v71, 0, v70, vcc_lo :: v_dual_bitop2_b32 v68, 1, v71 bitop3:0x40
	v_cmp_eq_u32_e64 s9, 1, v67
	v_cndmask_b32_e32 v70, 0, v69, vcc_lo
	s_delay_alu instid0(VALU_DEP_3) | instskip(NEXT) | instid1(VALU_DEP_2)
	v_cmp_eq_u32_e32 vcc_lo, 1, v68
	v_add_nc_u64_e32 v[10:11], v[70:71], v[10:11]
	s_or_b32 s9, s9, vcc_lo
	s_delay_alu instid0(SALU_CYCLE_1) | instskip(SKIP_2) | instid1(SALU_CYCLE_1)
	v_cndmask_b32_e64 v67, 0, 1, s9
	v_cndmask_b32_e64 v68, 0, 1, s9
	s_and_b32 s9, s9, exec_lo
	s_or_b32 s11, s11, s9
.LBB1571_118:                           ;   in Loop: Header=BB1571_105 Depth=1
	s_or_b32 exec_lo, exec_lo, s12
	s_wait_dscnt 0x2
	ds_bpermute_b32 v69, v63, v10
	s_wait_dscnt 0x2
	ds_bpermute_b32 v70, v63, v11
	ds_bpermute_b32 v68, v63, v68
	s_mov_b32 s12, exec_lo
	v_cmpx_le_u32_e64 v65, v66
	s_cbranch_execz .LBB1571_103
; %bb.119:                              ;   in Loop: Header=BB1571_105 Depth=1
	v_and_b32_e32 v66, 0xff, v67
	s_and_not1_b32 s11, s11, exec_lo
	s_delay_alu instid0(VALU_DEP_1)
	v_cmp_eq_u16_e32 vcc_lo, 0, v66
	s_wait_dscnt 0x3
	v_and_b32_e32 v71, 1, v67
	s_wait_dscnt 0x0
	v_dual_cndmask_b32 v66, 0, v69, vcc_lo :: v_dual_bitop2_b32 v68, 1, v68 bitop3:0x40
	v_cndmask_b32_e32 v67, 0, v70, vcc_lo
	s_delay_alu instid0(VALU_DEP_3) | instskip(NEXT) | instid1(VALU_DEP_3)
	v_cmp_eq_u32_e32 vcc_lo, 1, v71
	v_cmp_eq_u32_e64 s9, 1, v68
	s_delay_alu instid0(VALU_DEP_3) | instskip(SKIP_1) | instid1(SALU_CYCLE_1)
	v_add_nc_u64_e32 v[10:11], v[66:67], v[10:11]
	s_or_b32 s9, vcc_lo, s9
	s_and_b32 s9, s9, exec_lo
	s_delay_alu instid0(SALU_CYCLE_1)
	s_or_b32 s11, s11, s9
	s_branch .LBB1571_103
.LBB1571_120:
	s_or_b32 exec_lo, exec_lo, s9
                                        ; implicit-def: $vgpr12_vgpr13
	s_and_saveexec_b32 s9, s0
	s_cbranch_execz .LBB1571_25
.LBB1571_121:
	flat_load_b64 v[12:13], v0, s[10:11] offset:1024 scale_offset
	s_wait_xcnt 0x0
	s_or_b32 exec_lo, exec_lo, s9
                                        ; implicit-def: $vgpr14_vgpr15
	s_and_saveexec_b32 s0, s1
	s_cbranch_execnz .LBB1571_26
.LBB1571_122:
	s_or_b32 exec_lo, exec_lo, s0
                                        ; implicit-def: $vgpr16_vgpr17
	s_and_saveexec_b32 s0, s2
	s_cbranch_execz .LBB1571_27
.LBB1571_123:
	flat_load_b64 v[16:17], v0, s[10:11] offset:3072 scale_offset
	s_wait_xcnt 0x0
	s_or_b32 exec_lo, exec_lo, s0
                                        ; implicit-def: $vgpr18_vgpr19
	s_and_saveexec_b32 s0, s3
	s_cbranch_execnz .LBB1571_28
.LBB1571_124:
	s_or_b32 exec_lo, exec_lo, s0
                                        ; implicit-def: $vgpr20_vgpr21
	s_and_saveexec_b32 s0, s4
	s_cbranch_execz .LBB1571_29
.LBB1571_125:
	flat_load_b64 v[20:21], v0, s[10:11] offset:5120 scale_offset
	s_wait_xcnt 0x0
	s_or_b32 exec_lo, exec_lo, s0
                                        ; implicit-def: $vgpr22_vgpr23
	s_and_saveexec_b32 s0, s5
	s_cbranch_execnz .LBB1571_30
.LBB1571_126:
	s_or_b32 exec_lo, exec_lo, s0
                                        ; implicit-def: $vgpr24_vgpr25
	s_and_saveexec_b32 s0, s6
	s_cbranch_execz .LBB1571_31
.LBB1571_127:
	flat_load_b64 v[24:25], v0, s[10:11] offset:7168 scale_offset
	s_wait_xcnt 0x0
	s_or_b32 exec_lo, exec_lo, s0
                                        ; implicit-def: $vgpr26_vgpr27
	s_and_saveexec_b32 s0, s7
	s_cbranch_execz .LBB1571_33
	s_branch .LBB1571_32
.LBB1571_128:
                                        ; implicit-def: $vgpr2_vgpr3
                                        ; implicit-def: $vgpr42_vgpr43
                                        ; implicit-def: $vgpr18_vgpr19
                                        ; implicit-def: $vgpr16_vgpr17
                                        ; implicit-def: $vgpr12_vgpr13
                                        ; implicit-def: $vgpr8_vgpr9
	s_cbranch_execnz .LBB1571_136
	s_branch .LBB1571_161
.LBB1571_129:
	s_and_saveexec_b32 s9, s8
	s_cbranch_execz .LBB1571_131
; %bb.130:
	v_and_b32_e32 v6, 0xff, v16
	s_add_co_i32 s12, s38, 32
	s_mov_b32 s13, 0
	v_mov_b32_e32 v11, s12
	v_bitop3_b16 v10, v16, 1, v64 bitop3:0xc8
	v_cmp_eq_u32_e32 vcc_lo, 0, v6
	s_lshl_b64 s[20:21], s[12:13], 4
	s_delay_alu instid0(SALU_CYCLE_1) | instskip(SKIP_1) | instid1(VALU_DEP_1)
	s_add_nc_u64 s[12:13], s[22:23], s[20:21]
	v_dual_cndmask_b32 v7, 0, v9 :: v_dual_cndmask_b32 v6, 0, v8
	v_add_nc_u64_e32 v[2:3], v[6:7], v[2:3]
	v_dual_mov_b32 v6, 0 :: v_dual_mov_b32 v7, 2
	s_clause 0x1
	global_store_b64 v6, v[2:3], s[12:13]
	global_store_b8 v6, v10, s[12:13] offset:8
	global_wb scope:SCOPE_DEV
	s_wait_storecnt_dscnt 0x0
	global_inv scope:SCOPE_DEV
	s_wait_xcnt 0x0
	global_store_b8 v11, v7, s[24:25] scope:SCOPE_DEV
.LBB1571_131:
	s_wait_xcnt 0x0
	s_or_b32 exec_lo, exec_lo, s9
	v_cmp_eq_u32_e32 vcc_lo, 0, v0
	s_and_b32 exec_lo, exec_lo, vcc_lo
	s_cbranch_execz .LBB1571_133
; %bb.132:
	v_mov_b32_e32 v2, 0
	ds_store_b64 v2, v[8:9] offset:48
	ds_store_b8 v2, v64 offset:56
.LBB1571_133:
	s_or_b32 exec_lo, exec_lo, s10
	v_mov_b32_e32 v2, 0
	s_wait_storecnt 0x0
	s_wait_loadcnt_dscnt 0x0
	s_barrier_signal -1
	s_barrier_wait -1
	ds_load_b64 v[2:3], v2 offset:48
	s_mov_b32 s9, 0
	s_mov_b32 s10, exec_lo
	v_cmpx_ne_u32_e32 0, v0
	s_cbranch_execz .LBB1571_135
; %bb.134:
	v_dual_cndmask_b32 v6, v15, v12, s8 :: v_dual_cndmask_b32 v5, v14, v5, s8
	s_delay_alu instid0(VALU_DEP_1) | instskip(NEXT) | instid1(VALU_DEP_1)
	v_and_b32_e32 v6, 0xff, v6
	v_cmp_eq_u16_e32 vcc_lo, 0, v6
	s_wait_dscnt 0x0
	v_dual_cndmask_b32 v4, v13, v4, s8 :: v_dual_cndmask_b32 v3, 0, v3, vcc_lo
	v_cndmask_b32_e32 v2, 0, v2, vcc_lo
	s_delay_alu instid0(VALU_DEP_1)
	v_add_nc_u64_e32 v[2:3], v[4:5], v[2:3]
.LBB1571_135:
	s_or_b32 exec_lo, exec_lo, s10
	v_and_b32_e32 v4, 0xff, v1
	s_delay_alu instid0(VALU_DEP_1) | instskip(SKIP_1) | instid1(VALU_DEP_3)
	v_cmp_eq_u16_e32 vcc_lo, 0, v4
	s_wait_dscnt 0x0
	v_dual_cndmask_b32 v5, 0, v3 :: v_dual_cndmask_b32 v4, 0, v2
	s_delay_alu instid0(VALU_DEP_1) | instskip(NEXT) | instid1(VALU_DEP_1)
	v_add_nc_u64_e32 v[4:5], v[4:5], v[26:27]
	v_dual_cndmask_b32 v7, 0, v5, s0 :: v_dual_cndmask_b32 v6, 0, v4, s0
	s_delay_alu instid0(VALU_DEP_1) | instskip(NEXT) | instid1(VALU_DEP_1)
	v_add_nc_u64_e32 v[6:7], v[6:7], v[38:39]
	v_dual_cndmask_b32 v9, 0, v7, s1 :: v_dual_cndmask_b32 v8, 0, v6, s1
	;; [unrolled: 3-line block ×8, first 2 shown]
	s_and_b32 vcc_lo, exec_lo, s9
	s_cbranch_vccz .LBB1571_161
.LBB1571_136:
	s_cmp_eq_u64 s[36:37], 0
	v_mov_b64_e32 v[40:41], s[40:41]
	s_cselect_b32 s0, -1, 0
	s_cmp_eq_u64 s[30:31], 0
	s_cselect_b32 s1, -1, 0
	s_delay_alu instid0(SALU_CYCLE_1) | instskip(NEXT) | instid1(SALU_CYCLE_1)
	s_or_b32 s0, s0, s1
	s_and_b32 vcc_lo, exec_lo, s0
	s_cbranch_vccnz .LBB1571_138
; %bb.137:
	v_mov_b32_e32 v2, 0
	global_load_b64 v[40:41], v2, s[30:31]
.LBB1571_138:
	v_cmp_eq_u16_e32 vcc_lo, 0, v60
	v_cmp_eq_u16_e64 s0, 0, v59
	v_cmp_eq_u16_e64 s1, 0, v58
	;; [unrolled: 1-line block ×4, first 2 shown]
	s_wait_xcnt 0x0
	v_dual_cndmask_b32 v3, 0, v27 :: v_dual_cndmask_b32 v2, 0, v26
	v_cmp_eq_u16_e64 s4, 0, v55
	v_cmp_eq_u16_e64 s5, 0, v54
	;; [unrolled: 1-line block ×3, first 2 shown]
	v_cmp_ne_u16_e64 s9, 0, v51
	v_add_nc_u64_e32 v[2:3], v[2:3], v[38:39]
	v_cmp_eq_u32_e64 s10, 1, v46
	v_cmp_ne_u16_e64 s11, 0, v52
	v_cmp_eq_u32_e64 s12, 1, v48
	v_cmp_ne_u16_e64 s7, 0, v49
	v_cmp_eq_u32_e64 s8, 1, v47
	s_or_b32 s10, s9, s10
	v_dual_cndmask_b32 v3, 0, v3, s0 :: v_dual_cndmask_b32 v2, 0, v2, s0
	v_cmp_eq_u16_e64 s9, 0, v50
	s_or_b32 s11, s11, s12
	v_cmp_eq_u32_e64 s13, 1, v45
	s_or_b32 s7, s7, s8
	v_add_nc_u64_e32 v[2:3], v[2:3], v[36:37]
	s_or_b32 s8, s11, s10
	v_and_b32_e32 v4, 15, v44
	s_or_b32 s7, s8, s7
	s_delay_alu instid0(SALU_CYCLE_1) | instskip(NEXT) | instid1(VALU_DEP_2)
	s_or_b32 s8, s7, s13
	v_dual_cndmask_b32 v3, 0, v3, s1 :: v_dual_cndmask_b32 v2, 0, v2, s1
	v_cndmask_b32_e64 v5, 0, 1, s8
	v_cndmask_b32_e64 v6, 0, 1, s8
	s_delay_alu instid0(VALU_DEP_3) | instskip(NEXT) | instid1(VALU_DEP_3)
	v_add_nc_u64_e32 v[2:3], v[2:3], v[34:35]
	v_mov_b32_dpp v7, v5 row_shr:1 row_mask:0xf bank_mask:0xf
	s_delay_alu instid0(VALU_DEP_2) | instskip(NEXT) | instid1(VALU_DEP_1)
	v_dual_cndmask_b32 v3, 0, v3, s2 :: v_dual_cndmask_b32 v2, 0, v2, s2
	v_add_nc_u64_e32 v[2:3], v[2:3], v[30:31]
	s_delay_alu instid0(VALU_DEP_1) | instskip(NEXT) | instid1(VALU_DEP_1)
	v_dual_cndmask_b32 v3, 0, v3, s3 :: v_dual_cndmask_b32 v2, 0, v2, s3
	v_add_nc_u64_e32 v[2:3], v[2:3], v[28:29]
	s_delay_alu instid0(VALU_DEP_1) | instskip(NEXT) | instid1(VALU_DEP_1)
	;; [unrolled: 3-line block ×4, first 2 shown]
	v_dual_cndmask_b32 v3, 0, v3, s6 :: v_dual_cndmask_b32 v2, 0, v2, s6
	v_add_nc_u64_e32 v[2:3], v[2:3], v[20:21]
	s_delay_alu instid0(VALU_DEP_1) | instskip(SKIP_1) | instid1(VALU_DEP_1)
	v_dual_cndmask_b32 v3, 0, v3, s9 :: v_dual_cndmask_b32 v2, 0, v2, s9
	s_mov_b32 s9, exec_lo
	v_add_nc_u64_e32 v[2:3], v[2:3], v[32:33]
	s_delay_alu instid0(VALU_DEP_1) | instskip(NEXT) | instid1(VALU_DEP_2)
	v_mov_b32_dpp v8, v2 row_shr:1 row_mask:0xf bank_mask:0xf
	v_mov_b32_dpp v9, v3 row_shr:1 row_mask:0xf bank_mask:0xf
	v_cmpx_ne_u32_e32 0, v4
; %bb.139:
	s_delay_alu instid0(VALU_DEP_2) | instskip(NEXT) | instid1(VALU_DEP_4)
	v_cndmask_b32_e64 v9, v9, 0, s8
	v_cndmask_b32_e64 v8, v8, 0, s8
	v_bitop3_b16 v6, v7, v6, 1 bitop3:0xec
	s_delay_alu instid0(VALU_DEP_2) | instskip(NEXT) | instid1(VALU_DEP_2)
	v_add_nc_u64_e32 v[2:3], v[8:9], v[2:3]
	v_and_b32_e32 v5, 0xffff, v6
; %bb.140:
	s_or_b32 exec_lo, exec_lo, s9
	s_delay_alu instid0(VALU_DEP_2) | instskip(NEXT) | instid1(VALU_DEP_3)
	v_mov_b32_dpp v7, v2 row_shr:2 row_mask:0xf bank_mask:0xf
	v_mov_b32_dpp v8, v3 row_shr:2 row_mask:0xf bank_mask:0xf
	s_delay_alu instid0(VALU_DEP_3)
	v_mov_b32_dpp v9, v5 row_shr:2 row_mask:0xf bank_mask:0xf
	s_mov_b32 s9, exec_lo
	v_cmpx_lt_u32_e32 1, v4
	s_cbranch_execz .LBB1571_142
; %bb.141:
	v_cmp_eq_u16_e64 s7, 0, v6
	v_and_b32_e32 v5, 1, v6
	s_delay_alu instid0(VALU_DEP_2) | instskip(SKIP_1) | instid1(VALU_DEP_3)
	v_dual_cndmask_b32 v9, 0, v8, s7 :: v_dual_bitop2_b32 v6, 1, v9 bitop3:0x40
	v_cndmask_b32_e64 v8, 0, v7, s7
	v_cmp_eq_u32_e64 s7, 1, v5
	s_delay_alu instid0(VALU_DEP_3) | instskip(NEXT) | instid1(VALU_DEP_3)
	v_cmp_eq_u32_e64 s8, 1, v6
	v_add_nc_u64_e32 v[2:3], v[8:9], v[2:3]
	s_or_b32 s7, s7, s8
	s_delay_alu instid0(SALU_CYCLE_1)
	v_cndmask_b32_e64 v6, 0, 1, s7
	v_cndmask_b32_e64 v5, 0, 1, s7
.LBB1571_142:
	s_or_b32 exec_lo, exec_lo, s9
	s_delay_alu instid0(VALU_DEP_3) | instskip(NEXT) | instid1(VALU_DEP_4)
	v_mov_b32_dpp v7, v2 row_shr:4 row_mask:0xf bank_mask:0xf
	v_mov_b32_dpp v8, v3 row_shr:4 row_mask:0xf bank_mask:0xf
	s_delay_alu instid0(VALU_DEP_3)
	v_mov_b32_dpp v9, v5 row_shr:4 row_mask:0xf bank_mask:0xf
	s_mov_b32 s9, exec_lo
	v_cmpx_lt_u32_e32 3, v4
	s_cbranch_execz .LBB1571_144
; %bb.143:
	v_cmp_eq_u16_e64 s7, 0, v6
	v_and_b32_e32 v5, 1, v6
	s_delay_alu instid0(VALU_DEP_2) | instskip(SKIP_1) | instid1(VALU_DEP_3)
	v_dual_cndmask_b32 v9, 0, v8, s7 :: v_dual_bitop2_b32 v6, 1, v9 bitop3:0x40
	v_cndmask_b32_e64 v8, 0, v7, s7
	v_cmp_eq_u32_e64 s7, 1, v5
	s_delay_alu instid0(VALU_DEP_3) | instskip(NEXT) | instid1(VALU_DEP_3)
	v_cmp_eq_u32_e64 s8, 1, v6
	v_add_nc_u64_e32 v[2:3], v[8:9], v[2:3]
	s_or_b32 s7, s7, s8
	s_delay_alu instid0(SALU_CYCLE_1)
	v_cndmask_b32_e64 v6, 0, 1, s7
	v_cndmask_b32_e64 v5, 0, 1, s7
.LBB1571_144:
	s_or_b32 exec_lo, exec_lo, s9
	s_delay_alu instid0(VALU_DEP_3) | instskip(NEXT) | instid1(VALU_DEP_4)
	v_mov_b32_dpp v7, v2 row_shr:8 row_mask:0xf bank_mask:0xf
	v_mov_b32_dpp v8, v3 row_shr:8 row_mask:0xf bank_mask:0xf
	s_delay_alu instid0(VALU_DEP_3)
	v_mov_b32_dpp v9, v5 row_shr:8 row_mask:0xf bank_mask:0xf
	s_mov_b32 s9, exec_lo
	v_cmpx_lt_u32_e32 7, v4
	s_cbranch_execz .LBB1571_146
; %bb.145:
	v_cmp_eq_u16_e64 s7, 0, v6
	v_and_b32_e32 v6, 1, v6
	s_delay_alu instid0(VALU_DEP_2) | instskip(SKIP_1) | instid1(VALU_DEP_3)
	v_dual_cndmask_b32 v4, 0, v7, s7 :: v_dual_bitop2_b32 v9, 1, v9 bitop3:0x40
	v_cndmask_b32_e64 v5, 0, v8, s7
	v_cmp_eq_u32_e64 s7, 1, v6
	s_delay_alu instid0(VALU_DEP_3) | instskip(NEXT) | instid1(VALU_DEP_3)
	v_cmp_eq_u32_e64 s8, 1, v9
	v_add_nc_u64_e32 v[2:3], v[4:5], v[2:3]
	s_or_b32 s7, s7, s8
	s_delay_alu instid0(SALU_CYCLE_1)
	v_cndmask_b32_e64 v6, 0, 1, s7
	v_cndmask_b32_e64 v5, 0, 1, s7
.LBB1571_146:
	s_or_b32 exec_lo, exec_lo, s9
	ds_swizzle_b32 v4, v2 offset:swizzle(BROADCAST,32,15)
	ds_swizzle_b32 v7, v3 offset:swizzle(BROADCAST,32,15)
	;; [unrolled: 1-line block ×3, first 2 shown]
	v_and_b32_e32 v8, 16, v44
	s_mov_b32 s9, exec_lo
	s_delay_alu instid0(VALU_DEP_1)
	v_cmpx_ne_u32_e32 0, v8
	s_cbranch_execz .LBB1571_148
; %bb.147:
	v_cmp_eq_u16_e64 s7, 0, v6
	v_and_b32_e32 v6, 1, v6
	s_wait_dscnt 0x0
	s_delay_alu instid0(VALU_DEP_2) | instskip(SKIP_1) | instid1(VALU_DEP_3)
	v_dual_cndmask_b32 v4, 0, v4, s7 :: v_dual_bitop2_b32 v8, 1, v5 bitop3:0x40
	v_cndmask_b32_e64 v5, 0, v7, s7
	v_cmp_eq_u32_e64 s7, 1, v6
	s_delay_alu instid0(VALU_DEP_3) | instskip(NEXT) | instid1(VALU_DEP_3)
	v_cmp_eq_u32_e64 s8, 1, v8
	v_add_nc_u64_e32 v[2:3], v[4:5], v[2:3]
	s_or_b32 s7, s7, s8
	s_delay_alu instid0(SALU_CYCLE_1)
	v_cndmask_b32_e64 v6, 0, 1, s7
.LBB1571_148:
	s_or_b32 exec_lo, exec_lo, s9
	s_wait_dscnt 0x0
	v_dual_lshrrev_b32 v5, 5, v0 :: v_dual_bitop2_b32 v4, 31, v0 bitop3:0x54
	s_mov_b32 s8, exec_lo
	s_delay_alu instid0(VALU_DEP_1) | instskip(NEXT) | instid1(VALU_DEP_2)
	v_lshlrev_b32_e32 v7, 4, v5
	v_cmpx_eq_u32_e64 v0, v4
	s_cbranch_execz .LBB1571_150
; %bb.149:
	ds_store_b64 v7, v[2:3]
	ds_store_b8 v7, v6 offset:8
.LBB1571_150:
	s_or_b32 exec_lo, exec_lo, s8
	s_delay_alu instid0(SALU_CYCLE_1)
	s_mov_b32 s9, exec_lo
	s_wait_loadcnt_dscnt 0x0
	s_barrier_signal -1
	s_barrier_wait -1
	v_cmpx_gt_u32_e32 4, v0
	s_cbranch_execz .LBB1571_156
; %bb.151:
	v_lshlrev_b32_e32 v8, 4, v0
	s_mov_b32 s8, exec_lo
	ds_load_b64 v[4:5], v8
	ds_load_b32 v9, v8 offset:8
	v_and_b32_e32 v10, 3, v44
	s_wait_dscnt 0x1
	v_mov_b32_dpp v14, v4 row_shr:1 row_mask:0xf bank_mask:0xf
	v_mov_b32_dpp v15, v5 row_shr:1 row_mask:0xf bank_mask:0xf
	s_wait_dscnt 0x0
	v_mov_b32_dpp v13, v9 row_shr:1 row_mask:0xf bank_mask:0xf
	v_dual_mov_b32 v12, v9 :: v_dual_mov_b32 v11, v9
	v_cmpx_ne_u32_e32 0, v10
	s_cbranch_execz .LBB1571_153
; %bb.152:
	v_and_b32_e32 v11, 0xff, v9
	v_or_b32_e32 v12, v13, v9
	s_delay_alu instid0(VALU_DEP_2) | instskip(SKIP_1) | instid1(VALU_DEP_2)
	v_cmp_eq_u16_e64 s7, 0, v11
	v_bitop3_b32 v11, v13, 1, v9 bitop3:0xc8
	v_dual_cndmask_b32 v15, 0, v15, s7 :: v_dual_bitop2_b32 v12, 1, v12 bitop3:0x40
	v_cndmask_b32_e64 v14, 0, v14, s7
	s_delay_alu instid0(VALU_DEP_3) | instskip(NEXT) | instid1(VALU_DEP_2)
	v_and_or_b32 v9, 0xffffff00, v9, v11
	v_add_nc_u64_e32 v[4:5], v[14:15], v[4:5]
.LBB1571_153:
	s_or_b32 exec_lo, exec_lo, s8
	s_delay_alu instid0(VALU_DEP_1) | instskip(NEXT) | instid1(VALU_DEP_2)
	v_mov_b32_dpp v13, v4 row_shr:2 row_mask:0xf bank_mask:0xf
	v_mov_b32_dpp v14, v5 row_shr:2 row_mask:0xf bank_mask:0xf
	;; [unrolled: 1-line block ×3, first 2 shown]
	s_mov_b32 s10, exec_lo
	v_cmpx_lt_u32_e32 1, v10
	s_cbranch_execz .LBB1571_155
; %bb.154:
	v_and_b32_e32 v10, 0xff, v11
	v_and_b32_e32 v9, 1, v9
	s_delay_alu instid0(VALU_DEP_2) | instskip(SKIP_1) | instid1(VALU_DEP_3)
	v_cmp_eq_u16_e64 s7, 0, v10
	v_and_b32_e32 v12, 1, v11
	v_cmp_eq_u32_e64 s8, 1, v9
	s_delay_alu instid0(VALU_DEP_3) | instskip(NEXT) | instid1(VALU_DEP_3)
	v_dual_cndmask_b32 v11, 0, v14, s7 :: v_dual_cndmask_b32 v10, 0, v13, s7
	v_cmp_eq_u32_e64 s7, 1, v12
	s_delay_alu instid0(VALU_DEP_2) | instskip(SKIP_1) | instid1(SALU_CYCLE_1)
	v_add_nc_u64_e32 v[4:5], v[10:11], v[4:5]
	s_or_b32 s7, s7, s8
	v_cndmask_b32_e64 v12, 0, 1, s7
.LBB1571_155:
	s_or_b32 exec_lo, exec_lo, s10
	ds_store_b64 v8, v[4:5]
	ds_store_b8 v8, v12 offset:8
.LBB1571_156:
	s_or_b32 exec_lo, exec_lo, s9
	v_mov_b64_e32 v[4:5], v[40:41]
	s_mov_b32 s8, exec_lo
	s_wait_dscnt 0x0
	s_barrier_signal -1
	s_barrier_wait -1
	v_cmpx_lt_u32_e32 31, v0
	s_cbranch_execz .LBB1571_158
; %bb.157:
	v_add_nc_u32_e32 v4, -8, v7
	ds_load_u8 v8, v4
	s_wait_dscnt 0x0
	v_cmp_eq_u16_e64 s7, 0, v8
	s_delay_alu instid0(VALU_DEP_1) | instskip(SKIP_3) | instid1(VALU_DEP_1)
	v_dual_add_nc_u32 v4, -16, v7 :: v_dual_cndmask_b32 v8, 0, v40, s7
	ds_load_b64 v[4:5], v4
	v_cndmask_b32_e64 v9, 0, v41, s7
	s_wait_dscnt 0x0
	v_add_nc_u64_e32 v[4:5], v[8:9], v[4:5]
.LBB1571_158:
	s_or_b32 exec_lo, exec_lo, s8
	v_cmp_eq_u16_e64 s7, 0, v6
	v_sub_co_u32 v8, s8, v44, 1
	v_and_b32_e32 v1, 0xff, v1
	s_delay_alu instid0(VALU_DEP_3) | instskip(NEXT) | instid1(VALU_DEP_3)
	v_dual_cndmask_b32 v7, 0, v5, s7 :: v_dual_cndmask_b32 v6, 0, v4, s7
	v_cmp_gt_i32_e64 s7, 0, v8
	s_delay_alu instid0(VALU_DEP_2) | instskip(NEXT) | instid1(VALU_DEP_2)
	v_add_nc_u64_e32 v[2:3], v[6:7], v[2:3]
	v_cndmask_b32_e64 v8, v8, v44, s7
	v_cmp_eq_u32_e64 s7, 0, v0
	s_delay_alu instid0(VALU_DEP_2) | instskip(SKIP_3) | instid1(VALU_DEP_1)
	v_lshlrev_b32_e32 v6, 2, v8
	ds_bpermute_b32 v3, v6, v3
	s_wait_dscnt 0x0
	v_cndmask_b32_e64 v3, v3, v5, s8
	v_cndmask_b32_e64 v5, v3, v41, s7
	ds_bpermute_b32 v2, v6, v2
	s_wait_dscnt 0x0
	v_cndmask_b32_e64 v2, v2, v4, s8
	v_cmp_eq_u16_e64 s8, 0, v1
	s_delay_alu instid0(VALU_DEP_1) | instskip(NEXT) | instid1(VALU_DEP_1)
	v_dual_cndmask_b32 v5, 0, v5, s8 :: v_dual_cndmask_b32 v4, v2, v40, s7
	v_cndmask_b32_e64 v4, 0, v4, s8
	s_delay_alu instid0(VALU_DEP_1) | instskip(NEXT) | instid1(VALU_DEP_1)
	v_add_nc_u64_e32 v[4:5], v[4:5], v[26:27]
	v_dual_cndmask_b32 v7, 0, v5 :: v_dual_cndmask_b32 v6, 0, v4
	s_delay_alu instid0(VALU_DEP_1) | instskip(NEXT) | instid1(VALU_DEP_1)
	v_add_nc_u64_e32 v[6:7], v[6:7], v[38:39]
	v_dual_cndmask_b32 v9, 0, v7, s0 :: v_dual_cndmask_b32 v8, 0, v6, s0
	s_delay_alu instid0(VALU_DEP_1) | instskip(NEXT) | instid1(VALU_DEP_1)
	v_add_nc_u64_e32 v[8:9], v[8:9], v[36:37]
	v_dual_cndmask_b32 v11, 0, v9, s1 :: v_dual_cndmask_b32 v10, 0, v8, s1
	;; [unrolled: 3-line block ×7, first 2 shown]
	s_and_saveexec_b32 s0, s7
	s_cbranch_execz .LBB1571_160
; %bb.159:
	v_mov_b32_e32 v1, 0
	ds_load_u8 v24, v1 offset:56
	ds_load_b64 v[2:3], v1 offset:48
	v_mov_b32_e32 v25, 2
	s_wait_dscnt 0x1
	v_and_b32_e32 v22, 0xffff, v24
	s_delay_alu instid0(VALU_DEP_1) | instskip(SKIP_2) | instid1(VALU_DEP_1)
	v_cmp_eq_u32_e32 vcc_lo, 0, v22
	v_dual_cndmask_b32 v23, 0, v41 :: v_dual_cndmask_b32 v22, 0, v40
	s_wait_dscnt 0x0
	v_add_nc_u64_e32 v[22:23], v[22:23], v[2:3]
	v_mov_b64_e32 v[2:3], v[40:41]
	s_clause 0x1
	global_store_b64 v1, v[22:23], s[22:23] offset:512
	global_store_b8 v1, v24, s[22:23] offset:520
	global_wb scope:SCOPE_DEV
	s_wait_storecnt 0x0
	global_inv scope:SCOPE_DEV
	s_wait_xcnt 0x0
	global_store_b8 v1, v25, s[24:25] offset:32 scope:SCOPE_DEV
.LBB1571_160:
	s_wait_xcnt 0x0
	s_or_b32 exec_lo, exec_lo, s0
.LBB1571_161:
	s_delay_alu instid0(VALU_DEP_1)
	v_add_nc_u64_e32 v[20:21], v[42:43], v[20:21]
	s_add_nc_u64 s[0:1], s[18:19], s[34:35]
	s_and_b32 vcc_lo, exec_lo, s15
	s_add_nc_u64 s[0:1], s[0:1], s[16:17]
	s_cbranch_vccz .LBB1571_193
; %bb.162:
	v_mul_u32_u24_e32 v1, 10, v0
	s_add_co_i32 s27, s27, s26
	s_mov_b32 s2, exec_lo
	s_delay_alu instid0(VALU_DEP_1)
	v_cmpx_gt_u32_e64 s27, v1
	s_cbranch_execz .LBB1571_174
; %bb.163:
	v_or_b32_e32 v22, 1, v1
	s_mov_b32 s3, exec_lo
	s_delay_alu instid0(VALU_DEP_1)
	v_cmpx_gt_u32_e64 s27, v22
	s_cbranch_execz .LBB1571_173
; %bb.164:
	v_add_nc_u32_e32 v22, 2, v1
	s_mov_b32 s4, exec_lo
	s_delay_alu instid0(VALU_DEP_1)
	v_cmpx_gt_u32_e64 s27, v22
	s_cbranch_execz .LBB1571_172
; %bb.165:
	v_add_nc_u32_e32 v22, 3, v1
	;; [unrolled: 6-line block ×4, first 2 shown]
	s_mov_b32 s7, exec_lo
	s_delay_alu instid0(VALU_DEP_1)
	v_cmpx_gt_u32_e64 s27, v22
; %bb.168:
	v_add_nc_u32_e32 v22, 6, v1
	s_mov_b32 s8, exec_lo
	s_delay_alu instid0(VALU_DEP_1)
	v_cmpx_gt_u32_e64 s27, v22
	s_or_b32 exec_lo, exec_lo, s8
; %bb.169:
	s_delay_alu instid0(SALU_CYCLE_1)
	s_or_b32 exec_lo, exec_lo, s7
.LBB1571_170:
	s_delay_alu instid0(SALU_CYCLE_1)
	s_or_b32 exec_lo, exec_lo, s6
.LBB1571_171:
	s_delay_alu instid0(SALU_CYCLE_1)
	s_or_b32 exec_lo, exec_lo, s5
.LBB1571_172:
	s_delay_alu instid0(SALU_CYCLE_1)
	s_or_b32 exec_lo, exec_lo, s4
.LBB1571_173:
	s_delay_alu instid0(SALU_CYCLE_1)
	s_or_b32 exec_lo, exec_lo, s3
.LBB1571_174:
	s_delay_alu instid0(SALU_CYCLE_1)
	s_or_b32 exec_lo, exec_lo, s2
	v_dual_lshlrev_b32 v1, 3, v1 :: v_dual_mov_b32 v41, 0
	s_wait_loadcnt 0x0
	s_wait_storecnt 0x0
	s_barrier_signal -1
	s_barrier_wait -1
	v_mad_i32_i24 v22, 0xffffffb8, v0, v1
	ds_store_b128 v1, v[2:5]
	ds_store_b128 v1, v[6:9] offset:16
	ds_store_b128 v1, v[10:13] offset:32
	;; [unrolled: 1-line block ×4, first 2 shown]
	s_wait_dscnt 0x0
	s_barrier_signal -1
	s_barrier_wait -1
	ds_load_2addr_stride64_b64 v[36:39], v22 offset0:2 offset1:4
	ds_load_2addr_stride64_b64 v[32:35], v22 offset0:6 offset1:8
	;; [unrolled: 1-line block ×4, first 2 shown]
	ds_load_b64 v[22:23], v22 offset:9216
	v_lshlrev_b32_e32 v40, 3, v0
	s_mov_b32 s2, exec_lo
	s_delay_alu instid0(VALU_DEP_1)
	v_add_nc_u64_e32 v[40:41], s[0:1], v[40:41]
	v_cmpx_gt_u32_e64 s27, v0
	s_cbranch_execz .LBB1571_176
; %bb.175:
	v_mul_i32_i24_e32 v42, 0xffffffb8, v0
	s_delay_alu instid0(VALU_DEP_1)
	v_add_nc_u32_e32 v1, v1, v42
	ds_load_b64 v[42:43], v1
	s_wait_dscnt 0x0
	flat_store_b64 v[40:41], v[42:43]
.LBB1571_176:
	s_wait_xcnt 0x0
	s_or_b32 exec_lo, exec_lo, s2
	v_or_b32_e32 v1, 0x80, v0
	s_mov_b32 s2, exec_lo
	s_delay_alu instid0(VALU_DEP_1)
	v_cmpx_gt_u32_e64 s27, v1
	s_cbranch_execz .LBB1571_178
; %bb.177:
	s_wait_dscnt 0x4
	flat_store_b64 v[40:41], v[36:37] offset:1024
.LBB1571_178:
	s_wait_xcnt 0x0
	s_or_b32 exec_lo, exec_lo, s2
	v_or_b32_e32 v1, 0x100, v0
	s_mov_b32 s2, exec_lo
	s_delay_alu instid0(VALU_DEP_1)
	v_cmpx_gt_u32_e64 s27, v1
	s_cbranch_execz .LBB1571_180
; %bb.179:
	s_wait_dscnt 0x4
	flat_store_b64 v[40:41], v[38:39] offset:2048
.LBB1571_180:
	;; [unrolled: 11-line block ×8, first 2 shown]
	s_wait_xcnt 0x0
	s_or_b32 exec_lo, exec_lo, s2
	v_or_b32_e32 v1, 0x480, v0
	s_delay_alu instid0(VALU_DEP_1)
	v_cmp_gt_u32_e64 s2, s27, v1
	s_branch .LBB1571_195
.LBB1571_193:
	s_mov_b32 s2, 0
                                        ; implicit-def: $vgpr22_vgpr23
	s_cbranch_execz .LBB1571_195
; %bb.194:
	v_mul_u32_u24_e32 v1, 0x50, v0
	s_wait_dscnt 0x0
	v_mul_i32_i24_e32 v22, 0xffffffb8, v0
	s_wait_loadcnt 0x0
	s_wait_storecnt 0x0
	s_barrier_signal -1
	s_barrier_wait -1
	ds_store_b128 v1, v[2:5]
	ds_store_b128 v1, v[6:9] offset:16
	ds_store_b128 v1, v[10:13] offset:32
	;; [unrolled: 1-line block ×4, first 2 shown]
	v_mad_u32_u24 v1, 0x50, v0, v22
	s_wait_dscnt 0x0
	s_barrier_signal -1
	s_barrier_wait -1
	ds_load_2addr_stride64_b64 v[2:5], v1 offset1:2
	ds_load_2addr_stride64_b64 v[6:9], v1 offset0:4 offset1:6
	ds_load_2addr_stride64_b64 v[10:13], v1 offset0:8 offset1:10
	ds_load_2addr_stride64_b64 v[14:17], v1 offset0:12 offset1:14
	ds_load_2addr_stride64_b64 v[20:23], v1 offset0:16 offset1:18
	s_or_b32 s2, s2, exec_lo
	s_wait_dscnt 0x4
	s_clause 0x1
	flat_store_b64 v0, v[2:3], s[0:1] scale_offset
	flat_store_b64 v0, v[4:5], s[0:1] offset:1024 scale_offset
	s_wait_dscnt 0x5
	s_clause 0x1
	flat_store_b64 v0, v[6:7], s[0:1] offset:2048 scale_offset
	flat_store_b64 v0, v[8:9], s[0:1] offset:3072 scale_offset
	s_wait_dscnt 0x6
	s_clause 0x1
	flat_store_b64 v0, v[10:11], s[0:1] offset:4096 scale_offset
	;; [unrolled: 4-line block ×3, first 2 shown]
	flat_store_b64 v0, v[16:17], s[0:1] offset:7168 scale_offset
	s_wait_dscnt 0x8
	flat_store_b64 v0, v[20:21], s[0:1] offset:8192 scale_offset
.LBB1571_195:
	s_wait_xcnt 0x0
	s_delay_alu instid0(VALU_DEP_1)
	s_and_saveexec_b32 s3, s2
	s_cbranch_execz .LBB1571_197
; %bb.196:
	s_wait_dscnt 0x0
	flat_store_b64 v0, v[22:23], s[0:1] offset:9216 scale_offset
	s_sendmsg sendmsg(MSG_DEALLOC_VGPRS)
	s_endpgm
.LBB1571_197:
	s_sendmsg sendmsg(MSG_DEALLOC_VGPRS)
	s_endpgm
	.section	.rodata,"a",@progbits
	.p2align	6, 0x0
	.amdhsa_kernel _ZN7rocprim17ROCPRIM_400000_NS6detail17trampoline_kernelINS0_14default_configENS1_27scan_by_key_config_selectorIixEEZZNS1_16scan_by_key_implILNS1_25lookback_scan_determinismE0ELb1ES3_N6thrust23THRUST_200600_302600_NS6detail15normal_iteratorINS9_10device_ptrIiEEEENSB_INSC_IxEEEESG_xNS9_4plusIvEENS9_8equal_toIvEExEE10hipError_tPvRmT2_T3_T4_T5_mT6_T7_P12ihipStream_tbENKUlT_T0_E_clISt17integral_constantIbLb0EES11_EEDaSW_SX_EUlSW_E_NS1_11comp_targetILNS1_3genE0ELNS1_11target_archE4294967295ELNS1_3gpuE0ELNS1_3repE0EEENS1_30default_config_static_selectorELNS0_4arch9wavefront6targetE0EEEvT1_
		.amdhsa_group_segment_fixed_size 10240
		.amdhsa_private_segment_fixed_size 0
		.amdhsa_kernarg_size 136
		.amdhsa_user_sgpr_count 2
		.amdhsa_user_sgpr_dispatch_ptr 0
		.amdhsa_user_sgpr_queue_ptr 0
		.amdhsa_user_sgpr_kernarg_segment_ptr 1
		.amdhsa_user_sgpr_dispatch_id 0
		.amdhsa_user_sgpr_kernarg_preload_length 0
		.amdhsa_user_sgpr_kernarg_preload_offset 0
		.amdhsa_user_sgpr_private_segment_size 0
		.amdhsa_wavefront_size32 1
		.amdhsa_uses_dynamic_stack 0
		.amdhsa_enable_private_segment 0
		.amdhsa_system_sgpr_workgroup_id_x 1
		.amdhsa_system_sgpr_workgroup_id_y 0
		.amdhsa_system_sgpr_workgroup_id_z 0
		.amdhsa_system_sgpr_workgroup_info 0
		.amdhsa_system_vgpr_workitem_id 0
		.amdhsa_next_free_vgpr 73
		.amdhsa_next_free_sgpr 49
		.amdhsa_named_barrier_count 0
		.amdhsa_reserve_vcc 1
		.amdhsa_float_round_mode_32 0
		.amdhsa_float_round_mode_16_64 0
		.amdhsa_float_denorm_mode_32 3
		.amdhsa_float_denorm_mode_16_64 3
		.amdhsa_fp16_overflow 0
		.amdhsa_memory_ordered 1
		.amdhsa_forward_progress 1
		.amdhsa_inst_pref_size 91
		.amdhsa_round_robin_scheduling 0
		.amdhsa_exception_fp_ieee_invalid_op 0
		.amdhsa_exception_fp_denorm_src 0
		.amdhsa_exception_fp_ieee_div_zero 0
		.amdhsa_exception_fp_ieee_overflow 0
		.amdhsa_exception_fp_ieee_underflow 0
		.amdhsa_exception_fp_ieee_inexact 0
		.amdhsa_exception_int_div_zero 0
	.end_amdhsa_kernel
	.section	.text._ZN7rocprim17ROCPRIM_400000_NS6detail17trampoline_kernelINS0_14default_configENS1_27scan_by_key_config_selectorIixEEZZNS1_16scan_by_key_implILNS1_25lookback_scan_determinismE0ELb1ES3_N6thrust23THRUST_200600_302600_NS6detail15normal_iteratorINS9_10device_ptrIiEEEENSB_INSC_IxEEEESG_xNS9_4plusIvEENS9_8equal_toIvEExEE10hipError_tPvRmT2_T3_T4_T5_mT6_T7_P12ihipStream_tbENKUlT_T0_E_clISt17integral_constantIbLb0EES11_EEDaSW_SX_EUlSW_E_NS1_11comp_targetILNS1_3genE0ELNS1_11target_archE4294967295ELNS1_3gpuE0ELNS1_3repE0EEENS1_30default_config_static_selectorELNS0_4arch9wavefront6targetE0EEEvT1_,"axG",@progbits,_ZN7rocprim17ROCPRIM_400000_NS6detail17trampoline_kernelINS0_14default_configENS1_27scan_by_key_config_selectorIixEEZZNS1_16scan_by_key_implILNS1_25lookback_scan_determinismE0ELb1ES3_N6thrust23THRUST_200600_302600_NS6detail15normal_iteratorINS9_10device_ptrIiEEEENSB_INSC_IxEEEESG_xNS9_4plusIvEENS9_8equal_toIvEExEE10hipError_tPvRmT2_T3_T4_T5_mT6_T7_P12ihipStream_tbENKUlT_T0_E_clISt17integral_constantIbLb0EES11_EEDaSW_SX_EUlSW_E_NS1_11comp_targetILNS1_3genE0ELNS1_11target_archE4294967295ELNS1_3gpuE0ELNS1_3repE0EEENS1_30default_config_static_selectorELNS0_4arch9wavefront6targetE0EEEvT1_,comdat
.Lfunc_end1571:
	.size	_ZN7rocprim17ROCPRIM_400000_NS6detail17trampoline_kernelINS0_14default_configENS1_27scan_by_key_config_selectorIixEEZZNS1_16scan_by_key_implILNS1_25lookback_scan_determinismE0ELb1ES3_N6thrust23THRUST_200600_302600_NS6detail15normal_iteratorINS9_10device_ptrIiEEEENSB_INSC_IxEEEESG_xNS9_4plusIvEENS9_8equal_toIvEExEE10hipError_tPvRmT2_T3_T4_T5_mT6_T7_P12ihipStream_tbENKUlT_T0_E_clISt17integral_constantIbLb0EES11_EEDaSW_SX_EUlSW_E_NS1_11comp_targetILNS1_3genE0ELNS1_11target_archE4294967295ELNS1_3gpuE0ELNS1_3repE0EEENS1_30default_config_static_selectorELNS0_4arch9wavefront6targetE0EEEvT1_, .Lfunc_end1571-_ZN7rocprim17ROCPRIM_400000_NS6detail17trampoline_kernelINS0_14default_configENS1_27scan_by_key_config_selectorIixEEZZNS1_16scan_by_key_implILNS1_25lookback_scan_determinismE0ELb1ES3_N6thrust23THRUST_200600_302600_NS6detail15normal_iteratorINS9_10device_ptrIiEEEENSB_INSC_IxEEEESG_xNS9_4plusIvEENS9_8equal_toIvEExEE10hipError_tPvRmT2_T3_T4_T5_mT6_T7_P12ihipStream_tbENKUlT_T0_E_clISt17integral_constantIbLb0EES11_EEDaSW_SX_EUlSW_E_NS1_11comp_targetILNS1_3genE0ELNS1_11target_archE4294967295ELNS1_3gpuE0ELNS1_3repE0EEENS1_30default_config_static_selectorELNS0_4arch9wavefront6targetE0EEEvT1_
                                        ; -- End function
	.set _ZN7rocprim17ROCPRIM_400000_NS6detail17trampoline_kernelINS0_14default_configENS1_27scan_by_key_config_selectorIixEEZZNS1_16scan_by_key_implILNS1_25lookback_scan_determinismE0ELb1ES3_N6thrust23THRUST_200600_302600_NS6detail15normal_iteratorINS9_10device_ptrIiEEEENSB_INSC_IxEEEESG_xNS9_4plusIvEENS9_8equal_toIvEExEE10hipError_tPvRmT2_T3_T4_T5_mT6_T7_P12ihipStream_tbENKUlT_T0_E_clISt17integral_constantIbLb0EES11_EEDaSW_SX_EUlSW_E_NS1_11comp_targetILNS1_3genE0ELNS1_11target_archE4294967295ELNS1_3gpuE0ELNS1_3repE0EEENS1_30default_config_static_selectorELNS0_4arch9wavefront6targetE0EEEvT1_.num_vgpr, 73
	.set _ZN7rocprim17ROCPRIM_400000_NS6detail17trampoline_kernelINS0_14default_configENS1_27scan_by_key_config_selectorIixEEZZNS1_16scan_by_key_implILNS1_25lookback_scan_determinismE0ELb1ES3_N6thrust23THRUST_200600_302600_NS6detail15normal_iteratorINS9_10device_ptrIiEEEENSB_INSC_IxEEEESG_xNS9_4plusIvEENS9_8equal_toIvEExEE10hipError_tPvRmT2_T3_T4_T5_mT6_T7_P12ihipStream_tbENKUlT_T0_E_clISt17integral_constantIbLb0EES11_EEDaSW_SX_EUlSW_E_NS1_11comp_targetILNS1_3genE0ELNS1_11target_archE4294967295ELNS1_3gpuE0ELNS1_3repE0EEENS1_30default_config_static_selectorELNS0_4arch9wavefront6targetE0EEEvT1_.num_agpr, 0
	.set _ZN7rocprim17ROCPRIM_400000_NS6detail17trampoline_kernelINS0_14default_configENS1_27scan_by_key_config_selectorIixEEZZNS1_16scan_by_key_implILNS1_25lookback_scan_determinismE0ELb1ES3_N6thrust23THRUST_200600_302600_NS6detail15normal_iteratorINS9_10device_ptrIiEEEENSB_INSC_IxEEEESG_xNS9_4plusIvEENS9_8equal_toIvEExEE10hipError_tPvRmT2_T3_T4_T5_mT6_T7_P12ihipStream_tbENKUlT_T0_E_clISt17integral_constantIbLb0EES11_EEDaSW_SX_EUlSW_E_NS1_11comp_targetILNS1_3genE0ELNS1_11target_archE4294967295ELNS1_3gpuE0ELNS1_3repE0EEENS1_30default_config_static_selectorELNS0_4arch9wavefront6targetE0EEEvT1_.numbered_sgpr, 49
	.set _ZN7rocprim17ROCPRIM_400000_NS6detail17trampoline_kernelINS0_14default_configENS1_27scan_by_key_config_selectorIixEEZZNS1_16scan_by_key_implILNS1_25lookback_scan_determinismE0ELb1ES3_N6thrust23THRUST_200600_302600_NS6detail15normal_iteratorINS9_10device_ptrIiEEEENSB_INSC_IxEEEESG_xNS9_4plusIvEENS9_8equal_toIvEExEE10hipError_tPvRmT2_T3_T4_T5_mT6_T7_P12ihipStream_tbENKUlT_T0_E_clISt17integral_constantIbLb0EES11_EEDaSW_SX_EUlSW_E_NS1_11comp_targetILNS1_3genE0ELNS1_11target_archE4294967295ELNS1_3gpuE0ELNS1_3repE0EEENS1_30default_config_static_selectorELNS0_4arch9wavefront6targetE0EEEvT1_.num_named_barrier, 0
	.set _ZN7rocprim17ROCPRIM_400000_NS6detail17trampoline_kernelINS0_14default_configENS1_27scan_by_key_config_selectorIixEEZZNS1_16scan_by_key_implILNS1_25lookback_scan_determinismE0ELb1ES3_N6thrust23THRUST_200600_302600_NS6detail15normal_iteratorINS9_10device_ptrIiEEEENSB_INSC_IxEEEESG_xNS9_4plusIvEENS9_8equal_toIvEExEE10hipError_tPvRmT2_T3_T4_T5_mT6_T7_P12ihipStream_tbENKUlT_T0_E_clISt17integral_constantIbLb0EES11_EEDaSW_SX_EUlSW_E_NS1_11comp_targetILNS1_3genE0ELNS1_11target_archE4294967295ELNS1_3gpuE0ELNS1_3repE0EEENS1_30default_config_static_selectorELNS0_4arch9wavefront6targetE0EEEvT1_.private_seg_size, 0
	.set _ZN7rocprim17ROCPRIM_400000_NS6detail17trampoline_kernelINS0_14default_configENS1_27scan_by_key_config_selectorIixEEZZNS1_16scan_by_key_implILNS1_25lookback_scan_determinismE0ELb1ES3_N6thrust23THRUST_200600_302600_NS6detail15normal_iteratorINS9_10device_ptrIiEEEENSB_INSC_IxEEEESG_xNS9_4plusIvEENS9_8equal_toIvEExEE10hipError_tPvRmT2_T3_T4_T5_mT6_T7_P12ihipStream_tbENKUlT_T0_E_clISt17integral_constantIbLb0EES11_EEDaSW_SX_EUlSW_E_NS1_11comp_targetILNS1_3genE0ELNS1_11target_archE4294967295ELNS1_3gpuE0ELNS1_3repE0EEENS1_30default_config_static_selectorELNS0_4arch9wavefront6targetE0EEEvT1_.uses_vcc, 1
	.set _ZN7rocprim17ROCPRIM_400000_NS6detail17trampoline_kernelINS0_14default_configENS1_27scan_by_key_config_selectorIixEEZZNS1_16scan_by_key_implILNS1_25lookback_scan_determinismE0ELb1ES3_N6thrust23THRUST_200600_302600_NS6detail15normal_iteratorINS9_10device_ptrIiEEEENSB_INSC_IxEEEESG_xNS9_4plusIvEENS9_8equal_toIvEExEE10hipError_tPvRmT2_T3_T4_T5_mT6_T7_P12ihipStream_tbENKUlT_T0_E_clISt17integral_constantIbLb0EES11_EEDaSW_SX_EUlSW_E_NS1_11comp_targetILNS1_3genE0ELNS1_11target_archE4294967295ELNS1_3gpuE0ELNS1_3repE0EEENS1_30default_config_static_selectorELNS0_4arch9wavefront6targetE0EEEvT1_.uses_flat_scratch, 1
	.set _ZN7rocprim17ROCPRIM_400000_NS6detail17trampoline_kernelINS0_14default_configENS1_27scan_by_key_config_selectorIixEEZZNS1_16scan_by_key_implILNS1_25lookback_scan_determinismE0ELb1ES3_N6thrust23THRUST_200600_302600_NS6detail15normal_iteratorINS9_10device_ptrIiEEEENSB_INSC_IxEEEESG_xNS9_4plusIvEENS9_8equal_toIvEExEE10hipError_tPvRmT2_T3_T4_T5_mT6_T7_P12ihipStream_tbENKUlT_T0_E_clISt17integral_constantIbLb0EES11_EEDaSW_SX_EUlSW_E_NS1_11comp_targetILNS1_3genE0ELNS1_11target_archE4294967295ELNS1_3gpuE0ELNS1_3repE0EEENS1_30default_config_static_selectorELNS0_4arch9wavefront6targetE0EEEvT1_.has_dyn_sized_stack, 0
	.set _ZN7rocprim17ROCPRIM_400000_NS6detail17trampoline_kernelINS0_14default_configENS1_27scan_by_key_config_selectorIixEEZZNS1_16scan_by_key_implILNS1_25lookback_scan_determinismE0ELb1ES3_N6thrust23THRUST_200600_302600_NS6detail15normal_iteratorINS9_10device_ptrIiEEEENSB_INSC_IxEEEESG_xNS9_4plusIvEENS9_8equal_toIvEExEE10hipError_tPvRmT2_T3_T4_T5_mT6_T7_P12ihipStream_tbENKUlT_T0_E_clISt17integral_constantIbLb0EES11_EEDaSW_SX_EUlSW_E_NS1_11comp_targetILNS1_3genE0ELNS1_11target_archE4294967295ELNS1_3gpuE0ELNS1_3repE0EEENS1_30default_config_static_selectorELNS0_4arch9wavefront6targetE0EEEvT1_.has_recursion, 0
	.set _ZN7rocprim17ROCPRIM_400000_NS6detail17trampoline_kernelINS0_14default_configENS1_27scan_by_key_config_selectorIixEEZZNS1_16scan_by_key_implILNS1_25lookback_scan_determinismE0ELb1ES3_N6thrust23THRUST_200600_302600_NS6detail15normal_iteratorINS9_10device_ptrIiEEEENSB_INSC_IxEEEESG_xNS9_4plusIvEENS9_8equal_toIvEExEE10hipError_tPvRmT2_T3_T4_T5_mT6_T7_P12ihipStream_tbENKUlT_T0_E_clISt17integral_constantIbLb0EES11_EEDaSW_SX_EUlSW_E_NS1_11comp_targetILNS1_3genE0ELNS1_11target_archE4294967295ELNS1_3gpuE0ELNS1_3repE0EEENS1_30default_config_static_selectorELNS0_4arch9wavefront6targetE0EEEvT1_.has_indirect_call, 0
	.section	.AMDGPU.csdata,"",@progbits
; Kernel info:
; codeLenInByte = 11560
; TotalNumSgprs: 51
; NumVgprs: 73
; ScratchSize: 0
; MemoryBound: 0
; FloatMode: 240
; IeeeMode: 1
; LDSByteSize: 10240 bytes/workgroup (compile time only)
; SGPRBlocks: 0
; VGPRBlocks: 4
; NumSGPRsForWavesPerEU: 51
; NumVGPRsForWavesPerEU: 73
; NamedBarCnt: 0
; Occupancy: 12
; WaveLimiterHint : 1
; COMPUTE_PGM_RSRC2:SCRATCH_EN: 0
; COMPUTE_PGM_RSRC2:USER_SGPR: 2
; COMPUTE_PGM_RSRC2:TRAP_HANDLER: 0
; COMPUTE_PGM_RSRC2:TGID_X_EN: 1
; COMPUTE_PGM_RSRC2:TGID_Y_EN: 0
; COMPUTE_PGM_RSRC2:TGID_Z_EN: 0
; COMPUTE_PGM_RSRC2:TIDIG_COMP_CNT: 0
	.section	.text._ZN7rocprim17ROCPRIM_400000_NS6detail17trampoline_kernelINS0_14default_configENS1_27scan_by_key_config_selectorIixEEZZNS1_16scan_by_key_implILNS1_25lookback_scan_determinismE0ELb1ES3_N6thrust23THRUST_200600_302600_NS6detail15normal_iteratorINS9_10device_ptrIiEEEENSB_INSC_IxEEEESG_xNS9_4plusIvEENS9_8equal_toIvEExEE10hipError_tPvRmT2_T3_T4_T5_mT6_T7_P12ihipStream_tbENKUlT_T0_E_clISt17integral_constantIbLb0EES11_EEDaSW_SX_EUlSW_E_NS1_11comp_targetILNS1_3genE10ELNS1_11target_archE1201ELNS1_3gpuE5ELNS1_3repE0EEENS1_30default_config_static_selectorELNS0_4arch9wavefront6targetE0EEEvT1_,"axG",@progbits,_ZN7rocprim17ROCPRIM_400000_NS6detail17trampoline_kernelINS0_14default_configENS1_27scan_by_key_config_selectorIixEEZZNS1_16scan_by_key_implILNS1_25lookback_scan_determinismE0ELb1ES3_N6thrust23THRUST_200600_302600_NS6detail15normal_iteratorINS9_10device_ptrIiEEEENSB_INSC_IxEEEESG_xNS9_4plusIvEENS9_8equal_toIvEExEE10hipError_tPvRmT2_T3_T4_T5_mT6_T7_P12ihipStream_tbENKUlT_T0_E_clISt17integral_constantIbLb0EES11_EEDaSW_SX_EUlSW_E_NS1_11comp_targetILNS1_3genE10ELNS1_11target_archE1201ELNS1_3gpuE5ELNS1_3repE0EEENS1_30default_config_static_selectorELNS0_4arch9wavefront6targetE0EEEvT1_,comdat
	.protected	_ZN7rocprim17ROCPRIM_400000_NS6detail17trampoline_kernelINS0_14default_configENS1_27scan_by_key_config_selectorIixEEZZNS1_16scan_by_key_implILNS1_25lookback_scan_determinismE0ELb1ES3_N6thrust23THRUST_200600_302600_NS6detail15normal_iteratorINS9_10device_ptrIiEEEENSB_INSC_IxEEEESG_xNS9_4plusIvEENS9_8equal_toIvEExEE10hipError_tPvRmT2_T3_T4_T5_mT6_T7_P12ihipStream_tbENKUlT_T0_E_clISt17integral_constantIbLb0EES11_EEDaSW_SX_EUlSW_E_NS1_11comp_targetILNS1_3genE10ELNS1_11target_archE1201ELNS1_3gpuE5ELNS1_3repE0EEENS1_30default_config_static_selectorELNS0_4arch9wavefront6targetE0EEEvT1_ ; -- Begin function _ZN7rocprim17ROCPRIM_400000_NS6detail17trampoline_kernelINS0_14default_configENS1_27scan_by_key_config_selectorIixEEZZNS1_16scan_by_key_implILNS1_25lookback_scan_determinismE0ELb1ES3_N6thrust23THRUST_200600_302600_NS6detail15normal_iteratorINS9_10device_ptrIiEEEENSB_INSC_IxEEEESG_xNS9_4plusIvEENS9_8equal_toIvEExEE10hipError_tPvRmT2_T3_T4_T5_mT6_T7_P12ihipStream_tbENKUlT_T0_E_clISt17integral_constantIbLb0EES11_EEDaSW_SX_EUlSW_E_NS1_11comp_targetILNS1_3genE10ELNS1_11target_archE1201ELNS1_3gpuE5ELNS1_3repE0EEENS1_30default_config_static_selectorELNS0_4arch9wavefront6targetE0EEEvT1_
	.globl	_ZN7rocprim17ROCPRIM_400000_NS6detail17trampoline_kernelINS0_14default_configENS1_27scan_by_key_config_selectorIixEEZZNS1_16scan_by_key_implILNS1_25lookback_scan_determinismE0ELb1ES3_N6thrust23THRUST_200600_302600_NS6detail15normal_iteratorINS9_10device_ptrIiEEEENSB_INSC_IxEEEESG_xNS9_4plusIvEENS9_8equal_toIvEExEE10hipError_tPvRmT2_T3_T4_T5_mT6_T7_P12ihipStream_tbENKUlT_T0_E_clISt17integral_constantIbLb0EES11_EEDaSW_SX_EUlSW_E_NS1_11comp_targetILNS1_3genE10ELNS1_11target_archE1201ELNS1_3gpuE5ELNS1_3repE0EEENS1_30default_config_static_selectorELNS0_4arch9wavefront6targetE0EEEvT1_
	.p2align	8
	.type	_ZN7rocprim17ROCPRIM_400000_NS6detail17trampoline_kernelINS0_14default_configENS1_27scan_by_key_config_selectorIixEEZZNS1_16scan_by_key_implILNS1_25lookback_scan_determinismE0ELb1ES3_N6thrust23THRUST_200600_302600_NS6detail15normal_iteratorINS9_10device_ptrIiEEEENSB_INSC_IxEEEESG_xNS9_4plusIvEENS9_8equal_toIvEExEE10hipError_tPvRmT2_T3_T4_T5_mT6_T7_P12ihipStream_tbENKUlT_T0_E_clISt17integral_constantIbLb0EES11_EEDaSW_SX_EUlSW_E_NS1_11comp_targetILNS1_3genE10ELNS1_11target_archE1201ELNS1_3gpuE5ELNS1_3repE0EEENS1_30default_config_static_selectorELNS0_4arch9wavefront6targetE0EEEvT1_,@function
_ZN7rocprim17ROCPRIM_400000_NS6detail17trampoline_kernelINS0_14default_configENS1_27scan_by_key_config_selectorIixEEZZNS1_16scan_by_key_implILNS1_25lookback_scan_determinismE0ELb1ES3_N6thrust23THRUST_200600_302600_NS6detail15normal_iteratorINS9_10device_ptrIiEEEENSB_INSC_IxEEEESG_xNS9_4plusIvEENS9_8equal_toIvEExEE10hipError_tPvRmT2_T3_T4_T5_mT6_T7_P12ihipStream_tbENKUlT_T0_E_clISt17integral_constantIbLb0EES11_EEDaSW_SX_EUlSW_E_NS1_11comp_targetILNS1_3genE10ELNS1_11target_archE1201ELNS1_3gpuE5ELNS1_3repE0EEENS1_30default_config_static_selectorELNS0_4arch9wavefront6targetE0EEEvT1_: ; @_ZN7rocprim17ROCPRIM_400000_NS6detail17trampoline_kernelINS0_14default_configENS1_27scan_by_key_config_selectorIixEEZZNS1_16scan_by_key_implILNS1_25lookback_scan_determinismE0ELb1ES3_N6thrust23THRUST_200600_302600_NS6detail15normal_iteratorINS9_10device_ptrIiEEEENSB_INSC_IxEEEESG_xNS9_4plusIvEENS9_8equal_toIvEExEE10hipError_tPvRmT2_T3_T4_T5_mT6_T7_P12ihipStream_tbENKUlT_T0_E_clISt17integral_constantIbLb0EES11_EEDaSW_SX_EUlSW_E_NS1_11comp_targetILNS1_3genE10ELNS1_11target_archE1201ELNS1_3gpuE5ELNS1_3repE0EEENS1_30default_config_static_selectorELNS0_4arch9wavefront6targetE0EEEvT1_
; %bb.0:
	.section	.rodata,"a",@progbits
	.p2align	6, 0x0
	.amdhsa_kernel _ZN7rocprim17ROCPRIM_400000_NS6detail17trampoline_kernelINS0_14default_configENS1_27scan_by_key_config_selectorIixEEZZNS1_16scan_by_key_implILNS1_25lookback_scan_determinismE0ELb1ES3_N6thrust23THRUST_200600_302600_NS6detail15normal_iteratorINS9_10device_ptrIiEEEENSB_INSC_IxEEEESG_xNS9_4plusIvEENS9_8equal_toIvEExEE10hipError_tPvRmT2_T3_T4_T5_mT6_T7_P12ihipStream_tbENKUlT_T0_E_clISt17integral_constantIbLb0EES11_EEDaSW_SX_EUlSW_E_NS1_11comp_targetILNS1_3genE10ELNS1_11target_archE1201ELNS1_3gpuE5ELNS1_3repE0EEENS1_30default_config_static_selectorELNS0_4arch9wavefront6targetE0EEEvT1_
		.amdhsa_group_segment_fixed_size 0
		.amdhsa_private_segment_fixed_size 0
		.amdhsa_kernarg_size 136
		.amdhsa_user_sgpr_count 2
		.amdhsa_user_sgpr_dispatch_ptr 0
		.amdhsa_user_sgpr_queue_ptr 0
		.amdhsa_user_sgpr_kernarg_segment_ptr 1
		.amdhsa_user_sgpr_dispatch_id 0
		.amdhsa_user_sgpr_kernarg_preload_length 0
		.amdhsa_user_sgpr_kernarg_preload_offset 0
		.amdhsa_user_sgpr_private_segment_size 0
		.amdhsa_wavefront_size32 1
		.amdhsa_uses_dynamic_stack 0
		.amdhsa_enable_private_segment 0
		.amdhsa_system_sgpr_workgroup_id_x 1
		.amdhsa_system_sgpr_workgroup_id_y 0
		.amdhsa_system_sgpr_workgroup_id_z 0
		.amdhsa_system_sgpr_workgroup_info 0
		.amdhsa_system_vgpr_workitem_id 0
		.amdhsa_next_free_vgpr 1
		.amdhsa_next_free_sgpr 1
		.amdhsa_named_barrier_count 0
		.amdhsa_reserve_vcc 0
		.amdhsa_float_round_mode_32 0
		.amdhsa_float_round_mode_16_64 0
		.amdhsa_float_denorm_mode_32 3
		.amdhsa_float_denorm_mode_16_64 3
		.amdhsa_fp16_overflow 0
		.amdhsa_memory_ordered 1
		.amdhsa_forward_progress 1
		.amdhsa_inst_pref_size 0
		.amdhsa_round_robin_scheduling 0
		.amdhsa_exception_fp_ieee_invalid_op 0
		.amdhsa_exception_fp_denorm_src 0
		.amdhsa_exception_fp_ieee_div_zero 0
		.amdhsa_exception_fp_ieee_overflow 0
		.amdhsa_exception_fp_ieee_underflow 0
		.amdhsa_exception_fp_ieee_inexact 0
		.amdhsa_exception_int_div_zero 0
	.end_amdhsa_kernel
	.section	.text._ZN7rocprim17ROCPRIM_400000_NS6detail17trampoline_kernelINS0_14default_configENS1_27scan_by_key_config_selectorIixEEZZNS1_16scan_by_key_implILNS1_25lookback_scan_determinismE0ELb1ES3_N6thrust23THRUST_200600_302600_NS6detail15normal_iteratorINS9_10device_ptrIiEEEENSB_INSC_IxEEEESG_xNS9_4plusIvEENS9_8equal_toIvEExEE10hipError_tPvRmT2_T3_T4_T5_mT6_T7_P12ihipStream_tbENKUlT_T0_E_clISt17integral_constantIbLb0EES11_EEDaSW_SX_EUlSW_E_NS1_11comp_targetILNS1_3genE10ELNS1_11target_archE1201ELNS1_3gpuE5ELNS1_3repE0EEENS1_30default_config_static_selectorELNS0_4arch9wavefront6targetE0EEEvT1_,"axG",@progbits,_ZN7rocprim17ROCPRIM_400000_NS6detail17trampoline_kernelINS0_14default_configENS1_27scan_by_key_config_selectorIixEEZZNS1_16scan_by_key_implILNS1_25lookback_scan_determinismE0ELb1ES3_N6thrust23THRUST_200600_302600_NS6detail15normal_iteratorINS9_10device_ptrIiEEEENSB_INSC_IxEEEESG_xNS9_4plusIvEENS9_8equal_toIvEExEE10hipError_tPvRmT2_T3_T4_T5_mT6_T7_P12ihipStream_tbENKUlT_T0_E_clISt17integral_constantIbLb0EES11_EEDaSW_SX_EUlSW_E_NS1_11comp_targetILNS1_3genE10ELNS1_11target_archE1201ELNS1_3gpuE5ELNS1_3repE0EEENS1_30default_config_static_selectorELNS0_4arch9wavefront6targetE0EEEvT1_,comdat
.Lfunc_end1572:
	.size	_ZN7rocprim17ROCPRIM_400000_NS6detail17trampoline_kernelINS0_14default_configENS1_27scan_by_key_config_selectorIixEEZZNS1_16scan_by_key_implILNS1_25lookback_scan_determinismE0ELb1ES3_N6thrust23THRUST_200600_302600_NS6detail15normal_iteratorINS9_10device_ptrIiEEEENSB_INSC_IxEEEESG_xNS9_4plusIvEENS9_8equal_toIvEExEE10hipError_tPvRmT2_T3_T4_T5_mT6_T7_P12ihipStream_tbENKUlT_T0_E_clISt17integral_constantIbLb0EES11_EEDaSW_SX_EUlSW_E_NS1_11comp_targetILNS1_3genE10ELNS1_11target_archE1201ELNS1_3gpuE5ELNS1_3repE0EEENS1_30default_config_static_selectorELNS0_4arch9wavefront6targetE0EEEvT1_, .Lfunc_end1572-_ZN7rocprim17ROCPRIM_400000_NS6detail17trampoline_kernelINS0_14default_configENS1_27scan_by_key_config_selectorIixEEZZNS1_16scan_by_key_implILNS1_25lookback_scan_determinismE0ELb1ES3_N6thrust23THRUST_200600_302600_NS6detail15normal_iteratorINS9_10device_ptrIiEEEENSB_INSC_IxEEEESG_xNS9_4plusIvEENS9_8equal_toIvEExEE10hipError_tPvRmT2_T3_T4_T5_mT6_T7_P12ihipStream_tbENKUlT_T0_E_clISt17integral_constantIbLb0EES11_EEDaSW_SX_EUlSW_E_NS1_11comp_targetILNS1_3genE10ELNS1_11target_archE1201ELNS1_3gpuE5ELNS1_3repE0EEENS1_30default_config_static_selectorELNS0_4arch9wavefront6targetE0EEEvT1_
                                        ; -- End function
	.set _ZN7rocprim17ROCPRIM_400000_NS6detail17trampoline_kernelINS0_14default_configENS1_27scan_by_key_config_selectorIixEEZZNS1_16scan_by_key_implILNS1_25lookback_scan_determinismE0ELb1ES3_N6thrust23THRUST_200600_302600_NS6detail15normal_iteratorINS9_10device_ptrIiEEEENSB_INSC_IxEEEESG_xNS9_4plusIvEENS9_8equal_toIvEExEE10hipError_tPvRmT2_T3_T4_T5_mT6_T7_P12ihipStream_tbENKUlT_T0_E_clISt17integral_constantIbLb0EES11_EEDaSW_SX_EUlSW_E_NS1_11comp_targetILNS1_3genE10ELNS1_11target_archE1201ELNS1_3gpuE5ELNS1_3repE0EEENS1_30default_config_static_selectorELNS0_4arch9wavefront6targetE0EEEvT1_.num_vgpr, 0
	.set _ZN7rocprim17ROCPRIM_400000_NS6detail17trampoline_kernelINS0_14default_configENS1_27scan_by_key_config_selectorIixEEZZNS1_16scan_by_key_implILNS1_25lookback_scan_determinismE0ELb1ES3_N6thrust23THRUST_200600_302600_NS6detail15normal_iteratorINS9_10device_ptrIiEEEENSB_INSC_IxEEEESG_xNS9_4plusIvEENS9_8equal_toIvEExEE10hipError_tPvRmT2_T3_T4_T5_mT6_T7_P12ihipStream_tbENKUlT_T0_E_clISt17integral_constantIbLb0EES11_EEDaSW_SX_EUlSW_E_NS1_11comp_targetILNS1_3genE10ELNS1_11target_archE1201ELNS1_3gpuE5ELNS1_3repE0EEENS1_30default_config_static_selectorELNS0_4arch9wavefront6targetE0EEEvT1_.num_agpr, 0
	.set _ZN7rocprim17ROCPRIM_400000_NS6detail17trampoline_kernelINS0_14default_configENS1_27scan_by_key_config_selectorIixEEZZNS1_16scan_by_key_implILNS1_25lookback_scan_determinismE0ELb1ES3_N6thrust23THRUST_200600_302600_NS6detail15normal_iteratorINS9_10device_ptrIiEEEENSB_INSC_IxEEEESG_xNS9_4plusIvEENS9_8equal_toIvEExEE10hipError_tPvRmT2_T3_T4_T5_mT6_T7_P12ihipStream_tbENKUlT_T0_E_clISt17integral_constantIbLb0EES11_EEDaSW_SX_EUlSW_E_NS1_11comp_targetILNS1_3genE10ELNS1_11target_archE1201ELNS1_3gpuE5ELNS1_3repE0EEENS1_30default_config_static_selectorELNS0_4arch9wavefront6targetE0EEEvT1_.numbered_sgpr, 0
	.set _ZN7rocprim17ROCPRIM_400000_NS6detail17trampoline_kernelINS0_14default_configENS1_27scan_by_key_config_selectorIixEEZZNS1_16scan_by_key_implILNS1_25lookback_scan_determinismE0ELb1ES3_N6thrust23THRUST_200600_302600_NS6detail15normal_iteratorINS9_10device_ptrIiEEEENSB_INSC_IxEEEESG_xNS9_4plusIvEENS9_8equal_toIvEExEE10hipError_tPvRmT2_T3_T4_T5_mT6_T7_P12ihipStream_tbENKUlT_T0_E_clISt17integral_constantIbLb0EES11_EEDaSW_SX_EUlSW_E_NS1_11comp_targetILNS1_3genE10ELNS1_11target_archE1201ELNS1_3gpuE5ELNS1_3repE0EEENS1_30default_config_static_selectorELNS0_4arch9wavefront6targetE0EEEvT1_.num_named_barrier, 0
	.set _ZN7rocprim17ROCPRIM_400000_NS6detail17trampoline_kernelINS0_14default_configENS1_27scan_by_key_config_selectorIixEEZZNS1_16scan_by_key_implILNS1_25lookback_scan_determinismE0ELb1ES3_N6thrust23THRUST_200600_302600_NS6detail15normal_iteratorINS9_10device_ptrIiEEEENSB_INSC_IxEEEESG_xNS9_4plusIvEENS9_8equal_toIvEExEE10hipError_tPvRmT2_T3_T4_T5_mT6_T7_P12ihipStream_tbENKUlT_T0_E_clISt17integral_constantIbLb0EES11_EEDaSW_SX_EUlSW_E_NS1_11comp_targetILNS1_3genE10ELNS1_11target_archE1201ELNS1_3gpuE5ELNS1_3repE0EEENS1_30default_config_static_selectorELNS0_4arch9wavefront6targetE0EEEvT1_.private_seg_size, 0
	.set _ZN7rocprim17ROCPRIM_400000_NS6detail17trampoline_kernelINS0_14default_configENS1_27scan_by_key_config_selectorIixEEZZNS1_16scan_by_key_implILNS1_25lookback_scan_determinismE0ELb1ES3_N6thrust23THRUST_200600_302600_NS6detail15normal_iteratorINS9_10device_ptrIiEEEENSB_INSC_IxEEEESG_xNS9_4plusIvEENS9_8equal_toIvEExEE10hipError_tPvRmT2_T3_T4_T5_mT6_T7_P12ihipStream_tbENKUlT_T0_E_clISt17integral_constantIbLb0EES11_EEDaSW_SX_EUlSW_E_NS1_11comp_targetILNS1_3genE10ELNS1_11target_archE1201ELNS1_3gpuE5ELNS1_3repE0EEENS1_30default_config_static_selectorELNS0_4arch9wavefront6targetE0EEEvT1_.uses_vcc, 0
	.set _ZN7rocprim17ROCPRIM_400000_NS6detail17trampoline_kernelINS0_14default_configENS1_27scan_by_key_config_selectorIixEEZZNS1_16scan_by_key_implILNS1_25lookback_scan_determinismE0ELb1ES3_N6thrust23THRUST_200600_302600_NS6detail15normal_iteratorINS9_10device_ptrIiEEEENSB_INSC_IxEEEESG_xNS9_4plusIvEENS9_8equal_toIvEExEE10hipError_tPvRmT2_T3_T4_T5_mT6_T7_P12ihipStream_tbENKUlT_T0_E_clISt17integral_constantIbLb0EES11_EEDaSW_SX_EUlSW_E_NS1_11comp_targetILNS1_3genE10ELNS1_11target_archE1201ELNS1_3gpuE5ELNS1_3repE0EEENS1_30default_config_static_selectorELNS0_4arch9wavefront6targetE0EEEvT1_.uses_flat_scratch, 0
	.set _ZN7rocprim17ROCPRIM_400000_NS6detail17trampoline_kernelINS0_14default_configENS1_27scan_by_key_config_selectorIixEEZZNS1_16scan_by_key_implILNS1_25lookback_scan_determinismE0ELb1ES3_N6thrust23THRUST_200600_302600_NS6detail15normal_iteratorINS9_10device_ptrIiEEEENSB_INSC_IxEEEESG_xNS9_4plusIvEENS9_8equal_toIvEExEE10hipError_tPvRmT2_T3_T4_T5_mT6_T7_P12ihipStream_tbENKUlT_T0_E_clISt17integral_constantIbLb0EES11_EEDaSW_SX_EUlSW_E_NS1_11comp_targetILNS1_3genE10ELNS1_11target_archE1201ELNS1_3gpuE5ELNS1_3repE0EEENS1_30default_config_static_selectorELNS0_4arch9wavefront6targetE0EEEvT1_.has_dyn_sized_stack, 0
	.set _ZN7rocprim17ROCPRIM_400000_NS6detail17trampoline_kernelINS0_14default_configENS1_27scan_by_key_config_selectorIixEEZZNS1_16scan_by_key_implILNS1_25lookback_scan_determinismE0ELb1ES3_N6thrust23THRUST_200600_302600_NS6detail15normal_iteratorINS9_10device_ptrIiEEEENSB_INSC_IxEEEESG_xNS9_4plusIvEENS9_8equal_toIvEExEE10hipError_tPvRmT2_T3_T4_T5_mT6_T7_P12ihipStream_tbENKUlT_T0_E_clISt17integral_constantIbLb0EES11_EEDaSW_SX_EUlSW_E_NS1_11comp_targetILNS1_3genE10ELNS1_11target_archE1201ELNS1_3gpuE5ELNS1_3repE0EEENS1_30default_config_static_selectorELNS0_4arch9wavefront6targetE0EEEvT1_.has_recursion, 0
	.set _ZN7rocprim17ROCPRIM_400000_NS6detail17trampoline_kernelINS0_14default_configENS1_27scan_by_key_config_selectorIixEEZZNS1_16scan_by_key_implILNS1_25lookback_scan_determinismE0ELb1ES3_N6thrust23THRUST_200600_302600_NS6detail15normal_iteratorINS9_10device_ptrIiEEEENSB_INSC_IxEEEESG_xNS9_4plusIvEENS9_8equal_toIvEExEE10hipError_tPvRmT2_T3_T4_T5_mT6_T7_P12ihipStream_tbENKUlT_T0_E_clISt17integral_constantIbLb0EES11_EEDaSW_SX_EUlSW_E_NS1_11comp_targetILNS1_3genE10ELNS1_11target_archE1201ELNS1_3gpuE5ELNS1_3repE0EEENS1_30default_config_static_selectorELNS0_4arch9wavefront6targetE0EEEvT1_.has_indirect_call, 0
	.section	.AMDGPU.csdata,"",@progbits
; Kernel info:
; codeLenInByte = 0
; TotalNumSgprs: 0
; NumVgprs: 0
; ScratchSize: 0
; MemoryBound: 0
; FloatMode: 240
; IeeeMode: 1
; LDSByteSize: 0 bytes/workgroup (compile time only)
; SGPRBlocks: 0
; VGPRBlocks: 0
; NumSGPRsForWavesPerEU: 1
; NumVGPRsForWavesPerEU: 1
; NamedBarCnt: 0
; Occupancy: 16
; WaveLimiterHint : 0
; COMPUTE_PGM_RSRC2:SCRATCH_EN: 0
; COMPUTE_PGM_RSRC2:USER_SGPR: 2
; COMPUTE_PGM_RSRC2:TRAP_HANDLER: 0
; COMPUTE_PGM_RSRC2:TGID_X_EN: 1
; COMPUTE_PGM_RSRC2:TGID_Y_EN: 0
; COMPUTE_PGM_RSRC2:TGID_Z_EN: 0
; COMPUTE_PGM_RSRC2:TIDIG_COMP_CNT: 0
	.section	.text._ZN7rocprim17ROCPRIM_400000_NS6detail17trampoline_kernelINS0_14default_configENS1_27scan_by_key_config_selectorIixEEZZNS1_16scan_by_key_implILNS1_25lookback_scan_determinismE0ELb1ES3_N6thrust23THRUST_200600_302600_NS6detail15normal_iteratorINS9_10device_ptrIiEEEENSB_INSC_IxEEEESG_xNS9_4plusIvEENS9_8equal_toIvEExEE10hipError_tPvRmT2_T3_T4_T5_mT6_T7_P12ihipStream_tbENKUlT_T0_E_clISt17integral_constantIbLb0EES11_EEDaSW_SX_EUlSW_E_NS1_11comp_targetILNS1_3genE5ELNS1_11target_archE942ELNS1_3gpuE9ELNS1_3repE0EEENS1_30default_config_static_selectorELNS0_4arch9wavefront6targetE0EEEvT1_,"axG",@progbits,_ZN7rocprim17ROCPRIM_400000_NS6detail17trampoline_kernelINS0_14default_configENS1_27scan_by_key_config_selectorIixEEZZNS1_16scan_by_key_implILNS1_25lookback_scan_determinismE0ELb1ES3_N6thrust23THRUST_200600_302600_NS6detail15normal_iteratorINS9_10device_ptrIiEEEENSB_INSC_IxEEEESG_xNS9_4plusIvEENS9_8equal_toIvEExEE10hipError_tPvRmT2_T3_T4_T5_mT6_T7_P12ihipStream_tbENKUlT_T0_E_clISt17integral_constantIbLb0EES11_EEDaSW_SX_EUlSW_E_NS1_11comp_targetILNS1_3genE5ELNS1_11target_archE942ELNS1_3gpuE9ELNS1_3repE0EEENS1_30default_config_static_selectorELNS0_4arch9wavefront6targetE0EEEvT1_,comdat
	.protected	_ZN7rocprim17ROCPRIM_400000_NS6detail17trampoline_kernelINS0_14default_configENS1_27scan_by_key_config_selectorIixEEZZNS1_16scan_by_key_implILNS1_25lookback_scan_determinismE0ELb1ES3_N6thrust23THRUST_200600_302600_NS6detail15normal_iteratorINS9_10device_ptrIiEEEENSB_INSC_IxEEEESG_xNS9_4plusIvEENS9_8equal_toIvEExEE10hipError_tPvRmT2_T3_T4_T5_mT6_T7_P12ihipStream_tbENKUlT_T0_E_clISt17integral_constantIbLb0EES11_EEDaSW_SX_EUlSW_E_NS1_11comp_targetILNS1_3genE5ELNS1_11target_archE942ELNS1_3gpuE9ELNS1_3repE0EEENS1_30default_config_static_selectorELNS0_4arch9wavefront6targetE0EEEvT1_ ; -- Begin function _ZN7rocprim17ROCPRIM_400000_NS6detail17trampoline_kernelINS0_14default_configENS1_27scan_by_key_config_selectorIixEEZZNS1_16scan_by_key_implILNS1_25lookback_scan_determinismE0ELb1ES3_N6thrust23THRUST_200600_302600_NS6detail15normal_iteratorINS9_10device_ptrIiEEEENSB_INSC_IxEEEESG_xNS9_4plusIvEENS9_8equal_toIvEExEE10hipError_tPvRmT2_T3_T4_T5_mT6_T7_P12ihipStream_tbENKUlT_T0_E_clISt17integral_constantIbLb0EES11_EEDaSW_SX_EUlSW_E_NS1_11comp_targetILNS1_3genE5ELNS1_11target_archE942ELNS1_3gpuE9ELNS1_3repE0EEENS1_30default_config_static_selectorELNS0_4arch9wavefront6targetE0EEEvT1_
	.globl	_ZN7rocprim17ROCPRIM_400000_NS6detail17trampoline_kernelINS0_14default_configENS1_27scan_by_key_config_selectorIixEEZZNS1_16scan_by_key_implILNS1_25lookback_scan_determinismE0ELb1ES3_N6thrust23THRUST_200600_302600_NS6detail15normal_iteratorINS9_10device_ptrIiEEEENSB_INSC_IxEEEESG_xNS9_4plusIvEENS9_8equal_toIvEExEE10hipError_tPvRmT2_T3_T4_T5_mT6_T7_P12ihipStream_tbENKUlT_T0_E_clISt17integral_constantIbLb0EES11_EEDaSW_SX_EUlSW_E_NS1_11comp_targetILNS1_3genE5ELNS1_11target_archE942ELNS1_3gpuE9ELNS1_3repE0EEENS1_30default_config_static_selectorELNS0_4arch9wavefront6targetE0EEEvT1_
	.p2align	8
	.type	_ZN7rocprim17ROCPRIM_400000_NS6detail17trampoline_kernelINS0_14default_configENS1_27scan_by_key_config_selectorIixEEZZNS1_16scan_by_key_implILNS1_25lookback_scan_determinismE0ELb1ES3_N6thrust23THRUST_200600_302600_NS6detail15normal_iteratorINS9_10device_ptrIiEEEENSB_INSC_IxEEEESG_xNS9_4plusIvEENS9_8equal_toIvEExEE10hipError_tPvRmT2_T3_T4_T5_mT6_T7_P12ihipStream_tbENKUlT_T0_E_clISt17integral_constantIbLb0EES11_EEDaSW_SX_EUlSW_E_NS1_11comp_targetILNS1_3genE5ELNS1_11target_archE942ELNS1_3gpuE9ELNS1_3repE0EEENS1_30default_config_static_selectorELNS0_4arch9wavefront6targetE0EEEvT1_,@function
_ZN7rocprim17ROCPRIM_400000_NS6detail17trampoline_kernelINS0_14default_configENS1_27scan_by_key_config_selectorIixEEZZNS1_16scan_by_key_implILNS1_25lookback_scan_determinismE0ELb1ES3_N6thrust23THRUST_200600_302600_NS6detail15normal_iteratorINS9_10device_ptrIiEEEENSB_INSC_IxEEEESG_xNS9_4plusIvEENS9_8equal_toIvEExEE10hipError_tPvRmT2_T3_T4_T5_mT6_T7_P12ihipStream_tbENKUlT_T0_E_clISt17integral_constantIbLb0EES11_EEDaSW_SX_EUlSW_E_NS1_11comp_targetILNS1_3genE5ELNS1_11target_archE942ELNS1_3gpuE9ELNS1_3repE0EEENS1_30default_config_static_selectorELNS0_4arch9wavefront6targetE0EEEvT1_: ; @_ZN7rocprim17ROCPRIM_400000_NS6detail17trampoline_kernelINS0_14default_configENS1_27scan_by_key_config_selectorIixEEZZNS1_16scan_by_key_implILNS1_25lookback_scan_determinismE0ELb1ES3_N6thrust23THRUST_200600_302600_NS6detail15normal_iteratorINS9_10device_ptrIiEEEENSB_INSC_IxEEEESG_xNS9_4plusIvEENS9_8equal_toIvEExEE10hipError_tPvRmT2_T3_T4_T5_mT6_T7_P12ihipStream_tbENKUlT_T0_E_clISt17integral_constantIbLb0EES11_EEDaSW_SX_EUlSW_E_NS1_11comp_targetILNS1_3genE5ELNS1_11target_archE942ELNS1_3gpuE9ELNS1_3repE0EEENS1_30default_config_static_selectorELNS0_4arch9wavefront6targetE0EEEvT1_
; %bb.0:
	.section	.rodata,"a",@progbits
	.p2align	6, 0x0
	.amdhsa_kernel _ZN7rocprim17ROCPRIM_400000_NS6detail17trampoline_kernelINS0_14default_configENS1_27scan_by_key_config_selectorIixEEZZNS1_16scan_by_key_implILNS1_25lookback_scan_determinismE0ELb1ES3_N6thrust23THRUST_200600_302600_NS6detail15normal_iteratorINS9_10device_ptrIiEEEENSB_INSC_IxEEEESG_xNS9_4plusIvEENS9_8equal_toIvEExEE10hipError_tPvRmT2_T3_T4_T5_mT6_T7_P12ihipStream_tbENKUlT_T0_E_clISt17integral_constantIbLb0EES11_EEDaSW_SX_EUlSW_E_NS1_11comp_targetILNS1_3genE5ELNS1_11target_archE942ELNS1_3gpuE9ELNS1_3repE0EEENS1_30default_config_static_selectorELNS0_4arch9wavefront6targetE0EEEvT1_
		.amdhsa_group_segment_fixed_size 0
		.amdhsa_private_segment_fixed_size 0
		.amdhsa_kernarg_size 136
		.amdhsa_user_sgpr_count 2
		.amdhsa_user_sgpr_dispatch_ptr 0
		.amdhsa_user_sgpr_queue_ptr 0
		.amdhsa_user_sgpr_kernarg_segment_ptr 1
		.amdhsa_user_sgpr_dispatch_id 0
		.amdhsa_user_sgpr_kernarg_preload_length 0
		.amdhsa_user_sgpr_kernarg_preload_offset 0
		.amdhsa_user_sgpr_private_segment_size 0
		.amdhsa_wavefront_size32 1
		.amdhsa_uses_dynamic_stack 0
		.amdhsa_enable_private_segment 0
		.amdhsa_system_sgpr_workgroup_id_x 1
		.amdhsa_system_sgpr_workgroup_id_y 0
		.amdhsa_system_sgpr_workgroup_id_z 0
		.amdhsa_system_sgpr_workgroup_info 0
		.amdhsa_system_vgpr_workitem_id 0
		.amdhsa_next_free_vgpr 1
		.amdhsa_next_free_sgpr 1
		.amdhsa_named_barrier_count 0
		.amdhsa_reserve_vcc 0
		.amdhsa_float_round_mode_32 0
		.amdhsa_float_round_mode_16_64 0
		.amdhsa_float_denorm_mode_32 3
		.amdhsa_float_denorm_mode_16_64 3
		.amdhsa_fp16_overflow 0
		.amdhsa_memory_ordered 1
		.amdhsa_forward_progress 1
		.amdhsa_inst_pref_size 0
		.amdhsa_round_robin_scheduling 0
		.amdhsa_exception_fp_ieee_invalid_op 0
		.amdhsa_exception_fp_denorm_src 0
		.amdhsa_exception_fp_ieee_div_zero 0
		.amdhsa_exception_fp_ieee_overflow 0
		.amdhsa_exception_fp_ieee_underflow 0
		.amdhsa_exception_fp_ieee_inexact 0
		.amdhsa_exception_int_div_zero 0
	.end_amdhsa_kernel
	.section	.text._ZN7rocprim17ROCPRIM_400000_NS6detail17trampoline_kernelINS0_14default_configENS1_27scan_by_key_config_selectorIixEEZZNS1_16scan_by_key_implILNS1_25lookback_scan_determinismE0ELb1ES3_N6thrust23THRUST_200600_302600_NS6detail15normal_iteratorINS9_10device_ptrIiEEEENSB_INSC_IxEEEESG_xNS9_4plusIvEENS9_8equal_toIvEExEE10hipError_tPvRmT2_T3_T4_T5_mT6_T7_P12ihipStream_tbENKUlT_T0_E_clISt17integral_constantIbLb0EES11_EEDaSW_SX_EUlSW_E_NS1_11comp_targetILNS1_3genE5ELNS1_11target_archE942ELNS1_3gpuE9ELNS1_3repE0EEENS1_30default_config_static_selectorELNS0_4arch9wavefront6targetE0EEEvT1_,"axG",@progbits,_ZN7rocprim17ROCPRIM_400000_NS6detail17trampoline_kernelINS0_14default_configENS1_27scan_by_key_config_selectorIixEEZZNS1_16scan_by_key_implILNS1_25lookback_scan_determinismE0ELb1ES3_N6thrust23THRUST_200600_302600_NS6detail15normal_iteratorINS9_10device_ptrIiEEEENSB_INSC_IxEEEESG_xNS9_4plusIvEENS9_8equal_toIvEExEE10hipError_tPvRmT2_T3_T4_T5_mT6_T7_P12ihipStream_tbENKUlT_T0_E_clISt17integral_constantIbLb0EES11_EEDaSW_SX_EUlSW_E_NS1_11comp_targetILNS1_3genE5ELNS1_11target_archE942ELNS1_3gpuE9ELNS1_3repE0EEENS1_30default_config_static_selectorELNS0_4arch9wavefront6targetE0EEEvT1_,comdat
.Lfunc_end1573:
	.size	_ZN7rocprim17ROCPRIM_400000_NS6detail17trampoline_kernelINS0_14default_configENS1_27scan_by_key_config_selectorIixEEZZNS1_16scan_by_key_implILNS1_25lookback_scan_determinismE0ELb1ES3_N6thrust23THRUST_200600_302600_NS6detail15normal_iteratorINS9_10device_ptrIiEEEENSB_INSC_IxEEEESG_xNS9_4plusIvEENS9_8equal_toIvEExEE10hipError_tPvRmT2_T3_T4_T5_mT6_T7_P12ihipStream_tbENKUlT_T0_E_clISt17integral_constantIbLb0EES11_EEDaSW_SX_EUlSW_E_NS1_11comp_targetILNS1_3genE5ELNS1_11target_archE942ELNS1_3gpuE9ELNS1_3repE0EEENS1_30default_config_static_selectorELNS0_4arch9wavefront6targetE0EEEvT1_, .Lfunc_end1573-_ZN7rocprim17ROCPRIM_400000_NS6detail17trampoline_kernelINS0_14default_configENS1_27scan_by_key_config_selectorIixEEZZNS1_16scan_by_key_implILNS1_25lookback_scan_determinismE0ELb1ES3_N6thrust23THRUST_200600_302600_NS6detail15normal_iteratorINS9_10device_ptrIiEEEENSB_INSC_IxEEEESG_xNS9_4plusIvEENS9_8equal_toIvEExEE10hipError_tPvRmT2_T3_T4_T5_mT6_T7_P12ihipStream_tbENKUlT_T0_E_clISt17integral_constantIbLb0EES11_EEDaSW_SX_EUlSW_E_NS1_11comp_targetILNS1_3genE5ELNS1_11target_archE942ELNS1_3gpuE9ELNS1_3repE0EEENS1_30default_config_static_selectorELNS0_4arch9wavefront6targetE0EEEvT1_
                                        ; -- End function
	.set _ZN7rocprim17ROCPRIM_400000_NS6detail17trampoline_kernelINS0_14default_configENS1_27scan_by_key_config_selectorIixEEZZNS1_16scan_by_key_implILNS1_25lookback_scan_determinismE0ELb1ES3_N6thrust23THRUST_200600_302600_NS6detail15normal_iteratorINS9_10device_ptrIiEEEENSB_INSC_IxEEEESG_xNS9_4plusIvEENS9_8equal_toIvEExEE10hipError_tPvRmT2_T3_T4_T5_mT6_T7_P12ihipStream_tbENKUlT_T0_E_clISt17integral_constantIbLb0EES11_EEDaSW_SX_EUlSW_E_NS1_11comp_targetILNS1_3genE5ELNS1_11target_archE942ELNS1_3gpuE9ELNS1_3repE0EEENS1_30default_config_static_selectorELNS0_4arch9wavefront6targetE0EEEvT1_.num_vgpr, 0
	.set _ZN7rocprim17ROCPRIM_400000_NS6detail17trampoline_kernelINS0_14default_configENS1_27scan_by_key_config_selectorIixEEZZNS1_16scan_by_key_implILNS1_25lookback_scan_determinismE0ELb1ES3_N6thrust23THRUST_200600_302600_NS6detail15normal_iteratorINS9_10device_ptrIiEEEENSB_INSC_IxEEEESG_xNS9_4plusIvEENS9_8equal_toIvEExEE10hipError_tPvRmT2_T3_T4_T5_mT6_T7_P12ihipStream_tbENKUlT_T0_E_clISt17integral_constantIbLb0EES11_EEDaSW_SX_EUlSW_E_NS1_11comp_targetILNS1_3genE5ELNS1_11target_archE942ELNS1_3gpuE9ELNS1_3repE0EEENS1_30default_config_static_selectorELNS0_4arch9wavefront6targetE0EEEvT1_.num_agpr, 0
	.set _ZN7rocprim17ROCPRIM_400000_NS6detail17trampoline_kernelINS0_14default_configENS1_27scan_by_key_config_selectorIixEEZZNS1_16scan_by_key_implILNS1_25lookback_scan_determinismE0ELb1ES3_N6thrust23THRUST_200600_302600_NS6detail15normal_iteratorINS9_10device_ptrIiEEEENSB_INSC_IxEEEESG_xNS9_4plusIvEENS9_8equal_toIvEExEE10hipError_tPvRmT2_T3_T4_T5_mT6_T7_P12ihipStream_tbENKUlT_T0_E_clISt17integral_constantIbLb0EES11_EEDaSW_SX_EUlSW_E_NS1_11comp_targetILNS1_3genE5ELNS1_11target_archE942ELNS1_3gpuE9ELNS1_3repE0EEENS1_30default_config_static_selectorELNS0_4arch9wavefront6targetE0EEEvT1_.numbered_sgpr, 0
	.set _ZN7rocprim17ROCPRIM_400000_NS6detail17trampoline_kernelINS0_14default_configENS1_27scan_by_key_config_selectorIixEEZZNS1_16scan_by_key_implILNS1_25lookback_scan_determinismE0ELb1ES3_N6thrust23THRUST_200600_302600_NS6detail15normal_iteratorINS9_10device_ptrIiEEEENSB_INSC_IxEEEESG_xNS9_4plusIvEENS9_8equal_toIvEExEE10hipError_tPvRmT2_T3_T4_T5_mT6_T7_P12ihipStream_tbENKUlT_T0_E_clISt17integral_constantIbLb0EES11_EEDaSW_SX_EUlSW_E_NS1_11comp_targetILNS1_3genE5ELNS1_11target_archE942ELNS1_3gpuE9ELNS1_3repE0EEENS1_30default_config_static_selectorELNS0_4arch9wavefront6targetE0EEEvT1_.num_named_barrier, 0
	.set _ZN7rocprim17ROCPRIM_400000_NS6detail17trampoline_kernelINS0_14default_configENS1_27scan_by_key_config_selectorIixEEZZNS1_16scan_by_key_implILNS1_25lookback_scan_determinismE0ELb1ES3_N6thrust23THRUST_200600_302600_NS6detail15normal_iteratorINS9_10device_ptrIiEEEENSB_INSC_IxEEEESG_xNS9_4plusIvEENS9_8equal_toIvEExEE10hipError_tPvRmT2_T3_T4_T5_mT6_T7_P12ihipStream_tbENKUlT_T0_E_clISt17integral_constantIbLb0EES11_EEDaSW_SX_EUlSW_E_NS1_11comp_targetILNS1_3genE5ELNS1_11target_archE942ELNS1_3gpuE9ELNS1_3repE0EEENS1_30default_config_static_selectorELNS0_4arch9wavefront6targetE0EEEvT1_.private_seg_size, 0
	.set _ZN7rocprim17ROCPRIM_400000_NS6detail17trampoline_kernelINS0_14default_configENS1_27scan_by_key_config_selectorIixEEZZNS1_16scan_by_key_implILNS1_25lookback_scan_determinismE0ELb1ES3_N6thrust23THRUST_200600_302600_NS6detail15normal_iteratorINS9_10device_ptrIiEEEENSB_INSC_IxEEEESG_xNS9_4plusIvEENS9_8equal_toIvEExEE10hipError_tPvRmT2_T3_T4_T5_mT6_T7_P12ihipStream_tbENKUlT_T0_E_clISt17integral_constantIbLb0EES11_EEDaSW_SX_EUlSW_E_NS1_11comp_targetILNS1_3genE5ELNS1_11target_archE942ELNS1_3gpuE9ELNS1_3repE0EEENS1_30default_config_static_selectorELNS0_4arch9wavefront6targetE0EEEvT1_.uses_vcc, 0
	.set _ZN7rocprim17ROCPRIM_400000_NS6detail17trampoline_kernelINS0_14default_configENS1_27scan_by_key_config_selectorIixEEZZNS1_16scan_by_key_implILNS1_25lookback_scan_determinismE0ELb1ES3_N6thrust23THRUST_200600_302600_NS6detail15normal_iteratorINS9_10device_ptrIiEEEENSB_INSC_IxEEEESG_xNS9_4plusIvEENS9_8equal_toIvEExEE10hipError_tPvRmT2_T3_T4_T5_mT6_T7_P12ihipStream_tbENKUlT_T0_E_clISt17integral_constantIbLb0EES11_EEDaSW_SX_EUlSW_E_NS1_11comp_targetILNS1_3genE5ELNS1_11target_archE942ELNS1_3gpuE9ELNS1_3repE0EEENS1_30default_config_static_selectorELNS0_4arch9wavefront6targetE0EEEvT1_.uses_flat_scratch, 0
	.set _ZN7rocprim17ROCPRIM_400000_NS6detail17trampoline_kernelINS0_14default_configENS1_27scan_by_key_config_selectorIixEEZZNS1_16scan_by_key_implILNS1_25lookback_scan_determinismE0ELb1ES3_N6thrust23THRUST_200600_302600_NS6detail15normal_iteratorINS9_10device_ptrIiEEEENSB_INSC_IxEEEESG_xNS9_4plusIvEENS9_8equal_toIvEExEE10hipError_tPvRmT2_T3_T4_T5_mT6_T7_P12ihipStream_tbENKUlT_T0_E_clISt17integral_constantIbLb0EES11_EEDaSW_SX_EUlSW_E_NS1_11comp_targetILNS1_3genE5ELNS1_11target_archE942ELNS1_3gpuE9ELNS1_3repE0EEENS1_30default_config_static_selectorELNS0_4arch9wavefront6targetE0EEEvT1_.has_dyn_sized_stack, 0
	.set _ZN7rocprim17ROCPRIM_400000_NS6detail17trampoline_kernelINS0_14default_configENS1_27scan_by_key_config_selectorIixEEZZNS1_16scan_by_key_implILNS1_25lookback_scan_determinismE0ELb1ES3_N6thrust23THRUST_200600_302600_NS6detail15normal_iteratorINS9_10device_ptrIiEEEENSB_INSC_IxEEEESG_xNS9_4plusIvEENS9_8equal_toIvEExEE10hipError_tPvRmT2_T3_T4_T5_mT6_T7_P12ihipStream_tbENKUlT_T0_E_clISt17integral_constantIbLb0EES11_EEDaSW_SX_EUlSW_E_NS1_11comp_targetILNS1_3genE5ELNS1_11target_archE942ELNS1_3gpuE9ELNS1_3repE0EEENS1_30default_config_static_selectorELNS0_4arch9wavefront6targetE0EEEvT1_.has_recursion, 0
	.set _ZN7rocprim17ROCPRIM_400000_NS6detail17trampoline_kernelINS0_14default_configENS1_27scan_by_key_config_selectorIixEEZZNS1_16scan_by_key_implILNS1_25lookback_scan_determinismE0ELb1ES3_N6thrust23THRUST_200600_302600_NS6detail15normal_iteratorINS9_10device_ptrIiEEEENSB_INSC_IxEEEESG_xNS9_4plusIvEENS9_8equal_toIvEExEE10hipError_tPvRmT2_T3_T4_T5_mT6_T7_P12ihipStream_tbENKUlT_T0_E_clISt17integral_constantIbLb0EES11_EEDaSW_SX_EUlSW_E_NS1_11comp_targetILNS1_3genE5ELNS1_11target_archE942ELNS1_3gpuE9ELNS1_3repE0EEENS1_30default_config_static_selectorELNS0_4arch9wavefront6targetE0EEEvT1_.has_indirect_call, 0
	.section	.AMDGPU.csdata,"",@progbits
; Kernel info:
; codeLenInByte = 0
; TotalNumSgprs: 0
; NumVgprs: 0
; ScratchSize: 0
; MemoryBound: 0
; FloatMode: 240
; IeeeMode: 1
; LDSByteSize: 0 bytes/workgroup (compile time only)
; SGPRBlocks: 0
; VGPRBlocks: 0
; NumSGPRsForWavesPerEU: 1
; NumVGPRsForWavesPerEU: 1
; NamedBarCnt: 0
; Occupancy: 16
; WaveLimiterHint : 0
; COMPUTE_PGM_RSRC2:SCRATCH_EN: 0
; COMPUTE_PGM_RSRC2:USER_SGPR: 2
; COMPUTE_PGM_RSRC2:TRAP_HANDLER: 0
; COMPUTE_PGM_RSRC2:TGID_X_EN: 1
; COMPUTE_PGM_RSRC2:TGID_Y_EN: 0
; COMPUTE_PGM_RSRC2:TGID_Z_EN: 0
; COMPUTE_PGM_RSRC2:TIDIG_COMP_CNT: 0
	.section	.text._ZN7rocprim17ROCPRIM_400000_NS6detail17trampoline_kernelINS0_14default_configENS1_27scan_by_key_config_selectorIixEEZZNS1_16scan_by_key_implILNS1_25lookback_scan_determinismE0ELb1ES3_N6thrust23THRUST_200600_302600_NS6detail15normal_iteratorINS9_10device_ptrIiEEEENSB_INSC_IxEEEESG_xNS9_4plusIvEENS9_8equal_toIvEExEE10hipError_tPvRmT2_T3_T4_T5_mT6_T7_P12ihipStream_tbENKUlT_T0_E_clISt17integral_constantIbLb0EES11_EEDaSW_SX_EUlSW_E_NS1_11comp_targetILNS1_3genE4ELNS1_11target_archE910ELNS1_3gpuE8ELNS1_3repE0EEENS1_30default_config_static_selectorELNS0_4arch9wavefront6targetE0EEEvT1_,"axG",@progbits,_ZN7rocprim17ROCPRIM_400000_NS6detail17trampoline_kernelINS0_14default_configENS1_27scan_by_key_config_selectorIixEEZZNS1_16scan_by_key_implILNS1_25lookback_scan_determinismE0ELb1ES3_N6thrust23THRUST_200600_302600_NS6detail15normal_iteratorINS9_10device_ptrIiEEEENSB_INSC_IxEEEESG_xNS9_4plusIvEENS9_8equal_toIvEExEE10hipError_tPvRmT2_T3_T4_T5_mT6_T7_P12ihipStream_tbENKUlT_T0_E_clISt17integral_constantIbLb0EES11_EEDaSW_SX_EUlSW_E_NS1_11comp_targetILNS1_3genE4ELNS1_11target_archE910ELNS1_3gpuE8ELNS1_3repE0EEENS1_30default_config_static_selectorELNS0_4arch9wavefront6targetE0EEEvT1_,comdat
	.protected	_ZN7rocprim17ROCPRIM_400000_NS6detail17trampoline_kernelINS0_14default_configENS1_27scan_by_key_config_selectorIixEEZZNS1_16scan_by_key_implILNS1_25lookback_scan_determinismE0ELb1ES3_N6thrust23THRUST_200600_302600_NS6detail15normal_iteratorINS9_10device_ptrIiEEEENSB_INSC_IxEEEESG_xNS9_4plusIvEENS9_8equal_toIvEExEE10hipError_tPvRmT2_T3_T4_T5_mT6_T7_P12ihipStream_tbENKUlT_T0_E_clISt17integral_constantIbLb0EES11_EEDaSW_SX_EUlSW_E_NS1_11comp_targetILNS1_3genE4ELNS1_11target_archE910ELNS1_3gpuE8ELNS1_3repE0EEENS1_30default_config_static_selectorELNS0_4arch9wavefront6targetE0EEEvT1_ ; -- Begin function _ZN7rocprim17ROCPRIM_400000_NS6detail17trampoline_kernelINS0_14default_configENS1_27scan_by_key_config_selectorIixEEZZNS1_16scan_by_key_implILNS1_25lookback_scan_determinismE0ELb1ES3_N6thrust23THRUST_200600_302600_NS6detail15normal_iteratorINS9_10device_ptrIiEEEENSB_INSC_IxEEEESG_xNS9_4plusIvEENS9_8equal_toIvEExEE10hipError_tPvRmT2_T3_T4_T5_mT6_T7_P12ihipStream_tbENKUlT_T0_E_clISt17integral_constantIbLb0EES11_EEDaSW_SX_EUlSW_E_NS1_11comp_targetILNS1_3genE4ELNS1_11target_archE910ELNS1_3gpuE8ELNS1_3repE0EEENS1_30default_config_static_selectorELNS0_4arch9wavefront6targetE0EEEvT1_
	.globl	_ZN7rocprim17ROCPRIM_400000_NS6detail17trampoline_kernelINS0_14default_configENS1_27scan_by_key_config_selectorIixEEZZNS1_16scan_by_key_implILNS1_25lookback_scan_determinismE0ELb1ES3_N6thrust23THRUST_200600_302600_NS6detail15normal_iteratorINS9_10device_ptrIiEEEENSB_INSC_IxEEEESG_xNS9_4plusIvEENS9_8equal_toIvEExEE10hipError_tPvRmT2_T3_T4_T5_mT6_T7_P12ihipStream_tbENKUlT_T0_E_clISt17integral_constantIbLb0EES11_EEDaSW_SX_EUlSW_E_NS1_11comp_targetILNS1_3genE4ELNS1_11target_archE910ELNS1_3gpuE8ELNS1_3repE0EEENS1_30default_config_static_selectorELNS0_4arch9wavefront6targetE0EEEvT1_
	.p2align	8
	.type	_ZN7rocprim17ROCPRIM_400000_NS6detail17trampoline_kernelINS0_14default_configENS1_27scan_by_key_config_selectorIixEEZZNS1_16scan_by_key_implILNS1_25lookback_scan_determinismE0ELb1ES3_N6thrust23THRUST_200600_302600_NS6detail15normal_iteratorINS9_10device_ptrIiEEEENSB_INSC_IxEEEESG_xNS9_4plusIvEENS9_8equal_toIvEExEE10hipError_tPvRmT2_T3_T4_T5_mT6_T7_P12ihipStream_tbENKUlT_T0_E_clISt17integral_constantIbLb0EES11_EEDaSW_SX_EUlSW_E_NS1_11comp_targetILNS1_3genE4ELNS1_11target_archE910ELNS1_3gpuE8ELNS1_3repE0EEENS1_30default_config_static_selectorELNS0_4arch9wavefront6targetE0EEEvT1_,@function
_ZN7rocprim17ROCPRIM_400000_NS6detail17trampoline_kernelINS0_14default_configENS1_27scan_by_key_config_selectorIixEEZZNS1_16scan_by_key_implILNS1_25lookback_scan_determinismE0ELb1ES3_N6thrust23THRUST_200600_302600_NS6detail15normal_iteratorINS9_10device_ptrIiEEEENSB_INSC_IxEEEESG_xNS9_4plusIvEENS9_8equal_toIvEExEE10hipError_tPvRmT2_T3_T4_T5_mT6_T7_P12ihipStream_tbENKUlT_T0_E_clISt17integral_constantIbLb0EES11_EEDaSW_SX_EUlSW_E_NS1_11comp_targetILNS1_3genE4ELNS1_11target_archE910ELNS1_3gpuE8ELNS1_3repE0EEENS1_30default_config_static_selectorELNS0_4arch9wavefront6targetE0EEEvT1_: ; @_ZN7rocprim17ROCPRIM_400000_NS6detail17trampoline_kernelINS0_14default_configENS1_27scan_by_key_config_selectorIixEEZZNS1_16scan_by_key_implILNS1_25lookback_scan_determinismE0ELb1ES3_N6thrust23THRUST_200600_302600_NS6detail15normal_iteratorINS9_10device_ptrIiEEEENSB_INSC_IxEEEESG_xNS9_4plusIvEENS9_8equal_toIvEExEE10hipError_tPvRmT2_T3_T4_T5_mT6_T7_P12ihipStream_tbENKUlT_T0_E_clISt17integral_constantIbLb0EES11_EEDaSW_SX_EUlSW_E_NS1_11comp_targetILNS1_3genE4ELNS1_11target_archE910ELNS1_3gpuE8ELNS1_3repE0EEENS1_30default_config_static_selectorELNS0_4arch9wavefront6targetE0EEEvT1_
; %bb.0:
	.section	.rodata,"a",@progbits
	.p2align	6, 0x0
	.amdhsa_kernel _ZN7rocprim17ROCPRIM_400000_NS6detail17trampoline_kernelINS0_14default_configENS1_27scan_by_key_config_selectorIixEEZZNS1_16scan_by_key_implILNS1_25lookback_scan_determinismE0ELb1ES3_N6thrust23THRUST_200600_302600_NS6detail15normal_iteratorINS9_10device_ptrIiEEEENSB_INSC_IxEEEESG_xNS9_4plusIvEENS9_8equal_toIvEExEE10hipError_tPvRmT2_T3_T4_T5_mT6_T7_P12ihipStream_tbENKUlT_T0_E_clISt17integral_constantIbLb0EES11_EEDaSW_SX_EUlSW_E_NS1_11comp_targetILNS1_3genE4ELNS1_11target_archE910ELNS1_3gpuE8ELNS1_3repE0EEENS1_30default_config_static_selectorELNS0_4arch9wavefront6targetE0EEEvT1_
		.amdhsa_group_segment_fixed_size 0
		.amdhsa_private_segment_fixed_size 0
		.amdhsa_kernarg_size 136
		.amdhsa_user_sgpr_count 2
		.amdhsa_user_sgpr_dispatch_ptr 0
		.amdhsa_user_sgpr_queue_ptr 0
		.amdhsa_user_sgpr_kernarg_segment_ptr 1
		.amdhsa_user_sgpr_dispatch_id 0
		.amdhsa_user_sgpr_kernarg_preload_length 0
		.amdhsa_user_sgpr_kernarg_preload_offset 0
		.amdhsa_user_sgpr_private_segment_size 0
		.amdhsa_wavefront_size32 1
		.amdhsa_uses_dynamic_stack 0
		.amdhsa_enable_private_segment 0
		.amdhsa_system_sgpr_workgroup_id_x 1
		.amdhsa_system_sgpr_workgroup_id_y 0
		.amdhsa_system_sgpr_workgroup_id_z 0
		.amdhsa_system_sgpr_workgroup_info 0
		.amdhsa_system_vgpr_workitem_id 0
		.amdhsa_next_free_vgpr 1
		.amdhsa_next_free_sgpr 1
		.amdhsa_named_barrier_count 0
		.amdhsa_reserve_vcc 0
		.amdhsa_float_round_mode_32 0
		.amdhsa_float_round_mode_16_64 0
		.amdhsa_float_denorm_mode_32 3
		.amdhsa_float_denorm_mode_16_64 3
		.amdhsa_fp16_overflow 0
		.amdhsa_memory_ordered 1
		.amdhsa_forward_progress 1
		.amdhsa_inst_pref_size 0
		.amdhsa_round_robin_scheduling 0
		.amdhsa_exception_fp_ieee_invalid_op 0
		.amdhsa_exception_fp_denorm_src 0
		.amdhsa_exception_fp_ieee_div_zero 0
		.amdhsa_exception_fp_ieee_overflow 0
		.amdhsa_exception_fp_ieee_underflow 0
		.amdhsa_exception_fp_ieee_inexact 0
		.amdhsa_exception_int_div_zero 0
	.end_amdhsa_kernel
	.section	.text._ZN7rocprim17ROCPRIM_400000_NS6detail17trampoline_kernelINS0_14default_configENS1_27scan_by_key_config_selectorIixEEZZNS1_16scan_by_key_implILNS1_25lookback_scan_determinismE0ELb1ES3_N6thrust23THRUST_200600_302600_NS6detail15normal_iteratorINS9_10device_ptrIiEEEENSB_INSC_IxEEEESG_xNS9_4plusIvEENS9_8equal_toIvEExEE10hipError_tPvRmT2_T3_T4_T5_mT6_T7_P12ihipStream_tbENKUlT_T0_E_clISt17integral_constantIbLb0EES11_EEDaSW_SX_EUlSW_E_NS1_11comp_targetILNS1_3genE4ELNS1_11target_archE910ELNS1_3gpuE8ELNS1_3repE0EEENS1_30default_config_static_selectorELNS0_4arch9wavefront6targetE0EEEvT1_,"axG",@progbits,_ZN7rocprim17ROCPRIM_400000_NS6detail17trampoline_kernelINS0_14default_configENS1_27scan_by_key_config_selectorIixEEZZNS1_16scan_by_key_implILNS1_25lookback_scan_determinismE0ELb1ES3_N6thrust23THRUST_200600_302600_NS6detail15normal_iteratorINS9_10device_ptrIiEEEENSB_INSC_IxEEEESG_xNS9_4plusIvEENS9_8equal_toIvEExEE10hipError_tPvRmT2_T3_T4_T5_mT6_T7_P12ihipStream_tbENKUlT_T0_E_clISt17integral_constantIbLb0EES11_EEDaSW_SX_EUlSW_E_NS1_11comp_targetILNS1_3genE4ELNS1_11target_archE910ELNS1_3gpuE8ELNS1_3repE0EEENS1_30default_config_static_selectorELNS0_4arch9wavefront6targetE0EEEvT1_,comdat
.Lfunc_end1574:
	.size	_ZN7rocprim17ROCPRIM_400000_NS6detail17trampoline_kernelINS0_14default_configENS1_27scan_by_key_config_selectorIixEEZZNS1_16scan_by_key_implILNS1_25lookback_scan_determinismE0ELb1ES3_N6thrust23THRUST_200600_302600_NS6detail15normal_iteratorINS9_10device_ptrIiEEEENSB_INSC_IxEEEESG_xNS9_4plusIvEENS9_8equal_toIvEExEE10hipError_tPvRmT2_T3_T4_T5_mT6_T7_P12ihipStream_tbENKUlT_T0_E_clISt17integral_constantIbLb0EES11_EEDaSW_SX_EUlSW_E_NS1_11comp_targetILNS1_3genE4ELNS1_11target_archE910ELNS1_3gpuE8ELNS1_3repE0EEENS1_30default_config_static_selectorELNS0_4arch9wavefront6targetE0EEEvT1_, .Lfunc_end1574-_ZN7rocprim17ROCPRIM_400000_NS6detail17trampoline_kernelINS0_14default_configENS1_27scan_by_key_config_selectorIixEEZZNS1_16scan_by_key_implILNS1_25lookback_scan_determinismE0ELb1ES3_N6thrust23THRUST_200600_302600_NS6detail15normal_iteratorINS9_10device_ptrIiEEEENSB_INSC_IxEEEESG_xNS9_4plusIvEENS9_8equal_toIvEExEE10hipError_tPvRmT2_T3_T4_T5_mT6_T7_P12ihipStream_tbENKUlT_T0_E_clISt17integral_constantIbLb0EES11_EEDaSW_SX_EUlSW_E_NS1_11comp_targetILNS1_3genE4ELNS1_11target_archE910ELNS1_3gpuE8ELNS1_3repE0EEENS1_30default_config_static_selectorELNS0_4arch9wavefront6targetE0EEEvT1_
                                        ; -- End function
	.set _ZN7rocprim17ROCPRIM_400000_NS6detail17trampoline_kernelINS0_14default_configENS1_27scan_by_key_config_selectorIixEEZZNS1_16scan_by_key_implILNS1_25lookback_scan_determinismE0ELb1ES3_N6thrust23THRUST_200600_302600_NS6detail15normal_iteratorINS9_10device_ptrIiEEEENSB_INSC_IxEEEESG_xNS9_4plusIvEENS9_8equal_toIvEExEE10hipError_tPvRmT2_T3_T4_T5_mT6_T7_P12ihipStream_tbENKUlT_T0_E_clISt17integral_constantIbLb0EES11_EEDaSW_SX_EUlSW_E_NS1_11comp_targetILNS1_3genE4ELNS1_11target_archE910ELNS1_3gpuE8ELNS1_3repE0EEENS1_30default_config_static_selectorELNS0_4arch9wavefront6targetE0EEEvT1_.num_vgpr, 0
	.set _ZN7rocprim17ROCPRIM_400000_NS6detail17trampoline_kernelINS0_14default_configENS1_27scan_by_key_config_selectorIixEEZZNS1_16scan_by_key_implILNS1_25lookback_scan_determinismE0ELb1ES3_N6thrust23THRUST_200600_302600_NS6detail15normal_iteratorINS9_10device_ptrIiEEEENSB_INSC_IxEEEESG_xNS9_4plusIvEENS9_8equal_toIvEExEE10hipError_tPvRmT2_T3_T4_T5_mT6_T7_P12ihipStream_tbENKUlT_T0_E_clISt17integral_constantIbLb0EES11_EEDaSW_SX_EUlSW_E_NS1_11comp_targetILNS1_3genE4ELNS1_11target_archE910ELNS1_3gpuE8ELNS1_3repE0EEENS1_30default_config_static_selectorELNS0_4arch9wavefront6targetE0EEEvT1_.num_agpr, 0
	.set _ZN7rocprim17ROCPRIM_400000_NS6detail17trampoline_kernelINS0_14default_configENS1_27scan_by_key_config_selectorIixEEZZNS1_16scan_by_key_implILNS1_25lookback_scan_determinismE0ELb1ES3_N6thrust23THRUST_200600_302600_NS6detail15normal_iteratorINS9_10device_ptrIiEEEENSB_INSC_IxEEEESG_xNS9_4plusIvEENS9_8equal_toIvEExEE10hipError_tPvRmT2_T3_T4_T5_mT6_T7_P12ihipStream_tbENKUlT_T0_E_clISt17integral_constantIbLb0EES11_EEDaSW_SX_EUlSW_E_NS1_11comp_targetILNS1_3genE4ELNS1_11target_archE910ELNS1_3gpuE8ELNS1_3repE0EEENS1_30default_config_static_selectorELNS0_4arch9wavefront6targetE0EEEvT1_.numbered_sgpr, 0
	.set _ZN7rocprim17ROCPRIM_400000_NS6detail17trampoline_kernelINS0_14default_configENS1_27scan_by_key_config_selectorIixEEZZNS1_16scan_by_key_implILNS1_25lookback_scan_determinismE0ELb1ES3_N6thrust23THRUST_200600_302600_NS6detail15normal_iteratorINS9_10device_ptrIiEEEENSB_INSC_IxEEEESG_xNS9_4plusIvEENS9_8equal_toIvEExEE10hipError_tPvRmT2_T3_T4_T5_mT6_T7_P12ihipStream_tbENKUlT_T0_E_clISt17integral_constantIbLb0EES11_EEDaSW_SX_EUlSW_E_NS1_11comp_targetILNS1_3genE4ELNS1_11target_archE910ELNS1_3gpuE8ELNS1_3repE0EEENS1_30default_config_static_selectorELNS0_4arch9wavefront6targetE0EEEvT1_.num_named_barrier, 0
	.set _ZN7rocprim17ROCPRIM_400000_NS6detail17trampoline_kernelINS0_14default_configENS1_27scan_by_key_config_selectorIixEEZZNS1_16scan_by_key_implILNS1_25lookback_scan_determinismE0ELb1ES3_N6thrust23THRUST_200600_302600_NS6detail15normal_iteratorINS9_10device_ptrIiEEEENSB_INSC_IxEEEESG_xNS9_4plusIvEENS9_8equal_toIvEExEE10hipError_tPvRmT2_T3_T4_T5_mT6_T7_P12ihipStream_tbENKUlT_T0_E_clISt17integral_constantIbLb0EES11_EEDaSW_SX_EUlSW_E_NS1_11comp_targetILNS1_3genE4ELNS1_11target_archE910ELNS1_3gpuE8ELNS1_3repE0EEENS1_30default_config_static_selectorELNS0_4arch9wavefront6targetE0EEEvT1_.private_seg_size, 0
	.set _ZN7rocprim17ROCPRIM_400000_NS6detail17trampoline_kernelINS0_14default_configENS1_27scan_by_key_config_selectorIixEEZZNS1_16scan_by_key_implILNS1_25lookback_scan_determinismE0ELb1ES3_N6thrust23THRUST_200600_302600_NS6detail15normal_iteratorINS9_10device_ptrIiEEEENSB_INSC_IxEEEESG_xNS9_4plusIvEENS9_8equal_toIvEExEE10hipError_tPvRmT2_T3_T4_T5_mT6_T7_P12ihipStream_tbENKUlT_T0_E_clISt17integral_constantIbLb0EES11_EEDaSW_SX_EUlSW_E_NS1_11comp_targetILNS1_3genE4ELNS1_11target_archE910ELNS1_3gpuE8ELNS1_3repE0EEENS1_30default_config_static_selectorELNS0_4arch9wavefront6targetE0EEEvT1_.uses_vcc, 0
	.set _ZN7rocprim17ROCPRIM_400000_NS6detail17trampoline_kernelINS0_14default_configENS1_27scan_by_key_config_selectorIixEEZZNS1_16scan_by_key_implILNS1_25lookback_scan_determinismE0ELb1ES3_N6thrust23THRUST_200600_302600_NS6detail15normal_iteratorINS9_10device_ptrIiEEEENSB_INSC_IxEEEESG_xNS9_4plusIvEENS9_8equal_toIvEExEE10hipError_tPvRmT2_T3_T4_T5_mT6_T7_P12ihipStream_tbENKUlT_T0_E_clISt17integral_constantIbLb0EES11_EEDaSW_SX_EUlSW_E_NS1_11comp_targetILNS1_3genE4ELNS1_11target_archE910ELNS1_3gpuE8ELNS1_3repE0EEENS1_30default_config_static_selectorELNS0_4arch9wavefront6targetE0EEEvT1_.uses_flat_scratch, 0
	.set _ZN7rocprim17ROCPRIM_400000_NS6detail17trampoline_kernelINS0_14default_configENS1_27scan_by_key_config_selectorIixEEZZNS1_16scan_by_key_implILNS1_25lookback_scan_determinismE0ELb1ES3_N6thrust23THRUST_200600_302600_NS6detail15normal_iteratorINS9_10device_ptrIiEEEENSB_INSC_IxEEEESG_xNS9_4plusIvEENS9_8equal_toIvEExEE10hipError_tPvRmT2_T3_T4_T5_mT6_T7_P12ihipStream_tbENKUlT_T0_E_clISt17integral_constantIbLb0EES11_EEDaSW_SX_EUlSW_E_NS1_11comp_targetILNS1_3genE4ELNS1_11target_archE910ELNS1_3gpuE8ELNS1_3repE0EEENS1_30default_config_static_selectorELNS0_4arch9wavefront6targetE0EEEvT1_.has_dyn_sized_stack, 0
	.set _ZN7rocprim17ROCPRIM_400000_NS6detail17trampoline_kernelINS0_14default_configENS1_27scan_by_key_config_selectorIixEEZZNS1_16scan_by_key_implILNS1_25lookback_scan_determinismE0ELb1ES3_N6thrust23THRUST_200600_302600_NS6detail15normal_iteratorINS9_10device_ptrIiEEEENSB_INSC_IxEEEESG_xNS9_4plusIvEENS9_8equal_toIvEExEE10hipError_tPvRmT2_T3_T4_T5_mT6_T7_P12ihipStream_tbENKUlT_T0_E_clISt17integral_constantIbLb0EES11_EEDaSW_SX_EUlSW_E_NS1_11comp_targetILNS1_3genE4ELNS1_11target_archE910ELNS1_3gpuE8ELNS1_3repE0EEENS1_30default_config_static_selectorELNS0_4arch9wavefront6targetE0EEEvT1_.has_recursion, 0
	.set _ZN7rocprim17ROCPRIM_400000_NS6detail17trampoline_kernelINS0_14default_configENS1_27scan_by_key_config_selectorIixEEZZNS1_16scan_by_key_implILNS1_25lookback_scan_determinismE0ELb1ES3_N6thrust23THRUST_200600_302600_NS6detail15normal_iteratorINS9_10device_ptrIiEEEENSB_INSC_IxEEEESG_xNS9_4plusIvEENS9_8equal_toIvEExEE10hipError_tPvRmT2_T3_T4_T5_mT6_T7_P12ihipStream_tbENKUlT_T0_E_clISt17integral_constantIbLb0EES11_EEDaSW_SX_EUlSW_E_NS1_11comp_targetILNS1_3genE4ELNS1_11target_archE910ELNS1_3gpuE8ELNS1_3repE0EEENS1_30default_config_static_selectorELNS0_4arch9wavefront6targetE0EEEvT1_.has_indirect_call, 0
	.section	.AMDGPU.csdata,"",@progbits
; Kernel info:
; codeLenInByte = 0
; TotalNumSgprs: 0
; NumVgprs: 0
; ScratchSize: 0
; MemoryBound: 0
; FloatMode: 240
; IeeeMode: 1
; LDSByteSize: 0 bytes/workgroup (compile time only)
; SGPRBlocks: 0
; VGPRBlocks: 0
; NumSGPRsForWavesPerEU: 1
; NumVGPRsForWavesPerEU: 1
; NamedBarCnt: 0
; Occupancy: 16
; WaveLimiterHint : 0
; COMPUTE_PGM_RSRC2:SCRATCH_EN: 0
; COMPUTE_PGM_RSRC2:USER_SGPR: 2
; COMPUTE_PGM_RSRC2:TRAP_HANDLER: 0
; COMPUTE_PGM_RSRC2:TGID_X_EN: 1
; COMPUTE_PGM_RSRC2:TGID_Y_EN: 0
; COMPUTE_PGM_RSRC2:TGID_Z_EN: 0
; COMPUTE_PGM_RSRC2:TIDIG_COMP_CNT: 0
	.section	.text._ZN7rocprim17ROCPRIM_400000_NS6detail17trampoline_kernelINS0_14default_configENS1_27scan_by_key_config_selectorIixEEZZNS1_16scan_by_key_implILNS1_25lookback_scan_determinismE0ELb1ES3_N6thrust23THRUST_200600_302600_NS6detail15normal_iteratorINS9_10device_ptrIiEEEENSB_INSC_IxEEEESG_xNS9_4plusIvEENS9_8equal_toIvEExEE10hipError_tPvRmT2_T3_T4_T5_mT6_T7_P12ihipStream_tbENKUlT_T0_E_clISt17integral_constantIbLb0EES11_EEDaSW_SX_EUlSW_E_NS1_11comp_targetILNS1_3genE3ELNS1_11target_archE908ELNS1_3gpuE7ELNS1_3repE0EEENS1_30default_config_static_selectorELNS0_4arch9wavefront6targetE0EEEvT1_,"axG",@progbits,_ZN7rocprim17ROCPRIM_400000_NS6detail17trampoline_kernelINS0_14default_configENS1_27scan_by_key_config_selectorIixEEZZNS1_16scan_by_key_implILNS1_25lookback_scan_determinismE0ELb1ES3_N6thrust23THRUST_200600_302600_NS6detail15normal_iteratorINS9_10device_ptrIiEEEENSB_INSC_IxEEEESG_xNS9_4plusIvEENS9_8equal_toIvEExEE10hipError_tPvRmT2_T3_T4_T5_mT6_T7_P12ihipStream_tbENKUlT_T0_E_clISt17integral_constantIbLb0EES11_EEDaSW_SX_EUlSW_E_NS1_11comp_targetILNS1_3genE3ELNS1_11target_archE908ELNS1_3gpuE7ELNS1_3repE0EEENS1_30default_config_static_selectorELNS0_4arch9wavefront6targetE0EEEvT1_,comdat
	.protected	_ZN7rocprim17ROCPRIM_400000_NS6detail17trampoline_kernelINS0_14default_configENS1_27scan_by_key_config_selectorIixEEZZNS1_16scan_by_key_implILNS1_25lookback_scan_determinismE0ELb1ES3_N6thrust23THRUST_200600_302600_NS6detail15normal_iteratorINS9_10device_ptrIiEEEENSB_INSC_IxEEEESG_xNS9_4plusIvEENS9_8equal_toIvEExEE10hipError_tPvRmT2_T3_T4_T5_mT6_T7_P12ihipStream_tbENKUlT_T0_E_clISt17integral_constantIbLb0EES11_EEDaSW_SX_EUlSW_E_NS1_11comp_targetILNS1_3genE3ELNS1_11target_archE908ELNS1_3gpuE7ELNS1_3repE0EEENS1_30default_config_static_selectorELNS0_4arch9wavefront6targetE0EEEvT1_ ; -- Begin function _ZN7rocprim17ROCPRIM_400000_NS6detail17trampoline_kernelINS0_14default_configENS1_27scan_by_key_config_selectorIixEEZZNS1_16scan_by_key_implILNS1_25lookback_scan_determinismE0ELb1ES3_N6thrust23THRUST_200600_302600_NS6detail15normal_iteratorINS9_10device_ptrIiEEEENSB_INSC_IxEEEESG_xNS9_4plusIvEENS9_8equal_toIvEExEE10hipError_tPvRmT2_T3_T4_T5_mT6_T7_P12ihipStream_tbENKUlT_T0_E_clISt17integral_constantIbLb0EES11_EEDaSW_SX_EUlSW_E_NS1_11comp_targetILNS1_3genE3ELNS1_11target_archE908ELNS1_3gpuE7ELNS1_3repE0EEENS1_30default_config_static_selectorELNS0_4arch9wavefront6targetE0EEEvT1_
	.globl	_ZN7rocprim17ROCPRIM_400000_NS6detail17trampoline_kernelINS0_14default_configENS1_27scan_by_key_config_selectorIixEEZZNS1_16scan_by_key_implILNS1_25lookback_scan_determinismE0ELb1ES3_N6thrust23THRUST_200600_302600_NS6detail15normal_iteratorINS9_10device_ptrIiEEEENSB_INSC_IxEEEESG_xNS9_4plusIvEENS9_8equal_toIvEExEE10hipError_tPvRmT2_T3_T4_T5_mT6_T7_P12ihipStream_tbENKUlT_T0_E_clISt17integral_constantIbLb0EES11_EEDaSW_SX_EUlSW_E_NS1_11comp_targetILNS1_3genE3ELNS1_11target_archE908ELNS1_3gpuE7ELNS1_3repE0EEENS1_30default_config_static_selectorELNS0_4arch9wavefront6targetE0EEEvT1_
	.p2align	8
	.type	_ZN7rocprim17ROCPRIM_400000_NS6detail17trampoline_kernelINS0_14default_configENS1_27scan_by_key_config_selectorIixEEZZNS1_16scan_by_key_implILNS1_25lookback_scan_determinismE0ELb1ES3_N6thrust23THRUST_200600_302600_NS6detail15normal_iteratorINS9_10device_ptrIiEEEENSB_INSC_IxEEEESG_xNS9_4plusIvEENS9_8equal_toIvEExEE10hipError_tPvRmT2_T3_T4_T5_mT6_T7_P12ihipStream_tbENKUlT_T0_E_clISt17integral_constantIbLb0EES11_EEDaSW_SX_EUlSW_E_NS1_11comp_targetILNS1_3genE3ELNS1_11target_archE908ELNS1_3gpuE7ELNS1_3repE0EEENS1_30default_config_static_selectorELNS0_4arch9wavefront6targetE0EEEvT1_,@function
_ZN7rocprim17ROCPRIM_400000_NS6detail17trampoline_kernelINS0_14default_configENS1_27scan_by_key_config_selectorIixEEZZNS1_16scan_by_key_implILNS1_25lookback_scan_determinismE0ELb1ES3_N6thrust23THRUST_200600_302600_NS6detail15normal_iteratorINS9_10device_ptrIiEEEENSB_INSC_IxEEEESG_xNS9_4plusIvEENS9_8equal_toIvEExEE10hipError_tPvRmT2_T3_T4_T5_mT6_T7_P12ihipStream_tbENKUlT_T0_E_clISt17integral_constantIbLb0EES11_EEDaSW_SX_EUlSW_E_NS1_11comp_targetILNS1_3genE3ELNS1_11target_archE908ELNS1_3gpuE7ELNS1_3repE0EEENS1_30default_config_static_selectorELNS0_4arch9wavefront6targetE0EEEvT1_: ; @_ZN7rocprim17ROCPRIM_400000_NS6detail17trampoline_kernelINS0_14default_configENS1_27scan_by_key_config_selectorIixEEZZNS1_16scan_by_key_implILNS1_25lookback_scan_determinismE0ELb1ES3_N6thrust23THRUST_200600_302600_NS6detail15normal_iteratorINS9_10device_ptrIiEEEENSB_INSC_IxEEEESG_xNS9_4plusIvEENS9_8equal_toIvEExEE10hipError_tPvRmT2_T3_T4_T5_mT6_T7_P12ihipStream_tbENKUlT_T0_E_clISt17integral_constantIbLb0EES11_EEDaSW_SX_EUlSW_E_NS1_11comp_targetILNS1_3genE3ELNS1_11target_archE908ELNS1_3gpuE7ELNS1_3repE0EEENS1_30default_config_static_selectorELNS0_4arch9wavefront6targetE0EEEvT1_
; %bb.0:
	.section	.rodata,"a",@progbits
	.p2align	6, 0x0
	.amdhsa_kernel _ZN7rocprim17ROCPRIM_400000_NS6detail17trampoline_kernelINS0_14default_configENS1_27scan_by_key_config_selectorIixEEZZNS1_16scan_by_key_implILNS1_25lookback_scan_determinismE0ELb1ES3_N6thrust23THRUST_200600_302600_NS6detail15normal_iteratorINS9_10device_ptrIiEEEENSB_INSC_IxEEEESG_xNS9_4plusIvEENS9_8equal_toIvEExEE10hipError_tPvRmT2_T3_T4_T5_mT6_T7_P12ihipStream_tbENKUlT_T0_E_clISt17integral_constantIbLb0EES11_EEDaSW_SX_EUlSW_E_NS1_11comp_targetILNS1_3genE3ELNS1_11target_archE908ELNS1_3gpuE7ELNS1_3repE0EEENS1_30default_config_static_selectorELNS0_4arch9wavefront6targetE0EEEvT1_
		.amdhsa_group_segment_fixed_size 0
		.amdhsa_private_segment_fixed_size 0
		.amdhsa_kernarg_size 136
		.amdhsa_user_sgpr_count 2
		.amdhsa_user_sgpr_dispatch_ptr 0
		.amdhsa_user_sgpr_queue_ptr 0
		.amdhsa_user_sgpr_kernarg_segment_ptr 1
		.amdhsa_user_sgpr_dispatch_id 0
		.amdhsa_user_sgpr_kernarg_preload_length 0
		.amdhsa_user_sgpr_kernarg_preload_offset 0
		.amdhsa_user_sgpr_private_segment_size 0
		.amdhsa_wavefront_size32 1
		.amdhsa_uses_dynamic_stack 0
		.amdhsa_enable_private_segment 0
		.amdhsa_system_sgpr_workgroup_id_x 1
		.amdhsa_system_sgpr_workgroup_id_y 0
		.amdhsa_system_sgpr_workgroup_id_z 0
		.amdhsa_system_sgpr_workgroup_info 0
		.amdhsa_system_vgpr_workitem_id 0
		.amdhsa_next_free_vgpr 1
		.amdhsa_next_free_sgpr 1
		.amdhsa_named_barrier_count 0
		.amdhsa_reserve_vcc 0
		.amdhsa_float_round_mode_32 0
		.amdhsa_float_round_mode_16_64 0
		.amdhsa_float_denorm_mode_32 3
		.amdhsa_float_denorm_mode_16_64 3
		.amdhsa_fp16_overflow 0
		.amdhsa_memory_ordered 1
		.amdhsa_forward_progress 1
		.amdhsa_inst_pref_size 0
		.amdhsa_round_robin_scheduling 0
		.amdhsa_exception_fp_ieee_invalid_op 0
		.amdhsa_exception_fp_denorm_src 0
		.amdhsa_exception_fp_ieee_div_zero 0
		.amdhsa_exception_fp_ieee_overflow 0
		.amdhsa_exception_fp_ieee_underflow 0
		.amdhsa_exception_fp_ieee_inexact 0
		.amdhsa_exception_int_div_zero 0
	.end_amdhsa_kernel
	.section	.text._ZN7rocprim17ROCPRIM_400000_NS6detail17trampoline_kernelINS0_14default_configENS1_27scan_by_key_config_selectorIixEEZZNS1_16scan_by_key_implILNS1_25lookback_scan_determinismE0ELb1ES3_N6thrust23THRUST_200600_302600_NS6detail15normal_iteratorINS9_10device_ptrIiEEEENSB_INSC_IxEEEESG_xNS9_4plusIvEENS9_8equal_toIvEExEE10hipError_tPvRmT2_T3_T4_T5_mT6_T7_P12ihipStream_tbENKUlT_T0_E_clISt17integral_constantIbLb0EES11_EEDaSW_SX_EUlSW_E_NS1_11comp_targetILNS1_3genE3ELNS1_11target_archE908ELNS1_3gpuE7ELNS1_3repE0EEENS1_30default_config_static_selectorELNS0_4arch9wavefront6targetE0EEEvT1_,"axG",@progbits,_ZN7rocprim17ROCPRIM_400000_NS6detail17trampoline_kernelINS0_14default_configENS1_27scan_by_key_config_selectorIixEEZZNS1_16scan_by_key_implILNS1_25lookback_scan_determinismE0ELb1ES3_N6thrust23THRUST_200600_302600_NS6detail15normal_iteratorINS9_10device_ptrIiEEEENSB_INSC_IxEEEESG_xNS9_4plusIvEENS9_8equal_toIvEExEE10hipError_tPvRmT2_T3_T4_T5_mT6_T7_P12ihipStream_tbENKUlT_T0_E_clISt17integral_constantIbLb0EES11_EEDaSW_SX_EUlSW_E_NS1_11comp_targetILNS1_3genE3ELNS1_11target_archE908ELNS1_3gpuE7ELNS1_3repE0EEENS1_30default_config_static_selectorELNS0_4arch9wavefront6targetE0EEEvT1_,comdat
.Lfunc_end1575:
	.size	_ZN7rocprim17ROCPRIM_400000_NS6detail17trampoline_kernelINS0_14default_configENS1_27scan_by_key_config_selectorIixEEZZNS1_16scan_by_key_implILNS1_25lookback_scan_determinismE0ELb1ES3_N6thrust23THRUST_200600_302600_NS6detail15normal_iteratorINS9_10device_ptrIiEEEENSB_INSC_IxEEEESG_xNS9_4plusIvEENS9_8equal_toIvEExEE10hipError_tPvRmT2_T3_T4_T5_mT6_T7_P12ihipStream_tbENKUlT_T0_E_clISt17integral_constantIbLb0EES11_EEDaSW_SX_EUlSW_E_NS1_11comp_targetILNS1_3genE3ELNS1_11target_archE908ELNS1_3gpuE7ELNS1_3repE0EEENS1_30default_config_static_selectorELNS0_4arch9wavefront6targetE0EEEvT1_, .Lfunc_end1575-_ZN7rocprim17ROCPRIM_400000_NS6detail17trampoline_kernelINS0_14default_configENS1_27scan_by_key_config_selectorIixEEZZNS1_16scan_by_key_implILNS1_25lookback_scan_determinismE0ELb1ES3_N6thrust23THRUST_200600_302600_NS6detail15normal_iteratorINS9_10device_ptrIiEEEENSB_INSC_IxEEEESG_xNS9_4plusIvEENS9_8equal_toIvEExEE10hipError_tPvRmT2_T3_T4_T5_mT6_T7_P12ihipStream_tbENKUlT_T0_E_clISt17integral_constantIbLb0EES11_EEDaSW_SX_EUlSW_E_NS1_11comp_targetILNS1_3genE3ELNS1_11target_archE908ELNS1_3gpuE7ELNS1_3repE0EEENS1_30default_config_static_selectorELNS0_4arch9wavefront6targetE0EEEvT1_
                                        ; -- End function
	.set _ZN7rocprim17ROCPRIM_400000_NS6detail17trampoline_kernelINS0_14default_configENS1_27scan_by_key_config_selectorIixEEZZNS1_16scan_by_key_implILNS1_25lookback_scan_determinismE0ELb1ES3_N6thrust23THRUST_200600_302600_NS6detail15normal_iteratorINS9_10device_ptrIiEEEENSB_INSC_IxEEEESG_xNS9_4plusIvEENS9_8equal_toIvEExEE10hipError_tPvRmT2_T3_T4_T5_mT6_T7_P12ihipStream_tbENKUlT_T0_E_clISt17integral_constantIbLb0EES11_EEDaSW_SX_EUlSW_E_NS1_11comp_targetILNS1_3genE3ELNS1_11target_archE908ELNS1_3gpuE7ELNS1_3repE0EEENS1_30default_config_static_selectorELNS0_4arch9wavefront6targetE0EEEvT1_.num_vgpr, 0
	.set _ZN7rocprim17ROCPRIM_400000_NS6detail17trampoline_kernelINS0_14default_configENS1_27scan_by_key_config_selectorIixEEZZNS1_16scan_by_key_implILNS1_25lookback_scan_determinismE0ELb1ES3_N6thrust23THRUST_200600_302600_NS6detail15normal_iteratorINS9_10device_ptrIiEEEENSB_INSC_IxEEEESG_xNS9_4plusIvEENS9_8equal_toIvEExEE10hipError_tPvRmT2_T3_T4_T5_mT6_T7_P12ihipStream_tbENKUlT_T0_E_clISt17integral_constantIbLb0EES11_EEDaSW_SX_EUlSW_E_NS1_11comp_targetILNS1_3genE3ELNS1_11target_archE908ELNS1_3gpuE7ELNS1_3repE0EEENS1_30default_config_static_selectorELNS0_4arch9wavefront6targetE0EEEvT1_.num_agpr, 0
	.set _ZN7rocprim17ROCPRIM_400000_NS6detail17trampoline_kernelINS0_14default_configENS1_27scan_by_key_config_selectorIixEEZZNS1_16scan_by_key_implILNS1_25lookback_scan_determinismE0ELb1ES3_N6thrust23THRUST_200600_302600_NS6detail15normal_iteratorINS9_10device_ptrIiEEEENSB_INSC_IxEEEESG_xNS9_4plusIvEENS9_8equal_toIvEExEE10hipError_tPvRmT2_T3_T4_T5_mT6_T7_P12ihipStream_tbENKUlT_T0_E_clISt17integral_constantIbLb0EES11_EEDaSW_SX_EUlSW_E_NS1_11comp_targetILNS1_3genE3ELNS1_11target_archE908ELNS1_3gpuE7ELNS1_3repE0EEENS1_30default_config_static_selectorELNS0_4arch9wavefront6targetE0EEEvT1_.numbered_sgpr, 0
	.set _ZN7rocprim17ROCPRIM_400000_NS6detail17trampoline_kernelINS0_14default_configENS1_27scan_by_key_config_selectorIixEEZZNS1_16scan_by_key_implILNS1_25lookback_scan_determinismE0ELb1ES3_N6thrust23THRUST_200600_302600_NS6detail15normal_iteratorINS9_10device_ptrIiEEEENSB_INSC_IxEEEESG_xNS9_4plusIvEENS9_8equal_toIvEExEE10hipError_tPvRmT2_T3_T4_T5_mT6_T7_P12ihipStream_tbENKUlT_T0_E_clISt17integral_constantIbLb0EES11_EEDaSW_SX_EUlSW_E_NS1_11comp_targetILNS1_3genE3ELNS1_11target_archE908ELNS1_3gpuE7ELNS1_3repE0EEENS1_30default_config_static_selectorELNS0_4arch9wavefront6targetE0EEEvT1_.num_named_barrier, 0
	.set _ZN7rocprim17ROCPRIM_400000_NS6detail17trampoline_kernelINS0_14default_configENS1_27scan_by_key_config_selectorIixEEZZNS1_16scan_by_key_implILNS1_25lookback_scan_determinismE0ELb1ES3_N6thrust23THRUST_200600_302600_NS6detail15normal_iteratorINS9_10device_ptrIiEEEENSB_INSC_IxEEEESG_xNS9_4plusIvEENS9_8equal_toIvEExEE10hipError_tPvRmT2_T3_T4_T5_mT6_T7_P12ihipStream_tbENKUlT_T0_E_clISt17integral_constantIbLb0EES11_EEDaSW_SX_EUlSW_E_NS1_11comp_targetILNS1_3genE3ELNS1_11target_archE908ELNS1_3gpuE7ELNS1_3repE0EEENS1_30default_config_static_selectorELNS0_4arch9wavefront6targetE0EEEvT1_.private_seg_size, 0
	.set _ZN7rocprim17ROCPRIM_400000_NS6detail17trampoline_kernelINS0_14default_configENS1_27scan_by_key_config_selectorIixEEZZNS1_16scan_by_key_implILNS1_25lookback_scan_determinismE0ELb1ES3_N6thrust23THRUST_200600_302600_NS6detail15normal_iteratorINS9_10device_ptrIiEEEENSB_INSC_IxEEEESG_xNS9_4plusIvEENS9_8equal_toIvEExEE10hipError_tPvRmT2_T3_T4_T5_mT6_T7_P12ihipStream_tbENKUlT_T0_E_clISt17integral_constantIbLb0EES11_EEDaSW_SX_EUlSW_E_NS1_11comp_targetILNS1_3genE3ELNS1_11target_archE908ELNS1_3gpuE7ELNS1_3repE0EEENS1_30default_config_static_selectorELNS0_4arch9wavefront6targetE0EEEvT1_.uses_vcc, 0
	.set _ZN7rocprim17ROCPRIM_400000_NS6detail17trampoline_kernelINS0_14default_configENS1_27scan_by_key_config_selectorIixEEZZNS1_16scan_by_key_implILNS1_25lookback_scan_determinismE0ELb1ES3_N6thrust23THRUST_200600_302600_NS6detail15normal_iteratorINS9_10device_ptrIiEEEENSB_INSC_IxEEEESG_xNS9_4plusIvEENS9_8equal_toIvEExEE10hipError_tPvRmT2_T3_T4_T5_mT6_T7_P12ihipStream_tbENKUlT_T0_E_clISt17integral_constantIbLb0EES11_EEDaSW_SX_EUlSW_E_NS1_11comp_targetILNS1_3genE3ELNS1_11target_archE908ELNS1_3gpuE7ELNS1_3repE0EEENS1_30default_config_static_selectorELNS0_4arch9wavefront6targetE0EEEvT1_.uses_flat_scratch, 0
	.set _ZN7rocprim17ROCPRIM_400000_NS6detail17trampoline_kernelINS0_14default_configENS1_27scan_by_key_config_selectorIixEEZZNS1_16scan_by_key_implILNS1_25lookback_scan_determinismE0ELb1ES3_N6thrust23THRUST_200600_302600_NS6detail15normal_iteratorINS9_10device_ptrIiEEEENSB_INSC_IxEEEESG_xNS9_4plusIvEENS9_8equal_toIvEExEE10hipError_tPvRmT2_T3_T4_T5_mT6_T7_P12ihipStream_tbENKUlT_T0_E_clISt17integral_constantIbLb0EES11_EEDaSW_SX_EUlSW_E_NS1_11comp_targetILNS1_3genE3ELNS1_11target_archE908ELNS1_3gpuE7ELNS1_3repE0EEENS1_30default_config_static_selectorELNS0_4arch9wavefront6targetE0EEEvT1_.has_dyn_sized_stack, 0
	.set _ZN7rocprim17ROCPRIM_400000_NS6detail17trampoline_kernelINS0_14default_configENS1_27scan_by_key_config_selectorIixEEZZNS1_16scan_by_key_implILNS1_25lookback_scan_determinismE0ELb1ES3_N6thrust23THRUST_200600_302600_NS6detail15normal_iteratorINS9_10device_ptrIiEEEENSB_INSC_IxEEEESG_xNS9_4plusIvEENS9_8equal_toIvEExEE10hipError_tPvRmT2_T3_T4_T5_mT6_T7_P12ihipStream_tbENKUlT_T0_E_clISt17integral_constantIbLb0EES11_EEDaSW_SX_EUlSW_E_NS1_11comp_targetILNS1_3genE3ELNS1_11target_archE908ELNS1_3gpuE7ELNS1_3repE0EEENS1_30default_config_static_selectorELNS0_4arch9wavefront6targetE0EEEvT1_.has_recursion, 0
	.set _ZN7rocprim17ROCPRIM_400000_NS6detail17trampoline_kernelINS0_14default_configENS1_27scan_by_key_config_selectorIixEEZZNS1_16scan_by_key_implILNS1_25lookback_scan_determinismE0ELb1ES3_N6thrust23THRUST_200600_302600_NS6detail15normal_iteratorINS9_10device_ptrIiEEEENSB_INSC_IxEEEESG_xNS9_4plusIvEENS9_8equal_toIvEExEE10hipError_tPvRmT2_T3_T4_T5_mT6_T7_P12ihipStream_tbENKUlT_T0_E_clISt17integral_constantIbLb0EES11_EEDaSW_SX_EUlSW_E_NS1_11comp_targetILNS1_3genE3ELNS1_11target_archE908ELNS1_3gpuE7ELNS1_3repE0EEENS1_30default_config_static_selectorELNS0_4arch9wavefront6targetE0EEEvT1_.has_indirect_call, 0
	.section	.AMDGPU.csdata,"",@progbits
; Kernel info:
; codeLenInByte = 0
; TotalNumSgprs: 0
; NumVgprs: 0
; ScratchSize: 0
; MemoryBound: 0
; FloatMode: 240
; IeeeMode: 1
; LDSByteSize: 0 bytes/workgroup (compile time only)
; SGPRBlocks: 0
; VGPRBlocks: 0
; NumSGPRsForWavesPerEU: 1
; NumVGPRsForWavesPerEU: 1
; NamedBarCnt: 0
; Occupancy: 16
; WaveLimiterHint : 0
; COMPUTE_PGM_RSRC2:SCRATCH_EN: 0
; COMPUTE_PGM_RSRC2:USER_SGPR: 2
; COMPUTE_PGM_RSRC2:TRAP_HANDLER: 0
; COMPUTE_PGM_RSRC2:TGID_X_EN: 1
; COMPUTE_PGM_RSRC2:TGID_Y_EN: 0
; COMPUTE_PGM_RSRC2:TGID_Z_EN: 0
; COMPUTE_PGM_RSRC2:TIDIG_COMP_CNT: 0
	.section	.text._ZN7rocprim17ROCPRIM_400000_NS6detail17trampoline_kernelINS0_14default_configENS1_27scan_by_key_config_selectorIixEEZZNS1_16scan_by_key_implILNS1_25lookback_scan_determinismE0ELb1ES3_N6thrust23THRUST_200600_302600_NS6detail15normal_iteratorINS9_10device_ptrIiEEEENSB_INSC_IxEEEESG_xNS9_4plusIvEENS9_8equal_toIvEExEE10hipError_tPvRmT2_T3_T4_T5_mT6_T7_P12ihipStream_tbENKUlT_T0_E_clISt17integral_constantIbLb0EES11_EEDaSW_SX_EUlSW_E_NS1_11comp_targetILNS1_3genE2ELNS1_11target_archE906ELNS1_3gpuE6ELNS1_3repE0EEENS1_30default_config_static_selectorELNS0_4arch9wavefront6targetE0EEEvT1_,"axG",@progbits,_ZN7rocprim17ROCPRIM_400000_NS6detail17trampoline_kernelINS0_14default_configENS1_27scan_by_key_config_selectorIixEEZZNS1_16scan_by_key_implILNS1_25lookback_scan_determinismE0ELb1ES3_N6thrust23THRUST_200600_302600_NS6detail15normal_iteratorINS9_10device_ptrIiEEEENSB_INSC_IxEEEESG_xNS9_4plusIvEENS9_8equal_toIvEExEE10hipError_tPvRmT2_T3_T4_T5_mT6_T7_P12ihipStream_tbENKUlT_T0_E_clISt17integral_constantIbLb0EES11_EEDaSW_SX_EUlSW_E_NS1_11comp_targetILNS1_3genE2ELNS1_11target_archE906ELNS1_3gpuE6ELNS1_3repE0EEENS1_30default_config_static_selectorELNS0_4arch9wavefront6targetE0EEEvT1_,comdat
	.protected	_ZN7rocprim17ROCPRIM_400000_NS6detail17trampoline_kernelINS0_14default_configENS1_27scan_by_key_config_selectorIixEEZZNS1_16scan_by_key_implILNS1_25lookback_scan_determinismE0ELb1ES3_N6thrust23THRUST_200600_302600_NS6detail15normal_iteratorINS9_10device_ptrIiEEEENSB_INSC_IxEEEESG_xNS9_4plusIvEENS9_8equal_toIvEExEE10hipError_tPvRmT2_T3_T4_T5_mT6_T7_P12ihipStream_tbENKUlT_T0_E_clISt17integral_constantIbLb0EES11_EEDaSW_SX_EUlSW_E_NS1_11comp_targetILNS1_3genE2ELNS1_11target_archE906ELNS1_3gpuE6ELNS1_3repE0EEENS1_30default_config_static_selectorELNS0_4arch9wavefront6targetE0EEEvT1_ ; -- Begin function _ZN7rocprim17ROCPRIM_400000_NS6detail17trampoline_kernelINS0_14default_configENS1_27scan_by_key_config_selectorIixEEZZNS1_16scan_by_key_implILNS1_25lookback_scan_determinismE0ELb1ES3_N6thrust23THRUST_200600_302600_NS6detail15normal_iteratorINS9_10device_ptrIiEEEENSB_INSC_IxEEEESG_xNS9_4plusIvEENS9_8equal_toIvEExEE10hipError_tPvRmT2_T3_T4_T5_mT6_T7_P12ihipStream_tbENKUlT_T0_E_clISt17integral_constantIbLb0EES11_EEDaSW_SX_EUlSW_E_NS1_11comp_targetILNS1_3genE2ELNS1_11target_archE906ELNS1_3gpuE6ELNS1_3repE0EEENS1_30default_config_static_selectorELNS0_4arch9wavefront6targetE0EEEvT1_
	.globl	_ZN7rocprim17ROCPRIM_400000_NS6detail17trampoline_kernelINS0_14default_configENS1_27scan_by_key_config_selectorIixEEZZNS1_16scan_by_key_implILNS1_25lookback_scan_determinismE0ELb1ES3_N6thrust23THRUST_200600_302600_NS6detail15normal_iteratorINS9_10device_ptrIiEEEENSB_INSC_IxEEEESG_xNS9_4plusIvEENS9_8equal_toIvEExEE10hipError_tPvRmT2_T3_T4_T5_mT6_T7_P12ihipStream_tbENKUlT_T0_E_clISt17integral_constantIbLb0EES11_EEDaSW_SX_EUlSW_E_NS1_11comp_targetILNS1_3genE2ELNS1_11target_archE906ELNS1_3gpuE6ELNS1_3repE0EEENS1_30default_config_static_selectorELNS0_4arch9wavefront6targetE0EEEvT1_
	.p2align	8
	.type	_ZN7rocprim17ROCPRIM_400000_NS6detail17trampoline_kernelINS0_14default_configENS1_27scan_by_key_config_selectorIixEEZZNS1_16scan_by_key_implILNS1_25lookback_scan_determinismE0ELb1ES3_N6thrust23THRUST_200600_302600_NS6detail15normal_iteratorINS9_10device_ptrIiEEEENSB_INSC_IxEEEESG_xNS9_4plusIvEENS9_8equal_toIvEExEE10hipError_tPvRmT2_T3_T4_T5_mT6_T7_P12ihipStream_tbENKUlT_T0_E_clISt17integral_constantIbLb0EES11_EEDaSW_SX_EUlSW_E_NS1_11comp_targetILNS1_3genE2ELNS1_11target_archE906ELNS1_3gpuE6ELNS1_3repE0EEENS1_30default_config_static_selectorELNS0_4arch9wavefront6targetE0EEEvT1_,@function
_ZN7rocprim17ROCPRIM_400000_NS6detail17trampoline_kernelINS0_14default_configENS1_27scan_by_key_config_selectorIixEEZZNS1_16scan_by_key_implILNS1_25lookback_scan_determinismE0ELb1ES3_N6thrust23THRUST_200600_302600_NS6detail15normal_iteratorINS9_10device_ptrIiEEEENSB_INSC_IxEEEESG_xNS9_4plusIvEENS9_8equal_toIvEExEE10hipError_tPvRmT2_T3_T4_T5_mT6_T7_P12ihipStream_tbENKUlT_T0_E_clISt17integral_constantIbLb0EES11_EEDaSW_SX_EUlSW_E_NS1_11comp_targetILNS1_3genE2ELNS1_11target_archE906ELNS1_3gpuE6ELNS1_3repE0EEENS1_30default_config_static_selectorELNS0_4arch9wavefront6targetE0EEEvT1_: ; @_ZN7rocprim17ROCPRIM_400000_NS6detail17trampoline_kernelINS0_14default_configENS1_27scan_by_key_config_selectorIixEEZZNS1_16scan_by_key_implILNS1_25lookback_scan_determinismE0ELb1ES3_N6thrust23THRUST_200600_302600_NS6detail15normal_iteratorINS9_10device_ptrIiEEEENSB_INSC_IxEEEESG_xNS9_4plusIvEENS9_8equal_toIvEExEE10hipError_tPvRmT2_T3_T4_T5_mT6_T7_P12ihipStream_tbENKUlT_T0_E_clISt17integral_constantIbLb0EES11_EEDaSW_SX_EUlSW_E_NS1_11comp_targetILNS1_3genE2ELNS1_11target_archE906ELNS1_3gpuE6ELNS1_3repE0EEENS1_30default_config_static_selectorELNS0_4arch9wavefront6targetE0EEEvT1_
; %bb.0:
	.section	.rodata,"a",@progbits
	.p2align	6, 0x0
	.amdhsa_kernel _ZN7rocprim17ROCPRIM_400000_NS6detail17trampoline_kernelINS0_14default_configENS1_27scan_by_key_config_selectorIixEEZZNS1_16scan_by_key_implILNS1_25lookback_scan_determinismE0ELb1ES3_N6thrust23THRUST_200600_302600_NS6detail15normal_iteratorINS9_10device_ptrIiEEEENSB_INSC_IxEEEESG_xNS9_4plusIvEENS9_8equal_toIvEExEE10hipError_tPvRmT2_T3_T4_T5_mT6_T7_P12ihipStream_tbENKUlT_T0_E_clISt17integral_constantIbLb0EES11_EEDaSW_SX_EUlSW_E_NS1_11comp_targetILNS1_3genE2ELNS1_11target_archE906ELNS1_3gpuE6ELNS1_3repE0EEENS1_30default_config_static_selectorELNS0_4arch9wavefront6targetE0EEEvT1_
		.amdhsa_group_segment_fixed_size 0
		.amdhsa_private_segment_fixed_size 0
		.amdhsa_kernarg_size 136
		.amdhsa_user_sgpr_count 2
		.amdhsa_user_sgpr_dispatch_ptr 0
		.amdhsa_user_sgpr_queue_ptr 0
		.amdhsa_user_sgpr_kernarg_segment_ptr 1
		.amdhsa_user_sgpr_dispatch_id 0
		.amdhsa_user_sgpr_kernarg_preload_length 0
		.amdhsa_user_sgpr_kernarg_preload_offset 0
		.amdhsa_user_sgpr_private_segment_size 0
		.amdhsa_wavefront_size32 1
		.amdhsa_uses_dynamic_stack 0
		.amdhsa_enable_private_segment 0
		.amdhsa_system_sgpr_workgroup_id_x 1
		.amdhsa_system_sgpr_workgroup_id_y 0
		.amdhsa_system_sgpr_workgroup_id_z 0
		.amdhsa_system_sgpr_workgroup_info 0
		.amdhsa_system_vgpr_workitem_id 0
		.amdhsa_next_free_vgpr 1
		.amdhsa_next_free_sgpr 1
		.amdhsa_named_barrier_count 0
		.amdhsa_reserve_vcc 0
		.amdhsa_float_round_mode_32 0
		.amdhsa_float_round_mode_16_64 0
		.amdhsa_float_denorm_mode_32 3
		.amdhsa_float_denorm_mode_16_64 3
		.amdhsa_fp16_overflow 0
		.amdhsa_memory_ordered 1
		.amdhsa_forward_progress 1
		.amdhsa_inst_pref_size 0
		.amdhsa_round_robin_scheduling 0
		.amdhsa_exception_fp_ieee_invalid_op 0
		.amdhsa_exception_fp_denorm_src 0
		.amdhsa_exception_fp_ieee_div_zero 0
		.amdhsa_exception_fp_ieee_overflow 0
		.amdhsa_exception_fp_ieee_underflow 0
		.amdhsa_exception_fp_ieee_inexact 0
		.amdhsa_exception_int_div_zero 0
	.end_amdhsa_kernel
	.section	.text._ZN7rocprim17ROCPRIM_400000_NS6detail17trampoline_kernelINS0_14default_configENS1_27scan_by_key_config_selectorIixEEZZNS1_16scan_by_key_implILNS1_25lookback_scan_determinismE0ELb1ES3_N6thrust23THRUST_200600_302600_NS6detail15normal_iteratorINS9_10device_ptrIiEEEENSB_INSC_IxEEEESG_xNS9_4plusIvEENS9_8equal_toIvEExEE10hipError_tPvRmT2_T3_T4_T5_mT6_T7_P12ihipStream_tbENKUlT_T0_E_clISt17integral_constantIbLb0EES11_EEDaSW_SX_EUlSW_E_NS1_11comp_targetILNS1_3genE2ELNS1_11target_archE906ELNS1_3gpuE6ELNS1_3repE0EEENS1_30default_config_static_selectorELNS0_4arch9wavefront6targetE0EEEvT1_,"axG",@progbits,_ZN7rocprim17ROCPRIM_400000_NS6detail17trampoline_kernelINS0_14default_configENS1_27scan_by_key_config_selectorIixEEZZNS1_16scan_by_key_implILNS1_25lookback_scan_determinismE0ELb1ES3_N6thrust23THRUST_200600_302600_NS6detail15normal_iteratorINS9_10device_ptrIiEEEENSB_INSC_IxEEEESG_xNS9_4plusIvEENS9_8equal_toIvEExEE10hipError_tPvRmT2_T3_T4_T5_mT6_T7_P12ihipStream_tbENKUlT_T0_E_clISt17integral_constantIbLb0EES11_EEDaSW_SX_EUlSW_E_NS1_11comp_targetILNS1_3genE2ELNS1_11target_archE906ELNS1_3gpuE6ELNS1_3repE0EEENS1_30default_config_static_selectorELNS0_4arch9wavefront6targetE0EEEvT1_,comdat
.Lfunc_end1576:
	.size	_ZN7rocprim17ROCPRIM_400000_NS6detail17trampoline_kernelINS0_14default_configENS1_27scan_by_key_config_selectorIixEEZZNS1_16scan_by_key_implILNS1_25lookback_scan_determinismE0ELb1ES3_N6thrust23THRUST_200600_302600_NS6detail15normal_iteratorINS9_10device_ptrIiEEEENSB_INSC_IxEEEESG_xNS9_4plusIvEENS9_8equal_toIvEExEE10hipError_tPvRmT2_T3_T4_T5_mT6_T7_P12ihipStream_tbENKUlT_T0_E_clISt17integral_constantIbLb0EES11_EEDaSW_SX_EUlSW_E_NS1_11comp_targetILNS1_3genE2ELNS1_11target_archE906ELNS1_3gpuE6ELNS1_3repE0EEENS1_30default_config_static_selectorELNS0_4arch9wavefront6targetE0EEEvT1_, .Lfunc_end1576-_ZN7rocprim17ROCPRIM_400000_NS6detail17trampoline_kernelINS0_14default_configENS1_27scan_by_key_config_selectorIixEEZZNS1_16scan_by_key_implILNS1_25lookback_scan_determinismE0ELb1ES3_N6thrust23THRUST_200600_302600_NS6detail15normal_iteratorINS9_10device_ptrIiEEEENSB_INSC_IxEEEESG_xNS9_4plusIvEENS9_8equal_toIvEExEE10hipError_tPvRmT2_T3_T4_T5_mT6_T7_P12ihipStream_tbENKUlT_T0_E_clISt17integral_constantIbLb0EES11_EEDaSW_SX_EUlSW_E_NS1_11comp_targetILNS1_3genE2ELNS1_11target_archE906ELNS1_3gpuE6ELNS1_3repE0EEENS1_30default_config_static_selectorELNS0_4arch9wavefront6targetE0EEEvT1_
                                        ; -- End function
	.set _ZN7rocprim17ROCPRIM_400000_NS6detail17trampoline_kernelINS0_14default_configENS1_27scan_by_key_config_selectorIixEEZZNS1_16scan_by_key_implILNS1_25lookback_scan_determinismE0ELb1ES3_N6thrust23THRUST_200600_302600_NS6detail15normal_iteratorINS9_10device_ptrIiEEEENSB_INSC_IxEEEESG_xNS9_4plusIvEENS9_8equal_toIvEExEE10hipError_tPvRmT2_T3_T4_T5_mT6_T7_P12ihipStream_tbENKUlT_T0_E_clISt17integral_constantIbLb0EES11_EEDaSW_SX_EUlSW_E_NS1_11comp_targetILNS1_3genE2ELNS1_11target_archE906ELNS1_3gpuE6ELNS1_3repE0EEENS1_30default_config_static_selectorELNS0_4arch9wavefront6targetE0EEEvT1_.num_vgpr, 0
	.set _ZN7rocprim17ROCPRIM_400000_NS6detail17trampoline_kernelINS0_14default_configENS1_27scan_by_key_config_selectorIixEEZZNS1_16scan_by_key_implILNS1_25lookback_scan_determinismE0ELb1ES3_N6thrust23THRUST_200600_302600_NS6detail15normal_iteratorINS9_10device_ptrIiEEEENSB_INSC_IxEEEESG_xNS9_4plusIvEENS9_8equal_toIvEExEE10hipError_tPvRmT2_T3_T4_T5_mT6_T7_P12ihipStream_tbENKUlT_T0_E_clISt17integral_constantIbLb0EES11_EEDaSW_SX_EUlSW_E_NS1_11comp_targetILNS1_3genE2ELNS1_11target_archE906ELNS1_3gpuE6ELNS1_3repE0EEENS1_30default_config_static_selectorELNS0_4arch9wavefront6targetE0EEEvT1_.num_agpr, 0
	.set _ZN7rocprim17ROCPRIM_400000_NS6detail17trampoline_kernelINS0_14default_configENS1_27scan_by_key_config_selectorIixEEZZNS1_16scan_by_key_implILNS1_25lookback_scan_determinismE0ELb1ES3_N6thrust23THRUST_200600_302600_NS6detail15normal_iteratorINS9_10device_ptrIiEEEENSB_INSC_IxEEEESG_xNS9_4plusIvEENS9_8equal_toIvEExEE10hipError_tPvRmT2_T3_T4_T5_mT6_T7_P12ihipStream_tbENKUlT_T0_E_clISt17integral_constantIbLb0EES11_EEDaSW_SX_EUlSW_E_NS1_11comp_targetILNS1_3genE2ELNS1_11target_archE906ELNS1_3gpuE6ELNS1_3repE0EEENS1_30default_config_static_selectorELNS0_4arch9wavefront6targetE0EEEvT1_.numbered_sgpr, 0
	.set _ZN7rocprim17ROCPRIM_400000_NS6detail17trampoline_kernelINS0_14default_configENS1_27scan_by_key_config_selectorIixEEZZNS1_16scan_by_key_implILNS1_25lookback_scan_determinismE0ELb1ES3_N6thrust23THRUST_200600_302600_NS6detail15normal_iteratorINS9_10device_ptrIiEEEENSB_INSC_IxEEEESG_xNS9_4plusIvEENS9_8equal_toIvEExEE10hipError_tPvRmT2_T3_T4_T5_mT6_T7_P12ihipStream_tbENKUlT_T0_E_clISt17integral_constantIbLb0EES11_EEDaSW_SX_EUlSW_E_NS1_11comp_targetILNS1_3genE2ELNS1_11target_archE906ELNS1_3gpuE6ELNS1_3repE0EEENS1_30default_config_static_selectorELNS0_4arch9wavefront6targetE0EEEvT1_.num_named_barrier, 0
	.set _ZN7rocprim17ROCPRIM_400000_NS6detail17trampoline_kernelINS0_14default_configENS1_27scan_by_key_config_selectorIixEEZZNS1_16scan_by_key_implILNS1_25lookback_scan_determinismE0ELb1ES3_N6thrust23THRUST_200600_302600_NS6detail15normal_iteratorINS9_10device_ptrIiEEEENSB_INSC_IxEEEESG_xNS9_4plusIvEENS9_8equal_toIvEExEE10hipError_tPvRmT2_T3_T4_T5_mT6_T7_P12ihipStream_tbENKUlT_T0_E_clISt17integral_constantIbLb0EES11_EEDaSW_SX_EUlSW_E_NS1_11comp_targetILNS1_3genE2ELNS1_11target_archE906ELNS1_3gpuE6ELNS1_3repE0EEENS1_30default_config_static_selectorELNS0_4arch9wavefront6targetE0EEEvT1_.private_seg_size, 0
	.set _ZN7rocprim17ROCPRIM_400000_NS6detail17trampoline_kernelINS0_14default_configENS1_27scan_by_key_config_selectorIixEEZZNS1_16scan_by_key_implILNS1_25lookback_scan_determinismE0ELb1ES3_N6thrust23THRUST_200600_302600_NS6detail15normal_iteratorINS9_10device_ptrIiEEEENSB_INSC_IxEEEESG_xNS9_4plusIvEENS9_8equal_toIvEExEE10hipError_tPvRmT2_T3_T4_T5_mT6_T7_P12ihipStream_tbENKUlT_T0_E_clISt17integral_constantIbLb0EES11_EEDaSW_SX_EUlSW_E_NS1_11comp_targetILNS1_3genE2ELNS1_11target_archE906ELNS1_3gpuE6ELNS1_3repE0EEENS1_30default_config_static_selectorELNS0_4arch9wavefront6targetE0EEEvT1_.uses_vcc, 0
	.set _ZN7rocprim17ROCPRIM_400000_NS6detail17trampoline_kernelINS0_14default_configENS1_27scan_by_key_config_selectorIixEEZZNS1_16scan_by_key_implILNS1_25lookback_scan_determinismE0ELb1ES3_N6thrust23THRUST_200600_302600_NS6detail15normal_iteratorINS9_10device_ptrIiEEEENSB_INSC_IxEEEESG_xNS9_4plusIvEENS9_8equal_toIvEExEE10hipError_tPvRmT2_T3_T4_T5_mT6_T7_P12ihipStream_tbENKUlT_T0_E_clISt17integral_constantIbLb0EES11_EEDaSW_SX_EUlSW_E_NS1_11comp_targetILNS1_3genE2ELNS1_11target_archE906ELNS1_3gpuE6ELNS1_3repE0EEENS1_30default_config_static_selectorELNS0_4arch9wavefront6targetE0EEEvT1_.uses_flat_scratch, 0
	.set _ZN7rocprim17ROCPRIM_400000_NS6detail17trampoline_kernelINS0_14default_configENS1_27scan_by_key_config_selectorIixEEZZNS1_16scan_by_key_implILNS1_25lookback_scan_determinismE0ELb1ES3_N6thrust23THRUST_200600_302600_NS6detail15normal_iteratorINS9_10device_ptrIiEEEENSB_INSC_IxEEEESG_xNS9_4plusIvEENS9_8equal_toIvEExEE10hipError_tPvRmT2_T3_T4_T5_mT6_T7_P12ihipStream_tbENKUlT_T0_E_clISt17integral_constantIbLb0EES11_EEDaSW_SX_EUlSW_E_NS1_11comp_targetILNS1_3genE2ELNS1_11target_archE906ELNS1_3gpuE6ELNS1_3repE0EEENS1_30default_config_static_selectorELNS0_4arch9wavefront6targetE0EEEvT1_.has_dyn_sized_stack, 0
	.set _ZN7rocprim17ROCPRIM_400000_NS6detail17trampoline_kernelINS0_14default_configENS1_27scan_by_key_config_selectorIixEEZZNS1_16scan_by_key_implILNS1_25lookback_scan_determinismE0ELb1ES3_N6thrust23THRUST_200600_302600_NS6detail15normal_iteratorINS9_10device_ptrIiEEEENSB_INSC_IxEEEESG_xNS9_4plusIvEENS9_8equal_toIvEExEE10hipError_tPvRmT2_T3_T4_T5_mT6_T7_P12ihipStream_tbENKUlT_T0_E_clISt17integral_constantIbLb0EES11_EEDaSW_SX_EUlSW_E_NS1_11comp_targetILNS1_3genE2ELNS1_11target_archE906ELNS1_3gpuE6ELNS1_3repE0EEENS1_30default_config_static_selectorELNS0_4arch9wavefront6targetE0EEEvT1_.has_recursion, 0
	.set _ZN7rocprim17ROCPRIM_400000_NS6detail17trampoline_kernelINS0_14default_configENS1_27scan_by_key_config_selectorIixEEZZNS1_16scan_by_key_implILNS1_25lookback_scan_determinismE0ELb1ES3_N6thrust23THRUST_200600_302600_NS6detail15normal_iteratorINS9_10device_ptrIiEEEENSB_INSC_IxEEEESG_xNS9_4plusIvEENS9_8equal_toIvEExEE10hipError_tPvRmT2_T3_T4_T5_mT6_T7_P12ihipStream_tbENKUlT_T0_E_clISt17integral_constantIbLb0EES11_EEDaSW_SX_EUlSW_E_NS1_11comp_targetILNS1_3genE2ELNS1_11target_archE906ELNS1_3gpuE6ELNS1_3repE0EEENS1_30default_config_static_selectorELNS0_4arch9wavefront6targetE0EEEvT1_.has_indirect_call, 0
	.section	.AMDGPU.csdata,"",@progbits
; Kernel info:
; codeLenInByte = 0
; TotalNumSgprs: 0
; NumVgprs: 0
; ScratchSize: 0
; MemoryBound: 0
; FloatMode: 240
; IeeeMode: 1
; LDSByteSize: 0 bytes/workgroup (compile time only)
; SGPRBlocks: 0
; VGPRBlocks: 0
; NumSGPRsForWavesPerEU: 1
; NumVGPRsForWavesPerEU: 1
; NamedBarCnt: 0
; Occupancy: 16
; WaveLimiterHint : 0
; COMPUTE_PGM_RSRC2:SCRATCH_EN: 0
; COMPUTE_PGM_RSRC2:USER_SGPR: 2
; COMPUTE_PGM_RSRC2:TRAP_HANDLER: 0
; COMPUTE_PGM_RSRC2:TGID_X_EN: 1
; COMPUTE_PGM_RSRC2:TGID_Y_EN: 0
; COMPUTE_PGM_RSRC2:TGID_Z_EN: 0
; COMPUTE_PGM_RSRC2:TIDIG_COMP_CNT: 0
	.section	.text._ZN7rocprim17ROCPRIM_400000_NS6detail17trampoline_kernelINS0_14default_configENS1_27scan_by_key_config_selectorIixEEZZNS1_16scan_by_key_implILNS1_25lookback_scan_determinismE0ELb1ES3_N6thrust23THRUST_200600_302600_NS6detail15normal_iteratorINS9_10device_ptrIiEEEENSB_INSC_IxEEEESG_xNS9_4plusIvEENS9_8equal_toIvEExEE10hipError_tPvRmT2_T3_T4_T5_mT6_T7_P12ihipStream_tbENKUlT_T0_E_clISt17integral_constantIbLb0EES11_EEDaSW_SX_EUlSW_E_NS1_11comp_targetILNS1_3genE10ELNS1_11target_archE1200ELNS1_3gpuE4ELNS1_3repE0EEENS1_30default_config_static_selectorELNS0_4arch9wavefront6targetE0EEEvT1_,"axG",@progbits,_ZN7rocprim17ROCPRIM_400000_NS6detail17trampoline_kernelINS0_14default_configENS1_27scan_by_key_config_selectorIixEEZZNS1_16scan_by_key_implILNS1_25lookback_scan_determinismE0ELb1ES3_N6thrust23THRUST_200600_302600_NS6detail15normal_iteratorINS9_10device_ptrIiEEEENSB_INSC_IxEEEESG_xNS9_4plusIvEENS9_8equal_toIvEExEE10hipError_tPvRmT2_T3_T4_T5_mT6_T7_P12ihipStream_tbENKUlT_T0_E_clISt17integral_constantIbLb0EES11_EEDaSW_SX_EUlSW_E_NS1_11comp_targetILNS1_3genE10ELNS1_11target_archE1200ELNS1_3gpuE4ELNS1_3repE0EEENS1_30default_config_static_selectorELNS0_4arch9wavefront6targetE0EEEvT1_,comdat
	.protected	_ZN7rocprim17ROCPRIM_400000_NS6detail17trampoline_kernelINS0_14default_configENS1_27scan_by_key_config_selectorIixEEZZNS1_16scan_by_key_implILNS1_25lookback_scan_determinismE0ELb1ES3_N6thrust23THRUST_200600_302600_NS6detail15normal_iteratorINS9_10device_ptrIiEEEENSB_INSC_IxEEEESG_xNS9_4plusIvEENS9_8equal_toIvEExEE10hipError_tPvRmT2_T3_T4_T5_mT6_T7_P12ihipStream_tbENKUlT_T0_E_clISt17integral_constantIbLb0EES11_EEDaSW_SX_EUlSW_E_NS1_11comp_targetILNS1_3genE10ELNS1_11target_archE1200ELNS1_3gpuE4ELNS1_3repE0EEENS1_30default_config_static_selectorELNS0_4arch9wavefront6targetE0EEEvT1_ ; -- Begin function _ZN7rocprim17ROCPRIM_400000_NS6detail17trampoline_kernelINS0_14default_configENS1_27scan_by_key_config_selectorIixEEZZNS1_16scan_by_key_implILNS1_25lookback_scan_determinismE0ELb1ES3_N6thrust23THRUST_200600_302600_NS6detail15normal_iteratorINS9_10device_ptrIiEEEENSB_INSC_IxEEEESG_xNS9_4plusIvEENS9_8equal_toIvEExEE10hipError_tPvRmT2_T3_T4_T5_mT6_T7_P12ihipStream_tbENKUlT_T0_E_clISt17integral_constantIbLb0EES11_EEDaSW_SX_EUlSW_E_NS1_11comp_targetILNS1_3genE10ELNS1_11target_archE1200ELNS1_3gpuE4ELNS1_3repE0EEENS1_30default_config_static_selectorELNS0_4arch9wavefront6targetE0EEEvT1_
	.globl	_ZN7rocprim17ROCPRIM_400000_NS6detail17trampoline_kernelINS0_14default_configENS1_27scan_by_key_config_selectorIixEEZZNS1_16scan_by_key_implILNS1_25lookback_scan_determinismE0ELb1ES3_N6thrust23THRUST_200600_302600_NS6detail15normal_iteratorINS9_10device_ptrIiEEEENSB_INSC_IxEEEESG_xNS9_4plusIvEENS9_8equal_toIvEExEE10hipError_tPvRmT2_T3_T4_T5_mT6_T7_P12ihipStream_tbENKUlT_T0_E_clISt17integral_constantIbLb0EES11_EEDaSW_SX_EUlSW_E_NS1_11comp_targetILNS1_3genE10ELNS1_11target_archE1200ELNS1_3gpuE4ELNS1_3repE0EEENS1_30default_config_static_selectorELNS0_4arch9wavefront6targetE0EEEvT1_
	.p2align	8
	.type	_ZN7rocprim17ROCPRIM_400000_NS6detail17trampoline_kernelINS0_14default_configENS1_27scan_by_key_config_selectorIixEEZZNS1_16scan_by_key_implILNS1_25lookback_scan_determinismE0ELb1ES3_N6thrust23THRUST_200600_302600_NS6detail15normal_iteratorINS9_10device_ptrIiEEEENSB_INSC_IxEEEESG_xNS9_4plusIvEENS9_8equal_toIvEExEE10hipError_tPvRmT2_T3_T4_T5_mT6_T7_P12ihipStream_tbENKUlT_T0_E_clISt17integral_constantIbLb0EES11_EEDaSW_SX_EUlSW_E_NS1_11comp_targetILNS1_3genE10ELNS1_11target_archE1200ELNS1_3gpuE4ELNS1_3repE0EEENS1_30default_config_static_selectorELNS0_4arch9wavefront6targetE0EEEvT1_,@function
_ZN7rocprim17ROCPRIM_400000_NS6detail17trampoline_kernelINS0_14default_configENS1_27scan_by_key_config_selectorIixEEZZNS1_16scan_by_key_implILNS1_25lookback_scan_determinismE0ELb1ES3_N6thrust23THRUST_200600_302600_NS6detail15normal_iteratorINS9_10device_ptrIiEEEENSB_INSC_IxEEEESG_xNS9_4plusIvEENS9_8equal_toIvEExEE10hipError_tPvRmT2_T3_T4_T5_mT6_T7_P12ihipStream_tbENKUlT_T0_E_clISt17integral_constantIbLb0EES11_EEDaSW_SX_EUlSW_E_NS1_11comp_targetILNS1_3genE10ELNS1_11target_archE1200ELNS1_3gpuE4ELNS1_3repE0EEENS1_30default_config_static_selectorELNS0_4arch9wavefront6targetE0EEEvT1_: ; @_ZN7rocprim17ROCPRIM_400000_NS6detail17trampoline_kernelINS0_14default_configENS1_27scan_by_key_config_selectorIixEEZZNS1_16scan_by_key_implILNS1_25lookback_scan_determinismE0ELb1ES3_N6thrust23THRUST_200600_302600_NS6detail15normal_iteratorINS9_10device_ptrIiEEEENSB_INSC_IxEEEESG_xNS9_4plusIvEENS9_8equal_toIvEExEE10hipError_tPvRmT2_T3_T4_T5_mT6_T7_P12ihipStream_tbENKUlT_T0_E_clISt17integral_constantIbLb0EES11_EEDaSW_SX_EUlSW_E_NS1_11comp_targetILNS1_3genE10ELNS1_11target_archE1200ELNS1_3gpuE4ELNS1_3repE0EEENS1_30default_config_static_selectorELNS0_4arch9wavefront6targetE0EEEvT1_
; %bb.0:
	.section	.rodata,"a",@progbits
	.p2align	6, 0x0
	.amdhsa_kernel _ZN7rocprim17ROCPRIM_400000_NS6detail17trampoline_kernelINS0_14default_configENS1_27scan_by_key_config_selectorIixEEZZNS1_16scan_by_key_implILNS1_25lookback_scan_determinismE0ELb1ES3_N6thrust23THRUST_200600_302600_NS6detail15normal_iteratorINS9_10device_ptrIiEEEENSB_INSC_IxEEEESG_xNS9_4plusIvEENS9_8equal_toIvEExEE10hipError_tPvRmT2_T3_T4_T5_mT6_T7_P12ihipStream_tbENKUlT_T0_E_clISt17integral_constantIbLb0EES11_EEDaSW_SX_EUlSW_E_NS1_11comp_targetILNS1_3genE10ELNS1_11target_archE1200ELNS1_3gpuE4ELNS1_3repE0EEENS1_30default_config_static_selectorELNS0_4arch9wavefront6targetE0EEEvT1_
		.amdhsa_group_segment_fixed_size 0
		.amdhsa_private_segment_fixed_size 0
		.amdhsa_kernarg_size 136
		.amdhsa_user_sgpr_count 2
		.amdhsa_user_sgpr_dispatch_ptr 0
		.amdhsa_user_sgpr_queue_ptr 0
		.amdhsa_user_sgpr_kernarg_segment_ptr 1
		.amdhsa_user_sgpr_dispatch_id 0
		.amdhsa_user_sgpr_kernarg_preload_length 0
		.amdhsa_user_sgpr_kernarg_preload_offset 0
		.amdhsa_user_sgpr_private_segment_size 0
		.amdhsa_wavefront_size32 1
		.amdhsa_uses_dynamic_stack 0
		.amdhsa_enable_private_segment 0
		.amdhsa_system_sgpr_workgroup_id_x 1
		.amdhsa_system_sgpr_workgroup_id_y 0
		.amdhsa_system_sgpr_workgroup_id_z 0
		.amdhsa_system_sgpr_workgroup_info 0
		.amdhsa_system_vgpr_workitem_id 0
		.amdhsa_next_free_vgpr 1
		.amdhsa_next_free_sgpr 1
		.amdhsa_named_barrier_count 0
		.amdhsa_reserve_vcc 0
		.amdhsa_float_round_mode_32 0
		.amdhsa_float_round_mode_16_64 0
		.amdhsa_float_denorm_mode_32 3
		.amdhsa_float_denorm_mode_16_64 3
		.amdhsa_fp16_overflow 0
		.amdhsa_memory_ordered 1
		.amdhsa_forward_progress 1
		.amdhsa_inst_pref_size 0
		.amdhsa_round_robin_scheduling 0
		.amdhsa_exception_fp_ieee_invalid_op 0
		.amdhsa_exception_fp_denorm_src 0
		.amdhsa_exception_fp_ieee_div_zero 0
		.amdhsa_exception_fp_ieee_overflow 0
		.amdhsa_exception_fp_ieee_underflow 0
		.amdhsa_exception_fp_ieee_inexact 0
		.amdhsa_exception_int_div_zero 0
	.end_amdhsa_kernel
	.section	.text._ZN7rocprim17ROCPRIM_400000_NS6detail17trampoline_kernelINS0_14default_configENS1_27scan_by_key_config_selectorIixEEZZNS1_16scan_by_key_implILNS1_25lookback_scan_determinismE0ELb1ES3_N6thrust23THRUST_200600_302600_NS6detail15normal_iteratorINS9_10device_ptrIiEEEENSB_INSC_IxEEEESG_xNS9_4plusIvEENS9_8equal_toIvEExEE10hipError_tPvRmT2_T3_T4_T5_mT6_T7_P12ihipStream_tbENKUlT_T0_E_clISt17integral_constantIbLb0EES11_EEDaSW_SX_EUlSW_E_NS1_11comp_targetILNS1_3genE10ELNS1_11target_archE1200ELNS1_3gpuE4ELNS1_3repE0EEENS1_30default_config_static_selectorELNS0_4arch9wavefront6targetE0EEEvT1_,"axG",@progbits,_ZN7rocprim17ROCPRIM_400000_NS6detail17trampoline_kernelINS0_14default_configENS1_27scan_by_key_config_selectorIixEEZZNS1_16scan_by_key_implILNS1_25lookback_scan_determinismE0ELb1ES3_N6thrust23THRUST_200600_302600_NS6detail15normal_iteratorINS9_10device_ptrIiEEEENSB_INSC_IxEEEESG_xNS9_4plusIvEENS9_8equal_toIvEExEE10hipError_tPvRmT2_T3_T4_T5_mT6_T7_P12ihipStream_tbENKUlT_T0_E_clISt17integral_constantIbLb0EES11_EEDaSW_SX_EUlSW_E_NS1_11comp_targetILNS1_3genE10ELNS1_11target_archE1200ELNS1_3gpuE4ELNS1_3repE0EEENS1_30default_config_static_selectorELNS0_4arch9wavefront6targetE0EEEvT1_,comdat
.Lfunc_end1577:
	.size	_ZN7rocprim17ROCPRIM_400000_NS6detail17trampoline_kernelINS0_14default_configENS1_27scan_by_key_config_selectorIixEEZZNS1_16scan_by_key_implILNS1_25lookback_scan_determinismE0ELb1ES3_N6thrust23THRUST_200600_302600_NS6detail15normal_iteratorINS9_10device_ptrIiEEEENSB_INSC_IxEEEESG_xNS9_4plusIvEENS9_8equal_toIvEExEE10hipError_tPvRmT2_T3_T4_T5_mT6_T7_P12ihipStream_tbENKUlT_T0_E_clISt17integral_constantIbLb0EES11_EEDaSW_SX_EUlSW_E_NS1_11comp_targetILNS1_3genE10ELNS1_11target_archE1200ELNS1_3gpuE4ELNS1_3repE0EEENS1_30default_config_static_selectorELNS0_4arch9wavefront6targetE0EEEvT1_, .Lfunc_end1577-_ZN7rocprim17ROCPRIM_400000_NS6detail17trampoline_kernelINS0_14default_configENS1_27scan_by_key_config_selectorIixEEZZNS1_16scan_by_key_implILNS1_25lookback_scan_determinismE0ELb1ES3_N6thrust23THRUST_200600_302600_NS6detail15normal_iteratorINS9_10device_ptrIiEEEENSB_INSC_IxEEEESG_xNS9_4plusIvEENS9_8equal_toIvEExEE10hipError_tPvRmT2_T3_T4_T5_mT6_T7_P12ihipStream_tbENKUlT_T0_E_clISt17integral_constantIbLb0EES11_EEDaSW_SX_EUlSW_E_NS1_11comp_targetILNS1_3genE10ELNS1_11target_archE1200ELNS1_3gpuE4ELNS1_3repE0EEENS1_30default_config_static_selectorELNS0_4arch9wavefront6targetE0EEEvT1_
                                        ; -- End function
	.set _ZN7rocprim17ROCPRIM_400000_NS6detail17trampoline_kernelINS0_14default_configENS1_27scan_by_key_config_selectorIixEEZZNS1_16scan_by_key_implILNS1_25lookback_scan_determinismE0ELb1ES3_N6thrust23THRUST_200600_302600_NS6detail15normal_iteratorINS9_10device_ptrIiEEEENSB_INSC_IxEEEESG_xNS9_4plusIvEENS9_8equal_toIvEExEE10hipError_tPvRmT2_T3_T4_T5_mT6_T7_P12ihipStream_tbENKUlT_T0_E_clISt17integral_constantIbLb0EES11_EEDaSW_SX_EUlSW_E_NS1_11comp_targetILNS1_3genE10ELNS1_11target_archE1200ELNS1_3gpuE4ELNS1_3repE0EEENS1_30default_config_static_selectorELNS0_4arch9wavefront6targetE0EEEvT1_.num_vgpr, 0
	.set _ZN7rocprim17ROCPRIM_400000_NS6detail17trampoline_kernelINS0_14default_configENS1_27scan_by_key_config_selectorIixEEZZNS1_16scan_by_key_implILNS1_25lookback_scan_determinismE0ELb1ES3_N6thrust23THRUST_200600_302600_NS6detail15normal_iteratorINS9_10device_ptrIiEEEENSB_INSC_IxEEEESG_xNS9_4plusIvEENS9_8equal_toIvEExEE10hipError_tPvRmT2_T3_T4_T5_mT6_T7_P12ihipStream_tbENKUlT_T0_E_clISt17integral_constantIbLb0EES11_EEDaSW_SX_EUlSW_E_NS1_11comp_targetILNS1_3genE10ELNS1_11target_archE1200ELNS1_3gpuE4ELNS1_3repE0EEENS1_30default_config_static_selectorELNS0_4arch9wavefront6targetE0EEEvT1_.num_agpr, 0
	.set _ZN7rocprim17ROCPRIM_400000_NS6detail17trampoline_kernelINS0_14default_configENS1_27scan_by_key_config_selectorIixEEZZNS1_16scan_by_key_implILNS1_25lookback_scan_determinismE0ELb1ES3_N6thrust23THRUST_200600_302600_NS6detail15normal_iteratorINS9_10device_ptrIiEEEENSB_INSC_IxEEEESG_xNS9_4plusIvEENS9_8equal_toIvEExEE10hipError_tPvRmT2_T3_T4_T5_mT6_T7_P12ihipStream_tbENKUlT_T0_E_clISt17integral_constantIbLb0EES11_EEDaSW_SX_EUlSW_E_NS1_11comp_targetILNS1_3genE10ELNS1_11target_archE1200ELNS1_3gpuE4ELNS1_3repE0EEENS1_30default_config_static_selectorELNS0_4arch9wavefront6targetE0EEEvT1_.numbered_sgpr, 0
	.set _ZN7rocprim17ROCPRIM_400000_NS6detail17trampoline_kernelINS0_14default_configENS1_27scan_by_key_config_selectorIixEEZZNS1_16scan_by_key_implILNS1_25lookback_scan_determinismE0ELb1ES3_N6thrust23THRUST_200600_302600_NS6detail15normal_iteratorINS9_10device_ptrIiEEEENSB_INSC_IxEEEESG_xNS9_4plusIvEENS9_8equal_toIvEExEE10hipError_tPvRmT2_T3_T4_T5_mT6_T7_P12ihipStream_tbENKUlT_T0_E_clISt17integral_constantIbLb0EES11_EEDaSW_SX_EUlSW_E_NS1_11comp_targetILNS1_3genE10ELNS1_11target_archE1200ELNS1_3gpuE4ELNS1_3repE0EEENS1_30default_config_static_selectorELNS0_4arch9wavefront6targetE0EEEvT1_.num_named_barrier, 0
	.set _ZN7rocprim17ROCPRIM_400000_NS6detail17trampoline_kernelINS0_14default_configENS1_27scan_by_key_config_selectorIixEEZZNS1_16scan_by_key_implILNS1_25lookback_scan_determinismE0ELb1ES3_N6thrust23THRUST_200600_302600_NS6detail15normal_iteratorINS9_10device_ptrIiEEEENSB_INSC_IxEEEESG_xNS9_4plusIvEENS9_8equal_toIvEExEE10hipError_tPvRmT2_T3_T4_T5_mT6_T7_P12ihipStream_tbENKUlT_T0_E_clISt17integral_constantIbLb0EES11_EEDaSW_SX_EUlSW_E_NS1_11comp_targetILNS1_3genE10ELNS1_11target_archE1200ELNS1_3gpuE4ELNS1_3repE0EEENS1_30default_config_static_selectorELNS0_4arch9wavefront6targetE0EEEvT1_.private_seg_size, 0
	.set _ZN7rocprim17ROCPRIM_400000_NS6detail17trampoline_kernelINS0_14default_configENS1_27scan_by_key_config_selectorIixEEZZNS1_16scan_by_key_implILNS1_25lookback_scan_determinismE0ELb1ES3_N6thrust23THRUST_200600_302600_NS6detail15normal_iteratorINS9_10device_ptrIiEEEENSB_INSC_IxEEEESG_xNS9_4plusIvEENS9_8equal_toIvEExEE10hipError_tPvRmT2_T3_T4_T5_mT6_T7_P12ihipStream_tbENKUlT_T0_E_clISt17integral_constantIbLb0EES11_EEDaSW_SX_EUlSW_E_NS1_11comp_targetILNS1_3genE10ELNS1_11target_archE1200ELNS1_3gpuE4ELNS1_3repE0EEENS1_30default_config_static_selectorELNS0_4arch9wavefront6targetE0EEEvT1_.uses_vcc, 0
	.set _ZN7rocprim17ROCPRIM_400000_NS6detail17trampoline_kernelINS0_14default_configENS1_27scan_by_key_config_selectorIixEEZZNS1_16scan_by_key_implILNS1_25lookback_scan_determinismE0ELb1ES3_N6thrust23THRUST_200600_302600_NS6detail15normal_iteratorINS9_10device_ptrIiEEEENSB_INSC_IxEEEESG_xNS9_4plusIvEENS9_8equal_toIvEExEE10hipError_tPvRmT2_T3_T4_T5_mT6_T7_P12ihipStream_tbENKUlT_T0_E_clISt17integral_constantIbLb0EES11_EEDaSW_SX_EUlSW_E_NS1_11comp_targetILNS1_3genE10ELNS1_11target_archE1200ELNS1_3gpuE4ELNS1_3repE0EEENS1_30default_config_static_selectorELNS0_4arch9wavefront6targetE0EEEvT1_.uses_flat_scratch, 0
	.set _ZN7rocprim17ROCPRIM_400000_NS6detail17trampoline_kernelINS0_14default_configENS1_27scan_by_key_config_selectorIixEEZZNS1_16scan_by_key_implILNS1_25lookback_scan_determinismE0ELb1ES3_N6thrust23THRUST_200600_302600_NS6detail15normal_iteratorINS9_10device_ptrIiEEEENSB_INSC_IxEEEESG_xNS9_4plusIvEENS9_8equal_toIvEExEE10hipError_tPvRmT2_T3_T4_T5_mT6_T7_P12ihipStream_tbENKUlT_T0_E_clISt17integral_constantIbLb0EES11_EEDaSW_SX_EUlSW_E_NS1_11comp_targetILNS1_3genE10ELNS1_11target_archE1200ELNS1_3gpuE4ELNS1_3repE0EEENS1_30default_config_static_selectorELNS0_4arch9wavefront6targetE0EEEvT1_.has_dyn_sized_stack, 0
	.set _ZN7rocprim17ROCPRIM_400000_NS6detail17trampoline_kernelINS0_14default_configENS1_27scan_by_key_config_selectorIixEEZZNS1_16scan_by_key_implILNS1_25lookback_scan_determinismE0ELb1ES3_N6thrust23THRUST_200600_302600_NS6detail15normal_iteratorINS9_10device_ptrIiEEEENSB_INSC_IxEEEESG_xNS9_4plusIvEENS9_8equal_toIvEExEE10hipError_tPvRmT2_T3_T4_T5_mT6_T7_P12ihipStream_tbENKUlT_T0_E_clISt17integral_constantIbLb0EES11_EEDaSW_SX_EUlSW_E_NS1_11comp_targetILNS1_3genE10ELNS1_11target_archE1200ELNS1_3gpuE4ELNS1_3repE0EEENS1_30default_config_static_selectorELNS0_4arch9wavefront6targetE0EEEvT1_.has_recursion, 0
	.set _ZN7rocprim17ROCPRIM_400000_NS6detail17trampoline_kernelINS0_14default_configENS1_27scan_by_key_config_selectorIixEEZZNS1_16scan_by_key_implILNS1_25lookback_scan_determinismE0ELb1ES3_N6thrust23THRUST_200600_302600_NS6detail15normal_iteratorINS9_10device_ptrIiEEEENSB_INSC_IxEEEESG_xNS9_4plusIvEENS9_8equal_toIvEExEE10hipError_tPvRmT2_T3_T4_T5_mT6_T7_P12ihipStream_tbENKUlT_T0_E_clISt17integral_constantIbLb0EES11_EEDaSW_SX_EUlSW_E_NS1_11comp_targetILNS1_3genE10ELNS1_11target_archE1200ELNS1_3gpuE4ELNS1_3repE0EEENS1_30default_config_static_selectorELNS0_4arch9wavefront6targetE0EEEvT1_.has_indirect_call, 0
	.section	.AMDGPU.csdata,"",@progbits
; Kernel info:
; codeLenInByte = 0
; TotalNumSgprs: 0
; NumVgprs: 0
; ScratchSize: 0
; MemoryBound: 0
; FloatMode: 240
; IeeeMode: 1
; LDSByteSize: 0 bytes/workgroup (compile time only)
; SGPRBlocks: 0
; VGPRBlocks: 0
; NumSGPRsForWavesPerEU: 1
; NumVGPRsForWavesPerEU: 1
; NamedBarCnt: 0
; Occupancy: 16
; WaveLimiterHint : 0
; COMPUTE_PGM_RSRC2:SCRATCH_EN: 0
; COMPUTE_PGM_RSRC2:USER_SGPR: 2
; COMPUTE_PGM_RSRC2:TRAP_HANDLER: 0
; COMPUTE_PGM_RSRC2:TGID_X_EN: 1
; COMPUTE_PGM_RSRC2:TGID_Y_EN: 0
; COMPUTE_PGM_RSRC2:TGID_Z_EN: 0
; COMPUTE_PGM_RSRC2:TIDIG_COMP_CNT: 0
	.section	.text._ZN7rocprim17ROCPRIM_400000_NS6detail17trampoline_kernelINS0_14default_configENS1_27scan_by_key_config_selectorIixEEZZNS1_16scan_by_key_implILNS1_25lookback_scan_determinismE0ELb1ES3_N6thrust23THRUST_200600_302600_NS6detail15normal_iteratorINS9_10device_ptrIiEEEENSB_INSC_IxEEEESG_xNS9_4plusIvEENS9_8equal_toIvEExEE10hipError_tPvRmT2_T3_T4_T5_mT6_T7_P12ihipStream_tbENKUlT_T0_E_clISt17integral_constantIbLb0EES11_EEDaSW_SX_EUlSW_E_NS1_11comp_targetILNS1_3genE9ELNS1_11target_archE1100ELNS1_3gpuE3ELNS1_3repE0EEENS1_30default_config_static_selectorELNS0_4arch9wavefront6targetE0EEEvT1_,"axG",@progbits,_ZN7rocprim17ROCPRIM_400000_NS6detail17trampoline_kernelINS0_14default_configENS1_27scan_by_key_config_selectorIixEEZZNS1_16scan_by_key_implILNS1_25lookback_scan_determinismE0ELb1ES3_N6thrust23THRUST_200600_302600_NS6detail15normal_iteratorINS9_10device_ptrIiEEEENSB_INSC_IxEEEESG_xNS9_4plusIvEENS9_8equal_toIvEExEE10hipError_tPvRmT2_T3_T4_T5_mT6_T7_P12ihipStream_tbENKUlT_T0_E_clISt17integral_constantIbLb0EES11_EEDaSW_SX_EUlSW_E_NS1_11comp_targetILNS1_3genE9ELNS1_11target_archE1100ELNS1_3gpuE3ELNS1_3repE0EEENS1_30default_config_static_selectorELNS0_4arch9wavefront6targetE0EEEvT1_,comdat
	.protected	_ZN7rocprim17ROCPRIM_400000_NS6detail17trampoline_kernelINS0_14default_configENS1_27scan_by_key_config_selectorIixEEZZNS1_16scan_by_key_implILNS1_25lookback_scan_determinismE0ELb1ES3_N6thrust23THRUST_200600_302600_NS6detail15normal_iteratorINS9_10device_ptrIiEEEENSB_INSC_IxEEEESG_xNS9_4plusIvEENS9_8equal_toIvEExEE10hipError_tPvRmT2_T3_T4_T5_mT6_T7_P12ihipStream_tbENKUlT_T0_E_clISt17integral_constantIbLb0EES11_EEDaSW_SX_EUlSW_E_NS1_11comp_targetILNS1_3genE9ELNS1_11target_archE1100ELNS1_3gpuE3ELNS1_3repE0EEENS1_30default_config_static_selectorELNS0_4arch9wavefront6targetE0EEEvT1_ ; -- Begin function _ZN7rocprim17ROCPRIM_400000_NS6detail17trampoline_kernelINS0_14default_configENS1_27scan_by_key_config_selectorIixEEZZNS1_16scan_by_key_implILNS1_25lookback_scan_determinismE0ELb1ES3_N6thrust23THRUST_200600_302600_NS6detail15normal_iteratorINS9_10device_ptrIiEEEENSB_INSC_IxEEEESG_xNS9_4plusIvEENS9_8equal_toIvEExEE10hipError_tPvRmT2_T3_T4_T5_mT6_T7_P12ihipStream_tbENKUlT_T0_E_clISt17integral_constantIbLb0EES11_EEDaSW_SX_EUlSW_E_NS1_11comp_targetILNS1_3genE9ELNS1_11target_archE1100ELNS1_3gpuE3ELNS1_3repE0EEENS1_30default_config_static_selectorELNS0_4arch9wavefront6targetE0EEEvT1_
	.globl	_ZN7rocprim17ROCPRIM_400000_NS6detail17trampoline_kernelINS0_14default_configENS1_27scan_by_key_config_selectorIixEEZZNS1_16scan_by_key_implILNS1_25lookback_scan_determinismE0ELb1ES3_N6thrust23THRUST_200600_302600_NS6detail15normal_iteratorINS9_10device_ptrIiEEEENSB_INSC_IxEEEESG_xNS9_4plusIvEENS9_8equal_toIvEExEE10hipError_tPvRmT2_T3_T4_T5_mT6_T7_P12ihipStream_tbENKUlT_T0_E_clISt17integral_constantIbLb0EES11_EEDaSW_SX_EUlSW_E_NS1_11comp_targetILNS1_3genE9ELNS1_11target_archE1100ELNS1_3gpuE3ELNS1_3repE0EEENS1_30default_config_static_selectorELNS0_4arch9wavefront6targetE0EEEvT1_
	.p2align	8
	.type	_ZN7rocprim17ROCPRIM_400000_NS6detail17trampoline_kernelINS0_14default_configENS1_27scan_by_key_config_selectorIixEEZZNS1_16scan_by_key_implILNS1_25lookback_scan_determinismE0ELb1ES3_N6thrust23THRUST_200600_302600_NS6detail15normal_iteratorINS9_10device_ptrIiEEEENSB_INSC_IxEEEESG_xNS9_4plusIvEENS9_8equal_toIvEExEE10hipError_tPvRmT2_T3_T4_T5_mT6_T7_P12ihipStream_tbENKUlT_T0_E_clISt17integral_constantIbLb0EES11_EEDaSW_SX_EUlSW_E_NS1_11comp_targetILNS1_3genE9ELNS1_11target_archE1100ELNS1_3gpuE3ELNS1_3repE0EEENS1_30default_config_static_selectorELNS0_4arch9wavefront6targetE0EEEvT1_,@function
_ZN7rocprim17ROCPRIM_400000_NS6detail17trampoline_kernelINS0_14default_configENS1_27scan_by_key_config_selectorIixEEZZNS1_16scan_by_key_implILNS1_25lookback_scan_determinismE0ELb1ES3_N6thrust23THRUST_200600_302600_NS6detail15normal_iteratorINS9_10device_ptrIiEEEENSB_INSC_IxEEEESG_xNS9_4plusIvEENS9_8equal_toIvEExEE10hipError_tPvRmT2_T3_T4_T5_mT6_T7_P12ihipStream_tbENKUlT_T0_E_clISt17integral_constantIbLb0EES11_EEDaSW_SX_EUlSW_E_NS1_11comp_targetILNS1_3genE9ELNS1_11target_archE1100ELNS1_3gpuE3ELNS1_3repE0EEENS1_30default_config_static_selectorELNS0_4arch9wavefront6targetE0EEEvT1_: ; @_ZN7rocprim17ROCPRIM_400000_NS6detail17trampoline_kernelINS0_14default_configENS1_27scan_by_key_config_selectorIixEEZZNS1_16scan_by_key_implILNS1_25lookback_scan_determinismE0ELb1ES3_N6thrust23THRUST_200600_302600_NS6detail15normal_iteratorINS9_10device_ptrIiEEEENSB_INSC_IxEEEESG_xNS9_4plusIvEENS9_8equal_toIvEExEE10hipError_tPvRmT2_T3_T4_T5_mT6_T7_P12ihipStream_tbENKUlT_T0_E_clISt17integral_constantIbLb0EES11_EEDaSW_SX_EUlSW_E_NS1_11comp_targetILNS1_3genE9ELNS1_11target_archE1100ELNS1_3gpuE3ELNS1_3repE0EEENS1_30default_config_static_selectorELNS0_4arch9wavefront6targetE0EEEvT1_
; %bb.0:
	.section	.rodata,"a",@progbits
	.p2align	6, 0x0
	.amdhsa_kernel _ZN7rocprim17ROCPRIM_400000_NS6detail17trampoline_kernelINS0_14default_configENS1_27scan_by_key_config_selectorIixEEZZNS1_16scan_by_key_implILNS1_25lookback_scan_determinismE0ELb1ES3_N6thrust23THRUST_200600_302600_NS6detail15normal_iteratorINS9_10device_ptrIiEEEENSB_INSC_IxEEEESG_xNS9_4plusIvEENS9_8equal_toIvEExEE10hipError_tPvRmT2_T3_T4_T5_mT6_T7_P12ihipStream_tbENKUlT_T0_E_clISt17integral_constantIbLb0EES11_EEDaSW_SX_EUlSW_E_NS1_11comp_targetILNS1_3genE9ELNS1_11target_archE1100ELNS1_3gpuE3ELNS1_3repE0EEENS1_30default_config_static_selectorELNS0_4arch9wavefront6targetE0EEEvT1_
		.amdhsa_group_segment_fixed_size 0
		.amdhsa_private_segment_fixed_size 0
		.amdhsa_kernarg_size 136
		.amdhsa_user_sgpr_count 2
		.amdhsa_user_sgpr_dispatch_ptr 0
		.amdhsa_user_sgpr_queue_ptr 0
		.amdhsa_user_sgpr_kernarg_segment_ptr 1
		.amdhsa_user_sgpr_dispatch_id 0
		.amdhsa_user_sgpr_kernarg_preload_length 0
		.amdhsa_user_sgpr_kernarg_preload_offset 0
		.amdhsa_user_sgpr_private_segment_size 0
		.amdhsa_wavefront_size32 1
		.amdhsa_uses_dynamic_stack 0
		.amdhsa_enable_private_segment 0
		.amdhsa_system_sgpr_workgroup_id_x 1
		.amdhsa_system_sgpr_workgroup_id_y 0
		.amdhsa_system_sgpr_workgroup_id_z 0
		.amdhsa_system_sgpr_workgroup_info 0
		.amdhsa_system_vgpr_workitem_id 0
		.amdhsa_next_free_vgpr 1
		.amdhsa_next_free_sgpr 1
		.amdhsa_named_barrier_count 0
		.amdhsa_reserve_vcc 0
		.amdhsa_float_round_mode_32 0
		.amdhsa_float_round_mode_16_64 0
		.amdhsa_float_denorm_mode_32 3
		.amdhsa_float_denorm_mode_16_64 3
		.amdhsa_fp16_overflow 0
		.amdhsa_memory_ordered 1
		.amdhsa_forward_progress 1
		.amdhsa_inst_pref_size 0
		.amdhsa_round_robin_scheduling 0
		.amdhsa_exception_fp_ieee_invalid_op 0
		.amdhsa_exception_fp_denorm_src 0
		.amdhsa_exception_fp_ieee_div_zero 0
		.amdhsa_exception_fp_ieee_overflow 0
		.amdhsa_exception_fp_ieee_underflow 0
		.amdhsa_exception_fp_ieee_inexact 0
		.amdhsa_exception_int_div_zero 0
	.end_amdhsa_kernel
	.section	.text._ZN7rocprim17ROCPRIM_400000_NS6detail17trampoline_kernelINS0_14default_configENS1_27scan_by_key_config_selectorIixEEZZNS1_16scan_by_key_implILNS1_25lookback_scan_determinismE0ELb1ES3_N6thrust23THRUST_200600_302600_NS6detail15normal_iteratorINS9_10device_ptrIiEEEENSB_INSC_IxEEEESG_xNS9_4plusIvEENS9_8equal_toIvEExEE10hipError_tPvRmT2_T3_T4_T5_mT6_T7_P12ihipStream_tbENKUlT_T0_E_clISt17integral_constantIbLb0EES11_EEDaSW_SX_EUlSW_E_NS1_11comp_targetILNS1_3genE9ELNS1_11target_archE1100ELNS1_3gpuE3ELNS1_3repE0EEENS1_30default_config_static_selectorELNS0_4arch9wavefront6targetE0EEEvT1_,"axG",@progbits,_ZN7rocprim17ROCPRIM_400000_NS6detail17trampoline_kernelINS0_14default_configENS1_27scan_by_key_config_selectorIixEEZZNS1_16scan_by_key_implILNS1_25lookback_scan_determinismE0ELb1ES3_N6thrust23THRUST_200600_302600_NS6detail15normal_iteratorINS9_10device_ptrIiEEEENSB_INSC_IxEEEESG_xNS9_4plusIvEENS9_8equal_toIvEExEE10hipError_tPvRmT2_T3_T4_T5_mT6_T7_P12ihipStream_tbENKUlT_T0_E_clISt17integral_constantIbLb0EES11_EEDaSW_SX_EUlSW_E_NS1_11comp_targetILNS1_3genE9ELNS1_11target_archE1100ELNS1_3gpuE3ELNS1_3repE0EEENS1_30default_config_static_selectorELNS0_4arch9wavefront6targetE0EEEvT1_,comdat
.Lfunc_end1578:
	.size	_ZN7rocprim17ROCPRIM_400000_NS6detail17trampoline_kernelINS0_14default_configENS1_27scan_by_key_config_selectorIixEEZZNS1_16scan_by_key_implILNS1_25lookback_scan_determinismE0ELb1ES3_N6thrust23THRUST_200600_302600_NS6detail15normal_iteratorINS9_10device_ptrIiEEEENSB_INSC_IxEEEESG_xNS9_4plusIvEENS9_8equal_toIvEExEE10hipError_tPvRmT2_T3_T4_T5_mT6_T7_P12ihipStream_tbENKUlT_T0_E_clISt17integral_constantIbLb0EES11_EEDaSW_SX_EUlSW_E_NS1_11comp_targetILNS1_3genE9ELNS1_11target_archE1100ELNS1_3gpuE3ELNS1_3repE0EEENS1_30default_config_static_selectorELNS0_4arch9wavefront6targetE0EEEvT1_, .Lfunc_end1578-_ZN7rocprim17ROCPRIM_400000_NS6detail17trampoline_kernelINS0_14default_configENS1_27scan_by_key_config_selectorIixEEZZNS1_16scan_by_key_implILNS1_25lookback_scan_determinismE0ELb1ES3_N6thrust23THRUST_200600_302600_NS6detail15normal_iteratorINS9_10device_ptrIiEEEENSB_INSC_IxEEEESG_xNS9_4plusIvEENS9_8equal_toIvEExEE10hipError_tPvRmT2_T3_T4_T5_mT6_T7_P12ihipStream_tbENKUlT_T0_E_clISt17integral_constantIbLb0EES11_EEDaSW_SX_EUlSW_E_NS1_11comp_targetILNS1_3genE9ELNS1_11target_archE1100ELNS1_3gpuE3ELNS1_3repE0EEENS1_30default_config_static_selectorELNS0_4arch9wavefront6targetE0EEEvT1_
                                        ; -- End function
	.set _ZN7rocprim17ROCPRIM_400000_NS6detail17trampoline_kernelINS0_14default_configENS1_27scan_by_key_config_selectorIixEEZZNS1_16scan_by_key_implILNS1_25lookback_scan_determinismE0ELb1ES3_N6thrust23THRUST_200600_302600_NS6detail15normal_iteratorINS9_10device_ptrIiEEEENSB_INSC_IxEEEESG_xNS9_4plusIvEENS9_8equal_toIvEExEE10hipError_tPvRmT2_T3_T4_T5_mT6_T7_P12ihipStream_tbENKUlT_T0_E_clISt17integral_constantIbLb0EES11_EEDaSW_SX_EUlSW_E_NS1_11comp_targetILNS1_3genE9ELNS1_11target_archE1100ELNS1_3gpuE3ELNS1_3repE0EEENS1_30default_config_static_selectorELNS0_4arch9wavefront6targetE0EEEvT1_.num_vgpr, 0
	.set _ZN7rocprim17ROCPRIM_400000_NS6detail17trampoline_kernelINS0_14default_configENS1_27scan_by_key_config_selectorIixEEZZNS1_16scan_by_key_implILNS1_25lookback_scan_determinismE0ELb1ES3_N6thrust23THRUST_200600_302600_NS6detail15normal_iteratorINS9_10device_ptrIiEEEENSB_INSC_IxEEEESG_xNS9_4plusIvEENS9_8equal_toIvEExEE10hipError_tPvRmT2_T3_T4_T5_mT6_T7_P12ihipStream_tbENKUlT_T0_E_clISt17integral_constantIbLb0EES11_EEDaSW_SX_EUlSW_E_NS1_11comp_targetILNS1_3genE9ELNS1_11target_archE1100ELNS1_3gpuE3ELNS1_3repE0EEENS1_30default_config_static_selectorELNS0_4arch9wavefront6targetE0EEEvT1_.num_agpr, 0
	.set _ZN7rocprim17ROCPRIM_400000_NS6detail17trampoline_kernelINS0_14default_configENS1_27scan_by_key_config_selectorIixEEZZNS1_16scan_by_key_implILNS1_25lookback_scan_determinismE0ELb1ES3_N6thrust23THRUST_200600_302600_NS6detail15normal_iteratorINS9_10device_ptrIiEEEENSB_INSC_IxEEEESG_xNS9_4plusIvEENS9_8equal_toIvEExEE10hipError_tPvRmT2_T3_T4_T5_mT6_T7_P12ihipStream_tbENKUlT_T0_E_clISt17integral_constantIbLb0EES11_EEDaSW_SX_EUlSW_E_NS1_11comp_targetILNS1_3genE9ELNS1_11target_archE1100ELNS1_3gpuE3ELNS1_3repE0EEENS1_30default_config_static_selectorELNS0_4arch9wavefront6targetE0EEEvT1_.numbered_sgpr, 0
	.set _ZN7rocprim17ROCPRIM_400000_NS6detail17trampoline_kernelINS0_14default_configENS1_27scan_by_key_config_selectorIixEEZZNS1_16scan_by_key_implILNS1_25lookback_scan_determinismE0ELb1ES3_N6thrust23THRUST_200600_302600_NS6detail15normal_iteratorINS9_10device_ptrIiEEEENSB_INSC_IxEEEESG_xNS9_4plusIvEENS9_8equal_toIvEExEE10hipError_tPvRmT2_T3_T4_T5_mT6_T7_P12ihipStream_tbENKUlT_T0_E_clISt17integral_constantIbLb0EES11_EEDaSW_SX_EUlSW_E_NS1_11comp_targetILNS1_3genE9ELNS1_11target_archE1100ELNS1_3gpuE3ELNS1_3repE0EEENS1_30default_config_static_selectorELNS0_4arch9wavefront6targetE0EEEvT1_.num_named_barrier, 0
	.set _ZN7rocprim17ROCPRIM_400000_NS6detail17trampoline_kernelINS0_14default_configENS1_27scan_by_key_config_selectorIixEEZZNS1_16scan_by_key_implILNS1_25lookback_scan_determinismE0ELb1ES3_N6thrust23THRUST_200600_302600_NS6detail15normal_iteratorINS9_10device_ptrIiEEEENSB_INSC_IxEEEESG_xNS9_4plusIvEENS9_8equal_toIvEExEE10hipError_tPvRmT2_T3_T4_T5_mT6_T7_P12ihipStream_tbENKUlT_T0_E_clISt17integral_constantIbLb0EES11_EEDaSW_SX_EUlSW_E_NS1_11comp_targetILNS1_3genE9ELNS1_11target_archE1100ELNS1_3gpuE3ELNS1_3repE0EEENS1_30default_config_static_selectorELNS0_4arch9wavefront6targetE0EEEvT1_.private_seg_size, 0
	.set _ZN7rocprim17ROCPRIM_400000_NS6detail17trampoline_kernelINS0_14default_configENS1_27scan_by_key_config_selectorIixEEZZNS1_16scan_by_key_implILNS1_25lookback_scan_determinismE0ELb1ES3_N6thrust23THRUST_200600_302600_NS6detail15normal_iteratorINS9_10device_ptrIiEEEENSB_INSC_IxEEEESG_xNS9_4plusIvEENS9_8equal_toIvEExEE10hipError_tPvRmT2_T3_T4_T5_mT6_T7_P12ihipStream_tbENKUlT_T0_E_clISt17integral_constantIbLb0EES11_EEDaSW_SX_EUlSW_E_NS1_11comp_targetILNS1_3genE9ELNS1_11target_archE1100ELNS1_3gpuE3ELNS1_3repE0EEENS1_30default_config_static_selectorELNS0_4arch9wavefront6targetE0EEEvT1_.uses_vcc, 0
	.set _ZN7rocprim17ROCPRIM_400000_NS6detail17trampoline_kernelINS0_14default_configENS1_27scan_by_key_config_selectorIixEEZZNS1_16scan_by_key_implILNS1_25lookback_scan_determinismE0ELb1ES3_N6thrust23THRUST_200600_302600_NS6detail15normal_iteratorINS9_10device_ptrIiEEEENSB_INSC_IxEEEESG_xNS9_4plusIvEENS9_8equal_toIvEExEE10hipError_tPvRmT2_T3_T4_T5_mT6_T7_P12ihipStream_tbENKUlT_T0_E_clISt17integral_constantIbLb0EES11_EEDaSW_SX_EUlSW_E_NS1_11comp_targetILNS1_3genE9ELNS1_11target_archE1100ELNS1_3gpuE3ELNS1_3repE0EEENS1_30default_config_static_selectorELNS0_4arch9wavefront6targetE0EEEvT1_.uses_flat_scratch, 0
	.set _ZN7rocprim17ROCPRIM_400000_NS6detail17trampoline_kernelINS0_14default_configENS1_27scan_by_key_config_selectorIixEEZZNS1_16scan_by_key_implILNS1_25lookback_scan_determinismE0ELb1ES3_N6thrust23THRUST_200600_302600_NS6detail15normal_iteratorINS9_10device_ptrIiEEEENSB_INSC_IxEEEESG_xNS9_4plusIvEENS9_8equal_toIvEExEE10hipError_tPvRmT2_T3_T4_T5_mT6_T7_P12ihipStream_tbENKUlT_T0_E_clISt17integral_constantIbLb0EES11_EEDaSW_SX_EUlSW_E_NS1_11comp_targetILNS1_3genE9ELNS1_11target_archE1100ELNS1_3gpuE3ELNS1_3repE0EEENS1_30default_config_static_selectorELNS0_4arch9wavefront6targetE0EEEvT1_.has_dyn_sized_stack, 0
	.set _ZN7rocprim17ROCPRIM_400000_NS6detail17trampoline_kernelINS0_14default_configENS1_27scan_by_key_config_selectorIixEEZZNS1_16scan_by_key_implILNS1_25lookback_scan_determinismE0ELb1ES3_N6thrust23THRUST_200600_302600_NS6detail15normal_iteratorINS9_10device_ptrIiEEEENSB_INSC_IxEEEESG_xNS9_4plusIvEENS9_8equal_toIvEExEE10hipError_tPvRmT2_T3_T4_T5_mT6_T7_P12ihipStream_tbENKUlT_T0_E_clISt17integral_constantIbLb0EES11_EEDaSW_SX_EUlSW_E_NS1_11comp_targetILNS1_3genE9ELNS1_11target_archE1100ELNS1_3gpuE3ELNS1_3repE0EEENS1_30default_config_static_selectorELNS0_4arch9wavefront6targetE0EEEvT1_.has_recursion, 0
	.set _ZN7rocprim17ROCPRIM_400000_NS6detail17trampoline_kernelINS0_14default_configENS1_27scan_by_key_config_selectorIixEEZZNS1_16scan_by_key_implILNS1_25lookback_scan_determinismE0ELb1ES3_N6thrust23THRUST_200600_302600_NS6detail15normal_iteratorINS9_10device_ptrIiEEEENSB_INSC_IxEEEESG_xNS9_4plusIvEENS9_8equal_toIvEExEE10hipError_tPvRmT2_T3_T4_T5_mT6_T7_P12ihipStream_tbENKUlT_T0_E_clISt17integral_constantIbLb0EES11_EEDaSW_SX_EUlSW_E_NS1_11comp_targetILNS1_3genE9ELNS1_11target_archE1100ELNS1_3gpuE3ELNS1_3repE0EEENS1_30default_config_static_selectorELNS0_4arch9wavefront6targetE0EEEvT1_.has_indirect_call, 0
	.section	.AMDGPU.csdata,"",@progbits
; Kernel info:
; codeLenInByte = 0
; TotalNumSgprs: 0
; NumVgprs: 0
; ScratchSize: 0
; MemoryBound: 0
; FloatMode: 240
; IeeeMode: 1
; LDSByteSize: 0 bytes/workgroup (compile time only)
; SGPRBlocks: 0
; VGPRBlocks: 0
; NumSGPRsForWavesPerEU: 1
; NumVGPRsForWavesPerEU: 1
; NamedBarCnt: 0
; Occupancy: 16
; WaveLimiterHint : 0
; COMPUTE_PGM_RSRC2:SCRATCH_EN: 0
; COMPUTE_PGM_RSRC2:USER_SGPR: 2
; COMPUTE_PGM_RSRC2:TRAP_HANDLER: 0
; COMPUTE_PGM_RSRC2:TGID_X_EN: 1
; COMPUTE_PGM_RSRC2:TGID_Y_EN: 0
; COMPUTE_PGM_RSRC2:TGID_Z_EN: 0
; COMPUTE_PGM_RSRC2:TIDIG_COMP_CNT: 0
	.section	.text._ZN7rocprim17ROCPRIM_400000_NS6detail17trampoline_kernelINS0_14default_configENS1_27scan_by_key_config_selectorIixEEZZNS1_16scan_by_key_implILNS1_25lookback_scan_determinismE0ELb1ES3_N6thrust23THRUST_200600_302600_NS6detail15normal_iteratorINS9_10device_ptrIiEEEENSB_INSC_IxEEEESG_xNS9_4plusIvEENS9_8equal_toIvEExEE10hipError_tPvRmT2_T3_T4_T5_mT6_T7_P12ihipStream_tbENKUlT_T0_E_clISt17integral_constantIbLb0EES11_EEDaSW_SX_EUlSW_E_NS1_11comp_targetILNS1_3genE8ELNS1_11target_archE1030ELNS1_3gpuE2ELNS1_3repE0EEENS1_30default_config_static_selectorELNS0_4arch9wavefront6targetE0EEEvT1_,"axG",@progbits,_ZN7rocprim17ROCPRIM_400000_NS6detail17trampoline_kernelINS0_14default_configENS1_27scan_by_key_config_selectorIixEEZZNS1_16scan_by_key_implILNS1_25lookback_scan_determinismE0ELb1ES3_N6thrust23THRUST_200600_302600_NS6detail15normal_iteratorINS9_10device_ptrIiEEEENSB_INSC_IxEEEESG_xNS9_4plusIvEENS9_8equal_toIvEExEE10hipError_tPvRmT2_T3_T4_T5_mT6_T7_P12ihipStream_tbENKUlT_T0_E_clISt17integral_constantIbLb0EES11_EEDaSW_SX_EUlSW_E_NS1_11comp_targetILNS1_3genE8ELNS1_11target_archE1030ELNS1_3gpuE2ELNS1_3repE0EEENS1_30default_config_static_selectorELNS0_4arch9wavefront6targetE0EEEvT1_,comdat
	.protected	_ZN7rocprim17ROCPRIM_400000_NS6detail17trampoline_kernelINS0_14default_configENS1_27scan_by_key_config_selectorIixEEZZNS1_16scan_by_key_implILNS1_25lookback_scan_determinismE0ELb1ES3_N6thrust23THRUST_200600_302600_NS6detail15normal_iteratorINS9_10device_ptrIiEEEENSB_INSC_IxEEEESG_xNS9_4plusIvEENS9_8equal_toIvEExEE10hipError_tPvRmT2_T3_T4_T5_mT6_T7_P12ihipStream_tbENKUlT_T0_E_clISt17integral_constantIbLb0EES11_EEDaSW_SX_EUlSW_E_NS1_11comp_targetILNS1_3genE8ELNS1_11target_archE1030ELNS1_3gpuE2ELNS1_3repE0EEENS1_30default_config_static_selectorELNS0_4arch9wavefront6targetE0EEEvT1_ ; -- Begin function _ZN7rocprim17ROCPRIM_400000_NS6detail17trampoline_kernelINS0_14default_configENS1_27scan_by_key_config_selectorIixEEZZNS1_16scan_by_key_implILNS1_25lookback_scan_determinismE0ELb1ES3_N6thrust23THRUST_200600_302600_NS6detail15normal_iteratorINS9_10device_ptrIiEEEENSB_INSC_IxEEEESG_xNS9_4plusIvEENS9_8equal_toIvEExEE10hipError_tPvRmT2_T3_T4_T5_mT6_T7_P12ihipStream_tbENKUlT_T0_E_clISt17integral_constantIbLb0EES11_EEDaSW_SX_EUlSW_E_NS1_11comp_targetILNS1_3genE8ELNS1_11target_archE1030ELNS1_3gpuE2ELNS1_3repE0EEENS1_30default_config_static_selectorELNS0_4arch9wavefront6targetE0EEEvT1_
	.globl	_ZN7rocprim17ROCPRIM_400000_NS6detail17trampoline_kernelINS0_14default_configENS1_27scan_by_key_config_selectorIixEEZZNS1_16scan_by_key_implILNS1_25lookback_scan_determinismE0ELb1ES3_N6thrust23THRUST_200600_302600_NS6detail15normal_iteratorINS9_10device_ptrIiEEEENSB_INSC_IxEEEESG_xNS9_4plusIvEENS9_8equal_toIvEExEE10hipError_tPvRmT2_T3_T4_T5_mT6_T7_P12ihipStream_tbENKUlT_T0_E_clISt17integral_constantIbLb0EES11_EEDaSW_SX_EUlSW_E_NS1_11comp_targetILNS1_3genE8ELNS1_11target_archE1030ELNS1_3gpuE2ELNS1_3repE0EEENS1_30default_config_static_selectorELNS0_4arch9wavefront6targetE0EEEvT1_
	.p2align	8
	.type	_ZN7rocprim17ROCPRIM_400000_NS6detail17trampoline_kernelINS0_14default_configENS1_27scan_by_key_config_selectorIixEEZZNS1_16scan_by_key_implILNS1_25lookback_scan_determinismE0ELb1ES3_N6thrust23THRUST_200600_302600_NS6detail15normal_iteratorINS9_10device_ptrIiEEEENSB_INSC_IxEEEESG_xNS9_4plusIvEENS9_8equal_toIvEExEE10hipError_tPvRmT2_T3_T4_T5_mT6_T7_P12ihipStream_tbENKUlT_T0_E_clISt17integral_constantIbLb0EES11_EEDaSW_SX_EUlSW_E_NS1_11comp_targetILNS1_3genE8ELNS1_11target_archE1030ELNS1_3gpuE2ELNS1_3repE0EEENS1_30default_config_static_selectorELNS0_4arch9wavefront6targetE0EEEvT1_,@function
_ZN7rocprim17ROCPRIM_400000_NS6detail17trampoline_kernelINS0_14default_configENS1_27scan_by_key_config_selectorIixEEZZNS1_16scan_by_key_implILNS1_25lookback_scan_determinismE0ELb1ES3_N6thrust23THRUST_200600_302600_NS6detail15normal_iteratorINS9_10device_ptrIiEEEENSB_INSC_IxEEEESG_xNS9_4plusIvEENS9_8equal_toIvEExEE10hipError_tPvRmT2_T3_T4_T5_mT6_T7_P12ihipStream_tbENKUlT_T0_E_clISt17integral_constantIbLb0EES11_EEDaSW_SX_EUlSW_E_NS1_11comp_targetILNS1_3genE8ELNS1_11target_archE1030ELNS1_3gpuE2ELNS1_3repE0EEENS1_30default_config_static_selectorELNS0_4arch9wavefront6targetE0EEEvT1_: ; @_ZN7rocprim17ROCPRIM_400000_NS6detail17trampoline_kernelINS0_14default_configENS1_27scan_by_key_config_selectorIixEEZZNS1_16scan_by_key_implILNS1_25lookback_scan_determinismE0ELb1ES3_N6thrust23THRUST_200600_302600_NS6detail15normal_iteratorINS9_10device_ptrIiEEEENSB_INSC_IxEEEESG_xNS9_4plusIvEENS9_8equal_toIvEExEE10hipError_tPvRmT2_T3_T4_T5_mT6_T7_P12ihipStream_tbENKUlT_T0_E_clISt17integral_constantIbLb0EES11_EEDaSW_SX_EUlSW_E_NS1_11comp_targetILNS1_3genE8ELNS1_11target_archE1030ELNS1_3gpuE2ELNS1_3repE0EEENS1_30default_config_static_selectorELNS0_4arch9wavefront6targetE0EEEvT1_
; %bb.0:
	.section	.rodata,"a",@progbits
	.p2align	6, 0x0
	.amdhsa_kernel _ZN7rocprim17ROCPRIM_400000_NS6detail17trampoline_kernelINS0_14default_configENS1_27scan_by_key_config_selectorIixEEZZNS1_16scan_by_key_implILNS1_25lookback_scan_determinismE0ELb1ES3_N6thrust23THRUST_200600_302600_NS6detail15normal_iteratorINS9_10device_ptrIiEEEENSB_INSC_IxEEEESG_xNS9_4plusIvEENS9_8equal_toIvEExEE10hipError_tPvRmT2_T3_T4_T5_mT6_T7_P12ihipStream_tbENKUlT_T0_E_clISt17integral_constantIbLb0EES11_EEDaSW_SX_EUlSW_E_NS1_11comp_targetILNS1_3genE8ELNS1_11target_archE1030ELNS1_3gpuE2ELNS1_3repE0EEENS1_30default_config_static_selectorELNS0_4arch9wavefront6targetE0EEEvT1_
		.amdhsa_group_segment_fixed_size 0
		.amdhsa_private_segment_fixed_size 0
		.amdhsa_kernarg_size 136
		.amdhsa_user_sgpr_count 2
		.amdhsa_user_sgpr_dispatch_ptr 0
		.amdhsa_user_sgpr_queue_ptr 0
		.amdhsa_user_sgpr_kernarg_segment_ptr 1
		.amdhsa_user_sgpr_dispatch_id 0
		.amdhsa_user_sgpr_kernarg_preload_length 0
		.amdhsa_user_sgpr_kernarg_preload_offset 0
		.amdhsa_user_sgpr_private_segment_size 0
		.amdhsa_wavefront_size32 1
		.amdhsa_uses_dynamic_stack 0
		.amdhsa_enable_private_segment 0
		.amdhsa_system_sgpr_workgroup_id_x 1
		.amdhsa_system_sgpr_workgroup_id_y 0
		.amdhsa_system_sgpr_workgroup_id_z 0
		.amdhsa_system_sgpr_workgroup_info 0
		.amdhsa_system_vgpr_workitem_id 0
		.amdhsa_next_free_vgpr 1
		.amdhsa_next_free_sgpr 1
		.amdhsa_named_barrier_count 0
		.amdhsa_reserve_vcc 0
		.amdhsa_float_round_mode_32 0
		.amdhsa_float_round_mode_16_64 0
		.amdhsa_float_denorm_mode_32 3
		.amdhsa_float_denorm_mode_16_64 3
		.amdhsa_fp16_overflow 0
		.amdhsa_memory_ordered 1
		.amdhsa_forward_progress 1
		.amdhsa_inst_pref_size 0
		.amdhsa_round_robin_scheduling 0
		.amdhsa_exception_fp_ieee_invalid_op 0
		.amdhsa_exception_fp_denorm_src 0
		.amdhsa_exception_fp_ieee_div_zero 0
		.amdhsa_exception_fp_ieee_overflow 0
		.amdhsa_exception_fp_ieee_underflow 0
		.amdhsa_exception_fp_ieee_inexact 0
		.amdhsa_exception_int_div_zero 0
	.end_amdhsa_kernel
	.section	.text._ZN7rocprim17ROCPRIM_400000_NS6detail17trampoline_kernelINS0_14default_configENS1_27scan_by_key_config_selectorIixEEZZNS1_16scan_by_key_implILNS1_25lookback_scan_determinismE0ELb1ES3_N6thrust23THRUST_200600_302600_NS6detail15normal_iteratorINS9_10device_ptrIiEEEENSB_INSC_IxEEEESG_xNS9_4plusIvEENS9_8equal_toIvEExEE10hipError_tPvRmT2_T3_T4_T5_mT6_T7_P12ihipStream_tbENKUlT_T0_E_clISt17integral_constantIbLb0EES11_EEDaSW_SX_EUlSW_E_NS1_11comp_targetILNS1_3genE8ELNS1_11target_archE1030ELNS1_3gpuE2ELNS1_3repE0EEENS1_30default_config_static_selectorELNS0_4arch9wavefront6targetE0EEEvT1_,"axG",@progbits,_ZN7rocprim17ROCPRIM_400000_NS6detail17trampoline_kernelINS0_14default_configENS1_27scan_by_key_config_selectorIixEEZZNS1_16scan_by_key_implILNS1_25lookback_scan_determinismE0ELb1ES3_N6thrust23THRUST_200600_302600_NS6detail15normal_iteratorINS9_10device_ptrIiEEEENSB_INSC_IxEEEESG_xNS9_4plusIvEENS9_8equal_toIvEExEE10hipError_tPvRmT2_T3_T4_T5_mT6_T7_P12ihipStream_tbENKUlT_T0_E_clISt17integral_constantIbLb0EES11_EEDaSW_SX_EUlSW_E_NS1_11comp_targetILNS1_3genE8ELNS1_11target_archE1030ELNS1_3gpuE2ELNS1_3repE0EEENS1_30default_config_static_selectorELNS0_4arch9wavefront6targetE0EEEvT1_,comdat
.Lfunc_end1579:
	.size	_ZN7rocprim17ROCPRIM_400000_NS6detail17trampoline_kernelINS0_14default_configENS1_27scan_by_key_config_selectorIixEEZZNS1_16scan_by_key_implILNS1_25lookback_scan_determinismE0ELb1ES3_N6thrust23THRUST_200600_302600_NS6detail15normal_iteratorINS9_10device_ptrIiEEEENSB_INSC_IxEEEESG_xNS9_4plusIvEENS9_8equal_toIvEExEE10hipError_tPvRmT2_T3_T4_T5_mT6_T7_P12ihipStream_tbENKUlT_T0_E_clISt17integral_constantIbLb0EES11_EEDaSW_SX_EUlSW_E_NS1_11comp_targetILNS1_3genE8ELNS1_11target_archE1030ELNS1_3gpuE2ELNS1_3repE0EEENS1_30default_config_static_selectorELNS0_4arch9wavefront6targetE0EEEvT1_, .Lfunc_end1579-_ZN7rocprim17ROCPRIM_400000_NS6detail17trampoline_kernelINS0_14default_configENS1_27scan_by_key_config_selectorIixEEZZNS1_16scan_by_key_implILNS1_25lookback_scan_determinismE0ELb1ES3_N6thrust23THRUST_200600_302600_NS6detail15normal_iteratorINS9_10device_ptrIiEEEENSB_INSC_IxEEEESG_xNS9_4plusIvEENS9_8equal_toIvEExEE10hipError_tPvRmT2_T3_T4_T5_mT6_T7_P12ihipStream_tbENKUlT_T0_E_clISt17integral_constantIbLb0EES11_EEDaSW_SX_EUlSW_E_NS1_11comp_targetILNS1_3genE8ELNS1_11target_archE1030ELNS1_3gpuE2ELNS1_3repE0EEENS1_30default_config_static_selectorELNS0_4arch9wavefront6targetE0EEEvT1_
                                        ; -- End function
	.set _ZN7rocprim17ROCPRIM_400000_NS6detail17trampoline_kernelINS0_14default_configENS1_27scan_by_key_config_selectorIixEEZZNS1_16scan_by_key_implILNS1_25lookback_scan_determinismE0ELb1ES3_N6thrust23THRUST_200600_302600_NS6detail15normal_iteratorINS9_10device_ptrIiEEEENSB_INSC_IxEEEESG_xNS9_4plusIvEENS9_8equal_toIvEExEE10hipError_tPvRmT2_T3_T4_T5_mT6_T7_P12ihipStream_tbENKUlT_T0_E_clISt17integral_constantIbLb0EES11_EEDaSW_SX_EUlSW_E_NS1_11comp_targetILNS1_3genE8ELNS1_11target_archE1030ELNS1_3gpuE2ELNS1_3repE0EEENS1_30default_config_static_selectorELNS0_4arch9wavefront6targetE0EEEvT1_.num_vgpr, 0
	.set _ZN7rocprim17ROCPRIM_400000_NS6detail17trampoline_kernelINS0_14default_configENS1_27scan_by_key_config_selectorIixEEZZNS1_16scan_by_key_implILNS1_25lookback_scan_determinismE0ELb1ES3_N6thrust23THRUST_200600_302600_NS6detail15normal_iteratorINS9_10device_ptrIiEEEENSB_INSC_IxEEEESG_xNS9_4plusIvEENS9_8equal_toIvEExEE10hipError_tPvRmT2_T3_T4_T5_mT6_T7_P12ihipStream_tbENKUlT_T0_E_clISt17integral_constantIbLb0EES11_EEDaSW_SX_EUlSW_E_NS1_11comp_targetILNS1_3genE8ELNS1_11target_archE1030ELNS1_3gpuE2ELNS1_3repE0EEENS1_30default_config_static_selectorELNS0_4arch9wavefront6targetE0EEEvT1_.num_agpr, 0
	.set _ZN7rocprim17ROCPRIM_400000_NS6detail17trampoline_kernelINS0_14default_configENS1_27scan_by_key_config_selectorIixEEZZNS1_16scan_by_key_implILNS1_25lookback_scan_determinismE0ELb1ES3_N6thrust23THRUST_200600_302600_NS6detail15normal_iteratorINS9_10device_ptrIiEEEENSB_INSC_IxEEEESG_xNS9_4plusIvEENS9_8equal_toIvEExEE10hipError_tPvRmT2_T3_T4_T5_mT6_T7_P12ihipStream_tbENKUlT_T0_E_clISt17integral_constantIbLb0EES11_EEDaSW_SX_EUlSW_E_NS1_11comp_targetILNS1_3genE8ELNS1_11target_archE1030ELNS1_3gpuE2ELNS1_3repE0EEENS1_30default_config_static_selectorELNS0_4arch9wavefront6targetE0EEEvT1_.numbered_sgpr, 0
	.set _ZN7rocprim17ROCPRIM_400000_NS6detail17trampoline_kernelINS0_14default_configENS1_27scan_by_key_config_selectorIixEEZZNS1_16scan_by_key_implILNS1_25lookback_scan_determinismE0ELb1ES3_N6thrust23THRUST_200600_302600_NS6detail15normal_iteratorINS9_10device_ptrIiEEEENSB_INSC_IxEEEESG_xNS9_4plusIvEENS9_8equal_toIvEExEE10hipError_tPvRmT2_T3_T4_T5_mT6_T7_P12ihipStream_tbENKUlT_T0_E_clISt17integral_constantIbLb0EES11_EEDaSW_SX_EUlSW_E_NS1_11comp_targetILNS1_3genE8ELNS1_11target_archE1030ELNS1_3gpuE2ELNS1_3repE0EEENS1_30default_config_static_selectorELNS0_4arch9wavefront6targetE0EEEvT1_.num_named_barrier, 0
	.set _ZN7rocprim17ROCPRIM_400000_NS6detail17trampoline_kernelINS0_14default_configENS1_27scan_by_key_config_selectorIixEEZZNS1_16scan_by_key_implILNS1_25lookback_scan_determinismE0ELb1ES3_N6thrust23THRUST_200600_302600_NS6detail15normal_iteratorINS9_10device_ptrIiEEEENSB_INSC_IxEEEESG_xNS9_4plusIvEENS9_8equal_toIvEExEE10hipError_tPvRmT2_T3_T4_T5_mT6_T7_P12ihipStream_tbENKUlT_T0_E_clISt17integral_constantIbLb0EES11_EEDaSW_SX_EUlSW_E_NS1_11comp_targetILNS1_3genE8ELNS1_11target_archE1030ELNS1_3gpuE2ELNS1_3repE0EEENS1_30default_config_static_selectorELNS0_4arch9wavefront6targetE0EEEvT1_.private_seg_size, 0
	.set _ZN7rocprim17ROCPRIM_400000_NS6detail17trampoline_kernelINS0_14default_configENS1_27scan_by_key_config_selectorIixEEZZNS1_16scan_by_key_implILNS1_25lookback_scan_determinismE0ELb1ES3_N6thrust23THRUST_200600_302600_NS6detail15normal_iteratorINS9_10device_ptrIiEEEENSB_INSC_IxEEEESG_xNS9_4plusIvEENS9_8equal_toIvEExEE10hipError_tPvRmT2_T3_T4_T5_mT6_T7_P12ihipStream_tbENKUlT_T0_E_clISt17integral_constantIbLb0EES11_EEDaSW_SX_EUlSW_E_NS1_11comp_targetILNS1_3genE8ELNS1_11target_archE1030ELNS1_3gpuE2ELNS1_3repE0EEENS1_30default_config_static_selectorELNS0_4arch9wavefront6targetE0EEEvT1_.uses_vcc, 0
	.set _ZN7rocprim17ROCPRIM_400000_NS6detail17trampoline_kernelINS0_14default_configENS1_27scan_by_key_config_selectorIixEEZZNS1_16scan_by_key_implILNS1_25lookback_scan_determinismE0ELb1ES3_N6thrust23THRUST_200600_302600_NS6detail15normal_iteratorINS9_10device_ptrIiEEEENSB_INSC_IxEEEESG_xNS9_4plusIvEENS9_8equal_toIvEExEE10hipError_tPvRmT2_T3_T4_T5_mT6_T7_P12ihipStream_tbENKUlT_T0_E_clISt17integral_constantIbLb0EES11_EEDaSW_SX_EUlSW_E_NS1_11comp_targetILNS1_3genE8ELNS1_11target_archE1030ELNS1_3gpuE2ELNS1_3repE0EEENS1_30default_config_static_selectorELNS0_4arch9wavefront6targetE0EEEvT1_.uses_flat_scratch, 0
	.set _ZN7rocprim17ROCPRIM_400000_NS6detail17trampoline_kernelINS0_14default_configENS1_27scan_by_key_config_selectorIixEEZZNS1_16scan_by_key_implILNS1_25lookback_scan_determinismE0ELb1ES3_N6thrust23THRUST_200600_302600_NS6detail15normal_iteratorINS9_10device_ptrIiEEEENSB_INSC_IxEEEESG_xNS9_4plusIvEENS9_8equal_toIvEExEE10hipError_tPvRmT2_T3_T4_T5_mT6_T7_P12ihipStream_tbENKUlT_T0_E_clISt17integral_constantIbLb0EES11_EEDaSW_SX_EUlSW_E_NS1_11comp_targetILNS1_3genE8ELNS1_11target_archE1030ELNS1_3gpuE2ELNS1_3repE0EEENS1_30default_config_static_selectorELNS0_4arch9wavefront6targetE0EEEvT1_.has_dyn_sized_stack, 0
	.set _ZN7rocprim17ROCPRIM_400000_NS6detail17trampoline_kernelINS0_14default_configENS1_27scan_by_key_config_selectorIixEEZZNS1_16scan_by_key_implILNS1_25lookback_scan_determinismE0ELb1ES3_N6thrust23THRUST_200600_302600_NS6detail15normal_iteratorINS9_10device_ptrIiEEEENSB_INSC_IxEEEESG_xNS9_4plusIvEENS9_8equal_toIvEExEE10hipError_tPvRmT2_T3_T4_T5_mT6_T7_P12ihipStream_tbENKUlT_T0_E_clISt17integral_constantIbLb0EES11_EEDaSW_SX_EUlSW_E_NS1_11comp_targetILNS1_3genE8ELNS1_11target_archE1030ELNS1_3gpuE2ELNS1_3repE0EEENS1_30default_config_static_selectorELNS0_4arch9wavefront6targetE0EEEvT1_.has_recursion, 0
	.set _ZN7rocprim17ROCPRIM_400000_NS6detail17trampoline_kernelINS0_14default_configENS1_27scan_by_key_config_selectorIixEEZZNS1_16scan_by_key_implILNS1_25lookback_scan_determinismE0ELb1ES3_N6thrust23THRUST_200600_302600_NS6detail15normal_iteratorINS9_10device_ptrIiEEEENSB_INSC_IxEEEESG_xNS9_4plusIvEENS9_8equal_toIvEExEE10hipError_tPvRmT2_T3_T4_T5_mT6_T7_P12ihipStream_tbENKUlT_T0_E_clISt17integral_constantIbLb0EES11_EEDaSW_SX_EUlSW_E_NS1_11comp_targetILNS1_3genE8ELNS1_11target_archE1030ELNS1_3gpuE2ELNS1_3repE0EEENS1_30default_config_static_selectorELNS0_4arch9wavefront6targetE0EEEvT1_.has_indirect_call, 0
	.section	.AMDGPU.csdata,"",@progbits
; Kernel info:
; codeLenInByte = 0
; TotalNumSgprs: 0
; NumVgprs: 0
; ScratchSize: 0
; MemoryBound: 0
; FloatMode: 240
; IeeeMode: 1
; LDSByteSize: 0 bytes/workgroup (compile time only)
; SGPRBlocks: 0
; VGPRBlocks: 0
; NumSGPRsForWavesPerEU: 1
; NumVGPRsForWavesPerEU: 1
; NamedBarCnt: 0
; Occupancy: 16
; WaveLimiterHint : 0
; COMPUTE_PGM_RSRC2:SCRATCH_EN: 0
; COMPUTE_PGM_RSRC2:USER_SGPR: 2
; COMPUTE_PGM_RSRC2:TRAP_HANDLER: 0
; COMPUTE_PGM_RSRC2:TGID_X_EN: 1
; COMPUTE_PGM_RSRC2:TGID_Y_EN: 0
; COMPUTE_PGM_RSRC2:TGID_Z_EN: 0
; COMPUTE_PGM_RSRC2:TIDIG_COMP_CNT: 0
	.section	.text._ZN7rocprim17ROCPRIM_400000_NS6detail17trampoline_kernelINS0_14default_configENS1_27scan_by_key_config_selectorIixEEZZNS1_16scan_by_key_implILNS1_25lookback_scan_determinismE0ELb1ES3_N6thrust23THRUST_200600_302600_NS6detail15normal_iteratorINS9_10device_ptrIiEEEENSB_INSC_IxEEEESG_xNS9_4plusIvEENS9_8equal_toIvEExEE10hipError_tPvRmT2_T3_T4_T5_mT6_T7_P12ihipStream_tbENKUlT_T0_E_clISt17integral_constantIbLb1EES11_EEDaSW_SX_EUlSW_E_NS1_11comp_targetILNS1_3genE0ELNS1_11target_archE4294967295ELNS1_3gpuE0ELNS1_3repE0EEENS1_30default_config_static_selectorELNS0_4arch9wavefront6targetE0EEEvT1_,"axG",@progbits,_ZN7rocprim17ROCPRIM_400000_NS6detail17trampoline_kernelINS0_14default_configENS1_27scan_by_key_config_selectorIixEEZZNS1_16scan_by_key_implILNS1_25lookback_scan_determinismE0ELb1ES3_N6thrust23THRUST_200600_302600_NS6detail15normal_iteratorINS9_10device_ptrIiEEEENSB_INSC_IxEEEESG_xNS9_4plusIvEENS9_8equal_toIvEExEE10hipError_tPvRmT2_T3_T4_T5_mT6_T7_P12ihipStream_tbENKUlT_T0_E_clISt17integral_constantIbLb1EES11_EEDaSW_SX_EUlSW_E_NS1_11comp_targetILNS1_3genE0ELNS1_11target_archE4294967295ELNS1_3gpuE0ELNS1_3repE0EEENS1_30default_config_static_selectorELNS0_4arch9wavefront6targetE0EEEvT1_,comdat
	.protected	_ZN7rocprim17ROCPRIM_400000_NS6detail17trampoline_kernelINS0_14default_configENS1_27scan_by_key_config_selectorIixEEZZNS1_16scan_by_key_implILNS1_25lookback_scan_determinismE0ELb1ES3_N6thrust23THRUST_200600_302600_NS6detail15normal_iteratorINS9_10device_ptrIiEEEENSB_INSC_IxEEEESG_xNS9_4plusIvEENS9_8equal_toIvEExEE10hipError_tPvRmT2_T3_T4_T5_mT6_T7_P12ihipStream_tbENKUlT_T0_E_clISt17integral_constantIbLb1EES11_EEDaSW_SX_EUlSW_E_NS1_11comp_targetILNS1_3genE0ELNS1_11target_archE4294967295ELNS1_3gpuE0ELNS1_3repE0EEENS1_30default_config_static_selectorELNS0_4arch9wavefront6targetE0EEEvT1_ ; -- Begin function _ZN7rocprim17ROCPRIM_400000_NS6detail17trampoline_kernelINS0_14default_configENS1_27scan_by_key_config_selectorIixEEZZNS1_16scan_by_key_implILNS1_25lookback_scan_determinismE0ELb1ES3_N6thrust23THRUST_200600_302600_NS6detail15normal_iteratorINS9_10device_ptrIiEEEENSB_INSC_IxEEEESG_xNS9_4plusIvEENS9_8equal_toIvEExEE10hipError_tPvRmT2_T3_T4_T5_mT6_T7_P12ihipStream_tbENKUlT_T0_E_clISt17integral_constantIbLb1EES11_EEDaSW_SX_EUlSW_E_NS1_11comp_targetILNS1_3genE0ELNS1_11target_archE4294967295ELNS1_3gpuE0ELNS1_3repE0EEENS1_30default_config_static_selectorELNS0_4arch9wavefront6targetE0EEEvT1_
	.globl	_ZN7rocprim17ROCPRIM_400000_NS6detail17trampoline_kernelINS0_14default_configENS1_27scan_by_key_config_selectorIixEEZZNS1_16scan_by_key_implILNS1_25lookback_scan_determinismE0ELb1ES3_N6thrust23THRUST_200600_302600_NS6detail15normal_iteratorINS9_10device_ptrIiEEEENSB_INSC_IxEEEESG_xNS9_4plusIvEENS9_8equal_toIvEExEE10hipError_tPvRmT2_T3_T4_T5_mT6_T7_P12ihipStream_tbENKUlT_T0_E_clISt17integral_constantIbLb1EES11_EEDaSW_SX_EUlSW_E_NS1_11comp_targetILNS1_3genE0ELNS1_11target_archE4294967295ELNS1_3gpuE0ELNS1_3repE0EEENS1_30default_config_static_selectorELNS0_4arch9wavefront6targetE0EEEvT1_
	.p2align	8
	.type	_ZN7rocprim17ROCPRIM_400000_NS6detail17trampoline_kernelINS0_14default_configENS1_27scan_by_key_config_selectorIixEEZZNS1_16scan_by_key_implILNS1_25lookback_scan_determinismE0ELb1ES3_N6thrust23THRUST_200600_302600_NS6detail15normal_iteratorINS9_10device_ptrIiEEEENSB_INSC_IxEEEESG_xNS9_4plusIvEENS9_8equal_toIvEExEE10hipError_tPvRmT2_T3_T4_T5_mT6_T7_P12ihipStream_tbENKUlT_T0_E_clISt17integral_constantIbLb1EES11_EEDaSW_SX_EUlSW_E_NS1_11comp_targetILNS1_3genE0ELNS1_11target_archE4294967295ELNS1_3gpuE0ELNS1_3repE0EEENS1_30default_config_static_selectorELNS0_4arch9wavefront6targetE0EEEvT1_,@function
_ZN7rocprim17ROCPRIM_400000_NS6detail17trampoline_kernelINS0_14default_configENS1_27scan_by_key_config_selectorIixEEZZNS1_16scan_by_key_implILNS1_25lookback_scan_determinismE0ELb1ES3_N6thrust23THRUST_200600_302600_NS6detail15normal_iteratorINS9_10device_ptrIiEEEENSB_INSC_IxEEEESG_xNS9_4plusIvEENS9_8equal_toIvEExEE10hipError_tPvRmT2_T3_T4_T5_mT6_T7_P12ihipStream_tbENKUlT_T0_E_clISt17integral_constantIbLb1EES11_EEDaSW_SX_EUlSW_E_NS1_11comp_targetILNS1_3genE0ELNS1_11target_archE4294967295ELNS1_3gpuE0ELNS1_3repE0EEENS1_30default_config_static_selectorELNS0_4arch9wavefront6targetE0EEEvT1_: ; @_ZN7rocprim17ROCPRIM_400000_NS6detail17trampoline_kernelINS0_14default_configENS1_27scan_by_key_config_selectorIixEEZZNS1_16scan_by_key_implILNS1_25lookback_scan_determinismE0ELb1ES3_N6thrust23THRUST_200600_302600_NS6detail15normal_iteratorINS9_10device_ptrIiEEEENSB_INSC_IxEEEESG_xNS9_4plusIvEENS9_8equal_toIvEExEE10hipError_tPvRmT2_T3_T4_T5_mT6_T7_P12ihipStream_tbENKUlT_T0_E_clISt17integral_constantIbLb1EES11_EEDaSW_SX_EUlSW_E_NS1_11comp_targetILNS1_3genE0ELNS1_11target_archE4294967295ELNS1_3gpuE0ELNS1_3repE0EEENS1_30default_config_static_selectorELNS0_4arch9wavefront6targetE0EEEvT1_
; %bb.0:
	s_endpgm
	.section	.rodata,"a",@progbits
	.p2align	6, 0x0
	.amdhsa_kernel _ZN7rocprim17ROCPRIM_400000_NS6detail17trampoline_kernelINS0_14default_configENS1_27scan_by_key_config_selectorIixEEZZNS1_16scan_by_key_implILNS1_25lookback_scan_determinismE0ELb1ES3_N6thrust23THRUST_200600_302600_NS6detail15normal_iteratorINS9_10device_ptrIiEEEENSB_INSC_IxEEEESG_xNS9_4plusIvEENS9_8equal_toIvEExEE10hipError_tPvRmT2_T3_T4_T5_mT6_T7_P12ihipStream_tbENKUlT_T0_E_clISt17integral_constantIbLb1EES11_EEDaSW_SX_EUlSW_E_NS1_11comp_targetILNS1_3genE0ELNS1_11target_archE4294967295ELNS1_3gpuE0ELNS1_3repE0EEENS1_30default_config_static_selectorELNS0_4arch9wavefront6targetE0EEEvT1_
		.amdhsa_group_segment_fixed_size 0
		.amdhsa_private_segment_fixed_size 0
		.amdhsa_kernarg_size 136
		.amdhsa_user_sgpr_count 2
		.amdhsa_user_sgpr_dispatch_ptr 0
		.amdhsa_user_sgpr_queue_ptr 0
		.amdhsa_user_sgpr_kernarg_segment_ptr 1
		.amdhsa_user_sgpr_dispatch_id 0
		.amdhsa_user_sgpr_kernarg_preload_length 0
		.amdhsa_user_sgpr_kernarg_preload_offset 0
		.amdhsa_user_sgpr_private_segment_size 0
		.amdhsa_wavefront_size32 1
		.amdhsa_uses_dynamic_stack 0
		.amdhsa_enable_private_segment 0
		.amdhsa_system_sgpr_workgroup_id_x 1
		.amdhsa_system_sgpr_workgroup_id_y 0
		.amdhsa_system_sgpr_workgroup_id_z 0
		.amdhsa_system_sgpr_workgroup_info 0
		.amdhsa_system_vgpr_workitem_id 0
		.amdhsa_next_free_vgpr 1
		.amdhsa_next_free_sgpr 1
		.amdhsa_named_barrier_count 0
		.amdhsa_reserve_vcc 0
		.amdhsa_float_round_mode_32 0
		.amdhsa_float_round_mode_16_64 0
		.amdhsa_float_denorm_mode_32 3
		.amdhsa_float_denorm_mode_16_64 3
		.amdhsa_fp16_overflow 0
		.amdhsa_memory_ordered 1
		.amdhsa_forward_progress 1
		.amdhsa_inst_pref_size 1
		.amdhsa_round_robin_scheduling 0
		.amdhsa_exception_fp_ieee_invalid_op 0
		.amdhsa_exception_fp_denorm_src 0
		.amdhsa_exception_fp_ieee_div_zero 0
		.amdhsa_exception_fp_ieee_overflow 0
		.amdhsa_exception_fp_ieee_underflow 0
		.amdhsa_exception_fp_ieee_inexact 0
		.amdhsa_exception_int_div_zero 0
	.end_amdhsa_kernel
	.section	.text._ZN7rocprim17ROCPRIM_400000_NS6detail17trampoline_kernelINS0_14default_configENS1_27scan_by_key_config_selectorIixEEZZNS1_16scan_by_key_implILNS1_25lookback_scan_determinismE0ELb1ES3_N6thrust23THRUST_200600_302600_NS6detail15normal_iteratorINS9_10device_ptrIiEEEENSB_INSC_IxEEEESG_xNS9_4plusIvEENS9_8equal_toIvEExEE10hipError_tPvRmT2_T3_T4_T5_mT6_T7_P12ihipStream_tbENKUlT_T0_E_clISt17integral_constantIbLb1EES11_EEDaSW_SX_EUlSW_E_NS1_11comp_targetILNS1_3genE0ELNS1_11target_archE4294967295ELNS1_3gpuE0ELNS1_3repE0EEENS1_30default_config_static_selectorELNS0_4arch9wavefront6targetE0EEEvT1_,"axG",@progbits,_ZN7rocprim17ROCPRIM_400000_NS6detail17trampoline_kernelINS0_14default_configENS1_27scan_by_key_config_selectorIixEEZZNS1_16scan_by_key_implILNS1_25lookback_scan_determinismE0ELb1ES3_N6thrust23THRUST_200600_302600_NS6detail15normal_iteratorINS9_10device_ptrIiEEEENSB_INSC_IxEEEESG_xNS9_4plusIvEENS9_8equal_toIvEExEE10hipError_tPvRmT2_T3_T4_T5_mT6_T7_P12ihipStream_tbENKUlT_T0_E_clISt17integral_constantIbLb1EES11_EEDaSW_SX_EUlSW_E_NS1_11comp_targetILNS1_3genE0ELNS1_11target_archE4294967295ELNS1_3gpuE0ELNS1_3repE0EEENS1_30default_config_static_selectorELNS0_4arch9wavefront6targetE0EEEvT1_,comdat
.Lfunc_end1580:
	.size	_ZN7rocprim17ROCPRIM_400000_NS6detail17trampoline_kernelINS0_14default_configENS1_27scan_by_key_config_selectorIixEEZZNS1_16scan_by_key_implILNS1_25lookback_scan_determinismE0ELb1ES3_N6thrust23THRUST_200600_302600_NS6detail15normal_iteratorINS9_10device_ptrIiEEEENSB_INSC_IxEEEESG_xNS9_4plusIvEENS9_8equal_toIvEExEE10hipError_tPvRmT2_T3_T4_T5_mT6_T7_P12ihipStream_tbENKUlT_T0_E_clISt17integral_constantIbLb1EES11_EEDaSW_SX_EUlSW_E_NS1_11comp_targetILNS1_3genE0ELNS1_11target_archE4294967295ELNS1_3gpuE0ELNS1_3repE0EEENS1_30default_config_static_selectorELNS0_4arch9wavefront6targetE0EEEvT1_, .Lfunc_end1580-_ZN7rocprim17ROCPRIM_400000_NS6detail17trampoline_kernelINS0_14default_configENS1_27scan_by_key_config_selectorIixEEZZNS1_16scan_by_key_implILNS1_25lookback_scan_determinismE0ELb1ES3_N6thrust23THRUST_200600_302600_NS6detail15normal_iteratorINS9_10device_ptrIiEEEENSB_INSC_IxEEEESG_xNS9_4plusIvEENS9_8equal_toIvEExEE10hipError_tPvRmT2_T3_T4_T5_mT6_T7_P12ihipStream_tbENKUlT_T0_E_clISt17integral_constantIbLb1EES11_EEDaSW_SX_EUlSW_E_NS1_11comp_targetILNS1_3genE0ELNS1_11target_archE4294967295ELNS1_3gpuE0ELNS1_3repE0EEENS1_30default_config_static_selectorELNS0_4arch9wavefront6targetE0EEEvT1_
                                        ; -- End function
	.set _ZN7rocprim17ROCPRIM_400000_NS6detail17trampoline_kernelINS0_14default_configENS1_27scan_by_key_config_selectorIixEEZZNS1_16scan_by_key_implILNS1_25lookback_scan_determinismE0ELb1ES3_N6thrust23THRUST_200600_302600_NS6detail15normal_iteratorINS9_10device_ptrIiEEEENSB_INSC_IxEEEESG_xNS9_4plusIvEENS9_8equal_toIvEExEE10hipError_tPvRmT2_T3_T4_T5_mT6_T7_P12ihipStream_tbENKUlT_T0_E_clISt17integral_constantIbLb1EES11_EEDaSW_SX_EUlSW_E_NS1_11comp_targetILNS1_3genE0ELNS1_11target_archE4294967295ELNS1_3gpuE0ELNS1_3repE0EEENS1_30default_config_static_selectorELNS0_4arch9wavefront6targetE0EEEvT1_.num_vgpr, 0
	.set _ZN7rocprim17ROCPRIM_400000_NS6detail17trampoline_kernelINS0_14default_configENS1_27scan_by_key_config_selectorIixEEZZNS1_16scan_by_key_implILNS1_25lookback_scan_determinismE0ELb1ES3_N6thrust23THRUST_200600_302600_NS6detail15normal_iteratorINS9_10device_ptrIiEEEENSB_INSC_IxEEEESG_xNS9_4plusIvEENS9_8equal_toIvEExEE10hipError_tPvRmT2_T3_T4_T5_mT6_T7_P12ihipStream_tbENKUlT_T0_E_clISt17integral_constantIbLb1EES11_EEDaSW_SX_EUlSW_E_NS1_11comp_targetILNS1_3genE0ELNS1_11target_archE4294967295ELNS1_3gpuE0ELNS1_3repE0EEENS1_30default_config_static_selectorELNS0_4arch9wavefront6targetE0EEEvT1_.num_agpr, 0
	.set _ZN7rocprim17ROCPRIM_400000_NS6detail17trampoline_kernelINS0_14default_configENS1_27scan_by_key_config_selectorIixEEZZNS1_16scan_by_key_implILNS1_25lookback_scan_determinismE0ELb1ES3_N6thrust23THRUST_200600_302600_NS6detail15normal_iteratorINS9_10device_ptrIiEEEENSB_INSC_IxEEEESG_xNS9_4plusIvEENS9_8equal_toIvEExEE10hipError_tPvRmT2_T3_T4_T5_mT6_T7_P12ihipStream_tbENKUlT_T0_E_clISt17integral_constantIbLb1EES11_EEDaSW_SX_EUlSW_E_NS1_11comp_targetILNS1_3genE0ELNS1_11target_archE4294967295ELNS1_3gpuE0ELNS1_3repE0EEENS1_30default_config_static_selectorELNS0_4arch9wavefront6targetE0EEEvT1_.numbered_sgpr, 0
	.set _ZN7rocprim17ROCPRIM_400000_NS6detail17trampoline_kernelINS0_14default_configENS1_27scan_by_key_config_selectorIixEEZZNS1_16scan_by_key_implILNS1_25lookback_scan_determinismE0ELb1ES3_N6thrust23THRUST_200600_302600_NS6detail15normal_iteratorINS9_10device_ptrIiEEEENSB_INSC_IxEEEESG_xNS9_4plusIvEENS9_8equal_toIvEExEE10hipError_tPvRmT2_T3_T4_T5_mT6_T7_P12ihipStream_tbENKUlT_T0_E_clISt17integral_constantIbLb1EES11_EEDaSW_SX_EUlSW_E_NS1_11comp_targetILNS1_3genE0ELNS1_11target_archE4294967295ELNS1_3gpuE0ELNS1_3repE0EEENS1_30default_config_static_selectorELNS0_4arch9wavefront6targetE0EEEvT1_.num_named_barrier, 0
	.set _ZN7rocprim17ROCPRIM_400000_NS6detail17trampoline_kernelINS0_14default_configENS1_27scan_by_key_config_selectorIixEEZZNS1_16scan_by_key_implILNS1_25lookback_scan_determinismE0ELb1ES3_N6thrust23THRUST_200600_302600_NS6detail15normal_iteratorINS9_10device_ptrIiEEEENSB_INSC_IxEEEESG_xNS9_4plusIvEENS9_8equal_toIvEExEE10hipError_tPvRmT2_T3_T4_T5_mT6_T7_P12ihipStream_tbENKUlT_T0_E_clISt17integral_constantIbLb1EES11_EEDaSW_SX_EUlSW_E_NS1_11comp_targetILNS1_3genE0ELNS1_11target_archE4294967295ELNS1_3gpuE0ELNS1_3repE0EEENS1_30default_config_static_selectorELNS0_4arch9wavefront6targetE0EEEvT1_.private_seg_size, 0
	.set _ZN7rocprim17ROCPRIM_400000_NS6detail17trampoline_kernelINS0_14default_configENS1_27scan_by_key_config_selectorIixEEZZNS1_16scan_by_key_implILNS1_25lookback_scan_determinismE0ELb1ES3_N6thrust23THRUST_200600_302600_NS6detail15normal_iteratorINS9_10device_ptrIiEEEENSB_INSC_IxEEEESG_xNS9_4plusIvEENS9_8equal_toIvEExEE10hipError_tPvRmT2_T3_T4_T5_mT6_T7_P12ihipStream_tbENKUlT_T0_E_clISt17integral_constantIbLb1EES11_EEDaSW_SX_EUlSW_E_NS1_11comp_targetILNS1_3genE0ELNS1_11target_archE4294967295ELNS1_3gpuE0ELNS1_3repE0EEENS1_30default_config_static_selectorELNS0_4arch9wavefront6targetE0EEEvT1_.uses_vcc, 0
	.set _ZN7rocprim17ROCPRIM_400000_NS6detail17trampoline_kernelINS0_14default_configENS1_27scan_by_key_config_selectorIixEEZZNS1_16scan_by_key_implILNS1_25lookback_scan_determinismE0ELb1ES3_N6thrust23THRUST_200600_302600_NS6detail15normal_iteratorINS9_10device_ptrIiEEEENSB_INSC_IxEEEESG_xNS9_4plusIvEENS9_8equal_toIvEExEE10hipError_tPvRmT2_T3_T4_T5_mT6_T7_P12ihipStream_tbENKUlT_T0_E_clISt17integral_constantIbLb1EES11_EEDaSW_SX_EUlSW_E_NS1_11comp_targetILNS1_3genE0ELNS1_11target_archE4294967295ELNS1_3gpuE0ELNS1_3repE0EEENS1_30default_config_static_selectorELNS0_4arch9wavefront6targetE0EEEvT1_.uses_flat_scratch, 0
	.set _ZN7rocprim17ROCPRIM_400000_NS6detail17trampoline_kernelINS0_14default_configENS1_27scan_by_key_config_selectorIixEEZZNS1_16scan_by_key_implILNS1_25lookback_scan_determinismE0ELb1ES3_N6thrust23THRUST_200600_302600_NS6detail15normal_iteratorINS9_10device_ptrIiEEEENSB_INSC_IxEEEESG_xNS9_4plusIvEENS9_8equal_toIvEExEE10hipError_tPvRmT2_T3_T4_T5_mT6_T7_P12ihipStream_tbENKUlT_T0_E_clISt17integral_constantIbLb1EES11_EEDaSW_SX_EUlSW_E_NS1_11comp_targetILNS1_3genE0ELNS1_11target_archE4294967295ELNS1_3gpuE0ELNS1_3repE0EEENS1_30default_config_static_selectorELNS0_4arch9wavefront6targetE0EEEvT1_.has_dyn_sized_stack, 0
	.set _ZN7rocprim17ROCPRIM_400000_NS6detail17trampoline_kernelINS0_14default_configENS1_27scan_by_key_config_selectorIixEEZZNS1_16scan_by_key_implILNS1_25lookback_scan_determinismE0ELb1ES3_N6thrust23THRUST_200600_302600_NS6detail15normal_iteratorINS9_10device_ptrIiEEEENSB_INSC_IxEEEESG_xNS9_4plusIvEENS9_8equal_toIvEExEE10hipError_tPvRmT2_T3_T4_T5_mT6_T7_P12ihipStream_tbENKUlT_T0_E_clISt17integral_constantIbLb1EES11_EEDaSW_SX_EUlSW_E_NS1_11comp_targetILNS1_3genE0ELNS1_11target_archE4294967295ELNS1_3gpuE0ELNS1_3repE0EEENS1_30default_config_static_selectorELNS0_4arch9wavefront6targetE0EEEvT1_.has_recursion, 0
	.set _ZN7rocprim17ROCPRIM_400000_NS6detail17trampoline_kernelINS0_14default_configENS1_27scan_by_key_config_selectorIixEEZZNS1_16scan_by_key_implILNS1_25lookback_scan_determinismE0ELb1ES3_N6thrust23THRUST_200600_302600_NS6detail15normal_iteratorINS9_10device_ptrIiEEEENSB_INSC_IxEEEESG_xNS9_4plusIvEENS9_8equal_toIvEExEE10hipError_tPvRmT2_T3_T4_T5_mT6_T7_P12ihipStream_tbENKUlT_T0_E_clISt17integral_constantIbLb1EES11_EEDaSW_SX_EUlSW_E_NS1_11comp_targetILNS1_3genE0ELNS1_11target_archE4294967295ELNS1_3gpuE0ELNS1_3repE0EEENS1_30default_config_static_selectorELNS0_4arch9wavefront6targetE0EEEvT1_.has_indirect_call, 0
	.section	.AMDGPU.csdata,"",@progbits
; Kernel info:
; codeLenInByte = 4
; TotalNumSgprs: 0
; NumVgprs: 0
; ScratchSize: 0
; MemoryBound: 0
; FloatMode: 240
; IeeeMode: 1
; LDSByteSize: 0 bytes/workgroup (compile time only)
; SGPRBlocks: 0
; VGPRBlocks: 0
; NumSGPRsForWavesPerEU: 1
; NumVGPRsForWavesPerEU: 1
; NamedBarCnt: 0
; Occupancy: 16
; WaveLimiterHint : 0
; COMPUTE_PGM_RSRC2:SCRATCH_EN: 0
; COMPUTE_PGM_RSRC2:USER_SGPR: 2
; COMPUTE_PGM_RSRC2:TRAP_HANDLER: 0
; COMPUTE_PGM_RSRC2:TGID_X_EN: 1
; COMPUTE_PGM_RSRC2:TGID_Y_EN: 0
; COMPUTE_PGM_RSRC2:TGID_Z_EN: 0
; COMPUTE_PGM_RSRC2:TIDIG_COMP_CNT: 0
	.section	.text._ZN7rocprim17ROCPRIM_400000_NS6detail17trampoline_kernelINS0_14default_configENS1_27scan_by_key_config_selectorIixEEZZNS1_16scan_by_key_implILNS1_25lookback_scan_determinismE0ELb1ES3_N6thrust23THRUST_200600_302600_NS6detail15normal_iteratorINS9_10device_ptrIiEEEENSB_INSC_IxEEEESG_xNS9_4plusIvEENS9_8equal_toIvEExEE10hipError_tPvRmT2_T3_T4_T5_mT6_T7_P12ihipStream_tbENKUlT_T0_E_clISt17integral_constantIbLb1EES11_EEDaSW_SX_EUlSW_E_NS1_11comp_targetILNS1_3genE10ELNS1_11target_archE1201ELNS1_3gpuE5ELNS1_3repE0EEENS1_30default_config_static_selectorELNS0_4arch9wavefront6targetE0EEEvT1_,"axG",@progbits,_ZN7rocprim17ROCPRIM_400000_NS6detail17trampoline_kernelINS0_14default_configENS1_27scan_by_key_config_selectorIixEEZZNS1_16scan_by_key_implILNS1_25lookback_scan_determinismE0ELb1ES3_N6thrust23THRUST_200600_302600_NS6detail15normal_iteratorINS9_10device_ptrIiEEEENSB_INSC_IxEEEESG_xNS9_4plusIvEENS9_8equal_toIvEExEE10hipError_tPvRmT2_T3_T4_T5_mT6_T7_P12ihipStream_tbENKUlT_T0_E_clISt17integral_constantIbLb1EES11_EEDaSW_SX_EUlSW_E_NS1_11comp_targetILNS1_3genE10ELNS1_11target_archE1201ELNS1_3gpuE5ELNS1_3repE0EEENS1_30default_config_static_selectorELNS0_4arch9wavefront6targetE0EEEvT1_,comdat
	.protected	_ZN7rocprim17ROCPRIM_400000_NS6detail17trampoline_kernelINS0_14default_configENS1_27scan_by_key_config_selectorIixEEZZNS1_16scan_by_key_implILNS1_25lookback_scan_determinismE0ELb1ES3_N6thrust23THRUST_200600_302600_NS6detail15normal_iteratorINS9_10device_ptrIiEEEENSB_INSC_IxEEEESG_xNS9_4plusIvEENS9_8equal_toIvEExEE10hipError_tPvRmT2_T3_T4_T5_mT6_T7_P12ihipStream_tbENKUlT_T0_E_clISt17integral_constantIbLb1EES11_EEDaSW_SX_EUlSW_E_NS1_11comp_targetILNS1_3genE10ELNS1_11target_archE1201ELNS1_3gpuE5ELNS1_3repE0EEENS1_30default_config_static_selectorELNS0_4arch9wavefront6targetE0EEEvT1_ ; -- Begin function _ZN7rocprim17ROCPRIM_400000_NS6detail17trampoline_kernelINS0_14default_configENS1_27scan_by_key_config_selectorIixEEZZNS1_16scan_by_key_implILNS1_25lookback_scan_determinismE0ELb1ES3_N6thrust23THRUST_200600_302600_NS6detail15normal_iteratorINS9_10device_ptrIiEEEENSB_INSC_IxEEEESG_xNS9_4plusIvEENS9_8equal_toIvEExEE10hipError_tPvRmT2_T3_T4_T5_mT6_T7_P12ihipStream_tbENKUlT_T0_E_clISt17integral_constantIbLb1EES11_EEDaSW_SX_EUlSW_E_NS1_11comp_targetILNS1_3genE10ELNS1_11target_archE1201ELNS1_3gpuE5ELNS1_3repE0EEENS1_30default_config_static_selectorELNS0_4arch9wavefront6targetE0EEEvT1_
	.globl	_ZN7rocprim17ROCPRIM_400000_NS6detail17trampoline_kernelINS0_14default_configENS1_27scan_by_key_config_selectorIixEEZZNS1_16scan_by_key_implILNS1_25lookback_scan_determinismE0ELb1ES3_N6thrust23THRUST_200600_302600_NS6detail15normal_iteratorINS9_10device_ptrIiEEEENSB_INSC_IxEEEESG_xNS9_4plusIvEENS9_8equal_toIvEExEE10hipError_tPvRmT2_T3_T4_T5_mT6_T7_P12ihipStream_tbENKUlT_T0_E_clISt17integral_constantIbLb1EES11_EEDaSW_SX_EUlSW_E_NS1_11comp_targetILNS1_3genE10ELNS1_11target_archE1201ELNS1_3gpuE5ELNS1_3repE0EEENS1_30default_config_static_selectorELNS0_4arch9wavefront6targetE0EEEvT1_
	.p2align	8
	.type	_ZN7rocprim17ROCPRIM_400000_NS6detail17trampoline_kernelINS0_14default_configENS1_27scan_by_key_config_selectorIixEEZZNS1_16scan_by_key_implILNS1_25lookback_scan_determinismE0ELb1ES3_N6thrust23THRUST_200600_302600_NS6detail15normal_iteratorINS9_10device_ptrIiEEEENSB_INSC_IxEEEESG_xNS9_4plusIvEENS9_8equal_toIvEExEE10hipError_tPvRmT2_T3_T4_T5_mT6_T7_P12ihipStream_tbENKUlT_T0_E_clISt17integral_constantIbLb1EES11_EEDaSW_SX_EUlSW_E_NS1_11comp_targetILNS1_3genE10ELNS1_11target_archE1201ELNS1_3gpuE5ELNS1_3repE0EEENS1_30default_config_static_selectorELNS0_4arch9wavefront6targetE0EEEvT1_,@function
_ZN7rocprim17ROCPRIM_400000_NS6detail17trampoline_kernelINS0_14default_configENS1_27scan_by_key_config_selectorIixEEZZNS1_16scan_by_key_implILNS1_25lookback_scan_determinismE0ELb1ES3_N6thrust23THRUST_200600_302600_NS6detail15normal_iteratorINS9_10device_ptrIiEEEENSB_INSC_IxEEEESG_xNS9_4plusIvEENS9_8equal_toIvEExEE10hipError_tPvRmT2_T3_T4_T5_mT6_T7_P12ihipStream_tbENKUlT_T0_E_clISt17integral_constantIbLb1EES11_EEDaSW_SX_EUlSW_E_NS1_11comp_targetILNS1_3genE10ELNS1_11target_archE1201ELNS1_3gpuE5ELNS1_3repE0EEENS1_30default_config_static_selectorELNS0_4arch9wavefront6targetE0EEEvT1_: ; @_ZN7rocprim17ROCPRIM_400000_NS6detail17trampoline_kernelINS0_14default_configENS1_27scan_by_key_config_selectorIixEEZZNS1_16scan_by_key_implILNS1_25lookback_scan_determinismE0ELb1ES3_N6thrust23THRUST_200600_302600_NS6detail15normal_iteratorINS9_10device_ptrIiEEEENSB_INSC_IxEEEESG_xNS9_4plusIvEENS9_8equal_toIvEExEE10hipError_tPvRmT2_T3_T4_T5_mT6_T7_P12ihipStream_tbENKUlT_T0_E_clISt17integral_constantIbLb1EES11_EEDaSW_SX_EUlSW_E_NS1_11comp_targetILNS1_3genE10ELNS1_11target_archE1201ELNS1_3gpuE5ELNS1_3repE0EEENS1_30default_config_static_selectorELNS0_4arch9wavefront6targetE0EEEvT1_
; %bb.0:
	.section	.rodata,"a",@progbits
	.p2align	6, 0x0
	.amdhsa_kernel _ZN7rocprim17ROCPRIM_400000_NS6detail17trampoline_kernelINS0_14default_configENS1_27scan_by_key_config_selectorIixEEZZNS1_16scan_by_key_implILNS1_25lookback_scan_determinismE0ELb1ES3_N6thrust23THRUST_200600_302600_NS6detail15normal_iteratorINS9_10device_ptrIiEEEENSB_INSC_IxEEEESG_xNS9_4plusIvEENS9_8equal_toIvEExEE10hipError_tPvRmT2_T3_T4_T5_mT6_T7_P12ihipStream_tbENKUlT_T0_E_clISt17integral_constantIbLb1EES11_EEDaSW_SX_EUlSW_E_NS1_11comp_targetILNS1_3genE10ELNS1_11target_archE1201ELNS1_3gpuE5ELNS1_3repE0EEENS1_30default_config_static_selectorELNS0_4arch9wavefront6targetE0EEEvT1_
		.amdhsa_group_segment_fixed_size 0
		.amdhsa_private_segment_fixed_size 0
		.amdhsa_kernarg_size 136
		.amdhsa_user_sgpr_count 2
		.amdhsa_user_sgpr_dispatch_ptr 0
		.amdhsa_user_sgpr_queue_ptr 0
		.amdhsa_user_sgpr_kernarg_segment_ptr 1
		.amdhsa_user_sgpr_dispatch_id 0
		.amdhsa_user_sgpr_kernarg_preload_length 0
		.amdhsa_user_sgpr_kernarg_preload_offset 0
		.amdhsa_user_sgpr_private_segment_size 0
		.amdhsa_wavefront_size32 1
		.amdhsa_uses_dynamic_stack 0
		.amdhsa_enable_private_segment 0
		.amdhsa_system_sgpr_workgroup_id_x 1
		.amdhsa_system_sgpr_workgroup_id_y 0
		.amdhsa_system_sgpr_workgroup_id_z 0
		.amdhsa_system_sgpr_workgroup_info 0
		.amdhsa_system_vgpr_workitem_id 0
		.amdhsa_next_free_vgpr 1
		.amdhsa_next_free_sgpr 1
		.amdhsa_named_barrier_count 0
		.amdhsa_reserve_vcc 0
		.amdhsa_float_round_mode_32 0
		.amdhsa_float_round_mode_16_64 0
		.amdhsa_float_denorm_mode_32 3
		.amdhsa_float_denorm_mode_16_64 3
		.amdhsa_fp16_overflow 0
		.amdhsa_memory_ordered 1
		.amdhsa_forward_progress 1
		.amdhsa_inst_pref_size 0
		.amdhsa_round_robin_scheduling 0
		.amdhsa_exception_fp_ieee_invalid_op 0
		.amdhsa_exception_fp_denorm_src 0
		.amdhsa_exception_fp_ieee_div_zero 0
		.amdhsa_exception_fp_ieee_overflow 0
		.amdhsa_exception_fp_ieee_underflow 0
		.amdhsa_exception_fp_ieee_inexact 0
		.amdhsa_exception_int_div_zero 0
	.end_amdhsa_kernel
	.section	.text._ZN7rocprim17ROCPRIM_400000_NS6detail17trampoline_kernelINS0_14default_configENS1_27scan_by_key_config_selectorIixEEZZNS1_16scan_by_key_implILNS1_25lookback_scan_determinismE0ELb1ES3_N6thrust23THRUST_200600_302600_NS6detail15normal_iteratorINS9_10device_ptrIiEEEENSB_INSC_IxEEEESG_xNS9_4plusIvEENS9_8equal_toIvEExEE10hipError_tPvRmT2_T3_T4_T5_mT6_T7_P12ihipStream_tbENKUlT_T0_E_clISt17integral_constantIbLb1EES11_EEDaSW_SX_EUlSW_E_NS1_11comp_targetILNS1_3genE10ELNS1_11target_archE1201ELNS1_3gpuE5ELNS1_3repE0EEENS1_30default_config_static_selectorELNS0_4arch9wavefront6targetE0EEEvT1_,"axG",@progbits,_ZN7rocprim17ROCPRIM_400000_NS6detail17trampoline_kernelINS0_14default_configENS1_27scan_by_key_config_selectorIixEEZZNS1_16scan_by_key_implILNS1_25lookback_scan_determinismE0ELb1ES3_N6thrust23THRUST_200600_302600_NS6detail15normal_iteratorINS9_10device_ptrIiEEEENSB_INSC_IxEEEESG_xNS9_4plusIvEENS9_8equal_toIvEExEE10hipError_tPvRmT2_T3_T4_T5_mT6_T7_P12ihipStream_tbENKUlT_T0_E_clISt17integral_constantIbLb1EES11_EEDaSW_SX_EUlSW_E_NS1_11comp_targetILNS1_3genE10ELNS1_11target_archE1201ELNS1_3gpuE5ELNS1_3repE0EEENS1_30default_config_static_selectorELNS0_4arch9wavefront6targetE0EEEvT1_,comdat
.Lfunc_end1581:
	.size	_ZN7rocprim17ROCPRIM_400000_NS6detail17trampoline_kernelINS0_14default_configENS1_27scan_by_key_config_selectorIixEEZZNS1_16scan_by_key_implILNS1_25lookback_scan_determinismE0ELb1ES3_N6thrust23THRUST_200600_302600_NS6detail15normal_iteratorINS9_10device_ptrIiEEEENSB_INSC_IxEEEESG_xNS9_4plusIvEENS9_8equal_toIvEExEE10hipError_tPvRmT2_T3_T4_T5_mT6_T7_P12ihipStream_tbENKUlT_T0_E_clISt17integral_constantIbLb1EES11_EEDaSW_SX_EUlSW_E_NS1_11comp_targetILNS1_3genE10ELNS1_11target_archE1201ELNS1_3gpuE5ELNS1_3repE0EEENS1_30default_config_static_selectorELNS0_4arch9wavefront6targetE0EEEvT1_, .Lfunc_end1581-_ZN7rocprim17ROCPRIM_400000_NS6detail17trampoline_kernelINS0_14default_configENS1_27scan_by_key_config_selectorIixEEZZNS1_16scan_by_key_implILNS1_25lookback_scan_determinismE0ELb1ES3_N6thrust23THRUST_200600_302600_NS6detail15normal_iteratorINS9_10device_ptrIiEEEENSB_INSC_IxEEEESG_xNS9_4plusIvEENS9_8equal_toIvEExEE10hipError_tPvRmT2_T3_T4_T5_mT6_T7_P12ihipStream_tbENKUlT_T0_E_clISt17integral_constantIbLb1EES11_EEDaSW_SX_EUlSW_E_NS1_11comp_targetILNS1_3genE10ELNS1_11target_archE1201ELNS1_3gpuE5ELNS1_3repE0EEENS1_30default_config_static_selectorELNS0_4arch9wavefront6targetE0EEEvT1_
                                        ; -- End function
	.set _ZN7rocprim17ROCPRIM_400000_NS6detail17trampoline_kernelINS0_14default_configENS1_27scan_by_key_config_selectorIixEEZZNS1_16scan_by_key_implILNS1_25lookback_scan_determinismE0ELb1ES3_N6thrust23THRUST_200600_302600_NS6detail15normal_iteratorINS9_10device_ptrIiEEEENSB_INSC_IxEEEESG_xNS9_4plusIvEENS9_8equal_toIvEExEE10hipError_tPvRmT2_T3_T4_T5_mT6_T7_P12ihipStream_tbENKUlT_T0_E_clISt17integral_constantIbLb1EES11_EEDaSW_SX_EUlSW_E_NS1_11comp_targetILNS1_3genE10ELNS1_11target_archE1201ELNS1_3gpuE5ELNS1_3repE0EEENS1_30default_config_static_selectorELNS0_4arch9wavefront6targetE0EEEvT1_.num_vgpr, 0
	.set _ZN7rocprim17ROCPRIM_400000_NS6detail17trampoline_kernelINS0_14default_configENS1_27scan_by_key_config_selectorIixEEZZNS1_16scan_by_key_implILNS1_25lookback_scan_determinismE0ELb1ES3_N6thrust23THRUST_200600_302600_NS6detail15normal_iteratorINS9_10device_ptrIiEEEENSB_INSC_IxEEEESG_xNS9_4plusIvEENS9_8equal_toIvEExEE10hipError_tPvRmT2_T3_T4_T5_mT6_T7_P12ihipStream_tbENKUlT_T0_E_clISt17integral_constantIbLb1EES11_EEDaSW_SX_EUlSW_E_NS1_11comp_targetILNS1_3genE10ELNS1_11target_archE1201ELNS1_3gpuE5ELNS1_3repE0EEENS1_30default_config_static_selectorELNS0_4arch9wavefront6targetE0EEEvT1_.num_agpr, 0
	.set _ZN7rocprim17ROCPRIM_400000_NS6detail17trampoline_kernelINS0_14default_configENS1_27scan_by_key_config_selectorIixEEZZNS1_16scan_by_key_implILNS1_25lookback_scan_determinismE0ELb1ES3_N6thrust23THRUST_200600_302600_NS6detail15normal_iteratorINS9_10device_ptrIiEEEENSB_INSC_IxEEEESG_xNS9_4plusIvEENS9_8equal_toIvEExEE10hipError_tPvRmT2_T3_T4_T5_mT6_T7_P12ihipStream_tbENKUlT_T0_E_clISt17integral_constantIbLb1EES11_EEDaSW_SX_EUlSW_E_NS1_11comp_targetILNS1_3genE10ELNS1_11target_archE1201ELNS1_3gpuE5ELNS1_3repE0EEENS1_30default_config_static_selectorELNS0_4arch9wavefront6targetE0EEEvT1_.numbered_sgpr, 0
	.set _ZN7rocprim17ROCPRIM_400000_NS6detail17trampoline_kernelINS0_14default_configENS1_27scan_by_key_config_selectorIixEEZZNS1_16scan_by_key_implILNS1_25lookback_scan_determinismE0ELb1ES3_N6thrust23THRUST_200600_302600_NS6detail15normal_iteratorINS9_10device_ptrIiEEEENSB_INSC_IxEEEESG_xNS9_4plusIvEENS9_8equal_toIvEExEE10hipError_tPvRmT2_T3_T4_T5_mT6_T7_P12ihipStream_tbENKUlT_T0_E_clISt17integral_constantIbLb1EES11_EEDaSW_SX_EUlSW_E_NS1_11comp_targetILNS1_3genE10ELNS1_11target_archE1201ELNS1_3gpuE5ELNS1_3repE0EEENS1_30default_config_static_selectorELNS0_4arch9wavefront6targetE0EEEvT1_.num_named_barrier, 0
	.set _ZN7rocprim17ROCPRIM_400000_NS6detail17trampoline_kernelINS0_14default_configENS1_27scan_by_key_config_selectorIixEEZZNS1_16scan_by_key_implILNS1_25lookback_scan_determinismE0ELb1ES3_N6thrust23THRUST_200600_302600_NS6detail15normal_iteratorINS9_10device_ptrIiEEEENSB_INSC_IxEEEESG_xNS9_4plusIvEENS9_8equal_toIvEExEE10hipError_tPvRmT2_T3_T4_T5_mT6_T7_P12ihipStream_tbENKUlT_T0_E_clISt17integral_constantIbLb1EES11_EEDaSW_SX_EUlSW_E_NS1_11comp_targetILNS1_3genE10ELNS1_11target_archE1201ELNS1_3gpuE5ELNS1_3repE0EEENS1_30default_config_static_selectorELNS0_4arch9wavefront6targetE0EEEvT1_.private_seg_size, 0
	.set _ZN7rocprim17ROCPRIM_400000_NS6detail17trampoline_kernelINS0_14default_configENS1_27scan_by_key_config_selectorIixEEZZNS1_16scan_by_key_implILNS1_25lookback_scan_determinismE0ELb1ES3_N6thrust23THRUST_200600_302600_NS6detail15normal_iteratorINS9_10device_ptrIiEEEENSB_INSC_IxEEEESG_xNS9_4plusIvEENS9_8equal_toIvEExEE10hipError_tPvRmT2_T3_T4_T5_mT6_T7_P12ihipStream_tbENKUlT_T0_E_clISt17integral_constantIbLb1EES11_EEDaSW_SX_EUlSW_E_NS1_11comp_targetILNS1_3genE10ELNS1_11target_archE1201ELNS1_3gpuE5ELNS1_3repE0EEENS1_30default_config_static_selectorELNS0_4arch9wavefront6targetE0EEEvT1_.uses_vcc, 0
	.set _ZN7rocprim17ROCPRIM_400000_NS6detail17trampoline_kernelINS0_14default_configENS1_27scan_by_key_config_selectorIixEEZZNS1_16scan_by_key_implILNS1_25lookback_scan_determinismE0ELb1ES3_N6thrust23THRUST_200600_302600_NS6detail15normal_iteratorINS9_10device_ptrIiEEEENSB_INSC_IxEEEESG_xNS9_4plusIvEENS9_8equal_toIvEExEE10hipError_tPvRmT2_T3_T4_T5_mT6_T7_P12ihipStream_tbENKUlT_T0_E_clISt17integral_constantIbLb1EES11_EEDaSW_SX_EUlSW_E_NS1_11comp_targetILNS1_3genE10ELNS1_11target_archE1201ELNS1_3gpuE5ELNS1_3repE0EEENS1_30default_config_static_selectorELNS0_4arch9wavefront6targetE0EEEvT1_.uses_flat_scratch, 0
	.set _ZN7rocprim17ROCPRIM_400000_NS6detail17trampoline_kernelINS0_14default_configENS1_27scan_by_key_config_selectorIixEEZZNS1_16scan_by_key_implILNS1_25lookback_scan_determinismE0ELb1ES3_N6thrust23THRUST_200600_302600_NS6detail15normal_iteratorINS9_10device_ptrIiEEEENSB_INSC_IxEEEESG_xNS9_4plusIvEENS9_8equal_toIvEExEE10hipError_tPvRmT2_T3_T4_T5_mT6_T7_P12ihipStream_tbENKUlT_T0_E_clISt17integral_constantIbLb1EES11_EEDaSW_SX_EUlSW_E_NS1_11comp_targetILNS1_3genE10ELNS1_11target_archE1201ELNS1_3gpuE5ELNS1_3repE0EEENS1_30default_config_static_selectorELNS0_4arch9wavefront6targetE0EEEvT1_.has_dyn_sized_stack, 0
	.set _ZN7rocprim17ROCPRIM_400000_NS6detail17trampoline_kernelINS0_14default_configENS1_27scan_by_key_config_selectorIixEEZZNS1_16scan_by_key_implILNS1_25lookback_scan_determinismE0ELb1ES3_N6thrust23THRUST_200600_302600_NS6detail15normal_iteratorINS9_10device_ptrIiEEEENSB_INSC_IxEEEESG_xNS9_4plusIvEENS9_8equal_toIvEExEE10hipError_tPvRmT2_T3_T4_T5_mT6_T7_P12ihipStream_tbENKUlT_T0_E_clISt17integral_constantIbLb1EES11_EEDaSW_SX_EUlSW_E_NS1_11comp_targetILNS1_3genE10ELNS1_11target_archE1201ELNS1_3gpuE5ELNS1_3repE0EEENS1_30default_config_static_selectorELNS0_4arch9wavefront6targetE0EEEvT1_.has_recursion, 0
	.set _ZN7rocprim17ROCPRIM_400000_NS6detail17trampoline_kernelINS0_14default_configENS1_27scan_by_key_config_selectorIixEEZZNS1_16scan_by_key_implILNS1_25lookback_scan_determinismE0ELb1ES3_N6thrust23THRUST_200600_302600_NS6detail15normal_iteratorINS9_10device_ptrIiEEEENSB_INSC_IxEEEESG_xNS9_4plusIvEENS9_8equal_toIvEExEE10hipError_tPvRmT2_T3_T4_T5_mT6_T7_P12ihipStream_tbENKUlT_T0_E_clISt17integral_constantIbLb1EES11_EEDaSW_SX_EUlSW_E_NS1_11comp_targetILNS1_3genE10ELNS1_11target_archE1201ELNS1_3gpuE5ELNS1_3repE0EEENS1_30default_config_static_selectorELNS0_4arch9wavefront6targetE0EEEvT1_.has_indirect_call, 0
	.section	.AMDGPU.csdata,"",@progbits
; Kernel info:
; codeLenInByte = 0
; TotalNumSgprs: 0
; NumVgprs: 0
; ScratchSize: 0
; MemoryBound: 0
; FloatMode: 240
; IeeeMode: 1
; LDSByteSize: 0 bytes/workgroup (compile time only)
; SGPRBlocks: 0
; VGPRBlocks: 0
; NumSGPRsForWavesPerEU: 1
; NumVGPRsForWavesPerEU: 1
; NamedBarCnt: 0
; Occupancy: 16
; WaveLimiterHint : 0
; COMPUTE_PGM_RSRC2:SCRATCH_EN: 0
; COMPUTE_PGM_RSRC2:USER_SGPR: 2
; COMPUTE_PGM_RSRC2:TRAP_HANDLER: 0
; COMPUTE_PGM_RSRC2:TGID_X_EN: 1
; COMPUTE_PGM_RSRC2:TGID_Y_EN: 0
; COMPUTE_PGM_RSRC2:TGID_Z_EN: 0
; COMPUTE_PGM_RSRC2:TIDIG_COMP_CNT: 0
	.section	.text._ZN7rocprim17ROCPRIM_400000_NS6detail17trampoline_kernelINS0_14default_configENS1_27scan_by_key_config_selectorIixEEZZNS1_16scan_by_key_implILNS1_25lookback_scan_determinismE0ELb1ES3_N6thrust23THRUST_200600_302600_NS6detail15normal_iteratorINS9_10device_ptrIiEEEENSB_INSC_IxEEEESG_xNS9_4plusIvEENS9_8equal_toIvEExEE10hipError_tPvRmT2_T3_T4_T5_mT6_T7_P12ihipStream_tbENKUlT_T0_E_clISt17integral_constantIbLb1EES11_EEDaSW_SX_EUlSW_E_NS1_11comp_targetILNS1_3genE5ELNS1_11target_archE942ELNS1_3gpuE9ELNS1_3repE0EEENS1_30default_config_static_selectorELNS0_4arch9wavefront6targetE0EEEvT1_,"axG",@progbits,_ZN7rocprim17ROCPRIM_400000_NS6detail17trampoline_kernelINS0_14default_configENS1_27scan_by_key_config_selectorIixEEZZNS1_16scan_by_key_implILNS1_25lookback_scan_determinismE0ELb1ES3_N6thrust23THRUST_200600_302600_NS6detail15normal_iteratorINS9_10device_ptrIiEEEENSB_INSC_IxEEEESG_xNS9_4plusIvEENS9_8equal_toIvEExEE10hipError_tPvRmT2_T3_T4_T5_mT6_T7_P12ihipStream_tbENKUlT_T0_E_clISt17integral_constantIbLb1EES11_EEDaSW_SX_EUlSW_E_NS1_11comp_targetILNS1_3genE5ELNS1_11target_archE942ELNS1_3gpuE9ELNS1_3repE0EEENS1_30default_config_static_selectorELNS0_4arch9wavefront6targetE0EEEvT1_,comdat
	.protected	_ZN7rocprim17ROCPRIM_400000_NS6detail17trampoline_kernelINS0_14default_configENS1_27scan_by_key_config_selectorIixEEZZNS1_16scan_by_key_implILNS1_25lookback_scan_determinismE0ELb1ES3_N6thrust23THRUST_200600_302600_NS6detail15normal_iteratorINS9_10device_ptrIiEEEENSB_INSC_IxEEEESG_xNS9_4plusIvEENS9_8equal_toIvEExEE10hipError_tPvRmT2_T3_T4_T5_mT6_T7_P12ihipStream_tbENKUlT_T0_E_clISt17integral_constantIbLb1EES11_EEDaSW_SX_EUlSW_E_NS1_11comp_targetILNS1_3genE5ELNS1_11target_archE942ELNS1_3gpuE9ELNS1_3repE0EEENS1_30default_config_static_selectorELNS0_4arch9wavefront6targetE0EEEvT1_ ; -- Begin function _ZN7rocprim17ROCPRIM_400000_NS6detail17trampoline_kernelINS0_14default_configENS1_27scan_by_key_config_selectorIixEEZZNS1_16scan_by_key_implILNS1_25lookback_scan_determinismE0ELb1ES3_N6thrust23THRUST_200600_302600_NS6detail15normal_iteratorINS9_10device_ptrIiEEEENSB_INSC_IxEEEESG_xNS9_4plusIvEENS9_8equal_toIvEExEE10hipError_tPvRmT2_T3_T4_T5_mT6_T7_P12ihipStream_tbENKUlT_T0_E_clISt17integral_constantIbLb1EES11_EEDaSW_SX_EUlSW_E_NS1_11comp_targetILNS1_3genE5ELNS1_11target_archE942ELNS1_3gpuE9ELNS1_3repE0EEENS1_30default_config_static_selectorELNS0_4arch9wavefront6targetE0EEEvT1_
	.globl	_ZN7rocprim17ROCPRIM_400000_NS6detail17trampoline_kernelINS0_14default_configENS1_27scan_by_key_config_selectorIixEEZZNS1_16scan_by_key_implILNS1_25lookback_scan_determinismE0ELb1ES3_N6thrust23THRUST_200600_302600_NS6detail15normal_iteratorINS9_10device_ptrIiEEEENSB_INSC_IxEEEESG_xNS9_4plusIvEENS9_8equal_toIvEExEE10hipError_tPvRmT2_T3_T4_T5_mT6_T7_P12ihipStream_tbENKUlT_T0_E_clISt17integral_constantIbLb1EES11_EEDaSW_SX_EUlSW_E_NS1_11comp_targetILNS1_3genE5ELNS1_11target_archE942ELNS1_3gpuE9ELNS1_3repE0EEENS1_30default_config_static_selectorELNS0_4arch9wavefront6targetE0EEEvT1_
	.p2align	8
	.type	_ZN7rocprim17ROCPRIM_400000_NS6detail17trampoline_kernelINS0_14default_configENS1_27scan_by_key_config_selectorIixEEZZNS1_16scan_by_key_implILNS1_25lookback_scan_determinismE0ELb1ES3_N6thrust23THRUST_200600_302600_NS6detail15normal_iteratorINS9_10device_ptrIiEEEENSB_INSC_IxEEEESG_xNS9_4plusIvEENS9_8equal_toIvEExEE10hipError_tPvRmT2_T3_T4_T5_mT6_T7_P12ihipStream_tbENKUlT_T0_E_clISt17integral_constantIbLb1EES11_EEDaSW_SX_EUlSW_E_NS1_11comp_targetILNS1_3genE5ELNS1_11target_archE942ELNS1_3gpuE9ELNS1_3repE0EEENS1_30default_config_static_selectorELNS0_4arch9wavefront6targetE0EEEvT1_,@function
_ZN7rocprim17ROCPRIM_400000_NS6detail17trampoline_kernelINS0_14default_configENS1_27scan_by_key_config_selectorIixEEZZNS1_16scan_by_key_implILNS1_25lookback_scan_determinismE0ELb1ES3_N6thrust23THRUST_200600_302600_NS6detail15normal_iteratorINS9_10device_ptrIiEEEENSB_INSC_IxEEEESG_xNS9_4plusIvEENS9_8equal_toIvEExEE10hipError_tPvRmT2_T3_T4_T5_mT6_T7_P12ihipStream_tbENKUlT_T0_E_clISt17integral_constantIbLb1EES11_EEDaSW_SX_EUlSW_E_NS1_11comp_targetILNS1_3genE5ELNS1_11target_archE942ELNS1_3gpuE9ELNS1_3repE0EEENS1_30default_config_static_selectorELNS0_4arch9wavefront6targetE0EEEvT1_: ; @_ZN7rocprim17ROCPRIM_400000_NS6detail17trampoline_kernelINS0_14default_configENS1_27scan_by_key_config_selectorIixEEZZNS1_16scan_by_key_implILNS1_25lookback_scan_determinismE0ELb1ES3_N6thrust23THRUST_200600_302600_NS6detail15normal_iteratorINS9_10device_ptrIiEEEENSB_INSC_IxEEEESG_xNS9_4plusIvEENS9_8equal_toIvEExEE10hipError_tPvRmT2_T3_T4_T5_mT6_T7_P12ihipStream_tbENKUlT_T0_E_clISt17integral_constantIbLb1EES11_EEDaSW_SX_EUlSW_E_NS1_11comp_targetILNS1_3genE5ELNS1_11target_archE942ELNS1_3gpuE9ELNS1_3repE0EEENS1_30default_config_static_selectorELNS0_4arch9wavefront6targetE0EEEvT1_
; %bb.0:
	.section	.rodata,"a",@progbits
	.p2align	6, 0x0
	.amdhsa_kernel _ZN7rocprim17ROCPRIM_400000_NS6detail17trampoline_kernelINS0_14default_configENS1_27scan_by_key_config_selectorIixEEZZNS1_16scan_by_key_implILNS1_25lookback_scan_determinismE0ELb1ES3_N6thrust23THRUST_200600_302600_NS6detail15normal_iteratorINS9_10device_ptrIiEEEENSB_INSC_IxEEEESG_xNS9_4plusIvEENS9_8equal_toIvEExEE10hipError_tPvRmT2_T3_T4_T5_mT6_T7_P12ihipStream_tbENKUlT_T0_E_clISt17integral_constantIbLb1EES11_EEDaSW_SX_EUlSW_E_NS1_11comp_targetILNS1_3genE5ELNS1_11target_archE942ELNS1_3gpuE9ELNS1_3repE0EEENS1_30default_config_static_selectorELNS0_4arch9wavefront6targetE0EEEvT1_
		.amdhsa_group_segment_fixed_size 0
		.amdhsa_private_segment_fixed_size 0
		.amdhsa_kernarg_size 136
		.amdhsa_user_sgpr_count 2
		.amdhsa_user_sgpr_dispatch_ptr 0
		.amdhsa_user_sgpr_queue_ptr 0
		.amdhsa_user_sgpr_kernarg_segment_ptr 1
		.amdhsa_user_sgpr_dispatch_id 0
		.amdhsa_user_sgpr_kernarg_preload_length 0
		.amdhsa_user_sgpr_kernarg_preload_offset 0
		.amdhsa_user_sgpr_private_segment_size 0
		.amdhsa_wavefront_size32 1
		.amdhsa_uses_dynamic_stack 0
		.amdhsa_enable_private_segment 0
		.amdhsa_system_sgpr_workgroup_id_x 1
		.amdhsa_system_sgpr_workgroup_id_y 0
		.amdhsa_system_sgpr_workgroup_id_z 0
		.amdhsa_system_sgpr_workgroup_info 0
		.amdhsa_system_vgpr_workitem_id 0
		.amdhsa_next_free_vgpr 1
		.amdhsa_next_free_sgpr 1
		.amdhsa_named_barrier_count 0
		.amdhsa_reserve_vcc 0
		.amdhsa_float_round_mode_32 0
		.amdhsa_float_round_mode_16_64 0
		.amdhsa_float_denorm_mode_32 3
		.amdhsa_float_denorm_mode_16_64 3
		.amdhsa_fp16_overflow 0
		.amdhsa_memory_ordered 1
		.amdhsa_forward_progress 1
		.amdhsa_inst_pref_size 0
		.amdhsa_round_robin_scheduling 0
		.amdhsa_exception_fp_ieee_invalid_op 0
		.amdhsa_exception_fp_denorm_src 0
		.amdhsa_exception_fp_ieee_div_zero 0
		.amdhsa_exception_fp_ieee_overflow 0
		.amdhsa_exception_fp_ieee_underflow 0
		.amdhsa_exception_fp_ieee_inexact 0
		.amdhsa_exception_int_div_zero 0
	.end_amdhsa_kernel
	.section	.text._ZN7rocprim17ROCPRIM_400000_NS6detail17trampoline_kernelINS0_14default_configENS1_27scan_by_key_config_selectorIixEEZZNS1_16scan_by_key_implILNS1_25lookback_scan_determinismE0ELb1ES3_N6thrust23THRUST_200600_302600_NS6detail15normal_iteratorINS9_10device_ptrIiEEEENSB_INSC_IxEEEESG_xNS9_4plusIvEENS9_8equal_toIvEExEE10hipError_tPvRmT2_T3_T4_T5_mT6_T7_P12ihipStream_tbENKUlT_T0_E_clISt17integral_constantIbLb1EES11_EEDaSW_SX_EUlSW_E_NS1_11comp_targetILNS1_3genE5ELNS1_11target_archE942ELNS1_3gpuE9ELNS1_3repE0EEENS1_30default_config_static_selectorELNS0_4arch9wavefront6targetE0EEEvT1_,"axG",@progbits,_ZN7rocprim17ROCPRIM_400000_NS6detail17trampoline_kernelINS0_14default_configENS1_27scan_by_key_config_selectorIixEEZZNS1_16scan_by_key_implILNS1_25lookback_scan_determinismE0ELb1ES3_N6thrust23THRUST_200600_302600_NS6detail15normal_iteratorINS9_10device_ptrIiEEEENSB_INSC_IxEEEESG_xNS9_4plusIvEENS9_8equal_toIvEExEE10hipError_tPvRmT2_T3_T4_T5_mT6_T7_P12ihipStream_tbENKUlT_T0_E_clISt17integral_constantIbLb1EES11_EEDaSW_SX_EUlSW_E_NS1_11comp_targetILNS1_3genE5ELNS1_11target_archE942ELNS1_3gpuE9ELNS1_3repE0EEENS1_30default_config_static_selectorELNS0_4arch9wavefront6targetE0EEEvT1_,comdat
.Lfunc_end1582:
	.size	_ZN7rocprim17ROCPRIM_400000_NS6detail17trampoline_kernelINS0_14default_configENS1_27scan_by_key_config_selectorIixEEZZNS1_16scan_by_key_implILNS1_25lookback_scan_determinismE0ELb1ES3_N6thrust23THRUST_200600_302600_NS6detail15normal_iteratorINS9_10device_ptrIiEEEENSB_INSC_IxEEEESG_xNS9_4plusIvEENS9_8equal_toIvEExEE10hipError_tPvRmT2_T3_T4_T5_mT6_T7_P12ihipStream_tbENKUlT_T0_E_clISt17integral_constantIbLb1EES11_EEDaSW_SX_EUlSW_E_NS1_11comp_targetILNS1_3genE5ELNS1_11target_archE942ELNS1_3gpuE9ELNS1_3repE0EEENS1_30default_config_static_selectorELNS0_4arch9wavefront6targetE0EEEvT1_, .Lfunc_end1582-_ZN7rocprim17ROCPRIM_400000_NS6detail17trampoline_kernelINS0_14default_configENS1_27scan_by_key_config_selectorIixEEZZNS1_16scan_by_key_implILNS1_25lookback_scan_determinismE0ELb1ES3_N6thrust23THRUST_200600_302600_NS6detail15normal_iteratorINS9_10device_ptrIiEEEENSB_INSC_IxEEEESG_xNS9_4plusIvEENS9_8equal_toIvEExEE10hipError_tPvRmT2_T3_T4_T5_mT6_T7_P12ihipStream_tbENKUlT_T0_E_clISt17integral_constantIbLb1EES11_EEDaSW_SX_EUlSW_E_NS1_11comp_targetILNS1_3genE5ELNS1_11target_archE942ELNS1_3gpuE9ELNS1_3repE0EEENS1_30default_config_static_selectorELNS0_4arch9wavefront6targetE0EEEvT1_
                                        ; -- End function
	.set _ZN7rocprim17ROCPRIM_400000_NS6detail17trampoline_kernelINS0_14default_configENS1_27scan_by_key_config_selectorIixEEZZNS1_16scan_by_key_implILNS1_25lookback_scan_determinismE0ELb1ES3_N6thrust23THRUST_200600_302600_NS6detail15normal_iteratorINS9_10device_ptrIiEEEENSB_INSC_IxEEEESG_xNS9_4plusIvEENS9_8equal_toIvEExEE10hipError_tPvRmT2_T3_T4_T5_mT6_T7_P12ihipStream_tbENKUlT_T0_E_clISt17integral_constantIbLb1EES11_EEDaSW_SX_EUlSW_E_NS1_11comp_targetILNS1_3genE5ELNS1_11target_archE942ELNS1_3gpuE9ELNS1_3repE0EEENS1_30default_config_static_selectorELNS0_4arch9wavefront6targetE0EEEvT1_.num_vgpr, 0
	.set _ZN7rocprim17ROCPRIM_400000_NS6detail17trampoline_kernelINS0_14default_configENS1_27scan_by_key_config_selectorIixEEZZNS1_16scan_by_key_implILNS1_25lookback_scan_determinismE0ELb1ES3_N6thrust23THRUST_200600_302600_NS6detail15normal_iteratorINS9_10device_ptrIiEEEENSB_INSC_IxEEEESG_xNS9_4plusIvEENS9_8equal_toIvEExEE10hipError_tPvRmT2_T3_T4_T5_mT6_T7_P12ihipStream_tbENKUlT_T0_E_clISt17integral_constantIbLb1EES11_EEDaSW_SX_EUlSW_E_NS1_11comp_targetILNS1_3genE5ELNS1_11target_archE942ELNS1_3gpuE9ELNS1_3repE0EEENS1_30default_config_static_selectorELNS0_4arch9wavefront6targetE0EEEvT1_.num_agpr, 0
	.set _ZN7rocprim17ROCPRIM_400000_NS6detail17trampoline_kernelINS0_14default_configENS1_27scan_by_key_config_selectorIixEEZZNS1_16scan_by_key_implILNS1_25lookback_scan_determinismE0ELb1ES3_N6thrust23THRUST_200600_302600_NS6detail15normal_iteratorINS9_10device_ptrIiEEEENSB_INSC_IxEEEESG_xNS9_4plusIvEENS9_8equal_toIvEExEE10hipError_tPvRmT2_T3_T4_T5_mT6_T7_P12ihipStream_tbENKUlT_T0_E_clISt17integral_constantIbLb1EES11_EEDaSW_SX_EUlSW_E_NS1_11comp_targetILNS1_3genE5ELNS1_11target_archE942ELNS1_3gpuE9ELNS1_3repE0EEENS1_30default_config_static_selectorELNS0_4arch9wavefront6targetE0EEEvT1_.numbered_sgpr, 0
	.set _ZN7rocprim17ROCPRIM_400000_NS6detail17trampoline_kernelINS0_14default_configENS1_27scan_by_key_config_selectorIixEEZZNS1_16scan_by_key_implILNS1_25lookback_scan_determinismE0ELb1ES3_N6thrust23THRUST_200600_302600_NS6detail15normal_iteratorINS9_10device_ptrIiEEEENSB_INSC_IxEEEESG_xNS9_4plusIvEENS9_8equal_toIvEExEE10hipError_tPvRmT2_T3_T4_T5_mT6_T7_P12ihipStream_tbENKUlT_T0_E_clISt17integral_constantIbLb1EES11_EEDaSW_SX_EUlSW_E_NS1_11comp_targetILNS1_3genE5ELNS1_11target_archE942ELNS1_3gpuE9ELNS1_3repE0EEENS1_30default_config_static_selectorELNS0_4arch9wavefront6targetE0EEEvT1_.num_named_barrier, 0
	.set _ZN7rocprim17ROCPRIM_400000_NS6detail17trampoline_kernelINS0_14default_configENS1_27scan_by_key_config_selectorIixEEZZNS1_16scan_by_key_implILNS1_25lookback_scan_determinismE0ELb1ES3_N6thrust23THRUST_200600_302600_NS6detail15normal_iteratorINS9_10device_ptrIiEEEENSB_INSC_IxEEEESG_xNS9_4plusIvEENS9_8equal_toIvEExEE10hipError_tPvRmT2_T3_T4_T5_mT6_T7_P12ihipStream_tbENKUlT_T0_E_clISt17integral_constantIbLb1EES11_EEDaSW_SX_EUlSW_E_NS1_11comp_targetILNS1_3genE5ELNS1_11target_archE942ELNS1_3gpuE9ELNS1_3repE0EEENS1_30default_config_static_selectorELNS0_4arch9wavefront6targetE0EEEvT1_.private_seg_size, 0
	.set _ZN7rocprim17ROCPRIM_400000_NS6detail17trampoline_kernelINS0_14default_configENS1_27scan_by_key_config_selectorIixEEZZNS1_16scan_by_key_implILNS1_25lookback_scan_determinismE0ELb1ES3_N6thrust23THRUST_200600_302600_NS6detail15normal_iteratorINS9_10device_ptrIiEEEENSB_INSC_IxEEEESG_xNS9_4plusIvEENS9_8equal_toIvEExEE10hipError_tPvRmT2_T3_T4_T5_mT6_T7_P12ihipStream_tbENKUlT_T0_E_clISt17integral_constantIbLb1EES11_EEDaSW_SX_EUlSW_E_NS1_11comp_targetILNS1_3genE5ELNS1_11target_archE942ELNS1_3gpuE9ELNS1_3repE0EEENS1_30default_config_static_selectorELNS0_4arch9wavefront6targetE0EEEvT1_.uses_vcc, 0
	.set _ZN7rocprim17ROCPRIM_400000_NS6detail17trampoline_kernelINS0_14default_configENS1_27scan_by_key_config_selectorIixEEZZNS1_16scan_by_key_implILNS1_25lookback_scan_determinismE0ELb1ES3_N6thrust23THRUST_200600_302600_NS6detail15normal_iteratorINS9_10device_ptrIiEEEENSB_INSC_IxEEEESG_xNS9_4plusIvEENS9_8equal_toIvEExEE10hipError_tPvRmT2_T3_T4_T5_mT6_T7_P12ihipStream_tbENKUlT_T0_E_clISt17integral_constantIbLb1EES11_EEDaSW_SX_EUlSW_E_NS1_11comp_targetILNS1_3genE5ELNS1_11target_archE942ELNS1_3gpuE9ELNS1_3repE0EEENS1_30default_config_static_selectorELNS0_4arch9wavefront6targetE0EEEvT1_.uses_flat_scratch, 0
	.set _ZN7rocprim17ROCPRIM_400000_NS6detail17trampoline_kernelINS0_14default_configENS1_27scan_by_key_config_selectorIixEEZZNS1_16scan_by_key_implILNS1_25lookback_scan_determinismE0ELb1ES3_N6thrust23THRUST_200600_302600_NS6detail15normal_iteratorINS9_10device_ptrIiEEEENSB_INSC_IxEEEESG_xNS9_4plusIvEENS9_8equal_toIvEExEE10hipError_tPvRmT2_T3_T4_T5_mT6_T7_P12ihipStream_tbENKUlT_T0_E_clISt17integral_constantIbLb1EES11_EEDaSW_SX_EUlSW_E_NS1_11comp_targetILNS1_3genE5ELNS1_11target_archE942ELNS1_3gpuE9ELNS1_3repE0EEENS1_30default_config_static_selectorELNS0_4arch9wavefront6targetE0EEEvT1_.has_dyn_sized_stack, 0
	.set _ZN7rocprim17ROCPRIM_400000_NS6detail17trampoline_kernelINS0_14default_configENS1_27scan_by_key_config_selectorIixEEZZNS1_16scan_by_key_implILNS1_25lookback_scan_determinismE0ELb1ES3_N6thrust23THRUST_200600_302600_NS6detail15normal_iteratorINS9_10device_ptrIiEEEENSB_INSC_IxEEEESG_xNS9_4plusIvEENS9_8equal_toIvEExEE10hipError_tPvRmT2_T3_T4_T5_mT6_T7_P12ihipStream_tbENKUlT_T0_E_clISt17integral_constantIbLb1EES11_EEDaSW_SX_EUlSW_E_NS1_11comp_targetILNS1_3genE5ELNS1_11target_archE942ELNS1_3gpuE9ELNS1_3repE0EEENS1_30default_config_static_selectorELNS0_4arch9wavefront6targetE0EEEvT1_.has_recursion, 0
	.set _ZN7rocprim17ROCPRIM_400000_NS6detail17trampoline_kernelINS0_14default_configENS1_27scan_by_key_config_selectorIixEEZZNS1_16scan_by_key_implILNS1_25lookback_scan_determinismE0ELb1ES3_N6thrust23THRUST_200600_302600_NS6detail15normal_iteratorINS9_10device_ptrIiEEEENSB_INSC_IxEEEESG_xNS9_4plusIvEENS9_8equal_toIvEExEE10hipError_tPvRmT2_T3_T4_T5_mT6_T7_P12ihipStream_tbENKUlT_T0_E_clISt17integral_constantIbLb1EES11_EEDaSW_SX_EUlSW_E_NS1_11comp_targetILNS1_3genE5ELNS1_11target_archE942ELNS1_3gpuE9ELNS1_3repE0EEENS1_30default_config_static_selectorELNS0_4arch9wavefront6targetE0EEEvT1_.has_indirect_call, 0
	.section	.AMDGPU.csdata,"",@progbits
; Kernel info:
; codeLenInByte = 0
; TotalNumSgprs: 0
; NumVgprs: 0
; ScratchSize: 0
; MemoryBound: 0
; FloatMode: 240
; IeeeMode: 1
; LDSByteSize: 0 bytes/workgroup (compile time only)
; SGPRBlocks: 0
; VGPRBlocks: 0
; NumSGPRsForWavesPerEU: 1
; NumVGPRsForWavesPerEU: 1
; NamedBarCnt: 0
; Occupancy: 16
; WaveLimiterHint : 0
; COMPUTE_PGM_RSRC2:SCRATCH_EN: 0
; COMPUTE_PGM_RSRC2:USER_SGPR: 2
; COMPUTE_PGM_RSRC2:TRAP_HANDLER: 0
; COMPUTE_PGM_RSRC2:TGID_X_EN: 1
; COMPUTE_PGM_RSRC2:TGID_Y_EN: 0
; COMPUTE_PGM_RSRC2:TGID_Z_EN: 0
; COMPUTE_PGM_RSRC2:TIDIG_COMP_CNT: 0
	.section	.text._ZN7rocprim17ROCPRIM_400000_NS6detail17trampoline_kernelINS0_14default_configENS1_27scan_by_key_config_selectorIixEEZZNS1_16scan_by_key_implILNS1_25lookback_scan_determinismE0ELb1ES3_N6thrust23THRUST_200600_302600_NS6detail15normal_iteratorINS9_10device_ptrIiEEEENSB_INSC_IxEEEESG_xNS9_4plusIvEENS9_8equal_toIvEExEE10hipError_tPvRmT2_T3_T4_T5_mT6_T7_P12ihipStream_tbENKUlT_T0_E_clISt17integral_constantIbLb1EES11_EEDaSW_SX_EUlSW_E_NS1_11comp_targetILNS1_3genE4ELNS1_11target_archE910ELNS1_3gpuE8ELNS1_3repE0EEENS1_30default_config_static_selectorELNS0_4arch9wavefront6targetE0EEEvT1_,"axG",@progbits,_ZN7rocprim17ROCPRIM_400000_NS6detail17trampoline_kernelINS0_14default_configENS1_27scan_by_key_config_selectorIixEEZZNS1_16scan_by_key_implILNS1_25lookback_scan_determinismE0ELb1ES3_N6thrust23THRUST_200600_302600_NS6detail15normal_iteratorINS9_10device_ptrIiEEEENSB_INSC_IxEEEESG_xNS9_4plusIvEENS9_8equal_toIvEExEE10hipError_tPvRmT2_T3_T4_T5_mT6_T7_P12ihipStream_tbENKUlT_T0_E_clISt17integral_constantIbLb1EES11_EEDaSW_SX_EUlSW_E_NS1_11comp_targetILNS1_3genE4ELNS1_11target_archE910ELNS1_3gpuE8ELNS1_3repE0EEENS1_30default_config_static_selectorELNS0_4arch9wavefront6targetE0EEEvT1_,comdat
	.protected	_ZN7rocprim17ROCPRIM_400000_NS6detail17trampoline_kernelINS0_14default_configENS1_27scan_by_key_config_selectorIixEEZZNS1_16scan_by_key_implILNS1_25lookback_scan_determinismE0ELb1ES3_N6thrust23THRUST_200600_302600_NS6detail15normal_iteratorINS9_10device_ptrIiEEEENSB_INSC_IxEEEESG_xNS9_4plusIvEENS9_8equal_toIvEExEE10hipError_tPvRmT2_T3_T4_T5_mT6_T7_P12ihipStream_tbENKUlT_T0_E_clISt17integral_constantIbLb1EES11_EEDaSW_SX_EUlSW_E_NS1_11comp_targetILNS1_3genE4ELNS1_11target_archE910ELNS1_3gpuE8ELNS1_3repE0EEENS1_30default_config_static_selectorELNS0_4arch9wavefront6targetE0EEEvT1_ ; -- Begin function _ZN7rocprim17ROCPRIM_400000_NS6detail17trampoline_kernelINS0_14default_configENS1_27scan_by_key_config_selectorIixEEZZNS1_16scan_by_key_implILNS1_25lookback_scan_determinismE0ELb1ES3_N6thrust23THRUST_200600_302600_NS6detail15normal_iteratorINS9_10device_ptrIiEEEENSB_INSC_IxEEEESG_xNS9_4plusIvEENS9_8equal_toIvEExEE10hipError_tPvRmT2_T3_T4_T5_mT6_T7_P12ihipStream_tbENKUlT_T0_E_clISt17integral_constantIbLb1EES11_EEDaSW_SX_EUlSW_E_NS1_11comp_targetILNS1_3genE4ELNS1_11target_archE910ELNS1_3gpuE8ELNS1_3repE0EEENS1_30default_config_static_selectorELNS0_4arch9wavefront6targetE0EEEvT1_
	.globl	_ZN7rocprim17ROCPRIM_400000_NS6detail17trampoline_kernelINS0_14default_configENS1_27scan_by_key_config_selectorIixEEZZNS1_16scan_by_key_implILNS1_25lookback_scan_determinismE0ELb1ES3_N6thrust23THRUST_200600_302600_NS6detail15normal_iteratorINS9_10device_ptrIiEEEENSB_INSC_IxEEEESG_xNS9_4plusIvEENS9_8equal_toIvEExEE10hipError_tPvRmT2_T3_T4_T5_mT6_T7_P12ihipStream_tbENKUlT_T0_E_clISt17integral_constantIbLb1EES11_EEDaSW_SX_EUlSW_E_NS1_11comp_targetILNS1_3genE4ELNS1_11target_archE910ELNS1_3gpuE8ELNS1_3repE0EEENS1_30default_config_static_selectorELNS0_4arch9wavefront6targetE0EEEvT1_
	.p2align	8
	.type	_ZN7rocprim17ROCPRIM_400000_NS6detail17trampoline_kernelINS0_14default_configENS1_27scan_by_key_config_selectorIixEEZZNS1_16scan_by_key_implILNS1_25lookback_scan_determinismE0ELb1ES3_N6thrust23THRUST_200600_302600_NS6detail15normal_iteratorINS9_10device_ptrIiEEEENSB_INSC_IxEEEESG_xNS9_4plusIvEENS9_8equal_toIvEExEE10hipError_tPvRmT2_T3_T4_T5_mT6_T7_P12ihipStream_tbENKUlT_T0_E_clISt17integral_constantIbLb1EES11_EEDaSW_SX_EUlSW_E_NS1_11comp_targetILNS1_3genE4ELNS1_11target_archE910ELNS1_3gpuE8ELNS1_3repE0EEENS1_30default_config_static_selectorELNS0_4arch9wavefront6targetE0EEEvT1_,@function
_ZN7rocprim17ROCPRIM_400000_NS6detail17trampoline_kernelINS0_14default_configENS1_27scan_by_key_config_selectorIixEEZZNS1_16scan_by_key_implILNS1_25lookback_scan_determinismE0ELb1ES3_N6thrust23THRUST_200600_302600_NS6detail15normal_iteratorINS9_10device_ptrIiEEEENSB_INSC_IxEEEESG_xNS9_4plusIvEENS9_8equal_toIvEExEE10hipError_tPvRmT2_T3_T4_T5_mT6_T7_P12ihipStream_tbENKUlT_T0_E_clISt17integral_constantIbLb1EES11_EEDaSW_SX_EUlSW_E_NS1_11comp_targetILNS1_3genE4ELNS1_11target_archE910ELNS1_3gpuE8ELNS1_3repE0EEENS1_30default_config_static_selectorELNS0_4arch9wavefront6targetE0EEEvT1_: ; @_ZN7rocprim17ROCPRIM_400000_NS6detail17trampoline_kernelINS0_14default_configENS1_27scan_by_key_config_selectorIixEEZZNS1_16scan_by_key_implILNS1_25lookback_scan_determinismE0ELb1ES3_N6thrust23THRUST_200600_302600_NS6detail15normal_iteratorINS9_10device_ptrIiEEEENSB_INSC_IxEEEESG_xNS9_4plusIvEENS9_8equal_toIvEExEE10hipError_tPvRmT2_T3_T4_T5_mT6_T7_P12ihipStream_tbENKUlT_T0_E_clISt17integral_constantIbLb1EES11_EEDaSW_SX_EUlSW_E_NS1_11comp_targetILNS1_3genE4ELNS1_11target_archE910ELNS1_3gpuE8ELNS1_3repE0EEENS1_30default_config_static_selectorELNS0_4arch9wavefront6targetE0EEEvT1_
; %bb.0:
	.section	.rodata,"a",@progbits
	.p2align	6, 0x0
	.amdhsa_kernel _ZN7rocprim17ROCPRIM_400000_NS6detail17trampoline_kernelINS0_14default_configENS1_27scan_by_key_config_selectorIixEEZZNS1_16scan_by_key_implILNS1_25lookback_scan_determinismE0ELb1ES3_N6thrust23THRUST_200600_302600_NS6detail15normal_iteratorINS9_10device_ptrIiEEEENSB_INSC_IxEEEESG_xNS9_4plusIvEENS9_8equal_toIvEExEE10hipError_tPvRmT2_T3_T4_T5_mT6_T7_P12ihipStream_tbENKUlT_T0_E_clISt17integral_constantIbLb1EES11_EEDaSW_SX_EUlSW_E_NS1_11comp_targetILNS1_3genE4ELNS1_11target_archE910ELNS1_3gpuE8ELNS1_3repE0EEENS1_30default_config_static_selectorELNS0_4arch9wavefront6targetE0EEEvT1_
		.amdhsa_group_segment_fixed_size 0
		.amdhsa_private_segment_fixed_size 0
		.amdhsa_kernarg_size 136
		.amdhsa_user_sgpr_count 2
		.amdhsa_user_sgpr_dispatch_ptr 0
		.amdhsa_user_sgpr_queue_ptr 0
		.amdhsa_user_sgpr_kernarg_segment_ptr 1
		.amdhsa_user_sgpr_dispatch_id 0
		.amdhsa_user_sgpr_kernarg_preload_length 0
		.amdhsa_user_sgpr_kernarg_preload_offset 0
		.amdhsa_user_sgpr_private_segment_size 0
		.amdhsa_wavefront_size32 1
		.amdhsa_uses_dynamic_stack 0
		.amdhsa_enable_private_segment 0
		.amdhsa_system_sgpr_workgroup_id_x 1
		.amdhsa_system_sgpr_workgroup_id_y 0
		.amdhsa_system_sgpr_workgroup_id_z 0
		.amdhsa_system_sgpr_workgroup_info 0
		.amdhsa_system_vgpr_workitem_id 0
		.amdhsa_next_free_vgpr 1
		.amdhsa_next_free_sgpr 1
		.amdhsa_named_barrier_count 0
		.amdhsa_reserve_vcc 0
		.amdhsa_float_round_mode_32 0
		.amdhsa_float_round_mode_16_64 0
		.amdhsa_float_denorm_mode_32 3
		.amdhsa_float_denorm_mode_16_64 3
		.amdhsa_fp16_overflow 0
		.amdhsa_memory_ordered 1
		.amdhsa_forward_progress 1
		.amdhsa_inst_pref_size 0
		.amdhsa_round_robin_scheduling 0
		.amdhsa_exception_fp_ieee_invalid_op 0
		.amdhsa_exception_fp_denorm_src 0
		.amdhsa_exception_fp_ieee_div_zero 0
		.amdhsa_exception_fp_ieee_overflow 0
		.amdhsa_exception_fp_ieee_underflow 0
		.amdhsa_exception_fp_ieee_inexact 0
		.amdhsa_exception_int_div_zero 0
	.end_amdhsa_kernel
	.section	.text._ZN7rocprim17ROCPRIM_400000_NS6detail17trampoline_kernelINS0_14default_configENS1_27scan_by_key_config_selectorIixEEZZNS1_16scan_by_key_implILNS1_25lookback_scan_determinismE0ELb1ES3_N6thrust23THRUST_200600_302600_NS6detail15normal_iteratorINS9_10device_ptrIiEEEENSB_INSC_IxEEEESG_xNS9_4plusIvEENS9_8equal_toIvEExEE10hipError_tPvRmT2_T3_T4_T5_mT6_T7_P12ihipStream_tbENKUlT_T0_E_clISt17integral_constantIbLb1EES11_EEDaSW_SX_EUlSW_E_NS1_11comp_targetILNS1_3genE4ELNS1_11target_archE910ELNS1_3gpuE8ELNS1_3repE0EEENS1_30default_config_static_selectorELNS0_4arch9wavefront6targetE0EEEvT1_,"axG",@progbits,_ZN7rocprim17ROCPRIM_400000_NS6detail17trampoline_kernelINS0_14default_configENS1_27scan_by_key_config_selectorIixEEZZNS1_16scan_by_key_implILNS1_25lookback_scan_determinismE0ELb1ES3_N6thrust23THRUST_200600_302600_NS6detail15normal_iteratorINS9_10device_ptrIiEEEENSB_INSC_IxEEEESG_xNS9_4plusIvEENS9_8equal_toIvEExEE10hipError_tPvRmT2_T3_T4_T5_mT6_T7_P12ihipStream_tbENKUlT_T0_E_clISt17integral_constantIbLb1EES11_EEDaSW_SX_EUlSW_E_NS1_11comp_targetILNS1_3genE4ELNS1_11target_archE910ELNS1_3gpuE8ELNS1_3repE0EEENS1_30default_config_static_selectorELNS0_4arch9wavefront6targetE0EEEvT1_,comdat
.Lfunc_end1583:
	.size	_ZN7rocprim17ROCPRIM_400000_NS6detail17trampoline_kernelINS0_14default_configENS1_27scan_by_key_config_selectorIixEEZZNS1_16scan_by_key_implILNS1_25lookback_scan_determinismE0ELb1ES3_N6thrust23THRUST_200600_302600_NS6detail15normal_iteratorINS9_10device_ptrIiEEEENSB_INSC_IxEEEESG_xNS9_4plusIvEENS9_8equal_toIvEExEE10hipError_tPvRmT2_T3_T4_T5_mT6_T7_P12ihipStream_tbENKUlT_T0_E_clISt17integral_constantIbLb1EES11_EEDaSW_SX_EUlSW_E_NS1_11comp_targetILNS1_3genE4ELNS1_11target_archE910ELNS1_3gpuE8ELNS1_3repE0EEENS1_30default_config_static_selectorELNS0_4arch9wavefront6targetE0EEEvT1_, .Lfunc_end1583-_ZN7rocprim17ROCPRIM_400000_NS6detail17trampoline_kernelINS0_14default_configENS1_27scan_by_key_config_selectorIixEEZZNS1_16scan_by_key_implILNS1_25lookback_scan_determinismE0ELb1ES3_N6thrust23THRUST_200600_302600_NS6detail15normal_iteratorINS9_10device_ptrIiEEEENSB_INSC_IxEEEESG_xNS9_4plusIvEENS9_8equal_toIvEExEE10hipError_tPvRmT2_T3_T4_T5_mT6_T7_P12ihipStream_tbENKUlT_T0_E_clISt17integral_constantIbLb1EES11_EEDaSW_SX_EUlSW_E_NS1_11comp_targetILNS1_3genE4ELNS1_11target_archE910ELNS1_3gpuE8ELNS1_3repE0EEENS1_30default_config_static_selectorELNS0_4arch9wavefront6targetE0EEEvT1_
                                        ; -- End function
	.set _ZN7rocprim17ROCPRIM_400000_NS6detail17trampoline_kernelINS0_14default_configENS1_27scan_by_key_config_selectorIixEEZZNS1_16scan_by_key_implILNS1_25lookback_scan_determinismE0ELb1ES3_N6thrust23THRUST_200600_302600_NS6detail15normal_iteratorINS9_10device_ptrIiEEEENSB_INSC_IxEEEESG_xNS9_4plusIvEENS9_8equal_toIvEExEE10hipError_tPvRmT2_T3_T4_T5_mT6_T7_P12ihipStream_tbENKUlT_T0_E_clISt17integral_constantIbLb1EES11_EEDaSW_SX_EUlSW_E_NS1_11comp_targetILNS1_3genE4ELNS1_11target_archE910ELNS1_3gpuE8ELNS1_3repE0EEENS1_30default_config_static_selectorELNS0_4arch9wavefront6targetE0EEEvT1_.num_vgpr, 0
	.set _ZN7rocprim17ROCPRIM_400000_NS6detail17trampoline_kernelINS0_14default_configENS1_27scan_by_key_config_selectorIixEEZZNS1_16scan_by_key_implILNS1_25lookback_scan_determinismE0ELb1ES3_N6thrust23THRUST_200600_302600_NS6detail15normal_iteratorINS9_10device_ptrIiEEEENSB_INSC_IxEEEESG_xNS9_4plusIvEENS9_8equal_toIvEExEE10hipError_tPvRmT2_T3_T4_T5_mT6_T7_P12ihipStream_tbENKUlT_T0_E_clISt17integral_constantIbLb1EES11_EEDaSW_SX_EUlSW_E_NS1_11comp_targetILNS1_3genE4ELNS1_11target_archE910ELNS1_3gpuE8ELNS1_3repE0EEENS1_30default_config_static_selectorELNS0_4arch9wavefront6targetE0EEEvT1_.num_agpr, 0
	.set _ZN7rocprim17ROCPRIM_400000_NS6detail17trampoline_kernelINS0_14default_configENS1_27scan_by_key_config_selectorIixEEZZNS1_16scan_by_key_implILNS1_25lookback_scan_determinismE0ELb1ES3_N6thrust23THRUST_200600_302600_NS6detail15normal_iteratorINS9_10device_ptrIiEEEENSB_INSC_IxEEEESG_xNS9_4plusIvEENS9_8equal_toIvEExEE10hipError_tPvRmT2_T3_T4_T5_mT6_T7_P12ihipStream_tbENKUlT_T0_E_clISt17integral_constantIbLb1EES11_EEDaSW_SX_EUlSW_E_NS1_11comp_targetILNS1_3genE4ELNS1_11target_archE910ELNS1_3gpuE8ELNS1_3repE0EEENS1_30default_config_static_selectorELNS0_4arch9wavefront6targetE0EEEvT1_.numbered_sgpr, 0
	.set _ZN7rocprim17ROCPRIM_400000_NS6detail17trampoline_kernelINS0_14default_configENS1_27scan_by_key_config_selectorIixEEZZNS1_16scan_by_key_implILNS1_25lookback_scan_determinismE0ELb1ES3_N6thrust23THRUST_200600_302600_NS6detail15normal_iteratorINS9_10device_ptrIiEEEENSB_INSC_IxEEEESG_xNS9_4plusIvEENS9_8equal_toIvEExEE10hipError_tPvRmT2_T3_T4_T5_mT6_T7_P12ihipStream_tbENKUlT_T0_E_clISt17integral_constantIbLb1EES11_EEDaSW_SX_EUlSW_E_NS1_11comp_targetILNS1_3genE4ELNS1_11target_archE910ELNS1_3gpuE8ELNS1_3repE0EEENS1_30default_config_static_selectorELNS0_4arch9wavefront6targetE0EEEvT1_.num_named_barrier, 0
	.set _ZN7rocprim17ROCPRIM_400000_NS6detail17trampoline_kernelINS0_14default_configENS1_27scan_by_key_config_selectorIixEEZZNS1_16scan_by_key_implILNS1_25lookback_scan_determinismE0ELb1ES3_N6thrust23THRUST_200600_302600_NS6detail15normal_iteratorINS9_10device_ptrIiEEEENSB_INSC_IxEEEESG_xNS9_4plusIvEENS9_8equal_toIvEExEE10hipError_tPvRmT2_T3_T4_T5_mT6_T7_P12ihipStream_tbENKUlT_T0_E_clISt17integral_constantIbLb1EES11_EEDaSW_SX_EUlSW_E_NS1_11comp_targetILNS1_3genE4ELNS1_11target_archE910ELNS1_3gpuE8ELNS1_3repE0EEENS1_30default_config_static_selectorELNS0_4arch9wavefront6targetE0EEEvT1_.private_seg_size, 0
	.set _ZN7rocprim17ROCPRIM_400000_NS6detail17trampoline_kernelINS0_14default_configENS1_27scan_by_key_config_selectorIixEEZZNS1_16scan_by_key_implILNS1_25lookback_scan_determinismE0ELb1ES3_N6thrust23THRUST_200600_302600_NS6detail15normal_iteratorINS9_10device_ptrIiEEEENSB_INSC_IxEEEESG_xNS9_4plusIvEENS9_8equal_toIvEExEE10hipError_tPvRmT2_T3_T4_T5_mT6_T7_P12ihipStream_tbENKUlT_T0_E_clISt17integral_constantIbLb1EES11_EEDaSW_SX_EUlSW_E_NS1_11comp_targetILNS1_3genE4ELNS1_11target_archE910ELNS1_3gpuE8ELNS1_3repE0EEENS1_30default_config_static_selectorELNS0_4arch9wavefront6targetE0EEEvT1_.uses_vcc, 0
	.set _ZN7rocprim17ROCPRIM_400000_NS6detail17trampoline_kernelINS0_14default_configENS1_27scan_by_key_config_selectorIixEEZZNS1_16scan_by_key_implILNS1_25lookback_scan_determinismE0ELb1ES3_N6thrust23THRUST_200600_302600_NS6detail15normal_iteratorINS9_10device_ptrIiEEEENSB_INSC_IxEEEESG_xNS9_4plusIvEENS9_8equal_toIvEExEE10hipError_tPvRmT2_T3_T4_T5_mT6_T7_P12ihipStream_tbENKUlT_T0_E_clISt17integral_constantIbLb1EES11_EEDaSW_SX_EUlSW_E_NS1_11comp_targetILNS1_3genE4ELNS1_11target_archE910ELNS1_3gpuE8ELNS1_3repE0EEENS1_30default_config_static_selectorELNS0_4arch9wavefront6targetE0EEEvT1_.uses_flat_scratch, 0
	.set _ZN7rocprim17ROCPRIM_400000_NS6detail17trampoline_kernelINS0_14default_configENS1_27scan_by_key_config_selectorIixEEZZNS1_16scan_by_key_implILNS1_25lookback_scan_determinismE0ELb1ES3_N6thrust23THRUST_200600_302600_NS6detail15normal_iteratorINS9_10device_ptrIiEEEENSB_INSC_IxEEEESG_xNS9_4plusIvEENS9_8equal_toIvEExEE10hipError_tPvRmT2_T3_T4_T5_mT6_T7_P12ihipStream_tbENKUlT_T0_E_clISt17integral_constantIbLb1EES11_EEDaSW_SX_EUlSW_E_NS1_11comp_targetILNS1_3genE4ELNS1_11target_archE910ELNS1_3gpuE8ELNS1_3repE0EEENS1_30default_config_static_selectorELNS0_4arch9wavefront6targetE0EEEvT1_.has_dyn_sized_stack, 0
	.set _ZN7rocprim17ROCPRIM_400000_NS6detail17trampoline_kernelINS0_14default_configENS1_27scan_by_key_config_selectorIixEEZZNS1_16scan_by_key_implILNS1_25lookback_scan_determinismE0ELb1ES3_N6thrust23THRUST_200600_302600_NS6detail15normal_iteratorINS9_10device_ptrIiEEEENSB_INSC_IxEEEESG_xNS9_4plusIvEENS9_8equal_toIvEExEE10hipError_tPvRmT2_T3_T4_T5_mT6_T7_P12ihipStream_tbENKUlT_T0_E_clISt17integral_constantIbLb1EES11_EEDaSW_SX_EUlSW_E_NS1_11comp_targetILNS1_3genE4ELNS1_11target_archE910ELNS1_3gpuE8ELNS1_3repE0EEENS1_30default_config_static_selectorELNS0_4arch9wavefront6targetE0EEEvT1_.has_recursion, 0
	.set _ZN7rocprim17ROCPRIM_400000_NS6detail17trampoline_kernelINS0_14default_configENS1_27scan_by_key_config_selectorIixEEZZNS1_16scan_by_key_implILNS1_25lookback_scan_determinismE0ELb1ES3_N6thrust23THRUST_200600_302600_NS6detail15normal_iteratorINS9_10device_ptrIiEEEENSB_INSC_IxEEEESG_xNS9_4plusIvEENS9_8equal_toIvEExEE10hipError_tPvRmT2_T3_T4_T5_mT6_T7_P12ihipStream_tbENKUlT_T0_E_clISt17integral_constantIbLb1EES11_EEDaSW_SX_EUlSW_E_NS1_11comp_targetILNS1_3genE4ELNS1_11target_archE910ELNS1_3gpuE8ELNS1_3repE0EEENS1_30default_config_static_selectorELNS0_4arch9wavefront6targetE0EEEvT1_.has_indirect_call, 0
	.section	.AMDGPU.csdata,"",@progbits
; Kernel info:
; codeLenInByte = 0
; TotalNumSgprs: 0
; NumVgprs: 0
; ScratchSize: 0
; MemoryBound: 0
; FloatMode: 240
; IeeeMode: 1
; LDSByteSize: 0 bytes/workgroup (compile time only)
; SGPRBlocks: 0
; VGPRBlocks: 0
; NumSGPRsForWavesPerEU: 1
; NumVGPRsForWavesPerEU: 1
; NamedBarCnt: 0
; Occupancy: 16
; WaveLimiterHint : 0
; COMPUTE_PGM_RSRC2:SCRATCH_EN: 0
; COMPUTE_PGM_RSRC2:USER_SGPR: 2
; COMPUTE_PGM_RSRC2:TRAP_HANDLER: 0
; COMPUTE_PGM_RSRC2:TGID_X_EN: 1
; COMPUTE_PGM_RSRC2:TGID_Y_EN: 0
; COMPUTE_PGM_RSRC2:TGID_Z_EN: 0
; COMPUTE_PGM_RSRC2:TIDIG_COMP_CNT: 0
	.section	.text._ZN7rocprim17ROCPRIM_400000_NS6detail17trampoline_kernelINS0_14default_configENS1_27scan_by_key_config_selectorIixEEZZNS1_16scan_by_key_implILNS1_25lookback_scan_determinismE0ELb1ES3_N6thrust23THRUST_200600_302600_NS6detail15normal_iteratorINS9_10device_ptrIiEEEENSB_INSC_IxEEEESG_xNS9_4plusIvEENS9_8equal_toIvEExEE10hipError_tPvRmT2_T3_T4_T5_mT6_T7_P12ihipStream_tbENKUlT_T0_E_clISt17integral_constantIbLb1EES11_EEDaSW_SX_EUlSW_E_NS1_11comp_targetILNS1_3genE3ELNS1_11target_archE908ELNS1_3gpuE7ELNS1_3repE0EEENS1_30default_config_static_selectorELNS0_4arch9wavefront6targetE0EEEvT1_,"axG",@progbits,_ZN7rocprim17ROCPRIM_400000_NS6detail17trampoline_kernelINS0_14default_configENS1_27scan_by_key_config_selectorIixEEZZNS1_16scan_by_key_implILNS1_25lookback_scan_determinismE0ELb1ES3_N6thrust23THRUST_200600_302600_NS6detail15normal_iteratorINS9_10device_ptrIiEEEENSB_INSC_IxEEEESG_xNS9_4plusIvEENS9_8equal_toIvEExEE10hipError_tPvRmT2_T3_T4_T5_mT6_T7_P12ihipStream_tbENKUlT_T0_E_clISt17integral_constantIbLb1EES11_EEDaSW_SX_EUlSW_E_NS1_11comp_targetILNS1_3genE3ELNS1_11target_archE908ELNS1_3gpuE7ELNS1_3repE0EEENS1_30default_config_static_selectorELNS0_4arch9wavefront6targetE0EEEvT1_,comdat
	.protected	_ZN7rocprim17ROCPRIM_400000_NS6detail17trampoline_kernelINS0_14default_configENS1_27scan_by_key_config_selectorIixEEZZNS1_16scan_by_key_implILNS1_25lookback_scan_determinismE0ELb1ES3_N6thrust23THRUST_200600_302600_NS6detail15normal_iteratorINS9_10device_ptrIiEEEENSB_INSC_IxEEEESG_xNS9_4plusIvEENS9_8equal_toIvEExEE10hipError_tPvRmT2_T3_T4_T5_mT6_T7_P12ihipStream_tbENKUlT_T0_E_clISt17integral_constantIbLb1EES11_EEDaSW_SX_EUlSW_E_NS1_11comp_targetILNS1_3genE3ELNS1_11target_archE908ELNS1_3gpuE7ELNS1_3repE0EEENS1_30default_config_static_selectorELNS0_4arch9wavefront6targetE0EEEvT1_ ; -- Begin function _ZN7rocprim17ROCPRIM_400000_NS6detail17trampoline_kernelINS0_14default_configENS1_27scan_by_key_config_selectorIixEEZZNS1_16scan_by_key_implILNS1_25lookback_scan_determinismE0ELb1ES3_N6thrust23THRUST_200600_302600_NS6detail15normal_iteratorINS9_10device_ptrIiEEEENSB_INSC_IxEEEESG_xNS9_4plusIvEENS9_8equal_toIvEExEE10hipError_tPvRmT2_T3_T4_T5_mT6_T7_P12ihipStream_tbENKUlT_T0_E_clISt17integral_constantIbLb1EES11_EEDaSW_SX_EUlSW_E_NS1_11comp_targetILNS1_3genE3ELNS1_11target_archE908ELNS1_3gpuE7ELNS1_3repE0EEENS1_30default_config_static_selectorELNS0_4arch9wavefront6targetE0EEEvT1_
	.globl	_ZN7rocprim17ROCPRIM_400000_NS6detail17trampoline_kernelINS0_14default_configENS1_27scan_by_key_config_selectorIixEEZZNS1_16scan_by_key_implILNS1_25lookback_scan_determinismE0ELb1ES3_N6thrust23THRUST_200600_302600_NS6detail15normal_iteratorINS9_10device_ptrIiEEEENSB_INSC_IxEEEESG_xNS9_4plusIvEENS9_8equal_toIvEExEE10hipError_tPvRmT2_T3_T4_T5_mT6_T7_P12ihipStream_tbENKUlT_T0_E_clISt17integral_constantIbLb1EES11_EEDaSW_SX_EUlSW_E_NS1_11comp_targetILNS1_3genE3ELNS1_11target_archE908ELNS1_3gpuE7ELNS1_3repE0EEENS1_30default_config_static_selectorELNS0_4arch9wavefront6targetE0EEEvT1_
	.p2align	8
	.type	_ZN7rocprim17ROCPRIM_400000_NS6detail17trampoline_kernelINS0_14default_configENS1_27scan_by_key_config_selectorIixEEZZNS1_16scan_by_key_implILNS1_25lookback_scan_determinismE0ELb1ES3_N6thrust23THRUST_200600_302600_NS6detail15normal_iteratorINS9_10device_ptrIiEEEENSB_INSC_IxEEEESG_xNS9_4plusIvEENS9_8equal_toIvEExEE10hipError_tPvRmT2_T3_T4_T5_mT6_T7_P12ihipStream_tbENKUlT_T0_E_clISt17integral_constantIbLb1EES11_EEDaSW_SX_EUlSW_E_NS1_11comp_targetILNS1_3genE3ELNS1_11target_archE908ELNS1_3gpuE7ELNS1_3repE0EEENS1_30default_config_static_selectorELNS0_4arch9wavefront6targetE0EEEvT1_,@function
_ZN7rocprim17ROCPRIM_400000_NS6detail17trampoline_kernelINS0_14default_configENS1_27scan_by_key_config_selectorIixEEZZNS1_16scan_by_key_implILNS1_25lookback_scan_determinismE0ELb1ES3_N6thrust23THRUST_200600_302600_NS6detail15normal_iteratorINS9_10device_ptrIiEEEENSB_INSC_IxEEEESG_xNS9_4plusIvEENS9_8equal_toIvEExEE10hipError_tPvRmT2_T3_T4_T5_mT6_T7_P12ihipStream_tbENKUlT_T0_E_clISt17integral_constantIbLb1EES11_EEDaSW_SX_EUlSW_E_NS1_11comp_targetILNS1_3genE3ELNS1_11target_archE908ELNS1_3gpuE7ELNS1_3repE0EEENS1_30default_config_static_selectorELNS0_4arch9wavefront6targetE0EEEvT1_: ; @_ZN7rocprim17ROCPRIM_400000_NS6detail17trampoline_kernelINS0_14default_configENS1_27scan_by_key_config_selectorIixEEZZNS1_16scan_by_key_implILNS1_25lookback_scan_determinismE0ELb1ES3_N6thrust23THRUST_200600_302600_NS6detail15normal_iteratorINS9_10device_ptrIiEEEENSB_INSC_IxEEEESG_xNS9_4plusIvEENS9_8equal_toIvEExEE10hipError_tPvRmT2_T3_T4_T5_mT6_T7_P12ihipStream_tbENKUlT_T0_E_clISt17integral_constantIbLb1EES11_EEDaSW_SX_EUlSW_E_NS1_11comp_targetILNS1_3genE3ELNS1_11target_archE908ELNS1_3gpuE7ELNS1_3repE0EEENS1_30default_config_static_selectorELNS0_4arch9wavefront6targetE0EEEvT1_
; %bb.0:
	.section	.rodata,"a",@progbits
	.p2align	6, 0x0
	.amdhsa_kernel _ZN7rocprim17ROCPRIM_400000_NS6detail17trampoline_kernelINS0_14default_configENS1_27scan_by_key_config_selectorIixEEZZNS1_16scan_by_key_implILNS1_25lookback_scan_determinismE0ELb1ES3_N6thrust23THRUST_200600_302600_NS6detail15normal_iteratorINS9_10device_ptrIiEEEENSB_INSC_IxEEEESG_xNS9_4plusIvEENS9_8equal_toIvEExEE10hipError_tPvRmT2_T3_T4_T5_mT6_T7_P12ihipStream_tbENKUlT_T0_E_clISt17integral_constantIbLb1EES11_EEDaSW_SX_EUlSW_E_NS1_11comp_targetILNS1_3genE3ELNS1_11target_archE908ELNS1_3gpuE7ELNS1_3repE0EEENS1_30default_config_static_selectorELNS0_4arch9wavefront6targetE0EEEvT1_
		.amdhsa_group_segment_fixed_size 0
		.amdhsa_private_segment_fixed_size 0
		.amdhsa_kernarg_size 136
		.amdhsa_user_sgpr_count 2
		.amdhsa_user_sgpr_dispatch_ptr 0
		.amdhsa_user_sgpr_queue_ptr 0
		.amdhsa_user_sgpr_kernarg_segment_ptr 1
		.amdhsa_user_sgpr_dispatch_id 0
		.amdhsa_user_sgpr_kernarg_preload_length 0
		.amdhsa_user_sgpr_kernarg_preload_offset 0
		.amdhsa_user_sgpr_private_segment_size 0
		.amdhsa_wavefront_size32 1
		.amdhsa_uses_dynamic_stack 0
		.amdhsa_enable_private_segment 0
		.amdhsa_system_sgpr_workgroup_id_x 1
		.amdhsa_system_sgpr_workgroup_id_y 0
		.amdhsa_system_sgpr_workgroup_id_z 0
		.amdhsa_system_sgpr_workgroup_info 0
		.amdhsa_system_vgpr_workitem_id 0
		.amdhsa_next_free_vgpr 1
		.amdhsa_next_free_sgpr 1
		.amdhsa_named_barrier_count 0
		.amdhsa_reserve_vcc 0
		.amdhsa_float_round_mode_32 0
		.amdhsa_float_round_mode_16_64 0
		.amdhsa_float_denorm_mode_32 3
		.amdhsa_float_denorm_mode_16_64 3
		.amdhsa_fp16_overflow 0
		.amdhsa_memory_ordered 1
		.amdhsa_forward_progress 1
		.amdhsa_inst_pref_size 0
		.amdhsa_round_robin_scheduling 0
		.amdhsa_exception_fp_ieee_invalid_op 0
		.amdhsa_exception_fp_denorm_src 0
		.amdhsa_exception_fp_ieee_div_zero 0
		.amdhsa_exception_fp_ieee_overflow 0
		.amdhsa_exception_fp_ieee_underflow 0
		.amdhsa_exception_fp_ieee_inexact 0
		.amdhsa_exception_int_div_zero 0
	.end_amdhsa_kernel
	.section	.text._ZN7rocprim17ROCPRIM_400000_NS6detail17trampoline_kernelINS0_14default_configENS1_27scan_by_key_config_selectorIixEEZZNS1_16scan_by_key_implILNS1_25lookback_scan_determinismE0ELb1ES3_N6thrust23THRUST_200600_302600_NS6detail15normal_iteratorINS9_10device_ptrIiEEEENSB_INSC_IxEEEESG_xNS9_4plusIvEENS9_8equal_toIvEExEE10hipError_tPvRmT2_T3_T4_T5_mT6_T7_P12ihipStream_tbENKUlT_T0_E_clISt17integral_constantIbLb1EES11_EEDaSW_SX_EUlSW_E_NS1_11comp_targetILNS1_3genE3ELNS1_11target_archE908ELNS1_3gpuE7ELNS1_3repE0EEENS1_30default_config_static_selectorELNS0_4arch9wavefront6targetE0EEEvT1_,"axG",@progbits,_ZN7rocprim17ROCPRIM_400000_NS6detail17trampoline_kernelINS0_14default_configENS1_27scan_by_key_config_selectorIixEEZZNS1_16scan_by_key_implILNS1_25lookback_scan_determinismE0ELb1ES3_N6thrust23THRUST_200600_302600_NS6detail15normal_iteratorINS9_10device_ptrIiEEEENSB_INSC_IxEEEESG_xNS9_4plusIvEENS9_8equal_toIvEExEE10hipError_tPvRmT2_T3_T4_T5_mT6_T7_P12ihipStream_tbENKUlT_T0_E_clISt17integral_constantIbLb1EES11_EEDaSW_SX_EUlSW_E_NS1_11comp_targetILNS1_3genE3ELNS1_11target_archE908ELNS1_3gpuE7ELNS1_3repE0EEENS1_30default_config_static_selectorELNS0_4arch9wavefront6targetE0EEEvT1_,comdat
.Lfunc_end1584:
	.size	_ZN7rocprim17ROCPRIM_400000_NS6detail17trampoline_kernelINS0_14default_configENS1_27scan_by_key_config_selectorIixEEZZNS1_16scan_by_key_implILNS1_25lookback_scan_determinismE0ELb1ES3_N6thrust23THRUST_200600_302600_NS6detail15normal_iteratorINS9_10device_ptrIiEEEENSB_INSC_IxEEEESG_xNS9_4plusIvEENS9_8equal_toIvEExEE10hipError_tPvRmT2_T3_T4_T5_mT6_T7_P12ihipStream_tbENKUlT_T0_E_clISt17integral_constantIbLb1EES11_EEDaSW_SX_EUlSW_E_NS1_11comp_targetILNS1_3genE3ELNS1_11target_archE908ELNS1_3gpuE7ELNS1_3repE0EEENS1_30default_config_static_selectorELNS0_4arch9wavefront6targetE0EEEvT1_, .Lfunc_end1584-_ZN7rocprim17ROCPRIM_400000_NS6detail17trampoline_kernelINS0_14default_configENS1_27scan_by_key_config_selectorIixEEZZNS1_16scan_by_key_implILNS1_25lookback_scan_determinismE0ELb1ES3_N6thrust23THRUST_200600_302600_NS6detail15normal_iteratorINS9_10device_ptrIiEEEENSB_INSC_IxEEEESG_xNS9_4plusIvEENS9_8equal_toIvEExEE10hipError_tPvRmT2_T3_T4_T5_mT6_T7_P12ihipStream_tbENKUlT_T0_E_clISt17integral_constantIbLb1EES11_EEDaSW_SX_EUlSW_E_NS1_11comp_targetILNS1_3genE3ELNS1_11target_archE908ELNS1_3gpuE7ELNS1_3repE0EEENS1_30default_config_static_selectorELNS0_4arch9wavefront6targetE0EEEvT1_
                                        ; -- End function
	.set _ZN7rocprim17ROCPRIM_400000_NS6detail17trampoline_kernelINS0_14default_configENS1_27scan_by_key_config_selectorIixEEZZNS1_16scan_by_key_implILNS1_25lookback_scan_determinismE0ELb1ES3_N6thrust23THRUST_200600_302600_NS6detail15normal_iteratorINS9_10device_ptrIiEEEENSB_INSC_IxEEEESG_xNS9_4plusIvEENS9_8equal_toIvEExEE10hipError_tPvRmT2_T3_T4_T5_mT6_T7_P12ihipStream_tbENKUlT_T0_E_clISt17integral_constantIbLb1EES11_EEDaSW_SX_EUlSW_E_NS1_11comp_targetILNS1_3genE3ELNS1_11target_archE908ELNS1_3gpuE7ELNS1_3repE0EEENS1_30default_config_static_selectorELNS0_4arch9wavefront6targetE0EEEvT1_.num_vgpr, 0
	.set _ZN7rocprim17ROCPRIM_400000_NS6detail17trampoline_kernelINS0_14default_configENS1_27scan_by_key_config_selectorIixEEZZNS1_16scan_by_key_implILNS1_25lookback_scan_determinismE0ELb1ES3_N6thrust23THRUST_200600_302600_NS6detail15normal_iteratorINS9_10device_ptrIiEEEENSB_INSC_IxEEEESG_xNS9_4plusIvEENS9_8equal_toIvEExEE10hipError_tPvRmT2_T3_T4_T5_mT6_T7_P12ihipStream_tbENKUlT_T0_E_clISt17integral_constantIbLb1EES11_EEDaSW_SX_EUlSW_E_NS1_11comp_targetILNS1_3genE3ELNS1_11target_archE908ELNS1_3gpuE7ELNS1_3repE0EEENS1_30default_config_static_selectorELNS0_4arch9wavefront6targetE0EEEvT1_.num_agpr, 0
	.set _ZN7rocprim17ROCPRIM_400000_NS6detail17trampoline_kernelINS0_14default_configENS1_27scan_by_key_config_selectorIixEEZZNS1_16scan_by_key_implILNS1_25lookback_scan_determinismE0ELb1ES3_N6thrust23THRUST_200600_302600_NS6detail15normal_iteratorINS9_10device_ptrIiEEEENSB_INSC_IxEEEESG_xNS9_4plusIvEENS9_8equal_toIvEExEE10hipError_tPvRmT2_T3_T4_T5_mT6_T7_P12ihipStream_tbENKUlT_T0_E_clISt17integral_constantIbLb1EES11_EEDaSW_SX_EUlSW_E_NS1_11comp_targetILNS1_3genE3ELNS1_11target_archE908ELNS1_3gpuE7ELNS1_3repE0EEENS1_30default_config_static_selectorELNS0_4arch9wavefront6targetE0EEEvT1_.numbered_sgpr, 0
	.set _ZN7rocprim17ROCPRIM_400000_NS6detail17trampoline_kernelINS0_14default_configENS1_27scan_by_key_config_selectorIixEEZZNS1_16scan_by_key_implILNS1_25lookback_scan_determinismE0ELb1ES3_N6thrust23THRUST_200600_302600_NS6detail15normal_iteratorINS9_10device_ptrIiEEEENSB_INSC_IxEEEESG_xNS9_4plusIvEENS9_8equal_toIvEExEE10hipError_tPvRmT2_T3_T4_T5_mT6_T7_P12ihipStream_tbENKUlT_T0_E_clISt17integral_constantIbLb1EES11_EEDaSW_SX_EUlSW_E_NS1_11comp_targetILNS1_3genE3ELNS1_11target_archE908ELNS1_3gpuE7ELNS1_3repE0EEENS1_30default_config_static_selectorELNS0_4arch9wavefront6targetE0EEEvT1_.num_named_barrier, 0
	.set _ZN7rocprim17ROCPRIM_400000_NS6detail17trampoline_kernelINS0_14default_configENS1_27scan_by_key_config_selectorIixEEZZNS1_16scan_by_key_implILNS1_25lookback_scan_determinismE0ELb1ES3_N6thrust23THRUST_200600_302600_NS6detail15normal_iteratorINS9_10device_ptrIiEEEENSB_INSC_IxEEEESG_xNS9_4plusIvEENS9_8equal_toIvEExEE10hipError_tPvRmT2_T3_T4_T5_mT6_T7_P12ihipStream_tbENKUlT_T0_E_clISt17integral_constantIbLb1EES11_EEDaSW_SX_EUlSW_E_NS1_11comp_targetILNS1_3genE3ELNS1_11target_archE908ELNS1_3gpuE7ELNS1_3repE0EEENS1_30default_config_static_selectorELNS0_4arch9wavefront6targetE0EEEvT1_.private_seg_size, 0
	.set _ZN7rocprim17ROCPRIM_400000_NS6detail17trampoline_kernelINS0_14default_configENS1_27scan_by_key_config_selectorIixEEZZNS1_16scan_by_key_implILNS1_25lookback_scan_determinismE0ELb1ES3_N6thrust23THRUST_200600_302600_NS6detail15normal_iteratorINS9_10device_ptrIiEEEENSB_INSC_IxEEEESG_xNS9_4plusIvEENS9_8equal_toIvEExEE10hipError_tPvRmT2_T3_T4_T5_mT6_T7_P12ihipStream_tbENKUlT_T0_E_clISt17integral_constantIbLb1EES11_EEDaSW_SX_EUlSW_E_NS1_11comp_targetILNS1_3genE3ELNS1_11target_archE908ELNS1_3gpuE7ELNS1_3repE0EEENS1_30default_config_static_selectorELNS0_4arch9wavefront6targetE0EEEvT1_.uses_vcc, 0
	.set _ZN7rocprim17ROCPRIM_400000_NS6detail17trampoline_kernelINS0_14default_configENS1_27scan_by_key_config_selectorIixEEZZNS1_16scan_by_key_implILNS1_25lookback_scan_determinismE0ELb1ES3_N6thrust23THRUST_200600_302600_NS6detail15normal_iteratorINS9_10device_ptrIiEEEENSB_INSC_IxEEEESG_xNS9_4plusIvEENS9_8equal_toIvEExEE10hipError_tPvRmT2_T3_T4_T5_mT6_T7_P12ihipStream_tbENKUlT_T0_E_clISt17integral_constantIbLb1EES11_EEDaSW_SX_EUlSW_E_NS1_11comp_targetILNS1_3genE3ELNS1_11target_archE908ELNS1_3gpuE7ELNS1_3repE0EEENS1_30default_config_static_selectorELNS0_4arch9wavefront6targetE0EEEvT1_.uses_flat_scratch, 0
	.set _ZN7rocprim17ROCPRIM_400000_NS6detail17trampoline_kernelINS0_14default_configENS1_27scan_by_key_config_selectorIixEEZZNS1_16scan_by_key_implILNS1_25lookback_scan_determinismE0ELb1ES3_N6thrust23THRUST_200600_302600_NS6detail15normal_iteratorINS9_10device_ptrIiEEEENSB_INSC_IxEEEESG_xNS9_4plusIvEENS9_8equal_toIvEExEE10hipError_tPvRmT2_T3_T4_T5_mT6_T7_P12ihipStream_tbENKUlT_T0_E_clISt17integral_constantIbLb1EES11_EEDaSW_SX_EUlSW_E_NS1_11comp_targetILNS1_3genE3ELNS1_11target_archE908ELNS1_3gpuE7ELNS1_3repE0EEENS1_30default_config_static_selectorELNS0_4arch9wavefront6targetE0EEEvT1_.has_dyn_sized_stack, 0
	.set _ZN7rocprim17ROCPRIM_400000_NS6detail17trampoline_kernelINS0_14default_configENS1_27scan_by_key_config_selectorIixEEZZNS1_16scan_by_key_implILNS1_25lookback_scan_determinismE0ELb1ES3_N6thrust23THRUST_200600_302600_NS6detail15normal_iteratorINS9_10device_ptrIiEEEENSB_INSC_IxEEEESG_xNS9_4plusIvEENS9_8equal_toIvEExEE10hipError_tPvRmT2_T3_T4_T5_mT6_T7_P12ihipStream_tbENKUlT_T0_E_clISt17integral_constantIbLb1EES11_EEDaSW_SX_EUlSW_E_NS1_11comp_targetILNS1_3genE3ELNS1_11target_archE908ELNS1_3gpuE7ELNS1_3repE0EEENS1_30default_config_static_selectorELNS0_4arch9wavefront6targetE0EEEvT1_.has_recursion, 0
	.set _ZN7rocprim17ROCPRIM_400000_NS6detail17trampoline_kernelINS0_14default_configENS1_27scan_by_key_config_selectorIixEEZZNS1_16scan_by_key_implILNS1_25lookback_scan_determinismE0ELb1ES3_N6thrust23THRUST_200600_302600_NS6detail15normal_iteratorINS9_10device_ptrIiEEEENSB_INSC_IxEEEESG_xNS9_4plusIvEENS9_8equal_toIvEExEE10hipError_tPvRmT2_T3_T4_T5_mT6_T7_P12ihipStream_tbENKUlT_T0_E_clISt17integral_constantIbLb1EES11_EEDaSW_SX_EUlSW_E_NS1_11comp_targetILNS1_3genE3ELNS1_11target_archE908ELNS1_3gpuE7ELNS1_3repE0EEENS1_30default_config_static_selectorELNS0_4arch9wavefront6targetE0EEEvT1_.has_indirect_call, 0
	.section	.AMDGPU.csdata,"",@progbits
; Kernel info:
; codeLenInByte = 0
; TotalNumSgprs: 0
; NumVgprs: 0
; ScratchSize: 0
; MemoryBound: 0
; FloatMode: 240
; IeeeMode: 1
; LDSByteSize: 0 bytes/workgroup (compile time only)
; SGPRBlocks: 0
; VGPRBlocks: 0
; NumSGPRsForWavesPerEU: 1
; NumVGPRsForWavesPerEU: 1
; NamedBarCnt: 0
; Occupancy: 16
; WaveLimiterHint : 0
; COMPUTE_PGM_RSRC2:SCRATCH_EN: 0
; COMPUTE_PGM_RSRC2:USER_SGPR: 2
; COMPUTE_PGM_RSRC2:TRAP_HANDLER: 0
; COMPUTE_PGM_RSRC2:TGID_X_EN: 1
; COMPUTE_PGM_RSRC2:TGID_Y_EN: 0
; COMPUTE_PGM_RSRC2:TGID_Z_EN: 0
; COMPUTE_PGM_RSRC2:TIDIG_COMP_CNT: 0
	.section	.text._ZN7rocprim17ROCPRIM_400000_NS6detail17trampoline_kernelINS0_14default_configENS1_27scan_by_key_config_selectorIixEEZZNS1_16scan_by_key_implILNS1_25lookback_scan_determinismE0ELb1ES3_N6thrust23THRUST_200600_302600_NS6detail15normal_iteratorINS9_10device_ptrIiEEEENSB_INSC_IxEEEESG_xNS9_4plusIvEENS9_8equal_toIvEExEE10hipError_tPvRmT2_T3_T4_T5_mT6_T7_P12ihipStream_tbENKUlT_T0_E_clISt17integral_constantIbLb1EES11_EEDaSW_SX_EUlSW_E_NS1_11comp_targetILNS1_3genE2ELNS1_11target_archE906ELNS1_3gpuE6ELNS1_3repE0EEENS1_30default_config_static_selectorELNS0_4arch9wavefront6targetE0EEEvT1_,"axG",@progbits,_ZN7rocprim17ROCPRIM_400000_NS6detail17trampoline_kernelINS0_14default_configENS1_27scan_by_key_config_selectorIixEEZZNS1_16scan_by_key_implILNS1_25lookback_scan_determinismE0ELb1ES3_N6thrust23THRUST_200600_302600_NS6detail15normal_iteratorINS9_10device_ptrIiEEEENSB_INSC_IxEEEESG_xNS9_4plusIvEENS9_8equal_toIvEExEE10hipError_tPvRmT2_T3_T4_T5_mT6_T7_P12ihipStream_tbENKUlT_T0_E_clISt17integral_constantIbLb1EES11_EEDaSW_SX_EUlSW_E_NS1_11comp_targetILNS1_3genE2ELNS1_11target_archE906ELNS1_3gpuE6ELNS1_3repE0EEENS1_30default_config_static_selectorELNS0_4arch9wavefront6targetE0EEEvT1_,comdat
	.protected	_ZN7rocprim17ROCPRIM_400000_NS6detail17trampoline_kernelINS0_14default_configENS1_27scan_by_key_config_selectorIixEEZZNS1_16scan_by_key_implILNS1_25lookback_scan_determinismE0ELb1ES3_N6thrust23THRUST_200600_302600_NS6detail15normal_iteratorINS9_10device_ptrIiEEEENSB_INSC_IxEEEESG_xNS9_4plusIvEENS9_8equal_toIvEExEE10hipError_tPvRmT2_T3_T4_T5_mT6_T7_P12ihipStream_tbENKUlT_T0_E_clISt17integral_constantIbLb1EES11_EEDaSW_SX_EUlSW_E_NS1_11comp_targetILNS1_3genE2ELNS1_11target_archE906ELNS1_3gpuE6ELNS1_3repE0EEENS1_30default_config_static_selectorELNS0_4arch9wavefront6targetE0EEEvT1_ ; -- Begin function _ZN7rocprim17ROCPRIM_400000_NS6detail17trampoline_kernelINS0_14default_configENS1_27scan_by_key_config_selectorIixEEZZNS1_16scan_by_key_implILNS1_25lookback_scan_determinismE0ELb1ES3_N6thrust23THRUST_200600_302600_NS6detail15normal_iteratorINS9_10device_ptrIiEEEENSB_INSC_IxEEEESG_xNS9_4plusIvEENS9_8equal_toIvEExEE10hipError_tPvRmT2_T3_T4_T5_mT6_T7_P12ihipStream_tbENKUlT_T0_E_clISt17integral_constantIbLb1EES11_EEDaSW_SX_EUlSW_E_NS1_11comp_targetILNS1_3genE2ELNS1_11target_archE906ELNS1_3gpuE6ELNS1_3repE0EEENS1_30default_config_static_selectorELNS0_4arch9wavefront6targetE0EEEvT1_
	.globl	_ZN7rocprim17ROCPRIM_400000_NS6detail17trampoline_kernelINS0_14default_configENS1_27scan_by_key_config_selectorIixEEZZNS1_16scan_by_key_implILNS1_25lookback_scan_determinismE0ELb1ES3_N6thrust23THRUST_200600_302600_NS6detail15normal_iteratorINS9_10device_ptrIiEEEENSB_INSC_IxEEEESG_xNS9_4plusIvEENS9_8equal_toIvEExEE10hipError_tPvRmT2_T3_T4_T5_mT6_T7_P12ihipStream_tbENKUlT_T0_E_clISt17integral_constantIbLb1EES11_EEDaSW_SX_EUlSW_E_NS1_11comp_targetILNS1_3genE2ELNS1_11target_archE906ELNS1_3gpuE6ELNS1_3repE0EEENS1_30default_config_static_selectorELNS0_4arch9wavefront6targetE0EEEvT1_
	.p2align	8
	.type	_ZN7rocprim17ROCPRIM_400000_NS6detail17trampoline_kernelINS0_14default_configENS1_27scan_by_key_config_selectorIixEEZZNS1_16scan_by_key_implILNS1_25lookback_scan_determinismE0ELb1ES3_N6thrust23THRUST_200600_302600_NS6detail15normal_iteratorINS9_10device_ptrIiEEEENSB_INSC_IxEEEESG_xNS9_4plusIvEENS9_8equal_toIvEExEE10hipError_tPvRmT2_T3_T4_T5_mT6_T7_P12ihipStream_tbENKUlT_T0_E_clISt17integral_constantIbLb1EES11_EEDaSW_SX_EUlSW_E_NS1_11comp_targetILNS1_3genE2ELNS1_11target_archE906ELNS1_3gpuE6ELNS1_3repE0EEENS1_30default_config_static_selectorELNS0_4arch9wavefront6targetE0EEEvT1_,@function
_ZN7rocprim17ROCPRIM_400000_NS6detail17trampoline_kernelINS0_14default_configENS1_27scan_by_key_config_selectorIixEEZZNS1_16scan_by_key_implILNS1_25lookback_scan_determinismE0ELb1ES3_N6thrust23THRUST_200600_302600_NS6detail15normal_iteratorINS9_10device_ptrIiEEEENSB_INSC_IxEEEESG_xNS9_4plusIvEENS9_8equal_toIvEExEE10hipError_tPvRmT2_T3_T4_T5_mT6_T7_P12ihipStream_tbENKUlT_T0_E_clISt17integral_constantIbLb1EES11_EEDaSW_SX_EUlSW_E_NS1_11comp_targetILNS1_3genE2ELNS1_11target_archE906ELNS1_3gpuE6ELNS1_3repE0EEENS1_30default_config_static_selectorELNS0_4arch9wavefront6targetE0EEEvT1_: ; @_ZN7rocprim17ROCPRIM_400000_NS6detail17trampoline_kernelINS0_14default_configENS1_27scan_by_key_config_selectorIixEEZZNS1_16scan_by_key_implILNS1_25lookback_scan_determinismE0ELb1ES3_N6thrust23THRUST_200600_302600_NS6detail15normal_iteratorINS9_10device_ptrIiEEEENSB_INSC_IxEEEESG_xNS9_4plusIvEENS9_8equal_toIvEExEE10hipError_tPvRmT2_T3_T4_T5_mT6_T7_P12ihipStream_tbENKUlT_T0_E_clISt17integral_constantIbLb1EES11_EEDaSW_SX_EUlSW_E_NS1_11comp_targetILNS1_3genE2ELNS1_11target_archE906ELNS1_3gpuE6ELNS1_3repE0EEENS1_30default_config_static_selectorELNS0_4arch9wavefront6targetE0EEEvT1_
; %bb.0:
	.section	.rodata,"a",@progbits
	.p2align	6, 0x0
	.amdhsa_kernel _ZN7rocprim17ROCPRIM_400000_NS6detail17trampoline_kernelINS0_14default_configENS1_27scan_by_key_config_selectorIixEEZZNS1_16scan_by_key_implILNS1_25lookback_scan_determinismE0ELb1ES3_N6thrust23THRUST_200600_302600_NS6detail15normal_iteratorINS9_10device_ptrIiEEEENSB_INSC_IxEEEESG_xNS9_4plusIvEENS9_8equal_toIvEExEE10hipError_tPvRmT2_T3_T4_T5_mT6_T7_P12ihipStream_tbENKUlT_T0_E_clISt17integral_constantIbLb1EES11_EEDaSW_SX_EUlSW_E_NS1_11comp_targetILNS1_3genE2ELNS1_11target_archE906ELNS1_3gpuE6ELNS1_3repE0EEENS1_30default_config_static_selectorELNS0_4arch9wavefront6targetE0EEEvT1_
		.amdhsa_group_segment_fixed_size 0
		.amdhsa_private_segment_fixed_size 0
		.amdhsa_kernarg_size 136
		.amdhsa_user_sgpr_count 2
		.amdhsa_user_sgpr_dispatch_ptr 0
		.amdhsa_user_sgpr_queue_ptr 0
		.amdhsa_user_sgpr_kernarg_segment_ptr 1
		.amdhsa_user_sgpr_dispatch_id 0
		.amdhsa_user_sgpr_kernarg_preload_length 0
		.amdhsa_user_sgpr_kernarg_preload_offset 0
		.amdhsa_user_sgpr_private_segment_size 0
		.amdhsa_wavefront_size32 1
		.amdhsa_uses_dynamic_stack 0
		.amdhsa_enable_private_segment 0
		.amdhsa_system_sgpr_workgroup_id_x 1
		.amdhsa_system_sgpr_workgroup_id_y 0
		.amdhsa_system_sgpr_workgroup_id_z 0
		.amdhsa_system_sgpr_workgroup_info 0
		.amdhsa_system_vgpr_workitem_id 0
		.amdhsa_next_free_vgpr 1
		.amdhsa_next_free_sgpr 1
		.amdhsa_named_barrier_count 0
		.amdhsa_reserve_vcc 0
		.amdhsa_float_round_mode_32 0
		.amdhsa_float_round_mode_16_64 0
		.amdhsa_float_denorm_mode_32 3
		.amdhsa_float_denorm_mode_16_64 3
		.amdhsa_fp16_overflow 0
		.amdhsa_memory_ordered 1
		.amdhsa_forward_progress 1
		.amdhsa_inst_pref_size 0
		.amdhsa_round_robin_scheduling 0
		.amdhsa_exception_fp_ieee_invalid_op 0
		.amdhsa_exception_fp_denorm_src 0
		.amdhsa_exception_fp_ieee_div_zero 0
		.amdhsa_exception_fp_ieee_overflow 0
		.amdhsa_exception_fp_ieee_underflow 0
		.amdhsa_exception_fp_ieee_inexact 0
		.amdhsa_exception_int_div_zero 0
	.end_amdhsa_kernel
	.section	.text._ZN7rocprim17ROCPRIM_400000_NS6detail17trampoline_kernelINS0_14default_configENS1_27scan_by_key_config_selectorIixEEZZNS1_16scan_by_key_implILNS1_25lookback_scan_determinismE0ELb1ES3_N6thrust23THRUST_200600_302600_NS6detail15normal_iteratorINS9_10device_ptrIiEEEENSB_INSC_IxEEEESG_xNS9_4plusIvEENS9_8equal_toIvEExEE10hipError_tPvRmT2_T3_T4_T5_mT6_T7_P12ihipStream_tbENKUlT_T0_E_clISt17integral_constantIbLb1EES11_EEDaSW_SX_EUlSW_E_NS1_11comp_targetILNS1_3genE2ELNS1_11target_archE906ELNS1_3gpuE6ELNS1_3repE0EEENS1_30default_config_static_selectorELNS0_4arch9wavefront6targetE0EEEvT1_,"axG",@progbits,_ZN7rocprim17ROCPRIM_400000_NS6detail17trampoline_kernelINS0_14default_configENS1_27scan_by_key_config_selectorIixEEZZNS1_16scan_by_key_implILNS1_25lookback_scan_determinismE0ELb1ES3_N6thrust23THRUST_200600_302600_NS6detail15normal_iteratorINS9_10device_ptrIiEEEENSB_INSC_IxEEEESG_xNS9_4plusIvEENS9_8equal_toIvEExEE10hipError_tPvRmT2_T3_T4_T5_mT6_T7_P12ihipStream_tbENKUlT_T0_E_clISt17integral_constantIbLb1EES11_EEDaSW_SX_EUlSW_E_NS1_11comp_targetILNS1_3genE2ELNS1_11target_archE906ELNS1_3gpuE6ELNS1_3repE0EEENS1_30default_config_static_selectorELNS0_4arch9wavefront6targetE0EEEvT1_,comdat
.Lfunc_end1585:
	.size	_ZN7rocprim17ROCPRIM_400000_NS6detail17trampoline_kernelINS0_14default_configENS1_27scan_by_key_config_selectorIixEEZZNS1_16scan_by_key_implILNS1_25lookback_scan_determinismE0ELb1ES3_N6thrust23THRUST_200600_302600_NS6detail15normal_iteratorINS9_10device_ptrIiEEEENSB_INSC_IxEEEESG_xNS9_4plusIvEENS9_8equal_toIvEExEE10hipError_tPvRmT2_T3_T4_T5_mT6_T7_P12ihipStream_tbENKUlT_T0_E_clISt17integral_constantIbLb1EES11_EEDaSW_SX_EUlSW_E_NS1_11comp_targetILNS1_3genE2ELNS1_11target_archE906ELNS1_3gpuE6ELNS1_3repE0EEENS1_30default_config_static_selectorELNS0_4arch9wavefront6targetE0EEEvT1_, .Lfunc_end1585-_ZN7rocprim17ROCPRIM_400000_NS6detail17trampoline_kernelINS0_14default_configENS1_27scan_by_key_config_selectorIixEEZZNS1_16scan_by_key_implILNS1_25lookback_scan_determinismE0ELb1ES3_N6thrust23THRUST_200600_302600_NS6detail15normal_iteratorINS9_10device_ptrIiEEEENSB_INSC_IxEEEESG_xNS9_4plusIvEENS9_8equal_toIvEExEE10hipError_tPvRmT2_T3_T4_T5_mT6_T7_P12ihipStream_tbENKUlT_T0_E_clISt17integral_constantIbLb1EES11_EEDaSW_SX_EUlSW_E_NS1_11comp_targetILNS1_3genE2ELNS1_11target_archE906ELNS1_3gpuE6ELNS1_3repE0EEENS1_30default_config_static_selectorELNS0_4arch9wavefront6targetE0EEEvT1_
                                        ; -- End function
	.set _ZN7rocprim17ROCPRIM_400000_NS6detail17trampoline_kernelINS0_14default_configENS1_27scan_by_key_config_selectorIixEEZZNS1_16scan_by_key_implILNS1_25lookback_scan_determinismE0ELb1ES3_N6thrust23THRUST_200600_302600_NS6detail15normal_iteratorINS9_10device_ptrIiEEEENSB_INSC_IxEEEESG_xNS9_4plusIvEENS9_8equal_toIvEExEE10hipError_tPvRmT2_T3_T4_T5_mT6_T7_P12ihipStream_tbENKUlT_T0_E_clISt17integral_constantIbLb1EES11_EEDaSW_SX_EUlSW_E_NS1_11comp_targetILNS1_3genE2ELNS1_11target_archE906ELNS1_3gpuE6ELNS1_3repE0EEENS1_30default_config_static_selectorELNS0_4arch9wavefront6targetE0EEEvT1_.num_vgpr, 0
	.set _ZN7rocprim17ROCPRIM_400000_NS6detail17trampoline_kernelINS0_14default_configENS1_27scan_by_key_config_selectorIixEEZZNS1_16scan_by_key_implILNS1_25lookback_scan_determinismE0ELb1ES3_N6thrust23THRUST_200600_302600_NS6detail15normal_iteratorINS9_10device_ptrIiEEEENSB_INSC_IxEEEESG_xNS9_4plusIvEENS9_8equal_toIvEExEE10hipError_tPvRmT2_T3_T4_T5_mT6_T7_P12ihipStream_tbENKUlT_T0_E_clISt17integral_constantIbLb1EES11_EEDaSW_SX_EUlSW_E_NS1_11comp_targetILNS1_3genE2ELNS1_11target_archE906ELNS1_3gpuE6ELNS1_3repE0EEENS1_30default_config_static_selectorELNS0_4arch9wavefront6targetE0EEEvT1_.num_agpr, 0
	.set _ZN7rocprim17ROCPRIM_400000_NS6detail17trampoline_kernelINS0_14default_configENS1_27scan_by_key_config_selectorIixEEZZNS1_16scan_by_key_implILNS1_25lookback_scan_determinismE0ELb1ES3_N6thrust23THRUST_200600_302600_NS6detail15normal_iteratorINS9_10device_ptrIiEEEENSB_INSC_IxEEEESG_xNS9_4plusIvEENS9_8equal_toIvEExEE10hipError_tPvRmT2_T3_T4_T5_mT6_T7_P12ihipStream_tbENKUlT_T0_E_clISt17integral_constantIbLb1EES11_EEDaSW_SX_EUlSW_E_NS1_11comp_targetILNS1_3genE2ELNS1_11target_archE906ELNS1_3gpuE6ELNS1_3repE0EEENS1_30default_config_static_selectorELNS0_4arch9wavefront6targetE0EEEvT1_.numbered_sgpr, 0
	.set _ZN7rocprim17ROCPRIM_400000_NS6detail17trampoline_kernelINS0_14default_configENS1_27scan_by_key_config_selectorIixEEZZNS1_16scan_by_key_implILNS1_25lookback_scan_determinismE0ELb1ES3_N6thrust23THRUST_200600_302600_NS6detail15normal_iteratorINS9_10device_ptrIiEEEENSB_INSC_IxEEEESG_xNS9_4plusIvEENS9_8equal_toIvEExEE10hipError_tPvRmT2_T3_T4_T5_mT6_T7_P12ihipStream_tbENKUlT_T0_E_clISt17integral_constantIbLb1EES11_EEDaSW_SX_EUlSW_E_NS1_11comp_targetILNS1_3genE2ELNS1_11target_archE906ELNS1_3gpuE6ELNS1_3repE0EEENS1_30default_config_static_selectorELNS0_4arch9wavefront6targetE0EEEvT1_.num_named_barrier, 0
	.set _ZN7rocprim17ROCPRIM_400000_NS6detail17trampoline_kernelINS0_14default_configENS1_27scan_by_key_config_selectorIixEEZZNS1_16scan_by_key_implILNS1_25lookback_scan_determinismE0ELb1ES3_N6thrust23THRUST_200600_302600_NS6detail15normal_iteratorINS9_10device_ptrIiEEEENSB_INSC_IxEEEESG_xNS9_4plusIvEENS9_8equal_toIvEExEE10hipError_tPvRmT2_T3_T4_T5_mT6_T7_P12ihipStream_tbENKUlT_T0_E_clISt17integral_constantIbLb1EES11_EEDaSW_SX_EUlSW_E_NS1_11comp_targetILNS1_3genE2ELNS1_11target_archE906ELNS1_3gpuE6ELNS1_3repE0EEENS1_30default_config_static_selectorELNS0_4arch9wavefront6targetE0EEEvT1_.private_seg_size, 0
	.set _ZN7rocprim17ROCPRIM_400000_NS6detail17trampoline_kernelINS0_14default_configENS1_27scan_by_key_config_selectorIixEEZZNS1_16scan_by_key_implILNS1_25lookback_scan_determinismE0ELb1ES3_N6thrust23THRUST_200600_302600_NS6detail15normal_iteratorINS9_10device_ptrIiEEEENSB_INSC_IxEEEESG_xNS9_4plusIvEENS9_8equal_toIvEExEE10hipError_tPvRmT2_T3_T4_T5_mT6_T7_P12ihipStream_tbENKUlT_T0_E_clISt17integral_constantIbLb1EES11_EEDaSW_SX_EUlSW_E_NS1_11comp_targetILNS1_3genE2ELNS1_11target_archE906ELNS1_3gpuE6ELNS1_3repE0EEENS1_30default_config_static_selectorELNS0_4arch9wavefront6targetE0EEEvT1_.uses_vcc, 0
	.set _ZN7rocprim17ROCPRIM_400000_NS6detail17trampoline_kernelINS0_14default_configENS1_27scan_by_key_config_selectorIixEEZZNS1_16scan_by_key_implILNS1_25lookback_scan_determinismE0ELb1ES3_N6thrust23THRUST_200600_302600_NS6detail15normal_iteratorINS9_10device_ptrIiEEEENSB_INSC_IxEEEESG_xNS9_4plusIvEENS9_8equal_toIvEExEE10hipError_tPvRmT2_T3_T4_T5_mT6_T7_P12ihipStream_tbENKUlT_T0_E_clISt17integral_constantIbLb1EES11_EEDaSW_SX_EUlSW_E_NS1_11comp_targetILNS1_3genE2ELNS1_11target_archE906ELNS1_3gpuE6ELNS1_3repE0EEENS1_30default_config_static_selectorELNS0_4arch9wavefront6targetE0EEEvT1_.uses_flat_scratch, 0
	.set _ZN7rocprim17ROCPRIM_400000_NS6detail17trampoline_kernelINS0_14default_configENS1_27scan_by_key_config_selectorIixEEZZNS1_16scan_by_key_implILNS1_25lookback_scan_determinismE0ELb1ES3_N6thrust23THRUST_200600_302600_NS6detail15normal_iteratorINS9_10device_ptrIiEEEENSB_INSC_IxEEEESG_xNS9_4plusIvEENS9_8equal_toIvEExEE10hipError_tPvRmT2_T3_T4_T5_mT6_T7_P12ihipStream_tbENKUlT_T0_E_clISt17integral_constantIbLb1EES11_EEDaSW_SX_EUlSW_E_NS1_11comp_targetILNS1_3genE2ELNS1_11target_archE906ELNS1_3gpuE6ELNS1_3repE0EEENS1_30default_config_static_selectorELNS0_4arch9wavefront6targetE0EEEvT1_.has_dyn_sized_stack, 0
	.set _ZN7rocprim17ROCPRIM_400000_NS6detail17trampoline_kernelINS0_14default_configENS1_27scan_by_key_config_selectorIixEEZZNS1_16scan_by_key_implILNS1_25lookback_scan_determinismE0ELb1ES3_N6thrust23THRUST_200600_302600_NS6detail15normal_iteratorINS9_10device_ptrIiEEEENSB_INSC_IxEEEESG_xNS9_4plusIvEENS9_8equal_toIvEExEE10hipError_tPvRmT2_T3_T4_T5_mT6_T7_P12ihipStream_tbENKUlT_T0_E_clISt17integral_constantIbLb1EES11_EEDaSW_SX_EUlSW_E_NS1_11comp_targetILNS1_3genE2ELNS1_11target_archE906ELNS1_3gpuE6ELNS1_3repE0EEENS1_30default_config_static_selectorELNS0_4arch9wavefront6targetE0EEEvT1_.has_recursion, 0
	.set _ZN7rocprim17ROCPRIM_400000_NS6detail17trampoline_kernelINS0_14default_configENS1_27scan_by_key_config_selectorIixEEZZNS1_16scan_by_key_implILNS1_25lookback_scan_determinismE0ELb1ES3_N6thrust23THRUST_200600_302600_NS6detail15normal_iteratorINS9_10device_ptrIiEEEENSB_INSC_IxEEEESG_xNS9_4plusIvEENS9_8equal_toIvEExEE10hipError_tPvRmT2_T3_T4_T5_mT6_T7_P12ihipStream_tbENKUlT_T0_E_clISt17integral_constantIbLb1EES11_EEDaSW_SX_EUlSW_E_NS1_11comp_targetILNS1_3genE2ELNS1_11target_archE906ELNS1_3gpuE6ELNS1_3repE0EEENS1_30default_config_static_selectorELNS0_4arch9wavefront6targetE0EEEvT1_.has_indirect_call, 0
	.section	.AMDGPU.csdata,"",@progbits
; Kernel info:
; codeLenInByte = 0
; TotalNumSgprs: 0
; NumVgprs: 0
; ScratchSize: 0
; MemoryBound: 0
; FloatMode: 240
; IeeeMode: 1
; LDSByteSize: 0 bytes/workgroup (compile time only)
; SGPRBlocks: 0
; VGPRBlocks: 0
; NumSGPRsForWavesPerEU: 1
; NumVGPRsForWavesPerEU: 1
; NamedBarCnt: 0
; Occupancy: 16
; WaveLimiterHint : 0
; COMPUTE_PGM_RSRC2:SCRATCH_EN: 0
; COMPUTE_PGM_RSRC2:USER_SGPR: 2
; COMPUTE_PGM_RSRC2:TRAP_HANDLER: 0
; COMPUTE_PGM_RSRC2:TGID_X_EN: 1
; COMPUTE_PGM_RSRC2:TGID_Y_EN: 0
; COMPUTE_PGM_RSRC2:TGID_Z_EN: 0
; COMPUTE_PGM_RSRC2:TIDIG_COMP_CNT: 0
	.section	.text._ZN7rocprim17ROCPRIM_400000_NS6detail17trampoline_kernelINS0_14default_configENS1_27scan_by_key_config_selectorIixEEZZNS1_16scan_by_key_implILNS1_25lookback_scan_determinismE0ELb1ES3_N6thrust23THRUST_200600_302600_NS6detail15normal_iteratorINS9_10device_ptrIiEEEENSB_INSC_IxEEEESG_xNS9_4plusIvEENS9_8equal_toIvEExEE10hipError_tPvRmT2_T3_T4_T5_mT6_T7_P12ihipStream_tbENKUlT_T0_E_clISt17integral_constantIbLb1EES11_EEDaSW_SX_EUlSW_E_NS1_11comp_targetILNS1_3genE10ELNS1_11target_archE1200ELNS1_3gpuE4ELNS1_3repE0EEENS1_30default_config_static_selectorELNS0_4arch9wavefront6targetE0EEEvT1_,"axG",@progbits,_ZN7rocprim17ROCPRIM_400000_NS6detail17trampoline_kernelINS0_14default_configENS1_27scan_by_key_config_selectorIixEEZZNS1_16scan_by_key_implILNS1_25lookback_scan_determinismE0ELb1ES3_N6thrust23THRUST_200600_302600_NS6detail15normal_iteratorINS9_10device_ptrIiEEEENSB_INSC_IxEEEESG_xNS9_4plusIvEENS9_8equal_toIvEExEE10hipError_tPvRmT2_T3_T4_T5_mT6_T7_P12ihipStream_tbENKUlT_T0_E_clISt17integral_constantIbLb1EES11_EEDaSW_SX_EUlSW_E_NS1_11comp_targetILNS1_3genE10ELNS1_11target_archE1200ELNS1_3gpuE4ELNS1_3repE0EEENS1_30default_config_static_selectorELNS0_4arch9wavefront6targetE0EEEvT1_,comdat
	.protected	_ZN7rocprim17ROCPRIM_400000_NS6detail17trampoline_kernelINS0_14default_configENS1_27scan_by_key_config_selectorIixEEZZNS1_16scan_by_key_implILNS1_25lookback_scan_determinismE0ELb1ES3_N6thrust23THRUST_200600_302600_NS6detail15normal_iteratorINS9_10device_ptrIiEEEENSB_INSC_IxEEEESG_xNS9_4plusIvEENS9_8equal_toIvEExEE10hipError_tPvRmT2_T3_T4_T5_mT6_T7_P12ihipStream_tbENKUlT_T0_E_clISt17integral_constantIbLb1EES11_EEDaSW_SX_EUlSW_E_NS1_11comp_targetILNS1_3genE10ELNS1_11target_archE1200ELNS1_3gpuE4ELNS1_3repE0EEENS1_30default_config_static_selectorELNS0_4arch9wavefront6targetE0EEEvT1_ ; -- Begin function _ZN7rocprim17ROCPRIM_400000_NS6detail17trampoline_kernelINS0_14default_configENS1_27scan_by_key_config_selectorIixEEZZNS1_16scan_by_key_implILNS1_25lookback_scan_determinismE0ELb1ES3_N6thrust23THRUST_200600_302600_NS6detail15normal_iteratorINS9_10device_ptrIiEEEENSB_INSC_IxEEEESG_xNS9_4plusIvEENS9_8equal_toIvEExEE10hipError_tPvRmT2_T3_T4_T5_mT6_T7_P12ihipStream_tbENKUlT_T0_E_clISt17integral_constantIbLb1EES11_EEDaSW_SX_EUlSW_E_NS1_11comp_targetILNS1_3genE10ELNS1_11target_archE1200ELNS1_3gpuE4ELNS1_3repE0EEENS1_30default_config_static_selectorELNS0_4arch9wavefront6targetE0EEEvT1_
	.globl	_ZN7rocprim17ROCPRIM_400000_NS6detail17trampoline_kernelINS0_14default_configENS1_27scan_by_key_config_selectorIixEEZZNS1_16scan_by_key_implILNS1_25lookback_scan_determinismE0ELb1ES3_N6thrust23THRUST_200600_302600_NS6detail15normal_iteratorINS9_10device_ptrIiEEEENSB_INSC_IxEEEESG_xNS9_4plusIvEENS9_8equal_toIvEExEE10hipError_tPvRmT2_T3_T4_T5_mT6_T7_P12ihipStream_tbENKUlT_T0_E_clISt17integral_constantIbLb1EES11_EEDaSW_SX_EUlSW_E_NS1_11comp_targetILNS1_3genE10ELNS1_11target_archE1200ELNS1_3gpuE4ELNS1_3repE0EEENS1_30default_config_static_selectorELNS0_4arch9wavefront6targetE0EEEvT1_
	.p2align	8
	.type	_ZN7rocprim17ROCPRIM_400000_NS6detail17trampoline_kernelINS0_14default_configENS1_27scan_by_key_config_selectorIixEEZZNS1_16scan_by_key_implILNS1_25lookback_scan_determinismE0ELb1ES3_N6thrust23THRUST_200600_302600_NS6detail15normal_iteratorINS9_10device_ptrIiEEEENSB_INSC_IxEEEESG_xNS9_4plusIvEENS9_8equal_toIvEExEE10hipError_tPvRmT2_T3_T4_T5_mT6_T7_P12ihipStream_tbENKUlT_T0_E_clISt17integral_constantIbLb1EES11_EEDaSW_SX_EUlSW_E_NS1_11comp_targetILNS1_3genE10ELNS1_11target_archE1200ELNS1_3gpuE4ELNS1_3repE0EEENS1_30default_config_static_selectorELNS0_4arch9wavefront6targetE0EEEvT1_,@function
_ZN7rocprim17ROCPRIM_400000_NS6detail17trampoline_kernelINS0_14default_configENS1_27scan_by_key_config_selectorIixEEZZNS1_16scan_by_key_implILNS1_25lookback_scan_determinismE0ELb1ES3_N6thrust23THRUST_200600_302600_NS6detail15normal_iteratorINS9_10device_ptrIiEEEENSB_INSC_IxEEEESG_xNS9_4plusIvEENS9_8equal_toIvEExEE10hipError_tPvRmT2_T3_T4_T5_mT6_T7_P12ihipStream_tbENKUlT_T0_E_clISt17integral_constantIbLb1EES11_EEDaSW_SX_EUlSW_E_NS1_11comp_targetILNS1_3genE10ELNS1_11target_archE1200ELNS1_3gpuE4ELNS1_3repE0EEENS1_30default_config_static_selectorELNS0_4arch9wavefront6targetE0EEEvT1_: ; @_ZN7rocprim17ROCPRIM_400000_NS6detail17trampoline_kernelINS0_14default_configENS1_27scan_by_key_config_selectorIixEEZZNS1_16scan_by_key_implILNS1_25lookback_scan_determinismE0ELb1ES3_N6thrust23THRUST_200600_302600_NS6detail15normal_iteratorINS9_10device_ptrIiEEEENSB_INSC_IxEEEESG_xNS9_4plusIvEENS9_8equal_toIvEExEE10hipError_tPvRmT2_T3_T4_T5_mT6_T7_P12ihipStream_tbENKUlT_T0_E_clISt17integral_constantIbLb1EES11_EEDaSW_SX_EUlSW_E_NS1_11comp_targetILNS1_3genE10ELNS1_11target_archE1200ELNS1_3gpuE4ELNS1_3repE0EEENS1_30default_config_static_selectorELNS0_4arch9wavefront6targetE0EEEvT1_
; %bb.0:
	.section	.rodata,"a",@progbits
	.p2align	6, 0x0
	.amdhsa_kernel _ZN7rocprim17ROCPRIM_400000_NS6detail17trampoline_kernelINS0_14default_configENS1_27scan_by_key_config_selectorIixEEZZNS1_16scan_by_key_implILNS1_25lookback_scan_determinismE0ELb1ES3_N6thrust23THRUST_200600_302600_NS6detail15normal_iteratorINS9_10device_ptrIiEEEENSB_INSC_IxEEEESG_xNS9_4plusIvEENS9_8equal_toIvEExEE10hipError_tPvRmT2_T3_T4_T5_mT6_T7_P12ihipStream_tbENKUlT_T0_E_clISt17integral_constantIbLb1EES11_EEDaSW_SX_EUlSW_E_NS1_11comp_targetILNS1_3genE10ELNS1_11target_archE1200ELNS1_3gpuE4ELNS1_3repE0EEENS1_30default_config_static_selectorELNS0_4arch9wavefront6targetE0EEEvT1_
		.amdhsa_group_segment_fixed_size 0
		.amdhsa_private_segment_fixed_size 0
		.amdhsa_kernarg_size 136
		.amdhsa_user_sgpr_count 2
		.amdhsa_user_sgpr_dispatch_ptr 0
		.amdhsa_user_sgpr_queue_ptr 0
		.amdhsa_user_sgpr_kernarg_segment_ptr 1
		.amdhsa_user_sgpr_dispatch_id 0
		.amdhsa_user_sgpr_kernarg_preload_length 0
		.amdhsa_user_sgpr_kernarg_preload_offset 0
		.amdhsa_user_sgpr_private_segment_size 0
		.amdhsa_wavefront_size32 1
		.amdhsa_uses_dynamic_stack 0
		.amdhsa_enable_private_segment 0
		.amdhsa_system_sgpr_workgroup_id_x 1
		.amdhsa_system_sgpr_workgroup_id_y 0
		.amdhsa_system_sgpr_workgroup_id_z 0
		.amdhsa_system_sgpr_workgroup_info 0
		.amdhsa_system_vgpr_workitem_id 0
		.amdhsa_next_free_vgpr 1
		.amdhsa_next_free_sgpr 1
		.amdhsa_named_barrier_count 0
		.amdhsa_reserve_vcc 0
		.amdhsa_float_round_mode_32 0
		.amdhsa_float_round_mode_16_64 0
		.amdhsa_float_denorm_mode_32 3
		.amdhsa_float_denorm_mode_16_64 3
		.amdhsa_fp16_overflow 0
		.amdhsa_memory_ordered 1
		.amdhsa_forward_progress 1
		.amdhsa_inst_pref_size 0
		.amdhsa_round_robin_scheduling 0
		.amdhsa_exception_fp_ieee_invalid_op 0
		.amdhsa_exception_fp_denorm_src 0
		.amdhsa_exception_fp_ieee_div_zero 0
		.amdhsa_exception_fp_ieee_overflow 0
		.amdhsa_exception_fp_ieee_underflow 0
		.amdhsa_exception_fp_ieee_inexact 0
		.amdhsa_exception_int_div_zero 0
	.end_amdhsa_kernel
	.section	.text._ZN7rocprim17ROCPRIM_400000_NS6detail17trampoline_kernelINS0_14default_configENS1_27scan_by_key_config_selectorIixEEZZNS1_16scan_by_key_implILNS1_25lookback_scan_determinismE0ELb1ES3_N6thrust23THRUST_200600_302600_NS6detail15normal_iteratorINS9_10device_ptrIiEEEENSB_INSC_IxEEEESG_xNS9_4plusIvEENS9_8equal_toIvEExEE10hipError_tPvRmT2_T3_T4_T5_mT6_T7_P12ihipStream_tbENKUlT_T0_E_clISt17integral_constantIbLb1EES11_EEDaSW_SX_EUlSW_E_NS1_11comp_targetILNS1_3genE10ELNS1_11target_archE1200ELNS1_3gpuE4ELNS1_3repE0EEENS1_30default_config_static_selectorELNS0_4arch9wavefront6targetE0EEEvT1_,"axG",@progbits,_ZN7rocprim17ROCPRIM_400000_NS6detail17trampoline_kernelINS0_14default_configENS1_27scan_by_key_config_selectorIixEEZZNS1_16scan_by_key_implILNS1_25lookback_scan_determinismE0ELb1ES3_N6thrust23THRUST_200600_302600_NS6detail15normal_iteratorINS9_10device_ptrIiEEEENSB_INSC_IxEEEESG_xNS9_4plusIvEENS9_8equal_toIvEExEE10hipError_tPvRmT2_T3_T4_T5_mT6_T7_P12ihipStream_tbENKUlT_T0_E_clISt17integral_constantIbLb1EES11_EEDaSW_SX_EUlSW_E_NS1_11comp_targetILNS1_3genE10ELNS1_11target_archE1200ELNS1_3gpuE4ELNS1_3repE0EEENS1_30default_config_static_selectorELNS0_4arch9wavefront6targetE0EEEvT1_,comdat
.Lfunc_end1586:
	.size	_ZN7rocprim17ROCPRIM_400000_NS6detail17trampoline_kernelINS0_14default_configENS1_27scan_by_key_config_selectorIixEEZZNS1_16scan_by_key_implILNS1_25lookback_scan_determinismE0ELb1ES3_N6thrust23THRUST_200600_302600_NS6detail15normal_iteratorINS9_10device_ptrIiEEEENSB_INSC_IxEEEESG_xNS9_4plusIvEENS9_8equal_toIvEExEE10hipError_tPvRmT2_T3_T4_T5_mT6_T7_P12ihipStream_tbENKUlT_T0_E_clISt17integral_constantIbLb1EES11_EEDaSW_SX_EUlSW_E_NS1_11comp_targetILNS1_3genE10ELNS1_11target_archE1200ELNS1_3gpuE4ELNS1_3repE0EEENS1_30default_config_static_selectorELNS0_4arch9wavefront6targetE0EEEvT1_, .Lfunc_end1586-_ZN7rocprim17ROCPRIM_400000_NS6detail17trampoline_kernelINS0_14default_configENS1_27scan_by_key_config_selectorIixEEZZNS1_16scan_by_key_implILNS1_25lookback_scan_determinismE0ELb1ES3_N6thrust23THRUST_200600_302600_NS6detail15normal_iteratorINS9_10device_ptrIiEEEENSB_INSC_IxEEEESG_xNS9_4plusIvEENS9_8equal_toIvEExEE10hipError_tPvRmT2_T3_T4_T5_mT6_T7_P12ihipStream_tbENKUlT_T0_E_clISt17integral_constantIbLb1EES11_EEDaSW_SX_EUlSW_E_NS1_11comp_targetILNS1_3genE10ELNS1_11target_archE1200ELNS1_3gpuE4ELNS1_3repE0EEENS1_30default_config_static_selectorELNS0_4arch9wavefront6targetE0EEEvT1_
                                        ; -- End function
	.set _ZN7rocprim17ROCPRIM_400000_NS6detail17trampoline_kernelINS0_14default_configENS1_27scan_by_key_config_selectorIixEEZZNS1_16scan_by_key_implILNS1_25lookback_scan_determinismE0ELb1ES3_N6thrust23THRUST_200600_302600_NS6detail15normal_iteratorINS9_10device_ptrIiEEEENSB_INSC_IxEEEESG_xNS9_4plusIvEENS9_8equal_toIvEExEE10hipError_tPvRmT2_T3_T4_T5_mT6_T7_P12ihipStream_tbENKUlT_T0_E_clISt17integral_constantIbLb1EES11_EEDaSW_SX_EUlSW_E_NS1_11comp_targetILNS1_3genE10ELNS1_11target_archE1200ELNS1_3gpuE4ELNS1_3repE0EEENS1_30default_config_static_selectorELNS0_4arch9wavefront6targetE0EEEvT1_.num_vgpr, 0
	.set _ZN7rocprim17ROCPRIM_400000_NS6detail17trampoline_kernelINS0_14default_configENS1_27scan_by_key_config_selectorIixEEZZNS1_16scan_by_key_implILNS1_25lookback_scan_determinismE0ELb1ES3_N6thrust23THRUST_200600_302600_NS6detail15normal_iteratorINS9_10device_ptrIiEEEENSB_INSC_IxEEEESG_xNS9_4plusIvEENS9_8equal_toIvEExEE10hipError_tPvRmT2_T3_T4_T5_mT6_T7_P12ihipStream_tbENKUlT_T0_E_clISt17integral_constantIbLb1EES11_EEDaSW_SX_EUlSW_E_NS1_11comp_targetILNS1_3genE10ELNS1_11target_archE1200ELNS1_3gpuE4ELNS1_3repE0EEENS1_30default_config_static_selectorELNS0_4arch9wavefront6targetE0EEEvT1_.num_agpr, 0
	.set _ZN7rocprim17ROCPRIM_400000_NS6detail17trampoline_kernelINS0_14default_configENS1_27scan_by_key_config_selectorIixEEZZNS1_16scan_by_key_implILNS1_25lookback_scan_determinismE0ELb1ES3_N6thrust23THRUST_200600_302600_NS6detail15normal_iteratorINS9_10device_ptrIiEEEENSB_INSC_IxEEEESG_xNS9_4plusIvEENS9_8equal_toIvEExEE10hipError_tPvRmT2_T3_T4_T5_mT6_T7_P12ihipStream_tbENKUlT_T0_E_clISt17integral_constantIbLb1EES11_EEDaSW_SX_EUlSW_E_NS1_11comp_targetILNS1_3genE10ELNS1_11target_archE1200ELNS1_3gpuE4ELNS1_3repE0EEENS1_30default_config_static_selectorELNS0_4arch9wavefront6targetE0EEEvT1_.numbered_sgpr, 0
	.set _ZN7rocprim17ROCPRIM_400000_NS6detail17trampoline_kernelINS0_14default_configENS1_27scan_by_key_config_selectorIixEEZZNS1_16scan_by_key_implILNS1_25lookback_scan_determinismE0ELb1ES3_N6thrust23THRUST_200600_302600_NS6detail15normal_iteratorINS9_10device_ptrIiEEEENSB_INSC_IxEEEESG_xNS9_4plusIvEENS9_8equal_toIvEExEE10hipError_tPvRmT2_T3_T4_T5_mT6_T7_P12ihipStream_tbENKUlT_T0_E_clISt17integral_constantIbLb1EES11_EEDaSW_SX_EUlSW_E_NS1_11comp_targetILNS1_3genE10ELNS1_11target_archE1200ELNS1_3gpuE4ELNS1_3repE0EEENS1_30default_config_static_selectorELNS0_4arch9wavefront6targetE0EEEvT1_.num_named_barrier, 0
	.set _ZN7rocprim17ROCPRIM_400000_NS6detail17trampoline_kernelINS0_14default_configENS1_27scan_by_key_config_selectorIixEEZZNS1_16scan_by_key_implILNS1_25lookback_scan_determinismE0ELb1ES3_N6thrust23THRUST_200600_302600_NS6detail15normal_iteratorINS9_10device_ptrIiEEEENSB_INSC_IxEEEESG_xNS9_4plusIvEENS9_8equal_toIvEExEE10hipError_tPvRmT2_T3_T4_T5_mT6_T7_P12ihipStream_tbENKUlT_T0_E_clISt17integral_constantIbLb1EES11_EEDaSW_SX_EUlSW_E_NS1_11comp_targetILNS1_3genE10ELNS1_11target_archE1200ELNS1_3gpuE4ELNS1_3repE0EEENS1_30default_config_static_selectorELNS0_4arch9wavefront6targetE0EEEvT1_.private_seg_size, 0
	.set _ZN7rocprim17ROCPRIM_400000_NS6detail17trampoline_kernelINS0_14default_configENS1_27scan_by_key_config_selectorIixEEZZNS1_16scan_by_key_implILNS1_25lookback_scan_determinismE0ELb1ES3_N6thrust23THRUST_200600_302600_NS6detail15normal_iteratorINS9_10device_ptrIiEEEENSB_INSC_IxEEEESG_xNS9_4plusIvEENS9_8equal_toIvEExEE10hipError_tPvRmT2_T3_T4_T5_mT6_T7_P12ihipStream_tbENKUlT_T0_E_clISt17integral_constantIbLb1EES11_EEDaSW_SX_EUlSW_E_NS1_11comp_targetILNS1_3genE10ELNS1_11target_archE1200ELNS1_3gpuE4ELNS1_3repE0EEENS1_30default_config_static_selectorELNS0_4arch9wavefront6targetE0EEEvT1_.uses_vcc, 0
	.set _ZN7rocprim17ROCPRIM_400000_NS6detail17trampoline_kernelINS0_14default_configENS1_27scan_by_key_config_selectorIixEEZZNS1_16scan_by_key_implILNS1_25lookback_scan_determinismE0ELb1ES3_N6thrust23THRUST_200600_302600_NS6detail15normal_iteratorINS9_10device_ptrIiEEEENSB_INSC_IxEEEESG_xNS9_4plusIvEENS9_8equal_toIvEExEE10hipError_tPvRmT2_T3_T4_T5_mT6_T7_P12ihipStream_tbENKUlT_T0_E_clISt17integral_constantIbLb1EES11_EEDaSW_SX_EUlSW_E_NS1_11comp_targetILNS1_3genE10ELNS1_11target_archE1200ELNS1_3gpuE4ELNS1_3repE0EEENS1_30default_config_static_selectorELNS0_4arch9wavefront6targetE0EEEvT1_.uses_flat_scratch, 0
	.set _ZN7rocprim17ROCPRIM_400000_NS6detail17trampoline_kernelINS0_14default_configENS1_27scan_by_key_config_selectorIixEEZZNS1_16scan_by_key_implILNS1_25lookback_scan_determinismE0ELb1ES3_N6thrust23THRUST_200600_302600_NS6detail15normal_iteratorINS9_10device_ptrIiEEEENSB_INSC_IxEEEESG_xNS9_4plusIvEENS9_8equal_toIvEExEE10hipError_tPvRmT2_T3_T4_T5_mT6_T7_P12ihipStream_tbENKUlT_T0_E_clISt17integral_constantIbLb1EES11_EEDaSW_SX_EUlSW_E_NS1_11comp_targetILNS1_3genE10ELNS1_11target_archE1200ELNS1_3gpuE4ELNS1_3repE0EEENS1_30default_config_static_selectorELNS0_4arch9wavefront6targetE0EEEvT1_.has_dyn_sized_stack, 0
	.set _ZN7rocprim17ROCPRIM_400000_NS6detail17trampoline_kernelINS0_14default_configENS1_27scan_by_key_config_selectorIixEEZZNS1_16scan_by_key_implILNS1_25lookback_scan_determinismE0ELb1ES3_N6thrust23THRUST_200600_302600_NS6detail15normal_iteratorINS9_10device_ptrIiEEEENSB_INSC_IxEEEESG_xNS9_4plusIvEENS9_8equal_toIvEExEE10hipError_tPvRmT2_T3_T4_T5_mT6_T7_P12ihipStream_tbENKUlT_T0_E_clISt17integral_constantIbLb1EES11_EEDaSW_SX_EUlSW_E_NS1_11comp_targetILNS1_3genE10ELNS1_11target_archE1200ELNS1_3gpuE4ELNS1_3repE0EEENS1_30default_config_static_selectorELNS0_4arch9wavefront6targetE0EEEvT1_.has_recursion, 0
	.set _ZN7rocprim17ROCPRIM_400000_NS6detail17trampoline_kernelINS0_14default_configENS1_27scan_by_key_config_selectorIixEEZZNS1_16scan_by_key_implILNS1_25lookback_scan_determinismE0ELb1ES3_N6thrust23THRUST_200600_302600_NS6detail15normal_iteratorINS9_10device_ptrIiEEEENSB_INSC_IxEEEESG_xNS9_4plusIvEENS9_8equal_toIvEExEE10hipError_tPvRmT2_T3_T4_T5_mT6_T7_P12ihipStream_tbENKUlT_T0_E_clISt17integral_constantIbLb1EES11_EEDaSW_SX_EUlSW_E_NS1_11comp_targetILNS1_3genE10ELNS1_11target_archE1200ELNS1_3gpuE4ELNS1_3repE0EEENS1_30default_config_static_selectorELNS0_4arch9wavefront6targetE0EEEvT1_.has_indirect_call, 0
	.section	.AMDGPU.csdata,"",@progbits
; Kernel info:
; codeLenInByte = 0
; TotalNumSgprs: 0
; NumVgprs: 0
; ScratchSize: 0
; MemoryBound: 0
; FloatMode: 240
; IeeeMode: 1
; LDSByteSize: 0 bytes/workgroup (compile time only)
; SGPRBlocks: 0
; VGPRBlocks: 0
; NumSGPRsForWavesPerEU: 1
; NumVGPRsForWavesPerEU: 1
; NamedBarCnt: 0
; Occupancy: 16
; WaveLimiterHint : 0
; COMPUTE_PGM_RSRC2:SCRATCH_EN: 0
; COMPUTE_PGM_RSRC2:USER_SGPR: 2
; COMPUTE_PGM_RSRC2:TRAP_HANDLER: 0
; COMPUTE_PGM_RSRC2:TGID_X_EN: 1
; COMPUTE_PGM_RSRC2:TGID_Y_EN: 0
; COMPUTE_PGM_RSRC2:TGID_Z_EN: 0
; COMPUTE_PGM_RSRC2:TIDIG_COMP_CNT: 0
	.section	.text._ZN7rocprim17ROCPRIM_400000_NS6detail17trampoline_kernelINS0_14default_configENS1_27scan_by_key_config_selectorIixEEZZNS1_16scan_by_key_implILNS1_25lookback_scan_determinismE0ELb1ES3_N6thrust23THRUST_200600_302600_NS6detail15normal_iteratorINS9_10device_ptrIiEEEENSB_INSC_IxEEEESG_xNS9_4plusIvEENS9_8equal_toIvEExEE10hipError_tPvRmT2_T3_T4_T5_mT6_T7_P12ihipStream_tbENKUlT_T0_E_clISt17integral_constantIbLb1EES11_EEDaSW_SX_EUlSW_E_NS1_11comp_targetILNS1_3genE9ELNS1_11target_archE1100ELNS1_3gpuE3ELNS1_3repE0EEENS1_30default_config_static_selectorELNS0_4arch9wavefront6targetE0EEEvT1_,"axG",@progbits,_ZN7rocprim17ROCPRIM_400000_NS6detail17trampoline_kernelINS0_14default_configENS1_27scan_by_key_config_selectorIixEEZZNS1_16scan_by_key_implILNS1_25lookback_scan_determinismE0ELb1ES3_N6thrust23THRUST_200600_302600_NS6detail15normal_iteratorINS9_10device_ptrIiEEEENSB_INSC_IxEEEESG_xNS9_4plusIvEENS9_8equal_toIvEExEE10hipError_tPvRmT2_T3_T4_T5_mT6_T7_P12ihipStream_tbENKUlT_T0_E_clISt17integral_constantIbLb1EES11_EEDaSW_SX_EUlSW_E_NS1_11comp_targetILNS1_3genE9ELNS1_11target_archE1100ELNS1_3gpuE3ELNS1_3repE0EEENS1_30default_config_static_selectorELNS0_4arch9wavefront6targetE0EEEvT1_,comdat
	.protected	_ZN7rocprim17ROCPRIM_400000_NS6detail17trampoline_kernelINS0_14default_configENS1_27scan_by_key_config_selectorIixEEZZNS1_16scan_by_key_implILNS1_25lookback_scan_determinismE0ELb1ES3_N6thrust23THRUST_200600_302600_NS6detail15normal_iteratorINS9_10device_ptrIiEEEENSB_INSC_IxEEEESG_xNS9_4plusIvEENS9_8equal_toIvEExEE10hipError_tPvRmT2_T3_T4_T5_mT6_T7_P12ihipStream_tbENKUlT_T0_E_clISt17integral_constantIbLb1EES11_EEDaSW_SX_EUlSW_E_NS1_11comp_targetILNS1_3genE9ELNS1_11target_archE1100ELNS1_3gpuE3ELNS1_3repE0EEENS1_30default_config_static_selectorELNS0_4arch9wavefront6targetE0EEEvT1_ ; -- Begin function _ZN7rocprim17ROCPRIM_400000_NS6detail17trampoline_kernelINS0_14default_configENS1_27scan_by_key_config_selectorIixEEZZNS1_16scan_by_key_implILNS1_25lookback_scan_determinismE0ELb1ES3_N6thrust23THRUST_200600_302600_NS6detail15normal_iteratorINS9_10device_ptrIiEEEENSB_INSC_IxEEEESG_xNS9_4plusIvEENS9_8equal_toIvEExEE10hipError_tPvRmT2_T3_T4_T5_mT6_T7_P12ihipStream_tbENKUlT_T0_E_clISt17integral_constantIbLb1EES11_EEDaSW_SX_EUlSW_E_NS1_11comp_targetILNS1_3genE9ELNS1_11target_archE1100ELNS1_3gpuE3ELNS1_3repE0EEENS1_30default_config_static_selectorELNS0_4arch9wavefront6targetE0EEEvT1_
	.globl	_ZN7rocprim17ROCPRIM_400000_NS6detail17trampoline_kernelINS0_14default_configENS1_27scan_by_key_config_selectorIixEEZZNS1_16scan_by_key_implILNS1_25lookback_scan_determinismE0ELb1ES3_N6thrust23THRUST_200600_302600_NS6detail15normal_iteratorINS9_10device_ptrIiEEEENSB_INSC_IxEEEESG_xNS9_4plusIvEENS9_8equal_toIvEExEE10hipError_tPvRmT2_T3_T4_T5_mT6_T7_P12ihipStream_tbENKUlT_T0_E_clISt17integral_constantIbLb1EES11_EEDaSW_SX_EUlSW_E_NS1_11comp_targetILNS1_3genE9ELNS1_11target_archE1100ELNS1_3gpuE3ELNS1_3repE0EEENS1_30default_config_static_selectorELNS0_4arch9wavefront6targetE0EEEvT1_
	.p2align	8
	.type	_ZN7rocprim17ROCPRIM_400000_NS6detail17trampoline_kernelINS0_14default_configENS1_27scan_by_key_config_selectorIixEEZZNS1_16scan_by_key_implILNS1_25lookback_scan_determinismE0ELb1ES3_N6thrust23THRUST_200600_302600_NS6detail15normal_iteratorINS9_10device_ptrIiEEEENSB_INSC_IxEEEESG_xNS9_4plusIvEENS9_8equal_toIvEExEE10hipError_tPvRmT2_T3_T4_T5_mT6_T7_P12ihipStream_tbENKUlT_T0_E_clISt17integral_constantIbLb1EES11_EEDaSW_SX_EUlSW_E_NS1_11comp_targetILNS1_3genE9ELNS1_11target_archE1100ELNS1_3gpuE3ELNS1_3repE0EEENS1_30default_config_static_selectorELNS0_4arch9wavefront6targetE0EEEvT1_,@function
_ZN7rocprim17ROCPRIM_400000_NS6detail17trampoline_kernelINS0_14default_configENS1_27scan_by_key_config_selectorIixEEZZNS1_16scan_by_key_implILNS1_25lookback_scan_determinismE0ELb1ES3_N6thrust23THRUST_200600_302600_NS6detail15normal_iteratorINS9_10device_ptrIiEEEENSB_INSC_IxEEEESG_xNS9_4plusIvEENS9_8equal_toIvEExEE10hipError_tPvRmT2_T3_T4_T5_mT6_T7_P12ihipStream_tbENKUlT_T0_E_clISt17integral_constantIbLb1EES11_EEDaSW_SX_EUlSW_E_NS1_11comp_targetILNS1_3genE9ELNS1_11target_archE1100ELNS1_3gpuE3ELNS1_3repE0EEENS1_30default_config_static_selectorELNS0_4arch9wavefront6targetE0EEEvT1_: ; @_ZN7rocprim17ROCPRIM_400000_NS6detail17trampoline_kernelINS0_14default_configENS1_27scan_by_key_config_selectorIixEEZZNS1_16scan_by_key_implILNS1_25lookback_scan_determinismE0ELb1ES3_N6thrust23THRUST_200600_302600_NS6detail15normal_iteratorINS9_10device_ptrIiEEEENSB_INSC_IxEEEESG_xNS9_4plusIvEENS9_8equal_toIvEExEE10hipError_tPvRmT2_T3_T4_T5_mT6_T7_P12ihipStream_tbENKUlT_T0_E_clISt17integral_constantIbLb1EES11_EEDaSW_SX_EUlSW_E_NS1_11comp_targetILNS1_3genE9ELNS1_11target_archE1100ELNS1_3gpuE3ELNS1_3repE0EEENS1_30default_config_static_selectorELNS0_4arch9wavefront6targetE0EEEvT1_
; %bb.0:
	.section	.rodata,"a",@progbits
	.p2align	6, 0x0
	.amdhsa_kernel _ZN7rocprim17ROCPRIM_400000_NS6detail17trampoline_kernelINS0_14default_configENS1_27scan_by_key_config_selectorIixEEZZNS1_16scan_by_key_implILNS1_25lookback_scan_determinismE0ELb1ES3_N6thrust23THRUST_200600_302600_NS6detail15normal_iteratorINS9_10device_ptrIiEEEENSB_INSC_IxEEEESG_xNS9_4plusIvEENS9_8equal_toIvEExEE10hipError_tPvRmT2_T3_T4_T5_mT6_T7_P12ihipStream_tbENKUlT_T0_E_clISt17integral_constantIbLb1EES11_EEDaSW_SX_EUlSW_E_NS1_11comp_targetILNS1_3genE9ELNS1_11target_archE1100ELNS1_3gpuE3ELNS1_3repE0EEENS1_30default_config_static_selectorELNS0_4arch9wavefront6targetE0EEEvT1_
		.amdhsa_group_segment_fixed_size 0
		.amdhsa_private_segment_fixed_size 0
		.amdhsa_kernarg_size 136
		.amdhsa_user_sgpr_count 2
		.amdhsa_user_sgpr_dispatch_ptr 0
		.amdhsa_user_sgpr_queue_ptr 0
		.amdhsa_user_sgpr_kernarg_segment_ptr 1
		.amdhsa_user_sgpr_dispatch_id 0
		.amdhsa_user_sgpr_kernarg_preload_length 0
		.amdhsa_user_sgpr_kernarg_preload_offset 0
		.amdhsa_user_sgpr_private_segment_size 0
		.amdhsa_wavefront_size32 1
		.amdhsa_uses_dynamic_stack 0
		.amdhsa_enable_private_segment 0
		.amdhsa_system_sgpr_workgroup_id_x 1
		.amdhsa_system_sgpr_workgroup_id_y 0
		.amdhsa_system_sgpr_workgroup_id_z 0
		.amdhsa_system_sgpr_workgroup_info 0
		.amdhsa_system_vgpr_workitem_id 0
		.amdhsa_next_free_vgpr 1
		.amdhsa_next_free_sgpr 1
		.amdhsa_named_barrier_count 0
		.amdhsa_reserve_vcc 0
		.amdhsa_float_round_mode_32 0
		.amdhsa_float_round_mode_16_64 0
		.amdhsa_float_denorm_mode_32 3
		.amdhsa_float_denorm_mode_16_64 3
		.amdhsa_fp16_overflow 0
		.amdhsa_memory_ordered 1
		.amdhsa_forward_progress 1
		.amdhsa_inst_pref_size 0
		.amdhsa_round_robin_scheduling 0
		.amdhsa_exception_fp_ieee_invalid_op 0
		.amdhsa_exception_fp_denorm_src 0
		.amdhsa_exception_fp_ieee_div_zero 0
		.amdhsa_exception_fp_ieee_overflow 0
		.amdhsa_exception_fp_ieee_underflow 0
		.amdhsa_exception_fp_ieee_inexact 0
		.amdhsa_exception_int_div_zero 0
	.end_amdhsa_kernel
	.section	.text._ZN7rocprim17ROCPRIM_400000_NS6detail17trampoline_kernelINS0_14default_configENS1_27scan_by_key_config_selectorIixEEZZNS1_16scan_by_key_implILNS1_25lookback_scan_determinismE0ELb1ES3_N6thrust23THRUST_200600_302600_NS6detail15normal_iteratorINS9_10device_ptrIiEEEENSB_INSC_IxEEEESG_xNS9_4plusIvEENS9_8equal_toIvEExEE10hipError_tPvRmT2_T3_T4_T5_mT6_T7_P12ihipStream_tbENKUlT_T0_E_clISt17integral_constantIbLb1EES11_EEDaSW_SX_EUlSW_E_NS1_11comp_targetILNS1_3genE9ELNS1_11target_archE1100ELNS1_3gpuE3ELNS1_3repE0EEENS1_30default_config_static_selectorELNS0_4arch9wavefront6targetE0EEEvT1_,"axG",@progbits,_ZN7rocprim17ROCPRIM_400000_NS6detail17trampoline_kernelINS0_14default_configENS1_27scan_by_key_config_selectorIixEEZZNS1_16scan_by_key_implILNS1_25lookback_scan_determinismE0ELb1ES3_N6thrust23THRUST_200600_302600_NS6detail15normal_iteratorINS9_10device_ptrIiEEEENSB_INSC_IxEEEESG_xNS9_4plusIvEENS9_8equal_toIvEExEE10hipError_tPvRmT2_T3_T4_T5_mT6_T7_P12ihipStream_tbENKUlT_T0_E_clISt17integral_constantIbLb1EES11_EEDaSW_SX_EUlSW_E_NS1_11comp_targetILNS1_3genE9ELNS1_11target_archE1100ELNS1_3gpuE3ELNS1_3repE0EEENS1_30default_config_static_selectorELNS0_4arch9wavefront6targetE0EEEvT1_,comdat
.Lfunc_end1587:
	.size	_ZN7rocprim17ROCPRIM_400000_NS6detail17trampoline_kernelINS0_14default_configENS1_27scan_by_key_config_selectorIixEEZZNS1_16scan_by_key_implILNS1_25lookback_scan_determinismE0ELb1ES3_N6thrust23THRUST_200600_302600_NS6detail15normal_iteratorINS9_10device_ptrIiEEEENSB_INSC_IxEEEESG_xNS9_4plusIvEENS9_8equal_toIvEExEE10hipError_tPvRmT2_T3_T4_T5_mT6_T7_P12ihipStream_tbENKUlT_T0_E_clISt17integral_constantIbLb1EES11_EEDaSW_SX_EUlSW_E_NS1_11comp_targetILNS1_3genE9ELNS1_11target_archE1100ELNS1_3gpuE3ELNS1_3repE0EEENS1_30default_config_static_selectorELNS0_4arch9wavefront6targetE0EEEvT1_, .Lfunc_end1587-_ZN7rocprim17ROCPRIM_400000_NS6detail17trampoline_kernelINS0_14default_configENS1_27scan_by_key_config_selectorIixEEZZNS1_16scan_by_key_implILNS1_25lookback_scan_determinismE0ELb1ES3_N6thrust23THRUST_200600_302600_NS6detail15normal_iteratorINS9_10device_ptrIiEEEENSB_INSC_IxEEEESG_xNS9_4plusIvEENS9_8equal_toIvEExEE10hipError_tPvRmT2_T3_T4_T5_mT6_T7_P12ihipStream_tbENKUlT_T0_E_clISt17integral_constantIbLb1EES11_EEDaSW_SX_EUlSW_E_NS1_11comp_targetILNS1_3genE9ELNS1_11target_archE1100ELNS1_3gpuE3ELNS1_3repE0EEENS1_30default_config_static_selectorELNS0_4arch9wavefront6targetE0EEEvT1_
                                        ; -- End function
	.set _ZN7rocprim17ROCPRIM_400000_NS6detail17trampoline_kernelINS0_14default_configENS1_27scan_by_key_config_selectorIixEEZZNS1_16scan_by_key_implILNS1_25lookback_scan_determinismE0ELb1ES3_N6thrust23THRUST_200600_302600_NS6detail15normal_iteratorINS9_10device_ptrIiEEEENSB_INSC_IxEEEESG_xNS9_4plusIvEENS9_8equal_toIvEExEE10hipError_tPvRmT2_T3_T4_T5_mT6_T7_P12ihipStream_tbENKUlT_T0_E_clISt17integral_constantIbLb1EES11_EEDaSW_SX_EUlSW_E_NS1_11comp_targetILNS1_3genE9ELNS1_11target_archE1100ELNS1_3gpuE3ELNS1_3repE0EEENS1_30default_config_static_selectorELNS0_4arch9wavefront6targetE0EEEvT1_.num_vgpr, 0
	.set _ZN7rocprim17ROCPRIM_400000_NS6detail17trampoline_kernelINS0_14default_configENS1_27scan_by_key_config_selectorIixEEZZNS1_16scan_by_key_implILNS1_25lookback_scan_determinismE0ELb1ES3_N6thrust23THRUST_200600_302600_NS6detail15normal_iteratorINS9_10device_ptrIiEEEENSB_INSC_IxEEEESG_xNS9_4plusIvEENS9_8equal_toIvEExEE10hipError_tPvRmT2_T3_T4_T5_mT6_T7_P12ihipStream_tbENKUlT_T0_E_clISt17integral_constantIbLb1EES11_EEDaSW_SX_EUlSW_E_NS1_11comp_targetILNS1_3genE9ELNS1_11target_archE1100ELNS1_3gpuE3ELNS1_3repE0EEENS1_30default_config_static_selectorELNS0_4arch9wavefront6targetE0EEEvT1_.num_agpr, 0
	.set _ZN7rocprim17ROCPRIM_400000_NS6detail17trampoline_kernelINS0_14default_configENS1_27scan_by_key_config_selectorIixEEZZNS1_16scan_by_key_implILNS1_25lookback_scan_determinismE0ELb1ES3_N6thrust23THRUST_200600_302600_NS6detail15normal_iteratorINS9_10device_ptrIiEEEENSB_INSC_IxEEEESG_xNS9_4plusIvEENS9_8equal_toIvEExEE10hipError_tPvRmT2_T3_T4_T5_mT6_T7_P12ihipStream_tbENKUlT_T0_E_clISt17integral_constantIbLb1EES11_EEDaSW_SX_EUlSW_E_NS1_11comp_targetILNS1_3genE9ELNS1_11target_archE1100ELNS1_3gpuE3ELNS1_3repE0EEENS1_30default_config_static_selectorELNS0_4arch9wavefront6targetE0EEEvT1_.numbered_sgpr, 0
	.set _ZN7rocprim17ROCPRIM_400000_NS6detail17trampoline_kernelINS0_14default_configENS1_27scan_by_key_config_selectorIixEEZZNS1_16scan_by_key_implILNS1_25lookback_scan_determinismE0ELb1ES3_N6thrust23THRUST_200600_302600_NS6detail15normal_iteratorINS9_10device_ptrIiEEEENSB_INSC_IxEEEESG_xNS9_4plusIvEENS9_8equal_toIvEExEE10hipError_tPvRmT2_T3_T4_T5_mT6_T7_P12ihipStream_tbENKUlT_T0_E_clISt17integral_constantIbLb1EES11_EEDaSW_SX_EUlSW_E_NS1_11comp_targetILNS1_3genE9ELNS1_11target_archE1100ELNS1_3gpuE3ELNS1_3repE0EEENS1_30default_config_static_selectorELNS0_4arch9wavefront6targetE0EEEvT1_.num_named_barrier, 0
	.set _ZN7rocprim17ROCPRIM_400000_NS6detail17trampoline_kernelINS0_14default_configENS1_27scan_by_key_config_selectorIixEEZZNS1_16scan_by_key_implILNS1_25lookback_scan_determinismE0ELb1ES3_N6thrust23THRUST_200600_302600_NS6detail15normal_iteratorINS9_10device_ptrIiEEEENSB_INSC_IxEEEESG_xNS9_4plusIvEENS9_8equal_toIvEExEE10hipError_tPvRmT2_T3_T4_T5_mT6_T7_P12ihipStream_tbENKUlT_T0_E_clISt17integral_constantIbLb1EES11_EEDaSW_SX_EUlSW_E_NS1_11comp_targetILNS1_3genE9ELNS1_11target_archE1100ELNS1_3gpuE3ELNS1_3repE0EEENS1_30default_config_static_selectorELNS0_4arch9wavefront6targetE0EEEvT1_.private_seg_size, 0
	.set _ZN7rocprim17ROCPRIM_400000_NS6detail17trampoline_kernelINS0_14default_configENS1_27scan_by_key_config_selectorIixEEZZNS1_16scan_by_key_implILNS1_25lookback_scan_determinismE0ELb1ES3_N6thrust23THRUST_200600_302600_NS6detail15normal_iteratorINS9_10device_ptrIiEEEENSB_INSC_IxEEEESG_xNS9_4plusIvEENS9_8equal_toIvEExEE10hipError_tPvRmT2_T3_T4_T5_mT6_T7_P12ihipStream_tbENKUlT_T0_E_clISt17integral_constantIbLb1EES11_EEDaSW_SX_EUlSW_E_NS1_11comp_targetILNS1_3genE9ELNS1_11target_archE1100ELNS1_3gpuE3ELNS1_3repE0EEENS1_30default_config_static_selectorELNS0_4arch9wavefront6targetE0EEEvT1_.uses_vcc, 0
	.set _ZN7rocprim17ROCPRIM_400000_NS6detail17trampoline_kernelINS0_14default_configENS1_27scan_by_key_config_selectorIixEEZZNS1_16scan_by_key_implILNS1_25lookback_scan_determinismE0ELb1ES3_N6thrust23THRUST_200600_302600_NS6detail15normal_iteratorINS9_10device_ptrIiEEEENSB_INSC_IxEEEESG_xNS9_4plusIvEENS9_8equal_toIvEExEE10hipError_tPvRmT2_T3_T4_T5_mT6_T7_P12ihipStream_tbENKUlT_T0_E_clISt17integral_constantIbLb1EES11_EEDaSW_SX_EUlSW_E_NS1_11comp_targetILNS1_3genE9ELNS1_11target_archE1100ELNS1_3gpuE3ELNS1_3repE0EEENS1_30default_config_static_selectorELNS0_4arch9wavefront6targetE0EEEvT1_.uses_flat_scratch, 0
	.set _ZN7rocprim17ROCPRIM_400000_NS6detail17trampoline_kernelINS0_14default_configENS1_27scan_by_key_config_selectorIixEEZZNS1_16scan_by_key_implILNS1_25lookback_scan_determinismE0ELb1ES3_N6thrust23THRUST_200600_302600_NS6detail15normal_iteratorINS9_10device_ptrIiEEEENSB_INSC_IxEEEESG_xNS9_4plusIvEENS9_8equal_toIvEExEE10hipError_tPvRmT2_T3_T4_T5_mT6_T7_P12ihipStream_tbENKUlT_T0_E_clISt17integral_constantIbLb1EES11_EEDaSW_SX_EUlSW_E_NS1_11comp_targetILNS1_3genE9ELNS1_11target_archE1100ELNS1_3gpuE3ELNS1_3repE0EEENS1_30default_config_static_selectorELNS0_4arch9wavefront6targetE0EEEvT1_.has_dyn_sized_stack, 0
	.set _ZN7rocprim17ROCPRIM_400000_NS6detail17trampoline_kernelINS0_14default_configENS1_27scan_by_key_config_selectorIixEEZZNS1_16scan_by_key_implILNS1_25lookback_scan_determinismE0ELb1ES3_N6thrust23THRUST_200600_302600_NS6detail15normal_iteratorINS9_10device_ptrIiEEEENSB_INSC_IxEEEESG_xNS9_4plusIvEENS9_8equal_toIvEExEE10hipError_tPvRmT2_T3_T4_T5_mT6_T7_P12ihipStream_tbENKUlT_T0_E_clISt17integral_constantIbLb1EES11_EEDaSW_SX_EUlSW_E_NS1_11comp_targetILNS1_3genE9ELNS1_11target_archE1100ELNS1_3gpuE3ELNS1_3repE0EEENS1_30default_config_static_selectorELNS0_4arch9wavefront6targetE0EEEvT1_.has_recursion, 0
	.set _ZN7rocprim17ROCPRIM_400000_NS6detail17trampoline_kernelINS0_14default_configENS1_27scan_by_key_config_selectorIixEEZZNS1_16scan_by_key_implILNS1_25lookback_scan_determinismE0ELb1ES3_N6thrust23THRUST_200600_302600_NS6detail15normal_iteratorINS9_10device_ptrIiEEEENSB_INSC_IxEEEESG_xNS9_4plusIvEENS9_8equal_toIvEExEE10hipError_tPvRmT2_T3_T4_T5_mT6_T7_P12ihipStream_tbENKUlT_T0_E_clISt17integral_constantIbLb1EES11_EEDaSW_SX_EUlSW_E_NS1_11comp_targetILNS1_3genE9ELNS1_11target_archE1100ELNS1_3gpuE3ELNS1_3repE0EEENS1_30default_config_static_selectorELNS0_4arch9wavefront6targetE0EEEvT1_.has_indirect_call, 0
	.section	.AMDGPU.csdata,"",@progbits
; Kernel info:
; codeLenInByte = 0
; TotalNumSgprs: 0
; NumVgprs: 0
; ScratchSize: 0
; MemoryBound: 0
; FloatMode: 240
; IeeeMode: 1
; LDSByteSize: 0 bytes/workgroup (compile time only)
; SGPRBlocks: 0
; VGPRBlocks: 0
; NumSGPRsForWavesPerEU: 1
; NumVGPRsForWavesPerEU: 1
; NamedBarCnt: 0
; Occupancy: 16
; WaveLimiterHint : 0
; COMPUTE_PGM_RSRC2:SCRATCH_EN: 0
; COMPUTE_PGM_RSRC2:USER_SGPR: 2
; COMPUTE_PGM_RSRC2:TRAP_HANDLER: 0
; COMPUTE_PGM_RSRC2:TGID_X_EN: 1
; COMPUTE_PGM_RSRC2:TGID_Y_EN: 0
; COMPUTE_PGM_RSRC2:TGID_Z_EN: 0
; COMPUTE_PGM_RSRC2:TIDIG_COMP_CNT: 0
	.section	.text._ZN7rocprim17ROCPRIM_400000_NS6detail17trampoline_kernelINS0_14default_configENS1_27scan_by_key_config_selectorIixEEZZNS1_16scan_by_key_implILNS1_25lookback_scan_determinismE0ELb1ES3_N6thrust23THRUST_200600_302600_NS6detail15normal_iteratorINS9_10device_ptrIiEEEENSB_INSC_IxEEEESG_xNS9_4plusIvEENS9_8equal_toIvEExEE10hipError_tPvRmT2_T3_T4_T5_mT6_T7_P12ihipStream_tbENKUlT_T0_E_clISt17integral_constantIbLb1EES11_EEDaSW_SX_EUlSW_E_NS1_11comp_targetILNS1_3genE8ELNS1_11target_archE1030ELNS1_3gpuE2ELNS1_3repE0EEENS1_30default_config_static_selectorELNS0_4arch9wavefront6targetE0EEEvT1_,"axG",@progbits,_ZN7rocprim17ROCPRIM_400000_NS6detail17trampoline_kernelINS0_14default_configENS1_27scan_by_key_config_selectorIixEEZZNS1_16scan_by_key_implILNS1_25lookback_scan_determinismE0ELb1ES3_N6thrust23THRUST_200600_302600_NS6detail15normal_iteratorINS9_10device_ptrIiEEEENSB_INSC_IxEEEESG_xNS9_4plusIvEENS9_8equal_toIvEExEE10hipError_tPvRmT2_T3_T4_T5_mT6_T7_P12ihipStream_tbENKUlT_T0_E_clISt17integral_constantIbLb1EES11_EEDaSW_SX_EUlSW_E_NS1_11comp_targetILNS1_3genE8ELNS1_11target_archE1030ELNS1_3gpuE2ELNS1_3repE0EEENS1_30default_config_static_selectorELNS0_4arch9wavefront6targetE0EEEvT1_,comdat
	.protected	_ZN7rocprim17ROCPRIM_400000_NS6detail17trampoline_kernelINS0_14default_configENS1_27scan_by_key_config_selectorIixEEZZNS1_16scan_by_key_implILNS1_25lookback_scan_determinismE0ELb1ES3_N6thrust23THRUST_200600_302600_NS6detail15normal_iteratorINS9_10device_ptrIiEEEENSB_INSC_IxEEEESG_xNS9_4plusIvEENS9_8equal_toIvEExEE10hipError_tPvRmT2_T3_T4_T5_mT6_T7_P12ihipStream_tbENKUlT_T0_E_clISt17integral_constantIbLb1EES11_EEDaSW_SX_EUlSW_E_NS1_11comp_targetILNS1_3genE8ELNS1_11target_archE1030ELNS1_3gpuE2ELNS1_3repE0EEENS1_30default_config_static_selectorELNS0_4arch9wavefront6targetE0EEEvT1_ ; -- Begin function _ZN7rocprim17ROCPRIM_400000_NS6detail17trampoline_kernelINS0_14default_configENS1_27scan_by_key_config_selectorIixEEZZNS1_16scan_by_key_implILNS1_25lookback_scan_determinismE0ELb1ES3_N6thrust23THRUST_200600_302600_NS6detail15normal_iteratorINS9_10device_ptrIiEEEENSB_INSC_IxEEEESG_xNS9_4plusIvEENS9_8equal_toIvEExEE10hipError_tPvRmT2_T3_T4_T5_mT6_T7_P12ihipStream_tbENKUlT_T0_E_clISt17integral_constantIbLb1EES11_EEDaSW_SX_EUlSW_E_NS1_11comp_targetILNS1_3genE8ELNS1_11target_archE1030ELNS1_3gpuE2ELNS1_3repE0EEENS1_30default_config_static_selectorELNS0_4arch9wavefront6targetE0EEEvT1_
	.globl	_ZN7rocprim17ROCPRIM_400000_NS6detail17trampoline_kernelINS0_14default_configENS1_27scan_by_key_config_selectorIixEEZZNS1_16scan_by_key_implILNS1_25lookback_scan_determinismE0ELb1ES3_N6thrust23THRUST_200600_302600_NS6detail15normal_iteratorINS9_10device_ptrIiEEEENSB_INSC_IxEEEESG_xNS9_4plusIvEENS9_8equal_toIvEExEE10hipError_tPvRmT2_T3_T4_T5_mT6_T7_P12ihipStream_tbENKUlT_T0_E_clISt17integral_constantIbLb1EES11_EEDaSW_SX_EUlSW_E_NS1_11comp_targetILNS1_3genE8ELNS1_11target_archE1030ELNS1_3gpuE2ELNS1_3repE0EEENS1_30default_config_static_selectorELNS0_4arch9wavefront6targetE0EEEvT1_
	.p2align	8
	.type	_ZN7rocprim17ROCPRIM_400000_NS6detail17trampoline_kernelINS0_14default_configENS1_27scan_by_key_config_selectorIixEEZZNS1_16scan_by_key_implILNS1_25lookback_scan_determinismE0ELb1ES3_N6thrust23THRUST_200600_302600_NS6detail15normal_iteratorINS9_10device_ptrIiEEEENSB_INSC_IxEEEESG_xNS9_4plusIvEENS9_8equal_toIvEExEE10hipError_tPvRmT2_T3_T4_T5_mT6_T7_P12ihipStream_tbENKUlT_T0_E_clISt17integral_constantIbLb1EES11_EEDaSW_SX_EUlSW_E_NS1_11comp_targetILNS1_3genE8ELNS1_11target_archE1030ELNS1_3gpuE2ELNS1_3repE0EEENS1_30default_config_static_selectorELNS0_4arch9wavefront6targetE0EEEvT1_,@function
_ZN7rocprim17ROCPRIM_400000_NS6detail17trampoline_kernelINS0_14default_configENS1_27scan_by_key_config_selectorIixEEZZNS1_16scan_by_key_implILNS1_25lookback_scan_determinismE0ELb1ES3_N6thrust23THRUST_200600_302600_NS6detail15normal_iteratorINS9_10device_ptrIiEEEENSB_INSC_IxEEEESG_xNS9_4plusIvEENS9_8equal_toIvEExEE10hipError_tPvRmT2_T3_T4_T5_mT6_T7_P12ihipStream_tbENKUlT_T0_E_clISt17integral_constantIbLb1EES11_EEDaSW_SX_EUlSW_E_NS1_11comp_targetILNS1_3genE8ELNS1_11target_archE1030ELNS1_3gpuE2ELNS1_3repE0EEENS1_30default_config_static_selectorELNS0_4arch9wavefront6targetE0EEEvT1_: ; @_ZN7rocprim17ROCPRIM_400000_NS6detail17trampoline_kernelINS0_14default_configENS1_27scan_by_key_config_selectorIixEEZZNS1_16scan_by_key_implILNS1_25lookback_scan_determinismE0ELb1ES3_N6thrust23THRUST_200600_302600_NS6detail15normal_iteratorINS9_10device_ptrIiEEEENSB_INSC_IxEEEESG_xNS9_4plusIvEENS9_8equal_toIvEExEE10hipError_tPvRmT2_T3_T4_T5_mT6_T7_P12ihipStream_tbENKUlT_T0_E_clISt17integral_constantIbLb1EES11_EEDaSW_SX_EUlSW_E_NS1_11comp_targetILNS1_3genE8ELNS1_11target_archE1030ELNS1_3gpuE2ELNS1_3repE0EEENS1_30default_config_static_selectorELNS0_4arch9wavefront6targetE0EEEvT1_
; %bb.0:
	.section	.rodata,"a",@progbits
	.p2align	6, 0x0
	.amdhsa_kernel _ZN7rocprim17ROCPRIM_400000_NS6detail17trampoline_kernelINS0_14default_configENS1_27scan_by_key_config_selectorIixEEZZNS1_16scan_by_key_implILNS1_25lookback_scan_determinismE0ELb1ES3_N6thrust23THRUST_200600_302600_NS6detail15normal_iteratorINS9_10device_ptrIiEEEENSB_INSC_IxEEEESG_xNS9_4plusIvEENS9_8equal_toIvEExEE10hipError_tPvRmT2_T3_T4_T5_mT6_T7_P12ihipStream_tbENKUlT_T0_E_clISt17integral_constantIbLb1EES11_EEDaSW_SX_EUlSW_E_NS1_11comp_targetILNS1_3genE8ELNS1_11target_archE1030ELNS1_3gpuE2ELNS1_3repE0EEENS1_30default_config_static_selectorELNS0_4arch9wavefront6targetE0EEEvT1_
		.amdhsa_group_segment_fixed_size 0
		.amdhsa_private_segment_fixed_size 0
		.amdhsa_kernarg_size 136
		.amdhsa_user_sgpr_count 2
		.amdhsa_user_sgpr_dispatch_ptr 0
		.amdhsa_user_sgpr_queue_ptr 0
		.amdhsa_user_sgpr_kernarg_segment_ptr 1
		.amdhsa_user_sgpr_dispatch_id 0
		.amdhsa_user_sgpr_kernarg_preload_length 0
		.amdhsa_user_sgpr_kernarg_preload_offset 0
		.amdhsa_user_sgpr_private_segment_size 0
		.amdhsa_wavefront_size32 1
		.amdhsa_uses_dynamic_stack 0
		.amdhsa_enable_private_segment 0
		.amdhsa_system_sgpr_workgroup_id_x 1
		.amdhsa_system_sgpr_workgroup_id_y 0
		.amdhsa_system_sgpr_workgroup_id_z 0
		.amdhsa_system_sgpr_workgroup_info 0
		.amdhsa_system_vgpr_workitem_id 0
		.amdhsa_next_free_vgpr 1
		.amdhsa_next_free_sgpr 1
		.amdhsa_named_barrier_count 0
		.amdhsa_reserve_vcc 0
		.amdhsa_float_round_mode_32 0
		.amdhsa_float_round_mode_16_64 0
		.amdhsa_float_denorm_mode_32 3
		.amdhsa_float_denorm_mode_16_64 3
		.amdhsa_fp16_overflow 0
		.amdhsa_memory_ordered 1
		.amdhsa_forward_progress 1
		.amdhsa_inst_pref_size 0
		.amdhsa_round_robin_scheduling 0
		.amdhsa_exception_fp_ieee_invalid_op 0
		.amdhsa_exception_fp_denorm_src 0
		.amdhsa_exception_fp_ieee_div_zero 0
		.amdhsa_exception_fp_ieee_overflow 0
		.amdhsa_exception_fp_ieee_underflow 0
		.amdhsa_exception_fp_ieee_inexact 0
		.amdhsa_exception_int_div_zero 0
	.end_amdhsa_kernel
	.section	.text._ZN7rocprim17ROCPRIM_400000_NS6detail17trampoline_kernelINS0_14default_configENS1_27scan_by_key_config_selectorIixEEZZNS1_16scan_by_key_implILNS1_25lookback_scan_determinismE0ELb1ES3_N6thrust23THRUST_200600_302600_NS6detail15normal_iteratorINS9_10device_ptrIiEEEENSB_INSC_IxEEEESG_xNS9_4plusIvEENS9_8equal_toIvEExEE10hipError_tPvRmT2_T3_T4_T5_mT6_T7_P12ihipStream_tbENKUlT_T0_E_clISt17integral_constantIbLb1EES11_EEDaSW_SX_EUlSW_E_NS1_11comp_targetILNS1_3genE8ELNS1_11target_archE1030ELNS1_3gpuE2ELNS1_3repE0EEENS1_30default_config_static_selectorELNS0_4arch9wavefront6targetE0EEEvT1_,"axG",@progbits,_ZN7rocprim17ROCPRIM_400000_NS6detail17trampoline_kernelINS0_14default_configENS1_27scan_by_key_config_selectorIixEEZZNS1_16scan_by_key_implILNS1_25lookback_scan_determinismE0ELb1ES3_N6thrust23THRUST_200600_302600_NS6detail15normal_iteratorINS9_10device_ptrIiEEEENSB_INSC_IxEEEESG_xNS9_4plusIvEENS9_8equal_toIvEExEE10hipError_tPvRmT2_T3_T4_T5_mT6_T7_P12ihipStream_tbENKUlT_T0_E_clISt17integral_constantIbLb1EES11_EEDaSW_SX_EUlSW_E_NS1_11comp_targetILNS1_3genE8ELNS1_11target_archE1030ELNS1_3gpuE2ELNS1_3repE0EEENS1_30default_config_static_selectorELNS0_4arch9wavefront6targetE0EEEvT1_,comdat
.Lfunc_end1588:
	.size	_ZN7rocprim17ROCPRIM_400000_NS6detail17trampoline_kernelINS0_14default_configENS1_27scan_by_key_config_selectorIixEEZZNS1_16scan_by_key_implILNS1_25lookback_scan_determinismE0ELb1ES3_N6thrust23THRUST_200600_302600_NS6detail15normal_iteratorINS9_10device_ptrIiEEEENSB_INSC_IxEEEESG_xNS9_4plusIvEENS9_8equal_toIvEExEE10hipError_tPvRmT2_T3_T4_T5_mT6_T7_P12ihipStream_tbENKUlT_T0_E_clISt17integral_constantIbLb1EES11_EEDaSW_SX_EUlSW_E_NS1_11comp_targetILNS1_3genE8ELNS1_11target_archE1030ELNS1_3gpuE2ELNS1_3repE0EEENS1_30default_config_static_selectorELNS0_4arch9wavefront6targetE0EEEvT1_, .Lfunc_end1588-_ZN7rocprim17ROCPRIM_400000_NS6detail17trampoline_kernelINS0_14default_configENS1_27scan_by_key_config_selectorIixEEZZNS1_16scan_by_key_implILNS1_25lookback_scan_determinismE0ELb1ES3_N6thrust23THRUST_200600_302600_NS6detail15normal_iteratorINS9_10device_ptrIiEEEENSB_INSC_IxEEEESG_xNS9_4plusIvEENS9_8equal_toIvEExEE10hipError_tPvRmT2_T3_T4_T5_mT6_T7_P12ihipStream_tbENKUlT_T0_E_clISt17integral_constantIbLb1EES11_EEDaSW_SX_EUlSW_E_NS1_11comp_targetILNS1_3genE8ELNS1_11target_archE1030ELNS1_3gpuE2ELNS1_3repE0EEENS1_30default_config_static_selectorELNS0_4arch9wavefront6targetE0EEEvT1_
                                        ; -- End function
	.set _ZN7rocprim17ROCPRIM_400000_NS6detail17trampoline_kernelINS0_14default_configENS1_27scan_by_key_config_selectorIixEEZZNS1_16scan_by_key_implILNS1_25lookback_scan_determinismE0ELb1ES3_N6thrust23THRUST_200600_302600_NS6detail15normal_iteratorINS9_10device_ptrIiEEEENSB_INSC_IxEEEESG_xNS9_4plusIvEENS9_8equal_toIvEExEE10hipError_tPvRmT2_T3_T4_T5_mT6_T7_P12ihipStream_tbENKUlT_T0_E_clISt17integral_constantIbLb1EES11_EEDaSW_SX_EUlSW_E_NS1_11comp_targetILNS1_3genE8ELNS1_11target_archE1030ELNS1_3gpuE2ELNS1_3repE0EEENS1_30default_config_static_selectorELNS0_4arch9wavefront6targetE0EEEvT1_.num_vgpr, 0
	.set _ZN7rocprim17ROCPRIM_400000_NS6detail17trampoline_kernelINS0_14default_configENS1_27scan_by_key_config_selectorIixEEZZNS1_16scan_by_key_implILNS1_25lookback_scan_determinismE0ELb1ES3_N6thrust23THRUST_200600_302600_NS6detail15normal_iteratorINS9_10device_ptrIiEEEENSB_INSC_IxEEEESG_xNS9_4plusIvEENS9_8equal_toIvEExEE10hipError_tPvRmT2_T3_T4_T5_mT6_T7_P12ihipStream_tbENKUlT_T0_E_clISt17integral_constantIbLb1EES11_EEDaSW_SX_EUlSW_E_NS1_11comp_targetILNS1_3genE8ELNS1_11target_archE1030ELNS1_3gpuE2ELNS1_3repE0EEENS1_30default_config_static_selectorELNS0_4arch9wavefront6targetE0EEEvT1_.num_agpr, 0
	.set _ZN7rocprim17ROCPRIM_400000_NS6detail17trampoline_kernelINS0_14default_configENS1_27scan_by_key_config_selectorIixEEZZNS1_16scan_by_key_implILNS1_25lookback_scan_determinismE0ELb1ES3_N6thrust23THRUST_200600_302600_NS6detail15normal_iteratorINS9_10device_ptrIiEEEENSB_INSC_IxEEEESG_xNS9_4plusIvEENS9_8equal_toIvEExEE10hipError_tPvRmT2_T3_T4_T5_mT6_T7_P12ihipStream_tbENKUlT_T0_E_clISt17integral_constantIbLb1EES11_EEDaSW_SX_EUlSW_E_NS1_11comp_targetILNS1_3genE8ELNS1_11target_archE1030ELNS1_3gpuE2ELNS1_3repE0EEENS1_30default_config_static_selectorELNS0_4arch9wavefront6targetE0EEEvT1_.numbered_sgpr, 0
	.set _ZN7rocprim17ROCPRIM_400000_NS6detail17trampoline_kernelINS0_14default_configENS1_27scan_by_key_config_selectorIixEEZZNS1_16scan_by_key_implILNS1_25lookback_scan_determinismE0ELb1ES3_N6thrust23THRUST_200600_302600_NS6detail15normal_iteratorINS9_10device_ptrIiEEEENSB_INSC_IxEEEESG_xNS9_4plusIvEENS9_8equal_toIvEExEE10hipError_tPvRmT2_T3_T4_T5_mT6_T7_P12ihipStream_tbENKUlT_T0_E_clISt17integral_constantIbLb1EES11_EEDaSW_SX_EUlSW_E_NS1_11comp_targetILNS1_3genE8ELNS1_11target_archE1030ELNS1_3gpuE2ELNS1_3repE0EEENS1_30default_config_static_selectorELNS0_4arch9wavefront6targetE0EEEvT1_.num_named_barrier, 0
	.set _ZN7rocprim17ROCPRIM_400000_NS6detail17trampoline_kernelINS0_14default_configENS1_27scan_by_key_config_selectorIixEEZZNS1_16scan_by_key_implILNS1_25lookback_scan_determinismE0ELb1ES3_N6thrust23THRUST_200600_302600_NS6detail15normal_iteratorINS9_10device_ptrIiEEEENSB_INSC_IxEEEESG_xNS9_4plusIvEENS9_8equal_toIvEExEE10hipError_tPvRmT2_T3_T4_T5_mT6_T7_P12ihipStream_tbENKUlT_T0_E_clISt17integral_constantIbLb1EES11_EEDaSW_SX_EUlSW_E_NS1_11comp_targetILNS1_3genE8ELNS1_11target_archE1030ELNS1_3gpuE2ELNS1_3repE0EEENS1_30default_config_static_selectorELNS0_4arch9wavefront6targetE0EEEvT1_.private_seg_size, 0
	.set _ZN7rocprim17ROCPRIM_400000_NS6detail17trampoline_kernelINS0_14default_configENS1_27scan_by_key_config_selectorIixEEZZNS1_16scan_by_key_implILNS1_25lookback_scan_determinismE0ELb1ES3_N6thrust23THRUST_200600_302600_NS6detail15normal_iteratorINS9_10device_ptrIiEEEENSB_INSC_IxEEEESG_xNS9_4plusIvEENS9_8equal_toIvEExEE10hipError_tPvRmT2_T3_T4_T5_mT6_T7_P12ihipStream_tbENKUlT_T0_E_clISt17integral_constantIbLb1EES11_EEDaSW_SX_EUlSW_E_NS1_11comp_targetILNS1_3genE8ELNS1_11target_archE1030ELNS1_3gpuE2ELNS1_3repE0EEENS1_30default_config_static_selectorELNS0_4arch9wavefront6targetE0EEEvT1_.uses_vcc, 0
	.set _ZN7rocprim17ROCPRIM_400000_NS6detail17trampoline_kernelINS0_14default_configENS1_27scan_by_key_config_selectorIixEEZZNS1_16scan_by_key_implILNS1_25lookback_scan_determinismE0ELb1ES3_N6thrust23THRUST_200600_302600_NS6detail15normal_iteratorINS9_10device_ptrIiEEEENSB_INSC_IxEEEESG_xNS9_4plusIvEENS9_8equal_toIvEExEE10hipError_tPvRmT2_T3_T4_T5_mT6_T7_P12ihipStream_tbENKUlT_T0_E_clISt17integral_constantIbLb1EES11_EEDaSW_SX_EUlSW_E_NS1_11comp_targetILNS1_3genE8ELNS1_11target_archE1030ELNS1_3gpuE2ELNS1_3repE0EEENS1_30default_config_static_selectorELNS0_4arch9wavefront6targetE0EEEvT1_.uses_flat_scratch, 0
	.set _ZN7rocprim17ROCPRIM_400000_NS6detail17trampoline_kernelINS0_14default_configENS1_27scan_by_key_config_selectorIixEEZZNS1_16scan_by_key_implILNS1_25lookback_scan_determinismE0ELb1ES3_N6thrust23THRUST_200600_302600_NS6detail15normal_iteratorINS9_10device_ptrIiEEEENSB_INSC_IxEEEESG_xNS9_4plusIvEENS9_8equal_toIvEExEE10hipError_tPvRmT2_T3_T4_T5_mT6_T7_P12ihipStream_tbENKUlT_T0_E_clISt17integral_constantIbLb1EES11_EEDaSW_SX_EUlSW_E_NS1_11comp_targetILNS1_3genE8ELNS1_11target_archE1030ELNS1_3gpuE2ELNS1_3repE0EEENS1_30default_config_static_selectorELNS0_4arch9wavefront6targetE0EEEvT1_.has_dyn_sized_stack, 0
	.set _ZN7rocprim17ROCPRIM_400000_NS6detail17trampoline_kernelINS0_14default_configENS1_27scan_by_key_config_selectorIixEEZZNS1_16scan_by_key_implILNS1_25lookback_scan_determinismE0ELb1ES3_N6thrust23THRUST_200600_302600_NS6detail15normal_iteratorINS9_10device_ptrIiEEEENSB_INSC_IxEEEESG_xNS9_4plusIvEENS9_8equal_toIvEExEE10hipError_tPvRmT2_T3_T4_T5_mT6_T7_P12ihipStream_tbENKUlT_T0_E_clISt17integral_constantIbLb1EES11_EEDaSW_SX_EUlSW_E_NS1_11comp_targetILNS1_3genE8ELNS1_11target_archE1030ELNS1_3gpuE2ELNS1_3repE0EEENS1_30default_config_static_selectorELNS0_4arch9wavefront6targetE0EEEvT1_.has_recursion, 0
	.set _ZN7rocprim17ROCPRIM_400000_NS6detail17trampoline_kernelINS0_14default_configENS1_27scan_by_key_config_selectorIixEEZZNS1_16scan_by_key_implILNS1_25lookback_scan_determinismE0ELb1ES3_N6thrust23THRUST_200600_302600_NS6detail15normal_iteratorINS9_10device_ptrIiEEEENSB_INSC_IxEEEESG_xNS9_4plusIvEENS9_8equal_toIvEExEE10hipError_tPvRmT2_T3_T4_T5_mT6_T7_P12ihipStream_tbENKUlT_T0_E_clISt17integral_constantIbLb1EES11_EEDaSW_SX_EUlSW_E_NS1_11comp_targetILNS1_3genE8ELNS1_11target_archE1030ELNS1_3gpuE2ELNS1_3repE0EEENS1_30default_config_static_selectorELNS0_4arch9wavefront6targetE0EEEvT1_.has_indirect_call, 0
	.section	.AMDGPU.csdata,"",@progbits
; Kernel info:
; codeLenInByte = 0
; TotalNumSgprs: 0
; NumVgprs: 0
; ScratchSize: 0
; MemoryBound: 0
; FloatMode: 240
; IeeeMode: 1
; LDSByteSize: 0 bytes/workgroup (compile time only)
; SGPRBlocks: 0
; VGPRBlocks: 0
; NumSGPRsForWavesPerEU: 1
; NumVGPRsForWavesPerEU: 1
; NamedBarCnt: 0
; Occupancy: 16
; WaveLimiterHint : 0
; COMPUTE_PGM_RSRC2:SCRATCH_EN: 0
; COMPUTE_PGM_RSRC2:USER_SGPR: 2
; COMPUTE_PGM_RSRC2:TRAP_HANDLER: 0
; COMPUTE_PGM_RSRC2:TGID_X_EN: 1
; COMPUTE_PGM_RSRC2:TGID_Y_EN: 0
; COMPUTE_PGM_RSRC2:TGID_Z_EN: 0
; COMPUTE_PGM_RSRC2:TIDIG_COMP_CNT: 0
	.section	.text._ZN7rocprim17ROCPRIM_400000_NS6detail17trampoline_kernelINS0_14default_configENS1_27scan_by_key_config_selectorIixEEZZNS1_16scan_by_key_implILNS1_25lookback_scan_determinismE0ELb1ES3_N6thrust23THRUST_200600_302600_NS6detail15normal_iteratorINS9_10device_ptrIiEEEENSB_INSC_IxEEEESG_xNS9_4plusIvEENS9_8equal_toIvEExEE10hipError_tPvRmT2_T3_T4_T5_mT6_T7_P12ihipStream_tbENKUlT_T0_E_clISt17integral_constantIbLb1EES10_IbLb0EEEEDaSW_SX_EUlSW_E_NS1_11comp_targetILNS1_3genE0ELNS1_11target_archE4294967295ELNS1_3gpuE0ELNS1_3repE0EEENS1_30default_config_static_selectorELNS0_4arch9wavefront6targetE0EEEvT1_,"axG",@progbits,_ZN7rocprim17ROCPRIM_400000_NS6detail17trampoline_kernelINS0_14default_configENS1_27scan_by_key_config_selectorIixEEZZNS1_16scan_by_key_implILNS1_25lookback_scan_determinismE0ELb1ES3_N6thrust23THRUST_200600_302600_NS6detail15normal_iteratorINS9_10device_ptrIiEEEENSB_INSC_IxEEEESG_xNS9_4plusIvEENS9_8equal_toIvEExEE10hipError_tPvRmT2_T3_T4_T5_mT6_T7_P12ihipStream_tbENKUlT_T0_E_clISt17integral_constantIbLb1EES10_IbLb0EEEEDaSW_SX_EUlSW_E_NS1_11comp_targetILNS1_3genE0ELNS1_11target_archE4294967295ELNS1_3gpuE0ELNS1_3repE0EEENS1_30default_config_static_selectorELNS0_4arch9wavefront6targetE0EEEvT1_,comdat
	.protected	_ZN7rocprim17ROCPRIM_400000_NS6detail17trampoline_kernelINS0_14default_configENS1_27scan_by_key_config_selectorIixEEZZNS1_16scan_by_key_implILNS1_25lookback_scan_determinismE0ELb1ES3_N6thrust23THRUST_200600_302600_NS6detail15normal_iteratorINS9_10device_ptrIiEEEENSB_INSC_IxEEEESG_xNS9_4plusIvEENS9_8equal_toIvEExEE10hipError_tPvRmT2_T3_T4_T5_mT6_T7_P12ihipStream_tbENKUlT_T0_E_clISt17integral_constantIbLb1EES10_IbLb0EEEEDaSW_SX_EUlSW_E_NS1_11comp_targetILNS1_3genE0ELNS1_11target_archE4294967295ELNS1_3gpuE0ELNS1_3repE0EEENS1_30default_config_static_selectorELNS0_4arch9wavefront6targetE0EEEvT1_ ; -- Begin function _ZN7rocprim17ROCPRIM_400000_NS6detail17trampoline_kernelINS0_14default_configENS1_27scan_by_key_config_selectorIixEEZZNS1_16scan_by_key_implILNS1_25lookback_scan_determinismE0ELb1ES3_N6thrust23THRUST_200600_302600_NS6detail15normal_iteratorINS9_10device_ptrIiEEEENSB_INSC_IxEEEESG_xNS9_4plusIvEENS9_8equal_toIvEExEE10hipError_tPvRmT2_T3_T4_T5_mT6_T7_P12ihipStream_tbENKUlT_T0_E_clISt17integral_constantIbLb1EES10_IbLb0EEEEDaSW_SX_EUlSW_E_NS1_11comp_targetILNS1_3genE0ELNS1_11target_archE4294967295ELNS1_3gpuE0ELNS1_3repE0EEENS1_30default_config_static_selectorELNS0_4arch9wavefront6targetE0EEEvT1_
	.globl	_ZN7rocprim17ROCPRIM_400000_NS6detail17trampoline_kernelINS0_14default_configENS1_27scan_by_key_config_selectorIixEEZZNS1_16scan_by_key_implILNS1_25lookback_scan_determinismE0ELb1ES3_N6thrust23THRUST_200600_302600_NS6detail15normal_iteratorINS9_10device_ptrIiEEEENSB_INSC_IxEEEESG_xNS9_4plusIvEENS9_8equal_toIvEExEE10hipError_tPvRmT2_T3_T4_T5_mT6_T7_P12ihipStream_tbENKUlT_T0_E_clISt17integral_constantIbLb1EES10_IbLb0EEEEDaSW_SX_EUlSW_E_NS1_11comp_targetILNS1_3genE0ELNS1_11target_archE4294967295ELNS1_3gpuE0ELNS1_3repE0EEENS1_30default_config_static_selectorELNS0_4arch9wavefront6targetE0EEEvT1_
	.p2align	8
	.type	_ZN7rocprim17ROCPRIM_400000_NS6detail17trampoline_kernelINS0_14default_configENS1_27scan_by_key_config_selectorIixEEZZNS1_16scan_by_key_implILNS1_25lookback_scan_determinismE0ELb1ES3_N6thrust23THRUST_200600_302600_NS6detail15normal_iteratorINS9_10device_ptrIiEEEENSB_INSC_IxEEEESG_xNS9_4plusIvEENS9_8equal_toIvEExEE10hipError_tPvRmT2_T3_T4_T5_mT6_T7_P12ihipStream_tbENKUlT_T0_E_clISt17integral_constantIbLb1EES10_IbLb0EEEEDaSW_SX_EUlSW_E_NS1_11comp_targetILNS1_3genE0ELNS1_11target_archE4294967295ELNS1_3gpuE0ELNS1_3repE0EEENS1_30default_config_static_selectorELNS0_4arch9wavefront6targetE0EEEvT1_,@function
_ZN7rocprim17ROCPRIM_400000_NS6detail17trampoline_kernelINS0_14default_configENS1_27scan_by_key_config_selectorIixEEZZNS1_16scan_by_key_implILNS1_25lookback_scan_determinismE0ELb1ES3_N6thrust23THRUST_200600_302600_NS6detail15normal_iteratorINS9_10device_ptrIiEEEENSB_INSC_IxEEEESG_xNS9_4plusIvEENS9_8equal_toIvEExEE10hipError_tPvRmT2_T3_T4_T5_mT6_T7_P12ihipStream_tbENKUlT_T0_E_clISt17integral_constantIbLb1EES10_IbLb0EEEEDaSW_SX_EUlSW_E_NS1_11comp_targetILNS1_3genE0ELNS1_11target_archE4294967295ELNS1_3gpuE0ELNS1_3repE0EEENS1_30default_config_static_selectorELNS0_4arch9wavefront6targetE0EEEvT1_: ; @_ZN7rocprim17ROCPRIM_400000_NS6detail17trampoline_kernelINS0_14default_configENS1_27scan_by_key_config_selectorIixEEZZNS1_16scan_by_key_implILNS1_25lookback_scan_determinismE0ELb1ES3_N6thrust23THRUST_200600_302600_NS6detail15normal_iteratorINS9_10device_ptrIiEEEENSB_INSC_IxEEEESG_xNS9_4plusIvEENS9_8equal_toIvEExEE10hipError_tPvRmT2_T3_T4_T5_mT6_T7_P12ihipStream_tbENKUlT_T0_E_clISt17integral_constantIbLb1EES10_IbLb0EEEEDaSW_SX_EUlSW_E_NS1_11comp_targetILNS1_3genE0ELNS1_11target_archE4294967295ELNS1_3gpuE0ELNS1_3repE0EEENS1_30default_config_static_selectorELNS0_4arch9wavefront6targetE0EEEvT1_
; %bb.0:
	s_endpgm
	.section	.rodata,"a",@progbits
	.p2align	6, 0x0
	.amdhsa_kernel _ZN7rocprim17ROCPRIM_400000_NS6detail17trampoline_kernelINS0_14default_configENS1_27scan_by_key_config_selectorIixEEZZNS1_16scan_by_key_implILNS1_25lookback_scan_determinismE0ELb1ES3_N6thrust23THRUST_200600_302600_NS6detail15normal_iteratorINS9_10device_ptrIiEEEENSB_INSC_IxEEEESG_xNS9_4plusIvEENS9_8equal_toIvEExEE10hipError_tPvRmT2_T3_T4_T5_mT6_T7_P12ihipStream_tbENKUlT_T0_E_clISt17integral_constantIbLb1EES10_IbLb0EEEEDaSW_SX_EUlSW_E_NS1_11comp_targetILNS1_3genE0ELNS1_11target_archE4294967295ELNS1_3gpuE0ELNS1_3repE0EEENS1_30default_config_static_selectorELNS0_4arch9wavefront6targetE0EEEvT1_
		.amdhsa_group_segment_fixed_size 0
		.amdhsa_private_segment_fixed_size 0
		.amdhsa_kernarg_size 136
		.amdhsa_user_sgpr_count 2
		.amdhsa_user_sgpr_dispatch_ptr 0
		.amdhsa_user_sgpr_queue_ptr 0
		.amdhsa_user_sgpr_kernarg_segment_ptr 1
		.amdhsa_user_sgpr_dispatch_id 0
		.amdhsa_user_sgpr_kernarg_preload_length 0
		.amdhsa_user_sgpr_kernarg_preload_offset 0
		.amdhsa_user_sgpr_private_segment_size 0
		.amdhsa_wavefront_size32 1
		.amdhsa_uses_dynamic_stack 0
		.amdhsa_enable_private_segment 0
		.amdhsa_system_sgpr_workgroup_id_x 1
		.amdhsa_system_sgpr_workgroup_id_y 0
		.amdhsa_system_sgpr_workgroup_id_z 0
		.amdhsa_system_sgpr_workgroup_info 0
		.amdhsa_system_vgpr_workitem_id 0
		.amdhsa_next_free_vgpr 1
		.amdhsa_next_free_sgpr 1
		.amdhsa_named_barrier_count 0
		.amdhsa_reserve_vcc 0
		.amdhsa_float_round_mode_32 0
		.amdhsa_float_round_mode_16_64 0
		.amdhsa_float_denorm_mode_32 3
		.amdhsa_float_denorm_mode_16_64 3
		.amdhsa_fp16_overflow 0
		.amdhsa_memory_ordered 1
		.amdhsa_forward_progress 1
		.amdhsa_inst_pref_size 1
		.amdhsa_round_robin_scheduling 0
		.amdhsa_exception_fp_ieee_invalid_op 0
		.amdhsa_exception_fp_denorm_src 0
		.amdhsa_exception_fp_ieee_div_zero 0
		.amdhsa_exception_fp_ieee_overflow 0
		.amdhsa_exception_fp_ieee_underflow 0
		.amdhsa_exception_fp_ieee_inexact 0
		.amdhsa_exception_int_div_zero 0
	.end_amdhsa_kernel
	.section	.text._ZN7rocprim17ROCPRIM_400000_NS6detail17trampoline_kernelINS0_14default_configENS1_27scan_by_key_config_selectorIixEEZZNS1_16scan_by_key_implILNS1_25lookback_scan_determinismE0ELb1ES3_N6thrust23THRUST_200600_302600_NS6detail15normal_iteratorINS9_10device_ptrIiEEEENSB_INSC_IxEEEESG_xNS9_4plusIvEENS9_8equal_toIvEExEE10hipError_tPvRmT2_T3_T4_T5_mT6_T7_P12ihipStream_tbENKUlT_T0_E_clISt17integral_constantIbLb1EES10_IbLb0EEEEDaSW_SX_EUlSW_E_NS1_11comp_targetILNS1_3genE0ELNS1_11target_archE4294967295ELNS1_3gpuE0ELNS1_3repE0EEENS1_30default_config_static_selectorELNS0_4arch9wavefront6targetE0EEEvT1_,"axG",@progbits,_ZN7rocprim17ROCPRIM_400000_NS6detail17trampoline_kernelINS0_14default_configENS1_27scan_by_key_config_selectorIixEEZZNS1_16scan_by_key_implILNS1_25lookback_scan_determinismE0ELb1ES3_N6thrust23THRUST_200600_302600_NS6detail15normal_iteratorINS9_10device_ptrIiEEEENSB_INSC_IxEEEESG_xNS9_4plusIvEENS9_8equal_toIvEExEE10hipError_tPvRmT2_T3_T4_T5_mT6_T7_P12ihipStream_tbENKUlT_T0_E_clISt17integral_constantIbLb1EES10_IbLb0EEEEDaSW_SX_EUlSW_E_NS1_11comp_targetILNS1_3genE0ELNS1_11target_archE4294967295ELNS1_3gpuE0ELNS1_3repE0EEENS1_30default_config_static_selectorELNS0_4arch9wavefront6targetE0EEEvT1_,comdat
.Lfunc_end1589:
	.size	_ZN7rocprim17ROCPRIM_400000_NS6detail17trampoline_kernelINS0_14default_configENS1_27scan_by_key_config_selectorIixEEZZNS1_16scan_by_key_implILNS1_25lookback_scan_determinismE0ELb1ES3_N6thrust23THRUST_200600_302600_NS6detail15normal_iteratorINS9_10device_ptrIiEEEENSB_INSC_IxEEEESG_xNS9_4plusIvEENS9_8equal_toIvEExEE10hipError_tPvRmT2_T3_T4_T5_mT6_T7_P12ihipStream_tbENKUlT_T0_E_clISt17integral_constantIbLb1EES10_IbLb0EEEEDaSW_SX_EUlSW_E_NS1_11comp_targetILNS1_3genE0ELNS1_11target_archE4294967295ELNS1_3gpuE0ELNS1_3repE0EEENS1_30default_config_static_selectorELNS0_4arch9wavefront6targetE0EEEvT1_, .Lfunc_end1589-_ZN7rocprim17ROCPRIM_400000_NS6detail17trampoline_kernelINS0_14default_configENS1_27scan_by_key_config_selectorIixEEZZNS1_16scan_by_key_implILNS1_25lookback_scan_determinismE0ELb1ES3_N6thrust23THRUST_200600_302600_NS6detail15normal_iteratorINS9_10device_ptrIiEEEENSB_INSC_IxEEEESG_xNS9_4plusIvEENS9_8equal_toIvEExEE10hipError_tPvRmT2_T3_T4_T5_mT6_T7_P12ihipStream_tbENKUlT_T0_E_clISt17integral_constantIbLb1EES10_IbLb0EEEEDaSW_SX_EUlSW_E_NS1_11comp_targetILNS1_3genE0ELNS1_11target_archE4294967295ELNS1_3gpuE0ELNS1_3repE0EEENS1_30default_config_static_selectorELNS0_4arch9wavefront6targetE0EEEvT1_
                                        ; -- End function
	.set _ZN7rocprim17ROCPRIM_400000_NS6detail17trampoline_kernelINS0_14default_configENS1_27scan_by_key_config_selectorIixEEZZNS1_16scan_by_key_implILNS1_25lookback_scan_determinismE0ELb1ES3_N6thrust23THRUST_200600_302600_NS6detail15normal_iteratorINS9_10device_ptrIiEEEENSB_INSC_IxEEEESG_xNS9_4plusIvEENS9_8equal_toIvEExEE10hipError_tPvRmT2_T3_T4_T5_mT6_T7_P12ihipStream_tbENKUlT_T0_E_clISt17integral_constantIbLb1EES10_IbLb0EEEEDaSW_SX_EUlSW_E_NS1_11comp_targetILNS1_3genE0ELNS1_11target_archE4294967295ELNS1_3gpuE0ELNS1_3repE0EEENS1_30default_config_static_selectorELNS0_4arch9wavefront6targetE0EEEvT1_.num_vgpr, 0
	.set _ZN7rocprim17ROCPRIM_400000_NS6detail17trampoline_kernelINS0_14default_configENS1_27scan_by_key_config_selectorIixEEZZNS1_16scan_by_key_implILNS1_25lookback_scan_determinismE0ELb1ES3_N6thrust23THRUST_200600_302600_NS6detail15normal_iteratorINS9_10device_ptrIiEEEENSB_INSC_IxEEEESG_xNS9_4plusIvEENS9_8equal_toIvEExEE10hipError_tPvRmT2_T3_T4_T5_mT6_T7_P12ihipStream_tbENKUlT_T0_E_clISt17integral_constantIbLb1EES10_IbLb0EEEEDaSW_SX_EUlSW_E_NS1_11comp_targetILNS1_3genE0ELNS1_11target_archE4294967295ELNS1_3gpuE0ELNS1_3repE0EEENS1_30default_config_static_selectorELNS0_4arch9wavefront6targetE0EEEvT1_.num_agpr, 0
	.set _ZN7rocprim17ROCPRIM_400000_NS6detail17trampoline_kernelINS0_14default_configENS1_27scan_by_key_config_selectorIixEEZZNS1_16scan_by_key_implILNS1_25lookback_scan_determinismE0ELb1ES3_N6thrust23THRUST_200600_302600_NS6detail15normal_iteratorINS9_10device_ptrIiEEEENSB_INSC_IxEEEESG_xNS9_4plusIvEENS9_8equal_toIvEExEE10hipError_tPvRmT2_T3_T4_T5_mT6_T7_P12ihipStream_tbENKUlT_T0_E_clISt17integral_constantIbLb1EES10_IbLb0EEEEDaSW_SX_EUlSW_E_NS1_11comp_targetILNS1_3genE0ELNS1_11target_archE4294967295ELNS1_3gpuE0ELNS1_3repE0EEENS1_30default_config_static_selectorELNS0_4arch9wavefront6targetE0EEEvT1_.numbered_sgpr, 0
	.set _ZN7rocprim17ROCPRIM_400000_NS6detail17trampoline_kernelINS0_14default_configENS1_27scan_by_key_config_selectorIixEEZZNS1_16scan_by_key_implILNS1_25lookback_scan_determinismE0ELb1ES3_N6thrust23THRUST_200600_302600_NS6detail15normal_iteratorINS9_10device_ptrIiEEEENSB_INSC_IxEEEESG_xNS9_4plusIvEENS9_8equal_toIvEExEE10hipError_tPvRmT2_T3_T4_T5_mT6_T7_P12ihipStream_tbENKUlT_T0_E_clISt17integral_constantIbLb1EES10_IbLb0EEEEDaSW_SX_EUlSW_E_NS1_11comp_targetILNS1_3genE0ELNS1_11target_archE4294967295ELNS1_3gpuE0ELNS1_3repE0EEENS1_30default_config_static_selectorELNS0_4arch9wavefront6targetE0EEEvT1_.num_named_barrier, 0
	.set _ZN7rocprim17ROCPRIM_400000_NS6detail17trampoline_kernelINS0_14default_configENS1_27scan_by_key_config_selectorIixEEZZNS1_16scan_by_key_implILNS1_25lookback_scan_determinismE0ELb1ES3_N6thrust23THRUST_200600_302600_NS6detail15normal_iteratorINS9_10device_ptrIiEEEENSB_INSC_IxEEEESG_xNS9_4plusIvEENS9_8equal_toIvEExEE10hipError_tPvRmT2_T3_T4_T5_mT6_T7_P12ihipStream_tbENKUlT_T0_E_clISt17integral_constantIbLb1EES10_IbLb0EEEEDaSW_SX_EUlSW_E_NS1_11comp_targetILNS1_3genE0ELNS1_11target_archE4294967295ELNS1_3gpuE0ELNS1_3repE0EEENS1_30default_config_static_selectorELNS0_4arch9wavefront6targetE0EEEvT1_.private_seg_size, 0
	.set _ZN7rocprim17ROCPRIM_400000_NS6detail17trampoline_kernelINS0_14default_configENS1_27scan_by_key_config_selectorIixEEZZNS1_16scan_by_key_implILNS1_25lookback_scan_determinismE0ELb1ES3_N6thrust23THRUST_200600_302600_NS6detail15normal_iteratorINS9_10device_ptrIiEEEENSB_INSC_IxEEEESG_xNS9_4plusIvEENS9_8equal_toIvEExEE10hipError_tPvRmT2_T3_T4_T5_mT6_T7_P12ihipStream_tbENKUlT_T0_E_clISt17integral_constantIbLb1EES10_IbLb0EEEEDaSW_SX_EUlSW_E_NS1_11comp_targetILNS1_3genE0ELNS1_11target_archE4294967295ELNS1_3gpuE0ELNS1_3repE0EEENS1_30default_config_static_selectorELNS0_4arch9wavefront6targetE0EEEvT1_.uses_vcc, 0
	.set _ZN7rocprim17ROCPRIM_400000_NS6detail17trampoline_kernelINS0_14default_configENS1_27scan_by_key_config_selectorIixEEZZNS1_16scan_by_key_implILNS1_25lookback_scan_determinismE0ELb1ES3_N6thrust23THRUST_200600_302600_NS6detail15normal_iteratorINS9_10device_ptrIiEEEENSB_INSC_IxEEEESG_xNS9_4plusIvEENS9_8equal_toIvEExEE10hipError_tPvRmT2_T3_T4_T5_mT6_T7_P12ihipStream_tbENKUlT_T0_E_clISt17integral_constantIbLb1EES10_IbLb0EEEEDaSW_SX_EUlSW_E_NS1_11comp_targetILNS1_3genE0ELNS1_11target_archE4294967295ELNS1_3gpuE0ELNS1_3repE0EEENS1_30default_config_static_selectorELNS0_4arch9wavefront6targetE0EEEvT1_.uses_flat_scratch, 0
	.set _ZN7rocprim17ROCPRIM_400000_NS6detail17trampoline_kernelINS0_14default_configENS1_27scan_by_key_config_selectorIixEEZZNS1_16scan_by_key_implILNS1_25lookback_scan_determinismE0ELb1ES3_N6thrust23THRUST_200600_302600_NS6detail15normal_iteratorINS9_10device_ptrIiEEEENSB_INSC_IxEEEESG_xNS9_4plusIvEENS9_8equal_toIvEExEE10hipError_tPvRmT2_T3_T4_T5_mT6_T7_P12ihipStream_tbENKUlT_T0_E_clISt17integral_constantIbLb1EES10_IbLb0EEEEDaSW_SX_EUlSW_E_NS1_11comp_targetILNS1_3genE0ELNS1_11target_archE4294967295ELNS1_3gpuE0ELNS1_3repE0EEENS1_30default_config_static_selectorELNS0_4arch9wavefront6targetE0EEEvT1_.has_dyn_sized_stack, 0
	.set _ZN7rocprim17ROCPRIM_400000_NS6detail17trampoline_kernelINS0_14default_configENS1_27scan_by_key_config_selectorIixEEZZNS1_16scan_by_key_implILNS1_25lookback_scan_determinismE0ELb1ES3_N6thrust23THRUST_200600_302600_NS6detail15normal_iteratorINS9_10device_ptrIiEEEENSB_INSC_IxEEEESG_xNS9_4plusIvEENS9_8equal_toIvEExEE10hipError_tPvRmT2_T3_T4_T5_mT6_T7_P12ihipStream_tbENKUlT_T0_E_clISt17integral_constantIbLb1EES10_IbLb0EEEEDaSW_SX_EUlSW_E_NS1_11comp_targetILNS1_3genE0ELNS1_11target_archE4294967295ELNS1_3gpuE0ELNS1_3repE0EEENS1_30default_config_static_selectorELNS0_4arch9wavefront6targetE0EEEvT1_.has_recursion, 0
	.set _ZN7rocprim17ROCPRIM_400000_NS6detail17trampoline_kernelINS0_14default_configENS1_27scan_by_key_config_selectorIixEEZZNS1_16scan_by_key_implILNS1_25lookback_scan_determinismE0ELb1ES3_N6thrust23THRUST_200600_302600_NS6detail15normal_iteratorINS9_10device_ptrIiEEEENSB_INSC_IxEEEESG_xNS9_4plusIvEENS9_8equal_toIvEExEE10hipError_tPvRmT2_T3_T4_T5_mT6_T7_P12ihipStream_tbENKUlT_T0_E_clISt17integral_constantIbLb1EES10_IbLb0EEEEDaSW_SX_EUlSW_E_NS1_11comp_targetILNS1_3genE0ELNS1_11target_archE4294967295ELNS1_3gpuE0ELNS1_3repE0EEENS1_30default_config_static_selectorELNS0_4arch9wavefront6targetE0EEEvT1_.has_indirect_call, 0
	.section	.AMDGPU.csdata,"",@progbits
; Kernel info:
; codeLenInByte = 4
; TotalNumSgprs: 0
; NumVgprs: 0
; ScratchSize: 0
; MemoryBound: 0
; FloatMode: 240
; IeeeMode: 1
; LDSByteSize: 0 bytes/workgroup (compile time only)
; SGPRBlocks: 0
; VGPRBlocks: 0
; NumSGPRsForWavesPerEU: 1
; NumVGPRsForWavesPerEU: 1
; NamedBarCnt: 0
; Occupancy: 16
; WaveLimiterHint : 0
; COMPUTE_PGM_RSRC2:SCRATCH_EN: 0
; COMPUTE_PGM_RSRC2:USER_SGPR: 2
; COMPUTE_PGM_RSRC2:TRAP_HANDLER: 0
; COMPUTE_PGM_RSRC2:TGID_X_EN: 1
; COMPUTE_PGM_RSRC2:TGID_Y_EN: 0
; COMPUTE_PGM_RSRC2:TGID_Z_EN: 0
; COMPUTE_PGM_RSRC2:TIDIG_COMP_CNT: 0
	.section	.text._ZN7rocprim17ROCPRIM_400000_NS6detail17trampoline_kernelINS0_14default_configENS1_27scan_by_key_config_selectorIixEEZZNS1_16scan_by_key_implILNS1_25lookback_scan_determinismE0ELb1ES3_N6thrust23THRUST_200600_302600_NS6detail15normal_iteratorINS9_10device_ptrIiEEEENSB_INSC_IxEEEESG_xNS9_4plusIvEENS9_8equal_toIvEExEE10hipError_tPvRmT2_T3_T4_T5_mT6_T7_P12ihipStream_tbENKUlT_T0_E_clISt17integral_constantIbLb1EES10_IbLb0EEEEDaSW_SX_EUlSW_E_NS1_11comp_targetILNS1_3genE10ELNS1_11target_archE1201ELNS1_3gpuE5ELNS1_3repE0EEENS1_30default_config_static_selectorELNS0_4arch9wavefront6targetE0EEEvT1_,"axG",@progbits,_ZN7rocprim17ROCPRIM_400000_NS6detail17trampoline_kernelINS0_14default_configENS1_27scan_by_key_config_selectorIixEEZZNS1_16scan_by_key_implILNS1_25lookback_scan_determinismE0ELb1ES3_N6thrust23THRUST_200600_302600_NS6detail15normal_iteratorINS9_10device_ptrIiEEEENSB_INSC_IxEEEESG_xNS9_4plusIvEENS9_8equal_toIvEExEE10hipError_tPvRmT2_T3_T4_T5_mT6_T7_P12ihipStream_tbENKUlT_T0_E_clISt17integral_constantIbLb1EES10_IbLb0EEEEDaSW_SX_EUlSW_E_NS1_11comp_targetILNS1_3genE10ELNS1_11target_archE1201ELNS1_3gpuE5ELNS1_3repE0EEENS1_30default_config_static_selectorELNS0_4arch9wavefront6targetE0EEEvT1_,comdat
	.protected	_ZN7rocprim17ROCPRIM_400000_NS6detail17trampoline_kernelINS0_14default_configENS1_27scan_by_key_config_selectorIixEEZZNS1_16scan_by_key_implILNS1_25lookback_scan_determinismE0ELb1ES3_N6thrust23THRUST_200600_302600_NS6detail15normal_iteratorINS9_10device_ptrIiEEEENSB_INSC_IxEEEESG_xNS9_4plusIvEENS9_8equal_toIvEExEE10hipError_tPvRmT2_T3_T4_T5_mT6_T7_P12ihipStream_tbENKUlT_T0_E_clISt17integral_constantIbLb1EES10_IbLb0EEEEDaSW_SX_EUlSW_E_NS1_11comp_targetILNS1_3genE10ELNS1_11target_archE1201ELNS1_3gpuE5ELNS1_3repE0EEENS1_30default_config_static_selectorELNS0_4arch9wavefront6targetE0EEEvT1_ ; -- Begin function _ZN7rocprim17ROCPRIM_400000_NS6detail17trampoline_kernelINS0_14default_configENS1_27scan_by_key_config_selectorIixEEZZNS1_16scan_by_key_implILNS1_25lookback_scan_determinismE0ELb1ES3_N6thrust23THRUST_200600_302600_NS6detail15normal_iteratorINS9_10device_ptrIiEEEENSB_INSC_IxEEEESG_xNS9_4plusIvEENS9_8equal_toIvEExEE10hipError_tPvRmT2_T3_T4_T5_mT6_T7_P12ihipStream_tbENKUlT_T0_E_clISt17integral_constantIbLb1EES10_IbLb0EEEEDaSW_SX_EUlSW_E_NS1_11comp_targetILNS1_3genE10ELNS1_11target_archE1201ELNS1_3gpuE5ELNS1_3repE0EEENS1_30default_config_static_selectorELNS0_4arch9wavefront6targetE0EEEvT1_
	.globl	_ZN7rocprim17ROCPRIM_400000_NS6detail17trampoline_kernelINS0_14default_configENS1_27scan_by_key_config_selectorIixEEZZNS1_16scan_by_key_implILNS1_25lookback_scan_determinismE0ELb1ES3_N6thrust23THRUST_200600_302600_NS6detail15normal_iteratorINS9_10device_ptrIiEEEENSB_INSC_IxEEEESG_xNS9_4plusIvEENS9_8equal_toIvEExEE10hipError_tPvRmT2_T3_T4_T5_mT6_T7_P12ihipStream_tbENKUlT_T0_E_clISt17integral_constantIbLb1EES10_IbLb0EEEEDaSW_SX_EUlSW_E_NS1_11comp_targetILNS1_3genE10ELNS1_11target_archE1201ELNS1_3gpuE5ELNS1_3repE0EEENS1_30default_config_static_selectorELNS0_4arch9wavefront6targetE0EEEvT1_
	.p2align	8
	.type	_ZN7rocprim17ROCPRIM_400000_NS6detail17trampoline_kernelINS0_14default_configENS1_27scan_by_key_config_selectorIixEEZZNS1_16scan_by_key_implILNS1_25lookback_scan_determinismE0ELb1ES3_N6thrust23THRUST_200600_302600_NS6detail15normal_iteratorINS9_10device_ptrIiEEEENSB_INSC_IxEEEESG_xNS9_4plusIvEENS9_8equal_toIvEExEE10hipError_tPvRmT2_T3_T4_T5_mT6_T7_P12ihipStream_tbENKUlT_T0_E_clISt17integral_constantIbLb1EES10_IbLb0EEEEDaSW_SX_EUlSW_E_NS1_11comp_targetILNS1_3genE10ELNS1_11target_archE1201ELNS1_3gpuE5ELNS1_3repE0EEENS1_30default_config_static_selectorELNS0_4arch9wavefront6targetE0EEEvT1_,@function
_ZN7rocprim17ROCPRIM_400000_NS6detail17trampoline_kernelINS0_14default_configENS1_27scan_by_key_config_selectorIixEEZZNS1_16scan_by_key_implILNS1_25lookback_scan_determinismE0ELb1ES3_N6thrust23THRUST_200600_302600_NS6detail15normal_iteratorINS9_10device_ptrIiEEEENSB_INSC_IxEEEESG_xNS9_4plusIvEENS9_8equal_toIvEExEE10hipError_tPvRmT2_T3_T4_T5_mT6_T7_P12ihipStream_tbENKUlT_T0_E_clISt17integral_constantIbLb1EES10_IbLb0EEEEDaSW_SX_EUlSW_E_NS1_11comp_targetILNS1_3genE10ELNS1_11target_archE1201ELNS1_3gpuE5ELNS1_3repE0EEENS1_30default_config_static_selectorELNS0_4arch9wavefront6targetE0EEEvT1_: ; @_ZN7rocprim17ROCPRIM_400000_NS6detail17trampoline_kernelINS0_14default_configENS1_27scan_by_key_config_selectorIixEEZZNS1_16scan_by_key_implILNS1_25lookback_scan_determinismE0ELb1ES3_N6thrust23THRUST_200600_302600_NS6detail15normal_iteratorINS9_10device_ptrIiEEEENSB_INSC_IxEEEESG_xNS9_4plusIvEENS9_8equal_toIvEExEE10hipError_tPvRmT2_T3_T4_T5_mT6_T7_P12ihipStream_tbENKUlT_T0_E_clISt17integral_constantIbLb1EES10_IbLb0EEEEDaSW_SX_EUlSW_E_NS1_11comp_targetILNS1_3genE10ELNS1_11target_archE1201ELNS1_3gpuE5ELNS1_3repE0EEENS1_30default_config_static_selectorELNS0_4arch9wavefront6targetE0EEEvT1_
; %bb.0:
	.section	.rodata,"a",@progbits
	.p2align	6, 0x0
	.amdhsa_kernel _ZN7rocprim17ROCPRIM_400000_NS6detail17trampoline_kernelINS0_14default_configENS1_27scan_by_key_config_selectorIixEEZZNS1_16scan_by_key_implILNS1_25lookback_scan_determinismE0ELb1ES3_N6thrust23THRUST_200600_302600_NS6detail15normal_iteratorINS9_10device_ptrIiEEEENSB_INSC_IxEEEESG_xNS9_4plusIvEENS9_8equal_toIvEExEE10hipError_tPvRmT2_T3_T4_T5_mT6_T7_P12ihipStream_tbENKUlT_T0_E_clISt17integral_constantIbLb1EES10_IbLb0EEEEDaSW_SX_EUlSW_E_NS1_11comp_targetILNS1_3genE10ELNS1_11target_archE1201ELNS1_3gpuE5ELNS1_3repE0EEENS1_30default_config_static_selectorELNS0_4arch9wavefront6targetE0EEEvT1_
		.amdhsa_group_segment_fixed_size 0
		.amdhsa_private_segment_fixed_size 0
		.amdhsa_kernarg_size 136
		.amdhsa_user_sgpr_count 2
		.amdhsa_user_sgpr_dispatch_ptr 0
		.amdhsa_user_sgpr_queue_ptr 0
		.amdhsa_user_sgpr_kernarg_segment_ptr 1
		.amdhsa_user_sgpr_dispatch_id 0
		.amdhsa_user_sgpr_kernarg_preload_length 0
		.amdhsa_user_sgpr_kernarg_preload_offset 0
		.amdhsa_user_sgpr_private_segment_size 0
		.amdhsa_wavefront_size32 1
		.amdhsa_uses_dynamic_stack 0
		.amdhsa_enable_private_segment 0
		.amdhsa_system_sgpr_workgroup_id_x 1
		.amdhsa_system_sgpr_workgroup_id_y 0
		.amdhsa_system_sgpr_workgroup_id_z 0
		.amdhsa_system_sgpr_workgroup_info 0
		.amdhsa_system_vgpr_workitem_id 0
		.amdhsa_next_free_vgpr 1
		.amdhsa_next_free_sgpr 1
		.amdhsa_named_barrier_count 0
		.amdhsa_reserve_vcc 0
		.amdhsa_float_round_mode_32 0
		.amdhsa_float_round_mode_16_64 0
		.amdhsa_float_denorm_mode_32 3
		.amdhsa_float_denorm_mode_16_64 3
		.amdhsa_fp16_overflow 0
		.amdhsa_memory_ordered 1
		.amdhsa_forward_progress 1
		.amdhsa_inst_pref_size 0
		.amdhsa_round_robin_scheduling 0
		.amdhsa_exception_fp_ieee_invalid_op 0
		.amdhsa_exception_fp_denorm_src 0
		.amdhsa_exception_fp_ieee_div_zero 0
		.amdhsa_exception_fp_ieee_overflow 0
		.amdhsa_exception_fp_ieee_underflow 0
		.amdhsa_exception_fp_ieee_inexact 0
		.amdhsa_exception_int_div_zero 0
	.end_amdhsa_kernel
	.section	.text._ZN7rocprim17ROCPRIM_400000_NS6detail17trampoline_kernelINS0_14default_configENS1_27scan_by_key_config_selectorIixEEZZNS1_16scan_by_key_implILNS1_25lookback_scan_determinismE0ELb1ES3_N6thrust23THRUST_200600_302600_NS6detail15normal_iteratorINS9_10device_ptrIiEEEENSB_INSC_IxEEEESG_xNS9_4plusIvEENS9_8equal_toIvEExEE10hipError_tPvRmT2_T3_T4_T5_mT6_T7_P12ihipStream_tbENKUlT_T0_E_clISt17integral_constantIbLb1EES10_IbLb0EEEEDaSW_SX_EUlSW_E_NS1_11comp_targetILNS1_3genE10ELNS1_11target_archE1201ELNS1_3gpuE5ELNS1_3repE0EEENS1_30default_config_static_selectorELNS0_4arch9wavefront6targetE0EEEvT1_,"axG",@progbits,_ZN7rocprim17ROCPRIM_400000_NS6detail17trampoline_kernelINS0_14default_configENS1_27scan_by_key_config_selectorIixEEZZNS1_16scan_by_key_implILNS1_25lookback_scan_determinismE0ELb1ES3_N6thrust23THRUST_200600_302600_NS6detail15normal_iteratorINS9_10device_ptrIiEEEENSB_INSC_IxEEEESG_xNS9_4plusIvEENS9_8equal_toIvEExEE10hipError_tPvRmT2_T3_T4_T5_mT6_T7_P12ihipStream_tbENKUlT_T0_E_clISt17integral_constantIbLb1EES10_IbLb0EEEEDaSW_SX_EUlSW_E_NS1_11comp_targetILNS1_3genE10ELNS1_11target_archE1201ELNS1_3gpuE5ELNS1_3repE0EEENS1_30default_config_static_selectorELNS0_4arch9wavefront6targetE0EEEvT1_,comdat
.Lfunc_end1590:
	.size	_ZN7rocprim17ROCPRIM_400000_NS6detail17trampoline_kernelINS0_14default_configENS1_27scan_by_key_config_selectorIixEEZZNS1_16scan_by_key_implILNS1_25lookback_scan_determinismE0ELb1ES3_N6thrust23THRUST_200600_302600_NS6detail15normal_iteratorINS9_10device_ptrIiEEEENSB_INSC_IxEEEESG_xNS9_4plusIvEENS9_8equal_toIvEExEE10hipError_tPvRmT2_T3_T4_T5_mT6_T7_P12ihipStream_tbENKUlT_T0_E_clISt17integral_constantIbLb1EES10_IbLb0EEEEDaSW_SX_EUlSW_E_NS1_11comp_targetILNS1_3genE10ELNS1_11target_archE1201ELNS1_3gpuE5ELNS1_3repE0EEENS1_30default_config_static_selectorELNS0_4arch9wavefront6targetE0EEEvT1_, .Lfunc_end1590-_ZN7rocprim17ROCPRIM_400000_NS6detail17trampoline_kernelINS0_14default_configENS1_27scan_by_key_config_selectorIixEEZZNS1_16scan_by_key_implILNS1_25lookback_scan_determinismE0ELb1ES3_N6thrust23THRUST_200600_302600_NS6detail15normal_iteratorINS9_10device_ptrIiEEEENSB_INSC_IxEEEESG_xNS9_4plusIvEENS9_8equal_toIvEExEE10hipError_tPvRmT2_T3_T4_T5_mT6_T7_P12ihipStream_tbENKUlT_T0_E_clISt17integral_constantIbLb1EES10_IbLb0EEEEDaSW_SX_EUlSW_E_NS1_11comp_targetILNS1_3genE10ELNS1_11target_archE1201ELNS1_3gpuE5ELNS1_3repE0EEENS1_30default_config_static_selectorELNS0_4arch9wavefront6targetE0EEEvT1_
                                        ; -- End function
	.set _ZN7rocprim17ROCPRIM_400000_NS6detail17trampoline_kernelINS0_14default_configENS1_27scan_by_key_config_selectorIixEEZZNS1_16scan_by_key_implILNS1_25lookback_scan_determinismE0ELb1ES3_N6thrust23THRUST_200600_302600_NS6detail15normal_iteratorINS9_10device_ptrIiEEEENSB_INSC_IxEEEESG_xNS9_4plusIvEENS9_8equal_toIvEExEE10hipError_tPvRmT2_T3_T4_T5_mT6_T7_P12ihipStream_tbENKUlT_T0_E_clISt17integral_constantIbLb1EES10_IbLb0EEEEDaSW_SX_EUlSW_E_NS1_11comp_targetILNS1_3genE10ELNS1_11target_archE1201ELNS1_3gpuE5ELNS1_3repE0EEENS1_30default_config_static_selectorELNS0_4arch9wavefront6targetE0EEEvT1_.num_vgpr, 0
	.set _ZN7rocprim17ROCPRIM_400000_NS6detail17trampoline_kernelINS0_14default_configENS1_27scan_by_key_config_selectorIixEEZZNS1_16scan_by_key_implILNS1_25lookback_scan_determinismE0ELb1ES3_N6thrust23THRUST_200600_302600_NS6detail15normal_iteratorINS9_10device_ptrIiEEEENSB_INSC_IxEEEESG_xNS9_4plusIvEENS9_8equal_toIvEExEE10hipError_tPvRmT2_T3_T4_T5_mT6_T7_P12ihipStream_tbENKUlT_T0_E_clISt17integral_constantIbLb1EES10_IbLb0EEEEDaSW_SX_EUlSW_E_NS1_11comp_targetILNS1_3genE10ELNS1_11target_archE1201ELNS1_3gpuE5ELNS1_3repE0EEENS1_30default_config_static_selectorELNS0_4arch9wavefront6targetE0EEEvT1_.num_agpr, 0
	.set _ZN7rocprim17ROCPRIM_400000_NS6detail17trampoline_kernelINS0_14default_configENS1_27scan_by_key_config_selectorIixEEZZNS1_16scan_by_key_implILNS1_25lookback_scan_determinismE0ELb1ES3_N6thrust23THRUST_200600_302600_NS6detail15normal_iteratorINS9_10device_ptrIiEEEENSB_INSC_IxEEEESG_xNS9_4plusIvEENS9_8equal_toIvEExEE10hipError_tPvRmT2_T3_T4_T5_mT6_T7_P12ihipStream_tbENKUlT_T0_E_clISt17integral_constantIbLb1EES10_IbLb0EEEEDaSW_SX_EUlSW_E_NS1_11comp_targetILNS1_3genE10ELNS1_11target_archE1201ELNS1_3gpuE5ELNS1_3repE0EEENS1_30default_config_static_selectorELNS0_4arch9wavefront6targetE0EEEvT1_.numbered_sgpr, 0
	.set _ZN7rocprim17ROCPRIM_400000_NS6detail17trampoline_kernelINS0_14default_configENS1_27scan_by_key_config_selectorIixEEZZNS1_16scan_by_key_implILNS1_25lookback_scan_determinismE0ELb1ES3_N6thrust23THRUST_200600_302600_NS6detail15normal_iteratorINS9_10device_ptrIiEEEENSB_INSC_IxEEEESG_xNS9_4plusIvEENS9_8equal_toIvEExEE10hipError_tPvRmT2_T3_T4_T5_mT6_T7_P12ihipStream_tbENKUlT_T0_E_clISt17integral_constantIbLb1EES10_IbLb0EEEEDaSW_SX_EUlSW_E_NS1_11comp_targetILNS1_3genE10ELNS1_11target_archE1201ELNS1_3gpuE5ELNS1_3repE0EEENS1_30default_config_static_selectorELNS0_4arch9wavefront6targetE0EEEvT1_.num_named_barrier, 0
	.set _ZN7rocprim17ROCPRIM_400000_NS6detail17trampoline_kernelINS0_14default_configENS1_27scan_by_key_config_selectorIixEEZZNS1_16scan_by_key_implILNS1_25lookback_scan_determinismE0ELb1ES3_N6thrust23THRUST_200600_302600_NS6detail15normal_iteratorINS9_10device_ptrIiEEEENSB_INSC_IxEEEESG_xNS9_4plusIvEENS9_8equal_toIvEExEE10hipError_tPvRmT2_T3_T4_T5_mT6_T7_P12ihipStream_tbENKUlT_T0_E_clISt17integral_constantIbLb1EES10_IbLb0EEEEDaSW_SX_EUlSW_E_NS1_11comp_targetILNS1_3genE10ELNS1_11target_archE1201ELNS1_3gpuE5ELNS1_3repE0EEENS1_30default_config_static_selectorELNS0_4arch9wavefront6targetE0EEEvT1_.private_seg_size, 0
	.set _ZN7rocprim17ROCPRIM_400000_NS6detail17trampoline_kernelINS0_14default_configENS1_27scan_by_key_config_selectorIixEEZZNS1_16scan_by_key_implILNS1_25lookback_scan_determinismE0ELb1ES3_N6thrust23THRUST_200600_302600_NS6detail15normal_iteratorINS9_10device_ptrIiEEEENSB_INSC_IxEEEESG_xNS9_4plusIvEENS9_8equal_toIvEExEE10hipError_tPvRmT2_T3_T4_T5_mT6_T7_P12ihipStream_tbENKUlT_T0_E_clISt17integral_constantIbLb1EES10_IbLb0EEEEDaSW_SX_EUlSW_E_NS1_11comp_targetILNS1_3genE10ELNS1_11target_archE1201ELNS1_3gpuE5ELNS1_3repE0EEENS1_30default_config_static_selectorELNS0_4arch9wavefront6targetE0EEEvT1_.uses_vcc, 0
	.set _ZN7rocprim17ROCPRIM_400000_NS6detail17trampoline_kernelINS0_14default_configENS1_27scan_by_key_config_selectorIixEEZZNS1_16scan_by_key_implILNS1_25lookback_scan_determinismE0ELb1ES3_N6thrust23THRUST_200600_302600_NS6detail15normal_iteratorINS9_10device_ptrIiEEEENSB_INSC_IxEEEESG_xNS9_4plusIvEENS9_8equal_toIvEExEE10hipError_tPvRmT2_T3_T4_T5_mT6_T7_P12ihipStream_tbENKUlT_T0_E_clISt17integral_constantIbLb1EES10_IbLb0EEEEDaSW_SX_EUlSW_E_NS1_11comp_targetILNS1_3genE10ELNS1_11target_archE1201ELNS1_3gpuE5ELNS1_3repE0EEENS1_30default_config_static_selectorELNS0_4arch9wavefront6targetE0EEEvT1_.uses_flat_scratch, 0
	.set _ZN7rocprim17ROCPRIM_400000_NS6detail17trampoline_kernelINS0_14default_configENS1_27scan_by_key_config_selectorIixEEZZNS1_16scan_by_key_implILNS1_25lookback_scan_determinismE0ELb1ES3_N6thrust23THRUST_200600_302600_NS6detail15normal_iteratorINS9_10device_ptrIiEEEENSB_INSC_IxEEEESG_xNS9_4plusIvEENS9_8equal_toIvEExEE10hipError_tPvRmT2_T3_T4_T5_mT6_T7_P12ihipStream_tbENKUlT_T0_E_clISt17integral_constantIbLb1EES10_IbLb0EEEEDaSW_SX_EUlSW_E_NS1_11comp_targetILNS1_3genE10ELNS1_11target_archE1201ELNS1_3gpuE5ELNS1_3repE0EEENS1_30default_config_static_selectorELNS0_4arch9wavefront6targetE0EEEvT1_.has_dyn_sized_stack, 0
	.set _ZN7rocprim17ROCPRIM_400000_NS6detail17trampoline_kernelINS0_14default_configENS1_27scan_by_key_config_selectorIixEEZZNS1_16scan_by_key_implILNS1_25lookback_scan_determinismE0ELb1ES3_N6thrust23THRUST_200600_302600_NS6detail15normal_iteratorINS9_10device_ptrIiEEEENSB_INSC_IxEEEESG_xNS9_4plusIvEENS9_8equal_toIvEExEE10hipError_tPvRmT2_T3_T4_T5_mT6_T7_P12ihipStream_tbENKUlT_T0_E_clISt17integral_constantIbLb1EES10_IbLb0EEEEDaSW_SX_EUlSW_E_NS1_11comp_targetILNS1_3genE10ELNS1_11target_archE1201ELNS1_3gpuE5ELNS1_3repE0EEENS1_30default_config_static_selectorELNS0_4arch9wavefront6targetE0EEEvT1_.has_recursion, 0
	.set _ZN7rocprim17ROCPRIM_400000_NS6detail17trampoline_kernelINS0_14default_configENS1_27scan_by_key_config_selectorIixEEZZNS1_16scan_by_key_implILNS1_25lookback_scan_determinismE0ELb1ES3_N6thrust23THRUST_200600_302600_NS6detail15normal_iteratorINS9_10device_ptrIiEEEENSB_INSC_IxEEEESG_xNS9_4plusIvEENS9_8equal_toIvEExEE10hipError_tPvRmT2_T3_T4_T5_mT6_T7_P12ihipStream_tbENKUlT_T0_E_clISt17integral_constantIbLb1EES10_IbLb0EEEEDaSW_SX_EUlSW_E_NS1_11comp_targetILNS1_3genE10ELNS1_11target_archE1201ELNS1_3gpuE5ELNS1_3repE0EEENS1_30default_config_static_selectorELNS0_4arch9wavefront6targetE0EEEvT1_.has_indirect_call, 0
	.section	.AMDGPU.csdata,"",@progbits
; Kernel info:
; codeLenInByte = 0
; TotalNumSgprs: 0
; NumVgprs: 0
; ScratchSize: 0
; MemoryBound: 0
; FloatMode: 240
; IeeeMode: 1
; LDSByteSize: 0 bytes/workgroup (compile time only)
; SGPRBlocks: 0
; VGPRBlocks: 0
; NumSGPRsForWavesPerEU: 1
; NumVGPRsForWavesPerEU: 1
; NamedBarCnt: 0
; Occupancy: 16
; WaveLimiterHint : 0
; COMPUTE_PGM_RSRC2:SCRATCH_EN: 0
; COMPUTE_PGM_RSRC2:USER_SGPR: 2
; COMPUTE_PGM_RSRC2:TRAP_HANDLER: 0
; COMPUTE_PGM_RSRC2:TGID_X_EN: 1
; COMPUTE_PGM_RSRC2:TGID_Y_EN: 0
; COMPUTE_PGM_RSRC2:TGID_Z_EN: 0
; COMPUTE_PGM_RSRC2:TIDIG_COMP_CNT: 0
	.section	.text._ZN7rocprim17ROCPRIM_400000_NS6detail17trampoline_kernelINS0_14default_configENS1_27scan_by_key_config_selectorIixEEZZNS1_16scan_by_key_implILNS1_25lookback_scan_determinismE0ELb1ES3_N6thrust23THRUST_200600_302600_NS6detail15normal_iteratorINS9_10device_ptrIiEEEENSB_INSC_IxEEEESG_xNS9_4plusIvEENS9_8equal_toIvEExEE10hipError_tPvRmT2_T3_T4_T5_mT6_T7_P12ihipStream_tbENKUlT_T0_E_clISt17integral_constantIbLb1EES10_IbLb0EEEEDaSW_SX_EUlSW_E_NS1_11comp_targetILNS1_3genE5ELNS1_11target_archE942ELNS1_3gpuE9ELNS1_3repE0EEENS1_30default_config_static_selectorELNS0_4arch9wavefront6targetE0EEEvT1_,"axG",@progbits,_ZN7rocprim17ROCPRIM_400000_NS6detail17trampoline_kernelINS0_14default_configENS1_27scan_by_key_config_selectorIixEEZZNS1_16scan_by_key_implILNS1_25lookback_scan_determinismE0ELb1ES3_N6thrust23THRUST_200600_302600_NS6detail15normal_iteratorINS9_10device_ptrIiEEEENSB_INSC_IxEEEESG_xNS9_4plusIvEENS9_8equal_toIvEExEE10hipError_tPvRmT2_T3_T4_T5_mT6_T7_P12ihipStream_tbENKUlT_T0_E_clISt17integral_constantIbLb1EES10_IbLb0EEEEDaSW_SX_EUlSW_E_NS1_11comp_targetILNS1_3genE5ELNS1_11target_archE942ELNS1_3gpuE9ELNS1_3repE0EEENS1_30default_config_static_selectorELNS0_4arch9wavefront6targetE0EEEvT1_,comdat
	.protected	_ZN7rocprim17ROCPRIM_400000_NS6detail17trampoline_kernelINS0_14default_configENS1_27scan_by_key_config_selectorIixEEZZNS1_16scan_by_key_implILNS1_25lookback_scan_determinismE0ELb1ES3_N6thrust23THRUST_200600_302600_NS6detail15normal_iteratorINS9_10device_ptrIiEEEENSB_INSC_IxEEEESG_xNS9_4plusIvEENS9_8equal_toIvEExEE10hipError_tPvRmT2_T3_T4_T5_mT6_T7_P12ihipStream_tbENKUlT_T0_E_clISt17integral_constantIbLb1EES10_IbLb0EEEEDaSW_SX_EUlSW_E_NS1_11comp_targetILNS1_3genE5ELNS1_11target_archE942ELNS1_3gpuE9ELNS1_3repE0EEENS1_30default_config_static_selectorELNS0_4arch9wavefront6targetE0EEEvT1_ ; -- Begin function _ZN7rocprim17ROCPRIM_400000_NS6detail17trampoline_kernelINS0_14default_configENS1_27scan_by_key_config_selectorIixEEZZNS1_16scan_by_key_implILNS1_25lookback_scan_determinismE0ELb1ES3_N6thrust23THRUST_200600_302600_NS6detail15normal_iteratorINS9_10device_ptrIiEEEENSB_INSC_IxEEEESG_xNS9_4plusIvEENS9_8equal_toIvEExEE10hipError_tPvRmT2_T3_T4_T5_mT6_T7_P12ihipStream_tbENKUlT_T0_E_clISt17integral_constantIbLb1EES10_IbLb0EEEEDaSW_SX_EUlSW_E_NS1_11comp_targetILNS1_3genE5ELNS1_11target_archE942ELNS1_3gpuE9ELNS1_3repE0EEENS1_30default_config_static_selectorELNS0_4arch9wavefront6targetE0EEEvT1_
	.globl	_ZN7rocprim17ROCPRIM_400000_NS6detail17trampoline_kernelINS0_14default_configENS1_27scan_by_key_config_selectorIixEEZZNS1_16scan_by_key_implILNS1_25lookback_scan_determinismE0ELb1ES3_N6thrust23THRUST_200600_302600_NS6detail15normal_iteratorINS9_10device_ptrIiEEEENSB_INSC_IxEEEESG_xNS9_4plusIvEENS9_8equal_toIvEExEE10hipError_tPvRmT2_T3_T4_T5_mT6_T7_P12ihipStream_tbENKUlT_T0_E_clISt17integral_constantIbLb1EES10_IbLb0EEEEDaSW_SX_EUlSW_E_NS1_11comp_targetILNS1_3genE5ELNS1_11target_archE942ELNS1_3gpuE9ELNS1_3repE0EEENS1_30default_config_static_selectorELNS0_4arch9wavefront6targetE0EEEvT1_
	.p2align	8
	.type	_ZN7rocprim17ROCPRIM_400000_NS6detail17trampoline_kernelINS0_14default_configENS1_27scan_by_key_config_selectorIixEEZZNS1_16scan_by_key_implILNS1_25lookback_scan_determinismE0ELb1ES3_N6thrust23THRUST_200600_302600_NS6detail15normal_iteratorINS9_10device_ptrIiEEEENSB_INSC_IxEEEESG_xNS9_4plusIvEENS9_8equal_toIvEExEE10hipError_tPvRmT2_T3_T4_T5_mT6_T7_P12ihipStream_tbENKUlT_T0_E_clISt17integral_constantIbLb1EES10_IbLb0EEEEDaSW_SX_EUlSW_E_NS1_11comp_targetILNS1_3genE5ELNS1_11target_archE942ELNS1_3gpuE9ELNS1_3repE0EEENS1_30default_config_static_selectorELNS0_4arch9wavefront6targetE0EEEvT1_,@function
_ZN7rocprim17ROCPRIM_400000_NS6detail17trampoline_kernelINS0_14default_configENS1_27scan_by_key_config_selectorIixEEZZNS1_16scan_by_key_implILNS1_25lookback_scan_determinismE0ELb1ES3_N6thrust23THRUST_200600_302600_NS6detail15normal_iteratorINS9_10device_ptrIiEEEENSB_INSC_IxEEEESG_xNS9_4plusIvEENS9_8equal_toIvEExEE10hipError_tPvRmT2_T3_T4_T5_mT6_T7_P12ihipStream_tbENKUlT_T0_E_clISt17integral_constantIbLb1EES10_IbLb0EEEEDaSW_SX_EUlSW_E_NS1_11comp_targetILNS1_3genE5ELNS1_11target_archE942ELNS1_3gpuE9ELNS1_3repE0EEENS1_30default_config_static_selectorELNS0_4arch9wavefront6targetE0EEEvT1_: ; @_ZN7rocprim17ROCPRIM_400000_NS6detail17trampoline_kernelINS0_14default_configENS1_27scan_by_key_config_selectorIixEEZZNS1_16scan_by_key_implILNS1_25lookback_scan_determinismE0ELb1ES3_N6thrust23THRUST_200600_302600_NS6detail15normal_iteratorINS9_10device_ptrIiEEEENSB_INSC_IxEEEESG_xNS9_4plusIvEENS9_8equal_toIvEExEE10hipError_tPvRmT2_T3_T4_T5_mT6_T7_P12ihipStream_tbENKUlT_T0_E_clISt17integral_constantIbLb1EES10_IbLb0EEEEDaSW_SX_EUlSW_E_NS1_11comp_targetILNS1_3genE5ELNS1_11target_archE942ELNS1_3gpuE9ELNS1_3repE0EEENS1_30default_config_static_selectorELNS0_4arch9wavefront6targetE0EEEvT1_
; %bb.0:
	.section	.rodata,"a",@progbits
	.p2align	6, 0x0
	.amdhsa_kernel _ZN7rocprim17ROCPRIM_400000_NS6detail17trampoline_kernelINS0_14default_configENS1_27scan_by_key_config_selectorIixEEZZNS1_16scan_by_key_implILNS1_25lookback_scan_determinismE0ELb1ES3_N6thrust23THRUST_200600_302600_NS6detail15normal_iteratorINS9_10device_ptrIiEEEENSB_INSC_IxEEEESG_xNS9_4plusIvEENS9_8equal_toIvEExEE10hipError_tPvRmT2_T3_T4_T5_mT6_T7_P12ihipStream_tbENKUlT_T0_E_clISt17integral_constantIbLb1EES10_IbLb0EEEEDaSW_SX_EUlSW_E_NS1_11comp_targetILNS1_3genE5ELNS1_11target_archE942ELNS1_3gpuE9ELNS1_3repE0EEENS1_30default_config_static_selectorELNS0_4arch9wavefront6targetE0EEEvT1_
		.amdhsa_group_segment_fixed_size 0
		.amdhsa_private_segment_fixed_size 0
		.amdhsa_kernarg_size 136
		.amdhsa_user_sgpr_count 2
		.amdhsa_user_sgpr_dispatch_ptr 0
		.amdhsa_user_sgpr_queue_ptr 0
		.amdhsa_user_sgpr_kernarg_segment_ptr 1
		.amdhsa_user_sgpr_dispatch_id 0
		.amdhsa_user_sgpr_kernarg_preload_length 0
		.amdhsa_user_sgpr_kernarg_preload_offset 0
		.amdhsa_user_sgpr_private_segment_size 0
		.amdhsa_wavefront_size32 1
		.amdhsa_uses_dynamic_stack 0
		.amdhsa_enable_private_segment 0
		.amdhsa_system_sgpr_workgroup_id_x 1
		.amdhsa_system_sgpr_workgroup_id_y 0
		.amdhsa_system_sgpr_workgroup_id_z 0
		.amdhsa_system_sgpr_workgroup_info 0
		.amdhsa_system_vgpr_workitem_id 0
		.amdhsa_next_free_vgpr 1
		.amdhsa_next_free_sgpr 1
		.amdhsa_named_barrier_count 0
		.amdhsa_reserve_vcc 0
		.amdhsa_float_round_mode_32 0
		.amdhsa_float_round_mode_16_64 0
		.amdhsa_float_denorm_mode_32 3
		.amdhsa_float_denorm_mode_16_64 3
		.amdhsa_fp16_overflow 0
		.amdhsa_memory_ordered 1
		.amdhsa_forward_progress 1
		.amdhsa_inst_pref_size 0
		.amdhsa_round_robin_scheduling 0
		.amdhsa_exception_fp_ieee_invalid_op 0
		.amdhsa_exception_fp_denorm_src 0
		.amdhsa_exception_fp_ieee_div_zero 0
		.amdhsa_exception_fp_ieee_overflow 0
		.amdhsa_exception_fp_ieee_underflow 0
		.amdhsa_exception_fp_ieee_inexact 0
		.amdhsa_exception_int_div_zero 0
	.end_amdhsa_kernel
	.section	.text._ZN7rocprim17ROCPRIM_400000_NS6detail17trampoline_kernelINS0_14default_configENS1_27scan_by_key_config_selectorIixEEZZNS1_16scan_by_key_implILNS1_25lookback_scan_determinismE0ELb1ES3_N6thrust23THRUST_200600_302600_NS6detail15normal_iteratorINS9_10device_ptrIiEEEENSB_INSC_IxEEEESG_xNS9_4plusIvEENS9_8equal_toIvEExEE10hipError_tPvRmT2_T3_T4_T5_mT6_T7_P12ihipStream_tbENKUlT_T0_E_clISt17integral_constantIbLb1EES10_IbLb0EEEEDaSW_SX_EUlSW_E_NS1_11comp_targetILNS1_3genE5ELNS1_11target_archE942ELNS1_3gpuE9ELNS1_3repE0EEENS1_30default_config_static_selectorELNS0_4arch9wavefront6targetE0EEEvT1_,"axG",@progbits,_ZN7rocprim17ROCPRIM_400000_NS6detail17trampoline_kernelINS0_14default_configENS1_27scan_by_key_config_selectorIixEEZZNS1_16scan_by_key_implILNS1_25lookback_scan_determinismE0ELb1ES3_N6thrust23THRUST_200600_302600_NS6detail15normal_iteratorINS9_10device_ptrIiEEEENSB_INSC_IxEEEESG_xNS9_4plusIvEENS9_8equal_toIvEExEE10hipError_tPvRmT2_T3_T4_T5_mT6_T7_P12ihipStream_tbENKUlT_T0_E_clISt17integral_constantIbLb1EES10_IbLb0EEEEDaSW_SX_EUlSW_E_NS1_11comp_targetILNS1_3genE5ELNS1_11target_archE942ELNS1_3gpuE9ELNS1_3repE0EEENS1_30default_config_static_selectorELNS0_4arch9wavefront6targetE0EEEvT1_,comdat
.Lfunc_end1591:
	.size	_ZN7rocprim17ROCPRIM_400000_NS6detail17trampoline_kernelINS0_14default_configENS1_27scan_by_key_config_selectorIixEEZZNS1_16scan_by_key_implILNS1_25lookback_scan_determinismE0ELb1ES3_N6thrust23THRUST_200600_302600_NS6detail15normal_iteratorINS9_10device_ptrIiEEEENSB_INSC_IxEEEESG_xNS9_4plusIvEENS9_8equal_toIvEExEE10hipError_tPvRmT2_T3_T4_T5_mT6_T7_P12ihipStream_tbENKUlT_T0_E_clISt17integral_constantIbLb1EES10_IbLb0EEEEDaSW_SX_EUlSW_E_NS1_11comp_targetILNS1_3genE5ELNS1_11target_archE942ELNS1_3gpuE9ELNS1_3repE0EEENS1_30default_config_static_selectorELNS0_4arch9wavefront6targetE0EEEvT1_, .Lfunc_end1591-_ZN7rocprim17ROCPRIM_400000_NS6detail17trampoline_kernelINS0_14default_configENS1_27scan_by_key_config_selectorIixEEZZNS1_16scan_by_key_implILNS1_25lookback_scan_determinismE0ELb1ES3_N6thrust23THRUST_200600_302600_NS6detail15normal_iteratorINS9_10device_ptrIiEEEENSB_INSC_IxEEEESG_xNS9_4plusIvEENS9_8equal_toIvEExEE10hipError_tPvRmT2_T3_T4_T5_mT6_T7_P12ihipStream_tbENKUlT_T0_E_clISt17integral_constantIbLb1EES10_IbLb0EEEEDaSW_SX_EUlSW_E_NS1_11comp_targetILNS1_3genE5ELNS1_11target_archE942ELNS1_3gpuE9ELNS1_3repE0EEENS1_30default_config_static_selectorELNS0_4arch9wavefront6targetE0EEEvT1_
                                        ; -- End function
	.set _ZN7rocprim17ROCPRIM_400000_NS6detail17trampoline_kernelINS0_14default_configENS1_27scan_by_key_config_selectorIixEEZZNS1_16scan_by_key_implILNS1_25lookback_scan_determinismE0ELb1ES3_N6thrust23THRUST_200600_302600_NS6detail15normal_iteratorINS9_10device_ptrIiEEEENSB_INSC_IxEEEESG_xNS9_4plusIvEENS9_8equal_toIvEExEE10hipError_tPvRmT2_T3_T4_T5_mT6_T7_P12ihipStream_tbENKUlT_T0_E_clISt17integral_constantIbLb1EES10_IbLb0EEEEDaSW_SX_EUlSW_E_NS1_11comp_targetILNS1_3genE5ELNS1_11target_archE942ELNS1_3gpuE9ELNS1_3repE0EEENS1_30default_config_static_selectorELNS0_4arch9wavefront6targetE0EEEvT1_.num_vgpr, 0
	.set _ZN7rocprim17ROCPRIM_400000_NS6detail17trampoline_kernelINS0_14default_configENS1_27scan_by_key_config_selectorIixEEZZNS1_16scan_by_key_implILNS1_25lookback_scan_determinismE0ELb1ES3_N6thrust23THRUST_200600_302600_NS6detail15normal_iteratorINS9_10device_ptrIiEEEENSB_INSC_IxEEEESG_xNS9_4plusIvEENS9_8equal_toIvEExEE10hipError_tPvRmT2_T3_T4_T5_mT6_T7_P12ihipStream_tbENKUlT_T0_E_clISt17integral_constantIbLb1EES10_IbLb0EEEEDaSW_SX_EUlSW_E_NS1_11comp_targetILNS1_3genE5ELNS1_11target_archE942ELNS1_3gpuE9ELNS1_3repE0EEENS1_30default_config_static_selectorELNS0_4arch9wavefront6targetE0EEEvT1_.num_agpr, 0
	.set _ZN7rocprim17ROCPRIM_400000_NS6detail17trampoline_kernelINS0_14default_configENS1_27scan_by_key_config_selectorIixEEZZNS1_16scan_by_key_implILNS1_25lookback_scan_determinismE0ELb1ES3_N6thrust23THRUST_200600_302600_NS6detail15normal_iteratorINS9_10device_ptrIiEEEENSB_INSC_IxEEEESG_xNS9_4plusIvEENS9_8equal_toIvEExEE10hipError_tPvRmT2_T3_T4_T5_mT6_T7_P12ihipStream_tbENKUlT_T0_E_clISt17integral_constantIbLb1EES10_IbLb0EEEEDaSW_SX_EUlSW_E_NS1_11comp_targetILNS1_3genE5ELNS1_11target_archE942ELNS1_3gpuE9ELNS1_3repE0EEENS1_30default_config_static_selectorELNS0_4arch9wavefront6targetE0EEEvT1_.numbered_sgpr, 0
	.set _ZN7rocprim17ROCPRIM_400000_NS6detail17trampoline_kernelINS0_14default_configENS1_27scan_by_key_config_selectorIixEEZZNS1_16scan_by_key_implILNS1_25lookback_scan_determinismE0ELb1ES3_N6thrust23THRUST_200600_302600_NS6detail15normal_iteratorINS9_10device_ptrIiEEEENSB_INSC_IxEEEESG_xNS9_4plusIvEENS9_8equal_toIvEExEE10hipError_tPvRmT2_T3_T4_T5_mT6_T7_P12ihipStream_tbENKUlT_T0_E_clISt17integral_constantIbLb1EES10_IbLb0EEEEDaSW_SX_EUlSW_E_NS1_11comp_targetILNS1_3genE5ELNS1_11target_archE942ELNS1_3gpuE9ELNS1_3repE0EEENS1_30default_config_static_selectorELNS0_4arch9wavefront6targetE0EEEvT1_.num_named_barrier, 0
	.set _ZN7rocprim17ROCPRIM_400000_NS6detail17trampoline_kernelINS0_14default_configENS1_27scan_by_key_config_selectorIixEEZZNS1_16scan_by_key_implILNS1_25lookback_scan_determinismE0ELb1ES3_N6thrust23THRUST_200600_302600_NS6detail15normal_iteratorINS9_10device_ptrIiEEEENSB_INSC_IxEEEESG_xNS9_4plusIvEENS9_8equal_toIvEExEE10hipError_tPvRmT2_T3_T4_T5_mT6_T7_P12ihipStream_tbENKUlT_T0_E_clISt17integral_constantIbLb1EES10_IbLb0EEEEDaSW_SX_EUlSW_E_NS1_11comp_targetILNS1_3genE5ELNS1_11target_archE942ELNS1_3gpuE9ELNS1_3repE0EEENS1_30default_config_static_selectorELNS0_4arch9wavefront6targetE0EEEvT1_.private_seg_size, 0
	.set _ZN7rocprim17ROCPRIM_400000_NS6detail17trampoline_kernelINS0_14default_configENS1_27scan_by_key_config_selectorIixEEZZNS1_16scan_by_key_implILNS1_25lookback_scan_determinismE0ELb1ES3_N6thrust23THRUST_200600_302600_NS6detail15normal_iteratorINS9_10device_ptrIiEEEENSB_INSC_IxEEEESG_xNS9_4plusIvEENS9_8equal_toIvEExEE10hipError_tPvRmT2_T3_T4_T5_mT6_T7_P12ihipStream_tbENKUlT_T0_E_clISt17integral_constantIbLb1EES10_IbLb0EEEEDaSW_SX_EUlSW_E_NS1_11comp_targetILNS1_3genE5ELNS1_11target_archE942ELNS1_3gpuE9ELNS1_3repE0EEENS1_30default_config_static_selectorELNS0_4arch9wavefront6targetE0EEEvT1_.uses_vcc, 0
	.set _ZN7rocprim17ROCPRIM_400000_NS6detail17trampoline_kernelINS0_14default_configENS1_27scan_by_key_config_selectorIixEEZZNS1_16scan_by_key_implILNS1_25lookback_scan_determinismE0ELb1ES3_N6thrust23THRUST_200600_302600_NS6detail15normal_iteratorINS9_10device_ptrIiEEEENSB_INSC_IxEEEESG_xNS9_4plusIvEENS9_8equal_toIvEExEE10hipError_tPvRmT2_T3_T4_T5_mT6_T7_P12ihipStream_tbENKUlT_T0_E_clISt17integral_constantIbLb1EES10_IbLb0EEEEDaSW_SX_EUlSW_E_NS1_11comp_targetILNS1_3genE5ELNS1_11target_archE942ELNS1_3gpuE9ELNS1_3repE0EEENS1_30default_config_static_selectorELNS0_4arch9wavefront6targetE0EEEvT1_.uses_flat_scratch, 0
	.set _ZN7rocprim17ROCPRIM_400000_NS6detail17trampoline_kernelINS0_14default_configENS1_27scan_by_key_config_selectorIixEEZZNS1_16scan_by_key_implILNS1_25lookback_scan_determinismE0ELb1ES3_N6thrust23THRUST_200600_302600_NS6detail15normal_iteratorINS9_10device_ptrIiEEEENSB_INSC_IxEEEESG_xNS9_4plusIvEENS9_8equal_toIvEExEE10hipError_tPvRmT2_T3_T4_T5_mT6_T7_P12ihipStream_tbENKUlT_T0_E_clISt17integral_constantIbLb1EES10_IbLb0EEEEDaSW_SX_EUlSW_E_NS1_11comp_targetILNS1_3genE5ELNS1_11target_archE942ELNS1_3gpuE9ELNS1_3repE0EEENS1_30default_config_static_selectorELNS0_4arch9wavefront6targetE0EEEvT1_.has_dyn_sized_stack, 0
	.set _ZN7rocprim17ROCPRIM_400000_NS6detail17trampoline_kernelINS0_14default_configENS1_27scan_by_key_config_selectorIixEEZZNS1_16scan_by_key_implILNS1_25lookback_scan_determinismE0ELb1ES3_N6thrust23THRUST_200600_302600_NS6detail15normal_iteratorINS9_10device_ptrIiEEEENSB_INSC_IxEEEESG_xNS9_4plusIvEENS9_8equal_toIvEExEE10hipError_tPvRmT2_T3_T4_T5_mT6_T7_P12ihipStream_tbENKUlT_T0_E_clISt17integral_constantIbLb1EES10_IbLb0EEEEDaSW_SX_EUlSW_E_NS1_11comp_targetILNS1_3genE5ELNS1_11target_archE942ELNS1_3gpuE9ELNS1_3repE0EEENS1_30default_config_static_selectorELNS0_4arch9wavefront6targetE0EEEvT1_.has_recursion, 0
	.set _ZN7rocprim17ROCPRIM_400000_NS6detail17trampoline_kernelINS0_14default_configENS1_27scan_by_key_config_selectorIixEEZZNS1_16scan_by_key_implILNS1_25lookback_scan_determinismE0ELb1ES3_N6thrust23THRUST_200600_302600_NS6detail15normal_iteratorINS9_10device_ptrIiEEEENSB_INSC_IxEEEESG_xNS9_4plusIvEENS9_8equal_toIvEExEE10hipError_tPvRmT2_T3_T4_T5_mT6_T7_P12ihipStream_tbENKUlT_T0_E_clISt17integral_constantIbLb1EES10_IbLb0EEEEDaSW_SX_EUlSW_E_NS1_11comp_targetILNS1_3genE5ELNS1_11target_archE942ELNS1_3gpuE9ELNS1_3repE0EEENS1_30default_config_static_selectorELNS0_4arch9wavefront6targetE0EEEvT1_.has_indirect_call, 0
	.section	.AMDGPU.csdata,"",@progbits
; Kernel info:
; codeLenInByte = 0
; TotalNumSgprs: 0
; NumVgprs: 0
; ScratchSize: 0
; MemoryBound: 0
; FloatMode: 240
; IeeeMode: 1
; LDSByteSize: 0 bytes/workgroup (compile time only)
; SGPRBlocks: 0
; VGPRBlocks: 0
; NumSGPRsForWavesPerEU: 1
; NumVGPRsForWavesPerEU: 1
; NamedBarCnt: 0
; Occupancy: 16
; WaveLimiterHint : 0
; COMPUTE_PGM_RSRC2:SCRATCH_EN: 0
; COMPUTE_PGM_RSRC2:USER_SGPR: 2
; COMPUTE_PGM_RSRC2:TRAP_HANDLER: 0
; COMPUTE_PGM_RSRC2:TGID_X_EN: 1
; COMPUTE_PGM_RSRC2:TGID_Y_EN: 0
; COMPUTE_PGM_RSRC2:TGID_Z_EN: 0
; COMPUTE_PGM_RSRC2:TIDIG_COMP_CNT: 0
	.section	.text._ZN7rocprim17ROCPRIM_400000_NS6detail17trampoline_kernelINS0_14default_configENS1_27scan_by_key_config_selectorIixEEZZNS1_16scan_by_key_implILNS1_25lookback_scan_determinismE0ELb1ES3_N6thrust23THRUST_200600_302600_NS6detail15normal_iteratorINS9_10device_ptrIiEEEENSB_INSC_IxEEEESG_xNS9_4plusIvEENS9_8equal_toIvEExEE10hipError_tPvRmT2_T3_T4_T5_mT6_T7_P12ihipStream_tbENKUlT_T0_E_clISt17integral_constantIbLb1EES10_IbLb0EEEEDaSW_SX_EUlSW_E_NS1_11comp_targetILNS1_3genE4ELNS1_11target_archE910ELNS1_3gpuE8ELNS1_3repE0EEENS1_30default_config_static_selectorELNS0_4arch9wavefront6targetE0EEEvT1_,"axG",@progbits,_ZN7rocprim17ROCPRIM_400000_NS6detail17trampoline_kernelINS0_14default_configENS1_27scan_by_key_config_selectorIixEEZZNS1_16scan_by_key_implILNS1_25lookback_scan_determinismE0ELb1ES3_N6thrust23THRUST_200600_302600_NS6detail15normal_iteratorINS9_10device_ptrIiEEEENSB_INSC_IxEEEESG_xNS9_4plusIvEENS9_8equal_toIvEExEE10hipError_tPvRmT2_T3_T4_T5_mT6_T7_P12ihipStream_tbENKUlT_T0_E_clISt17integral_constantIbLb1EES10_IbLb0EEEEDaSW_SX_EUlSW_E_NS1_11comp_targetILNS1_3genE4ELNS1_11target_archE910ELNS1_3gpuE8ELNS1_3repE0EEENS1_30default_config_static_selectorELNS0_4arch9wavefront6targetE0EEEvT1_,comdat
	.protected	_ZN7rocprim17ROCPRIM_400000_NS6detail17trampoline_kernelINS0_14default_configENS1_27scan_by_key_config_selectorIixEEZZNS1_16scan_by_key_implILNS1_25lookback_scan_determinismE0ELb1ES3_N6thrust23THRUST_200600_302600_NS6detail15normal_iteratorINS9_10device_ptrIiEEEENSB_INSC_IxEEEESG_xNS9_4plusIvEENS9_8equal_toIvEExEE10hipError_tPvRmT2_T3_T4_T5_mT6_T7_P12ihipStream_tbENKUlT_T0_E_clISt17integral_constantIbLb1EES10_IbLb0EEEEDaSW_SX_EUlSW_E_NS1_11comp_targetILNS1_3genE4ELNS1_11target_archE910ELNS1_3gpuE8ELNS1_3repE0EEENS1_30default_config_static_selectorELNS0_4arch9wavefront6targetE0EEEvT1_ ; -- Begin function _ZN7rocprim17ROCPRIM_400000_NS6detail17trampoline_kernelINS0_14default_configENS1_27scan_by_key_config_selectorIixEEZZNS1_16scan_by_key_implILNS1_25lookback_scan_determinismE0ELb1ES3_N6thrust23THRUST_200600_302600_NS6detail15normal_iteratorINS9_10device_ptrIiEEEENSB_INSC_IxEEEESG_xNS9_4plusIvEENS9_8equal_toIvEExEE10hipError_tPvRmT2_T3_T4_T5_mT6_T7_P12ihipStream_tbENKUlT_T0_E_clISt17integral_constantIbLb1EES10_IbLb0EEEEDaSW_SX_EUlSW_E_NS1_11comp_targetILNS1_3genE4ELNS1_11target_archE910ELNS1_3gpuE8ELNS1_3repE0EEENS1_30default_config_static_selectorELNS0_4arch9wavefront6targetE0EEEvT1_
	.globl	_ZN7rocprim17ROCPRIM_400000_NS6detail17trampoline_kernelINS0_14default_configENS1_27scan_by_key_config_selectorIixEEZZNS1_16scan_by_key_implILNS1_25lookback_scan_determinismE0ELb1ES3_N6thrust23THRUST_200600_302600_NS6detail15normal_iteratorINS9_10device_ptrIiEEEENSB_INSC_IxEEEESG_xNS9_4plusIvEENS9_8equal_toIvEExEE10hipError_tPvRmT2_T3_T4_T5_mT6_T7_P12ihipStream_tbENKUlT_T0_E_clISt17integral_constantIbLb1EES10_IbLb0EEEEDaSW_SX_EUlSW_E_NS1_11comp_targetILNS1_3genE4ELNS1_11target_archE910ELNS1_3gpuE8ELNS1_3repE0EEENS1_30default_config_static_selectorELNS0_4arch9wavefront6targetE0EEEvT1_
	.p2align	8
	.type	_ZN7rocprim17ROCPRIM_400000_NS6detail17trampoline_kernelINS0_14default_configENS1_27scan_by_key_config_selectorIixEEZZNS1_16scan_by_key_implILNS1_25lookback_scan_determinismE0ELb1ES3_N6thrust23THRUST_200600_302600_NS6detail15normal_iteratorINS9_10device_ptrIiEEEENSB_INSC_IxEEEESG_xNS9_4plusIvEENS9_8equal_toIvEExEE10hipError_tPvRmT2_T3_T4_T5_mT6_T7_P12ihipStream_tbENKUlT_T0_E_clISt17integral_constantIbLb1EES10_IbLb0EEEEDaSW_SX_EUlSW_E_NS1_11comp_targetILNS1_3genE4ELNS1_11target_archE910ELNS1_3gpuE8ELNS1_3repE0EEENS1_30default_config_static_selectorELNS0_4arch9wavefront6targetE0EEEvT1_,@function
_ZN7rocprim17ROCPRIM_400000_NS6detail17trampoline_kernelINS0_14default_configENS1_27scan_by_key_config_selectorIixEEZZNS1_16scan_by_key_implILNS1_25lookback_scan_determinismE0ELb1ES3_N6thrust23THRUST_200600_302600_NS6detail15normal_iteratorINS9_10device_ptrIiEEEENSB_INSC_IxEEEESG_xNS9_4plusIvEENS9_8equal_toIvEExEE10hipError_tPvRmT2_T3_T4_T5_mT6_T7_P12ihipStream_tbENKUlT_T0_E_clISt17integral_constantIbLb1EES10_IbLb0EEEEDaSW_SX_EUlSW_E_NS1_11comp_targetILNS1_3genE4ELNS1_11target_archE910ELNS1_3gpuE8ELNS1_3repE0EEENS1_30default_config_static_selectorELNS0_4arch9wavefront6targetE0EEEvT1_: ; @_ZN7rocprim17ROCPRIM_400000_NS6detail17trampoline_kernelINS0_14default_configENS1_27scan_by_key_config_selectorIixEEZZNS1_16scan_by_key_implILNS1_25lookback_scan_determinismE0ELb1ES3_N6thrust23THRUST_200600_302600_NS6detail15normal_iteratorINS9_10device_ptrIiEEEENSB_INSC_IxEEEESG_xNS9_4plusIvEENS9_8equal_toIvEExEE10hipError_tPvRmT2_T3_T4_T5_mT6_T7_P12ihipStream_tbENKUlT_T0_E_clISt17integral_constantIbLb1EES10_IbLb0EEEEDaSW_SX_EUlSW_E_NS1_11comp_targetILNS1_3genE4ELNS1_11target_archE910ELNS1_3gpuE8ELNS1_3repE0EEENS1_30default_config_static_selectorELNS0_4arch9wavefront6targetE0EEEvT1_
; %bb.0:
	.section	.rodata,"a",@progbits
	.p2align	6, 0x0
	.amdhsa_kernel _ZN7rocprim17ROCPRIM_400000_NS6detail17trampoline_kernelINS0_14default_configENS1_27scan_by_key_config_selectorIixEEZZNS1_16scan_by_key_implILNS1_25lookback_scan_determinismE0ELb1ES3_N6thrust23THRUST_200600_302600_NS6detail15normal_iteratorINS9_10device_ptrIiEEEENSB_INSC_IxEEEESG_xNS9_4plusIvEENS9_8equal_toIvEExEE10hipError_tPvRmT2_T3_T4_T5_mT6_T7_P12ihipStream_tbENKUlT_T0_E_clISt17integral_constantIbLb1EES10_IbLb0EEEEDaSW_SX_EUlSW_E_NS1_11comp_targetILNS1_3genE4ELNS1_11target_archE910ELNS1_3gpuE8ELNS1_3repE0EEENS1_30default_config_static_selectorELNS0_4arch9wavefront6targetE0EEEvT1_
		.amdhsa_group_segment_fixed_size 0
		.amdhsa_private_segment_fixed_size 0
		.amdhsa_kernarg_size 136
		.amdhsa_user_sgpr_count 2
		.amdhsa_user_sgpr_dispatch_ptr 0
		.amdhsa_user_sgpr_queue_ptr 0
		.amdhsa_user_sgpr_kernarg_segment_ptr 1
		.amdhsa_user_sgpr_dispatch_id 0
		.amdhsa_user_sgpr_kernarg_preload_length 0
		.amdhsa_user_sgpr_kernarg_preload_offset 0
		.amdhsa_user_sgpr_private_segment_size 0
		.amdhsa_wavefront_size32 1
		.amdhsa_uses_dynamic_stack 0
		.amdhsa_enable_private_segment 0
		.amdhsa_system_sgpr_workgroup_id_x 1
		.amdhsa_system_sgpr_workgroup_id_y 0
		.amdhsa_system_sgpr_workgroup_id_z 0
		.amdhsa_system_sgpr_workgroup_info 0
		.amdhsa_system_vgpr_workitem_id 0
		.amdhsa_next_free_vgpr 1
		.amdhsa_next_free_sgpr 1
		.amdhsa_named_barrier_count 0
		.amdhsa_reserve_vcc 0
		.amdhsa_float_round_mode_32 0
		.amdhsa_float_round_mode_16_64 0
		.amdhsa_float_denorm_mode_32 3
		.amdhsa_float_denorm_mode_16_64 3
		.amdhsa_fp16_overflow 0
		.amdhsa_memory_ordered 1
		.amdhsa_forward_progress 1
		.amdhsa_inst_pref_size 0
		.amdhsa_round_robin_scheduling 0
		.amdhsa_exception_fp_ieee_invalid_op 0
		.amdhsa_exception_fp_denorm_src 0
		.amdhsa_exception_fp_ieee_div_zero 0
		.amdhsa_exception_fp_ieee_overflow 0
		.amdhsa_exception_fp_ieee_underflow 0
		.amdhsa_exception_fp_ieee_inexact 0
		.amdhsa_exception_int_div_zero 0
	.end_amdhsa_kernel
	.section	.text._ZN7rocprim17ROCPRIM_400000_NS6detail17trampoline_kernelINS0_14default_configENS1_27scan_by_key_config_selectorIixEEZZNS1_16scan_by_key_implILNS1_25lookback_scan_determinismE0ELb1ES3_N6thrust23THRUST_200600_302600_NS6detail15normal_iteratorINS9_10device_ptrIiEEEENSB_INSC_IxEEEESG_xNS9_4plusIvEENS9_8equal_toIvEExEE10hipError_tPvRmT2_T3_T4_T5_mT6_T7_P12ihipStream_tbENKUlT_T0_E_clISt17integral_constantIbLb1EES10_IbLb0EEEEDaSW_SX_EUlSW_E_NS1_11comp_targetILNS1_3genE4ELNS1_11target_archE910ELNS1_3gpuE8ELNS1_3repE0EEENS1_30default_config_static_selectorELNS0_4arch9wavefront6targetE0EEEvT1_,"axG",@progbits,_ZN7rocprim17ROCPRIM_400000_NS6detail17trampoline_kernelINS0_14default_configENS1_27scan_by_key_config_selectorIixEEZZNS1_16scan_by_key_implILNS1_25lookback_scan_determinismE0ELb1ES3_N6thrust23THRUST_200600_302600_NS6detail15normal_iteratorINS9_10device_ptrIiEEEENSB_INSC_IxEEEESG_xNS9_4plusIvEENS9_8equal_toIvEExEE10hipError_tPvRmT2_T3_T4_T5_mT6_T7_P12ihipStream_tbENKUlT_T0_E_clISt17integral_constantIbLb1EES10_IbLb0EEEEDaSW_SX_EUlSW_E_NS1_11comp_targetILNS1_3genE4ELNS1_11target_archE910ELNS1_3gpuE8ELNS1_3repE0EEENS1_30default_config_static_selectorELNS0_4arch9wavefront6targetE0EEEvT1_,comdat
.Lfunc_end1592:
	.size	_ZN7rocprim17ROCPRIM_400000_NS6detail17trampoline_kernelINS0_14default_configENS1_27scan_by_key_config_selectorIixEEZZNS1_16scan_by_key_implILNS1_25lookback_scan_determinismE0ELb1ES3_N6thrust23THRUST_200600_302600_NS6detail15normal_iteratorINS9_10device_ptrIiEEEENSB_INSC_IxEEEESG_xNS9_4plusIvEENS9_8equal_toIvEExEE10hipError_tPvRmT2_T3_T4_T5_mT6_T7_P12ihipStream_tbENKUlT_T0_E_clISt17integral_constantIbLb1EES10_IbLb0EEEEDaSW_SX_EUlSW_E_NS1_11comp_targetILNS1_3genE4ELNS1_11target_archE910ELNS1_3gpuE8ELNS1_3repE0EEENS1_30default_config_static_selectorELNS0_4arch9wavefront6targetE0EEEvT1_, .Lfunc_end1592-_ZN7rocprim17ROCPRIM_400000_NS6detail17trampoline_kernelINS0_14default_configENS1_27scan_by_key_config_selectorIixEEZZNS1_16scan_by_key_implILNS1_25lookback_scan_determinismE0ELb1ES3_N6thrust23THRUST_200600_302600_NS6detail15normal_iteratorINS9_10device_ptrIiEEEENSB_INSC_IxEEEESG_xNS9_4plusIvEENS9_8equal_toIvEExEE10hipError_tPvRmT2_T3_T4_T5_mT6_T7_P12ihipStream_tbENKUlT_T0_E_clISt17integral_constantIbLb1EES10_IbLb0EEEEDaSW_SX_EUlSW_E_NS1_11comp_targetILNS1_3genE4ELNS1_11target_archE910ELNS1_3gpuE8ELNS1_3repE0EEENS1_30default_config_static_selectorELNS0_4arch9wavefront6targetE0EEEvT1_
                                        ; -- End function
	.set _ZN7rocprim17ROCPRIM_400000_NS6detail17trampoline_kernelINS0_14default_configENS1_27scan_by_key_config_selectorIixEEZZNS1_16scan_by_key_implILNS1_25lookback_scan_determinismE0ELb1ES3_N6thrust23THRUST_200600_302600_NS6detail15normal_iteratorINS9_10device_ptrIiEEEENSB_INSC_IxEEEESG_xNS9_4plusIvEENS9_8equal_toIvEExEE10hipError_tPvRmT2_T3_T4_T5_mT6_T7_P12ihipStream_tbENKUlT_T0_E_clISt17integral_constantIbLb1EES10_IbLb0EEEEDaSW_SX_EUlSW_E_NS1_11comp_targetILNS1_3genE4ELNS1_11target_archE910ELNS1_3gpuE8ELNS1_3repE0EEENS1_30default_config_static_selectorELNS0_4arch9wavefront6targetE0EEEvT1_.num_vgpr, 0
	.set _ZN7rocprim17ROCPRIM_400000_NS6detail17trampoline_kernelINS0_14default_configENS1_27scan_by_key_config_selectorIixEEZZNS1_16scan_by_key_implILNS1_25lookback_scan_determinismE0ELb1ES3_N6thrust23THRUST_200600_302600_NS6detail15normal_iteratorINS9_10device_ptrIiEEEENSB_INSC_IxEEEESG_xNS9_4plusIvEENS9_8equal_toIvEExEE10hipError_tPvRmT2_T3_T4_T5_mT6_T7_P12ihipStream_tbENKUlT_T0_E_clISt17integral_constantIbLb1EES10_IbLb0EEEEDaSW_SX_EUlSW_E_NS1_11comp_targetILNS1_3genE4ELNS1_11target_archE910ELNS1_3gpuE8ELNS1_3repE0EEENS1_30default_config_static_selectorELNS0_4arch9wavefront6targetE0EEEvT1_.num_agpr, 0
	.set _ZN7rocprim17ROCPRIM_400000_NS6detail17trampoline_kernelINS0_14default_configENS1_27scan_by_key_config_selectorIixEEZZNS1_16scan_by_key_implILNS1_25lookback_scan_determinismE0ELb1ES3_N6thrust23THRUST_200600_302600_NS6detail15normal_iteratorINS9_10device_ptrIiEEEENSB_INSC_IxEEEESG_xNS9_4plusIvEENS9_8equal_toIvEExEE10hipError_tPvRmT2_T3_T4_T5_mT6_T7_P12ihipStream_tbENKUlT_T0_E_clISt17integral_constantIbLb1EES10_IbLb0EEEEDaSW_SX_EUlSW_E_NS1_11comp_targetILNS1_3genE4ELNS1_11target_archE910ELNS1_3gpuE8ELNS1_3repE0EEENS1_30default_config_static_selectorELNS0_4arch9wavefront6targetE0EEEvT1_.numbered_sgpr, 0
	.set _ZN7rocprim17ROCPRIM_400000_NS6detail17trampoline_kernelINS0_14default_configENS1_27scan_by_key_config_selectorIixEEZZNS1_16scan_by_key_implILNS1_25lookback_scan_determinismE0ELb1ES3_N6thrust23THRUST_200600_302600_NS6detail15normal_iteratorINS9_10device_ptrIiEEEENSB_INSC_IxEEEESG_xNS9_4plusIvEENS9_8equal_toIvEExEE10hipError_tPvRmT2_T3_T4_T5_mT6_T7_P12ihipStream_tbENKUlT_T0_E_clISt17integral_constantIbLb1EES10_IbLb0EEEEDaSW_SX_EUlSW_E_NS1_11comp_targetILNS1_3genE4ELNS1_11target_archE910ELNS1_3gpuE8ELNS1_3repE0EEENS1_30default_config_static_selectorELNS0_4arch9wavefront6targetE0EEEvT1_.num_named_barrier, 0
	.set _ZN7rocprim17ROCPRIM_400000_NS6detail17trampoline_kernelINS0_14default_configENS1_27scan_by_key_config_selectorIixEEZZNS1_16scan_by_key_implILNS1_25lookback_scan_determinismE0ELb1ES3_N6thrust23THRUST_200600_302600_NS6detail15normal_iteratorINS9_10device_ptrIiEEEENSB_INSC_IxEEEESG_xNS9_4plusIvEENS9_8equal_toIvEExEE10hipError_tPvRmT2_T3_T4_T5_mT6_T7_P12ihipStream_tbENKUlT_T0_E_clISt17integral_constantIbLb1EES10_IbLb0EEEEDaSW_SX_EUlSW_E_NS1_11comp_targetILNS1_3genE4ELNS1_11target_archE910ELNS1_3gpuE8ELNS1_3repE0EEENS1_30default_config_static_selectorELNS0_4arch9wavefront6targetE0EEEvT1_.private_seg_size, 0
	.set _ZN7rocprim17ROCPRIM_400000_NS6detail17trampoline_kernelINS0_14default_configENS1_27scan_by_key_config_selectorIixEEZZNS1_16scan_by_key_implILNS1_25lookback_scan_determinismE0ELb1ES3_N6thrust23THRUST_200600_302600_NS6detail15normal_iteratorINS9_10device_ptrIiEEEENSB_INSC_IxEEEESG_xNS9_4plusIvEENS9_8equal_toIvEExEE10hipError_tPvRmT2_T3_T4_T5_mT6_T7_P12ihipStream_tbENKUlT_T0_E_clISt17integral_constantIbLb1EES10_IbLb0EEEEDaSW_SX_EUlSW_E_NS1_11comp_targetILNS1_3genE4ELNS1_11target_archE910ELNS1_3gpuE8ELNS1_3repE0EEENS1_30default_config_static_selectorELNS0_4arch9wavefront6targetE0EEEvT1_.uses_vcc, 0
	.set _ZN7rocprim17ROCPRIM_400000_NS6detail17trampoline_kernelINS0_14default_configENS1_27scan_by_key_config_selectorIixEEZZNS1_16scan_by_key_implILNS1_25lookback_scan_determinismE0ELb1ES3_N6thrust23THRUST_200600_302600_NS6detail15normal_iteratorINS9_10device_ptrIiEEEENSB_INSC_IxEEEESG_xNS9_4plusIvEENS9_8equal_toIvEExEE10hipError_tPvRmT2_T3_T4_T5_mT6_T7_P12ihipStream_tbENKUlT_T0_E_clISt17integral_constantIbLb1EES10_IbLb0EEEEDaSW_SX_EUlSW_E_NS1_11comp_targetILNS1_3genE4ELNS1_11target_archE910ELNS1_3gpuE8ELNS1_3repE0EEENS1_30default_config_static_selectorELNS0_4arch9wavefront6targetE0EEEvT1_.uses_flat_scratch, 0
	.set _ZN7rocprim17ROCPRIM_400000_NS6detail17trampoline_kernelINS0_14default_configENS1_27scan_by_key_config_selectorIixEEZZNS1_16scan_by_key_implILNS1_25lookback_scan_determinismE0ELb1ES3_N6thrust23THRUST_200600_302600_NS6detail15normal_iteratorINS9_10device_ptrIiEEEENSB_INSC_IxEEEESG_xNS9_4plusIvEENS9_8equal_toIvEExEE10hipError_tPvRmT2_T3_T4_T5_mT6_T7_P12ihipStream_tbENKUlT_T0_E_clISt17integral_constantIbLb1EES10_IbLb0EEEEDaSW_SX_EUlSW_E_NS1_11comp_targetILNS1_3genE4ELNS1_11target_archE910ELNS1_3gpuE8ELNS1_3repE0EEENS1_30default_config_static_selectorELNS0_4arch9wavefront6targetE0EEEvT1_.has_dyn_sized_stack, 0
	.set _ZN7rocprim17ROCPRIM_400000_NS6detail17trampoline_kernelINS0_14default_configENS1_27scan_by_key_config_selectorIixEEZZNS1_16scan_by_key_implILNS1_25lookback_scan_determinismE0ELb1ES3_N6thrust23THRUST_200600_302600_NS6detail15normal_iteratorINS9_10device_ptrIiEEEENSB_INSC_IxEEEESG_xNS9_4plusIvEENS9_8equal_toIvEExEE10hipError_tPvRmT2_T3_T4_T5_mT6_T7_P12ihipStream_tbENKUlT_T0_E_clISt17integral_constantIbLb1EES10_IbLb0EEEEDaSW_SX_EUlSW_E_NS1_11comp_targetILNS1_3genE4ELNS1_11target_archE910ELNS1_3gpuE8ELNS1_3repE0EEENS1_30default_config_static_selectorELNS0_4arch9wavefront6targetE0EEEvT1_.has_recursion, 0
	.set _ZN7rocprim17ROCPRIM_400000_NS6detail17trampoline_kernelINS0_14default_configENS1_27scan_by_key_config_selectorIixEEZZNS1_16scan_by_key_implILNS1_25lookback_scan_determinismE0ELb1ES3_N6thrust23THRUST_200600_302600_NS6detail15normal_iteratorINS9_10device_ptrIiEEEENSB_INSC_IxEEEESG_xNS9_4plusIvEENS9_8equal_toIvEExEE10hipError_tPvRmT2_T3_T4_T5_mT6_T7_P12ihipStream_tbENKUlT_T0_E_clISt17integral_constantIbLb1EES10_IbLb0EEEEDaSW_SX_EUlSW_E_NS1_11comp_targetILNS1_3genE4ELNS1_11target_archE910ELNS1_3gpuE8ELNS1_3repE0EEENS1_30default_config_static_selectorELNS0_4arch9wavefront6targetE0EEEvT1_.has_indirect_call, 0
	.section	.AMDGPU.csdata,"",@progbits
; Kernel info:
; codeLenInByte = 0
; TotalNumSgprs: 0
; NumVgprs: 0
; ScratchSize: 0
; MemoryBound: 0
; FloatMode: 240
; IeeeMode: 1
; LDSByteSize: 0 bytes/workgroup (compile time only)
; SGPRBlocks: 0
; VGPRBlocks: 0
; NumSGPRsForWavesPerEU: 1
; NumVGPRsForWavesPerEU: 1
; NamedBarCnt: 0
; Occupancy: 16
; WaveLimiterHint : 0
; COMPUTE_PGM_RSRC2:SCRATCH_EN: 0
; COMPUTE_PGM_RSRC2:USER_SGPR: 2
; COMPUTE_PGM_RSRC2:TRAP_HANDLER: 0
; COMPUTE_PGM_RSRC2:TGID_X_EN: 1
; COMPUTE_PGM_RSRC2:TGID_Y_EN: 0
; COMPUTE_PGM_RSRC2:TGID_Z_EN: 0
; COMPUTE_PGM_RSRC2:TIDIG_COMP_CNT: 0
	.section	.text._ZN7rocprim17ROCPRIM_400000_NS6detail17trampoline_kernelINS0_14default_configENS1_27scan_by_key_config_selectorIixEEZZNS1_16scan_by_key_implILNS1_25lookback_scan_determinismE0ELb1ES3_N6thrust23THRUST_200600_302600_NS6detail15normal_iteratorINS9_10device_ptrIiEEEENSB_INSC_IxEEEESG_xNS9_4plusIvEENS9_8equal_toIvEExEE10hipError_tPvRmT2_T3_T4_T5_mT6_T7_P12ihipStream_tbENKUlT_T0_E_clISt17integral_constantIbLb1EES10_IbLb0EEEEDaSW_SX_EUlSW_E_NS1_11comp_targetILNS1_3genE3ELNS1_11target_archE908ELNS1_3gpuE7ELNS1_3repE0EEENS1_30default_config_static_selectorELNS0_4arch9wavefront6targetE0EEEvT1_,"axG",@progbits,_ZN7rocprim17ROCPRIM_400000_NS6detail17trampoline_kernelINS0_14default_configENS1_27scan_by_key_config_selectorIixEEZZNS1_16scan_by_key_implILNS1_25lookback_scan_determinismE0ELb1ES3_N6thrust23THRUST_200600_302600_NS6detail15normal_iteratorINS9_10device_ptrIiEEEENSB_INSC_IxEEEESG_xNS9_4plusIvEENS9_8equal_toIvEExEE10hipError_tPvRmT2_T3_T4_T5_mT6_T7_P12ihipStream_tbENKUlT_T0_E_clISt17integral_constantIbLb1EES10_IbLb0EEEEDaSW_SX_EUlSW_E_NS1_11comp_targetILNS1_3genE3ELNS1_11target_archE908ELNS1_3gpuE7ELNS1_3repE0EEENS1_30default_config_static_selectorELNS0_4arch9wavefront6targetE0EEEvT1_,comdat
	.protected	_ZN7rocprim17ROCPRIM_400000_NS6detail17trampoline_kernelINS0_14default_configENS1_27scan_by_key_config_selectorIixEEZZNS1_16scan_by_key_implILNS1_25lookback_scan_determinismE0ELb1ES3_N6thrust23THRUST_200600_302600_NS6detail15normal_iteratorINS9_10device_ptrIiEEEENSB_INSC_IxEEEESG_xNS9_4plusIvEENS9_8equal_toIvEExEE10hipError_tPvRmT2_T3_T4_T5_mT6_T7_P12ihipStream_tbENKUlT_T0_E_clISt17integral_constantIbLb1EES10_IbLb0EEEEDaSW_SX_EUlSW_E_NS1_11comp_targetILNS1_3genE3ELNS1_11target_archE908ELNS1_3gpuE7ELNS1_3repE0EEENS1_30default_config_static_selectorELNS0_4arch9wavefront6targetE0EEEvT1_ ; -- Begin function _ZN7rocprim17ROCPRIM_400000_NS6detail17trampoline_kernelINS0_14default_configENS1_27scan_by_key_config_selectorIixEEZZNS1_16scan_by_key_implILNS1_25lookback_scan_determinismE0ELb1ES3_N6thrust23THRUST_200600_302600_NS6detail15normal_iteratorINS9_10device_ptrIiEEEENSB_INSC_IxEEEESG_xNS9_4plusIvEENS9_8equal_toIvEExEE10hipError_tPvRmT2_T3_T4_T5_mT6_T7_P12ihipStream_tbENKUlT_T0_E_clISt17integral_constantIbLb1EES10_IbLb0EEEEDaSW_SX_EUlSW_E_NS1_11comp_targetILNS1_3genE3ELNS1_11target_archE908ELNS1_3gpuE7ELNS1_3repE0EEENS1_30default_config_static_selectorELNS0_4arch9wavefront6targetE0EEEvT1_
	.globl	_ZN7rocprim17ROCPRIM_400000_NS6detail17trampoline_kernelINS0_14default_configENS1_27scan_by_key_config_selectorIixEEZZNS1_16scan_by_key_implILNS1_25lookback_scan_determinismE0ELb1ES3_N6thrust23THRUST_200600_302600_NS6detail15normal_iteratorINS9_10device_ptrIiEEEENSB_INSC_IxEEEESG_xNS9_4plusIvEENS9_8equal_toIvEExEE10hipError_tPvRmT2_T3_T4_T5_mT6_T7_P12ihipStream_tbENKUlT_T0_E_clISt17integral_constantIbLb1EES10_IbLb0EEEEDaSW_SX_EUlSW_E_NS1_11comp_targetILNS1_3genE3ELNS1_11target_archE908ELNS1_3gpuE7ELNS1_3repE0EEENS1_30default_config_static_selectorELNS0_4arch9wavefront6targetE0EEEvT1_
	.p2align	8
	.type	_ZN7rocprim17ROCPRIM_400000_NS6detail17trampoline_kernelINS0_14default_configENS1_27scan_by_key_config_selectorIixEEZZNS1_16scan_by_key_implILNS1_25lookback_scan_determinismE0ELb1ES3_N6thrust23THRUST_200600_302600_NS6detail15normal_iteratorINS9_10device_ptrIiEEEENSB_INSC_IxEEEESG_xNS9_4plusIvEENS9_8equal_toIvEExEE10hipError_tPvRmT2_T3_T4_T5_mT6_T7_P12ihipStream_tbENKUlT_T0_E_clISt17integral_constantIbLb1EES10_IbLb0EEEEDaSW_SX_EUlSW_E_NS1_11comp_targetILNS1_3genE3ELNS1_11target_archE908ELNS1_3gpuE7ELNS1_3repE0EEENS1_30default_config_static_selectorELNS0_4arch9wavefront6targetE0EEEvT1_,@function
_ZN7rocprim17ROCPRIM_400000_NS6detail17trampoline_kernelINS0_14default_configENS1_27scan_by_key_config_selectorIixEEZZNS1_16scan_by_key_implILNS1_25lookback_scan_determinismE0ELb1ES3_N6thrust23THRUST_200600_302600_NS6detail15normal_iteratorINS9_10device_ptrIiEEEENSB_INSC_IxEEEESG_xNS9_4plusIvEENS9_8equal_toIvEExEE10hipError_tPvRmT2_T3_T4_T5_mT6_T7_P12ihipStream_tbENKUlT_T0_E_clISt17integral_constantIbLb1EES10_IbLb0EEEEDaSW_SX_EUlSW_E_NS1_11comp_targetILNS1_3genE3ELNS1_11target_archE908ELNS1_3gpuE7ELNS1_3repE0EEENS1_30default_config_static_selectorELNS0_4arch9wavefront6targetE0EEEvT1_: ; @_ZN7rocprim17ROCPRIM_400000_NS6detail17trampoline_kernelINS0_14default_configENS1_27scan_by_key_config_selectorIixEEZZNS1_16scan_by_key_implILNS1_25lookback_scan_determinismE0ELb1ES3_N6thrust23THRUST_200600_302600_NS6detail15normal_iteratorINS9_10device_ptrIiEEEENSB_INSC_IxEEEESG_xNS9_4plusIvEENS9_8equal_toIvEExEE10hipError_tPvRmT2_T3_T4_T5_mT6_T7_P12ihipStream_tbENKUlT_T0_E_clISt17integral_constantIbLb1EES10_IbLb0EEEEDaSW_SX_EUlSW_E_NS1_11comp_targetILNS1_3genE3ELNS1_11target_archE908ELNS1_3gpuE7ELNS1_3repE0EEENS1_30default_config_static_selectorELNS0_4arch9wavefront6targetE0EEEvT1_
; %bb.0:
	.section	.rodata,"a",@progbits
	.p2align	6, 0x0
	.amdhsa_kernel _ZN7rocprim17ROCPRIM_400000_NS6detail17trampoline_kernelINS0_14default_configENS1_27scan_by_key_config_selectorIixEEZZNS1_16scan_by_key_implILNS1_25lookback_scan_determinismE0ELb1ES3_N6thrust23THRUST_200600_302600_NS6detail15normal_iteratorINS9_10device_ptrIiEEEENSB_INSC_IxEEEESG_xNS9_4plusIvEENS9_8equal_toIvEExEE10hipError_tPvRmT2_T3_T4_T5_mT6_T7_P12ihipStream_tbENKUlT_T0_E_clISt17integral_constantIbLb1EES10_IbLb0EEEEDaSW_SX_EUlSW_E_NS1_11comp_targetILNS1_3genE3ELNS1_11target_archE908ELNS1_3gpuE7ELNS1_3repE0EEENS1_30default_config_static_selectorELNS0_4arch9wavefront6targetE0EEEvT1_
		.amdhsa_group_segment_fixed_size 0
		.amdhsa_private_segment_fixed_size 0
		.amdhsa_kernarg_size 136
		.amdhsa_user_sgpr_count 2
		.amdhsa_user_sgpr_dispatch_ptr 0
		.amdhsa_user_sgpr_queue_ptr 0
		.amdhsa_user_sgpr_kernarg_segment_ptr 1
		.amdhsa_user_sgpr_dispatch_id 0
		.amdhsa_user_sgpr_kernarg_preload_length 0
		.amdhsa_user_sgpr_kernarg_preload_offset 0
		.amdhsa_user_sgpr_private_segment_size 0
		.amdhsa_wavefront_size32 1
		.amdhsa_uses_dynamic_stack 0
		.amdhsa_enable_private_segment 0
		.amdhsa_system_sgpr_workgroup_id_x 1
		.amdhsa_system_sgpr_workgroup_id_y 0
		.amdhsa_system_sgpr_workgroup_id_z 0
		.amdhsa_system_sgpr_workgroup_info 0
		.amdhsa_system_vgpr_workitem_id 0
		.amdhsa_next_free_vgpr 1
		.amdhsa_next_free_sgpr 1
		.amdhsa_named_barrier_count 0
		.amdhsa_reserve_vcc 0
		.amdhsa_float_round_mode_32 0
		.amdhsa_float_round_mode_16_64 0
		.amdhsa_float_denorm_mode_32 3
		.amdhsa_float_denorm_mode_16_64 3
		.amdhsa_fp16_overflow 0
		.amdhsa_memory_ordered 1
		.amdhsa_forward_progress 1
		.amdhsa_inst_pref_size 0
		.amdhsa_round_robin_scheduling 0
		.amdhsa_exception_fp_ieee_invalid_op 0
		.amdhsa_exception_fp_denorm_src 0
		.amdhsa_exception_fp_ieee_div_zero 0
		.amdhsa_exception_fp_ieee_overflow 0
		.amdhsa_exception_fp_ieee_underflow 0
		.amdhsa_exception_fp_ieee_inexact 0
		.amdhsa_exception_int_div_zero 0
	.end_amdhsa_kernel
	.section	.text._ZN7rocprim17ROCPRIM_400000_NS6detail17trampoline_kernelINS0_14default_configENS1_27scan_by_key_config_selectorIixEEZZNS1_16scan_by_key_implILNS1_25lookback_scan_determinismE0ELb1ES3_N6thrust23THRUST_200600_302600_NS6detail15normal_iteratorINS9_10device_ptrIiEEEENSB_INSC_IxEEEESG_xNS9_4plusIvEENS9_8equal_toIvEExEE10hipError_tPvRmT2_T3_T4_T5_mT6_T7_P12ihipStream_tbENKUlT_T0_E_clISt17integral_constantIbLb1EES10_IbLb0EEEEDaSW_SX_EUlSW_E_NS1_11comp_targetILNS1_3genE3ELNS1_11target_archE908ELNS1_3gpuE7ELNS1_3repE0EEENS1_30default_config_static_selectorELNS0_4arch9wavefront6targetE0EEEvT1_,"axG",@progbits,_ZN7rocprim17ROCPRIM_400000_NS6detail17trampoline_kernelINS0_14default_configENS1_27scan_by_key_config_selectorIixEEZZNS1_16scan_by_key_implILNS1_25lookback_scan_determinismE0ELb1ES3_N6thrust23THRUST_200600_302600_NS6detail15normal_iteratorINS9_10device_ptrIiEEEENSB_INSC_IxEEEESG_xNS9_4plusIvEENS9_8equal_toIvEExEE10hipError_tPvRmT2_T3_T4_T5_mT6_T7_P12ihipStream_tbENKUlT_T0_E_clISt17integral_constantIbLb1EES10_IbLb0EEEEDaSW_SX_EUlSW_E_NS1_11comp_targetILNS1_3genE3ELNS1_11target_archE908ELNS1_3gpuE7ELNS1_3repE0EEENS1_30default_config_static_selectorELNS0_4arch9wavefront6targetE0EEEvT1_,comdat
.Lfunc_end1593:
	.size	_ZN7rocprim17ROCPRIM_400000_NS6detail17trampoline_kernelINS0_14default_configENS1_27scan_by_key_config_selectorIixEEZZNS1_16scan_by_key_implILNS1_25lookback_scan_determinismE0ELb1ES3_N6thrust23THRUST_200600_302600_NS6detail15normal_iteratorINS9_10device_ptrIiEEEENSB_INSC_IxEEEESG_xNS9_4plusIvEENS9_8equal_toIvEExEE10hipError_tPvRmT2_T3_T4_T5_mT6_T7_P12ihipStream_tbENKUlT_T0_E_clISt17integral_constantIbLb1EES10_IbLb0EEEEDaSW_SX_EUlSW_E_NS1_11comp_targetILNS1_3genE3ELNS1_11target_archE908ELNS1_3gpuE7ELNS1_3repE0EEENS1_30default_config_static_selectorELNS0_4arch9wavefront6targetE0EEEvT1_, .Lfunc_end1593-_ZN7rocprim17ROCPRIM_400000_NS6detail17trampoline_kernelINS0_14default_configENS1_27scan_by_key_config_selectorIixEEZZNS1_16scan_by_key_implILNS1_25lookback_scan_determinismE0ELb1ES3_N6thrust23THRUST_200600_302600_NS6detail15normal_iteratorINS9_10device_ptrIiEEEENSB_INSC_IxEEEESG_xNS9_4plusIvEENS9_8equal_toIvEExEE10hipError_tPvRmT2_T3_T4_T5_mT6_T7_P12ihipStream_tbENKUlT_T0_E_clISt17integral_constantIbLb1EES10_IbLb0EEEEDaSW_SX_EUlSW_E_NS1_11comp_targetILNS1_3genE3ELNS1_11target_archE908ELNS1_3gpuE7ELNS1_3repE0EEENS1_30default_config_static_selectorELNS0_4arch9wavefront6targetE0EEEvT1_
                                        ; -- End function
	.set _ZN7rocprim17ROCPRIM_400000_NS6detail17trampoline_kernelINS0_14default_configENS1_27scan_by_key_config_selectorIixEEZZNS1_16scan_by_key_implILNS1_25lookback_scan_determinismE0ELb1ES3_N6thrust23THRUST_200600_302600_NS6detail15normal_iteratorINS9_10device_ptrIiEEEENSB_INSC_IxEEEESG_xNS9_4plusIvEENS9_8equal_toIvEExEE10hipError_tPvRmT2_T3_T4_T5_mT6_T7_P12ihipStream_tbENKUlT_T0_E_clISt17integral_constantIbLb1EES10_IbLb0EEEEDaSW_SX_EUlSW_E_NS1_11comp_targetILNS1_3genE3ELNS1_11target_archE908ELNS1_3gpuE7ELNS1_3repE0EEENS1_30default_config_static_selectorELNS0_4arch9wavefront6targetE0EEEvT1_.num_vgpr, 0
	.set _ZN7rocprim17ROCPRIM_400000_NS6detail17trampoline_kernelINS0_14default_configENS1_27scan_by_key_config_selectorIixEEZZNS1_16scan_by_key_implILNS1_25lookback_scan_determinismE0ELb1ES3_N6thrust23THRUST_200600_302600_NS6detail15normal_iteratorINS9_10device_ptrIiEEEENSB_INSC_IxEEEESG_xNS9_4plusIvEENS9_8equal_toIvEExEE10hipError_tPvRmT2_T3_T4_T5_mT6_T7_P12ihipStream_tbENKUlT_T0_E_clISt17integral_constantIbLb1EES10_IbLb0EEEEDaSW_SX_EUlSW_E_NS1_11comp_targetILNS1_3genE3ELNS1_11target_archE908ELNS1_3gpuE7ELNS1_3repE0EEENS1_30default_config_static_selectorELNS0_4arch9wavefront6targetE0EEEvT1_.num_agpr, 0
	.set _ZN7rocprim17ROCPRIM_400000_NS6detail17trampoline_kernelINS0_14default_configENS1_27scan_by_key_config_selectorIixEEZZNS1_16scan_by_key_implILNS1_25lookback_scan_determinismE0ELb1ES3_N6thrust23THRUST_200600_302600_NS6detail15normal_iteratorINS9_10device_ptrIiEEEENSB_INSC_IxEEEESG_xNS9_4plusIvEENS9_8equal_toIvEExEE10hipError_tPvRmT2_T3_T4_T5_mT6_T7_P12ihipStream_tbENKUlT_T0_E_clISt17integral_constantIbLb1EES10_IbLb0EEEEDaSW_SX_EUlSW_E_NS1_11comp_targetILNS1_3genE3ELNS1_11target_archE908ELNS1_3gpuE7ELNS1_3repE0EEENS1_30default_config_static_selectorELNS0_4arch9wavefront6targetE0EEEvT1_.numbered_sgpr, 0
	.set _ZN7rocprim17ROCPRIM_400000_NS6detail17trampoline_kernelINS0_14default_configENS1_27scan_by_key_config_selectorIixEEZZNS1_16scan_by_key_implILNS1_25lookback_scan_determinismE0ELb1ES3_N6thrust23THRUST_200600_302600_NS6detail15normal_iteratorINS9_10device_ptrIiEEEENSB_INSC_IxEEEESG_xNS9_4plusIvEENS9_8equal_toIvEExEE10hipError_tPvRmT2_T3_T4_T5_mT6_T7_P12ihipStream_tbENKUlT_T0_E_clISt17integral_constantIbLb1EES10_IbLb0EEEEDaSW_SX_EUlSW_E_NS1_11comp_targetILNS1_3genE3ELNS1_11target_archE908ELNS1_3gpuE7ELNS1_3repE0EEENS1_30default_config_static_selectorELNS0_4arch9wavefront6targetE0EEEvT1_.num_named_barrier, 0
	.set _ZN7rocprim17ROCPRIM_400000_NS6detail17trampoline_kernelINS0_14default_configENS1_27scan_by_key_config_selectorIixEEZZNS1_16scan_by_key_implILNS1_25lookback_scan_determinismE0ELb1ES3_N6thrust23THRUST_200600_302600_NS6detail15normal_iteratorINS9_10device_ptrIiEEEENSB_INSC_IxEEEESG_xNS9_4plusIvEENS9_8equal_toIvEExEE10hipError_tPvRmT2_T3_T4_T5_mT6_T7_P12ihipStream_tbENKUlT_T0_E_clISt17integral_constantIbLb1EES10_IbLb0EEEEDaSW_SX_EUlSW_E_NS1_11comp_targetILNS1_3genE3ELNS1_11target_archE908ELNS1_3gpuE7ELNS1_3repE0EEENS1_30default_config_static_selectorELNS0_4arch9wavefront6targetE0EEEvT1_.private_seg_size, 0
	.set _ZN7rocprim17ROCPRIM_400000_NS6detail17trampoline_kernelINS0_14default_configENS1_27scan_by_key_config_selectorIixEEZZNS1_16scan_by_key_implILNS1_25lookback_scan_determinismE0ELb1ES3_N6thrust23THRUST_200600_302600_NS6detail15normal_iteratorINS9_10device_ptrIiEEEENSB_INSC_IxEEEESG_xNS9_4plusIvEENS9_8equal_toIvEExEE10hipError_tPvRmT2_T3_T4_T5_mT6_T7_P12ihipStream_tbENKUlT_T0_E_clISt17integral_constantIbLb1EES10_IbLb0EEEEDaSW_SX_EUlSW_E_NS1_11comp_targetILNS1_3genE3ELNS1_11target_archE908ELNS1_3gpuE7ELNS1_3repE0EEENS1_30default_config_static_selectorELNS0_4arch9wavefront6targetE0EEEvT1_.uses_vcc, 0
	.set _ZN7rocprim17ROCPRIM_400000_NS6detail17trampoline_kernelINS0_14default_configENS1_27scan_by_key_config_selectorIixEEZZNS1_16scan_by_key_implILNS1_25lookback_scan_determinismE0ELb1ES3_N6thrust23THRUST_200600_302600_NS6detail15normal_iteratorINS9_10device_ptrIiEEEENSB_INSC_IxEEEESG_xNS9_4plusIvEENS9_8equal_toIvEExEE10hipError_tPvRmT2_T3_T4_T5_mT6_T7_P12ihipStream_tbENKUlT_T0_E_clISt17integral_constantIbLb1EES10_IbLb0EEEEDaSW_SX_EUlSW_E_NS1_11comp_targetILNS1_3genE3ELNS1_11target_archE908ELNS1_3gpuE7ELNS1_3repE0EEENS1_30default_config_static_selectorELNS0_4arch9wavefront6targetE0EEEvT1_.uses_flat_scratch, 0
	.set _ZN7rocprim17ROCPRIM_400000_NS6detail17trampoline_kernelINS0_14default_configENS1_27scan_by_key_config_selectorIixEEZZNS1_16scan_by_key_implILNS1_25lookback_scan_determinismE0ELb1ES3_N6thrust23THRUST_200600_302600_NS6detail15normal_iteratorINS9_10device_ptrIiEEEENSB_INSC_IxEEEESG_xNS9_4plusIvEENS9_8equal_toIvEExEE10hipError_tPvRmT2_T3_T4_T5_mT6_T7_P12ihipStream_tbENKUlT_T0_E_clISt17integral_constantIbLb1EES10_IbLb0EEEEDaSW_SX_EUlSW_E_NS1_11comp_targetILNS1_3genE3ELNS1_11target_archE908ELNS1_3gpuE7ELNS1_3repE0EEENS1_30default_config_static_selectorELNS0_4arch9wavefront6targetE0EEEvT1_.has_dyn_sized_stack, 0
	.set _ZN7rocprim17ROCPRIM_400000_NS6detail17trampoline_kernelINS0_14default_configENS1_27scan_by_key_config_selectorIixEEZZNS1_16scan_by_key_implILNS1_25lookback_scan_determinismE0ELb1ES3_N6thrust23THRUST_200600_302600_NS6detail15normal_iteratorINS9_10device_ptrIiEEEENSB_INSC_IxEEEESG_xNS9_4plusIvEENS9_8equal_toIvEExEE10hipError_tPvRmT2_T3_T4_T5_mT6_T7_P12ihipStream_tbENKUlT_T0_E_clISt17integral_constantIbLb1EES10_IbLb0EEEEDaSW_SX_EUlSW_E_NS1_11comp_targetILNS1_3genE3ELNS1_11target_archE908ELNS1_3gpuE7ELNS1_3repE0EEENS1_30default_config_static_selectorELNS0_4arch9wavefront6targetE0EEEvT1_.has_recursion, 0
	.set _ZN7rocprim17ROCPRIM_400000_NS6detail17trampoline_kernelINS0_14default_configENS1_27scan_by_key_config_selectorIixEEZZNS1_16scan_by_key_implILNS1_25lookback_scan_determinismE0ELb1ES3_N6thrust23THRUST_200600_302600_NS6detail15normal_iteratorINS9_10device_ptrIiEEEENSB_INSC_IxEEEESG_xNS9_4plusIvEENS9_8equal_toIvEExEE10hipError_tPvRmT2_T3_T4_T5_mT6_T7_P12ihipStream_tbENKUlT_T0_E_clISt17integral_constantIbLb1EES10_IbLb0EEEEDaSW_SX_EUlSW_E_NS1_11comp_targetILNS1_3genE3ELNS1_11target_archE908ELNS1_3gpuE7ELNS1_3repE0EEENS1_30default_config_static_selectorELNS0_4arch9wavefront6targetE0EEEvT1_.has_indirect_call, 0
	.section	.AMDGPU.csdata,"",@progbits
; Kernel info:
; codeLenInByte = 0
; TotalNumSgprs: 0
; NumVgprs: 0
; ScratchSize: 0
; MemoryBound: 0
; FloatMode: 240
; IeeeMode: 1
; LDSByteSize: 0 bytes/workgroup (compile time only)
; SGPRBlocks: 0
; VGPRBlocks: 0
; NumSGPRsForWavesPerEU: 1
; NumVGPRsForWavesPerEU: 1
; NamedBarCnt: 0
; Occupancy: 16
; WaveLimiterHint : 0
; COMPUTE_PGM_RSRC2:SCRATCH_EN: 0
; COMPUTE_PGM_RSRC2:USER_SGPR: 2
; COMPUTE_PGM_RSRC2:TRAP_HANDLER: 0
; COMPUTE_PGM_RSRC2:TGID_X_EN: 1
; COMPUTE_PGM_RSRC2:TGID_Y_EN: 0
; COMPUTE_PGM_RSRC2:TGID_Z_EN: 0
; COMPUTE_PGM_RSRC2:TIDIG_COMP_CNT: 0
	.section	.text._ZN7rocprim17ROCPRIM_400000_NS6detail17trampoline_kernelINS0_14default_configENS1_27scan_by_key_config_selectorIixEEZZNS1_16scan_by_key_implILNS1_25lookback_scan_determinismE0ELb1ES3_N6thrust23THRUST_200600_302600_NS6detail15normal_iteratorINS9_10device_ptrIiEEEENSB_INSC_IxEEEESG_xNS9_4plusIvEENS9_8equal_toIvEExEE10hipError_tPvRmT2_T3_T4_T5_mT6_T7_P12ihipStream_tbENKUlT_T0_E_clISt17integral_constantIbLb1EES10_IbLb0EEEEDaSW_SX_EUlSW_E_NS1_11comp_targetILNS1_3genE2ELNS1_11target_archE906ELNS1_3gpuE6ELNS1_3repE0EEENS1_30default_config_static_selectorELNS0_4arch9wavefront6targetE0EEEvT1_,"axG",@progbits,_ZN7rocprim17ROCPRIM_400000_NS6detail17trampoline_kernelINS0_14default_configENS1_27scan_by_key_config_selectorIixEEZZNS1_16scan_by_key_implILNS1_25lookback_scan_determinismE0ELb1ES3_N6thrust23THRUST_200600_302600_NS6detail15normal_iteratorINS9_10device_ptrIiEEEENSB_INSC_IxEEEESG_xNS9_4plusIvEENS9_8equal_toIvEExEE10hipError_tPvRmT2_T3_T4_T5_mT6_T7_P12ihipStream_tbENKUlT_T0_E_clISt17integral_constantIbLb1EES10_IbLb0EEEEDaSW_SX_EUlSW_E_NS1_11comp_targetILNS1_3genE2ELNS1_11target_archE906ELNS1_3gpuE6ELNS1_3repE0EEENS1_30default_config_static_selectorELNS0_4arch9wavefront6targetE0EEEvT1_,comdat
	.protected	_ZN7rocprim17ROCPRIM_400000_NS6detail17trampoline_kernelINS0_14default_configENS1_27scan_by_key_config_selectorIixEEZZNS1_16scan_by_key_implILNS1_25lookback_scan_determinismE0ELb1ES3_N6thrust23THRUST_200600_302600_NS6detail15normal_iteratorINS9_10device_ptrIiEEEENSB_INSC_IxEEEESG_xNS9_4plusIvEENS9_8equal_toIvEExEE10hipError_tPvRmT2_T3_T4_T5_mT6_T7_P12ihipStream_tbENKUlT_T0_E_clISt17integral_constantIbLb1EES10_IbLb0EEEEDaSW_SX_EUlSW_E_NS1_11comp_targetILNS1_3genE2ELNS1_11target_archE906ELNS1_3gpuE6ELNS1_3repE0EEENS1_30default_config_static_selectorELNS0_4arch9wavefront6targetE0EEEvT1_ ; -- Begin function _ZN7rocprim17ROCPRIM_400000_NS6detail17trampoline_kernelINS0_14default_configENS1_27scan_by_key_config_selectorIixEEZZNS1_16scan_by_key_implILNS1_25lookback_scan_determinismE0ELb1ES3_N6thrust23THRUST_200600_302600_NS6detail15normal_iteratorINS9_10device_ptrIiEEEENSB_INSC_IxEEEESG_xNS9_4plusIvEENS9_8equal_toIvEExEE10hipError_tPvRmT2_T3_T4_T5_mT6_T7_P12ihipStream_tbENKUlT_T0_E_clISt17integral_constantIbLb1EES10_IbLb0EEEEDaSW_SX_EUlSW_E_NS1_11comp_targetILNS1_3genE2ELNS1_11target_archE906ELNS1_3gpuE6ELNS1_3repE0EEENS1_30default_config_static_selectorELNS0_4arch9wavefront6targetE0EEEvT1_
	.globl	_ZN7rocprim17ROCPRIM_400000_NS6detail17trampoline_kernelINS0_14default_configENS1_27scan_by_key_config_selectorIixEEZZNS1_16scan_by_key_implILNS1_25lookback_scan_determinismE0ELb1ES3_N6thrust23THRUST_200600_302600_NS6detail15normal_iteratorINS9_10device_ptrIiEEEENSB_INSC_IxEEEESG_xNS9_4plusIvEENS9_8equal_toIvEExEE10hipError_tPvRmT2_T3_T4_T5_mT6_T7_P12ihipStream_tbENKUlT_T0_E_clISt17integral_constantIbLb1EES10_IbLb0EEEEDaSW_SX_EUlSW_E_NS1_11comp_targetILNS1_3genE2ELNS1_11target_archE906ELNS1_3gpuE6ELNS1_3repE0EEENS1_30default_config_static_selectorELNS0_4arch9wavefront6targetE0EEEvT1_
	.p2align	8
	.type	_ZN7rocprim17ROCPRIM_400000_NS6detail17trampoline_kernelINS0_14default_configENS1_27scan_by_key_config_selectorIixEEZZNS1_16scan_by_key_implILNS1_25lookback_scan_determinismE0ELb1ES3_N6thrust23THRUST_200600_302600_NS6detail15normal_iteratorINS9_10device_ptrIiEEEENSB_INSC_IxEEEESG_xNS9_4plusIvEENS9_8equal_toIvEExEE10hipError_tPvRmT2_T3_T4_T5_mT6_T7_P12ihipStream_tbENKUlT_T0_E_clISt17integral_constantIbLb1EES10_IbLb0EEEEDaSW_SX_EUlSW_E_NS1_11comp_targetILNS1_3genE2ELNS1_11target_archE906ELNS1_3gpuE6ELNS1_3repE0EEENS1_30default_config_static_selectorELNS0_4arch9wavefront6targetE0EEEvT1_,@function
_ZN7rocprim17ROCPRIM_400000_NS6detail17trampoline_kernelINS0_14default_configENS1_27scan_by_key_config_selectorIixEEZZNS1_16scan_by_key_implILNS1_25lookback_scan_determinismE0ELb1ES3_N6thrust23THRUST_200600_302600_NS6detail15normal_iteratorINS9_10device_ptrIiEEEENSB_INSC_IxEEEESG_xNS9_4plusIvEENS9_8equal_toIvEExEE10hipError_tPvRmT2_T3_T4_T5_mT6_T7_P12ihipStream_tbENKUlT_T0_E_clISt17integral_constantIbLb1EES10_IbLb0EEEEDaSW_SX_EUlSW_E_NS1_11comp_targetILNS1_3genE2ELNS1_11target_archE906ELNS1_3gpuE6ELNS1_3repE0EEENS1_30default_config_static_selectorELNS0_4arch9wavefront6targetE0EEEvT1_: ; @_ZN7rocprim17ROCPRIM_400000_NS6detail17trampoline_kernelINS0_14default_configENS1_27scan_by_key_config_selectorIixEEZZNS1_16scan_by_key_implILNS1_25lookback_scan_determinismE0ELb1ES3_N6thrust23THRUST_200600_302600_NS6detail15normal_iteratorINS9_10device_ptrIiEEEENSB_INSC_IxEEEESG_xNS9_4plusIvEENS9_8equal_toIvEExEE10hipError_tPvRmT2_T3_T4_T5_mT6_T7_P12ihipStream_tbENKUlT_T0_E_clISt17integral_constantIbLb1EES10_IbLb0EEEEDaSW_SX_EUlSW_E_NS1_11comp_targetILNS1_3genE2ELNS1_11target_archE906ELNS1_3gpuE6ELNS1_3repE0EEENS1_30default_config_static_selectorELNS0_4arch9wavefront6targetE0EEEvT1_
; %bb.0:
	.section	.rodata,"a",@progbits
	.p2align	6, 0x0
	.amdhsa_kernel _ZN7rocprim17ROCPRIM_400000_NS6detail17trampoline_kernelINS0_14default_configENS1_27scan_by_key_config_selectorIixEEZZNS1_16scan_by_key_implILNS1_25lookback_scan_determinismE0ELb1ES3_N6thrust23THRUST_200600_302600_NS6detail15normal_iteratorINS9_10device_ptrIiEEEENSB_INSC_IxEEEESG_xNS9_4plusIvEENS9_8equal_toIvEExEE10hipError_tPvRmT2_T3_T4_T5_mT6_T7_P12ihipStream_tbENKUlT_T0_E_clISt17integral_constantIbLb1EES10_IbLb0EEEEDaSW_SX_EUlSW_E_NS1_11comp_targetILNS1_3genE2ELNS1_11target_archE906ELNS1_3gpuE6ELNS1_3repE0EEENS1_30default_config_static_selectorELNS0_4arch9wavefront6targetE0EEEvT1_
		.amdhsa_group_segment_fixed_size 0
		.amdhsa_private_segment_fixed_size 0
		.amdhsa_kernarg_size 136
		.amdhsa_user_sgpr_count 2
		.amdhsa_user_sgpr_dispatch_ptr 0
		.amdhsa_user_sgpr_queue_ptr 0
		.amdhsa_user_sgpr_kernarg_segment_ptr 1
		.amdhsa_user_sgpr_dispatch_id 0
		.amdhsa_user_sgpr_kernarg_preload_length 0
		.amdhsa_user_sgpr_kernarg_preload_offset 0
		.amdhsa_user_sgpr_private_segment_size 0
		.amdhsa_wavefront_size32 1
		.amdhsa_uses_dynamic_stack 0
		.amdhsa_enable_private_segment 0
		.amdhsa_system_sgpr_workgroup_id_x 1
		.amdhsa_system_sgpr_workgroup_id_y 0
		.amdhsa_system_sgpr_workgroup_id_z 0
		.amdhsa_system_sgpr_workgroup_info 0
		.amdhsa_system_vgpr_workitem_id 0
		.amdhsa_next_free_vgpr 1
		.amdhsa_next_free_sgpr 1
		.amdhsa_named_barrier_count 0
		.amdhsa_reserve_vcc 0
		.amdhsa_float_round_mode_32 0
		.amdhsa_float_round_mode_16_64 0
		.amdhsa_float_denorm_mode_32 3
		.amdhsa_float_denorm_mode_16_64 3
		.amdhsa_fp16_overflow 0
		.amdhsa_memory_ordered 1
		.amdhsa_forward_progress 1
		.amdhsa_inst_pref_size 0
		.amdhsa_round_robin_scheduling 0
		.amdhsa_exception_fp_ieee_invalid_op 0
		.amdhsa_exception_fp_denorm_src 0
		.amdhsa_exception_fp_ieee_div_zero 0
		.amdhsa_exception_fp_ieee_overflow 0
		.amdhsa_exception_fp_ieee_underflow 0
		.amdhsa_exception_fp_ieee_inexact 0
		.amdhsa_exception_int_div_zero 0
	.end_amdhsa_kernel
	.section	.text._ZN7rocprim17ROCPRIM_400000_NS6detail17trampoline_kernelINS0_14default_configENS1_27scan_by_key_config_selectorIixEEZZNS1_16scan_by_key_implILNS1_25lookback_scan_determinismE0ELb1ES3_N6thrust23THRUST_200600_302600_NS6detail15normal_iteratorINS9_10device_ptrIiEEEENSB_INSC_IxEEEESG_xNS9_4plusIvEENS9_8equal_toIvEExEE10hipError_tPvRmT2_T3_T4_T5_mT6_T7_P12ihipStream_tbENKUlT_T0_E_clISt17integral_constantIbLb1EES10_IbLb0EEEEDaSW_SX_EUlSW_E_NS1_11comp_targetILNS1_3genE2ELNS1_11target_archE906ELNS1_3gpuE6ELNS1_3repE0EEENS1_30default_config_static_selectorELNS0_4arch9wavefront6targetE0EEEvT1_,"axG",@progbits,_ZN7rocprim17ROCPRIM_400000_NS6detail17trampoline_kernelINS0_14default_configENS1_27scan_by_key_config_selectorIixEEZZNS1_16scan_by_key_implILNS1_25lookback_scan_determinismE0ELb1ES3_N6thrust23THRUST_200600_302600_NS6detail15normal_iteratorINS9_10device_ptrIiEEEENSB_INSC_IxEEEESG_xNS9_4plusIvEENS9_8equal_toIvEExEE10hipError_tPvRmT2_T3_T4_T5_mT6_T7_P12ihipStream_tbENKUlT_T0_E_clISt17integral_constantIbLb1EES10_IbLb0EEEEDaSW_SX_EUlSW_E_NS1_11comp_targetILNS1_3genE2ELNS1_11target_archE906ELNS1_3gpuE6ELNS1_3repE0EEENS1_30default_config_static_selectorELNS0_4arch9wavefront6targetE0EEEvT1_,comdat
.Lfunc_end1594:
	.size	_ZN7rocprim17ROCPRIM_400000_NS6detail17trampoline_kernelINS0_14default_configENS1_27scan_by_key_config_selectorIixEEZZNS1_16scan_by_key_implILNS1_25lookback_scan_determinismE0ELb1ES3_N6thrust23THRUST_200600_302600_NS6detail15normal_iteratorINS9_10device_ptrIiEEEENSB_INSC_IxEEEESG_xNS9_4plusIvEENS9_8equal_toIvEExEE10hipError_tPvRmT2_T3_T4_T5_mT6_T7_P12ihipStream_tbENKUlT_T0_E_clISt17integral_constantIbLb1EES10_IbLb0EEEEDaSW_SX_EUlSW_E_NS1_11comp_targetILNS1_3genE2ELNS1_11target_archE906ELNS1_3gpuE6ELNS1_3repE0EEENS1_30default_config_static_selectorELNS0_4arch9wavefront6targetE0EEEvT1_, .Lfunc_end1594-_ZN7rocprim17ROCPRIM_400000_NS6detail17trampoline_kernelINS0_14default_configENS1_27scan_by_key_config_selectorIixEEZZNS1_16scan_by_key_implILNS1_25lookback_scan_determinismE0ELb1ES3_N6thrust23THRUST_200600_302600_NS6detail15normal_iteratorINS9_10device_ptrIiEEEENSB_INSC_IxEEEESG_xNS9_4plusIvEENS9_8equal_toIvEExEE10hipError_tPvRmT2_T3_T4_T5_mT6_T7_P12ihipStream_tbENKUlT_T0_E_clISt17integral_constantIbLb1EES10_IbLb0EEEEDaSW_SX_EUlSW_E_NS1_11comp_targetILNS1_3genE2ELNS1_11target_archE906ELNS1_3gpuE6ELNS1_3repE0EEENS1_30default_config_static_selectorELNS0_4arch9wavefront6targetE0EEEvT1_
                                        ; -- End function
	.set _ZN7rocprim17ROCPRIM_400000_NS6detail17trampoline_kernelINS0_14default_configENS1_27scan_by_key_config_selectorIixEEZZNS1_16scan_by_key_implILNS1_25lookback_scan_determinismE0ELb1ES3_N6thrust23THRUST_200600_302600_NS6detail15normal_iteratorINS9_10device_ptrIiEEEENSB_INSC_IxEEEESG_xNS9_4plusIvEENS9_8equal_toIvEExEE10hipError_tPvRmT2_T3_T4_T5_mT6_T7_P12ihipStream_tbENKUlT_T0_E_clISt17integral_constantIbLb1EES10_IbLb0EEEEDaSW_SX_EUlSW_E_NS1_11comp_targetILNS1_3genE2ELNS1_11target_archE906ELNS1_3gpuE6ELNS1_3repE0EEENS1_30default_config_static_selectorELNS0_4arch9wavefront6targetE0EEEvT1_.num_vgpr, 0
	.set _ZN7rocprim17ROCPRIM_400000_NS6detail17trampoline_kernelINS0_14default_configENS1_27scan_by_key_config_selectorIixEEZZNS1_16scan_by_key_implILNS1_25lookback_scan_determinismE0ELb1ES3_N6thrust23THRUST_200600_302600_NS6detail15normal_iteratorINS9_10device_ptrIiEEEENSB_INSC_IxEEEESG_xNS9_4plusIvEENS9_8equal_toIvEExEE10hipError_tPvRmT2_T3_T4_T5_mT6_T7_P12ihipStream_tbENKUlT_T0_E_clISt17integral_constantIbLb1EES10_IbLb0EEEEDaSW_SX_EUlSW_E_NS1_11comp_targetILNS1_3genE2ELNS1_11target_archE906ELNS1_3gpuE6ELNS1_3repE0EEENS1_30default_config_static_selectorELNS0_4arch9wavefront6targetE0EEEvT1_.num_agpr, 0
	.set _ZN7rocprim17ROCPRIM_400000_NS6detail17trampoline_kernelINS0_14default_configENS1_27scan_by_key_config_selectorIixEEZZNS1_16scan_by_key_implILNS1_25lookback_scan_determinismE0ELb1ES3_N6thrust23THRUST_200600_302600_NS6detail15normal_iteratorINS9_10device_ptrIiEEEENSB_INSC_IxEEEESG_xNS9_4plusIvEENS9_8equal_toIvEExEE10hipError_tPvRmT2_T3_T4_T5_mT6_T7_P12ihipStream_tbENKUlT_T0_E_clISt17integral_constantIbLb1EES10_IbLb0EEEEDaSW_SX_EUlSW_E_NS1_11comp_targetILNS1_3genE2ELNS1_11target_archE906ELNS1_3gpuE6ELNS1_3repE0EEENS1_30default_config_static_selectorELNS0_4arch9wavefront6targetE0EEEvT1_.numbered_sgpr, 0
	.set _ZN7rocprim17ROCPRIM_400000_NS6detail17trampoline_kernelINS0_14default_configENS1_27scan_by_key_config_selectorIixEEZZNS1_16scan_by_key_implILNS1_25lookback_scan_determinismE0ELb1ES3_N6thrust23THRUST_200600_302600_NS6detail15normal_iteratorINS9_10device_ptrIiEEEENSB_INSC_IxEEEESG_xNS9_4plusIvEENS9_8equal_toIvEExEE10hipError_tPvRmT2_T3_T4_T5_mT6_T7_P12ihipStream_tbENKUlT_T0_E_clISt17integral_constantIbLb1EES10_IbLb0EEEEDaSW_SX_EUlSW_E_NS1_11comp_targetILNS1_3genE2ELNS1_11target_archE906ELNS1_3gpuE6ELNS1_3repE0EEENS1_30default_config_static_selectorELNS0_4arch9wavefront6targetE0EEEvT1_.num_named_barrier, 0
	.set _ZN7rocprim17ROCPRIM_400000_NS6detail17trampoline_kernelINS0_14default_configENS1_27scan_by_key_config_selectorIixEEZZNS1_16scan_by_key_implILNS1_25lookback_scan_determinismE0ELb1ES3_N6thrust23THRUST_200600_302600_NS6detail15normal_iteratorINS9_10device_ptrIiEEEENSB_INSC_IxEEEESG_xNS9_4plusIvEENS9_8equal_toIvEExEE10hipError_tPvRmT2_T3_T4_T5_mT6_T7_P12ihipStream_tbENKUlT_T0_E_clISt17integral_constantIbLb1EES10_IbLb0EEEEDaSW_SX_EUlSW_E_NS1_11comp_targetILNS1_3genE2ELNS1_11target_archE906ELNS1_3gpuE6ELNS1_3repE0EEENS1_30default_config_static_selectorELNS0_4arch9wavefront6targetE0EEEvT1_.private_seg_size, 0
	.set _ZN7rocprim17ROCPRIM_400000_NS6detail17trampoline_kernelINS0_14default_configENS1_27scan_by_key_config_selectorIixEEZZNS1_16scan_by_key_implILNS1_25lookback_scan_determinismE0ELb1ES3_N6thrust23THRUST_200600_302600_NS6detail15normal_iteratorINS9_10device_ptrIiEEEENSB_INSC_IxEEEESG_xNS9_4plusIvEENS9_8equal_toIvEExEE10hipError_tPvRmT2_T3_T4_T5_mT6_T7_P12ihipStream_tbENKUlT_T0_E_clISt17integral_constantIbLb1EES10_IbLb0EEEEDaSW_SX_EUlSW_E_NS1_11comp_targetILNS1_3genE2ELNS1_11target_archE906ELNS1_3gpuE6ELNS1_3repE0EEENS1_30default_config_static_selectorELNS0_4arch9wavefront6targetE0EEEvT1_.uses_vcc, 0
	.set _ZN7rocprim17ROCPRIM_400000_NS6detail17trampoline_kernelINS0_14default_configENS1_27scan_by_key_config_selectorIixEEZZNS1_16scan_by_key_implILNS1_25lookback_scan_determinismE0ELb1ES3_N6thrust23THRUST_200600_302600_NS6detail15normal_iteratorINS9_10device_ptrIiEEEENSB_INSC_IxEEEESG_xNS9_4plusIvEENS9_8equal_toIvEExEE10hipError_tPvRmT2_T3_T4_T5_mT6_T7_P12ihipStream_tbENKUlT_T0_E_clISt17integral_constantIbLb1EES10_IbLb0EEEEDaSW_SX_EUlSW_E_NS1_11comp_targetILNS1_3genE2ELNS1_11target_archE906ELNS1_3gpuE6ELNS1_3repE0EEENS1_30default_config_static_selectorELNS0_4arch9wavefront6targetE0EEEvT1_.uses_flat_scratch, 0
	.set _ZN7rocprim17ROCPRIM_400000_NS6detail17trampoline_kernelINS0_14default_configENS1_27scan_by_key_config_selectorIixEEZZNS1_16scan_by_key_implILNS1_25lookback_scan_determinismE0ELb1ES3_N6thrust23THRUST_200600_302600_NS6detail15normal_iteratorINS9_10device_ptrIiEEEENSB_INSC_IxEEEESG_xNS9_4plusIvEENS9_8equal_toIvEExEE10hipError_tPvRmT2_T3_T4_T5_mT6_T7_P12ihipStream_tbENKUlT_T0_E_clISt17integral_constantIbLb1EES10_IbLb0EEEEDaSW_SX_EUlSW_E_NS1_11comp_targetILNS1_3genE2ELNS1_11target_archE906ELNS1_3gpuE6ELNS1_3repE0EEENS1_30default_config_static_selectorELNS0_4arch9wavefront6targetE0EEEvT1_.has_dyn_sized_stack, 0
	.set _ZN7rocprim17ROCPRIM_400000_NS6detail17trampoline_kernelINS0_14default_configENS1_27scan_by_key_config_selectorIixEEZZNS1_16scan_by_key_implILNS1_25lookback_scan_determinismE0ELb1ES3_N6thrust23THRUST_200600_302600_NS6detail15normal_iteratorINS9_10device_ptrIiEEEENSB_INSC_IxEEEESG_xNS9_4plusIvEENS9_8equal_toIvEExEE10hipError_tPvRmT2_T3_T4_T5_mT6_T7_P12ihipStream_tbENKUlT_T0_E_clISt17integral_constantIbLb1EES10_IbLb0EEEEDaSW_SX_EUlSW_E_NS1_11comp_targetILNS1_3genE2ELNS1_11target_archE906ELNS1_3gpuE6ELNS1_3repE0EEENS1_30default_config_static_selectorELNS0_4arch9wavefront6targetE0EEEvT1_.has_recursion, 0
	.set _ZN7rocprim17ROCPRIM_400000_NS6detail17trampoline_kernelINS0_14default_configENS1_27scan_by_key_config_selectorIixEEZZNS1_16scan_by_key_implILNS1_25lookback_scan_determinismE0ELb1ES3_N6thrust23THRUST_200600_302600_NS6detail15normal_iteratorINS9_10device_ptrIiEEEENSB_INSC_IxEEEESG_xNS9_4plusIvEENS9_8equal_toIvEExEE10hipError_tPvRmT2_T3_T4_T5_mT6_T7_P12ihipStream_tbENKUlT_T0_E_clISt17integral_constantIbLb1EES10_IbLb0EEEEDaSW_SX_EUlSW_E_NS1_11comp_targetILNS1_3genE2ELNS1_11target_archE906ELNS1_3gpuE6ELNS1_3repE0EEENS1_30default_config_static_selectorELNS0_4arch9wavefront6targetE0EEEvT1_.has_indirect_call, 0
	.section	.AMDGPU.csdata,"",@progbits
; Kernel info:
; codeLenInByte = 0
; TotalNumSgprs: 0
; NumVgprs: 0
; ScratchSize: 0
; MemoryBound: 0
; FloatMode: 240
; IeeeMode: 1
; LDSByteSize: 0 bytes/workgroup (compile time only)
; SGPRBlocks: 0
; VGPRBlocks: 0
; NumSGPRsForWavesPerEU: 1
; NumVGPRsForWavesPerEU: 1
; NamedBarCnt: 0
; Occupancy: 16
; WaveLimiterHint : 0
; COMPUTE_PGM_RSRC2:SCRATCH_EN: 0
; COMPUTE_PGM_RSRC2:USER_SGPR: 2
; COMPUTE_PGM_RSRC2:TRAP_HANDLER: 0
; COMPUTE_PGM_RSRC2:TGID_X_EN: 1
; COMPUTE_PGM_RSRC2:TGID_Y_EN: 0
; COMPUTE_PGM_RSRC2:TGID_Z_EN: 0
; COMPUTE_PGM_RSRC2:TIDIG_COMP_CNT: 0
	.section	.text._ZN7rocprim17ROCPRIM_400000_NS6detail17trampoline_kernelINS0_14default_configENS1_27scan_by_key_config_selectorIixEEZZNS1_16scan_by_key_implILNS1_25lookback_scan_determinismE0ELb1ES3_N6thrust23THRUST_200600_302600_NS6detail15normal_iteratorINS9_10device_ptrIiEEEENSB_INSC_IxEEEESG_xNS9_4plusIvEENS9_8equal_toIvEExEE10hipError_tPvRmT2_T3_T4_T5_mT6_T7_P12ihipStream_tbENKUlT_T0_E_clISt17integral_constantIbLb1EES10_IbLb0EEEEDaSW_SX_EUlSW_E_NS1_11comp_targetILNS1_3genE10ELNS1_11target_archE1200ELNS1_3gpuE4ELNS1_3repE0EEENS1_30default_config_static_selectorELNS0_4arch9wavefront6targetE0EEEvT1_,"axG",@progbits,_ZN7rocprim17ROCPRIM_400000_NS6detail17trampoline_kernelINS0_14default_configENS1_27scan_by_key_config_selectorIixEEZZNS1_16scan_by_key_implILNS1_25lookback_scan_determinismE0ELb1ES3_N6thrust23THRUST_200600_302600_NS6detail15normal_iteratorINS9_10device_ptrIiEEEENSB_INSC_IxEEEESG_xNS9_4plusIvEENS9_8equal_toIvEExEE10hipError_tPvRmT2_T3_T4_T5_mT6_T7_P12ihipStream_tbENKUlT_T0_E_clISt17integral_constantIbLb1EES10_IbLb0EEEEDaSW_SX_EUlSW_E_NS1_11comp_targetILNS1_3genE10ELNS1_11target_archE1200ELNS1_3gpuE4ELNS1_3repE0EEENS1_30default_config_static_selectorELNS0_4arch9wavefront6targetE0EEEvT1_,comdat
	.protected	_ZN7rocprim17ROCPRIM_400000_NS6detail17trampoline_kernelINS0_14default_configENS1_27scan_by_key_config_selectorIixEEZZNS1_16scan_by_key_implILNS1_25lookback_scan_determinismE0ELb1ES3_N6thrust23THRUST_200600_302600_NS6detail15normal_iteratorINS9_10device_ptrIiEEEENSB_INSC_IxEEEESG_xNS9_4plusIvEENS9_8equal_toIvEExEE10hipError_tPvRmT2_T3_T4_T5_mT6_T7_P12ihipStream_tbENKUlT_T0_E_clISt17integral_constantIbLb1EES10_IbLb0EEEEDaSW_SX_EUlSW_E_NS1_11comp_targetILNS1_3genE10ELNS1_11target_archE1200ELNS1_3gpuE4ELNS1_3repE0EEENS1_30default_config_static_selectorELNS0_4arch9wavefront6targetE0EEEvT1_ ; -- Begin function _ZN7rocprim17ROCPRIM_400000_NS6detail17trampoline_kernelINS0_14default_configENS1_27scan_by_key_config_selectorIixEEZZNS1_16scan_by_key_implILNS1_25lookback_scan_determinismE0ELb1ES3_N6thrust23THRUST_200600_302600_NS6detail15normal_iteratorINS9_10device_ptrIiEEEENSB_INSC_IxEEEESG_xNS9_4plusIvEENS9_8equal_toIvEExEE10hipError_tPvRmT2_T3_T4_T5_mT6_T7_P12ihipStream_tbENKUlT_T0_E_clISt17integral_constantIbLb1EES10_IbLb0EEEEDaSW_SX_EUlSW_E_NS1_11comp_targetILNS1_3genE10ELNS1_11target_archE1200ELNS1_3gpuE4ELNS1_3repE0EEENS1_30default_config_static_selectorELNS0_4arch9wavefront6targetE0EEEvT1_
	.globl	_ZN7rocprim17ROCPRIM_400000_NS6detail17trampoline_kernelINS0_14default_configENS1_27scan_by_key_config_selectorIixEEZZNS1_16scan_by_key_implILNS1_25lookback_scan_determinismE0ELb1ES3_N6thrust23THRUST_200600_302600_NS6detail15normal_iteratorINS9_10device_ptrIiEEEENSB_INSC_IxEEEESG_xNS9_4plusIvEENS9_8equal_toIvEExEE10hipError_tPvRmT2_T3_T4_T5_mT6_T7_P12ihipStream_tbENKUlT_T0_E_clISt17integral_constantIbLb1EES10_IbLb0EEEEDaSW_SX_EUlSW_E_NS1_11comp_targetILNS1_3genE10ELNS1_11target_archE1200ELNS1_3gpuE4ELNS1_3repE0EEENS1_30default_config_static_selectorELNS0_4arch9wavefront6targetE0EEEvT1_
	.p2align	8
	.type	_ZN7rocprim17ROCPRIM_400000_NS6detail17trampoline_kernelINS0_14default_configENS1_27scan_by_key_config_selectorIixEEZZNS1_16scan_by_key_implILNS1_25lookback_scan_determinismE0ELb1ES3_N6thrust23THRUST_200600_302600_NS6detail15normal_iteratorINS9_10device_ptrIiEEEENSB_INSC_IxEEEESG_xNS9_4plusIvEENS9_8equal_toIvEExEE10hipError_tPvRmT2_T3_T4_T5_mT6_T7_P12ihipStream_tbENKUlT_T0_E_clISt17integral_constantIbLb1EES10_IbLb0EEEEDaSW_SX_EUlSW_E_NS1_11comp_targetILNS1_3genE10ELNS1_11target_archE1200ELNS1_3gpuE4ELNS1_3repE0EEENS1_30default_config_static_selectorELNS0_4arch9wavefront6targetE0EEEvT1_,@function
_ZN7rocprim17ROCPRIM_400000_NS6detail17trampoline_kernelINS0_14default_configENS1_27scan_by_key_config_selectorIixEEZZNS1_16scan_by_key_implILNS1_25lookback_scan_determinismE0ELb1ES3_N6thrust23THRUST_200600_302600_NS6detail15normal_iteratorINS9_10device_ptrIiEEEENSB_INSC_IxEEEESG_xNS9_4plusIvEENS9_8equal_toIvEExEE10hipError_tPvRmT2_T3_T4_T5_mT6_T7_P12ihipStream_tbENKUlT_T0_E_clISt17integral_constantIbLb1EES10_IbLb0EEEEDaSW_SX_EUlSW_E_NS1_11comp_targetILNS1_3genE10ELNS1_11target_archE1200ELNS1_3gpuE4ELNS1_3repE0EEENS1_30default_config_static_selectorELNS0_4arch9wavefront6targetE0EEEvT1_: ; @_ZN7rocprim17ROCPRIM_400000_NS6detail17trampoline_kernelINS0_14default_configENS1_27scan_by_key_config_selectorIixEEZZNS1_16scan_by_key_implILNS1_25lookback_scan_determinismE0ELb1ES3_N6thrust23THRUST_200600_302600_NS6detail15normal_iteratorINS9_10device_ptrIiEEEENSB_INSC_IxEEEESG_xNS9_4plusIvEENS9_8equal_toIvEExEE10hipError_tPvRmT2_T3_T4_T5_mT6_T7_P12ihipStream_tbENKUlT_T0_E_clISt17integral_constantIbLb1EES10_IbLb0EEEEDaSW_SX_EUlSW_E_NS1_11comp_targetILNS1_3genE10ELNS1_11target_archE1200ELNS1_3gpuE4ELNS1_3repE0EEENS1_30default_config_static_selectorELNS0_4arch9wavefront6targetE0EEEvT1_
; %bb.0:
	.section	.rodata,"a",@progbits
	.p2align	6, 0x0
	.amdhsa_kernel _ZN7rocprim17ROCPRIM_400000_NS6detail17trampoline_kernelINS0_14default_configENS1_27scan_by_key_config_selectorIixEEZZNS1_16scan_by_key_implILNS1_25lookback_scan_determinismE0ELb1ES3_N6thrust23THRUST_200600_302600_NS6detail15normal_iteratorINS9_10device_ptrIiEEEENSB_INSC_IxEEEESG_xNS9_4plusIvEENS9_8equal_toIvEExEE10hipError_tPvRmT2_T3_T4_T5_mT6_T7_P12ihipStream_tbENKUlT_T0_E_clISt17integral_constantIbLb1EES10_IbLb0EEEEDaSW_SX_EUlSW_E_NS1_11comp_targetILNS1_3genE10ELNS1_11target_archE1200ELNS1_3gpuE4ELNS1_3repE0EEENS1_30default_config_static_selectorELNS0_4arch9wavefront6targetE0EEEvT1_
		.amdhsa_group_segment_fixed_size 0
		.amdhsa_private_segment_fixed_size 0
		.amdhsa_kernarg_size 136
		.amdhsa_user_sgpr_count 2
		.amdhsa_user_sgpr_dispatch_ptr 0
		.amdhsa_user_sgpr_queue_ptr 0
		.amdhsa_user_sgpr_kernarg_segment_ptr 1
		.amdhsa_user_sgpr_dispatch_id 0
		.amdhsa_user_sgpr_kernarg_preload_length 0
		.amdhsa_user_sgpr_kernarg_preload_offset 0
		.amdhsa_user_sgpr_private_segment_size 0
		.amdhsa_wavefront_size32 1
		.amdhsa_uses_dynamic_stack 0
		.amdhsa_enable_private_segment 0
		.amdhsa_system_sgpr_workgroup_id_x 1
		.amdhsa_system_sgpr_workgroup_id_y 0
		.amdhsa_system_sgpr_workgroup_id_z 0
		.amdhsa_system_sgpr_workgroup_info 0
		.amdhsa_system_vgpr_workitem_id 0
		.amdhsa_next_free_vgpr 1
		.amdhsa_next_free_sgpr 1
		.amdhsa_named_barrier_count 0
		.amdhsa_reserve_vcc 0
		.amdhsa_float_round_mode_32 0
		.amdhsa_float_round_mode_16_64 0
		.amdhsa_float_denorm_mode_32 3
		.amdhsa_float_denorm_mode_16_64 3
		.amdhsa_fp16_overflow 0
		.amdhsa_memory_ordered 1
		.amdhsa_forward_progress 1
		.amdhsa_inst_pref_size 0
		.amdhsa_round_robin_scheduling 0
		.amdhsa_exception_fp_ieee_invalid_op 0
		.amdhsa_exception_fp_denorm_src 0
		.amdhsa_exception_fp_ieee_div_zero 0
		.amdhsa_exception_fp_ieee_overflow 0
		.amdhsa_exception_fp_ieee_underflow 0
		.amdhsa_exception_fp_ieee_inexact 0
		.amdhsa_exception_int_div_zero 0
	.end_amdhsa_kernel
	.section	.text._ZN7rocprim17ROCPRIM_400000_NS6detail17trampoline_kernelINS0_14default_configENS1_27scan_by_key_config_selectorIixEEZZNS1_16scan_by_key_implILNS1_25lookback_scan_determinismE0ELb1ES3_N6thrust23THRUST_200600_302600_NS6detail15normal_iteratorINS9_10device_ptrIiEEEENSB_INSC_IxEEEESG_xNS9_4plusIvEENS9_8equal_toIvEExEE10hipError_tPvRmT2_T3_T4_T5_mT6_T7_P12ihipStream_tbENKUlT_T0_E_clISt17integral_constantIbLb1EES10_IbLb0EEEEDaSW_SX_EUlSW_E_NS1_11comp_targetILNS1_3genE10ELNS1_11target_archE1200ELNS1_3gpuE4ELNS1_3repE0EEENS1_30default_config_static_selectorELNS0_4arch9wavefront6targetE0EEEvT1_,"axG",@progbits,_ZN7rocprim17ROCPRIM_400000_NS6detail17trampoline_kernelINS0_14default_configENS1_27scan_by_key_config_selectorIixEEZZNS1_16scan_by_key_implILNS1_25lookback_scan_determinismE0ELb1ES3_N6thrust23THRUST_200600_302600_NS6detail15normal_iteratorINS9_10device_ptrIiEEEENSB_INSC_IxEEEESG_xNS9_4plusIvEENS9_8equal_toIvEExEE10hipError_tPvRmT2_T3_T4_T5_mT6_T7_P12ihipStream_tbENKUlT_T0_E_clISt17integral_constantIbLb1EES10_IbLb0EEEEDaSW_SX_EUlSW_E_NS1_11comp_targetILNS1_3genE10ELNS1_11target_archE1200ELNS1_3gpuE4ELNS1_3repE0EEENS1_30default_config_static_selectorELNS0_4arch9wavefront6targetE0EEEvT1_,comdat
.Lfunc_end1595:
	.size	_ZN7rocprim17ROCPRIM_400000_NS6detail17trampoline_kernelINS0_14default_configENS1_27scan_by_key_config_selectorIixEEZZNS1_16scan_by_key_implILNS1_25lookback_scan_determinismE0ELb1ES3_N6thrust23THRUST_200600_302600_NS6detail15normal_iteratorINS9_10device_ptrIiEEEENSB_INSC_IxEEEESG_xNS9_4plusIvEENS9_8equal_toIvEExEE10hipError_tPvRmT2_T3_T4_T5_mT6_T7_P12ihipStream_tbENKUlT_T0_E_clISt17integral_constantIbLb1EES10_IbLb0EEEEDaSW_SX_EUlSW_E_NS1_11comp_targetILNS1_3genE10ELNS1_11target_archE1200ELNS1_3gpuE4ELNS1_3repE0EEENS1_30default_config_static_selectorELNS0_4arch9wavefront6targetE0EEEvT1_, .Lfunc_end1595-_ZN7rocprim17ROCPRIM_400000_NS6detail17trampoline_kernelINS0_14default_configENS1_27scan_by_key_config_selectorIixEEZZNS1_16scan_by_key_implILNS1_25lookback_scan_determinismE0ELb1ES3_N6thrust23THRUST_200600_302600_NS6detail15normal_iteratorINS9_10device_ptrIiEEEENSB_INSC_IxEEEESG_xNS9_4plusIvEENS9_8equal_toIvEExEE10hipError_tPvRmT2_T3_T4_T5_mT6_T7_P12ihipStream_tbENKUlT_T0_E_clISt17integral_constantIbLb1EES10_IbLb0EEEEDaSW_SX_EUlSW_E_NS1_11comp_targetILNS1_3genE10ELNS1_11target_archE1200ELNS1_3gpuE4ELNS1_3repE0EEENS1_30default_config_static_selectorELNS0_4arch9wavefront6targetE0EEEvT1_
                                        ; -- End function
	.set _ZN7rocprim17ROCPRIM_400000_NS6detail17trampoline_kernelINS0_14default_configENS1_27scan_by_key_config_selectorIixEEZZNS1_16scan_by_key_implILNS1_25lookback_scan_determinismE0ELb1ES3_N6thrust23THRUST_200600_302600_NS6detail15normal_iteratorINS9_10device_ptrIiEEEENSB_INSC_IxEEEESG_xNS9_4plusIvEENS9_8equal_toIvEExEE10hipError_tPvRmT2_T3_T4_T5_mT6_T7_P12ihipStream_tbENKUlT_T0_E_clISt17integral_constantIbLb1EES10_IbLb0EEEEDaSW_SX_EUlSW_E_NS1_11comp_targetILNS1_3genE10ELNS1_11target_archE1200ELNS1_3gpuE4ELNS1_3repE0EEENS1_30default_config_static_selectorELNS0_4arch9wavefront6targetE0EEEvT1_.num_vgpr, 0
	.set _ZN7rocprim17ROCPRIM_400000_NS6detail17trampoline_kernelINS0_14default_configENS1_27scan_by_key_config_selectorIixEEZZNS1_16scan_by_key_implILNS1_25lookback_scan_determinismE0ELb1ES3_N6thrust23THRUST_200600_302600_NS6detail15normal_iteratorINS9_10device_ptrIiEEEENSB_INSC_IxEEEESG_xNS9_4plusIvEENS9_8equal_toIvEExEE10hipError_tPvRmT2_T3_T4_T5_mT6_T7_P12ihipStream_tbENKUlT_T0_E_clISt17integral_constantIbLb1EES10_IbLb0EEEEDaSW_SX_EUlSW_E_NS1_11comp_targetILNS1_3genE10ELNS1_11target_archE1200ELNS1_3gpuE4ELNS1_3repE0EEENS1_30default_config_static_selectorELNS0_4arch9wavefront6targetE0EEEvT1_.num_agpr, 0
	.set _ZN7rocprim17ROCPRIM_400000_NS6detail17trampoline_kernelINS0_14default_configENS1_27scan_by_key_config_selectorIixEEZZNS1_16scan_by_key_implILNS1_25lookback_scan_determinismE0ELb1ES3_N6thrust23THRUST_200600_302600_NS6detail15normal_iteratorINS9_10device_ptrIiEEEENSB_INSC_IxEEEESG_xNS9_4plusIvEENS9_8equal_toIvEExEE10hipError_tPvRmT2_T3_T4_T5_mT6_T7_P12ihipStream_tbENKUlT_T0_E_clISt17integral_constantIbLb1EES10_IbLb0EEEEDaSW_SX_EUlSW_E_NS1_11comp_targetILNS1_3genE10ELNS1_11target_archE1200ELNS1_3gpuE4ELNS1_3repE0EEENS1_30default_config_static_selectorELNS0_4arch9wavefront6targetE0EEEvT1_.numbered_sgpr, 0
	.set _ZN7rocprim17ROCPRIM_400000_NS6detail17trampoline_kernelINS0_14default_configENS1_27scan_by_key_config_selectorIixEEZZNS1_16scan_by_key_implILNS1_25lookback_scan_determinismE0ELb1ES3_N6thrust23THRUST_200600_302600_NS6detail15normal_iteratorINS9_10device_ptrIiEEEENSB_INSC_IxEEEESG_xNS9_4plusIvEENS9_8equal_toIvEExEE10hipError_tPvRmT2_T3_T4_T5_mT6_T7_P12ihipStream_tbENKUlT_T0_E_clISt17integral_constantIbLb1EES10_IbLb0EEEEDaSW_SX_EUlSW_E_NS1_11comp_targetILNS1_3genE10ELNS1_11target_archE1200ELNS1_3gpuE4ELNS1_3repE0EEENS1_30default_config_static_selectorELNS0_4arch9wavefront6targetE0EEEvT1_.num_named_barrier, 0
	.set _ZN7rocprim17ROCPRIM_400000_NS6detail17trampoline_kernelINS0_14default_configENS1_27scan_by_key_config_selectorIixEEZZNS1_16scan_by_key_implILNS1_25lookback_scan_determinismE0ELb1ES3_N6thrust23THRUST_200600_302600_NS6detail15normal_iteratorINS9_10device_ptrIiEEEENSB_INSC_IxEEEESG_xNS9_4plusIvEENS9_8equal_toIvEExEE10hipError_tPvRmT2_T3_T4_T5_mT6_T7_P12ihipStream_tbENKUlT_T0_E_clISt17integral_constantIbLb1EES10_IbLb0EEEEDaSW_SX_EUlSW_E_NS1_11comp_targetILNS1_3genE10ELNS1_11target_archE1200ELNS1_3gpuE4ELNS1_3repE0EEENS1_30default_config_static_selectorELNS0_4arch9wavefront6targetE0EEEvT1_.private_seg_size, 0
	.set _ZN7rocprim17ROCPRIM_400000_NS6detail17trampoline_kernelINS0_14default_configENS1_27scan_by_key_config_selectorIixEEZZNS1_16scan_by_key_implILNS1_25lookback_scan_determinismE0ELb1ES3_N6thrust23THRUST_200600_302600_NS6detail15normal_iteratorINS9_10device_ptrIiEEEENSB_INSC_IxEEEESG_xNS9_4plusIvEENS9_8equal_toIvEExEE10hipError_tPvRmT2_T3_T4_T5_mT6_T7_P12ihipStream_tbENKUlT_T0_E_clISt17integral_constantIbLb1EES10_IbLb0EEEEDaSW_SX_EUlSW_E_NS1_11comp_targetILNS1_3genE10ELNS1_11target_archE1200ELNS1_3gpuE4ELNS1_3repE0EEENS1_30default_config_static_selectorELNS0_4arch9wavefront6targetE0EEEvT1_.uses_vcc, 0
	.set _ZN7rocprim17ROCPRIM_400000_NS6detail17trampoline_kernelINS0_14default_configENS1_27scan_by_key_config_selectorIixEEZZNS1_16scan_by_key_implILNS1_25lookback_scan_determinismE0ELb1ES3_N6thrust23THRUST_200600_302600_NS6detail15normal_iteratorINS9_10device_ptrIiEEEENSB_INSC_IxEEEESG_xNS9_4plusIvEENS9_8equal_toIvEExEE10hipError_tPvRmT2_T3_T4_T5_mT6_T7_P12ihipStream_tbENKUlT_T0_E_clISt17integral_constantIbLb1EES10_IbLb0EEEEDaSW_SX_EUlSW_E_NS1_11comp_targetILNS1_3genE10ELNS1_11target_archE1200ELNS1_3gpuE4ELNS1_3repE0EEENS1_30default_config_static_selectorELNS0_4arch9wavefront6targetE0EEEvT1_.uses_flat_scratch, 0
	.set _ZN7rocprim17ROCPRIM_400000_NS6detail17trampoline_kernelINS0_14default_configENS1_27scan_by_key_config_selectorIixEEZZNS1_16scan_by_key_implILNS1_25lookback_scan_determinismE0ELb1ES3_N6thrust23THRUST_200600_302600_NS6detail15normal_iteratorINS9_10device_ptrIiEEEENSB_INSC_IxEEEESG_xNS9_4plusIvEENS9_8equal_toIvEExEE10hipError_tPvRmT2_T3_T4_T5_mT6_T7_P12ihipStream_tbENKUlT_T0_E_clISt17integral_constantIbLb1EES10_IbLb0EEEEDaSW_SX_EUlSW_E_NS1_11comp_targetILNS1_3genE10ELNS1_11target_archE1200ELNS1_3gpuE4ELNS1_3repE0EEENS1_30default_config_static_selectorELNS0_4arch9wavefront6targetE0EEEvT1_.has_dyn_sized_stack, 0
	.set _ZN7rocprim17ROCPRIM_400000_NS6detail17trampoline_kernelINS0_14default_configENS1_27scan_by_key_config_selectorIixEEZZNS1_16scan_by_key_implILNS1_25lookback_scan_determinismE0ELb1ES3_N6thrust23THRUST_200600_302600_NS6detail15normal_iteratorINS9_10device_ptrIiEEEENSB_INSC_IxEEEESG_xNS9_4plusIvEENS9_8equal_toIvEExEE10hipError_tPvRmT2_T3_T4_T5_mT6_T7_P12ihipStream_tbENKUlT_T0_E_clISt17integral_constantIbLb1EES10_IbLb0EEEEDaSW_SX_EUlSW_E_NS1_11comp_targetILNS1_3genE10ELNS1_11target_archE1200ELNS1_3gpuE4ELNS1_3repE0EEENS1_30default_config_static_selectorELNS0_4arch9wavefront6targetE0EEEvT1_.has_recursion, 0
	.set _ZN7rocprim17ROCPRIM_400000_NS6detail17trampoline_kernelINS0_14default_configENS1_27scan_by_key_config_selectorIixEEZZNS1_16scan_by_key_implILNS1_25lookback_scan_determinismE0ELb1ES3_N6thrust23THRUST_200600_302600_NS6detail15normal_iteratorINS9_10device_ptrIiEEEENSB_INSC_IxEEEESG_xNS9_4plusIvEENS9_8equal_toIvEExEE10hipError_tPvRmT2_T3_T4_T5_mT6_T7_P12ihipStream_tbENKUlT_T0_E_clISt17integral_constantIbLb1EES10_IbLb0EEEEDaSW_SX_EUlSW_E_NS1_11comp_targetILNS1_3genE10ELNS1_11target_archE1200ELNS1_3gpuE4ELNS1_3repE0EEENS1_30default_config_static_selectorELNS0_4arch9wavefront6targetE0EEEvT1_.has_indirect_call, 0
	.section	.AMDGPU.csdata,"",@progbits
; Kernel info:
; codeLenInByte = 0
; TotalNumSgprs: 0
; NumVgprs: 0
; ScratchSize: 0
; MemoryBound: 0
; FloatMode: 240
; IeeeMode: 1
; LDSByteSize: 0 bytes/workgroup (compile time only)
; SGPRBlocks: 0
; VGPRBlocks: 0
; NumSGPRsForWavesPerEU: 1
; NumVGPRsForWavesPerEU: 1
; NamedBarCnt: 0
; Occupancy: 16
; WaveLimiterHint : 0
; COMPUTE_PGM_RSRC2:SCRATCH_EN: 0
; COMPUTE_PGM_RSRC2:USER_SGPR: 2
; COMPUTE_PGM_RSRC2:TRAP_HANDLER: 0
; COMPUTE_PGM_RSRC2:TGID_X_EN: 1
; COMPUTE_PGM_RSRC2:TGID_Y_EN: 0
; COMPUTE_PGM_RSRC2:TGID_Z_EN: 0
; COMPUTE_PGM_RSRC2:TIDIG_COMP_CNT: 0
	.section	.text._ZN7rocprim17ROCPRIM_400000_NS6detail17trampoline_kernelINS0_14default_configENS1_27scan_by_key_config_selectorIixEEZZNS1_16scan_by_key_implILNS1_25lookback_scan_determinismE0ELb1ES3_N6thrust23THRUST_200600_302600_NS6detail15normal_iteratorINS9_10device_ptrIiEEEENSB_INSC_IxEEEESG_xNS9_4plusIvEENS9_8equal_toIvEExEE10hipError_tPvRmT2_T3_T4_T5_mT6_T7_P12ihipStream_tbENKUlT_T0_E_clISt17integral_constantIbLb1EES10_IbLb0EEEEDaSW_SX_EUlSW_E_NS1_11comp_targetILNS1_3genE9ELNS1_11target_archE1100ELNS1_3gpuE3ELNS1_3repE0EEENS1_30default_config_static_selectorELNS0_4arch9wavefront6targetE0EEEvT1_,"axG",@progbits,_ZN7rocprim17ROCPRIM_400000_NS6detail17trampoline_kernelINS0_14default_configENS1_27scan_by_key_config_selectorIixEEZZNS1_16scan_by_key_implILNS1_25lookback_scan_determinismE0ELb1ES3_N6thrust23THRUST_200600_302600_NS6detail15normal_iteratorINS9_10device_ptrIiEEEENSB_INSC_IxEEEESG_xNS9_4plusIvEENS9_8equal_toIvEExEE10hipError_tPvRmT2_T3_T4_T5_mT6_T7_P12ihipStream_tbENKUlT_T0_E_clISt17integral_constantIbLb1EES10_IbLb0EEEEDaSW_SX_EUlSW_E_NS1_11comp_targetILNS1_3genE9ELNS1_11target_archE1100ELNS1_3gpuE3ELNS1_3repE0EEENS1_30default_config_static_selectorELNS0_4arch9wavefront6targetE0EEEvT1_,comdat
	.protected	_ZN7rocprim17ROCPRIM_400000_NS6detail17trampoline_kernelINS0_14default_configENS1_27scan_by_key_config_selectorIixEEZZNS1_16scan_by_key_implILNS1_25lookback_scan_determinismE0ELb1ES3_N6thrust23THRUST_200600_302600_NS6detail15normal_iteratorINS9_10device_ptrIiEEEENSB_INSC_IxEEEESG_xNS9_4plusIvEENS9_8equal_toIvEExEE10hipError_tPvRmT2_T3_T4_T5_mT6_T7_P12ihipStream_tbENKUlT_T0_E_clISt17integral_constantIbLb1EES10_IbLb0EEEEDaSW_SX_EUlSW_E_NS1_11comp_targetILNS1_3genE9ELNS1_11target_archE1100ELNS1_3gpuE3ELNS1_3repE0EEENS1_30default_config_static_selectorELNS0_4arch9wavefront6targetE0EEEvT1_ ; -- Begin function _ZN7rocprim17ROCPRIM_400000_NS6detail17trampoline_kernelINS0_14default_configENS1_27scan_by_key_config_selectorIixEEZZNS1_16scan_by_key_implILNS1_25lookback_scan_determinismE0ELb1ES3_N6thrust23THRUST_200600_302600_NS6detail15normal_iteratorINS9_10device_ptrIiEEEENSB_INSC_IxEEEESG_xNS9_4plusIvEENS9_8equal_toIvEExEE10hipError_tPvRmT2_T3_T4_T5_mT6_T7_P12ihipStream_tbENKUlT_T0_E_clISt17integral_constantIbLb1EES10_IbLb0EEEEDaSW_SX_EUlSW_E_NS1_11comp_targetILNS1_3genE9ELNS1_11target_archE1100ELNS1_3gpuE3ELNS1_3repE0EEENS1_30default_config_static_selectorELNS0_4arch9wavefront6targetE0EEEvT1_
	.globl	_ZN7rocprim17ROCPRIM_400000_NS6detail17trampoline_kernelINS0_14default_configENS1_27scan_by_key_config_selectorIixEEZZNS1_16scan_by_key_implILNS1_25lookback_scan_determinismE0ELb1ES3_N6thrust23THRUST_200600_302600_NS6detail15normal_iteratorINS9_10device_ptrIiEEEENSB_INSC_IxEEEESG_xNS9_4plusIvEENS9_8equal_toIvEExEE10hipError_tPvRmT2_T3_T4_T5_mT6_T7_P12ihipStream_tbENKUlT_T0_E_clISt17integral_constantIbLb1EES10_IbLb0EEEEDaSW_SX_EUlSW_E_NS1_11comp_targetILNS1_3genE9ELNS1_11target_archE1100ELNS1_3gpuE3ELNS1_3repE0EEENS1_30default_config_static_selectorELNS0_4arch9wavefront6targetE0EEEvT1_
	.p2align	8
	.type	_ZN7rocprim17ROCPRIM_400000_NS6detail17trampoline_kernelINS0_14default_configENS1_27scan_by_key_config_selectorIixEEZZNS1_16scan_by_key_implILNS1_25lookback_scan_determinismE0ELb1ES3_N6thrust23THRUST_200600_302600_NS6detail15normal_iteratorINS9_10device_ptrIiEEEENSB_INSC_IxEEEESG_xNS9_4plusIvEENS9_8equal_toIvEExEE10hipError_tPvRmT2_T3_T4_T5_mT6_T7_P12ihipStream_tbENKUlT_T0_E_clISt17integral_constantIbLb1EES10_IbLb0EEEEDaSW_SX_EUlSW_E_NS1_11comp_targetILNS1_3genE9ELNS1_11target_archE1100ELNS1_3gpuE3ELNS1_3repE0EEENS1_30default_config_static_selectorELNS0_4arch9wavefront6targetE0EEEvT1_,@function
_ZN7rocprim17ROCPRIM_400000_NS6detail17trampoline_kernelINS0_14default_configENS1_27scan_by_key_config_selectorIixEEZZNS1_16scan_by_key_implILNS1_25lookback_scan_determinismE0ELb1ES3_N6thrust23THRUST_200600_302600_NS6detail15normal_iteratorINS9_10device_ptrIiEEEENSB_INSC_IxEEEESG_xNS9_4plusIvEENS9_8equal_toIvEExEE10hipError_tPvRmT2_T3_T4_T5_mT6_T7_P12ihipStream_tbENKUlT_T0_E_clISt17integral_constantIbLb1EES10_IbLb0EEEEDaSW_SX_EUlSW_E_NS1_11comp_targetILNS1_3genE9ELNS1_11target_archE1100ELNS1_3gpuE3ELNS1_3repE0EEENS1_30default_config_static_selectorELNS0_4arch9wavefront6targetE0EEEvT1_: ; @_ZN7rocprim17ROCPRIM_400000_NS6detail17trampoline_kernelINS0_14default_configENS1_27scan_by_key_config_selectorIixEEZZNS1_16scan_by_key_implILNS1_25lookback_scan_determinismE0ELb1ES3_N6thrust23THRUST_200600_302600_NS6detail15normal_iteratorINS9_10device_ptrIiEEEENSB_INSC_IxEEEESG_xNS9_4plusIvEENS9_8equal_toIvEExEE10hipError_tPvRmT2_T3_T4_T5_mT6_T7_P12ihipStream_tbENKUlT_T0_E_clISt17integral_constantIbLb1EES10_IbLb0EEEEDaSW_SX_EUlSW_E_NS1_11comp_targetILNS1_3genE9ELNS1_11target_archE1100ELNS1_3gpuE3ELNS1_3repE0EEENS1_30default_config_static_selectorELNS0_4arch9wavefront6targetE0EEEvT1_
; %bb.0:
	.section	.rodata,"a",@progbits
	.p2align	6, 0x0
	.amdhsa_kernel _ZN7rocprim17ROCPRIM_400000_NS6detail17trampoline_kernelINS0_14default_configENS1_27scan_by_key_config_selectorIixEEZZNS1_16scan_by_key_implILNS1_25lookback_scan_determinismE0ELb1ES3_N6thrust23THRUST_200600_302600_NS6detail15normal_iteratorINS9_10device_ptrIiEEEENSB_INSC_IxEEEESG_xNS9_4plusIvEENS9_8equal_toIvEExEE10hipError_tPvRmT2_T3_T4_T5_mT6_T7_P12ihipStream_tbENKUlT_T0_E_clISt17integral_constantIbLb1EES10_IbLb0EEEEDaSW_SX_EUlSW_E_NS1_11comp_targetILNS1_3genE9ELNS1_11target_archE1100ELNS1_3gpuE3ELNS1_3repE0EEENS1_30default_config_static_selectorELNS0_4arch9wavefront6targetE0EEEvT1_
		.amdhsa_group_segment_fixed_size 0
		.amdhsa_private_segment_fixed_size 0
		.amdhsa_kernarg_size 136
		.amdhsa_user_sgpr_count 2
		.amdhsa_user_sgpr_dispatch_ptr 0
		.amdhsa_user_sgpr_queue_ptr 0
		.amdhsa_user_sgpr_kernarg_segment_ptr 1
		.amdhsa_user_sgpr_dispatch_id 0
		.amdhsa_user_sgpr_kernarg_preload_length 0
		.amdhsa_user_sgpr_kernarg_preload_offset 0
		.amdhsa_user_sgpr_private_segment_size 0
		.amdhsa_wavefront_size32 1
		.amdhsa_uses_dynamic_stack 0
		.amdhsa_enable_private_segment 0
		.amdhsa_system_sgpr_workgroup_id_x 1
		.amdhsa_system_sgpr_workgroup_id_y 0
		.amdhsa_system_sgpr_workgroup_id_z 0
		.amdhsa_system_sgpr_workgroup_info 0
		.amdhsa_system_vgpr_workitem_id 0
		.amdhsa_next_free_vgpr 1
		.amdhsa_next_free_sgpr 1
		.amdhsa_named_barrier_count 0
		.amdhsa_reserve_vcc 0
		.amdhsa_float_round_mode_32 0
		.amdhsa_float_round_mode_16_64 0
		.amdhsa_float_denorm_mode_32 3
		.amdhsa_float_denorm_mode_16_64 3
		.amdhsa_fp16_overflow 0
		.amdhsa_memory_ordered 1
		.amdhsa_forward_progress 1
		.amdhsa_inst_pref_size 0
		.amdhsa_round_robin_scheduling 0
		.amdhsa_exception_fp_ieee_invalid_op 0
		.amdhsa_exception_fp_denorm_src 0
		.amdhsa_exception_fp_ieee_div_zero 0
		.amdhsa_exception_fp_ieee_overflow 0
		.amdhsa_exception_fp_ieee_underflow 0
		.amdhsa_exception_fp_ieee_inexact 0
		.amdhsa_exception_int_div_zero 0
	.end_amdhsa_kernel
	.section	.text._ZN7rocprim17ROCPRIM_400000_NS6detail17trampoline_kernelINS0_14default_configENS1_27scan_by_key_config_selectorIixEEZZNS1_16scan_by_key_implILNS1_25lookback_scan_determinismE0ELb1ES3_N6thrust23THRUST_200600_302600_NS6detail15normal_iteratorINS9_10device_ptrIiEEEENSB_INSC_IxEEEESG_xNS9_4plusIvEENS9_8equal_toIvEExEE10hipError_tPvRmT2_T3_T4_T5_mT6_T7_P12ihipStream_tbENKUlT_T0_E_clISt17integral_constantIbLb1EES10_IbLb0EEEEDaSW_SX_EUlSW_E_NS1_11comp_targetILNS1_3genE9ELNS1_11target_archE1100ELNS1_3gpuE3ELNS1_3repE0EEENS1_30default_config_static_selectorELNS0_4arch9wavefront6targetE0EEEvT1_,"axG",@progbits,_ZN7rocprim17ROCPRIM_400000_NS6detail17trampoline_kernelINS0_14default_configENS1_27scan_by_key_config_selectorIixEEZZNS1_16scan_by_key_implILNS1_25lookback_scan_determinismE0ELb1ES3_N6thrust23THRUST_200600_302600_NS6detail15normal_iteratorINS9_10device_ptrIiEEEENSB_INSC_IxEEEESG_xNS9_4plusIvEENS9_8equal_toIvEExEE10hipError_tPvRmT2_T3_T4_T5_mT6_T7_P12ihipStream_tbENKUlT_T0_E_clISt17integral_constantIbLb1EES10_IbLb0EEEEDaSW_SX_EUlSW_E_NS1_11comp_targetILNS1_3genE9ELNS1_11target_archE1100ELNS1_3gpuE3ELNS1_3repE0EEENS1_30default_config_static_selectorELNS0_4arch9wavefront6targetE0EEEvT1_,comdat
.Lfunc_end1596:
	.size	_ZN7rocprim17ROCPRIM_400000_NS6detail17trampoline_kernelINS0_14default_configENS1_27scan_by_key_config_selectorIixEEZZNS1_16scan_by_key_implILNS1_25lookback_scan_determinismE0ELb1ES3_N6thrust23THRUST_200600_302600_NS6detail15normal_iteratorINS9_10device_ptrIiEEEENSB_INSC_IxEEEESG_xNS9_4plusIvEENS9_8equal_toIvEExEE10hipError_tPvRmT2_T3_T4_T5_mT6_T7_P12ihipStream_tbENKUlT_T0_E_clISt17integral_constantIbLb1EES10_IbLb0EEEEDaSW_SX_EUlSW_E_NS1_11comp_targetILNS1_3genE9ELNS1_11target_archE1100ELNS1_3gpuE3ELNS1_3repE0EEENS1_30default_config_static_selectorELNS0_4arch9wavefront6targetE0EEEvT1_, .Lfunc_end1596-_ZN7rocprim17ROCPRIM_400000_NS6detail17trampoline_kernelINS0_14default_configENS1_27scan_by_key_config_selectorIixEEZZNS1_16scan_by_key_implILNS1_25lookback_scan_determinismE0ELb1ES3_N6thrust23THRUST_200600_302600_NS6detail15normal_iteratorINS9_10device_ptrIiEEEENSB_INSC_IxEEEESG_xNS9_4plusIvEENS9_8equal_toIvEExEE10hipError_tPvRmT2_T3_T4_T5_mT6_T7_P12ihipStream_tbENKUlT_T0_E_clISt17integral_constantIbLb1EES10_IbLb0EEEEDaSW_SX_EUlSW_E_NS1_11comp_targetILNS1_3genE9ELNS1_11target_archE1100ELNS1_3gpuE3ELNS1_3repE0EEENS1_30default_config_static_selectorELNS0_4arch9wavefront6targetE0EEEvT1_
                                        ; -- End function
	.set _ZN7rocprim17ROCPRIM_400000_NS6detail17trampoline_kernelINS0_14default_configENS1_27scan_by_key_config_selectorIixEEZZNS1_16scan_by_key_implILNS1_25lookback_scan_determinismE0ELb1ES3_N6thrust23THRUST_200600_302600_NS6detail15normal_iteratorINS9_10device_ptrIiEEEENSB_INSC_IxEEEESG_xNS9_4plusIvEENS9_8equal_toIvEExEE10hipError_tPvRmT2_T3_T4_T5_mT6_T7_P12ihipStream_tbENKUlT_T0_E_clISt17integral_constantIbLb1EES10_IbLb0EEEEDaSW_SX_EUlSW_E_NS1_11comp_targetILNS1_3genE9ELNS1_11target_archE1100ELNS1_3gpuE3ELNS1_3repE0EEENS1_30default_config_static_selectorELNS0_4arch9wavefront6targetE0EEEvT1_.num_vgpr, 0
	.set _ZN7rocprim17ROCPRIM_400000_NS6detail17trampoline_kernelINS0_14default_configENS1_27scan_by_key_config_selectorIixEEZZNS1_16scan_by_key_implILNS1_25lookback_scan_determinismE0ELb1ES3_N6thrust23THRUST_200600_302600_NS6detail15normal_iteratorINS9_10device_ptrIiEEEENSB_INSC_IxEEEESG_xNS9_4plusIvEENS9_8equal_toIvEExEE10hipError_tPvRmT2_T3_T4_T5_mT6_T7_P12ihipStream_tbENKUlT_T0_E_clISt17integral_constantIbLb1EES10_IbLb0EEEEDaSW_SX_EUlSW_E_NS1_11comp_targetILNS1_3genE9ELNS1_11target_archE1100ELNS1_3gpuE3ELNS1_3repE0EEENS1_30default_config_static_selectorELNS0_4arch9wavefront6targetE0EEEvT1_.num_agpr, 0
	.set _ZN7rocprim17ROCPRIM_400000_NS6detail17trampoline_kernelINS0_14default_configENS1_27scan_by_key_config_selectorIixEEZZNS1_16scan_by_key_implILNS1_25lookback_scan_determinismE0ELb1ES3_N6thrust23THRUST_200600_302600_NS6detail15normal_iteratorINS9_10device_ptrIiEEEENSB_INSC_IxEEEESG_xNS9_4plusIvEENS9_8equal_toIvEExEE10hipError_tPvRmT2_T3_T4_T5_mT6_T7_P12ihipStream_tbENKUlT_T0_E_clISt17integral_constantIbLb1EES10_IbLb0EEEEDaSW_SX_EUlSW_E_NS1_11comp_targetILNS1_3genE9ELNS1_11target_archE1100ELNS1_3gpuE3ELNS1_3repE0EEENS1_30default_config_static_selectorELNS0_4arch9wavefront6targetE0EEEvT1_.numbered_sgpr, 0
	.set _ZN7rocprim17ROCPRIM_400000_NS6detail17trampoline_kernelINS0_14default_configENS1_27scan_by_key_config_selectorIixEEZZNS1_16scan_by_key_implILNS1_25lookback_scan_determinismE0ELb1ES3_N6thrust23THRUST_200600_302600_NS6detail15normal_iteratorINS9_10device_ptrIiEEEENSB_INSC_IxEEEESG_xNS9_4plusIvEENS9_8equal_toIvEExEE10hipError_tPvRmT2_T3_T4_T5_mT6_T7_P12ihipStream_tbENKUlT_T0_E_clISt17integral_constantIbLb1EES10_IbLb0EEEEDaSW_SX_EUlSW_E_NS1_11comp_targetILNS1_3genE9ELNS1_11target_archE1100ELNS1_3gpuE3ELNS1_3repE0EEENS1_30default_config_static_selectorELNS0_4arch9wavefront6targetE0EEEvT1_.num_named_barrier, 0
	.set _ZN7rocprim17ROCPRIM_400000_NS6detail17trampoline_kernelINS0_14default_configENS1_27scan_by_key_config_selectorIixEEZZNS1_16scan_by_key_implILNS1_25lookback_scan_determinismE0ELb1ES3_N6thrust23THRUST_200600_302600_NS6detail15normal_iteratorINS9_10device_ptrIiEEEENSB_INSC_IxEEEESG_xNS9_4plusIvEENS9_8equal_toIvEExEE10hipError_tPvRmT2_T3_T4_T5_mT6_T7_P12ihipStream_tbENKUlT_T0_E_clISt17integral_constantIbLb1EES10_IbLb0EEEEDaSW_SX_EUlSW_E_NS1_11comp_targetILNS1_3genE9ELNS1_11target_archE1100ELNS1_3gpuE3ELNS1_3repE0EEENS1_30default_config_static_selectorELNS0_4arch9wavefront6targetE0EEEvT1_.private_seg_size, 0
	.set _ZN7rocprim17ROCPRIM_400000_NS6detail17trampoline_kernelINS0_14default_configENS1_27scan_by_key_config_selectorIixEEZZNS1_16scan_by_key_implILNS1_25lookback_scan_determinismE0ELb1ES3_N6thrust23THRUST_200600_302600_NS6detail15normal_iteratorINS9_10device_ptrIiEEEENSB_INSC_IxEEEESG_xNS9_4plusIvEENS9_8equal_toIvEExEE10hipError_tPvRmT2_T3_T4_T5_mT6_T7_P12ihipStream_tbENKUlT_T0_E_clISt17integral_constantIbLb1EES10_IbLb0EEEEDaSW_SX_EUlSW_E_NS1_11comp_targetILNS1_3genE9ELNS1_11target_archE1100ELNS1_3gpuE3ELNS1_3repE0EEENS1_30default_config_static_selectorELNS0_4arch9wavefront6targetE0EEEvT1_.uses_vcc, 0
	.set _ZN7rocprim17ROCPRIM_400000_NS6detail17trampoline_kernelINS0_14default_configENS1_27scan_by_key_config_selectorIixEEZZNS1_16scan_by_key_implILNS1_25lookback_scan_determinismE0ELb1ES3_N6thrust23THRUST_200600_302600_NS6detail15normal_iteratorINS9_10device_ptrIiEEEENSB_INSC_IxEEEESG_xNS9_4plusIvEENS9_8equal_toIvEExEE10hipError_tPvRmT2_T3_T4_T5_mT6_T7_P12ihipStream_tbENKUlT_T0_E_clISt17integral_constantIbLb1EES10_IbLb0EEEEDaSW_SX_EUlSW_E_NS1_11comp_targetILNS1_3genE9ELNS1_11target_archE1100ELNS1_3gpuE3ELNS1_3repE0EEENS1_30default_config_static_selectorELNS0_4arch9wavefront6targetE0EEEvT1_.uses_flat_scratch, 0
	.set _ZN7rocprim17ROCPRIM_400000_NS6detail17trampoline_kernelINS0_14default_configENS1_27scan_by_key_config_selectorIixEEZZNS1_16scan_by_key_implILNS1_25lookback_scan_determinismE0ELb1ES3_N6thrust23THRUST_200600_302600_NS6detail15normal_iteratorINS9_10device_ptrIiEEEENSB_INSC_IxEEEESG_xNS9_4plusIvEENS9_8equal_toIvEExEE10hipError_tPvRmT2_T3_T4_T5_mT6_T7_P12ihipStream_tbENKUlT_T0_E_clISt17integral_constantIbLb1EES10_IbLb0EEEEDaSW_SX_EUlSW_E_NS1_11comp_targetILNS1_3genE9ELNS1_11target_archE1100ELNS1_3gpuE3ELNS1_3repE0EEENS1_30default_config_static_selectorELNS0_4arch9wavefront6targetE0EEEvT1_.has_dyn_sized_stack, 0
	.set _ZN7rocprim17ROCPRIM_400000_NS6detail17trampoline_kernelINS0_14default_configENS1_27scan_by_key_config_selectorIixEEZZNS1_16scan_by_key_implILNS1_25lookback_scan_determinismE0ELb1ES3_N6thrust23THRUST_200600_302600_NS6detail15normal_iteratorINS9_10device_ptrIiEEEENSB_INSC_IxEEEESG_xNS9_4plusIvEENS9_8equal_toIvEExEE10hipError_tPvRmT2_T3_T4_T5_mT6_T7_P12ihipStream_tbENKUlT_T0_E_clISt17integral_constantIbLb1EES10_IbLb0EEEEDaSW_SX_EUlSW_E_NS1_11comp_targetILNS1_3genE9ELNS1_11target_archE1100ELNS1_3gpuE3ELNS1_3repE0EEENS1_30default_config_static_selectorELNS0_4arch9wavefront6targetE0EEEvT1_.has_recursion, 0
	.set _ZN7rocprim17ROCPRIM_400000_NS6detail17trampoline_kernelINS0_14default_configENS1_27scan_by_key_config_selectorIixEEZZNS1_16scan_by_key_implILNS1_25lookback_scan_determinismE0ELb1ES3_N6thrust23THRUST_200600_302600_NS6detail15normal_iteratorINS9_10device_ptrIiEEEENSB_INSC_IxEEEESG_xNS9_4plusIvEENS9_8equal_toIvEExEE10hipError_tPvRmT2_T3_T4_T5_mT6_T7_P12ihipStream_tbENKUlT_T0_E_clISt17integral_constantIbLb1EES10_IbLb0EEEEDaSW_SX_EUlSW_E_NS1_11comp_targetILNS1_3genE9ELNS1_11target_archE1100ELNS1_3gpuE3ELNS1_3repE0EEENS1_30default_config_static_selectorELNS0_4arch9wavefront6targetE0EEEvT1_.has_indirect_call, 0
	.section	.AMDGPU.csdata,"",@progbits
; Kernel info:
; codeLenInByte = 0
; TotalNumSgprs: 0
; NumVgprs: 0
; ScratchSize: 0
; MemoryBound: 0
; FloatMode: 240
; IeeeMode: 1
; LDSByteSize: 0 bytes/workgroup (compile time only)
; SGPRBlocks: 0
; VGPRBlocks: 0
; NumSGPRsForWavesPerEU: 1
; NumVGPRsForWavesPerEU: 1
; NamedBarCnt: 0
; Occupancy: 16
; WaveLimiterHint : 0
; COMPUTE_PGM_RSRC2:SCRATCH_EN: 0
; COMPUTE_PGM_RSRC2:USER_SGPR: 2
; COMPUTE_PGM_RSRC2:TRAP_HANDLER: 0
; COMPUTE_PGM_RSRC2:TGID_X_EN: 1
; COMPUTE_PGM_RSRC2:TGID_Y_EN: 0
; COMPUTE_PGM_RSRC2:TGID_Z_EN: 0
; COMPUTE_PGM_RSRC2:TIDIG_COMP_CNT: 0
	.section	.text._ZN7rocprim17ROCPRIM_400000_NS6detail17trampoline_kernelINS0_14default_configENS1_27scan_by_key_config_selectorIixEEZZNS1_16scan_by_key_implILNS1_25lookback_scan_determinismE0ELb1ES3_N6thrust23THRUST_200600_302600_NS6detail15normal_iteratorINS9_10device_ptrIiEEEENSB_INSC_IxEEEESG_xNS9_4plusIvEENS9_8equal_toIvEExEE10hipError_tPvRmT2_T3_T4_T5_mT6_T7_P12ihipStream_tbENKUlT_T0_E_clISt17integral_constantIbLb1EES10_IbLb0EEEEDaSW_SX_EUlSW_E_NS1_11comp_targetILNS1_3genE8ELNS1_11target_archE1030ELNS1_3gpuE2ELNS1_3repE0EEENS1_30default_config_static_selectorELNS0_4arch9wavefront6targetE0EEEvT1_,"axG",@progbits,_ZN7rocprim17ROCPRIM_400000_NS6detail17trampoline_kernelINS0_14default_configENS1_27scan_by_key_config_selectorIixEEZZNS1_16scan_by_key_implILNS1_25lookback_scan_determinismE0ELb1ES3_N6thrust23THRUST_200600_302600_NS6detail15normal_iteratorINS9_10device_ptrIiEEEENSB_INSC_IxEEEESG_xNS9_4plusIvEENS9_8equal_toIvEExEE10hipError_tPvRmT2_T3_T4_T5_mT6_T7_P12ihipStream_tbENKUlT_T0_E_clISt17integral_constantIbLb1EES10_IbLb0EEEEDaSW_SX_EUlSW_E_NS1_11comp_targetILNS1_3genE8ELNS1_11target_archE1030ELNS1_3gpuE2ELNS1_3repE0EEENS1_30default_config_static_selectorELNS0_4arch9wavefront6targetE0EEEvT1_,comdat
	.protected	_ZN7rocprim17ROCPRIM_400000_NS6detail17trampoline_kernelINS0_14default_configENS1_27scan_by_key_config_selectorIixEEZZNS1_16scan_by_key_implILNS1_25lookback_scan_determinismE0ELb1ES3_N6thrust23THRUST_200600_302600_NS6detail15normal_iteratorINS9_10device_ptrIiEEEENSB_INSC_IxEEEESG_xNS9_4plusIvEENS9_8equal_toIvEExEE10hipError_tPvRmT2_T3_T4_T5_mT6_T7_P12ihipStream_tbENKUlT_T0_E_clISt17integral_constantIbLb1EES10_IbLb0EEEEDaSW_SX_EUlSW_E_NS1_11comp_targetILNS1_3genE8ELNS1_11target_archE1030ELNS1_3gpuE2ELNS1_3repE0EEENS1_30default_config_static_selectorELNS0_4arch9wavefront6targetE0EEEvT1_ ; -- Begin function _ZN7rocprim17ROCPRIM_400000_NS6detail17trampoline_kernelINS0_14default_configENS1_27scan_by_key_config_selectorIixEEZZNS1_16scan_by_key_implILNS1_25lookback_scan_determinismE0ELb1ES3_N6thrust23THRUST_200600_302600_NS6detail15normal_iteratorINS9_10device_ptrIiEEEENSB_INSC_IxEEEESG_xNS9_4plusIvEENS9_8equal_toIvEExEE10hipError_tPvRmT2_T3_T4_T5_mT6_T7_P12ihipStream_tbENKUlT_T0_E_clISt17integral_constantIbLb1EES10_IbLb0EEEEDaSW_SX_EUlSW_E_NS1_11comp_targetILNS1_3genE8ELNS1_11target_archE1030ELNS1_3gpuE2ELNS1_3repE0EEENS1_30default_config_static_selectorELNS0_4arch9wavefront6targetE0EEEvT1_
	.globl	_ZN7rocprim17ROCPRIM_400000_NS6detail17trampoline_kernelINS0_14default_configENS1_27scan_by_key_config_selectorIixEEZZNS1_16scan_by_key_implILNS1_25lookback_scan_determinismE0ELb1ES3_N6thrust23THRUST_200600_302600_NS6detail15normal_iteratorINS9_10device_ptrIiEEEENSB_INSC_IxEEEESG_xNS9_4plusIvEENS9_8equal_toIvEExEE10hipError_tPvRmT2_T3_T4_T5_mT6_T7_P12ihipStream_tbENKUlT_T0_E_clISt17integral_constantIbLb1EES10_IbLb0EEEEDaSW_SX_EUlSW_E_NS1_11comp_targetILNS1_3genE8ELNS1_11target_archE1030ELNS1_3gpuE2ELNS1_3repE0EEENS1_30default_config_static_selectorELNS0_4arch9wavefront6targetE0EEEvT1_
	.p2align	8
	.type	_ZN7rocprim17ROCPRIM_400000_NS6detail17trampoline_kernelINS0_14default_configENS1_27scan_by_key_config_selectorIixEEZZNS1_16scan_by_key_implILNS1_25lookback_scan_determinismE0ELb1ES3_N6thrust23THRUST_200600_302600_NS6detail15normal_iteratorINS9_10device_ptrIiEEEENSB_INSC_IxEEEESG_xNS9_4plusIvEENS9_8equal_toIvEExEE10hipError_tPvRmT2_T3_T4_T5_mT6_T7_P12ihipStream_tbENKUlT_T0_E_clISt17integral_constantIbLb1EES10_IbLb0EEEEDaSW_SX_EUlSW_E_NS1_11comp_targetILNS1_3genE8ELNS1_11target_archE1030ELNS1_3gpuE2ELNS1_3repE0EEENS1_30default_config_static_selectorELNS0_4arch9wavefront6targetE0EEEvT1_,@function
_ZN7rocprim17ROCPRIM_400000_NS6detail17trampoline_kernelINS0_14default_configENS1_27scan_by_key_config_selectorIixEEZZNS1_16scan_by_key_implILNS1_25lookback_scan_determinismE0ELb1ES3_N6thrust23THRUST_200600_302600_NS6detail15normal_iteratorINS9_10device_ptrIiEEEENSB_INSC_IxEEEESG_xNS9_4plusIvEENS9_8equal_toIvEExEE10hipError_tPvRmT2_T3_T4_T5_mT6_T7_P12ihipStream_tbENKUlT_T0_E_clISt17integral_constantIbLb1EES10_IbLb0EEEEDaSW_SX_EUlSW_E_NS1_11comp_targetILNS1_3genE8ELNS1_11target_archE1030ELNS1_3gpuE2ELNS1_3repE0EEENS1_30default_config_static_selectorELNS0_4arch9wavefront6targetE0EEEvT1_: ; @_ZN7rocprim17ROCPRIM_400000_NS6detail17trampoline_kernelINS0_14default_configENS1_27scan_by_key_config_selectorIixEEZZNS1_16scan_by_key_implILNS1_25lookback_scan_determinismE0ELb1ES3_N6thrust23THRUST_200600_302600_NS6detail15normal_iteratorINS9_10device_ptrIiEEEENSB_INSC_IxEEEESG_xNS9_4plusIvEENS9_8equal_toIvEExEE10hipError_tPvRmT2_T3_T4_T5_mT6_T7_P12ihipStream_tbENKUlT_T0_E_clISt17integral_constantIbLb1EES10_IbLb0EEEEDaSW_SX_EUlSW_E_NS1_11comp_targetILNS1_3genE8ELNS1_11target_archE1030ELNS1_3gpuE2ELNS1_3repE0EEENS1_30default_config_static_selectorELNS0_4arch9wavefront6targetE0EEEvT1_
; %bb.0:
	.section	.rodata,"a",@progbits
	.p2align	6, 0x0
	.amdhsa_kernel _ZN7rocprim17ROCPRIM_400000_NS6detail17trampoline_kernelINS0_14default_configENS1_27scan_by_key_config_selectorIixEEZZNS1_16scan_by_key_implILNS1_25lookback_scan_determinismE0ELb1ES3_N6thrust23THRUST_200600_302600_NS6detail15normal_iteratorINS9_10device_ptrIiEEEENSB_INSC_IxEEEESG_xNS9_4plusIvEENS9_8equal_toIvEExEE10hipError_tPvRmT2_T3_T4_T5_mT6_T7_P12ihipStream_tbENKUlT_T0_E_clISt17integral_constantIbLb1EES10_IbLb0EEEEDaSW_SX_EUlSW_E_NS1_11comp_targetILNS1_3genE8ELNS1_11target_archE1030ELNS1_3gpuE2ELNS1_3repE0EEENS1_30default_config_static_selectorELNS0_4arch9wavefront6targetE0EEEvT1_
		.amdhsa_group_segment_fixed_size 0
		.amdhsa_private_segment_fixed_size 0
		.amdhsa_kernarg_size 136
		.amdhsa_user_sgpr_count 2
		.amdhsa_user_sgpr_dispatch_ptr 0
		.amdhsa_user_sgpr_queue_ptr 0
		.amdhsa_user_sgpr_kernarg_segment_ptr 1
		.amdhsa_user_sgpr_dispatch_id 0
		.amdhsa_user_sgpr_kernarg_preload_length 0
		.amdhsa_user_sgpr_kernarg_preload_offset 0
		.amdhsa_user_sgpr_private_segment_size 0
		.amdhsa_wavefront_size32 1
		.amdhsa_uses_dynamic_stack 0
		.amdhsa_enable_private_segment 0
		.amdhsa_system_sgpr_workgroup_id_x 1
		.amdhsa_system_sgpr_workgroup_id_y 0
		.amdhsa_system_sgpr_workgroup_id_z 0
		.amdhsa_system_sgpr_workgroup_info 0
		.amdhsa_system_vgpr_workitem_id 0
		.amdhsa_next_free_vgpr 1
		.amdhsa_next_free_sgpr 1
		.amdhsa_named_barrier_count 0
		.amdhsa_reserve_vcc 0
		.amdhsa_float_round_mode_32 0
		.amdhsa_float_round_mode_16_64 0
		.amdhsa_float_denorm_mode_32 3
		.amdhsa_float_denorm_mode_16_64 3
		.amdhsa_fp16_overflow 0
		.amdhsa_memory_ordered 1
		.amdhsa_forward_progress 1
		.amdhsa_inst_pref_size 0
		.amdhsa_round_robin_scheduling 0
		.amdhsa_exception_fp_ieee_invalid_op 0
		.amdhsa_exception_fp_denorm_src 0
		.amdhsa_exception_fp_ieee_div_zero 0
		.amdhsa_exception_fp_ieee_overflow 0
		.amdhsa_exception_fp_ieee_underflow 0
		.amdhsa_exception_fp_ieee_inexact 0
		.amdhsa_exception_int_div_zero 0
	.end_amdhsa_kernel
	.section	.text._ZN7rocprim17ROCPRIM_400000_NS6detail17trampoline_kernelINS0_14default_configENS1_27scan_by_key_config_selectorIixEEZZNS1_16scan_by_key_implILNS1_25lookback_scan_determinismE0ELb1ES3_N6thrust23THRUST_200600_302600_NS6detail15normal_iteratorINS9_10device_ptrIiEEEENSB_INSC_IxEEEESG_xNS9_4plusIvEENS9_8equal_toIvEExEE10hipError_tPvRmT2_T3_T4_T5_mT6_T7_P12ihipStream_tbENKUlT_T0_E_clISt17integral_constantIbLb1EES10_IbLb0EEEEDaSW_SX_EUlSW_E_NS1_11comp_targetILNS1_3genE8ELNS1_11target_archE1030ELNS1_3gpuE2ELNS1_3repE0EEENS1_30default_config_static_selectorELNS0_4arch9wavefront6targetE0EEEvT1_,"axG",@progbits,_ZN7rocprim17ROCPRIM_400000_NS6detail17trampoline_kernelINS0_14default_configENS1_27scan_by_key_config_selectorIixEEZZNS1_16scan_by_key_implILNS1_25lookback_scan_determinismE0ELb1ES3_N6thrust23THRUST_200600_302600_NS6detail15normal_iteratorINS9_10device_ptrIiEEEENSB_INSC_IxEEEESG_xNS9_4plusIvEENS9_8equal_toIvEExEE10hipError_tPvRmT2_T3_T4_T5_mT6_T7_P12ihipStream_tbENKUlT_T0_E_clISt17integral_constantIbLb1EES10_IbLb0EEEEDaSW_SX_EUlSW_E_NS1_11comp_targetILNS1_3genE8ELNS1_11target_archE1030ELNS1_3gpuE2ELNS1_3repE0EEENS1_30default_config_static_selectorELNS0_4arch9wavefront6targetE0EEEvT1_,comdat
.Lfunc_end1597:
	.size	_ZN7rocprim17ROCPRIM_400000_NS6detail17trampoline_kernelINS0_14default_configENS1_27scan_by_key_config_selectorIixEEZZNS1_16scan_by_key_implILNS1_25lookback_scan_determinismE0ELb1ES3_N6thrust23THRUST_200600_302600_NS6detail15normal_iteratorINS9_10device_ptrIiEEEENSB_INSC_IxEEEESG_xNS9_4plusIvEENS9_8equal_toIvEExEE10hipError_tPvRmT2_T3_T4_T5_mT6_T7_P12ihipStream_tbENKUlT_T0_E_clISt17integral_constantIbLb1EES10_IbLb0EEEEDaSW_SX_EUlSW_E_NS1_11comp_targetILNS1_3genE8ELNS1_11target_archE1030ELNS1_3gpuE2ELNS1_3repE0EEENS1_30default_config_static_selectorELNS0_4arch9wavefront6targetE0EEEvT1_, .Lfunc_end1597-_ZN7rocprim17ROCPRIM_400000_NS6detail17trampoline_kernelINS0_14default_configENS1_27scan_by_key_config_selectorIixEEZZNS1_16scan_by_key_implILNS1_25lookback_scan_determinismE0ELb1ES3_N6thrust23THRUST_200600_302600_NS6detail15normal_iteratorINS9_10device_ptrIiEEEENSB_INSC_IxEEEESG_xNS9_4plusIvEENS9_8equal_toIvEExEE10hipError_tPvRmT2_T3_T4_T5_mT6_T7_P12ihipStream_tbENKUlT_T0_E_clISt17integral_constantIbLb1EES10_IbLb0EEEEDaSW_SX_EUlSW_E_NS1_11comp_targetILNS1_3genE8ELNS1_11target_archE1030ELNS1_3gpuE2ELNS1_3repE0EEENS1_30default_config_static_selectorELNS0_4arch9wavefront6targetE0EEEvT1_
                                        ; -- End function
	.set _ZN7rocprim17ROCPRIM_400000_NS6detail17trampoline_kernelINS0_14default_configENS1_27scan_by_key_config_selectorIixEEZZNS1_16scan_by_key_implILNS1_25lookback_scan_determinismE0ELb1ES3_N6thrust23THRUST_200600_302600_NS6detail15normal_iteratorINS9_10device_ptrIiEEEENSB_INSC_IxEEEESG_xNS9_4plusIvEENS9_8equal_toIvEExEE10hipError_tPvRmT2_T3_T4_T5_mT6_T7_P12ihipStream_tbENKUlT_T0_E_clISt17integral_constantIbLb1EES10_IbLb0EEEEDaSW_SX_EUlSW_E_NS1_11comp_targetILNS1_3genE8ELNS1_11target_archE1030ELNS1_3gpuE2ELNS1_3repE0EEENS1_30default_config_static_selectorELNS0_4arch9wavefront6targetE0EEEvT1_.num_vgpr, 0
	.set _ZN7rocprim17ROCPRIM_400000_NS6detail17trampoline_kernelINS0_14default_configENS1_27scan_by_key_config_selectorIixEEZZNS1_16scan_by_key_implILNS1_25lookback_scan_determinismE0ELb1ES3_N6thrust23THRUST_200600_302600_NS6detail15normal_iteratorINS9_10device_ptrIiEEEENSB_INSC_IxEEEESG_xNS9_4plusIvEENS9_8equal_toIvEExEE10hipError_tPvRmT2_T3_T4_T5_mT6_T7_P12ihipStream_tbENKUlT_T0_E_clISt17integral_constantIbLb1EES10_IbLb0EEEEDaSW_SX_EUlSW_E_NS1_11comp_targetILNS1_3genE8ELNS1_11target_archE1030ELNS1_3gpuE2ELNS1_3repE0EEENS1_30default_config_static_selectorELNS0_4arch9wavefront6targetE0EEEvT1_.num_agpr, 0
	.set _ZN7rocprim17ROCPRIM_400000_NS6detail17trampoline_kernelINS0_14default_configENS1_27scan_by_key_config_selectorIixEEZZNS1_16scan_by_key_implILNS1_25lookback_scan_determinismE0ELb1ES3_N6thrust23THRUST_200600_302600_NS6detail15normal_iteratorINS9_10device_ptrIiEEEENSB_INSC_IxEEEESG_xNS9_4plusIvEENS9_8equal_toIvEExEE10hipError_tPvRmT2_T3_T4_T5_mT6_T7_P12ihipStream_tbENKUlT_T0_E_clISt17integral_constantIbLb1EES10_IbLb0EEEEDaSW_SX_EUlSW_E_NS1_11comp_targetILNS1_3genE8ELNS1_11target_archE1030ELNS1_3gpuE2ELNS1_3repE0EEENS1_30default_config_static_selectorELNS0_4arch9wavefront6targetE0EEEvT1_.numbered_sgpr, 0
	.set _ZN7rocprim17ROCPRIM_400000_NS6detail17trampoline_kernelINS0_14default_configENS1_27scan_by_key_config_selectorIixEEZZNS1_16scan_by_key_implILNS1_25lookback_scan_determinismE0ELb1ES3_N6thrust23THRUST_200600_302600_NS6detail15normal_iteratorINS9_10device_ptrIiEEEENSB_INSC_IxEEEESG_xNS9_4plusIvEENS9_8equal_toIvEExEE10hipError_tPvRmT2_T3_T4_T5_mT6_T7_P12ihipStream_tbENKUlT_T0_E_clISt17integral_constantIbLb1EES10_IbLb0EEEEDaSW_SX_EUlSW_E_NS1_11comp_targetILNS1_3genE8ELNS1_11target_archE1030ELNS1_3gpuE2ELNS1_3repE0EEENS1_30default_config_static_selectorELNS0_4arch9wavefront6targetE0EEEvT1_.num_named_barrier, 0
	.set _ZN7rocprim17ROCPRIM_400000_NS6detail17trampoline_kernelINS0_14default_configENS1_27scan_by_key_config_selectorIixEEZZNS1_16scan_by_key_implILNS1_25lookback_scan_determinismE0ELb1ES3_N6thrust23THRUST_200600_302600_NS6detail15normal_iteratorINS9_10device_ptrIiEEEENSB_INSC_IxEEEESG_xNS9_4plusIvEENS9_8equal_toIvEExEE10hipError_tPvRmT2_T3_T4_T5_mT6_T7_P12ihipStream_tbENKUlT_T0_E_clISt17integral_constantIbLb1EES10_IbLb0EEEEDaSW_SX_EUlSW_E_NS1_11comp_targetILNS1_3genE8ELNS1_11target_archE1030ELNS1_3gpuE2ELNS1_3repE0EEENS1_30default_config_static_selectorELNS0_4arch9wavefront6targetE0EEEvT1_.private_seg_size, 0
	.set _ZN7rocprim17ROCPRIM_400000_NS6detail17trampoline_kernelINS0_14default_configENS1_27scan_by_key_config_selectorIixEEZZNS1_16scan_by_key_implILNS1_25lookback_scan_determinismE0ELb1ES3_N6thrust23THRUST_200600_302600_NS6detail15normal_iteratorINS9_10device_ptrIiEEEENSB_INSC_IxEEEESG_xNS9_4plusIvEENS9_8equal_toIvEExEE10hipError_tPvRmT2_T3_T4_T5_mT6_T7_P12ihipStream_tbENKUlT_T0_E_clISt17integral_constantIbLb1EES10_IbLb0EEEEDaSW_SX_EUlSW_E_NS1_11comp_targetILNS1_3genE8ELNS1_11target_archE1030ELNS1_3gpuE2ELNS1_3repE0EEENS1_30default_config_static_selectorELNS0_4arch9wavefront6targetE0EEEvT1_.uses_vcc, 0
	.set _ZN7rocprim17ROCPRIM_400000_NS6detail17trampoline_kernelINS0_14default_configENS1_27scan_by_key_config_selectorIixEEZZNS1_16scan_by_key_implILNS1_25lookback_scan_determinismE0ELb1ES3_N6thrust23THRUST_200600_302600_NS6detail15normal_iteratorINS9_10device_ptrIiEEEENSB_INSC_IxEEEESG_xNS9_4plusIvEENS9_8equal_toIvEExEE10hipError_tPvRmT2_T3_T4_T5_mT6_T7_P12ihipStream_tbENKUlT_T0_E_clISt17integral_constantIbLb1EES10_IbLb0EEEEDaSW_SX_EUlSW_E_NS1_11comp_targetILNS1_3genE8ELNS1_11target_archE1030ELNS1_3gpuE2ELNS1_3repE0EEENS1_30default_config_static_selectorELNS0_4arch9wavefront6targetE0EEEvT1_.uses_flat_scratch, 0
	.set _ZN7rocprim17ROCPRIM_400000_NS6detail17trampoline_kernelINS0_14default_configENS1_27scan_by_key_config_selectorIixEEZZNS1_16scan_by_key_implILNS1_25lookback_scan_determinismE0ELb1ES3_N6thrust23THRUST_200600_302600_NS6detail15normal_iteratorINS9_10device_ptrIiEEEENSB_INSC_IxEEEESG_xNS9_4plusIvEENS9_8equal_toIvEExEE10hipError_tPvRmT2_T3_T4_T5_mT6_T7_P12ihipStream_tbENKUlT_T0_E_clISt17integral_constantIbLb1EES10_IbLb0EEEEDaSW_SX_EUlSW_E_NS1_11comp_targetILNS1_3genE8ELNS1_11target_archE1030ELNS1_3gpuE2ELNS1_3repE0EEENS1_30default_config_static_selectorELNS0_4arch9wavefront6targetE0EEEvT1_.has_dyn_sized_stack, 0
	.set _ZN7rocprim17ROCPRIM_400000_NS6detail17trampoline_kernelINS0_14default_configENS1_27scan_by_key_config_selectorIixEEZZNS1_16scan_by_key_implILNS1_25lookback_scan_determinismE0ELb1ES3_N6thrust23THRUST_200600_302600_NS6detail15normal_iteratorINS9_10device_ptrIiEEEENSB_INSC_IxEEEESG_xNS9_4plusIvEENS9_8equal_toIvEExEE10hipError_tPvRmT2_T3_T4_T5_mT6_T7_P12ihipStream_tbENKUlT_T0_E_clISt17integral_constantIbLb1EES10_IbLb0EEEEDaSW_SX_EUlSW_E_NS1_11comp_targetILNS1_3genE8ELNS1_11target_archE1030ELNS1_3gpuE2ELNS1_3repE0EEENS1_30default_config_static_selectorELNS0_4arch9wavefront6targetE0EEEvT1_.has_recursion, 0
	.set _ZN7rocprim17ROCPRIM_400000_NS6detail17trampoline_kernelINS0_14default_configENS1_27scan_by_key_config_selectorIixEEZZNS1_16scan_by_key_implILNS1_25lookback_scan_determinismE0ELb1ES3_N6thrust23THRUST_200600_302600_NS6detail15normal_iteratorINS9_10device_ptrIiEEEENSB_INSC_IxEEEESG_xNS9_4plusIvEENS9_8equal_toIvEExEE10hipError_tPvRmT2_T3_T4_T5_mT6_T7_P12ihipStream_tbENKUlT_T0_E_clISt17integral_constantIbLb1EES10_IbLb0EEEEDaSW_SX_EUlSW_E_NS1_11comp_targetILNS1_3genE8ELNS1_11target_archE1030ELNS1_3gpuE2ELNS1_3repE0EEENS1_30default_config_static_selectorELNS0_4arch9wavefront6targetE0EEEvT1_.has_indirect_call, 0
	.section	.AMDGPU.csdata,"",@progbits
; Kernel info:
; codeLenInByte = 0
; TotalNumSgprs: 0
; NumVgprs: 0
; ScratchSize: 0
; MemoryBound: 0
; FloatMode: 240
; IeeeMode: 1
; LDSByteSize: 0 bytes/workgroup (compile time only)
; SGPRBlocks: 0
; VGPRBlocks: 0
; NumSGPRsForWavesPerEU: 1
; NumVGPRsForWavesPerEU: 1
; NamedBarCnt: 0
; Occupancy: 16
; WaveLimiterHint : 0
; COMPUTE_PGM_RSRC2:SCRATCH_EN: 0
; COMPUTE_PGM_RSRC2:USER_SGPR: 2
; COMPUTE_PGM_RSRC2:TRAP_HANDLER: 0
; COMPUTE_PGM_RSRC2:TGID_X_EN: 1
; COMPUTE_PGM_RSRC2:TGID_Y_EN: 0
; COMPUTE_PGM_RSRC2:TGID_Z_EN: 0
; COMPUTE_PGM_RSRC2:TIDIG_COMP_CNT: 0
	.section	.text._ZN7rocprim17ROCPRIM_400000_NS6detail17trampoline_kernelINS0_14default_configENS1_27scan_by_key_config_selectorIixEEZZNS1_16scan_by_key_implILNS1_25lookback_scan_determinismE0ELb1ES3_N6thrust23THRUST_200600_302600_NS6detail15normal_iteratorINS9_10device_ptrIiEEEENSB_INSC_IxEEEESG_xNS9_4plusIvEENS9_8equal_toIvEExEE10hipError_tPvRmT2_T3_T4_T5_mT6_T7_P12ihipStream_tbENKUlT_T0_E_clISt17integral_constantIbLb0EES10_IbLb1EEEEDaSW_SX_EUlSW_E_NS1_11comp_targetILNS1_3genE0ELNS1_11target_archE4294967295ELNS1_3gpuE0ELNS1_3repE0EEENS1_30default_config_static_selectorELNS0_4arch9wavefront6targetE0EEEvT1_,"axG",@progbits,_ZN7rocprim17ROCPRIM_400000_NS6detail17trampoline_kernelINS0_14default_configENS1_27scan_by_key_config_selectorIixEEZZNS1_16scan_by_key_implILNS1_25lookback_scan_determinismE0ELb1ES3_N6thrust23THRUST_200600_302600_NS6detail15normal_iteratorINS9_10device_ptrIiEEEENSB_INSC_IxEEEESG_xNS9_4plusIvEENS9_8equal_toIvEExEE10hipError_tPvRmT2_T3_T4_T5_mT6_T7_P12ihipStream_tbENKUlT_T0_E_clISt17integral_constantIbLb0EES10_IbLb1EEEEDaSW_SX_EUlSW_E_NS1_11comp_targetILNS1_3genE0ELNS1_11target_archE4294967295ELNS1_3gpuE0ELNS1_3repE0EEENS1_30default_config_static_selectorELNS0_4arch9wavefront6targetE0EEEvT1_,comdat
	.protected	_ZN7rocprim17ROCPRIM_400000_NS6detail17trampoline_kernelINS0_14default_configENS1_27scan_by_key_config_selectorIixEEZZNS1_16scan_by_key_implILNS1_25lookback_scan_determinismE0ELb1ES3_N6thrust23THRUST_200600_302600_NS6detail15normal_iteratorINS9_10device_ptrIiEEEENSB_INSC_IxEEEESG_xNS9_4plusIvEENS9_8equal_toIvEExEE10hipError_tPvRmT2_T3_T4_T5_mT6_T7_P12ihipStream_tbENKUlT_T0_E_clISt17integral_constantIbLb0EES10_IbLb1EEEEDaSW_SX_EUlSW_E_NS1_11comp_targetILNS1_3genE0ELNS1_11target_archE4294967295ELNS1_3gpuE0ELNS1_3repE0EEENS1_30default_config_static_selectorELNS0_4arch9wavefront6targetE0EEEvT1_ ; -- Begin function _ZN7rocprim17ROCPRIM_400000_NS6detail17trampoline_kernelINS0_14default_configENS1_27scan_by_key_config_selectorIixEEZZNS1_16scan_by_key_implILNS1_25lookback_scan_determinismE0ELb1ES3_N6thrust23THRUST_200600_302600_NS6detail15normal_iteratorINS9_10device_ptrIiEEEENSB_INSC_IxEEEESG_xNS9_4plusIvEENS9_8equal_toIvEExEE10hipError_tPvRmT2_T3_T4_T5_mT6_T7_P12ihipStream_tbENKUlT_T0_E_clISt17integral_constantIbLb0EES10_IbLb1EEEEDaSW_SX_EUlSW_E_NS1_11comp_targetILNS1_3genE0ELNS1_11target_archE4294967295ELNS1_3gpuE0ELNS1_3repE0EEENS1_30default_config_static_selectorELNS0_4arch9wavefront6targetE0EEEvT1_
	.globl	_ZN7rocprim17ROCPRIM_400000_NS6detail17trampoline_kernelINS0_14default_configENS1_27scan_by_key_config_selectorIixEEZZNS1_16scan_by_key_implILNS1_25lookback_scan_determinismE0ELb1ES3_N6thrust23THRUST_200600_302600_NS6detail15normal_iteratorINS9_10device_ptrIiEEEENSB_INSC_IxEEEESG_xNS9_4plusIvEENS9_8equal_toIvEExEE10hipError_tPvRmT2_T3_T4_T5_mT6_T7_P12ihipStream_tbENKUlT_T0_E_clISt17integral_constantIbLb0EES10_IbLb1EEEEDaSW_SX_EUlSW_E_NS1_11comp_targetILNS1_3genE0ELNS1_11target_archE4294967295ELNS1_3gpuE0ELNS1_3repE0EEENS1_30default_config_static_selectorELNS0_4arch9wavefront6targetE0EEEvT1_
	.p2align	8
	.type	_ZN7rocprim17ROCPRIM_400000_NS6detail17trampoline_kernelINS0_14default_configENS1_27scan_by_key_config_selectorIixEEZZNS1_16scan_by_key_implILNS1_25lookback_scan_determinismE0ELb1ES3_N6thrust23THRUST_200600_302600_NS6detail15normal_iteratorINS9_10device_ptrIiEEEENSB_INSC_IxEEEESG_xNS9_4plusIvEENS9_8equal_toIvEExEE10hipError_tPvRmT2_T3_T4_T5_mT6_T7_P12ihipStream_tbENKUlT_T0_E_clISt17integral_constantIbLb0EES10_IbLb1EEEEDaSW_SX_EUlSW_E_NS1_11comp_targetILNS1_3genE0ELNS1_11target_archE4294967295ELNS1_3gpuE0ELNS1_3repE0EEENS1_30default_config_static_selectorELNS0_4arch9wavefront6targetE0EEEvT1_,@function
_ZN7rocprim17ROCPRIM_400000_NS6detail17trampoline_kernelINS0_14default_configENS1_27scan_by_key_config_selectorIixEEZZNS1_16scan_by_key_implILNS1_25lookback_scan_determinismE0ELb1ES3_N6thrust23THRUST_200600_302600_NS6detail15normal_iteratorINS9_10device_ptrIiEEEENSB_INSC_IxEEEESG_xNS9_4plusIvEENS9_8equal_toIvEExEE10hipError_tPvRmT2_T3_T4_T5_mT6_T7_P12ihipStream_tbENKUlT_T0_E_clISt17integral_constantIbLb0EES10_IbLb1EEEEDaSW_SX_EUlSW_E_NS1_11comp_targetILNS1_3genE0ELNS1_11target_archE4294967295ELNS1_3gpuE0ELNS1_3repE0EEENS1_30default_config_static_selectorELNS0_4arch9wavefront6targetE0EEEvT1_: ; @_ZN7rocprim17ROCPRIM_400000_NS6detail17trampoline_kernelINS0_14default_configENS1_27scan_by_key_config_selectorIixEEZZNS1_16scan_by_key_implILNS1_25lookback_scan_determinismE0ELb1ES3_N6thrust23THRUST_200600_302600_NS6detail15normal_iteratorINS9_10device_ptrIiEEEENSB_INSC_IxEEEESG_xNS9_4plusIvEENS9_8equal_toIvEExEE10hipError_tPvRmT2_T3_T4_T5_mT6_T7_P12ihipStream_tbENKUlT_T0_E_clISt17integral_constantIbLb0EES10_IbLb1EEEEDaSW_SX_EUlSW_E_NS1_11comp_targetILNS1_3genE0ELNS1_11target_archE4294967295ELNS1_3gpuE0ELNS1_3repE0EEENS1_30default_config_static_selectorELNS0_4arch9wavefront6targetE0EEEvT1_
; %bb.0:
	s_clause 0x3
	s_load_b256 s[12:19], s[0:1], 0x0
	s_load_b64 s[36:37], s[0:1], 0x20
	s_load_b256 s[20:27], s[0:1], 0x30
	s_load_b64 s[38:39], s[0:1], 0x50
	v_cmp_ne_u32_e64 s3, 0, v0
	v_cmp_eq_u32_e64 s2, 0, v0
	s_and_saveexec_b32 s4, s2
	s_cbranch_execz .LBB1598_4
; %bb.1:
	s_mov_b32 s6, exec_lo
	s_mov_b32 s5, exec_lo
	v_mbcnt_lo_u32_b32 v1, s6, 0
                                        ; implicit-def: $vgpr2
	s_delay_alu instid0(VALU_DEP_1)
	v_cmpx_eq_u32_e32 0, v1
	s_cbranch_execz .LBB1598_3
; %bb.2:
	s_load_b64 s[8:9], s[0:1], 0x80
	s_bcnt1_i32_b32 s6, s6
	s_delay_alu instid0(SALU_CYCLE_1)
	v_dual_mov_b32 v2, 0 :: v_dual_mov_b32 v3, s6
	s_wait_xcnt 0x0
	s_wait_kmcnt 0x0
	global_atomic_add_u32 v2, v2, v3, s[8:9] th:TH_ATOMIC_RETURN scope:SCOPE_DEV
.LBB1598_3:
	s_wait_xcnt 0x0
	s_or_b32 exec_lo, exec_lo, s5
	s_wait_loadcnt 0x0
	v_readfirstlane_b32 s5, v2
	s_delay_alu instid0(VALU_DEP_1)
	v_dual_mov_b32 v2, 0 :: v_dual_add_nc_u32 v1, s5, v1
	ds_store_b32 v2, v1
.LBB1598_4:
	s_or_b32 exec_lo, exec_lo, s4
	v_mov_b32_e32 v3, 0
	s_clause 0x1
	s_load_b32 s4, s[0:1], 0x58
	s_load_b128 s[28:31], s[0:1], 0x60
	s_wait_dscnt 0x0
	s_barrier_signal -1
	s_barrier_wait -1
	ds_load_b32 v2, v3
	s_wait_kmcnt 0x0
	s_lshl_b64 s[0:1], s[14:15], 2
	s_mov_b32 s5, 0
	s_add_nc_u64 s[6:7], s[12:13], s[0:1]
	s_lshl_b64 s[34:35], s[14:15], 3
	s_wait_dscnt 0x0
	s_add_nc_u64 s[8:9], s[16:17], s[34:35]
	s_barrier_signal -1
	s_barrier_wait -1
	s_barrier_signal -1
	s_barrier_wait -1
	s_mul_u64 s[0:1], s[38:39], s[4:5]
	s_add_nc_u64 s[10:11], s[28:29], -1
	s_delay_alu instid0(SALU_CYCLE_1)
	s_mul_i32 s27, s10, 0xfffffb00
	v_add_nc_u64_e32 v[4:5], s[0:1], v[2:3]
	v_readfirstlane_b32 s33, v2
	s_mul_i32 s4, s33, 0x500
	v_cmp_le_u64_e64 s0, s[10:11], v[4:5]
	s_lshl_b64 s[12:13], s[4:5], 2
	s_lshl_b64 s[28:29], s[4:5], 3
	s_add_nc_u64 s[16:17], s[6:7], s[12:13]
	s_add_nc_u64 s[14:15], s[8:9], s[28:29]
	s_and_b32 vcc_lo, exec_lo, s0
	s_cbranch_vccz .LBB1598_60
; %bb.5:
	flat_load_b32 v1, v3, s[16:17]
	s_add_co_i32 s41, s27, s26
	s_delay_alu instid0(SALU_CYCLE_1)
	v_cmp_gt_u32_e32 vcc_lo, s41, v0
	s_wait_loadcnt_dscnt 0x0
	v_mov_b32_e32 v2, v1
	s_and_saveexec_b32 s1, vcc_lo
	s_cbranch_execz .LBB1598_7
; %bb.6:
	flat_load_b32 v2, v0, s[16:17] scale_offset
.LBB1598_7:
	s_wait_xcnt 0x0
	s_or_b32 exec_lo, exec_lo, s1
	v_or_b32_e32 v3, 0x80, v0
	s_delay_alu instid0(VALU_DEP_1)
	v_cmp_gt_u32_e64 s1, s41, v3
	v_mov_b32_e32 v3, v1
	s_and_saveexec_b32 s4, s1
	s_cbranch_execz .LBB1598_9
; %bb.8:
	flat_load_b32 v3, v0, s[16:17] offset:512 scale_offset
.LBB1598_9:
	s_wait_xcnt 0x0
	s_or_b32 exec_lo, exec_lo, s4
	v_or_b32_e32 v4, 0x100, v0
	s_delay_alu instid0(VALU_DEP_1)
	v_cmp_gt_u32_e64 s4, s41, v4
	v_mov_b32_e32 v4, v1
	s_and_saveexec_b32 s5, s4
	s_cbranch_execz .LBB1598_11
; %bb.10:
	flat_load_b32 v4, v0, s[16:17] offset:1024 scale_offset
.LBB1598_11:
	;; [unrolled: 11-line block ×8, first 2 shown]
	s_wait_xcnt 0x0
	s_or_b32 exec_lo, exec_lo, s11
	v_or_b32_e32 v11, 0x480, v0
	s_delay_alu instid0(VALU_DEP_1) | instskip(SKIP_2) | instid1(SALU_CYCLE_1)
	v_cmp_gt_u32_e64 s11, s41, v11
	v_cmp_le_u32_e64 s12, s41, v11
	s_and_saveexec_b32 s13, s12
	s_xor_b32 s12, exec_lo, s13
	s_delay_alu instid0(SALU_CYCLE_1)
	s_and_not1_saveexec_b32 s12, s12
	s_cbranch_execz .LBB1598_25
; %bb.24:
	flat_load_b32 v1, v0, s[16:17] offset:4608 scale_offset
.LBB1598_25:
	s_wait_xcnt 0x0
	s_or_b32 exec_lo, exec_lo, s12
	v_lshlrev_b32_e32 v11, 2, v0
	s_mov_b32 s13, exec_lo
	s_wait_loadcnt_dscnt 0x0
	ds_store_2addr_stride64_b32 v11, v2, v3 offset1:2
	ds_store_2addr_stride64_b32 v11, v4, v5 offset0:4 offset1:6
	ds_store_2addr_stride64_b32 v11, v6, v7 offset0:8 offset1:10
	;; [unrolled: 1-line block ×4, first 2 shown]
	v_mov_b32_e32 v1, 0
	s_wait_dscnt 0x0
	s_barrier_signal -1
	s_barrier_wait -1
	flat_load_b32 v59, v1, s[16:17]
	s_wait_xcnt 0x0
	v_mad_u32_u24 v1, v0, 36, v11
	ds_load_2addr_b64 v[6:9], v1 offset1:1
	ds_load_2addr_b64 v[2:5], v1 offset0:2 offset1:3
	ds_load_b64 v[50:51], v1 offset:32
	v_mad_i32_i24 v1, 0xffffffdc, v0, v1
	s_wait_dscnt 0x2
	ds_store_b32 v1, v6 offset:5632
	s_wait_loadcnt_dscnt 0x0
	s_barrier_signal -1
	s_barrier_wait -1
	v_cmpx_ne_u32_e32 0x7f, v0
; %bb.26:
	ds_load_b32 v59, v1 offset:5636
; %bb.27:
	s_or_b32 exec_lo, exec_lo, s13
	s_wait_dscnt 0x0
	s_barrier_signal -1
	s_barrier_wait -1
                                        ; implicit-def: $vgpr10_vgpr11
	s_and_saveexec_b32 s12, vcc_lo
	s_cbranch_execz .LBB1598_124
; %bb.28:
	flat_load_b64 v[10:11], v0, s[14:15] scale_offset
	s_wait_xcnt 0x0
	s_or_b32 exec_lo, exec_lo, s12
                                        ; implicit-def: $vgpr12_vgpr13
	s_and_saveexec_b32 s12, s1
	s_cbranch_execnz .LBB1598_125
.LBB1598_29:
	s_or_b32 exec_lo, exec_lo, s12
                                        ; implicit-def: $vgpr14_vgpr15
	s_and_saveexec_b32 s1, s4
	s_cbranch_execz .LBB1598_126
.LBB1598_30:
	flat_load_b64 v[14:15], v0, s[14:15] offset:2048 scale_offset
	s_wait_xcnt 0x0
	s_or_b32 exec_lo, exec_lo, s1
                                        ; implicit-def: $vgpr16_vgpr17
	s_and_saveexec_b32 s1, s5
	s_cbranch_execnz .LBB1598_127
.LBB1598_31:
	s_or_b32 exec_lo, exec_lo, s1
                                        ; implicit-def: $vgpr18_vgpr19
	s_and_saveexec_b32 s1, s6
	s_cbranch_execz .LBB1598_128
.LBB1598_32:
	flat_load_b64 v[18:19], v0, s[14:15] offset:4096 scale_offset
	s_wait_xcnt 0x0
	s_or_b32 exec_lo, exec_lo, s1
                                        ; implicit-def: $vgpr20_vgpr21
	s_and_saveexec_b32 s1, s7
	s_cbranch_execnz .LBB1598_129
.LBB1598_33:
	s_or_b32 exec_lo, exec_lo, s1
                                        ; implicit-def: $vgpr22_vgpr23
	s_and_saveexec_b32 s1, s8
	s_cbranch_execz .LBB1598_130
.LBB1598_34:
	flat_load_b64 v[22:23], v0, s[14:15] offset:6144 scale_offset
	s_wait_xcnt 0x0
	s_or_b32 exec_lo, exec_lo, s1
                                        ; implicit-def: $vgpr24_vgpr25
	s_and_saveexec_b32 s1, s9
	s_cbranch_execnz .LBB1598_131
.LBB1598_35:
	s_or_b32 exec_lo, exec_lo, s1
                                        ; implicit-def: $vgpr26_vgpr27
	s_and_saveexec_b32 s1, s10
	s_cbranch_execz .LBB1598_37
.LBB1598_36:
	flat_load_b64 v[26:27], v0, s[14:15] offset:8192 scale_offset
.LBB1598_37:
	s_wait_xcnt 0x0
	s_or_b32 exec_lo, exec_lo, s1
	v_mul_u32_u24_e32 v67, 10, v0
                                        ; implicit-def: $vgpr28_vgpr29
	s_and_saveexec_b32 s1, s11
	s_cbranch_execz .LBB1598_39
; %bb.38:
	flat_load_b64 v[28:29], v0, s[14:15] offset:9216 scale_offset
.LBB1598_39:
	s_wait_xcnt 0x0
	s_or_b32 exec_lo, exec_lo, s1
	v_lshl_add_u32 v68, v0, 2, v1
	v_mov_b64_e32 v[48:49], 0
	v_mov_b64_e32 v[46:47], 0
	;; [unrolled: 1-line block ×4, first 2 shown]
	s_wait_loadcnt_dscnt 0x0
	ds_store_2addr_stride64_b64 v68, v[10:11], v[12:13] offset1:2
	ds_store_2addr_stride64_b64 v68, v[14:15], v[16:17] offset0:4 offset1:6
	ds_store_2addr_stride64_b64 v68, v[18:19], v[20:21] offset0:8 offset1:10
	;; [unrolled: 1-line block ×4, first 2 shown]
	v_mov_b64_e32 v[26:27], 0
	v_mov_b64_e32 v[14:15], 0
	;; [unrolled: 1-line block ×14, first 2 shown]
	v_cmp_gt_u32_e32 vcc_lo, s41, v67
	v_dual_mov_b32 v52, 0 :: v_dual_mov_b32 v53, 0
	v_dual_mov_b32 v54, 0 :: v_dual_mov_b32 v55, 0
	;; [unrolled: 1-line block ×9, first 2 shown]
	s_mov_b32 s12, 0
	s_mov_b32 s5, 0
	s_wait_dscnt 0x0
	s_barrier_signal -1
	s_barrier_wait -1
                                        ; implicit-def: $sgpr13
	s_and_saveexec_b32 s40, vcc_lo
	s_cbranch_execz .LBB1598_59
; %bb.40:
	v_mad_u32_u24 v1, 0x48, v0, v68
	v_dual_mov_b32 v52, 0 :: v_dual_bitop2_b32 v12, 1, v67 bitop3:0x54
	v_cmp_ne_u32_e32 vcc_lo, v6, v7
	v_mov_b64_e32 v[14:15], 0
	ds_load_b64 v[10:11], v1
	v_mov_b64_e32 v[48:49], 0
	v_mov_b64_e32 v[16:17], 0
	;; [unrolled: 1-line block ×16, first 2 shown]
	v_dual_mov_b32 v53, 0 :: v_dual_mov_b32 v54, 0
	v_dual_mov_b32 v55, 0 :: v_dual_mov_b32 v56, 0
	;; [unrolled: 1-line block ×4, first 2 shown]
	v_cmp_gt_u32_e64 s1, s41, v12
	s_wait_dscnt 0x0
	v_cndmask_b32_e64 v27, v11, s37, vcc_lo
	v_cndmask_b32_e64 v26, v10, s36, vcc_lo
	v_dual_mov_b32 v61, 0 :: v_dual_mov_b32 v63, 0
	v_dual_mov_b32 v64, 0 :: v_dual_mov_b32 v10, 0
	;; [unrolled: 1-line block ×3, first 2 shown]
	v_mov_b32_e32 v12, 0
	s_mov_b32 s4, 0
                                        ; implicit-def: $sgpr13
	s_and_saveexec_b32 s42, s1
	s_cbranch_execz .LBB1598_58
; %bb.41:
	v_mul_u32_u24_e32 v1, 0x48, v0
	v_cmp_ne_u32_e64 s1, v7, v8
	v_mov_b64_e32 v[14:15], 0
	v_mov_b64_e32 v[48:49], 0
	;; [unrolled: 1-line block ×3, first 2 shown]
	v_dual_add_nc_u32 v1, v68, v1 :: v_dual_mov_b32 v53, 0
	v_mov_b64_e32 v[46:47], 0
	v_mov_b64_e32 v[18:19], 0
	;; [unrolled: 1-line block ×3, first 2 shown]
	ds_load_2addr_b64 v[10:13], v1 offset0:1 offset1:2
	v_mov_b64_e32 v[40:41], 0
	v_mov_b64_e32 v[32:33], 0
	;; [unrolled: 1-line block ×9, first 2 shown]
	v_dual_add_nc_u32 v6, 2, v67 :: v_dual_mov_b32 v52, 0
	v_dual_mov_b32 v54, 0 :: v_dual_mov_b32 v55, 0
	v_dual_mov_b32 v56, 0 :: v_dual_mov_b32 v57, 0
	;; [unrolled: 1-line block ×4, first 2 shown]
	v_mov_b32_e32 v64, 0
	s_wait_dscnt 0x0
	v_cndmask_b32_e64 v43, v11, s37, s1
	v_cndmask_b32_e64 v42, v10, s36, s1
	v_dual_mov_b32 v10, 0 :: v_dual_mov_b32 v11, 0
	v_mov_b32_e32 v65, 0
	s_mov_b32 s43, exec_lo
                                        ; implicit-def: $sgpr13
	v_cmpx_gt_u32_e64 s41, v6
	s_cbranch_execz .LBB1598_57
; %bb.42:
	v_cmp_ne_u32_e64 s4, v8, v9
	v_dual_add_nc_u32 v6, 3, v67 :: v_dual_mov_b32 v52, 0
	v_mov_b64_e32 v[14:15], 0
	v_mov_b64_e32 v[48:49], 0
	;; [unrolled: 1-line block ×13, first 2 shown]
	v_cndmask_b32_e64 v41, v13, s37, s4
	v_cndmask_b32_e64 v40, v12, s36, s4
	v_cmp_gt_u32_e64 s5, s41, v6
	v_dual_mov_b32 v53, 0 :: v_dual_mov_b32 v54, 0
	v_dual_mov_b32 v55, 0 :: v_dual_mov_b32 v56, 0
	;; [unrolled: 1-line block ×5, first 2 shown]
	v_mov_b32_e32 v11, 0
	s_mov_b32 s6, 0
                                        ; implicit-def: $sgpr13
	s_and_saveexec_b32 s44, s5
	s_cbranch_execz .LBB1598_56
; %bb.43:
	ds_load_2addr_b64 v[10:13], v1 offset0:3 offset1:4
	v_cmp_ne_u32_e64 s5, v9, v2
	v_mov_b64_e32 v[14:15], 0
	v_mov_b64_e32 v[48:49], 0
	;; [unrolled: 1-line block ×11, first 2 shown]
	v_dual_add_nc_u32 v6, 4, v67 :: v_dual_mov_b32 v52, 0
	v_dual_mov_b32 v53, 0 :: v_dual_mov_b32 v54, 0
	v_dual_mov_b32 v55, 0 :: v_dual_mov_b32 v56, 0
	;; [unrolled: 1-line block ×3, first 2 shown]
	s_wait_dscnt 0x0
	v_cndmask_b32_e64 v45, v11, s37, s5
	v_cndmask_b32_e64 v44, v10, s36, s5
	v_dual_mov_b32 v63, 0 :: v_dual_mov_b32 v64, 0
	v_mov_b32_e32 v10, 0
	s_mov_b32 s7, 0
	s_mov_b32 s45, exec_lo
                                        ; implicit-def: $sgpr13
	v_cmpx_gt_u32_e64 s41, v6
	s_cbranch_execz .LBB1598_55
; %bb.44:
	v_cmp_ne_u32_e64 s6, v2, v3
	v_mov_b64_e32 v[14:15], 0
	v_mov_b64_e32 v[48:49], 0
	;; [unrolled: 1-line block ×9, first 2 shown]
	v_dual_add_nc_u32 v2, 5, v67 :: v_dual_mov_b32 v52, 0
	v_cndmask_b32_e64 v19, v13, s37, s6
	v_cndmask_b32_e64 v18, v12, s36, s6
	v_dual_mov_b32 v53, 0 :: v_dual_mov_b32 v54, 0
	v_dual_mov_b32 v55, 0 :: v_dual_mov_b32 v62, 0
	;; [unrolled: 1-line block ×3, first 2 shown]
	v_mov_b32_e32 v64, 0
	s_mov_b32 s8, 0
	s_mov_b32 s46, exec_lo
                                        ; implicit-def: $sgpr13
	v_cmpx_gt_u32_e64 s41, v2
	s_cbranch_execz .LBB1598_54
; %bb.45:
	ds_load_2addr_b64 v[6:9], v1 offset0:5 offset1:6
	v_cmp_ne_u32_e64 s7, v3, v4
	v_mov_b64_e32 v[14:15], 0
	v_mov_b64_e32 v[48:49], 0
	;; [unrolled: 1-line block ×7, first 2 shown]
	v_dual_add_nc_u32 v2, 6, v67 :: v_dual_mov_b32 v52, 0
	v_dual_mov_b32 v53, 0 :: v_dual_mov_b32 v54, 0
	v_dual_mov_b32 v62, 0 :: v_dual_mov_b32 v61, 0
	v_mov_b32_e32 v63, 0
	s_mov_b32 s9, 0
	s_mov_b32 s47, exec_lo
                                        ; implicit-def: $sgpr13
	s_wait_dscnt 0x0
	v_cndmask_b32_e64 v47, v7, s37, s7
	v_cndmask_b32_e64 v46, v6, s36, s7
	v_cmpx_gt_u32_e64 s41, v2
	s_cbranch_execz .LBB1598_53
; %bb.46:
	v_cmp_ne_u32_e64 s8, v4, v5
	v_mov_b64_e32 v[14:15], 0
	v_mov_b64_e32 v[48:49], 0
	;; [unrolled: 1-line block ×4, first 2 shown]
	v_dual_add_nc_u32 v2, 7, v67 :: v_dual_mov_b32 v52, 0
	v_cndmask_b32_e64 v17, v9, s37, s8
	v_cndmask_b32_e64 v16, v8, s36, s8
	v_dual_mov_b32 v53, 0 :: v_dual_mov_b32 v61, 0
	s_mov_b32 s10, 0
	s_mov_b32 s48, exec_lo
                                        ; implicit-def: $sgpr13
	v_cmpx_gt_u32_e64 s41, v2
	s_cbranch_execz .LBB1598_52
; %bb.47:
	ds_load_2addr_b64 v[6:9], v1 offset0:7 offset1:8
	v_cmp_ne_u32_e64 s9, v5, v50
	v_mov_b64_e32 v[14:15], 0
	v_mov_b64_e32 v[32:33], 0
	v_dual_add_nc_u32 v2, 8, v67 :: v_dual_mov_b32 v52, 0
	s_mov_b32 s11, 0
	s_mov_b32 s49, exec_lo
                                        ; implicit-def: $sgpr13
	s_wait_dscnt 0x0
	v_cndmask_b32_e64 v49, v7, s37, s9
	v_cndmask_b32_e64 v48, v6, s36, s9
	v_cmpx_gt_u32_e64 s41, v2
	s_cbranch_execz .LBB1598_51
; %bb.48:
	v_cmp_ne_u32_e64 s10, v50, v51
	v_add_nc_u32_e32 v2, 9, v67
	v_mov_b64_e32 v[32:33], 0
                                        ; implicit-def: $sgpr13
	s_delay_alu instid0(VALU_DEP_3) | instskip(SKIP_1) | instid1(VALU_DEP_4)
	v_cndmask_b32_e64 v15, v9, s37, s10
	v_cndmask_b32_e64 v14, v8, s36, s10
	v_cmp_gt_u32_e64 s11, s41, v2
	s_mov_b32 s41, 0
	s_and_saveexec_b32 s50, s11
	s_delay_alu instid0(SALU_CYCLE_1)
	s_xor_b32 s11, exec_lo, s50
	s_cbranch_execz .LBB1598_50
; %bb.49:
	ds_load_b64 v[2:3], v1 offset:72
	v_cmp_ne_u32_e64 s13, v51, v59
	s_mov_b32 s41, exec_lo
	s_wait_dscnt 0x0
	v_cndmask_b32_e64 v33, v3, s37, s13
	v_cndmask_b32_e64 v32, v2, s36, s13
.LBB1598_50:
	s_or_b32 exec_lo, exec_lo, s11
	v_cndmask_b32_e64 v52, 0, 1, s10
	s_and_b32 s11, s41, exec_lo
.LBB1598_51:
	s_or_b32 exec_lo, exec_lo, s49
	v_cndmask_b32_e64 v53, 0, 1, s9
	v_mov_b64_e32 v[22:23], v[48:49]
	s_and_b32 s10, s11, exec_lo
	s_delay_alu instid0(VALU_DEP_2)
	v_mov_b32_e32 v61, v53
.LBB1598_52:
	s_or_b32 exec_lo, exec_lo, s48
	v_cndmask_b32_e64 v54, 0, 1, s8
	v_mov_b64_e32 v[20:21], v[14:15]
	v_mov_b64_e32 v[24:25], v[16:17]
	v_mov_b32_e32 v62, v52
	s_and_b32 s9, s10, exec_lo
	v_mov_b32_e32 v63, v54
.LBB1598_53:
	s_or_b32 exec_lo, exec_lo, s47
	v_cndmask_b32_e64 v55, 0, 1, s7
	v_mov_b64_e32 v[28:29], v[46:47]
	s_and_b32 s8, s9, exec_lo
	s_delay_alu instid0(VALU_DEP_2)
	v_mov_b32_e32 v64, v55
.LBB1598_54:
	s_or_b32 exec_lo, exec_lo, s46
	v_cndmask_b32_e64 v56, 0, 1, s6
	v_mov_b64_e32 v[30:31], v[18:19]
	s_and_b32 s7, s8, exec_lo
	s_delay_alu instid0(VALU_DEP_2)
	v_mov_b32_e32 v10, v56
.LBB1598_55:
	s_or_b32 exec_lo, exec_lo, s45
	v_cndmask_b32_e64 v57, 0, 1, s5
	v_mov_b64_e32 v[34:35], v[44:45]
	s_and_b32 s6, s7, exec_lo
	s_delay_alu instid0(VALU_DEP_2)
	v_mov_b32_e32 v11, v57
.LBB1598_56:
	s_or_b32 exec_lo, exec_lo, s44
	v_cndmask_b32_e64 v58, 0, 1, s4
	v_mov_b64_e32 v[36:37], v[40:41]
	s_and_b32 s5, s6, exec_lo
	s_delay_alu instid0(VALU_DEP_2)
	v_mov_b32_e32 v65, v58
.LBB1598_57:
	s_or_b32 exec_lo, exec_lo, s43
	v_cndmask_b32_e64 v60, 0, 1, s1
	v_mov_b64_e32 v[38:39], v[42:43]
	s_and_b32 s4, s5, exec_lo
	s_delay_alu instid0(VALU_DEP_2)
	v_mov_b32_e32 v12, v60
.LBB1598_58:
	s_or_b32 exec_lo, exec_lo, s42
	v_cndmask_b32_e64 v66, 0, 1, vcc_lo
	s_and_b32 s5, s4, exec_lo
	s_delay_alu instid0(VALU_DEP_1)
	v_mov_b32_e32 v1, v66
.LBB1598_59:
	s_or_b32 exec_lo, exec_lo, s40
	s_delay_alu instid0(SALU_CYCLE_1)
	s_and_b32 vcc_lo, exec_lo, s12
	s_cbranch_vccnz .LBB1598_61
	s_branch .LBB1598_66
.LBB1598_60:
                                        ; implicit-def: $sgpr13
                                        ; implicit-def: $vgpr26_vgpr27
                                        ; implicit-def: $vgpr52
                                        ; implicit-def: $vgpr14_vgpr15
                                        ; implicit-def: $vgpr53
                                        ; implicit-def: $vgpr48_vgpr49
                                        ; implicit-def: $vgpr54
                                        ; implicit-def: $vgpr16_vgpr17
                                        ; implicit-def: $vgpr55
                                        ; implicit-def: $vgpr46_vgpr47
                                        ; implicit-def: $vgpr56
                                        ; implicit-def: $vgpr18_vgpr19
                                        ; implicit-def: $vgpr57
                                        ; implicit-def: $vgpr44_vgpr45
                                        ; implicit-def: $vgpr58
                                        ; implicit-def: $vgpr40_vgpr41
                                        ; implicit-def: $vgpr60
                                        ; implicit-def: $vgpr42_vgpr43
                                        ; implicit-def: $vgpr66
                                        ; implicit-def: $vgpr32_vgpr33
                                        ; implicit-def: $vgpr62
                                        ; implicit-def: $vgpr20_vgpr21
                                        ; implicit-def: $vgpr61
                                        ; implicit-def: $vgpr22_vgpr23
                                        ; implicit-def: $vgpr63
                                        ; implicit-def: $vgpr24_vgpr25
                                        ; implicit-def: $vgpr64
                                        ; implicit-def: $vgpr28_vgpr29
                                        ; implicit-def: $vgpr10
                                        ; implicit-def: $vgpr30_vgpr31
                                        ; implicit-def: $vgpr11
                                        ; implicit-def: $vgpr34_vgpr35
                                        ; implicit-def: $vgpr65
                                        ; implicit-def: $vgpr36_vgpr37
                                        ; implicit-def: $vgpr12
                                        ; implicit-def: $vgpr38_vgpr39
                                        ; implicit-def: $vgpr1
	s_cbranch_execz .LBB1598_66
.LBB1598_61:
	s_clause 0x9
	flat_load_b32 v1, v0, s[16:17] scale_offset
	flat_load_b32 v2, v0, s[16:17] offset:512 scale_offset
	flat_load_b32 v3, v0, s[16:17] offset:1024 scale_offset
	;; [unrolled: 1-line block ×9, first 2 shown]
	v_dual_mov_b32 v12, 0 :: v_dual_lshlrev_b32 v11, 2, v0
	s_mov_b32 s1, exec_lo
	s_wait_loadcnt_dscnt 0x808
	ds_store_2addr_stride64_b32 v11, v1, v2 offset1:2
	s_wait_loadcnt_dscnt 0x607
	ds_store_2addr_stride64_b32 v11, v3, v4 offset0:4 offset1:6
	s_wait_loadcnt_dscnt 0x406
	ds_store_2addr_stride64_b32 v11, v5, v6 offset0:8 offset1:10
	;; [unrolled: 2-line block ×4, first 2 shown]
	s_wait_dscnt 0x0
	s_barrier_signal -1
	s_barrier_wait -1
	flat_load_b32 v1, v12, s[16:17] offset:5120
	v_mad_u32_u24 v10, v0, 36, v11
	ds_load_2addr_b64 v[6:9], v10 offset1:1
	ds_load_2addr_b64 v[2:5], v10 offset0:2 offset1:3
	ds_load_b64 v[28:29], v10 offset:32
	v_mad_i32_i24 v10, 0xffffffdc, v0, v10
	s_wait_dscnt 0x2
	ds_store_b32 v10, v6 offset:5632
	s_wait_loadcnt_dscnt 0x0
	s_barrier_signal -1
	s_barrier_wait -1
	v_cmpx_ne_u32_e32 0x7f, v0
; %bb.62:
	ds_load_b32 v1, v10 offset:5636
; %bb.63:
	s_or_b32 exec_lo, exec_lo, s1
	s_wait_dscnt 0x0
	s_barrier_signal -1
	s_barrier_wait -1
	s_clause 0x9
	flat_load_b64 v[12:13], v0, s[14:15] scale_offset
	flat_load_b64 v[14:15], v0, s[14:15] offset:1024 scale_offset
	flat_load_b64 v[16:17], v0, s[14:15] offset:2048 scale_offset
	;; [unrolled: 1-line block ×9, first 2 shown]
	v_lshl_add_u32 v32, v0, 2, v10
	s_mov_b32 s4, exec_lo
	v_cmp_ne_u32_e32 vcc_lo, v6, v7
	s_wait_loadcnt_dscnt 0x808
	ds_store_2addr_stride64_b64 v32, v[12:13], v[14:15] offset1:2
	s_wait_loadcnt_dscnt 0x607
	ds_store_2addr_stride64_b64 v32, v[16:17], v[18:19] offset0:4 offset1:6
	s_wait_loadcnt_dscnt 0x406
	ds_store_2addr_stride64_b64 v32, v[20:21], v[22:23] offset0:8 offset1:10
	;; [unrolled: 2-line block ×4, first 2 shown]
	v_mad_u32_u24 v33, 0x48, v0, v32
	s_wait_dscnt 0x0
	s_barrier_signal -1
	s_barrier_wait -1
	ds_load_2addr_b64 v[22:25], v33 offset0:1 offset1:2
	ds_load_2addr_b64 v[18:21], v33 offset0:3 offset1:4
	ds_load_2addr_b64 v[14:17], v33 offset0:5 offset1:6
	ds_load_2addr_b64 v[10:13], v33 offset0:7 offset1:8
	ds_load_b64 v[30:31], v33 offset:72
	v_mov_b64_e32 v[26:27], s[36:37]
	v_cmpx_eq_u32_e64 v6, v7
; %bb.64:
	v_mul_u32_u24_e32 v6, 0x48, v0
	s_delay_alu instid0(VALU_DEP_1)
	v_add_nc_u32_e32 v6, v32, v6
	ds_load_b64 v[26:27], v6
; %bb.65:
	s_or_b32 exec_lo, exec_lo, s4
	v_cndmask_b32_e64 v66, 0, 1, vcc_lo
	v_cmp_ne_u32_e32 vcc_lo, v7, v8
	v_cmp_ne_u32_e64 s1, v8, v9
	v_cmp_ne_u32_e64 s4, v9, v2
	;; [unrolled: 1-line block ×8, first 2 shown]
	s_wait_dscnt 0x4
	v_cndmask_b32_e64 v43, v23, s37, vcc_lo
	v_cndmask_b32_e64 v42, v22, s36, vcc_lo
	v_cndmask_b32_e64 v41, v25, s37, s1
	v_cndmask_b32_e64 v40, v24, s36, s1
	s_wait_dscnt 0x3
	v_cndmask_b32_e64 v45, v19, s37, s4
	v_cndmask_b32_e64 v44, v18, s36, s4
	v_cndmask_b32_e64 v19, v21, s37, s5
	v_cndmask_b32_e64 v18, v20, s36, s5
	s_wait_dscnt 0x2
	v_cndmask_b32_e64 v47, v15, s37, s6
	v_cndmask_b32_e64 v46, v14, s36, s6
	v_cndmask_b32_e64 v17, v17, s37, s7
	v_cndmask_b32_e64 v16, v16, s36, s7
	s_wait_dscnt 0x1
	v_cndmask_b32_e64 v49, v11, s37, s8
	v_cndmask_b32_e64 v15, v13, s37, s9
	v_cndmask_b32_e64 v14, v12, s36, s9
	v_cndmask_b32_e64 v48, v10, s36, s8
	v_cndmask_b32_e64 v60, 0, 1, vcc_lo
	v_cndmask_b32_e64 v58, 0, 1, s1
	v_cndmask_b32_e64 v57, 0, 1, s4
	;; [unrolled: 1-line block ×7, first 2 shown]
	s_wait_dscnt 0x0
	v_cndmask_b32_e64 v33, v31, s37, s13
	v_cndmask_b32_e64 v32, v30, s36, s13
	v_mov_b64_e32 v[20:21], v[14:15]
	v_mov_b64_e32 v[22:23], v[48:49]
	;; [unrolled: 1-line block ×8, first 2 shown]
	v_dual_mov_b32 v62, v52 :: v_dual_mov_b32 v61, v53
	v_dual_mov_b32 v63, v54 :: v_dual_mov_b32 v64, v55
	v_dual_mov_b32 v10, v56 :: v_dual_mov_b32 v11, v57
	v_dual_mov_b32 v65, v58 :: v_dual_mov_b32 v12, v60
	v_mov_b32_e32 v1, v66
	s_mov_b32 s5, -1
.LBB1598_66:
	v_mov_b32_e32 v50, 0
	s_and_saveexec_b32 s1, s5
	s_cbranch_execz .LBB1598_68
; %bb.67:
	v_mov_b64_e32 v[38:39], v[42:43]
	v_mov_b64_e32 v[36:37], v[40:41]
	;; [unrolled: 1-line block ×8, first 2 shown]
	v_cndmask_b32_e64 v50, 0, 1, s13
	v_dual_mov_b32 v1, v66 :: v_dual_mov_b32 v12, v60
	v_dual_mov_b32 v65, v58 :: v_dual_mov_b32 v11, v57
	;; [unrolled: 1-line block ×4, first 2 shown]
	v_mov_b32_e32 v62, v52
.LBB1598_68:
	s_or_b32 exec_lo, exec_lo, s1
	v_and_b32_e32 v47, 1, v11
	s_delay_alu instid0(VALU_DEP_3)
	v_and_b32_e32 v46, 1, v63
	v_and_b32_e32 v45, 1, v1
	;; [unrolled: 1-line block ×4, first 2 shown]
	v_bitop3_b16 v49, v65, 0xff, v12 bitop3:0xc8
	v_and_b32_e32 v58, 0xff, v11
	v_cmp_eq_u32_e64 s11, 1, v47
	v_and_b32_e32 v57, 0xff, v10
	v_and_b32_e32 v56, 0xff, v64
	v_bitop3_b16 v51, v64, 0xff, v10 bitop3:0xc8
	v_and_b32_e32 v55, 0xff, v63
	v_cmp_eq_u32_e64 s13, 1, v46
	v_and_b32_e32 v54, 0xff, v61
	v_and_b32_e32 v53, 0xff, v62
	v_bitop3_b16 v52, v62, 0xff, v61 bitop3:0xc8
	v_cmp_eq_u16_e64 s12, 0, v50
	v_and_b32_e32 v48, 1, v50
	v_mbcnt_lo_u32_b32 v44, -1, 0
	s_cmp_lg_u32 s33, 0
	v_cmp_eq_u32_e32 vcc_lo, 1, v45
	s_barrier_signal -1
	s_barrier_wait -1
	s_cbranch_scc0 .LBB1598_132
; %bb.69:
	v_cmp_eq_u16_e64 s1, 0, v60
	v_cmp_eq_u16_e64 s4, 0, v59
	;; [unrolled: 1-line block ×5, first 2 shown]
	v_dual_cndmask_b32 v3, 0, v27, s1 :: v_dual_cndmask_b32 v2, 0, v26, s1
	v_cmp_eq_u16_e64 s8, 0, v55
	v_cmp_eq_u16_e64 s9, 0, v54
	;; [unrolled: 1-line block ×3, first 2 shown]
	v_cmp_ne_u16_e64 s15, 0, v51
	v_add_nc_u64_e32 v[2:3], v[2:3], v[38:39]
	v_cmp_ne_u16_e64 s16, 0, v52
	v_cmp_eq_u32_e64 s17, 1, v48
	v_cmp_ne_u16_e64 s14, 0, v49
	s_or_b32 s13, s15, s13
	v_dual_cndmask_b32 v3, 0, v3, s4 :: v_dual_bitop2_b32 v4, 15, v44 bitop3:0x40
	v_cndmask_b32_e64 v2, 0, v2, s4
	s_or_b32 s15, s16, s17
	s_or_b32 s11, s14, s11
	;; [unrolled: 1-line block ×3, first 2 shown]
	s_delay_alu instid0(VALU_DEP_1) | instskip(SKIP_1) | instid1(SALU_CYCLE_1)
	v_add_nc_u64_e32 v[2:3], v[2:3], v[36:37]
	s_or_b32 s11, s13, s11
	s_or_b32 s11, s11, vcc_lo
	s_delay_alu instid0(SALU_CYCLE_1) | instskip(SKIP_1) | instid1(VALU_DEP_3)
	v_cndmask_b32_e64 v5, 0, 1, s11
	v_cndmask_b32_e64 v6, 0, 1, s11
	v_dual_cndmask_b32 v3, 0, v3, s5 :: v_dual_cndmask_b32 v2, 0, v2, s5
	s_delay_alu instid0(VALU_DEP_3) | instskip(NEXT) | instid1(VALU_DEP_2)
	v_mov_b32_dpp v7, v5 row_shr:1 row_mask:0xf bank_mask:0xf
	v_add_nc_u64_e32 v[2:3], v[2:3], v[34:35]
	s_delay_alu instid0(VALU_DEP_1) | instskip(NEXT) | instid1(VALU_DEP_1)
	v_dual_cndmask_b32 v3, 0, v3, s6 :: v_dual_cndmask_b32 v2, 0, v2, s6
	v_add_nc_u64_e32 v[2:3], v[2:3], v[30:31]
	s_delay_alu instid0(VALU_DEP_1) | instskip(NEXT) | instid1(VALU_DEP_1)
	v_dual_cndmask_b32 v3, 0, v3, s7 :: v_dual_cndmask_b32 v2, 0, v2, s7
	;; [unrolled: 3-line block ×5, first 2 shown]
	v_add_nc_u64_e32 v[2:3], v[2:3], v[20:21]
	s_delay_alu instid0(VALU_DEP_1) | instskip(SKIP_1) | instid1(VALU_DEP_1)
	v_dual_cndmask_b32 v3, 0, v3, s12 :: v_dual_cndmask_b32 v2, 0, v2, s12
	s_mov_b32 s12, exec_lo
	v_add_nc_u64_e32 v[2:3], v[2:3], v[32:33]
	s_delay_alu instid0(VALU_DEP_1) | instskip(NEXT) | instid1(VALU_DEP_2)
	v_mov_b32_dpp v8, v2 row_shr:1 row_mask:0xf bank_mask:0xf
	v_mov_b32_dpp v9, v3 row_shr:1 row_mask:0xf bank_mask:0xf
	v_cmpx_ne_u32_e32 0, v4
; %bb.70:
	s_delay_alu instid0(VALU_DEP_2) | instskip(NEXT) | instid1(VALU_DEP_4)
	v_cndmask_b32_e64 v9, v9, 0, s11
	v_cndmask_b32_e64 v8, v8, 0, s11
	v_bitop3_b16 v6, v7, v6, 1 bitop3:0xec
	s_delay_alu instid0(VALU_DEP_2) | instskip(NEXT) | instid1(VALU_DEP_2)
	v_add_nc_u64_e32 v[2:3], v[8:9], v[2:3]
	v_and_b32_e32 v5, 0xffff, v6
; %bb.71:
	s_or_b32 exec_lo, exec_lo, s12
	s_delay_alu instid0(VALU_DEP_2) | instskip(NEXT) | instid1(VALU_DEP_3)
	v_mov_b32_dpp v7, v2 row_shr:2 row_mask:0xf bank_mask:0xf
	v_mov_b32_dpp v8, v3 row_shr:2 row_mask:0xf bank_mask:0xf
	s_delay_alu instid0(VALU_DEP_3)
	v_mov_b32_dpp v9, v5 row_shr:2 row_mask:0xf bank_mask:0xf
	s_mov_b32 s12, exec_lo
	v_cmpx_lt_u32_e32 1, v4
	s_cbranch_execz .LBB1598_73
; %bb.72:
	v_cmp_eq_u16_e32 vcc_lo, 0, v6
	v_and_b32_e32 v5, 1, v6
	v_dual_cndmask_b32 v9, 0, v8, vcc_lo :: v_dual_bitop2_b32 v6, 1, v9 bitop3:0x40
	v_cndmask_b32_e32 v8, 0, v7, vcc_lo
	s_delay_alu instid0(VALU_DEP_3) | instskip(NEXT) | instid1(VALU_DEP_3)
	v_cmp_eq_u32_e32 vcc_lo, 1, v5
	v_cmp_eq_u32_e64 s11, 1, v6
	s_delay_alu instid0(VALU_DEP_3) | instskip(SKIP_1) | instid1(SALU_CYCLE_1)
	v_add_nc_u64_e32 v[2:3], v[8:9], v[2:3]
	s_or_b32 s11, vcc_lo, s11
	v_cndmask_b32_e64 v6, 0, 1, s11
	v_cndmask_b32_e64 v5, 0, 1, s11
.LBB1598_73:
	s_or_b32 exec_lo, exec_lo, s12
	s_delay_alu instid0(VALU_DEP_3) | instskip(NEXT) | instid1(VALU_DEP_4)
	v_mov_b32_dpp v7, v2 row_shr:4 row_mask:0xf bank_mask:0xf
	v_mov_b32_dpp v8, v3 row_shr:4 row_mask:0xf bank_mask:0xf
	s_delay_alu instid0(VALU_DEP_3)
	v_mov_b32_dpp v9, v5 row_shr:4 row_mask:0xf bank_mask:0xf
	s_mov_b32 s12, exec_lo
	v_cmpx_lt_u32_e32 3, v4
	s_cbranch_execz .LBB1598_75
; %bb.74:
	v_cmp_eq_u16_e32 vcc_lo, 0, v6
	v_and_b32_e32 v5, 1, v6
	v_dual_cndmask_b32 v9, 0, v8, vcc_lo :: v_dual_bitop2_b32 v6, 1, v9 bitop3:0x40
	v_cndmask_b32_e32 v8, 0, v7, vcc_lo
	s_delay_alu instid0(VALU_DEP_3) | instskip(NEXT) | instid1(VALU_DEP_3)
	v_cmp_eq_u32_e32 vcc_lo, 1, v5
	v_cmp_eq_u32_e64 s11, 1, v6
	s_delay_alu instid0(VALU_DEP_3) | instskip(SKIP_1) | instid1(SALU_CYCLE_1)
	v_add_nc_u64_e32 v[2:3], v[8:9], v[2:3]
	s_or_b32 s11, vcc_lo, s11
	v_cndmask_b32_e64 v6, 0, 1, s11
	v_cndmask_b32_e64 v5, 0, 1, s11
.LBB1598_75:
	s_or_b32 exec_lo, exec_lo, s12
	s_delay_alu instid0(VALU_DEP_3) | instskip(NEXT) | instid1(VALU_DEP_4)
	v_mov_b32_dpp v7, v2 row_shr:8 row_mask:0xf bank_mask:0xf
	v_mov_b32_dpp v8, v3 row_shr:8 row_mask:0xf bank_mask:0xf
	s_delay_alu instid0(VALU_DEP_3)
	v_mov_b32_dpp v9, v5 row_shr:8 row_mask:0xf bank_mask:0xf
	s_mov_b32 s12, exec_lo
	v_cmpx_lt_u32_e32 7, v4
	s_cbranch_execz .LBB1598_77
; %bb.76:
	v_cmp_eq_u16_e32 vcc_lo, 0, v6
	v_and_b32_e32 v6, 1, v6
	v_dual_cndmask_b32 v4, 0, v7, vcc_lo :: v_dual_bitop2_b32 v9, 1, v9 bitop3:0x40
	v_cndmask_b32_e32 v5, 0, v8, vcc_lo
	s_delay_alu instid0(VALU_DEP_3) | instskip(NEXT) | instid1(VALU_DEP_3)
	v_cmp_eq_u32_e32 vcc_lo, 1, v6
	v_cmp_eq_u32_e64 s11, 1, v9
	s_delay_alu instid0(VALU_DEP_3) | instskip(SKIP_1) | instid1(SALU_CYCLE_1)
	v_add_nc_u64_e32 v[2:3], v[4:5], v[2:3]
	s_or_b32 s11, vcc_lo, s11
	v_cndmask_b32_e64 v6, 0, 1, s11
	v_cndmask_b32_e64 v5, 0, 1, s11
.LBB1598_77:
	s_or_b32 exec_lo, exec_lo, s12
	ds_swizzle_b32 v4, v2 offset:swizzle(BROADCAST,32,15)
	ds_swizzle_b32 v7, v3 offset:swizzle(BROADCAST,32,15)
	ds_swizzle_b32 v5, v5 offset:swizzle(BROADCAST,32,15)
	v_and_b32_e32 v8, 16, v44
	s_mov_b32 s12, exec_lo
	s_delay_alu instid0(VALU_DEP_1)
	v_cmpx_ne_u32_e32 0, v8
	s_cbranch_execz .LBB1598_79
; %bb.78:
	v_cmp_eq_u16_e32 vcc_lo, 0, v6
	v_and_b32_e32 v6, 1, v6
	s_wait_dscnt 0x0
	v_dual_cndmask_b32 v4, 0, v4, vcc_lo :: v_dual_bitop2_b32 v8, 1, v5 bitop3:0x40
	v_cndmask_b32_e32 v5, 0, v7, vcc_lo
	s_delay_alu instid0(VALU_DEP_3) | instskip(NEXT) | instid1(VALU_DEP_3)
	v_cmp_eq_u32_e32 vcc_lo, 1, v6
	v_cmp_eq_u32_e64 s11, 1, v8
	s_delay_alu instid0(VALU_DEP_3) | instskip(SKIP_1) | instid1(SALU_CYCLE_1)
	v_add_nc_u64_e32 v[2:3], v[4:5], v[2:3]
	s_or_b32 s11, vcc_lo, s11
	v_cndmask_b32_e64 v6, 0, 1, s11
.LBB1598_79:
	s_or_b32 exec_lo, exec_lo, s12
	s_wait_dscnt 0x0
	v_dual_lshrrev_b32 v5, 5, v0 :: v_dual_bitop2_b32 v4, 31, v0 bitop3:0x54
	s_mov_b32 s11, exec_lo
	s_delay_alu instid0(VALU_DEP_1) | instskip(NEXT) | instid1(VALU_DEP_2)
	v_lshlrev_b32_e32 v7, 4, v5
	v_cmpx_eq_u32_e64 v0, v4
	s_cbranch_execz .LBB1598_81
; %bb.80:
	ds_store_b64 v7, v[2:3]
	ds_store_b8 v7, v6 offset:8
.LBB1598_81:
	s_or_b32 exec_lo, exec_lo, s11
	s_delay_alu instid0(SALU_CYCLE_1)
	s_mov_b32 s12, exec_lo
	s_wait_dscnt 0x0
	s_barrier_signal -1
	s_barrier_wait -1
	v_cmpx_gt_u32_e32 4, v0
	s_cbranch_execz .LBB1598_87
; %bb.82:
	v_lshlrev_b32_e32 v8, 4, v0
	s_mov_b32 s11, exec_lo
	ds_load_b64 v[4:5], v8
	ds_load_b32 v9, v8 offset:8
	v_and_b32_e32 v10, 3, v44
	s_wait_dscnt 0x1
	v_mov_b32_dpp v14, v4 row_shr:1 row_mask:0xf bank_mask:0xf
	v_mov_b32_dpp v15, v5 row_shr:1 row_mask:0xf bank_mask:0xf
	s_wait_dscnt 0x0
	v_mov_b32_dpp v13, v9 row_shr:1 row_mask:0xf bank_mask:0xf
	v_dual_mov_b32 v12, v9 :: v_dual_mov_b32 v11, v9
	v_cmpx_ne_u32_e32 0, v10
	s_cbranch_execz .LBB1598_84
; %bb.83:
	v_and_b32_e32 v11, 0xff, v9
	v_or_b32_e32 v12, v13, v9
	s_delay_alu instid0(VALU_DEP_2) | instskip(SKIP_1) | instid1(VALU_DEP_3)
	v_cmp_eq_u16_e32 vcc_lo, 0, v11
	v_bitop3_b32 v11, v13, 1, v9 bitop3:0xc8
	v_dual_cndmask_b32 v15, 0, v15, vcc_lo :: v_dual_bitop2_b32 v12, 1, v12 bitop3:0x40
	v_cndmask_b32_e32 v14, 0, v14, vcc_lo
	s_delay_alu instid0(VALU_DEP_3) | instskip(NEXT) | instid1(VALU_DEP_2)
	v_and_or_b32 v9, 0xffffff00, v9, v11
	v_add_nc_u64_e32 v[4:5], v[14:15], v[4:5]
.LBB1598_84:
	s_or_b32 exec_lo, exec_lo, s11
	s_delay_alu instid0(VALU_DEP_1) | instskip(NEXT) | instid1(VALU_DEP_2)
	v_mov_b32_dpp v13, v4 row_shr:2 row_mask:0xf bank_mask:0xf
	v_mov_b32_dpp v14, v5 row_shr:2 row_mask:0xf bank_mask:0xf
	;; [unrolled: 1-line block ×3, first 2 shown]
	s_mov_b32 s13, exec_lo
	v_cmpx_lt_u32_e32 1, v10
	s_cbranch_execz .LBB1598_86
; %bb.85:
	v_and_b32_e32 v10, 0xff, v11
	v_and_b32_e32 v9, 1, v9
	s_delay_alu instid0(VALU_DEP_2) | instskip(SKIP_1) | instid1(VALU_DEP_3)
	v_cmp_eq_u16_e32 vcc_lo, 0, v10
	v_and_b32_e32 v12, 1, v11
	v_cmp_eq_u32_e64 s11, 1, v9
	v_dual_cndmask_b32 v11, 0, v14 :: v_dual_cndmask_b32 v10, 0, v13
	s_delay_alu instid0(VALU_DEP_3) | instskip(NEXT) | instid1(VALU_DEP_2)
	v_cmp_eq_u32_e32 vcc_lo, 1, v12
	v_add_nc_u64_e32 v[4:5], v[10:11], v[4:5]
	s_or_b32 s11, vcc_lo, s11
	s_delay_alu instid0(SALU_CYCLE_1)
	v_cndmask_b32_e64 v12, 0, 1, s11
.LBB1598_86:
	s_or_b32 exec_lo, exec_lo, s13
	ds_store_b64 v8, v[4:5]
	ds_store_b8 v8, v12 offset:8
.LBB1598_87:
	s_or_b32 exec_lo, exec_lo, s12
	v_mov_b64_e32 v[4:5], 0
	v_mov_b32_e32 v12, 0
	s_mov_b32 s12, exec_lo
	v_cmp_gt_u32_e32 vcc_lo, 32, v0
	s_wait_dscnt 0x0
	s_barrier_signal -1
	s_barrier_wait -1
	v_cmpx_lt_u32_e32 31, v0
	s_cbranch_execz .LBB1598_89
; %bb.88:
	v_dual_add_nc_u32 v4, -16, v7 :: v_dual_add_nc_u32 v7, -8, v7
	v_cmp_eq_u16_e64 s11, 0, v6
	ds_load_b64 v[4:5], v4
	ds_load_u8 v12, v7
	s_wait_dscnt 0x1
	v_dual_cndmask_b32 v9, 0, v5, s11 :: v_dual_cndmask_b32 v8, 0, v4, s11
	s_wait_dscnt 0x0
	v_or_b32_e32 v6, v12, v6
	s_delay_alu instid0(VALU_DEP_2)
	v_add_nc_u64_e32 v[2:3], v[2:3], v[8:9]
.LBB1598_89:
	s_or_b32 exec_lo, exec_lo, s12
	v_sub_co_u32 v7, s11, v44, 1
	s_delay_alu instid0(VALU_DEP_3) | instskip(NEXT) | instid1(VALU_DEP_2)
	v_and_b32_e32 v6, 0xff, v6
	v_cmp_gt_i32_e64 s12, 0, v7
	s_delay_alu instid0(VALU_DEP_1) | instskip(NEXT) | instid1(VALU_DEP_1)
	v_cndmask_b32_e64 v7, v7, v44, s12
	v_lshlrev_b32_e32 v7, 2, v7
	ds_bpermute_b32 v13, v7, v2
	ds_bpermute_b32 v14, v7, v3
	;; [unrolled: 1-line block ×3, first 2 shown]
	s_and_saveexec_b32 s13, vcc_lo
	s_cbranch_execz .LBB1598_137
; %bb.90:
	v_mov_b32_e32 v9, 0
	ds_load_b64 v[2:3], v9 offset:48
	ds_load_u8 v16, v9 offset:56
	s_and_saveexec_b32 s12, s11
	s_cbranch_execz .LBB1598_92
; %bb.91:
	s_add_co_i32 s14, s33, 32
	s_mov_b32 s15, 0
	v_dual_mov_b32 v6, 1 :: v_dual_mov_b32 v7, s14
	s_lshl_b64 s[16:17], s[14:15], 4
	s_delay_alu instid0(SALU_CYCLE_1)
	s_add_nc_u64 s[14:15], s[20:21], s[16:17]
	s_wait_dscnt 0x1
	global_store_b64 v9, v[2:3], s[14:15]
	s_wait_dscnt 0x0
	global_store_b8 v9, v16, s[14:15] offset:8
	global_wb scope:SCOPE_DEV
	s_wait_storecnt 0x0
	global_inv scope:SCOPE_DEV
	s_wait_xcnt 0x0
	global_store_b8 v7, v6, s[24:25] scope:SCOPE_DEV
.LBB1598_92:
	s_wait_xcnt 0x0
	s_or_b32 exec_lo, exec_lo, s12
	v_xad_u32 v6, v44, -1, s33
	s_mov_b32 s14, 0
	s_mov_b32 s12, exec_lo
	s_delay_alu instid0(VALU_DEP_1)
	v_add_nc_u32_e32 v8, 32, v6
	global_load_u8 v17, v8, s[24:25] scope:SCOPE_DEV
	s_wait_loadcnt 0x0
	v_cmpx_eq_u16_e32 0, v17
	s_cbranch_execz .LBB1598_96
; %bb.93:
	v_add_nc_u64_e32 v[10:11], s[24:25], v[8:9]
.LBB1598_94:                            ; =>This Inner Loop Header: Depth=1
	global_load_u8 v17, v[10:11], off scope:SCOPE_DEV
	s_wait_loadcnt 0x0
	v_cmp_ne_u16_e32 vcc_lo, 0, v17
	s_or_b32 s14, vcc_lo, s14
	s_wait_xcnt 0x0
	s_and_not1_b32 exec_lo, exec_lo, s14
	s_cbranch_execnz .LBB1598_94
; %bb.95:
	s_or_b32 exec_lo, exec_lo, s14
.LBB1598_96:
	s_delay_alu instid0(SALU_CYCLE_1)
	s_or_b32 exec_lo, exec_lo, s12
	v_dual_mov_b32 v7, s21 :: v_dual_mov_b32 v10, s20
	v_cmp_eq_u16_e32 vcc_lo, 1, v17
	global_wb scope:SCOPE_DEV
	s_wait_storecnt_dscnt 0x0
	global_inv scope:SCOPE_DEV
	v_lshlrev_b32_e64 v19, v44, -1
	s_mov_b32 s12, exec_lo
	v_cndmask_b32_e32 v11, s23, v7, vcc_lo
	v_cndmask_b32_e32 v10, s22, v10, vcc_lo
	v_cmp_ne_u32_e32 vcc_lo, 31, v44
	v_add_co_ci_u32_e64 v7, null, 0, v44, vcc_lo
	v_cmp_eq_u16_e32 vcc_lo, 2, v17
	s_delay_alu instid0(VALU_DEP_2)
	v_lshlrev_b32_e32 v18, 2, v7
	v_lshl_add_u64 v[8:9], v[8:9], 4, v[10:11]
	s_clause 0x1
	global_load_u8 v66, v[8:9], off offset:8
	global_load_b64 v[10:11], v[8:9], off
	v_and_or_b32 v7, vcc_lo, v19, 0x80000000
	s_delay_alu instid0(VALU_DEP_1)
	v_ctz_i32_b32_e32 v7, v7
	s_wait_loadcnt 0x1
	s_wait_xcnt 0x0
	v_and_b32_e32 v8, 1, v66
	s_wait_loadcnt 0x0
	ds_bpermute_b32 v40, v18, v10
	ds_bpermute_b32 v41, v18, v11
	;; [unrolled: 1-line block ×3, first 2 shown]
	v_cmpx_lt_u32_e64 v44, v7
	s_cbranch_execz .LBB1598_98
; %bb.97:
	v_and_b32_e32 v8, 0xff, v66
	s_wait_dscnt 0x0
	v_bitop3_b16 v66, v9, v66, 1 bitop3:0xec
	s_delay_alu instid0(VALU_DEP_2) | instskip(NEXT) | instid1(VALU_DEP_2)
	v_cmp_eq_u16_e32 vcc_lo, 0, v8
	v_and_b32_e32 v8, 0xff, v66
	v_dual_cndmask_b32 v41, 0, v41 :: v_dual_cndmask_b32 v40, 0, v40
	s_delay_alu instid0(VALU_DEP_1)
	v_add_nc_u64_e32 v[10:11], v[40:41], v[10:11]
.LBB1598_98:
	s_or_b32 exec_lo, exec_lo, s12
	v_cmp_gt_u32_e32 vcc_lo, 30, v44
	s_wait_dscnt 0x1
	v_add_nc_u32_e32 v41, 2, v44
	s_mov_b32 s14, exec_lo
	s_wait_dscnt 0x0
	v_cndmask_b32_e64 v9, 0, 2, vcc_lo
	s_delay_alu instid0(VALU_DEP_1)
	v_add_lshl_u32 v40, v9, v44, 2
	ds_bpermute_b32 v9, v40, v10
	ds_bpermute_b32 v42, v40, v11
	;; [unrolled: 1-line block ×3, first 2 shown]
	v_cmpx_le_u32_e64 v41, v7
	s_cbranch_execz .LBB1598_100
; %bb.99:
	v_and_b32_e32 v8, 0xff, v66
	s_delay_alu instid0(VALU_DEP_1) | instskip(SKIP_4) | instid1(VALU_DEP_3)
	v_cmp_eq_u16_e32 vcc_lo, 0, v8
	v_and_b32_e32 v61, 1, v66
	s_wait_dscnt 0x0
	v_dual_cndmask_b32 v43, 0, v42, vcc_lo :: v_dual_bitop2_b32 v8, 1, v43 bitop3:0x40
	v_cndmask_b32_e32 v42, 0, v9, vcc_lo
	v_cmp_eq_u32_e64 s12, 1, v61
	s_delay_alu instid0(VALU_DEP_3) | instskip(NEXT) | instid1(VALU_DEP_3)
	v_cmp_eq_u32_e32 vcc_lo, 1, v8
	v_add_nc_u64_e32 v[10:11], v[42:43], v[10:11]
	s_or_b32 s12, s12, vcc_lo
	s_delay_alu instid0(SALU_CYCLE_1)
	v_cndmask_b32_e64 v66, 0, 1, s12
	v_cndmask_b32_e64 v8, 0, 1, s12
.LBB1598_100:
	s_or_b32 exec_lo, exec_lo, s14
	v_cmp_gt_u32_e32 vcc_lo, 28, v44
	s_wait_dscnt 0x0
	v_add_nc_u32_e32 v43, 4, v44
	s_mov_b32 s14, exec_lo
	v_cndmask_b32_e64 v9, 0, 4, vcc_lo
	s_delay_alu instid0(VALU_DEP_1)
	v_add_lshl_u32 v42, v9, v44, 2
	ds_bpermute_b32 v9, v42, v10
	ds_bpermute_b32 v61, v42, v11
	;; [unrolled: 1-line block ×3, first 2 shown]
	v_cmpx_le_u32_e64 v43, v7
	s_cbranch_execz .LBB1598_102
; %bb.101:
	v_and_b32_e32 v8, 0xff, v66
	s_delay_alu instid0(VALU_DEP_1) | instskip(SKIP_4) | instid1(VALU_DEP_3)
	v_cmp_eq_u16_e32 vcc_lo, 0, v8
	v_and_b32_e32 v64, 1, v66
	s_wait_dscnt 0x0
	v_dual_cndmask_b32 v62, 0, v9, vcc_lo :: v_dual_bitop2_b32 v8, 1, v62 bitop3:0x40
	v_cndmask_b32_e32 v63, 0, v61, vcc_lo
	v_cmp_eq_u32_e64 s12, 1, v64
	s_delay_alu instid0(VALU_DEP_3) | instskip(NEXT) | instid1(VALU_DEP_3)
	v_cmp_eq_u32_e32 vcc_lo, 1, v8
	v_add_nc_u64_e32 v[10:11], v[62:63], v[10:11]
	s_or_b32 s12, s12, vcc_lo
	s_delay_alu instid0(SALU_CYCLE_1)
	v_cndmask_b32_e64 v66, 0, 1, s12
	v_cndmask_b32_e64 v8, 0, 1, s12
.LBB1598_102:
	s_or_b32 exec_lo, exec_lo, s14
	v_cmp_gt_u32_e32 vcc_lo, 24, v44
	s_wait_dscnt 0x0
	v_add_nc_u32_e32 v62, 8, v44
	s_mov_b32 s14, exec_lo
	v_cndmask_b32_e64 v9, 0, 8, vcc_lo
	s_delay_alu instid0(VALU_DEP_1)
	v_add_lshl_u32 v61, v9, v44, 2
	ds_bpermute_b32 v9, v61, v10
	ds_bpermute_b32 v63, v61, v11
	;; [unrolled: 1-line block ×3, first 2 shown]
	v_cmpx_le_u32_e64 v62, v7
	s_cbranch_execz .LBB1598_104
; %bb.103:
	v_and_b32_e32 v8, 0xff, v66
	s_delay_alu instid0(VALU_DEP_1) | instskip(SKIP_4) | instid1(VALU_DEP_3)
	v_cmp_eq_u16_e32 vcc_lo, 0, v8
	v_and_b32_e32 v66, 1, v66
	s_wait_dscnt 0x0
	v_dual_cndmask_b32 v64, 0, v9, vcc_lo :: v_dual_bitop2_b32 v8, 1, v64 bitop3:0x40
	v_cndmask_b32_e32 v65, 0, v63, vcc_lo
	v_cmp_eq_u32_e64 s12, 1, v66
	s_delay_alu instid0(VALU_DEP_3) | instskip(NEXT) | instid1(VALU_DEP_3)
	v_cmp_eq_u32_e32 vcc_lo, 1, v8
	v_add_nc_u64_e32 v[10:11], v[64:65], v[10:11]
	s_or_b32 s12, s12, vcc_lo
	s_delay_alu instid0(SALU_CYCLE_1)
	v_cndmask_b32_e64 v66, 0, 1, s12
	v_cndmask_b32_e64 v8, 0, 1, s12
.LBB1598_104:
	s_or_b32 exec_lo, exec_lo, s14
	s_wait_dscnt 0x1
	v_lshl_or_b32 v63, v44, 2, 64
	v_add_nc_u32_e32 v65, 16, v44
	s_mov_b32 s14, exec_lo
	ds_bpermute_b32 v9, v63, v10
	s_wait_dscnt 0x1
	ds_bpermute_b32 v64, v63, v11
	ds_bpermute_b32 v8, v63, v8
	v_cmpx_le_u32_e64 v65, v7
	s_cbranch_execz .LBB1598_106
; %bb.105:
	v_and_b32_e32 v7, 0xff, v66
	s_delay_alu instid0(VALU_DEP_1) | instskip(SKIP_4) | instid1(VALU_DEP_3)
	v_cmp_eq_u16_e32 vcc_lo, 0, v7
	v_and_b32_e32 v7, 1, v66
	s_wait_dscnt 0x0
	v_dual_cndmask_b32 v66, 0, v9, vcc_lo :: v_dual_bitop2_b32 v8, 1, v8 bitop3:0x40
	v_cndmask_b32_e32 v67, 0, v64, vcc_lo
	v_cmp_eq_u32_e32 vcc_lo, 1, v7
	s_delay_alu instid0(VALU_DEP_3) | instskip(NEXT) | instid1(VALU_DEP_3)
	v_cmp_eq_u32_e64 s12, 1, v8
	v_add_nc_u64_e32 v[10:11], v[66:67], v[10:11]
	s_or_b32 s12, vcc_lo, s12
	s_delay_alu instid0(SALU_CYCLE_1)
	v_cndmask_b32_e64 v66, 0, 1, s12
.LBB1598_106:
	s_or_b32 exec_lo, exec_lo, s14
	v_mov_b32_e32 v7, 0
	s_branch .LBB1598_109
.LBB1598_107:                           ;   in Loop: Header=BB1598_109 Depth=1
	s_or_b32 exec_lo, exec_lo, s15
	v_and_b32_e32 v66, 0xff, v64
	v_subrev_nc_u32_e32 v6, 32, v6
	s_delay_alu instid0(VALU_DEP_2) | instskip(SKIP_2) | instid1(VALU_DEP_2)
	v_cmp_eq_u16_e32 vcc_lo, 0, v66
	v_dual_cndmask_b32 v11, 0, v11, vcc_lo :: v_dual_bitop2_b32 v66, 1, v64 bitop3:0x40
	v_cndmask_b32_e32 v10, 0, v10, vcc_lo
	v_cmp_eq_u32_e32 vcc_lo, 1, v66
	s_delay_alu instid0(VALU_DEP_2) | instskip(SKIP_1) | instid1(SALU_CYCLE_1)
	v_add_nc_u64_e32 v[10:11], v[10:11], v[8:9]
	s_or_b32 s12, vcc_lo, s14
	v_cndmask_b32_e64 v66, 0, 1, s12
	s_mov_b32 s12, 0
.LBB1598_108:                           ;   in Loop: Header=BB1598_109 Depth=1
	s_delay_alu instid0(SALU_CYCLE_1)
	s_and_b32 vcc_lo, exec_lo, s12
	s_cbranch_vccnz .LBB1598_133
.LBB1598_109:                           ; =>This Loop Header: Depth=1
                                        ;     Child Loop BB1598_112 Depth 2
	s_wait_dscnt 0x0
	v_and_b32_e32 v8, 0xff, v17
	v_mov_b32_e32 v64, v66
	s_mov_b32 s12, -1
                                        ; implicit-def: $vgpr66
                                        ; implicit-def: $vgpr17
	s_delay_alu instid0(VALU_DEP_2)
	v_cmp_ne_u16_e32 vcc_lo, 2, v8
	v_mov_b64_e32 v[8:9], v[10:11]
                                        ; implicit-def: $vgpr10_vgpr11
	s_cmp_lg_u32 vcc_lo, exec_lo
	s_cbranch_scc1 .LBB1598_108
; %bb.110:                              ;   in Loop: Header=BB1598_109 Depth=1
	global_load_u8 v17, v6, s[24:25] scope:SCOPE_DEV
	s_mov_b32 s12, exec_lo
	s_wait_loadcnt 0x0
	v_cmpx_eq_u16_e32 0, v17
	s_cbranch_execz .LBB1598_114
; %bb.111:                              ;   in Loop: Header=BB1598_109 Depth=1
	v_add_nc_u64_e32 v[10:11], s[24:25], v[6:7]
	s_mov_b32 s14, 0
.LBB1598_112:                           ;   Parent Loop BB1598_109 Depth=1
                                        ; =>  This Inner Loop Header: Depth=2
	global_load_u8 v17, v[10:11], off scope:SCOPE_DEV
	s_wait_loadcnt 0x0
	v_cmp_ne_u16_e32 vcc_lo, 0, v17
	s_or_b32 s14, vcc_lo, s14
	s_delay_alu instid0(SALU_CYCLE_1)
	s_and_not1_b32 exec_lo, exec_lo, s14
	s_cbranch_execnz .LBB1598_112
; %bb.113:                              ;   in Loop: Header=BB1598_109 Depth=1
	s_or_b32 exec_lo, exec_lo, s14
.LBB1598_114:                           ;   in Loop: Header=BB1598_109 Depth=1
	s_delay_alu instid0(SALU_CYCLE_1)
	s_or_b32 exec_lo, exec_lo, s12
	v_dual_mov_b32 v10, s21 :: v_dual_mov_b32 v66, s20
	v_cmp_eq_u16_e32 vcc_lo, 1, v17
	global_wb scope:SCOPE_DEV
	s_wait_storecnt 0x0
	global_inv scope:SCOPE_DEV
	s_mov_b32 s12, exec_lo
	v_cndmask_b32_e32 v11, s23, v10, vcc_lo
	v_cndmask_b32_e32 v10, s22, v66, vcc_lo
	v_cmp_eq_u16_e32 vcc_lo, 2, v17
	s_delay_alu instid0(VALU_DEP_2)
	v_lshl_add_u64 v[68:69], v[6:7], 4, v[10:11]
	v_and_or_b32 v66, vcc_lo, v19, 0x80000000
	s_clause 0x1
	global_load_u8 v67, v[68:69], off offset:8
	global_load_b64 v[10:11], v[68:69], off
	v_ctz_i32_b32_e32 v66, v66
	s_wait_loadcnt 0x1
	s_wait_xcnt 0x0
	v_and_b32_e32 v68, 1, v67
	s_wait_loadcnt 0x0
	ds_bpermute_b32 v70, v18, v10
	ds_bpermute_b32 v71, v18, v11
	;; [unrolled: 1-line block ×3, first 2 shown]
	v_cmpx_lt_u32_e64 v44, v66
	s_cbranch_execz .LBB1598_116
; %bb.115:                              ;   in Loop: Header=BB1598_109 Depth=1
	v_and_b32_e32 v68, 0xff, v67
	s_wait_dscnt 0x0
	v_bitop3_b16 v67, v69, v67, 1 bitop3:0xec
	s_delay_alu instid0(VALU_DEP_2) | instskip(NEXT) | instid1(VALU_DEP_2)
	v_cmp_eq_u16_e32 vcc_lo, 0, v68
	v_and_b32_e32 v68, 0xff, v67
	v_dual_cndmask_b32 v71, 0, v71 :: v_dual_cndmask_b32 v70, 0, v70
	s_delay_alu instid0(VALU_DEP_1)
	v_add_nc_u64_e32 v[10:11], v[70:71], v[10:11]
.LBB1598_116:                           ;   in Loop: Header=BB1598_109 Depth=1
	s_or_b32 exec_lo, exec_lo, s12
	s_wait_dscnt 0x0
	ds_bpermute_b32 v69, v40, v10
	ds_bpermute_b32 v70, v40, v11
	;; [unrolled: 1-line block ×3, first 2 shown]
	v_and_b32_e32 v72, 1, v67
	s_mov_b32 s12, exec_lo
	s_delay_alu instid0(VALU_DEP_1)
	v_cmp_eq_u32_e64 s14, 1, v72
	v_cmpx_le_u32_e64 v41, v66
	s_cbranch_execz .LBB1598_118
; %bb.117:                              ;   in Loop: Header=BB1598_109 Depth=1
	v_and_b32_e32 v67, 0xff, v67
	s_delay_alu instid0(VALU_DEP_1) | instskip(SKIP_3) | instid1(VALU_DEP_2)
	v_cmp_eq_u16_e32 vcc_lo, 0, v67
	s_wait_dscnt 0x0
	v_dual_cndmask_b32 v71, 0, v70, vcc_lo :: v_dual_bitop2_b32 v67, 1, v71 bitop3:0x40
	v_cndmask_b32_e32 v70, 0, v69, vcc_lo
	v_cmp_eq_u32_e32 vcc_lo, 1, v67
	s_delay_alu instid0(VALU_DEP_2)
	v_add_nc_u64_e32 v[10:11], v[70:71], v[10:11]
	s_or_b32 s15, s14, vcc_lo
	s_and_not1_b32 s14, s14, exec_lo
	v_cndmask_b32_e64 v67, 0, 1, s15
	v_cndmask_b32_e64 v68, 0, 1, s15
	s_and_b32 s15, s15, exec_lo
	s_delay_alu instid0(SALU_CYCLE_1)
	s_or_b32 s14, s14, s15
.LBB1598_118:                           ;   in Loop: Header=BB1598_109 Depth=1
	s_or_b32 exec_lo, exec_lo, s12
	s_wait_dscnt 0x2
	ds_bpermute_b32 v69, v42, v10
	s_wait_dscnt 0x2
	ds_bpermute_b32 v70, v42, v11
	s_wait_dscnt 0x2
	ds_bpermute_b32 v71, v42, v68
	s_mov_b32 s15, exec_lo
	v_cmpx_le_u32_e64 v43, v66
	s_cbranch_execz .LBB1598_120
; %bb.119:                              ;   in Loop: Header=BB1598_109 Depth=1
	v_and_b32_e32 v68, 0xff, v67
	s_and_not1_b32 s14, s14, exec_lo
	s_delay_alu instid0(VALU_DEP_1) | instskip(SKIP_3) | instid1(VALU_DEP_2)
	v_cmp_eq_u16_e32 vcc_lo, 0, v68
	v_and_b32_e32 v67, 1, v67
	s_wait_dscnt 0x0
	v_dual_cndmask_b32 v71, 0, v70, vcc_lo :: v_dual_bitop2_b32 v68, 1, v71 bitop3:0x40
	v_cmp_eq_u32_e64 s12, 1, v67
	v_cndmask_b32_e32 v70, 0, v69, vcc_lo
	s_delay_alu instid0(VALU_DEP_3) | instskip(NEXT) | instid1(VALU_DEP_2)
	v_cmp_eq_u32_e32 vcc_lo, 1, v68
	v_add_nc_u64_e32 v[10:11], v[70:71], v[10:11]
	s_or_b32 s12, s12, vcc_lo
	s_delay_alu instid0(SALU_CYCLE_1) | instskip(SKIP_2) | instid1(SALU_CYCLE_1)
	v_cndmask_b32_e64 v67, 0, 1, s12
	v_cndmask_b32_e64 v68, 0, 1, s12
	s_and_b32 s12, s12, exec_lo
	s_or_b32 s14, s14, s12
.LBB1598_120:                           ;   in Loop: Header=BB1598_109 Depth=1
	s_or_b32 exec_lo, exec_lo, s15
	s_wait_dscnt 0x2
	ds_bpermute_b32 v69, v61, v10
	s_wait_dscnt 0x2
	ds_bpermute_b32 v70, v61, v11
	;; [unrolled: 2-line block ×3, first 2 shown]
	s_mov_b32 s15, exec_lo
	v_cmpx_le_u32_e64 v62, v66
	s_cbranch_execz .LBB1598_122
; %bb.121:                              ;   in Loop: Header=BB1598_109 Depth=1
	v_and_b32_e32 v68, 0xff, v67
	s_and_not1_b32 s14, s14, exec_lo
	s_delay_alu instid0(VALU_DEP_1) | instskip(SKIP_3) | instid1(VALU_DEP_2)
	v_cmp_eq_u16_e32 vcc_lo, 0, v68
	v_and_b32_e32 v67, 1, v67
	s_wait_dscnt 0x0
	v_dual_cndmask_b32 v71, 0, v70, vcc_lo :: v_dual_bitop2_b32 v68, 1, v71 bitop3:0x40
	v_cmp_eq_u32_e64 s12, 1, v67
	v_cndmask_b32_e32 v70, 0, v69, vcc_lo
	s_delay_alu instid0(VALU_DEP_3) | instskip(NEXT) | instid1(VALU_DEP_2)
	v_cmp_eq_u32_e32 vcc_lo, 1, v68
	v_add_nc_u64_e32 v[10:11], v[70:71], v[10:11]
	s_or_b32 s12, s12, vcc_lo
	s_delay_alu instid0(SALU_CYCLE_1) | instskip(SKIP_2) | instid1(SALU_CYCLE_1)
	v_cndmask_b32_e64 v67, 0, 1, s12
	v_cndmask_b32_e64 v68, 0, 1, s12
	s_and_b32 s12, s12, exec_lo
	s_or_b32 s14, s14, s12
.LBB1598_122:                           ;   in Loop: Header=BB1598_109 Depth=1
	s_or_b32 exec_lo, exec_lo, s15
	s_wait_dscnt 0x2
	ds_bpermute_b32 v69, v63, v10
	s_wait_dscnt 0x2
	ds_bpermute_b32 v70, v63, v11
	ds_bpermute_b32 v68, v63, v68
	s_mov_b32 s15, exec_lo
	v_cmpx_le_u32_e64 v65, v66
	s_cbranch_execz .LBB1598_107
; %bb.123:                              ;   in Loop: Header=BB1598_109 Depth=1
	v_and_b32_e32 v66, 0xff, v67
	s_and_not1_b32 s14, s14, exec_lo
	s_delay_alu instid0(VALU_DEP_1)
	v_cmp_eq_u16_e32 vcc_lo, 0, v66
	s_wait_dscnt 0x3
	v_and_b32_e32 v71, 1, v67
	s_wait_dscnt 0x0
	v_dual_cndmask_b32 v66, 0, v69, vcc_lo :: v_dual_bitop2_b32 v68, 1, v68 bitop3:0x40
	v_cndmask_b32_e32 v67, 0, v70, vcc_lo
	s_delay_alu instid0(VALU_DEP_3) | instskip(NEXT) | instid1(VALU_DEP_3)
	v_cmp_eq_u32_e32 vcc_lo, 1, v71
	v_cmp_eq_u32_e64 s12, 1, v68
	s_delay_alu instid0(VALU_DEP_3) | instskip(SKIP_1) | instid1(SALU_CYCLE_1)
	v_add_nc_u64_e32 v[10:11], v[66:67], v[10:11]
	s_or_b32 s12, vcc_lo, s12
	s_and_b32 s12, s12, exec_lo
	s_delay_alu instid0(SALU_CYCLE_1)
	s_or_b32 s14, s14, s12
	s_branch .LBB1598_107
.LBB1598_124:
	s_or_b32 exec_lo, exec_lo, s12
                                        ; implicit-def: $vgpr12_vgpr13
	s_and_saveexec_b32 s12, s1
	s_cbranch_execz .LBB1598_29
.LBB1598_125:
	flat_load_b64 v[12:13], v0, s[14:15] offset:1024 scale_offset
	s_wait_xcnt 0x0
	s_or_b32 exec_lo, exec_lo, s12
                                        ; implicit-def: $vgpr14_vgpr15
	s_and_saveexec_b32 s1, s4
	s_cbranch_execnz .LBB1598_30
.LBB1598_126:
	s_or_b32 exec_lo, exec_lo, s1
                                        ; implicit-def: $vgpr16_vgpr17
	s_and_saveexec_b32 s1, s5
	s_cbranch_execz .LBB1598_31
.LBB1598_127:
	flat_load_b64 v[16:17], v0, s[14:15] offset:3072 scale_offset
	s_wait_xcnt 0x0
	s_or_b32 exec_lo, exec_lo, s1
                                        ; implicit-def: $vgpr18_vgpr19
	s_and_saveexec_b32 s1, s6
	s_cbranch_execnz .LBB1598_32
.LBB1598_128:
	s_or_b32 exec_lo, exec_lo, s1
                                        ; implicit-def: $vgpr20_vgpr21
	s_and_saveexec_b32 s1, s7
	s_cbranch_execz .LBB1598_33
.LBB1598_129:
	flat_load_b64 v[20:21], v0, s[14:15] offset:5120 scale_offset
	s_wait_xcnt 0x0
	s_or_b32 exec_lo, exec_lo, s1
                                        ; implicit-def: $vgpr22_vgpr23
	s_and_saveexec_b32 s1, s8
	s_cbranch_execnz .LBB1598_34
.LBB1598_130:
	s_or_b32 exec_lo, exec_lo, s1
                                        ; implicit-def: $vgpr24_vgpr25
	s_and_saveexec_b32 s1, s9
	s_cbranch_execz .LBB1598_35
.LBB1598_131:
	flat_load_b64 v[24:25], v0, s[14:15] offset:7168 scale_offset
	s_wait_xcnt 0x0
	s_or_b32 exec_lo, exec_lo, s1
                                        ; implicit-def: $vgpr26_vgpr27
	s_and_saveexec_b32 s1, s10
	s_cbranch_execz .LBB1598_37
	s_branch .LBB1598_36
.LBB1598_132:
                                        ; implicit-def: $vgpr2_vgpr3
                                        ; implicit-def: $vgpr42_vgpr43
                                        ; implicit-def: $vgpr18_vgpr19
                                        ; implicit-def: $vgpr16_vgpr17
                                        ; implicit-def: $vgpr12_vgpr13
                                        ; implicit-def: $vgpr8_vgpr9
	s_cbranch_execnz .LBB1598_140
	s_branch .LBB1598_165
.LBB1598_133:
	s_and_saveexec_b32 s12, s11
	s_cbranch_execz .LBB1598_135
; %bb.134:
	v_and_b32_e32 v6, 0xff, v16
	s_add_co_i32 s14, s33, 32
	s_mov_b32 s15, 0
	v_mov_b32_e32 v11, s14
	v_bitop3_b16 v10, v16, 1, v64 bitop3:0xc8
	v_cmp_eq_u32_e32 vcc_lo, 0, v6
	s_lshl_b64 s[16:17], s[14:15], 4
	s_delay_alu instid0(SALU_CYCLE_1) | instskip(SKIP_1) | instid1(VALU_DEP_1)
	s_add_nc_u64 s[14:15], s[22:23], s[16:17]
	v_dual_cndmask_b32 v7, 0, v9 :: v_dual_cndmask_b32 v6, 0, v8
	v_add_nc_u64_e32 v[2:3], v[6:7], v[2:3]
	v_dual_mov_b32 v6, 0 :: v_dual_mov_b32 v7, 2
	s_clause 0x1
	global_store_b64 v6, v[2:3], s[14:15]
	global_store_b8 v6, v10, s[14:15] offset:8
	global_wb scope:SCOPE_DEV
	s_wait_storecnt_dscnt 0x0
	global_inv scope:SCOPE_DEV
	s_wait_xcnt 0x0
	global_store_b8 v11, v7, s[24:25] scope:SCOPE_DEV
.LBB1598_135:
	s_wait_xcnt 0x0
	s_or_b32 exec_lo, exec_lo, s12
	s_delay_alu instid0(SALU_CYCLE_1)
	s_and_b32 exec_lo, exec_lo, s2
	s_cbranch_execz .LBB1598_137
; %bb.136:
	v_mov_b32_e32 v2, 0
	ds_store_b64 v2, v[8:9] offset:48
	ds_store_b8 v2, v64 offset:56
.LBB1598_137:
	s_or_b32 exec_lo, exec_lo, s13
	v_mov_b32_e32 v2, 0
	s_wait_storecnt 0x0
	s_wait_loadcnt_dscnt 0x0
	s_barrier_signal -1
	s_barrier_wait -1
	ds_load_b64 v[2:3], v2 offset:48
	s_and_saveexec_b32 s12, s3
	s_cbranch_execz .LBB1598_139
; %bb.138:
	v_dual_cndmask_b32 v6, v15, v12, s11 :: v_dual_cndmask_b32 v5, v14, v5, s11
	s_delay_alu instid0(VALU_DEP_1) | instskip(NEXT) | instid1(VALU_DEP_1)
	v_and_b32_e32 v6, 0xff, v6
	v_cmp_eq_u16_e32 vcc_lo, 0, v6
	s_wait_dscnt 0x0
	v_dual_cndmask_b32 v4, v13, v4, s11 :: v_dual_cndmask_b32 v3, 0, v3, vcc_lo
	v_cndmask_b32_e32 v2, 0, v2, vcc_lo
	s_delay_alu instid0(VALU_DEP_1)
	v_add_nc_u64_e32 v[2:3], v[4:5], v[2:3]
.LBB1598_139:
	s_or_b32 exec_lo, exec_lo, s12
	v_and_b32_e32 v4, 0xff, v1
	s_delay_alu instid0(VALU_DEP_1) | instskip(SKIP_1) | instid1(VALU_DEP_3)
	v_cmp_eq_u16_e32 vcc_lo, 0, v4
	s_wait_dscnt 0x0
	v_dual_cndmask_b32 v5, 0, v3 :: v_dual_cndmask_b32 v4, 0, v2
	s_delay_alu instid0(VALU_DEP_1) | instskip(NEXT) | instid1(VALU_DEP_1)
	v_add_nc_u64_e32 v[4:5], v[4:5], v[26:27]
	v_dual_cndmask_b32 v7, 0, v5, s1 :: v_dual_cndmask_b32 v6, 0, v4, s1
	s_delay_alu instid0(VALU_DEP_1) | instskip(NEXT) | instid1(VALU_DEP_1)
	v_add_nc_u64_e32 v[6:7], v[6:7], v[38:39]
	v_dual_cndmask_b32 v9, 0, v7, s4 :: v_dual_cndmask_b32 v8, 0, v6, s4
	;; [unrolled: 3-line block ×8, first 2 shown]
	s_branch .LBB1598_165
.LBB1598_140:
	s_cmp_eq_u64 s[38:39], 0
	v_mov_b64_e32 v[40:41], s[36:37]
	s_cselect_b32 s1, -1, 0
	s_cmp_eq_u64 s[30:31], 0
	s_cselect_b32 s3, -1, 0
	s_delay_alu instid0(SALU_CYCLE_1) | instskip(NEXT) | instid1(SALU_CYCLE_1)
	s_or_b32 s1, s1, s3
	s_and_b32 vcc_lo, exec_lo, s1
	s_cbranch_vccnz .LBB1598_142
; %bb.141:
	v_mov_b32_e32 v2, 0
	global_load_b64 v[40:41], v2, s[30:31]
.LBB1598_142:
	v_cmp_eq_u16_e32 vcc_lo, 0, v60
	v_cmp_eq_u16_e64 s1, 0, v59
	v_cmp_eq_u16_e64 s3, 0, v58
	;; [unrolled: 1-line block ×4, first 2 shown]
	s_wait_xcnt 0x0
	v_dual_cndmask_b32 v3, 0, v27 :: v_dual_cndmask_b32 v2, 0, v26
	v_cmp_eq_u16_e64 s6, 0, v55
	v_cmp_eq_u16_e64 s7, 0, v54
	;; [unrolled: 1-line block ×3, first 2 shown]
	v_cmp_ne_u16_e64 s11, 0, v51
	v_add_nc_u64_e32 v[2:3], v[2:3], v[38:39]
	v_cmp_eq_u32_e64 s12, 1, v46
	v_cmp_ne_u16_e64 s13, 0, v52
	v_cmp_eq_u32_e64 s14, 1, v48
	v_cmp_ne_u16_e64 s9, 0, v49
	v_cmp_eq_u32_e64 s10, 1, v47
	s_or_b32 s12, s11, s12
	v_dual_cndmask_b32 v3, 0, v3, s1 :: v_dual_cndmask_b32 v2, 0, v2, s1
	v_cmp_eq_u16_e64 s11, 0, v50
	s_or_b32 s13, s13, s14
	v_cmp_eq_u32_e64 s15, 1, v45
	s_or_b32 s9, s9, s10
	v_add_nc_u64_e32 v[2:3], v[2:3], v[36:37]
	s_or_b32 s10, s13, s12
	v_and_b32_e32 v4, 15, v44
	s_or_b32 s9, s10, s9
	s_delay_alu instid0(SALU_CYCLE_1) | instskip(NEXT) | instid1(VALU_DEP_2)
	s_or_b32 s10, s9, s15
	v_dual_cndmask_b32 v3, 0, v3, s3 :: v_dual_cndmask_b32 v2, 0, v2, s3
	v_cndmask_b32_e64 v5, 0, 1, s10
	v_cndmask_b32_e64 v6, 0, 1, s10
	s_delay_alu instid0(VALU_DEP_3) | instskip(NEXT) | instid1(VALU_DEP_3)
	v_add_nc_u64_e32 v[2:3], v[2:3], v[34:35]
	v_mov_b32_dpp v7, v5 row_shr:1 row_mask:0xf bank_mask:0xf
	s_delay_alu instid0(VALU_DEP_2) | instskip(NEXT) | instid1(VALU_DEP_1)
	v_dual_cndmask_b32 v3, 0, v3, s4 :: v_dual_cndmask_b32 v2, 0, v2, s4
	v_add_nc_u64_e32 v[2:3], v[2:3], v[30:31]
	s_delay_alu instid0(VALU_DEP_1) | instskip(NEXT) | instid1(VALU_DEP_1)
	v_dual_cndmask_b32 v3, 0, v3, s5 :: v_dual_cndmask_b32 v2, 0, v2, s5
	v_add_nc_u64_e32 v[2:3], v[2:3], v[28:29]
	s_delay_alu instid0(VALU_DEP_1) | instskip(NEXT) | instid1(VALU_DEP_1)
	;; [unrolled: 3-line block ×4, first 2 shown]
	v_dual_cndmask_b32 v3, 0, v3, s8 :: v_dual_cndmask_b32 v2, 0, v2, s8
	v_add_nc_u64_e32 v[2:3], v[2:3], v[20:21]
	s_delay_alu instid0(VALU_DEP_1) | instskip(SKIP_1) | instid1(VALU_DEP_1)
	v_dual_cndmask_b32 v3, 0, v3, s11 :: v_dual_cndmask_b32 v2, 0, v2, s11
	s_mov_b32 s11, exec_lo
	v_add_nc_u64_e32 v[2:3], v[2:3], v[32:33]
	s_delay_alu instid0(VALU_DEP_1) | instskip(NEXT) | instid1(VALU_DEP_2)
	v_mov_b32_dpp v8, v2 row_shr:1 row_mask:0xf bank_mask:0xf
	v_mov_b32_dpp v9, v3 row_shr:1 row_mask:0xf bank_mask:0xf
	v_cmpx_ne_u32_e32 0, v4
; %bb.143:
	s_delay_alu instid0(VALU_DEP_2) | instskip(NEXT) | instid1(VALU_DEP_4)
	v_cndmask_b32_e64 v9, v9, 0, s10
	v_cndmask_b32_e64 v8, v8, 0, s10
	v_bitop3_b16 v6, v7, v6, 1 bitop3:0xec
	s_delay_alu instid0(VALU_DEP_2) | instskip(NEXT) | instid1(VALU_DEP_2)
	v_add_nc_u64_e32 v[2:3], v[8:9], v[2:3]
	v_and_b32_e32 v5, 0xffff, v6
; %bb.144:
	s_or_b32 exec_lo, exec_lo, s11
	s_delay_alu instid0(VALU_DEP_2) | instskip(NEXT) | instid1(VALU_DEP_3)
	v_mov_b32_dpp v7, v2 row_shr:2 row_mask:0xf bank_mask:0xf
	v_mov_b32_dpp v8, v3 row_shr:2 row_mask:0xf bank_mask:0xf
	s_delay_alu instid0(VALU_DEP_3)
	v_mov_b32_dpp v9, v5 row_shr:2 row_mask:0xf bank_mask:0xf
	s_mov_b32 s11, exec_lo
	v_cmpx_lt_u32_e32 1, v4
	s_cbranch_execz .LBB1598_146
; %bb.145:
	v_cmp_eq_u16_e64 s9, 0, v6
	v_and_b32_e32 v5, 1, v6
	s_delay_alu instid0(VALU_DEP_2) | instskip(SKIP_1) | instid1(VALU_DEP_3)
	v_dual_cndmask_b32 v9, 0, v8, s9 :: v_dual_bitop2_b32 v6, 1, v9 bitop3:0x40
	v_cndmask_b32_e64 v8, 0, v7, s9
	v_cmp_eq_u32_e64 s9, 1, v5
	s_delay_alu instid0(VALU_DEP_3) | instskip(NEXT) | instid1(VALU_DEP_3)
	v_cmp_eq_u32_e64 s10, 1, v6
	v_add_nc_u64_e32 v[2:3], v[8:9], v[2:3]
	s_or_b32 s9, s9, s10
	s_delay_alu instid0(SALU_CYCLE_1)
	v_cndmask_b32_e64 v6, 0, 1, s9
	v_cndmask_b32_e64 v5, 0, 1, s9
.LBB1598_146:
	s_or_b32 exec_lo, exec_lo, s11
	s_delay_alu instid0(VALU_DEP_3) | instskip(NEXT) | instid1(VALU_DEP_4)
	v_mov_b32_dpp v7, v2 row_shr:4 row_mask:0xf bank_mask:0xf
	v_mov_b32_dpp v8, v3 row_shr:4 row_mask:0xf bank_mask:0xf
	s_delay_alu instid0(VALU_DEP_3)
	v_mov_b32_dpp v9, v5 row_shr:4 row_mask:0xf bank_mask:0xf
	s_mov_b32 s11, exec_lo
	v_cmpx_lt_u32_e32 3, v4
	s_cbranch_execz .LBB1598_148
; %bb.147:
	v_cmp_eq_u16_e64 s9, 0, v6
	v_and_b32_e32 v5, 1, v6
	s_delay_alu instid0(VALU_DEP_2) | instskip(SKIP_1) | instid1(VALU_DEP_3)
	v_dual_cndmask_b32 v9, 0, v8, s9 :: v_dual_bitop2_b32 v6, 1, v9 bitop3:0x40
	v_cndmask_b32_e64 v8, 0, v7, s9
	v_cmp_eq_u32_e64 s9, 1, v5
	s_delay_alu instid0(VALU_DEP_3) | instskip(NEXT) | instid1(VALU_DEP_3)
	v_cmp_eq_u32_e64 s10, 1, v6
	v_add_nc_u64_e32 v[2:3], v[8:9], v[2:3]
	s_or_b32 s9, s9, s10
	s_delay_alu instid0(SALU_CYCLE_1)
	v_cndmask_b32_e64 v6, 0, 1, s9
	v_cndmask_b32_e64 v5, 0, 1, s9
.LBB1598_148:
	s_or_b32 exec_lo, exec_lo, s11
	s_delay_alu instid0(VALU_DEP_3) | instskip(NEXT) | instid1(VALU_DEP_4)
	v_mov_b32_dpp v7, v2 row_shr:8 row_mask:0xf bank_mask:0xf
	v_mov_b32_dpp v8, v3 row_shr:8 row_mask:0xf bank_mask:0xf
	s_delay_alu instid0(VALU_DEP_3)
	v_mov_b32_dpp v9, v5 row_shr:8 row_mask:0xf bank_mask:0xf
	s_mov_b32 s11, exec_lo
	v_cmpx_lt_u32_e32 7, v4
	s_cbranch_execz .LBB1598_150
; %bb.149:
	v_cmp_eq_u16_e64 s9, 0, v6
	v_and_b32_e32 v6, 1, v6
	s_delay_alu instid0(VALU_DEP_2) | instskip(SKIP_1) | instid1(VALU_DEP_3)
	v_dual_cndmask_b32 v4, 0, v7, s9 :: v_dual_bitop2_b32 v9, 1, v9 bitop3:0x40
	v_cndmask_b32_e64 v5, 0, v8, s9
	v_cmp_eq_u32_e64 s9, 1, v6
	s_delay_alu instid0(VALU_DEP_3) | instskip(NEXT) | instid1(VALU_DEP_3)
	v_cmp_eq_u32_e64 s10, 1, v9
	v_add_nc_u64_e32 v[2:3], v[4:5], v[2:3]
	s_or_b32 s9, s9, s10
	s_delay_alu instid0(SALU_CYCLE_1)
	v_cndmask_b32_e64 v6, 0, 1, s9
	v_cndmask_b32_e64 v5, 0, 1, s9
.LBB1598_150:
	s_or_b32 exec_lo, exec_lo, s11
	ds_swizzle_b32 v4, v2 offset:swizzle(BROADCAST,32,15)
	ds_swizzle_b32 v7, v3 offset:swizzle(BROADCAST,32,15)
	;; [unrolled: 1-line block ×3, first 2 shown]
	v_and_b32_e32 v8, 16, v44
	s_mov_b32 s11, exec_lo
	s_delay_alu instid0(VALU_DEP_1)
	v_cmpx_ne_u32_e32 0, v8
	s_cbranch_execz .LBB1598_152
; %bb.151:
	v_cmp_eq_u16_e64 s9, 0, v6
	v_and_b32_e32 v6, 1, v6
	s_wait_dscnt 0x0
	s_delay_alu instid0(VALU_DEP_2) | instskip(SKIP_1) | instid1(VALU_DEP_3)
	v_dual_cndmask_b32 v4, 0, v4, s9 :: v_dual_bitop2_b32 v8, 1, v5 bitop3:0x40
	v_cndmask_b32_e64 v5, 0, v7, s9
	v_cmp_eq_u32_e64 s9, 1, v6
	s_delay_alu instid0(VALU_DEP_3) | instskip(NEXT) | instid1(VALU_DEP_3)
	v_cmp_eq_u32_e64 s10, 1, v8
	v_add_nc_u64_e32 v[2:3], v[4:5], v[2:3]
	s_or_b32 s9, s9, s10
	s_delay_alu instid0(SALU_CYCLE_1)
	v_cndmask_b32_e64 v6, 0, 1, s9
.LBB1598_152:
	s_or_b32 exec_lo, exec_lo, s11
	s_wait_dscnt 0x0
	v_dual_lshrrev_b32 v5, 5, v0 :: v_dual_bitop2_b32 v4, 31, v0 bitop3:0x54
	s_mov_b32 s10, exec_lo
	s_delay_alu instid0(VALU_DEP_1) | instskip(NEXT) | instid1(VALU_DEP_2)
	v_lshlrev_b32_e32 v7, 4, v5
	v_cmpx_eq_u32_e64 v0, v4
	s_cbranch_execz .LBB1598_154
; %bb.153:
	ds_store_b64 v7, v[2:3]
	ds_store_b8 v7, v6 offset:8
.LBB1598_154:
	s_or_b32 exec_lo, exec_lo, s10
	s_delay_alu instid0(SALU_CYCLE_1)
	s_mov_b32 s11, exec_lo
	s_wait_loadcnt_dscnt 0x0
	s_barrier_signal -1
	s_barrier_wait -1
	v_cmpx_gt_u32_e32 4, v0
	s_cbranch_execz .LBB1598_160
; %bb.155:
	v_lshlrev_b32_e32 v8, 4, v0
	s_mov_b32 s10, exec_lo
	ds_load_b64 v[4:5], v8
	ds_load_b32 v9, v8 offset:8
	v_and_b32_e32 v10, 3, v44
	s_wait_dscnt 0x1
	v_mov_b32_dpp v14, v4 row_shr:1 row_mask:0xf bank_mask:0xf
	v_mov_b32_dpp v15, v5 row_shr:1 row_mask:0xf bank_mask:0xf
	s_wait_dscnt 0x0
	v_mov_b32_dpp v13, v9 row_shr:1 row_mask:0xf bank_mask:0xf
	v_dual_mov_b32 v12, v9 :: v_dual_mov_b32 v11, v9
	v_cmpx_ne_u32_e32 0, v10
	s_cbranch_execz .LBB1598_157
; %bb.156:
	v_and_b32_e32 v11, 0xff, v9
	v_or_b32_e32 v12, v13, v9
	s_delay_alu instid0(VALU_DEP_2) | instskip(SKIP_1) | instid1(VALU_DEP_2)
	v_cmp_eq_u16_e64 s9, 0, v11
	v_bitop3_b32 v11, v13, 1, v9 bitop3:0xc8
	v_dual_cndmask_b32 v15, 0, v15, s9 :: v_dual_bitop2_b32 v12, 1, v12 bitop3:0x40
	v_cndmask_b32_e64 v14, 0, v14, s9
	s_delay_alu instid0(VALU_DEP_3) | instskip(NEXT) | instid1(VALU_DEP_2)
	v_and_or_b32 v9, 0xffffff00, v9, v11
	v_add_nc_u64_e32 v[4:5], v[14:15], v[4:5]
.LBB1598_157:
	s_or_b32 exec_lo, exec_lo, s10
	s_delay_alu instid0(VALU_DEP_1) | instskip(NEXT) | instid1(VALU_DEP_2)
	v_mov_b32_dpp v13, v4 row_shr:2 row_mask:0xf bank_mask:0xf
	v_mov_b32_dpp v14, v5 row_shr:2 row_mask:0xf bank_mask:0xf
	;; [unrolled: 1-line block ×3, first 2 shown]
	s_mov_b32 s12, exec_lo
	v_cmpx_lt_u32_e32 1, v10
	s_cbranch_execz .LBB1598_159
; %bb.158:
	v_and_b32_e32 v10, 0xff, v11
	v_and_b32_e32 v9, 1, v9
	s_delay_alu instid0(VALU_DEP_2) | instskip(SKIP_1) | instid1(VALU_DEP_3)
	v_cmp_eq_u16_e64 s9, 0, v10
	v_and_b32_e32 v12, 1, v11
	v_cmp_eq_u32_e64 s10, 1, v9
	s_delay_alu instid0(VALU_DEP_3) | instskip(NEXT) | instid1(VALU_DEP_3)
	v_dual_cndmask_b32 v11, 0, v14, s9 :: v_dual_cndmask_b32 v10, 0, v13, s9
	v_cmp_eq_u32_e64 s9, 1, v12
	s_delay_alu instid0(VALU_DEP_2) | instskip(SKIP_1) | instid1(SALU_CYCLE_1)
	v_add_nc_u64_e32 v[4:5], v[10:11], v[4:5]
	s_or_b32 s9, s9, s10
	v_cndmask_b32_e64 v12, 0, 1, s9
.LBB1598_159:
	s_or_b32 exec_lo, exec_lo, s12
	ds_store_b64 v8, v[4:5]
	ds_store_b8 v8, v12 offset:8
.LBB1598_160:
	s_or_b32 exec_lo, exec_lo, s11
	v_mov_b64_e32 v[4:5], v[40:41]
	s_mov_b32 s10, exec_lo
	s_wait_dscnt 0x0
	s_barrier_signal -1
	s_barrier_wait -1
	v_cmpx_lt_u32_e32 31, v0
	s_cbranch_execz .LBB1598_162
; %bb.161:
	v_add_nc_u32_e32 v4, -8, v7
	ds_load_u8 v8, v4
	s_wait_dscnt 0x0
	v_cmp_eq_u16_e64 s9, 0, v8
	s_delay_alu instid0(VALU_DEP_1) | instskip(SKIP_3) | instid1(VALU_DEP_1)
	v_dual_add_nc_u32 v4, -16, v7 :: v_dual_cndmask_b32 v8, 0, v40, s9
	ds_load_b64 v[4:5], v4
	v_cndmask_b32_e64 v9, 0, v41, s9
	s_wait_dscnt 0x0
	v_add_nc_u64_e32 v[4:5], v[8:9], v[4:5]
.LBB1598_162:
	s_or_b32 exec_lo, exec_lo, s10
	v_cmp_eq_u16_e64 s9, 0, v6
	v_sub_co_u32 v8, s10, v44, 1
	v_and_b32_e32 v1, 0xff, v1
	s_delay_alu instid0(VALU_DEP_3) | instskip(NEXT) | instid1(VALU_DEP_3)
	v_dual_cndmask_b32 v7, 0, v5, s9 :: v_dual_cndmask_b32 v6, 0, v4, s9
	v_cmp_gt_i32_e64 s9, 0, v8
	s_delay_alu instid0(VALU_DEP_2) | instskip(NEXT) | instid1(VALU_DEP_2)
	v_add_nc_u64_e32 v[2:3], v[6:7], v[2:3]
	v_cndmask_b32_e64 v8, v8, v44, s9
	v_cmp_eq_u16_e64 s9, 0, v1
	s_delay_alu instid0(VALU_DEP_2) | instskip(SKIP_3) | instid1(VALU_DEP_1)
	v_lshlrev_b32_e32 v6, 2, v8
	ds_bpermute_b32 v3, v6, v3
	s_wait_dscnt 0x0
	v_cndmask_b32_e64 v3, v3, v5, s10
	v_cndmask_b32_e64 v5, v3, v41, s2
	ds_bpermute_b32 v2, v6, v2
	s_wait_dscnt 0x0
	v_dual_cndmask_b32 v5, 0, v5, s9 :: v_dual_cndmask_b32 v2, v2, v4, s10
	s_delay_alu instid0(VALU_DEP_1) | instskip(NEXT) | instid1(VALU_DEP_1)
	v_cndmask_b32_e64 v4, v2, v40, s2
	v_cndmask_b32_e64 v4, 0, v4, s9
	s_delay_alu instid0(VALU_DEP_1) | instskip(NEXT) | instid1(VALU_DEP_1)
	v_add_nc_u64_e32 v[4:5], v[4:5], v[26:27]
	v_dual_cndmask_b32 v7, 0, v5 :: v_dual_cndmask_b32 v6, 0, v4
	s_delay_alu instid0(VALU_DEP_1) | instskip(NEXT) | instid1(VALU_DEP_1)
	v_add_nc_u64_e32 v[6:7], v[6:7], v[38:39]
	v_dual_cndmask_b32 v9, 0, v7, s1 :: v_dual_cndmask_b32 v8, 0, v6, s1
	s_delay_alu instid0(VALU_DEP_1) | instskip(NEXT) | instid1(VALU_DEP_1)
	v_add_nc_u64_e32 v[8:9], v[8:9], v[36:37]
	v_dual_cndmask_b32 v11, 0, v9, s3 :: v_dual_cndmask_b32 v10, 0, v8, s3
	;; [unrolled: 3-line block ×7, first 2 shown]
	s_and_saveexec_b32 s1, s2
	s_cbranch_execz .LBB1598_164
; %bb.163:
	v_mov_b32_e32 v1, 0
	ds_load_u8 v24, v1 offset:56
	ds_load_b64 v[2:3], v1 offset:48
	v_mov_b32_e32 v25, 2
	s_wait_dscnt 0x1
	v_and_b32_e32 v22, 0xffff, v24
	s_delay_alu instid0(VALU_DEP_1) | instskip(SKIP_2) | instid1(VALU_DEP_1)
	v_cmp_eq_u32_e32 vcc_lo, 0, v22
	v_dual_cndmask_b32 v23, 0, v41 :: v_dual_cndmask_b32 v22, 0, v40
	s_wait_dscnt 0x0
	v_add_nc_u64_e32 v[22:23], v[22:23], v[2:3]
	v_mov_b64_e32 v[2:3], v[40:41]
	s_clause 0x1
	global_store_b64 v1, v[22:23], s[22:23] offset:512
	global_store_b8 v1, v24, s[22:23] offset:520
	global_wb scope:SCOPE_DEV
	s_wait_storecnt 0x0
	global_inv scope:SCOPE_DEV
	s_wait_xcnt 0x0
	global_store_b8 v1, v25, s[24:25] offset:32 scope:SCOPE_DEV
.LBB1598_164:
	s_wait_xcnt 0x0
	s_or_b32 exec_lo, exec_lo, s1
.LBB1598_165:
	s_delay_alu instid0(VALU_DEP_1)
	v_add_nc_u64_e32 v[20:21], v[42:43], v[20:21]
	s_add_nc_u64 s[2:3], s[18:19], s[34:35]
	s_and_b32 vcc_lo, exec_lo, s0
	s_add_nc_u64 s[0:1], s[2:3], s[28:29]
	s_cbranch_vccz .LBB1598_197
; %bb.166:
	v_mul_u32_u24_e32 v1, 10, v0
	s_add_co_i32 s27, s27, s26
	s_mov_b32 s2, exec_lo
	s_delay_alu instid0(VALU_DEP_1)
	v_cmpx_gt_u32_e64 s27, v1
	s_cbranch_execz .LBB1598_178
; %bb.167:
	v_or_b32_e32 v22, 1, v1
	s_mov_b32 s3, exec_lo
	s_delay_alu instid0(VALU_DEP_1)
	v_cmpx_gt_u32_e64 s27, v22
	s_cbranch_execz .LBB1598_177
; %bb.168:
	v_add_nc_u32_e32 v22, 2, v1
	s_mov_b32 s4, exec_lo
	s_delay_alu instid0(VALU_DEP_1)
	v_cmpx_gt_u32_e64 s27, v22
	s_cbranch_execz .LBB1598_176
; %bb.169:
	v_add_nc_u32_e32 v22, 3, v1
	;; [unrolled: 6-line block ×4, first 2 shown]
	s_mov_b32 s7, exec_lo
	s_delay_alu instid0(VALU_DEP_1)
	v_cmpx_gt_u32_e64 s27, v22
; %bb.172:
	v_add_nc_u32_e32 v22, 6, v1
	s_mov_b32 s8, exec_lo
	s_delay_alu instid0(VALU_DEP_1)
	v_cmpx_gt_u32_e64 s27, v22
	s_or_b32 exec_lo, exec_lo, s8
; %bb.173:
	s_delay_alu instid0(SALU_CYCLE_1)
	s_or_b32 exec_lo, exec_lo, s7
.LBB1598_174:
	s_delay_alu instid0(SALU_CYCLE_1)
	s_or_b32 exec_lo, exec_lo, s6
.LBB1598_175:
	s_delay_alu instid0(SALU_CYCLE_1)
	s_or_b32 exec_lo, exec_lo, s5
.LBB1598_176:
	s_delay_alu instid0(SALU_CYCLE_1)
	s_or_b32 exec_lo, exec_lo, s4
.LBB1598_177:
	s_delay_alu instid0(SALU_CYCLE_1)
	s_or_b32 exec_lo, exec_lo, s3
.LBB1598_178:
	s_delay_alu instid0(SALU_CYCLE_1)
	s_or_b32 exec_lo, exec_lo, s2
	v_dual_lshlrev_b32 v1, 3, v1 :: v_dual_mov_b32 v41, 0
	s_wait_loadcnt 0x0
	s_wait_storecnt 0x0
	s_barrier_signal -1
	s_barrier_wait -1
	v_mad_i32_i24 v22, 0xffffffb8, v0, v1
	ds_store_b128 v1, v[2:5]
	ds_store_b128 v1, v[6:9] offset:16
	ds_store_b128 v1, v[10:13] offset:32
	;; [unrolled: 1-line block ×4, first 2 shown]
	s_wait_dscnt 0x0
	s_barrier_signal -1
	s_barrier_wait -1
	ds_load_2addr_stride64_b64 v[36:39], v22 offset0:2 offset1:4
	ds_load_2addr_stride64_b64 v[32:35], v22 offset0:6 offset1:8
	ds_load_2addr_stride64_b64 v[28:31], v22 offset0:10 offset1:12
	ds_load_2addr_stride64_b64 v[24:27], v22 offset0:14 offset1:16
	ds_load_b64 v[22:23], v22 offset:9216
	v_lshlrev_b32_e32 v40, 3, v0
	s_mov_b32 s2, exec_lo
	s_delay_alu instid0(VALU_DEP_1)
	v_add_nc_u64_e32 v[40:41], s[0:1], v[40:41]
	v_cmpx_gt_u32_e64 s27, v0
	s_cbranch_execz .LBB1598_180
; %bb.179:
	v_mul_i32_i24_e32 v42, 0xffffffb8, v0
	s_delay_alu instid0(VALU_DEP_1)
	v_add_nc_u32_e32 v1, v1, v42
	ds_load_b64 v[42:43], v1
	s_wait_dscnt 0x0
	flat_store_b64 v[40:41], v[42:43]
.LBB1598_180:
	s_wait_xcnt 0x0
	s_or_b32 exec_lo, exec_lo, s2
	v_or_b32_e32 v1, 0x80, v0
	s_mov_b32 s2, exec_lo
	s_delay_alu instid0(VALU_DEP_1)
	v_cmpx_gt_u32_e64 s27, v1
	s_cbranch_execz .LBB1598_182
; %bb.181:
	s_wait_dscnt 0x4
	flat_store_b64 v[40:41], v[36:37] offset:1024
.LBB1598_182:
	s_wait_xcnt 0x0
	s_or_b32 exec_lo, exec_lo, s2
	v_or_b32_e32 v1, 0x100, v0
	s_mov_b32 s2, exec_lo
	s_delay_alu instid0(VALU_DEP_1)
	v_cmpx_gt_u32_e64 s27, v1
	s_cbranch_execz .LBB1598_184
; %bb.183:
	s_wait_dscnt 0x4
	flat_store_b64 v[40:41], v[38:39] offset:2048
.LBB1598_184:
	;; [unrolled: 11-line block ×8, first 2 shown]
	s_wait_xcnt 0x0
	s_or_b32 exec_lo, exec_lo, s2
	v_or_b32_e32 v1, 0x480, v0
	s_delay_alu instid0(VALU_DEP_1)
	v_cmp_gt_u32_e64 s2, s27, v1
	s_branch .LBB1598_199
.LBB1598_197:
	s_mov_b32 s2, 0
                                        ; implicit-def: $vgpr22_vgpr23
	s_cbranch_execz .LBB1598_199
; %bb.198:
	v_mul_u32_u24_e32 v1, 0x50, v0
	s_wait_dscnt 0x0
	v_mul_i32_i24_e32 v22, 0xffffffb8, v0
	s_wait_loadcnt 0x0
	s_wait_storecnt 0x0
	s_barrier_signal -1
	s_barrier_wait -1
	ds_store_b128 v1, v[2:5]
	ds_store_b128 v1, v[6:9] offset:16
	ds_store_b128 v1, v[10:13] offset:32
	;; [unrolled: 1-line block ×4, first 2 shown]
	v_mad_u32_u24 v1, 0x50, v0, v22
	s_wait_dscnt 0x0
	s_barrier_signal -1
	s_barrier_wait -1
	ds_load_2addr_stride64_b64 v[2:5], v1 offset1:2
	ds_load_2addr_stride64_b64 v[6:9], v1 offset0:4 offset1:6
	ds_load_2addr_stride64_b64 v[10:13], v1 offset0:8 offset1:10
	ds_load_2addr_stride64_b64 v[14:17], v1 offset0:12 offset1:14
	ds_load_2addr_stride64_b64 v[20:23], v1 offset0:16 offset1:18
	s_or_b32 s2, s2, exec_lo
	s_wait_dscnt 0x4
	s_clause 0x1
	flat_store_b64 v0, v[2:3], s[0:1] scale_offset
	flat_store_b64 v0, v[4:5], s[0:1] offset:1024 scale_offset
	s_wait_dscnt 0x5
	s_clause 0x1
	flat_store_b64 v0, v[6:7], s[0:1] offset:2048 scale_offset
	flat_store_b64 v0, v[8:9], s[0:1] offset:3072 scale_offset
	s_wait_dscnt 0x6
	s_clause 0x1
	flat_store_b64 v0, v[10:11], s[0:1] offset:4096 scale_offset
	flat_store_b64 v0, v[12:13], s[0:1] offset:5120 scale_offset
	s_wait_dscnt 0x7
	s_clause 0x1
	flat_store_b64 v0, v[14:15], s[0:1] offset:6144 scale_offset
	flat_store_b64 v0, v[16:17], s[0:1] offset:7168 scale_offset
	s_wait_dscnt 0x8
	flat_store_b64 v0, v[20:21], s[0:1] offset:8192 scale_offset
.LBB1598_199:
	s_wait_xcnt 0x0
	s_delay_alu instid0(VALU_DEP_1)
	s_and_saveexec_b32 s3, s2
	s_cbranch_execz .LBB1598_201
; %bb.200:
	s_wait_dscnt 0x0
	flat_store_b64 v0, v[22:23], s[0:1] offset:9216 scale_offset
	s_sendmsg sendmsg(MSG_DEALLOC_VGPRS)
	s_endpgm
.LBB1598_201:
	s_sendmsg sendmsg(MSG_DEALLOC_VGPRS)
	s_endpgm
	.section	.rodata,"a",@progbits
	.p2align	6, 0x0
	.amdhsa_kernel _ZN7rocprim17ROCPRIM_400000_NS6detail17trampoline_kernelINS0_14default_configENS1_27scan_by_key_config_selectorIixEEZZNS1_16scan_by_key_implILNS1_25lookback_scan_determinismE0ELb1ES3_N6thrust23THRUST_200600_302600_NS6detail15normal_iteratorINS9_10device_ptrIiEEEENSB_INSC_IxEEEESG_xNS9_4plusIvEENS9_8equal_toIvEExEE10hipError_tPvRmT2_T3_T4_T5_mT6_T7_P12ihipStream_tbENKUlT_T0_E_clISt17integral_constantIbLb0EES10_IbLb1EEEEDaSW_SX_EUlSW_E_NS1_11comp_targetILNS1_3genE0ELNS1_11target_archE4294967295ELNS1_3gpuE0ELNS1_3repE0EEENS1_30default_config_static_selectorELNS0_4arch9wavefront6targetE0EEEvT1_
		.amdhsa_group_segment_fixed_size 10240
		.amdhsa_private_segment_fixed_size 0
		.amdhsa_kernarg_size 136
		.amdhsa_user_sgpr_count 2
		.amdhsa_user_sgpr_dispatch_ptr 0
		.amdhsa_user_sgpr_queue_ptr 0
		.amdhsa_user_sgpr_kernarg_segment_ptr 1
		.amdhsa_user_sgpr_dispatch_id 0
		.amdhsa_user_sgpr_kernarg_preload_length 0
		.amdhsa_user_sgpr_kernarg_preload_offset 0
		.amdhsa_user_sgpr_private_segment_size 0
		.amdhsa_wavefront_size32 1
		.amdhsa_uses_dynamic_stack 0
		.amdhsa_enable_private_segment 0
		.amdhsa_system_sgpr_workgroup_id_x 1
		.amdhsa_system_sgpr_workgroup_id_y 0
		.amdhsa_system_sgpr_workgroup_id_z 0
		.amdhsa_system_sgpr_workgroup_info 0
		.amdhsa_system_vgpr_workitem_id 0
		.amdhsa_next_free_vgpr 73
		.amdhsa_next_free_sgpr 51
		.amdhsa_named_barrier_count 0
		.amdhsa_reserve_vcc 1
		.amdhsa_float_round_mode_32 0
		.amdhsa_float_round_mode_16_64 0
		.amdhsa_float_denorm_mode_32 3
		.amdhsa_float_denorm_mode_16_64 3
		.amdhsa_fp16_overflow 0
		.amdhsa_memory_ordered 1
		.amdhsa_forward_progress 1
		.amdhsa_inst_pref_size 92
		.amdhsa_round_robin_scheduling 0
		.amdhsa_exception_fp_ieee_invalid_op 0
		.amdhsa_exception_fp_denorm_src 0
		.amdhsa_exception_fp_ieee_div_zero 0
		.amdhsa_exception_fp_ieee_overflow 0
		.amdhsa_exception_fp_ieee_underflow 0
		.amdhsa_exception_fp_ieee_inexact 0
		.amdhsa_exception_int_div_zero 0
	.end_amdhsa_kernel
	.section	.text._ZN7rocprim17ROCPRIM_400000_NS6detail17trampoline_kernelINS0_14default_configENS1_27scan_by_key_config_selectorIixEEZZNS1_16scan_by_key_implILNS1_25lookback_scan_determinismE0ELb1ES3_N6thrust23THRUST_200600_302600_NS6detail15normal_iteratorINS9_10device_ptrIiEEEENSB_INSC_IxEEEESG_xNS9_4plusIvEENS9_8equal_toIvEExEE10hipError_tPvRmT2_T3_T4_T5_mT6_T7_P12ihipStream_tbENKUlT_T0_E_clISt17integral_constantIbLb0EES10_IbLb1EEEEDaSW_SX_EUlSW_E_NS1_11comp_targetILNS1_3genE0ELNS1_11target_archE4294967295ELNS1_3gpuE0ELNS1_3repE0EEENS1_30default_config_static_selectorELNS0_4arch9wavefront6targetE0EEEvT1_,"axG",@progbits,_ZN7rocprim17ROCPRIM_400000_NS6detail17trampoline_kernelINS0_14default_configENS1_27scan_by_key_config_selectorIixEEZZNS1_16scan_by_key_implILNS1_25lookback_scan_determinismE0ELb1ES3_N6thrust23THRUST_200600_302600_NS6detail15normal_iteratorINS9_10device_ptrIiEEEENSB_INSC_IxEEEESG_xNS9_4plusIvEENS9_8equal_toIvEExEE10hipError_tPvRmT2_T3_T4_T5_mT6_T7_P12ihipStream_tbENKUlT_T0_E_clISt17integral_constantIbLb0EES10_IbLb1EEEEDaSW_SX_EUlSW_E_NS1_11comp_targetILNS1_3genE0ELNS1_11target_archE4294967295ELNS1_3gpuE0ELNS1_3repE0EEENS1_30default_config_static_selectorELNS0_4arch9wavefront6targetE0EEEvT1_,comdat
.Lfunc_end1598:
	.size	_ZN7rocprim17ROCPRIM_400000_NS6detail17trampoline_kernelINS0_14default_configENS1_27scan_by_key_config_selectorIixEEZZNS1_16scan_by_key_implILNS1_25lookback_scan_determinismE0ELb1ES3_N6thrust23THRUST_200600_302600_NS6detail15normal_iteratorINS9_10device_ptrIiEEEENSB_INSC_IxEEEESG_xNS9_4plusIvEENS9_8equal_toIvEExEE10hipError_tPvRmT2_T3_T4_T5_mT6_T7_P12ihipStream_tbENKUlT_T0_E_clISt17integral_constantIbLb0EES10_IbLb1EEEEDaSW_SX_EUlSW_E_NS1_11comp_targetILNS1_3genE0ELNS1_11target_archE4294967295ELNS1_3gpuE0ELNS1_3repE0EEENS1_30default_config_static_selectorELNS0_4arch9wavefront6targetE0EEEvT1_, .Lfunc_end1598-_ZN7rocprim17ROCPRIM_400000_NS6detail17trampoline_kernelINS0_14default_configENS1_27scan_by_key_config_selectorIixEEZZNS1_16scan_by_key_implILNS1_25lookback_scan_determinismE0ELb1ES3_N6thrust23THRUST_200600_302600_NS6detail15normal_iteratorINS9_10device_ptrIiEEEENSB_INSC_IxEEEESG_xNS9_4plusIvEENS9_8equal_toIvEExEE10hipError_tPvRmT2_T3_T4_T5_mT6_T7_P12ihipStream_tbENKUlT_T0_E_clISt17integral_constantIbLb0EES10_IbLb1EEEEDaSW_SX_EUlSW_E_NS1_11comp_targetILNS1_3genE0ELNS1_11target_archE4294967295ELNS1_3gpuE0ELNS1_3repE0EEENS1_30default_config_static_selectorELNS0_4arch9wavefront6targetE0EEEvT1_
                                        ; -- End function
	.set _ZN7rocprim17ROCPRIM_400000_NS6detail17trampoline_kernelINS0_14default_configENS1_27scan_by_key_config_selectorIixEEZZNS1_16scan_by_key_implILNS1_25lookback_scan_determinismE0ELb1ES3_N6thrust23THRUST_200600_302600_NS6detail15normal_iteratorINS9_10device_ptrIiEEEENSB_INSC_IxEEEESG_xNS9_4plusIvEENS9_8equal_toIvEExEE10hipError_tPvRmT2_T3_T4_T5_mT6_T7_P12ihipStream_tbENKUlT_T0_E_clISt17integral_constantIbLb0EES10_IbLb1EEEEDaSW_SX_EUlSW_E_NS1_11comp_targetILNS1_3genE0ELNS1_11target_archE4294967295ELNS1_3gpuE0ELNS1_3repE0EEENS1_30default_config_static_selectorELNS0_4arch9wavefront6targetE0EEEvT1_.num_vgpr, 73
	.set _ZN7rocprim17ROCPRIM_400000_NS6detail17trampoline_kernelINS0_14default_configENS1_27scan_by_key_config_selectorIixEEZZNS1_16scan_by_key_implILNS1_25lookback_scan_determinismE0ELb1ES3_N6thrust23THRUST_200600_302600_NS6detail15normal_iteratorINS9_10device_ptrIiEEEENSB_INSC_IxEEEESG_xNS9_4plusIvEENS9_8equal_toIvEExEE10hipError_tPvRmT2_T3_T4_T5_mT6_T7_P12ihipStream_tbENKUlT_T0_E_clISt17integral_constantIbLb0EES10_IbLb1EEEEDaSW_SX_EUlSW_E_NS1_11comp_targetILNS1_3genE0ELNS1_11target_archE4294967295ELNS1_3gpuE0ELNS1_3repE0EEENS1_30default_config_static_selectorELNS0_4arch9wavefront6targetE0EEEvT1_.num_agpr, 0
	.set _ZN7rocprim17ROCPRIM_400000_NS6detail17trampoline_kernelINS0_14default_configENS1_27scan_by_key_config_selectorIixEEZZNS1_16scan_by_key_implILNS1_25lookback_scan_determinismE0ELb1ES3_N6thrust23THRUST_200600_302600_NS6detail15normal_iteratorINS9_10device_ptrIiEEEENSB_INSC_IxEEEESG_xNS9_4plusIvEENS9_8equal_toIvEExEE10hipError_tPvRmT2_T3_T4_T5_mT6_T7_P12ihipStream_tbENKUlT_T0_E_clISt17integral_constantIbLb0EES10_IbLb1EEEEDaSW_SX_EUlSW_E_NS1_11comp_targetILNS1_3genE0ELNS1_11target_archE4294967295ELNS1_3gpuE0ELNS1_3repE0EEENS1_30default_config_static_selectorELNS0_4arch9wavefront6targetE0EEEvT1_.numbered_sgpr, 51
	.set _ZN7rocprim17ROCPRIM_400000_NS6detail17trampoline_kernelINS0_14default_configENS1_27scan_by_key_config_selectorIixEEZZNS1_16scan_by_key_implILNS1_25lookback_scan_determinismE0ELb1ES3_N6thrust23THRUST_200600_302600_NS6detail15normal_iteratorINS9_10device_ptrIiEEEENSB_INSC_IxEEEESG_xNS9_4plusIvEENS9_8equal_toIvEExEE10hipError_tPvRmT2_T3_T4_T5_mT6_T7_P12ihipStream_tbENKUlT_T0_E_clISt17integral_constantIbLb0EES10_IbLb1EEEEDaSW_SX_EUlSW_E_NS1_11comp_targetILNS1_3genE0ELNS1_11target_archE4294967295ELNS1_3gpuE0ELNS1_3repE0EEENS1_30default_config_static_selectorELNS0_4arch9wavefront6targetE0EEEvT1_.num_named_barrier, 0
	.set _ZN7rocprim17ROCPRIM_400000_NS6detail17trampoline_kernelINS0_14default_configENS1_27scan_by_key_config_selectorIixEEZZNS1_16scan_by_key_implILNS1_25lookback_scan_determinismE0ELb1ES3_N6thrust23THRUST_200600_302600_NS6detail15normal_iteratorINS9_10device_ptrIiEEEENSB_INSC_IxEEEESG_xNS9_4plusIvEENS9_8equal_toIvEExEE10hipError_tPvRmT2_T3_T4_T5_mT6_T7_P12ihipStream_tbENKUlT_T0_E_clISt17integral_constantIbLb0EES10_IbLb1EEEEDaSW_SX_EUlSW_E_NS1_11comp_targetILNS1_3genE0ELNS1_11target_archE4294967295ELNS1_3gpuE0ELNS1_3repE0EEENS1_30default_config_static_selectorELNS0_4arch9wavefront6targetE0EEEvT1_.private_seg_size, 0
	.set _ZN7rocprim17ROCPRIM_400000_NS6detail17trampoline_kernelINS0_14default_configENS1_27scan_by_key_config_selectorIixEEZZNS1_16scan_by_key_implILNS1_25lookback_scan_determinismE0ELb1ES3_N6thrust23THRUST_200600_302600_NS6detail15normal_iteratorINS9_10device_ptrIiEEEENSB_INSC_IxEEEESG_xNS9_4plusIvEENS9_8equal_toIvEExEE10hipError_tPvRmT2_T3_T4_T5_mT6_T7_P12ihipStream_tbENKUlT_T0_E_clISt17integral_constantIbLb0EES10_IbLb1EEEEDaSW_SX_EUlSW_E_NS1_11comp_targetILNS1_3genE0ELNS1_11target_archE4294967295ELNS1_3gpuE0ELNS1_3repE0EEENS1_30default_config_static_selectorELNS0_4arch9wavefront6targetE0EEEvT1_.uses_vcc, 1
	.set _ZN7rocprim17ROCPRIM_400000_NS6detail17trampoline_kernelINS0_14default_configENS1_27scan_by_key_config_selectorIixEEZZNS1_16scan_by_key_implILNS1_25lookback_scan_determinismE0ELb1ES3_N6thrust23THRUST_200600_302600_NS6detail15normal_iteratorINS9_10device_ptrIiEEEENSB_INSC_IxEEEESG_xNS9_4plusIvEENS9_8equal_toIvEExEE10hipError_tPvRmT2_T3_T4_T5_mT6_T7_P12ihipStream_tbENKUlT_T0_E_clISt17integral_constantIbLb0EES10_IbLb1EEEEDaSW_SX_EUlSW_E_NS1_11comp_targetILNS1_3genE0ELNS1_11target_archE4294967295ELNS1_3gpuE0ELNS1_3repE0EEENS1_30default_config_static_selectorELNS0_4arch9wavefront6targetE0EEEvT1_.uses_flat_scratch, 1
	.set _ZN7rocprim17ROCPRIM_400000_NS6detail17trampoline_kernelINS0_14default_configENS1_27scan_by_key_config_selectorIixEEZZNS1_16scan_by_key_implILNS1_25lookback_scan_determinismE0ELb1ES3_N6thrust23THRUST_200600_302600_NS6detail15normal_iteratorINS9_10device_ptrIiEEEENSB_INSC_IxEEEESG_xNS9_4plusIvEENS9_8equal_toIvEExEE10hipError_tPvRmT2_T3_T4_T5_mT6_T7_P12ihipStream_tbENKUlT_T0_E_clISt17integral_constantIbLb0EES10_IbLb1EEEEDaSW_SX_EUlSW_E_NS1_11comp_targetILNS1_3genE0ELNS1_11target_archE4294967295ELNS1_3gpuE0ELNS1_3repE0EEENS1_30default_config_static_selectorELNS0_4arch9wavefront6targetE0EEEvT1_.has_dyn_sized_stack, 0
	.set _ZN7rocprim17ROCPRIM_400000_NS6detail17trampoline_kernelINS0_14default_configENS1_27scan_by_key_config_selectorIixEEZZNS1_16scan_by_key_implILNS1_25lookback_scan_determinismE0ELb1ES3_N6thrust23THRUST_200600_302600_NS6detail15normal_iteratorINS9_10device_ptrIiEEEENSB_INSC_IxEEEESG_xNS9_4plusIvEENS9_8equal_toIvEExEE10hipError_tPvRmT2_T3_T4_T5_mT6_T7_P12ihipStream_tbENKUlT_T0_E_clISt17integral_constantIbLb0EES10_IbLb1EEEEDaSW_SX_EUlSW_E_NS1_11comp_targetILNS1_3genE0ELNS1_11target_archE4294967295ELNS1_3gpuE0ELNS1_3repE0EEENS1_30default_config_static_selectorELNS0_4arch9wavefront6targetE0EEEvT1_.has_recursion, 0
	.set _ZN7rocprim17ROCPRIM_400000_NS6detail17trampoline_kernelINS0_14default_configENS1_27scan_by_key_config_selectorIixEEZZNS1_16scan_by_key_implILNS1_25lookback_scan_determinismE0ELb1ES3_N6thrust23THRUST_200600_302600_NS6detail15normal_iteratorINS9_10device_ptrIiEEEENSB_INSC_IxEEEESG_xNS9_4plusIvEENS9_8equal_toIvEExEE10hipError_tPvRmT2_T3_T4_T5_mT6_T7_P12ihipStream_tbENKUlT_T0_E_clISt17integral_constantIbLb0EES10_IbLb1EEEEDaSW_SX_EUlSW_E_NS1_11comp_targetILNS1_3genE0ELNS1_11target_archE4294967295ELNS1_3gpuE0ELNS1_3repE0EEENS1_30default_config_static_selectorELNS0_4arch9wavefront6targetE0EEEvT1_.has_indirect_call, 0
	.section	.AMDGPU.csdata,"",@progbits
; Kernel info:
; codeLenInByte = 11676
; TotalNumSgprs: 53
; NumVgprs: 73
; ScratchSize: 0
; MemoryBound: 0
; FloatMode: 240
; IeeeMode: 1
; LDSByteSize: 10240 bytes/workgroup (compile time only)
; SGPRBlocks: 0
; VGPRBlocks: 4
; NumSGPRsForWavesPerEU: 53
; NumVGPRsForWavesPerEU: 73
; NamedBarCnt: 0
; Occupancy: 12
; WaveLimiterHint : 1
; COMPUTE_PGM_RSRC2:SCRATCH_EN: 0
; COMPUTE_PGM_RSRC2:USER_SGPR: 2
; COMPUTE_PGM_RSRC2:TRAP_HANDLER: 0
; COMPUTE_PGM_RSRC2:TGID_X_EN: 1
; COMPUTE_PGM_RSRC2:TGID_Y_EN: 0
; COMPUTE_PGM_RSRC2:TGID_Z_EN: 0
; COMPUTE_PGM_RSRC2:TIDIG_COMP_CNT: 0
	.section	.text._ZN7rocprim17ROCPRIM_400000_NS6detail17trampoline_kernelINS0_14default_configENS1_27scan_by_key_config_selectorIixEEZZNS1_16scan_by_key_implILNS1_25lookback_scan_determinismE0ELb1ES3_N6thrust23THRUST_200600_302600_NS6detail15normal_iteratorINS9_10device_ptrIiEEEENSB_INSC_IxEEEESG_xNS9_4plusIvEENS9_8equal_toIvEExEE10hipError_tPvRmT2_T3_T4_T5_mT6_T7_P12ihipStream_tbENKUlT_T0_E_clISt17integral_constantIbLb0EES10_IbLb1EEEEDaSW_SX_EUlSW_E_NS1_11comp_targetILNS1_3genE10ELNS1_11target_archE1201ELNS1_3gpuE5ELNS1_3repE0EEENS1_30default_config_static_selectorELNS0_4arch9wavefront6targetE0EEEvT1_,"axG",@progbits,_ZN7rocprim17ROCPRIM_400000_NS6detail17trampoline_kernelINS0_14default_configENS1_27scan_by_key_config_selectorIixEEZZNS1_16scan_by_key_implILNS1_25lookback_scan_determinismE0ELb1ES3_N6thrust23THRUST_200600_302600_NS6detail15normal_iteratorINS9_10device_ptrIiEEEENSB_INSC_IxEEEESG_xNS9_4plusIvEENS9_8equal_toIvEExEE10hipError_tPvRmT2_T3_T4_T5_mT6_T7_P12ihipStream_tbENKUlT_T0_E_clISt17integral_constantIbLb0EES10_IbLb1EEEEDaSW_SX_EUlSW_E_NS1_11comp_targetILNS1_3genE10ELNS1_11target_archE1201ELNS1_3gpuE5ELNS1_3repE0EEENS1_30default_config_static_selectorELNS0_4arch9wavefront6targetE0EEEvT1_,comdat
	.protected	_ZN7rocprim17ROCPRIM_400000_NS6detail17trampoline_kernelINS0_14default_configENS1_27scan_by_key_config_selectorIixEEZZNS1_16scan_by_key_implILNS1_25lookback_scan_determinismE0ELb1ES3_N6thrust23THRUST_200600_302600_NS6detail15normal_iteratorINS9_10device_ptrIiEEEENSB_INSC_IxEEEESG_xNS9_4plusIvEENS9_8equal_toIvEExEE10hipError_tPvRmT2_T3_T4_T5_mT6_T7_P12ihipStream_tbENKUlT_T0_E_clISt17integral_constantIbLb0EES10_IbLb1EEEEDaSW_SX_EUlSW_E_NS1_11comp_targetILNS1_3genE10ELNS1_11target_archE1201ELNS1_3gpuE5ELNS1_3repE0EEENS1_30default_config_static_selectorELNS0_4arch9wavefront6targetE0EEEvT1_ ; -- Begin function _ZN7rocprim17ROCPRIM_400000_NS6detail17trampoline_kernelINS0_14default_configENS1_27scan_by_key_config_selectorIixEEZZNS1_16scan_by_key_implILNS1_25lookback_scan_determinismE0ELb1ES3_N6thrust23THRUST_200600_302600_NS6detail15normal_iteratorINS9_10device_ptrIiEEEENSB_INSC_IxEEEESG_xNS9_4plusIvEENS9_8equal_toIvEExEE10hipError_tPvRmT2_T3_T4_T5_mT6_T7_P12ihipStream_tbENKUlT_T0_E_clISt17integral_constantIbLb0EES10_IbLb1EEEEDaSW_SX_EUlSW_E_NS1_11comp_targetILNS1_3genE10ELNS1_11target_archE1201ELNS1_3gpuE5ELNS1_3repE0EEENS1_30default_config_static_selectorELNS0_4arch9wavefront6targetE0EEEvT1_
	.globl	_ZN7rocprim17ROCPRIM_400000_NS6detail17trampoline_kernelINS0_14default_configENS1_27scan_by_key_config_selectorIixEEZZNS1_16scan_by_key_implILNS1_25lookback_scan_determinismE0ELb1ES3_N6thrust23THRUST_200600_302600_NS6detail15normal_iteratorINS9_10device_ptrIiEEEENSB_INSC_IxEEEESG_xNS9_4plusIvEENS9_8equal_toIvEExEE10hipError_tPvRmT2_T3_T4_T5_mT6_T7_P12ihipStream_tbENKUlT_T0_E_clISt17integral_constantIbLb0EES10_IbLb1EEEEDaSW_SX_EUlSW_E_NS1_11comp_targetILNS1_3genE10ELNS1_11target_archE1201ELNS1_3gpuE5ELNS1_3repE0EEENS1_30default_config_static_selectorELNS0_4arch9wavefront6targetE0EEEvT1_
	.p2align	8
	.type	_ZN7rocprim17ROCPRIM_400000_NS6detail17trampoline_kernelINS0_14default_configENS1_27scan_by_key_config_selectorIixEEZZNS1_16scan_by_key_implILNS1_25lookback_scan_determinismE0ELb1ES3_N6thrust23THRUST_200600_302600_NS6detail15normal_iteratorINS9_10device_ptrIiEEEENSB_INSC_IxEEEESG_xNS9_4plusIvEENS9_8equal_toIvEExEE10hipError_tPvRmT2_T3_T4_T5_mT6_T7_P12ihipStream_tbENKUlT_T0_E_clISt17integral_constantIbLb0EES10_IbLb1EEEEDaSW_SX_EUlSW_E_NS1_11comp_targetILNS1_3genE10ELNS1_11target_archE1201ELNS1_3gpuE5ELNS1_3repE0EEENS1_30default_config_static_selectorELNS0_4arch9wavefront6targetE0EEEvT1_,@function
_ZN7rocprim17ROCPRIM_400000_NS6detail17trampoline_kernelINS0_14default_configENS1_27scan_by_key_config_selectorIixEEZZNS1_16scan_by_key_implILNS1_25lookback_scan_determinismE0ELb1ES3_N6thrust23THRUST_200600_302600_NS6detail15normal_iteratorINS9_10device_ptrIiEEEENSB_INSC_IxEEEESG_xNS9_4plusIvEENS9_8equal_toIvEExEE10hipError_tPvRmT2_T3_T4_T5_mT6_T7_P12ihipStream_tbENKUlT_T0_E_clISt17integral_constantIbLb0EES10_IbLb1EEEEDaSW_SX_EUlSW_E_NS1_11comp_targetILNS1_3genE10ELNS1_11target_archE1201ELNS1_3gpuE5ELNS1_3repE0EEENS1_30default_config_static_selectorELNS0_4arch9wavefront6targetE0EEEvT1_: ; @_ZN7rocprim17ROCPRIM_400000_NS6detail17trampoline_kernelINS0_14default_configENS1_27scan_by_key_config_selectorIixEEZZNS1_16scan_by_key_implILNS1_25lookback_scan_determinismE0ELb1ES3_N6thrust23THRUST_200600_302600_NS6detail15normal_iteratorINS9_10device_ptrIiEEEENSB_INSC_IxEEEESG_xNS9_4plusIvEENS9_8equal_toIvEExEE10hipError_tPvRmT2_T3_T4_T5_mT6_T7_P12ihipStream_tbENKUlT_T0_E_clISt17integral_constantIbLb0EES10_IbLb1EEEEDaSW_SX_EUlSW_E_NS1_11comp_targetILNS1_3genE10ELNS1_11target_archE1201ELNS1_3gpuE5ELNS1_3repE0EEENS1_30default_config_static_selectorELNS0_4arch9wavefront6targetE0EEEvT1_
; %bb.0:
	.section	.rodata,"a",@progbits
	.p2align	6, 0x0
	.amdhsa_kernel _ZN7rocprim17ROCPRIM_400000_NS6detail17trampoline_kernelINS0_14default_configENS1_27scan_by_key_config_selectorIixEEZZNS1_16scan_by_key_implILNS1_25lookback_scan_determinismE0ELb1ES3_N6thrust23THRUST_200600_302600_NS6detail15normal_iteratorINS9_10device_ptrIiEEEENSB_INSC_IxEEEESG_xNS9_4plusIvEENS9_8equal_toIvEExEE10hipError_tPvRmT2_T3_T4_T5_mT6_T7_P12ihipStream_tbENKUlT_T0_E_clISt17integral_constantIbLb0EES10_IbLb1EEEEDaSW_SX_EUlSW_E_NS1_11comp_targetILNS1_3genE10ELNS1_11target_archE1201ELNS1_3gpuE5ELNS1_3repE0EEENS1_30default_config_static_selectorELNS0_4arch9wavefront6targetE0EEEvT1_
		.amdhsa_group_segment_fixed_size 0
		.amdhsa_private_segment_fixed_size 0
		.amdhsa_kernarg_size 136
		.amdhsa_user_sgpr_count 2
		.amdhsa_user_sgpr_dispatch_ptr 0
		.amdhsa_user_sgpr_queue_ptr 0
		.amdhsa_user_sgpr_kernarg_segment_ptr 1
		.amdhsa_user_sgpr_dispatch_id 0
		.amdhsa_user_sgpr_kernarg_preload_length 0
		.amdhsa_user_sgpr_kernarg_preload_offset 0
		.amdhsa_user_sgpr_private_segment_size 0
		.amdhsa_wavefront_size32 1
		.amdhsa_uses_dynamic_stack 0
		.amdhsa_enable_private_segment 0
		.amdhsa_system_sgpr_workgroup_id_x 1
		.amdhsa_system_sgpr_workgroup_id_y 0
		.amdhsa_system_sgpr_workgroup_id_z 0
		.amdhsa_system_sgpr_workgroup_info 0
		.amdhsa_system_vgpr_workitem_id 0
		.amdhsa_next_free_vgpr 1
		.amdhsa_next_free_sgpr 1
		.amdhsa_named_barrier_count 0
		.amdhsa_reserve_vcc 0
		.amdhsa_float_round_mode_32 0
		.amdhsa_float_round_mode_16_64 0
		.amdhsa_float_denorm_mode_32 3
		.amdhsa_float_denorm_mode_16_64 3
		.amdhsa_fp16_overflow 0
		.amdhsa_memory_ordered 1
		.amdhsa_forward_progress 1
		.amdhsa_inst_pref_size 0
		.amdhsa_round_robin_scheduling 0
		.amdhsa_exception_fp_ieee_invalid_op 0
		.amdhsa_exception_fp_denorm_src 0
		.amdhsa_exception_fp_ieee_div_zero 0
		.amdhsa_exception_fp_ieee_overflow 0
		.amdhsa_exception_fp_ieee_underflow 0
		.amdhsa_exception_fp_ieee_inexact 0
		.amdhsa_exception_int_div_zero 0
	.end_amdhsa_kernel
	.section	.text._ZN7rocprim17ROCPRIM_400000_NS6detail17trampoline_kernelINS0_14default_configENS1_27scan_by_key_config_selectorIixEEZZNS1_16scan_by_key_implILNS1_25lookback_scan_determinismE0ELb1ES3_N6thrust23THRUST_200600_302600_NS6detail15normal_iteratorINS9_10device_ptrIiEEEENSB_INSC_IxEEEESG_xNS9_4plusIvEENS9_8equal_toIvEExEE10hipError_tPvRmT2_T3_T4_T5_mT6_T7_P12ihipStream_tbENKUlT_T0_E_clISt17integral_constantIbLb0EES10_IbLb1EEEEDaSW_SX_EUlSW_E_NS1_11comp_targetILNS1_3genE10ELNS1_11target_archE1201ELNS1_3gpuE5ELNS1_3repE0EEENS1_30default_config_static_selectorELNS0_4arch9wavefront6targetE0EEEvT1_,"axG",@progbits,_ZN7rocprim17ROCPRIM_400000_NS6detail17trampoline_kernelINS0_14default_configENS1_27scan_by_key_config_selectorIixEEZZNS1_16scan_by_key_implILNS1_25lookback_scan_determinismE0ELb1ES3_N6thrust23THRUST_200600_302600_NS6detail15normal_iteratorINS9_10device_ptrIiEEEENSB_INSC_IxEEEESG_xNS9_4plusIvEENS9_8equal_toIvEExEE10hipError_tPvRmT2_T3_T4_T5_mT6_T7_P12ihipStream_tbENKUlT_T0_E_clISt17integral_constantIbLb0EES10_IbLb1EEEEDaSW_SX_EUlSW_E_NS1_11comp_targetILNS1_3genE10ELNS1_11target_archE1201ELNS1_3gpuE5ELNS1_3repE0EEENS1_30default_config_static_selectorELNS0_4arch9wavefront6targetE0EEEvT1_,comdat
.Lfunc_end1599:
	.size	_ZN7rocprim17ROCPRIM_400000_NS6detail17trampoline_kernelINS0_14default_configENS1_27scan_by_key_config_selectorIixEEZZNS1_16scan_by_key_implILNS1_25lookback_scan_determinismE0ELb1ES3_N6thrust23THRUST_200600_302600_NS6detail15normal_iteratorINS9_10device_ptrIiEEEENSB_INSC_IxEEEESG_xNS9_4plusIvEENS9_8equal_toIvEExEE10hipError_tPvRmT2_T3_T4_T5_mT6_T7_P12ihipStream_tbENKUlT_T0_E_clISt17integral_constantIbLb0EES10_IbLb1EEEEDaSW_SX_EUlSW_E_NS1_11comp_targetILNS1_3genE10ELNS1_11target_archE1201ELNS1_3gpuE5ELNS1_3repE0EEENS1_30default_config_static_selectorELNS0_4arch9wavefront6targetE0EEEvT1_, .Lfunc_end1599-_ZN7rocprim17ROCPRIM_400000_NS6detail17trampoline_kernelINS0_14default_configENS1_27scan_by_key_config_selectorIixEEZZNS1_16scan_by_key_implILNS1_25lookback_scan_determinismE0ELb1ES3_N6thrust23THRUST_200600_302600_NS6detail15normal_iteratorINS9_10device_ptrIiEEEENSB_INSC_IxEEEESG_xNS9_4plusIvEENS9_8equal_toIvEExEE10hipError_tPvRmT2_T3_T4_T5_mT6_T7_P12ihipStream_tbENKUlT_T0_E_clISt17integral_constantIbLb0EES10_IbLb1EEEEDaSW_SX_EUlSW_E_NS1_11comp_targetILNS1_3genE10ELNS1_11target_archE1201ELNS1_3gpuE5ELNS1_3repE0EEENS1_30default_config_static_selectorELNS0_4arch9wavefront6targetE0EEEvT1_
                                        ; -- End function
	.set _ZN7rocprim17ROCPRIM_400000_NS6detail17trampoline_kernelINS0_14default_configENS1_27scan_by_key_config_selectorIixEEZZNS1_16scan_by_key_implILNS1_25lookback_scan_determinismE0ELb1ES3_N6thrust23THRUST_200600_302600_NS6detail15normal_iteratorINS9_10device_ptrIiEEEENSB_INSC_IxEEEESG_xNS9_4plusIvEENS9_8equal_toIvEExEE10hipError_tPvRmT2_T3_T4_T5_mT6_T7_P12ihipStream_tbENKUlT_T0_E_clISt17integral_constantIbLb0EES10_IbLb1EEEEDaSW_SX_EUlSW_E_NS1_11comp_targetILNS1_3genE10ELNS1_11target_archE1201ELNS1_3gpuE5ELNS1_3repE0EEENS1_30default_config_static_selectorELNS0_4arch9wavefront6targetE0EEEvT1_.num_vgpr, 0
	.set _ZN7rocprim17ROCPRIM_400000_NS6detail17trampoline_kernelINS0_14default_configENS1_27scan_by_key_config_selectorIixEEZZNS1_16scan_by_key_implILNS1_25lookback_scan_determinismE0ELb1ES3_N6thrust23THRUST_200600_302600_NS6detail15normal_iteratorINS9_10device_ptrIiEEEENSB_INSC_IxEEEESG_xNS9_4plusIvEENS9_8equal_toIvEExEE10hipError_tPvRmT2_T3_T4_T5_mT6_T7_P12ihipStream_tbENKUlT_T0_E_clISt17integral_constantIbLb0EES10_IbLb1EEEEDaSW_SX_EUlSW_E_NS1_11comp_targetILNS1_3genE10ELNS1_11target_archE1201ELNS1_3gpuE5ELNS1_3repE0EEENS1_30default_config_static_selectorELNS0_4arch9wavefront6targetE0EEEvT1_.num_agpr, 0
	.set _ZN7rocprim17ROCPRIM_400000_NS6detail17trampoline_kernelINS0_14default_configENS1_27scan_by_key_config_selectorIixEEZZNS1_16scan_by_key_implILNS1_25lookback_scan_determinismE0ELb1ES3_N6thrust23THRUST_200600_302600_NS6detail15normal_iteratorINS9_10device_ptrIiEEEENSB_INSC_IxEEEESG_xNS9_4plusIvEENS9_8equal_toIvEExEE10hipError_tPvRmT2_T3_T4_T5_mT6_T7_P12ihipStream_tbENKUlT_T0_E_clISt17integral_constantIbLb0EES10_IbLb1EEEEDaSW_SX_EUlSW_E_NS1_11comp_targetILNS1_3genE10ELNS1_11target_archE1201ELNS1_3gpuE5ELNS1_3repE0EEENS1_30default_config_static_selectorELNS0_4arch9wavefront6targetE0EEEvT1_.numbered_sgpr, 0
	.set _ZN7rocprim17ROCPRIM_400000_NS6detail17trampoline_kernelINS0_14default_configENS1_27scan_by_key_config_selectorIixEEZZNS1_16scan_by_key_implILNS1_25lookback_scan_determinismE0ELb1ES3_N6thrust23THRUST_200600_302600_NS6detail15normal_iteratorINS9_10device_ptrIiEEEENSB_INSC_IxEEEESG_xNS9_4plusIvEENS9_8equal_toIvEExEE10hipError_tPvRmT2_T3_T4_T5_mT6_T7_P12ihipStream_tbENKUlT_T0_E_clISt17integral_constantIbLb0EES10_IbLb1EEEEDaSW_SX_EUlSW_E_NS1_11comp_targetILNS1_3genE10ELNS1_11target_archE1201ELNS1_3gpuE5ELNS1_3repE0EEENS1_30default_config_static_selectorELNS0_4arch9wavefront6targetE0EEEvT1_.num_named_barrier, 0
	.set _ZN7rocprim17ROCPRIM_400000_NS6detail17trampoline_kernelINS0_14default_configENS1_27scan_by_key_config_selectorIixEEZZNS1_16scan_by_key_implILNS1_25lookback_scan_determinismE0ELb1ES3_N6thrust23THRUST_200600_302600_NS6detail15normal_iteratorINS9_10device_ptrIiEEEENSB_INSC_IxEEEESG_xNS9_4plusIvEENS9_8equal_toIvEExEE10hipError_tPvRmT2_T3_T4_T5_mT6_T7_P12ihipStream_tbENKUlT_T0_E_clISt17integral_constantIbLb0EES10_IbLb1EEEEDaSW_SX_EUlSW_E_NS1_11comp_targetILNS1_3genE10ELNS1_11target_archE1201ELNS1_3gpuE5ELNS1_3repE0EEENS1_30default_config_static_selectorELNS0_4arch9wavefront6targetE0EEEvT1_.private_seg_size, 0
	.set _ZN7rocprim17ROCPRIM_400000_NS6detail17trampoline_kernelINS0_14default_configENS1_27scan_by_key_config_selectorIixEEZZNS1_16scan_by_key_implILNS1_25lookback_scan_determinismE0ELb1ES3_N6thrust23THRUST_200600_302600_NS6detail15normal_iteratorINS9_10device_ptrIiEEEENSB_INSC_IxEEEESG_xNS9_4plusIvEENS9_8equal_toIvEExEE10hipError_tPvRmT2_T3_T4_T5_mT6_T7_P12ihipStream_tbENKUlT_T0_E_clISt17integral_constantIbLb0EES10_IbLb1EEEEDaSW_SX_EUlSW_E_NS1_11comp_targetILNS1_3genE10ELNS1_11target_archE1201ELNS1_3gpuE5ELNS1_3repE0EEENS1_30default_config_static_selectorELNS0_4arch9wavefront6targetE0EEEvT1_.uses_vcc, 0
	.set _ZN7rocprim17ROCPRIM_400000_NS6detail17trampoline_kernelINS0_14default_configENS1_27scan_by_key_config_selectorIixEEZZNS1_16scan_by_key_implILNS1_25lookback_scan_determinismE0ELb1ES3_N6thrust23THRUST_200600_302600_NS6detail15normal_iteratorINS9_10device_ptrIiEEEENSB_INSC_IxEEEESG_xNS9_4plusIvEENS9_8equal_toIvEExEE10hipError_tPvRmT2_T3_T4_T5_mT6_T7_P12ihipStream_tbENKUlT_T0_E_clISt17integral_constantIbLb0EES10_IbLb1EEEEDaSW_SX_EUlSW_E_NS1_11comp_targetILNS1_3genE10ELNS1_11target_archE1201ELNS1_3gpuE5ELNS1_3repE0EEENS1_30default_config_static_selectorELNS0_4arch9wavefront6targetE0EEEvT1_.uses_flat_scratch, 0
	.set _ZN7rocprim17ROCPRIM_400000_NS6detail17trampoline_kernelINS0_14default_configENS1_27scan_by_key_config_selectorIixEEZZNS1_16scan_by_key_implILNS1_25lookback_scan_determinismE0ELb1ES3_N6thrust23THRUST_200600_302600_NS6detail15normal_iteratorINS9_10device_ptrIiEEEENSB_INSC_IxEEEESG_xNS9_4plusIvEENS9_8equal_toIvEExEE10hipError_tPvRmT2_T3_T4_T5_mT6_T7_P12ihipStream_tbENKUlT_T0_E_clISt17integral_constantIbLb0EES10_IbLb1EEEEDaSW_SX_EUlSW_E_NS1_11comp_targetILNS1_3genE10ELNS1_11target_archE1201ELNS1_3gpuE5ELNS1_3repE0EEENS1_30default_config_static_selectorELNS0_4arch9wavefront6targetE0EEEvT1_.has_dyn_sized_stack, 0
	.set _ZN7rocprim17ROCPRIM_400000_NS6detail17trampoline_kernelINS0_14default_configENS1_27scan_by_key_config_selectorIixEEZZNS1_16scan_by_key_implILNS1_25lookback_scan_determinismE0ELb1ES3_N6thrust23THRUST_200600_302600_NS6detail15normal_iteratorINS9_10device_ptrIiEEEENSB_INSC_IxEEEESG_xNS9_4plusIvEENS9_8equal_toIvEExEE10hipError_tPvRmT2_T3_T4_T5_mT6_T7_P12ihipStream_tbENKUlT_T0_E_clISt17integral_constantIbLb0EES10_IbLb1EEEEDaSW_SX_EUlSW_E_NS1_11comp_targetILNS1_3genE10ELNS1_11target_archE1201ELNS1_3gpuE5ELNS1_3repE0EEENS1_30default_config_static_selectorELNS0_4arch9wavefront6targetE0EEEvT1_.has_recursion, 0
	.set _ZN7rocprim17ROCPRIM_400000_NS6detail17trampoline_kernelINS0_14default_configENS1_27scan_by_key_config_selectorIixEEZZNS1_16scan_by_key_implILNS1_25lookback_scan_determinismE0ELb1ES3_N6thrust23THRUST_200600_302600_NS6detail15normal_iteratorINS9_10device_ptrIiEEEENSB_INSC_IxEEEESG_xNS9_4plusIvEENS9_8equal_toIvEExEE10hipError_tPvRmT2_T3_T4_T5_mT6_T7_P12ihipStream_tbENKUlT_T0_E_clISt17integral_constantIbLb0EES10_IbLb1EEEEDaSW_SX_EUlSW_E_NS1_11comp_targetILNS1_3genE10ELNS1_11target_archE1201ELNS1_3gpuE5ELNS1_3repE0EEENS1_30default_config_static_selectorELNS0_4arch9wavefront6targetE0EEEvT1_.has_indirect_call, 0
	.section	.AMDGPU.csdata,"",@progbits
; Kernel info:
; codeLenInByte = 0
; TotalNumSgprs: 0
; NumVgprs: 0
; ScratchSize: 0
; MemoryBound: 0
; FloatMode: 240
; IeeeMode: 1
; LDSByteSize: 0 bytes/workgroup (compile time only)
; SGPRBlocks: 0
; VGPRBlocks: 0
; NumSGPRsForWavesPerEU: 1
; NumVGPRsForWavesPerEU: 1
; NamedBarCnt: 0
; Occupancy: 16
; WaveLimiterHint : 0
; COMPUTE_PGM_RSRC2:SCRATCH_EN: 0
; COMPUTE_PGM_RSRC2:USER_SGPR: 2
; COMPUTE_PGM_RSRC2:TRAP_HANDLER: 0
; COMPUTE_PGM_RSRC2:TGID_X_EN: 1
; COMPUTE_PGM_RSRC2:TGID_Y_EN: 0
; COMPUTE_PGM_RSRC2:TGID_Z_EN: 0
; COMPUTE_PGM_RSRC2:TIDIG_COMP_CNT: 0
	.section	.text._ZN7rocprim17ROCPRIM_400000_NS6detail17trampoline_kernelINS0_14default_configENS1_27scan_by_key_config_selectorIixEEZZNS1_16scan_by_key_implILNS1_25lookback_scan_determinismE0ELb1ES3_N6thrust23THRUST_200600_302600_NS6detail15normal_iteratorINS9_10device_ptrIiEEEENSB_INSC_IxEEEESG_xNS9_4plusIvEENS9_8equal_toIvEExEE10hipError_tPvRmT2_T3_T4_T5_mT6_T7_P12ihipStream_tbENKUlT_T0_E_clISt17integral_constantIbLb0EES10_IbLb1EEEEDaSW_SX_EUlSW_E_NS1_11comp_targetILNS1_3genE5ELNS1_11target_archE942ELNS1_3gpuE9ELNS1_3repE0EEENS1_30default_config_static_selectorELNS0_4arch9wavefront6targetE0EEEvT1_,"axG",@progbits,_ZN7rocprim17ROCPRIM_400000_NS6detail17trampoline_kernelINS0_14default_configENS1_27scan_by_key_config_selectorIixEEZZNS1_16scan_by_key_implILNS1_25lookback_scan_determinismE0ELb1ES3_N6thrust23THRUST_200600_302600_NS6detail15normal_iteratorINS9_10device_ptrIiEEEENSB_INSC_IxEEEESG_xNS9_4plusIvEENS9_8equal_toIvEExEE10hipError_tPvRmT2_T3_T4_T5_mT6_T7_P12ihipStream_tbENKUlT_T0_E_clISt17integral_constantIbLb0EES10_IbLb1EEEEDaSW_SX_EUlSW_E_NS1_11comp_targetILNS1_3genE5ELNS1_11target_archE942ELNS1_3gpuE9ELNS1_3repE0EEENS1_30default_config_static_selectorELNS0_4arch9wavefront6targetE0EEEvT1_,comdat
	.protected	_ZN7rocprim17ROCPRIM_400000_NS6detail17trampoline_kernelINS0_14default_configENS1_27scan_by_key_config_selectorIixEEZZNS1_16scan_by_key_implILNS1_25lookback_scan_determinismE0ELb1ES3_N6thrust23THRUST_200600_302600_NS6detail15normal_iteratorINS9_10device_ptrIiEEEENSB_INSC_IxEEEESG_xNS9_4plusIvEENS9_8equal_toIvEExEE10hipError_tPvRmT2_T3_T4_T5_mT6_T7_P12ihipStream_tbENKUlT_T0_E_clISt17integral_constantIbLb0EES10_IbLb1EEEEDaSW_SX_EUlSW_E_NS1_11comp_targetILNS1_3genE5ELNS1_11target_archE942ELNS1_3gpuE9ELNS1_3repE0EEENS1_30default_config_static_selectorELNS0_4arch9wavefront6targetE0EEEvT1_ ; -- Begin function _ZN7rocprim17ROCPRIM_400000_NS6detail17trampoline_kernelINS0_14default_configENS1_27scan_by_key_config_selectorIixEEZZNS1_16scan_by_key_implILNS1_25lookback_scan_determinismE0ELb1ES3_N6thrust23THRUST_200600_302600_NS6detail15normal_iteratorINS9_10device_ptrIiEEEENSB_INSC_IxEEEESG_xNS9_4plusIvEENS9_8equal_toIvEExEE10hipError_tPvRmT2_T3_T4_T5_mT6_T7_P12ihipStream_tbENKUlT_T0_E_clISt17integral_constantIbLb0EES10_IbLb1EEEEDaSW_SX_EUlSW_E_NS1_11comp_targetILNS1_3genE5ELNS1_11target_archE942ELNS1_3gpuE9ELNS1_3repE0EEENS1_30default_config_static_selectorELNS0_4arch9wavefront6targetE0EEEvT1_
	.globl	_ZN7rocprim17ROCPRIM_400000_NS6detail17trampoline_kernelINS0_14default_configENS1_27scan_by_key_config_selectorIixEEZZNS1_16scan_by_key_implILNS1_25lookback_scan_determinismE0ELb1ES3_N6thrust23THRUST_200600_302600_NS6detail15normal_iteratorINS9_10device_ptrIiEEEENSB_INSC_IxEEEESG_xNS9_4plusIvEENS9_8equal_toIvEExEE10hipError_tPvRmT2_T3_T4_T5_mT6_T7_P12ihipStream_tbENKUlT_T0_E_clISt17integral_constantIbLb0EES10_IbLb1EEEEDaSW_SX_EUlSW_E_NS1_11comp_targetILNS1_3genE5ELNS1_11target_archE942ELNS1_3gpuE9ELNS1_3repE0EEENS1_30default_config_static_selectorELNS0_4arch9wavefront6targetE0EEEvT1_
	.p2align	8
	.type	_ZN7rocprim17ROCPRIM_400000_NS6detail17trampoline_kernelINS0_14default_configENS1_27scan_by_key_config_selectorIixEEZZNS1_16scan_by_key_implILNS1_25lookback_scan_determinismE0ELb1ES3_N6thrust23THRUST_200600_302600_NS6detail15normal_iteratorINS9_10device_ptrIiEEEENSB_INSC_IxEEEESG_xNS9_4plusIvEENS9_8equal_toIvEExEE10hipError_tPvRmT2_T3_T4_T5_mT6_T7_P12ihipStream_tbENKUlT_T0_E_clISt17integral_constantIbLb0EES10_IbLb1EEEEDaSW_SX_EUlSW_E_NS1_11comp_targetILNS1_3genE5ELNS1_11target_archE942ELNS1_3gpuE9ELNS1_3repE0EEENS1_30default_config_static_selectorELNS0_4arch9wavefront6targetE0EEEvT1_,@function
_ZN7rocprim17ROCPRIM_400000_NS6detail17trampoline_kernelINS0_14default_configENS1_27scan_by_key_config_selectorIixEEZZNS1_16scan_by_key_implILNS1_25lookback_scan_determinismE0ELb1ES3_N6thrust23THRUST_200600_302600_NS6detail15normal_iteratorINS9_10device_ptrIiEEEENSB_INSC_IxEEEESG_xNS9_4plusIvEENS9_8equal_toIvEExEE10hipError_tPvRmT2_T3_T4_T5_mT6_T7_P12ihipStream_tbENKUlT_T0_E_clISt17integral_constantIbLb0EES10_IbLb1EEEEDaSW_SX_EUlSW_E_NS1_11comp_targetILNS1_3genE5ELNS1_11target_archE942ELNS1_3gpuE9ELNS1_3repE0EEENS1_30default_config_static_selectorELNS0_4arch9wavefront6targetE0EEEvT1_: ; @_ZN7rocprim17ROCPRIM_400000_NS6detail17trampoline_kernelINS0_14default_configENS1_27scan_by_key_config_selectorIixEEZZNS1_16scan_by_key_implILNS1_25lookback_scan_determinismE0ELb1ES3_N6thrust23THRUST_200600_302600_NS6detail15normal_iteratorINS9_10device_ptrIiEEEENSB_INSC_IxEEEESG_xNS9_4plusIvEENS9_8equal_toIvEExEE10hipError_tPvRmT2_T3_T4_T5_mT6_T7_P12ihipStream_tbENKUlT_T0_E_clISt17integral_constantIbLb0EES10_IbLb1EEEEDaSW_SX_EUlSW_E_NS1_11comp_targetILNS1_3genE5ELNS1_11target_archE942ELNS1_3gpuE9ELNS1_3repE0EEENS1_30default_config_static_selectorELNS0_4arch9wavefront6targetE0EEEvT1_
; %bb.0:
	.section	.rodata,"a",@progbits
	.p2align	6, 0x0
	.amdhsa_kernel _ZN7rocprim17ROCPRIM_400000_NS6detail17trampoline_kernelINS0_14default_configENS1_27scan_by_key_config_selectorIixEEZZNS1_16scan_by_key_implILNS1_25lookback_scan_determinismE0ELb1ES3_N6thrust23THRUST_200600_302600_NS6detail15normal_iteratorINS9_10device_ptrIiEEEENSB_INSC_IxEEEESG_xNS9_4plusIvEENS9_8equal_toIvEExEE10hipError_tPvRmT2_T3_T4_T5_mT6_T7_P12ihipStream_tbENKUlT_T0_E_clISt17integral_constantIbLb0EES10_IbLb1EEEEDaSW_SX_EUlSW_E_NS1_11comp_targetILNS1_3genE5ELNS1_11target_archE942ELNS1_3gpuE9ELNS1_3repE0EEENS1_30default_config_static_selectorELNS0_4arch9wavefront6targetE0EEEvT1_
		.amdhsa_group_segment_fixed_size 0
		.amdhsa_private_segment_fixed_size 0
		.amdhsa_kernarg_size 136
		.amdhsa_user_sgpr_count 2
		.amdhsa_user_sgpr_dispatch_ptr 0
		.amdhsa_user_sgpr_queue_ptr 0
		.amdhsa_user_sgpr_kernarg_segment_ptr 1
		.amdhsa_user_sgpr_dispatch_id 0
		.amdhsa_user_sgpr_kernarg_preload_length 0
		.amdhsa_user_sgpr_kernarg_preload_offset 0
		.amdhsa_user_sgpr_private_segment_size 0
		.amdhsa_wavefront_size32 1
		.amdhsa_uses_dynamic_stack 0
		.amdhsa_enable_private_segment 0
		.amdhsa_system_sgpr_workgroup_id_x 1
		.amdhsa_system_sgpr_workgroup_id_y 0
		.amdhsa_system_sgpr_workgroup_id_z 0
		.amdhsa_system_sgpr_workgroup_info 0
		.amdhsa_system_vgpr_workitem_id 0
		.amdhsa_next_free_vgpr 1
		.amdhsa_next_free_sgpr 1
		.amdhsa_named_barrier_count 0
		.amdhsa_reserve_vcc 0
		.amdhsa_float_round_mode_32 0
		.amdhsa_float_round_mode_16_64 0
		.amdhsa_float_denorm_mode_32 3
		.amdhsa_float_denorm_mode_16_64 3
		.amdhsa_fp16_overflow 0
		.amdhsa_memory_ordered 1
		.amdhsa_forward_progress 1
		.amdhsa_inst_pref_size 0
		.amdhsa_round_robin_scheduling 0
		.amdhsa_exception_fp_ieee_invalid_op 0
		.amdhsa_exception_fp_denorm_src 0
		.amdhsa_exception_fp_ieee_div_zero 0
		.amdhsa_exception_fp_ieee_overflow 0
		.amdhsa_exception_fp_ieee_underflow 0
		.amdhsa_exception_fp_ieee_inexact 0
		.amdhsa_exception_int_div_zero 0
	.end_amdhsa_kernel
	.section	.text._ZN7rocprim17ROCPRIM_400000_NS6detail17trampoline_kernelINS0_14default_configENS1_27scan_by_key_config_selectorIixEEZZNS1_16scan_by_key_implILNS1_25lookback_scan_determinismE0ELb1ES3_N6thrust23THRUST_200600_302600_NS6detail15normal_iteratorINS9_10device_ptrIiEEEENSB_INSC_IxEEEESG_xNS9_4plusIvEENS9_8equal_toIvEExEE10hipError_tPvRmT2_T3_T4_T5_mT6_T7_P12ihipStream_tbENKUlT_T0_E_clISt17integral_constantIbLb0EES10_IbLb1EEEEDaSW_SX_EUlSW_E_NS1_11comp_targetILNS1_3genE5ELNS1_11target_archE942ELNS1_3gpuE9ELNS1_3repE0EEENS1_30default_config_static_selectorELNS0_4arch9wavefront6targetE0EEEvT1_,"axG",@progbits,_ZN7rocprim17ROCPRIM_400000_NS6detail17trampoline_kernelINS0_14default_configENS1_27scan_by_key_config_selectorIixEEZZNS1_16scan_by_key_implILNS1_25lookback_scan_determinismE0ELb1ES3_N6thrust23THRUST_200600_302600_NS6detail15normal_iteratorINS9_10device_ptrIiEEEENSB_INSC_IxEEEESG_xNS9_4plusIvEENS9_8equal_toIvEExEE10hipError_tPvRmT2_T3_T4_T5_mT6_T7_P12ihipStream_tbENKUlT_T0_E_clISt17integral_constantIbLb0EES10_IbLb1EEEEDaSW_SX_EUlSW_E_NS1_11comp_targetILNS1_3genE5ELNS1_11target_archE942ELNS1_3gpuE9ELNS1_3repE0EEENS1_30default_config_static_selectorELNS0_4arch9wavefront6targetE0EEEvT1_,comdat
.Lfunc_end1600:
	.size	_ZN7rocprim17ROCPRIM_400000_NS6detail17trampoline_kernelINS0_14default_configENS1_27scan_by_key_config_selectorIixEEZZNS1_16scan_by_key_implILNS1_25lookback_scan_determinismE0ELb1ES3_N6thrust23THRUST_200600_302600_NS6detail15normal_iteratorINS9_10device_ptrIiEEEENSB_INSC_IxEEEESG_xNS9_4plusIvEENS9_8equal_toIvEExEE10hipError_tPvRmT2_T3_T4_T5_mT6_T7_P12ihipStream_tbENKUlT_T0_E_clISt17integral_constantIbLb0EES10_IbLb1EEEEDaSW_SX_EUlSW_E_NS1_11comp_targetILNS1_3genE5ELNS1_11target_archE942ELNS1_3gpuE9ELNS1_3repE0EEENS1_30default_config_static_selectorELNS0_4arch9wavefront6targetE0EEEvT1_, .Lfunc_end1600-_ZN7rocprim17ROCPRIM_400000_NS6detail17trampoline_kernelINS0_14default_configENS1_27scan_by_key_config_selectorIixEEZZNS1_16scan_by_key_implILNS1_25lookback_scan_determinismE0ELb1ES3_N6thrust23THRUST_200600_302600_NS6detail15normal_iteratorINS9_10device_ptrIiEEEENSB_INSC_IxEEEESG_xNS9_4plusIvEENS9_8equal_toIvEExEE10hipError_tPvRmT2_T3_T4_T5_mT6_T7_P12ihipStream_tbENKUlT_T0_E_clISt17integral_constantIbLb0EES10_IbLb1EEEEDaSW_SX_EUlSW_E_NS1_11comp_targetILNS1_3genE5ELNS1_11target_archE942ELNS1_3gpuE9ELNS1_3repE0EEENS1_30default_config_static_selectorELNS0_4arch9wavefront6targetE0EEEvT1_
                                        ; -- End function
	.set _ZN7rocprim17ROCPRIM_400000_NS6detail17trampoline_kernelINS0_14default_configENS1_27scan_by_key_config_selectorIixEEZZNS1_16scan_by_key_implILNS1_25lookback_scan_determinismE0ELb1ES3_N6thrust23THRUST_200600_302600_NS6detail15normal_iteratorINS9_10device_ptrIiEEEENSB_INSC_IxEEEESG_xNS9_4plusIvEENS9_8equal_toIvEExEE10hipError_tPvRmT2_T3_T4_T5_mT6_T7_P12ihipStream_tbENKUlT_T0_E_clISt17integral_constantIbLb0EES10_IbLb1EEEEDaSW_SX_EUlSW_E_NS1_11comp_targetILNS1_3genE5ELNS1_11target_archE942ELNS1_3gpuE9ELNS1_3repE0EEENS1_30default_config_static_selectorELNS0_4arch9wavefront6targetE0EEEvT1_.num_vgpr, 0
	.set _ZN7rocprim17ROCPRIM_400000_NS6detail17trampoline_kernelINS0_14default_configENS1_27scan_by_key_config_selectorIixEEZZNS1_16scan_by_key_implILNS1_25lookback_scan_determinismE0ELb1ES3_N6thrust23THRUST_200600_302600_NS6detail15normal_iteratorINS9_10device_ptrIiEEEENSB_INSC_IxEEEESG_xNS9_4plusIvEENS9_8equal_toIvEExEE10hipError_tPvRmT2_T3_T4_T5_mT6_T7_P12ihipStream_tbENKUlT_T0_E_clISt17integral_constantIbLb0EES10_IbLb1EEEEDaSW_SX_EUlSW_E_NS1_11comp_targetILNS1_3genE5ELNS1_11target_archE942ELNS1_3gpuE9ELNS1_3repE0EEENS1_30default_config_static_selectorELNS0_4arch9wavefront6targetE0EEEvT1_.num_agpr, 0
	.set _ZN7rocprim17ROCPRIM_400000_NS6detail17trampoline_kernelINS0_14default_configENS1_27scan_by_key_config_selectorIixEEZZNS1_16scan_by_key_implILNS1_25lookback_scan_determinismE0ELb1ES3_N6thrust23THRUST_200600_302600_NS6detail15normal_iteratorINS9_10device_ptrIiEEEENSB_INSC_IxEEEESG_xNS9_4plusIvEENS9_8equal_toIvEExEE10hipError_tPvRmT2_T3_T4_T5_mT6_T7_P12ihipStream_tbENKUlT_T0_E_clISt17integral_constantIbLb0EES10_IbLb1EEEEDaSW_SX_EUlSW_E_NS1_11comp_targetILNS1_3genE5ELNS1_11target_archE942ELNS1_3gpuE9ELNS1_3repE0EEENS1_30default_config_static_selectorELNS0_4arch9wavefront6targetE0EEEvT1_.numbered_sgpr, 0
	.set _ZN7rocprim17ROCPRIM_400000_NS6detail17trampoline_kernelINS0_14default_configENS1_27scan_by_key_config_selectorIixEEZZNS1_16scan_by_key_implILNS1_25lookback_scan_determinismE0ELb1ES3_N6thrust23THRUST_200600_302600_NS6detail15normal_iteratorINS9_10device_ptrIiEEEENSB_INSC_IxEEEESG_xNS9_4plusIvEENS9_8equal_toIvEExEE10hipError_tPvRmT2_T3_T4_T5_mT6_T7_P12ihipStream_tbENKUlT_T0_E_clISt17integral_constantIbLb0EES10_IbLb1EEEEDaSW_SX_EUlSW_E_NS1_11comp_targetILNS1_3genE5ELNS1_11target_archE942ELNS1_3gpuE9ELNS1_3repE0EEENS1_30default_config_static_selectorELNS0_4arch9wavefront6targetE0EEEvT1_.num_named_barrier, 0
	.set _ZN7rocprim17ROCPRIM_400000_NS6detail17trampoline_kernelINS0_14default_configENS1_27scan_by_key_config_selectorIixEEZZNS1_16scan_by_key_implILNS1_25lookback_scan_determinismE0ELb1ES3_N6thrust23THRUST_200600_302600_NS6detail15normal_iteratorINS9_10device_ptrIiEEEENSB_INSC_IxEEEESG_xNS9_4plusIvEENS9_8equal_toIvEExEE10hipError_tPvRmT2_T3_T4_T5_mT6_T7_P12ihipStream_tbENKUlT_T0_E_clISt17integral_constantIbLb0EES10_IbLb1EEEEDaSW_SX_EUlSW_E_NS1_11comp_targetILNS1_3genE5ELNS1_11target_archE942ELNS1_3gpuE9ELNS1_3repE0EEENS1_30default_config_static_selectorELNS0_4arch9wavefront6targetE0EEEvT1_.private_seg_size, 0
	.set _ZN7rocprim17ROCPRIM_400000_NS6detail17trampoline_kernelINS0_14default_configENS1_27scan_by_key_config_selectorIixEEZZNS1_16scan_by_key_implILNS1_25lookback_scan_determinismE0ELb1ES3_N6thrust23THRUST_200600_302600_NS6detail15normal_iteratorINS9_10device_ptrIiEEEENSB_INSC_IxEEEESG_xNS9_4plusIvEENS9_8equal_toIvEExEE10hipError_tPvRmT2_T3_T4_T5_mT6_T7_P12ihipStream_tbENKUlT_T0_E_clISt17integral_constantIbLb0EES10_IbLb1EEEEDaSW_SX_EUlSW_E_NS1_11comp_targetILNS1_3genE5ELNS1_11target_archE942ELNS1_3gpuE9ELNS1_3repE0EEENS1_30default_config_static_selectorELNS0_4arch9wavefront6targetE0EEEvT1_.uses_vcc, 0
	.set _ZN7rocprim17ROCPRIM_400000_NS6detail17trampoline_kernelINS0_14default_configENS1_27scan_by_key_config_selectorIixEEZZNS1_16scan_by_key_implILNS1_25lookback_scan_determinismE0ELb1ES3_N6thrust23THRUST_200600_302600_NS6detail15normal_iteratorINS9_10device_ptrIiEEEENSB_INSC_IxEEEESG_xNS9_4plusIvEENS9_8equal_toIvEExEE10hipError_tPvRmT2_T3_T4_T5_mT6_T7_P12ihipStream_tbENKUlT_T0_E_clISt17integral_constantIbLb0EES10_IbLb1EEEEDaSW_SX_EUlSW_E_NS1_11comp_targetILNS1_3genE5ELNS1_11target_archE942ELNS1_3gpuE9ELNS1_3repE0EEENS1_30default_config_static_selectorELNS0_4arch9wavefront6targetE0EEEvT1_.uses_flat_scratch, 0
	.set _ZN7rocprim17ROCPRIM_400000_NS6detail17trampoline_kernelINS0_14default_configENS1_27scan_by_key_config_selectorIixEEZZNS1_16scan_by_key_implILNS1_25lookback_scan_determinismE0ELb1ES3_N6thrust23THRUST_200600_302600_NS6detail15normal_iteratorINS9_10device_ptrIiEEEENSB_INSC_IxEEEESG_xNS9_4plusIvEENS9_8equal_toIvEExEE10hipError_tPvRmT2_T3_T4_T5_mT6_T7_P12ihipStream_tbENKUlT_T0_E_clISt17integral_constantIbLb0EES10_IbLb1EEEEDaSW_SX_EUlSW_E_NS1_11comp_targetILNS1_3genE5ELNS1_11target_archE942ELNS1_3gpuE9ELNS1_3repE0EEENS1_30default_config_static_selectorELNS0_4arch9wavefront6targetE0EEEvT1_.has_dyn_sized_stack, 0
	.set _ZN7rocprim17ROCPRIM_400000_NS6detail17trampoline_kernelINS0_14default_configENS1_27scan_by_key_config_selectorIixEEZZNS1_16scan_by_key_implILNS1_25lookback_scan_determinismE0ELb1ES3_N6thrust23THRUST_200600_302600_NS6detail15normal_iteratorINS9_10device_ptrIiEEEENSB_INSC_IxEEEESG_xNS9_4plusIvEENS9_8equal_toIvEExEE10hipError_tPvRmT2_T3_T4_T5_mT6_T7_P12ihipStream_tbENKUlT_T0_E_clISt17integral_constantIbLb0EES10_IbLb1EEEEDaSW_SX_EUlSW_E_NS1_11comp_targetILNS1_3genE5ELNS1_11target_archE942ELNS1_3gpuE9ELNS1_3repE0EEENS1_30default_config_static_selectorELNS0_4arch9wavefront6targetE0EEEvT1_.has_recursion, 0
	.set _ZN7rocprim17ROCPRIM_400000_NS6detail17trampoline_kernelINS0_14default_configENS1_27scan_by_key_config_selectorIixEEZZNS1_16scan_by_key_implILNS1_25lookback_scan_determinismE0ELb1ES3_N6thrust23THRUST_200600_302600_NS6detail15normal_iteratorINS9_10device_ptrIiEEEENSB_INSC_IxEEEESG_xNS9_4plusIvEENS9_8equal_toIvEExEE10hipError_tPvRmT2_T3_T4_T5_mT6_T7_P12ihipStream_tbENKUlT_T0_E_clISt17integral_constantIbLb0EES10_IbLb1EEEEDaSW_SX_EUlSW_E_NS1_11comp_targetILNS1_3genE5ELNS1_11target_archE942ELNS1_3gpuE9ELNS1_3repE0EEENS1_30default_config_static_selectorELNS0_4arch9wavefront6targetE0EEEvT1_.has_indirect_call, 0
	.section	.AMDGPU.csdata,"",@progbits
; Kernel info:
; codeLenInByte = 0
; TotalNumSgprs: 0
; NumVgprs: 0
; ScratchSize: 0
; MemoryBound: 0
; FloatMode: 240
; IeeeMode: 1
; LDSByteSize: 0 bytes/workgroup (compile time only)
; SGPRBlocks: 0
; VGPRBlocks: 0
; NumSGPRsForWavesPerEU: 1
; NumVGPRsForWavesPerEU: 1
; NamedBarCnt: 0
; Occupancy: 16
; WaveLimiterHint : 0
; COMPUTE_PGM_RSRC2:SCRATCH_EN: 0
; COMPUTE_PGM_RSRC2:USER_SGPR: 2
; COMPUTE_PGM_RSRC2:TRAP_HANDLER: 0
; COMPUTE_PGM_RSRC2:TGID_X_EN: 1
; COMPUTE_PGM_RSRC2:TGID_Y_EN: 0
; COMPUTE_PGM_RSRC2:TGID_Z_EN: 0
; COMPUTE_PGM_RSRC2:TIDIG_COMP_CNT: 0
	.section	.text._ZN7rocprim17ROCPRIM_400000_NS6detail17trampoline_kernelINS0_14default_configENS1_27scan_by_key_config_selectorIixEEZZNS1_16scan_by_key_implILNS1_25lookback_scan_determinismE0ELb1ES3_N6thrust23THRUST_200600_302600_NS6detail15normal_iteratorINS9_10device_ptrIiEEEENSB_INSC_IxEEEESG_xNS9_4plusIvEENS9_8equal_toIvEExEE10hipError_tPvRmT2_T3_T4_T5_mT6_T7_P12ihipStream_tbENKUlT_T0_E_clISt17integral_constantIbLb0EES10_IbLb1EEEEDaSW_SX_EUlSW_E_NS1_11comp_targetILNS1_3genE4ELNS1_11target_archE910ELNS1_3gpuE8ELNS1_3repE0EEENS1_30default_config_static_selectorELNS0_4arch9wavefront6targetE0EEEvT1_,"axG",@progbits,_ZN7rocprim17ROCPRIM_400000_NS6detail17trampoline_kernelINS0_14default_configENS1_27scan_by_key_config_selectorIixEEZZNS1_16scan_by_key_implILNS1_25lookback_scan_determinismE0ELb1ES3_N6thrust23THRUST_200600_302600_NS6detail15normal_iteratorINS9_10device_ptrIiEEEENSB_INSC_IxEEEESG_xNS9_4plusIvEENS9_8equal_toIvEExEE10hipError_tPvRmT2_T3_T4_T5_mT6_T7_P12ihipStream_tbENKUlT_T0_E_clISt17integral_constantIbLb0EES10_IbLb1EEEEDaSW_SX_EUlSW_E_NS1_11comp_targetILNS1_3genE4ELNS1_11target_archE910ELNS1_3gpuE8ELNS1_3repE0EEENS1_30default_config_static_selectorELNS0_4arch9wavefront6targetE0EEEvT1_,comdat
	.protected	_ZN7rocprim17ROCPRIM_400000_NS6detail17trampoline_kernelINS0_14default_configENS1_27scan_by_key_config_selectorIixEEZZNS1_16scan_by_key_implILNS1_25lookback_scan_determinismE0ELb1ES3_N6thrust23THRUST_200600_302600_NS6detail15normal_iteratorINS9_10device_ptrIiEEEENSB_INSC_IxEEEESG_xNS9_4plusIvEENS9_8equal_toIvEExEE10hipError_tPvRmT2_T3_T4_T5_mT6_T7_P12ihipStream_tbENKUlT_T0_E_clISt17integral_constantIbLb0EES10_IbLb1EEEEDaSW_SX_EUlSW_E_NS1_11comp_targetILNS1_3genE4ELNS1_11target_archE910ELNS1_3gpuE8ELNS1_3repE0EEENS1_30default_config_static_selectorELNS0_4arch9wavefront6targetE0EEEvT1_ ; -- Begin function _ZN7rocprim17ROCPRIM_400000_NS6detail17trampoline_kernelINS0_14default_configENS1_27scan_by_key_config_selectorIixEEZZNS1_16scan_by_key_implILNS1_25lookback_scan_determinismE0ELb1ES3_N6thrust23THRUST_200600_302600_NS6detail15normal_iteratorINS9_10device_ptrIiEEEENSB_INSC_IxEEEESG_xNS9_4plusIvEENS9_8equal_toIvEExEE10hipError_tPvRmT2_T3_T4_T5_mT6_T7_P12ihipStream_tbENKUlT_T0_E_clISt17integral_constantIbLb0EES10_IbLb1EEEEDaSW_SX_EUlSW_E_NS1_11comp_targetILNS1_3genE4ELNS1_11target_archE910ELNS1_3gpuE8ELNS1_3repE0EEENS1_30default_config_static_selectorELNS0_4arch9wavefront6targetE0EEEvT1_
	.globl	_ZN7rocprim17ROCPRIM_400000_NS6detail17trampoline_kernelINS0_14default_configENS1_27scan_by_key_config_selectorIixEEZZNS1_16scan_by_key_implILNS1_25lookback_scan_determinismE0ELb1ES3_N6thrust23THRUST_200600_302600_NS6detail15normal_iteratorINS9_10device_ptrIiEEEENSB_INSC_IxEEEESG_xNS9_4plusIvEENS9_8equal_toIvEExEE10hipError_tPvRmT2_T3_T4_T5_mT6_T7_P12ihipStream_tbENKUlT_T0_E_clISt17integral_constantIbLb0EES10_IbLb1EEEEDaSW_SX_EUlSW_E_NS1_11comp_targetILNS1_3genE4ELNS1_11target_archE910ELNS1_3gpuE8ELNS1_3repE0EEENS1_30default_config_static_selectorELNS0_4arch9wavefront6targetE0EEEvT1_
	.p2align	8
	.type	_ZN7rocprim17ROCPRIM_400000_NS6detail17trampoline_kernelINS0_14default_configENS1_27scan_by_key_config_selectorIixEEZZNS1_16scan_by_key_implILNS1_25lookback_scan_determinismE0ELb1ES3_N6thrust23THRUST_200600_302600_NS6detail15normal_iteratorINS9_10device_ptrIiEEEENSB_INSC_IxEEEESG_xNS9_4plusIvEENS9_8equal_toIvEExEE10hipError_tPvRmT2_T3_T4_T5_mT6_T7_P12ihipStream_tbENKUlT_T0_E_clISt17integral_constantIbLb0EES10_IbLb1EEEEDaSW_SX_EUlSW_E_NS1_11comp_targetILNS1_3genE4ELNS1_11target_archE910ELNS1_3gpuE8ELNS1_3repE0EEENS1_30default_config_static_selectorELNS0_4arch9wavefront6targetE0EEEvT1_,@function
_ZN7rocprim17ROCPRIM_400000_NS6detail17trampoline_kernelINS0_14default_configENS1_27scan_by_key_config_selectorIixEEZZNS1_16scan_by_key_implILNS1_25lookback_scan_determinismE0ELb1ES3_N6thrust23THRUST_200600_302600_NS6detail15normal_iteratorINS9_10device_ptrIiEEEENSB_INSC_IxEEEESG_xNS9_4plusIvEENS9_8equal_toIvEExEE10hipError_tPvRmT2_T3_T4_T5_mT6_T7_P12ihipStream_tbENKUlT_T0_E_clISt17integral_constantIbLb0EES10_IbLb1EEEEDaSW_SX_EUlSW_E_NS1_11comp_targetILNS1_3genE4ELNS1_11target_archE910ELNS1_3gpuE8ELNS1_3repE0EEENS1_30default_config_static_selectorELNS0_4arch9wavefront6targetE0EEEvT1_: ; @_ZN7rocprim17ROCPRIM_400000_NS6detail17trampoline_kernelINS0_14default_configENS1_27scan_by_key_config_selectorIixEEZZNS1_16scan_by_key_implILNS1_25lookback_scan_determinismE0ELb1ES3_N6thrust23THRUST_200600_302600_NS6detail15normal_iteratorINS9_10device_ptrIiEEEENSB_INSC_IxEEEESG_xNS9_4plusIvEENS9_8equal_toIvEExEE10hipError_tPvRmT2_T3_T4_T5_mT6_T7_P12ihipStream_tbENKUlT_T0_E_clISt17integral_constantIbLb0EES10_IbLb1EEEEDaSW_SX_EUlSW_E_NS1_11comp_targetILNS1_3genE4ELNS1_11target_archE910ELNS1_3gpuE8ELNS1_3repE0EEENS1_30default_config_static_selectorELNS0_4arch9wavefront6targetE0EEEvT1_
; %bb.0:
	.section	.rodata,"a",@progbits
	.p2align	6, 0x0
	.amdhsa_kernel _ZN7rocprim17ROCPRIM_400000_NS6detail17trampoline_kernelINS0_14default_configENS1_27scan_by_key_config_selectorIixEEZZNS1_16scan_by_key_implILNS1_25lookback_scan_determinismE0ELb1ES3_N6thrust23THRUST_200600_302600_NS6detail15normal_iteratorINS9_10device_ptrIiEEEENSB_INSC_IxEEEESG_xNS9_4plusIvEENS9_8equal_toIvEExEE10hipError_tPvRmT2_T3_T4_T5_mT6_T7_P12ihipStream_tbENKUlT_T0_E_clISt17integral_constantIbLb0EES10_IbLb1EEEEDaSW_SX_EUlSW_E_NS1_11comp_targetILNS1_3genE4ELNS1_11target_archE910ELNS1_3gpuE8ELNS1_3repE0EEENS1_30default_config_static_selectorELNS0_4arch9wavefront6targetE0EEEvT1_
		.amdhsa_group_segment_fixed_size 0
		.amdhsa_private_segment_fixed_size 0
		.amdhsa_kernarg_size 136
		.amdhsa_user_sgpr_count 2
		.amdhsa_user_sgpr_dispatch_ptr 0
		.amdhsa_user_sgpr_queue_ptr 0
		.amdhsa_user_sgpr_kernarg_segment_ptr 1
		.amdhsa_user_sgpr_dispatch_id 0
		.amdhsa_user_sgpr_kernarg_preload_length 0
		.amdhsa_user_sgpr_kernarg_preload_offset 0
		.amdhsa_user_sgpr_private_segment_size 0
		.amdhsa_wavefront_size32 1
		.amdhsa_uses_dynamic_stack 0
		.amdhsa_enable_private_segment 0
		.amdhsa_system_sgpr_workgroup_id_x 1
		.amdhsa_system_sgpr_workgroup_id_y 0
		.amdhsa_system_sgpr_workgroup_id_z 0
		.amdhsa_system_sgpr_workgroup_info 0
		.amdhsa_system_vgpr_workitem_id 0
		.amdhsa_next_free_vgpr 1
		.amdhsa_next_free_sgpr 1
		.amdhsa_named_barrier_count 0
		.amdhsa_reserve_vcc 0
		.amdhsa_float_round_mode_32 0
		.amdhsa_float_round_mode_16_64 0
		.amdhsa_float_denorm_mode_32 3
		.amdhsa_float_denorm_mode_16_64 3
		.amdhsa_fp16_overflow 0
		.amdhsa_memory_ordered 1
		.amdhsa_forward_progress 1
		.amdhsa_inst_pref_size 0
		.amdhsa_round_robin_scheduling 0
		.amdhsa_exception_fp_ieee_invalid_op 0
		.amdhsa_exception_fp_denorm_src 0
		.amdhsa_exception_fp_ieee_div_zero 0
		.amdhsa_exception_fp_ieee_overflow 0
		.amdhsa_exception_fp_ieee_underflow 0
		.amdhsa_exception_fp_ieee_inexact 0
		.amdhsa_exception_int_div_zero 0
	.end_amdhsa_kernel
	.section	.text._ZN7rocprim17ROCPRIM_400000_NS6detail17trampoline_kernelINS0_14default_configENS1_27scan_by_key_config_selectorIixEEZZNS1_16scan_by_key_implILNS1_25lookback_scan_determinismE0ELb1ES3_N6thrust23THRUST_200600_302600_NS6detail15normal_iteratorINS9_10device_ptrIiEEEENSB_INSC_IxEEEESG_xNS9_4plusIvEENS9_8equal_toIvEExEE10hipError_tPvRmT2_T3_T4_T5_mT6_T7_P12ihipStream_tbENKUlT_T0_E_clISt17integral_constantIbLb0EES10_IbLb1EEEEDaSW_SX_EUlSW_E_NS1_11comp_targetILNS1_3genE4ELNS1_11target_archE910ELNS1_3gpuE8ELNS1_3repE0EEENS1_30default_config_static_selectorELNS0_4arch9wavefront6targetE0EEEvT1_,"axG",@progbits,_ZN7rocprim17ROCPRIM_400000_NS6detail17trampoline_kernelINS0_14default_configENS1_27scan_by_key_config_selectorIixEEZZNS1_16scan_by_key_implILNS1_25lookback_scan_determinismE0ELb1ES3_N6thrust23THRUST_200600_302600_NS6detail15normal_iteratorINS9_10device_ptrIiEEEENSB_INSC_IxEEEESG_xNS9_4plusIvEENS9_8equal_toIvEExEE10hipError_tPvRmT2_T3_T4_T5_mT6_T7_P12ihipStream_tbENKUlT_T0_E_clISt17integral_constantIbLb0EES10_IbLb1EEEEDaSW_SX_EUlSW_E_NS1_11comp_targetILNS1_3genE4ELNS1_11target_archE910ELNS1_3gpuE8ELNS1_3repE0EEENS1_30default_config_static_selectorELNS0_4arch9wavefront6targetE0EEEvT1_,comdat
.Lfunc_end1601:
	.size	_ZN7rocprim17ROCPRIM_400000_NS6detail17trampoline_kernelINS0_14default_configENS1_27scan_by_key_config_selectorIixEEZZNS1_16scan_by_key_implILNS1_25lookback_scan_determinismE0ELb1ES3_N6thrust23THRUST_200600_302600_NS6detail15normal_iteratorINS9_10device_ptrIiEEEENSB_INSC_IxEEEESG_xNS9_4plusIvEENS9_8equal_toIvEExEE10hipError_tPvRmT2_T3_T4_T5_mT6_T7_P12ihipStream_tbENKUlT_T0_E_clISt17integral_constantIbLb0EES10_IbLb1EEEEDaSW_SX_EUlSW_E_NS1_11comp_targetILNS1_3genE4ELNS1_11target_archE910ELNS1_3gpuE8ELNS1_3repE0EEENS1_30default_config_static_selectorELNS0_4arch9wavefront6targetE0EEEvT1_, .Lfunc_end1601-_ZN7rocprim17ROCPRIM_400000_NS6detail17trampoline_kernelINS0_14default_configENS1_27scan_by_key_config_selectorIixEEZZNS1_16scan_by_key_implILNS1_25lookback_scan_determinismE0ELb1ES3_N6thrust23THRUST_200600_302600_NS6detail15normal_iteratorINS9_10device_ptrIiEEEENSB_INSC_IxEEEESG_xNS9_4plusIvEENS9_8equal_toIvEExEE10hipError_tPvRmT2_T3_T4_T5_mT6_T7_P12ihipStream_tbENKUlT_T0_E_clISt17integral_constantIbLb0EES10_IbLb1EEEEDaSW_SX_EUlSW_E_NS1_11comp_targetILNS1_3genE4ELNS1_11target_archE910ELNS1_3gpuE8ELNS1_3repE0EEENS1_30default_config_static_selectorELNS0_4arch9wavefront6targetE0EEEvT1_
                                        ; -- End function
	.set _ZN7rocprim17ROCPRIM_400000_NS6detail17trampoline_kernelINS0_14default_configENS1_27scan_by_key_config_selectorIixEEZZNS1_16scan_by_key_implILNS1_25lookback_scan_determinismE0ELb1ES3_N6thrust23THRUST_200600_302600_NS6detail15normal_iteratorINS9_10device_ptrIiEEEENSB_INSC_IxEEEESG_xNS9_4plusIvEENS9_8equal_toIvEExEE10hipError_tPvRmT2_T3_T4_T5_mT6_T7_P12ihipStream_tbENKUlT_T0_E_clISt17integral_constantIbLb0EES10_IbLb1EEEEDaSW_SX_EUlSW_E_NS1_11comp_targetILNS1_3genE4ELNS1_11target_archE910ELNS1_3gpuE8ELNS1_3repE0EEENS1_30default_config_static_selectorELNS0_4arch9wavefront6targetE0EEEvT1_.num_vgpr, 0
	.set _ZN7rocprim17ROCPRIM_400000_NS6detail17trampoline_kernelINS0_14default_configENS1_27scan_by_key_config_selectorIixEEZZNS1_16scan_by_key_implILNS1_25lookback_scan_determinismE0ELb1ES3_N6thrust23THRUST_200600_302600_NS6detail15normal_iteratorINS9_10device_ptrIiEEEENSB_INSC_IxEEEESG_xNS9_4plusIvEENS9_8equal_toIvEExEE10hipError_tPvRmT2_T3_T4_T5_mT6_T7_P12ihipStream_tbENKUlT_T0_E_clISt17integral_constantIbLb0EES10_IbLb1EEEEDaSW_SX_EUlSW_E_NS1_11comp_targetILNS1_3genE4ELNS1_11target_archE910ELNS1_3gpuE8ELNS1_3repE0EEENS1_30default_config_static_selectorELNS0_4arch9wavefront6targetE0EEEvT1_.num_agpr, 0
	.set _ZN7rocprim17ROCPRIM_400000_NS6detail17trampoline_kernelINS0_14default_configENS1_27scan_by_key_config_selectorIixEEZZNS1_16scan_by_key_implILNS1_25lookback_scan_determinismE0ELb1ES3_N6thrust23THRUST_200600_302600_NS6detail15normal_iteratorINS9_10device_ptrIiEEEENSB_INSC_IxEEEESG_xNS9_4plusIvEENS9_8equal_toIvEExEE10hipError_tPvRmT2_T3_T4_T5_mT6_T7_P12ihipStream_tbENKUlT_T0_E_clISt17integral_constantIbLb0EES10_IbLb1EEEEDaSW_SX_EUlSW_E_NS1_11comp_targetILNS1_3genE4ELNS1_11target_archE910ELNS1_3gpuE8ELNS1_3repE0EEENS1_30default_config_static_selectorELNS0_4arch9wavefront6targetE0EEEvT1_.numbered_sgpr, 0
	.set _ZN7rocprim17ROCPRIM_400000_NS6detail17trampoline_kernelINS0_14default_configENS1_27scan_by_key_config_selectorIixEEZZNS1_16scan_by_key_implILNS1_25lookback_scan_determinismE0ELb1ES3_N6thrust23THRUST_200600_302600_NS6detail15normal_iteratorINS9_10device_ptrIiEEEENSB_INSC_IxEEEESG_xNS9_4plusIvEENS9_8equal_toIvEExEE10hipError_tPvRmT2_T3_T4_T5_mT6_T7_P12ihipStream_tbENKUlT_T0_E_clISt17integral_constantIbLb0EES10_IbLb1EEEEDaSW_SX_EUlSW_E_NS1_11comp_targetILNS1_3genE4ELNS1_11target_archE910ELNS1_3gpuE8ELNS1_3repE0EEENS1_30default_config_static_selectorELNS0_4arch9wavefront6targetE0EEEvT1_.num_named_barrier, 0
	.set _ZN7rocprim17ROCPRIM_400000_NS6detail17trampoline_kernelINS0_14default_configENS1_27scan_by_key_config_selectorIixEEZZNS1_16scan_by_key_implILNS1_25lookback_scan_determinismE0ELb1ES3_N6thrust23THRUST_200600_302600_NS6detail15normal_iteratorINS9_10device_ptrIiEEEENSB_INSC_IxEEEESG_xNS9_4plusIvEENS9_8equal_toIvEExEE10hipError_tPvRmT2_T3_T4_T5_mT6_T7_P12ihipStream_tbENKUlT_T0_E_clISt17integral_constantIbLb0EES10_IbLb1EEEEDaSW_SX_EUlSW_E_NS1_11comp_targetILNS1_3genE4ELNS1_11target_archE910ELNS1_3gpuE8ELNS1_3repE0EEENS1_30default_config_static_selectorELNS0_4arch9wavefront6targetE0EEEvT1_.private_seg_size, 0
	.set _ZN7rocprim17ROCPRIM_400000_NS6detail17trampoline_kernelINS0_14default_configENS1_27scan_by_key_config_selectorIixEEZZNS1_16scan_by_key_implILNS1_25lookback_scan_determinismE0ELb1ES3_N6thrust23THRUST_200600_302600_NS6detail15normal_iteratorINS9_10device_ptrIiEEEENSB_INSC_IxEEEESG_xNS9_4plusIvEENS9_8equal_toIvEExEE10hipError_tPvRmT2_T3_T4_T5_mT6_T7_P12ihipStream_tbENKUlT_T0_E_clISt17integral_constantIbLb0EES10_IbLb1EEEEDaSW_SX_EUlSW_E_NS1_11comp_targetILNS1_3genE4ELNS1_11target_archE910ELNS1_3gpuE8ELNS1_3repE0EEENS1_30default_config_static_selectorELNS0_4arch9wavefront6targetE0EEEvT1_.uses_vcc, 0
	.set _ZN7rocprim17ROCPRIM_400000_NS6detail17trampoline_kernelINS0_14default_configENS1_27scan_by_key_config_selectorIixEEZZNS1_16scan_by_key_implILNS1_25lookback_scan_determinismE0ELb1ES3_N6thrust23THRUST_200600_302600_NS6detail15normal_iteratorINS9_10device_ptrIiEEEENSB_INSC_IxEEEESG_xNS9_4plusIvEENS9_8equal_toIvEExEE10hipError_tPvRmT2_T3_T4_T5_mT6_T7_P12ihipStream_tbENKUlT_T0_E_clISt17integral_constantIbLb0EES10_IbLb1EEEEDaSW_SX_EUlSW_E_NS1_11comp_targetILNS1_3genE4ELNS1_11target_archE910ELNS1_3gpuE8ELNS1_3repE0EEENS1_30default_config_static_selectorELNS0_4arch9wavefront6targetE0EEEvT1_.uses_flat_scratch, 0
	.set _ZN7rocprim17ROCPRIM_400000_NS6detail17trampoline_kernelINS0_14default_configENS1_27scan_by_key_config_selectorIixEEZZNS1_16scan_by_key_implILNS1_25lookback_scan_determinismE0ELb1ES3_N6thrust23THRUST_200600_302600_NS6detail15normal_iteratorINS9_10device_ptrIiEEEENSB_INSC_IxEEEESG_xNS9_4plusIvEENS9_8equal_toIvEExEE10hipError_tPvRmT2_T3_T4_T5_mT6_T7_P12ihipStream_tbENKUlT_T0_E_clISt17integral_constantIbLb0EES10_IbLb1EEEEDaSW_SX_EUlSW_E_NS1_11comp_targetILNS1_3genE4ELNS1_11target_archE910ELNS1_3gpuE8ELNS1_3repE0EEENS1_30default_config_static_selectorELNS0_4arch9wavefront6targetE0EEEvT1_.has_dyn_sized_stack, 0
	.set _ZN7rocprim17ROCPRIM_400000_NS6detail17trampoline_kernelINS0_14default_configENS1_27scan_by_key_config_selectorIixEEZZNS1_16scan_by_key_implILNS1_25lookback_scan_determinismE0ELb1ES3_N6thrust23THRUST_200600_302600_NS6detail15normal_iteratorINS9_10device_ptrIiEEEENSB_INSC_IxEEEESG_xNS9_4plusIvEENS9_8equal_toIvEExEE10hipError_tPvRmT2_T3_T4_T5_mT6_T7_P12ihipStream_tbENKUlT_T0_E_clISt17integral_constantIbLb0EES10_IbLb1EEEEDaSW_SX_EUlSW_E_NS1_11comp_targetILNS1_3genE4ELNS1_11target_archE910ELNS1_3gpuE8ELNS1_3repE0EEENS1_30default_config_static_selectorELNS0_4arch9wavefront6targetE0EEEvT1_.has_recursion, 0
	.set _ZN7rocprim17ROCPRIM_400000_NS6detail17trampoline_kernelINS0_14default_configENS1_27scan_by_key_config_selectorIixEEZZNS1_16scan_by_key_implILNS1_25lookback_scan_determinismE0ELb1ES3_N6thrust23THRUST_200600_302600_NS6detail15normal_iteratorINS9_10device_ptrIiEEEENSB_INSC_IxEEEESG_xNS9_4plusIvEENS9_8equal_toIvEExEE10hipError_tPvRmT2_T3_T4_T5_mT6_T7_P12ihipStream_tbENKUlT_T0_E_clISt17integral_constantIbLb0EES10_IbLb1EEEEDaSW_SX_EUlSW_E_NS1_11comp_targetILNS1_3genE4ELNS1_11target_archE910ELNS1_3gpuE8ELNS1_3repE0EEENS1_30default_config_static_selectorELNS0_4arch9wavefront6targetE0EEEvT1_.has_indirect_call, 0
	.section	.AMDGPU.csdata,"",@progbits
; Kernel info:
; codeLenInByte = 0
; TotalNumSgprs: 0
; NumVgprs: 0
; ScratchSize: 0
; MemoryBound: 0
; FloatMode: 240
; IeeeMode: 1
; LDSByteSize: 0 bytes/workgroup (compile time only)
; SGPRBlocks: 0
; VGPRBlocks: 0
; NumSGPRsForWavesPerEU: 1
; NumVGPRsForWavesPerEU: 1
; NamedBarCnt: 0
; Occupancy: 16
; WaveLimiterHint : 0
; COMPUTE_PGM_RSRC2:SCRATCH_EN: 0
; COMPUTE_PGM_RSRC2:USER_SGPR: 2
; COMPUTE_PGM_RSRC2:TRAP_HANDLER: 0
; COMPUTE_PGM_RSRC2:TGID_X_EN: 1
; COMPUTE_PGM_RSRC2:TGID_Y_EN: 0
; COMPUTE_PGM_RSRC2:TGID_Z_EN: 0
; COMPUTE_PGM_RSRC2:TIDIG_COMP_CNT: 0
	.section	.text._ZN7rocprim17ROCPRIM_400000_NS6detail17trampoline_kernelINS0_14default_configENS1_27scan_by_key_config_selectorIixEEZZNS1_16scan_by_key_implILNS1_25lookback_scan_determinismE0ELb1ES3_N6thrust23THRUST_200600_302600_NS6detail15normal_iteratorINS9_10device_ptrIiEEEENSB_INSC_IxEEEESG_xNS9_4plusIvEENS9_8equal_toIvEExEE10hipError_tPvRmT2_T3_T4_T5_mT6_T7_P12ihipStream_tbENKUlT_T0_E_clISt17integral_constantIbLb0EES10_IbLb1EEEEDaSW_SX_EUlSW_E_NS1_11comp_targetILNS1_3genE3ELNS1_11target_archE908ELNS1_3gpuE7ELNS1_3repE0EEENS1_30default_config_static_selectorELNS0_4arch9wavefront6targetE0EEEvT1_,"axG",@progbits,_ZN7rocprim17ROCPRIM_400000_NS6detail17trampoline_kernelINS0_14default_configENS1_27scan_by_key_config_selectorIixEEZZNS1_16scan_by_key_implILNS1_25lookback_scan_determinismE0ELb1ES3_N6thrust23THRUST_200600_302600_NS6detail15normal_iteratorINS9_10device_ptrIiEEEENSB_INSC_IxEEEESG_xNS9_4plusIvEENS9_8equal_toIvEExEE10hipError_tPvRmT2_T3_T4_T5_mT6_T7_P12ihipStream_tbENKUlT_T0_E_clISt17integral_constantIbLb0EES10_IbLb1EEEEDaSW_SX_EUlSW_E_NS1_11comp_targetILNS1_3genE3ELNS1_11target_archE908ELNS1_3gpuE7ELNS1_3repE0EEENS1_30default_config_static_selectorELNS0_4arch9wavefront6targetE0EEEvT1_,comdat
	.protected	_ZN7rocprim17ROCPRIM_400000_NS6detail17trampoline_kernelINS0_14default_configENS1_27scan_by_key_config_selectorIixEEZZNS1_16scan_by_key_implILNS1_25lookback_scan_determinismE0ELb1ES3_N6thrust23THRUST_200600_302600_NS6detail15normal_iteratorINS9_10device_ptrIiEEEENSB_INSC_IxEEEESG_xNS9_4plusIvEENS9_8equal_toIvEExEE10hipError_tPvRmT2_T3_T4_T5_mT6_T7_P12ihipStream_tbENKUlT_T0_E_clISt17integral_constantIbLb0EES10_IbLb1EEEEDaSW_SX_EUlSW_E_NS1_11comp_targetILNS1_3genE3ELNS1_11target_archE908ELNS1_3gpuE7ELNS1_3repE0EEENS1_30default_config_static_selectorELNS0_4arch9wavefront6targetE0EEEvT1_ ; -- Begin function _ZN7rocprim17ROCPRIM_400000_NS6detail17trampoline_kernelINS0_14default_configENS1_27scan_by_key_config_selectorIixEEZZNS1_16scan_by_key_implILNS1_25lookback_scan_determinismE0ELb1ES3_N6thrust23THRUST_200600_302600_NS6detail15normal_iteratorINS9_10device_ptrIiEEEENSB_INSC_IxEEEESG_xNS9_4plusIvEENS9_8equal_toIvEExEE10hipError_tPvRmT2_T3_T4_T5_mT6_T7_P12ihipStream_tbENKUlT_T0_E_clISt17integral_constantIbLb0EES10_IbLb1EEEEDaSW_SX_EUlSW_E_NS1_11comp_targetILNS1_3genE3ELNS1_11target_archE908ELNS1_3gpuE7ELNS1_3repE0EEENS1_30default_config_static_selectorELNS0_4arch9wavefront6targetE0EEEvT1_
	.globl	_ZN7rocprim17ROCPRIM_400000_NS6detail17trampoline_kernelINS0_14default_configENS1_27scan_by_key_config_selectorIixEEZZNS1_16scan_by_key_implILNS1_25lookback_scan_determinismE0ELb1ES3_N6thrust23THRUST_200600_302600_NS6detail15normal_iteratorINS9_10device_ptrIiEEEENSB_INSC_IxEEEESG_xNS9_4plusIvEENS9_8equal_toIvEExEE10hipError_tPvRmT2_T3_T4_T5_mT6_T7_P12ihipStream_tbENKUlT_T0_E_clISt17integral_constantIbLb0EES10_IbLb1EEEEDaSW_SX_EUlSW_E_NS1_11comp_targetILNS1_3genE3ELNS1_11target_archE908ELNS1_3gpuE7ELNS1_3repE0EEENS1_30default_config_static_selectorELNS0_4arch9wavefront6targetE0EEEvT1_
	.p2align	8
	.type	_ZN7rocprim17ROCPRIM_400000_NS6detail17trampoline_kernelINS0_14default_configENS1_27scan_by_key_config_selectorIixEEZZNS1_16scan_by_key_implILNS1_25lookback_scan_determinismE0ELb1ES3_N6thrust23THRUST_200600_302600_NS6detail15normal_iteratorINS9_10device_ptrIiEEEENSB_INSC_IxEEEESG_xNS9_4plusIvEENS9_8equal_toIvEExEE10hipError_tPvRmT2_T3_T4_T5_mT6_T7_P12ihipStream_tbENKUlT_T0_E_clISt17integral_constantIbLb0EES10_IbLb1EEEEDaSW_SX_EUlSW_E_NS1_11comp_targetILNS1_3genE3ELNS1_11target_archE908ELNS1_3gpuE7ELNS1_3repE0EEENS1_30default_config_static_selectorELNS0_4arch9wavefront6targetE0EEEvT1_,@function
_ZN7rocprim17ROCPRIM_400000_NS6detail17trampoline_kernelINS0_14default_configENS1_27scan_by_key_config_selectorIixEEZZNS1_16scan_by_key_implILNS1_25lookback_scan_determinismE0ELb1ES3_N6thrust23THRUST_200600_302600_NS6detail15normal_iteratorINS9_10device_ptrIiEEEENSB_INSC_IxEEEESG_xNS9_4plusIvEENS9_8equal_toIvEExEE10hipError_tPvRmT2_T3_T4_T5_mT6_T7_P12ihipStream_tbENKUlT_T0_E_clISt17integral_constantIbLb0EES10_IbLb1EEEEDaSW_SX_EUlSW_E_NS1_11comp_targetILNS1_3genE3ELNS1_11target_archE908ELNS1_3gpuE7ELNS1_3repE0EEENS1_30default_config_static_selectorELNS0_4arch9wavefront6targetE0EEEvT1_: ; @_ZN7rocprim17ROCPRIM_400000_NS6detail17trampoline_kernelINS0_14default_configENS1_27scan_by_key_config_selectorIixEEZZNS1_16scan_by_key_implILNS1_25lookback_scan_determinismE0ELb1ES3_N6thrust23THRUST_200600_302600_NS6detail15normal_iteratorINS9_10device_ptrIiEEEENSB_INSC_IxEEEESG_xNS9_4plusIvEENS9_8equal_toIvEExEE10hipError_tPvRmT2_T3_T4_T5_mT6_T7_P12ihipStream_tbENKUlT_T0_E_clISt17integral_constantIbLb0EES10_IbLb1EEEEDaSW_SX_EUlSW_E_NS1_11comp_targetILNS1_3genE3ELNS1_11target_archE908ELNS1_3gpuE7ELNS1_3repE0EEENS1_30default_config_static_selectorELNS0_4arch9wavefront6targetE0EEEvT1_
; %bb.0:
	.section	.rodata,"a",@progbits
	.p2align	6, 0x0
	.amdhsa_kernel _ZN7rocprim17ROCPRIM_400000_NS6detail17trampoline_kernelINS0_14default_configENS1_27scan_by_key_config_selectorIixEEZZNS1_16scan_by_key_implILNS1_25lookback_scan_determinismE0ELb1ES3_N6thrust23THRUST_200600_302600_NS6detail15normal_iteratorINS9_10device_ptrIiEEEENSB_INSC_IxEEEESG_xNS9_4plusIvEENS9_8equal_toIvEExEE10hipError_tPvRmT2_T3_T4_T5_mT6_T7_P12ihipStream_tbENKUlT_T0_E_clISt17integral_constantIbLb0EES10_IbLb1EEEEDaSW_SX_EUlSW_E_NS1_11comp_targetILNS1_3genE3ELNS1_11target_archE908ELNS1_3gpuE7ELNS1_3repE0EEENS1_30default_config_static_selectorELNS0_4arch9wavefront6targetE0EEEvT1_
		.amdhsa_group_segment_fixed_size 0
		.amdhsa_private_segment_fixed_size 0
		.amdhsa_kernarg_size 136
		.amdhsa_user_sgpr_count 2
		.amdhsa_user_sgpr_dispatch_ptr 0
		.amdhsa_user_sgpr_queue_ptr 0
		.amdhsa_user_sgpr_kernarg_segment_ptr 1
		.amdhsa_user_sgpr_dispatch_id 0
		.amdhsa_user_sgpr_kernarg_preload_length 0
		.amdhsa_user_sgpr_kernarg_preload_offset 0
		.amdhsa_user_sgpr_private_segment_size 0
		.amdhsa_wavefront_size32 1
		.amdhsa_uses_dynamic_stack 0
		.amdhsa_enable_private_segment 0
		.amdhsa_system_sgpr_workgroup_id_x 1
		.amdhsa_system_sgpr_workgroup_id_y 0
		.amdhsa_system_sgpr_workgroup_id_z 0
		.amdhsa_system_sgpr_workgroup_info 0
		.amdhsa_system_vgpr_workitem_id 0
		.amdhsa_next_free_vgpr 1
		.amdhsa_next_free_sgpr 1
		.amdhsa_named_barrier_count 0
		.amdhsa_reserve_vcc 0
		.amdhsa_float_round_mode_32 0
		.amdhsa_float_round_mode_16_64 0
		.amdhsa_float_denorm_mode_32 3
		.amdhsa_float_denorm_mode_16_64 3
		.amdhsa_fp16_overflow 0
		.amdhsa_memory_ordered 1
		.amdhsa_forward_progress 1
		.amdhsa_inst_pref_size 0
		.amdhsa_round_robin_scheduling 0
		.amdhsa_exception_fp_ieee_invalid_op 0
		.amdhsa_exception_fp_denorm_src 0
		.amdhsa_exception_fp_ieee_div_zero 0
		.amdhsa_exception_fp_ieee_overflow 0
		.amdhsa_exception_fp_ieee_underflow 0
		.amdhsa_exception_fp_ieee_inexact 0
		.amdhsa_exception_int_div_zero 0
	.end_amdhsa_kernel
	.section	.text._ZN7rocprim17ROCPRIM_400000_NS6detail17trampoline_kernelINS0_14default_configENS1_27scan_by_key_config_selectorIixEEZZNS1_16scan_by_key_implILNS1_25lookback_scan_determinismE0ELb1ES3_N6thrust23THRUST_200600_302600_NS6detail15normal_iteratorINS9_10device_ptrIiEEEENSB_INSC_IxEEEESG_xNS9_4plusIvEENS9_8equal_toIvEExEE10hipError_tPvRmT2_T3_T4_T5_mT6_T7_P12ihipStream_tbENKUlT_T0_E_clISt17integral_constantIbLb0EES10_IbLb1EEEEDaSW_SX_EUlSW_E_NS1_11comp_targetILNS1_3genE3ELNS1_11target_archE908ELNS1_3gpuE7ELNS1_3repE0EEENS1_30default_config_static_selectorELNS0_4arch9wavefront6targetE0EEEvT1_,"axG",@progbits,_ZN7rocprim17ROCPRIM_400000_NS6detail17trampoline_kernelINS0_14default_configENS1_27scan_by_key_config_selectorIixEEZZNS1_16scan_by_key_implILNS1_25lookback_scan_determinismE0ELb1ES3_N6thrust23THRUST_200600_302600_NS6detail15normal_iteratorINS9_10device_ptrIiEEEENSB_INSC_IxEEEESG_xNS9_4plusIvEENS9_8equal_toIvEExEE10hipError_tPvRmT2_T3_T4_T5_mT6_T7_P12ihipStream_tbENKUlT_T0_E_clISt17integral_constantIbLb0EES10_IbLb1EEEEDaSW_SX_EUlSW_E_NS1_11comp_targetILNS1_3genE3ELNS1_11target_archE908ELNS1_3gpuE7ELNS1_3repE0EEENS1_30default_config_static_selectorELNS0_4arch9wavefront6targetE0EEEvT1_,comdat
.Lfunc_end1602:
	.size	_ZN7rocprim17ROCPRIM_400000_NS6detail17trampoline_kernelINS0_14default_configENS1_27scan_by_key_config_selectorIixEEZZNS1_16scan_by_key_implILNS1_25lookback_scan_determinismE0ELb1ES3_N6thrust23THRUST_200600_302600_NS6detail15normal_iteratorINS9_10device_ptrIiEEEENSB_INSC_IxEEEESG_xNS9_4plusIvEENS9_8equal_toIvEExEE10hipError_tPvRmT2_T3_T4_T5_mT6_T7_P12ihipStream_tbENKUlT_T0_E_clISt17integral_constantIbLb0EES10_IbLb1EEEEDaSW_SX_EUlSW_E_NS1_11comp_targetILNS1_3genE3ELNS1_11target_archE908ELNS1_3gpuE7ELNS1_3repE0EEENS1_30default_config_static_selectorELNS0_4arch9wavefront6targetE0EEEvT1_, .Lfunc_end1602-_ZN7rocprim17ROCPRIM_400000_NS6detail17trampoline_kernelINS0_14default_configENS1_27scan_by_key_config_selectorIixEEZZNS1_16scan_by_key_implILNS1_25lookback_scan_determinismE0ELb1ES3_N6thrust23THRUST_200600_302600_NS6detail15normal_iteratorINS9_10device_ptrIiEEEENSB_INSC_IxEEEESG_xNS9_4plusIvEENS9_8equal_toIvEExEE10hipError_tPvRmT2_T3_T4_T5_mT6_T7_P12ihipStream_tbENKUlT_T0_E_clISt17integral_constantIbLb0EES10_IbLb1EEEEDaSW_SX_EUlSW_E_NS1_11comp_targetILNS1_3genE3ELNS1_11target_archE908ELNS1_3gpuE7ELNS1_3repE0EEENS1_30default_config_static_selectorELNS0_4arch9wavefront6targetE0EEEvT1_
                                        ; -- End function
	.set _ZN7rocprim17ROCPRIM_400000_NS6detail17trampoline_kernelINS0_14default_configENS1_27scan_by_key_config_selectorIixEEZZNS1_16scan_by_key_implILNS1_25lookback_scan_determinismE0ELb1ES3_N6thrust23THRUST_200600_302600_NS6detail15normal_iteratorINS9_10device_ptrIiEEEENSB_INSC_IxEEEESG_xNS9_4plusIvEENS9_8equal_toIvEExEE10hipError_tPvRmT2_T3_T4_T5_mT6_T7_P12ihipStream_tbENKUlT_T0_E_clISt17integral_constantIbLb0EES10_IbLb1EEEEDaSW_SX_EUlSW_E_NS1_11comp_targetILNS1_3genE3ELNS1_11target_archE908ELNS1_3gpuE7ELNS1_3repE0EEENS1_30default_config_static_selectorELNS0_4arch9wavefront6targetE0EEEvT1_.num_vgpr, 0
	.set _ZN7rocprim17ROCPRIM_400000_NS6detail17trampoline_kernelINS0_14default_configENS1_27scan_by_key_config_selectorIixEEZZNS1_16scan_by_key_implILNS1_25lookback_scan_determinismE0ELb1ES3_N6thrust23THRUST_200600_302600_NS6detail15normal_iteratorINS9_10device_ptrIiEEEENSB_INSC_IxEEEESG_xNS9_4plusIvEENS9_8equal_toIvEExEE10hipError_tPvRmT2_T3_T4_T5_mT6_T7_P12ihipStream_tbENKUlT_T0_E_clISt17integral_constantIbLb0EES10_IbLb1EEEEDaSW_SX_EUlSW_E_NS1_11comp_targetILNS1_3genE3ELNS1_11target_archE908ELNS1_3gpuE7ELNS1_3repE0EEENS1_30default_config_static_selectorELNS0_4arch9wavefront6targetE0EEEvT1_.num_agpr, 0
	.set _ZN7rocprim17ROCPRIM_400000_NS6detail17trampoline_kernelINS0_14default_configENS1_27scan_by_key_config_selectorIixEEZZNS1_16scan_by_key_implILNS1_25lookback_scan_determinismE0ELb1ES3_N6thrust23THRUST_200600_302600_NS6detail15normal_iteratorINS9_10device_ptrIiEEEENSB_INSC_IxEEEESG_xNS9_4plusIvEENS9_8equal_toIvEExEE10hipError_tPvRmT2_T3_T4_T5_mT6_T7_P12ihipStream_tbENKUlT_T0_E_clISt17integral_constantIbLb0EES10_IbLb1EEEEDaSW_SX_EUlSW_E_NS1_11comp_targetILNS1_3genE3ELNS1_11target_archE908ELNS1_3gpuE7ELNS1_3repE0EEENS1_30default_config_static_selectorELNS0_4arch9wavefront6targetE0EEEvT1_.numbered_sgpr, 0
	.set _ZN7rocprim17ROCPRIM_400000_NS6detail17trampoline_kernelINS0_14default_configENS1_27scan_by_key_config_selectorIixEEZZNS1_16scan_by_key_implILNS1_25lookback_scan_determinismE0ELb1ES3_N6thrust23THRUST_200600_302600_NS6detail15normal_iteratorINS9_10device_ptrIiEEEENSB_INSC_IxEEEESG_xNS9_4plusIvEENS9_8equal_toIvEExEE10hipError_tPvRmT2_T3_T4_T5_mT6_T7_P12ihipStream_tbENKUlT_T0_E_clISt17integral_constantIbLb0EES10_IbLb1EEEEDaSW_SX_EUlSW_E_NS1_11comp_targetILNS1_3genE3ELNS1_11target_archE908ELNS1_3gpuE7ELNS1_3repE0EEENS1_30default_config_static_selectorELNS0_4arch9wavefront6targetE0EEEvT1_.num_named_barrier, 0
	.set _ZN7rocprim17ROCPRIM_400000_NS6detail17trampoline_kernelINS0_14default_configENS1_27scan_by_key_config_selectorIixEEZZNS1_16scan_by_key_implILNS1_25lookback_scan_determinismE0ELb1ES3_N6thrust23THRUST_200600_302600_NS6detail15normal_iteratorINS9_10device_ptrIiEEEENSB_INSC_IxEEEESG_xNS9_4plusIvEENS9_8equal_toIvEExEE10hipError_tPvRmT2_T3_T4_T5_mT6_T7_P12ihipStream_tbENKUlT_T0_E_clISt17integral_constantIbLb0EES10_IbLb1EEEEDaSW_SX_EUlSW_E_NS1_11comp_targetILNS1_3genE3ELNS1_11target_archE908ELNS1_3gpuE7ELNS1_3repE0EEENS1_30default_config_static_selectorELNS0_4arch9wavefront6targetE0EEEvT1_.private_seg_size, 0
	.set _ZN7rocprim17ROCPRIM_400000_NS6detail17trampoline_kernelINS0_14default_configENS1_27scan_by_key_config_selectorIixEEZZNS1_16scan_by_key_implILNS1_25lookback_scan_determinismE0ELb1ES3_N6thrust23THRUST_200600_302600_NS6detail15normal_iteratorINS9_10device_ptrIiEEEENSB_INSC_IxEEEESG_xNS9_4plusIvEENS9_8equal_toIvEExEE10hipError_tPvRmT2_T3_T4_T5_mT6_T7_P12ihipStream_tbENKUlT_T0_E_clISt17integral_constantIbLb0EES10_IbLb1EEEEDaSW_SX_EUlSW_E_NS1_11comp_targetILNS1_3genE3ELNS1_11target_archE908ELNS1_3gpuE7ELNS1_3repE0EEENS1_30default_config_static_selectorELNS0_4arch9wavefront6targetE0EEEvT1_.uses_vcc, 0
	.set _ZN7rocprim17ROCPRIM_400000_NS6detail17trampoline_kernelINS0_14default_configENS1_27scan_by_key_config_selectorIixEEZZNS1_16scan_by_key_implILNS1_25lookback_scan_determinismE0ELb1ES3_N6thrust23THRUST_200600_302600_NS6detail15normal_iteratorINS9_10device_ptrIiEEEENSB_INSC_IxEEEESG_xNS9_4plusIvEENS9_8equal_toIvEExEE10hipError_tPvRmT2_T3_T4_T5_mT6_T7_P12ihipStream_tbENKUlT_T0_E_clISt17integral_constantIbLb0EES10_IbLb1EEEEDaSW_SX_EUlSW_E_NS1_11comp_targetILNS1_3genE3ELNS1_11target_archE908ELNS1_3gpuE7ELNS1_3repE0EEENS1_30default_config_static_selectorELNS0_4arch9wavefront6targetE0EEEvT1_.uses_flat_scratch, 0
	.set _ZN7rocprim17ROCPRIM_400000_NS6detail17trampoline_kernelINS0_14default_configENS1_27scan_by_key_config_selectorIixEEZZNS1_16scan_by_key_implILNS1_25lookback_scan_determinismE0ELb1ES3_N6thrust23THRUST_200600_302600_NS6detail15normal_iteratorINS9_10device_ptrIiEEEENSB_INSC_IxEEEESG_xNS9_4plusIvEENS9_8equal_toIvEExEE10hipError_tPvRmT2_T3_T4_T5_mT6_T7_P12ihipStream_tbENKUlT_T0_E_clISt17integral_constantIbLb0EES10_IbLb1EEEEDaSW_SX_EUlSW_E_NS1_11comp_targetILNS1_3genE3ELNS1_11target_archE908ELNS1_3gpuE7ELNS1_3repE0EEENS1_30default_config_static_selectorELNS0_4arch9wavefront6targetE0EEEvT1_.has_dyn_sized_stack, 0
	.set _ZN7rocprim17ROCPRIM_400000_NS6detail17trampoline_kernelINS0_14default_configENS1_27scan_by_key_config_selectorIixEEZZNS1_16scan_by_key_implILNS1_25lookback_scan_determinismE0ELb1ES3_N6thrust23THRUST_200600_302600_NS6detail15normal_iteratorINS9_10device_ptrIiEEEENSB_INSC_IxEEEESG_xNS9_4plusIvEENS9_8equal_toIvEExEE10hipError_tPvRmT2_T3_T4_T5_mT6_T7_P12ihipStream_tbENKUlT_T0_E_clISt17integral_constantIbLb0EES10_IbLb1EEEEDaSW_SX_EUlSW_E_NS1_11comp_targetILNS1_3genE3ELNS1_11target_archE908ELNS1_3gpuE7ELNS1_3repE0EEENS1_30default_config_static_selectorELNS0_4arch9wavefront6targetE0EEEvT1_.has_recursion, 0
	.set _ZN7rocprim17ROCPRIM_400000_NS6detail17trampoline_kernelINS0_14default_configENS1_27scan_by_key_config_selectorIixEEZZNS1_16scan_by_key_implILNS1_25lookback_scan_determinismE0ELb1ES3_N6thrust23THRUST_200600_302600_NS6detail15normal_iteratorINS9_10device_ptrIiEEEENSB_INSC_IxEEEESG_xNS9_4plusIvEENS9_8equal_toIvEExEE10hipError_tPvRmT2_T3_T4_T5_mT6_T7_P12ihipStream_tbENKUlT_T0_E_clISt17integral_constantIbLb0EES10_IbLb1EEEEDaSW_SX_EUlSW_E_NS1_11comp_targetILNS1_3genE3ELNS1_11target_archE908ELNS1_3gpuE7ELNS1_3repE0EEENS1_30default_config_static_selectorELNS0_4arch9wavefront6targetE0EEEvT1_.has_indirect_call, 0
	.section	.AMDGPU.csdata,"",@progbits
; Kernel info:
; codeLenInByte = 0
; TotalNumSgprs: 0
; NumVgprs: 0
; ScratchSize: 0
; MemoryBound: 0
; FloatMode: 240
; IeeeMode: 1
; LDSByteSize: 0 bytes/workgroup (compile time only)
; SGPRBlocks: 0
; VGPRBlocks: 0
; NumSGPRsForWavesPerEU: 1
; NumVGPRsForWavesPerEU: 1
; NamedBarCnt: 0
; Occupancy: 16
; WaveLimiterHint : 0
; COMPUTE_PGM_RSRC2:SCRATCH_EN: 0
; COMPUTE_PGM_RSRC2:USER_SGPR: 2
; COMPUTE_PGM_RSRC2:TRAP_HANDLER: 0
; COMPUTE_PGM_RSRC2:TGID_X_EN: 1
; COMPUTE_PGM_RSRC2:TGID_Y_EN: 0
; COMPUTE_PGM_RSRC2:TGID_Z_EN: 0
; COMPUTE_PGM_RSRC2:TIDIG_COMP_CNT: 0
	.section	.text._ZN7rocprim17ROCPRIM_400000_NS6detail17trampoline_kernelINS0_14default_configENS1_27scan_by_key_config_selectorIixEEZZNS1_16scan_by_key_implILNS1_25lookback_scan_determinismE0ELb1ES3_N6thrust23THRUST_200600_302600_NS6detail15normal_iteratorINS9_10device_ptrIiEEEENSB_INSC_IxEEEESG_xNS9_4plusIvEENS9_8equal_toIvEExEE10hipError_tPvRmT2_T3_T4_T5_mT6_T7_P12ihipStream_tbENKUlT_T0_E_clISt17integral_constantIbLb0EES10_IbLb1EEEEDaSW_SX_EUlSW_E_NS1_11comp_targetILNS1_3genE2ELNS1_11target_archE906ELNS1_3gpuE6ELNS1_3repE0EEENS1_30default_config_static_selectorELNS0_4arch9wavefront6targetE0EEEvT1_,"axG",@progbits,_ZN7rocprim17ROCPRIM_400000_NS6detail17trampoline_kernelINS0_14default_configENS1_27scan_by_key_config_selectorIixEEZZNS1_16scan_by_key_implILNS1_25lookback_scan_determinismE0ELb1ES3_N6thrust23THRUST_200600_302600_NS6detail15normal_iteratorINS9_10device_ptrIiEEEENSB_INSC_IxEEEESG_xNS9_4plusIvEENS9_8equal_toIvEExEE10hipError_tPvRmT2_T3_T4_T5_mT6_T7_P12ihipStream_tbENKUlT_T0_E_clISt17integral_constantIbLb0EES10_IbLb1EEEEDaSW_SX_EUlSW_E_NS1_11comp_targetILNS1_3genE2ELNS1_11target_archE906ELNS1_3gpuE6ELNS1_3repE0EEENS1_30default_config_static_selectorELNS0_4arch9wavefront6targetE0EEEvT1_,comdat
	.protected	_ZN7rocprim17ROCPRIM_400000_NS6detail17trampoline_kernelINS0_14default_configENS1_27scan_by_key_config_selectorIixEEZZNS1_16scan_by_key_implILNS1_25lookback_scan_determinismE0ELb1ES3_N6thrust23THRUST_200600_302600_NS6detail15normal_iteratorINS9_10device_ptrIiEEEENSB_INSC_IxEEEESG_xNS9_4plusIvEENS9_8equal_toIvEExEE10hipError_tPvRmT2_T3_T4_T5_mT6_T7_P12ihipStream_tbENKUlT_T0_E_clISt17integral_constantIbLb0EES10_IbLb1EEEEDaSW_SX_EUlSW_E_NS1_11comp_targetILNS1_3genE2ELNS1_11target_archE906ELNS1_3gpuE6ELNS1_3repE0EEENS1_30default_config_static_selectorELNS0_4arch9wavefront6targetE0EEEvT1_ ; -- Begin function _ZN7rocprim17ROCPRIM_400000_NS6detail17trampoline_kernelINS0_14default_configENS1_27scan_by_key_config_selectorIixEEZZNS1_16scan_by_key_implILNS1_25lookback_scan_determinismE0ELb1ES3_N6thrust23THRUST_200600_302600_NS6detail15normal_iteratorINS9_10device_ptrIiEEEENSB_INSC_IxEEEESG_xNS9_4plusIvEENS9_8equal_toIvEExEE10hipError_tPvRmT2_T3_T4_T5_mT6_T7_P12ihipStream_tbENKUlT_T0_E_clISt17integral_constantIbLb0EES10_IbLb1EEEEDaSW_SX_EUlSW_E_NS1_11comp_targetILNS1_3genE2ELNS1_11target_archE906ELNS1_3gpuE6ELNS1_3repE0EEENS1_30default_config_static_selectorELNS0_4arch9wavefront6targetE0EEEvT1_
	.globl	_ZN7rocprim17ROCPRIM_400000_NS6detail17trampoline_kernelINS0_14default_configENS1_27scan_by_key_config_selectorIixEEZZNS1_16scan_by_key_implILNS1_25lookback_scan_determinismE0ELb1ES3_N6thrust23THRUST_200600_302600_NS6detail15normal_iteratorINS9_10device_ptrIiEEEENSB_INSC_IxEEEESG_xNS9_4plusIvEENS9_8equal_toIvEExEE10hipError_tPvRmT2_T3_T4_T5_mT6_T7_P12ihipStream_tbENKUlT_T0_E_clISt17integral_constantIbLb0EES10_IbLb1EEEEDaSW_SX_EUlSW_E_NS1_11comp_targetILNS1_3genE2ELNS1_11target_archE906ELNS1_3gpuE6ELNS1_3repE0EEENS1_30default_config_static_selectorELNS0_4arch9wavefront6targetE0EEEvT1_
	.p2align	8
	.type	_ZN7rocprim17ROCPRIM_400000_NS6detail17trampoline_kernelINS0_14default_configENS1_27scan_by_key_config_selectorIixEEZZNS1_16scan_by_key_implILNS1_25lookback_scan_determinismE0ELb1ES3_N6thrust23THRUST_200600_302600_NS6detail15normal_iteratorINS9_10device_ptrIiEEEENSB_INSC_IxEEEESG_xNS9_4plusIvEENS9_8equal_toIvEExEE10hipError_tPvRmT2_T3_T4_T5_mT6_T7_P12ihipStream_tbENKUlT_T0_E_clISt17integral_constantIbLb0EES10_IbLb1EEEEDaSW_SX_EUlSW_E_NS1_11comp_targetILNS1_3genE2ELNS1_11target_archE906ELNS1_3gpuE6ELNS1_3repE0EEENS1_30default_config_static_selectorELNS0_4arch9wavefront6targetE0EEEvT1_,@function
_ZN7rocprim17ROCPRIM_400000_NS6detail17trampoline_kernelINS0_14default_configENS1_27scan_by_key_config_selectorIixEEZZNS1_16scan_by_key_implILNS1_25lookback_scan_determinismE0ELb1ES3_N6thrust23THRUST_200600_302600_NS6detail15normal_iteratorINS9_10device_ptrIiEEEENSB_INSC_IxEEEESG_xNS9_4plusIvEENS9_8equal_toIvEExEE10hipError_tPvRmT2_T3_T4_T5_mT6_T7_P12ihipStream_tbENKUlT_T0_E_clISt17integral_constantIbLb0EES10_IbLb1EEEEDaSW_SX_EUlSW_E_NS1_11comp_targetILNS1_3genE2ELNS1_11target_archE906ELNS1_3gpuE6ELNS1_3repE0EEENS1_30default_config_static_selectorELNS0_4arch9wavefront6targetE0EEEvT1_: ; @_ZN7rocprim17ROCPRIM_400000_NS6detail17trampoline_kernelINS0_14default_configENS1_27scan_by_key_config_selectorIixEEZZNS1_16scan_by_key_implILNS1_25lookback_scan_determinismE0ELb1ES3_N6thrust23THRUST_200600_302600_NS6detail15normal_iteratorINS9_10device_ptrIiEEEENSB_INSC_IxEEEESG_xNS9_4plusIvEENS9_8equal_toIvEExEE10hipError_tPvRmT2_T3_T4_T5_mT6_T7_P12ihipStream_tbENKUlT_T0_E_clISt17integral_constantIbLb0EES10_IbLb1EEEEDaSW_SX_EUlSW_E_NS1_11comp_targetILNS1_3genE2ELNS1_11target_archE906ELNS1_3gpuE6ELNS1_3repE0EEENS1_30default_config_static_selectorELNS0_4arch9wavefront6targetE0EEEvT1_
; %bb.0:
	.section	.rodata,"a",@progbits
	.p2align	6, 0x0
	.amdhsa_kernel _ZN7rocprim17ROCPRIM_400000_NS6detail17trampoline_kernelINS0_14default_configENS1_27scan_by_key_config_selectorIixEEZZNS1_16scan_by_key_implILNS1_25lookback_scan_determinismE0ELb1ES3_N6thrust23THRUST_200600_302600_NS6detail15normal_iteratorINS9_10device_ptrIiEEEENSB_INSC_IxEEEESG_xNS9_4plusIvEENS9_8equal_toIvEExEE10hipError_tPvRmT2_T3_T4_T5_mT6_T7_P12ihipStream_tbENKUlT_T0_E_clISt17integral_constantIbLb0EES10_IbLb1EEEEDaSW_SX_EUlSW_E_NS1_11comp_targetILNS1_3genE2ELNS1_11target_archE906ELNS1_3gpuE6ELNS1_3repE0EEENS1_30default_config_static_selectorELNS0_4arch9wavefront6targetE0EEEvT1_
		.amdhsa_group_segment_fixed_size 0
		.amdhsa_private_segment_fixed_size 0
		.amdhsa_kernarg_size 136
		.amdhsa_user_sgpr_count 2
		.amdhsa_user_sgpr_dispatch_ptr 0
		.amdhsa_user_sgpr_queue_ptr 0
		.amdhsa_user_sgpr_kernarg_segment_ptr 1
		.amdhsa_user_sgpr_dispatch_id 0
		.amdhsa_user_sgpr_kernarg_preload_length 0
		.amdhsa_user_sgpr_kernarg_preload_offset 0
		.amdhsa_user_sgpr_private_segment_size 0
		.amdhsa_wavefront_size32 1
		.amdhsa_uses_dynamic_stack 0
		.amdhsa_enable_private_segment 0
		.amdhsa_system_sgpr_workgroup_id_x 1
		.amdhsa_system_sgpr_workgroup_id_y 0
		.amdhsa_system_sgpr_workgroup_id_z 0
		.amdhsa_system_sgpr_workgroup_info 0
		.amdhsa_system_vgpr_workitem_id 0
		.amdhsa_next_free_vgpr 1
		.amdhsa_next_free_sgpr 1
		.amdhsa_named_barrier_count 0
		.amdhsa_reserve_vcc 0
		.amdhsa_float_round_mode_32 0
		.amdhsa_float_round_mode_16_64 0
		.amdhsa_float_denorm_mode_32 3
		.amdhsa_float_denorm_mode_16_64 3
		.amdhsa_fp16_overflow 0
		.amdhsa_memory_ordered 1
		.amdhsa_forward_progress 1
		.amdhsa_inst_pref_size 0
		.amdhsa_round_robin_scheduling 0
		.amdhsa_exception_fp_ieee_invalid_op 0
		.amdhsa_exception_fp_denorm_src 0
		.amdhsa_exception_fp_ieee_div_zero 0
		.amdhsa_exception_fp_ieee_overflow 0
		.amdhsa_exception_fp_ieee_underflow 0
		.amdhsa_exception_fp_ieee_inexact 0
		.amdhsa_exception_int_div_zero 0
	.end_amdhsa_kernel
	.section	.text._ZN7rocprim17ROCPRIM_400000_NS6detail17trampoline_kernelINS0_14default_configENS1_27scan_by_key_config_selectorIixEEZZNS1_16scan_by_key_implILNS1_25lookback_scan_determinismE0ELb1ES3_N6thrust23THRUST_200600_302600_NS6detail15normal_iteratorINS9_10device_ptrIiEEEENSB_INSC_IxEEEESG_xNS9_4plusIvEENS9_8equal_toIvEExEE10hipError_tPvRmT2_T3_T4_T5_mT6_T7_P12ihipStream_tbENKUlT_T0_E_clISt17integral_constantIbLb0EES10_IbLb1EEEEDaSW_SX_EUlSW_E_NS1_11comp_targetILNS1_3genE2ELNS1_11target_archE906ELNS1_3gpuE6ELNS1_3repE0EEENS1_30default_config_static_selectorELNS0_4arch9wavefront6targetE0EEEvT1_,"axG",@progbits,_ZN7rocprim17ROCPRIM_400000_NS6detail17trampoline_kernelINS0_14default_configENS1_27scan_by_key_config_selectorIixEEZZNS1_16scan_by_key_implILNS1_25lookback_scan_determinismE0ELb1ES3_N6thrust23THRUST_200600_302600_NS6detail15normal_iteratorINS9_10device_ptrIiEEEENSB_INSC_IxEEEESG_xNS9_4plusIvEENS9_8equal_toIvEExEE10hipError_tPvRmT2_T3_T4_T5_mT6_T7_P12ihipStream_tbENKUlT_T0_E_clISt17integral_constantIbLb0EES10_IbLb1EEEEDaSW_SX_EUlSW_E_NS1_11comp_targetILNS1_3genE2ELNS1_11target_archE906ELNS1_3gpuE6ELNS1_3repE0EEENS1_30default_config_static_selectorELNS0_4arch9wavefront6targetE0EEEvT1_,comdat
.Lfunc_end1603:
	.size	_ZN7rocprim17ROCPRIM_400000_NS6detail17trampoline_kernelINS0_14default_configENS1_27scan_by_key_config_selectorIixEEZZNS1_16scan_by_key_implILNS1_25lookback_scan_determinismE0ELb1ES3_N6thrust23THRUST_200600_302600_NS6detail15normal_iteratorINS9_10device_ptrIiEEEENSB_INSC_IxEEEESG_xNS9_4plusIvEENS9_8equal_toIvEExEE10hipError_tPvRmT2_T3_T4_T5_mT6_T7_P12ihipStream_tbENKUlT_T0_E_clISt17integral_constantIbLb0EES10_IbLb1EEEEDaSW_SX_EUlSW_E_NS1_11comp_targetILNS1_3genE2ELNS1_11target_archE906ELNS1_3gpuE6ELNS1_3repE0EEENS1_30default_config_static_selectorELNS0_4arch9wavefront6targetE0EEEvT1_, .Lfunc_end1603-_ZN7rocprim17ROCPRIM_400000_NS6detail17trampoline_kernelINS0_14default_configENS1_27scan_by_key_config_selectorIixEEZZNS1_16scan_by_key_implILNS1_25lookback_scan_determinismE0ELb1ES3_N6thrust23THRUST_200600_302600_NS6detail15normal_iteratorINS9_10device_ptrIiEEEENSB_INSC_IxEEEESG_xNS9_4plusIvEENS9_8equal_toIvEExEE10hipError_tPvRmT2_T3_T4_T5_mT6_T7_P12ihipStream_tbENKUlT_T0_E_clISt17integral_constantIbLb0EES10_IbLb1EEEEDaSW_SX_EUlSW_E_NS1_11comp_targetILNS1_3genE2ELNS1_11target_archE906ELNS1_3gpuE6ELNS1_3repE0EEENS1_30default_config_static_selectorELNS0_4arch9wavefront6targetE0EEEvT1_
                                        ; -- End function
	.set _ZN7rocprim17ROCPRIM_400000_NS6detail17trampoline_kernelINS0_14default_configENS1_27scan_by_key_config_selectorIixEEZZNS1_16scan_by_key_implILNS1_25lookback_scan_determinismE0ELb1ES3_N6thrust23THRUST_200600_302600_NS6detail15normal_iteratorINS9_10device_ptrIiEEEENSB_INSC_IxEEEESG_xNS9_4plusIvEENS9_8equal_toIvEExEE10hipError_tPvRmT2_T3_T4_T5_mT6_T7_P12ihipStream_tbENKUlT_T0_E_clISt17integral_constantIbLb0EES10_IbLb1EEEEDaSW_SX_EUlSW_E_NS1_11comp_targetILNS1_3genE2ELNS1_11target_archE906ELNS1_3gpuE6ELNS1_3repE0EEENS1_30default_config_static_selectorELNS0_4arch9wavefront6targetE0EEEvT1_.num_vgpr, 0
	.set _ZN7rocprim17ROCPRIM_400000_NS6detail17trampoline_kernelINS0_14default_configENS1_27scan_by_key_config_selectorIixEEZZNS1_16scan_by_key_implILNS1_25lookback_scan_determinismE0ELb1ES3_N6thrust23THRUST_200600_302600_NS6detail15normal_iteratorINS9_10device_ptrIiEEEENSB_INSC_IxEEEESG_xNS9_4plusIvEENS9_8equal_toIvEExEE10hipError_tPvRmT2_T3_T4_T5_mT6_T7_P12ihipStream_tbENKUlT_T0_E_clISt17integral_constantIbLb0EES10_IbLb1EEEEDaSW_SX_EUlSW_E_NS1_11comp_targetILNS1_3genE2ELNS1_11target_archE906ELNS1_3gpuE6ELNS1_3repE0EEENS1_30default_config_static_selectorELNS0_4arch9wavefront6targetE0EEEvT1_.num_agpr, 0
	.set _ZN7rocprim17ROCPRIM_400000_NS6detail17trampoline_kernelINS0_14default_configENS1_27scan_by_key_config_selectorIixEEZZNS1_16scan_by_key_implILNS1_25lookback_scan_determinismE0ELb1ES3_N6thrust23THRUST_200600_302600_NS6detail15normal_iteratorINS9_10device_ptrIiEEEENSB_INSC_IxEEEESG_xNS9_4plusIvEENS9_8equal_toIvEExEE10hipError_tPvRmT2_T3_T4_T5_mT6_T7_P12ihipStream_tbENKUlT_T0_E_clISt17integral_constantIbLb0EES10_IbLb1EEEEDaSW_SX_EUlSW_E_NS1_11comp_targetILNS1_3genE2ELNS1_11target_archE906ELNS1_3gpuE6ELNS1_3repE0EEENS1_30default_config_static_selectorELNS0_4arch9wavefront6targetE0EEEvT1_.numbered_sgpr, 0
	.set _ZN7rocprim17ROCPRIM_400000_NS6detail17trampoline_kernelINS0_14default_configENS1_27scan_by_key_config_selectorIixEEZZNS1_16scan_by_key_implILNS1_25lookback_scan_determinismE0ELb1ES3_N6thrust23THRUST_200600_302600_NS6detail15normal_iteratorINS9_10device_ptrIiEEEENSB_INSC_IxEEEESG_xNS9_4plusIvEENS9_8equal_toIvEExEE10hipError_tPvRmT2_T3_T4_T5_mT6_T7_P12ihipStream_tbENKUlT_T0_E_clISt17integral_constantIbLb0EES10_IbLb1EEEEDaSW_SX_EUlSW_E_NS1_11comp_targetILNS1_3genE2ELNS1_11target_archE906ELNS1_3gpuE6ELNS1_3repE0EEENS1_30default_config_static_selectorELNS0_4arch9wavefront6targetE0EEEvT1_.num_named_barrier, 0
	.set _ZN7rocprim17ROCPRIM_400000_NS6detail17trampoline_kernelINS0_14default_configENS1_27scan_by_key_config_selectorIixEEZZNS1_16scan_by_key_implILNS1_25lookback_scan_determinismE0ELb1ES3_N6thrust23THRUST_200600_302600_NS6detail15normal_iteratorINS9_10device_ptrIiEEEENSB_INSC_IxEEEESG_xNS9_4plusIvEENS9_8equal_toIvEExEE10hipError_tPvRmT2_T3_T4_T5_mT6_T7_P12ihipStream_tbENKUlT_T0_E_clISt17integral_constantIbLb0EES10_IbLb1EEEEDaSW_SX_EUlSW_E_NS1_11comp_targetILNS1_3genE2ELNS1_11target_archE906ELNS1_3gpuE6ELNS1_3repE0EEENS1_30default_config_static_selectorELNS0_4arch9wavefront6targetE0EEEvT1_.private_seg_size, 0
	.set _ZN7rocprim17ROCPRIM_400000_NS6detail17trampoline_kernelINS0_14default_configENS1_27scan_by_key_config_selectorIixEEZZNS1_16scan_by_key_implILNS1_25lookback_scan_determinismE0ELb1ES3_N6thrust23THRUST_200600_302600_NS6detail15normal_iteratorINS9_10device_ptrIiEEEENSB_INSC_IxEEEESG_xNS9_4plusIvEENS9_8equal_toIvEExEE10hipError_tPvRmT2_T3_T4_T5_mT6_T7_P12ihipStream_tbENKUlT_T0_E_clISt17integral_constantIbLb0EES10_IbLb1EEEEDaSW_SX_EUlSW_E_NS1_11comp_targetILNS1_3genE2ELNS1_11target_archE906ELNS1_3gpuE6ELNS1_3repE0EEENS1_30default_config_static_selectorELNS0_4arch9wavefront6targetE0EEEvT1_.uses_vcc, 0
	.set _ZN7rocprim17ROCPRIM_400000_NS6detail17trampoline_kernelINS0_14default_configENS1_27scan_by_key_config_selectorIixEEZZNS1_16scan_by_key_implILNS1_25lookback_scan_determinismE0ELb1ES3_N6thrust23THRUST_200600_302600_NS6detail15normal_iteratorINS9_10device_ptrIiEEEENSB_INSC_IxEEEESG_xNS9_4plusIvEENS9_8equal_toIvEExEE10hipError_tPvRmT2_T3_T4_T5_mT6_T7_P12ihipStream_tbENKUlT_T0_E_clISt17integral_constantIbLb0EES10_IbLb1EEEEDaSW_SX_EUlSW_E_NS1_11comp_targetILNS1_3genE2ELNS1_11target_archE906ELNS1_3gpuE6ELNS1_3repE0EEENS1_30default_config_static_selectorELNS0_4arch9wavefront6targetE0EEEvT1_.uses_flat_scratch, 0
	.set _ZN7rocprim17ROCPRIM_400000_NS6detail17trampoline_kernelINS0_14default_configENS1_27scan_by_key_config_selectorIixEEZZNS1_16scan_by_key_implILNS1_25lookback_scan_determinismE0ELb1ES3_N6thrust23THRUST_200600_302600_NS6detail15normal_iteratorINS9_10device_ptrIiEEEENSB_INSC_IxEEEESG_xNS9_4plusIvEENS9_8equal_toIvEExEE10hipError_tPvRmT2_T3_T4_T5_mT6_T7_P12ihipStream_tbENKUlT_T0_E_clISt17integral_constantIbLb0EES10_IbLb1EEEEDaSW_SX_EUlSW_E_NS1_11comp_targetILNS1_3genE2ELNS1_11target_archE906ELNS1_3gpuE6ELNS1_3repE0EEENS1_30default_config_static_selectorELNS0_4arch9wavefront6targetE0EEEvT1_.has_dyn_sized_stack, 0
	.set _ZN7rocprim17ROCPRIM_400000_NS6detail17trampoline_kernelINS0_14default_configENS1_27scan_by_key_config_selectorIixEEZZNS1_16scan_by_key_implILNS1_25lookback_scan_determinismE0ELb1ES3_N6thrust23THRUST_200600_302600_NS6detail15normal_iteratorINS9_10device_ptrIiEEEENSB_INSC_IxEEEESG_xNS9_4plusIvEENS9_8equal_toIvEExEE10hipError_tPvRmT2_T3_T4_T5_mT6_T7_P12ihipStream_tbENKUlT_T0_E_clISt17integral_constantIbLb0EES10_IbLb1EEEEDaSW_SX_EUlSW_E_NS1_11comp_targetILNS1_3genE2ELNS1_11target_archE906ELNS1_3gpuE6ELNS1_3repE0EEENS1_30default_config_static_selectorELNS0_4arch9wavefront6targetE0EEEvT1_.has_recursion, 0
	.set _ZN7rocprim17ROCPRIM_400000_NS6detail17trampoline_kernelINS0_14default_configENS1_27scan_by_key_config_selectorIixEEZZNS1_16scan_by_key_implILNS1_25lookback_scan_determinismE0ELb1ES3_N6thrust23THRUST_200600_302600_NS6detail15normal_iteratorINS9_10device_ptrIiEEEENSB_INSC_IxEEEESG_xNS9_4plusIvEENS9_8equal_toIvEExEE10hipError_tPvRmT2_T3_T4_T5_mT6_T7_P12ihipStream_tbENKUlT_T0_E_clISt17integral_constantIbLb0EES10_IbLb1EEEEDaSW_SX_EUlSW_E_NS1_11comp_targetILNS1_3genE2ELNS1_11target_archE906ELNS1_3gpuE6ELNS1_3repE0EEENS1_30default_config_static_selectorELNS0_4arch9wavefront6targetE0EEEvT1_.has_indirect_call, 0
	.section	.AMDGPU.csdata,"",@progbits
; Kernel info:
; codeLenInByte = 0
; TotalNumSgprs: 0
; NumVgprs: 0
; ScratchSize: 0
; MemoryBound: 0
; FloatMode: 240
; IeeeMode: 1
; LDSByteSize: 0 bytes/workgroup (compile time only)
; SGPRBlocks: 0
; VGPRBlocks: 0
; NumSGPRsForWavesPerEU: 1
; NumVGPRsForWavesPerEU: 1
; NamedBarCnt: 0
; Occupancy: 16
; WaveLimiterHint : 0
; COMPUTE_PGM_RSRC2:SCRATCH_EN: 0
; COMPUTE_PGM_RSRC2:USER_SGPR: 2
; COMPUTE_PGM_RSRC2:TRAP_HANDLER: 0
; COMPUTE_PGM_RSRC2:TGID_X_EN: 1
; COMPUTE_PGM_RSRC2:TGID_Y_EN: 0
; COMPUTE_PGM_RSRC2:TGID_Z_EN: 0
; COMPUTE_PGM_RSRC2:TIDIG_COMP_CNT: 0
	.section	.text._ZN7rocprim17ROCPRIM_400000_NS6detail17trampoline_kernelINS0_14default_configENS1_27scan_by_key_config_selectorIixEEZZNS1_16scan_by_key_implILNS1_25lookback_scan_determinismE0ELb1ES3_N6thrust23THRUST_200600_302600_NS6detail15normal_iteratorINS9_10device_ptrIiEEEENSB_INSC_IxEEEESG_xNS9_4plusIvEENS9_8equal_toIvEExEE10hipError_tPvRmT2_T3_T4_T5_mT6_T7_P12ihipStream_tbENKUlT_T0_E_clISt17integral_constantIbLb0EES10_IbLb1EEEEDaSW_SX_EUlSW_E_NS1_11comp_targetILNS1_3genE10ELNS1_11target_archE1200ELNS1_3gpuE4ELNS1_3repE0EEENS1_30default_config_static_selectorELNS0_4arch9wavefront6targetE0EEEvT1_,"axG",@progbits,_ZN7rocprim17ROCPRIM_400000_NS6detail17trampoline_kernelINS0_14default_configENS1_27scan_by_key_config_selectorIixEEZZNS1_16scan_by_key_implILNS1_25lookback_scan_determinismE0ELb1ES3_N6thrust23THRUST_200600_302600_NS6detail15normal_iteratorINS9_10device_ptrIiEEEENSB_INSC_IxEEEESG_xNS9_4plusIvEENS9_8equal_toIvEExEE10hipError_tPvRmT2_T3_T4_T5_mT6_T7_P12ihipStream_tbENKUlT_T0_E_clISt17integral_constantIbLb0EES10_IbLb1EEEEDaSW_SX_EUlSW_E_NS1_11comp_targetILNS1_3genE10ELNS1_11target_archE1200ELNS1_3gpuE4ELNS1_3repE0EEENS1_30default_config_static_selectorELNS0_4arch9wavefront6targetE0EEEvT1_,comdat
	.protected	_ZN7rocprim17ROCPRIM_400000_NS6detail17trampoline_kernelINS0_14default_configENS1_27scan_by_key_config_selectorIixEEZZNS1_16scan_by_key_implILNS1_25lookback_scan_determinismE0ELb1ES3_N6thrust23THRUST_200600_302600_NS6detail15normal_iteratorINS9_10device_ptrIiEEEENSB_INSC_IxEEEESG_xNS9_4plusIvEENS9_8equal_toIvEExEE10hipError_tPvRmT2_T3_T4_T5_mT6_T7_P12ihipStream_tbENKUlT_T0_E_clISt17integral_constantIbLb0EES10_IbLb1EEEEDaSW_SX_EUlSW_E_NS1_11comp_targetILNS1_3genE10ELNS1_11target_archE1200ELNS1_3gpuE4ELNS1_3repE0EEENS1_30default_config_static_selectorELNS0_4arch9wavefront6targetE0EEEvT1_ ; -- Begin function _ZN7rocprim17ROCPRIM_400000_NS6detail17trampoline_kernelINS0_14default_configENS1_27scan_by_key_config_selectorIixEEZZNS1_16scan_by_key_implILNS1_25lookback_scan_determinismE0ELb1ES3_N6thrust23THRUST_200600_302600_NS6detail15normal_iteratorINS9_10device_ptrIiEEEENSB_INSC_IxEEEESG_xNS9_4plusIvEENS9_8equal_toIvEExEE10hipError_tPvRmT2_T3_T4_T5_mT6_T7_P12ihipStream_tbENKUlT_T0_E_clISt17integral_constantIbLb0EES10_IbLb1EEEEDaSW_SX_EUlSW_E_NS1_11comp_targetILNS1_3genE10ELNS1_11target_archE1200ELNS1_3gpuE4ELNS1_3repE0EEENS1_30default_config_static_selectorELNS0_4arch9wavefront6targetE0EEEvT1_
	.globl	_ZN7rocprim17ROCPRIM_400000_NS6detail17trampoline_kernelINS0_14default_configENS1_27scan_by_key_config_selectorIixEEZZNS1_16scan_by_key_implILNS1_25lookback_scan_determinismE0ELb1ES3_N6thrust23THRUST_200600_302600_NS6detail15normal_iteratorINS9_10device_ptrIiEEEENSB_INSC_IxEEEESG_xNS9_4plusIvEENS9_8equal_toIvEExEE10hipError_tPvRmT2_T3_T4_T5_mT6_T7_P12ihipStream_tbENKUlT_T0_E_clISt17integral_constantIbLb0EES10_IbLb1EEEEDaSW_SX_EUlSW_E_NS1_11comp_targetILNS1_3genE10ELNS1_11target_archE1200ELNS1_3gpuE4ELNS1_3repE0EEENS1_30default_config_static_selectorELNS0_4arch9wavefront6targetE0EEEvT1_
	.p2align	8
	.type	_ZN7rocprim17ROCPRIM_400000_NS6detail17trampoline_kernelINS0_14default_configENS1_27scan_by_key_config_selectorIixEEZZNS1_16scan_by_key_implILNS1_25lookback_scan_determinismE0ELb1ES3_N6thrust23THRUST_200600_302600_NS6detail15normal_iteratorINS9_10device_ptrIiEEEENSB_INSC_IxEEEESG_xNS9_4plusIvEENS9_8equal_toIvEExEE10hipError_tPvRmT2_T3_T4_T5_mT6_T7_P12ihipStream_tbENKUlT_T0_E_clISt17integral_constantIbLb0EES10_IbLb1EEEEDaSW_SX_EUlSW_E_NS1_11comp_targetILNS1_3genE10ELNS1_11target_archE1200ELNS1_3gpuE4ELNS1_3repE0EEENS1_30default_config_static_selectorELNS0_4arch9wavefront6targetE0EEEvT1_,@function
_ZN7rocprim17ROCPRIM_400000_NS6detail17trampoline_kernelINS0_14default_configENS1_27scan_by_key_config_selectorIixEEZZNS1_16scan_by_key_implILNS1_25lookback_scan_determinismE0ELb1ES3_N6thrust23THRUST_200600_302600_NS6detail15normal_iteratorINS9_10device_ptrIiEEEENSB_INSC_IxEEEESG_xNS9_4plusIvEENS9_8equal_toIvEExEE10hipError_tPvRmT2_T3_T4_T5_mT6_T7_P12ihipStream_tbENKUlT_T0_E_clISt17integral_constantIbLb0EES10_IbLb1EEEEDaSW_SX_EUlSW_E_NS1_11comp_targetILNS1_3genE10ELNS1_11target_archE1200ELNS1_3gpuE4ELNS1_3repE0EEENS1_30default_config_static_selectorELNS0_4arch9wavefront6targetE0EEEvT1_: ; @_ZN7rocprim17ROCPRIM_400000_NS6detail17trampoline_kernelINS0_14default_configENS1_27scan_by_key_config_selectorIixEEZZNS1_16scan_by_key_implILNS1_25lookback_scan_determinismE0ELb1ES3_N6thrust23THRUST_200600_302600_NS6detail15normal_iteratorINS9_10device_ptrIiEEEENSB_INSC_IxEEEESG_xNS9_4plusIvEENS9_8equal_toIvEExEE10hipError_tPvRmT2_T3_T4_T5_mT6_T7_P12ihipStream_tbENKUlT_T0_E_clISt17integral_constantIbLb0EES10_IbLb1EEEEDaSW_SX_EUlSW_E_NS1_11comp_targetILNS1_3genE10ELNS1_11target_archE1200ELNS1_3gpuE4ELNS1_3repE0EEENS1_30default_config_static_selectorELNS0_4arch9wavefront6targetE0EEEvT1_
; %bb.0:
	.section	.rodata,"a",@progbits
	.p2align	6, 0x0
	.amdhsa_kernel _ZN7rocprim17ROCPRIM_400000_NS6detail17trampoline_kernelINS0_14default_configENS1_27scan_by_key_config_selectorIixEEZZNS1_16scan_by_key_implILNS1_25lookback_scan_determinismE0ELb1ES3_N6thrust23THRUST_200600_302600_NS6detail15normal_iteratorINS9_10device_ptrIiEEEENSB_INSC_IxEEEESG_xNS9_4plusIvEENS9_8equal_toIvEExEE10hipError_tPvRmT2_T3_T4_T5_mT6_T7_P12ihipStream_tbENKUlT_T0_E_clISt17integral_constantIbLb0EES10_IbLb1EEEEDaSW_SX_EUlSW_E_NS1_11comp_targetILNS1_3genE10ELNS1_11target_archE1200ELNS1_3gpuE4ELNS1_3repE0EEENS1_30default_config_static_selectorELNS0_4arch9wavefront6targetE0EEEvT1_
		.amdhsa_group_segment_fixed_size 0
		.amdhsa_private_segment_fixed_size 0
		.amdhsa_kernarg_size 136
		.amdhsa_user_sgpr_count 2
		.amdhsa_user_sgpr_dispatch_ptr 0
		.amdhsa_user_sgpr_queue_ptr 0
		.amdhsa_user_sgpr_kernarg_segment_ptr 1
		.amdhsa_user_sgpr_dispatch_id 0
		.amdhsa_user_sgpr_kernarg_preload_length 0
		.amdhsa_user_sgpr_kernarg_preload_offset 0
		.amdhsa_user_sgpr_private_segment_size 0
		.amdhsa_wavefront_size32 1
		.amdhsa_uses_dynamic_stack 0
		.amdhsa_enable_private_segment 0
		.amdhsa_system_sgpr_workgroup_id_x 1
		.amdhsa_system_sgpr_workgroup_id_y 0
		.amdhsa_system_sgpr_workgroup_id_z 0
		.amdhsa_system_sgpr_workgroup_info 0
		.amdhsa_system_vgpr_workitem_id 0
		.amdhsa_next_free_vgpr 1
		.amdhsa_next_free_sgpr 1
		.amdhsa_named_barrier_count 0
		.amdhsa_reserve_vcc 0
		.amdhsa_float_round_mode_32 0
		.amdhsa_float_round_mode_16_64 0
		.amdhsa_float_denorm_mode_32 3
		.amdhsa_float_denorm_mode_16_64 3
		.amdhsa_fp16_overflow 0
		.amdhsa_memory_ordered 1
		.amdhsa_forward_progress 1
		.amdhsa_inst_pref_size 0
		.amdhsa_round_robin_scheduling 0
		.amdhsa_exception_fp_ieee_invalid_op 0
		.amdhsa_exception_fp_denorm_src 0
		.amdhsa_exception_fp_ieee_div_zero 0
		.amdhsa_exception_fp_ieee_overflow 0
		.amdhsa_exception_fp_ieee_underflow 0
		.amdhsa_exception_fp_ieee_inexact 0
		.amdhsa_exception_int_div_zero 0
	.end_amdhsa_kernel
	.section	.text._ZN7rocprim17ROCPRIM_400000_NS6detail17trampoline_kernelINS0_14default_configENS1_27scan_by_key_config_selectorIixEEZZNS1_16scan_by_key_implILNS1_25lookback_scan_determinismE0ELb1ES3_N6thrust23THRUST_200600_302600_NS6detail15normal_iteratorINS9_10device_ptrIiEEEENSB_INSC_IxEEEESG_xNS9_4plusIvEENS9_8equal_toIvEExEE10hipError_tPvRmT2_T3_T4_T5_mT6_T7_P12ihipStream_tbENKUlT_T0_E_clISt17integral_constantIbLb0EES10_IbLb1EEEEDaSW_SX_EUlSW_E_NS1_11comp_targetILNS1_3genE10ELNS1_11target_archE1200ELNS1_3gpuE4ELNS1_3repE0EEENS1_30default_config_static_selectorELNS0_4arch9wavefront6targetE0EEEvT1_,"axG",@progbits,_ZN7rocprim17ROCPRIM_400000_NS6detail17trampoline_kernelINS0_14default_configENS1_27scan_by_key_config_selectorIixEEZZNS1_16scan_by_key_implILNS1_25lookback_scan_determinismE0ELb1ES3_N6thrust23THRUST_200600_302600_NS6detail15normal_iteratorINS9_10device_ptrIiEEEENSB_INSC_IxEEEESG_xNS9_4plusIvEENS9_8equal_toIvEExEE10hipError_tPvRmT2_T3_T4_T5_mT6_T7_P12ihipStream_tbENKUlT_T0_E_clISt17integral_constantIbLb0EES10_IbLb1EEEEDaSW_SX_EUlSW_E_NS1_11comp_targetILNS1_3genE10ELNS1_11target_archE1200ELNS1_3gpuE4ELNS1_3repE0EEENS1_30default_config_static_selectorELNS0_4arch9wavefront6targetE0EEEvT1_,comdat
.Lfunc_end1604:
	.size	_ZN7rocprim17ROCPRIM_400000_NS6detail17trampoline_kernelINS0_14default_configENS1_27scan_by_key_config_selectorIixEEZZNS1_16scan_by_key_implILNS1_25lookback_scan_determinismE0ELb1ES3_N6thrust23THRUST_200600_302600_NS6detail15normal_iteratorINS9_10device_ptrIiEEEENSB_INSC_IxEEEESG_xNS9_4plusIvEENS9_8equal_toIvEExEE10hipError_tPvRmT2_T3_T4_T5_mT6_T7_P12ihipStream_tbENKUlT_T0_E_clISt17integral_constantIbLb0EES10_IbLb1EEEEDaSW_SX_EUlSW_E_NS1_11comp_targetILNS1_3genE10ELNS1_11target_archE1200ELNS1_3gpuE4ELNS1_3repE0EEENS1_30default_config_static_selectorELNS0_4arch9wavefront6targetE0EEEvT1_, .Lfunc_end1604-_ZN7rocprim17ROCPRIM_400000_NS6detail17trampoline_kernelINS0_14default_configENS1_27scan_by_key_config_selectorIixEEZZNS1_16scan_by_key_implILNS1_25lookback_scan_determinismE0ELb1ES3_N6thrust23THRUST_200600_302600_NS6detail15normal_iteratorINS9_10device_ptrIiEEEENSB_INSC_IxEEEESG_xNS9_4plusIvEENS9_8equal_toIvEExEE10hipError_tPvRmT2_T3_T4_T5_mT6_T7_P12ihipStream_tbENKUlT_T0_E_clISt17integral_constantIbLb0EES10_IbLb1EEEEDaSW_SX_EUlSW_E_NS1_11comp_targetILNS1_3genE10ELNS1_11target_archE1200ELNS1_3gpuE4ELNS1_3repE0EEENS1_30default_config_static_selectorELNS0_4arch9wavefront6targetE0EEEvT1_
                                        ; -- End function
	.set _ZN7rocprim17ROCPRIM_400000_NS6detail17trampoline_kernelINS0_14default_configENS1_27scan_by_key_config_selectorIixEEZZNS1_16scan_by_key_implILNS1_25lookback_scan_determinismE0ELb1ES3_N6thrust23THRUST_200600_302600_NS6detail15normal_iteratorINS9_10device_ptrIiEEEENSB_INSC_IxEEEESG_xNS9_4plusIvEENS9_8equal_toIvEExEE10hipError_tPvRmT2_T3_T4_T5_mT6_T7_P12ihipStream_tbENKUlT_T0_E_clISt17integral_constantIbLb0EES10_IbLb1EEEEDaSW_SX_EUlSW_E_NS1_11comp_targetILNS1_3genE10ELNS1_11target_archE1200ELNS1_3gpuE4ELNS1_3repE0EEENS1_30default_config_static_selectorELNS0_4arch9wavefront6targetE0EEEvT1_.num_vgpr, 0
	.set _ZN7rocprim17ROCPRIM_400000_NS6detail17trampoline_kernelINS0_14default_configENS1_27scan_by_key_config_selectorIixEEZZNS1_16scan_by_key_implILNS1_25lookback_scan_determinismE0ELb1ES3_N6thrust23THRUST_200600_302600_NS6detail15normal_iteratorINS9_10device_ptrIiEEEENSB_INSC_IxEEEESG_xNS9_4plusIvEENS9_8equal_toIvEExEE10hipError_tPvRmT2_T3_T4_T5_mT6_T7_P12ihipStream_tbENKUlT_T0_E_clISt17integral_constantIbLb0EES10_IbLb1EEEEDaSW_SX_EUlSW_E_NS1_11comp_targetILNS1_3genE10ELNS1_11target_archE1200ELNS1_3gpuE4ELNS1_3repE0EEENS1_30default_config_static_selectorELNS0_4arch9wavefront6targetE0EEEvT1_.num_agpr, 0
	.set _ZN7rocprim17ROCPRIM_400000_NS6detail17trampoline_kernelINS0_14default_configENS1_27scan_by_key_config_selectorIixEEZZNS1_16scan_by_key_implILNS1_25lookback_scan_determinismE0ELb1ES3_N6thrust23THRUST_200600_302600_NS6detail15normal_iteratorINS9_10device_ptrIiEEEENSB_INSC_IxEEEESG_xNS9_4plusIvEENS9_8equal_toIvEExEE10hipError_tPvRmT2_T3_T4_T5_mT6_T7_P12ihipStream_tbENKUlT_T0_E_clISt17integral_constantIbLb0EES10_IbLb1EEEEDaSW_SX_EUlSW_E_NS1_11comp_targetILNS1_3genE10ELNS1_11target_archE1200ELNS1_3gpuE4ELNS1_3repE0EEENS1_30default_config_static_selectorELNS0_4arch9wavefront6targetE0EEEvT1_.numbered_sgpr, 0
	.set _ZN7rocprim17ROCPRIM_400000_NS6detail17trampoline_kernelINS0_14default_configENS1_27scan_by_key_config_selectorIixEEZZNS1_16scan_by_key_implILNS1_25lookback_scan_determinismE0ELb1ES3_N6thrust23THRUST_200600_302600_NS6detail15normal_iteratorINS9_10device_ptrIiEEEENSB_INSC_IxEEEESG_xNS9_4plusIvEENS9_8equal_toIvEExEE10hipError_tPvRmT2_T3_T4_T5_mT6_T7_P12ihipStream_tbENKUlT_T0_E_clISt17integral_constantIbLb0EES10_IbLb1EEEEDaSW_SX_EUlSW_E_NS1_11comp_targetILNS1_3genE10ELNS1_11target_archE1200ELNS1_3gpuE4ELNS1_3repE0EEENS1_30default_config_static_selectorELNS0_4arch9wavefront6targetE0EEEvT1_.num_named_barrier, 0
	.set _ZN7rocprim17ROCPRIM_400000_NS6detail17trampoline_kernelINS0_14default_configENS1_27scan_by_key_config_selectorIixEEZZNS1_16scan_by_key_implILNS1_25lookback_scan_determinismE0ELb1ES3_N6thrust23THRUST_200600_302600_NS6detail15normal_iteratorINS9_10device_ptrIiEEEENSB_INSC_IxEEEESG_xNS9_4plusIvEENS9_8equal_toIvEExEE10hipError_tPvRmT2_T3_T4_T5_mT6_T7_P12ihipStream_tbENKUlT_T0_E_clISt17integral_constantIbLb0EES10_IbLb1EEEEDaSW_SX_EUlSW_E_NS1_11comp_targetILNS1_3genE10ELNS1_11target_archE1200ELNS1_3gpuE4ELNS1_3repE0EEENS1_30default_config_static_selectorELNS0_4arch9wavefront6targetE0EEEvT1_.private_seg_size, 0
	.set _ZN7rocprim17ROCPRIM_400000_NS6detail17trampoline_kernelINS0_14default_configENS1_27scan_by_key_config_selectorIixEEZZNS1_16scan_by_key_implILNS1_25lookback_scan_determinismE0ELb1ES3_N6thrust23THRUST_200600_302600_NS6detail15normal_iteratorINS9_10device_ptrIiEEEENSB_INSC_IxEEEESG_xNS9_4plusIvEENS9_8equal_toIvEExEE10hipError_tPvRmT2_T3_T4_T5_mT6_T7_P12ihipStream_tbENKUlT_T0_E_clISt17integral_constantIbLb0EES10_IbLb1EEEEDaSW_SX_EUlSW_E_NS1_11comp_targetILNS1_3genE10ELNS1_11target_archE1200ELNS1_3gpuE4ELNS1_3repE0EEENS1_30default_config_static_selectorELNS0_4arch9wavefront6targetE0EEEvT1_.uses_vcc, 0
	.set _ZN7rocprim17ROCPRIM_400000_NS6detail17trampoline_kernelINS0_14default_configENS1_27scan_by_key_config_selectorIixEEZZNS1_16scan_by_key_implILNS1_25lookback_scan_determinismE0ELb1ES3_N6thrust23THRUST_200600_302600_NS6detail15normal_iteratorINS9_10device_ptrIiEEEENSB_INSC_IxEEEESG_xNS9_4plusIvEENS9_8equal_toIvEExEE10hipError_tPvRmT2_T3_T4_T5_mT6_T7_P12ihipStream_tbENKUlT_T0_E_clISt17integral_constantIbLb0EES10_IbLb1EEEEDaSW_SX_EUlSW_E_NS1_11comp_targetILNS1_3genE10ELNS1_11target_archE1200ELNS1_3gpuE4ELNS1_3repE0EEENS1_30default_config_static_selectorELNS0_4arch9wavefront6targetE0EEEvT1_.uses_flat_scratch, 0
	.set _ZN7rocprim17ROCPRIM_400000_NS6detail17trampoline_kernelINS0_14default_configENS1_27scan_by_key_config_selectorIixEEZZNS1_16scan_by_key_implILNS1_25lookback_scan_determinismE0ELb1ES3_N6thrust23THRUST_200600_302600_NS6detail15normal_iteratorINS9_10device_ptrIiEEEENSB_INSC_IxEEEESG_xNS9_4plusIvEENS9_8equal_toIvEExEE10hipError_tPvRmT2_T3_T4_T5_mT6_T7_P12ihipStream_tbENKUlT_T0_E_clISt17integral_constantIbLb0EES10_IbLb1EEEEDaSW_SX_EUlSW_E_NS1_11comp_targetILNS1_3genE10ELNS1_11target_archE1200ELNS1_3gpuE4ELNS1_3repE0EEENS1_30default_config_static_selectorELNS0_4arch9wavefront6targetE0EEEvT1_.has_dyn_sized_stack, 0
	.set _ZN7rocprim17ROCPRIM_400000_NS6detail17trampoline_kernelINS0_14default_configENS1_27scan_by_key_config_selectorIixEEZZNS1_16scan_by_key_implILNS1_25lookback_scan_determinismE0ELb1ES3_N6thrust23THRUST_200600_302600_NS6detail15normal_iteratorINS9_10device_ptrIiEEEENSB_INSC_IxEEEESG_xNS9_4plusIvEENS9_8equal_toIvEExEE10hipError_tPvRmT2_T3_T4_T5_mT6_T7_P12ihipStream_tbENKUlT_T0_E_clISt17integral_constantIbLb0EES10_IbLb1EEEEDaSW_SX_EUlSW_E_NS1_11comp_targetILNS1_3genE10ELNS1_11target_archE1200ELNS1_3gpuE4ELNS1_3repE0EEENS1_30default_config_static_selectorELNS0_4arch9wavefront6targetE0EEEvT1_.has_recursion, 0
	.set _ZN7rocprim17ROCPRIM_400000_NS6detail17trampoline_kernelINS0_14default_configENS1_27scan_by_key_config_selectorIixEEZZNS1_16scan_by_key_implILNS1_25lookback_scan_determinismE0ELb1ES3_N6thrust23THRUST_200600_302600_NS6detail15normal_iteratorINS9_10device_ptrIiEEEENSB_INSC_IxEEEESG_xNS9_4plusIvEENS9_8equal_toIvEExEE10hipError_tPvRmT2_T3_T4_T5_mT6_T7_P12ihipStream_tbENKUlT_T0_E_clISt17integral_constantIbLb0EES10_IbLb1EEEEDaSW_SX_EUlSW_E_NS1_11comp_targetILNS1_3genE10ELNS1_11target_archE1200ELNS1_3gpuE4ELNS1_3repE0EEENS1_30default_config_static_selectorELNS0_4arch9wavefront6targetE0EEEvT1_.has_indirect_call, 0
	.section	.AMDGPU.csdata,"",@progbits
; Kernel info:
; codeLenInByte = 0
; TotalNumSgprs: 0
; NumVgprs: 0
; ScratchSize: 0
; MemoryBound: 0
; FloatMode: 240
; IeeeMode: 1
; LDSByteSize: 0 bytes/workgroup (compile time only)
; SGPRBlocks: 0
; VGPRBlocks: 0
; NumSGPRsForWavesPerEU: 1
; NumVGPRsForWavesPerEU: 1
; NamedBarCnt: 0
; Occupancy: 16
; WaveLimiterHint : 0
; COMPUTE_PGM_RSRC2:SCRATCH_EN: 0
; COMPUTE_PGM_RSRC2:USER_SGPR: 2
; COMPUTE_PGM_RSRC2:TRAP_HANDLER: 0
; COMPUTE_PGM_RSRC2:TGID_X_EN: 1
; COMPUTE_PGM_RSRC2:TGID_Y_EN: 0
; COMPUTE_PGM_RSRC2:TGID_Z_EN: 0
; COMPUTE_PGM_RSRC2:TIDIG_COMP_CNT: 0
	.section	.text._ZN7rocprim17ROCPRIM_400000_NS6detail17trampoline_kernelINS0_14default_configENS1_27scan_by_key_config_selectorIixEEZZNS1_16scan_by_key_implILNS1_25lookback_scan_determinismE0ELb1ES3_N6thrust23THRUST_200600_302600_NS6detail15normal_iteratorINS9_10device_ptrIiEEEENSB_INSC_IxEEEESG_xNS9_4plusIvEENS9_8equal_toIvEExEE10hipError_tPvRmT2_T3_T4_T5_mT6_T7_P12ihipStream_tbENKUlT_T0_E_clISt17integral_constantIbLb0EES10_IbLb1EEEEDaSW_SX_EUlSW_E_NS1_11comp_targetILNS1_3genE9ELNS1_11target_archE1100ELNS1_3gpuE3ELNS1_3repE0EEENS1_30default_config_static_selectorELNS0_4arch9wavefront6targetE0EEEvT1_,"axG",@progbits,_ZN7rocprim17ROCPRIM_400000_NS6detail17trampoline_kernelINS0_14default_configENS1_27scan_by_key_config_selectorIixEEZZNS1_16scan_by_key_implILNS1_25lookback_scan_determinismE0ELb1ES3_N6thrust23THRUST_200600_302600_NS6detail15normal_iteratorINS9_10device_ptrIiEEEENSB_INSC_IxEEEESG_xNS9_4plusIvEENS9_8equal_toIvEExEE10hipError_tPvRmT2_T3_T4_T5_mT6_T7_P12ihipStream_tbENKUlT_T0_E_clISt17integral_constantIbLb0EES10_IbLb1EEEEDaSW_SX_EUlSW_E_NS1_11comp_targetILNS1_3genE9ELNS1_11target_archE1100ELNS1_3gpuE3ELNS1_3repE0EEENS1_30default_config_static_selectorELNS0_4arch9wavefront6targetE0EEEvT1_,comdat
	.protected	_ZN7rocprim17ROCPRIM_400000_NS6detail17trampoline_kernelINS0_14default_configENS1_27scan_by_key_config_selectorIixEEZZNS1_16scan_by_key_implILNS1_25lookback_scan_determinismE0ELb1ES3_N6thrust23THRUST_200600_302600_NS6detail15normal_iteratorINS9_10device_ptrIiEEEENSB_INSC_IxEEEESG_xNS9_4plusIvEENS9_8equal_toIvEExEE10hipError_tPvRmT2_T3_T4_T5_mT6_T7_P12ihipStream_tbENKUlT_T0_E_clISt17integral_constantIbLb0EES10_IbLb1EEEEDaSW_SX_EUlSW_E_NS1_11comp_targetILNS1_3genE9ELNS1_11target_archE1100ELNS1_3gpuE3ELNS1_3repE0EEENS1_30default_config_static_selectorELNS0_4arch9wavefront6targetE0EEEvT1_ ; -- Begin function _ZN7rocprim17ROCPRIM_400000_NS6detail17trampoline_kernelINS0_14default_configENS1_27scan_by_key_config_selectorIixEEZZNS1_16scan_by_key_implILNS1_25lookback_scan_determinismE0ELb1ES3_N6thrust23THRUST_200600_302600_NS6detail15normal_iteratorINS9_10device_ptrIiEEEENSB_INSC_IxEEEESG_xNS9_4plusIvEENS9_8equal_toIvEExEE10hipError_tPvRmT2_T3_T4_T5_mT6_T7_P12ihipStream_tbENKUlT_T0_E_clISt17integral_constantIbLb0EES10_IbLb1EEEEDaSW_SX_EUlSW_E_NS1_11comp_targetILNS1_3genE9ELNS1_11target_archE1100ELNS1_3gpuE3ELNS1_3repE0EEENS1_30default_config_static_selectorELNS0_4arch9wavefront6targetE0EEEvT1_
	.globl	_ZN7rocprim17ROCPRIM_400000_NS6detail17trampoline_kernelINS0_14default_configENS1_27scan_by_key_config_selectorIixEEZZNS1_16scan_by_key_implILNS1_25lookback_scan_determinismE0ELb1ES3_N6thrust23THRUST_200600_302600_NS6detail15normal_iteratorINS9_10device_ptrIiEEEENSB_INSC_IxEEEESG_xNS9_4plusIvEENS9_8equal_toIvEExEE10hipError_tPvRmT2_T3_T4_T5_mT6_T7_P12ihipStream_tbENKUlT_T0_E_clISt17integral_constantIbLb0EES10_IbLb1EEEEDaSW_SX_EUlSW_E_NS1_11comp_targetILNS1_3genE9ELNS1_11target_archE1100ELNS1_3gpuE3ELNS1_3repE0EEENS1_30default_config_static_selectorELNS0_4arch9wavefront6targetE0EEEvT1_
	.p2align	8
	.type	_ZN7rocprim17ROCPRIM_400000_NS6detail17trampoline_kernelINS0_14default_configENS1_27scan_by_key_config_selectorIixEEZZNS1_16scan_by_key_implILNS1_25lookback_scan_determinismE0ELb1ES3_N6thrust23THRUST_200600_302600_NS6detail15normal_iteratorINS9_10device_ptrIiEEEENSB_INSC_IxEEEESG_xNS9_4plusIvEENS9_8equal_toIvEExEE10hipError_tPvRmT2_T3_T4_T5_mT6_T7_P12ihipStream_tbENKUlT_T0_E_clISt17integral_constantIbLb0EES10_IbLb1EEEEDaSW_SX_EUlSW_E_NS1_11comp_targetILNS1_3genE9ELNS1_11target_archE1100ELNS1_3gpuE3ELNS1_3repE0EEENS1_30default_config_static_selectorELNS0_4arch9wavefront6targetE0EEEvT1_,@function
_ZN7rocprim17ROCPRIM_400000_NS6detail17trampoline_kernelINS0_14default_configENS1_27scan_by_key_config_selectorIixEEZZNS1_16scan_by_key_implILNS1_25lookback_scan_determinismE0ELb1ES3_N6thrust23THRUST_200600_302600_NS6detail15normal_iteratorINS9_10device_ptrIiEEEENSB_INSC_IxEEEESG_xNS9_4plusIvEENS9_8equal_toIvEExEE10hipError_tPvRmT2_T3_T4_T5_mT6_T7_P12ihipStream_tbENKUlT_T0_E_clISt17integral_constantIbLb0EES10_IbLb1EEEEDaSW_SX_EUlSW_E_NS1_11comp_targetILNS1_3genE9ELNS1_11target_archE1100ELNS1_3gpuE3ELNS1_3repE0EEENS1_30default_config_static_selectorELNS0_4arch9wavefront6targetE0EEEvT1_: ; @_ZN7rocprim17ROCPRIM_400000_NS6detail17trampoline_kernelINS0_14default_configENS1_27scan_by_key_config_selectorIixEEZZNS1_16scan_by_key_implILNS1_25lookback_scan_determinismE0ELb1ES3_N6thrust23THRUST_200600_302600_NS6detail15normal_iteratorINS9_10device_ptrIiEEEENSB_INSC_IxEEEESG_xNS9_4plusIvEENS9_8equal_toIvEExEE10hipError_tPvRmT2_T3_T4_T5_mT6_T7_P12ihipStream_tbENKUlT_T0_E_clISt17integral_constantIbLb0EES10_IbLb1EEEEDaSW_SX_EUlSW_E_NS1_11comp_targetILNS1_3genE9ELNS1_11target_archE1100ELNS1_3gpuE3ELNS1_3repE0EEENS1_30default_config_static_selectorELNS0_4arch9wavefront6targetE0EEEvT1_
; %bb.0:
	.section	.rodata,"a",@progbits
	.p2align	6, 0x0
	.amdhsa_kernel _ZN7rocprim17ROCPRIM_400000_NS6detail17trampoline_kernelINS0_14default_configENS1_27scan_by_key_config_selectorIixEEZZNS1_16scan_by_key_implILNS1_25lookback_scan_determinismE0ELb1ES3_N6thrust23THRUST_200600_302600_NS6detail15normal_iteratorINS9_10device_ptrIiEEEENSB_INSC_IxEEEESG_xNS9_4plusIvEENS9_8equal_toIvEExEE10hipError_tPvRmT2_T3_T4_T5_mT6_T7_P12ihipStream_tbENKUlT_T0_E_clISt17integral_constantIbLb0EES10_IbLb1EEEEDaSW_SX_EUlSW_E_NS1_11comp_targetILNS1_3genE9ELNS1_11target_archE1100ELNS1_3gpuE3ELNS1_3repE0EEENS1_30default_config_static_selectorELNS0_4arch9wavefront6targetE0EEEvT1_
		.amdhsa_group_segment_fixed_size 0
		.amdhsa_private_segment_fixed_size 0
		.amdhsa_kernarg_size 136
		.amdhsa_user_sgpr_count 2
		.amdhsa_user_sgpr_dispatch_ptr 0
		.amdhsa_user_sgpr_queue_ptr 0
		.amdhsa_user_sgpr_kernarg_segment_ptr 1
		.amdhsa_user_sgpr_dispatch_id 0
		.amdhsa_user_sgpr_kernarg_preload_length 0
		.amdhsa_user_sgpr_kernarg_preload_offset 0
		.amdhsa_user_sgpr_private_segment_size 0
		.amdhsa_wavefront_size32 1
		.amdhsa_uses_dynamic_stack 0
		.amdhsa_enable_private_segment 0
		.amdhsa_system_sgpr_workgroup_id_x 1
		.amdhsa_system_sgpr_workgroup_id_y 0
		.amdhsa_system_sgpr_workgroup_id_z 0
		.amdhsa_system_sgpr_workgroup_info 0
		.amdhsa_system_vgpr_workitem_id 0
		.amdhsa_next_free_vgpr 1
		.amdhsa_next_free_sgpr 1
		.amdhsa_named_barrier_count 0
		.amdhsa_reserve_vcc 0
		.amdhsa_float_round_mode_32 0
		.amdhsa_float_round_mode_16_64 0
		.amdhsa_float_denorm_mode_32 3
		.amdhsa_float_denorm_mode_16_64 3
		.amdhsa_fp16_overflow 0
		.amdhsa_memory_ordered 1
		.amdhsa_forward_progress 1
		.amdhsa_inst_pref_size 0
		.amdhsa_round_robin_scheduling 0
		.amdhsa_exception_fp_ieee_invalid_op 0
		.amdhsa_exception_fp_denorm_src 0
		.amdhsa_exception_fp_ieee_div_zero 0
		.amdhsa_exception_fp_ieee_overflow 0
		.amdhsa_exception_fp_ieee_underflow 0
		.amdhsa_exception_fp_ieee_inexact 0
		.amdhsa_exception_int_div_zero 0
	.end_amdhsa_kernel
	.section	.text._ZN7rocprim17ROCPRIM_400000_NS6detail17trampoline_kernelINS0_14default_configENS1_27scan_by_key_config_selectorIixEEZZNS1_16scan_by_key_implILNS1_25lookback_scan_determinismE0ELb1ES3_N6thrust23THRUST_200600_302600_NS6detail15normal_iteratorINS9_10device_ptrIiEEEENSB_INSC_IxEEEESG_xNS9_4plusIvEENS9_8equal_toIvEExEE10hipError_tPvRmT2_T3_T4_T5_mT6_T7_P12ihipStream_tbENKUlT_T0_E_clISt17integral_constantIbLb0EES10_IbLb1EEEEDaSW_SX_EUlSW_E_NS1_11comp_targetILNS1_3genE9ELNS1_11target_archE1100ELNS1_3gpuE3ELNS1_3repE0EEENS1_30default_config_static_selectorELNS0_4arch9wavefront6targetE0EEEvT1_,"axG",@progbits,_ZN7rocprim17ROCPRIM_400000_NS6detail17trampoline_kernelINS0_14default_configENS1_27scan_by_key_config_selectorIixEEZZNS1_16scan_by_key_implILNS1_25lookback_scan_determinismE0ELb1ES3_N6thrust23THRUST_200600_302600_NS6detail15normal_iteratorINS9_10device_ptrIiEEEENSB_INSC_IxEEEESG_xNS9_4plusIvEENS9_8equal_toIvEExEE10hipError_tPvRmT2_T3_T4_T5_mT6_T7_P12ihipStream_tbENKUlT_T0_E_clISt17integral_constantIbLb0EES10_IbLb1EEEEDaSW_SX_EUlSW_E_NS1_11comp_targetILNS1_3genE9ELNS1_11target_archE1100ELNS1_3gpuE3ELNS1_3repE0EEENS1_30default_config_static_selectorELNS0_4arch9wavefront6targetE0EEEvT1_,comdat
.Lfunc_end1605:
	.size	_ZN7rocprim17ROCPRIM_400000_NS6detail17trampoline_kernelINS0_14default_configENS1_27scan_by_key_config_selectorIixEEZZNS1_16scan_by_key_implILNS1_25lookback_scan_determinismE0ELb1ES3_N6thrust23THRUST_200600_302600_NS6detail15normal_iteratorINS9_10device_ptrIiEEEENSB_INSC_IxEEEESG_xNS9_4plusIvEENS9_8equal_toIvEExEE10hipError_tPvRmT2_T3_T4_T5_mT6_T7_P12ihipStream_tbENKUlT_T0_E_clISt17integral_constantIbLb0EES10_IbLb1EEEEDaSW_SX_EUlSW_E_NS1_11comp_targetILNS1_3genE9ELNS1_11target_archE1100ELNS1_3gpuE3ELNS1_3repE0EEENS1_30default_config_static_selectorELNS0_4arch9wavefront6targetE0EEEvT1_, .Lfunc_end1605-_ZN7rocprim17ROCPRIM_400000_NS6detail17trampoline_kernelINS0_14default_configENS1_27scan_by_key_config_selectorIixEEZZNS1_16scan_by_key_implILNS1_25lookback_scan_determinismE0ELb1ES3_N6thrust23THRUST_200600_302600_NS6detail15normal_iteratorINS9_10device_ptrIiEEEENSB_INSC_IxEEEESG_xNS9_4plusIvEENS9_8equal_toIvEExEE10hipError_tPvRmT2_T3_T4_T5_mT6_T7_P12ihipStream_tbENKUlT_T0_E_clISt17integral_constantIbLb0EES10_IbLb1EEEEDaSW_SX_EUlSW_E_NS1_11comp_targetILNS1_3genE9ELNS1_11target_archE1100ELNS1_3gpuE3ELNS1_3repE0EEENS1_30default_config_static_selectorELNS0_4arch9wavefront6targetE0EEEvT1_
                                        ; -- End function
	.set _ZN7rocprim17ROCPRIM_400000_NS6detail17trampoline_kernelINS0_14default_configENS1_27scan_by_key_config_selectorIixEEZZNS1_16scan_by_key_implILNS1_25lookback_scan_determinismE0ELb1ES3_N6thrust23THRUST_200600_302600_NS6detail15normal_iteratorINS9_10device_ptrIiEEEENSB_INSC_IxEEEESG_xNS9_4plusIvEENS9_8equal_toIvEExEE10hipError_tPvRmT2_T3_T4_T5_mT6_T7_P12ihipStream_tbENKUlT_T0_E_clISt17integral_constantIbLb0EES10_IbLb1EEEEDaSW_SX_EUlSW_E_NS1_11comp_targetILNS1_3genE9ELNS1_11target_archE1100ELNS1_3gpuE3ELNS1_3repE0EEENS1_30default_config_static_selectorELNS0_4arch9wavefront6targetE0EEEvT1_.num_vgpr, 0
	.set _ZN7rocprim17ROCPRIM_400000_NS6detail17trampoline_kernelINS0_14default_configENS1_27scan_by_key_config_selectorIixEEZZNS1_16scan_by_key_implILNS1_25lookback_scan_determinismE0ELb1ES3_N6thrust23THRUST_200600_302600_NS6detail15normal_iteratorINS9_10device_ptrIiEEEENSB_INSC_IxEEEESG_xNS9_4plusIvEENS9_8equal_toIvEExEE10hipError_tPvRmT2_T3_T4_T5_mT6_T7_P12ihipStream_tbENKUlT_T0_E_clISt17integral_constantIbLb0EES10_IbLb1EEEEDaSW_SX_EUlSW_E_NS1_11comp_targetILNS1_3genE9ELNS1_11target_archE1100ELNS1_3gpuE3ELNS1_3repE0EEENS1_30default_config_static_selectorELNS0_4arch9wavefront6targetE0EEEvT1_.num_agpr, 0
	.set _ZN7rocprim17ROCPRIM_400000_NS6detail17trampoline_kernelINS0_14default_configENS1_27scan_by_key_config_selectorIixEEZZNS1_16scan_by_key_implILNS1_25lookback_scan_determinismE0ELb1ES3_N6thrust23THRUST_200600_302600_NS6detail15normal_iteratorINS9_10device_ptrIiEEEENSB_INSC_IxEEEESG_xNS9_4plusIvEENS9_8equal_toIvEExEE10hipError_tPvRmT2_T3_T4_T5_mT6_T7_P12ihipStream_tbENKUlT_T0_E_clISt17integral_constantIbLb0EES10_IbLb1EEEEDaSW_SX_EUlSW_E_NS1_11comp_targetILNS1_3genE9ELNS1_11target_archE1100ELNS1_3gpuE3ELNS1_3repE0EEENS1_30default_config_static_selectorELNS0_4arch9wavefront6targetE0EEEvT1_.numbered_sgpr, 0
	.set _ZN7rocprim17ROCPRIM_400000_NS6detail17trampoline_kernelINS0_14default_configENS1_27scan_by_key_config_selectorIixEEZZNS1_16scan_by_key_implILNS1_25lookback_scan_determinismE0ELb1ES3_N6thrust23THRUST_200600_302600_NS6detail15normal_iteratorINS9_10device_ptrIiEEEENSB_INSC_IxEEEESG_xNS9_4plusIvEENS9_8equal_toIvEExEE10hipError_tPvRmT2_T3_T4_T5_mT6_T7_P12ihipStream_tbENKUlT_T0_E_clISt17integral_constantIbLb0EES10_IbLb1EEEEDaSW_SX_EUlSW_E_NS1_11comp_targetILNS1_3genE9ELNS1_11target_archE1100ELNS1_3gpuE3ELNS1_3repE0EEENS1_30default_config_static_selectorELNS0_4arch9wavefront6targetE0EEEvT1_.num_named_barrier, 0
	.set _ZN7rocprim17ROCPRIM_400000_NS6detail17trampoline_kernelINS0_14default_configENS1_27scan_by_key_config_selectorIixEEZZNS1_16scan_by_key_implILNS1_25lookback_scan_determinismE0ELb1ES3_N6thrust23THRUST_200600_302600_NS6detail15normal_iteratorINS9_10device_ptrIiEEEENSB_INSC_IxEEEESG_xNS9_4plusIvEENS9_8equal_toIvEExEE10hipError_tPvRmT2_T3_T4_T5_mT6_T7_P12ihipStream_tbENKUlT_T0_E_clISt17integral_constantIbLb0EES10_IbLb1EEEEDaSW_SX_EUlSW_E_NS1_11comp_targetILNS1_3genE9ELNS1_11target_archE1100ELNS1_3gpuE3ELNS1_3repE0EEENS1_30default_config_static_selectorELNS0_4arch9wavefront6targetE0EEEvT1_.private_seg_size, 0
	.set _ZN7rocprim17ROCPRIM_400000_NS6detail17trampoline_kernelINS0_14default_configENS1_27scan_by_key_config_selectorIixEEZZNS1_16scan_by_key_implILNS1_25lookback_scan_determinismE0ELb1ES3_N6thrust23THRUST_200600_302600_NS6detail15normal_iteratorINS9_10device_ptrIiEEEENSB_INSC_IxEEEESG_xNS9_4plusIvEENS9_8equal_toIvEExEE10hipError_tPvRmT2_T3_T4_T5_mT6_T7_P12ihipStream_tbENKUlT_T0_E_clISt17integral_constantIbLb0EES10_IbLb1EEEEDaSW_SX_EUlSW_E_NS1_11comp_targetILNS1_3genE9ELNS1_11target_archE1100ELNS1_3gpuE3ELNS1_3repE0EEENS1_30default_config_static_selectorELNS0_4arch9wavefront6targetE0EEEvT1_.uses_vcc, 0
	.set _ZN7rocprim17ROCPRIM_400000_NS6detail17trampoline_kernelINS0_14default_configENS1_27scan_by_key_config_selectorIixEEZZNS1_16scan_by_key_implILNS1_25lookback_scan_determinismE0ELb1ES3_N6thrust23THRUST_200600_302600_NS6detail15normal_iteratorINS9_10device_ptrIiEEEENSB_INSC_IxEEEESG_xNS9_4plusIvEENS9_8equal_toIvEExEE10hipError_tPvRmT2_T3_T4_T5_mT6_T7_P12ihipStream_tbENKUlT_T0_E_clISt17integral_constantIbLb0EES10_IbLb1EEEEDaSW_SX_EUlSW_E_NS1_11comp_targetILNS1_3genE9ELNS1_11target_archE1100ELNS1_3gpuE3ELNS1_3repE0EEENS1_30default_config_static_selectorELNS0_4arch9wavefront6targetE0EEEvT1_.uses_flat_scratch, 0
	.set _ZN7rocprim17ROCPRIM_400000_NS6detail17trampoline_kernelINS0_14default_configENS1_27scan_by_key_config_selectorIixEEZZNS1_16scan_by_key_implILNS1_25lookback_scan_determinismE0ELb1ES3_N6thrust23THRUST_200600_302600_NS6detail15normal_iteratorINS9_10device_ptrIiEEEENSB_INSC_IxEEEESG_xNS9_4plusIvEENS9_8equal_toIvEExEE10hipError_tPvRmT2_T3_T4_T5_mT6_T7_P12ihipStream_tbENKUlT_T0_E_clISt17integral_constantIbLb0EES10_IbLb1EEEEDaSW_SX_EUlSW_E_NS1_11comp_targetILNS1_3genE9ELNS1_11target_archE1100ELNS1_3gpuE3ELNS1_3repE0EEENS1_30default_config_static_selectorELNS0_4arch9wavefront6targetE0EEEvT1_.has_dyn_sized_stack, 0
	.set _ZN7rocprim17ROCPRIM_400000_NS6detail17trampoline_kernelINS0_14default_configENS1_27scan_by_key_config_selectorIixEEZZNS1_16scan_by_key_implILNS1_25lookback_scan_determinismE0ELb1ES3_N6thrust23THRUST_200600_302600_NS6detail15normal_iteratorINS9_10device_ptrIiEEEENSB_INSC_IxEEEESG_xNS9_4plusIvEENS9_8equal_toIvEExEE10hipError_tPvRmT2_T3_T4_T5_mT6_T7_P12ihipStream_tbENKUlT_T0_E_clISt17integral_constantIbLb0EES10_IbLb1EEEEDaSW_SX_EUlSW_E_NS1_11comp_targetILNS1_3genE9ELNS1_11target_archE1100ELNS1_3gpuE3ELNS1_3repE0EEENS1_30default_config_static_selectorELNS0_4arch9wavefront6targetE0EEEvT1_.has_recursion, 0
	.set _ZN7rocprim17ROCPRIM_400000_NS6detail17trampoline_kernelINS0_14default_configENS1_27scan_by_key_config_selectorIixEEZZNS1_16scan_by_key_implILNS1_25lookback_scan_determinismE0ELb1ES3_N6thrust23THRUST_200600_302600_NS6detail15normal_iteratorINS9_10device_ptrIiEEEENSB_INSC_IxEEEESG_xNS9_4plusIvEENS9_8equal_toIvEExEE10hipError_tPvRmT2_T3_T4_T5_mT6_T7_P12ihipStream_tbENKUlT_T0_E_clISt17integral_constantIbLb0EES10_IbLb1EEEEDaSW_SX_EUlSW_E_NS1_11comp_targetILNS1_3genE9ELNS1_11target_archE1100ELNS1_3gpuE3ELNS1_3repE0EEENS1_30default_config_static_selectorELNS0_4arch9wavefront6targetE0EEEvT1_.has_indirect_call, 0
	.section	.AMDGPU.csdata,"",@progbits
; Kernel info:
; codeLenInByte = 0
; TotalNumSgprs: 0
; NumVgprs: 0
; ScratchSize: 0
; MemoryBound: 0
; FloatMode: 240
; IeeeMode: 1
; LDSByteSize: 0 bytes/workgroup (compile time only)
; SGPRBlocks: 0
; VGPRBlocks: 0
; NumSGPRsForWavesPerEU: 1
; NumVGPRsForWavesPerEU: 1
; NamedBarCnt: 0
; Occupancy: 16
; WaveLimiterHint : 0
; COMPUTE_PGM_RSRC2:SCRATCH_EN: 0
; COMPUTE_PGM_RSRC2:USER_SGPR: 2
; COMPUTE_PGM_RSRC2:TRAP_HANDLER: 0
; COMPUTE_PGM_RSRC2:TGID_X_EN: 1
; COMPUTE_PGM_RSRC2:TGID_Y_EN: 0
; COMPUTE_PGM_RSRC2:TGID_Z_EN: 0
; COMPUTE_PGM_RSRC2:TIDIG_COMP_CNT: 0
	.section	.text._ZN7rocprim17ROCPRIM_400000_NS6detail17trampoline_kernelINS0_14default_configENS1_27scan_by_key_config_selectorIixEEZZNS1_16scan_by_key_implILNS1_25lookback_scan_determinismE0ELb1ES3_N6thrust23THRUST_200600_302600_NS6detail15normal_iteratorINS9_10device_ptrIiEEEENSB_INSC_IxEEEESG_xNS9_4plusIvEENS9_8equal_toIvEExEE10hipError_tPvRmT2_T3_T4_T5_mT6_T7_P12ihipStream_tbENKUlT_T0_E_clISt17integral_constantIbLb0EES10_IbLb1EEEEDaSW_SX_EUlSW_E_NS1_11comp_targetILNS1_3genE8ELNS1_11target_archE1030ELNS1_3gpuE2ELNS1_3repE0EEENS1_30default_config_static_selectorELNS0_4arch9wavefront6targetE0EEEvT1_,"axG",@progbits,_ZN7rocprim17ROCPRIM_400000_NS6detail17trampoline_kernelINS0_14default_configENS1_27scan_by_key_config_selectorIixEEZZNS1_16scan_by_key_implILNS1_25lookback_scan_determinismE0ELb1ES3_N6thrust23THRUST_200600_302600_NS6detail15normal_iteratorINS9_10device_ptrIiEEEENSB_INSC_IxEEEESG_xNS9_4plusIvEENS9_8equal_toIvEExEE10hipError_tPvRmT2_T3_T4_T5_mT6_T7_P12ihipStream_tbENKUlT_T0_E_clISt17integral_constantIbLb0EES10_IbLb1EEEEDaSW_SX_EUlSW_E_NS1_11comp_targetILNS1_3genE8ELNS1_11target_archE1030ELNS1_3gpuE2ELNS1_3repE0EEENS1_30default_config_static_selectorELNS0_4arch9wavefront6targetE0EEEvT1_,comdat
	.protected	_ZN7rocprim17ROCPRIM_400000_NS6detail17trampoline_kernelINS0_14default_configENS1_27scan_by_key_config_selectorIixEEZZNS1_16scan_by_key_implILNS1_25lookback_scan_determinismE0ELb1ES3_N6thrust23THRUST_200600_302600_NS6detail15normal_iteratorINS9_10device_ptrIiEEEENSB_INSC_IxEEEESG_xNS9_4plusIvEENS9_8equal_toIvEExEE10hipError_tPvRmT2_T3_T4_T5_mT6_T7_P12ihipStream_tbENKUlT_T0_E_clISt17integral_constantIbLb0EES10_IbLb1EEEEDaSW_SX_EUlSW_E_NS1_11comp_targetILNS1_3genE8ELNS1_11target_archE1030ELNS1_3gpuE2ELNS1_3repE0EEENS1_30default_config_static_selectorELNS0_4arch9wavefront6targetE0EEEvT1_ ; -- Begin function _ZN7rocprim17ROCPRIM_400000_NS6detail17trampoline_kernelINS0_14default_configENS1_27scan_by_key_config_selectorIixEEZZNS1_16scan_by_key_implILNS1_25lookback_scan_determinismE0ELb1ES3_N6thrust23THRUST_200600_302600_NS6detail15normal_iteratorINS9_10device_ptrIiEEEENSB_INSC_IxEEEESG_xNS9_4plusIvEENS9_8equal_toIvEExEE10hipError_tPvRmT2_T3_T4_T5_mT6_T7_P12ihipStream_tbENKUlT_T0_E_clISt17integral_constantIbLb0EES10_IbLb1EEEEDaSW_SX_EUlSW_E_NS1_11comp_targetILNS1_3genE8ELNS1_11target_archE1030ELNS1_3gpuE2ELNS1_3repE0EEENS1_30default_config_static_selectorELNS0_4arch9wavefront6targetE0EEEvT1_
	.globl	_ZN7rocprim17ROCPRIM_400000_NS6detail17trampoline_kernelINS0_14default_configENS1_27scan_by_key_config_selectorIixEEZZNS1_16scan_by_key_implILNS1_25lookback_scan_determinismE0ELb1ES3_N6thrust23THRUST_200600_302600_NS6detail15normal_iteratorINS9_10device_ptrIiEEEENSB_INSC_IxEEEESG_xNS9_4plusIvEENS9_8equal_toIvEExEE10hipError_tPvRmT2_T3_T4_T5_mT6_T7_P12ihipStream_tbENKUlT_T0_E_clISt17integral_constantIbLb0EES10_IbLb1EEEEDaSW_SX_EUlSW_E_NS1_11comp_targetILNS1_3genE8ELNS1_11target_archE1030ELNS1_3gpuE2ELNS1_3repE0EEENS1_30default_config_static_selectorELNS0_4arch9wavefront6targetE0EEEvT1_
	.p2align	8
	.type	_ZN7rocprim17ROCPRIM_400000_NS6detail17trampoline_kernelINS0_14default_configENS1_27scan_by_key_config_selectorIixEEZZNS1_16scan_by_key_implILNS1_25lookback_scan_determinismE0ELb1ES3_N6thrust23THRUST_200600_302600_NS6detail15normal_iteratorINS9_10device_ptrIiEEEENSB_INSC_IxEEEESG_xNS9_4plusIvEENS9_8equal_toIvEExEE10hipError_tPvRmT2_T3_T4_T5_mT6_T7_P12ihipStream_tbENKUlT_T0_E_clISt17integral_constantIbLb0EES10_IbLb1EEEEDaSW_SX_EUlSW_E_NS1_11comp_targetILNS1_3genE8ELNS1_11target_archE1030ELNS1_3gpuE2ELNS1_3repE0EEENS1_30default_config_static_selectorELNS0_4arch9wavefront6targetE0EEEvT1_,@function
_ZN7rocprim17ROCPRIM_400000_NS6detail17trampoline_kernelINS0_14default_configENS1_27scan_by_key_config_selectorIixEEZZNS1_16scan_by_key_implILNS1_25lookback_scan_determinismE0ELb1ES3_N6thrust23THRUST_200600_302600_NS6detail15normal_iteratorINS9_10device_ptrIiEEEENSB_INSC_IxEEEESG_xNS9_4plusIvEENS9_8equal_toIvEExEE10hipError_tPvRmT2_T3_T4_T5_mT6_T7_P12ihipStream_tbENKUlT_T0_E_clISt17integral_constantIbLb0EES10_IbLb1EEEEDaSW_SX_EUlSW_E_NS1_11comp_targetILNS1_3genE8ELNS1_11target_archE1030ELNS1_3gpuE2ELNS1_3repE0EEENS1_30default_config_static_selectorELNS0_4arch9wavefront6targetE0EEEvT1_: ; @_ZN7rocprim17ROCPRIM_400000_NS6detail17trampoline_kernelINS0_14default_configENS1_27scan_by_key_config_selectorIixEEZZNS1_16scan_by_key_implILNS1_25lookback_scan_determinismE0ELb1ES3_N6thrust23THRUST_200600_302600_NS6detail15normal_iteratorINS9_10device_ptrIiEEEENSB_INSC_IxEEEESG_xNS9_4plusIvEENS9_8equal_toIvEExEE10hipError_tPvRmT2_T3_T4_T5_mT6_T7_P12ihipStream_tbENKUlT_T0_E_clISt17integral_constantIbLb0EES10_IbLb1EEEEDaSW_SX_EUlSW_E_NS1_11comp_targetILNS1_3genE8ELNS1_11target_archE1030ELNS1_3gpuE2ELNS1_3repE0EEENS1_30default_config_static_selectorELNS0_4arch9wavefront6targetE0EEEvT1_
; %bb.0:
	.section	.rodata,"a",@progbits
	.p2align	6, 0x0
	.amdhsa_kernel _ZN7rocprim17ROCPRIM_400000_NS6detail17trampoline_kernelINS0_14default_configENS1_27scan_by_key_config_selectorIixEEZZNS1_16scan_by_key_implILNS1_25lookback_scan_determinismE0ELb1ES3_N6thrust23THRUST_200600_302600_NS6detail15normal_iteratorINS9_10device_ptrIiEEEENSB_INSC_IxEEEESG_xNS9_4plusIvEENS9_8equal_toIvEExEE10hipError_tPvRmT2_T3_T4_T5_mT6_T7_P12ihipStream_tbENKUlT_T0_E_clISt17integral_constantIbLb0EES10_IbLb1EEEEDaSW_SX_EUlSW_E_NS1_11comp_targetILNS1_3genE8ELNS1_11target_archE1030ELNS1_3gpuE2ELNS1_3repE0EEENS1_30default_config_static_selectorELNS0_4arch9wavefront6targetE0EEEvT1_
		.amdhsa_group_segment_fixed_size 0
		.amdhsa_private_segment_fixed_size 0
		.amdhsa_kernarg_size 136
		.amdhsa_user_sgpr_count 2
		.amdhsa_user_sgpr_dispatch_ptr 0
		.amdhsa_user_sgpr_queue_ptr 0
		.amdhsa_user_sgpr_kernarg_segment_ptr 1
		.amdhsa_user_sgpr_dispatch_id 0
		.amdhsa_user_sgpr_kernarg_preload_length 0
		.amdhsa_user_sgpr_kernarg_preload_offset 0
		.amdhsa_user_sgpr_private_segment_size 0
		.amdhsa_wavefront_size32 1
		.amdhsa_uses_dynamic_stack 0
		.amdhsa_enable_private_segment 0
		.amdhsa_system_sgpr_workgroup_id_x 1
		.amdhsa_system_sgpr_workgroup_id_y 0
		.amdhsa_system_sgpr_workgroup_id_z 0
		.amdhsa_system_sgpr_workgroup_info 0
		.amdhsa_system_vgpr_workitem_id 0
		.amdhsa_next_free_vgpr 1
		.amdhsa_next_free_sgpr 1
		.amdhsa_named_barrier_count 0
		.amdhsa_reserve_vcc 0
		.amdhsa_float_round_mode_32 0
		.amdhsa_float_round_mode_16_64 0
		.amdhsa_float_denorm_mode_32 3
		.amdhsa_float_denorm_mode_16_64 3
		.amdhsa_fp16_overflow 0
		.amdhsa_memory_ordered 1
		.amdhsa_forward_progress 1
		.amdhsa_inst_pref_size 0
		.amdhsa_round_robin_scheduling 0
		.amdhsa_exception_fp_ieee_invalid_op 0
		.amdhsa_exception_fp_denorm_src 0
		.amdhsa_exception_fp_ieee_div_zero 0
		.amdhsa_exception_fp_ieee_overflow 0
		.amdhsa_exception_fp_ieee_underflow 0
		.amdhsa_exception_fp_ieee_inexact 0
		.amdhsa_exception_int_div_zero 0
	.end_amdhsa_kernel
	.section	.text._ZN7rocprim17ROCPRIM_400000_NS6detail17trampoline_kernelINS0_14default_configENS1_27scan_by_key_config_selectorIixEEZZNS1_16scan_by_key_implILNS1_25lookback_scan_determinismE0ELb1ES3_N6thrust23THRUST_200600_302600_NS6detail15normal_iteratorINS9_10device_ptrIiEEEENSB_INSC_IxEEEESG_xNS9_4plusIvEENS9_8equal_toIvEExEE10hipError_tPvRmT2_T3_T4_T5_mT6_T7_P12ihipStream_tbENKUlT_T0_E_clISt17integral_constantIbLb0EES10_IbLb1EEEEDaSW_SX_EUlSW_E_NS1_11comp_targetILNS1_3genE8ELNS1_11target_archE1030ELNS1_3gpuE2ELNS1_3repE0EEENS1_30default_config_static_selectorELNS0_4arch9wavefront6targetE0EEEvT1_,"axG",@progbits,_ZN7rocprim17ROCPRIM_400000_NS6detail17trampoline_kernelINS0_14default_configENS1_27scan_by_key_config_selectorIixEEZZNS1_16scan_by_key_implILNS1_25lookback_scan_determinismE0ELb1ES3_N6thrust23THRUST_200600_302600_NS6detail15normal_iteratorINS9_10device_ptrIiEEEENSB_INSC_IxEEEESG_xNS9_4plusIvEENS9_8equal_toIvEExEE10hipError_tPvRmT2_T3_T4_T5_mT6_T7_P12ihipStream_tbENKUlT_T0_E_clISt17integral_constantIbLb0EES10_IbLb1EEEEDaSW_SX_EUlSW_E_NS1_11comp_targetILNS1_3genE8ELNS1_11target_archE1030ELNS1_3gpuE2ELNS1_3repE0EEENS1_30default_config_static_selectorELNS0_4arch9wavefront6targetE0EEEvT1_,comdat
.Lfunc_end1606:
	.size	_ZN7rocprim17ROCPRIM_400000_NS6detail17trampoline_kernelINS0_14default_configENS1_27scan_by_key_config_selectorIixEEZZNS1_16scan_by_key_implILNS1_25lookback_scan_determinismE0ELb1ES3_N6thrust23THRUST_200600_302600_NS6detail15normal_iteratorINS9_10device_ptrIiEEEENSB_INSC_IxEEEESG_xNS9_4plusIvEENS9_8equal_toIvEExEE10hipError_tPvRmT2_T3_T4_T5_mT6_T7_P12ihipStream_tbENKUlT_T0_E_clISt17integral_constantIbLb0EES10_IbLb1EEEEDaSW_SX_EUlSW_E_NS1_11comp_targetILNS1_3genE8ELNS1_11target_archE1030ELNS1_3gpuE2ELNS1_3repE0EEENS1_30default_config_static_selectorELNS0_4arch9wavefront6targetE0EEEvT1_, .Lfunc_end1606-_ZN7rocprim17ROCPRIM_400000_NS6detail17trampoline_kernelINS0_14default_configENS1_27scan_by_key_config_selectorIixEEZZNS1_16scan_by_key_implILNS1_25lookback_scan_determinismE0ELb1ES3_N6thrust23THRUST_200600_302600_NS6detail15normal_iteratorINS9_10device_ptrIiEEEENSB_INSC_IxEEEESG_xNS9_4plusIvEENS9_8equal_toIvEExEE10hipError_tPvRmT2_T3_T4_T5_mT6_T7_P12ihipStream_tbENKUlT_T0_E_clISt17integral_constantIbLb0EES10_IbLb1EEEEDaSW_SX_EUlSW_E_NS1_11comp_targetILNS1_3genE8ELNS1_11target_archE1030ELNS1_3gpuE2ELNS1_3repE0EEENS1_30default_config_static_selectorELNS0_4arch9wavefront6targetE0EEEvT1_
                                        ; -- End function
	.set _ZN7rocprim17ROCPRIM_400000_NS6detail17trampoline_kernelINS0_14default_configENS1_27scan_by_key_config_selectorIixEEZZNS1_16scan_by_key_implILNS1_25lookback_scan_determinismE0ELb1ES3_N6thrust23THRUST_200600_302600_NS6detail15normal_iteratorINS9_10device_ptrIiEEEENSB_INSC_IxEEEESG_xNS9_4plusIvEENS9_8equal_toIvEExEE10hipError_tPvRmT2_T3_T4_T5_mT6_T7_P12ihipStream_tbENKUlT_T0_E_clISt17integral_constantIbLb0EES10_IbLb1EEEEDaSW_SX_EUlSW_E_NS1_11comp_targetILNS1_3genE8ELNS1_11target_archE1030ELNS1_3gpuE2ELNS1_3repE0EEENS1_30default_config_static_selectorELNS0_4arch9wavefront6targetE0EEEvT1_.num_vgpr, 0
	.set _ZN7rocprim17ROCPRIM_400000_NS6detail17trampoline_kernelINS0_14default_configENS1_27scan_by_key_config_selectorIixEEZZNS1_16scan_by_key_implILNS1_25lookback_scan_determinismE0ELb1ES3_N6thrust23THRUST_200600_302600_NS6detail15normal_iteratorINS9_10device_ptrIiEEEENSB_INSC_IxEEEESG_xNS9_4plusIvEENS9_8equal_toIvEExEE10hipError_tPvRmT2_T3_T4_T5_mT6_T7_P12ihipStream_tbENKUlT_T0_E_clISt17integral_constantIbLb0EES10_IbLb1EEEEDaSW_SX_EUlSW_E_NS1_11comp_targetILNS1_3genE8ELNS1_11target_archE1030ELNS1_3gpuE2ELNS1_3repE0EEENS1_30default_config_static_selectorELNS0_4arch9wavefront6targetE0EEEvT1_.num_agpr, 0
	.set _ZN7rocprim17ROCPRIM_400000_NS6detail17trampoline_kernelINS0_14default_configENS1_27scan_by_key_config_selectorIixEEZZNS1_16scan_by_key_implILNS1_25lookback_scan_determinismE0ELb1ES3_N6thrust23THRUST_200600_302600_NS6detail15normal_iteratorINS9_10device_ptrIiEEEENSB_INSC_IxEEEESG_xNS9_4plusIvEENS9_8equal_toIvEExEE10hipError_tPvRmT2_T3_T4_T5_mT6_T7_P12ihipStream_tbENKUlT_T0_E_clISt17integral_constantIbLb0EES10_IbLb1EEEEDaSW_SX_EUlSW_E_NS1_11comp_targetILNS1_3genE8ELNS1_11target_archE1030ELNS1_3gpuE2ELNS1_3repE0EEENS1_30default_config_static_selectorELNS0_4arch9wavefront6targetE0EEEvT1_.numbered_sgpr, 0
	.set _ZN7rocprim17ROCPRIM_400000_NS6detail17trampoline_kernelINS0_14default_configENS1_27scan_by_key_config_selectorIixEEZZNS1_16scan_by_key_implILNS1_25lookback_scan_determinismE0ELb1ES3_N6thrust23THRUST_200600_302600_NS6detail15normal_iteratorINS9_10device_ptrIiEEEENSB_INSC_IxEEEESG_xNS9_4plusIvEENS9_8equal_toIvEExEE10hipError_tPvRmT2_T3_T4_T5_mT6_T7_P12ihipStream_tbENKUlT_T0_E_clISt17integral_constantIbLb0EES10_IbLb1EEEEDaSW_SX_EUlSW_E_NS1_11comp_targetILNS1_3genE8ELNS1_11target_archE1030ELNS1_3gpuE2ELNS1_3repE0EEENS1_30default_config_static_selectorELNS0_4arch9wavefront6targetE0EEEvT1_.num_named_barrier, 0
	.set _ZN7rocprim17ROCPRIM_400000_NS6detail17trampoline_kernelINS0_14default_configENS1_27scan_by_key_config_selectorIixEEZZNS1_16scan_by_key_implILNS1_25lookback_scan_determinismE0ELb1ES3_N6thrust23THRUST_200600_302600_NS6detail15normal_iteratorINS9_10device_ptrIiEEEENSB_INSC_IxEEEESG_xNS9_4plusIvEENS9_8equal_toIvEExEE10hipError_tPvRmT2_T3_T4_T5_mT6_T7_P12ihipStream_tbENKUlT_T0_E_clISt17integral_constantIbLb0EES10_IbLb1EEEEDaSW_SX_EUlSW_E_NS1_11comp_targetILNS1_3genE8ELNS1_11target_archE1030ELNS1_3gpuE2ELNS1_3repE0EEENS1_30default_config_static_selectorELNS0_4arch9wavefront6targetE0EEEvT1_.private_seg_size, 0
	.set _ZN7rocprim17ROCPRIM_400000_NS6detail17trampoline_kernelINS0_14default_configENS1_27scan_by_key_config_selectorIixEEZZNS1_16scan_by_key_implILNS1_25lookback_scan_determinismE0ELb1ES3_N6thrust23THRUST_200600_302600_NS6detail15normal_iteratorINS9_10device_ptrIiEEEENSB_INSC_IxEEEESG_xNS9_4plusIvEENS9_8equal_toIvEExEE10hipError_tPvRmT2_T3_T4_T5_mT6_T7_P12ihipStream_tbENKUlT_T0_E_clISt17integral_constantIbLb0EES10_IbLb1EEEEDaSW_SX_EUlSW_E_NS1_11comp_targetILNS1_3genE8ELNS1_11target_archE1030ELNS1_3gpuE2ELNS1_3repE0EEENS1_30default_config_static_selectorELNS0_4arch9wavefront6targetE0EEEvT1_.uses_vcc, 0
	.set _ZN7rocprim17ROCPRIM_400000_NS6detail17trampoline_kernelINS0_14default_configENS1_27scan_by_key_config_selectorIixEEZZNS1_16scan_by_key_implILNS1_25lookback_scan_determinismE0ELb1ES3_N6thrust23THRUST_200600_302600_NS6detail15normal_iteratorINS9_10device_ptrIiEEEENSB_INSC_IxEEEESG_xNS9_4plusIvEENS9_8equal_toIvEExEE10hipError_tPvRmT2_T3_T4_T5_mT6_T7_P12ihipStream_tbENKUlT_T0_E_clISt17integral_constantIbLb0EES10_IbLb1EEEEDaSW_SX_EUlSW_E_NS1_11comp_targetILNS1_3genE8ELNS1_11target_archE1030ELNS1_3gpuE2ELNS1_3repE0EEENS1_30default_config_static_selectorELNS0_4arch9wavefront6targetE0EEEvT1_.uses_flat_scratch, 0
	.set _ZN7rocprim17ROCPRIM_400000_NS6detail17trampoline_kernelINS0_14default_configENS1_27scan_by_key_config_selectorIixEEZZNS1_16scan_by_key_implILNS1_25lookback_scan_determinismE0ELb1ES3_N6thrust23THRUST_200600_302600_NS6detail15normal_iteratorINS9_10device_ptrIiEEEENSB_INSC_IxEEEESG_xNS9_4plusIvEENS9_8equal_toIvEExEE10hipError_tPvRmT2_T3_T4_T5_mT6_T7_P12ihipStream_tbENKUlT_T0_E_clISt17integral_constantIbLb0EES10_IbLb1EEEEDaSW_SX_EUlSW_E_NS1_11comp_targetILNS1_3genE8ELNS1_11target_archE1030ELNS1_3gpuE2ELNS1_3repE0EEENS1_30default_config_static_selectorELNS0_4arch9wavefront6targetE0EEEvT1_.has_dyn_sized_stack, 0
	.set _ZN7rocprim17ROCPRIM_400000_NS6detail17trampoline_kernelINS0_14default_configENS1_27scan_by_key_config_selectorIixEEZZNS1_16scan_by_key_implILNS1_25lookback_scan_determinismE0ELb1ES3_N6thrust23THRUST_200600_302600_NS6detail15normal_iteratorINS9_10device_ptrIiEEEENSB_INSC_IxEEEESG_xNS9_4plusIvEENS9_8equal_toIvEExEE10hipError_tPvRmT2_T3_T4_T5_mT6_T7_P12ihipStream_tbENKUlT_T0_E_clISt17integral_constantIbLb0EES10_IbLb1EEEEDaSW_SX_EUlSW_E_NS1_11comp_targetILNS1_3genE8ELNS1_11target_archE1030ELNS1_3gpuE2ELNS1_3repE0EEENS1_30default_config_static_selectorELNS0_4arch9wavefront6targetE0EEEvT1_.has_recursion, 0
	.set _ZN7rocprim17ROCPRIM_400000_NS6detail17trampoline_kernelINS0_14default_configENS1_27scan_by_key_config_selectorIixEEZZNS1_16scan_by_key_implILNS1_25lookback_scan_determinismE0ELb1ES3_N6thrust23THRUST_200600_302600_NS6detail15normal_iteratorINS9_10device_ptrIiEEEENSB_INSC_IxEEEESG_xNS9_4plusIvEENS9_8equal_toIvEExEE10hipError_tPvRmT2_T3_T4_T5_mT6_T7_P12ihipStream_tbENKUlT_T0_E_clISt17integral_constantIbLb0EES10_IbLb1EEEEDaSW_SX_EUlSW_E_NS1_11comp_targetILNS1_3genE8ELNS1_11target_archE1030ELNS1_3gpuE2ELNS1_3repE0EEENS1_30default_config_static_selectorELNS0_4arch9wavefront6targetE0EEEvT1_.has_indirect_call, 0
	.section	.AMDGPU.csdata,"",@progbits
; Kernel info:
; codeLenInByte = 0
; TotalNumSgprs: 0
; NumVgprs: 0
; ScratchSize: 0
; MemoryBound: 0
; FloatMode: 240
; IeeeMode: 1
; LDSByteSize: 0 bytes/workgroup (compile time only)
; SGPRBlocks: 0
; VGPRBlocks: 0
; NumSGPRsForWavesPerEU: 1
; NumVGPRsForWavesPerEU: 1
; NamedBarCnt: 0
; Occupancy: 16
; WaveLimiterHint : 0
; COMPUTE_PGM_RSRC2:SCRATCH_EN: 0
; COMPUTE_PGM_RSRC2:USER_SGPR: 2
; COMPUTE_PGM_RSRC2:TRAP_HANDLER: 0
; COMPUTE_PGM_RSRC2:TGID_X_EN: 1
; COMPUTE_PGM_RSRC2:TGID_Y_EN: 0
; COMPUTE_PGM_RSRC2:TGID_Z_EN: 0
; COMPUTE_PGM_RSRC2:TIDIG_COMP_CNT: 0
	.section	.text._ZN7rocprim17ROCPRIM_400000_NS6detail17trampoline_kernelINS0_14default_configENS1_27scan_by_key_config_selectorIisEEZZNS1_16scan_by_key_implILNS1_25lookback_scan_determinismE0ELb1ES3_N6thrust23THRUST_200600_302600_NS6detail15normal_iteratorINS9_10device_ptrIiEEEENSB_INSC_IsEEEESG_sNS9_4plusIvEENS9_8equal_toIvEEsEE10hipError_tPvRmT2_T3_T4_T5_mT6_T7_P12ihipStream_tbENKUlT_T0_E_clISt17integral_constantIbLb0EES11_EEDaSW_SX_EUlSW_E_NS1_11comp_targetILNS1_3genE0ELNS1_11target_archE4294967295ELNS1_3gpuE0ELNS1_3repE0EEENS1_30default_config_static_selectorELNS0_4arch9wavefront6targetE0EEEvT1_,"axG",@progbits,_ZN7rocprim17ROCPRIM_400000_NS6detail17trampoline_kernelINS0_14default_configENS1_27scan_by_key_config_selectorIisEEZZNS1_16scan_by_key_implILNS1_25lookback_scan_determinismE0ELb1ES3_N6thrust23THRUST_200600_302600_NS6detail15normal_iteratorINS9_10device_ptrIiEEEENSB_INSC_IsEEEESG_sNS9_4plusIvEENS9_8equal_toIvEEsEE10hipError_tPvRmT2_T3_T4_T5_mT6_T7_P12ihipStream_tbENKUlT_T0_E_clISt17integral_constantIbLb0EES11_EEDaSW_SX_EUlSW_E_NS1_11comp_targetILNS1_3genE0ELNS1_11target_archE4294967295ELNS1_3gpuE0ELNS1_3repE0EEENS1_30default_config_static_selectorELNS0_4arch9wavefront6targetE0EEEvT1_,comdat
	.protected	_ZN7rocprim17ROCPRIM_400000_NS6detail17trampoline_kernelINS0_14default_configENS1_27scan_by_key_config_selectorIisEEZZNS1_16scan_by_key_implILNS1_25lookback_scan_determinismE0ELb1ES3_N6thrust23THRUST_200600_302600_NS6detail15normal_iteratorINS9_10device_ptrIiEEEENSB_INSC_IsEEEESG_sNS9_4plusIvEENS9_8equal_toIvEEsEE10hipError_tPvRmT2_T3_T4_T5_mT6_T7_P12ihipStream_tbENKUlT_T0_E_clISt17integral_constantIbLb0EES11_EEDaSW_SX_EUlSW_E_NS1_11comp_targetILNS1_3genE0ELNS1_11target_archE4294967295ELNS1_3gpuE0ELNS1_3repE0EEENS1_30default_config_static_selectorELNS0_4arch9wavefront6targetE0EEEvT1_ ; -- Begin function _ZN7rocprim17ROCPRIM_400000_NS6detail17trampoline_kernelINS0_14default_configENS1_27scan_by_key_config_selectorIisEEZZNS1_16scan_by_key_implILNS1_25lookback_scan_determinismE0ELb1ES3_N6thrust23THRUST_200600_302600_NS6detail15normal_iteratorINS9_10device_ptrIiEEEENSB_INSC_IsEEEESG_sNS9_4plusIvEENS9_8equal_toIvEEsEE10hipError_tPvRmT2_T3_T4_T5_mT6_T7_P12ihipStream_tbENKUlT_T0_E_clISt17integral_constantIbLb0EES11_EEDaSW_SX_EUlSW_E_NS1_11comp_targetILNS1_3genE0ELNS1_11target_archE4294967295ELNS1_3gpuE0ELNS1_3repE0EEENS1_30default_config_static_selectorELNS0_4arch9wavefront6targetE0EEEvT1_
	.globl	_ZN7rocprim17ROCPRIM_400000_NS6detail17trampoline_kernelINS0_14default_configENS1_27scan_by_key_config_selectorIisEEZZNS1_16scan_by_key_implILNS1_25lookback_scan_determinismE0ELb1ES3_N6thrust23THRUST_200600_302600_NS6detail15normal_iteratorINS9_10device_ptrIiEEEENSB_INSC_IsEEEESG_sNS9_4plusIvEENS9_8equal_toIvEEsEE10hipError_tPvRmT2_T3_T4_T5_mT6_T7_P12ihipStream_tbENKUlT_T0_E_clISt17integral_constantIbLb0EES11_EEDaSW_SX_EUlSW_E_NS1_11comp_targetILNS1_3genE0ELNS1_11target_archE4294967295ELNS1_3gpuE0ELNS1_3repE0EEENS1_30default_config_static_selectorELNS0_4arch9wavefront6targetE0EEEvT1_
	.p2align	8
	.type	_ZN7rocprim17ROCPRIM_400000_NS6detail17trampoline_kernelINS0_14default_configENS1_27scan_by_key_config_selectorIisEEZZNS1_16scan_by_key_implILNS1_25lookback_scan_determinismE0ELb1ES3_N6thrust23THRUST_200600_302600_NS6detail15normal_iteratorINS9_10device_ptrIiEEEENSB_INSC_IsEEEESG_sNS9_4plusIvEENS9_8equal_toIvEEsEE10hipError_tPvRmT2_T3_T4_T5_mT6_T7_P12ihipStream_tbENKUlT_T0_E_clISt17integral_constantIbLb0EES11_EEDaSW_SX_EUlSW_E_NS1_11comp_targetILNS1_3genE0ELNS1_11target_archE4294967295ELNS1_3gpuE0ELNS1_3repE0EEENS1_30default_config_static_selectorELNS0_4arch9wavefront6targetE0EEEvT1_,@function
_ZN7rocprim17ROCPRIM_400000_NS6detail17trampoline_kernelINS0_14default_configENS1_27scan_by_key_config_selectorIisEEZZNS1_16scan_by_key_implILNS1_25lookback_scan_determinismE0ELb1ES3_N6thrust23THRUST_200600_302600_NS6detail15normal_iteratorINS9_10device_ptrIiEEEENSB_INSC_IsEEEESG_sNS9_4plusIvEENS9_8equal_toIvEEsEE10hipError_tPvRmT2_T3_T4_T5_mT6_T7_P12ihipStream_tbENKUlT_T0_E_clISt17integral_constantIbLb0EES11_EEDaSW_SX_EUlSW_E_NS1_11comp_targetILNS1_3genE0ELNS1_11target_archE4294967295ELNS1_3gpuE0ELNS1_3repE0EEENS1_30default_config_static_selectorELNS0_4arch9wavefront6targetE0EEEvT1_: ; @_ZN7rocprim17ROCPRIM_400000_NS6detail17trampoline_kernelINS0_14default_configENS1_27scan_by_key_config_selectorIisEEZZNS1_16scan_by_key_implILNS1_25lookback_scan_determinismE0ELb1ES3_N6thrust23THRUST_200600_302600_NS6detail15normal_iteratorINS9_10device_ptrIiEEEENSB_INSC_IsEEEESG_sNS9_4plusIvEENS9_8equal_toIvEEsEE10hipError_tPvRmT2_T3_T4_T5_mT6_T7_P12ihipStream_tbENKUlT_T0_E_clISt17integral_constantIbLb0EES11_EEDaSW_SX_EUlSW_E_NS1_11comp_targetILNS1_3genE0ELNS1_11target_archE4294967295ELNS1_3gpuE0ELNS1_3repE0EEENS1_30default_config_static_selectorELNS0_4arch9wavefront6targetE0EEEvT1_
; %bb.0:
	s_clause 0x2
	s_load_b96 s[24:26], s[0:1], 0x38
	s_load_b256 s[8:15], s[0:1], 0x0
	s_load_b128 s[20:23], s[0:1], 0x48
	s_bfe_u32 s4, ttmp6, 0x4000c
	s_barrier_signal -1
	s_add_co_i32 s4, s4, 1
	s_clause 0x1
	s_load_b32 s33, s[0:1], 0x20
	s_load_b128 s[16:19], s[0:1], 0x28
	s_and_b32 s2, ttmp6, 15
	s_wait_xcnt 0x0
	s_mul_i32 s0, ttmp9, s4
	s_getreg_b32 s5, hwreg(HW_REG_IB_STS2, 6, 4)
	s_add_co_i32 s6, s2, s0
	s_mov_b32 s3, 0
	s_barrier_wait -1
	s_mov_b32 s29, s3
	s_wait_kmcnt 0x0
	s_mov_b32 s2, s26
	s_lshl_b64 s[0:1], s[10:11], 2
	s_lshl_b64 s[26:27], s[10:11], 1
	s_cmp_eq_u32 s5, 0
	s_mul_u64 s[4:5], s[24:25], s[2:3]
	s_cselect_b32 s28, ttmp9, s6
	s_add_nc_u64 s[0:1], s[8:9], s[0:1]
	s_add_nc_u64 s[4:5], s[4:5], s[28:29]
	s_add_nc_u64 s[8:9], s[20:21], -1
	s_mul_i32 s2, s28, 0xe00
	v_cmp_ge_u64_e64 s19, s[4:5], s[8:9]
	s_add_nc_u64 s[6:7], s[12:13], s[26:27]
	s_lshl_b64 s[4:5], s[2:3], 2
	s_lshl_b64 s[20:21], s[2:3], 1
	s_add_nc_u64 s[34:35], s[0:1], s[4:5]
	s_add_nc_u64 s[30:31], s[6:7], s[20:21]
	s_mul_i32 s29, s8, 0xfffff200
	s_and_b32 vcc_lo, exec_lo, s19
	s_cbranch_vccz .LBB1607_76
; %bb.1:
	v_mov_b32_e32 v1, 0
	s_add_co_i32 s36, s29, s18
	s_delay_alu instid0(SALU_CYCLE_1)
	v_cmp_gt_u32_e32 vcc_lo, s36, v0
	flat_load_b32 v1, v1, s[34:35]
	s_wait_loadcnt_dscnt 0x0
	v_mov_b32_e32 v2, v1
	s_and_saveexec_b32 s0, vcc_lo
	s_cbranch_execz .LBB1607_3
; %bb.2:
	flat_load_b32 v2, v0, s[34:35] scale_offset
.LBB1607_3:
	s_wait_xcnt 0x0
	s_or_b32 exec_lo, exec_lo, s0
	v_or_b32_e32 v3, 0x100, v0
	s_delay_alu instid0(VALU_DEP_1)
	v_cmp_gt_u32_e64 s0, s36, v3
	v_mov_b32_e32 v3, v1
	s_and_saveexec_b32 s1, s0
	s_cbranch_execz .LBB1607_5
; %bb.4:
	flat_load_b32 v3, v0, s[34:35] offset:1024 scale_offset
.LBB1607_5:
	s_wait_xcnt 0x0
	s_or_b32 exec_lo, exec_lo, s1
	v_or_b32_e32 v4, 0x200, v0
	s_delay_alu instid0(VALU_DEP_1)
	v_cmp_gt_u32_e64 s1, s36, v4
	v_mov_b32_e32 v4, v1
	s_and_saveexec_b32 s2, s1
	s_cbranch_execz .LBB1607_7
; %bb.6:
	flat_load_b32 v4, v0, s[34:35] offset:2048 scale_offset
.LBB1607_7:
	;; [unrolled: 11-line block ×12, first 2 shown]
	s_wait_xcnt 0x0
	s_or_b32 exec_lo, exec_lo, s12
	v_or_b32_e32 v15, 0xd00, v0
	s_delay_alu instid0(VALU_DEP_1) | instskip(SKIP_2) | instid1(SALU_CYCLE_1)
	v_cmp_gt_u32_e64 s12, s36, v15
	v_cmp_le_u32_e64 s13, s36, v15
	s_and_saveexec_b32 s37, s13
	s_xor_b32 s13, exec_lo, s37
	s_delay_alu instid0(SALU_CYCLE_1)
	s_and_not1_saveexec_b32 s13, s13
	s_cbranch_execz .LBB1607_29
; %bb.28:
	flat_load_b32 v1, v0, s[34:35] offset:13312 scale_offset
.LBB1607_29:
	s_wait_xcnt 0x0
	s_or_b32 exec_lo, exec_lo, s13
	v_lshlrev_b32_e32 v15, 2, v0
	s_mov_b32 s37, exec_lo
	s_wait_loadcnt_dscnt 0x0
	ds_store_2addr_stride64_b32 v15, v2, v3 offset1:4
	ds_store_2addr_stride64_b32 v15, v4, v5 offset0:8 offset1:12
	ds_store_2addr_stride64_b32 v15, v6, v7 offset0:16 offset1:20
	ds_store_2addr_stride64_b32 v15, v8, v9 offset0:24 offset1:28
	ds_store_2addr_stride64_b32 v15, v10, v11 offset0:32 offset1:36
	ds_store_2addr_stride64_b32 v15, v12, v13 offset0:40 offset1:44
	ds_store_2addr_stride64_b32 v15, v14, v1 offset0:48 offset1:52
	v_mov_b32_e32 v1, 0
	s_wait_dscnt 0x0
	s_barrier_signal -1
	s_barrier_wait -1
	flat_load_b32 v42, v1, s[34:35]
	s_wait_xcnt 0x0
	v_mad_u32_u24 v1, v0, 52, v15
	ds_load_2addr_b64 v[10:13], v1 offset1:1
	ds_load_2addr_b64 v[6:9], v1 offset0:2 offset1:3
	ds_load_2addr_b64 v[2:5], v1 offset0:4 offset1:5
	ds_load_b64 v[40:41], v1 offset:48
	v_mad_i32_i24 v1, 0xffffffcc, v0, v1
	s_wait_dscnt 0x3
	ds_store_b32 v1, v10 offset:15360
	s_wait_loadcnt_dscnt 0x0
	s_barrier_signal -1
	s_barrier_wait -1
	v_cmpx_ne_u32_e32 0xff, v0
; %bb.30:
	ds_load_b32 v42, v1 offset:15364
; %bb.31:
	s_or_b32 exec_lo, exec_lo, s37
	s_wait_dscnt 0x0
	s_barrier_signal -1
	s_barrier_wait -1
                                        ; implicit-def: $vgpr14
	s_and_saveexec_b32 s13, vcc_lo
	s_cbranch_execz .LBB1607_134
; %bb.32:
	flat_load_u16 v14, v0, s[30:31] scale_offset
	s_wait_xcnt 0x0
	s_or_b32 exec_lo, exec_lo, s13
                                        ; implicit-def: $vgpr15
	s_and_saveexec_b32 s13, s0
	s_cbranch_execnz .LBB1607_135
.LBB1607_33:
	s_or_b32 exec_lo, exec_lo, s13
                                        ; implicit-def: $vgpr16
	s_and_saveexec_b32 s0, s1
	s_cbranch_execz .LBB1607_136
.LBB1607_34:
	flat_load_u16 v16, v0, s[30:31] offset:1024 scale_offset
	s_wait_xcnt 0x0
	s_or_b32 exec_lo, exec_lo, s0
                                        ; implicit-def: $vgpr17
	s_and_saveexec_b32 s0, s2
	s_cbranch_execnz .LBB1607_137
.LBB1607_35:
	s_or_b32 exec_lo, exec_lo, s0
                                        ; implicit-def: $vgpr18
	s_and_saveexec_b32 s0, s3
	s_cbranch_execz .LBB1607_138
.LBB1607_36:
	flat_load_u16 v18, v0, s[30:31] offset:2048 scale_offset
	s_wait_xcnt 0x0
	s_or_b32 exec_lo, exec_lo, s0
                                        ; implicit-def: $vgpr19
	s_and_saveexec_b32 s0, s4
	s_cbranch_execnz .LBB1607_139
.LBB1607_37:
	s_or_b32 exec_lo, exec_lo, s0
                                        ; implicit-def: $vgpr20
	s_and_saveexec_b32 s0, s5
	s_cbranch_execz .LBB1607_140
.LBB1607_38:
	flat_load_u16 v20, v0, s[30:31] offset:3072 scale_offset
	s_wait_xcnt 0x0
	s_or_b32 exec_lo, exec_lo, s0
                                        ; implicit-def: $vgpr21
	s_and_saveexec_b32 s0, s6
	s_cbranch_execnz .LBB1607_141
.LBB1607_39:
	s_or_b32 exec_lo, exec_lo, s0
                                        ; implicit-def: $vgpr22
	s_and_saveexec_b32 s0, s7
	s_cbranch_execz .LBB1607_142
.LBB1607_40:
	flat_load_u16 v22, v0, s[30:31] offset:4096 scale_offset
	s_wait_xcnt 0x0
	s_or_b32 exec_lo, exec_lo, s0
                                        ; implicit-def: $vgpr23
	s_and_saveexec_b32 s0, s8
	s_cbranch_execnz .LBB1607_143
.LBB1607_41:
	s_or_b32 exec_lo, exec_lo, s0
                                        ; implicit-def: $vgpr24
	s_and_saveexec_b32 s0, s9
	s_cbranch_execz .LBB1607_144
.LBB1607_42:
	flat_load_u16 v24, v0, s[30:31] offset:5120 scale_offset
	s_wait_xcnt 0x0
	s_or_b32 exec_lo, exec_lo, s0
                                        ; implicit-def: $vgpr25
	s_and_saveexec_b32 s0, s10
	s_cbranch_execnz .LBB1607_145
.LBB1607_43:
	s_or_b32 exec_lo, exec_lo, s0
                                        ; implicit-def: $vgpr26
	s_and_saveexec_b32 s0, s11
	s_cbranch_execz .LBB1607_45
.LBB1607_44:
	flat_load_u16 v26, v0, s[30:31] offset:6144 scale_offset
.LBB1607_45:
	s_wait_xcnt 0x0
	s_or_b32 exec_lo, exec_lo, s0
	v_mul_u32_u24_e32 v44, 14, v0
                                        ; implicit-def: $vgpr27
	s_and_saveexec_b32 s0, s12
	s_cbranch_execz .LBB1607_47
; %bb.46:
	flat_load_u16 v27, v0, s[30:31] offset:6656 scale_offset
.LBB1607_47:
	s_wait_xcnt 0x0
	s_or_b32 exec_lo, exec_lo, s0
	v_lshlrev_b32_e32 v28, 1, v0
	v_mov_b64_e32 v[34:35], 0
	v_mov_b64_e32 v[38:39], 0
	;; [unrolled: 1-line block ×4, first 2 shown]
	v_sub_nc_u32_e32 v45, v1, v28
	v_mov_b64_e32 v[30:31], 0
	v_mov_b64_e32 v[28:29], 0
	v_mov_b32_e32 v1, 0
	s_mov_b32 s0, 0
	s_wait_loadcnt_dscnt 0x0
	ds_store_b16 v45, v14
	ds_store_b16 v45, v15 offset:512
	ds_store_b16 v45, v16 offset:1024
	;; [unrolled: 1-line block ×13, first 2 shown]
	v_mov_b64_e32 v[18:19], 0
	v_mov_b64_e32 v[20:21], 0
	;; [unrolled: 1-line block ×6, first 2 shown]
	s_mov_b32 s3, 0
	s_mov_b32 s1, exec_lo
	s_wait_dscnt 0x0
	s_barrier_signal -1
	s_barrier_wait -1
                                        ; implicit-def: $sgpr4
                                        ; implicit-def: $vgpr43
	v_cmpx_gt_u32_e64 s36, v44
	s_cbranch_execz .LBB1607_75
; %bb.48:
	v_mad_u32_u24 v1, v0, 26, v45
	v_cmp_eq_u32_e32 vcc_lo, v10, v11
	v_mov_b64_e32 v[34:35], 0
	v_mov_b64_e32 v[38:39], 0
	;; [unrolled: 1-line block ×3, first 2 shown]
	ds_load_u16 v1, v1
	v_or_b32_e32 v16, 1, v44
	v_mov_b64_e32 v[32:33], 0
	v_mov_b64_e32 v[30:31], 0
	v_mov_b64_e32 v[28:29], 0
	v_mov_b64_e32 v[18:19], 0
	v_mov_b64_e32 v[20:21], 0
	v_mov_b64_e32 v[22:23], 0
	v_mov_b64_e32 v[24:25], 0
	v_mov_b64_e32 v[26:27], 0
	v_mov_b64_e32 v[14:15], 0
	s_mov_b32 s2, exec_lo
                                        ; implicit-def: $sgpr4
                                        ; implicit-def: $vgpr43
	s_wait_dscnt 0x0
	v_cndmask_b32_e32 v10, s33, v1, vcc_lo
	v_cndmask_b32_e64 v1, 0x10000, 0, vcc_lo
	s_delay_alu instid0(VALU_DEP_2)
	v_and_b32_e32 v10, 0xffff, v10
	v_cmpx_gt_u32_e64 s36, v16
	s_cbranch_execz .LBB1607_74
; %bb.49:
	v_mul_u32_u24_e32 v14, 26, v0
	v_cmp_eq_u32_e32 vcc_lo, v11, v12
	v_mov_b64_e32 v[34:35], 0
	v_mov_b64_e32 v[38:39], 0
	;; [unrolled: 1-line block ×3, first 2 shown]
	v_dual_add_nc_u32 v45, v45, v14 :: v_dual_add_nc_u32 v28, 2, v44
	v_cndmask_b32_e64 v29, 0x10000, 0, vcc_lo
	v_mov_b64_e32 v[32:33], 0
	v_mov_b64_e32 v[30:31], 0
	ds_load_b128 v[14:17], v45 offset:2
	v_mov_b64_e32 v[18:19], 0
	v_mov_b64_e32 v[20:21], 0
	;; [unrolled: 1-line block ×5, first 2 shown]
	s_mov_b32 s5, 0
                                        ; implicit-def: $sgpr4
                                        ; implicit-def: $vgpr43
	s_wait_dscnt 0x0
	v_cndmask_b32_e32 v11, s33, v14, vcc_lo
	v_cmp_gt_u32_e32 vcc_lo, s36, v28
	s_delay_alu instid0(VALU_DEP_2) | instskip(NEXT) | instid1(VALU_DEP_1)
	v_and_b32_e32 v11, 0xffff, v11
	v_dual_mov_b32 v29, 0 :: v_dual_bitop2_b32 v28, v29, v11 bitop3:0x54
	s_and_saveexec_b32 s3, vcc_lo
	s_cbranch_execz .LBB1607_73
; %bb.50:
	v_dual_lshrrev_b32 v11, 16, v14 :: v_dual_add_nc_u32 v14, 3, v44
	v_cmp_eq_u32_e32 vcc_lo, v12, v13
	v_mov_b64_e32 v[34:35], 0
	v_mov_b64_e32 v[38:39], 0
	;; [unrolled: 1-line block ×4, first 2 shown]
	v_cndmask_b32_e32 v11, s33, v11, vcc_lo
	v_cndmask_b32_e64 v12, 0x10000, 0, vcc_lo
	v_mov_b64_e32 v[30:31], 0
	v_mov_b64_e32 v[18:19], 0
	;; [unrolled: 1-line block ×3, first 2 shown]
	v_and_b32_e32 v11, 0xffff, v11
	v_mov_b64_e32 v[22:23], 0
	v_mov_b64_e32 v[24:25], 0
	;; [unrolled: 1-line block ×3, first 2 shown]
	s_mov_b32 s6, 0
	v_or_b32_e32 v29, v12, v11
	s_mov_b32 s5, exec_lo
                                        ; implicit-def: $sgpr4
                                        ; implicit-def: $vgpr43
	v_cmpx_gt_u32_e64 s36, v14
	s_cbranch_execz .LBB1607_72
; %bb.51:
	v_cmp_eq_u32_e32 vcc_lo, v13, v6
	v_mov_b64_e32 v[34:35], 0
	v_mov_b64_e32 v[38:39], 0
	;; [unrolled: 1-line block ×4, first 2 shown]
	v_dual_cndmask_b32 v11, s33, v15 :: v_dual_add_nc_u32 v12, 4, v44
	v_cndmask_b32_e64 v13, 0x10000, 0, vcc_lo
	v_mov_b64_e32 v[18:19], 0
	v_mov_b64_e32 v[20:21], 0
	s_delay_alu instid0(VALU_DEP_4)
	v_and_b32_e32 v11, 0xffff, v11
	v_mov_b64_e32 v[22:23], 0
	v_mov_b64_e32 v[24:25], 0
	s_mov_b32 s7, 0
	s_mov_b32 s6, exec_lo
	v_dual_mov_b32 v31, 0 :: v_dual_bitop2_b32 v30, v13, v11 bitop3:0x54
                                        ; implicit-def: $sgpr4
                                        ; implicit-def: $vgpr43
	v_cmpx_gt_u32_e64 s36, v12
	s_cbranch_execz .LBB1607_71
; %bb.52:
	v_dual_lshrrev_b32 v11, 16, v15 :: v_dual_add_nc_u32 v12, 5, v44
	v_cmp_eq_u32_e32 vcc_lo, v6, v7
	v_mov_b64_e32 v[34:35], 0
	v_mov_b64_e32 v[38:39], 0
	;; [unrolled: 1-line block ×4, first 2 shown]
	v_cndmask_b32_e32 v6, s33, v11, vcc_lo
	v_cndmask_b32_e64 v11, 0x10000, 0, vcc_lo
	v_mov_b64_e32 v[18:19], 0
	v_mov_b64_e32 v[20:21], 0
	;; [unrolled: 1-line block ×3, first 2 shown]
	v_and_b32_e32 v6, 0xffff, v6
	v_mov_b64_e32 v[24:25], 0
	s_mov_b32 s8, 0
	s_mov_b32 s7, exec_lo
                                        ; implicit-def: $sgpr4
                                        ; implicit-def: $vgpr43
	s_delay_alu instid0(VALU_DEP_2)
	v_or_b32_e32 v31, v11, v6
	v_cmpx_gt_u32_e64 s36, v12
	s_cbranch_execz .LBB1607_70
; %bb.53:
	v_cmp_eq_u32_e32 vcc_lo, v7, v8
	v_mov_b64_e32 v[34:35], 0
	v_mov_b64_e32 v[38:39], 0
	;; [unrolled: 1-line block ×4, first 2 shown]
	v_dual_cndmask_b32 v6, s33, v16 :: v_dual_mov_b32 v33, 0
	v_cndmask_b32_e64 v11, 0x10000, 0, vcc_lo
	v_mov_b64_e32 v[20:21], 0
	v_mov_b64_e32 v[22:23], 0
	s_delay_alu instid0(VALU_DEP_4) | instskip(SKIP_3) | instid1(VALU_DEP_2)
	v_and_b32_e32 v6, 0xffff, v6
	v_add_nc_u32_e32 v7, 6, v44
	s_mov_b32 s9, 0
	s_mov_b32 s8, exec_lo
                                        ; implicit-def: $sgpr4
                                        ; implicit-def: $vgpr43
	v_or_b32_e32 v32, v11, v6
	s_delay_alu instid0(VALU_DEP_2)
	v_cmpx_gt_u32_e64 s36, v7
	s_cbranch_execz .LBB1607_69
; %bb.54:
	v_lshrrev_b32_e32 v6, 16, v16
	v_cmp_eq_u32_e32 vcc_lo, v8, v9
	v_mov_b64_e32 v[34:35], 0
	v_mov_b64_e32 v[38:39], 0
	;; [unrolled: 1-line block ×3, first 2 shown]
	v_dual_cndmask_b32 v6, s33, v6 :: v_dual_add_nc_u32 v7, 7, v44
	v_cndmask_b32_e64 v8, 0x10000, 0, vcc_lo
	v_mov_b64_e32 v[18:19], 0
	v_mov_b64_e32 v[20:21], 0
	;; [unrolled: 1-line block ×3, first 2 shown]
	v_and_b32_e32 v6, 0xffff, v6
	s_mov_b32 s10, 0
	s_mov_b32 s9, exec_lo
                                        ; implicit-def: $sgpr4
                                        ; implicit-def: $vgpr43
	s_delay_alu instid0(VALU_DEP_1)
	v_or_b32_e32 v33, v8, v6
	v_cmpx_gt_u32_e64 s36, v7
	s_cbranch_execz .LBB1607_68
; %bb.55:
	v_cmp_eq_u32_e32 vcc_lo, v9, v2
	v_mov_b64_e32 v[34:35], 0
	v_mov_b64_e32 v[38:39], 0
	;; [unrolled: 1-line block ×4, first 2 shown]
	v_dual_cndmask_b32 v6, s33, v17 :: v_dual_add_nc_u32 v7, 8, v44
	v_cndmask_b32_e64 v8, 0x10000, 0, vcc_lo
	s_mov_b32 s11, 0
	s_mov_b32 s10, exec_lo
	s_delay_alu instid0(VALU_DEP_2) | instskip(NEXT) | instid1(VALU_DEP_1)
	v_and_b32_e32 v6, 0xffff, v6
                                        ; implicit-def: $sgpr4
                                        ; implicit-def: $vgpr43
	v_dual_mov_b32 v37, 0 :: v_dual_bitop2_b32 v36, v8, v6 bitop3:0x54
	v_cmpx_gt_u32_e64 s36, v7
	s_cbranch_execz .LBB1607_67
; %bb.56:
	v_cmp_eq_u32_e32 vcc_lo, v2, v3
	v_mov_b64_e32 v[34:35], 0
	v_mov_b64_e32 v[38:39], 0
	;; [unrolled: 1-line block ×4, first 2 shown]
	v_cndmask_b32_e64 v7, 0x10000, 0, vcc_lo
	v_lshrrev_b32_e32 v6, 16, v17
	s_mov_b32 s12, 0
	s_mov_b32 s11, exec_lo
                                        ; implicit-def: $sgpr4
                                        ; implicit-def: $vgpr43
	s_delay_alu instid0(VALU_DEP_1) | instskip(NEXT) | instid1(VALU_DEP_1)
	v_dual_cndmask_b32 v2, s33, v6, vcc_lo :: v_dual_add_nc_u32 v6, 9, v44
	v_and_b32_e32 v2, 0xffff, v2
	s_delay_alu instid0(VALU_DEP_1) | instskip(NEXT) | instid1(VALU_DEP_3)
	v_or_b32_e32 v37, v7, v2
	v_cmpx_gt_u32_e64 s36, v6
	s_cbranch_execz .LBB1607_66
; %bb.57:
	ds_load_b64 v[6:7], v45 offset:18
	v_cmp_eq_u32_e32 vcc_lo, v3, v4
	v_mov_b64_e32 v[34:35], 0
	v_mov_b64_e32 v[18:19], 0
	s_mov_b32 s13, 0
	s_mov_b32 s12, exec_lo
	v_cndmask_b32_e64 v8, 0x10000, 0, vcc_lo
                                        ; implicit-def: $sgpr4
                                        ; implicit-def: $vgpr43
	v_dual_add_nc_u32 v3, 10, v44 :: v_dual_mov_b32 v39, 0
	s_wait_dscnt 0x0
	v_cndmask_b32_e32 v2, s33, v6, vcc_lo
	s_delay_alu instid0(VALU_DEP_1) | instskip(NEXT) | instid1(VALU_DEP_1)
	v_and_b32_e32 v2, 0xffff, v2
	v_or_b32_e32 v38, v8, v2
	v_cmpx_gt_u32_e64 s36, v3
	s_cbranch_execz .LBB1607_65
; %bb.58:
	v_lshrrev_b32_e32 v2, 16, v6
	v_cmp_eq_u32_e32 vcc_lo, v4, v5
	v_add_nc_u32_e32 v4, 11, v44
	v_mov_b64_e32 v[34:35], 0
	s_mov_b32 s37, 0
	s_mov_b32 s13, exec_lo
	v_cndmask_b32_e32 v2, s33, v2, vcc_lo
	v_cndmask_b32_e64 v3, 0x10000, 0, vcc_lo
                                        ; implicit-def: $sgpr4
                                        ; implicit-def: $vgpr43
	s_delay_alu instid0(VALU_DEP_2) | instskip(NEXT) | instid1(VALU_DEP_1)
	v_and_b32_e32 v2, 0xffff, v2
	v_or_b32_e32 v39, v3, v2
	v_cmpx_gt_u32_e64 s36, v4
	s_cbranch_execz .LBB1607_64
; %bb.59:
	v_cmp_eq_u32_e32 vcc_lo, v5, v40
	s_mov_b32 s38, 0
	s_mov_b32 s37, exec_lo
                                        ; implicit-def: $sgpr4
                                        ; implicit-def: $vgpr43
	v_dual_add_nc_u32 v3, 12, v44 :: v_dual_mov_b32 v35, 0
	v_cndmask_b32_e32 v2, s33, v7, vcc_lo
	v_cndmask_b32_e64 v4, 0x10000, 0, vcc_lo
	s_delay_alu instid0(VALU_DEP_2) | instskip(NEXT) | instid1(VALU_DEP_1)
	v_and_b32_e32 v2, 0xffff, v2
	v_or_b32_e32 v34, v4, v2
	v_cmpx_gt_u32_e64 s36, v3
	s_cbranch_execz .LBB1607_63
; %bb.60:
	v_dual_lshrrev_b32 v2, 16, v7 :: v_dual_add_nc_u32 v4, 13, v44
	v_cmp_eq_u32_e32 vcc_lo, v40, v41
                                        ; implicit-def: $sgpr4
                                        ; implicit-def: $vgpr43
	s_delay_alu instid0(VALU_DEP_2) | instskip(SKIP_1) | instid1(VALU_DEP_4)
	v_cndmask_b32_e32 v2, s33, v2, vcc_lo
	v_cndmask_b32_e64 v3, 0x10000, 0, vcc_lo
	v_cmp_gt_u32_e32 vcc_lo, s36, v4
	s_mov_b32 s36, 0
	s_delay_alu instid0(VALU_DEP_3) | instskip(NEXT) | instid1(VALU_DEP_1)
	v_and_b32_e32 v2, 0xffff, v2
	v_or_b32_e32 v35, v3, v2
	s_and_saveexec_b32 s38, vcc_lo
	s_delay_alu instid0(SALU_CYCLE_1)
	s_xor_b32 s38, exec_lo, s38
	s_cbranch_execz .LBB1607_62
; %bb.61:
	ds_load_u16 v2, v45 offset:26
	v_cmp_ne_u32_e64 s4, v41, v42
	s_mov_b32 s36, exec_lo
	s_wait_dscnt 0x0
	v_cndmask_b32_e64 v43, v2, s33, s4
.LBB1607_62:
	s_or_b32 exec_lo, exec_lo, s38
	s_delay_alu instid0(SALU_CYCLE_1)
	s_and_b32 s38, s36, exec_lo
.LBB1607_63:
	s_or_b32 exec_lo, exec_lo, s37
	s_delay_alu instid0(SALU_CYCLE_1)
	s_and_b32 s37, s38, exec_lo
.LBB1607_64:
	s_or_b32 exec_lo, exec_lo, s13
	v_mov_b64_e32 v[18:19], v[34:35]
	s_and_b32 s13, s37, exec_lo
.LBB1607_65:
	s_or_b32 exec_lo, exec_lo, s12
	s_delay_alu instid0(VALU_DEP_2)
	v_mov_b64_e32 v[20:21], v[38:39]
	s_and_b32 s12, s13, exec_lo
.LBB1607_66:
	s_or_b32 exec_lo, exec_lo, s11
	s_delay_alu instid0(SALU_CYCLE_1)
	s_and_b32 s11, s12, exec_lo
.LBB1607_67:
	s_or_b32 exec_lo, exec_lo, s10
	s_delay_alu instid0(VALU_DEP_2)
	v_mov_b64_e32 v[22:23], v[36:37]
	s_and_b32 s10, s11, exec_lo
.LBB1607_68:
	s_or_b32 exec_lo, exec_lo, s9
	s_delay_alu instid0(SALU_CYCLE_1)
	s_and_b32 s9, s10, exec_lo
.LBB1607_69:
	s_or_b32 exec_lo, exec_lo, s8
	s_delay_alu instid0(VALU_DEP_2)
	v_mov_b64_e32 v[24:25], v[32:33]
	s_and_b32 s8, s9, exec_lo
.LBB1607_70:
	s_or_b32 exec_lo, exec_lo, s7
	s_delay_alu instid0(SALU_CYCLE_1)
	s_and_b32 s7, s8, exec_lo
.LBB1607_71:
	s_or_b32 exec_lo, exec_lo, s6
	s_delay_alu instid0(VALU_DEP_2)
	v_mov_b64_e32 v[26:27], v[30:31]
	s_and_b32 s6, s7, exec_lo
.LBB1607_72:
	s_or_b32 exec_lo, exec_lo, s5
	s_delay_alu instid0(SALU_CYCLE_1)
	s_and_b32 s5, s6, exec_lo
.LBB1607_73:
	s_or_b32 exec_lo, exec_lo, s3
	s_delay_alu instid0(VALU_DEP_1)
	v_mov_b64_e32 v[14:15], v[28:29]
	s_and_b32 s3, s5, exec_lo
.LBB1607_74:
	s_or_b32 exec_lo, exec_lo, s2
	s_delay_alu instid0(VALU_DEP_2)
	v_or_b32_e32 v1, v1, v10
	s_and_b32 s3, s3, exec_lo
.LBB1607_75:
	s_or_b32 exec_lo, exec_lo, s1
	s_delay_alu instid0(SALU_CYCLE_1)
	s_and_b32 vcc_lo, exec_lo, s0
	s_cbranch_vccnz .LBB1607_77
	s_branch .LBB1607_82
.LBB1607_76:
                                        ; implicit-def: $sgpr4
                                        ; implicit-def: $vgpr34_vgpr35
                                        ; implicit-def: $vgpr38_vgpr39
                                        ; implicit-def: $vgpr36_vgpr37
                                        ; implicit-def: $vgpr32_vgpr33
                                        ; implicit-def: $vgpr30_vgpr31
                                        ; implicit-def: $vgpr28_vgpr29
                                        ; implicit-def: $vgpr43
                                        ; implicit-def: $vgpr1
                                        ; implicit-def: $vgpr18_vgpr19
                                        ; implicit-def: $vgpr20_vgpr21
                                        ; implicit-def: $vgpr22_vgpr23
                                        ; implicit-def: $vgpr24_vgpr25
                                        ; implicit-def: $vgpr26_vgpr27
                                        ; implicit-def: $vgpr14_vgpr15
	s_cbranch_execz .LBB1607_82
.LBB1607_77:
	s_clause 0xd
	flat_load_b32 v1, v0, s[34:35] scale_offset
	flat_load_b32 v2, v0, s[34:35] offset:1024 scale_offset
	flat_load_b32 v3, v0, s[34:35] offset:2048 scale_offset
	;; [unrolled: 1-line block ×13, first 2 shown]
	v_dual_mov_b32 v16, 0 :: v_dual_lshlrev_b32 v15, 2, v0
	s_mov_b32 s0, exec_lo
	s_wait_loadcnt_dscnt 0xc0c
	ds_store_2addr_stride64_b32 v15, v1, v2 offset1:4
	s_wait_loadcnt_dscnt 0xa0b
	ds_store_2addr_stride64_b32 v15, v3, v4 offset0:8 offset1:12
	s_wait_loadcnt_dscnt 0x80a
	ds_store_2addr_stride64_b32 v15, v5, v6 offset0:16 offset1:20
	;; [unrolled: 2-line block ×6, first 2 shown]
	s_wait_dscnt 0x0
	s_barrier_signal -1
	s_barrier_wait -1
	flat_load_b32 v22, v16, s[34:35] offset:14336
	v_mad_u32_u24 v14, v0, 52, v15
	ds_load_b32 v1, v14
	ds_load_2addr_b32 v[20:21], v14 offset0:1 offset1:2
	ds_load_2addr_b64 v[6:9], v14 offset0:1 offset1:2
	ds_load_2addr_b64 v[10:13], v14 offset0:3 offset1:4
	;; [unrolled: 1-line block ×3, first 2 shown]
	v_mad_i32_i24 v14, 0xffffffcc, v0, v14
	s_wait_dscnt 0x4
	ds_store_b32 v14, v1 offset:15360
	s_wait_loadcnt_dscnt 0x0
	s_barrier_signal -1
	s_barrier_wait -1
	v_cmpx_ne_u32_e32 0xff, v0
; %bb.78:
	ds_load_b32 v22, v14 offset:15364
; %bb.79:
	s_or_b32 exec_lo, exec_lo, s0
	s_wait_dscnt 0x0
	s_barrier_signal -1
	s_barrier_wait -1
	s_clause 0xd
	flat_load_u16 v15, v0, s[30:31] scale_offset
	flat_load_u16 v16, v0, s[30:31] offset:512 scale_offset
	flat_load_u16 v17, v0, s[30:31] offset:1024 scale_offset
	;; [unrolled: 1-line block ×13, first 2 shown]
	v_lshlrev_b32_e32 v25, 1, v0
	v_cmp_eq_u32_e32 vcc_lo, v1, v20
	v_mov_b32_e32 v1, 0x10000
	s_delay_alu instid0(VALU_DEP_3)
	v_sub_nc_u32_e32 v25, v14, v25
	s_wait_loadcnt_dscnt 0xd0d
	ds_store_b16 v25, v15
	s_wait_loadcnt_dscnt 0xc0d
	ds_store_b16 v25, v16 offset:512
	s_wait_loadcnt_dscnt 0xb0d
	ds_store_b16 v25, v17 offset:1024
	;; [unrolled: 2-line block ×13, first 2 shown]
	v_mad_u32_u24 v33, v0, 26, v25
	s_wait_dscnt 0x0
	s_barrier_signal -1
	s_barrier_wait -1
	ds_load_b128 v[14:17], v33 offset:2
	ds_load_b64 v[18:19], v33 offset:18
	ds_load_u16 v23, v33 offset:26
	v_mov_b32_e32 v24, s33
	s_and_saveexec_b32 s0, vcc_lo
	s_cbranch_execz .LBB1607_81
; %bb.80:
	v_mul_u32_u24_e32 v1, 26, v0
	s_delay_alu instid0(VALU_DEP_1)
	v_add_nc_u32_e32 v1, v25, v1
	ds_load_u16 v24, v1
	v_mov_b32_e32 v1, 0
.LBB1607_81:
	s_or_b32 exec_lo, exec_lo, s0
	v_cmp_eq_u32_e32 vcc_lo, v20, v6
	s_wait_dscnt 0x2
	v_lshrrev_b32_e32 v6, 16, v14
	v_cmp_eq_u32_e64 s0, v21, v7
	v_cmp_eq_u32_e64 s1, v7, v8
	v_lshrrev_b32_e32 v7, 16, v15
	v_cmp_eq_u32_e64 s5, v13, v2
	v_cmp_eq_u32_e64 s6, v2, v3
	;; [unrolled: 1-line block ×3, first 2 shown]
	s_wait_dscnt 0x1
	v_dual_cndmask_b32 v2, s33, v6, s0 :: v_dual_lshrrev_b32 v20, 16, v19
	v_cndmask_b32_e32 v3, s33, v14, vcc_lo
	v_cmp_eq_u32_e64 s2, v8, v9
	v_cmp_eq_u32_e64 s4, v12, v13
	s_wait_dscnt 0x0
	v_and_b32_e32 v6, 0xffff, v24
	v_cndmask_b32_e64 v13, 0x10000, 0, s0
	v_cndmask_b32_e64 v14, 0x10000, 0, vcc_lo
	v_and_b32_e32 v2, 0xffff, v2
	v_cmp_eq_u32_e32 vcc_lo, v4, v5
	v_lshrrev_b32_e32 v4, 16, v16
	v_and_b32_e32 v3, 0xffff, v3
	v_or_b32_e32 v1, v1, v6
	v_dual_cndmask_b32 v2, s33, v7, s2 :: v_dual_bitop2_b32 v29, v13, v2 bitop3:0x54
	v_cndmask_b32_e64 v7, 0x10000, 0, s1
	v_cmp_eq_u32_e64 s0, v10, v11
	v_or_b32_e32 v28, v14, v3
	v_cndmask_b32_e64 v3, s33, v15, s1
	v_cmp_eq_u32_e64 s1, v9, v10
	v_lshrrev_b32_e32 v8, 16, v17
	v_cndmask_b32_e64 v6, 0x10000, 0, s2
	v_and_b32_e32 v2, 0xffff, v2
	v_and_b32_e32 v3, 0xffff, v3
	v_cndmask_b32_e64 v9, s33, v16, s1
	v_cmp_eq_u32_e64 s3, v11, v12
	v_dual_lshrrev_b32 v12, 16, v18 :: v_dual_cndmask_b32 v4, s33, v4, s0
	v_or_b32_e32 v31, v6, v2
	v_cndmask_b32_e64 v2, 0x10000, 0, s1
	v_and_b32_e32 v6, 0xffff, v9
	v_dual_cndmask_b32 v3, s33, v8, s4 :: v_dual_bitop2_b32 v30, v7, v3 bitop3:0x54
	v_cndmask_b32_e64 v10, 0x10000, 0, s0
	v_and_b32_e32 v4, 0xffff, v4
	s_delay_alu instid0(VALU_DEP_4) | instskip(SKIP_2) | instid1(VALU_DEP_4)
	v_dual_cndmask_b32 v7, s33, v12, s6 :: v_dual_bitop2_b32 v32, v2, v6 bitop3:0x54
	v_cndmask_b32_e64 v2, 0x10000, 0, s4
	v_and_b32_e32 v3, 0xffff, v3
	v_dual_cndmask_b32 v8, s33, v18, s5 :: v_dual_bitop2_b32 v33, v10, v4 bitop3:0x54
	v_cndmask_b32_e64 v4, s33, v17, s3
	v_cndmask_b32_e64 v9, 0x10000, 0, s6
	;; [unrolled: 1-line block ×3, first 2 shown]
	v_and_b32_e32 v7, 0xffff, v7
	v_dual_cndmask_b32 v11, s33, v20, vcc_lo :: v_dual_bitop2_b32 v37, v2, v3 bitop3:0x54
	v_and_b32_e32 v8, 0xffff, v8
	v_cndmask_b32_e64 v12, s33, v19, s7
	v_cndmask_b32_e64 v6, 0x10000, 0, s3
	v_and_b32_e32 v4, 0xffff, v4
	v_cndmask_b32_e64 v13, 0x10000, 0, vcc_lo
	v_cndmask_b32_e64 v14, 0x10000, 0, s7
	v_or_b32_e32 v39, v9, v7
	v_and_b32_e32 v11, 0xffff, v11
	v_or_b32_e32 v38, v10, v8
	v_and_b32_e32 v12, 0xffff, v12
	v_or_b32_e32 v36, v6, v4
	v_cmp_ne_u32_e64 s4, v5, v22
	v_or_b32_e32 v35, v13, v11
	v_mov_b64_e32 v[20:21], v[38:39]
	v_or_b32_e32 v34, v14, v12
	v_mov_b64_e32 v[24:25], v[32:33]
	v_cndmask_b32_e64 v43, v23, s33, s4
	v_mov_b64_e32 v[22:23], v[36:37]
	v_mov_b64_e32 v[26:27], v[30:31]
	;; [unrolled: 1-line block ×4, first 2 shown]
	s_mov_b32 s3, -1
.LBB1607_82:
	v_mov_b32_e32 v10, 0
	s_and_saveexec_b32 s0, s3
	s_cbranch_execz .LBB1607_84
; %bb.83:
	v_and_b32_e32 v2, 0xffff, v43
	v_cndmask_b32_e64 v3, 0, 0x10000, s4
	v_mov_b64_e32 v[14:15], v[28:29]
	v_mov_b64_e32 v[26:27], v[30:31]
	;; [unrolled: 1-line block ×6, first 2 shown]
	v_or_b32_e32 v10, v3, v2
.LBB1607_84:
	s_or_b32 exec_lo, exec_lo, s0
	s_delay_alu instid0(VALU_DEP_2)
	v_cmp_gt_u32_e64 s11, 0x10000, v14
	v_cmp_gt_u32_e64 s10, 0x10000, v15
	;; [unrolled: 1-line block ×8, first 2 shown]
	v_dual_lshrrev_b32 v11, 16, v1 :: v_dual_bitop2_b32 v16, v22, v23 bitop3:0x54
	v_cmp_gt_u32_e64 s4, 0x10000, v20
	v_cmp_gt_u32_e64 s2, 0x10000, v21
	;; [unrolled: 1-line block ×4, first 2 shown]
	v_or3_b32 v13, v18, v19, v21
	v_cmp_gt_u32_e64 s12, 0x10000, v10
	v_lshrrev_b32_e32 v12, 3, v0
	s_cmp_lg_u32 s28, 0
	v_cmp_gt_u32_e32 vcc_lo, 32, v0
	s_barrier_signal -1
	s_barrier_wait -1
	s_cbranch_scc0 .LBB1607_146
; %bb.85:
	v_dual_cndmask_b32 v2, 0, v1, s11 :: v_dual_bitop2_b32 v5, 28, v12 bitop3:0x40
	v_or3_b32 v3, v16, v25, v24
	v_or3_b32 v4, v13, v20, v10
	s_delay_alu instid0(VALU_DEP_3) | instskip(NEXT) | instid1(VALU_DEP_3)
	v_add_nc_u16 v2, v2, v14
	v_or3_b32 v3, v3, v27, v26
	s_delay_alu instid0(VALU_DEP_2) | instskip(NEXT) | instid1(VALU_DEP_2)
	v_cndmask_b32_e64 v2, 0, v2, s10
	v_or3_b32 v3, v3, v15, v14
	s_delay_alu instid0(VALU_DEP_2) | instskip(NEXT) | instid1(VALU_DEP_2)
	v_add_nc_u16 v2, v2, v15
	v_bitop3_b32 v3, v4, 0xff0000, v3 bitop3:0xc8
	v_lshl_add_u32 v4, v0, 2, v5
	s_delay_alu instid0(VALU_DEP_3) | instskip(NEXT) | instid1(VALU_DEP_1)
	v_cndmask_b32_e64 v2, 0, v2, s9
	v_add_nc_u16 v2, v2, v26
	s_delay_alu instid0(VALU_DEP_1) | instskip(NEXT) | instid1(VALU_DEP_1)
	v_cndmask_b32_e64 v2, 0, v2, s8
	v_add_nc_u16 v2, v2, v27
	s_delay_alu instid0(VALU_DEP_1) | instskip(NEXT) | instid1(VALU_DEP_1)
	v_cndmask_b32_e64 v2, 0, v2, s7
	v_add_nc_u16 v2, v2, v24
	s_delay_alu instid0(VALU_DEP_1) | instskip(NEXT) | instid1(VALU_DEP_1)
	v_cndmask_b32_e64 v2, 0, v2, s6
	v_add_nc_u16 v2, v2, v25
	s_delay_alu instid0(VALU_DEP_1) | instskip(NEXT) | instid1(VALU_DEP_1)
	v_cndmask_b32_e64 v2, 0, v2, s5
	v_add_nc_u16 v2, v2, v22
	s_delay_alu instid0(VALU_DEP_1) | instskip(NEXT) | instid1(VALU_DEP_1)
	v_cndmask_b32_e64 v2, 0, v2, s3
	v_add_nc_u16 v2, v2, v23
	s_delay_alu instid0(VALU_DEP_1) | instskip(NEXT) | instid1(VALU_DEP_1)
	v_cndmask_b32_e64 v2, 0, v2, s4
	v_add_nc_u16 v2, v2, v20
	s_delay_alu instid0(VALU_DEP_1) | instskip(NEXT) | instid1(VALU_DEP_1)
	v_cndmask_b32_e64 v2, 0, v2, s2
	v_add_nc_u16 v2, v2, v21
	s_delay_alu instid0(VALU_DEP_1) | instskip(NEXT) | instid1(VALU_DEP_1)
	v_cndmask_b32_e64 v2, 0, v2, s1
	v_add_nc_u16 v2, v2, v18
	s_delay_alu instid0(VALU_DEP_1) | instskip(NEXT) | instid1(VALU_DEP_1)
	v_cndmask_b32_e64 v2, 0, v2, s0
	v_add_nc_u16 v2, v2, v19
	s_delay_alu instid0(VALU_DEP_1) | instskip(SKIP_1) | instid1(VALU_DEP_2)
	v_cndmask_b32_e64 v2, 0, v2, s12
	v_cmp_eq_u32_e64 s12, 0, v3
	v_add_nc_u16 v17, v2, v10
	s_delay_alu instid0(VALU_DEP_2)
	v_cndmask_b32_e64 v28, 1, v11, s12
	ds_store_b16 v4, v17
	ds_store_b8 v4, v28 offset:2
	s_wait_dscnt 0x0
	s_barrier_signal -1
	s_barrier_wait -1
	s_and_saveexec_b32 s13, vcc_lo
	s_cbranch_execz .LBB1607_97
; %bb.86:
	v_and_b32_e32 v2, 0xfc, v0
	v_lshlrev_b32_e32 v3, 5, v0
	s_mov_b32 s30, exec_lo
	s_delay_alu instid0(VALU_DEP_1)
	v_add_nc_u32_e32 v2, v2, v3
	ds_load_u8 v4, v2 offset:6
	ds_load_b32 v3, v2
	ds_load_u16 v5, v2 offset:4
	ds_load_u8 v6, v2 offset:10
	ds_load_u16 v7, v2 offset:8
	ds_load_u16 v8, v2 offset:12
	ds_load_u8 v9, v2 offset:14
	ds_load_u16 v29, v2 offset:16
	s_wait_dscnt 0x7
	v_cmp_eq_u16_e64 s12, 0, v4
	s_wait_dscnt 0x4
	s_delay_alu instid0(VALU_DEP_1) | instskip(SKIP_1) | instid1(VALU_DEP_2)
	v_dual_cndmask_b32 v30, 0, v3, s12 :: v_dual_bitop2_b32 v4, v6, v4 bitop3:0x54
	v_cmp_eq_u16_e64 s12, 0, v6
	v_add_nc_u16 v5, v30, v5
	ds_load_u8 v30, v2 offset:18
	v_cndmask_b32_e64 v5, 0, v5, s12
	s_wait_dscnt 0x2
	v_cmp_eq_u16_e64 s12, 0, v9
	s_delay_alu instid0(VALU_DEP_2) | instskip(SKIP_2) | instid1(VALU_DEP_1)
	v_add_nc_u16 v5, v5, v7
	ds_load_u8 v7, v2 offset:22
	v_cndmask_b32_e64 v5, 0, v5, s12
	v_add_nc_u16 v5, v5, v8
	ds_load_u16 v8, v2 offset:20
	ds_load_u16 v31, v2 offset:24
	ds_load_u8 v32, v2 offset:26
	ds_load_u16 v33, v2 offset:28
	ds_load_u8 v34, v2 offset:30
	s_wait_dscnt 0x6
	v_cmp_eq_u16_e64 s12, 0, v30
	v_bitop3_b16 v6, v4, v30, v9 bitop3:0xfe
	v_and_b32_e32 v4, 0x10000, v3
	s_delay_alu instid0(VALU_DEP_3)
	v_cndmask_b32_e64 v5, 0, v5, s12
	s_wait_dscnt 0x5
	v_cmp_eq_u16_e64 s12, 0, v7
	s_wait_dscnt 0x2
	v_bitop3_b16 v6, v6, v32, v7 bitop3:0xfe
	s_wait_dscnt 0x0
	v_and_b32_e32 v7, 1, v34
	v_add_nc_u16 v5, v5, v29
	s_delay_alu instid0(VALU_DEP_1) | instskip(SKIP_1) | instid1(VALU_DEP_2)
	v_cndmask_b32_e64 v5, 0, v5, s12
	v_cmp_eq_u16_e64 s12, 0, v32
	v_add_nc_u16 v5, v5, v8
	s_delay_alu instid0(VALU_DEP_1) | instskip(SKIP_1) | instid1(VALU_DEP_2)
	v_cndmask_b32_e64 v5, 0, v5, s12
	v_cmp_eq_u16_e64 s12, 0, v34
	;; [unrolled: 4-line block ×3, first 2 shown]
	v_add_nc_u16 v6, v5, v33
	s_delay_alu instid0(VALU_DEP_2) | instskip(SKIP_4) | instid1(VALU_DEP_4)
	v_cndmask_b32_e64 v8, 0x10000, v4, s12
	v_cmp_eq_u32_e64 s12, 1, v7
	v_and_b32_e32 v5, 0xff000000, v3
	v_mbcnt_lo_u32_b32 v7, -1, 0
	v_and_b32_e32 v9, 0xffff, v6
	v_cndmask_b32_e64 v8, v8, 0x10000, s12
	s_delay_alu instid0(VALU_DEP_1) | instskip(NEXT) | instid1(VALU_DEP_3)
	v_or_b32_e32 v29, v8, v5
	v_or3_b32 v30, v5, v9, v8
	s_delay_alu instid0(VALU_DEP_2) | instskip(NEXT) | instid1(VALU_DEP_2)
	v_dual_lshrrev_b32 v9, 16, v29 :: v_dual_bitop2_b32 v8, 15, v7 bitop3:0x40
	v_mov_b32_dpp v31, v30 row_shr:1 row_mask:0xf bank_mask:0xf
	s_delay_alu instid0(VALU_DEP_2)
	v_cmpx_ne_u32_e32 0, v8
	s_cbranch_execz .LBB1607_88
; %bb.87:
	s_delay_alu instid0(VALU_DEP_2) | instskip(SKIP_1) | instid1(VALU_DEP_2)
	v_dual_lshrrev_b32 v9, 16, v29 :: v_dual_lshrrev_b32 v30, 16, v31
	v_and_b32_e32 v29, 0x10000, v29
	v_and_b32_e32 v9, 0xff, v9
	s_delay_alu instid0(VALU_DEP_1) | instskip(NEXT) | instid1(VALU_DEP_1)
	v_cmp_eq_u16_e64 s12, 0, v9
	v_dual_cndmask_b32 v31, 0, v31, s12 :: v_dual_bitop2_b32 v30, 1, v30 bitop3:0x40
	s_delay_alu instid0(VALU_DEP_4) | instskip(NEXT) | instid1(VALU_DEP_2)
	v_cmp_ne_u32_e64 s12, 0, v29
	v_add_nc_u16 v6, v31, v6
	s_delay_alu instid0(VALU_DEP_2) | instskip(NEXT) | instid1(VALU_DEP_2)
	v_cndmask_b32_e64 v9, v30, 1, s12
	v_and_b32_e32 v30, 0xffff, v6
	s_delay_alu instid0(VALU_DEP_2) | instskip(NEXT) | instid1(VALU_DEP_1)
	v_lshlrev_b32_e32 v29, 16, v9
	v_or3_b32 v30, v29, v30, v5
.LBB1607_88:
	s_or_b32 exec_lo, exec_lo, s30
	s_delay_alu instid0(VALU_DEP_1)
	v_lshrrev_b32_e32 v29, 16, v30
	v_mov_b32_dpp v31, v30 row_shr:2 row_mask:0xf bank_mask:0xf
	s_mov_b32 s30, exec_lo
	v_cmpx_lt_u32_e32 1, v8
	s_cbranch_execz .LBB1607_90
; %bb.89:
	v_and_b32_e32 v29, 0xff, v29
	v_and_b32_e32 v30, 0x10000, v30
	s_delay_alu instid0(VALU_DEP_2) | instskip(NEXT) | instid1(VALU_DEP_1)
	v_cmp_eq_u16_e64 s12, 0, v29
	v_dual_lshrrev_b32 v9, 16, v31 :: v_dual_cndmask_b32 v29, 0, v31, s12
	s_delay_alu instid0(VALU_DEP_1) | instskip(NEXT) | instid1(VALU_DEP_4)
	v_and_b32_e32 v9, 1, v9
	v_cmp_ne_u32_e64 s12, 0, v30
	s_delay_alu instid0(VALU_DEP_3) | instskip(NEXT) | instid1(VALU_DEP_2)
	v_add_nc_u16 v6, v29, v6
	v_cndmask_b32_e64 v9, v9, 1, s12
	s_delay_alu instid0(VALU_DEP_2) | instskip(NEXT) | instid1(VALU_DEP_2)
	v_and_b32_e32 v30, 0xffff, v6
	v_lshlrev_b32_e32 v29, 16, v9
	s_delay_alu instid0(VALU_DEP_1)
	v_or3_b32 v30, v29, v30, v5
	v_mov_b32_e32 v29, v9
.LBB1607_90:
	s_or_b32 exec_lo, exec_lo, s30
	s_delay_alu instid0(VALU_DEP_2)
	v_mov_b32_dpp v31, v30 row_shr:4 row_mask:0xf bank_mask:0xf
	s_mov_b32 s30, exec_lo
	v_cmpx_lt_u32_e32 3, v8
	s_cbranch_execz .LBB1607_92
; %bb.91:
	v_and_b32_e32 v30, 0xff, v29
	v_dual_lshrrev_b32 v9, 16, v31 :: v_dual_bitop2_b32 v29, 1, v29 bitop3:0x40
	s_delay_alu instid0(VALU_DEP_2) | instskip(NEXT) | instid1(VALU_DEP_1)
	v_cmp_eq_u16_e64 s12, 0, v30
	v_dual_cndmask_b32 v30, 0, v31, s12 :: v_dual_bitop2_b32 v9, 1, v9 bitop3:0x40
	s_delay_alu instid0(VALU_DEP_3) | instskip(NEXT) | instid1(VALU_DEP_2)
	v_cmp_eq_u32_e64 s12, 1, v29
	v_add_nc_u16 v6, v30, v6
	s_delay_alu instid0(VALU_DEP_2) | instskip(NEXT) | instid1(VALU_DEP_2)
	v_cndmask_b32_e64 v9, v9, 1, s12
	v_and_b32_e32 v30, 0xffff, v6
	s_delay_alu instid0(VALU_DEP_2) | instskip(NEXT) | instid1(VALU_DEP_1)
	v_lshlrev_b32_e32 v29, 16, v9
	v_or3_b32 v30, v29, v30, v5
	v_mov_b32_e32 v29, v9
.LBB1607_92:
	s_or_b32 exec_lo, exec_lo, s30
	s_delay_alu instid0(VALU_DEP_2)
	v_mov_b32_dpp v31, v30 row_shr:8 row_mask:0xf bank_mask:0xf
	s_mov_b32 s30, exec_lo
	v_cmpx_lt_u32_e32 7, v8
	s_cbranch_execz .LBB1607_94
; %bb.93:
	v_and_b32_e32 v9, 0xff, v29
	v_dual_lshrrev_b32 v8, 16, v31 :: v_dual_bitop2_b32 v29, 1, v29 bitop3:0x40
	s_delay_alu instid0(VALU_DEP_2) | instskip(NEXT) | instid1(VALU_DEP_1)
	v_cmp_eq_u16_e64 s12, 0, v9
	v_dual_cndmask_b32 v30, 0, v31, s12 :: v_dual_bitop2_b32 v8, 1, v8 bitop3:0x40
	s_delay_alu instid0(VALU_DEP_3) | instskip(NEXT) | instid1(VALU_DEP_2)
	v_cmp_eq_u32_e64 s12, 1, v29
	v_add_nc_u16 v6, v30, v6
	s_delay_alu instid0(VALU_DEP_2) | instskip(NEXT) | instid1(VALU_DEP_2)
	v_cndmask_b32_e64 v9, v8, 1, s12
	v_and_b32_e32 v29, 0xffff, v6
	s_delay_alu instid0(VALU_DEP_2) | instskip(NEXT) | instid1(VALU_DEP_1)
	v_lshlrev_b32_e32 v8, 16, v9
	v_or3_b32 v30, v8, v29, v5
	v_mov_b32_e32 v29, v9
.LBB1607_94:
	s_or_b32 exec_lo, exec_lo, s30
	ds_swizzle_b32 v8, v30 offset:swizzle(BROADCAST,32,15)
	v_and_b32_e32 v30, 16, v7
	s_mov_b32 s30, exec_lo
	s_delay_alu instid0(VALU_DEP_1)
	v_cmpx_ne_u32_e32 0, v30
	s_cbranch_execz .LBB1607_96
; %bb.95:
	v_and_b32_e32 v9, 0xff, v29
	s_delay_alu instid0(VALU_DEP_1) | instskip(SKIP_2) | instid1(VALU_DEP_1)
	v_cmp_eq_u16_e64 s12, 0, v9
	s_wait_dscnt 0x0
	v_dual_lshrrev_b32 v30, 16, v8 :: v_dual_bitop2_b32 v9, 1, v29 bitop3:0x40
	v_dual_cndmask_b32 v8, 0, v8, s12 :: v_dual_bitop2_b32 v29, 1, v30 bitop3:0x40
	s_delay_alu instid0(VALU_DEP_2) | instskip(NEXT) | instid1(VALU_DEP_2)
	v_cmp_eq_u32_e64 s12, 1, v9
	v_add_nc_u16 v6, v8, v6
	s_delay_alu instid0(VALU_DEP_2)
	v_cndmask_b32_e64 v9, v29, 1, s12
.LBB1607_96:
	s_or_b32 exec_lo, exec_lo, s30
	s_wait_dscnt 0x0
	s_delay_alu instid0(VALU_DEP_1) | instskip(SKIP_2) | instid1(VALU_DEP_3)
	v_and_b32_e32 v8, 0xff, v9
	v_add_nc_u32_e32 v9, -1, v7
	v_and_b32_e32 v6, 0xffff, v6
	; wave barrier
	v_lshlrev_b32_e32 v8, 16, v8
	s_delay_alu instid0(VALU_DEP_3) | instskip(NEXT) | instid1(VALU_DEP_2)
	v_cmp_gt_i32_e64 s12, 0, v9
	v_or3_b32 v5, v8, v6, v5
	s_delay_alu instid0(VALU_DEP_2) | instskip(NEXT) | instid1(VALU_DEP_1)
	v_cndmask_b32_e64 v7, v9, v7, s12
	v_lshlrev_b32_e32 v6, 2, v7
	ds_bpermute_b32 v5, v6, v5
	v_and_b32_e32 v6, 0xff0000, v3
	s_delay_alu instid0(VALU_DEP_1) | instskip(SKIP_1) | instid1(VALU_DEP_1)
	v_cmp_eq_u32_e64 s12, 0, v6
	s_wait_dscnt 0x0
	v_dual_lshrrev_b32 v7, 16, v5 :: v_dual_cndmask_b32 v5, 0, v5, s12
	v_cmp_eq_u32_e64 s12, 0, v4
	s_delay_alu instid0(VALU_DEP_2) | instskip(NEXT) | instid1(VALU_DEP_3)
	v_add_nc_u16 v3, v5, v3
	v_and_b32_e32 v6, 1, v7
	s_delay_alu instid0(VALU_DEP_1) | instskip(SKIP_1) | instid1(VALU_DEP_1)
	v_cndmask_b32_e64 v4, 1, v6, s12
	v_cmp_eq_u32_e64 s12, 0, v0
	v_dual_cndmask_b32 v3, v3, v17, s12 :: v_dual_cndmask_b32 v4, v4, v28, s12
	ds_store_b16 v2, v3
	ds_store_b8 v2, v4 offset:2
	; wave barrier
	ds_load_u8 v5, v2 offset:6
	ds_load_u16 v6, v2 offset:4
	ds_load_u8 v7, v2 offset:10
	ds_load_u16 v8, v2 offset:8
	ds_load_u16 v9, v2 offset:12
	ds_load_u8 v29, v2 offset:14
	ds_load_u16 v30, v2 offset:16
	ds_load_u8 v31, v2 offset:18
	s_wait_dscnt 0x7
	v_cmp_eq_u16_e64 s12, 0, v5
	s_delay_alu instid0(VALU_DEP_1) | instskip(SKIP_2) | instid1(VALU_DEP_2)
	v_cndmask_b32_e64 v3, 0, v3, s12
	s_wait_dscnt 0x5
	v_cmp_eq_u16_e64 s12, 0, v7
	v_add_nc_u16 v3, v3, v6
	s_delay_alu instid0(VALU_DEP_1) | instskip(SKIP_2) | instid1(VALU_DEP_2)
	v_cndmask_b32_e64 v6, 0, v3, s12
	s_wait_dscnt 0x2
	v_cmp_eq_u16_e64 s12, 0, v29
	v_add_nc_u16 v6, v6, v8
	v_and_b32_e32 v5, 1, v5
	ds_load_u8 v8, v2 offset:22
	ds_load_u16 v33, v2 offset:20
	ds_load_u8 v34, v2 offset:26
	ds_load_u8 v35, v2 offset:30
	v_cndmask_b32_e64 v32, 0, v6, s12
	v_cmp_eq_u32_e64 s12, 1, v5
	v_and_b32_e32 v5, 1, v29
	s_delay_alu instid0(VALU_DEP_3) | instskip(NEXT) | instid1(VALU_DEP_3)
	v_add_nc_u16 v9, v32, v9
	v_cndmask_b32_e64 v4, v4, 1, s12
	s_wait_dscnt 0x4
	v_cmp_eq_u16_e64 s12, 0, v31
	v_and_b32_e32 v7, 1, v7
	ds_load_u16 v32, v2 offset:24
	ds_load_u16 v36, v2 offset:28
	v_cndmask_b32_e64 v29, 0, v9, s12
	v_cmp_eq_u32_e64 s12, 1, v7
	s_delay_alu instid0(VALU_DEP_2) | instskip(NEXT) | instid1(VALU_DEP_2)
	v_add_nc_u16 v29, v29, v30
	v_cndmask_b32_e64 v7, v4, 1, s12
	v_cmp_eq_u32_e64 s12, 1, v5
	v_and_b32_e32 v30, 1, v31
	s_wait_dscnt 0x2
	v_and_b32_e32 v37, 1, v35
	s_delay_alu instid0(VALU_DEP_3) | instskip(SKIP_1) | instid1(VALU_DEP_1)
	v_cndmask_b32_e64 v5, v7, 1, s12
	v_cmp_eq_u16_e64 s12, 0, v8
	v_dual_cndmask_b32 v31, 0, v29, s12 :: v_dual_bitop2_b32 v8, 1, v8 bitop3:0x40
	v_cmp_eq_u32_e64 s12, 1, v30
	s_delay_alu instid0(VALU_DEP_2) | instskip(NEXT) | instid1(VALU_DEP_2)
	v_add_nc_u16 v31, v31, v33
	v_cndmask_b32_e64 v30, v5, 1, s12
	s_delay_alu instid0(VALU_DEP_4)
	v_cmp_eq_u32_e64 s12, 1, v8
	v_and_b32_e32 v33, 1, v34
	ds_store_b16 v2, v3 offset:4
	ds_store_b8 v2, v4 offset:6
	ds_store_b16 v2, v6 offset:8
	ds_store_b8 v2, v7 offset:10
	;; [unrolled: 2-line block ×4, first 2 shown]
	v_cndmask_b32_e64 v8, v30, 1, s12
	v_cmp_eq_u16_e64 s12, 0, v34
	s_delay_alu instid0(VALU_DEP_1) | instskip(SKIP_2) | instid1(VALU_DEP_2)
	v_cndmask_b32_e64 v34, 0, v31, s12
	v_cmp_eq_u32_e64 s12, 1, v33
	s_wait_dscnt 0x9
	v_add_nc_u16 v32, v34, v32
	s_delay_alu instid0(VALU_DEP_2) | instskip(SKIP_1) | instid1(VALU_DEP_1)
	v_cndmask_b32_e64 v33, v8, 1, s12
	v_cmp_eq_u32_e64 s12, 1, v37
	v_cndmask_b32_e64 v34, v33, 1, s12
	v_cmp_eq_u16_e64 s12, 0, v35
	s_delay_alu instid0(VALU_DEP_1) | instskip(SKIP_1) | instid1(VALU_DEP_1)
	v_cndmask_b32_e64 v35, 0, v32, s12
	s_wait_dscnt 0x8
	v_add_nc_u16 v3, v35, v36
	ds_store_b16 v2, v31 offset:20
	ds_store_b8 v2, v8 offset:22
	ds_store_b16 v2, v32 offset:24
	ds_store_b8 v2, v33 offset:26
	;; [unrolled: 2-line block ×3, first 2 shown]
.LBB1607_97:
	s_or_b32 exec_lo, exec_lo, s13
	v_cmp_eq_u32_e64 s12, 0, v0
	s_mov_b32 s30, exec_lo
	s_wait_dscnt 0x0
	s_barrier_signal -1
	s_barrier_wait -1
	v_cmpx_ne_u32_e32 0, v0
	s_cbranch_execz .LBB1607_99
; %bb.98:
	v_add_nc_u32_e32 v2, -1, v0
	s_delay_alu instid0(VALU_DEP_1) | instskip(NEXT) | instid1(VALU_DEP_1)
	v_lshrrev_b32_e32 v3, 3, v2
	v_and_b32_e32 v3, 0x1ffffffc, v3
	s_delay_alu instid0(VALU_DEP_1)
	v_lshl_add_u32 v2, v2, 2, v3
	ds_load_u16 v17, v2
	ds_load_u8 v28, v2 offset:2
.LBB1607_99:
	s_or_b32 exec_lo, exec_lo, s30
	s_and_saveexec_b32 s30, vcc_lo
	s_cbranch_execz .LBB1607_151
; %bb.100:
	v_mov_b32_e32 v9, 0
	v_mbcnt_lo_u32_b32 v29, -1, 0
	ds_load_b32 v2, v9 offset:1048
	v_cmp_eq_u32_e64 s13, 0, v29
	s_and_saveexec_b32 s31, s13
	s_cbranch_execz .LBB1607_102
; %bb.101:
	s_add_co_i32 s34, s28, 32
	s_delay_alu instid0(SALU_CYCLE_1)
	v_dual_mov_b32 v3, 1 :: v_dual_mov_b32 v4, s34
	s_wait_dscnt 0x0
	global_store_b64 v4, v[2:3], s[16:17] scale_offset scope:SCOPE_DEV
.LBB1607_102:
	s_wait_xcnt 0x0
	s_or_b32 exec_lo, exec_lo, s31
	v_xad_u32 v4, v29, -1, s28
	s_mov_b32 s31, exec_lo
	s_delay_alu instid0(VALU_DEP_1) | instskip(SKIP_4) | instid1(VALU_DEP_1)
	v_add_nc_u32_e32 v8, 32, v4
	global_load_b64 v[6:7], v8, s[16:17] scale_offset scope:SCOPE_DEV
	s_wait_loadcnt 0x0
	v_and_b32_e32 v3, 0xff, v7
	s_wait_xcnt 0x0
	v_cmpx_eq_u16_e32 0, v3
	s_cbranch_execz .LBB1607_106
; %bb.103:
	v_lshl_add_u64 v[8:9], v[8:9], 3, s[16:17]
	s_mov_b32 s34, 0
.LBB1607_104:                           ; =>This Inner Loop Header: Depth=1
	global_load_b64 v[6:7], v[8:9], off scope:SCOPE_DEV
	s_wait_loadcnt 0x0
	v_and_b32_e32 v3, 0xff, v7
	s_delay_alu instid0(VALU_DEP_1)
	v_cmp_ne_u16_e32 vcc_lo, 0, v3
	s_or_b32 s34, vcc_lo, s34
	s_wait_xcnt 0x0
	s_and_not1_b32 exec_lo, exec_lo, s34
	s_cbranch_execnz .LBB1607_104
; %bb.105:
	s_or_b32 exec_lo, exec_lo, s34
.LBB1607_106:
	s_delay_alu instid0(SALU_CYCLE_1)
	s_or_b32 exec_lo, exec_lo, s31
	v_cmp_ne_u32_e32 vcc_lo, 31, v29
	v_and_b32_e32 v38, 0xffffff, v6
	v_and_b32_e32 v5, 0xff, v7
	v_lshlrev_b32_e64 v30, v29, -1
	v_bfe_u32 v9, v6, 16, 8
	v_add_co_ci_u32_e64 v3, null, 0, v29, vcc_lo
	s_delay_alu instid0(VALU_DEP_4) | instskip(SKIP_1) | instid1(VALU_DEP_2)
	v_cmp_eq_u16_e32 vcc_lo, 2, v5
	s_mov_b32 s31, exec_lo
	v_dual_lshrrev_b32 v8, 16, v6 :: v_dual_lshlrev_b32 v3, 2, v3
	v_and_or_b32 v5, vcc_lo, v30, 0x80000000
	ds_bpermute_b32 v31, v3, v38
	v_ctz_i32_b32_e32 v5, v5
	s_delay_alu instid0(VALU_DEP_1)
	v_cmpx_lt_u32_e64 v29, v5
	s_cbranch_execz .LBB1607_108
; %bb.107:
	v_and_b32_e32 v8, 0xff0000, v6
	s_delay_alu instid0(VALU_DEP_1) | instskip(SKIP_3) | instid1(VALU_DEP_1)
	v_and_b32_e32 v32, 0x10000, v8
	v_cmp_eq_u32_e32 vcc_lo, 0, v8
	s_wait_dscnt 0x0
	v_dual_lshrrev_b32 v9, 16, v31 :: v_dual_cndmask_b32 v31, 0, v31, vcc_lo
	v_and_b32_e32 v9, 1, v9
	v_cmp_ne_u32_e32 vcc_lo, 0, v32
	s_delay_alu instid0(VALU_DEP_3) | instskip(NEXT) | instid1(VALU_DEP_3)
	v_add_nc_u16 v6, v31, v6
	v_cndmask_b32_e64 v8, v9, 1, vcc_lo
	s_delay_alu instid0(VALU_DEP_2) | instskip(NEXT) | instid1(VALU_DEP_2)
	v_and_b32_e32 v31, 0xffff, v6
	v_lshlrev_b32_e32 v9, 16, v8
	s_delay_alu instid0(VALU_DEP_1)
	v_dual_mov_b32 v9, v8 :: v_dual_bitop2_b32 v38, v9, v31 bitop3:0x54
.LBB1607_108:
	s_or_b32 exec_lo, exec_lo, s31
	v_cmp_gt_u32_e32 vcc_lo, 30, v29
	v_add_nc_u32_e32 v32, 2, v29
	s_mov_b32 s31, exec_lo
	s_wait_dscnt 0x0
	v_cndmask_b32_e64 v31, 0, 2, vcc_lo
	s_delay_alu instid0(VALU_DEP_1)
	v_add_lshl_u32 v31, v31, v29, 2
	ds_bpermute_b32 v33, v31, v38
	v_cmpx_le_u32_e64 v32, v5
	s_cbranch_execz .LBB1607_110
; %bb.109:
	v_cmp_eq_u16_e32 vcc_lo, 0, v9
	s_wait_dscnt 0x0
	v_lshrrev_b32_e32 v8, 16, v33
	v_and_b32_e32 v9, 1, v9
	s_delay_alu instid0(VALU_DEP_2) | instskip(NEXT) | instid1(VALU_DEP_2)
	v_dual_cndmask_b32 v33, 0, v33, vcc_lo :: v_dual_bitop2_b32 v8, 1, v8 bitop3:0x40
	v_cmp_eq_u32_e32 vcc_lo, 1, v9
	s_delay_alu instid0(VALU_DEP_2) | instskip(NEXT) | instid1(VALU_DEP_3)
	v_add_nc_u16 v6, v33, v6
	v_cndmask_b32_e64 v8, v8, 1, vcc_lo
	s_delay_alu instid0(VALU_DEP_2) | instskip(NEXT) | instid1(VALU_DEP_2)
	v_and_b32_e32 v9, 0xffff, v6
	v_lshlrev_b32_e32 v33, 16, v8
	s_delay_alu instid0(VALU_DEP_1)
	v_dual_mov_b32 v9, v8 :: v_dual_bitop2_b32 v38, v33, v9 bitop3:0x54
.LBB1607_110:
	s_or_b32 exec_lo, exec_lo, s31
	v_cmp_gt_u32_e32 vcc_lo, 28, v29
	v_add_nc_u32_e32 v34, 4, v29
	s_mov_b32 s31, exec_lo
	s_wait_dscnt 0x0
	v_cndmask_b32_e64 v33, 0, 4, vcc_lo
	s_delay_alu instid0(VALU_DEP_1)
	v_add_lshl_u32 v33, v33, v29, 2
	ds_bpermute_b32 v35, v33, v38
	v_cmpx_le_u32_e64 v34, v5
	s_cbranch_execz .LBB1607_112
; %bb.111:
	v_cmp_eq_u16_e32 vcc_lo, 0, v9
	s_wait_dscnt 0x0
	v_dual_lshrrev_b32 v8, 16, v35 :: v_dual_bitop2_b32 v9, 1, v9 bitop3:0x40
	s_delay_alu instid0(VALU_DEP_1) | instskip(NEXT) | instid1(VALU_DEP_2)
	v_dual_cndmask_b32 v35, 0, v35, vcc_lo :: v_dual_bitop2_b32 v8, 1, v8 bitop3:0x40
	v_cmp_eq_u32_e32 vcc_lo, 1, v9
	s_delay_alu instid0(VALU_DEP_2) | instskip(NEXT) | instid1(VALU_DEP_3)
	v_add_nc_u16 v6, v35, v6
	v_cndmask_b32_e64 v8, v8, 1, vcc_lo
	s_delay_alu instid0(VALU_DEP_2) | instskip(NEXT) | instid1(VALU_DEP_2)
	v_and_b32_e32 v9, 0xffff, v6
	v_lshlrev_b32_e32 v35, 16, v8
	s_delay_alu instid0(VALU_DEP_1)
	v_dual_mov_b32 v9, v8 :: v_dual_bitop2_b32 v38, v35, v9 bitop3:0x54
.LBB1607_112:
	s_or_b32 exec_lo, exec_lo, s31
	v_cmp_gt_u32_e32 vcc_lo, 24, v29
	v_add_nc_u32_e32 v36, 8, v29
	s_mov_b32 s31, exec_lo
	s_wait_dscnt 0x0
	v_cndmask_b32_e64 v35, 0, 8, vcc_lo
	s_delay_alu instid0(VALU_DEP_1)
	v_add_lshl_u32 v35, v35, v29, 2
	ds_bpermute_b32 v37, v35, v38
	v_cmpx_le_u32_e64 v36, v5
	s_cbranch_execz .LBB1607_114
; %bb.113:
	v_cmp_eq_u16_e32 vcc_lo, 0, v9
	s_wait_dscnt 0x0
	v_lshrrev_b32_e32 v8, 16, v37
	v_and_b32_e32 v9, 1, v9
	s_delay_alu instid0(VALU_DEP_2) | instskip(NEXT) | instid1(VALU_DEP_2)
	v_dual_cndmask_b32 v37, 0, v37, vcc_lo :: v_dual_bitop2_b32 v8, 1, v8 bitop3:0x40
	v_cmp_eq_u32_e32 vcc_lo, 1, v9
	s_delay_alu instid0(VALU_DEP_2) | instskip(NEXT) | instid1(VALU_DEP_3)
	v_add_nc_u16 v6, v37, v6
	v_cndmask_b32_e64 v8, v8, 1, vcc_lo
	s_delay_alu instid0(VALU_DEP_2) | instskip(NEXT) | instid1(VALU_DEP_2)
	v_and_b32_e32 v9, 0xffff, v6
	v_lshlrev_b32_e32 v37, 16, v8
	s_delay_alu instid0(VALU_DEP_1)
	v_dual_mov_b32 v9, v8 :: v_dual_bitop2_b32 v38, v37, v9 bitop3:0x54
.LBB1607_114:
	s_or_b32 exec_lo, exec_lo, s31
	s_wait_dscnt 0x0
	v_lshl_or_b32 v37, v29, 2, 64
	v_add_nc_u32_e32 v39, 16, v29
	s_mov_b32 s31, exec_lo
	ds_bpermute_b32 v38, v37, v38
	v_cmpx_le_u32_e64 v39, v5
	s_cbranch_execz .LBB1607_116
; %bb.115:
	v_cmp_eq_u16_e32 vcc_lo, 0, v9
	s_wait_dscnt 0x0
	v_dual_lshrrev_b32 v5, 16, v38 :: v_dual_bitop2_b32 v9, 1, v9 bitop3:0x40
	s_delay_alu instid0(VALU_DEP_1) | instskip(NEXT) | instid1(VALU_DEP_2)
	v_dual_cndmask_b32 v8, 0, v38, vcc_lo :: v_dual_bitop2_b32 v5, 1, v5 bitop3:0x40
	v_cmp_eq_u32_e32 vcc_lo, 1, v9
	s_delay_alu instid0(VALU_DEP_2) | instskip(NEXT) | instid1(VALU_DEP_3)
	v_add_nc_u16 v6, v8, v6
	v_cndmask_b32_e64 v8, v5, 1, vcc_lo
.LBB1607_116:
	s_or_b32 exec_lo, exec_lo, s31
	v_mov_b32_e32 v5, 0
	s_branch .LBB1607_119
.LBB1607_117:                           ;   in Loop: Header=BB1607_119 Depth=1
	s_or_b32 exec_lo, exec_lo, s31
	v_and_b32_e32 v8, 0xff, v38
	v_subrev_nc_u32_e32 v4, 32, v4
	s_mov_b32 s31, 0
	v_and_b32_e32 v9, 1, v9
	s_delay_alu instid0(VALU_DEP_3) | instskip(SKIP_2) | instid1(VALU_DEP_2)
	v_cmp_eq_u16_e32 vcc_lo, 0, v8
	v_and_b32_e32 v8, 1, v38
	v_cndmask_b32_e32 v6, 0, v6, vcc_lo
	v_cmp_eq_u32_e32 vcc_lo, 1, v8
	s_delay_alu instid0(VALU_DEP_2)
	v_add_nc_u16 v6, v6, v40
	v_cndmask_b32_e64 v8, v9, 1, vcc_lo
.LBB1607_118:                           ;   in Loop: Header=BB1607_119 Depth=1
	s_and_b32 vcc_lo, exec_lo, s31
	s_cbranch_vccnz .LBB1607_147
.LBB1607_119:                           ; =>This Loop Header: Depth=1
                                        ;     Child Loop BB1607_122 Depth 2
	v_and_b32_e32 v7, 0xff, v7
	s_wait_dscnt 0x0
	v_dual_mov_b32 v38, v8 :: v_dual_mov_b32 v40, v6
	s_mov_b32 s31, -1
                                        ; implicit-def: $vgpr8
	s_delay_alu instid0(VALU_DEP_2)
	v_cmp_ne_u16_e32 vcc_lo, 2, v7
                                        ; implicit-def: $vgpr6
	s_cmp_lg_u32 vcc_lo, exec_lo
	s_cbranch_scc1 .LBB1607_118
; %bb.120:                              ;   in Loop: Header=BB1607_119 Depth=1
	global_load_b64 v[6:7], v4, s[16:17] scale_offset scope:SCOPE_DEV
	s_mov_b32 s31, exec_lo
	s_wait_loadcnt 0x0
	v_and_b32_e32 v8, 0xff, v7
	s_wait_xcnt 0x0
	s_delay_alu instid0(VALU_DEP_1)
	v_cmpx_eq_u16_e32 0, v8
	s_cbranch_execz .LBB1607_124
; %bb.121:                              ;   in Loop: Header=BB1607_119 Depth=1
	v_lshl_add_u64 v[8:9], v[4:5], 3, s[16:17]
	s_mov_b32 s34, 0
.LBB1607_122:                           ;   Parent Loop BB1607_119 Depth=1
                                        ; =>  This Inner Loop Header: Depth=2
	global_load_b64 v[6:7], v[8:9], off scope:SCOPE_DEV
	s_wait_loadcnt 0x0
	v_and_b32_e32 v41, 0xff, v7
	s_delay_alu instid0(VALU_DEP_1)
	v_cmp_ne_u16_e32 vcc_lo, 0, v41
	s_or_b32 s34, vcc_lo, s34
	s_wait_xcnt 0x0
	s_and_not1_b32 exec_lo, exec_lo, s34
	s_cbranch_execnz .LBB1607_122
; %bb.123:                              ;   in Loop: Header=BB1607_119 Depth=1
	s_or_b32 exec_lo, exec_lo, s34
.LBB1607_124:                           ;   in Loop: Header=BB1607_119 Depth=1
	s_delay_alu instid0(SALU_CYCLE_1)
	s_or_b32 exec_lo, exec_lo, s31
	v_and_b32_e32 v42, 0xffffff, v6
	v_and_b32_e32 v8, 0xff, v7
	v_lshrrev_b32_e32 v9, 16, v6
	v_bfe_u32 v41, v6, 16, 8
	s_mov_b32 s31, exec_lo
	ds_bpermute_b32 v43, v3, v42
	v_cmp_eq_u16_e32 vcc_lo, 2, v8
	v_and_or_b32 v8, vcc_lo, v30, 0x80000000
	s_delay_alu instid0(VALU_DEP_1) | instskip(NEXT) | instid1(VALU_DEP_1)
	v_ctz_i32_b32_e32 v8, v8
	v_cmpx_lt_u32_e64 v29, v8
	s_cbranch_execz .LBB1607_126
; %bb.125:                              ;   in Loop: Header=BB1607_119 Depth=1
	v_and_b32_e32 v9, 0xff0000, v6
	s_delay_alu instid0(VALU_DEP_1) | instskip(SKIP_3) | instid1(VALU_DEP_1)
	v_and_b32_e32 v42, 0x10000, v9
	v_cmp_eq_u32_e32 vcc_lo, 0, v9
	s_wait_dscnt 0x0
	v_dual_lshrrev_b32 v41, 16, v43 :: v_dual_cndmask_b32 v43, 0, v43, vcc_lo
	v_and_b32_e32 v41, 1, v41
	v_cmp_ne_u32_e32 vcc_lo, 0, v42
	s_delay_alu instid0(VALU_DEP_3) | instskip(NEXT) | instid1(VALU_DEP_3)
	v_add_nc_u16 v6, v43, v6
	v_cndmask_b32_e64 v9, v41, 1, vcc_lo
	s_delay_alu instid0(VALU_DEP_2) | instskip(NEXT) | instid1(VALU_DEP_2)
	v_and_b32_e32 v42, 0xffff, v6
	v_lshlrev_b32_e32 v41, 16, v9
	s_delay_alu instid0(VALU_DEP_1)
	v_or_b32_e32 v42, v41, v42
	v_mov_b32_e32 v41, v9
.LBB1607_126:                           ;   in Loop: Header=BB1607_119 Depth=1
	s_or_b32 exec_lo, exec_lo, s31
	s_wait_dscnt 0x0
	ds_bpermute_b32 v43, v31, v42
	s_mov_b32 s31, exec_lo
	v_cmpx_le_u32_e64 v32, v8
	s_cbranch_execz .LBB1607_128
; %bb.127:                              ;   in Loop: Header=BB1607_119 Depth=1
	v_cmp_eq_u16_e32 vcc_lo, 0, v41
	s_wait_dscnt 0x0
	v_dual_lshrrev_b32 v9, 16, v43 :: v_dual_bitop2_b32 v41, 1, v41 bitop3:0x40
	s_delay_alu instid0(VALU_DEP_1) | instskip(NEXT) | instid1(VALU_DEP_2)
	v_dual_cndmask_b32 v42, 0, v43, vcc_lo :: v_dual_bitop2_b32 v9, 1, v9 bitop3:0x40
	v_cmp_eq_u32_e32 vcc_lo, 1, v41
	s_delay_alu instid0(VALU_DEP_2) | instskip(NEXT) | instid1(VALU_DEP_3)
	v_add_nc_u16 v6, v42, v6
	v_cndmask_b32_e64 v9, v9, 1, vcc_lo
	s_delay_alu instid0(VALU_DEP_2) | instskip(NEXT) | instid1(VALU_DEP_2)
	v_and_b32_e32 v41, 0xffff, v6
	v_lshlrev_b32_e32 v42, 16, v9
	s_delay_alu instid0(VALU_DEP_1)
	v_dual_mov_b32 v41, v9 :: v_dual_bitop2_b32 v42, v42, v41 bitop3:0x54
.LBB1607_128:                           ;   in Loop: Header=BB1607_119 Depth=1
	s_or_b32 exec_lo, exec_lo, s31
	s_wait_dscnt 0x0
	ds_bpermute_b32 v43, v33, v42
	s_mov_b32 s31, exec_lo
	v_cmpx_le_u32_e64 v34, v8
	s_cbranch_execz .LBB1607_130
; %bb.129:                              ;   in Loop: Header=BB1607_119 Depth=1
	v_cmp_eq_u16_e32 vcc_lo, 0, v41
	s_wait_dscnt 0x0
	v_dual_lshrrev_b32 v9, 16, v43 :: v_dual_bitop2_b32 v41, 1, v41 bitop3:0x40
	s_delay_alu instid0(VALU_DEP_1) | instskip(NEXT) | instid1(VALU_DEP_2)
	v_dual_cndmask_b32 v42, 0, v43, vcc_lo :: v_dual_bitop2_b32 v9, 1, v9 bitop3:0x40
	v_cmp_eq_u32_e32 vcc_lo, 1, v41
	s_delay_alu instid0(VALU_DEP_2) | instskip(NEXT) | instid1(VALU_DEP_3)
	v_add_nc_u16 v6, v42, v6
	v_cndmask_b32_e64 v9, v9, 1, vcc_lo
	s_delay_alu instid0(VALU_DEP_2) | instskip(NEXT) | instid1(VALU_DEP_2)
	v_and_b32_e32 v41, 0xffff, v6
	v_lshlrev_b32_e32 v42, 16, v9
	s_delay_alu instid0(VALU_DEP_1)
	v_dual_mov_b32 v41, v9 :: v_dual_bitop2_b32 v42, v42, v41 bitop3:0x54
.LBB1607_130:                           ;   in Loop: Header=BB1607_119 Depth=1
	;; [unrolled: 22-line block ×3, first 2 shown]
	s_or_b32 exec_lo, exec_lo, s31
	ds_bpermute_b32 v42, v37, v42
	s_mov_b32 s31, exec_lo
	v_cmpx_le_u32_e64 v39, v8
	s_cbranch_execz .LBB1607_117
; %bb.133:                              ;   in Loop: Header=BB1607_119 Depth=1
	v_cmp_eq_u16_e32 vcc_lo, 0, v41
	s_wait_dscnt 0x0
	v_dual_lshrrev_b32 v41, 16, v42 :: v_dual_bitop2_b32 v9, 1, v41 bitop3:0x40
	v_cndmask_b32_e32 v8, 0, v42, vcc_lo
	s_delay_alu instid0(VALU_DEP_2) | instskip(NEXT) | instid1(VALU_DEP_2)
	v_cmp_eq_u32_e32 vcc_lo, 1, v9
	v_add_nc_u16 v6, v8, v6
	s_delay_alu instid0(VALU_DEP_4)
	v_cndmask_b32_e64 v9, v41, 1, vcc_lo
	s_branch .LBB1607_117
.LBB1607_134:
	s_or_b32 exec_lo, exec_lo, s13
                                        ; implicit-def: $vgpr15
	s_and_saveexec_b32 s13, s0
	s_cbranch_execz .LBB1607_33
.LBB1607_135:
	flat_load_u16 v15, v0, s[30:31] offset:512 scale_offset
	s_wait_xcnt 0x0
	s_or_b32 exec_lo, exec_lo, s13
                                        ; implicit-def: $vgpr16
	s_and_saveexec_b32 s0, s1
	s_cbranch_execnz .LBB1607_34
.LBB1607_136:
	s_or_b32 exec_lo, exec_lo, s0
                                        ; implicit-def: $vgpr17
	s_and_saveexec_b32 s0, s2
	s_cbranch_execz .LBB1607_35
.LBB1607_137:
	flat_load_u16 v17, v0, s[30:31] offset:1536 scale_offset
	s_wait_xcnt 0x0
	s_or_b32 exec_lo, exec_lo, s0
                                        ; implicit-def: $vgpr18
	s_and_saveexec_b32 s0, s3
	s_cbranch_execnz .LBB1607_36
.LBB1607_138:
	s_or_b32 exec_lo, exec_lo, s0
                                        ; implicit-def: $vgpr19
	s_and_saveexec_b32 s0, s4
	s_cbranch_execz .LBB1607_37
.LBB1607_139:
	flat_load_u16 v19, v0, s[30:31] offset:2560 scale_offset
	s_wait_xcnt 0x0
	s_or_b32 exec_lo, exec_lo, s0
                                        ; implicit-def: $vgpr20
	s_and_saveexec_b32 s0, s5
	s_cbranch_execnz .LBB1607_38
.LBB1607_140:
	s_or_b32 exec_lo, exec_lo, s0
                                        ; implicit-def: $vgpr21
	s_and_saveexec_b32 s0, s6
	s_cbranch_execz .LBB1607_39
.LBB1607_141:
	flat_load_u16 v21, v0, s[30:31] offset:3584 scale_offset
	s_wait_xcnt 0x0
	s_or_b32 exec_lo, exec_lo, s0
                                        ; implicit-def: $vgpr22
	s_and_saveexec_b32 s0, s7
	s_cbranch_execnz .LBB1607_40
.LBB1607_142:
	s_or_b32 exec_lo, exec_lo, s0
                                        ; implicit-def: $vgpr23
	s_and_saveexec_b32 s0, s8
	s_cbranch_execz .LBB1607_41
.LBB1607_143:
	flat_load_u16 v23, v0, s[30:31] offset:4608 scale_offset
	s_wait_xcnt 0x0
	s_or_b32 exec_lo, exec_lo, s0
                                        ; implicit-def: $vgpr24
	s_and_saveexec_b32 s0, s9
	s_cbranch_execnz .LBB1607_42
.LBB1607_144:
	s_or_b32 exec_lo, exec_lo, s0
                                        ; implicit-def: $vgpr25
	s_and_saveexec_b32 s0, s10
	s_cbranch_execz .LBB1607_43
.LBB1607_145:
	flat_load_u16 v25, v0, s[30:31] offset:5632 scale_offset
	s_wait_xcnt 0x0
	s_or_b32 exec_lo, exec_lo, s0
                                        ; implicit-def: $vgpr26
	s_and_saveexec_b32 s0, s11
	s_cbranch_execz .LBB1607_45
	s_branch .LBB1607_44
.LBB1607_146:
                                        ; implicit-def: $vgpr4
                                        ; implicit-def: $vgpr5
                                        ; implicit-def: $vgpr6
                                        ; implicit-def: $vgpr7
                                        ; implicit-def: $vgpr8
                                        ; implicit-def: $vgpr9
                                        ; implicit-def: $vgpr17
                                        ; implicit-def: $vgpr28
                                        ; implicit-def: $vgpr29
                                        ; implicit-def: $vgpr30
                                        ; implicit-def: $vgpr31
                                        ; implicit-def: $vgpr32
                                        ; implicit-def: $vgpr33
                                        ; implicit-def: $vgpr34
	s_cbranch_execnz .LBB1607_152
	s_branch .LBB1607_171
.LBB1607_147:
	s_and_saveexec_b32 s31, s13
	s_cbranch_execz .LBB1607_149
; %bb.148:
	v_and_b32_e32 v3, 0xff0000, v2
	v_and_b32_e32 v5, 0x10000, v2
	s_add_co_i32 s13, s28, 32
	s_delay_alu instid0(VALU_DEP_2) | instskip(SKIP_1) | instid1(VALU_DEP_1)
	v_cmp_eq_u32_e32 vcc_lo, 0, v3
	v_dual_cndmask_b32 v3, 0, v40, vcc_lo :: v_dual_bitop2_b32 v4, 1, v38 bitop3:0x40
	v_lshlrev_b32_e32 v4, 16, v4
	v_cmp_eq_u32_e32 vcc_lo, 0, v5
	s_delay_alu instid0(VALU_DEP_3) | instskip(NEXT) | instid1(VALU_DEP_3)
	v_add_nc_u16 v2, v3, v2
	v_dual_mov_b32 v3, 2 :: v_dual_cndmask_b32 v4, 0x10000, v4
	s_delay_alu instid0(VALU_DEP_2) | instskip(NEXT) | instid1(VALU_DEP_1)
	v_and_b32_e32 v2, 0xffff, v2
	v_dual_mov_b32 v4, s13 :: v_dual_bitop2_b32 v2, v4, v2 bitop3:0x54
	global_store_b64 v4, v[2:3], s[16:17] scale_offset scope:SCOPE_DEV
.LBB1607_149:
	s_wait_xcnt 0x0
	s_or_b32 exec_lo, exec_lo, s31
	s_delay_alu instid0(SALU_CYCLE_1)
	s_and_b32 exec_lo, exec_lo, s12
	s_cbranch_execz .LBB1607_151
; %bb.150:
	v_mov_b32_e32 v2, 0
	ds_store_b16 v2, v40
	ds_store_b8 v2, v38 offset:2
.LBB1607_151:
	s_or_b32 exec_lo, exec_lo, s30
	v_mov_b32_e32 v2, 0
	s_wait_storecnt_dscnt 0x0
	s_barrier_signal -1
	s_barrier_wait -1
	ds_load_b32 v2, v2
	v_and_b32_e32 v3, 0xff, v28
	v_and_b32_e32 v5, 0xff0000, v1
	s_delay_alu instid0(VALU_DEP_2) | instskip(SKIP_2) | instid1(VALU_DEP_3)
	v_cmp_eq_u16_e32 vcc_lo, 0, v3
	s_wait_dscnt 0x0
	v_cndmask_b32_e32 v3, 0, v2, vcc_lo
	v_cmp_eq_u32_e32 vcc_lo, 0, v5
	s_delay_alu instid0(VALU_DEP_2) | instskip(NEXT) | instid1(VALU_DEP_1)
	v_add_nc_u16 v3, v3, v17
	v_cndmask_b32_e64 v4, v3, v2, s12
	s_delay_alu instid0(VALU_DEP_1) | instskip(NEXT) | instid1(VALU_DEP_1)
	v_cndmask_b32_e32 v2, 0, v4, vcc_lo
	v_add_nc_u16 v5, v2, v1
	s_delay_alu instid0(VALU_DEP_1) | instskip(NEXT) | instid1(VALU_DEP_1)
	v_cndmask_b32_e64 v2, 0, v5, s11
	v_add_nc_u16 v6, v2, v14
	s_delay_alu instid0(VALU_DEP_1) | instskip(NEXT) | instid1(VALU_DEP_1)
	v_cndmask_b32_e64 v2, 0, v6, s10
	;; [unrolled: 3-line block ×12, first 2 shown]
	v_add_nc_u16 v34, v2, v19
	s_branch .LBB1607_171
.LBB1607_152:
	s_cmp_eq_u64 s[24:25], 0
	v_mov_b32_e32 v2, s33
	s_cselect_b32 s0, -1, 0
	s_cmp_eq_u64 s[22:23], 0
	s_cselect_b32 s1, -1, 0
	s_delay_alu instid0(SALU_CYCLE_1) | instskip(NEXT) | instid1(SALU_CYCLE_1)
	s_or_b32 s0, s0, s1
	s_and_b32 vcc_lo, exec_lo, s0
	s_cbranch_vccnz .LBB1607_154
; %bb.153:
	v_mov_b32_e32 v2, 0
	global_load_u16 v2, v2, s[22:23]
.LBB1607_154:
	v_cmp_gt_u32_e32 vcc_lo, 0x10000, v14
	v_cmp_gt_u32_e64 s0, 0x10000, v15
	v_cmp_gt_u32_e64 s1, 0x10000, v26
	;; [unrolled: 1-line block ×4, first 2 shown]
	v_dual_cndmask_b32 v3, 0, v1, vcc_lo :: v_dual_bitop2_b32 v6, 28, v12 bitop3:0x40
	v_cmp_gt_u32_e64 s4, 0x10000, v25
	v_cmp_gt_u32_e64 s5, 0x10000, v22
	;; [unrolled: 1-line block ×3, first 2 shown]
	s_delay_alu instid0(VALU_DEP_4)
	v_add_nc_u16 v3, v3, v14
	v_cmp_gt_u32_e64 s7, 0x10000, v20
	v_cmp_gt_u32_e64 s8, 0x10000, v21
	;; [unrolled: 1-line block ×3, first 2 shown]
	v_or3_b32 v4, v16, v25, v24
	v_cndmask_b32_e64 v3, 0, v3, s0
	v_cmp_gt_u32_e64 s10, 0x10000, v19
	v_or3_b32 v5, v13, v20, v10
	v_cmp_gt_u32_e64 s11, 0x10000, v10
	v_or3_b32 v4, v4, v27, v26
	v_add_nc_u16 v3, v3, v15
	v_lshl_add_u32 v6, v0, 2, v6
	s_mov_b32 s12, exec_lo
	s_delay_alu instid0(VALU_DEP_3) | instskip(NEXT) | instid1(VALU_DEP_3)
	v_or3_b32 v4, v4, v15, v14
	v_cndmask_b32_e64 v3, 0, v3, s1
	s_delay_alu instid0(VALU_DEP_2) | instskip(NEXT) | instid1(VALU_DEP_2)
	v_bitop3_b32 v5, v5, 0xff0000, v4 bitop3:0xc8
	v_add_nc_u16 v3, v3, v26
	s_delay_alu instid0(VALU_DEP_1) | instskip(NEXT) | instid1(VALU_DEP_1)
	v_cndmask_b32_e64 v3, 0, v3, s2
	v_add_nc_u16 v3, v3, v27
	s_delay_alu instid0(VALU_DEP_1) | instskip(NEXT) | instid1(VALU_DEP_1)
	v_cndmask_b32_e64 v3, 0, v3, s3
	;; [unrolled: 3-line block ×9, first 2 shown]
	v_add_nc_u16 v3, v3, v19
	s_delay_alu instid0(VALU_DEP_1) | instskip(SKIP_1) | instid1(VALU_DEP_2)
	v_cndmask_b32_e64 v3, 0, v3, s11
	v_cmp_eq_u32_e64 s11, 0, v5
	v_add_nc_u16 v4, v3, v10
	s_delay_alu instid0(VALU_DEP_2)
	v_cndmask_b32_e64 v5, 1, v11, s11
	ds_store_b16 v6, v4
	ds_store_b8 v6, v5 offset:2
	s_wait_loadcnt_dscnt 0x0
	s_barrier_signal -1
	s_barrier_wait -1
	v_cmpx_gt_u32_e32 32, v0
	s_cbranch_execz .LBB1607_166
; %bb.155:
	v_and_b32_e32 v3, 0xfc, v0
	v_lshlrev_b32_e32 v6, 5, v0
	s_mov_b32 s13, exec_lo
	s_delay_alu instid0(VALU_DEP_1)
	v_add_nc_u32_e32 v3, v3, v6
	ds_load_u8 v7, v3 offset:6
	ds_load_b32 v6, v3
	ds_load_u16 v8, v3 offset:4
	ds_load_u8 v9, v3 offset:10
	ds_load_u16 v10, v3 offset:8
	ds_load_u16 v11, v3 offset:12
	ds_load_u8 v12, v3 offset:14
	ds_load_u16 v13, v3 offset:16
	s_wait_dscnt 0x7
	v_cmp_eq_u16_e64 s11, 0, v7
	s_wait_dscnt 0x4
	s_delay_alu instid0(VALU_DEP_1) | instskip(SKIP_1) | instid1(VALU_DEP_2)
	v_dual_cndmask_b32 v16, 0, v6, s11 :: v_dual_bitop2_b32 v7, v9, v7 bitop3:0x54
	v_cmp_eq_u16_e64 s11, 0, v9
	v_add_nc_u16 v8, v16, v8
	ds_load_u8 v16, v3 offset:18
	v_cndmask_b32_e64 v8, 0, v8, s11
	s_wait_dscnt 0x2
	v_cmp_eq_u16_e64 s11, 0, v12
	s_delay_alu instid0(VALU_DEP_2) | instskip(SKIP_2) | instid1(VALU_DEP_1)
	v_add_nc_u16 v8, v8, v10
	ds_load_u8 v10, v3 offset:22
	v_cndmask_b32_e64 v8, 0, v8, s11
	v_add_nc_u16 v8, v8, v11
	s_wait_dscnt 0x1
	v_cmp_eq_u16_e64 s11, 0, v16
	ds_load_u16 v11, v3 offset:20
	ds_load_u16 v17, v3 offset:24
	ds_load_u8 v28, v3 offset:26
	ds_load_u16 v29, v3 offset:28
	ds_load_u8 v30, v3 offset:30
	v_bitop3_b16 v9, v7, v16, v12 bitop3:0xfe
	v_and_b32_e32 v7, 0x10000, v6
	v_cndmask_b32_e64 v8, 0, v8, s11
	s_delay_alu instid0(VALU_DEP_1) | instskip(SKIP_2) | instid1(VALU_DEP_1)
	v_add_nc_u16 v8, v8, v13
	s_wait_dscnt 0x5
	v_cmp_eq_u16_e64 s11, 0, v10
	v_cndmask_b32_e64 v8, 0, v8, s11
	s_wait_dscnt 0x2
	v_cmp_eq_u16_e64 s11, 0, v28
	v_bitop3_b16 v9, v9, v28, v10 bitop3:0xfe
	s_delay_alu instid0(VALU_DEP_3) | instskip(SKIP_1) | instid1(VALU_DEP_1)
	v_add_nc_u16 v8, v8, v11
	s_wait_dscnt 0x0
	v_dual_cndmask_b32 v8, 0, v8, s11 :: v_dual_bitop2_b32 v10, 1, v30 bitop3:0x40
	v_cmp_eq_u16_e64 s11, 0, v30
	s_delay_alu instid0(VALU_DEP_2) | instskip(NEXT) | instid1(VALU_DEP_1)
	v_add_nc_u16 v8, v8, v17
	v_cndmask_b32_e64 v8, 0, v8, s11
	v_cmp_eq_u16_e64 s11, 0, v9
	s_delay_alu instid0(VALU_DEP_2) | instskip(NEXT) | instid1(VALU_DEP_2)
	v_add_nc_u16 v9, v8, v29
	v_cndmask_b32_e64 v11, 0x10000, v7, s11
	v_cmp_eq_u32_e64 s11, 1, v10
	v_and_b32_e32 v8, 0xff000000, v6
	v_mbcnt_lo_u32_b32 v10, -1, 0
	v_and_b32_e32 v12, 0xffff, v9
	s_delay_alu instid0(VALU_DEP_4) | instskip(NEXT) | instid1(VALU_DEP_1)
	v_cndmask_b32_e64 v11, v11, 0x10000, s11
	v_or_b32_e32 v13, v11, v8
	s_delay_alu instid0(VALU_DEP_3) | instskip(NEXT) | instid1(VALU_DEP_2)
	v_or3_b32 v16, v8, v12, v11
	v_dual_lshrrev_b32 v12, 16, v13 :: v_dual_bitop2_b32 v11, 15, v10 bitop3:0x40
	s_delay_alu instid0(VALU_DEP_2) | instskip(NEXT) | instid1(VALU_DEP_2)
	v_mov_b32_dpp v17, v16 row_shr:1 row_mask:0xf bank_mask:0xf
	v_cmpx_ne_u32_e32 0, v11
	s_cbranch_execz .LBB1607_157
; %bb.156:
	s_delay_alu instid0(VALU_DEP_2) | instskip(SKIP_2) | instid1(VALU_DEP_3)
	v_lshrrev_b32_e32 v16, 16, v17
	v_lshrrev_b32_e32 v12, 16, v13
	v_and_b32_e32 v13, 0x10000, v13
	v_and_b32_e32 v16, 1, v16
	s_delay_alu instid0(VALU_DEP_3) | instskip(NEXT) | instid1(VALU_DEP_1)
	v_and_b32_e32 v12, 0xff, v12
	v_cmp_eq_u16_e64 s11, 0, v12
	s_delay_alu instid0(VALU_DEP_1) | instskip(SKIP_1) | instid1(VALU_DEP_2)
	v_cndmask_b32_e64 v17, 0, v17, s11
	v_cmp_ne_u32_e64 s11, 0, v13
	v_add_nc_u16 v9, v17, v9
	s_delay_alu instid0(VALU_DEP_2) | instskip(NEXT) | instid1(VALU_DEP_2)
	v_cndmask_b32_e64 v12, v16, 1, s11
	v_and_b32_e32 v16, 0xffff, v9
	s_delay_alu instid0(VALU_DEP_2) | instskip(NEXT) | instid1(VALU_DEP_1)
	v_lshlrev_b32_e32 v13, 16, v12
	v_or3_b32 v16, v13, v16, v8
.LBB1607_157:
	s_or_b32 exec_lo, exec_lo, s13
	s_delay_alu instid0(VALU_DEP_1)
	v_lshrrev_b32_e32 v13, 16, v16
	v_mov_b32_dpp v17, v16 row_shr:2 row_mask:0xf bank_mask:0xf
	s_mov_b32 s13, exec_lo
	v_cmpx_lt_u32_e32 1, v11
	s_cbranch_execz .LBB1607_159
; %bb.158:
	v_and_b32_e32 v13, 0xff, v13
	v_and_b32_e32 v16, 0x10000, v16
	s_delay_alu instid0(VALU_DEP_2) | instskip(NEXT) | instid1(VALU_DEP_1)
	v_cmp_eq_u16_e64 s11, 0, v13
	v_dual_lshrrev_b32 v12, 16, v17 :: v_dual_cndmask_b32 v13, 0, v17, s11
	s_delay_alu instid0(VALU_DEP_1) | instskip(NEXT) | instid1(VALU_DEP_4)
	v_and_b32_e32 v12, 1, v12
	v_cmp_ne_u32_e64 s11, 0, v16
	s_delay_alu instid0(VALU_DEP_3) | instskip(NEXT) | instid1(VALU_DEP_2)
	v_add_nc_u16 v9, v13, v9
	v_cndmask_b32_e64 v12, v12, 1, s11
	s_delay_alu instid0(VALU_DEP_2) | instskip(NEXT) | instid1(VALU_DEP_2)
	v_and_b32_e32 v16, 0xffff, v9
	v_lshlrev_b32_e32 v13, 16, v12
	s_delay_alu instid0(VALU_DEP_1)
	v_or3_b32 v16, v13, v16, v8
	v_mov_b32_e32 v13, v12
.LBB1607_159:
	s_or_b32 exec_lo, exec_lo, s13
	s_delay_alu instid0(VALU_DEP_2)
	v_mov_b32_dpp v17, v16 row_shr:4 row_mask:0xf bank_mask:0xf
	s_mov_b32 s13, exec_lo
	v_cmpx_lt_u32_e32 3, v11
	s_cbranch_execz .LBB1607_161
; %bb.160:
	v_and_b32_e32 v16, 0xff, v13
	v_and_b32_e32 v13, 1, v13
	s_delay_alu instid0(VALU_DEP_2) | instskip(NEXT) | instid1(VALU_DEP_1)
	v_cmp_eq_u16_e64 s11, 0, v16
	v_dual_lshrrev_b32 v12, 16, v17 :: v_dual_cndmask_b32 v16, 0, v17, s11
	s_delay_alu instid0(VALU_DEP_1) | instskip(NEXT) | instid1(VALU_DEP_4)
	v_and_b32_e32 v12, 1, v12
	v_cmp_eq_u32_e64 s11, 1, v13
	s_delay_alu instid0(VALU_DEP_3) | instskip(NEXT) | instid1(VALU_DEP_2)
	v_add_nc_u16 v9, v16, v9
	v_cndmask_b32_e64 v12, v12, 1, s11
	s_delay_alu instid0(VALU_DEP_2) | instskip(NEXT) | instid1(VALU_DEP_2)
	v_and_b32_e32 v16, 0xffff, v9
	v_lshlrev_b32_e32 v13, 16, v12
	s_delay_alu instid0(VALU_DEP_1)
	v_or3_b32 v16, v13, v16, v8
	v_mov_b32_e32 v13, v12
.LBB1607_161:
	s_or_b32 exec_lo, exec_lo, s13
	s_delay_alu instid0(VALU_DEP_2)
	v_mov_b32_dpp v17, v16 row_shr:8 row_mask:0xf bank_mask:0xf
	s_mov_b32 s13, exec_lo
	v_cmpx_lt_u32_e32 7, v11
	s_cbranch_execz .LBB1607_163
; %bb.162:
	v_and_b32_e32 v12, 0xff, v13
	v_and_b32_e32 v13, 1, v13
	s_delay_alu instid0(VALU_DEP_2) | instskip(NEXT) | instid1(VALU_DEP_1)
	v_cmp_eq_u16_e64 s11, 0, v12
	v_dual_lshrrev_b32 v11, 16, v17 :: v_dual_cndmask_b32 v16, 0, v17, s11
	s_delay_alu instid0(VALU_DEP_1) | instskip(NEXT) | instid1(VALU_DEP_4)
	v_and_b32_e32 v11, 1, v11
	v_cmp_eq_u32_e64 s11, 1, v13
	s_delay_alu instid0(VALU_DEP_3) | instskip(NEXT) | instid1(VALU_DEP_2)
	v_add_nc_u16 v9, v16, v9
	v_cndmask_b32_e64 v12, v11, 1, s11
	s_delay_alu instid0(VALU_DEP_2) | instskip(NEXT) | instid1(VALU_DEP_2)
	v_and_b32_e32 v13, 0xffff, v9
	v_lshlrev_b32_e32 v11, 16, v12
	s_delay_alu instid0(VALU_DEP_1)
	v_or3_b32 v16, v11, v13, v8
	v_mov_b32_e32 v13, v12
.LBB1607_163:
	s_or_b32 exec_lo, exec_lo, s13
	ds_swizzle_b32 v11, v16 offset:swizzle(BROADCAST,32,15)
	v_and_b32_e32 v16, 16, v10
	s_mov_b32 s13, exec_lo
	s_delay_alu instid0(VALU_DEP_1)
	v_cmpx_ne_u32_e32 0, v16
	s_cbranch_execz .LBB1607_165
; %bb.164:
	v_and_b32_e32 v12, 0xff, v13
	s_delay_alu instid0(VALU_DEP_1) | instskip(SKIP_2) | instid1(VALU_DEP_1)
	v_cmp_eq_u16_e64 s11, 0, v12
	s_wait_dscnt 0x0
	v_dual_lshrrev_b32 v16, 16, v11 :: v_dual_bitop2_b32 v12, 1, v13 bitop3:0x40
	v_dual_cndmask_b32 v11, 0, v11, s11 :: v_dual_bitop2_b32 v13, 1, v16 bitop3:0x40
	s_delay_alu instid0(VALU_DEP_2) | instskip(NEXT) | instid1(VALU_DEP_2)
	v_cmp_eq_u32_e64 s11, 1, v12
	v_add_nc_u16 v9, v11, v9
	s_delay_alu instid0(VALU_DEP_2)
	v_cndmask_b32_e64 v12, v13, 1, s11
.LBB1607_165:
	s_or_b32 exec_lo, exec_lo, s13
	s_wait_dscnt 0x0
	s_delay_alu instid0(VALU_DEP_1) | instskip(SKIP_2) | instid1(VALU_DEP_3)
	v_and_b32_e32 v11, 0xff, v12
	v_add_nc_u32_e32 v12, -1, v10
	v_and_b32_e32 v9, 0xffff, v9
	; wave barrier
	v_lshlrev_b32_e32 v11, 16, v11
	s_delay_alu instid0(VALU_DEP_3) | instskip(NEXT) | instid1(VALU_DEP_2)
	v_cmp_gt_i32_e64 s11, 0, v12
	v_or3_b32 v8, v11, v9, v8
	s_delay_alu instid0(VALU_DEP_2) | instskip(NEXT) | instid1(VALU_DEP_1)
	v_cndmask_b32_e64 v10, v12, v10, s11
	v_lshlrev_b32_e32 v9, 2, v10
	ds_bpermute_b32 v8, v9, v8
	v_and_b32_e32 v9, 0xff0000, v6
	s_delay_alu instid0(VALU_DEP_1) | instskip(SKIP_1) | instid1(VALU_DEP_1)
	v_cmp_eq_u32_e64 s11, 0, v9
	s_wait_dscnt 0x0
	v_dual_lshrrev_b32 v10, 16, v8 :: v_dual_cndmask_b32 v8, 0, v8, s11
	v_cmp_eq_u32_e64 s11, 0, v7
	s_delay_alu instid0(VALU_DEP_2) | instskip(NEXT) | instid1(VALU_DEP_3)
	v_add_nc_u16 v6, v8, v6
	v_and_b32_e32 v9, 1, v10
	s_delay_alu instid0(VALU_DEP_1) | instskip(SKIP_1) | instid1(VALU_DEP_1)
	v_cndmask_b32_e64 v7, 1, v9, s11
	v_cmp_eq_u32_e64 s11, 0, v0
	v_dual_cndmask_b32 v4, v6, v4, s11 :: v_dual_cndmask_b32 v5, v7, v5, s11
	ds_store_b16 v3, v4
	ds_store_b8 v3, v5 offset:2
	; wave barrier
	ds_load_u8 v6, v3 offset:6
	ds_load_u16 v7, v3 offset:4
	ds_load_u8 v8, v3 offset:10
	ds_load_u16 v9, v3 offset:8
	ds_load_u16 v10, v3 offset:12
	ds_load_u8 v11, v3 offset:14
	ds_load_u16 v12, v3 offset:16
	ds_load_u8 v13, v3 offset:18
	s_wait_dscnt 0x7
	v_cmp_eq_u16_e64 s11, 0, v6
	s_delay_alu instid0(VALU_DEP_1) | instskip(SKIP_2) | instid1(VALU_DEP_2)
	v_cndmask_b32_e64 v4, 0, v4, s11
	s_wait_dscnt 0x5
	v_cmp_eq_u16_e64 s11, 0, v8
	v_add_nc_u16 v4, v4, v7
	s_delay_alu instid0(VALU_DEP_1) | instskip(SKIP_2) | instid1(VALU_DEP_2)
	v_cndmask_b32_e64 v7, 0, v4, s11
	s_wait_dscnt 0x2
	v_cmp_eq_u16_e64 s11, 0, v11
	v_add_nc_u16 v7, v7, v9
	v_and_b32_e32 v6, 1, v6
	ds_load_u8 v9, v3 offset:22
	ds_load_u16 v17, v3 offset:20
	ds_load_u8 v28, v3 offset:26
	ds_load_u8 v29, v3 offset:30
	v_cndmask_b32_e64 v16, 0, v7, s11
	v_cmp_eq_u32_e64 s11, 1, v6
	v_and_b32_e32 v6, 1, v11
	s_delay_alu instid0(VALU_DEP_3) | instskip(NEXT) | instid1(VALU_DEP_3)
	v_add_nc_u16 v10, v16, v10
	v_cndmask_b32_e64 v5, v5, 1, s11
	s_wait_dscnt 0x4
	v_cmp_eq_u16_e64 s11, 0, v13
	v_and_b32_e32 v8, 1, v8
	ds_load_u16 v16, v3 offset:24
	ds_load_u16 v30, v3 offset:28
	v_cndmask_b32_e64 v11, 0, v10, s11
	v_cmp_eq_u32_e64 s11, 1, v8
	s_delay_alu instid0(VALU_DEP_2) | instskip(NEXT) | instid1(VALU_DEP_2)
	v_add_nc_u16 v11, v11, v12
	v_cndmask_b32_e64 v8, v5, 1, s11
	v_cmp_eq_u32_e64 s11, 1, v6
	v_and_b32_e32 v12, 1, v13
	s_wait_dscnt 0x2
	v_and_b32_e32 v31, 1, v29
	s_delay_alu instid0(VALU_DEP_3) | instskip(SKIP_1) | instid1(VALU_DEP_1)
	v_cndmask_b32_e64 v6, v8, 1, s11
	v_cmp_eq_u16_e64 s11, 0, v9
	v_dual_cndmask_b32 v13, 0, v11, s11 :: v_dual_bitop2_b32 v9, 1, v9 bitop3:0x40
	v_cmp_eq_u32_e64 s11, 1, v12
	s_delay_alu instid0(VALU_DEP_2) | instskip(NEXT) | instid1(VALU_DEP_2)
	v_add_nc_u16 v13, v13, v17
	v_cndmask_b32_e64 v12, v6, 1, s11
	s_delay_alu instid0(VALU_DEP_4)
	v_cmp_eq_u32_e64 s11, 1, v9
	v_and_b32_e32 v17, 1, v28
	ds_store_b16 v3, v4 offset:4
	ds_store_b8 v3, v5 offset:6
	ds_store_b16 v3, v7 offset:8
	ds_store_b8 v3, v8 offset:10
	;; [unrolled: 2-line block ×4, first 2 shown]
	v_cndmask_b32_e64 v9, v12, 1, s11
	v_cmp_eq_u16_e64 s11, 0, v28
	s_delay_alu instid0(VALU_DEP_1) | instskip(SKIP_2) | instid1(VALU_DEP_2)
	v_cndmask_b32_e64 v28, 0, v13, s11
	v_cmp_eq_u32_e64 s11, 1, v17
	s_wait_dscnt 0x9
	v_add_nc_u16 v16, v28, v16
	s_delay_alu instid0(VALU_DEP_2) | instskip(SKIP_1) | instid1(VALU_DEP_1)
	v_cndmask_b32_e64 v17, v9, 1, s11
	v_cmp_eq_u32_e64 s11, 1, v31
	v_cndmask_b32_e64 v28, v17, 1, s11
	v_cmp_eq_u16_e64 s11, 0, v29
	s_delay_alu instid0(VALU_DEP_1) | instskip(SKIP_1) | instid1(VALU_DEP_1)
	v_cndmask_b32_e64 v29, 0, v16, s11
	s_wait_dscnt 0x8
	v_add_nc_u16 v4, v29, v30
	ds_store_b16 v3, v13 offset:20
	ds_store_b8 v3, v9 offset:22
	ds_store_b16 v3, v16 offset:24
	ds_store_b8 v3, v17 offset:26
	;; [unrolled: 2-line block ×3, first 2 shown]
.LBB1607_166:
	s_or_b32 exec_lo, exec_lo, s12
	v_cmp_eq_u32_e64 s11, 0, v0
	v_mov_b32_e32 v4, v2
	s_mov_b32 s13, exec_lo
	s_wait_dscnt 0x0
	s_barrier_signal -1
	s_barrier_wait -1
	v_cmpx_ne_u32_e32 0, v0
	s_cbranch_execz .LBB1607_168
; %bb.167:
	v_add_nc_u32_e32 v3, -1, v0
	s_delay_alu instid0(VALU_DEP_1) | instskip(NEXT) | instid1(VALU_DEP_1)
	v_lshrrev_b32_e32 v4, 3, v3
	v_and_b32_e32 v4, 0x1ffffffc, v4
	s_delay_alu instid0(VALU_DEP_1) | instskip(SKIP_4) | instid1(VALU_DEP_1)
	v_lshl_add_u32 v3, v3, 2, v4
	ds_load_u8 v4, v3 offset:2
	ds_load_u16 v3, v3
	s_wait_dscnt 0x1
	v_cmp_eq_u16_e64 s12, 0, v4
	v_cndmask_b32_e64 v4, 0, v2, s12
	s_wait_dscnt 0x0
	s_delay_alu instid0(VALU_DEP_1)
	v_add_nc_u16 v4, v4, v3
.LBB1607_168:
	s_or_b32 exec_lo, exec_lo, s13
	v_and_b32_e32 v3, 0xff0000, v1
	s_delay_alu instid0(VALU_DEP_1) | instskip(NEXT) | instid1(VALU_DEP_1)
	v_cmp_eq_u32_e64 s12, 0, v3
	v_cndmask_b32_e64 v3, 0, v4, s12
	s_delay_alu instid0(VALU_DEP_1) | instskip(NEXT) | instid1(VALU_DEP_1)
	v_add_nc_u16 v5, v3, v1
	v_cndmask_b32_e32 v1, 0, v5, vcc_lo
	s_delay_alu instid0(VALU_DEP_1) | instskip(NEXT) | instid1(VALU_DEP_1)
	v_add_nc_u16 v6, v1, v14
	v_cndmask_b32_e64 v1, 0, v6, s0
	s_delay_alu instid0(VALU_DEP_1) | instskip(NEXT) | instid1(VALU_DEP_1)
	v_add_nc_u16 v7, v1, v15
	v_cndmask_b32_e64 v1, 0, v7, s1
	;; [unrolled: 3-line block ×11, first 2 shown]
	s_and_saveexec_b32 s0, s11
	s_cbranch_execz .LBB1607_170
; %bb.169:
	v_mov_b32_e32 v10, 0
	ds_load_u8 v3, v10 offset:1050
	ds_load_u16 v11, v10 offset:1048
	s_wait_dscnt 0x1
	v_cmp_eq_u32_e32 vcc_lo, 0, v3
	v_dual_cndmask_b32 v2, 0, v2 :: v_dual_lshlrev_b32 v3, 16, v3
	s_wait_dscnt 0x0
	s_delay_alu instid0(VALU_DEP_1) | instskip(NEXT) | instid1(VALU_DEP_1)
	v_add_nc_u32_e32 v2, v2, v11
	v_and_b32_e32 v2, 0xffff, v2
	s_delay_alu instid0(VALU_DEP_1)
	v_dual_mov_b32 v3, 2 :: v_dual_bitop2_b32 v2, v3, v2 bitop3:0x54
	global_store_b64 v10, v[2:3], s[16:17] offset:256 scope:SCOPE_DEV
.LBB1607_170:
	s_wait_xcnt 0x0
	s_or_b32 exec_lo, exec_lo, s0
	v_add_nc_u16 v34, v1, v19
.LBB1607_171:
	v_mov_b32_e32 v1, 0
	s_add_nc_u64 s[0:1], s[14:15], s[26:27]
	s_and_b32 vcc_lo, exec_lo, s19
	s_add_nc_u64 s[0:1], s[0:1], s[20:21]
	s_cbranch_vccz .LBB1607_227
; %bb.172:
	v_mul_u32_u24_e32 v2, 14, v0
	v_dual_mov_b32 v3, 0 :: v_dual_mov_b32 v10, 0
	v_dual_mov_b32 v11, 0 :: v_dual_mov_b32 v12, 0
	;; [unrolled: 1-line block ×3, first 2 shown]
	s_add_co_i32 s29, s29, s18
	s_mov_b32 s2, exec_lo
	v_cmpx_gt_u32_e64 s29, v2
	s_cbranch_execz .LBB1607_200
; %bb.173:
	v_dual_mov_b32 v3, 0 :: v_dual_bitop2_b32 v12, 1, v2 bitop3:0x54
	v_and_b32_e32 v1, 0xffff, v4
	v_dual_mov_b32 v10, 0 :: v_dual_mov_b32 v11, 0
	s_delay_alu instid0(VALU_DEP_3)
	v_cmp_gt_u32_e32 vcc_lo, s29, v12
	v_dual_mov_b32 v12, 0 :: v_dual_mov_b32 v13, 0
	v_mov_b32_e32 v14, 0
	s_and_saveexec_b32 s3, vcc_lo
	s_cbranch_execz .LBB1607_199
; %bb.174:
	v_perm_b32 v1, v5, v1, 0x5040100
	v_dual_mov_b32 v14, 0 :: v_dual_mov_b32 v13, 0
	v_dual_mov_b32 v12, 0 :: v_dual_add_nc_u32 v15, 2, v2
	v_dual_mov_b32 v11, 0 :: v_dual_mov_b32 v10, 0
	v_mov_b32_e32 v3, 0
	s_mov_b32 s4, exec_lo
	s_delay_alu instid0(VALU_DEP_3)
	v_cmpx_gt_u32_e64 s29, v15
	s_cbranch_execz .LBB1607_198
; %bb.175:
	v_bfi_b32 v3, 0xffff, v6, 0
	v_dual_mov_b32 v14, 0 :: v_dual_add_nc_u32 v15, 3, v2
	v_dual_mov_b32 v13, 0 :: v_dual_mov_b32 v12, 0
	v_dual_mov_b32 v11, 0 :: v_dual_mov_b32 v10, 0
	s_mov_b32 s5, exec_lo
	s_delay_alu instid0(VALU_DEP_3)
	v_cmpx_gt_u32_e64 s29, v15
	s_cbranch_execz .LBB1607_197
; %bb.176:
	v_perm_b32 v3, v7, v3, 0x5040100
	v_dual_mov_b32 v14, 0 :: v_dual_add_nc_u32 v15, 4, v2
	v_dual_mov_b32 v13, 0 :: v_dual_mov_b32 v12, 0
	v_dual_mov_b32 v11, 0 :: v_dual_mov_b32 v10, 0
	s_mov_b32 s6, exec_lo
	s_delay_alu instid0(VALU_DEP_3)
	v_cmpx_gt_u32_e64 s29, v15
	s_cbranch_execz .LBB1607_196
; %bb.177:
	v_bfi_b32 v10, 0xffff, v8, 0
	v_dual_mov_b32 v14, 0 :: v_dual_add_nc_u32 v15, 5, v2
	v_dual_mov_b32 v13, 0 :: v_dual_mov_b32 v12, 0
	v_mov_b32_e32 v11, 0
	s_mov_b32 s7, exec_lo
	s_delay_alu instid0(VALU_DEP_3)
	v_cmpx_gt_u32_e64 s29, v15
	s_cbranch_execz .LBB1607_195
; %bb.178:
	v_perm_b32 v10, v9, v10, 0x5040100
	v_dual_mov_b32 v14, 0 :: v_dual_add_nc_u32 v15, 6, v2
	v_dual_mov_b32 v13, 0 :: v_dual_mov_b32 v12, 0
	v_mov_b32_e32 v11, 0
	s_mov_b32 s8, exec_lo
	s_delay_alu instid0(VALU_DEP_3)
	v_cmpx_gt_u32_e64 s29, v15
	s_cbranch_execz .LBB1607_194
; %bb.179:
	v_dual_mov_b32 v14, 0 :: v_dual_add_nc_u32 v15, 7, v2
	v_bfi_b32 v11, 0xffff, v17, 0
	v_dual_mov_b32 v13, 0 :: v_dual_mov_b32 v12, 0
	s_mov_b32 s9, exec_lo
	s_delay_alu instid0(VALU_DEP_3)
	v_cmpx_gt_u32_e64 s29, v15
	s_cbranch_execz .LBB1607_193
; %bb.180:
	v_dual_mov_b32 v14, 0 :: v_dual_add_nc_u32 v15, 8, v2
	v_perm_b32 v11, v28, v11, 0x5040100
	v_dual_mov_b32 v13, 0 :: v_dual_mov_b32 v12, 0
	s_mov_b32 s10, exec_lo
	s_delay_alu instid0(VALU_DEP_3)
	v_cmpx_gt_u32_e64 s29, v15
	s_cbranch_execz .LBB1607_192
; %bb.181:
	v_dual_mov_b32 v14, 0 :: v_dual_add_nc_u32 v15, 9, v2
	v_bfi_b32 v12, 0xffff, v29, 0
	v_mov_b32_e32 v13, 0
	s_mov_b32 s11, exec_lo
	s_delay_alu instid0(VALU_DEP_3)
	v_cmpx_gt_u32_e64 s29, v15
	s_cbranch_execz .LBB1607_191
; %bb.182:
	v_dual_mov_b32 v14, 0 :: v_dual_add_nc_u32 v15, 10, v2
	v_perm_b32 v12, v30, v12, 0x5040100
	v_mov_b32_e32 v13, 0
	s_mov_b32 s12, exec_lo
	s_delay_alu instid0(VALU_DEP_3)
	v_cmpx_gt_u32_e64 s29, v15
	s_cbranch_execz .LBB1607_190
; %bb.183:
	v_dual_mov_b32 v14, 0 :: v_dual_add_nc_u32 v15, 11, v2
	v_bfi_b32 v13, 0xffff, v31, 0
	s_mov_b32 s13, exec_lo
	s_delay_alu instid0(VALU_DEP_2)
	v_cmpx_gt_u32_e64 s29, v15
	s_cbranch_execz .LBB1607_189
; %bb.184:
	v_dual_mov_b32 v14, 0 :: v_dual_add_nc_u32 v15, 12, v2
	v_perm_b32 v13, v32, v13, 0x5040100
	s_mov_b32 s14, exec_lo
	s_delay_alu instid0(VALU_DEP_2)
	v_cmpx_gt_u32_e64 s29, v15
	s_cbranch_execz .LBB1607_188
; %bb.185:
	v_add_nc_u32_e32 v15, 13, v2
	v_bfi_b32 v14, 0xffff, v33, 0
	s_mov_b32 s15, exec_lo
	s_delay_alu instid0(VALU_DEP_2)
	v_cmpx_gt_u32_e64 s29, v15
; %bb.186:
	s_delay_alu instid0(VALU_DEP_2)
	v_perm_b32 v14, v34, v14, 0x5040100
; %bb.187:
	s_or_b32 exec_lo, exec_lo, s15
.LBB1607_188:
	s_delay_alu instid0(SALU_CYCLE_1)
	s_or_b32 exec_lo, exec_lo, s14
.LBB1607_189:
	s_delay_alu instid0(SALU_CYCLE_1)
	s_or_b32 exec_lo, exec_lo, s13
.LBB1607_190:
	s_delay_alu instid0(SALU_CYCLE_1)
	s_or_b32 exec_lo, exec_lo, s12
.LBB1607_191:
	s_delay_alu instid0(SALU_CYCLE_1)
	s_or_b32 exec_lo, exec_lo, s11
.LBB1607_192:
	s_delay_alu instid0(SALU_CYCLE_1)
	s_or_b32 exec_lo, exec_lo, s10
.LBB1607_193:
	s_delay_alu instid0(SALU_CYCLE_1)
	s_or_b32 exec_lo, exec_lo, s9
.LBB1607_194:
	s_delay_alu instid0(SALU_CYCLE_1)
	s_or_b32 exec_lo, exec_lo, s8
.LBB1607_195:
	s_delay_alu instid0(SALU_CYCLE_1)
	s_or_b32 exec_lo, exec_lo, s7
.LBB1607_196:
	s_delay_alu instid0(SALU_CYCLE_1)
	s_or_b32 exec_lo, exec_lo, s6
.LBB1607_197:
	s_delay_alu instid0(SALU_CYCLE_1)
	s_or_b32 exec_lo, exec_lo, s5
.LBB1607_198:
	s_delay_alu instid0(SALU_CYCLE_1)
	s_or_b32 exec_lo, exec_lo, s4
.LBB1607_199:
	s_delay_alu instid0(SALU_CYCLE_1)
	s_or_b32 exec_lo, exec_lo, s3
.LBB1607_200:
	s_delay_alu instid0(SALU_CYCLE_1)
	s_or_b32 exec_lo, exec_lo, s2
	v_lshlrev_b32_e32 v22, 1, v2
	s_wait_storecnt 0x0
	s_barrier_signal -1
	s_barrier_wait -1
	ds_store_2addr_b32 v22, v1, v3 offset1:1
	ds_store_2addr_b32 v22, v10, v11 offset0:2 offset1:3
	ds_store_2addr_b32 v22, v12, v13 offset0:4 offset1:5
	ds_store_b32 v22, v14 offset:24
	v_mov_b32_e32 v3, 0
	v_mad_i32_i24 v1, 0xffffffe6, v0, v22
	s_wait_dscnt 0x0
	s_barrier_signal -1
	s_barrier_wait -1
	ds_load_u16 v23, v1 offset:512
	ds_load_u16 v21, v1 offset:1024
	;; [unrolled: 1-line block ×13, first 2 shown]
	v_lshlrev_b32_e32 v2, 1, v0
	s_mov_b32 s2, exec_lo
	s_delay_alu instid0(VALU_DEP_1)
	v_add_nc_u64_e32 v[2:3], s[0:1], v[2:3]
	v_cmpx_gt_u32_e64 s29, v0
	s_cbranch_execz .LBB1607_202
; %bb.201:
	v_mul_i32_i24_e32 v24, 0xffffffe6, v0
	s_delay_alu instid0(VALU_DEP_1)
	v_add_nc_u32_e32 v22, v22, v24
	ds_load_u16 v22, v22
	s_wait_dscnt 0x0
	flat_store_b16 v[2:3], v22
.LBB1607_202:
	s_wait_xcnt 0x0
	s_or_b32 exec_lo, exec_lo, s2
	v_or_b32_e32 v22, 0x100, v0
	s_mov_b32 s2, exec_lo
	s_delay_alu instid0(VALU_DEP_1)
	v_cmpx_gt_u32_e64 s29, v22
	s_cbranch_execz .LBB1607_204
; %bb.203:
	s_wait_dscnt 0xc
	flat_store_b16 v[2:3], v23 offset:512
.LBB1607_204:
	s_wait_xcnt 0x0
	s_or_b32 exec_lo, exec_lo, s2
	v_or_b32_e32 v22, 0x200, v0
	s_mov_b32 s2, exec_lo
	s_delay_alu instid0(VALU_DEP_1)
	v_cmpx_gt_u32_e64 s29, v22
	s_cbranch_execz .LBB1607_206
; %bb.205:
	s_wait_dscnt 0xb
	flat_store_b16 v[2:3], v21 offset:1024
.LBB1607_206:
	s_wait_xcnt 0x0
	s_or_b32 exec_lo, exec_lo, s2
	s_wait_dscnt 0xb
	v_or_b32_e32 v21, 0x300, v0
	s_mov_b32 s2, exec_lo
	s_delay_alu instid0(VALU_DEP_1)
	v_cmpx_gt_u32_e64 s29, v21
	s_cbranch_execz .LBB1607_208
; %bb.207:
	s_wait_dscnt 0xa
	flat_store_b16 v[2:3], v20 offset:1536
.LBB1607_208:
	s_wait_xcnt 0x0
	s_or_b32 exec_lo, exec_lo, s2
	s_wait_dscnt 0xa
	;; [unrolled: 12-line block ×10, first 2 shown]
	v_or_b32_e32 v11, 0xc00, v0
	s_mov_b32 s2, exec_lo
	s_delay_alu instid0(VALU_DEP_1)
	v_cmpx_gt_u32_e64 s29, v11
	s_cbranch_execz .LBB1607_226
; %bb.225:
	s_wait_dscnt 0x1
	flat_store_b16 v[2:3], v10 offset:6144
.LBB1607_226:
	s_wait_xcnt 0x0
	s_or_b32 exec_lo, exec_lo, s2
	v_or_b32_e32 v2, 0xd00, v0
	s_delay_alu instid0(VALU_DEP_1)
	v_cmp_gt_u32_e64 s2, s29, v2
	s_branch .LBB1607_229
.LBB1607_227:
	s_mov_b32 s2, 0
                                        ; implicit-def: $vgpr1
	s_cbranch_execz .LBB1607_229
; %bb.228:
	s_wait_dscnt 0x0
	v_mul_u32_u24_e32 v1, 28, v0
	v_perm_b32 v2, v7, v6, 0x5040100
	v_perm_b32 v3, v5, v4, 0x5040100
	v_perm_b32 v5, v9, v8, 0x5040100
	v_mul_i32_i24_e32 v9, 0xffffffe6, v0
	v_perm_b32 v4, v28, v17, 0x5040100
	v_perm_b32 v6, v32, v31, 0x5040100
	;; [unrolled: 1-line block ×4, first 2 shown]
	s_wait_storecnt 0x0
	s_barrier_signal -1
	s_barrier_wait -1
	ds_store_2addr_b32 v1, v3, v2 offset1:1
	ds_store_2addr_b32 v1, v5, v4 offset0:2 offset1:3
	ds_store_2addr_b32 v1, v7, v6 offset0:4 offset1:5
	ds_store_b32 v1, v8 offset:24
	v_mad_u32_u24 v1, v0, 28, v9
	s_wait_dscnt 0x0
	s_barrier_signal -1
	s_barrier_wait -1
	ds_load_u16 v2, v1
	ds_load_u16 v3, v1 offset:512
	ds_load_u16 v4, v1 offset:1024
	;; [unrolled: 1-line block ×13, first 2 shown]
	s_or_b32 s2, s2, exec_lo
	s_wait_dscnt 0xd
	flat_store_b16 v0, v2, s[0:1] scale_offset
	s_wait_dscnt 0xd
	flat_store_b16 v0, v3, s[0:1] offset:512 scale_offset
	s_wait_dscnt 0xd
	flat_store_b16 v0, v4, s[0:1] offset:1024 scale_offset
	;; [unrolled: 2-line block ×12, first 2 shown]
.LBB1607_229:
	s_wait_xcnt 0x0
	s_delay_alu instid0(VALU_DEP_1)
	s_and_saveexec_b32 s3, s2
	s_cbranch_execz .LBB1607_231
; %bb.230:
	s_wait_dscnt 0x0
	flat_store_b16 v0, v1, s[0:1] offset:6656 scale_offset
	s_endpgm
.LBB1607_231:
	s_endpgm
	.section	.rodata,"a",@progbits
	.p2align	6, 0x0
	.amdhsa_kernel _ZN7rocprim17ROCPRIM_400000_NS6detail17trampoline_kernelINS0_14default_configENS1_27scan_by_key_config_selectorIisEEZZNS1_16scan_by_key_implILNS1_25lookback_scan_determinismE0ELb1ES3_N6thrust23THRUST_200600_302600_NS6detail15normal_iteratorINS9_10device_ptrIiEEEENSB_INSC_IsEEEESG_sNS9_4plusIvEENS9_8equal_toIvEEsEE10hipError_tPvRmT2_T3_T4_T5_mT6_T7_P12ihipStream_tbENKUlT_T0_E_clISt17integral_constantIbLb0EES11_EEDaSW_SX_EUlSW_E_NS1_11comp_targetILNS1_3genE0ELNS1_11target_archE4294967295ELNS1_3gpuE0ELNS1_3repE0EEENS1_30default_config_static_selectorELNS0_4arch9wavefront6targetE0EEEvT1_
		.amdhsa_group_segment_fixed_size 16384
		.amdhsa_private_segment_fixed_size 0
		.amdhsa_kernarg_size 112
		.amdhsa_user_sgpr_count 2
		.amdhsa_user_sgpr_dispatch_ptr 0
		.amdhsa_user_sgpr_queue_ptr 0
		.amdhsa_user_sgpr_kernarg_segment_ptr 1
		.amdhsa_user_sgpr_dispatch_id 0
		.amdhsa_user_sgpr_kernarg_preload_length 0
		.amdhsa_user_sgpr_kernarg_preload_offset 0
		.amdhsa_user_sgpr_private_segment_size 0
		.amdhsa_wavefront_size32 1
		.amdhsa_uses_dynamic_stack 0
		.amdhsa_enable_private_segment 0
		.amdhsa_system_sgpr_workgroup_id_x 1
		.amdhsa_system_sgpr_workgroup_id_y 0
		.amdhsa_system_sgpr_workgroup_id_z 0
		.amdhsa_system_sgpr_workgroup_info 0
		.amdhsa_system_vgpr_workitem_id 0
		.amdhsa_next_free_vgpr 46
		.amdhsa_next_free_sgpr 39
		.amdhsa_named_barrier_count 0
		.amdhsa_reserve_vcc 1
		.amdhsa_float_round_mode_32 0
		.amdhsa_float_round_mode_16_64 0
		.amdhsa_float_denorm_mode_32 3
		.amdhsa_float_denorm_mode_16_64 3
		.amdhsa_fp16_overflow 0
		.amdhsa_memory_ordered 1
		.amdhsa_forward_progress 1
		.amdhsa_inst_pref_size 118
		.amdhsa_round_robin_scheduling 0
		.amdhsa_exception_fp_ieee_invalid_op 0
		.amdhsa_exception_fp_denorm_src 0
		.amdhsa_exception_fp_ieee_div_zero 0
		.amdhsa_exception_fp_ieee_overflow 0
		.amdhsa_exception_fp_ieee_underflow 0
		.amdhsa_exception_fp_ieee_inexact 0
		.amdhsa_exception_int_div_zero 0
	.end_amdhsa_kernel
	.section	.text._ZN7rocprim17ROCPRIM_400000_NS6detail17trampoline_kernelINS0_14default_configENS1_27scan_by_key_config_selectorIisEEZZNS1_16scan_by_key_implILNS1_25lookback_scan_determinismE0ELb1ES3_N6thrust23THRUST_200600_302600_NS6detail15normal_iteratorINS9_10device_ptrIiEEEENSB_INSC_IsEEEESG_sNS9_4plusIvEENS9_8equal_toIvEEsEE10hipError_tPvRmT2_T3_T4_T5_mT6_T7_P12ihipStream_tbENKUlT_T0_E_clISt17integral_constantIbLb0EES11_EEDaSW_SX_EUlSW_E_NS1_11comp_targetILNS1_3genE0ELNS1_11target_archE4294967295ELNS1_3gpuE0ELNS1_3repE0EEENS1_30default_config_static_selectorELNS0_4arch9wavefront6targetE0EEEvT1_,"axG",@progbits,_ZN7rocprim17ROCPRIM_400000_NS6detail17trampoline_kernelINS0_14default_configENS1_27scan_by_key_config_selectorIisEEZZNS1_16scan_by_key_implILNS1_25lookback_scan_determinismE0ELb1ES3_N6thrust23THRUST_200600_302600_NS6detail15normal_iteratorINS9_10device_ptrIiEEEENSB_INSC_IsEEEESG_sNS9_4plusIvEENS9_8equal_toIvEEsEE10hipError_tPvRmT2_T3_T4_T5_mT6_T7_P12ihipStream_tbENKUlT_T0_E_clISt17integral_constantIbLb0EES11_EEDaSW_SX_EUlSW_E_NS1_11comp_targetILNS1_3genE0ELNS1_11target_archE4294967295ELNS1_3gpuE0ELNS1_3repE0EEENS1_30default_config_static_selectorELNS0_4arch9wavefront6targetE0EEEvT1_,comdat
.Lfunc_end1607:
	.size	_ZN7rocprim17ROCPRIM_400000_NS6detail17trampoline_kernelINS0_14default_configENS1_27scan_by_key_config_selectorIisEEZZNS1_16scan_by_key_implILNS1_25lookback_scan_determinismE0ELb1ES3_N6thrust23THRUST_200600_302600_NS6detail15normal_iteratorINS9_10device_ptrIiEEEENSB_INSC_IsEEEESG_sNS9_4plusIvEENS9_8equal_toIvEEsEE10hipError_tPvRmT2_T3_T4_T5_mT6_T7_P12ihipStream_tbENKUlT_T0_E_clISt17integral_constantIbLb0EES11_EEDaSW_SX_EUlSW_E_NS1_11comp_targetILNS1_3genE0ELNS1_11target_archE4294967295ELNS1_3gpuE0ELNS1_3repE0EEENS1_30default_config_static_selectorELNS0_4arch9wavefront6targetE0EEEvT1_, .Lfunc_end1607-_ZN7rocprim17ROCPRIM_400000_NS6detail17trampoline_kernelINS0_14default_configENS1_27scan_by_key_config_selectorIisEEZZNS1_16scan_by_key_implILNS1_25lookback_scan_determinismE0ELb1ES3_N6thrust23THRUST_200600_302600_NS6detail15normal_iteratorINS9_10device_ptrIiEEEENSB_INSC_IsEEEESG_sNS9_4plusIvEENS9_8equal_toIvEEsEE10hipError_tPvRmT2_T3_T4_T5_mT6_T7_P12ihipStream_tbENKUlT_T0_E_clISt17integral_constantIbLb0EES11_EEDaSW_SX_EUlSW_E_NS1_11comp_targetILNS1_3genE0ELNS1_11target_archE4294967295ELNS1_3gpuE0ELNS1_3repE0EEENS1_30default_config_static_selectorELNS0_4arch9wavefront6targetE0EEEvT1_
                                        ; -- End function
	.set _ZN7rocprim17ROCPRIM_400000_NS6detail17trampoline_kernelINS0_14default_configENS1_27scan_by_key_config_selectorIisEEZZNS1_16scan_by_key_implILNS1_25lookback_scan_determinismE0ELb1ES3_N6thrust23THRUST_200600_302600_NS6detail15normal_iteratorINS9_10device_ptrIiEEEENSB_INSC_IsEEEESG_sNS9_4plusIvEENS9_8equal_toIvEEsEE10hipError_tPvRmT2_T3_T4_T5_mT6_T7_P12ihipStream_tbENKUlT_T0_E_clISt17integral_constantIbLb0EES11_EEDaSW_SX_EUlSW_E_NS1_11comp_targetILNS1_3genE0ELNS1_11target_archE4294967295ELNS1_3gpuE0ELNS1_3repE0EEENS1_30default_config_static_selectorELNS0_4arch9wavefront6targetE0EEEvT1_.num_vgpr, 46
	.set _ZN7rocprim17ROCPRIM_400000_NS6detail17trampoline_kernelINS0_14default_configENS1_27scan_by_key_config_selectorIisEEZZNS1_16scan_by_key_implILNS1_25lookback_scan_determinismE0ELb1ES3_N6thrust23THRUST_200600_302600_NS6detail15normal_iteratorINS9_10device_ptrIiEEEENSB_INSC_IsEEEESG_sNS9_4plusIvEENS9_8equal_toIvEEsEE10hipError_tPvRmT2_T3_T4_T5_mT6_T7_P12ihipStream_tbENKUlT_T0_E_clISt17integral_constantIbLb0EES11_EEDaSW_SX_EUlSW_E_NS1_11comp_targetILNS1_3genE0ELNS1_11target_archE4294967295ELNS1_3gpuE0ELNS1_3repE0EEENS1_30default_config_static_selectorELNS0_4arch9wavefront6targetE0EEEvT1_.num_agpr, 0
	.set _ZN7rocprim17ROCPRIM_400000_NS6detail17trampoline_kernelINS0_14default_configENS1_27scan_by_key_config_selectorIisEEZZNS1_16scan_by_key_implILNS1_25lookback_scan_determinismE0ELb1ES3_N6thrust23THRUST_200600_302600_NS6detail15normal_iteratorINS9_10device_ptrIiEEEENSB_INSC_IsEEEESG_sNS9_4plusIvEENS9_8equal_toIvEEsEE10hipError_tPvRmT2_T3_T4_T5_mT6_T7_P12ihipStream_tbENKUlT_T0_E_clISt17integral_constantIbLb0EES11_EEDaSW_SX_EUlSW_E_NS1_11comp_targetILNS1_3genE0ELNS1_11target_archE4294967295ELNS1_3gpuE0ELNS1_3repE0EEENS1_30default_config_static_selectorELNS0_4arch9wavefront6targetE0EEEvT1_.numbered_sgpr, 39
	.set _ZN7rocprim17ROCPRIM_400000_NS6detail17trampoline_kernelINS0_14default_configENS1_27scan_by_key_config_selectorIisEEZZNS1_16scan_by_key_implILNS1_25lookback_scan_determinismE0ELb1ES3_N6thrust23THRUST_200600_302600_NS6detail15normal_iteratorINS9_10device_ptrIiEEEENSB_INSC_IsEEEESG_sNS9_4plusIvEENS9_8equal_toIvEEsEE10hipError_tPvRmT2_T3_T4_T5_mT6_T7_P12ihipStream_tbENKUlT_T0_E_clISt17integral_constantIbLb0EES11_EEDaSW_SX_EUlSW_E_NS1_11comp_targetILNS1_3genE0ELNS1_11target_archE4294967295ELNS1_3gpuE0ELNS1_3repE0EEENS1_30default_config_static_selectorELNS0_4arch9wavefront6targetE0EEEvT1_.num_named_barrier, 0
	.set _ZN7rocprim17ROCPRIM_400000_NS6detail17trampoline_kernelINS0_14default_configENS1_27scan_by_key_config_selectorIisEEZZNS1_16scan_by_key_implILNS1_25lookback_scan_determinismE0ELb1ES3_N6thrust23THRUST_200600_302600_NS6detail15normal_iteratorINS9_10device_ptrIiEEEENSB_INSC_IsEEEESG_sNS9_4plusIvEENS9_8equal_toIvEEsEE10hipError_tPvRmT2_T3_T4_T5_mT6_T7_P12ihipStream_tbENKUlT_T0_E_clISt17integral_constantIbLb0EES11_EEDaSW_SX_EUlSW_E_NS1_11comp_targetILNS1_3genE0ELNS1_11target_archE4294967295ELNS1_3gpuE0ELNS1_3repE0EEENS1_30default_config_static_selectorELNS0_4arch9wavefront6targetE0EEEvT1_.private_seg_size, 0
	.set _ZN7rocprim17ROCPRIM_400000_NS6detail17trampoline_kernelINS0_14default_configENS1_27scan_by_key_config_selectorIisEEZZNS1_16scan_by_key_implILNS1_25lookback_scan_determinismE0ELb1ES3_N6thrust23THRUST_200600_302600_NS6detail15normal_iteratorINS9_10device_ptrIiEEEENSB_INSC_IsEEEESG_sNS9_4plusIvEENS9_8equal_toIvEEsEE10hipError_tPvRmT2_T3_T4_T5_mT6_T7_P12ihipStream_tbENKUlT_T0_E_clISt17integral_constantIbLb0EES11_EEDaSW_SX_EUlSW_E_NS1_11comp_targetILNS1_3genE0ELNS1_11target_archE4294967295ELNS1_3gpuE0ELNS1_3repE0EEENS1_30default_config_static_selectorELNS0_4arch9wavefront6targetE0EEEvT1_.uses_vcc, 1
	.set _ZN7rocprim17ROCPRIM_400000_NS6detail17trampoline_kernelINS0_14default_configENS1_27scan_by_key_config_selectorIisEEZZNS1_16scan_by_key_implILNS1_25lookback_scan_determinismE0ELb1ES3_N6thrust23THRUST_200600_302600_NS6detail15normal_iteratorINS9_10device_ptrIiEEEENSB_INSC_IsEEEESG_sNS9_4plusIvEENS9_8equal_toIvEEsEE10hipError_tPvRmT2_T3_T4_T5_mT6_T7_P12ihipStream_tbENKUlT_T0_E_clISt17integral_constantIbLb0EES11_EEDaSW_SX_EUlSW_E_NS1_11comp_targetILNS1_3genE0ELNS1_11target_archE4294967295ELNS1_3gpuE0ELNS1_3repE0EEENS1_30default_config_static_selectorELNS0_4arch9wavefront6targetE0EEEvT1_.uses_flat_scratch, 1
	.set _ZN7rocprim17ROCPRIM_400000_NS6detail17trampoline_kernelINS0_14default_configENS1_27scan_by_key_config_selectorIisEEZZNS1_16scan_by_key_implILNS1_25lookback_scan_determinismE0ELb1ES3_N6thrust23THRUST_200600_302600_NS6detail15normal_iteratorINS9_10device_ptrIiEEEENSB_INSC_IsEEEESG_sNS9_4plusIvEENS9_8equal_toIvEEsEE10hipError_tPvRmT2_T3_T4_T5_mT6_T7_P12ihipStream_tbENKUlT_T0_E_clISt17integral_constantIbLb0EES11_EEDaSW_SX_EUlSW_E_NS1_11comp_targetILNS1_3genE0ELNS1_11target_archE4294967295ELNS1_3gpuE0ELNS1_3repE0EEENS1_30default_config_static_selectorELNS0_4arch9wavefront6targetE0EEEvT1_.has_dyn_sized_stack, 0
	.set _ZN7rocprim17ROCPRIM_400000_NS6detail17trampoline_kernelINS0_14default_configENS1_27scan_by_key_config_selectorIisEEZZNS1_16scan_by_key_implILNS1_25lookback_scan_determinismE0ELb1ES3_N6thrust23THRUST_200600_302600_NS6detail15normal_iteratorINS9_10device_ptrIiEEEENSB_INSC_IsEEEESG_sNS9_4plusIvEENS9_8equal_toIvEEsEE10hipError_tPvRmT2_T3_T4_T5_mT6_T7_P12ihipStream_tbENKUlT_T0_E_clISt17integral_constantIbLb0EES11_EEDaSW_SX_EUlSW_E_NS1_11comp_targetILNS1_3genE0ELNS1_11target_archE4294967295ELNS1_3gpuE0ELNS1_3repE0EEENS1_30default_config_static_selectorELNS0_4arch9wavefront6targetE0EEEvT1_.has_recursion, 0
	.set _ZN7rocprim17ROCPRIM_400000_NS6detail17trampoline_kernelINS0_14default_configENS1_27scan_by_key_config_selectorIisEEZZNS1_16scan_by_key_implILNS1_25lookback_scan_determinismE0ELb1ES3_N6thrust23THRUST_200600_302600_NS6detail15normal_iteratorINS9_10device_ptrIiEEEENSB_INSC_IsEEEESG_sNS9_4plusIvEENS9_8equal_toIvEEsEE10hipError_tPvRmT2_T3_T4_T5_mT6_T7_P12ihipStream_tbENKUlT_T0_E_clISt17integral_constantIbLb0EES11_EEDaSW_SX_EUlSW_E_NS1_11comp_targetILNS1_3genE0ELNS1_11target_archE4294967295ELNS1_3gpuE0ELNS1_3repE0EEENS1_30default_config_static_selectorELNS0_4arch9wavefront6targetE0EEEvT1_.has_indirect_call, 0
	.section	.AMDGPU.csdata,"",@progbits
; Kernel info:
; codeLenInByte = 15088
; TotalNumSgprs: 41
; NumVgprs: 46
; ScratchSize: 0
; MemoryBound: 0
; FloatMode: 240
; IeeeMode: 1
; LDSByteSize: 16384 bytes/workgroup (compile time only)
; SGPRBlocks: 0
; VGPRBlocks: 2
; NumSGPRsForWavesPerEU: 41
; NumVGPRsForWavesPerEU: 46
; NamedBarCnt: 0
; Occupancy: 16
; WaveLimiterHint : 1
; COMPUTE_PGM_RSRC2:SCRATCH_EN: 0
; COMPUTE_PGM_RSRC2:USER_SGPR: 2
; COMPUTE_PGM_RSRC2:TRAP_HANDLER: 0
; COMPUTE_PGM_RSRC2:TGID_X_EN: 1
; COMPUTE_PGM_RSRC2:TGID_Y_EN: 0
; COMPUTE_PGM_RSRC2:TGID_Z_EN: 0
; COMPUTE_PGM_RSRC2:TIDIG_COMP_CNT: 0
	.section	.text._ZN7rocprim17ROCPRIM_400000_NS6detail17trampoline_kernelINS0_14default_configENS1_27scan_by_key_config_selectorIisEEZZNS1_16scan_by_key_implILNS1_25lookback_scan_determinismE0ELb1ES3_N6thrust23THRUST_200600_302600_NS6detail15normal_iteratorINS9_10device_ptrIiEEEENSB_INSC_IsEEEESG_sNS9_4plusIvEENS9_8equal_toIvEEsEE10hipError_tPvRmT2_T3_T4_T5_mT6_T7_P12ihipStream_tbENKUlT_T0_E_clISt17integral_constantIbLb0EES11_EEDaSW_SX_EUlSW_E_NS1_11comp_targetILNS1_3genE10ELNS1_11target_archE1201ELNS1_3gpuE5ELNS1_3repE0EEENS1_30default_config_static_selectorELNS0_4arch9wavefront6targetE0EEEvT1_,"axG",@progbits,_ZN7rocprim17ROCPRIM_400000_NS6detail17trampoline_kernelINS0_14default_configENS1_27scan_by_key_config_selectorIisEEZZNS1_16scan_by_key_implILNS1_25lookback_scan_determinismE0ELb1ES3_N6thrust23THRUST_200600_302600_NS6detail15normal_iteratorINS9_10device_ptrIiEEEENSB_INSC_IsEEEESG_sNS9_4plusIvEENS9_8equal_toIvEEsEE10hipError_tPvRmT2_T3_T4_T5_mT6_T7_P12ihipStream_tbENKUlT_T0_E_clISt17integral_constantIbLb0EES11_EEDaSW_SX_EUlSW_E_NS1_11comp_targetILNS1_3genE10ELNS1_11target_archE1201ELNS1_3gpuE5ELNS1_3repE0EEENS1_30default_config_static_selectorELNS0_4arch9wavefront6targetE0EEEvT1_,comdat
	.protected	_ZN7rocprim17ROCPRIM_400000_NS6detail17trampoline_kernelINS0_14default_configENS1_27scan_by_key_config_selectorIisEEZZNS1_16scan_by_key_implILNS1_25lookback_scan_determinismE0ELb1ES3_N6thrust23THRUST_200600_302600_NS6detail15normal_iteratorINS9_10device_ptrIiEEEENSB_INSC_IsEEEESG_sNS9_4plusIvEENS9_8equal_toIvEEsEE10hipError_tPvRmT2_T3_T4_T5_mT6_T7_P12ihipStream_tbENKUlT_T0_E_clISt17integral_constantIbLb0EES11_EEDaSW_SX_EUlSW_E_NS1_11comp_targetILNS1_3genE10ELNS1_11target_archE1201ELNS1_3gpuE5ELNS1_3repE0EEENS1_30default_config_static_selectorELNS0_4arch9wavefront6targetE0EEEvT1_ ; -- Begin function _ZN7rocprim17ROCPRIM_400000_NS6detail17trampoline_kernelINS0_14default_configENS1_27scan_by_key_config_selectorIisEEZZNS1_16scan_by_key_implILNS1_25lookback_scan_determinismE0ELb1ES3_N6thrust23THRUST_200600_302600_NS6detail15normal_iteratorINS9_10device_ptrIiEEEENSB_INSC_IsEEEESG_sNS9_4plusIvEENS9_8equal_toIvEEsEE10hipError_tPvRmT2_T3_T4_T5_mT6_T7_P12ihipStream_tbENKUlT_T0_E_clISt17integral_constantIbLb0EES11_EEDaSW_SX_EUlSW_E_NS1_11comp_targetILNS1_3genE10ELNS1_11target_archE1201ELNS1_3gpuE5ELNS1_3repE0EEENS1_30default_config_static_selectorELNS0_4arch9wavefront6targetE0EEEvT1_
	.globl	_ZN7rocprim17ROCPRIM_400000_NS6detail17trampoline_kernelINS0_14default_configENS1_27scan_by_key_config_selectorIisEEZZNS1_16scan_by_key_implILNS1_25lookback_scan_determinismE0ELb1ES3_N6thrust23THRUST_200600_302600_NS6detail15normal_iteratorINS9_10device_ptrIiEEEENSB_INSC_IsEEEESG_sNS9_4plusIvEENS9_8equal_toIvEEsEE10hipError_tPvRmT2_T3_T4_T5_mT6_T7_P12ihipStream_tbENKUlT_T0_E_clISt17integral_constantIbLb0EES11_EEDaSW_SX_EUlSW_E_NS1_11comp_targetILNS1_3genE10ELNS1_11target_archE1201ELNS1_3gpuE5ELNS1_3repE0EEENS1_30default_config_static_selectorELNS0_4arch9wavefront6targetE0EEEvT1_
	.p2align	8
	.type	_ZN7rocprim17ROCPRIM_400000_NS6detail17trampoline_kernelINS0_14default_configENS1_27scan_by_key_config_selectorIisEEZZNS1_16scan_by_key_implILNS1_25lookback_scan_determinismE0ELb1ES3_N6thrust23THRUST_200600_302600_NS6detail15normal_iteratorINS9_10device_ptrIiEEEENSB_INSC_IsEEEESG_sNS9_4plusIvEENS9_8equal_toIvEEsEE10hipError_tPvRmT2_T3_T4_T5_mT6_T7_P12ihipStream_tbENKUlT_T0_E_clISt17integral_constantIbLb0EES11_EEDaSW_SX_EUlSW_E_NS1_11comp_targetILNS1_3genE10ELNS1_11target_archE1201ELNS1_3gpuE5ELNS1_3repE0EEENS1_30default_config_static_selectorELNS0_4arch9wavefront6targetE0EEEvT1_,@function
_ZN7rocprim17ROCPRIM_400000_NS6detail17trampoline_kernelINS0_14default_configENS1_27scan_by_key_config_selectorIisEEZZNS1_16scan_by_key_implILNS1_25lookback_scan_determinismE0ELb1ES3_N6thrust23THRUST_200600_302600_NS6detail15normal_iteratorINS9_10device_ptrIiEEEENSB_INSC_IsEEEESG_sNS9_4plusIvEENS9_8equal_toIvEEsEE10hipError_tPvRmT2_T3_T4_T5_mT6_T7_P12ihipStream_tbENKUlT_T0_E_clISt17integral_constantIbLb0EES11_EEDaSW_SX_EUlSW_E_NS1_11comp_targetILNS1_3genE10ELNS1_11target_archE1201ELNS1_3gpuE5ELNS1_3repE0EEENS1_30default_config_static_selectorELNS0_4arch9wavefront6targetE0EEEvT1_: ; @_ZN7rocprim17ROCPRIM_400000_NS6detail17trampoline_kernelINS0_14default_configENS1_27scan_by_key_config_selectorIisEEZZNS1_16scan_by_key_implILNS1_25lookback_scan_determinismE0ELb1ES3_N6thrust23THRUST_200600_302600_NS6detail15normal_iteratorINS9_10device_ptrIiEEEENSB_INSC_IsEEEESG_sNS9_4plusIvEENS9_8equal_toIvEEsEE10hipError_tPvRmT2_T3_T4_T5_mT6_T7_P12ihipStream_tbENKUlT_T0_E_clISt17integral_constantIbLb0EES11_EEDaSW_SX_EUlSW_E_NS1_11comp_targetILNS1_3genE10ELNS1_11target_archE1201ELNS1_3gpuE5ELNS1_3repE0EEENS1_30default_config_static_selectorELNS0_4arch9wavefront6targetE0EEEvT1_
; %bb.0:
	.section	.rodata,"a",@progbits
	.p2align	6, 0x0
	.amdhsa_kernel _ZN7rocprim17ROCPRIM_400000_NS6detail17trampoline_kernelINS0_14default_configENS1_27scan_by_key_config_selectorIisEEZZNS1_16scan_by_key_implILNS1_25lookback_scan_determinismE0ELb1ES3_N6thrust23THRUST_200600_302600_NS6detail15normal_iteratorINS9_10device_ptrIiEEEENSB_INSC_IsEEEESG_sNS9_4plusIvEENS9_8equal_toIvEEsEE10hipError_tPvRmT2_T3_T4_T5_mT6_T7_P12ihipStream_tbENKUlT_T0_E_clISt17integral_constantIbLb0EES11_EEDaSW_SX_EUlSW_E_NS1_11comp_targetILNS1_3genE10ELNS1_11target_archE1201ELNS1_3gpuE5ELNS1_3repE0EEENS1_30default_config_static_selectorELNS0_4arch9wavefront6targetE0EEEvT1_
		.amdhsa_group_segment_fixed_size 0
		.amdhsa_private_segment_fixed_size 0
		.amdhsa_kernarg_size 112
		.amdhsa_user_sgpr_count 2
		.amdhsa_user_sgpr_dispatch_ptr 0
		.amdhsa_user_sgpr_queue_ptr 0
		.amdhsa_user_sgpr_kernarg_segment_ptr 1
		.amdhsa_user_sgpr_dispatch_id 0
		.amdhsa_user_sgpr_kernarg_preload_length 0
		.amdhsa_user_sgpr_kernarg_preload_offset 0
		.amdhsa_user_sgpr_private_segment_size 0
		.amdhsa_wavefront_size32 1
		.amdhsa_uses_dynamic_stack 0
		.amdhsa_enable_private_segment 0
		.amdhsa_system_sgpr_workgroup_id_x 1
		.amdhsa_system_sgpr_workgroup_id_y 0
		.amdhsa_system_sgpr_workgroup_id_z 0
		.amdhsa_system_sgpr_workgroup_info 0
		.amdhsa_system_vgpr_workitem_id 0
		.amdhsa_next_free_vgpr 1
		.amdhsa_next_free_sgpr 1
		.amdhsa_named_barrier_count 0
		.amdhsa_reserve_vcc 0
		.amdhsa_float_round_mode_32 0
		.amdhsa_float_round_mode_16_64 0
		.amdhsa_float_denorm_mode_32 3
		.amdhsa_float_denorm_mode_16_64 3
		.amdhsa_fp16_overflow 0
		.amdhsa_memory_ordered 1
		.amdhsa_forward_progress 1
		.amdhsa_inst_pref_size 0
		.amdhsa_round_robin_scheduling 0
		.amdhsa_exception_fp_ieee_invalid_op 0
		.amdhsa_exception_fp_denorm_src 0
		.amdhsa_exception_fp_ieee_div_zero 0
		.amdhsa_exception_fp_ieee_overflow 0
		.amdhsa_exception_fp_ieee_underflow 0
		.amdhsa_exception_fp_ieee_inexact 0
		.amdhsa_exception_int_div_zero 0
	.end_amdhsa_kernel
	.section	.text._ZN7rocprim17ROCPRIM_400000_NS6detail17trampoline_kernelINS0_14default_configENS1_27scan_by_key_config_selectorIisEEZZNS1_16scan_by_key_implILNS1_25lookback_scan_determinismE0ELb1ES3_N6thrust23THRUST_200600_302600_NS6detail15normal_iteratorINS9_10device_ptrIiEEEENSB_INSC_IsEEEESG_sNS9_4plusIvEENS9_8equal_toIvEEsEE10hipError_tPvRmT2_T3_T4_T5_mT6_T7_P12ihipStream_tbENKUlT_T0_E_clISt17integral_constantIbLb0EES11_EEDaSW_SX_EUlSW_E_NS1_11comp_targetILNS1_3genE10ELNS1_11target_archE1201ELNS1_3gpuE5ELNS1_3repE0EEENS1_30default_config_static_selectorELNS0_4arch9wavefront6targetE0EEEvT1_,"axG",@progbits,_ZN7rocprim17ROCPRIM_400000_NS6detail17trampoline_kernelINS0_14default_configENS1_27scan_by_key_config_selectorIisEEZZNS1_16scan_by_key_implILNS1_25lookback_scan_determinismE0ELb1ES3_N6thrust23THRUST_200600_302600_NS6detail15normal_iteratorINS9_10device_ptrIiEEEENSB_INSC_IsEEEESG_sNS9_4plusIvEENS9_8equal_toIvEEsEE10hipError_tPvRmT2_T3_T4_T5_mT6_T7_P12ihipStream_tbENKUlT_T0_E_clISt17integral_constantIbLb0EES11_EEDaSW_SX_EUlSW_E_NS1_11comp_targetILNS1_3genE10ELNS1_11target_archE1201ELNS1_3gpuE5ELNS1_3repE0EEENS1_30default_config_static_selectorELNS0_4arch9wavefront6targetE0EEEvT1_,comdat
.Lfunc_end1608:
	.size	_ZN7rocprim17ROCPRIM_400000_NS6detail17trampoline_kernelINS0_14default_configENS1_27scan_by_key_config_selectorIisEEZZNS1_16scan_by_key_implILNS1_25lookback_scan_determinismE0ELb1ES3_N6thrust23THRUST_200600_302600_NS6detail15normal_iteratorINS9_10device_ptrIiEEEENSB_INSC_IsEEEESG_sNS9_4plusIvEENS9_8equal_toIvEEsEE10hipError_tPvRmT2_T3_T4_T5_mT6_T7_P12ihipStream_tbENKUlT_T0_E_clISt17integral_constantIbLb0EES11_EEDaSW_SX_EUlSW_E_NS1_11comp_targetILNS1_3genE10ELNS1_11target_archE1201ELNS1_3gpuE5ELNS1_3repE0EEENS1_30default_config_static_selectorELNS0_4arch9wavefront6targetE0EEEvT1_, .Lfunc_end1608-_ZN7rocprim17ROCPRIM_400000_NS6detail17trampoline_kernelINS0_14default_configENS1_27scan_by_key_config_selectorIisEEZZNS1_16scan_by_key_implILNS1_25lookback_scan_determinismE0ELb1ES3_N6thrust23THRUST_200600_302600_NS6detail15normal_iteratorINS9_10device_ptrIiEEEENSB_INSC_IsEEEESG_sNS9_4plusIvEENS9_8equal_toIvEEsEE10hipError_tPvRmT2_T3_T4_T5_mT6_T7_P12ihipStream_tbENKUlT_T0_E_clISt17integral_constantIbLb0EES11_EEDaSW_SX_EUlSW_E_NS1_11comp_targetILNS1_3genE10ELNS1_11target_archE1201ELNS1_3gpuE5ELNS1_3repE0EEENS1_30default_config_static_selectorELNS0_4arch9wavefront6targetE0EEEvT1_
                                        ; -- End function
	.set _ZN7rocprim17ROCPRIM_400000_NS6detail17trampoline_kernelINS0_14default_configENS1_27scan_by_key_config_selectorIisEEZZNS1_16scan_by_key_implILNS1_25lookback_scan_determinismE0ELb1ES3_N6thrust23THRUST_200600_302600_NS6detail15normal_iteratorINS9_10device_ptrIiEEEENSB_INSC_IsEEEESG_sNS9_4plusIvEENS9_8equal_toIvEEsEE10hipError_tPvRmT2_T3_T4_T5_mT6_T7_P12ihipStream_tbENKUlT_T0_E_clISt17integral_constantIbLb0EES11_EEDaSW_SX_EUlSW_E_NS1_11comp_targetILNS1_3genE10ELNS1_11target_archE1201ELNS1_3gpuE5ELNS1_3repE0EEENS1_30default_config_static_selectorELNS0_4arch9wavefront6targetE0EEEvT1_.num_vgpr, 0
	.set _ZN7rocprim17ROCPRIM_400000_NS6detail17trampoline_kernelINS0_14default_configENS1_27scan_by_key_config_selectorIisEEZZNS1_16scan_by_key_implILNS1_25lookback_scan_determinismE0ELb1ES3_N6thrust23THRUST_200600_302600_NS6detail15normal_iteratorINS9_10device_ptrIiEEEENSB_INSC_IsEEEESG_sNS9_4plusIvEENS9_8equal_toIvEEsEE10hipError_tPvRmT2_T3_T4_T5_mT6_T7_P12ihipStream_tbENKUlT_T0_E_clISt17integral_constantIbLb0EES11_EEDaSW_SX_EUlSW_E_NS1_11comp_targetILNS1_3genE10ELNS1_11target_archE1201ELNS1_3gpuE5ELNS1_3repE0EEENS1_30default_config_static_selectorELNS0_4arch9wavefront6targetE0EEEvT1_.num_agpr, 0
	.set _ZN7rocprim17ROCPRIM_400000_NS6detail17trampoline_kernelINS0_14default_configENS1_27scan_by_key_config_selectorIisEEZZNS1_16scan_by_key_implILNS1_25lookback_scan_determinismE0ELb1ES3_N6thrust23THRUST_200600_302600_NS6detail15normal_iteratorINS9_10device_ptrIiEEEENSB_INSC_IsEEEESG_sNS9_4plusIvEENS9_8equal_toIvEEsEE10hipError_tPvRmT2_T3_T4_T5_mT6_T7_P12ihipStream_tbENKUlT_T0_E_clISt17integral_constantIbLb0EES11_EEDaSW_SX_EUlSW_E_NS1_11comp_targetILNS1_3genE10ELNS1_11target_archE1201ELNS1_3gpuE5ELNS1_3repE0EEENS1_30default_config_static_selectorELNS0_4arch9wavefront6targetE0EEEvT1_.numbered_sgpr, 0
	.set _ZN7rocprim17ROCPRIM_400000_NS6detail17trampoline_kernelINS0_14default_configENS1_27scan_by_key_config_selectorIisEEZZNS1_16scan_by_key_implILNS1_25lookback_scan_determinismE0ELb1ES3_N6thrust23THRUST_200600_302600_NS6detail15normal_iteratorINS9_10device_ptrIiEEEENSB_INSC_IsEEEESG_sNS9_4plusIvEENS9_8equal_toIvEEsEE10hipError_tPvRmT2_T3_T4_T5_mT6_T7_P12ihipStream_tbENKUlT_T0_E_clISt17integral_constantIbLb0EES11_EEDaSW_SX_EUlSW_E_NS1_11comp_targetILNS1_3genE10ELNS1_11target_archE1201ELNS1_3gpuE5ELNS1_3repE0EEENS1_30default_config_static_selectorELNS0_4arch9wavefront6targetE0EEEvT1_.num_named_barrier, 0
	.set _ZN7rocprim17ROCPRIM_400000_NS6detail17trampoline_kernelINS0_14default_configENS1_27scan_by_key_config_selectorIisEEZZNS1_16scan_by_key_implILNS1_25lookback_scan_determinismE0ELb1ES3_N6thrust23THRUST_200600_302600_NS6detail15normal_iteratorINS9_10device_ptrIiEEEENSB_INSC_IsEEEESG_sNS9_4plusIvEENS9_8equal_toIvEEsEE10hipError_tPvRmT2_T3_T4_T5_mT6_T7_P12ihipStream_tbENKUlT_T0_E_clISt17integral_constantIbLb0EES11_EEDaSW_SX_EUlSW_E_NS1_11comp_targetILNS1_3genE10ELNS1_11target_archE1201ELNS1_3gpuE5ELNS1_3repE0EEENS1_30default_config_static_selectorELNS0_4arch9wavefront6targetE0EEEvT1_.private_seg_size, 0
	.set _ZN7rocprim17ROCPRIM_400000_NS6detail17trampoline_kernelINS0_14default_configENS1_27scan_by_key_config_selectorIisEEZZNS1_16scan_by_key_implILNS1_25lookback_scan_determinismE0ELb1ES3_N6thrust23THRUST_200600_302600_NS6detail15normal_iteratorINS9_10device_ptrIiEEEENSB_INSC_IsEEEESG_sNS9_4plusIvEENS9_8equal_toIvEEsEE10hipError_tPvRmT2_T3_T4_T5_mT6_T7_P12ihipStream_tbENKUlT_T0_E_clISt17integral_constantIbLb0EES11_EEDaSW_SX_EUlSW_E_NS1_11comp_targetILNS1_3genE10ELNS1_11target_archE1201ELNS1_3gpuE5ELNS1_3repE0EEENS1_30default_config_static_selectorELNS0_4arch9wavefront6targetE0EEEvT1_.uses_vcc, 0
	.set _ZN7rocprim17ROCPRIM_400000_NS6detail17trampoline_kernelINS0_14default_configENS1_27scan_by_key_config_selectorIisEEZZNS1_16scan_by_key_implILNS1_25lookback_scan_determinismE0ELb1ES3_N6thrust23THRUST_200600_302600_NS6detail15normal_iteratorINS9_10device_ptrIiEEEENSB_INSC_IsEEEESG_sNS9_4plusIvEENS9_8equal_toIvEEsEE10hipError_tPvRmT2_T3_T4_T5_mT6_T7_P12ihipStream_tbENKUlT_T0_E_clISt17integral_constantIbLb0EES11_EEDaSW_SX_EUlSW_E_NS1_11comp_targetILNS1_3genE10ELNS1_11target_archE1201ELNS1_3gpuE5ELNS1_3repE0EEENS1_30default_config_static_selectorELNS0_4arch9wavefront6targetE0EEEvT1_.uses_flat_scratch, 0
	.set _ZN7rocprim17ROCPRIM_400000_NS6detail17trampoline_kernelINS0_14default_configENS1_27scan_by_key_config_selectorIisEEZZNS1_16scan_by_key_implILNS1_25lookback_scan_determinismE0ELb1ES3_N6thrust23THRUST_200600_302600_NS6detail15normal_iteratorINS9_10device_ptrIiEEEENSB_INSC_IsEEEESG_sNS9_4plusIvEENS9_8equal_toIvEEsEE10hipError_tPvRmT2_T3_T4_T5_mT6_T7_P12ihipStream_tbENKUlT_T0_E_clISt17integral_constantIbLb0EES11_EEDaSW_SX_EUlSW_E_NS1_11comp_targetILNS1_3genE10ELNS1_11target_archE1201ELNS1_3gpuE5ELNS1_3repE0EEENS1_30default_config_static_selectorELNS0_4arch9wavefront6targetE0EEEvT1_.has_dyn_sized_stack, 0
	.set _ZN7rocprim17ROCPRIM_400000_NS6detail17trampoline_kernelINS0_14default_configENS1_27scan_by_key_config_selectorIisEEZZNS1_16scan_by_key_implILNS1_25lookback_scan_determinismE0ELb1ES3_N6thrust23THRUST_200600_302600_NS6detail15normal_iteratorINS9_10device_ptrIiEEEENSB_INSC_IsEEEESG_sNS9_4plusIvEENS9_8equal_toIvEEsEE10hipError_tPvRmT2_T3_T4_T5_mT6_T7_P12ihipStream_tbENKUlT_T0_E_clISt17integral_constantIbLb0EES11_EEDaSW_SX_EUlSW_E_NS1_11comp_targetILNS1_3genE10ELNS1_11target_archE1201ELNS1_3gpuE5ELNS1_3repE0EEENS1_30default_config_static_selectorELNS0_4arch9wavefront6targetE0EEEvT1_.has_recursion, 0
	.set _ZN7rocprim17ROCPRIM_400000_NS6detail17trampoline_kernelINS0_14default_configENS1_27scan_by_key_config_selectorIisEEZZNS1_16scan_by_key_implILNS1_25lookback_scan_determinismE0ELb1ES3_N6thrust23THRUST_200600_302600_NS6detail15normal_iteratorINS9_10device_ptrIiEEEENSB_INSC_IsEEEESG_sNS9_4plusIvEENS9_8equal_toIvEEsEE10hipError_tPvRmT2_T3_T4_T5_mT6_T7_P12ihipStream_tbENKUlT_T0_E_clISt17integral_constantIbLb0EES11_EEDaSW_SX_EUlSW_E_NS1_11comp_targetILNS1_3genE10ELNS1_11target_archE1201ELNS1_3gpuE5ELNS1_3repE0EEENS1_30default_config_static_selectorELNS0_4arch9wavefront6targetE0EEEvT1_.has_indirect_call, 0
	.section	.AMDGPU.csdata,"",@progbits
; Kernel info:
; codeLenInByte = 0
; TotalNumSgprs: 0
; NumVgprs: 0
; ScratchSize: 0
; MemoryBound: 0
; FloatMode: 240
; IeeeMode: 1
; LDSByteSize: 0 bytes/workgroup (compile time only)
; SGPRBlocks: 0
; VGPRBlocks: 0
; NumSGPRsForWavesPerEU: 1
; NumVGPRsForWavesPerEU: 1
; NamedBarCnt: 0
; Occupancy: 16
; WaveLimiterHint : 0
; COMPUTE_PGM_RSRC2:SCRATCH_EN: 0
; COMPUTE_PGM_RSRC2:USER_SGPR: 2
; COMPUTE_PGM_RSRC2:TRAP_HANDLER: 0
; COMPUTE_PGM_RSRC2:TGID_X_EN: 1
; COMPUTE_PGM_RSRC2:TGID_Y_EN: 0
; COMPUTE_PGM_RSRC2:TGID_Z_EN: 0
; COMPUTE_PGM_RSRC2:TIDIG_COMP_CNT: 0
	.section	.text._ZN7rocprim17ROCPRIM_400000_NS6detail17trampoline_kernelINS0_14default_configENS1_27scan_by_key_config_selectorIisEEZZNS1_16scan_by_key_implILNS1_25lookback_scan_determinismE0ELb1ES3_N6thrust23THRUST_200600_302600_NS6detail15normal_iteratorINS9_10device_ptrIiEEEENSB_INSC_IsEEEESG_sNS9_4plusIvEENS9_8equal_toIvEEsEE10hipError_tPvRmT2_T3_T4_T5_mT6_T7_P12ihipStream_tbENKUlT_T0_E_clISt17integral_constantIbLb0EES11_EEDaSW_SX_EUlSW_E_NS1_11comp_targetILNS1_3genE5ELNS1_11target_archE942ELNS1_3gpuE9ELNS1_3repE0EEENS1_30default_config_static_selectorELNS0_4arch9wavefront6targetE0EEEvT1_,"axG",@progbits,_ZN7rocprim17ROCPRIM_400000_NS6detail17trampoline_kernelINS0_14default_configENS1_27scan_by_key_config_selectorIisEEZZNS1_16scan_by_key_implILNS1_25lookback_scan_determinismE0ELb1ES3_N6thrust23THRUST_200600_302600_NS6detail15normal_iteratorINS9_10device_ptrIiEEEENSB_INSC_IsEEEESG_sNS9_4plusIvEENS9_8equal_toIvEEsEE10hipError_tPvRmT2_T3_T4_T5_mT6_T7_P12ihipStream_tbENKUlT_T0_E_clISt17integral_constantIbLb0EES11_EEDaSW_SX_EUlSW_E_NS1_11comp_targetILNS1_3genE5ELNS1_11target_archE942ELNS1_3gpuE9ELNS1_3repE0EEENS1_30default_config_static_selectorELNS0_4arch9wavefront6targetE0EEEvT1_,comdat
	.protected	_ZN7rocprim17ROCPRIM_400000_NS6detail17trampoline_kernelINS0_14default_configENS1_27scan_by_key_config_selectorIisEEZZNS1_16scan_by_key_implILNS1_25lookback_scan_determinismE0ELb1ES3_N6thrust23THRUST_200600_302600_NS6detail15normal_iteratorINS9_10device_ptrIiEEEENSB_INSC_IsEEEESG_sNS9_4plusIvEENS9_8equal_toIvEEsEE10hipError_tPvRmT2_T3_T4_T5_mT6_T7_P12ihipStream_tbENKUlT_T0_E_clISt17integral_constantIbLb0EES11_EEDaSW_SX_EUlSW_E_NS1_11comp_targetILNS1_3genE5ELNS1_11target_archE942ELNS1_3gpuE9ELNS1_3repE0EEENS1_30default_config_static_selectorELNS0_4arch9wavefront6targetE0EEEvT1_ ; -- Begin function _ZN7rocprim17ROCPRIM_400000_NS6detail17trampoline_kernelINS0_14default_configENS1_27scan_by_key_config_selectorIisEEZZNS1_16scan_by_key_implILNS1_25lookback_scan_determinismE0ELb1ES3_N6thrust23THRUST_200600_302600_NS6detail15normal_iteratorINS9_10device_ptrIiEEEENSB_INSC_IsEEEESG_sNS9_4plusIvEENS9_8equal_toIvEEsEE10hipError_tPvRmT2_T3_T4_T5_mT6_T7_P12ihipStream_tbENKUlT_T0_E_clISt17integral_constantIbLb0EES11_EEDaSW_SX_EUlSW_E_NS1_11comp_targetILNS1_3genE5ELNS1_11target_archE942ELNS1_3gpuE9ELNS1_3repE0EEENS1_30default_config_static_selectorELNS0_4arch9wavefront6targetE0EEEvT1_
	.globl	_ZN7rocprim17ROCPRIM_400000_NS6detail17trampoline_kernelINS0_14default_configENS1_27scan_by_key_config_selectorIisEEZZNS1_16scan_by_key_implILNS1_25lookback_scan_determinismE0ELb1ES3_N6thrust23THRUST_200600_302600_NS6detail15normal_iteratorINS9_10device_ptrIiEEEENSB_INSC_IsEEEESG_sNS9_4plusIvEENS9_8equal_toIvEEsEE10hipError_tPvRmT2_T3_T4_T5_mT6_T7_P12ihipStream_tbENKUlT_T0_E_clISt17integral_constantIbLb0EES11_EEDaSW_SX_EUlSW_E_NS1_11comp_targetILNS1_3genE5ELNS1_11target_archE942ELNS1_3gpuE9ELNS1_3repE0EEENS1_30default_config_static_selectorELNS0_4arch9wavefront6targetE0EEEvT1_
	.p2align	8
	.type	_ZN7rocprim17ROCPRIM_400000_NS6detail17trampoline_kernelINS0_14default_configENS1_27scan_by_key_config_selectorIisEEZZNS1_16scan_by_key_implILNS1_25lookback_scan_determinismE0ELb1ES3_N6thrust23THRUST_200600_302600_NS6detail15normal_iteratorINS9_10device_ptrIiEEEENSB_INSC_IsEEEESG_sNS9_4plusIvEENS9_8equal_toIvEEsEE10hipError_tPvRmT2_T3_T4_T5_mT6_T7_P12ihipStream_tbENKUlT_T0_E_clISt17integral_constantIbLb0EES11_EEDaSW_SX_EUlSW_E_NS1_11comp_targetILNS1_3genE5ELNS1_11target_archE942ELNS1_3gpuE9ELNS1_3repE0EEENS1_30default_config_static_selectorELNS0_4arch9wavefront6targetE0EEEvT1_,@function
_ZN7rocprim17ROCPRIM_400000_NS6detail17trampoline_kernelINS0_14default_configENS1_27scan_by_key_config_selectorIisEEZZNS1_16scan_by_key_implILNS1_25lookback_scan_determinismE0ELb1ES3_N6thrust23THRUST_200600_302600_NS6detail15normal_iteratorINS9_10device_ptrIiEEEENSB_INSC_IsEEEESG_sNS9_4plusIvEENS9_8equal_toIvEEsEE10hipError_tPvRmT2_T3_T4_T5_mT6_T7_P12ihipStream_tbENKUlT_T0_E_clISt17integral_constantIbLb0EES11_EEDaSW_SX_EUlSW_E_NS1_11comp_targetILNS1_3genE5ELNS1_11target_archE942ELNS1_3gpuE9ELNS1_3repE0EEENS1_30default_config_static_selectorELNS0_4arch9wavefront6targetE0EEEvT1_: ; @_ZN7rocprim17ROCPRIM_400000_NS6detail17trampoline_kernelINS0_14default_configENS1_27scan_by_key_config_selectorIisEEZZNS1_16scan_by_key_implILNS1_25lookback_scan_determinismE0ELb1ES3_N6thrust23THRUST_200600_302600_NS6detail15normal_iteratorINS9_10device_ptrIiEEEENSB_INSC_IsEEEESG_sNS9_4plusIvEENS9_8equal_toIvEEsEE10hipError_tPvRmT2_T3_T4_T5_mT6_T7_P12ihipStream_tbENKUlT_T0_E_clISt17integral_constantIbLb0EES11_EEDaSW_SX_EUlSW_E_NS1_11comp_targetILNS1_3genE5ELNS1_11target_archE942ELNS1_3gpuE9ELNS1_3repE0EEENS1_30default_config_static_selectorELNS0_4arch9wavefront6targetE0EEEvT1_
; %bb.0:
	.section	.rodata,"a",@progbits
	.p2align	6, 0x0
	.amdhsa_kernel _ZN7rocprim17ROCPRIM_400000_NS6detail17trampoline_kernelINS0_14default_configENS1_27scan_by_key_config_selectorIisEEZZNS1_16scan_by_key_implILNS1_25lookback_scan_determinismE0ELb1ES3_N6thrust23THRUST_200600_302600_NS6detail15normal_iteratorINS9_10device_ptrIiEEEENSB_INSC_IsEEEESG_sNS9_4plusIvEENS9_8equal_toIvEEsEE10hipError_tPvRmT2_T3_T4_T5_mT6_T7_P12ihipStream_tbENKUlT_T0_E_clISt17integral_constantIbLb0EES11_EEDaSW_SX_EUlSW_E_NS1_11comp_targetILNS1_3genE5ELNS1_11target_archE942ELNS1_3gpuE9ELNS1_3repE0EEENS1_30default_config_static_selectorELNS0_4arch9wavefront6targetE0EEEvT1_
		.amdhsa_group_segment_fixed_size 0
		.amdhsa_private_segment_fixed_size 0
		.amdhsa_kernarg_size 112
		.amdhsa_user_sgpr_count 2
		.amdhsa_user_sgpr_dispatch_ptr 0
		.amdhsa_user_sgpr_queue_ptr 0
		.amdhsa_user_sgpr_kernarg_segment_ptr 1
		.amdhsa_user_sgpr_dispatch_id 0
		.amdhsa_user_sgpr_kernarg_preload_length 0
		.amdhsa_user_sgpr_kernarg_preload_offset 0
		.amdhsa_user_sgpr_private_segment_size 0
		.amdhsa_wavefront_size32 1
		.amdhsa_uses_dynamic_stack 0
		.amdhsa_enable_private_segment 0
		.amdhsa_system_sgpr_workgroup_id_x 1
		.amdhsa_system_sgpr_workgroup_id_y 0
		.amdhsa_system_sgpr_workgroup_id_z 0
		.amdhsa_system_sgpr_workgroup_info 0
		.amdhsa_system_vgpr_workitem_id 0
		.amdhsa_next_free_vgpr 1
		.amdhsa_next_free_sgpr 1
		.amdhsa_named_barrier_count 0
		.amdhsa_reserve_vcc 0
		.amdhsa_float_round_mode_32 0
		.amdhsa_float_round_mode_16_64 0
		.amdhsa_float_denorm_mode_32 3
		.amdhsa_float_denorm_mode_16_64 3
		.amdhsa_fp16_overflow 0
		.amdhsa_memory_ordered 1
		.amdhsa_forward_progress 1
		.amdhsa_inst_pref_size 0
		.amdhsa_round_robin_scheduling 0
		.amdhsa_exception_fp_ieee_invalid_op 0
		.amdhsa_exception_fp_denorm_src 0
		.amdhsa_exception_fp_ieee_div_zero 0
		.amdhsa_exception_fp_ieee_overflow 0
		.amdhsa_exception_fp_ieee_underflow 0
		.amdhsa_exception_fp_ieee_inexact 0
		.amdhsa_exception_int_div_zero 0
	.end_amdhsa_kernel
	.section	.text._ZN7rocprim17ROCPRIM_400000_NS6detail17trampoline_kernelINS0_14default_configENS1_27scan_by_key_config_selectorIisEEZZNS1_16scan_by_key_implILNS1_25lookback_scan_determinismE0ELb1ES3_N6thrust23THRUST_200600_302600_NS6detail15normal_iteratorINS9_10device_ptrIiEEEENSB_INSC_IsEEEESG_sNS9_4plusIvEENS9_8equal_toIvEEsEE10hipError_tPvRmT2_T3_T4_T5_mT6_T7_P12ihipStream_tbENKUlT_T0_E_clISt17integral_constantIbLb0EES11_EEDaSW_SX_EUlSW_E_NS1_11comp_targetILNS1_3genE5ELNS1_11target_archE942ELNS1_3gpuE9ELNS1_3repE0EEENS1_30default_config_static_selectorELNS0_4arch9wavefront6targetE0EEEvT1_,"axG",@progbits,_ZN7rocprim17ROCPRIM_400000_NS6detail17trampoline_kernelINS0_14default_configENS1_27scan_by_key_config_selectorIisEEZZNS1_16scan_by_key_implILNS1_25lookback_scan_determinismE0ELb1ES3_N6thrust23THRUST_200600_302600_NS6detail15normal_iteratorINS9_10device_ptrIiEEEENSB_INSC_IsEEEESG_sNS9_4plusIvEENS9_8equal_toIvEEsEE10hipError_tPvRmT2_T3_T4_T5_mT6_T7_P12ihipStream_tbENKUlT_T0_E_clISt17integral_constantIbLb0EES11_EEDaSW_SX_EUlSW_E_NS1_11comp_targetILNS1_3genE5ELNS1_11target_archE942ELNS1_3gpuE9ELNS1_3repE0EEENS1_30default_config_static_selectorELNS0_4arch9wavefront6targetE0EEEvT1_,comdat
.Lfunc_end1609:
	.size	_ZN7rocprim17ROCPRIM_400000_NS6detail17trampoline_kernelINS0_14default_configENS1_27scan_by_key_config_selectorIisEEZZNS1_16scan_by_key_implILNS1_25lookback_scan_determinismE0ELb1ES3_N6thrust23THRUST_200600_302600_NS6detail15normal_iteratorINS9_10device_ptrIiEEEENSB_INSC_IsEEEESG_sNS9_4plusIvEENS9_8equal_toIvEEsEE10hipError_tPvRmT2_T3_T4_T5_mT6_T7_P12ihipStream_tbENKUlT_T0_E_clISt17integral_constantIbLb0EES11_EEDaSW_SX_EUlSW_E_NS1_11comp_targetILNS1_3genE5ELNS1_11target_archE942ELNS1_3gpuE9ELNS1_3repE0EEENS1_30default_config_static_selectorELNS0_4arch9wavefront6targetE0EEEvT1_, .Lfunc_end1609-_ZN7rocprim17ROCPRIM_400000_NS6detail17trampoline_kernelINS0_14default_configENS1_27scan_by_key_config_selectorIisEEZZNS1_16scan_by_key_implILNS1_25lookback_scan_determinismE0ELb1ES3_N6thrust23THRUST_200600_302600_NS6detail15normal_iteratorINS9_10device_ptrIiEEEENSB_INSC_IsEEEESG_sNS9_4plusIvEENS9_8equal_toIvEEsEE10hipError_tPvRmT2_T3_T4_T5_mT6_T7_P12ihipStream_tbENKUlT_T0_E_clISt17integral_constantIbLb0EES11_EEDaSW_SX_EUlSW_E_NS1_11comp_targetILNS1_3genE5ELNS1_11target_archE942ELNS1_3gpuE9ELNS1_3repE0EEENS1_30default_config_static_selectorELNS0_4arch9wavefront6targetE0EEEvT1_
                                        ; -- End function
	.set _ZN7rocprim17ROCPRIM_400000_NS6detail17trampoline_kernelINS0_14default_configENS1_27scan_by_key_config_selectorIisEEZZNS1_16scan_by_key_implILNS1_25lookback_scan_determinismE0ELb1ES3_N6thrust23THRUST_200600_302600_NS6detail15normal_iteratorINS9_10device_ptrIiEEEENSB_INSC_IsEEEESG_sNS9_4plusIvEENS9_8equal_toIvEEsEE10hipError_tPvRmT2_T3_T4_T5_mT6_T7_P12ihipStream_tbENKUlT_T0_E_clISt17integral_constantIbLb0EES11_EEDaSW_SX_EUlSW_E_NS1_11comp_targetILNS1_3genE5ELNS1_11target_archE942ELNS1_3gpuE9ELNS1_3repE0EEENS1_30default_config_static_selectorELNS0_4arch9wavefront6targetE0EEEvT1_.num_vgpr, 0
	.set _ZN7rocprim17ROCPRIM_400000_NS6detail17trampoline_kernelINS0_14default_configENS1_27scan_by_key_config_selectorIisEEZZNS1_16scan_by_key_implILNS1_25lookback_scan_determinismE0ELb1ES3_N6thrust23THRUST_200600_302600_NS6detail15normal_iteratorINS9_10device_ptrIiEEEENSB_INSC_IsEEEESG_sNS9_4plusIvEENS9_8equal_toIvEEsEE10hipError_tPvRmT2_T3_T4_T5_mT6_T7_P12ihipStream_tbENKUlT_T0_E_clISt17integral_constantIbLb0EES11_EEDaSW_SX_EUlSW_E_NS1_11comp_targetILNS1_3genE5ELNS1_11target_archE942ELNS1_3gpuE9ELNS1_3repE0EEENS1_30default_config_static_selectorELNS0_4arch9wavefront6targetE0EEEvT1_.num_agpr, 0
	.set _ZN7rocprim17ROCPRIM_400000_NS6detail17trampoline_kernelINS0_14default_configENS1_27scan_by_key_config_selectorIisEEZZNS1_16scan_by_key_implILNS1_25lookback_scan_determinismE0ELb1ES3_N6thrust23THRUST_200600_302600_NS6detail15normal_iteratorINS9_10device_ptrIiEEEENSB_INSC_IsEEEESG_sNS9_4plusIvEENS9_8equal_toIvEEsEE10hipError_tPvRmT2_T3_T4_T5_mT6_T7_P12ihipStream_tbENKUlT_T0_E_clISt17integral_constantIbLb0EES11_EEDaSW_SX_EUlSW_E_NS1_11comp_targetILNS1_3genE5ELNS1_11target_archE942ELNS1_3gpuE9ELNS1_3repE0EEENS1_30default_config_static_selectorELNS0_4arch9wavefront6targetE0EEEvT1_.numbered_sgpr, 0
	.set _ZN7rocprim17ROCPRIM_400000_NS6detail17trampoline_kernelINS0_14default_configENS1_27scan_by_key_config_selectorIisEEZZNS1_16scan_by_key_implILNS1_25lookback_scan_determinismE0ELb1ES3_N6thrust23THRUST_200600_302600_NS6detail15normal_iteratorINS9_10device_ptrIiEEEENSB_INSC_IsEEEESG_sNS9_4plusIvEENS9_8equal_toIvEEsEE10hipError_tPvRmT2_T3_T4_T5_mT6_T7_P12ihipStream_tbENKUlT_T0_E_clISt17integral_constantIbLb0EES11_EEDaSW_SX_EUlSW_E_NS1_11comp_targetILNS1_3genE5ELNS1_11target_archE942ELNS1_3gpuE9ELNS1_3repE0EEENS1_30default_config_static_selectorELNS0_4arch9wavefront6targetE0EEEvT1_.num_named_barrier, 0
	.set _ZN7rocprim17ROCPRIM_400000_NS6detail17trampoline_kernelINS0_14default_configENS1_27scan_by_key_config_selectorIisEEZZNS1_16scan_by_key_implILNS1_25lookback_scan_determinismE0ELb1ES3_N6thrust23THRUST_200600_302600_NS6detail15normal_iteratorINS9_10device_ptrIiEEEENSB_INSC_IsEEEESG_sNS9_4plusIvEENS9_8equal_toIvEEsEE10hipError_tPvRmT2_T3_T4_T5_mT6_T7_P12ihipStream_tbENKUlT_T0_E_clISt17integral_constantIbLb0EES11_EEDaSW_SX_EUlSW_E_NS1_11comp_targetILNS1_3genE5ELNS1_11target_archE942ELNS1_3gpuE9ELNS1_3repE0EEENS1_30default_config_static_selectorELNS0_4arch9wavefront6targetE0EEEvT1_.private_seg_size, 0
	.set _ZN7rocprim17ROCPRIM_400000_NS6detail17trampoline_kernelINS0_14default_configENS1_27scan_by_key_config_selectorIisEEZZNS1_16scan_by_key_implILNS1_25lookback_scan_determinismE0ELb1ES3_N6thrust23THRUST_200600_302600_NS6detail15normal_iteratorINS9_10device_ptrIiEEEENSB_INSC_IsEEEESG_sNS9_4plusIvEENS9_8equal_toIvEEsEE10hipError_tPvRmT2_T3_T4_T5_mT6_T7_P12ihipStream_tbENKUlT_T0_E_clISt17integral_constantIbLb0EES11_EEDaSW_SX_EUlSW_E_NS1_11comp_targetILNS1_3genE5ELNS1_11target_archE942ELNS1_3gpuE9ELNS1_3repE0EEENS1_30default_config_static_selectorELNS0_4arch9wavefront6targetE0EEEvT1_.uses_vcc, 0
	.set _ZN7rocprim17ROCPRIM_400000_NS6detail17trampoline_kernelINS0_14default_configENS1_27scan_by_key_config_selectorIisEEZZNS1_16scan_by_key_implILNS1_25lookback_scan_determinismE0ELb1ES3_N6thrust23THRUST_200600_302600_NS6detail15normal_iteratorINS9_10device_ptrIiEEEENSB_INSC_IsEEEESG_sNS9_4plusIvEENS9_8equal_toIvEEsEE10hipError_tPvRmT2_T3_T4_T5_mT6_T7_P12ihipStream_tbENKUlT_T0_E_clISt17integral_constantIbLb0EES11_EEDaSW_SX_EUlSW_E_NS1_11comp_targetILNS1_3genE5ELNS1_11target_archE942ELNS1_3gpuE9ELNS1_3repE0EEENS1_30default_config_static_selectorELNS0_4arch9wavefront6targetE0EEEvT1_.uses_flat_scratch, 0
	.set _ZN7rocprim17ROCPRIM_400000_NS6detail17trampoline_kernelINS0_14default_configENS1_27scan_by_key_config_selectorIisEEZZNS1_16scan_by_key_implILNS1_25lookback_scan_determinismE0ELb1ES3_N6thrust23THRUST_200600_302600_NS6detail15normal_iteratorINS9_10device_ptrIiEEEENSB_INSC_IsEEEESG_sNS9_4plusIvEENS9_8equal_toIvEEsEE10hipError_tPvRmT2_T3_T4_T5_mT6_T7_P12ihipStream_tbENKUlT_T0_E_clISt17integral_constantIbLb0EES11_EEDaSW_SX_EUlSW_E_NS1_11comp_targetILNS1_3genE5ELNS1_11target_archE942ELNS1_3gpuE9ELNS1_3repE0EEENS1_30default_config_static_selectorELNS0_4arch9wavefront6targetE0EEEvT1_.has_dyn_sized_stack, 0
	.set _ZN7rocprim17ROCPRIM_400000_NS6detail17trampoline_kernelINS0_14default_configENS1_27scan_by_key_config_selectorIisEEZZNS1_16scan_by_key_implILNS1_25lookback_scan_determinismE0ELb1ES3_N6thrust23THRUST_200600_302600_NS6detail15normal_iteratorINS9_10device_ptrIiEEEENSB_INSC_IsEEEESG_sNS9_4plusIvEENS9_8equal_toIvEEsEE10hipError_tPvRmT2_T3_T4_T5_mT6_T7_P12ihipStream_tbENKUlT_T0_E_clISt17integral_constantIbLb0EES11_EEDaSW_SX_EUlSW_E_NS1_11comp_targetILNS1_3genE5ELNS1_11target_archE942ELNS1_3gpuE9ELNS1_3repE0EEENS1_30default_config_static_selectorELNS0_4arch9wavefront6targetE0EEEvT1_.has_recursion, 0
	.set _ZN7rocprim17ROCPRIM_400000_NS6detail17trampoline_kernelINS0_14default_configENS1_27scan_by_key_config_selectorIisEEZZNS1_16scan_by_key_implILNS1_25lookback_scan_determinismE0ELb1ES3_N6thrust23THRUST_200600_302600_NS6detail15normal_iteratorINS9_10device_ptrIiEEEENSB_INSC_IsEEEESG_sNS9_4plusIvEENS9_8equal_toIvEEsEE10hipError_tPvRmT2_T3_T4_T5_mT6_T7_P12ihipStream_tbENKUlT_T0_E_clISt17integral_constantIbLb0EES11_EEDaSW_SX_EUlSW_E_NS1_11comp_targetILNS1_3genE5ELNS1_11target_archE942ELNS1_3gpuE9ELNS1_3repE0EEENS1_30default_config_static_selectorELNS0_4arch9wavefront6targetE0EEEvT1_.has_indirect_call, 0
	.section	.AMDGPU.csdata,"",@progbits
; Kernel info:
; codeLenInByte = 0
; TotalNumSgprs: 0
; NumVgprs: 0
; ScratchSize: 0
; MemoryBound: 0
; FloatMode: 240
; IeeeMode: 1
; LDSByteSize: 0 bytes/workgroup (compile time only)
; SGPRBlocks: 0
; VGPRBlocks: 0
; NumSGPRsForWavesPerEU: 1
; NumVGPRsForWavesPerEU: 1
; NamedBarCnt: 0
; Occupancy: 16
; WaveLimiterHint : 0
; COMPUTE_PGM_RSRC2:SCRATCH_EN: 0
; COMPUTE_PGM_RSRC2:USER_SGPR: 2
; COMPUTE_PGM_RSRC2:TRAP_HANDLER: 0
; COMPUTE_PGM_RSRC2:TGID_X_EN: 1
; COMPUTE_PGM_RSRC2:TGID_Y_EN: 0
; COMPUTE_PGM_RSRC2:TGID_Z_EN: 0
; COMPUTE_PGM_RSRC2:TIDIG_COMP_CNT: 0
	.section	.text._ZN7rocprim17ROCPRIM_400000_NS6detail17trampoline_kernelINS0_14default_configENS1_27scan_by_key_config_selectorIisEEZZNS1_16scan_by_key_implILNS1_25lookback_scan_determinismE0ELb1ES3_N6thrust23THRUST_200600_302600_NS6detail15normal_iteratorINS9_10device_ptrIiEEEENSB_INSC_IsEEEESG_sNS9_4plusIvEENS9_8equal_toIvEEsEE10hipError_tPvRmT2_T3_T4_T5_mT6_T7_P12ihipStream_tbENKUlT_T0_E_clISt17integral_constantIbLb0EES11_EEDaSW_SX_EUlSW_E_NS1_11comp_targetILNS1_3genE4ELNS1_11target_archE910ELNS1_3gpuE8ELNS1_3repE0EEENS1_30default_config_static_selectorELNS0_4arch9wavefront6targetE0EEEvT1_,"axG",@progbits,_ZN7rocprim17ROCPRIM_400000_NS6detail17trampoline_kernelINS0_14default_configENS1_27scan_by_key_config_selectorIisEEZZNS1_16scan_by_key_implILNS1_25lookback_scan_determinismE0ELb1ES3_N6thrust23THRUST_200600_302600_NS6detail15normal_iteratorINS9_10device_ptrIiEEEENSB_INSC_IsEEEESG_sNS9_4plusIvEENS9_8equal_toIvEEsEE10hipError_tPvRmT2_T3_T4_T5_mT6_T7_P12ihipStream_tbENKUlT_T0_E_clISt17integral_constantIbLb0EES11_EEDaSW_SX_EUlSW_E_NS1_11comp_targetILNS1_3genE4ELNS1_11target_archE910ELNS1_3gpuE8ELNS1_3repE0EEENS1_30default_config_static_selectorELNS0_4arch9wavefront6targetE0EEEvT1_,comdat
	.protected	_ZN7rocprim17ROCPRIM_400000_NS6detail17trampoline_kernelINS0_14default_configENS1_27scan_by_key_config_selectorIisEEZZNS1_16scan_by_key_implILNS1_25lookback_scan_determinismE0ELb1ES3_N6thrust23THRUST_200600_302600_NS6detail15normal_iteratorINS9_10device_ptrIiEEEENSB_INSC_IsEEEESG_sNS9_4plusIvEENS9_8equal_toIvEEsEE10hipError_tPvRmT2_T3_T4_T5_mT6_T7_P12ihipStream_tbENKUlT_T0_E_clISt17integral_constantIbLb0EES11_EEDaSW_SX_EUlSW_E_NS1_11comp_targetILNS1_3genE4ELNS1_11target_archE910ELNS1_3gpuE8ELNS1_3repE0EEENS1_30default_config_static_selectorELNS0_4arch9wavefront6targetE0EEEvT1_ ; -- Begin function _ZN7rocprim17ROCPRIM_400000_NS6detail17trampoline_kernelINS0_14default_configENS1_27scan_by_key_config_selectorIisEEZZNS1_16scan_by_key_implILNS1_25lookback_scan_determinismE0ELb1ES3_N6thrust23THRUST_200600_302600_NS6detail15normal_iteratorINS9_10device_ptrIiEEEENSB_INSC_IsEEEESG_sNS9_4plusIvEENS9_8equal_toIvEEsEE10hipError_tPvRmT2_T3_T4_T5_mT6_T7_P12ihipStream_tbENKUlT_T0_E_clISt17integral_constantIbLb0EES11_EEDaSW_SX_EUlSW_E_NS1_11comp_targetILNS1_3genE4ELNS1_11target_archE910ELNS1_3gpuE8ELNS1_3repE0EEENS1_30default_config_static_selectorELNS0_4arch9wavefront6targetE0EEEvT1_
	.globl	_ZN7rocprim17ROCPRIM_400000_NS6detail17trampoline_kernelINS0_14default_configENS1_27scan_by_key_config_selectorIisEEZZNS1_16scan_by_key_implILNS1_25lookback_scan_determinismE0ELb1ES3_N6thrust23THRUST_200600_302600_NS6detail15normal_iteratorINS9_10device_ptrIiEEEENSB_INSC_IsEEEESG_sNS9_4plusIvEENS9_8equal_toIvEEsEE10hipError_tPvRmT2_T3_T4_T5_mT6_T7_P12ihipStream_tbENKUlT_T0_E_clISt17integral_constantIbLb0EES11_EEDaSW_SX_EUlSW_E_NS1_11comp_targetILNS1_3genE4ELNS1_11target_archE910ELNS1_3gpuE8ELNS1_3repE0EEENS1_30default_config_static_selectorELNS0_4arch9wavefront6targetE0EEEvT1_
	.p2align	8
	.type	_ZN7rocprim17ROCPRIM_400000_NS6detail17trampoline_kernelINS0_14default_configENS1_27scan_by_key_config_selectorIisEEZZNS1_16scan_by_key_implILNS1_25lookback_scan_determinismE0ELb1ES3_N6thrust23THRUST_200600_302600_NS6detail15normal_iteratorINS9_10device_ptrIiEEEENSB_INSC_IsEEEESG_sNS9_4plusIvEENS9_8equal_toIvEEsEE10hipError_tPvRmT2_T3_T4_T5_mT6_T7_P12ihipStream_tbENKUlT_T0_E_clISt17integral_constantIbLb0EES11_EEDaSW_SX_EUlSW_E_NS1_11comp_targetILNS1_3genE4ELNS1_11target_archE910ELNS1_3gpuE8ELNS1_3repE0EEENS1_30default_config_static_selectorELNS0_4arch9wavefront6targetE0EEEvT1_,@function
_ZN7rocprim17ROCPRIM_400000_NS6detail17trampoline_kernelINS0_14default_configENS1_27scan_by_key_config_selectorIisEEZZNS1_16scan_by_key_implILNS1_25lookback_scan_determinismE0ELb1ES3_N6thrust23THRUST_200600_302600_NS6detail15normal_iteratorINS9_10device_ptrIiEEEENSB_INSC_IsEEEESG_sNS9_4plusIvEENS9_8equal_toIvEEsEE10hipError_tPvRmT2_T3_T4_T5_mT6_T7_P12ihipStream_tbENKUlT_T0_E_clISt17integral_constantIbLb0EES11_EEDaSW_SX_EUlSW_E_NS1_11comp_targetILNS1_3genE4ELNS1_11target_archE910ELNS1_3gpuE8ELNS1_3repE0EEENS1_30default_config_static_selectorELNS0_4arch9wavefront6targetE0EEEvT1_: ; @_ZN7rocprim17ROCPRIM_400000_NS6detail17trampoline_kernelINS0_14default_configENS1_27scan_by_key_config_selectorIisEEZZNS1_16scan_by_key_implILNS1_25lookback_scan_determinismE0ELb1ES3_N6thrust23THRUST_200600_302600_NS6detail15normal_iteratorINS9_10device_ptrIiEEEENSB_INSC_IsEEEESG_sNS9_4plusIvEENS9_8equal_toIvEEsEE10hipError_tPvRmT2_T3_T4_T5_mT6_T7_P12ihipStream_tbENKUlT_T0_E_clISt17integral_constantIbLb0EES11_EEDaSW_SX_EUlSW_E_NS1_11comp_targetILNS1_3genE4ELNS1_11target_archE910ELNS1_3gpuE8ELNS1_3repE0EEENS1_30default_config_static_selectorELNS0_4arch9wavefront6targetE0EEEvT1_
; %bb.0:
	.section	.rodata,"a",@progbits
	.p2align	6, 0x0
	.amdhsa_kernel _ZN7rocprim17ROCPRIM_400000_NS6detail17trampoline_kernelINS0_14default_configENS1_27scan_by_key_config_selectorIisEEZZNS1_16scan_by_key_implILNS1_25lookback_scan_determinismE0ELb1ES3_N6thrust23THRUST_200600_302600_NS6detail15normal_iteratorINS9_10device_ptrIiEEEENSB_INSC_IsEEEESG_sNS9_4plusIvEENS9_8equal_toIvEEsEE10hipError_tPvRmT2_T3_T4_T5_mT6_T7_P12ihipStream_tbENKUlT_T0_E_clISt17integral_constantIbLb0EES11_EEDaSW_SX_EUlSW_E_NS1_11comp_targetILNS1_3genE4ELNS1_11target_archE910ELNS1_3gpuE8ELNS1_3repE0EEENS1_30default_config_static_selectorELNS0_4arch9wavefront6targetE0EEEvT1_
		.amdhsa_group_segment_fixed_size 0
		.amdhsa_private_segment_fixed_size 0
		.amdhsa_kernarg_size 112
		.amdhsa_user_sgpr_count 2
		.amdhsa_user_sgpr_dispatch_ptr 0
		.amdhsa_user_sgpr_queue_ptr 0
		.amdhsa_user_sgpr_kernarg_segment_ptr 1
		.amdhsa_user_sgpr_dispatch_id 0
		.amdhsa_user_sgpr_kernarg_preload_length 0
		.amdhsa_user_sgpr_kernarg_preload_offset 0
		.amdhsa_user_sgpr_private_segment_size 0
		.amdhsa_wavefront_size32 1
		.amdhsa_uses_dynamic_stack 0
		.amdhsa_enable_private_segment 0
		.amdhsa_system_sgpr_workgroup_id_x 1
		.amdhsa_system_sgpr_workgroup_id_y 0
		.amdhsa_system_sgpr_workgroup_id_z 0
		.amdhsa_system_sgpr_workgroup_info 0
		.amdhsa_system_vgpr_workitem_id 0
		.amdhsa_next_free_vgpr 1
		.amdhsa_next_free_sgpr 1
		.amdhsa_named_barrier_count 0
		.amdhsa_reserve_vcc 0
		.amdhsa_float_round_mode_32 0
		.amdhsa_float_round_mode_16_64 0
		.amdhsa_float_denorm_mode_32 3
		.amdhsa_float_denorm_mode_16_64 3
		.amdhsa_fp16_overflow 0
		.amdhsa_memory_ordered 1
		.amdhsa_forward_progress 1
		.amdhsa_inst_pref_size 0
		.amdhsa_round_robin_scheduling 0
		.amdhsa_exception_fp_ieee_invalid_op 0
		.amdhsa_exception_fp_denorm_src 0
		.amdhsa_exception_fp_ieee_div_zero 0
		.amdhsa_exception_fp_ieee_overflow 0
		.amdhsa_exception_fp_ieee_underflow 0
		.amdhsa_exception_fp_ieee_inexact 0
		.amdhsa_exception_int_div_zero 0
	.end_amdhsa_kernel
	.section	.text._ZN7rocprim17ROCPRIM_400000_NS6detail17trampoline_kernelINS0_14default_configENS1_27scan_by_key_config_selectorIisEEZZNS1_16scan_by_key_implILNS1_25lookback_scan_determinismE0ELb1ES3_N6thrust23THRUST_200600_302600_NS6detail15normal_iteratorINS9_10device_ptrIiEEEENSB_INSC_IsEEEESG_sNS9_4plusIvEENS9_8equal_toIvEEsEE10hipError_tPvRmT2_T3_T4_T5_mT6_T7_P12ihipStream_tbENKUlT_T0_E_clISt17integral_constantIbLb0EES11_EEDaSW_SX_EUlSW_E_NS1_11comp_targetILNS1_3genE4ELNS1_11target_archE910ELNS1_3gpuE8ELNS1_3repE0EEENS1_30default_config_static_selectorELNS0_4arch9wavefront6targetE0EEEvT1_,"axG",@progbits,_ZN7rocprim17ROCPRIM_400000_NS6detail17trampoline_kernelINS0_14default_configENS1_27scan_by_key_config_selectorIisEEZZNS1_16scan_by_key_implILNS1_25lookback_scan_determinismE0ELb1ES3_N6thrust23THRUST_200600_302600_NS6detail15normal_iteratorINS9_10device_ptrIiEEEENSB_INSC_IsEEEESG_sNS9_4plusIvEENS9_8equal_toIvEEsEE10hipError_tPvRmT2_T3_T4_T5_mT6_T7_P12ihipStream_tbENKUlT_T0_E_clISt17integral_constantIbLb0EES11_EEDaSW_SX_EUlSW_E_NS1_11comp_targetILNS1_3genE4ELNS1_11target_archE910ELNS1_3gpuE8ELNS1_3repE0EEENS1_30default_config_static_selectorELNS0_4arch9wavefront6targetE0EEEvT1_,comdat
.Lfunc_end1610:
	.size	_ZN7rocprim17ROCPRIM_400000_NS6detail17trampoline_kernelINS0_14default_configENS1_27scan_by_key_config_selectorIisEEZZNS1_16scan_by_key_implILNS1_25lookback_scan_determinismE0ELb1ES3_N6thrust23THRUST_200600_302600_NS6detail15normal_iteratorINS9_10device_ptrIiEEEENSB_INSC_IsEEEESG_sNS9_4plusIvEENS9_8equal_toIvEEsEE10hipError_tPvRmT2_T3_T4_T5_mT6_T7_P12ihipStream_tbENKUlT_T0_E_clISt17integral_constantIbLb0EES11_EEDaSW_SX_EUlSW_E_NS1_11comp_targetILNS1_3genE4ELNS1_11target_archE910ELNS1_3gpuE8ELNS1_3repE0EEENS1_30default_config_static_selectorELNS0_4arch9wavefront6targetE0EEEvT1_, .Lfunc_end1610-_ZN7rocprim17ROCPRIM_400000_NS6detail17trampoline_kernelINS0_14default_configENS1_27scan_by_key_config_selectorIisEEZZNS1_16scan_by_key_implILNS1_25lookback_scan_determinismE0ELb1ES3_N6thrust23THRUST_200600_302600_NS6detail15normal_iteratorINS9_10device_ptrIiEEEENSB_INSC_IsEEEESG_sNS9_4plusIvEENS9_8equal_toIvEEsEE10hipError_tPvRmT2_T3_T4_T5_mT6_T7_P12ihipStream_tbENKUlT_T0_E_clISt17integral_constantIbLb0EES11_EEDaSW_SX_EUlSW_E_NS1_11comp_targetILNS1_3genE4ELNS1_11target_archE910ELNS1_3gpuE8ELNS1_3repE0EEENS1_30default_config_static_selectorELNS0_4arch9wavefront6targetE0EEEvT1_
                                        ; -- End function
	.set _ZN7rocprim17ROCPRIM_400000_NS6detail17trampoline_kernelINS0_14default_configENS1_27scan_by_key_config_selectorIisEEZZNS1_16scan_by_key_implILNS1_25lookback_scan_determinismE0ELb1ES3_N6thrust23THRUST_200600_302600_NS6detail15normal_iteratorINS9_10device_ptrIiEEEENSB_INSC_IsEEEESG_sNS9_4plusIvEENS9_8equal_toIvEEsEE10hipError_tPvRmT2_T3_T4_T5_mT6_T7_P12ihipStream_tbENKUlT_T0_E_clISt17integral_constantIbLb0EES11_EEDaSW_SX_EUlSW_E_NS1_11comp_targetILNS1_3genE4ELNS1_11target_archE910ELNS1_3gpuE8ELNS1_3repE0EEENS1_30default_config_static_selectorELNS0_4arch9wavefront6targetE0EEEvT1_.num_vgpr, 0
	.set _ZN7rocprim17ROCPRIM_400000_NS6detail17trampoline_kernelINS0_14default_configENS1_27scan_by_key_config_selectorIisEEZZNS1_16scan_by_key_implILNS1_25lookback_scan_determinismE0ELb1ES3_N6thrust23THRUST_200600_302600_NS6detail15normal_iteratorINS9_10device_ptrIiEEEENSB_INSC_IsEEEESG_sNS9_4plusIvEENS9_8equal_toIvEEsEE10hipError_tPvRmT2_T3_T4_T5_mT6_T7_P12ihipStream_tbENKUlT_T0_E_clISt17integral_constantIbLb0EES11_EEDaSW_SX_EUlSW_E_NS1_11comp_targetILNS1_3genE4ELNS1_11target_archE910ELNS1_3gpuE8ELNS1_3repE0EEENS1_30default_config_static_selectorELNS0_4arch9wavefront6targetE0EEEvT1_.num_agpr, 0
	.set _ZN7rocprim17ROCPRIM_400000_NS6detail17trampoline_kernelINS0_14default_configENS1_27scan_by_key_config_selectorIisEEZZNS1_16scan_by_key_implILNS1_25lookback_scan_determinismE0ELb1ES3_N6thrust23THRUST_200600_302600_NS6detail15normal_iteratorINS9_10device_ptrIiEEEENSB_INSC_IsEEEESG_sNS9_4plusIvEENS9_8equal_toIvEEsEE10hipError_tPvRmT2_T3_T4_T5_mT6_T7_P12ihipStream_tbENKUlT_T0_E_clISt17integral_constantIbLb0EES11_EEDaSW_SX_EUlSW_E_NS1_11comp_targetILNS1_3genE4ELNS1_11target_archE910ELNS1_3gpuE8ELNS1_3repE0EEENS1_30default_config_static_selectorELNS0_4arch9wavefront6targetE0EEEvT1_.numbered_sgpr, 0
	.set _ZN7rocprim17ROCPRIM_400000_NS6detail17trampoline_kernelINS0_14default_configENS1_27scan_by_key_config_selectorIisEEZZNS1_16scan_by_key_implILNS1_25lookback_scan_determinismE0ELb1ES3_N6thrust23THRUST_200600_302600_NS6detail15normal_iteratorINS9_10device_ptrIiEEEENSB_INSC_IsEEEESG_sNS9_4plusIvEENS9_8equal_toIvEEsEE10hipError_tPvRmT2_T3_T4_T5_mT6_T7_P12ihipStream_tbENKUlT_T0_E_clISt17integral_constantIbLb0EES11_EEDaSW_SX_EUlSW_E_NS1_11comp_targetILNS1_3genE4ELNS1_11target_archE910ELNS1_3gpuE8ELNS1_3repE0EEENS1_30default_config_static_selectorELNS0_4arch9wavefront6targetE0EEEvT1_.num_named_barrier, 0
	.set _ZN7rocprim17ROCPRIM_400000_NS6detail17trampoline_kernelINS0_14default_configENS1_27scan_by_key_config_selectorIisEEZZNS1_16scan_by_key_implILNS1_25lookback_scan_determinismE0ELb1ES3_N6thrust23THRUST_200600_302600_NS6detail15normal_iteratorINS9_10device_ptrIiEEEENSB_INSC_IsEEEESG_sNS9_4plusIvEENS9_8equal_toIvEEsEE10hipError_tPvRmT2_T3_T4_T5_mT6_T7_P12ihipStream_tbENKUlT_T0_E_clISt17integral_constantIbLb0EES11_EEDaSW_SX_EUlSW_E_NS1_11comp_targetILNS1_3genE4ELNS1_11target_archE910ELNS1_3gpuE8ELNS1_3repE0EEENS1_30default_config_static_selectorELNS0_4arch9wavefront6targetE0EEEvT1_.private_seg_size, 0
	.set _ZN7rocprim17ROCPRIM_400000_NS6detail17trampoline_kernelINS0_14default_configENS1_27scan_by_key_config_selectorIisEEZZNS1_16scan_by_key_implILNS1_25lookback_scan_determinismE0ELb1ES3_N6thrust23THRUST_200600_302600_NS6detail15normal_iteratorINS9_10device_ptrIiEEEENSB_INSC_IsEEEESG_sNS9_4plusIvEENS9_8equal_toIvEEsEE10hipError_tPvRmT2_T3_T4_T5_mT6_T7_P12ihipStream_tbENKUlT_T0_E_clISt17integral_constantIbLb0EES11_EEDaSW_SX_EUlSW_E_NS1_11comp_targetILNS1_3genE4ELNS1_11target_archE910ELNS1_3gpuE8ELNS1_3repE0EEENS1_30default_config_static_selectorELNS0_4arch9wavefront6targetE0EEEvT1_.uses_vcc, 0
	.set _ZN7rocprim17ROCPRIM_400000_NS6detail17trampoline_kernelINS0_14default_configENS1_27scan_by_key_config_selectorIisEEZZNS1_16scan_by_key_implILNS1_25lookback_scan_determinismE0ELb1ES3_N6thrust23THRUST_200600_302600_NS6detail15normal_iteratorINS9_10device_ptrIiEEEENSB_INSC_IsEEEESG_sNS9_4plusIvEENS9_8equal_toIvEEsEE10hipError_tPvRmT2_T3_T4_T5_mT6_T7_P12ihipStream_tbENKUlT_T0_E_clISt17integral_constantIbLb0EES11_EEDaSW_SX_EUlSW_E_NS1_11comp_targetILNS1_3genE4ELNS1_11target_archE910ELNS1_3gpuE8ELNS1_3repE0EEENS1_30default_config_static_selectorELNS0_4arch9wavefront6targetE0EEEvT1_.uses_flat_scratch, 0
	.set _ZN7rocprim17ROCPRIM_400000_NS6detail17trampoline_kernelINS0_14default_configENS1_27scan_by_key_config_selectorIisEEZZNS1_16scan_by_key_implILNS1_25lookback_scan_determinismE0ELb1ES3_N6thrust23THRUST_200600_302600_NS6detail15normal_iteratorINS9_10device_ptrIiEEEENSB_INSC_IsEEEESG_sNS9_4plusIvEENS9_8equal_toIvEEsEE10hipError_tPvRmT2_T3_T4_T5_mT6_T7_P12ihipStream_tbENKUlT_T0_E_clISt17integral_constantIbLb0EES11_EEDaSW_SX_EUlSW_E_NS1_11comp_targetILNS1_3genE4ELNS1_11target_archE910ELNS1_3gpuE8ELNS1_3repE0EEENS1_30default_config_static_selectorELNS0_4arch9wavefront6targetE0EEEvT1_.has_dyn_sized_stack, 0
	.set _ZN7rocprim17ROCPRIM_400000_NS6detail17trampoline_kernelINS0_14default_configENS1_27scan_by_key_config_selectorIisEEZZNS1_16scan_by_key_implILNS1_25lookback_scan_determinismE0ELb1ES3_N6thrust23THRUST_200600_302600_NS6detail15normal_iteratorINS9_10device_ptrIiEEEENSB_INSC_IsEEEESG_sNS9_4plusIvEENS9_8equal_toIvEEsEE10hipError_tPvRmT2_T3_T4_T5_mT6_T7_P12ihipStream_tbENKUlT_T0_E_clISt17integral_constantIbLb0EES11_EEDaSW_SX_EUlSW_E_NS1_11comp_targetILNS1_3genE4ELNS1_11target_archE910ELNS1_3gpuE8ELNS1_3repE0EEENS1_30default_config_static_selectorELNS0_4arch9wavefront6targetE0EEEvT1_.has_recursion, 0
	.set _ZN7rocprim17ROCPRIM_400000_NS6detail17trampoline_kernelINS0_14default_configENS1_27scan_by_key_config_selectorIisEEZZNS1_16scan_by_key_implILNS1_25lookback_scan_determinismE0ELb1ES3_N6thrust23THRUST_200600_302600_NS6detail15normal_iteratorINS9_10device_ptrIiEEEENSB_INSC_IsEEEESG_sNS9_4plusIvEENS9_8equal_toIvEEsEE10hipError_tPvRmT2_T3_T4_T5_mT6_T7_P12ihipStream_tbENKUlT_T0_E_clISt17integral_constantIbLb0EES11_EEDaSW_SX_EUlSW_E_NS1_11comp_targetILNS1_3genE4ELNS1_11target_archE910ELNS1_3gpuE8ELNS1_3repE0EEENS1_30default_config_static_selectorELNS0_4arch9wavefront6targetE0EEEvT1_.has_indirect_call, 0
	.section	.AMDGPU.csdata,"",@progbits
; Kernel info:
; codeLenInByte = 0
; TotalNumSgprs: 0
; NumVgprs: 0
; ScratchSize: 0
; MemoryBound: 0
; FloatMode: 240
; IeeeMode: 1
; LDSByteSize: 0 bytes/workgroup (compile time only)
; SGPRBlocks: 0
; VGPRBlocks: 0
; NumSGPRsForWavesPerEU: 1
; NumVGPRsForWavesPerEU: 1
; NamedBarCnt: 0
; Occupancy: 16
; WaveLimiterHint : 0
; COMPUTE_PGM_RSRC2:SCRATCH_EN: 0
; COMPUTE_PGM_RSRC2:USER_SGPR: 2
; COMPUTE_PGM_RSRC2:TRAP_HANDLER: 0
; COMPUTE_PGM_RSRC2:TGID_X_EN: 1
; COMPUTE_PGM_RSRC2:TGID_Y_EN: 0
; COMPUTE_PGM_RSRC2:TGID_Z_EN: 0
; COMPUTE_PGM_RSRC2:TIDIG_COMP_CNT: 0
	.section	.text._ZN7rocprim17ROCPRIM_400000_NS6detail17trampoline_kernelINS0_14default_configENS1_27scan_by_key_config_selectorIisEEZZNS1_16scan_by_key_implILNS1_25lookback_scan_determinismE0ELb1ES3_N6thrust23THRUST_200600_302600_NS6detail15normal_iteratorINS9_10device_ptrIiEEEENSB_INSC_IsEEEESG_sNS9_4plusIvEENS9_8equal_toIvEEsEE10hipError_tPvRmT2_T3_T4_T5_mT6_T7_P12ihipStream_tbENKUlT_T0_E_clISt17integral_constantIbLb0EES11_EEDaSW_SX_EUlSW_E_NS1_11comp_targetILNS1_3genE3ELNS1_11target_archE908ELNS1_3gpuE7ELNS1_3repE0EEENS1_30default_config_static_selectorELNS0_4arch9wavefront6targetE0EEEvT1_,"axG",@progbits,_ZN7rocprim17ROCPRIM_400000_NS6detail17trampoline_kernelINS0_14default_configENS1_27scan_by_key_config_selectorIisEEZZNS1_16scan_by_key_implILNS1_25lookback_scan_determinismE0ELb1ES3_N6thrust23THRUST_200600_302600_NS6detail15normal_iteratorINS9_10device_ptrIiEEEENSB_INSC_IsEEEESG_sNS9_4plusIvEENS9_8equal_toIvEEsEE10hipError_tPvRmT2_T3_T4_T5_mT6_T7_P12ihipStream_tbENKUlT_T0_E_clISt17integral_constantIbLb0EES11_EEDaSW_SX_EUlSW_E_NS1_11comp_targetILNS1_3genE3ELNS1_11target_archE908ELNS1_3gpuE7ELNS1_3repE0EEENS1_30default_config_static_selectorELNS0_4arch9wavefront6targetE0EEEvT1_,comdat
	.protected	_ZN7rocprim17ROCPRIM_400000_NS6detail17trampoline_kernelINS0_14default_configENS1_27scan_by_key_config_selectorIisEEZZNS1_16scan_by_key_implILNS1_25lookback_scan_determinismE0ELb1ES3_N6thrust23THRUST_200600_302600_NS6detail15normal_iteratorINS9_10device_ptrIiEEEENSB_INSC_IsEEEESG_sNS9_4plusIvEENS9_8equal_toIvEEsEE10hipError_tPvRmT2_T3_T4_T5_mT6_T7_P12ihipStream_tbENKUlT_T0_E_clISt17integral_constantIbLb0EES11_EEDaSW_SX_EUlSW_E_NS1_11comp_targetILNS1_3genE3ELNS1_11target_archE908ELNS1_3gpuE7ELNS1_3repE0EEENS1_30default_config_static_selectorELNS0_4arch9wavefront6targetE0EEEvT1_ ; -- Begin function _ZN7rocprim17ROCPRIM_400000_NS6detail17trampoline_kernelINS0_14default_configENS1_27scan_by_key_config_selectorIisEEZZNS1_16scan_by_key_implILNS1_25lookback_scan_determinismE0ELb1ES3_N6thrust23THRUST_200600_302600_NS6detail15normal_iteratorINS9_10device_ptrIiEEEENSB_INSC_IsEEEESG_sNS9_4plusIvEENS9_8equal_toIvEEsEE10hipError_tPvRmT2_T3_T4_T5_mT6_T7_P12ihipStream_tbENKUlT_T0_E_clISt17integral_constantIbLb0EES11_EEDaSW_SX_EUlSW_E_NS1_11comp_targetILNS1_3genE3ELNS1_11target_archE908ELNS1_3gpuE7ELNS1_3repE0EEENS1_30default_config_static_selectorELNS0_4arch9wavefront6targetE0EEEvT1_
	.globl	_ZN7rocprim17ROCPRIM_400000_NS6detail17trampoline_kernelINS0_14default_configENS1_27scan_by_key_config_selectorIisEEZZNS1_16scan_by_key_implILNS1_25lookback_scan_determinismE0ELb1ES3_N6thrust23THRUST_200600_302600_NS6detail15normal_iteratorINS9_10device_ptrIiEEEENSB_INSC_IsEEEESG_sNS9_4plusIvEENS9_8equal_toIvEEsEE10hipError_tPvRmT2_T3_T4_T5_mT6_T7_P12ihipStream_tbENKUlT_T0_E_clISt17integral_constantIbLb0EES11_EEDaSW_SX_EUlSW_E_NS1_11comp_targetILNS1_3genE3ELNS1_11target_archE908ELNS1_3gpuE7ELNS1_3repE0EEENS1_30default_config_static_selectorELNS0_4arch9wavefront6targetE0EEEvT1_
	.p2align	8
	.type	_ZN7rocprim17ROCPRIM_400000_NS6detail17trampoline_kernelINS0_14default_configENS1_27scan_by_key_config_selectorIisEEZZNS1_16scan_by_key_implILNS1_25lookback_scan_determinismE0ELb1ES3_N6thrust23THRUST_200600_302600_NS6detail15normal_iteratorINS9_10device_ptrIiEEEENSB_INSC_IsEEEESG_sNS9_4plusIvEENS9_8equal_toIvEEsEE10hipError_tPvRmT2_T3_T4_T5_mT6_T7_P12ihipStream_tbENKUlT_T0_E_clISt17integral_constantIbLb0EES11_EEDaSW_SX_EUlSW_E_NS1_11comp_targetILNS1_3genE3ELNS1_11target_archE908ELNS1_3gpuE7ELNS1_3repE0EEENS1_30default_config_static_selectorELNS0_4arch9wavefront6targetE0EEEvT1_,@function
_ZN7rocprim17ROCPRIM_400000_NS6detail17trampoline_kernelINS0_14default_configENS1_27scan_by_key_config_selectorIisEEZZNS1_16scan_by_key_implILNS1_25lookback_scan_determinismE0ELb1ES3_N6thrust23THRUST_200600_302600_NS6detail15normal_iteratorINS9_10device_ptrIiEEEENSB_INSC_IsEEEESG_sNS9_4plusIvEENS9_8equal_toIvEEsEE10hipError_tPvRmT2_T3_T4_T5_mT6_T7_P12ihipStream_tbENKUlT_T0_E_clISt17integral_constantIbLb0EES11_EEDaSW_SX_EUlSW_E_NS1_11comp_targetILNS1_3genE3ELNS1_11target_archE908ELNS1_3gpuE7ELNS1_3repE0EEENS1_30default_config_static_selectorELNS0_4arch9wavefront6targetE0EEEvT1_: ; @_ZN7rocprim17ROCPRIM_400000_NS6detail17trampoline_kernelINS0_14default_configENS1_27scan_by_key_config_selectorIisEEZZNS1_16scan_by_key_implILNS1_25lookback_scan_determinismE0ELb1ES3_N6thrust23THRUST_200600_302600_NS6detail15normal_iteratorINS9_10device_ptrIiEEEENSB_INSC_IsEEEESG_sNS9_4plusIvEENS9_8equal_toIvEEsEE10hipError_tPvRmT2_T3_T4_T5_mT6_T7_P12ihipStream_tbENKUlT_T0_E_clISt17integral_constantIbLb0EES11_EEDaSW_SX_EUlSW_E_NS1_11comp_targetILNS1_3genE3ELNS1_11target_archE908ELNS1_3gpuE7ELNS1_3repE0EEENS1_30default_config_static_selectorELNS0_4arch9wavefront6targetE0EEEvT1_
; %bb.0:
	.section	.rodata,"a",@progbits
	.p2align	6, 0x0
	.amdhsa_kernel _ZN7rocprim17ROCPRIM_400000_NS6detail17trampoline_kernelINS0_14default_configENS1_27scan_by_key_config_selectorIisEEZZNS1_16scan_by_key_implILNS1_25lookback_scan_determinismE0ELb1ES3_N6thrust23THRUST_200600_302600_NS6detail15normal_iteratorINS9_10device_ptrIiEEEENSB_INSC_IsEEEESG_sNS9_4plusIvEENS9_8equal_toIvEEsEE10hipError_tPvRmT2_T3_T4_T5_mT6_T7_P12ihipStream_tbENKUlT_T0_E_clISt17integral_constantIbLb0EES11_EEDaSW_SX_EUlSW_E_NS1_11comp_targetILNS1_3genE3ELNS1_11target_archE908ELNS1_3gpuE7ELNS1_3repE0EEENS1_30default_config_static_selectorELNS0_4arch9wavefront6targetE0EEEvT1_
		.amdhsa_group_segment_fixed_size 0
		.amdhsa_private_segment_fixed_size 0
		.amdhsa_kernarg_size 112
		.amdhsa_user_sgpr_count 2
		.amdhsa_user_sgpr_dispatch_ptr 0
		.amdhsa_user_sgpr_queue_ptr 0
		.amdhsa_user_sgpr_kernarg_segment_ptr 1
		.amdhsa_user_sgpr_dispatch_id 0
		.amdhsa_user_sgpr_kernarg_preload_length 0
		.amdhsa_user_sgpr_kernarg_preload_offset 0
		.amdhsa_user_sgpr_private_segment_size 0
		.amdhsa_wavefront_size32 1
		.amdhsa_uses_dynamic_stack 0
		.amdhsa_enable_private_segment 0
		.amdhsa_system_sgpr_workgroup_id_x 1
		.amdhsa_system_sgpr_workgroup_id_y 0
		.amdhsa_system_sgpr_workgroup_id_z 0
		.amdhsa_system_sgpr_workgroup_info 0
		.amdhsa_system_vgpr_workitem_id 0
		.amdhsa_next_free_vgpr 1
		.amdhsa_next_free_sgpr 1
		.amdhsa_named_barrier_count 0
		.amdhsa_reserve_vcc 0
		.amdhsa_float_round_mode_32 0
		.amdhsa_float_round_mode_16_64 0
		.amdhsa_float_denorm_mode_32 3
		.amdhsa_float_denorm_mode_16_64 3
		.amdhsa_fp16_overflow 0
		.amdhsa_memory_ordered 1
		.amdhsa_forward_progress 1
		.amdhsa_inst_pref_size 0
		.amdhsa_round_robin_scheduling 0
		.amdhsa_exception_fp_ieee_invalid_op 0
		.amdhsa_exception_fp_denorm_src 0
		.amdhsa_exception_fp_ieee_div_zero 0
		.amdhsa_exception_fp_ieee_overflow 0
		.amdhsa_exception_fp_ieee_underflow 0
		.amdhsa_exception_fp_ieee_inexact 0
		.amdhsa_exception_int_div_zero 0
	.end_amdhsa_kernel
	.section	.text._ZN7rocprim17ROCPRIM_400000_NS6detail17trampoline_kernelINS0_14default_configENS1_27scan_by_key_config_selectorIisEEZZNS1_16scan_by_key_implILNS1_25lookback_scan_determinismE0ELb1ES3_N6thrust23THRUST_200600_302600_NS6detail15normal_iteratorINS9_10device_ptrIiEEEENSB_INSC_IsEEEESG_sNS9_4plusIvEENS9_8equal_toIvEEsEE10hipError_tPvRmT2_T3_T4_T5_mT6_T7_P12ihipStream_tbENKUlT_T0_E_clISt17integral_constantIbLb0EES11_EEDaSW_SX_EUlSW_E_NS1_11comp_targetILNS1_3genE3ELNS1_11target_archE908ELNS1_3gpuE7ELNS1_3repE0EEENS1_30default_config_static_selectorELNS0_4arch9wavefront6targetE0EEEvT1_,"axG",@progbits,_ZN7rocprim17ROCPRIM_400000_NS6detail17trampoline_kernelINS0_14default_configENS1_27scan_by_key_config_selectorIisEEZZNS1_16scan_by_key_implILNS1_25lookback_scan_determinismE0ELb1ES3_N6thrust23THRUST_200600_302600_NS6detail15normal_iteratorINS9_10device_ptrIiEEEENSB_INSC_IsEEEESG_sNS9_4plusIvEENS9_8equal_toIvEEsEE10hipError_tPvRmT2_T3_T4_T5_mT6_T7_P12ihipStream_tbENKUlT_T0_E_clISt17integral_constantIbLb0EES11_EEDaSW_SX_EUlSW_E_NS1_11comp_targetILNS1_3genE3ELNS1_11target_archE908ELNS1_3gpuE7ELNS1_3repE0EEENS1_30default_config_static_selectorELNS0_4arch9wavefront6targetE0EEEvT1_,comdat
.Lfunc_end1611:
	.size	_ZN7rocprim17ROCPRIM_400000_NS6detail17trampoline_kernelINS0_14default_configENS1_27scan_by_key_config_selectorIisEEZZNS1_16scan_by_key_implILNS1_25lookback_scan_determinismE0ELb1ES3_N6thrust23THRUST_200600_302600_NS6detail15normal_iteratorINS9_10device_ptrIiEEEENSB_INSC_IsEEEESG_sNS9_4plusIvEENS9_8equal_toIvEEsEE10hipError_tPvRmT2_T3_T4_T5_mT6_T7_P12ihipStream_tbENKUlT_T0_E_clISt17integral_constantIbLb0EES11_EEDaSW_SX_EUlSW_E_NS1_11comp_targetILNS1_3genE3ELNS1_11target_archE908ELNS1_3gpuE7ELNS1_3repE0EEENS1_30default_config_static_selectorELNS0_4arch9wavefront6targetE0EEEvT1_, .Lfunc_end1611-_ZN7rocprim17ROCPRIM_400000_NS6detail17trampoline_kernelINS0_14default_configENS1_27scan_by_key_config_selectorIisEEZZNS1_16scan_by_key_implILNS1_25lookback_scan_determinismE0ELb1ES3_N6thrust23THRUST_200600_302600_NS6detail15normal_iteratorINS9_10device_ptrIiEEEENSB_INSC_IsEEEESG_sNS9_4plusIvEENS9_8equal_toIvEEsEE10hipError_tPvRmT2_T3_T4_T5_mT6_T7_P12ihipStream_tbENKUlT_T0_E_clISt17integral_constantIbLb0EES11_EEDaSW_SX_EUlSW_E_NS1_11comp_targetILNS1_3genE3ELNS1_11target_archE908ELNS1_3gpuE7ELNS1_3repE0EEENS1_30default_config_static_selectorELNS0_4arch9wavefront6targetE0EEEvT1_
                                        ; -- End function
	.set _ZN7rocprim17ROCPRIM_400000_NS6detail17trampoline_kernelINS0_14default_configENS1_27scan_by_key_config_selectorIisEEZZNS1_16scan_by_key_implILNS1_25lookback_scan_determinismE0ELb1ES3_N6thrust23THRUST_200600_302600_NS6detail15normal_iteratorINS9_10device_ptrIiEEEENSB_INSC_IsEEEESG_sNS9_4plusIvEENS9_8equal_toIvEEsEE10hipError_tPvRmT2_T3_T4_T5_mT6_T7_P12ihipStream_tbENKUlT_T0_E_clISt17integral_constantIbLb0EES11_EEDaSW_SX_EUlSW_E_NS1_11comp_targetILNS1_3genE3ELNS1_11target_archE908ELNS1_3gpuE7ELNS1_3repE0EEENS1_30default_config_static_selectorELNS0_4arch9wavefront6targetE0EEEvT1_.num_vgpr, 0
	.set _ZN7rocprim17ROCPRIM_400000_NS6detail17trampoline_kernelINS0_14default_configENS1_27scan_by_key_config_selectorIisEEZZNS1_16scan_by_key_implILNS1_25lookback_scan_determinismE0ELb1ES3_N6thrust23THRUST_200600_302600_NS6detail15normal_iteratorINS9_10device_ptrIiEEEENSB_INSC_IsEEEESG_sNS9_4plusIvEENS9_8equal_toIvEEsEE10hipError_tPvRmT2_T3_T4_T5_mT6_T7_P12ihipStream_tbENKUlT_T0_E_clISt17integral_constantIbLb0EES11_EEDaSW_SX_EUlSW_E_NS1_11comp_targetILNS1_3genE3ELNS1_11target_archE908ELNS1_3gpuE7ELNS1_3repE0EEENS1_30default_config_static_selectorELNS0_4arch9wavefront6targetE0EEEvT1_.num_agpr, 0
	.set _ZN7rocprim17ROCPRIM_400000_NS6detail17trampoline_kernelINS0_14default_configENS1_27scan_by_key_config_selectorIisEEZZNS1_16scan_by_key_implILNS1_25lookback_scan_determinismE0ELb1ES3_N6thrust23THRUST_200600_302600_NS6detail15normal_iteratorINS9_10device_ptrIiEEEENSB_INSC_IsEEEESG_sNS9_4plusIvEENS9_8equal_toIvEEsEE10hipError_tPvRmT2_T3_T4_T5_mT6_T7_P12ihipStream_tbENKUlT_T0_E_clISt17integral_constantIbLb0EES11_EEDaSW_SX_EUlSW_E_NS1_11comp_targetILNS1_3genE3ELNS1_11target_archE908ELNS1_3gpuE7ELNS1_3repE0EEENS1_30default_config_static_selectorELNS0_4arch9wavefront6targetE0EEEvT1_.numbered_sgpr, 0
	.set _ZN7rocprim17ROCPRIM_400000_NS6detail17trampoline_kernelINS0_14default_configENS1_27scan_by_key_config_selectorIisEEZZNS1_16scan_by_key_implILNS1_25lookback_scan_determinismE0ELb1ES3_N6thrust23THRUST_200600_302600_NS6detail15normal_iteratorINS9_10device_ptrIiEEEENSB_INSC_IsEEEESG_sNS9_4plusIvEENS9_8equal_toIvEEsEE10hipError_tPvRmT2_T3_T4_T5_mT6_T7_P12ihipStream_tbENKUlT_T0_E_clISt17integral_constantIbLb0EES11_EEDaSW_SX_EUlSW_E_NS1_11comp_targetILNS1_3genE3ELNS1_11target_archE908ELNS1_3gpuE7ELNS1_3repE0EEENS1_30default_config_static_selectorELNS0_4arch9wavefront6targetE0EEEvT1_.num_named_barrier, 0
	.set _ZN7rocprim17ROCPRIM_400000_NS6detail17trampoline_kernelINS0_14default_configENS1_27scan_by_key_config_selectorIisEEZZNS1_16scan_by_key_implILNS1_25lookback_scan_determinismE0ELb1ES3_N6thrust23THRUST_200600_302600_NS6detail15normal_iteratorINS9_10device_ptrIiEEEENSB_INSC_IsEEEESG_sNS9_4plusIvEENS9_8equal_toIvEEsEE10hipError_tPvRmT2_T3_T4_T5_mT6_T7_P12ihipStream_tbENKUlT_T0_E_clISt17integral_constantIbLb0EES11_EEDaSW_SX_EUlSW_E_NS1_11comp_targetILNS1_3genE3ELNS1_11target_archE908ELNS1_3gpuE7ELNS1_3repE0EEENS1_30default_config_static_selectorELNS0_4arch9wavefront6targetE0EEEvT1_.private_seg_size, 0
	.set _ZN7rocprim17ROCPRIM_400000_NS6detail17trampoline_kernelINS0_14default_configENS1_27scan_by_key_config_selectorIisEEZZNS1_16scan_by_key_implILNS1_25lookback_scan_determinismE0ELb1ES3_N6thrust23THRUST_200600_302600_NS6detail15normal_iteratorINS9_10device_ptrIiEEEENSB_INSC_IsEEEESG_sNS9_4plusIvEENS9_8equal_toIvEEsEE10hipError_tPvRmT2_T3_T4_T5_mT6_T7_P12ihipStream_tbENKUlT_T0_E_clISt17integral_constantIbLb0EES11_EEDaSW_SX_EUlSW_E_NS1_11comp_targetILNS1_3genE3ELNS1_11target_archE908ELNS1_3gpuE7ELNS1_3repE0EEENS1_30default_config_static_selectorELNS0_4arch9wavefront6targetE0EEEvT1_.uses_vcc, 0
	.set _ZN7rocprim17ROCPRIM_400000_NS6detail17trampoline_kernelINS0_14default_configENS1_27scan_by_key_config_selectorIisEEZZNS1_16scan_by_key_implILNS1_25lookback_scan_determinismE0ELb1ES3_N6thrust23THRUST_200600_302600_NS6detail15normal_iteratorINS9_10device_ptrIiEEEENSB_INSC_IsEEEESG_sNS9_4plusIvEENS9_8equal_toIvEEsEE10hipError_tPvRmT2_T3_T4_T5_mT6_T7_P12ihipStream_tbENKUlT_T0_E_clISt17integral_constantIbLb0EES11_EEDaSW_SX_EUlSW_E_NS1_11comp_targetILNS1_3genE3ELNS1_11target_archE908ELNS1_3gpuE7ELNS1_3repE0EEENS1_30default_config_static_selectorELNS0_4arch9wavefront6targetE0EEEvT1_.uses_flat_scratch, 0
	.set _ZN7rocprim17ROCPRIM_400000_NS6detail17trampoline_kernelINS0_14default_configENS1_27scan_by_key_config_selectorIisEEZZNS1_16scan_by_key_implILNS1_25lookback_scan_determinismE0ELb1ES3_N6thrust23THRUST_200600_302600_NS6detail15normal_iteratorINS9_10device_ptrIiEEEENSB_INSC_IsEEEESG_sNS9_4plusIvEENS9_8equal_toIvEEsEE10hipError_tPvRmT2_T3_T4_T5_mT6_T7_P12ihipStream_tbENKUlT_T0_E_clISt17integral_constantIbLb0EES11_EEDaSW_SX_EUlSW_E_NS1_11comp_targetILNS1_3genE3ELNS1_11target_archE908ELNS1_3gpuE7ELNS1_3repE0EEENS1_30default_config_static_selectorELNS0_4arch9wavefront6targetE0EEEvT1_.has_dyn_sized_stack, 0
	.set _ZN7rocprim17ROCPRIM_400000_NS6detail17trampoline_kernelINS0_14default_configENS1_27scan_by_key_config_selectorIisEEZZNS1_16scan_by_key_implILNS1_25lookback_scan_determinismE0ELb1ES3_N6thrust23THRUST_200600_302600_NS6detail15normal_iteratorINS9_10device_ptrIiEEEENSB_INSC_IsEEEESG_sNS9_4plusIvEENS9_8equal_toIvEEsEE10hipError_tPvRmT2_T3_T4_T5_mT6_T7_P12ihipStream_tbENKUlT_T0_E_clISt17integral_constantIbLb0EES11_EEDaSW_SX_EUlSW_E_NS1_11comp_targetILNS1_3genE3ELNS1_11target_archE908ELNS1_3gpuE7ELNS1_3repE0EEENS1_30default_config_static_selectorELNS0_4arch9wavefront6targetE0EEEvT1_.has_recursion, 0
	.set _ZN7rocprim17ROCPRIM_400000_NS6detail17trampoline_kernelINS0_14default_configENS1_27scan_by_key_config_selectorIisEEZZNS1_16scan_by_key_implILNS1_25lookback_scan_determinismE0ELb1ES3_N6thrust23THRUST_200600_302600_NS6detail15normal_iteratorINS9_10device_ptrIiEEEENSB_INSC_IsEEEESG_sNS9_4plusIvEENS9_8equal_toIvEEsEE10hipError_tPvRmT2_T3_T4_T5_mT6_T7_P12ihipStream_tbENKUlT_T0_E_clISt17integral_constantIbLb0EES11_EEDaSW_SX_EUlSW_E_NS1_11comp_targetILNS1_3genE3ELNS1_11target_archE908ELNS1_3gpuE7ELNS1_3repE0EEENS1_30default_config_static_selectorELNS0_4arch9wavefront6targetE0EEEvT1_.has_indirect_call, 0
	.section	.AMDGPU.csdata,"",@progbits
; Kernel info:
; codeLenInByte = 0
; TotalNumSgprs: 0
; NumVgprs: 0
; ScratchSize: 0
; MemoryBound: 0
; FloatMode: 240
; IeeeMode: 1
; LDSByteSize: 0 bytes/workgroup (compile time only)
; SGPRBlocks: 0
; VGPRBlocks: 0
; NumSGPRsForWavesPerEU: 1
; NumVGPRsForWavesPerEU: 1
; NamedBarCnt: 0
; Occupancy: 16
; WaveLimiterHint : 0
; COMPUTE_PGM_RSRC2:SCRATCH_EN: 0
; COMPUTE_PGM_RSRC2:USER_SGPR: 2
; COMPUTE_PGM_RSRC2:TRAP_HANDLER: 0
; COMPUTE_PGM_RSRC2:TGID_X_EN: 1
; COMPUTE_PGM_RSRC2:TGID_Y_EN: 0
; COMPUTE_PGM_RSRC2:TGID_Z_EN: 0
; COMPUTE_PGM_RSRC2:TIDIG_COMP_CNT: 0
	.section	.text._ZN7rocprim17ROCPRIM_400000_NS6detail17trampoline_kernelINS0_14default_configENS1_27scan_by_key_config_selectorIisEEZZNS1_16scan_by_key_implILNS1_25lookback_scan_determinismE0ELb1ES3_N6thrust23THRUST_200600_302600_NS6detail15normal_iteratorINS9_10device_ptrIiEEEENSB_INSC_IsEEEESG_sNS9_4plusIvEENS9_8equal_toIvEEsEE10hipError_tPvRmT2_T3_T4_T5_mT6_T7_P12ihipStream_tbENKUlT_T0_E_clISt17integral_constantIbLb0EES11_EEDaSW_SX_EUlSW_E_NS1_11comp_targetILNS1_3genE2ELNS1_11target_archE906ELNS1_3gpuE6ELNS1_3repE0EEENS1_30default_config_static_selectorELNS0_4arch9wavefront6targetE0EEEvT1_,"axG",@progbits,_ZN7rocprim17ROCPRIM_400000_NS6detail17trampoline_kernelINS0_14default_configENS1_27scan_by_key_config_selectorIisEEZZNS1_16scan_by_key_implILNS1_25lookback_scan_determinismE0ELb1ES3_N6thrust23THRUST_200600_302600_NS6detail15normal_iteratorINS9_10device_ptrIiEEEENSB_INSC_IsEEEESG_sNS9_4plusIvEENS9_8equal_toIvEEsEE10hipError_tPvRmT2_T3_T4_T5_mT6_T7_P12ihipStream_tbENKUlT_T0_E_clISt17integral_constantIbLb0EES11_EEDaSW_SX_EUlSW_E_NS1_11comp_targetILNS1_3genE2ELNS1_11target_archE906ELNS1_3gpuE6ELNS1_3repE0EEENS1_30default_config_static_selectorELNS0_4arch9wavefront6targetE0EEEvT1_,comdat
	.protected	_ZN7rocprim17ROCPRIM_400000_NS6detail17trampoline_kernelINS0_14default_configENS1_27scan_by_key_config_selectorIisEEZZNS1_16scan_by_key_implILNS1_25lookback_scan_determinismE0ELb1ES3_N6thrust23THRUST_200600_302600_NS6detail15normal_iteratorINS9_10device_ptrIiEEEENSB_INSC_IsEEEESG_sNS9_4plusIvEENS9_8equal_toIvEEsEE10hipError_tPvRmT2_T3_T4_T5_mT6_T7_P12ihipStream_tbENKUlT_T0_E_clISt17integral_constantIbLb0EES11_EEDaSW_SX_EUlSW_E_NS1_11comp_targetILNS1_3genE2ELNS1_11target_archE906ELNS1_3gpuE6ELNS1_3repE0EEENS1_30default_config_static_selectorELNS0_4arch9wavefront6targetE0EEEvT1_ ; -- Begin function _ZN7rocprim17ROCPRIM_400000_NS6detail17trampoline_kernelINS0_14default_configENS1_27scan_by_key_config_selectorIisEEZZNS1_16scan_by_key_implILNS1_25lookback_scan_determinismE0ELb1ES3_N6thrust23THRUST_200600_302600_NS6detail15normal_iteratorINS9_10device_ptrIiEEEENSB_INSC_IsEEEESG_sNS9_4plusIvEENS9_8equal_toIvEEsEE10hipError_tPvRmT2_T3_T4_T5_mT6_T7_P12ihipStream_tbENKUlT_T0_E_clISt17integral_constantIbLb0EES11_EEDaSW_SX_EUlSW_E_NS1_11comp_targetILNS1_3genE2ELNS1_11target_archE906ELNS1_3gpuE6ELNS1_3repE0EEENS1_30default_config_static_selectorELNS0_4arch9wavefront6targetE0EEEvT1_
	.globl	_ZN7rocprim17ROCPRIM_400000_NS6detail17trampoline_kernelINS0_14default_configENS1_27scan_by_key_config_selectorIisEEZZNS1_16scan_by_key_implILNS1_25lookback_scan_determinismE0ELb1ES3_N6thrust23THRUST_200600_302600_NS6detail15normal_iteratorINS9_10device_ptrIiEEEENSB_INSC_IsEEEESG_sNS9_4plusIvEENS9_8equal_toIvEEsEE10hipError_tPvRmT2_T3_T4_T5_mT6_T7_P12ihipStream_tbENKUlT_T0_E_clISt17integral_constantIbLb0EES11_EEDaSW_SX_EUlSW_E_NS1_11comp_targetILNS1_3genE2ELNS1_11target_archE906ELNS1_3gpuE6ELNS1_3repE0EEENS1_30default_config_static_selectorELNS0_4arch9wavefront6targetE0EEEvT1_
	.p2align	8
	.type	_ZN7rocprim17ROCPRIM_400000_NS6detail17trampoline_kernelINS0_14default_configENS1_27scan_by_key_config_selectorIisEEZZNS1_16scan_by_key_implILNS1_25lookback_scan_determinismE0ELb1ES3_N6thrust23THRUST_200600_302600_NS6detail15normal_iteratorINS9_10device_ptrIiEEEENSB_INSC_IsEEEESG_sNS9_4plusIvEENS9_8equal_toIvEEsEE10hipError_tPvRmT2_T3_T4_T5_mT6_T7_P12ihipStream_tbENKUlT_T0_E_clISt17integral_constantIbLb0EES11_EEDaSW_SX_EUlSW_E_NS1_11comp_targetILNS1_3genE2ELNS1_11target_archE906ELNS1_3gpuE6ELNS1_3repE0EEENS1_30default_config_static_selectorELNS0_4arch9wavefront6targetE0EEEvT1_,@function
_ZN7rocprim17ROCPRIM_400000_NS6detail17trampoline_kernelINS0_14default_configENS1_27scan_by_key_config_selectorIisEEZZNS1_16scan_by_key_implILNS1_25lookback_scan_determinismE0ELb1ES3_N6thrust23THRUST_200600_302600_NS6detail15normal_iteratorINS9_10device_ptrIiEEEENSB_INSC_IsEEEESG_sNS9_4plusIvEENS9_8equal_toIvEEsEE10hipError_tPvRmT2_T3_T4_T5_mT6_T7_P12ihipStream_tbENKUlT_T0_E_clISt17integral_constantIbLb0EES11_EEDaSW_SX_EUlSW_E_NS1_11comp_targetILNS1_3genE2ELNS1_11target_archE906ELNS1_3gpuE6ELNS1_3repE0EEENS1_30default_config_static_selectorELNS0_4arch9wavefront6targetE0EEEvT1_: ; @_ZN7rocprim17ROCPRIM_400000_NS6detail17trampoline_kernelINS0_14default_configENS1_27scan_by_key_config_selectorIisEEZZNS1_16scan_by_key_implILNS1_25lookback_scan_determinismE0ELb1ES3_N6thrust23THRUST_200600_302600_NS6detail15normal_iteratorINS9_10device_ptrIiEEEENSB_INSC_IsEEEESG_sNS9_4plusIvEENS9_8equal_toIvEEsEE10hipError_tPvRmT2_T3_T4_T5_mT6_T7_P12ihipStream_tbENKUlT_T0_E_clISt17integral_constantIbLb0EES11_EEDaSW_SX_EUlSW_E_NS1_11comp_targetILNS1_3genE2ELNS1_11target_archE906ELNS1_3gpuE6ELNS1_3repE0EEENS1_30default_config_static_selectorELNS0_4arch9wavefront6targetE0EEEvT1_
; %bb.0:
	.section	.rodata,"a",@progbits
	.p2align	6, 0x0
	.amdhsa_kernel _ZN7rocprim17ROCPRIM_400000_NS6detail17trampoline_kernelINS0_14default_configENS1_27scan_by_key_config_selectorIisEEZZNS1_16scan_by_key_implILNS1_25lookback_scan_determinismE0ELb1ES3_N6thrust23THRUST_200600_302600_NS6detail15normal_iteratorINS9_10device_ptrIiEEEENSB_INSC_IsEEEESG_sNS9_4plusIvEENS9_8equal_toIvEEsEE10hipError_tPvRmT2_T3_T4_T5_mT6_T7_P12ihipStream_tbENKUlT_T0_E_clISt17integral_constantIbLb0EES11_EEDaSW_SX_EUlSW_E_NS1_11comp_targetILNS1_3genE2ELNS1_11target_archE906ELNS1_3gpuE6ELNS1_3repE0EEENS1_30default_config_static_selectorELNS0_4arch9wavefront6targetE0EEEvT1_
		.amdhsa_group_segment_fixed_size 0
		.amdhsa_private_segment_fixed_size 0
		.amdhsa_kernarg_size 112
		.amdhsa_user_sgpr_count 2
		.amdhsa_user_sgpr_dispatch_ptr 0
		.amdhsa_user_sgpr_queue_ptr 0
		.amdhsa_user_sgpr_kernarg_segment_ptr 1
		.amdhsa_user_sgpr_dispatch_id 0
		.amdhsa_user_sgpr_kernarg_preload_length 0
		.amdhsa_user_sgpr_kernarg_preload_offset 0
		.amdhsa_user_sgpr_private_segment_size 0
		.amdhsa_wavefront_size32 1
		.amdhsa_uses_dynamic_stack 0
		.amdhsa_enable_private_segment 0
		.amdhsa_system_sgpr_workgroup_id_x 1
		.amdhsa_system_sgpr_workgroup_id_y 0
		.amdhsa_system_sgpr_workgroup_id_z 0
		.amdhsa_system_sgpr_workgroup_info 0
		.amdhsa_system_vgpr_workitem_id 0
		.amdhsa_next_free_vgpr 1
		.amdhsa_next_free_sgpr 1
		.amdhsa_named_barrier_count 0
		.amdhsa_reserve_vcc 0
		.amdhsa_float_round_mode_32 0
		.amdhsa_float_round_mode_16_64 0
		.amdhsa_float_denorm_mode_32 3
		.amdhsa_float_denorm_mode_16_64 3
		.amdhsa_fp16_overflow 0
		.amdhsa_memory_ordered 1
		.amdhsa_forward_progress 1
		.amdhsa_inst_pref_size 0
		.amdhsa_round_robin_scheduling 0
		.amdhsa_exception_fp_ieee_invalid_op 0
		.amdhsa_exception_fp_denorm_src 0
		.amdhsa_exception_fp_ieee_div_zero 0
		.amdhsa_exception_fp_ieee_overflow 0
		.amdhsa_exception_fp_ieee_underflow 0
		.amdhsa_exception_fp_ieee_inexact 0
		.amdhsa_exception_int_div_zero 0
	.end_amdhsa_kernel
	.section	.text._ZN7rocprim17ROCPRIM_400000_NS6detail17trampoline_kernelINS0_14default_configENS1_27scan_by_key_config_selectorIisEEZZNS1_16scan_by_key_implILNS1_25lookback_scan_determinismE0ELb1ES3_N6thrust23THRUST_200600_302600_NS6detail15normal_iteratorINS9_10device_ptrIiEEEENSB_INSC_IsEEEESG_sNS9_4plusIvEENS9_8equal_toIvEEsEE10hipError_tPvRmT2_T3_T4_T5_mT6_T7_P12ihipStream_tbENKUlT_T0_E_clISt17integral_constantIbLb0EES11_EEDaSW_SX_EUlSW_E_NS1_11comp_targetILNS1_3genE2ELNS1_11target_archE906ELNS1_3gpuE6ELNS1_3repE0EEENS1_30default_config_static_selectorELNS0_4arch9wavefront6targetE0EEEvT1_,"axG",@progbits,_ZN7rocprim17ROCPRIM_400000_NS6detail17trampoline_kernelINS0_14default_configENS1_27scan_by_key_config_selectorIisEEZZNS1_16scan_by_key_implILNS1_25lookback_scan_determinismE0ELb1ES3_N6thrust23THRUST_200600_302600_NS6detail15normal_iteratorINS9_10device_ptrIiEEEENSB_INSC_IsEEEESG_sNS9_4plusIvEENS9_8equal_toIvEEsEE10hipError_tPvRmT2_T3_T4_T5_mT6_T7_P12ihipStream_tbENKUlT_T0_E_clISt17integral_constantIbLb0EES11_EEDaSW_SX_EUlSW_E_NS1_11comp_targetILNS1_3genE2ELNS1_11target_archE906ELNS1_3gpuE6ELNS1_3repE0EEENS1_30default_config_static_selectorELNS0_4arch9wavefront6targetE0EEEvT1_,comdat
.Lfunc_end1612:
	.size	_ZN7rocprim17ROCPRIM_400000_NS6detail17trampoline_kernelINS0_14default_configENS1_27scan_by_key_config_selectorIisEEZZNS1_16scan_by_key_implILNS1_25lookback_scan_determinismE0ELb1ES3_N6thrust23THRUST_200600_302600_NS6detail15normal_iteratorINS9_10device_ptrIiEEEENSB_INSC_IsEEEESG_sNS9_4plusIvEENS9_8equal_toIvEEsEE10hipError_tPvRmT2_T3_T4_T5_mT6_T7_P12ihipStream_tbENKUlT_T0_E_clISt17integral_constantIbLb0EES11_EEDaSW_SX_EUlSW_E_NS1_11comp_targetILNS1_3genE2ELNS1_11target_archE906ELNS1_3gpuE6ELNS1_3repE0EEENS1_30default_config_static_selectorELNS0_4arch9wavefront6targetE0EEEvT1_, .Lfunc_end1612-_ZN7rocprim17ROCPRIM_400000_NS6detail17trampoline_kernelINS0_14default_configENS1_27scan_by_key_config_selectorIisEEZZNS1_16scan_by_key_implILNS1_25lookback_scan_determinismE0ELb1ES3_N6thrust23THRUST_200600_302600_NS6detail15normal_iteratorINS9_10device_ptrIiEEEENSB_INSC_IsEEEESG_sNS9_4plusIvEENS9_8equal_toIvEEsEE10hipError_tPvRmT2_T3_T4_T5_mT6_T7_P12ihipStream_tbENKUlT_T0_E_clISt17integral_constantIbLb0EES11_EEDaSW_SX_EUlSW_E_NS1_11comp_targetILNS1_3genE2ELNS1_11target_archE906ELNS1_3gpuE6ELNS1_3repE0EEENS1_30default_config_static_selectorELNS0_4arch9wavefront6targetE0EEEvT1_
                                        ; -- End function
	.set _ZN7rocprim17ROCPRIM_400000_NS6detail17trampoline_kernelINS0_14default_configENS1_27scan_by_key_config_selectorIisEEZZNS1_16scan_by_key_implILNS1_25lookback_scan_determinismE0ELb1ES3_N6thrust23THRUST_200600_302600_NS6detail15normal_iteratorINS9_10device_ptrIiEEEENSB_INSC_IsEEEESG_sNS9_4plusIvEENS9_8equal_toIvEEsEE10hipError_tPvRmT2_T3_T4_T5_mT6_T7_P12ihipStream_tbENKUlT_T0_E_clISt17integral_constantIbLb0EES11_EEDaSW_SX_EUlSW_E_NS1_11comp_targetILNS1_3genE2ELNS1_11target_archE906ELNS1_3gpuE6ELNS1_3repE0EEENS1_30default_config_static_selectorELNS0_4arch9wavefront6targetE0EEEvT1_.num_vgpr, 0
	.set _ZN7rocprim17ROCPRIM_400000_NS6detail17trampoline_kernelINS0_14default_configENS1_27scan_by_key_config_selectorIisEEZZNS1_16scan_by_key_implILNS1_25lookback_scan_determinismE0ELb1ES3_N6thrust23THRUST_200600_302600_NS6detail15normal_iteratorINS9_10device_ptrIiEEEENSB_INSC_IsEEEESG_sNS9_4plusIvEENS9_8equal_toIvEEsEE10hipError_tPvRmT2_T3_T4_T5_mT6_T7_P12ihipStream_tbENKUlT_T0_E_clISt17integral_constantIbLb0EES11_EEDaSW_SX_EUlSW_E_NS1_11comp_targetILNS1_3genE2ELNS1_11target_archE906ELNS1_3gpuE6ELNS1_3repE0EEENS1_30default_config_static_selectorELNS0_4arch9wavefront6targetE0EEEvT1_.num_agpr, 0
	.set _ZN7rocprim17ROCPRIM_400000_NS6detail17trampoline_kernelINS0_14default_configENS1_27scan_by_key_config_selectorIisEEZZNS1_16scan_by_key_implILNS1_25lookback_scan_determinismE0ELb1ES3_N6thrust23THRUST_200600_302600_NS6detail15normal_iteratorINS9_10device_ptrIiEEEENSB_INSC_IsEEEESG_sNS9_4plusIvEENS9_8equal_toIvEEsEE10hipError_tPvRmT2_T3_T4_T5_mT6_T7_P12ihipStream_tbENKUlT_T0_E_clISt17integral_constantIbLb0EES11_EEDaSW_SX_EUlSW_E_NS1_11comp_targetILNS1_3genE2ELNS1_11target_archE906ELNS1_3gpuE6ELNS1_3repE0EEENS1_30default_config_static_selectorELNS0_4arch9wavefront6targetE0EEEvT1_.numbered_sgpr, 0
	.set _ZN7rocprim17ROCPRIM_400000_NS6detail17trampoline_kernelINS0_14default_configENS1_27scan_by_key_config_selectorIisEEZZNS1_16scan_by_key_implILNS1_25lookback_scan_determinismE0ELb1ES3_N6thrust23THRUST_200600_302600_NS6detail15normal_iteratorINS9_10device_ptrIiEEEENSB_INSC_IsEEEESG_sNS9_4plusIvEENS9_8equal_toIvEEsEE10hipError_tPvRmT2_T3_T4_T5_mT6_T7_P12ihipStream_tbENKUlT_T0_E_clISt17integral_constantIbLb0EES11_EEDaSW_SX_EUlSW_E_NS1_11comp_targetILNS1_3genE2ELNS1_11target_archE906ELNS1_3gpuE6ELNS1_3repE0EEENS1_30default_config_static_selectorELNS0_4arch9wavefront6targetE0EEEvT1_.num_named_barrier, 0
	.set _ZN7rocprim17ROCPRIM_400000_NS6detail17trampoline_kernelINS0_14default_configENS1_27scan_by_key_config_selectorIisEEZZNS1_16scan_by_key_implILNS1_25lookback_scan_determinismE0ELb1ES3_N6thrust23THRUST_200600_302600_NS6detail15normal_iteratorINS9_10device_ptrIiEEEENSB_INSC_IsEEEESG_sNS9_4plusIvEENS9_8equal_toIvEEsEE10hipError_tPvRmT2_T3_T4_T5_mT6_T7_P12ihipStream_tbENKUlT_T0_E_clISt17integral_constantIbLb0EES11_EEDaSW_SX_EUlSW_E_NS1_11comp_targetILNS1_3genE2ELNS1_11target_archE906ELNS1_3gpuE6ELNS1_3repE0EEENS1_30default_config_static_selectorELNS0_4arch9wavefront6targetE0EEEvT1_.private_seg_size, 0
	.set _ZN7rocprim17ROCPRIM_400000_NS6detail17trampoline_kernelINS0_14default_configENS1_27scan_by_key_config_selectorIisEEZZNS1_16scan_by_key_implILNS1_25lookback_scan_determinismE0ELb1ES3_N6thrust23THRUST_200600_302600_NS6detail15normal_iteratorINS9_10device_ptrIiEEEENSB_INSC_IsEEEESG_sNS9_4plusIvEENS9_8equal_toIvEEsEE10hipError_tPvRmT2_T3_T4_T5_mT6_T7_P12ihipStream_tbENKUlT_T0_E_clISt17integral_constantIbLb0EES11_EEDaSW_SX_EUlSW_E_NS1_11comp_targetILNS1_3genE2ELNS1_11target_archE906ELNS1_3gpuE6ELNS1_3repE0EEENS1_30default_config_static_selectorELNS0_4arch9wavefront6targetE0EEEvT1_.uses_vcc, 0
	.set _ZN7rocprim17ROCPRIM_400000_NS6detail17trampoline_kernelINS0_14default_configENS1_27scan_by_key_config_selectorIisEEZZNS1_16scan_by_key_implILNS1_25lookback_scan_determinismE0ELb1ES3_N6thrust23THRUST_200600_302600_NS6detail15normal_iteratorINS9_10device_ptrIiEEEENSB_INSC_IsEEEESG_sNS9_4plusIvEENS9_8equal_toIvEEsEE10hipError_tPvRmT2_T3_T4_T5_mT6_T7_P12ihipStream_tbENKUlT_T0_E_clISt17integral_constantIbLb0EES11_EEDaSW_SX_EUlSW_E_NS1_11comp_targetILNS1_3genE2ELNS1_11target_archE906ELNS1_3gpuE6ELNS1_3repE0EEENS1_30default_config_static_selectorELNS0_4arch9wavefront6targetE0EEEvT1_.uses_flat_scratch, 0
	.set _ZN7rocprim17ROCPRIM_400000_NS6detail17trampoline_kernelINS0_14default_configENS1_27scan_by_key_config_selectorIisEEZZNS1_16scan_by_key_implILNS1_25lookback_scan_determinismE0ELb1ES3_N6thrust23THRUST_200600_302600_NS6detail15normal_iteratorINS9_10device_ptrIiEEEENSB_INSC_IsEEEESG_sNS9_4plusIvEENS9_8equal_toIvEEsEE10hipError_tPvRmT2_T3_T4_T5_mT6_T7_P12ihipStream_tbENKUlT_T0_E_clISt17integral_constantIbLb0EES11_EEDaSW_SX_EUlSW_E_NS1_11comp_targetILNS1_3genE2ELNS1_11target_archE906ELNS1_3gpuE6ELNS1_3repE0EEENS1_30default_config_static_selectorELNS0_4arch9wavefront6targetE0EEEvT1_.has_dyn_sized_stack, 0
	.set _ZN7rocprim17ROCPRIM_400000_NS6detail17trampoline_kernelINS0_14default_configENS1_27scan_by_key_config_selectorIisEEZZNS1_16scan_by_key_implILNS1_25lookback_scan_determinismE0ELb1ES3_N6thrust23THRUST_200600_302600_NS6detail15normal_iteratorINS9_10device_ptrIiEEEENSB_INSC_IsEEEESG_sNS9_4plusIvEENS9_8equal_toIvEEsEE10hipError_tPvRmT2_T3_T4_T5_mT6_T7_P12ihipStream_tbENKUlT_T0_E_clISt17integral_constantIbLb0EES11_EEDaSW_SX_EUlSW_E_NS1_11comp_targetILNS1_3genE2ELNS1_11target_archE906ELNS1_3gpuE6ELNS1_3repE0EEENS1_30default_config_static_selectorELNS0_4arch9wavefront6targetE0EEEvT1_.has_recursion, 0
	.set _ZN7rocprim17ROCPRIM_400000_NS6detail17trampoline_kernelINS0_14default_configENS1_27scan_by_key_config_selectorIisEEZZNS1_16scan_by_key_implILNS1_25lookback_scan_determinismE0ELb1ES3_N6thrust23THRUST_200600_302600_NS6detail15normal_iteratorINS9_10device_ptrIiEEEENSB_INSC_IsEEEESG_sNS9_4plusIvEENS9_8equal_toIvEEsEE10hipError_tPvRmT2_T3_T4_T5_mT6_T7_P12ihipStream_tbENKUlT_T0_E_clISt17integral_constantIbLb0EES11_EEDaSW_SX_EUlSW_E_NS1_11comp_targetILNS1_3genE2ELNS1_11target_archE906ELNS1_3gpuE6ELNS1_3repE0EEENS1_30default_config_static_selectorELNS0_4arch9wavefront6targetE0EEEvT1_.has_indirect_call, 0
	.section	.AMDGPU.csdata,"",@progbits
; Kernel info:
; codeLenInByte = 0
; TotalNumSgprs: 0
; NumVgprs: 0
; ScratchSize: 0
; MemoryBound: 0
; FloatMode: 240
; IeeeMode: 1
; LDSByteSize: 0 bytes/workgroup (compile time only)
; SGPRBlocks: 0
; VGPRBlocks: 0
; NumSGPRsForWavesPerEU: 1
; NumVGPRsForWavesPerEU: 1
; NamedBarCnt: 0
; Occupancy: 16
; WaveLimiterHint : 0
; COMPUTE_PGM_RSRC2:SCRATCH_EN: 0
; COMPUTE_PGM_RSRC2:USER_SGPR: 2
; COMPUTE_PGM_RSRC2:TRAP_HANDLER: 0
; COMPUTE_PGM_RSRC2:TGID_X_EN: 1
; COMPUTE_PGM_RSRC2:TGID_Y_EN: 0
; COMPUTE_PGM_RSRC2:TGID_Z_EN: 0
; COMPUTE_PGM_RSRC2:TIDIG_COMP_CNT: 0
	.section	.text._ZN7rocprim17ROCPRIM_400000_NS6detail17trampoline_kernelINS0_14default_configENS1_27scan_by_key_config_selectorIisEEZZNS1_16scan_by_key_implILNS1_25lookback_scan_determinismE0ELb1ES3_N6thrust23THRUST_200600_302600_NS6detail15normal_iteratorINS9_10device_ptrIiEEEENSB_INSC_IsEEEESG_sNS9_4plusIvEENS9_8equal_toIvEEsEE10hipError_tPvRmT2_T3_T4_T5_mT6_T7_P12ihipStream_tbENKUlT_T0_E_clISt17integral_constantIbLb0EES11_EEDaSW_SX_EUlSW_E_NS1_11comp_targetILNS1_3genE10ELNS1_11target_archE1200ELNS1_3gpuE4ELNS1_3repE0EEENS1_30default_config_static_selectorELNS0_4arch9wavefront6targetE0EEEvT1_,"axG",@progbits,_ZN7rocprim17ROCPRIM_400000_NS6detail17trampoline_kernelINS0_14default_configENS1_27scan_by_key_config_selectorIisEEZZNS1_16scan_by_key_implILNS1_25lookback_scan_determinismE0ELb1ES3_N6thrust23THRUST_200600_302600_NS6detail15normal_iteratorINS9_10device_ptrIiEEEENSB_INSC_IsEEEESG_sNS9_4plusIvEENS9_8equal_toIvEEsEE10hipError_tPvRmT2_T3_T4_T5_mT6_T7_P12ihipStream_tbENKUlT_T0_E_clISt17integral_constantIbLb0EES11_EEDaSW_SX_EUlSW_E_NS1_11comp_targetILNS1_3genE10ELNS1_11target_archE1200ELNS1_3gpuE4ELNS1_3repE0EEENS1_30default_config_static_selectorELNS0_4arch9wavefront6targetE0EEEvT1_,comdat
	.protected	_ZN7rocprim17ROCPRIM_400000_NS6detail17trampoline_kernelINS0_14default_configENS1_27scan_by_key_config_selectorIisEEZZNS1_16scan_by_key_implILNS1_25lookback_scan_determinismE0ELb1ES3_N6thrust23THRUST_200600_302600_NS6detail15normal_iteratorINS9_10device_ptrIiEEEENSB_INSC_IsEEEESG_sNS9_4plusIvEENS9_8equal_toIvEEsEE10hipError_tPvRmT2_T3_T4_T5_mT6_T7_P12ihipStream_tbENKUlT_T0_E_clISt17integral_constantIbLb0EES11_EEDaSW_SX_EUlSW_E_NS1_11comp_targetILNS1_3genE10ELNS1_11target_archE1200ELNS1_3gpuE4ELNS1_3repE0EEENS1_30default_config_static_selectorELNS0_4arch9wavefront6targetE0EEEvT1_ ; -- Begin function _ZN7rocprim17ROCPRIM_400000_NS6detail17trampoline_kernelINS0_14default_configENS1_27scan_by_key_config_selectorIisEEZZNS1_16scan_by_key_implILNS1_25lookback_scan_determinismE0ELb1ES3_N6thrust23THRUST_200600_302600_NS6detail15normal_iteratorINS9_10device_ptrIiEEEENSB_INSC_IsEEEESG_sNS9_4plusIvEENS9_8equal_toIvEEsEE10hipError_tPvRmT2_T3_T4_T5_mT6_T7_P12ihipStream_tbENKUlT_T0_E_clISt17integral_constantIbLb0EES11_EEDaSW_SX_EUlSW_E_NS1_11comp_targetILNS1_3genE10ELNS1_11target_archE1200ELNS1_3gpuE4ELNS1_3repE0EEENS1_30default_config_static_selectorELNS0_4arch9wavefront6targetE0EEEvT1_
	.globl	_ZN7rocprim17ROCPRIM_400000_NS6detail17trampoline_kernelINS0_14default_configENS1_27scan_by_key_config_selectorIisEEZZNS1_16scan_by_key_implILNS1_25lookback_scan_determinismE0ELb1ES3_N6thrust23THRUST_200600_302600_NS6detail15normal_iteratorINS9_10device_ptrIiEEEENSB_INSC_IsEEEESG_sNS9_4plusIvEENS9_8equal_toIvEEsEE10hipError_tPvRmT2_T3_T4_T5_mT6_T7_P12ihipStream_tbENKUlT_T0_E_clISt17integral_constantIbLb0EES11_EEDaSW_SX_EUlSW_E_NS1_11comp_targetILNS1_3genE10ELNS1_11target_archE1200ELNS1_3gpuE4ELNS1_3repE0EEENS1_30default_config_static_selectorELNS0_4arch9wavefront6targetE0EEEvT1_
	.p2align	8
	.type	_ZN7rocprim17ROCPRIM_400000_NS6detail17trampoline_kernelINS0_14default_configENS1_27scan_by_key_config_selectorIisEEZZNS1_16scan_by_key_implILNS1_25lookback_scan_determinismE0ELb1ES3_N6thrust23THRUST_200600_302600_NS6detail15normal_iteratorINS9_10device_ptrIiEEEENSB_INSC_IsEEEESG_sNS9_4plusIvEENS9_8equal_toIvEEsEE10hipError_tPvRmT2_T3_T4_T5_mT6_T7_P12ihipStream_tbENKUlT_T0_E_clISt17integral_constantIbLb0EES11_EEDaSW_SX_EUlSW_E_NS1_11comp_targetILNS1_3genE10ELNS1_11target_archE1200ELNS1_3gpuE4ELNS1_3repE0EEENS1_30default_config_static_selectorELNS0_4arch9wavefront6targetE0EEEvT1_,@function
_ZN7rocprim17ROCPRIM_400000_NS6detail17trampoline_kernelINS0_14default_configENS1_27scan_by_key_config_selectorIisEEZZNS1_16scan_by_key_implILNS1_25lookback_scan_determinismE0ELb1ES3_N6thrust23THRUST_200600_302600_NS6detail15normal_iteratorINS9_10device_ptrIiEEEENSB_INSC_IsEEEESG_sNS9_4plusIvEENS9_8equal_toIvEEsEE10hipError_tPvRmT2_T3_T4_T5_mT6_T7_P12ihipStream_tbENKUlT_T0_E_clISt17integral_constantIbLb0EES11_EEDaSW_SX_EUlSW_E_NS1_11comp_targetILNS1_3genE10ELNS1_11target_archE1200ELNS1_3gpuE4ELNS1_3repE0EEENS1_30default_config_static_selectorELNS0_4arch9wavefront6targetE0EEEvT1_: ; @_ZN7rocprim17ROCPRIM_400000_NS6detail17trampoline_kernelINS0_14default_configENS1_27scan_by_key_config_selectorIisEEZZNS1_16scan_by_key_implILNS1_25lookback_scan_determinismE0ELb1ES3_N6thrust23THRUST_200600_302600_NS6detail15normal_iteratorINS9_10device_ptrIiEEEENSB_INSC_IsEEEESG_sNS9_4plusIvEENS9_8equal_toIvEEsEE10hipError_tPvRmT2_T3_T4_T5_mT6_T7_P12ihipStream_tbENKUlT_T0_E_clISt17integral_constantIbLb0EES11_EEDaSW_SX_EUlSW_E_NS1_11comp_targetILNS1_3genE10ELNS1_11target_archE1200ELNS1_3gpuE4ELNS1_3repE0EEENS1_30default_config_static_selectorELNS0_4arch9wavefront6targetE0EEEvT1_
; %bb.0:
	.section	.rodata,"a",@progbits
	.p2align	6, 0x0
	.amdhsa_kernel _ZN7rocprim17ROCPRIM_400000_NS6detail17trampoline_kernelINS0_14default_configENS1_27scan_by_key_config_selectorIisEEZZNS1_16scan_by_key_implILNS1_25lookback_scan_determinismE0ELb1ES3_N6thrust23THRUST_200600_302600_NS6detail15normal_iteratorINS9_10device_ptrIiEEEENSB_INSC_IsEEEESG_sNS9_4plusIvEENS9_8equal_toIvEEsEE10hipError_tPvRmT2_T3_T4_T5_mT6_T7_P12ihipStream_tbENKUlT_T0_E_clISt17integral_constantIbLb0EES11_EEDaSW_SX_EUlSW_E_NS1_11comp_targetILNS1_3genE10ELNS1_11target_archE1200ELNS1_3gpuE4ELNS1_3repE0EEENS1_30default_config_static_selectorELNS0_4arch9wavefront6targetE0EEEvT1_
		.amdhsa_group_segment_fixed_size 0
		.amdhsa_private_segment_fixed_size 0
		.amdhsa_kernarg_size 112
		.amdhsa_user_sgpr_count 2
		.amdhsa_user_sgpr_dispatch_ptr 0
		.amdhsa_user_sgpr_queue_ptr 0
		.amdhsa_user_sgpr_kernarg_segment_ptr 1
		.amdhsa_user_sgpr_dispatch_id 0
		.amdhsa_user_sgpr_kernarg_preload_length 0
		.amdhsa_user_sgpr_kernarg_preload_offset 0
		.amdhsa_user_sgpr_private_segment_size 0
		.amdhsa_wavefront_size32 1
		.amdhsa_uses_dynamic_stack 0
		.amdhsa_enable_private_segment 0
		.amdhsa_system_sgpr_workgroup_id_x 1
		.amdhsa_system_sgpr_workgroup_id_y 0
		.amdhsa_system_sgpr_workgroup_id_z 0
		.amdhsa_system_sgpr_workgroup_info 0
		.amdhsa_system_vgpr_workitem_id 0
		.amdhsa_next_free_vgpr 1
		.amdhsa_next_free_sgpr 1
		.amdhsa_named_barrier_count 0
		.amdhsa_reserve_vcc 0
		.amdhsa_float_round_mode_32 0
		.amdhsa_float_round_mode_16_64 0
		.amdhsa_float_denorm_mode_32 3
		.amdhsa_float_denorm_mode_16_64 3
		.amdhsa_fp16_overflow 0
		.amdhsa_memory_ordered 1
		.amdhsa_forward_progress 1
		.amdhsa_inst_pref_size 0
		.amdhsa_round_robin_scheduling 0
		.amdhsa_exception_fp_ieee_invalid_op 0
		.amdhsa_exception_fp_denorm_src 0
		.amdhsa_exception_fp_ieee_div_zero 0
		.amdhsa_exception_fp_ieee_overflow 0
		.amdhsa_exception_fp_ieee_underflow 0
		.amdhsa_exception_fp_ieee_inexact 0
		.amdhsa_exception_int_div_zero 0
	.end_amdhsa_kernel
	.section	.text._ZN7rocprim17ROCPRIM_400000_NS6detail17trampoline_kernelINS0_14default_configENS1_27scan_by_key_config_selectorIisEEZZNS1_16scan_by_key_implILNS1_25lookback_scan_determinismE0ELb1ES3_N6thrust23THRUST_200600_302600_NS6detail15normal_iteratorINS9_10device_ptrIiEEEENSB_INSC_IsEEEESG_sNS9_4plusIvEENS9_8equal_toIvEEsEE10hipError_tPvRmT2_T3_T4_T5_mT6_T7_P12ihipStream_tbENKUlT_T0_E_clISt17integral_constantIbLb0EES11_EEDaSW_SX_EUlSW_E_NS1_11comp_targetILNS1_3genE10ELNS1_11target_archE1200ELNS1_3gpuE4ELNS1_3repE0EEENS1_30default_config_static_selectorELNS0_4arch9wavefront6targetE0EEEvT1_,"axG",@progbits,_ZN7rocprim17ROCPRIM_400000_NS6detail17trampoline_kernelINS0_14default_configENS1_27scan_by_key_config_selectorIisEEZZNS1_16scan_by_key_implILNS1_25lookback_scan_determinismE0ELb1ES3_N6thrust23THRUST_200600_302600_NS6detail15normal_iteratorINS9_10device_ptrIiEEEENSB_INSC_IsEEEESG_sNS9_4plusIvEENS9_8equal_toIvEEsEE10hipError_tPvRmT2_T3_T4_T5_mT6_T7_P12ihipStream_tbENKUlT_T0_E_clISt17integral_constantIbLb0EES11_EEDaSW_SX_EUlSW_E_NS1_11comp_targetILNS1_3genE10ELNS1_11target_archE1200ELNS1_3gpuE4ELNS1_3repE0EEENS1_30default_config_static_selectorELNS0_4arch9wavefront6targetE0EEEvT1_,comdat
.Lfunc_end1613:
	.size	_ZN7rocprim17ROCPRIM_400000_NS6detail17trampoline_kernelINS0_14default_configENS1_27scan_by_key_config_selectorIisEEZZNS1_16scan_by_key_implILNS1_25lookback_scan_determinismE0ELb1ES3_N6thrust23THRUST_200600_302600_NS6detail15normal_iteratorINS9_10device_ptrIiEEEENSB_INSC_IsEEEESG_sNS9_4plusIvEENS9_8equal_toIvEEsEE10hipError_tPvRmT2_T3_T4_T5_mT6_T7_P12ihipStream_tbENKUlT_T0_E_clISt17integral_constantIbLb0EES11_EEDaSW_SX_EUlSW_E_NS1_11comp_targetILNS1_3genE10ELNS1_11target_archE1200ELNS1_3gpuE4ELNS1_3repE0EEENS1_30default_config_static_selectorELNS0_4arch9wavefront6targetE0EEEvT1_, .Lfunc_end1613-_ZN7rocprim17ROCPRIM_400000_NS6detail17trampoline_kernelINS0_14default_configENS1_27scan_by_key_config_selectorIisEEZZNS1_16scan_by_key_implILNS1_25lookback_scan_determinismE0ELb1ES3_N6thrust23THRUST_200600_302600_NS6detail15normal_iteratorINS9_10device_ptrIiEEEENSB_INSC_IsEEEESG_sNS9_4plusIvEENS9_8equal_toIvEEsEE10hipError_tPvRmT2_T3_T4_T5_mT6_T7_P12ihipStream_tbENKUlT_T0_E_clISt17integral_constantIbLb0EES11_EEDaSW_SX_EUlSW_E_NS1_11comp_targetILNS1_3genE10ELNS1_11target_archE1200ELNS1_3gpuE4ELNS1_3repE0EEENS1_30default_config_static_selectorELNS0_4arch9wavefront6targetE0EEEvT1_
                                        ; -- End function
	.set _ZN7rocprim17ROCPRIM_400000_NS6detail17trampoline_kernelINS0_14default_configENS1_27scan_by_key_config_selectorIisEEZZNS1_16scan_by_key_implILNS1_25lookback_scan_determinismE0ELb1ES3_N6thrust23THRUST_200600_302600_NS6detail15normal_iteratorINS9_10device_ptrIiEEEENSB_INSC_IsEEEESG_sNS9_4plusIvEENS9_8equal_toIvEEsEE10hipError_tPvRmT2_T3_T4_T5_mT6_T7_P12ihipStream_tbENKUlT_T0_E_clISt17integral_constantIbLb0EES11_EEDaSW_SX_EUlSW_E_NS1_11comp_targetILNS1_3genE10ELNS1_11target_archE1200ELNS1_3gpuE4ELNS1_3repE0EEENS1_30default_config_static_selectorELNS0_4arch9wavefront6targetE0EEEvT1_.num_vgpr, 0
	.set _ZN7rocprim17ROCPRIM_400000_NS6detail17trampoline_kernelINS0_14default_configENS1_27scan_by_key_config_selectorIisEEZZNS1_16scan_by_key_implILNS1_25lookback_scan_determinismE0ELb1ES3_N6thrust23THRUST_200600_302600_NS6detail15normal_iteratorINS9_10device_ptrIiEEEENSB_INSC_IsEEEESG_sNS9_4plusIvEENS9_8equal_toIvEEsEE10hipError_tPvRmT2_T3_T4_T5_mT6_T7_P12ihipStream_tbENKUlT_T0_E_clISt17integral_constantIbLb0EES11_EEDaSW_SX_EUlSW_E_NS1_11comp_targetILNS1_3genE10ELNS1_11target_archE1200ELNS1_3gpuE4ELNS1_3repE0EEENS1_30default_config_static_selectorELNS0_4arch9wavefront6targetE0EEEvT1_.num_agpr, 0
	.set _ZN7rocprim17ROCPRIM_400000_NS6detail17trampoline_kernelINS0_14default_configENS1_27scan_by_key_config_selectorIisEEZZNS1_16scan_by_key_implILNS1_25lookback_scan_determinismE0ELb1ES3_N6thrust23THRUST_200600_302600_NS6detail15normal_iteratorINS9_10device_ptrIiEEEENSB_INSC_IsEEEESG_sNS9_4plusIvEENS9_8equal_toIvEEsEE10hipError_tPvRmT2_T3_T4_T5_mT6_T7_P12ihipStream_tbENKUlT_T0_E_clISt17integral_constantIbLb0EES11_EEDaSW_SX_EUlSW_E_NS1_11comp_targetILNS1_3genE10ELNS1_11target_archE1200ELNS1_3gpuE4ELNS1_3repE0EEENS1_30default_config_static_selectorELNS0_4arch9wavefront6targetE0EEEvT1_.numbered_sgpr, 0
	.set _ZN7rocprim17ROCPRIM_400000_NS6detail17trampoline_kernelINS0_14default_configENS1_27scan_by_key_config_selectorIisEEZZNS1_16scan_by_key_implILNS1_25lookback_scan_determinismE0ELb1ES3_N6thrust23THRUST_200600_302600_NS6detail15normal_iteratorINS9_10device_ptrIiEEEENSB_INSC_IsEEEESG_sNS9_4plusIvEENS9_8equal_toIvEEsEE10hipError_tPvRmT2_T3_T4_T5_mT6_T7_P12ihipStream_tbENKUlT_T0_E_clISt17integral_constantIbLb0EES11_EEDaSW_SX_EUlSW_E_NS1_11comp_targetILNS1_3genE10ELNS1_11target_archE1200ELNS1_3gpuE4ELNS1_3repE0EEENS1_30default_config_static_selectorELNS0_4arch9wavefront6targetE0EEEvT1_.num_named_barrier, 0
	.set _ZN7rocprim17ROCPRIM_400000_NS6detail17trampoline_kernelINS0_14default_configENS1_27scan_by_key_config_selectorIisEEZZNS1_16scan_by_key_implILNS1_25lookback_scan_determinismE0ELb1ES3_N6thrust23THRUST_200600_302600_NS6detail15normal_iteratorINS9_10device_ptrIiEEEENSB_INSC_IsEEEESG_sNS9_4plusIvEENS9_8equal_toIvEEsEE10hipError_tPvRmT2_T3_T4_T5_mT6_T7_P12ihipStream_tbENKUlT_T0_E_clISt17integral_constantIbLb0EES11_EEDaSW_SX_EUlSW_E_NS1_11comp_targetILNS1_3genE10ELNS1_11target_archE1200ELNS1_3gpuE4ELNS1_3repE0EEENS1_30default_config_static_selectorELNS0_4arch9wavefront6targetE0EEEvT1_.private_seg_size, 0
	.set _ZN7rocprim17ROCPRIM_400000_NS6detail17trampoline_kernelINS0_14default_configENS1_27scan_by_key_config_selectorIisEEZZNS1_16scan_by_key_implILNS1_25lookback_scan_determinismE0ELb1ES3_N6thrust23THRUST_200600_302600_NS6detail15normal_iteratorINS9_10device_ptrIiEEEENSB_INSC_IsEEEESG_sNS9_4plusIvEENS9_8equal_toIvEEsEE10hipError_tPvRmT2_T3_T4_T5_mT6_T7_P12ihipStream_tbENKUlT_T0_E_clISt17integral_constantIbLb0EES11_EEDaSW_SX_EUlSW_E_NS1_11comp_targetILNS1_3genE10ELNS1_11target_archE1200ELNS1_3gpuE4ELNS1_3repE0EEENS1_30default_config_static_selectorELNS0_4arch9wavefront6targetE0EEEvT1_.uses_vcc, 0
	.set _ZN7rocprim17ROCPRIM_400000_NS6detail17trampoline_kernelINS0_14default_configENS1_27scan_by_key_config_selectorIisEEZZNS1_16scan_by_key_implILNS1_25lookback_scan_determinismE0ELb1ES3_N6thrust23THRUST_200600_302600_NS6detail15normal_iteratorINS9_10device_ptrIiEEEENSB_INSC_IsEEEESG_sNS9_4plusIvEENS9_8equal_toIvEEsEE10hipError_tPvRmT2_T3_T4_T5_mT6_T7_P12ihipStream_tbENKUlT_T0_E_clISt17integral_constantIbLb0EES11_EEDaSW_SX_EUlSW_E_NS1_11comp_targetILNS1_3genE10ELNS1_11target_archE1200ELNS1_3gpuE4ELNS1_3repE0EEENS1_30default_config_static_selectorELNS0_4arch9wavefront6targetE0EEEvT1_.uses_flat_scratch, 0
	.set _ZN7rocprim17ROCPRIM_400000_NS6detail17trampoline_kernelINS0_14default_configENS1_27scan_by_key_config_selectorIisEEZZNS1_16scan_by_key_implILNS1_25lookback_scan_determinismE0ELb1ES3_N6thrust23THRUST_200600_302600_NS6detail15normal_iteratorINS9_10device_ptrIiEEEENSB_INSC_IsEEEESG_sNS9_4plusIvEENS9_8equal_toIvEEsEE10hipError_tPvRmT2_T3_T4_T5_mT6_T7_P12ihipStream_tbENKUlT_T0_E_clISt17integral_constantIbLb0EES11_EEDaSW_SX_EUlSW_E_NS1_11comp_targetILNS1_3genE10ELNS1_11target_archE1200ELNS1_3gpuE4ELNS1_3repE0EEENS1_30default_config_static_selectorELNS0_4arch9wavefront6targetE0EEEvT1_.has_dyn_sized_stack, 0
	.set _ZN7rocprim17ROCPRIM_400000_NS6detail17trampoline_kernelINS0_14default_configENS1_27scan_by_key_config_selectorIisEEZZNS1_16scan_by_key_implILNS1_25lookback_scan_determinismE0ELb1ES3_N6thrust23THRUST_200600_302600_NS6detail15normal_iteratorINS9_10device_ptrIiEEEENSB_INSC_IsEEEESG_sNS9_4plusIvEENS9_8equal_toIvEEsEE10hipError_tPvRmT2_T3_T4_T5_mT6_T7_P12ihipStream_tbENKUlT_T0_E_clISt17integral_constantIbLb0EES11_EEDaSW_SX_EUlSW_E_NS1_11comp_targetILNS1_3genE10ELNS1_11target_archE1200ELNS1_3gpuE4ELNS1_3repE0EEENS1_30default_config_static_selectorELNS0_4arch9wavefront6targetE0EEEvT1_.has_recursion, 0
	.set _ZN7rocprim17ROCPRIM_400000_NS6detail17trampoline_kernelINS0_14default_configENS1_27scan_by_key_config_selectorIisEEZZNS1_16scan_by_key_implILNS1_25lookback_scan_determinismE0ELb1ES3_N6thrust23THRUST_200600_302600_NS6detail15normal_iteratorINS9_10device_ptrIiEEEENSB_INSC_IsEEEESG_sNS9_4plusIvEENS9_8equal_toIvEEsEE10hipError_tPvRmT2_T3_T4_T5_mT6_T7_P12ihipStream_tbENKUlT_T0_E_clISt17integral_constantIbLb0EES11_EEDaSW_SX_EUlSW_E_NS1_11comp_targetILNS1_3genE10ELNS1_11target_archE1200ELNS1_3gpuE4ELNS1_3repE0EEENS1_30default_config_static_selectorELNS0_4arch9wavefront6targetE0EEEvT1_.has_indirect_call, 0
	.section	.AMDGPU.csdata,"",@progbits
; Kernel info:
; codeLenInByte = 0
; TotalNumSgprs: 0
; NumVgprs: 0
; ScratchSize: 0
; MemoryBound: 0
; FloatMode: 240
; IeeeMode: 1
; LDSByteSize: 0 bytes/workgroup (compile time only)
; SGPRBlocks: 0
; VGPRBlocks: 0
; NumSGPRsForWavesPerEU: 1
; NumVGPRsForWavesPerEU: 1
; NamedBarCnt: 0
; Occupancy: 16
; WaveLimiterHint : 0
; COMPUTE_PGM_RSRC2:SCRATCH_EN: 0
; COMPUTE_PGM_RSRC2:USER_SGPR: 2
; COMPUTE_PGM_RSRC2:TRAP_HANDLER: 0
; COMPUTE_PGM_RSRC2:TGID_X_EN: 1
; COMPUTE_PGM_RSRC2:TGID_Y_EN: 0
; COMPUTE_PGM_RSRC2:TGID_Z_EN: 0
; COMPUTE_PGM_RSRC2:TIDIG_COMP_CNT: 0
	.section	.text._ZN7rocprim17ROCPRIM_400000_NS6detail17trampoline_kernelINS0_14default_configENS1_27scan_by_key_config_selectorIisEEZZNS1_16scan_by_key_implILNS1_25lookback_scan_determinismE0ELb1ES3_N6thrust23THRUST_200600_302600_NS6detail15normal_iteratorINS9_10device_ptrIiEEEENSB_INSC_IsEEEESG_sNS9_4plusIvEENS9_8equal_toIvEEsEE10hipError_tPvRmT2_T3_T4_T5_mT6_T7_P12ihipStream_tbENKUlT_T0_E_clISt17integral_constantIbLb0EES11_EEDaSW_SX_EUlSW_E_NS1_11comp_targetILNS1_3genE9ELNS1_11target_archE1100ELNS1_3gpuE3ELNS1_3repE0EEENS1_30default_config_static_selectorELNS0_4arch9wavefront6targetE0EEEvT1_,"axG",@progbits,_ZN7rocprim17ROCPRIM_400000_NS6detail17trampoline_kernelINS0_14default_configENS1_27scan_by_key_config_selectorIisEEZZNS1_16scan_by_key_implILNS1_25lookback_scan_determinismE0ELb1ES3_N6thrust23THRUST_200600_302600_NS6detail15normal_iteratorINS9_10device_ptrIiEEEENSB_INSC_IsEEEESG_sNS9_4plusIvEENS9_8equal_toIvEEsEE10hipError_tPvRmT2_T3_T4_T5_mT6_T7_P12ihipStream_tbENKUlT_T0_E_clISt17integral_constantIbLb0EES11_EEDaSW_SX_EUlSW_E_NS1_11comp_targetILNS1_3genE9ELNS1_11target_archE1100ELNS1_3gpuE3ELNS1_3repE0EEENS1_30default_config_static_selectorELNS0_4arch9wavefront6targetE0EEEvT1_,comdat
	.protected	_ZN7rocprim17ROCPRIM_400000_NS6detail17trampoline_kernelINS0_14default_configENS1_27scan_by_key_config_selectorIisEEZZNS1_16scan_by_key_implILNS1_25lookback_scan_determinismE0ELb1ES3_N6thrust23THRUST_200600_302600_NS6detail15normal_iteratorINS9_10device_ptrIiEEEENSB_INSC_IsEEEESG_sNS9_4plusIvEENS9_8equal_toIvEEsEE10hipError_tPvRmT2_T3_T4_T5_mT6_T7_P12ihipStream_tbENKUlT_T0_E_clISt17integral_constantIbLb0EES11_EEDaSW_SX_EUlSW_E_NS1_11comp_targetILNS1_3genE9ELNS1_11target_archE1100ELNS1_3gpuE3ELNS1_3repE0EEENS1_30default_config_static_selectorELNS0_4arch9wavefront6targetE0EEEvT1_ ; -- Begin function _ZN7rocprim17ROCPRIM_400000_NS6detail17trampoline_kernelINS0_14default_configENS1_27scan_by_key_config_selectorIisEEZZNS1_16scan_by_key_implILNS1_25lookback_scan_determinismE0ELb1ES3_N6thrust23THRUST_200600_302600_NS6detail15normal_iteratorINS9_10device_ptrIiEEEENSB_INSC_IsEEEESG_sNS9_4plusIvEENS9_8equal_toIvEEsEE10hipError_tPvRmT2_T3_T4_T5_mT6_T7_P12ihipStream_tbENKUlT_T0_E_clISt17integral_constantIbLb0EES11_EEDaSW_SX_EUlSW_E_NS1_11comp_targetILNS1_3genE9ELNS1_11target_archE1100ELNS1_3gpuE3ELNS1_3repE0EEENS1_30default_config_static_selectorELNS0_4arch9wavefront6targetE0EEEvT1_
	.globl	_ZN7rocprim17ROCPRIM_400000_NS6detail17trampoline_kernelINS0_14default_configENS1_27scan_by_key_config_selectorIisEEZZNS1_16scan_by_key_implILNS1_25lookback_scan_determinismE0ELb1ES3_N6thrust23THRUST_200600_302600_NS6detail15normal_iteratorINS9_10device_ptrIiEEEENSB_INSC_IsEEEESG_sNS9_4plusIvEENS9_8equal_toIvEEsEE10hipError_tPvRmT2_T3_T4_T5_mT6_T7_P12ihipStream_tbENKUlT_T0_E_clISt17integral_constantIbLb0EES11_EEDaSW_SX_EUlSW_E_NS1_11comp_targetILNS1_3genE9ELNS1_11target_archE1100ELNS1_3gpuE3ELNS1_3repE0EEENS1_30default_config_static_selectorELNS0_4arch9wavefront6targetE0EEEvT1_
	.p2align	8
	.type	_ZN7rocprim17ROCPRIM_400000_NS6detail17trampoline_kernelINS0_14default_configENS1_27scan_by_key_config_selectorIisEEZZNS1_16scan_by_key_implILNS1_25lookback_scan_determinismE0ELb1ES3_N6thrust23THRUST_200600_302600_NS6detail15normal_iteratorINS9_10device_ptrIiEEEENSB_INSC_IsEEEESG_sNS9_4plusIvEENS9_8equal_toIvEEsEE10hipError_tPvRmT2_T3_T4_T5_mT6_T7_P12ihipStream_tbENKUlT_T0_E_clISt17integral_constantIbLb0EES11_EEDaSW_SX_EUlSW_E_NS1_11comp_targetILNS1_3genE9ELNS1_11target_archE1100ELNS1_3gpuE3ELNS1_3repE0EEENS1_30default_config_static_selectorELNS0_4arch9wavefront6targetE0EEEvT1_,@function
_ZN7rocprim17ROCPRIM_400000_NS6detail17trampoline_kernelINS0_14default_configENS1_27scan_by_key_config_selectorIisEEZZNS1_16scan_by_key_implILNS1_25lookback_scan_determinismE0ELb1ES3_N6thrust23THRUST_200600_302600_NS6detail15normal_iteratorINS9_10device_ptrIiEEEENSB_INSC_IsEEEESG_sNS9_4plusIvEENS9_8equal_toIvEEsEE10hipError_tPvRmT2_T3_T4_T5_mT6_T7_P12ihipStream_tbENKUlT_T0_E_clISt17integral_constantIbLb0EES11_EEDaSW_SX_EUlSW_E_NS1_11comp_targetILNS1_3genE9ELNS1_11target_archE1100ELNS1_3gpuE3ELNS1_3repE0EEENS1_30default_config_static_selectorELNS0_4arch9wavefront6targetE0EEEvT1_: ; @_ZN7rocprim17ROCPRIM_400000_NS6detail17trampoline_kernelINS0_14default_configENS1_27scan_by_key_config_selectorIisEEZZNS1_16scan_by_key_implILNS1_25lookback_scan_determinismE0ELb1ES3_N6thrust23THRUST_200600_302600_NS6detail15normal_iteratorINS9_10device_ptrIiEEEENSB_INSC_IsEEEESG_sNS9_4plusIvEENS9_8equal_toIvEEsEE10hipError_tPvRmT2_T3_T4_T5_mT6_T7_P12ihipStream_tbENKUlT_T0_E_clISt17integral_constantIbLb0EES11_EEDaSW_SX_EUlSW_E_NS1_11comp_targetILNS1_3genE9ELNS1_11target_archE1100ELNS1_3gpuE3ELNS1_3repE0EEENS1_30default_config_static_selectorELNS0_4arch9wavefront6targetE0EEEvT1_
; %bb.0:
	.section	.rodata,"a",@progbits
	.p2align	6, 0x0
	.amdhsa_kernel _ZN7rocprim17ROCPRIM_400000_NS6detail17trampoline_kernelINS0_14default_configENS1_27scan_by_key_config_selectorIisEEZZNS1_16scan_by_key_implILNS1_25lookback_scan_determinismE0ELb1ES3_N6thrust23THRUST_200600_302600_NS6detail15normal_iteratorINS9_10device_ptrIiEEEENSB_INSC_IsEEEESG_sNS9_4plusIvEENS9_8equal_toIvEEsEE10hipError_tPvRmT2_T3_T4_T5_mT6_T7_P12ihipStream_tbENKUlT_T0_E_clISt17integral_constantIbLb0EES11_EEDaSW_SX_EUlSW_E_NS1_11comp_targetILNS1_3genE9ELNS1_11target_archE1100ELNS1_3gpuE3ELNS1_3repE0EEENS1_30default_config_static_selectorELNS0_4arch9wavefront6targetE0EEEvT1_
		.amdhsa_group_segment_fixed_size 0
		.amdhsa_private_segment_fixed_size 0
		.amdhsa_kernarg_size 112
		.amdhsa_user_sgpr_count 2
		.amdhsa_user_sgpr_dispatch_ptr 0
		.amdhsa_user_sgpr_queue_ptr 0
		.amdhsa_user_sgpr_kernarg_segment_ptr 1
		.amdhsa_user_sgpr_dispatch_id 0
		.amdhsa_user_sgpr_kernarg_preload_length 0
		.amdhsa_user_sgpr_kernarg_preload_offset 0
		.amdhsa_user_sgpr_private_segment_size 0
		.amdhsa_wavefront_size32 1
		.amdhsa_uses_dynamic_stack 0
		.amdhsa_enable_private_segment 0
		.amdhsa_system_sgpr_workgroup_id_x 1
		.amdhsa_system_sgpr_workgroup_id_y 0
		.amdhsa_system_sgpr_workgroup_id_z 0
		.amdhsa_system_sgpr_workgroup_info 0
		.amdhsa_system_vgpr_workitem_id 0
		.amdhsa_next_free_vgpr 1
		.amdhsa_next_free_sgpr 1
		.amdhsa_named_barrier_count 0
		.amdhsa_reserve_vcc 0
		.amdhsa_float_round_mode_32 0
		.amdhsa_float_round_mode_16_64 0
		.amdhsa_float_denorm_mode_32 3
		.amdhsa_float_denorm_mode_16_64 3
		.amdhsa_fp16_overflow 0
		.amdhsa_memory_ordered 1
		.amdhsa_forward_progress 1
		.amdhsa_inst_pref_size 0
		.amdhsa_round_robin_scheduling 0
		.amdhsa_exception_fp_ieee_invalid_op 0
		.amdhsa_exception_fp_denorm_src 0
		.amdhsa_exception_fp_ieee_div_zero 0
		.amdhsa_exception_fp_ieee_overflow 0
		.amdhsa_exception_fp_ieee_underflow 0
		.amdhsa_exception_fp_ieee_inexact 0
		.amdhsa_exception_int_div_zero 0
	.end_amdhsa_kernel
	.section	.text._ZN7rocprim17ROCPRIM_400000_NS6detail17trampoline_kernelINS0_14default_configENS1_27scan_by_key_config_selectorIisEEZZNS1_16scan_by_key_implILNS1_25lookback_scan_determinismE0ELb1ES3_N6thrust23THRUST_200600_302600_NS6detail15normal_iteratorINS9_10device_ptrIiEEEENSB_INSC_IsEEEESG_sNS9_4plusIvEENS9_8equal_toIvEEsEE10hipError_tPvRmT2_T3_T4_T5_mT6_T7_P12ihipStream_tbENKUlT_T0_E_clISt17integral_constantIbLb0EES11_EEDaSW_SX_EUlSW_E_NS1_11comp_targetILNS1_3genE9ELNS1_11target_archE1100ELNS1_3gpuE3ELNS1_3repE0EEENS1_30default_config_static_selectorELNS0_4arch9wavefront6targetE0EEEvT1_,"axG",@progbits,_ZN7rocprim17ROCPRIM_400000_NS6detail17trampoline_kernelINS0_14default_configENS1_27scan_by_key_config_selectorIisEEZZNS1_16scan_by_key_implILNS1_25lookback_scan_determinismE0ELb1ES3_N6thrust23THRUST_200600_302600_NS6detail15normal_iteratorINS9_10device_ptrIiEEEENSB_INSC_IsEEEESG_sNS9_4plusIvEENS9_8equal_toIvEEsEE10hipError_tPvRmT2_T3_T4_T5_mT6_T7_P12ihipStream_tbENKUlT_T0_E_clISt17integral_constantIbLb0EES11_EEDaSW_SX_EUlSW_E_NS1_11comp_targetILNS1_3genE9ELNS1_11target_archE1100ELNS1_3gpuE3ELNS1_3repE0EEENS1_30default_config_static_selectorELNS0_4arch9wavefront6targetE0EEEvT1_,comdat
.Lfunc_end1614:
	.size	_ZN7rocprim17ROCPRIM_400000_NS6detail17trampoline_kernelINS0_14default_configENS1_27scan_by_key_config_selectorIisEEZZNS1_16scan_by_key_implILNS1_25lookback_scan_determinismE0ELb1ES3_N6thrust23THRUST_200600_302600_NS6detail15normal_iteratorINS9_10device_ptrIiEEEENSB_INSC_IsEEEESG_sNS9_4plusIvEENS9_8equal_toIvEEsEE10hipError_tPvRmT2_T3_T4_T5_mT6_T7_P12ihipStream_tbENKUlT_T0_E_clISt17integral_constantIbLb0EES11_EEDaSW_SX_EUlSW_E_NS1_11comp_targetILNS1_3genE9ELNS1_11target_archE1100ELNS1_3gpuE3ELNS1_3repE0EEENS1_30default_config_static_selectorELNS0_4arch9wavefront6targetE0EEEvT1_, .Lfunc_end1614-_ZN7rocprim17ROCPRIM_400000_NS6detail17trampoline_kernelINS0_14default_configENS1_27scan_by_key_config_selectorIisEEZZNS1_16scan_by_key_implILNS1_25lookback_scan_determinismE0ELb1ES3_N6thrust23THRUST_200600_302600_NS6detail15normal_iteratorINS9_10device_ptrIiEEEENSB_INSC_IsEEEESG_sNS9_4plusIvEENS9_8equal_toIvEEsEE10hipError_tPvRmT2_T3_T4_T5_mT6_T7_P12ihipStream_tbENKUlT_T0_E_clISt17integral_constantIbLb0EES11_EEDaSW_SX_EUlSW_E_NS1_11comp_targetILNS1_3genE9ELNS1_11target_archE1100ELNS1_3gpuE3ELNS1_3repE0EEENS1_30default_config_static_selectorELNS0_4arch9wavefront6targetE0EEEvT1_
                                        ; -- End function
	.set _ZN7rocprim17ROCPRIM_400000_NS6detail17trampoline_kernelINS0_14default_configENS1_27scan_by_key_config_selectorIisEEZZNS1_16scan_by_key_implILNS1_25lookback_scan_determinismE0ELb1ES3_N6thrust23THRUST_200600_302600_NS6detail15normal_iteratorINS9_10device_ptrIiEEEENSB_INSC_IsEEEESG_sNS9_4plusIvEENS9_8equal_toIvEEsEE10hipError_tPvRmT2_T3_T4_T5_mT6_T7_P12ihipStream_tbENKUlT_T0_E_clISt17integral_constantIbLb0EES11_EEDaSW_SX_EUlSW_E_NS1_11comp_targetILNS1_3genE9ELNS1_11target_archE1100ELNS1_3gpuE3ELNS1_3repE0EEENS1_30default_config_static_selectorELNS0_4arch9wavefront6targetE0EEEvT1_.num_vgpr, 0
	.set _ZN7rocprim17ROCPRIM_400000_NS6detail17trampoline_kernelINS0_14default_configENS1_27scan_by_key_config_selectorIisEEZZNS1_16scan_by_key_implILNS1_25lookback_scan_determinismE0ELb1ES3_N6thrust23THRUST_200600_302600_NS6detail15normal_iteratorINS9_10device_ptrIiEEEENSB_INSC_IsEEEESG_sNS9_4plusIvEENS9_8equal_toIvEEsEE10hipError_tPvRmT2_T3_T4_T5_mT6_T7_P12ihipStream_tbENKUlT_T0_E_clISt17integral_constantIbLb0EES11_EEDaSW_SX_EUlSW_E_NS1_11comp_targetILNS1_3genE9ELNS1_11target_archE1100ELNS1_3gpuE3ELNS1_3repE0EEENS1_30default_config_static_selectorELNS0_4arch9wavefront6targetE0EEEvT1_.num_agpr, 0
	.set _ZN7rocprim17ROCPRIM_400000_NS6detail17trampoline_kernelINS0_14default_configENS1_27scan_by_key_config_selectorIisEEZZNS1_16scan_by_key_implILNS1_25lookback_scan_determinismE0ELb1ES3_N6thrust23THRUST_200600_302600_NS6detail15normal_iteratorINS9_10device_ptrIiEEEENSB_INSC_IsEEEESG_sNS9_4plusIvEENS9_8equal_toIvEEsEE10hipError_tPvRmT2_T3_T4_T5_mT6_T7_P12ihipStream_tbENKUlT_T0_E_clISt17integral_constantIbLb0EES11_EEDaSW_SX_EUlSW_E_NS1_11comp_targetILNS1_3genE9ELNS1_11target_archE1100ELNS1_3gpuE3ELNS1_3repE0EEENS1_30default_config_static_selectorELNS0_4arch9wavefront6targetE0EEEvT1_.numbered_sgpr, 0
	.set _ZN7rocprim17ROCPRIM_400000_NS6detail17trampoline_kernelINS0_14default_configENS1_27scan_by_key_config_selectorIisEEZZNS1_16scan_by_key_implILNS1_25lookback_scan_determinismE0ELb1ES3_N6thrust23THRUST_200600_302600_NS6detail15normal_iteratorINS9_10device_ptrIiEEEENSB_INSC_IsEEEESG_sNS9_4plusIvEENS9_8equal_toIvEEsEE10hipError_tPvRmT2_T3_T4_T5_mT6_T7_P12ihipStream_tbENKUlT_T0_E_clISt17integral_constantIbLb0EES11_EEDaSW_SX_EUlSW_E_NS1_11comp_targetILNS1_3genE9ELNS1_11target_archE1100ELNS1_3gpuE3ELNS1_3repE0EEENS1_30default_config_static_selectorELNS0_4arch9wavefront6targetE0EEEvT1_.num_named_barrier, 0
	.set _ZN7rocprim17ROCPRIM_400000_NS6detail17trampoline_kernelINS0_14default_configENS1_27scan_by_key_config_selectorIisEEZZNS1_16scan_by_key_implILNS1_25lookback_scan_determinismE0ELb1ES3_N6thrust23THRUST_200600_302600_NS6detail15normal_iteratorINS9_10device_ptrIiEEEENSB_INSC_IsEEEESG_sNS9_4plusIvEENS9_8equal_toIvEEsEE10hipError_tPvRmT2_T3_T4_T5_mT6_T7_P12ihipStream_tbENKUlT_T0_E_clISt17integral_constantIbLb0EES11_EEDaSW_SX_EUlSW_E_NS1_11comp_targetILNS1_3genE9ELNS1_11target_archE1100ELNS1_3gpuE3ELNS1_3repE0EEENS1_30default_config_static_selectorELNS0_4arch9wavefront6targetE0EEEvT1_.private_seg_size, 0
	.set _ZN7rocprim17ROCPRIM_400000_NS6detail17trampoline_kernelINS0_14default_configENS1_27scan_by_key_config_selectorIisEEZZNS1_16scan_by_key_implILNS1_25lookback_scan_determinismE0ELb1ES3_N6thrust23THRUST_200600_302600_NS6detail15normal_iteratorINS9_10device_ptrIiEEEENSB_INSC_IsEEEESG_sNS9_4plusIvEENS9_8equal_toIvEEsEE10hipError_tPvRmT2_T3_T4_T5_mT6_T7_P12ihipStream_tbENKUlT_T0_E_clISt17integral_constantIbLb0EES11_EEDaSW_SX_EUlSW_E_NS1_11comp_targetILNS1_3genE9ELNS1_11target_archE1100ELNS1_3gpuE3ELNS1_3repE0EEENS1_30default_config_static_selectorELNS0_4arch9wavefront6targetE0EEEvT1_.uses_vcc, 0
	.set _ZN7rocprim17ROCPRIM_400000_NS6detail17trampoline_kernelINS0_14default_configENS1_27scan_by_key_config_selectorIisEEZZNS1_16scan_by_key_implILNS1_25lookback_scan_determinismE0ELb1ES3_N6thrust23THRUST_200600_302600_NS6detail15normal_iteratorINS9_10device_ptrIiEEEENSB_INSC_IsEEEESG_sNS9_4plusIvEENS9_8equal_toIvEEsEE10hipError_tPvRmT2_T3_T4_T5_mT6_T7_P12ihipStream_tbENKUlT_T0_E_clISt17integral_constantIbLb0EES11_EEDaSW_SX_EUlSW_E_NS1_11comp_targetILNS1_3genE9ELNS1_11target_archE1100ELNS1_3gpuE3ELNS1_3repE0EEENS1_30default_config_static_selectorELNS0_4arch9wavefront6targetE0EEEvT1_.uses_flat_scratch, 0
	.set _ZN7rocprim17ROCPRIM_400000_NS6detail17trampoline_kernelINS0_14default_configENS1_27scan_by_key_config_selectorIisEEZZNS1_16scan_by_key_implILNS1_25lookback_scan_determinismE0ELb1ES3_N6thrust23THRUST_200600_302600_NS6detail15normal_iteratorINS9_10device_ptrIiEEEENSB_INSC_IsEEEESG_sNS9_4plusIvEENS9_8equal_toIvEEsEE10hipError_tPvRmT2_T3_T4_T5_mT6_T7_P12ihipStream_tbENKUlT_T0_E_clISt17integral_constantIbLb0EES11_EEDaSW_SX_EUlSW_E_NS1_11comp_targetILNS1_3genE9ELNS1_11target_archE1100ELNS1_3gpuE3ELNS1_3repE0EEENS1_30default_config_static_selectorELNS0_4arch9wavefront6targetE0EEEvT1_.has_dyn_sized_stack, 0
	.set _ZN7rocprim17ROCPRIM_400000_NS6detail17trampoline_kernelINS0_14default_configENS1_27scan_by_key_config_selectorIisEEZZNS1_16scan_by_key_implILNS1_25lookback_scan_determinismE0ELb1ES3_N6thrust23THRUST_200600_302600_NS6detail15normal_iteratorINS9_10device_ptrIiEEEENSB_INSC_IsEEEESG_sNS9_4plusIvEENS9_8equal_toIvEEsEE10hipError_tPvRmT2_T3_T4_T5_mT6_T7_P12ihipStream_tbENKUlT_T0_E_clISt17integral_constantIbLb0EES11_EEDaSW_SX_EUlSW_E_NS1_11comp_targetILNS1_3genE9ELNS1_11target_archE1100ELNS1_3gpuE3ELNS1_3repE0EEENS1_30default_config_static_selectorELNS0_4arch9wavefront6targetE0EEEvT1_.has_recursion, 0
	.set _ZN7rocprim17ROCPRIM_400000_NS6detail17trampoline_kernelINS0_14default_configENS1_27scan_by_key_config_selectorIisEEZZNS1_16scan_by_key_implILNS1_25lookback_scan_determinismE0ELb1ES3_N6thrust23THRUST_200600_302600_NS6detail15normal_iteratorINS9_10device_ptrIiEEEENSB_INSC_IsEEEESG_sNS9_4plusIvEENS9_8equal_toIvEEsEE10hipError_tPvRmT2_T3_T4_T5_mT6_T7_P12ihipStream_tbENKUlT_T0_E_clISt17integral_constantIbLb0EES11_EEDaSW_SX_EUlSW_E_NS1_11comp_targetILNS1_3genE9ELNS1_11target_archE1100ELNS1_3gpuE3ELNS1_3repE0EEENS1_30default_config_static_selectorELNS0_4arch9wavefront6targetE0EEEvT1_.has_indirect_call, 0
	.section	.AMDGPU.csdata,"",@progbits
; Kernel info:
; codeLenInByte = 0
; TotalNumSgprs: 0
; NumVgprs: 0
; ScratchSize: 0
; MemoryBound: 0
; FloatMode: 240
; IeeeMode: 1
; LDSByteSize: 0 bytes/workgroup (compile time only)
; SGPRBlocks: 0
; VGPRBlocks: 0
; NumSGPRsForWavesPerEU: 1
; NumVGPRsForWavesPerEU: 1
; NamedBarCnt: 0
; Occupancy: 16
; WaveLimiterHint : 0
; COMPUTE_PGM_RSRC2:SCRATCH_EN: 0
; COMPUTE_PGM_RSRC2:USER_SGPR: 2
; COMPUTE_PGM_RSRC2:TRAP_HANDLER: 0
; COMPUTE_PGM_RSRC2:TGID_X_EN: 1
; COMPUTE_PGM_RSRC2:TGID_Y_EN: 0
; COMPUTE_PGM_RSRC2:TGID_Z_EN: 0
; COMPUTE_PGM_RSRC2:TIDIG_COMP_CNT: 0
	.section	.text._ZN7rocprim17ROCPRIM_400000_NS6detail17trampoline_kernelINS0_14default_configENS1_27scan_by_key_config_selectorIisEEZZNS1_16scan_by_key_implILNS1_25lookback_scan_determinismE0ELb1ES3_N6thrust23THRUST_200600_302600_NS6detail15normal_iteratorINS9_10device_ptrIiEEEENSB_INSC_IsEEEESG_sNS9_4plusIvEENS9_8equal_toIvEEsEE10hipError_tPvRmT2_T3_T4_T5_mT6_T7_P12ihipStream_tbENKUlT_T0_E_clISt17integral_constantIbLb0EES11_EEDaSW_SX_EUlSW_E_NS1_11comp_targetILNS1_3genE8ELNS1_11target_archE1030ELNS1_3gpuE2ELNS1_3repE0EEENS1_30default_config_static_selectorELNS0_4arch9wavefront6targetE0EEEvT1_,"axG",@progbits,_ZN7rocprim17ROCPRIM_400000_NS6detail17trampoline_kernelINS0_14default_configENS1_27scan_by_key_config_selectorIisEEZZNS1_16scan_by_key_implILNS1_25lookback_scan_determinismE0ELb1ES3_N6thrust23THRUST_200600_302600_NS6detail15normal_iteratorINS9_10device_ptrIiEEEENSB_INSC_IsEEEESG_sNS9_4plusIvEENS9_8equal_toIvEEsEE10hipError_tPvRmT2_T3_T4_T5_mT6_T7_P12ihipStream_tbENKUlT_T0_E_clISt17integral_constantIbLb0EES11_EEDaSW_SX_EUlSW_E_NS1_11comp_targetILNS1_3genE8ELNS1_11target_archE1030ELNS1_3gpuE2ELNS1_3repE0EEENS1_30default_config_static_selectorELNS0_4arch9wavefront6targetE0EEEvT1_,comdat
	.protected	_ZN7rocprim17ROCPRIM_400000_NS6detail17trampoline_kernelINS0_14default_configENS1_27scan_by_key_config_selectorIisEEZZNS1_16scan_by_key_implILNS1_25lookback_scan_determinismE0ELb1ES3_N6thrust23THRUST_200600_302600_NS6detail15normal_iteratorINS9_10device_ptrIiEEEENSB_INSC_IsEEEESG_sNS9_4plusIvEENS9_8equal_toIvEEsEE10hipError_tPvRmT2_T3_T4_T5_mT6_T7_P12ihipStream_tbENKUlT_T0_E_clISt17integral_constantIbLb0EES11_EEDaSW_SX_EUlSW_E_NS1_11comp_targetILNS1_3genE8ELNS1_11target_archE1030ELNS1_3gpuE2ELNS1_3repE0EEENS1_30default_config_static_selectorELNS0_4arch9wavefront6targetE0EEEvT1_ ; -- Begin function _ZN7rocprim17ROCPRIM_400000_NS6detail17trampoline_kernelINS0_14default_configENS1_27scan_by_key_config_selectorIisEEZZNS1_16scan_by_key_implILNS1_25lookback_scan_determinismE0ELb1ES3_N6thrust23THRUST_200600_302600_NS6detail15normal_iteratorINS9_10device_ptrIiEEEENSB_INSC_IsEEEESG_sNS9_4plusIvEENS9_8equal_toIvEEsEE10hipError_tPvRmT2_T3_T4_T5_mT6_T7_P12ihipStream_tbENKUlT_T0_E_clISt17integral_constantIbLb0EES11_EEDaSW_SX_EUlSW_E_NS1_11comp_targetILNS1_3genE8ELNS1_11target_archE1030ELNS1_3gpuE2ELNS1_3repE0EEENS1_30default_config_static_selectorELNS0_4arch9wavefront6targetE0EEEvT1_
	.globl	_ZN7rocprim17ROCPRIM_400000_NS6detail17trampoline_kernelINS0_14default_configENS1_27scan_by_key_config_selectorIisEEZZNS1_16scan_by_key_implILNS1_25lookback_scan_determinismE0ELb1ES3_N6thrust23THRUST_200600_302600_NS6detail15normal_iteratorINS9_10device_ptrIiEEEENSB_INSC_IsEEEESG_sNS9_4plusIvEENS9_8equal_toIvEEsEE10hipError_tPvRmT2_T3_T4_T5_mT6_T7_P12ihipStream_tbENKUlT_T0_E_clISt17integral_constantIbLb0EES11_EEDaSW_SX_EUlSW_E_NS1_11comp_targetILNS1_3genE8ELNS1_11target_archE1030ELNS1_3gpuE2ELNS1_3repE0EEENS1_30default_config_static_selectorELNS0_4arch9wavefront6targetE0EEEvT1_
	.p2align	8
	.type	_ZN7rocprim17ROCPRIM_400000_NS6detail17trampoline_kernelINS0_14default_configENS1_27scan_by_key_config_selectorIisEEZZNS1_16scan_by_key_implILNS1_25lookback_scan_determinismE0ELb1ES3_N6thrust23THRUST_200600_302600_NS6detail15normal_iteratorINS9_10device_ptrIiEEEENSB_INSC_IsEEEESG_sNS9_4plusIvEENS9_8equal_toIvEEsEE10hipError_tPvRmT2_T3_T4_T5_mT6_T7_P12ihipStream_tbENKUlT_T0_E_clISt17integral_constantIbLb0EES11_EEDaSW_SX_EUlSW_E_NS1_11comp_targetILNS1_3genE8ELNS1_11target_archE1030ELNS1_3gpuE2ELNS1_3repE0EEENS1_30default_config_static_selectorELNS0_4arch9wavefront6targetE0EEEvT1_,@function
_ZN7rocprim17ROCPRIM_400000_NS6detail17trampoline_kernelINS0_14default_configENS1_27scan_by_key_config_selectorIisEEZZNS1_16scan_by_key_implILNS1_25lookback_scan_determinismE0ELb1ES3_N6thrust23THRUST_200600_302600_NS6detail15normal_iteratorINS9_10device_ptrIiEEEENSB_INSC_IsEEEESG_sNS9_4plusIvEENS9_8equal_toIvEEsEE10hipError_tPvRmT2_T3_T4_T5_mT6_T7_P12ihipStream_tbENKUlT_T0_E_clISt17integral_constantIbLb0EES11_EEDaSW_SX_EUlSW_E_NS1_11comp_targetILNS1_3genE8ELNS1_11target_archE1030ELNS1_3gpuE2ELNS1_3repE0EEENS1_30default_config_static_selectorELNS0_4arch9wavefront6targetE0EEEvT1_: ; @_ZN7rocprim17ROCPRIM_400000_NS6detail17trampoline_kernelINS0_14default_configENS1_27scan_by_key_config_selectorIisEEZZNS1_16scan_by_key_implILNS1_25lookback_scan_determinismE0ELb1ES3_N6thrust23THRUST_200600_302600_NS6detail15normal_iteratorINS9_10device_ptrIiEEEENSB_INSC_IsEEEESG_sNS9_4plusIvEENS9_8equal_toIvEEsEE10hipError_tPvRmT2_T3_T4_T5_mT6_T7_P12ihipStream_tbENKUlT_T0_E_clISt17integral_constantIbLb0EES11_EEDaSW_SX_EUlSW_E_NS1_11comp_targetILNS1_3genE8ELNS1_11target_archE1030ELNS1_3gpuE2ELNS1_3repE0EEENS1_30default_config_static_selectorELNS0_4arch9wavefront6targetE0EEEvT1_
; %bb.0:
	.section	.rodata,"a",@progbits
	.p2align	6, 0x0
	.amdhsa_kernel _ZN7rocprim17ROCPRIM_400000_NS6detail17trampoline_kernelINS0_14default_configENS1_27scan_by_key_config_selectorIisEEZZNS1_16scan_by_key_implILNS1_25lookback_scan_determinismE0ELb1ES3_N6thrust23THRUST_200600_302600_NS6detail15normal_iteratorINS9_10device_ptrIiEEEENSB_INSC_IsEEEESG_sNS9_4plusIvEENS9_8equal_toIvEEsEE10hipError_tPvRmT2_T3_T4_T5_mT6_T7_P12ihipStream_tbENKUlT_T0_E_clISt17integral_constantIbLb0EES11_EEDaSW_SX_EUlSW_E_NS1_11comp_targetILNS1_3genE8ELNS1_11target_archE1030ELNS1_3gpuE2ELNS1_3repE0EEENS1_30default_config_static_selectorELNS0_4arch9wavefront6targetE0EEEvT1_
		.amdhsa_group_segment_fixed_size 0
		.amdhsa_private_segment_fixed_size 0
		.amdhsa_kernarg_size 112
		.amdhsa_user_sgpr_count 2
		.amdhsa_user_sgpr_dispatch_ptr 0
		.amdhsa_user_sgpr_queue_ptr 0
		.amdhsa_user_sgpr_kernarg_segment_ptr 1
		.amdhsa_user_sgpr_dispatch_id 0
		.amdhsa_user_sgpr_kernarg_preload_length 0
		.amdhsa_user_sgpr_kernarg_preload_offset 0
		.amdhsa_user_sgpr_private_segment_size 0
		.amdhsa_wavefront_size32 1
		.amdhsa_uses_dynamic_stack 0
		.amdhsa_enable_private_segment 0
		.amdhsa_system_sgpr_workgroup_id_x 1
		.amdhsa_system_sgpr_workgroup_id_y 0
		.amdhsa_system_sgpr_workgroup_id_z 0
		.amdhsa_system_sgpr_workgroup_info 0
		.amdhsa_system_vgpr_workitem_id 0
		.amdhsa_next_free_vgpr 1
		.amdhsa_next_free_sgpr 1
		.amdhsa_named_barrier_count 0
		.amdhsa_reserve_vcc 0
		.amdhsa_float_round_mode_32 0
		.amdhsa_float_round_mode_16_64 0
		.amdhsa_float_denorm_mode_32 3
		.amdhsa_float_denorm_mode_16_64 3
		.amdhsa_fp16_overflow 0
		.amdhsa_memory_ordered 1
		.amdhsa_forward_progress 1
		.amdhsa_inst_pref_size 0
		.amdhsa_round_robin_scheduling 0
		.amdhsa_exception_fp_ieee_invalid_op 0
		.amdhsa_exception_fp_denorm_src 0
		.amdhsa_exception_fp_ieee_div_zero 0
		.amdhsa_exception_fp_ieee_overflow 0
		.amdhsa_exception_fp_ieee_underflow 0
		.amdhsa_exception_fp_ieee_inexact 0
		.amdhsa_exception_int_div_zero 0
	.end_amdhsa_kernel
	.section	.text._ZN7rocprim17ROCPRIM_400000_NS6detail17trampoline_kernelINS0_14default_configENS1_27scan_by_key_config_selectorIisEEZZNS1_16scan_by_key_implILNS1_25lookback_scan_determinismE0ELb1ES3_N6thrust23THRUST_200600_302600_NS6detail15normal_iteratorINS9_10device_ptrIiEEEENSB_INSC_IsEEEESG_sNS9_4plusIvEENS9_8equal_toIvEEsEE10hipError_tPvRmT2_T3_T4_T5_mT6_T7_P12ihipStream_tbENKUlT_T0_E_clISt17integral_constantIbLb0EES11_EEDaSW_SX_EUlSW_E_NS1_11comp_targetILNS1_3genE8ELNS1_11target_archE1030ELNS1_3gpuE2ELNS1_3repE0EEENS1_30default_config_static_selectorELNS0_4arch9wavefront6targetE0EEEvT1_,"axG",@progbits,_ZN7rocprim17ROCPRIM_400000_NS6detail17trampoline_kernelINS0_14default_configENS1_27scan_by_key_config_selectorIisEEZZNS1_16scan_by_key_implILNS1_25lookback_scan_determinismE0ELb1ES3_N6thrust23THRUST_200600_302600_NS6detail15normal_iteratorINS9_10device_ptrIiEEEENSB_INSC_IsEEEESG_sNS9_4plusIvEENS9_8equal_toIvEEsEE10hipError_tPvRmT2_T3_T4_T5_mT6_T7_P12ihipStream_tbENKUlT_T0_E_clISt17integral_constantIbLb0EES11_EEDaSW_SX_EUlSW_E_NS1_11comp_targetILNS1_3genE8ELNS1_11target_archE1030ELNS1_3gpuE2ELNS1_3repE0EEENS1_30default_config_static_selectorELNS0_4arch9wavefront6targetE0EEEvT1_,comdat
.Lfunc_end1615:
	.size	_ZN7rocprim17ROCPRIM_400000_NS6detail17trampoline_kernelINS0_14default_configENS1_27scan_by_key_config_selectorIisEEZZNS1_16scan_by_key_implILNS1_25lookback_scan_determinismE0ELb1ES3_N6thrust23THRUST_200600_302600_NS6detail15normal_iteratorINS9_10device_ptrIiEEEENSB_INSC_IsEEEESG_sNS9_4plusIvEENS9_8equal_toIvEEsEE10hipError_tPvRmT2_T3_T4_T5_mT6_T7_P12ihipStream_tbENKUlT_T0_E_clISt17integral_constantIbLb0EES11_EEDaSW_SX_EUlSW_E_NS1_11comp_targetILNS1_3genE8ELNS1_11target_archE1030ELNS1_3gpuE2ELNS1_3repE0EEENS1_30default_config_static_selectorELNS0_4arch9wavefront6targetE0EEEvT1_, .Lfunc_end1615-_ZN7rocprim17ROCPRIM_400000_NS6detail17trampoline_kernelINS0_14default_configENS1_27scan_by_key_config_selectorIisEEZZNS1_16scan_by_key_implILNS1_25lookback_scan_determinismE0ELb1ES3_N6thrust23THRUST_200600_302600_NS6detail15normal_iteratorINS9_10device_ptrIiEEEENSB_INSC_IsEEEESG_sNS9_4plusIvEENS9_8equal_toIvEEsEE10hipError_tPvRmT2_T3_T4_T5_mT6_T7_P12ihipStream_tbENKUlT_T0_E_clISt17integral_constantIbLb0EES11_EEDaSW_SX_EUlSW_E_NS1_11comp_targetILNS1_3genE8ELNS1_11target_archE1030ELNS1_3gpuE2ELNS1_3repE0EEENS1_30default_config_static_selectorELNS0_4arch9wavefront6targetE0EEEvT1_
                                        ; -- End function
	.set _ZN7rocprim17ROCPRIM_400000_NS6detail17trampoline_kernelINS0_14default_configENS1_27scan_by_key_config_selectorIisEEZZNS1_16scan_by_key_implILNS1_25lookback_scan_determinismE0ELb1ES3_N6thrust23THRUST_200600_302600_NS6detail15normal_iteratorINS9_10device_ptrIiEEEENSB_INSC_IsEEEESG_sNS9_4plusIvEENS9_8equal_toIvEEsEE10hipError_tPvRmT2_T3_T4_T5_mT6_T7_P12ihipStream_tbENKUlT_T0_E_clISt17integral_constantIbLb0EES11_EEDaSW_SX_EUlSW_E_NS1_11comp_targetILNS1_3genE8ELNS1_11target_archE1030ELNS1_3gpuE2ELNS1_3repE0EEENS1_30default_config_static_selectorELNS0_4arch9wavefront6targetE0EEEvT1_.num_vgpr, 0
	.set _ZN7rocprim17ROCPRIM_400000_NS6detail17trampoline_kernelINS0_14default_configENS1_27scan_by_key_config_selectorIisEEZZNS1_16scan_by_key_implILNS1_25lookback_scan_determinismE0ELb1ES3_N6thrust23THRUST_200600_302600_NS6detail15normal_iteratorINS9_10device_ptrIiEEEENSB_INSC_IsEEEESG_sNS9_4plusIvEENS9_8equal_toIvEEsEE10hipError_tPvRmT2_T3_T4_T5_mT6_T7_P12ihipStream_tbENKUlT_T0_E_clISt17integral_constantIbLb0EES11_EEDaSW_SX_EUlSW_E_NS1_11comp_targetILNS1_3genE8ELNS1_11target_archE1030ELNS1_3gpuE2ELNS1_3repE0EEENS1_30default_config_static_selectorELNS0_4arch9wavefront6targetE0EEEvT1_.num_agpr, 0
	.set _ZN7rocprim17ROCPRIM_400000_NS6detail17trampoline_kernelINS0_14default_configENS1_27scan_by_key_config_selectorIisEEZZNS1_16scan_by_key_implILNS1_25lookback_scan_determinismE0ELb1ES3_N6thrust23THRUST_200600_302600_NS6detail15normal_iteratorINS9_10device_ptrIiEEEENSB_INSC_IsEEEESG_sNS9_4plusIvEENS9_8equal_toIvEEsEE10hipError_tPvRmT2_T3_T4_T5_mT6_T7_P12ihipStream_tbENKUlT_T0_E_clISt17integral_constantIbLb0EES11_EEDaSW_SX_EUlSW_E_NS1_11comp_targetILNS1_3genE8ELNS1_11target_archE1030ELNS1_3gpuE2ELNS1_3repE0EEENS1_30default_config_static_selectorELNS0_4arch9wavefront6targetE0EEEvT1_.numbered_sgpr, 0
	.set _ZN7rocprim17ROCPRIM_400000_NS6detail17trampoline_kernelINS0_14default_configENS1_27scan_by_key_config_selectorIisEEZZNS1_16scan_by_key_implILNS1_25lookback_scan_determinismE0ELb1ES3_N6thrust23THRUST_200600_302600_NS6detail15normal_iteratorINS9_10device_ptrIiEEEENSB_INSC_IsEEEESG_sNS9_4plusIvEENS9_8equal_toIvEEsEE10hipError_tPvRmT2_T3_T4_T5_mT6_T7_P12ihipStream_tbENKUlT_T0_E_clISt17integral_constantIbLb0EES11_EEDaSW_SX_EUlSW_E_NS1_11comp_targetILNS1_3genE8ELNS1_11target_archE1030ELNS1_3gpuE2ELNS1_3repE0EEENS1_30default_config_static_selectorELNS0_4arch9wavefront6targetE0EEEvT1_.num_named_barrier, 0
	.set _ZN7rocprim17ROCPRIM_400000_NS6detail17trampoline_kernelINS0_14default_configENS1_27scan_by_key_config_selectorIisEEZZNS1_16scan_by_key_implILNS1_25lookback_scan_determinismE0ELb1ES3_N6thrust23THRUST_200600_302600_NS6detail15normal_iteratorINS9_10device_ptrIiEEEENSB_INSC_IsEEEESG_sNS9_4plusIvEENS9_8equal_toIvEEsEE10hipError_tPvRmT2_T3_T4_T5_mT6_T7_P12ihipStream_tbENKUlT_T0_E_clISt17integral_constantIbLb0EES11_EEDaSW_SX_EUlSW_E_NS1_11comp_targetILNS1_3genE8ELNS1_11target_archE1030ELNS1_3gpuE2ELNS1_3repE0EEENS1_30default_config_static_selectorELNS0_4arch9wavefront6targetE0EEEvT1_.private_seg_size, 0
	.set _ZN7rocprim17ROCPRIM_400000_NS6detail17trampoline_kernelINS0_14default_configENS1_27scan_by_key_config_selectorIisEEZZNS1_16scan_by_key_implILNS1_25lookback_scan_determinismE0ELb1ES3_N6thrust23THRUST_200600_302600_NS6detail15normal_iteratorINS9_10device_ptrIiEEEENSB_INSC_IsEEEESG_sNS9_4plusIvEENS9_8equal_toIvEEsEE10hipError_tPvRmT2_T3_T4_T5_mT6_T7_P12ihipStream_tbENKUlT_T0_E_clISt17integral_constantIbLb0EES11_EEDaSW_SX_EUlSW_E_NS1_11comp_targetILNS1_3genE8ELNS1_11target_archE1030ELNS1_3gpuE2ELNS1_3repE0EEENS1_30default_config_static_selectorELNS0_4arch9wavefront6targetE0EEEvT1_.uses_vcc, 0
	.set _ZN7rocprim17ROCPRIM_400000_NS6detail17trampoline_kernelINS0_14default_configENS1_27scan_by_key_config_selectorIisEEZZNS1_16scan_by_key_implILNS1_25lookback_scan_determinismE0ELb1ES3_N6thrust23THRUST_200600_302600_NS6detail15normal_iteratorINS9_10device_ptrIiEEEENSB_INSC_IsEEEESG_sNS9_4plusIvEENS9_8equal_toIvEEsEE10hipError_tPvRmT2_T3_T4_T5_mT6_T7_P12ihipStream_tbENKUlT_T0_E_clISt17integral_constantIbLb0EES11_EEDaSW_SX_EUlSW_E_NS1_11comp_targetILNS1_3genE8ELNS1_11target_archE1030ELNS1_3gpuE2ELNS1_3repE0EEENS1_30default_config_static_selectorELNS0_4arch9wavefront6targetE0EEEvT1_.uses_flat_scratch, 0
	.set _ZN7rocprim17ROCPRIM_400000_NS6detail17trampoline_kernelINS0_14default_configENS1_27scan_by_key_config_selectorIisEEZZNS1_16scan_by_key_implILNS1_25lookback_scan_determinismE0ELb1ES3_N6thrust23THRUST_200600_302600_NS6detail15normal_iteratorINS9_10device_ptrIiEEEENSB_INSC_IsEEEESG_sNS9_4plusIvEENS9_8equal_toIvEEsEE10hipError_tPvRmT2_T3_T4_T5_mT6_T7_P12ihipStream_tbENKUlT_T0_E_clISt17integral_constantIbLb0EES11_EEDaSW_SX_EUlSW_E_NS1_11comp_targetILNS1_3genE8ELNS1_11target_archE1030ELNS1_3gpuE2ELNS1_3repE0EEENS1_30default_config_static_selectorELNS0_4arch9wavefront6targetE0EEEvT1_.has_dyn_sized_stack, 0
	.set _ZN7rocprim17ROCPRIM_400000_NS6detail17trampoline_kernelINS0_14default_configENS1_27scan_by_key_config_selectorIisEEZZNS1_16scan_by_key_implILNS1_25lookback_scan_determinismE0ELb1ES3_N6thrust23THRUST_200600_302600_NS6detail15normal_iteratorINS9_10device_ptrIiEEEENSB_INSC_IsEEEESG_sNS9_4plusIvEENS9_8equal_toIvEEsEE10hipError_tPvRmT2_T3_T4_T5_mT6_T7_P12ihipStream_tbENKUlT_T0_E_clISt17integral_constantIbLb0EES11_EEDaSW_SX_EUlSW_E_NS1_11comp_targetILNS1_3genE8ELNS1_11target_archE1030ELNS1_3gpuE2ELNS1_3repE0EEENS1_30default_config_static_selectorELNS0_4arch9wavefront6targetE0EEEvT1_.has_recursion, 0
	.set _ZN7rocprim17ROCPRIM_400000_NS6detail17trampoline_kernelINS0_14default_configENS1_27scan_by_key_config_selectorIisEEZZNS1_16scan_by_key_implILNS1_25lookback_scan_determinismE0ELb1ES3_N6thrust23THRUST_200600_302600_NS6detail15normal_iteratorINS9_10device_ptrIiEEEENSB_INSC_IsEEEESG_sNS9_4plusIvEENS9_8equal_toIvEEsEE10hipError_tPvRmT2_T3_T4_T5_mT6_T7_P12ihipStream_tbENKUlT_T0_E_clISt17integral_constantIbLb0EES11_EEDaSW_SX_EUlSW_E_NS1_11comp_targetILNS1_3genE8ELNS1_11target_archE1030ELNS1_3gpuE2ELNS1_3repE0EEENS1_30default_config_static_selectorELNS0_4arch9wavefront6targetE0EEEvT1_.has_indirect_call, 0
	.section	.AMDGPU.csdata,"",@progbits
; Kernel info:
; codeLenInByte = 0
; TotalNumSgprs: 0
; NumVgprs: 0
; ScratchSize: 0
; MemoryBound: 0
; FloatMode: 240
; IeeeMode: 1
; LDSByteSize: 0 bytes/workgroup (compile time only)
; SGPRBlocks: 0
; VGPRBlocks: 0
; NumSGPRsForWavesPerEU: 1
; NumVGPRsForWavesPerEU: 1
; NamedBarCnt: 0
; Occupancy: 16
; WaveLimiterHint : 0
; COMPUTE_PGM_RSRC2:SCRATCH_EN: 0
; COMPUTE_PGM_RSRC2:USER_SGPR: 2
; COMPUTE_PGM_RSRC2:TRAP_HANDLER: 0
; COMPUTE_PGM_RSRC2:TGID_X_EN: 1
; COMPUTE_PGM_RSRC2:TGID_Y_EN: 0
; COMPUTE_PGM_RSRC2:TGID_Z_EN: 0
; COMPUTE_PGM_RSRC2:TIDIG_COMP_CNT: 0
	.section	.text._ZN7rocprim17ROCPRIM_400000_NS6detail17trampoline_kernelINS0_14default_configENS1_27scan_by_key_config_selectorIisEEZZNS1_16scan_by_key_implILNS1_25lookback_scan_determinismE0ELb1ES3_N6thrust23THRUST_200600_302600_NS6detail15normal_iteratorINS9_10device_ptrIiEEEENSB_INSC_IsEEEESG_sNS9_4plusIvEENS9_8equal_toIvEEsEE10hipError_tPvRmT2_T3_T4_T5_mT6_T7_P12ihipStream_tbENKUlT_T0_E_clISt17integral_constantIbLb1EES11_EEDaSW_SX_EUlSW_E_NS1_11comp_targetILNS1_3genE0ELNS1_11target_archE4294967295ELNS1_3gpuE0ELNS1_3repE0EEENS1_30default_config_static_selectorELNS0_4arch9wavefront6targetE0EEEvT1_,"axG",@progbits,_ZN7rocprim17ROCPRIM_400000_NS6detail17trampoline_kernelINS0_14default_configENS1_27scan_by_key_config_selectorIisEEZZNS1_16scan_by_key_implILNS1_25lookback_scan_determinismE0ELb1ES3_N6thrust23THRUST_200600_302600_NS6detail15normal_iteratorINS9_10device_ptrIiEEEENSB_INSC_IsEEEESG_sNS9_4plusIvEENS9_8equal_toIvEEsEE10hipError_tPvRmT2_T3_T4_T5_mT6_T7_P12ihipStream_tbENKUlT_T0_E_clISt17integral_constantIbLb1EES11_EEDaSW_SX_EUlSW_E_NS1_11comp_targetILNS1_3genE0ELNS1_11target_archE4294967295ELNS1_3gpuE0ELNS1_3repE0EEENS1_30default_config_static_selectorELNS0_4arch9wavefront6targetE0EEEvT1_,comdat
	.protected	_ZN7rocprim17ROCPRIM_400000_NS6detail17trampoline_kernelINS0_14default_configENS1_27scan_by_key_config_selectorIisEEZZNS1_16scan_by_key_implILNS1_25lookback_scan_determinismE0ELb1ES3_N6thrust23THRUST_200600_302600_NS6detail15normal_iteratorINS9_10device_ptrIiEEEENSB_INSC_IsEEEESG_sNS9_4plusIvEENS9_8equal_toIvEEsEE10hipError_tPvRmT2_T3_T4_T5_mT6_T7_P12ihipStream_tbENKUlT_T0_E_clISt17integral_constantIbLb1EES11_EEDaSW_SX_EUlSW_E_NS1_11comp_targetILNS1_3genE0ELNS1_11target_archE4294967295ELNS1_3gpuE0ELNS1_3repE0EEENS1_30default_config_static_selectorELNS0_4arch9wavefront6targetE0EEEvT1_ ; -- Begin function _ZN7rocprim17ROCPRIM_400000_NS6detail17trampoline_kernelINS0_14default_configENS1_27scan_by_key_config_selectorIisEEZZNS1_16scan_by_key_implILNS1_25lookback_scan_determinismE0ELb1ES3_N6thrust23THRUST_200600_302600_NS6detail15normal_iteratorINS9_10device_ptrIiEEEENSB_INSC_IsEEEESG_sNS9_4plusIvEENS9_8equal_toIvEEsEE10hipError_tPvRmT2_T3_T4_T5_mT6_T7_P12ihipStream_tbENKUlT_T0_E_clISt17integral_constantIbLb1EES11_EEDaSW_SX_EUlSW_E_NS1_11comp_targetILNS1_3genE0ELNS1_11target_archE4294967295ELNS1_3gpuE0ELNS1_3repE0EEENS1_30default_config_static_selectorELNS0_4arch9wavefront6targetE0EEEvT1_
	.globl	_ZN7rocprim17ROCPRIM_400000_NS6detail17trampoline_kernelINS0_14default_configENS1_27scan_by_key_config_selectorIisEEZZNS1_16scan_by_key_implILNS1_25lookback_scan_determinismE0ELb1ES3_N6thrust23THRUST_200600_302600_NS6detail15normal_iteratorINS9_10device_ptrIiEEEENSB_INSC_IsEEEESG_sNS9_4plusIvEENS9_8equal_toIvEEsEE10hipError_tPvRmT2_T3_T4_T5_mT6_T7_P12ihipStream_tbENKUlT_T0_E_clISt17integral_constantIbLb1EES11_EEDaSW_SX_EUlSW_E_NS1_11comp_targetILNS1_3genE0ELNS1_11target_archE4294967295ELNS1_3gpuE0ELNS1_3repE0EEENS1_30default_config_static_selectorELNS0_4arch9wavefront6targetE0EEEvT1_
	.p2align	8
	.type	_ZN7rocprim17ROCPRIM_400000_NS6detail17trampoline_kernelINS0_14default_configENS1_27scan_by_key_config_selectorIisEEZZNS1_16scan_by_key_implILNS1_25lookback_scan_determinismE0ELb1ES3_N6thrust23THRUST_200600_302600_NS6detail15normal_iteratorINS9_10device_ptrIiEEEENSB_INSC_IsEEEESG_sNS9_4plusIvEENS9_8equal_toIvEEsEE10hipError_tPvRmT2_T3_T4_T5_mT6_T7_P12ihipStream_tbENKUlT_T0_E_clISt17integral_constantIbLb1EES11_EEDaSW_SX_EUlSW_E_NS1_11comp_targetILNS1_3genE0ELNS1_11target_archE4294967295ELNS1_3gpuE0ELNS1_3repE0EEENS1_30default_config_static_selectorELNS0_4arch9wavefront6targetE0EEEvT1_,@function
_ZN7rocprim17ROCPRIM_400000_NS6detail17trampoline_kernelINS0_14default_configENS1_27scan_by_key_config_selectorIisEEZZNS1_16scan_by_key_implILNS1_25lookback_scan_determinismE0ELb1ES3_N6thrust23THRUST_200600_302600_NS6detail15normal_iteratorINS9_10device_ptrIiEEEENSB_INSC_IsEEEESG_sNS9_4plusIvEENS9_8equal_toIvEEsEE10hipError_tPvRmT2_T3_T4_T5_mT6_T7_P12ihipStream_tbENKUlT_T0_E_clISt17integral_constantIbLb1EES11_EEDaSW_SX_EUlSW_E_NS1_11comp_targetILNS1_3genE0ELNS1_11target_archE4294967295ELNS1_3gpuE0ELNS1_3repE0EEENS1_30default_config_static_selectorELNS0_4arch9wavefront6targetE0EEEvT1_: ; @_ZN7rocprim17ROCPRIM_400000_NS6detail17trampoline_kernelINS0_14default_configENS1_27scan_by_key_config_selectorIisEEZZNS1_16scan_by_key_implILNS1_25lookback_scan_determinismE0ELb1ES3_N6thrust23THRUST_200600_302600_NS6detail15normal_iteratorINS9_10device_ptrIiEEEENSB_INSC_IsEEEESG_sNS9_4plusIvEENS9_8equal_toIvEEsEE10hipError_tPvRmT2_T3_T4_T5_mT6_T7_P12ihipStream_tbENKUlT_T0_E_clISt17integral_constantIbLb1EES11_EEDaSW_SX_EUlSW_E_NS1_11comp_targetILNS1_3genE0ELNS1_11target_archE4294967295ELNS1_3gpuE0ELNS1_3repE0EEENS1_30default_config_static_selectorELNS0_4arch9wavefront6targetE0EEEvT1_
; %bb.0:
	s_endpgm
	.section	.rodata,"a",@progbits
	.p2align	6, 0x0
	.amdhsa_kernel _ZN7rocprim17ROCPRIM_400000_NS6detail17trampoline_kernelINS0_14default_configENS1_27scan_by_key_config_selectorIisEEZZNS1_16scan_by_key_implILNS1_25lookback_scan_determinismE0ELb1ES3_N6thrust23THRUST_200600_302600_NS6detail15normal_iteratorINS9_10device_ptrIiEEEENSB_INSC_IsEEEESG_sNS9_4plusIvEENS9_8equal_toIvEEsEE10hipError_tPvRmT2_T3_T4_T5_mT6_T7_P12ihipStream_tbENKUlT_T0_E_clISt17integral_constantIbLb1EES11_EEDaSW_SX_EUlSW_E_NS1_11comp_targetILNS1_3genE0ELNS1_11target_archE4294967295ELNS1_3gpuE0ELNS1_3repE0EEENS1_30default_config_static_selectorELNS0_4arch9wavefront6targetE0EEEvT1_
		.amdhsa_group_segment_fixed_size 0
		.amdhsa_private_segment_fixed_size 0
		.amdhsa_kernarg_size 112
		.amdhsa_user_sgpr_count 2
		.amdhsa_user_sgpr_dispatch_ptr 0
		.amdhsa_user_sgpr_queue_ptr 0
		.amdhsa_user_sgpr_kernarg_segment_ptr 1
		.amdhsa_user_sgpr_dispatch_id 0
		.amdhsa_user_sgpr_kernarg_preload_length 0
		.amdhsa_user_sgpr_kernarg_preload_offset 0
		.amdhsa_user_sgpr_private_segment_size 0
		.amdhsa_wavefront_size32 1
		.amdhsa_uses_dynamic_stack 0
		.amdhsa_enable_private_segment 0
		.amdhsa_system_sgpr_workgroup_id_x 1
		.amdhsa_system_sgpr_workgroup_id_y 0
		.amdhsa_system_sgpr_workgroup_id_z 0
		.amdhsa_system_sgpr_workgroup_info 0
		.amdhsa_system_vgpr_workitem_id 0
		.amdhsa_next_free_vgpr 1
		.amdhsa_next_free_sgpr 1
		.amdhsa_named_barrier_count 0
		.amdhsa_reserve_vcc 0
		.amdhsa_float_round_mode_32 0
		.amdhsa_float_round_mode_16_64 0
		.amdhsa_float_denorm_mode_32 3
		.amdhsa_float_denorm_mode_16_64 3
		.amdhsa_fp16_overflow 0
		.amdhsa_memory_ordered 1
		.amdhsa_forward_progress 1
		.amdhsa_inst_pref_size 1
		.amdhsa_round_robin_scheduling 0
		.amdhsa_exception_fp_ieee_invalid_op 0
		.amdhsa_exception_fp_denorm_src 0
		.amdhsa_exception_fp_ieee_div_zero 0
		.amdhsa_exception_fp_ieee_overflow 0
		.amdhsa_exception_fp_ieee_underflow 0
		.amdhsa_exception_fp_ieee_inexact 0
		.amdhsa_exception_int_div_zero 0
	.end_amdhsa_kernel
	.section	.text._ZN7rocprim17ROCPRIM_400000_NS6detail17trampoline_kernelINS0_14default_configENS1_27scan_by_key_config_selectorIisEEZZNS1_16scan_by_key_implILNS1_25lookback_scan_determinismE0ELb1ES3_N6thrust23THRUST_200600_302600_NS6detail15normal_iteratorINS9_10device_ptrIiEEEENSB_INSC_IsEEEESG_sNS9_4plusIvEENS9_8equal_toIvEEsEE10hipError_tPvRmT2_T3_T4_T5_mT6_T7_P12ihipStream_tbENKUlT_T0_E_clISt17integral_constantIbLb1EES11_EEDaSW_SX_EUlSW_E_NS1_11comp_targetILNS1_3genE0ELNS1_11target_archE4294967295ELNS1_3gpuE0ELNS1_3repE0EEENS1_30default_config_static_selectorELNS0_4arch9wavefront6targetE0EEEvT1_,"axG",@progbits,_ZN7rocprim17ROCPRIM_400000_NS6detail17trampoline_kernelINS0_14default_configENS1_27scan_by_key_config_selectorIisEEZZNS1_16scan_by_key_implILNS1_25lookback_scan_determinismE0ELb1ES3_N6thrust23THRUST_200600_302600_NS6detail15normal_iteratorINS9_10device_ptrIiEEEENSB_INSC_IsEEEESG_sNS9_4plusIvEENS9_8equal_toIvEEsEE10hipError_tPvRmT2_T3_T4_T5_mT6_T7_P12ihipStream_tbENKUlT_T0_E_clISt17integral_constantIbLb1EES11_EEDaSW_SX_EUlSW_E_NS1_11comp_targetILNS1_3genE0ELNS1_11target_archE4294967295ELNS1_3gpuE0ELNS1_3repE0EEENS1_30default_config_static_selectorELNS0_4arch9wavefront6targetE0EEEvT1_,comdat
.Lfunc_end1616:
	.size	_ZN7rocprim17ROCPRIM_400000_NS6detail17trampoline_kernelINS0_14default_configENS1_27scan_by_key_config_selectorIisEEZZNS1_16scan_by_key_implILNS1_25lookback_scan_determinismE0ELb1ES3_N6thrust23THRUST_200600_302600_NS6detail15normal_iteratorINS9_10device_ptrIiEEEENSB_INSC_IsEEEESG_sNS9_4plusIvEENS9_8equal_toIvEEsEE10hipError_tPvRmT2_T3_T4_T5_mT6_T7_P12ihipStream_tbENKUlT_T0_E_clISt17integral_constantIbLb1EES11_EEDaSW_SX_EUlSW_E_NS1_11comp_targetILNS1_3genE0ELNS1_11target_archE4294967295ELNS1_3gpuE0ELNS1_3repE0EEENS1_30default_config_static_selectorELNS0_4arch9wavefront6targetE0EEEvT1_, .Lfunc_end1616-_ZN7rocprim17ROCPRIM_400000_NS6detail17trampoline_kernelINS0_14default_configENS1_27scan_by_key_config_selectorIisEEZZNS1_16scan_by_key_implILNS1_25lookback_scan_determinismE0ELb1ES3_N6thrust23THRUST_200600_302600_NS6detail15normal_iteratorINS9_10device_ptrIiEEEENSB_INSC_IsEEEESG_sNS9_4plusIvEENS9_8equal_toIvEEsEE10hipError_tPvRmT2_T3_T4_T5_mT6_T7_P12ihipStream_tbENKUlT_T0_E_clISt17integral_constantIbLb1EES11_EEDaSW_SX_EUlSW_E_NS1_11comp_targetILNS1_3genE0ELNS1_11target_archE4294967295ELNS1_3gpuE0ELNS1_3repE0EEENS1_30default_config_static_selectorELNS0_4arch9wavefront6targetE0EEEvT1_
                                        ; -- End function
	.set _ZN7rocprim17ROCPRIM_400000_NS6detail17trampoline_kernelINS0_14default_configENS1_27scan_by_key_config_selectorIisEEZZNS1_16scan_by_key_implILNS1_25lookback_scan_determinismE0ELb1ES3_N6thrust23THRUST_200600_302600_NS6detail15normal_iteratorINS9_10device_ptrIiEEEENSB_INSC_IsEEEESG_sNS9_4plusIvEENS9_8equal_toIvEEsEE10hipError_tPvRmT2_T3_T4_T5_mT6_T7_P12ihipStream_tbENKUlT_T0_E_clISt17integral_constantIbLb1EES11_EEDaSW_SX_EUlSW_E_NS1_11comp_targetILNS1_3genE0ELNS1_11target_archE4294967295ELNS1_3gpuE0ELNS1_3repE0EEENS1_30default_config_static_selectorELNS0_4arch9wavefront6targetE0EEEvT1_.num_vgpr, 0
	.set _ZN7rocprim17ROCPRIM_400000_NS6detail17trampoline_kernelINS0_14default_configENS1_27scan_by_key_config_selectorIisEEZZNS1_16scan_by_key_implILNS1_25lookback_scan_determinismE0ELb1ES3_N6thrust23THRUST_200600_302600_NS6detail15normal_iteratorINS9_10device_ptrIiEEEENSB_INSC_IsEEEESG_sNS9_4plusIvEENS9_8equal_toIvEEsEE10hipError_tPvRmT2_T3_T4_T5_mT6_T7_P12ihipStream_tbENKUlT_T0_E_clISt17integral_constantIbLb1EES11_EEDaSW_SX_EUlSW_E_NS1_11comp_targetILNS1_3genE0ELNS1_11target_archE4294967295ELNS1_3gpuE0ELNS1_3repE0EEENS1_30default_config_static_selectorELNS0_4arch9wavefront6targetE0EEEvT1_.num_agpr, 0
	.set _ZN7rocprim17ROCPRIM_400000_NS6detail17trampoline_kernelINS0_14default_configENS1_27scan_by_key_config_selectorIisEEZZNS1_16scan_by_key_implILNS1_25lookback_scan_determinismE0ELb1ES3_N6thrust23THRUST_200600_302600_NS6detail15normal_iteratorINS9_10device_ptrIiEEEENSB_INSC_IsEEEESG_sNS9_4plusIvEENS9_8equal_toIvEEsEE10hipError_tPvRmT2_T3_T4_T5_mT6_T7_P12ihipStream_tbENKUlT_T0_E_clISt17integral_constantIbLb1EES11_EEDaSW_SX_EUlSW_E_NS1_11comp_targetILNS1_3genE0ELNS1_11target_archE4294967295ELNS1_3gpuE0ELNS1_3repE0EEENS1_30default_config_static_selectorELNS0_4arch9wavefront6targetE0EEEvT1_.numbered_sgpr, 0
	.set _ZN7rocprim17ROCPRIM_400000_NS6detail17trampoline_kernelINS0_14default_configENS1_27scan_by_key_config_selectorIisEEZZNS1_16scan_by_key_implILNS1_25lookback_scan_determinismE0ELb1ES3_N6thrust23THRUST_200600_302600_NS6detail15normal_iteratorINS9_10device_ptrIiEEEENSB_INSC_IsEEEESG_sNS9_4plusIvEENS9_8equal_toIvEEsEE10hipError_tPvRmT2_T3_T4_T5_mT6_T7_P12ihipStream_tbENKUlT_T0_E_clISt17integral_constantIbLb1EES11_EEDaSW_SX_EUlSW_E_NS1_11comp_targetILNS1_3genE0ELNS1_11target_archE4294967295ELNS1_3gpuE0ELNS1_3repE0EEENS1_30default_config_static_selectorELNS0_4arch9wavefront6targetE0EEEvT1_.num_named_barrier, 0
	.set _ZN7rocprim17ROCPRIM_400000_NS6detail17trampoline_kernelINS0_14default_configENS1_27scan_by_key_config_selectorIisEEZZNS1_16scan_by_key_implILNS1_25lookback_scan_determinismE0ELb1ES3_N6thrust23THRUST_200600_302600_NS6detail15normal_iteratorINS9_10device_ptrIiEEEENSB_INSC_IsEEEESG_sNS9_4plusIvEENS9_8equal_toIvEEsEE10hipError_tPvRmT2_T3_T4_T5_mT6_T7_P12ihipStream_tbENKUlT_T0_E_clISt17integral_constantIbLb1EES11_EEDaSW_SX_EUlSW_E_NS1_11comp_targetILNS1_3genE0ELNS1_11target_archE4294967295ELNS1_3gpuE0ELNS1_3repE0EEENS1_30default_config_static_selectorELNS0_4arch9wavefront6targetE0EEEvT1_.private_seg_size, 0
	.set _ZN7rocprim17ROCPRIM_400000_NS6detail17trampoline_kernelINS0_14default_configENS1_27scan_by_key_config_selectorIisEEZZNS1_16scan_by_key_implILNS1_25lookback_scan_determinismE0ELb1ES3_N6thrust23THRUST_200600_302600_NS6detail15normal_iteratorINS9_10device_ptrIiEEEENSB_INSC_IsEEEESG_sNS9_4plusIvEENS9_8equal_toIvEEsEE10hipError_tPvRmT2_T3_T4_T5_mT6_T7_P12ihipStream_tbENKUlT_T0_E_clISt17integral_constantIbLb1EES11_EEDaSW_SX_EUlSW_E_NS1_11comp_targetILNS1_3genE0ELNS1_11target_archE4294967295ELNS1_3gpuE0ELNS1_3repE0EEENS1_30default_config_static_selectorELNS0_4arch9wavefront6targetE0EEEvT1_.uses_vcc, 0
	.set _ZN7rocprim17ROCPRIM_400000_NS6detail17trampoline_kernelINS0_14default_configENS1_27scan_by_key_config_selectorIisEEZZNS1_16scan_by_key_implILNS1_25lookback_scan_determinismE0ELb1ES3_N6thrust23THRUST_200600_302600_NS6detail15normal_iteratorINS9_10device_ptrIiEEEENSB_INSC_IsEEEESG_sNS9_4plusIvEENS9_8equal_toIvEEsEE10hipError_tPvRmT2_T3_T4_T5_mT6_T7_P12ihipStream_tbENKUlT_T0_E_clISt17integral_constantIbLb1EES11_EEDaSW_SX_EUlSW_E_NS1_11comp_targetILNS1_3genE0ELNS1_11target_archE4294967295ELNS1_3gpuE0ELNS1_3repE0EEENS1_30default_config_static_selectorELNS0_4arch9wavefront6targetE0EEEvT1_.uses_flat_scratch, 0
	.set _ZN7rocprim17ROCPRIM_400000_NS6detail17trampoline_kernelINS0_14default_configENS1_27scan_by_key_config_selectorIisEEZZNS1_16scan_by_key_implILNS1_25lookback_scan_determinismE0ELb1ES3_N6thrust23THRUST_200600_302600_NS6detail15normal_iteratorINS9_10device_ptrIiEEEENSB_INSC_IsEEEESG_sNS9_4plusIvEENS9_8equal_toIvEEsEE10hipError_tPvRmT2_T3_T4_T5_mT6_T7_P12ihipStream_tbENKUlT_T0_E_clISt17integral_constantIbLb1EES11_EEDaSW_SX_EUlSW_E_NS1_11comp_targetILNS1_3genE0ELNS1_11target_archE4294967295ELNS1_3gpuE0ELNS1_3repE0EEENS1_30default_config_static_selectorELNS0_4arch9wavefront6targetE0EEEvT1_.has_dyn_sized_stack, 0
	.set _ZN7rocprim17ROCPRIM_400000_NS6detail17trampoline_kernelINS0_14default_configENS1_27scan_by_key_config_selectorIisEEZZNS1_16scan_by_key_implILNS1_25lookback_scan_determinismE0ELb1ES3_N6thrust23THRUST_200600_302600_NS6detail15normal_iteratorINS9_10device_ptrIiEEEENSB_INSC_IsEEEESG_sNS9_4plusIvEENS9_8equal_toIvEEsEE10hipError_tPvRmT2_T3_T4_T5_mT6_T7_P12ihipStream_tbENKUlT_T0_E_clISt17integral_constantIbLb1EES11_EEDaSW_SX_EUlSW_E_NS1_11comp_targetILNS1_3genE0ELNS1_11target_archE4294967295ELNS1_3gpuE0ELNS1_3repE0EEENS1_30default_config_static_selectorELNS0_4arch9wavefront6targetE0EEEvT1_.has_recursion, 0
	.set _ZN7rocprim17ROCPRIM_400000_NS6detail17trampoline_kernelINS0_14default_configENS1_27scan_by_key_config_selectorIisEEZZNS1_16scan_by_key_implILNS1_25lookback_scan_determinismE0ELb1ES3_N6thrust23THRUST_200600_302600_NS6detail15normal_iteratorINS9_10device_ptrIiEEEENSB_INSC_IsEEEESG_sNS9_4plusIvEENS9_8equal_toIvEEsEE10hipError_tPvRmT2_T3_T4_T5_mT6_T7_P12ihipStream_tbENKUlT_T0_E_clISt17integral_constantIbLb1EES11_EEDaSW_SX_EUlSW_E_NS1_11comp_targetILNS1_3genE0ELNS1_11target_archE4294967295ELNS1_3gpuE0ELNS1_3repE0EEENS1_30default_config_static_selectorELNS0_4arch9wavefront6targetE0EEEvT1_.has_indirect_call, 0
	.section	.AMDGPU.csdata,"",@progbits
; Kernel info:
; codeLenInByte = 4
; TotalNumSgprs: 0
; NumVgprs: 0
; ScratchSize: 0
; MemoryBound: 0
; FloatMode: 240
; IeeeMode: 1
; LDSByteSize: 0 bytes/workgroup (compile time only)
; SGPRBlocks: 0
; VGPRBlocks: 0
; NumSGPRsForWavesPerEU: 1
; NumVGPRsForWavesPerEU: 1
; NamedBarCnt: 0
; Occupancy: 16
; WaveLimiterHint : 0
; COMPUTE_PGM_RSRC2:SCRATCH_EN: 0
; COMPUTE_PGM_RSRC2:USER_SGPR: 2
; COMPUTE_PGM_RSRC2:TRAP_HANDLER: 0
; COMPUTE_PGM_RSRC2:TGID_X_EN: 1
; COMPUTE_PGM_RSRC2:TGID_Y_EN: 0
; COMPUTE_PGM_RSRC2:TGID_Z_EN: 0
; COMPUTE_PGM_RSRC2:TIDIG_COMP_CNT: 0
	.section	.text._ZN7rocprim17ROCPRIM_400000_NS6detail17trampoline_kernelINS0_14default_configENS1_27scan_by_key_config_selectorIisEEZZNS1_16scan_by_key_implILNS1_25lookback_scan_determinismE0ELb1ES3_N6thrust23THRUST_200600_302600_NS6detail15normal_iteratorINS9_10device_ptrIiEEEENSB_INSC_IsEEEESG_sNS9_4plusIvEENS9_8equal_toIvEEsEE10hipError_tPvRmT2_T3_T4_T5_mT6_T7_P12ihipStream_tbENKUlT_T0_E_clISt17integral_constantIbLb1EES11_EEDaSW_SX_EUlSW_E_NS1_11comp_targetILNS1_3genE10ELNS1_11target_archE1201ELNS1_3gpuE5ELNS1_3repE0EEENS1_30default_config_static_selectorELNS0_4arch9wavefront6targetE0EEEvT1_,"axG",@progbits,_ZN7rocprim17ROCPRIM_400000_NS6detail17trampoline_kernelINS0_14default_configENS1_27scan_by_key_config_selectorIisEEZZNS1_16scan_by_key_implILNS1_25lookback_scan_determinismE0ELb1ES3_N6thrust23THRUST_200600_302600_NS6detail15normal_iteratorINS9_10device_ptrIiEEEENSB_INSC_IsEEEESG_sNS9_4plusIvEENS9_8equal_toIvEEsEE10hipError_tPvRmT2_T3_T4_T5_mT6_T7_P12ihipStream_tbENKUlT_T0_E_clISt17integral_constantIbLb1EES11_EEDaSW_SX_EUlSW_E_NS1_11comp_targetILNS1_3genE10ELNS1_11target_archE1201ELNS1_3gpuE5ELNS1_3repE0EEENS1_30default_config_static_selectorELNS0_4arch9wavefront6targetE0EEEvT1_,comdat
	.protected	_ZN7rocprim17ROCPRIM_400000_NS6detail17trampoline_kernelINS0_14default_configENS1_27scan_by_key_config_selectorIisEEZZNS1_16scan_by_key_implILNS1_25lookback_scan_determinismE0ELb1ES3_N6thrust23THRUST_200600_302600_NS6detail15normal_iteratorINS9_10device_ptrIiEEEENSB_INSC_IsEEEESG_sNS9_4plusIvEENS9_8equal_toIvEEsEE10hipError_tPvRmT2_T3_T4_T5_mT6_T7_P12ihipStream_tbENKUlT_T0_E_clISt17integral_constantIbLb1EES11_EEDaSW_SX_EUlSW_E_NS1_11comp_targetILNS1_3genE10ELNS1_11target_archE1201ELNS1_3gpuE5ELNS1_3repE0EEENS1_30default_config_static_selectorELNS0_4arch9wavefront6targetE0EEEvT1_ ; -- Begin function _ZN7rocprim17ROCPRIM_400000_NS6detail17trampoline_kernelINS0_14default_configENS1_27scan_by_key_config_selectorIisEEZZNS1_16scan_by_key_implILNS1_25lookback_scan_determinismE0ELb1ES3_N6thrust23THRUST_200600_302600_NS6detail15normal_iteratorINS9_10device_ptrIiEEEENSB_INSC_IsEEEESG_sNS9_4plusIvEENS9_8equal_toIvEEsEE10hipError_tPvRmT2_T3_T4_T5_mT6_T7_P12ihipStream_tbENKUlT_T0_E_clISt17integral_constantIbLb1EES11_EEDaSW_SX_EUlSW_E_NS1_11comp_targetILNS1_3genE10ELNS1_11target_archE1201ELNS1_3gpuE5ELNS1_3repE0EEENS1_30default_config_static_selectorELNS0_4arch9wavefront6targetE0EEEvT1_
	.globl	_ZN7rocprim17ROCPRIM_400000_NS6detail17trampoline_kernelINS0_14default_configENS1_27scan_by_key_config_selectorIisEEZZNS1_16scan_by_key_implILNS1_25lookback_scan_determinismE0ELb1ES3_N6thrust23THRUST_200600_302600_NS6detail15normal_iteratorINS9_10device_ptrIiEEEENSB_INSC_IsEEEESG_sNS9_4plusIvEENS9_8equal_toIvEEsEE10hipError_tPvRmT2_T3_T4_T5_mT6_T7_P12ihipStream_tbENKUlT_T0_E_clISt17integral_constantIbLb1EES11_EEDaSW_SX_EUlSW_E_NS1_11comp_targetILNS1_3genE10ELNS1_11target_archE1201ELNS1_3gpuE5ELNS1_3repE0EEENS1_30default_config_static_selectorELNS0_4arch9wavefront6targetE0EEEvT1_
	.p2align	8
	.type	_ZN7rocprim17ROCPRIM_400000_NS6detail17trampoline_kernelINS0_14default_configENS1_27scan_by_key_config_selectorIisEEZZNS1_16scan_by_key_implILNS1_25lookback_scan_determinismE0ELb1ES3_N6thrust23THRUST_200600_302600_NS6detail15normal_iteratorINS9_10device_ptrIiEEEENSB_INSC_IsEEEESG_sNS9_4plusIvEENS9_8equal_toIvEEsEE10hipError_tPvRmT2_T3_T4_T5_mT6_T7_P12ihipStream_tbENKUlT_T0_E_clISt17integral_constantIbLb1EES11_EEDaSW_SX_EUlSW_E_NS1_11comp_targetILNS1_3genE10ELNS1_11target_archE1201ELNS1_3gpuE5ELNS1_3repE0EEENS1_30default_config_static_selectorELNS0_4arch9wavefront6targetE0EEEvT1_,@function
_ZN7rocprim17ROCPRIM_400000_NS6detail17trampoline_kernelINS0_14default_configENS1_27scan_by_key_config_selectorIisEEZZNS1_16scan_by_key_implILNS1_25lookback_scan_determinismE0ELb1ES3_N6thrust23THRUST_200600_302600_NS6detail15normal_iteratorINS9_10device_ptrIiEEEENSB_INSC_IsEEEESG_sNS9_4plusIvEENS9_8equal_toIvEEsEE10hipError_tPvRmT2_T3_T4_T5_mT6_T7_P12ihipStream_tbENKUlT_T0_E_clISt17integral_constantIbLb1EES11_EEDaSW_SX_EUlSW_E_NS1_11comp_targetILNS1_3genE10ELNS1_11target_archE1201ELNS1_3gpuE5ELNS1_3repE0EEENS1_30default_config_static_selectorELNS0_4arch9wavefront6targetE0EEEvT1_: ; @_ZN7rocprim17ROCPRIM_400000_NS6detail17trampoline_kernelINS0_14default_configENS1_27scan_by_key_config_selectorIisEEZZNS1_16scan_by_key_implILNS1_25lookback_scan_determinismE0ELb1ES3_N6thrust23THRUST_200600_302600_NS6detail15normal_iteratorINS9_10device_ptrIiEEEENSB_INSC_IsEEEESG_sNS9_4plusIvEENS9_8equal_toIvEEsEE10hipError_tPvRmT2_T3_T4_T5_mT6_T7_P12ihipStream_tbENKUlT_T0_E_clISt17integral_constantIbLb1EES11_EEDaSW_SX_EUlSW_E_NS1_11comp_targetILNS1_3genE10ELNS1_11target_archE1201ELNS1_3gpuE5ELNS1_3repE0EEENS1_30default_config_static_selectorELNS0_4arch9wavefront6targetE0EEEvT1_
; %bb.0:
	.section	.rodata,"a",@progbits
	.p2align	6, 0x0
	.amdhsa_kernel _ZN7rocprim17ROCPRIM_400000_NS6detail17trampoline_kernelINS0_14default_configENS1_27scan_by_key_config_selectorIisEEZZNS1_16scan_by_key_implILNS1_25lookback_scan_determinismE0ELb1ES3_N6thrust23THRUST_200600_302600_NS6detail15normal_iteratorINS9_10device_ptrIiEEEENSB_INSC_IsEEEESG_sNS9_4plusIvEENS9_8equal_toIvEEsEE10hipError_tPvRmT2_T3_T4_T5_mT6_T7_P12ihipStream_tbENKUlT_T0_E_clISt17integral_constantIbLb1EES11_EEDaSW_SX_EUlSW_E_NS1_11comp_targetILNS1_3genE10ELNS1_11target_archE1201ELNS1_3gpuE5ELNS1_3repE0EEENS1_30default_config_static_selectorELNS0_4arch9wavefront6targetE0EEEvT1_
		.amdhsa_group_segment_fixed_size 0
		.amdhsa_private_segment_fixed_size 0
		.amdhsa_kernarg_size 112
		.amdhsa_user_sgpr_count 2
		.amdhsa_user_sgpr_dispatch_ptr 0
		.amdhsa_user_sgpr_queue_ptr 0
		.amdhsa_user_sgpr_kernarg_segment_ptr 1
		.amdhsa_user_sgpr_dispatch_id 0
		.amdhsa_user_sgpr_kernarg_preload_length 0
		.amdhsa_user_sgpr_kernarg_preload_offset 0
		.amdhsa_user_sgpr_private_segment_size 0
		.amdhsa_wavefront_size32 1
		.amdhsa_uses_dynamic_stack 0
		.amdhsa_enable_private_segment 0
		.amdhsa_system_sgpr_workgroup_id_x 1
		.amdhsa_system_sgpr_workgroup_id_y 0
		.amdhsa_system_sgpr_workgroup_id_z 0
		.amdhsa_system_sgpr_workgroup_info 0
		.amdhsa_system_vgpr_workitem_id 0
		.amdhsa_next_free_vgpr 1
		.amdhsa_next_free_sgpr 1
		.amdhsa_named_barrier_count 0
		.amdhsa_reserve_vcc 0
		.amdhsa_float_round_mode_32 0
		.amdhsa_float_round_mode_16_64 0
		.amdhsa_float_denorm_mode_32 3
		.amdhsa_float_denorm_mode_16_64 3
		.amdhsa_fp16_overflow 0
		.amdhsa_memory_ordered 1
		.amdhsa_forward_progress 1
		.amdhsa_inst_pref_size 0
		.amdhsa_round_robin_scheduling 0
		.amdhsa_exception_fp_ieee_invalid_op 0
		.amdhsa_exception_fp_denorm_src 0
		.amdhsa_exception_fp_ieee_div_zero 0
		.amdhsa_exception_fp_ieee_overflow 0
		.amdhsa_exception_fp_ieee_underflow 0
		.amdhsa_exception_fp_ieee_inexact 0
		.amdhsa_exception_int_div_zero 0
	.end_amdhsa_kernel
	.section	.text._ZN7rocprim17ROCPRIM_400000_NS6detail17trampoline_kernelINS0_14default_configENS1_27scan_by_key_config_selectorIisEEZZNS1_16scan_by_key_implILNS1_25lookback_scan_determinismE0ELb1ES3_N6thrust23THRUST_200600_302600_NS6detail15normal_iteratorINS9_10device_ptrIiEEEENSB_INSC_IsEEEESG_sNS9_4plusIvEENS9_8equal_toIvEEsEE10hipError_tPvRmT2_T3_T4_T5_mT6_T7_P12ihipStream_tbENKUlT_T0_E_clISt17integral_constantIbLb1EES11_EEDaSW_SX_EUlSW_E_NS1_11comp_targetILNS1_3genE10ELNS1_11target_archE1201ELNS1_3gpuE5ELNS1_3repE0EEENS1_30default_config_static_selectorELNS0_4arch9wavefront6targetE0EEEvT1_,"axG",@progbits,_ZN7rocprim17ROCPRIM_400000_NS6detail17trampoline_kernelINS0_14default_configENS1_27scan_by_key_config_selectorIisEEZZNS1_16scan_by_key_implILNS1_25lookback_scan_determinismE0ELb1ES3_N6thrust23THRUST_200600_302600_NS6detail15normal_iteratorINS9_10device_ptrIiEEEENSB_INSC_IsEEEESG_sNS9_4plusIvEENS9_8equal_toIvEEsEE10hipError_tPvRmT2_T3_T4_T5_mT6_T7_P12ihipStream_tbENKUlT_T0_E_clISt17integral_constantIbLb1EES11_EEDaSW_SX_EUlSW_E_NS1_11comp_targetILNS1_3genE10ELNS1_11target_archE1201ELNS1_3gpuE5ELNS1_3repE0EEENS1_30default_config_static_selectorELNS0_4arch9wavefront6targetE0EEEvT1_,comdat
.Lfunc_end1617:
	.size	_ZN7rocprim17ROCPRIM_400000_NS6detail17trampoline_kernelINS0_14default_configENS1_27scan_by_key_config_selectorIisEEZZNS1_16scan_by_key_implILNS1_25lookback_scan_determinismE0ELb1ES3_N6thrust23THRUST_200600_302600_NS6detail15normal_iteratorINS9_10device_ptrIiEEEENSB_INSC_IsEEEESG_sNS9_4plusIvEENS9_8equal_toIvEEsEE10hipError_tPvRmT2_T3_T4_T5_mT6_T7_P12ihipStream_tbENKUlT_T0_E_clISt17integral_constantIbLb1EES11_EEDaSW_SX_EUlSW_E_NS1_11comp_targetILNS1_3genE10ELNS1_11target_archE1201ELNS1_3gpuE5ELNS1_3repE0EEENS1_30default_config_static_selectorELNS0_4arch9wavefront6targetE0EEEvT1_, .Lfunc_end1617-_ZN7rocprim17ROCPRIM_400000_NS6detail17trampoline_kernelINS0_14default_configENS1_27scan_by_key_config_selectorIisEEZZNS1_16scan_by_key_implILNS1_25lookback_scan_determinismE0ELb1ES3_N6thrust23THRUST_200600_302600_NS6detail15normal_iteratorINS9_10device_ptrIiEEEENSB_INSC_IsEEEESG_sNS9_4plusIvEENS9_8equal_toIvEEsEE10hipError_tPvRmT2_T3_T4_T5_mT6_T7_P12ihipStream_tbENKUlT_T0_E_clISt17integral_constantIbLb1EES11_EEDaSW_SX_EUlSW_E_NS1_11comp_targetILNS1_3genE10ELNS1_11target_archE1201ELNS1_3gpuE5ELNS1_3repE0EEENS1_30default_config_static_selectorELNS0_4arch9wavefront6targetE0EEEvT1_
                                        ; -- End function
	.set _ZN7rocprim17ROCPRIM_400000_NS6detail17trampoline_kernelINS0_14default_configENS1_27scan_by_key_config_selectorIisEEZZNS1_16scan_by_key_implILNS1_25lookback_scan_determinismE0ELb1ES3_N6thrust23THRUST_200600_302600_NS6detail15normal_iteratorINS9_10device_ptrIiEEEENSB_INSC_IsEEEESG_sNS9_4plusIvEENS9_8equal_toIvEEsEE10hipError_tPvRmT2_T3_T4_T5_mT6_T7_P12ihipStream_tbENKUlT_T0_E_clISt17integral_constantIbLb1EES11_EEDaSW_SX_EUlSW_E_NS1_11comp_targetILNS1_3genE10ELNS1_11target_archE1201ELNS1_3gpuE5ELNS1_3repE0EEENS1_30default_config_static_selectorELNS0_4arch9wavefront6targetE0EEEvT1_.num_vgpr, 0
	.set _ZN7rocprim17ROCPRIM_400000_NS6detail17trampoline_kernelINS0_14default_configENS1_27scan_by_key_config_selectorIisEEZZNS1_16scan_by_key_implILNS1_25lookback_scan_determinismE0ELb1ES3_N6thrust23THRUST_200600_302600_NS6detail15normal_iteratorINS9_10device_ptrIiEEEENSB_INSC_IsEEEESG_sNS9_4plusIvEENS9_8equal_toIvEEsEE10hipError_tPvRmT2_T3_T4_T5_mT6_T7_P12ihipStream_tbENKUlT_T0_E_clISt17integral_constantIbLb1EES11_EEDaSW_SX_EUlSW_E_NS1_11comp_targetILNS1_3genE10ELNS1_11target_archE1201ELNS1_3gpuE5ELNS1_3repE0EEENS1_30default_config_static_selectorELNS0_4arch9wavefront6targetE0EEEvT1_.num_agpr, 0
	.set _ZN7rocprim17ROCPRIM_400000_NS6detail17trampoline_kernelINS0_14default_configENS1_27scan_by_key_config_selectorIisEEZZNS1_16scan_by_key_implILNS1_25lookback_scan_determinismE0ELb1ES3_N6thrust23THRUST_200600_302600_NS6detail15normal_iteratorINS9_10device_ptrIiEEEENSB_INSC_IsEEEESG_sNS9_4plusIvEENS9_8equal_toIvEEsEE10hipError_tPvRmT2_T3_T4_T5_mT6_T7_P12ihipStream_tbENKUlT_T0_E_clISt17integral_constantIbLb1EES11_EEDaSW_SX_EUlSW_E_NS1_11comp_targetILNS1_3genE10ELNS1_11target_archE1201ELNS1_3gpuE5ELNS1_3repE0EEENS1_30default_config_static_selectorELNS0_4arch9wavefront6targetE0EEEvT1_.numbered_sgpr, 0
	.set _ZN7rocprim17ROCPRIM_400000_NS6detail17trampoline_kernelINS0_14default_configENS1_27scan_by_key_config_selectorIisEEZZNS1_16scan_by_key_implILNS1_25lookback_scan_determinismE0ELb1ES3_N6thrust23THRUST_200600_302600_NS6detail15normal_iteratorINS9_10device_ptrIiEEEENSB_INSC_IsEEEESG_sNS9_4plusIvEENS9_8equal_toIvEEsEE10hipError_tPvRmT2_T3_T4_T5_mT6_T7_P12ihipStream_tbENKUlT_T0_E_clISt17integral_constantIbLb1EES11_EEDaSW_SX_EUlSW_E_NS1_11comp_targetILNS1_3genE10ELNS1_11target_archE1201ELNS1_3gpuE5ELNS1_3repE0EEENS1_30default_config_static_selectorELNS0_4arch9wavefront6targetE0EEEvT1_.num_named_barrier, 0
	.set _ZN7rocprim17ROCPRIM_400000_NS6detail17trampoline_kernelINS0_14default_configENS1_27scan_by_key_config_selectorIisEEZZNS1_16scan_by_key_implILNS1_25lookback_scan_determinismE0ELb1ES3_N6thrust23THRUST_200600_302600_NS6detail15normal_iteratorINS9_10device_ptrIiEEEENSB_INSC_IsEEEESG_sNS9_4plusIvEENS9_8equal_toIvEEsEE10hipError_tPvRmT2_T3_T4_T5_mT6_T7_P12ihipStream_tbENKUlT_T0_E_clISt17integral_constantIbLb1EES11_EEDaSW_SX_EUlSW_E_NS1_11comp_targetILNS1_3genE10ELNS1_11target_archE1201ELNS1_3gpuE5ELNS1_3repE0EEENS1_30default_config_static_selectorELNS0_4arch9wavefront6targetE0EEEvT1_.private_seg_size, 0
	.set _ZN7rocprim17ROCPRIM_400000_NS6detail17trampoline_kernelINS0_14default_configENS1_27scan_by_key_config_selectorIisEEZZNS1_16scan_by_key_implILNS1_25lookback_scan_determinismE0ELb1ES3_N6thrust23THRUST_200600_302600_NS6detail15normal_iteratorINS9_10device_ptrIiEEEENSB_INSC_IsEEEESG_sNS9_4plusIvEENS9_8equal_toIvEEsEE10hipError_tPvRmT2_T3_T4_T5_mT6_T7_P12ihipStream_tbENKUlT_T0_E_clISt17integral_constantIbLb1EES11_EEDaSW_SX_EUlSW_E_NS1_11comp_targetILNS1_3genE10ELNS1_11target_archE1201ELNS1_3gpuE5ELNS1_3repE0EEENS1_30default_config_static_selectorELNS0_4arch9wavefront6targetE0EEEvT1_.uses_vcc, 0
	.set _ZN7rocprim17ROCPRIM_400000_NS6detail17trampoline_kernelINS0_14default_configENS1_27scan_by_key_config_selectorIisEEZZNS1_16scan_by_key_implILNS1_25lookback_scan_determinismE0ELb1ES3_N6thrust23THRUST_200600_302600_NS6detail15normal_iteratorINS9_10device_ptrIiEEEENSB_INSC_IsEEEESG_sNS9_4plusIvEENS9_8equal_toIvEEsEE10hipError_tPvRmT2_T3_T4_T5_mT6_T7_P12ihipStream_tbENKUlT_T0_E_clISt17integral_constantIbLb1EES11_EEDaSW_SX_EUlSW_E_NS1_11comp_targetILNS1_3genE10ELNS1_11target_archE1201ELNS1_3gpuE5ELNS1_3repE0EEENS1_30default_config_static_selectorELNS0_4arch9wavefront6targetE0EEEvT1_.uses_flat_scratch, 0
	.set _ZN7rocprim17ROCPRIM_400000_NS6detail17trampoline_kernelINS0_14default_configENS1_27scan_by_key_config_selectorIisEEZZNS1_16scan_by_key_implILNS1_25lookback_scan_determinismE0ELb1ES3_N6thrust23THRUST_200600_302600_NS6detail15normal_iteratorINS9_10device_ptrIiEEEENSB_INSC_IsEEEESG_sNS9_4plusIvEENS9_8equal_toIvEEsEE10hipError_tPvRmT2_T3_T4_T5_mT6_T7_P12ihipStream_tbENKUlT_T0_E_clISt17integral_constantIbLb1EES11_EEDaSW_SX_EUlSW_E_NS1_11comp_targetILNS1_3genE10ELNS1_11target_archE1201ELNS1_3gpuE5ELNS1_3repE0EEENS1_30default_config_static_selectorELNS0_4arch9wavefront6targetE0EEEvT1_.has_dyn_sized_stack, 0
	.set _ZN7rocprim17ROCPRIM_400000_NS6detail17trampoline_kernelINS0_14default_configENS1_27scan_by_key_config_selectorIisEEZZNS1_16scan_by_key_implILNS1_25lookback_scan_determinismE0ELb1ES3_N6thrust23THRUST_200600_302600_NS6detail15normal_iteratorINS9_10device_ptrIiEEEENSB_INSC_IsEEEESG_sNS9_4plusIvEENS9_8equal_toIvEEsEE10hipError_tPvRmT2_T3_T4_T5_mT6_T7_P12ihipStream_tbENKUlT_T0_E_clISt17integral_constantIbLb1EES11_EEDaSW_SX_EUlSW_E_NS1_11comp_targetILNS1_3genE10ELNS1_11target_archE1201ELNS1_3gpuE5ELNS1_3repE0EEENS1_30default_config_static_selectorELNS0_4arch9wavefront6targetE0EEEvT1_.has_recursion, 0
	.set _ZN7rocprim17ROCPRIM_400000_NS6detail17trampoline_kernelINS0_14default_configENS1_27scan_by_key_config_selectorIisEEZZNS1_16scan_by_key_implILNS1_25lookback_scan_determinismE0ELb1ES3_N6thrust23THRUST_200600_302600_NS6detail15normal_iteratorINS9_10device_ptrIiEEEENSB_INSC_IsEEEESG_sNS9_4plusIvEENS9_8equal_toIvEEsEE10hipError_tPvRmT2_T3_T4_T5_mT6_T7_P12ihipStream_tbENKUlT_T0_E_clISt17integral_constantIbLb1EES11_EEDaSW_SX_EUlSW_E_NS1_11comp_targetILNS1_3genE10ELNS1_11target_archE1201ELNS1_3gpuE5ELNS1_3repE0EEENS1_30default_config_static_selectorELNS0_4arch9wavefront6targetE0EEEvT1_.has_indirect_call, 0
	.section	.AMDGPU.csdata,"",@progbits
; Kernel info:
; codeLenInByte = 0
; TotalNumSgprs: 0
; NumVgprs: 0
; ScratchSize: 0
; MemoryBound: 0
; FloatMode: 240
; IeeeMode: 1
; LDSByteSize: 0 bytes/workgroup (compile time only)
; SGPRBlocks: 0
; VGPRBlocks: 0
; NumSGPRsForWavesPerEU: 1
; NumVGPRsForWavesPerEU: 1
; NamedBarCnt: 0
; Occupancy: 16
; WaveLimiterHint : 0
; COMPUTE_PGM_RSRC2:SCRATCH_EN: 0
; COMPUTE_PGM_RSRC2:USER_SGPR: 2
; COMPUTE_PGM_RSRC2:TRAP_HANDLER: 0
; COMPUTE_PGM_RSRC2:TGID_X_EN: 1
; COMPUTE_PGM_RSRC2:TGID_Y_EN: 0
; COMPUTE_PGM_RSRC2:TGID_Z_EN: 0
; COMPUTE_PGM_RSRC2:TIDIG_COMP_CNT: 0
	.section	.text._ZN7rocprim17ROCPRIM_400000_NS6detail17trampoline_kernelINS0_14default_configENS1_27scan_by_key_config_selectorIisEEZZNS1_16scan_by_key_implILNS1_25lookback_scan_determinismE0ELb1ES3_N6thrust23THRUST_200600_302600_NS6detail15normal_iteratorINS9_10device_ptrIiEEEENSB_INSC_IsEEEESG_sNS9_4plusIvEENS9_8equal_toIvEEsEE10hipError_tPvRmT2_T3_T4_T5_mT6_T7_P12ihipStream_tbENKUlT_T0_E_clISt17integral_constantIbLb1EES11_EEDaSW_SX_EUlSW_E_NS1_11comp_targetILNS1_3genE5ELNS1_11target_archE942ELNS1_3gpuE9ELNS1_3repE0EEENS1_30default_config_static_selectorELNS0_4arch9wavefront6targetE0EEEvT1_,"axG",@progbits,_ZN7rocprim17ROCPRIM_400000_NS6detail17trampoline_kernelINS0_14default_configENS1_27scan_by_key_config_selectorIisEEZZNS1_16scan_by_key_implILNS1_25lookback_scan_determinismE0ELb1ES3_N6thrust23THRUST_200600_302600_NS6detail15normal_iteratorINS9_10device_ptrIiEEEENSB_INSC_IsEEEESG_sNS9_4plusIvEENS9_8equal_toIvEEsEE10hipError_tPvRmT2_T3_T4_T5_mT6_T7_P12ihipStream_tbENKUlT_T0_E_clISt17integral_constantIbLb1EES11_EEDaSW_SX_EUlSW_E_NS1_11comp_targetILNS1_3genE5ELNS1_11target_archE942ELNS1_3gpuE9ELNS1_3repE0EEENS1_30default_config_static_selectorELNS0_4arch9wavefront6targetE0EEEvT1_,comdat
	.protected	_ZN7rocprim17ROCPRIM_400000_NS6detail17trampoline_kernelINS0_14default_configENS1_27scan_by_key_config_selectorIisEEZZNS1_16scan_by_key_implILNS1_25lookback_scan_determinismE0ELb1ES3_N6thrust23THRUST_200600_302600_NS6detail15normal_iteratorINS9_10device_ptrIiEEEENSB_INSC_IsEEEESG_sNS9_4plusIvEENS9_8equal_toIvEEsEE10hipError_tPvRmT2_T3_T4_T5_mT6_T7_P12ihipStream_tbENKUlT_T0_E_clISt17integral_constantIbLb1EES11_EEDaSW_SX_EUlSW_E_NS1_11comp_targetILNS1_3genE5ELNS1_11target_archE942ELNS1_3gpuE9ELNS1_3repE0EEENS1_30default_config_static_selectorELNS0_4arch9wavefront6targetE0EEEvT1_ ; -- Begin function _ZN7rocprim17ROCPRIM_400000_NS6detail17trampoline_kernelINS0_14default_configENS1_27scan_by_key_config_selectorIisEEZZNS1_16scan_by_key_implILNS1_25lookback_scan_determinismE0ELb1ES3_N6thrust23THRUST_200600_302600_NS6detail15normal_iteratorINS9_10device_ptrIiEEEENSB_INSC_IsEEEESG_sNS9_4plusIvEENS9_8equal_toIvEEsEE10hipError_tPvRmT2_T3_T4_T5_mT6_T7_P12ihipStream_tbENKUlT_T0_E_clISt17integral_constantIbLb1EES11_EEDaSW_SX_EUlSW_E_NS1_11comp_targetILNS1_3genE5ELNS1_11target_archE942ELNS1_3gpuE9ELNS1_3repE0EEENS1_30default_config_static_selectorELNS0_4arch9wavefront6targetE0EEEvT1_
	.globl	_ZN7rocprim17ROCPRIM_400000_NS6detail17trampoline_kernelINS0_14default_configENS1_27scan_by_key_config_selectorIisEEZZNS1_16scan_by_key_implILNS1_25lookback_scan_determinismE0ELb1ES3_N6thrust23THRUST_200600_302600_NS6detail15normal_iteratorINS9_10device_ptrIiEEEENSB_INSC_IsEEEESG_sNS9_4plusIvEENS9_8equal_toIvEEsEE10hipError_tPvRmT2_T3_T4_T5_mT6_T7_P12ihipStream_tbENKUlT_T0_E_clISt17integral_constantIbLb1EES11_EEDaSW_SX_EUlSW_E_NS1_11comp_targetILNS1_3genE5ELNS1_11target_archE942ELNS1_3gpuE9ELNS1_3repE0EEENS1_30default_config_static_selectorELNS0_4arch9wavefront6targetE0EEEvT1_
	.p2align	8
	.type	_ZN7rocprim17ROCPRIM_400000_NS6detail17trampoline_kernelINS0_14default_configENS1_27scan_by_key_config_selectorIisEEZZNS1_16scan_by_key_implILNS1_25lookback_scan_determinismE0ELb1ES3_N6thrust23THRUST_200600_302600_NS6detail15normal_iteratorINS9_10device_ptrIiEEEENSB_INSC_IsEEEESG_sNS9_4plusIvEENS9_8equal_toIvEEsEE10hipError_tPvRmT2_T3_T4_T5_mT6_T7_P12ihipStream_tbENKUlT_T0_E_clISt17integral_constantIbLb1EES11_EEDaSW_SX_EUlSW_E_NS1_11comp_targetILNS1_3genE5ELNS1_11target_archE942ELNS1_3gpuE9ELNS1_3repE0EEENS1_30default_config_static_selectorELNS0_4arch9wavefront6targetE0EEEvT1_,@function
_ZN7rocprim17ROCPRIM_400000_NS6detail17trampoline_kernelINS0_14default_configENS1_27scan_by_key_config_selectorIisEEZZNS1_16scan_by_key_implILNS1_25lookback_scan_determinismE0ELb1ES3_N6thrust23THRUST_200600_302600_NS6detail15normal_iteratorINS9_10device_ptrIiEEEENSB_INSC_IsEEEESG_sNS9_4plusIvEENS9_8equal_toIvEEsEE10hipError_tPvRmT2_T3_T4_T5_mT6_T7_P12ihipStream_tbENKUlT_T0_E_clISt17integral_constantIbLb1EES11_EEDaSW_SX_EUlSW_E_NS1_11comp_targetILNS1_3genE5ELNS1_11target_archE942ELNS1_3gpuE9ELNS1_3repE0EEENS1_30default_config_static_selectorELNS0_4arch9wavefront6targetE0EEEvT1_: ; @_ZN7rocprim17ROCPRIM_400000_NS6detail17trampoline_kernelINS0_14default_configENS1_27scan_by_key_config_selectorIisEEZZNS1_16scan_by_key_implILNS1_25lookback_scan_determinismE0ELb1ES3_N6thrust23THRUST_200600_302600_NS6detail15normal_iteratorINS9_10device_ptrIiEEEENSB_INSC_IsEEEESG_sNS9_4plusIvEENS9_8equal_toIvEEsEE10hipError_tPvRmT2_T3_T4_T5_mT6_T7_P12ihipStream_tbENKUlT_T0_E_clISt17integral_constantIbLb1EES11_EEDaSW_SX_EUlSW_E_NS1_11comp_targetILNS1_3genE5ELNS1_11target_archE942ELNS1_3gpuE9ELNS1_3repE0EEENS1_30default_config_static_selectorELNS0_4arch9wavefront6targetE0EEEvT1_
; %bb.0:
	.section	.rodata,"a",@progbits
	.p2align	6, 0x0
	.amdhsa_kernel _ZN7rocprim17ROCPRIM_400000_NS6detail17trampoline_kernelINS0_14default_configENS1_27scan_by_key_config_selectorIisEEZZNS1_16scan_by_key_implILNS1_25lookback_scan_determinismE0ELb1ES3_N6thrust23THRUST_200600_302600_NS6detail15normal_iteratorINS9_10device_ptrIiEEEENSB_INSC_IsEEEESG_sNS9_4plusIvEENS9_8equal_toIvEEsEE10hipError_tPvRmT2_T3_T4_T5_mT6_T7_P12ihipStream_tbENKUlT_T0_E_clISt17integral_constantIbLb1EES11_EEDaSW_SX_EUlSW_E_NS1_11comp_targetILNS1_3genE5ELNS1_11target_archE942ELNS1_3gpuE9ELNS1_3repE0EEENS1_30default_config_static_selectorELNS0_4arch9wavefront6targetE0EEEvT1_
		.amdhsa_group_segment_fixed_size 0
		.amdhsa_private_segment_fixed_size 0
		.amdhsa_kernarg_size 112
		.amdhsa_user_sgpr_count 2
		.amdhsa_user_sgpr_dispatch_ptr 0
		.amdhsa_user_sgpr_queue_ptr 0
		.amdhsa_user_sgpr_kernarg_segment_ptr 1
		.amdhsa_user_sgpr_dispatch_id 0
		.amdhsa_user_sgpr_kernarg_preload_length 0
		.amdhsa_user_sgpr_kernarg_preload_offset 0
		.amdhsa_user_sgpr_private_segment_size 0
		.amdhsa_wavefront_size32 1
		.amdhsa_uses_dynamic_stack 0
		.amdhsa_enable_private_segment 0
		.amdhsa_system_sgpr_workgroup_id_x 1
		.amdhsa_system_sgpr_workgroup_id_y 0
		.amdhsa_system_sgpr_workgroup_id_z 0
		.amdhsa_system_sgpr_workgroup_info 0
		.amdhsa_system_vgpr_workitem_id 0
		.amdhsa_next_free_vgpr 1
		.amdhsa_next_free_sgpr 1
		.amdhsa_named_barrier_count 0
		.amdhsa_reserve_vcc 0
		.amdhsa_float_round_mode_32 0
		.amdhsa_float_round_mode_16_64 0
		.amdhsa_float_denorm_mode_32 3
		.amdhsa_float_denorm_mode_16_64 3
		.amdhsa_fp16_overflow 0
		.amdhsa_memory_ordered 1
		.amdhsa_forward_progress 1
		.amdhsa_inst_pref_size 0
		.amdhsa_round_robin_scheduling 0
		.amdhsa_exception_fp_ieee_invalid_op 0
		.amdhsa_exception_fp_denorm_src 0
		.amdhsa_exception_fp_ieee_div_zero 0
		.amdhsa_exception_fp_ieee_overflow 0
		.amdhsa_exception_fp_ieee_underflow 0
		.amdhsa_exception_fp_ieee_inexact 0
		.amdhsa_exception_int_div_zero 0
	.end_amdhsa_kernel
	.section	.text._ZN7rocprim17ROCPRIM_400000_NS6detail17trampoline_kernelINS0_14default_configENS1_27scan_by_key_config_selectorIisEEZZNS1_16scan_by_key_implILNS1_25lookback_scan_determinismE0ELb1ES3_N6thrust23THRUST_200600_302600_NS6detail15normal_iteratorINS9_10device_ptrIiEEEENSB_INSC_IsEEEESG_sNS9_4plusIvEENS9_8equal_toIvEEsEE10hipError_tPvRmT2_T3_T4_T5_mT6_T7_P12ihipStream_tbENKUlT_T0_E_clISt17integral_constantIbLb1EES11_EEDaSW_SX_EUlSW_E_NS1_11comp_targetILNS1_3genE5ELNS1_11target_archE942ELNS1_3gpuE9ELNS1_3repE0EEENS1_30default_config_static_selectorELNS0_4arch9wavefront6targetE0EEEvT1_,"axG",@progbits,_ZN7rocprim17ROCPRIM_400000_NS6detail17trampoline_kernelINS0_14default_configENS1_27scan_by_key_config_selectorIisEEZZNS1_16scan_by_key_implILNS1_25lookback_scan_determinismE0ELb1ES3_N6thrust23THRUST_200600_302600_NS6detail15normal_iteratorINS9_10device_ptrIiEEEENSB_INSC_IsEEEESG_sNS9_4plusIvEENS9_8equal_toIvEEsEE10hipError_tPvRmT2_T3_T4_T5_mT6_T7_P12ihipStream_tbENKUlT_T0_E_clISt17integral_constantIbLb1EES11_EEDaSW_SX_EUlSW_E_NS1_11comp_targetILNS1_3genE5ELNS1_11target_archE942ELNS1_3gpuE9ELNS1_3repE0EEENS1_30default_config_static_selectorELNS0_4arch9wavefront6targetE0EEEvT1_,comdat
.Lfunc_end1618:
	.size	_ZN7rocprim17ROCPRIM_400000_NS6detail17trampoline_kernelINS0_14default_configENS1_27scan_by_key_config_selectorIisEEZZNS1_16scan_by_key_implILNS1_25lookback_scan_determinismE0ELb1ES3_N6thrust23THRUST_200600_302600_NS6detail15normal_iteratorINS9_10device_ptrIiEEEENSB_INSC_IsEEEESG_sNS9_4plusIvEENS9_8equal_toIvEEsEE10hipError_tPvRmT2_T3_T4_T5_mT6_T7_P12ihipStream_tbENKUlT_T0_E_clISt17integral_constantIbLb1EES11_EEDaSW_SX_EUlSW_E_NS1_11comp_targetILNS1_3genE5ELNS1_11target_archE942ELNS1_3gpuE9ELNS1_3repE0EEENS1_30default_config_static_selectorELNS0_4arch9wavefront6targetE0EEEvT1_, .Lfunc_end1618-_ZN7rocprim17ROCPRIM_400000_NS6detail17trampoline_kernelINS0_14default_configENS1_27scan_by_key_config_selectorIisEEZZNS1_16scan_by_key_implILNS1_25lookback_scan_determinismE0ELb1ES3_N6thrust23THRUST_200600_302600_NS6detail15normal_iteratorINS9_10device_ptrIiEEEENSB_INSC_IsEEEESG_sNS9_4plusIvEENS9_8equal_toIvEEsEE10hipError_tPvRmT2_T3_T4_T5_mT6_T7_P12ihipStream_tbENKUlT_T0_E_clISt17integral_constantIbLb1EES11_EEDaSW_SX_EUlSW_E_NS1_11comp_targetILNS1_3genE5ELNS1_11target_archE942ELNS1_3gpuE9ELNS1_3repE0EEENS1_30default_config_static_selectorELNS0_4arch9wavefront6targetE0EEEvT1_
                                        ; -- End function
	.set _ZN7rocprim17ROCPRIM_400000_NS6detail17trampoline_kernelINS0_14default_configENS1_27scan_by_key_config_selectorIisEEZZNS1_16scan_by_key_implILNS1_25lookback_scan_determinismE0ELb1ES3_N6thrust23THRUST_200600_302600_NS6detail15normal_iteratorINS9_10device_ptrIiEEEENSB_INSC_IsEEEESG_sNS9_4plusIvEENS9_8equal_toIvEEsEE10hipError_tPvRmT2_T3_T4_T5_mT6_T7_P12ihipStream_tbENKUlT_T0_E_clISt17integral_constantIbLb1EES11_EEDaSW_SX_EUlSW_E_NS1_11comp_targetILNS1_3genE5ELNS1_11target_archE942ELNS1_3gpuE9ELNS1_3repE0EEENS1_30default_config_static_selectorELNS0_4arch9wavefront6targetE0EEEvT1_.num_vgpr, 0
	.set _ZN7rocprim17ROCPRIM_400000_NS6detail17trampoline_kernelINS0_14default_configENS1_27scan_by_key_config_selectorIisEEZZNS1_16scan_by_key_implILNS1_25lookback_scan_determinismE0ELb1ES3_N6thrust23THRUST_200600_302600_NS6detail15normal_iteratorINS9_10device_ptrIiEEEENSB_INSC_IsEEEESG_sNS9_4plusIvEENS9_8equal_toIvEEsEE10hipError_tPvRmT2_T3_T4_T5_mT6_T7_P12ihipStream_tbENKUlT_T0_E_clISt17integral_constantIbLb1EES11_EEDaSW_SX_EUlSW_E_NS1_11comp_targetILNS1_3genE5ELNS1_11target_archE942ELNS1_3gpuE9ELNS1_3repE0EEENS1_30default_config_static_selectorELNS0_4arch9wavefront6targetE0EEEvT1_.num_agpr, 0
	.set _ZN7rocprim17ROCPRIM_400000_NS6detail17trampoline_kernelINS0_14default_configENS1_27scan_by_key_config_selectorIisEEZZNS1_16scan_by_key_implILNS1_25lookback_scan_determinismE0ELb1ES3_N6thrust23THRUST_200600_302600_NS6detail15normal_iteratorINS9_10device_ptrIiEEEENSB_INSC_IsEEEESG_sNS9_4plusIvEENS9_8equal_toIvEEsEE10hipError_tPvRmT2_T3_T4_T5_mT6_T7_P12ihipStream_tbENKUlT_T0_E_clISt17integral_constantIbLb1EES11_EEDaSW_SX_EUlSW_E_NS1_11comp_targetILNS1_3genE5ELNS1_11target_archE942ELNS1_3gpuE9ELNS1_3repE0EEENS1_30default_config_static_selectorELNS0_4arch9wavefront6targetE0EEEvT1_.numbered_sgpr, 0
	.set _ZN7rocprim17ROCPRIM_400000_NS6detail17trampoline_kernelINS0_14default_configENS1_27scan_by_key_config_selectorIisEEZZNS1_16scan_by_key_implILNS1_25lookback_scan_determinismE0ELb1ES3_N6thrust23THRUST_200600_302600_NS6detail15normal_iteratorINS9_10device_ptrIiEEEENSB_INSC_IsEEEESG_sNS9_4plusIvEENS9_8equal_toIvEEsEE10hipError_tPvRmT2_T3_T4_T5_mT6_T7_P12ihipStream_tbENKUlT_T0_E_clISt17integral_constantIbLb1EES11_EEDaSW_SX_EUlSW_E_NS1_11comp_targetILNS1_3genE5ELNS1_11target_archE942ELNS1_3gpuE9ELNS1_3repE0EEENS1_30default_config_static_selectorELNS0_4arch9wavefront6targetE0EEEvT1_.num_named_barrier, 0
	.set _ZN7rocprim17ROCPRIM_400000_NS6detail17trampoline_kernelINS0_14default_configENS1_27scan_by_key_config_selectorIisEEZZNS1_16scan_by_key_implILNS1_25lookback_scan_determinismE0ELb1ES3_N6thrust23THRUST_200600_302600_NS6detail15normal_iteratorINS9_10device_ptrIiEEEENSB_INSC_IsEEEESG_sNS9_4plusIvEENS9_8equal_toIvEEsEE10hipError_tPvRmT2_T3_T4_T5_mT6_T7_P12ihipStream_tbENKUlT_T0_E_clISt17integral_constantIbLb1EES11_EEDaSW_SX_EUlSW_E_NS1_11comp_targetILNS1_3genE5ELNS1_11target_archE942ELNS1_3gpuE9ELNS1_3repE0EEENS1_30default_config_static_selectorELNS0_4arch9wavefront6targetE0EEEvT1_.private_seg_size, 0
	.set _ZN7rocprim17ROCPRIM_400000_NS6detail17trampoline_kernelINS0_14default_configENS1_27scan_by_key_config_selectorIisEEZZNS1_16scan_by_key_implILNS1_25lookback_scan_determinismE0ELb1ES3_N6thrust23THRUST_200600_302600_NS6detail15normal_iteratorINS9_10device_ptrIiEEEENSB_INSC_IsEEEESG_sNS9_4plusIvEENS9_8equal_toIvEEsEE10hipError_tPvRmT2_T3_T4_T5_mT6_T7_P12ihipStream_tbENKUlT_T0_E_clISt17integral_constantIbLb1EES11_EEDaSW_SX_EUlSW_E_NS1_11comp_targetILNS1_3genE5ELNS1_11target_archE942ELNS1_3gpuE9ELNS1_3repE0EEENS1_30default_config_static_selectorELNS0_4arch9wavefront6targetE0EEEvT1_.uses_vcc, 0
	.set _ZN7rocprim17ROCPRIM_400000_NS6detail17trampoline_kernelINS0_14default_configENS1_27scan_by_key_config_selectorIisEEZZNS1_16scan_by_key_implILNS1_25lookback_scan_determinismE0ELb1ES3_N6thrust23THRUST_200600_302600_NS6detail15normal_iteratorINS9_10device_ptrIiEEEENSB_INSC_IsEEEESG_sNS9_4plusIvEENS9_8equal_toIvEEsEE10hipError_tPvRmT2_T3_T4_T5_mT6_T7_P12ihipStream_tbENKUlT_T0_E_clISt17integral_constantIbLb1EES11_EEDaSW_SX_EUlSW_E_NS1_11comp_targetILNS1_3genE5ELNS1_11target_archE942ELNS1_3gpuE9ELNS1_3repE0EEENS1_30default_config_static_selectorELNS0_4arch9wavefront6targetE0EEEvT1_.uses_flat_scratch, 0
	.set _ZN7rocprim17ROCPRIM_400000_NS6detail17trampoline_kernelINS0_14default_configENS1_27scan_by_key_config_selectorIisEEZZNS1_16scan_by_key_implILNS1_25lookback_scan_determinismE0ELb1ES3_N6thrust23THRUST_200600_302600_NS6detail15normal_iteratorINS9_10device_ptrIiEEEENSB_INSC_IsEEEESG_sNS9_4plusIvEENS9_8equal_toIvEEsEE10hipError_tPvRmT2_T3_T4_T5_mT6_T7_P12ihipStream_tbENKUlT_T0_E_clISt17integral_constantIbLb1EES11_EEDaSW_SX_EUlSW_E_NS1_11comp_targetILNS1_3genE5ELNS1_11target_archE942ELNS1_3gpuE9ELNS1_3repE0EEENS1_30default_config_static_selectorELNS0_4arch9wavefront6targetE0EEEvT1_.has_dyn_sized_stack, 0
	.set _ZN7rocprim17ROCPRIM_400000_NS6detail17trampoline_kernelINS0_14default_configENS1_27scan_by_key_config_selectorIisEEZZNS1_16scan_by_key_implILNS1_25lookback_scan_determinismE0ELb1ES3_N6thrust23THRUST_200600_302600_NS6detail15normal_iteratorINS9_10device_ptrIiEEEENSB_INSC_IsEEEESG_sNS9_4plusIvEENS9_8equal_toIvEEsEE10hipError_tPvRmT2_T3_T4_T5_mT6_T7_P12ihipStream_tbENKUlT_T0_E_clISt17integral_constantIbLb1EES11_EEDaSW_SX_EUlSW_E_NS1_11comp_targetILNS1_3genE5ELNS1_11target_archE942ELNS1_3gpuE9ELNS1_3repE0EEENS1_30default_config_static_selectorELNS0_4arch9wavefront6targetE0EEEvT1_.has_recursion, 0
	.set _ZN7rocprim17ROCPRIM_400000_NS6detail17trampoline_kernelINS0_14default_configENS1_27scan_by_key_config_selectorIisEEZZNS1_16scan_by_key_implILNS1_25lookback_scan_determinismE0ELb1ES3_N6thrust23THRUST_200600_302600_NS6detail15normal_iteratorINS9_10device_ptrIiEEEENSB_INSC_IsEEEESG_sNS9_4plusIvEENS9_8equal_toIvEEsEE10hipError_tPvRmT2_T3_T4_T5_mT6_T7_P12ihipStream_tbENKUlT_T0_E_clISt17integral_constantIbLb1EES11_EEDaSW_SX_EUlSW_E_NS1_11comp_targetILNS1_3genE5ELNS1_11target_archE942ELNS1_3gpuE9ELNS1_3repE0EEENS1_30default_config_static_selectorELNS0_4arch9wavefront6targetE0EEEvT1_.has_indirect_call, 0
	.section	.AMDGPU.csdata,"",@progbits
; Kernel info:
; codeLenInByte = 0
; TotalNumSgprs: 0
; NumVgprs: 0
; ScratchSize: 0
; MemoryBound: 0
; FloatMode: 240
; IeeeMode: 1
; LDSByteSize: 0 bytes/workgroup (compile time only)
; SGPRBlocks: 0
; VGPRBlocks: 0
; NumSGPRsForWavesPerEU: 1
; NumVGPRsForWavesPerEU: 1
; NamedBarCnt: 0
; Occupancy: 16
; WaveLimiterHint : 0
; COMPUTE_PGM_RSRC2:SCRATCH_EN: 0
; COMPUTE_PGM_RSRC2:USER_SGPR: 2
; COMPUTE_PGM_RSRC2:TRAP_HANDLER: 0
; COMPUTE_PGM_RSRC2:TGID_X_EN: 1
; COMPUTE_PGM_RSRC2:TGID_Y_EN: 0
; COMPUTE_PGM_RSRC2:TGID_Z_EN: 0
; COMPUTE_PGM_RSRC2:TIDIG_COMP_CNT: 0
	.section	.text._ZN7rocprim17ROCPRIM_400000_NS6detail17trampoline_kernelINS0_14default_configENS1_27scan_by_key_config_selectorIisEEZZNS1_16scan_by_key_implILNS1_25lookback_scan_determinismE0ELb1ES3_N6thrust23THRUST_200600_302600_NS6detail15normal_iteratorINS9_10device_ptrIiEEEENSB_INSC_IsEEEESG_sNS9_4plusIvEENS9_8equal_toIvEEsEE10hipError_tPvRmT2_T3_T4_T5_mT6_T7_P12ihipStream_tbENKUlT_T0_E_clISt17integral_constantIbLb1EES11_EEDaSW_SX_EUlSW_E_NS1_11comp_targetILNS1_3genE4ELNS1_11target_archE910ELNS1_3gpuE8ELNS1_3repE0EEENS1_30default_config_static_selectorELNS0_4arch9wavefront6targetE0EEEvT1_,"axG",@progbits,_ZN7rocprim17ROCPRIM_400000_NS6detail17trampoline_kernelINS0_14default_configENS1_27scan_by_key_config_selectorIisEEZZNS1_16scan_by_key_implILNS1_25lookback_scan_determinismE0ELb1ES3_N6thrust23THRUST_200600_302600_NS6detail15normal_iteratorINS9_10device_ptrIiEEEENSB_INSC_IsEEEESG_sNS9_4plusIvEENS9_8equal_toIvEEsEE10hipError_tPvRmT2_T3_T4_T5_mT6_T7_P12ihipStream_tbENKUlT_T0_E_clISt17integral_constantIbLb1EES11_EEDaSW_SX_EUlSW_E_NS1_11comp_targetILNS1_3genE4ELNS1_11target_archE910ELNS1_3gpuE8ELNS1_3repE0EEENS1_30default_config_static_selectorELNS0_4arch9wavefront6targetE0EEEvT1_,comdat
	.protected	_ZN7rocprim17ROCPRIM_400000_NS6detail17trampoline_kernelINS0_14default_configENS1_27scan_by_key_config_selectorIisEEZZNS1_16scan_by_key_implILNS1_25lookback_scan_determinismE0ELb1ES3_N6thrust23THRUST_200600_302600_NS6detail15normal_iteratorINS9_10device_ptrIiEEEENSB_INSC_IsEEEESG_sNS9_4plusIvEENS9_8equal_toIvEEsEE10hipError_tPvRmT2_T3_T4_T5_mT6_T7_P12ihipStream_tbENKUlT_T0_E_clISt17integral_constantIbLb1EES11_EEDaSW_SX_EUlSW_E_NS1_11comp_targetILNS1_3genE4ELNS1_11target_archE910ELNS1_3gpuE8ELNS1_3repE0EEENS1_30default_config_static_selectorELNS0_4arch9wavefront6targetE0EEEvT1_ ; -- Begin function _ZN7rocprim17ROCPRIM_400000_NS6detail17trampoline_kernelINS0_14default_configENS1_27scan_by_key_config_selectorIisEEZZNS1_16scan_by_key_implILNS1_25lookback_scan_determinismE0ELb1ES3_N6thrust23THRUST_200600_302600_NS6detail15normal_iteratorINS9_10device_ptrIiEEEENSB_INSC_IsEEEESG_sNS9_4plusIvEENS9_8equal_toIvEEsEE10hipError_tPvRmT2_T3_T4_T5_mT6_T7_P12ihipStream_tbENKUlT_T0_E_clISt17integral_constantIbLb1EES11_EEDaSW_SX_EUlSW_E_NS1_11comp_targetILNS1_3genE4ELNS1_11target_archE910ELNS1_3gpuE8ELNS1_3repE0EEENS1_30default_config_static_selectorELNS0_4arch9wavefront6targetE0EEEvT1_
	.globl	_ZN7rocprim17ROCPRIM_400000_NS6detail17trampoline_kernelINS0_14default_configENS1_27scan_by_key_config_selectorIisEEZZNS1_16scan_by_key_implILNS1_25lookback_scan_determinismE0ELb1ES3_N6thrust23THRUST_200600_302600_NS6detail15normal_iteratorINS9_10device_ptrIiEEEENSB_INSC_IsEEEESG_sNS9_4plusIvEENS9_8equal_toIvEEsEE10hipError_tPvRmT2_T3_T4_T5_mT6_T7_P12ihipStream_tbENKUlT_T0_E_clISt17integral_constantIbLb1EES11_EEDaSW_SX_EUlSW_E_NS1_11comp_targetILNS1_3genE4ELNS1_11target_archE910ELNS1_3gpuE8ELNS1_3repE0EEENS1_30default_config_static_selectorELNS0_4arch9wavefront6targetE0EEEvT1_
	.p2align	8
	.type	_ZN7rocprim17ROCPRIM_400000_NS6detail17trampoline_kernelINS0_14default_configENS1_27scan_by_key_config_selectorIisEEZZNS1_16scan_by_key_implILNS1_25lookback_scan_determinismE0ELb1ES3_N6thrust23THRUST_200600_302600_NS6detail15normal_iteratorINS9_10device_ptrIiEEEENSB_INSC_IsEEEESG_sNS9_4plusIvEENS9_8equal_toIvEEsEE10hipError_tPvRmT2_T3_T4_T5_mT6_T7_P12ihipStream_tbENKUlT_T0_E_clISt17integral_constantIbLb1EES11_EEDaSW_SX_EUlSW_E_NS1_11comp_targetILNS1_3genE4ELNS1_11target_archE910ELNS1_3gpuE8ELNS1_3repE0EEENS1_30default_config_static_selectorELNS0_4arch9wavefront6targetE0EEEvT1_,@function
_ZN7rocprim17ROCPRIM_400000_NS6detail17trampoline_kernelINS0_14default_configENS1_27scan_by_key_config_selectorIisEEZZNS1_16scan_by_key_implILNS1_25lookback_scan_determinismE0ELb1ES3_N6thrust23THRUST_200600_302600_NS6detail15normal_iteratorINS9_10device_ptrIiEEEENSB_INSC_IsEEEESG_sNS9_4plusIvEENS9_8equal_toIvEEsEE10hipError_tPvRmT2_T3_T4_T5_mT6_T7_P12ihipStream_tbENKUlT_T0_E_clISt17integral_constantIbLb1EES11_EEDaSW_SX_EUlSW_E_NS1_11comp_targetILNS1_3genE4ELNS1_11target_archE910ELNS1_3gpuE8ELNS1_3repE0EEENS1_30default_config_static_selectorELNS0_4arch9wavefront6targetE0EEEvT1_: ; @_ZN7rocprim17ROCPRIM_400000_NS6detail17trampoline_kernelINS0_14default_configENS1_27scan_by_key_config_selectorIisEEZZNS1_16scan_by_key_implILNS1_25lookback_scan_determinismE0ELb1ES3_N6thrust23THRUST_200600_302600_NS6detail15normal_iteratorINS9_10device_ptrIiEEEENSB_INSC_IsEEEESG_sNS9_4plusIvEENS9_8equal_toIvEEsEE10hipError_tPvRmT2_T3_T4_T5_mT6_T7_P12ihipStream_tbENKUlT_T0_E_clISt17integral_constantIbLb1EES11_EEDaSW_SX_EUlSW_E_NS1_11comp_targetILNS1_3genE4ELNS1_11target_archE910ELNS1_3gpuE8ELNS1_3repE0EEENS1_30default_config_static_selectorELNS0_4arch9wavefront6targetE0EEEvT1_
; %bb.0:
	.section	.rodata,"a",@progbits
	.p2align	6, 0x0
	.amdhsa_kernel _ZN7rocprim17ROCPRIM_400000_NS6detail17trampoline_kernelINS0_14default_configENS1_27scan_by_key_config_selectorIisEEZZNS1_16scan_by_key_implILNS1_25lookback_scan_determinismE0ELb1ES3_N6thrust23THRUST_200600_302600_NS6detail15normal_iteratorINS9_10device_ptrIiEEEENSB_INSC_IsEEEESG_sNS9_4plusIvEENS9_8equal_toIvEEsEE10hipError_tPvRmT2_T3_T4_T5_mT6_T7_P12ihipStream_tbENKUlT_T0_E_clISt17integral_constantIbLb1EES11_EEDaSW_SX_EUlSW_E_NS1_11comp_targetILNS1_3genE4ELNS1_11target_archE910ELNS1_3gpuE8ELNS1_3repE0EEENS1_30default_config_static_selectorELNS0_4arch9wavefront6targetE0EEEvT1_
		.amdhsa_group_segment_fixed_size 0
		.amdhsa_private_segment_fixed_size 0
		.amdhsa_kernarg_size 112
		.amdhsa_user_sgpr_count 2
		.amdhsa_user_sgpr_dispatch_ptr 0
		.amdhsa_user_sgpr_queue_ptr 0
		.amdhsa_user_sgpr_kernarg_segment_ptr 1
		.amdhsa_user_sgpr_dispatch_id 0
		.amdhsa_user_sgpr_kernarg_preload_length 0
		.amdhsa_user_sgpr_kernarg_preload_offset 0
		.amdhsa_user_sgpr_private_segment_size 0
		.amdhsa_wavefront_size32 1
		.amdhsa_uses_dynamic_stack 0
		.amdhsa_enable_private_segment 0
		.amdhsa_system_sgpr_workgroup_id_x 1
		.amdhsa_system_sgpr_workgroup_id_y 0
		.amdhsa_system_sgpr_workgroup_id_z 0
		.amdhsa_system_sgpr_workgroup_info 0
		.amdhsa_system_vgpr_workitem_id 0
		.amdhsa_next_free_vgpr 1
		.amdhsa_next_free_sgpr 1
		.amdhsa_named_barrier_count 0
		.amdhsa_reserve_vcc 0
		.amdhsa_float_round_mode_32 0
		.amdhsa_float_round_mode_16_64 0
		.amdhsa_float_denorm_mode_32 3
		.amdhsa_float_denorm_mode_16_64 3
		.amdhsa_fp16_overflow 0
		.amdhsa_memory_ordered 1
		.amdhsa_forward_progress 1
		.amdhsa_inst_pref_size 0
		.amdhsa_round_robin_scheduling 0
		.amdhsa_exception_fp_ieee_invalid_op 0
		.amdhsa_exception_fp_denorm_src 0
		.amdhsa_exception_fp_ieee_div_zero 0
		.amdhsa_exception_fp_ieee_overflow 0
		.amdhsa_exception_fp_ieee_underflow 0
		.amdhsa_exception_fp_ieee_inexact 0
		.amdhsa_exception_int_div_zero 0
	.end_amdhsa_kernel
	.section	.text._ZN7rocprim17ROCPRIM_400000_NS6detail17trampoline_kernelINS0_14default_configENS1_27scan_by_key_config_selectorIisEEZZNS1_16scan_by_key_implILNS1_25lookback_scan_determinismE0ELb1ES3_N6thrust23THRUST_200600_302600_NS6detail15normal_iteratorINS9_10device_ptrIiEEEENSB_INSC_IsEEEESG_sNS9_4plusIvEENS9_8equal_toIvEEsEE10hipError_tPvRmT2_T3_T4_T5_mT6_T7_P12ihipStream_tbENKUlT_T0_E_clISt17integral_constantIbLb1EES11_EEDaSW_SX_EUlSW_E_NS1_11comp_targetILNS1_3genE4ELNS1_11target_archE910ELNS1_3gpuE8ELNS1_3repE0EEENS1_30default_config_static_selectorELNS0_4arch9wavefront6targetE0EEEvT1_,"axG",@progbits,_ZN7rocprim17ROCPRIM_400000_NS6detail17trampoline_kernelINS0_14default_configENS1_27scan_by_key_config_selectorIisEEZZNS1_16scan_by_key_implILNS1_25lookback_scan_determinismE0ELb1ES3_N6thrust23THRUST_200600_302600_NS6detail15normal_iteratorINS9_10device_ptrIiEEEENSB_INSC_IsEEEESG_sNS9_4plusIvEENS9_8equal_toIvEEsEE10hipError_tPvRmT2_T3_T4_T5_mT6_T7_P12ihipStream_tbENKUlT_T0_E_clISt17integral_constantIbLb1EES11_EEDaSW_SX_EUlSW_E_NS1_11comp_targetILNS1_3genE4ELNS1_11target_archE910ELNS1_3gpuE8ELNS1_3repE0EEENS1_30default_config_static_selectorELNS0_4arch9wavefront6targetE0EEEvT1_,comdat
.Lfunc_end1619:
	.size	_ZN7rocprim17ROCPRIM_400000_NS6detail17trampoline_kernelINS0_14default_configENS1_27scan_by_key_config_selectorIisEEZZNS1_16scan_by_key_implILNS1_25lookback_scan_determinismE0ELb1ES3_N6thrust23THRUST_200600_302600_NS6detail15normal_iteratorINS9_10device_ptrIiEEEENSB_INSC_IsEEEESG_sNS9_4plusIvEENS9_8equal_toIvEEsEE10hipError_tPvRmT2_T3_T4_T5_mT6_T7_P12ihipStream_tbENKUlT_T0_E_clISt17integral_constantIbLb1EES11_EEDaSW_SX_EUlSW_E_NS1_11comp_targetILNS1_3genE4ELNS1_11target_archE910ELNS1_3gpuE8ELNS1_3repE0EEENS1_30default_config_static_selectorELNS0_4arch9wavefront6targetE0EEEvT1_, .Lfunc_end1619-_ZN7rocprim17ROCPRIM_400000_NS6detail17trampoline_kernelINS0_14default_configENS1_27scan_by_key_config_selectorIisEEZZNS1_16scan_by_key_implILNS1_25lookback_scan_determinismE0ELb1ES3_N6thrust23THRUST_200600_302600_NS6detail15normal_iteratorINS9_10device_ptrIiEEEENSB_INSC_IsEEEESG_sNS9_4plusIvEENS9_8equal_toIvEEsEE10hipError_tPvRmT2_T3_T4_T5_mT6_T7_P12ihipStream_tbENKUlT_T0_E_clISt17integral_constantIbLb1EES11_EEDaSW_SX_EUlSW_E_NS1_11comp_targetILNS1_3genE4ELNS1_11target_archE910ELNS1_3gpuE8ELNS1_3repE0EEENS1_30default_config_static_selectorELNS0_4arch9wavefront6targetE0EEEvT1_
                                        ; -- End function
	.set _ZN7rocprim17ROCPRIM_400000_NS6detail17trampoline_kernelINS0_14default_configENS1_27scan_by_key_config_selectorIisEEZZNS1_16scan_by_key_implILNS1_25lookback_scan_determinismE0ELb1ES3_N6thrust23THRUST_200600_302600_NS6detail15normal_iteratorINS9_10device_ptrIiEEEENSB_INSC_IsEEEESG_sNS9_4plusIvEENS9_8equal_toIvEEsEE10hipError_tPvRmT2_T3_T4_T5_mT6_T7_P12ihipStream_tbENKUlT_T0_E_clISt17integral_constantIbLb1EES11_EEDaSW_SX_EUlSW_E_NS1_11comp_targetILNS1_3genE4ELNS1_11target_archE910ELNS1_3gpuE8ELNS1_3repE0EEENS1_30default_config_static_selectorELNS0_4arch9wavefront6targetE0EEEvT1_.num_vgpr, 0
	.set _ZN7rocprim17ROCPRIM_400000_NS6detail17trampoline_kernelINS0_14default_configENS1_27scan_by_key_config_selectorIisEEZZNS1_16scan_by_key_implILNS1_25lookback_scan_determinismE0ELb1ES3_N6thrust23THRUST_200600_302600_NS6detail15normal_iteratorINS9_10device_ptrIiEEEENSB_INSC_IsEEEESG_sNS9_4plusIvEENS9_8equal_toIvEEsEE10hipError_tPvRmT2_T3_T4_T5_mT6_T7_P12ihipStream_tbENKUlT_T0_E_clISt17integral_constantIbLb1EES11_EEDaSW_SX_EUlSW_E_NS1_11comp_targetILNS1_3genE4ELNS1_11target_archE910ELNS1_3gpuE8ELNS1_3repE0EEENS1_30default_config_static_selectorELNS0_4arch9wavefront6targetE0EEEvT1_.num_agpr, 0
	.set _ZN7rocprim17ROCPRIM_400000_NS6detail17trampoline_kernelINS0_14default_configENS1_27scan_by_key_config_selectorIisEEZZNS1_16scan_by_key_implILNS1_25lookback_scan_determinismE0ELb1ES3_N6thrust23THRUST_200600_302600_NS6detail15normal_iteratorINS9_10device_ptrIiEEEENSB_INSC_IsEEEESG_sNS9_4plusIvEENS9_8equal_toIvEEsEE10hipError_tPvRmT2_T3_T4_T5_mT6_T7_P12ihipStream_tbENKUlT_T0_E_clISt17integral_constantIbLb1EES11_EEDaSW_SX_EUlSW_E_NS1_11comp_targetILNS1_3genE4ELNS1_11target_archE910ELNS1_3gpuE8ELNS1_3repE0EEENS1_30default_config_static_selectorELNS0_4arch9wavefront6targetE0EEEvT1_.numbered_sgpr, 0
	.set _ZN7rocprim17ROCPRIM_400000_NS6detail17trampoline_kernelINS0_14default_configENS1_27scan_by_key_config_selectorIisEEZZNS1_16scan_by_key_implILNS1_25lookback_scan_determinismE0ELb1ES3_N6thrust23THRUST_200600_302600_NS6detail15normal_iteratorINS9_10device_ptrIiEEEENSB_INSC_IsEEEESG_sNS9_4plusIvEENS9_8equal_toIvEEsEE10hipError_tPvRmT2_T3_T4_T5_mT6_T7_P12ihipStream_tbENKUlT_T0_E_clISt17integral_constantIbLb1EES11_EEDaSW_SX_EUlSW_E_NS1_11comp_targetILNS1_3genE4ELNS1_11target_archE910ELNS1_3gpuE8ELNS1_3repE0EEENS1_30default_config_static_selectorELNS0_4arch9wavefront6targetE0EEEvT1_.num_named_barrier, 0
	.set _ZN7rocprim17ROCPRIM_400000_NS6detail17trampoline_kernelINS0_14default_configENS1_27scan_by_key_config_selectorIisEEZZNS1_16scan_by_key_implILNS1_25lookback_scan_determinismE0ELb1ES3_N6thrust23THRUST_200600_302600_NS6detail15normal_iteratorINS9_10device_ptrIiEEEENSB_INSC_IsEEEESG_sNS9_4plusIvEENS9_8equal_toIvEEsEE10hipError_tPvRmT2_T3_T4_T5_mT6_T7_P12ihipStream_tbENKUlT_T0_E_clISt17integral_constantIbLb1EES11_EEDaSW_SX_EUlSW_E_NS1_11comp_targetILNS1_3genE4ELNS1_11target_archE910ELNS1_3gpuE8ELNS1_3repE0EEENS1_30default_config_static_selectorELNS0_4arch9wavefront6targetE0EEEvT1_.private_seg_size, 0
	.set _ZN7rocprim17ROCPRIM_400000_NS6detail17trampoline_kernelINS0_14default_configENS1_27scan_by_key_config_selectorIisEEZZNS1_16scan_by_key_implILNS1_25lookback_scan_determinismE0ELb1ES3_N6thrust23THRUST_200600_302600_NS6detail15normal_iteratorINS9_10device_ptrIiEEEENSB_INSC_IsEEEESG_sNS9_4plusIvEENS9_8equal_toIvEEsEE10hipError_tPvRmT2_T3_T4_T5_mT6_T7_P12ihipStream_tbENKUlT_T0_E_clISt17integral_constantIbLb1EES11_EEDaSW_SX_EUlSW_E_NS1_11comp_targetILNS1_3genE4ELNS1_11target_archE910ELNS1_3gpuE8ELNS1_3repE0EEENS1_30default_config_static_selectorELNS0_4arch9wavefront6targetE0EEEvT1_.uses_vcc, 0
	.set _ZN7rocprim17ROCPRIM_400000_NS6detail17trampoline_kernelINS0_14default_configENS1_27scan_by_key_config_selectorIisEEZZNS1_16scan_by_key_implILNS1_25lookback_scan_determinismE0ELb1ES3_N6thrust23THRUST_200600_302600_NS6detail15normal_iteratorINS9_10device_ptrIiEEEENSB_INSC_IsEEEESG_sNS9_4plusIvEENS9_8equal_toIvEEsEE10hipError_tPvRmT2_T3_T4_T5_mT6_T7_P12ihipStream_tbENKUlT_T0_E_clISt17integral_constantIbLb1EES11_EEDaSW_SX_EUlSW_E_NS1_11comp_targetILNS1_3genE4ELNS1_11target_archE910ELNS1_3gpuE8ELNS1_3repE0EEENS1_30default_config_static_selectorELNS0_4arch9wavefront6targetE0EEEvT1_.uses_flat_scratch, 0
	.set _ZN7rocprim17ROCPRIM_400000_NS6detail17trampoline_kernelINS0_14default_configENS1_27scan_by_key_config_selectorIisEEZZNS1_16scan_by_key_implILNS1_25lookback_scan_determinismE0ELb1ES3_N6thrust23THRUST_200600_302600_NS6detail15normal_iteratorINS9_10device_ptrIiEEEENSB_INSC_IsEEEESG_sNS9_4plusIvEENS9_8equal_toIvEEsEE10hipError_tPvRmT2_T3_T4_T5_mT6_T7_P12ihipStream_tbENKUlT_T0_E_clISt17integral_constantIbLb1EES11_EEDaSW_SX_EUlSW_E_NS1_11comp_targetILNS1_3genE4ELNS1_11target_archE910ELNS1_3gpuE8ELNS1_3repE0EEENS1_30default_config_static_selectorELNS0_4arch9wavefront6targetE0EEEvT1_.has_dyn_sized_stack, 0
	.set _ZN7rocprim17ROCPRIM_400000_NS6detail17trampoline_kernelINS0_14default_configENS1_27scan_by_key_config_selectorIisEEZZNS1_16scan_by_key_implILNS1_25lookback_scan_determinismE0ELb1ES3_N6thrust23THRUST_200600_302600_NS6detail15normal_iteratorINS9_10device_ptrIiEEEENSB_INSC_IsEEEESG_sNS9_4plusIvEENS9_8equal_toIvEEsEE10hipError_tPvRmT2_T3_T4_T5_mT6_T7_P12ihipStream_tbENKUlT_T0_E_clISt17integral_constantIbLb1EES11_EEDaSW_SX_EUlSW_E_NS1_11comp_targetILNS1_3genE4ELNS1_11target_archE910ELNS1_3gpuE8ELNS1_3repE0EEENS1_30default_config_static_selectorELNS0_4arch9wavefront6targetE0EEEvT1_.has_recursion, 0
	.set _ZN7rocprim17ROCPRIM_400000_NS6detail17trampoline_kernelINS0_14default_configENS1_27scan_by_key_config_selectorIisEEZZNS1_16scan_by_key_implILNS1_25lookback_scan_determinismE0ELb1ES3_N6thrust23THRUST_200600_302600_NS6detail15normal_iteratorINS9_10device_ptrIiEEEENSB_INSC_IsEEEESG_sNS9_4plusIvEENS9_8equal_toIvEEsEE10hipError_tPvRmT2_T3_T4_T5_mT6_T7_P12ihipStream_tbENKUlT_T0_E_clISt17integral_constantIbLb1EES11_EEDaSW_SX_EUlSW_E_NS1_11comp_targetILNS1_3genE4ELNS1_11target_archE910ELNS1_3gpuE8ELNS1_3repE0EEENS1_30default_config_static_selectorELNS0_4arch9wavefront6targetE0EEEvT1_.has_indirect_call, 0
	.section	.AMDGPU.csdata,"",@progbits
; Kernel info:
; codeLenInByte = 0
; TotalNumSgprs: 0
; NumVgprs: 0
; ScratchSize: 0
; MemoryBound: 0
; FloatMode: 240
; IeeeMode: 1
; LDSByteSize: 0 bytes/workgroup (compile time only)
; SGPRBlocks: 0
; VGPRBlocks: 0
; NumSGPRsForWavesPerEU: 1
; NumVGPRsForWavesPerEU: 1
; NamedBarCnt: 0
; Occupancy: 16
; WaveLimiterHint : 0
; COMPUTE_PGM_RSRC2:SCRATCH_EN: 0
; COMPUTE_PGM_RSRC2:USER_SGPR: 2
; COMPUTE_PGM_RSRC2:TRAP_HANDLER: 0
; COMPUTE_PGM_RSRC2:TGID_X_EN: 1
; COMPUTE_PGM_RSRC2:TGID_Y_EN: 0
; COMPUTE_PGM_RSRC2:TGID_Z_EN: 0
; COMPUTE_PGM_RSRC2:TIDIG_COMP_CNT: 0
	.section	.text._ZN7rocprim17ROCPRIM_400000_NS6detail17trampoline_kernelINS0_14default_configENS1_27scan_by_key_config_selectorIisEEZZNS1_16scan_by_key_implILNS1_25lookback_scan_determinismE0ELb1ES3_N6thrust23THRUST_200600_302600_NS6detail15normal_iteratorINS9_10device_ptrIiEEEENSB_INSC_IsEEEESG_sNS9_4plusIvEENS9_8equal_toIvEEsEE10hipError_tPvRmT2_T3_T4_T5_mT6_T7_P12ihipStream_tbENKUlT_T0_E_clISt17integral_constantIbLb1EES11_EEDaSW_SX_EUlSW_E_NS1_11comp_targetILNS1_3genE3ELNS1_11target_archE908ELNS1_3gpuE7ELNS1_3repE0EEENS1_30default_config_static_selectorELNS0_4arch9wavefront6targetE0EEEvT1_,"axG",@progbits,_ZN7rocprim17ROCPRIM_400000_NS6detail17trampoline_kernelINS0_14default_configENS1_27scan_by_key_config_selectorIisEEZZNS1_16scan_by_key_implILNS1_25lookback_scan_determinismE0ELb1ES3_N6thrust23THRUST_200600_302600_NS6detail15normal_iteratorINS9_10device_ptrIiEEEENSB_INSC_IsEEEESG_sNS9_4plusIvEENS9_8equal_toIvEEsEE10hipError_tPvRmT2_T3_T4_T5_mT6_T7_P12ihipStream_tbENKUlT_T0_E_clISt17integral_constantIbLb1EES11_EEDaSW_SX_EUlSW_E_NS1_11comp_targetILNS1_3genE3ELNS1_11target_archE908ELNS1_3gpuE7ELNS1_3repE0EEENS1_30default_config_static_selectorELNS0_4arch9wavefront6targetE0EEEvT1_,comdat
	.protected	_ZN7rocprim17ROCPRIM_400000_NS6detail17trampoline_kernelINS0_14default_configENS1_27scan_by_key_config_selectorIisEEZZNS1_16scan_by_key_implILNS1_25lookback_scan_determinismE0ELb1ES3_N6thrust23THRUST_200600_302600_NS6detail15normal_iteratorINS9_10device_ptrIiEEEENSB_INSC_IsEEEESG_sNS9_4plusIvEENS9_8equal_toIvEEsEE10hipError_tPvRmT2_T3_T4_T5_mT6_T7_P12ihipStream_tbENKUlT_T0_E_clISt17integral_constantIbLb1EES11_EEDaSW_SX_EUlSW_E_NS1_11comp_targetILNS1_3genE3ELNS1_11target_archE908ELNS1_3gpuE7ELNS1_3repE0EEENS1_30default_config_static_selectorELNS0_4arch9wavefront6targetE0EEEvT1_ ; -- Begin function _ZN7rocprim17ROCPRIM_400000_NS6detail17trampoline_kernelINS0_14default_configENS1_27scan_by_key_config_selectorIisEEZZNS1_16scan_by_key_implILNS1_25lookback_scan_determinismE0ELb1ES3_N6thrust23THRUST_200600_302600_NS6detail15normal_iteratorINS9_10device_ptrIiEEEENSB_INSC_IsEEEESG_sNS9_4plusIvEENS9_8equal_toIvEEsEE10hipError_tPvRmT2_T3_T4_T5_mT6_T7_P12ihipStream_tbENKUlT_T0_E_clISt17integral_constantIbLb1EES11_EEDaSW_SX_EUlSW_E_NS1_11comp_targetILNS1_3genE3ELNS1_11target_archE908ELNS1_3gpuE7ELNS1_3repE0EEENS1_30default_config_static_selectorELNS0_4arch9wavefront6targetE0EEEvT1_
	.globl	_ZN7rocprim17ROCPRIM_400000_NS6detail17trampoline_kernelINS0_14default_configENS1_27scan_by_key_config_selectorIisEEZZNS1_16scan_by_key_implILNS1_25lookback_scan_determinismE0ELb1ES3_N6thrust23THRUST_200600_302600_NS6detail15normal_iteratorINS9_10device_ptrIiEEEENSB_INSC_IsEEEESG_sNS9_4plusIvEENS9_8equal_toIvEEsEE10hipError_tPvRmT2_T3_T4_T5_mT6_T7_P12ihipStream_tbENKUlT_T0_E_clISt17integral_constantIbLb1EES11_EEDaSW_SX_EUlSW_E_NS1_11comp_targetILNS1_3genE3ELNS1_11target_archE908ELNS1_3gpuE7ELNS1_3repE0EEENS1_30default_config_static_selectorELNS0_4arch9wavefront6targetE0EEEvT1_
	.p2align	8
	.type	_ZN7rocprim17ROCPRIM_400000_NS6detail17trampoline_kernelINS0_14default_configENS1_27scan_by_key_config_selectorIisEEZZNS1_16scan_by_key_implILNS1_25lookback_scan_determinismE0ELb1ES3_N6thrust23THRUST_200600_302600_NS6detail15normal_iteratorINS9_10device_ptrIiEEEENSB_INSC_IsEEEESG_sNS9_4plusIvEENS9_8equal_toIvEEsEE10hipError_tPvRmT2_T3_T4_T5_mT6_T7_P12ihipStream_tbENKUlT_T0_E_clISt17integral_constantIbLb1EES11_EEDaSW_SX_EUlSW_E_NS1_11comp_targetILNS1_3genE3ELNS1_11target_archE908ELNS1_3gpuE7ELNS1_3repE0EEENS1_30default_config_static_selectorELNS0_4arch9wavefront6targetE0EEEvT1_,@function
_ZN7rocprim17ROCPRIM_400000_NS6detail17trampoline_kernelINS0_14default_configENS1_27scan_by_key_config_selectorIisEEZZNS1_16scan_by_key_implILNS1_25lookback_scan_determinismE0ELb1ES3_N6thrust23THRUST_200600_302600_NS6detail15normal_iteratorINS9_10device_ptrIiEEEENSB_INSC_IsEEEESG_sNS9_4plusIvEENS9_8equal_toIvEEsEE10hipError_tPvRmT2_T3_T4_T5_mT6_T7_P12ihipStream_tbENKUlT_T0_E_clISt17integral_constantIbLb1EES11_EEDaSW_SX_EUlSW_E_NS1_11comp_targetILNS1_3genE3ELNS1_11target_archE908ELNS1_3gpuE7ELNS1_3repE0EEENS1_30default_config_static_selectorELNS0_4arch9wavefront6targetE0EEEvT1_: ; @_ZN7rocprim17ROCPRIM_400000_NS6detail17trampoline_kernelINS0_14default_configENS1_27scan_by_key_config_selectorIisEEZZNS1_16scan_by_key_implILNS1_25lookback_scan_determinismE0ELb1ES3_N6thrust23THRUST_200600_302600_NS6detail15normal_iteratorINS9_10device_ptrIiEEEENSB_INSC_IsEEEESG_sNS9_4plusIvEENS9_8equal_toIvEEsEE10hipError_tPvRmT2_T3_T4_T5_mT6_T7_P12ihipStream_tbENKUlT_T0_E_clISt17integral_constantIbLb1EES11_EEDaSW_SX_EUlSW_E_NS1_11comp_targetILNS1_3genE3ELNS1_11target_archE908ELNS1_3gpuE7ELNS1_3repE0EEENS1_30default_config_static_selectorELNS0_4arch9wavefront6targetE0EEEvT1_
; %bb.0:
	.section	.rodata,"a",@progbits
	.p2align	6, 0x0
	.amdhsa_kernel _ZN7rocprim17ROCPRIM_400000_NS6detail17trampoline_kernelINS0_14default_configENS1_27scan_by_key_config_selectorIisEEZZNS1_16scan_by_key_implILNS1_25lookback_scan_determinismE0ELb1ES3_N6thrust23THRUST_200600_302600_NS6detail15normal_iteratorINS9_10device_ptrIiEEEENSB_INSC_IsEEEESG_sNS9_4plusIvEENS9_8equal_toIvEEsEE10hipError_tPvRmT2_T3_T4_T5_mT6_T7_P12ihipStream_tbENKUlT_T0_E_clISt17integral_constantIbLb1EES11_EEDaSW_SX_EUlSW_E_NS1_11comp_targetILNS1_3genE3ELNS1_11target_archE908ELNS1_3gpuE7ELNS1_3repE0EEENS1_30default_config_static_selectorELNS0_4arch9wavefront6targetE0EEEvT1_
		.amdhsa_group_segment_fixed_size 0
		.amdhsa_private_segment_fixed_size 0
		.amdhsa_kernarg_size 112
		.amdhsa_user_sgpr_count 2
		.amdhsa_user_sgpr_dispatch_ptr 0
		.amdhsa_user_sgpr_queue_ptr 0
		.amdhsa_user_sgpr_kernarg_segment_ptr 1
		.amdhsa_user_sgpr_dispatch_id 0
		.amdhsa_user_sgpr_kernarg_preload_length 0
		.amdhsa_user_sgpr_kernarg_preload_offset 0
		.amdhsa_user_sgpr_private_segment_size 0
		.amdhsa_wavefront_size32 1
		.amdhsa_uses_dynamic_stack 0
		.amdhsa_enable_private_segment 0
		.amdhsa_system_sgpr_workgroup_id_x 1
		.amdhsa_system_sgpr_workgroup_id_y 0
		.amdhsa_system_sgpr_workgroup_id_z 0
		.amdhsa_system_sgpr_workgroup_info 0
		.amdhsa_system_vgpr_workitem_id 0
		.amdhsa_next_free_vgpr 1
		.amdhsa_next_free_sgpr 1
		.amdhsa_named_barrier_count 0
		.amdhsa_reserve_vcc 0
		.amdhsa_float_round_mode_32 0
		.amdhsa_float_round_mode_16_64 0
		.amdhsa_float_denorm_mode_32 3
		.amdhsa_float_denorm_mode_16_64 3
		.amdhsa_fp16_overflow 0
		.amdhsa_memory_ordered 1
		.amdhsa_forward_progress 1
		.amdhsa_inst_pref_size 0
		.amdhsa_round_robin_scheduling 0
		.amdhsa_exception_fp_ieee_invalid_op 0
		.amdhsa_exception_fp_denorm_src 0
		.amdhsa_exception_fp_ieee_div_zero 0
		.amdhsa_exception_fp_ieee_overflow 0
		.amdhsa_exception_fp_ieee_underflow 0
		.amdhsa_exception_fp_ieee_inexact 0
		.amdhsa_exception_int_div_zero 0
	.end_amdhsa_kernel
	.section	.text._ZN7rocprim17ROCPRIM_400000_NS6detail17trampoline_kernelINS0_14default_configENS1_27scan_by_key_config_selectorIisEEZZNS1_16scan_by_key_implILNS1_25lookback_scan_determinismE0ELb1ES3_N6thrust23THRUST_200600_302600_NS6detail15normal_iteratorINS9_10device_ptrIiEEEENSB_INSC_IsEEEESG_sNS9_4plusIvEENS9_8equal_toIvEEsEE10hipError_tPvRmT2_T3_T4_T5_mT6_T7_P12ihipStream_tbENKUlT_T0_E_clISt17integral_constantIbLb1EES11_EEDaSW_SX_EUlSW_E_NS1_11comp_targetILNS1_3genE3ELNS1_11target_archE908ELNS1_3gpuE7ELNS1_3repE0EEENS1_30default_config_static_selectorELNS0_4arch9wavefront6targetE0EEEvT1_,"axG",@progbits,_ZN7rocprim17ROCPRIM_400000_NS6detail17trampoline_kernelINS0_14default_configENS1_27scan_by_key_config_selectorIisEEZZNS1_16scan_by_key_implILNS1_25lookback_scan_determinismE0ELb1ES3_N6thrust23THRUST_200600_302600_NS6detail15normal_iteratorINS9_10device_ptrIiEEEENSB_INSC_IsEEEESG_sNS9_4plusIvEENS9_8equal_toIvEEsEE10hipError_tPvRmT2_T3_T4_T5_mT6_T7_P12ihipStream_tbENKUlT_T0_E_clISt17integral_constantIbLb1EES11_EEDaSW_SX_EUlSW_E_NS1_11comp_targetILNS1_3genE3ELNS1_11target_archE908ELNS1_3gpuE7ELNS1_3repE0EEENS1_30default_config_static_selectorELNS0_4arch9wavefront6targetE0EEEvT1_,comdat
.Lfunc_end1620:
	.size	_ZN7rocprim17ROCPRIM_400000_NS6detail17trampoline_kernelINS0_14default_configENS1_27scan_by_key_config_selectorIisEEZZNS1_16scan_by_key_implILNS1_25lookback_scan_determinismE0ELb1ES3_N6thrust23THRUST_200600_302600_NS6detail15normal_iteratorINS9_10device_ptrIiEEEENSB_INSC_IsEEEESG_sNS9_4plusIvEENS9_8equal_toIvEEsEE10hipError_tPvRmT2_T3_T4_T5_mT6_T7_P12ihipStream_tbENKUlT_T0_E_clISt17integral_constantIbLb1EES11_EEDaSW_SX_EUlSW_E_NS1_11comp_targetILNS1_3genE3ELNS1_11target_archE908ELNS1_3gpuE7ELNS1_3repE0EEENS1_30default_config_static_selectorELNS0_4arch9wavefront6targetE0EEEvT1_, .Lfunc_end1620-_ZN7rocprim17ROCPRIM_400000_NS6detail17trampoline_kernelINS0_14default_configENS1_27scan_by_key_config_selectorIisEEZZNS1_16scan_by_key_implILNS1_25lookback_scan_determinismE0ELb1ES3_N6thrust23THRUST_200600_302600_NS6detail15normal_iteratorINS9_10device_ptrIiEEEENSB_INSC_IsEEEESG_sNS9_4plusIvEENS9_8equal_toIvEEsEE10hipError_tPvRmT2_T3_T4_T5_mT6_T7_P12ihipStream_tbENKUlT_T0_E_clISt17integral_constantIbLb1EES11_EEDaSW_SX_EUlSW_E_NS1_11comp_targetILNS1_3genE3ELNS1_11target_archE908ELNS1_3gpuE7ELNS1_3repE0EEENS1_30default_config_static_selectorELNS0_4arch9wavefront6targetE0EEEvT1_
                                        ; -- End function
	.set _ZN7rocprim17ROCPRIM_400000_NS6detail17trampoline_kernelINS0_14default_configENS1_27scan_by_key_config_selectorIisEEZZNS1_16scan_by_key_implILNS1_25lookback_scan_determinismE0ELb1ES3_N6thrust23THRUST_200600_302600_NS6detail15normal_iteratorINS9_10device_ptrIiEEEENSB_INSC_IsEEEESG_sNS9_4plusIvEENS9_8equal_toIvEEsEE10hipError_tPvRmT2_T3_T4_T5_mT6_T7_P12ihipStream_tbENKUlT_T0_E_clISt17integral_constantIbLb1EES11_EEDaSW_SX_EUlSW_E_NS1_11comp_targetILNS1_3genE3ELNS1_11target_archE908ELNS1_3gpuE7ELNS1_3repE0EEENS1_30default_config_static_selectorELNS0_4arch9wavefront6targetE0EEEvT1_.num_vgpr, 0
	.set _ZN7rocprim17ROCPRIM_400000_NS6detail17trampoline_kernelINS0_14default_configENS1_27scan_by_key_config_selectorIisEEZZNS1_16scan_by_key_implILNS1_25lookback_scan_determinismE0ELb1ES3_N6thrust23THRUST_200600_302600_NS6detail15normal_iteratorINS9_10device_ptrIiEEEENSB_INSC_IsEEEESG_sNS9_4plusIvEENS9_8equal_toIvEEsEE10hipError_tPvRmT2_T3_T4_T5_mT6_T7_P12ihipStream_tbENKUlT_T0_E_clISt17integral_constantIbLb1EES11_EEDaSW_SX_EUlSW_E_NS1_11comp_targetILNS1_3genE3ELNS1_11target_archE908ELNS1_3gpuE7ELNS1_3repE0EEENS1_30default_config_static_selectorELNS0_4arch9wavefront6targetE0EEEvT1_.num_agpr, 0
	.set _ZN7rocprim17ROCPRIM_400000_NS6detail17trampoline_kernelINS0_14default_configENS1_27scan_by_key_config_selectorIisEEZZNS1_16scan_by_key_implILNS1_25lookback_scan_determinismE0ELb1ES3_N6thrust23THRUST_200600_302600_NS6detail15normal_iteratorINS9_10device_ptrIiEEEENSB_INSC_IsEEEESG_sNS9_4plusIvEENS9_8equal_toIvEEsEE10hipError_tPvRmT2_T3_T4_T5_mT6_T7_P12ihipStream_tbENKUlT_T0_E_clISt17integral_constantIbLb1EES11_EEDaSW_SX_EUlSW_E_NS1_11comp_targetILNS1_3genE3ELNS1_11target_archE908ELNS1_3gpuE7ELNS1_3repE0EEENS1_30default_config_static_selectorELNS0_4arch9wavefront6targetE0EEEvT1_.numbered_sgpr, 0
	.set _ZN7rocprim17ROCPRIM_400000_NS6detail17trampoline_kernelINS0_14default_configENS1_27scan_by_key_config_selectorIisEEZZNS1_16scan_by_key_implILNS1_25lookback_scan_determinismE0ELb1ES3_N6thrust23THRUST_200600_302600_NS6detail15normal_iteratorINS9_10device_ptrIiEEEENSB_INSC_IsEEEESG_sNS9_4plusIvEENS9_8equal_toIvEEsEE10hipError_tPvRmT2_T3_T4_T5_mT6_T7_P12ihipStream_tbENKUlT_T0_E_clISt17integral_constantIbLb1EES11_EEDaSW_SX_EUlSW_E_NS1_11comp_targetILNS1_3genE3ELNS1_11target_archE908ELNS1_3gpuE7ELNS1_3repE0EEENS1_30default_config_static_selectorELNS0_4arch9wavefront6targetE0EEEvT1_.num_named_barrier, 0
	.set _ZN7rocprim17ROCPRIM_400000_NS6detail17trampoline_kernelINS0_14default_configENS1_27scan_by_key_config_selectorIisEEZZNS1_16scan_by_key_implILNS1_25lookback_scan_determinismE0ELb1ES3_N6thrust23THRUST_200600_302600_NS6detail15normal_iteratorINS9_10device_ptrIiEEEENSB_INSC_IsEEEESG_sNS9_4plusIvEENS9_8equal_toIvEEsEE10hipError_tPvRmT2_T3_T4_T5_mT6_T7_P12ihipStream_tbENKUlT_T0_E_clISt17integral_constantIbLb1EES11_EEDaSW_SX_EUlSW_E_NS1_11comp_targetILNS1_3genE3ELNS1_11target_archE908ELNS1_3gpuE7ELNS1_3repE0EEENS1_30default_config_static_selectorELNS0_4arch9wavefront6targetE0EEEvT1_.private_seg_size, 0
	.set _ZN7rocprim17ROCPRIM_400000_NS6detail17trampoline_kernelINS0_14default_configENS1_27scan_by_key_config_selectorIisEEZZNS1_16scan_by_key_implILNS1_25lookback_scan_determinismE0ELb1ES3_N6thrust23THRUST_200600_302600_NS6detail15normal_iteratorINS9_10device_ptrIiEEEENSB_INSC_IsEEEESG_sNS9_4plusIvEENS9_8equal_toIvEEsEE10hipError_tPvRmT2_T3_T4_T5_mT6_T7_P12ihipStream_tbENKUlT_T0_E_clISt17integral_constantIbLb1EES11_EEDaSW_SX_EUlSW_E_NS1_11comp_targetILNS1_3genE3ELNS1_11target_archE908ELNS1_3gpuE7ELNS1_3repE0EEENS1_30default_config_static_selectorELNS0_4arch9wavefront6targetE0EEEvT1_.uses_vcc, 0
	.set _ZN7rocprim17ROCPRIM_400000_NS6detail17trampoline_kernelINS0_14default_configENS1_27scan_by_key_config_selectorIisEEZZNS1_16scan_by_key_implILNS1_25lookback_scan_determinismE0ELb1ES3_N6thrust23THRUST_200600_302600_NS6detail15normal_iteratorINS9_10device_ptrIiEEEENSB_INSC_IsEEEESG_sNS9_4plusIvEENS9_8equal_toIvEEsEE10hipError_tPvRmT2_T3_T4_T5_mT6_T7_P12ihipStream_tbENKUlT_T0_E_clISt17integral_constantIbLb1EES11_EEDaSW_SX_EUlSW_E_NS1_11comp_targetILNS1_3genE3ELNS1_11target_archE908ELNS1_3gpuE7ELNS1_3repE0EEENS1_30default_config_static_selectorELNS0_4arch9wavefront6targetE0EEEvT1_.uses_flat_scratch, 0
	.set _ZN7rocprim17ROCPRIM_400000_NS6detail17trampoline_kernelINS0_14default_configENS1_27scan_by_key_config_selectorIisEEZZNS1_16scan_by_key_implILNS1_25lookback_scan_determinismE0ELb1ES3_N6thrust23THRUST_200600_302600_NS6detail15normal_iteratorINS9_10device_ptrIiEEEENSB_INSC_IsEEEESG_sNS9_4plusIvEENS9_8equal_toIvEEsEE10hipError_tPvRmT2_T3_T4_T5_mT6_T7_P12ihipStream_tbENKUlT_T0_E_clISt17integral_constantIbLb1EES11_EEDaSW_SX_EUlSW_E_NS1_11comp_targetILNS1_3genE3ELNS1_11target_archE908ELNS1_3gpuE7ELNS1_3repE0EEENS1_30default_config_static_selectorELNS0_4arch9wavefront6targetE0EEEvT1_.has_dyn_sized_stack, 0
	.set _ZN7rocprim17ROCPRIM_400000_NS6detail17trampoline_kernelINS0_14default_configENS1_27scan_by_key_config_selectorIisEEZZNS1_16scan_by_key_implILNS1_25lookback_scan_determinismE0ELb1ES3_N6thrust23THRUST_200600_302600_NS6detail15normal_iteratorINS9_10device_ptrIiEEEENSB_INSC_IsEEEESG_sNS9_4plusIvEENS9_8equal_toIvEEsEE10hipError_tPvRmT2_T3_T4_T5_mT6_T7_P12ihipStream_tbENKUlT_T0_E_clISt17integral_constantIbLb1EES11_EEDaSW_SX_EUlSW_E_NS1_11comp_targetILNS1_3genE3ELNS1_11target_archE908ELNS1_3gpuE7ELNS1_3repE0EEENS1_30default_config_static_selectorELNS0_4arch9wavefront6targetE0EEEvT1_.has_recursion, 0
	.set _ZN7rocprim17ROCPRIM_400000_NS6detail17trampoline_kernelINS0_14default_configENS1_27scan_by_key_config_selectorIisEEZZNS1_16scan_by_key_implILNS1_25lookback_scan_determinismE0ELb1ES3_N6thrust23THRUST_200600_302600_NS6detail15normal_iteratorINS9_10device_ptrIiEEEENSB_INSC_IsEEEESG_sNS9_4plusIvEENS9_8equal_toIvEEsEE10hipError_tPvRmT2_T3_T4_T5_mT6_T7_P12ihipStream_tbENKUlT_T0_E_clISt17integral_constantIbLb1EES11_EEDaSW_SX_EUlSW_E_NS1_11comp_targetILNS1_3genE3ELNS1_11target_archE908ELNS1_3gpuE7ELNS1_3repE0EEENS1_30default_config_static_selectorELNS0_4arch9wavefront6targetE0EEEvT1_.has_indirect_call, 0
	.section	.AMDGPU.csdata,"",@progbits
; Kernel info:
; codeLenInByte = 0
; TotalNumSgprs: 0
; NumVgprs: 0
; ScratchSize: 0
; MemoryBound: 0
; FloatMode: 240
; IeeeMode: 1
; LDSByteSize: 0 bytes/workgroup (compile time only)
; SGPRBlocks: 0
; VGPRBlocks: 0
; NumSGPRsForWavesPerEU: 1
; NumVGPRsForWavesPerEU: 1
; NamedBarCnt: 0
; Occupancy: 16
; WaveLimiterHint : 0
; COMPUTE_PGM_RSRC2:SCRATCH_EN: 0
; COMPUTE_PGM_RSRC2:USER_SGPR: 2
; COMPUTE_PGM_RSRC2:TRAP_HANDLER: 0
; COMPUTE_PGM_RSRC2:TGID_X_EN: 1
; COMPUTE_PGM_RSRC2:TGID_Y_EN: 0
; COMPUTE_PGM_RSRC2:TGID_Z_EN: 0
; COMPUTE_PGM_RSRC2:TIDIG_COMP_CNT: 0
	.section	.text._ZN7rocprim17ROCPRIM_400000_NS6detail17trampoline_kernelINS0_14default_configENS1_27scan_by_key_config_selectorIisEEZZNS1_16scan_by_key_implILNS1_25lookback_scan_determinismE0ELb1ES3_N6thrust23THRUST_200600_302600_NS6detail15normal_iteratorINS9_10device_ptrIiEEEENSB_INSC_IsEEEESG_sNS9_4plusIvEENS9_8equal_toIvEEsEE10hipError_tPvRmT2_T3_T4_T5_mT6_T7_P12ihipStream_tbENKUlT_T0_E_clISt17integral_constantIbLb1EES11_EEDaSW_SX_EUlSW_E_NS1_11comp_targetILNS1_3genE2ELNS1_11target_archE906ELNS1_3gpuE6ELNS1_3repE0EEENS1_30default_config_static_selectorELNS0_4arch9wavefront6targetE0EEEvT1_,"axG",@progbits,_ZN7rocprim17ROCPRIM_400000_NS6detail17trampoline_kernelINS0_14default_configENS1_27scan_by_key_config_selectorIisEEZZNS1_16scan_by_key_implILNS1_25lookback_scan_determinismE0ELb1ES3_N6thrust23THRUST_200600_302600_NS6detail15normal_iteratorINS9_10device_ptrIiEEEENSB_INSC_IsEEEESG_sNS9_4plusIvEENS9_8equal_toIvEEsEE10hipError_tPvRmT2_T3_T4_T5_mT6_T7_P12ihipStream_tbENKUlT_T0_E_clISt17integral_constantIbLb1EES11_EEDaSW_SX_EUlSW_E_NS1_11comp_targetILNS1_3genE2ELNS1_11target_archE906ELNS1_3gpuE6ELNS1_3repE0EEENS1_30default_config_static_selectorELNS0_4arch9wavefront6targetE0EEEvT1_,comdat
	.protected	_ZN7rocprim17ROCPRIM_400000_NS6detail17trampoline_kernelINS0_14default_configENS1_27scan_by_key_config_selectorIisEEZZNS1_16scan_by_key_implILNS1_25lookback_scan_determinismE0ELb1ES3_N6thrust23THRUST_200600_302600_NS6detail15normal_iteratorINS9_10device_ptrIiEEEENSB_INSC_IsEEEESG_sNS9_4plusIvEENS9_8equal_toIvEEsEE10hipError_tPvRmT2_T3_T4_T5_mT6_T7_P12ihipStream_tbENKUlT_T0_E_clISt17integral_constantIbLb1EES11_EEDaSW_SX_EUlSW_E_NS1_11comp_targetILNS1_3genE2ELNS1_11target_archE906ELNS1_3gpuE6ELNS1_3repE0EEENS1_30default_config_static_selectorELNS0_4arch9wavefront6targetE0EEEvT1_ ; -- Begin function _ZN7rocprim17ROCPRIM_400000_NS6detail17trampoline_kernelINS0_14default_configENS1_27scan_by_key_config_selectorIisEEZZNS1_16scan_by_key_implILNS1_25lookback_scan_determinismE0ELb1ES3_N6thrust23THRUST_200600_302600_NS6detail15normal_iteratorINS9_10device_ptrIiEEEENSB_INSC_IsEEEESG_sNS9_4plusIvEENS9_8equal_toIvEEsEE10hipError_tPvRmT2_T3_T4_T5_mT6_T7_P12ihipStream_tbENKUlT_T0_E_clISt17integral_constantIbLb1EES11_EEDaSW_SX_EUlSW_E_NS1_11comp_targetILNS1_3genE2ELNS1_11target_archE906ELNS1_3gpuE6ELNS1_3repE0EEENS1_30default_config_static_selectorELNS0_4arch9wavefront6targetE0EEEvT1_
	.globl	_ZN7rocprim17ROCPRIM_400000_NS6detail17trampoline_kernelINS0_14default_configENS1_27scan_by_key_config_selectorIisEEZZNS1_16scan_by_key_implILNS1_25lookback_scan_determinismE0ELb1ES3_N6thrust23THRUST_200600_302600_NS6detail15normal_iteratorINS9_10device_ptrIiEEEENSB_INSC_IsEEEESG_sNS9_4plusIvEENS9_8equal_toIvEEsEE10hipError_tPvRmT2_T3_T4_T5_mT6_T7_P12ihipStream_tbENKUlT_T0_E_clISt17integral_constantIbLb1EES11_EEDaSW_SX_EUlSW_E_NS1_11comp_targetILNS1_3genE2ELNS1_11target_archE906ELNS1_3gpuE6ELNS1_3repE0EEENS1_30default_config_static_selectorELNS0_4arch9wavefront6targetE0EEEvT1_
	.p2align	8
	.type	_ZN7rocprim17ROCPRIM_400000_NS6detail17trampoline_kernelINS0_14default_configENS1_27scan_by_key_config_selectorIisEEZZNS1_16scan_by_key_implILNS1_25lookback_scan_determinismE0ELb1ES3_N6thrust23THRUST_200600_302600_NS6detail15normal_iteratorINS9_10device_ptrIiEEEENSB_INSC_IsEEEESG_sNS9_4plusIvEENS9_8equal_toIvEEsEE10hipError_tPvRmT2_T3_T4_T5_mT6_T7_P12ihipStream_tbENKUlT_T0_E_clISt17integral_constantIbLb1EES11_EEDaSW_SX_EUlSW_E_NS1_11comp_targetILNS1_3genE2ELNS1_11target_archE906ELNS1_3gpuE6ELNS1_3repE0EEENS1_30default_config_static_selectorELNS0_4arch9wavefront6targetE0EEEvT1_,@function
_ZN7rocprim17ROCPRIM_400000_NS6detail17trampoline_kernelINS0_14default_configENS1_27scan_by_key_config_selectorIisEEZZNS1_16scan_by_key_implILNS1_25lookback_scan_determinismE0ELb1ES3_N6thrust23THRUST_200600_302600_NS6detail15normal_iteratorINS9_10device_ptrIiEEEENSB_INSC_IsEEEESG_sNS9_4plusIvEENS9_8equal_toIvEEsEE10hipError_tPvRmT2_T3_T4_T5_mT6_T7_P12ihipStream_tbENKUlT_T0_E_clISt17integral_constantIbLb1EES11_EEDaSW_SX_EUlSW_E_NS1_11comp_targetILNS1_3genE2ELNS1_11target_archE906ELNS1_3gpuE6ELNS1_3repE0EEENS1_30default_config_static_selectorELNS0_4arch9wavefront6targetE0EEEvT1_: ; @_ZN7rocprim17ROCPRIM_400000_NS6detail17trampoline_kernelINS0_14default_configENS1_27scan_by_key_config_selectorIisEEZZNS1_16scan_by_key_implILNS1_25lookback_scan_determinismE0ELb1ES3_N6thrust23THRUST_200600_302600_NS6detail15normal_iteratorINS9_10device_ptrIiEEEENSB_INSC_IsEEEESG_sNS9_4plusIvEENS9_8equal_toIvEEsEE10hipError_tPvRmT2_T3_T4_T5_mT6_T7_P12ihipStream_tbENKUlT_T0_E_clISt17integral_constantIbLb1EES11_EEDaSW_SX_EUlSW_E_NS1_11comp_targetILNS1_3genE2ELNS1_11target_archE906ELNS1_3gpuE6ELNS1_3repE0EEENS1_30default_config_static_selectorELNS0_4arch9wavefront6targetE0EEEvT1_
; %bb.0:
	.section	.rodata,"a",@progbits
	.p2align	6, 0x0
	.amdhsa_kernel _ZN7rocprim17ROCPRIM_400000_NS6detail17trampoline_kernelINS0_14default_configENS1_27scan_by_key_config_selectorIisEEZZNS1_16scan_by_key_implILNS1_25lookback_scan_determinismE0ELb1ES3_N6thrust23THRUST_200600_302600_NS6detail15normal_iteratorINS9_10device_ptrIiEEEENSB_INSC_IsEEEESG_sNS9_4plusIvEENS9_8equal_toIvEEsEE10hipError_tPvRmT2_T3_T4_T5_mT6_T7_P12ihipStream_tbENKUlT_T0_E_clISt17integral_constantIbLb1EES11_EEDaSW_SX_EUlSW_E_NS1_11comp_targetILNS1_3genE2ELNS1_11target_archE906ELNS1_3gpuE6ELNS1_3repE0EEENS1_30default_config_static_selectorELNS0_4arch9wavefront6targetE0EEEvT1_
		.amdhsa_group_segment_fixed_size 0
		.amdhsa_private_segment_fixed_size 0
		.amdhsa_kernarg_size 112
		.amdhsa_user_sgpr_count 2
		.amdhsa_user_sgpr_dispatch_ptr 0
		.amdhsa_user_sgpr_queue_ptr 0
		.amdhsa_user_sgpr_kernarg_segment_ptr 1
		.amdhsa_user_sgpr_dispatch_id 0
		.amdhsa_user_sgpr_kernarg_preload_length 0
		.amdhsa_user_sgpr_kernarg_preload_offset 0
		.amdhsa_user_sgpr_private_segment_size 0
		.amdhsa_wavefront_size32 1
		.amdhsa_uses_dynamic_stack 0
		.amdhsa_enable_private_segment 0
		.amdhsa_system_sgpr_workgroup_id_x 1
		.amdhsa_system_sgpr_workgroup_id_y 0
		.amdhsa_system_sgpr_workgroup_id_z 0
		.amdhsa_system_sgpr_workgroup_info 0
		.amdhsa_system_vgpr_workitem_id 0
		.amdhsa_next_free_vgpr 1
		.amdhsa_next_free_sgpr 1
		.amdhsa_named_barrier_count 0
		.amdhsa_reserve_vcc 0
		.amdhsa_float_round_mode_32 0
		.amdhsa_float_round_mode_16_64 0
		.amdhsa_float_denorm_mode_32 3
		.amdhsa_float_denorm_mode_16_64 3
		.amdhsa_fp16_overflow 0
		.amdhsa_memory_ordered 1
		.amdhsa_forward_progress 1
		.amdhsa_inst_pref_size 0
		.amdhsa_round_robin_scheduling 0
		.amdhsa_exception_fp_ieee_invalid_op 0
		.amdhsa_exception_fp_denorm_src 0
		.amdhsa_exception_fp_ieee_div_zero 0
		.amdhsa_exception_fp_ieee_overflow 0
		.amdhsa_exception_fp_ieee_underflow 0
		.amdhsa_exception_fp_ieee_inexact 0
		.amdhsa_exception_int_div_zero 0
	.end_amdhsa_kernel
	.section	.text._ZN7rocprim17ROCPRIM_400000_NS6detail17trampoline_kernelINS0_14default_configENS1_27scan_by_key_config_selectorIisEEZZNS1_16scan_by_key_implILNS1_25lookback_scan_determinismE0ELb1ES3_N6thrust23THRUST_200600_302600_NS6detail15normal_iteratorINS9_10device_ptrIiEEEENSB_INSC_IsEEEESG_sNS9_4plusIvEENS9_8equal_toIvEEsEE10hipError_tPvRmT2_T3_T4_T5_mT6_T7_P12ihipStream_tbENKUlT_T0_E_clISt17integral_constantIbLb1EES11_EEDaSW_SX_EUlSW_E_NS1_11comp_targetILNS1_3genE2ELNS1_11target_archE906ELNS1_3gpuE6ELNS1_3repE0EEENS1_30default_config_static_selectorELNS0_4arch9wavefront6targetE0EEEvT1_,"axG",@progbits,_ZN7rocprim17ROCPRIM_400000_NS6detail17trampoline_kernelINS0_14default_configENS1_27scan_by_key_config_selectorIisEEZZNS1_16scan_by_key_implILNS1_25lookback_scan_determinismE0ELb1ES3_N6thrust23THRUST_200600_302600_NS6detail15normal_iteratorINS9_10device_ptrIiEEEENSB_INSC_IsEEEESG_sNS9_4plusIvEENS9_8equal_toIvEEsEE10hipError_tPvRmT2_T3_T4_T5_mT6_T7_P12ihipStream_tbENKUlT_T0_E_clISt17integral_constantIbLb1EES11_EEDaSW_SX_EUlSW_E_NS1_11comp_targetILNS1_3genE2ELNS1_11target_archE906ELNS1_3gpuE6ELNS1_3repE0EEENS1_30default_config_static_selectorELNS0_4arch9wavefront6targetE0EEEvT1_,comdat
.Lfunc_end1621:
	.size	_ZN7rocprim17ROCPRIM_400000_NS6detail17trampoline_kernelINS0_14default_configENS1_27scan_by_key_config_selectorIisEEZZNS1_16scan_by_key_implILNS1_25lookback_scan_determinismE0ELb1ES3_N6thrust23THRUST_200600_302600_NS6detail15normal_iteratorINS9_10device_ptrIiEEEENSB_INSC_IsEEEESG_sNS9_4plusIvEENS9_8equal_toIvEEsEE10hipError_tPvRmT2_T3_T4_T5_mT6_T7_P12ihipStream_tbENKUlT_T0_E_clISt17integral_constantIbLb1EES11_EEDaSW_SX_EUlSW_E_NS1_11comp_targetILNS1_3genE2ELNS1_11target_archE906ELNS1_3gpuE6ELNS1_3repE0EEENS1_30default_config_static_selectorELNS0_4arch9wavefront6targetE0EEEvT1_, .Lfunc_end1621-_ZN7rocprim17ROCPRIM_400000_NS6detail17trampoline_kernelINS0_14default_configENS1_27scan_by_key_config_selectorIisEEZZNS1_16scan_by_key_implILNS1_25lookback_scan_determinismE0ELb1ES3_N6thrust23THRUST_200600_302600_NS6detail15normal_iteratorINS9_10device_ptrIiEEEENSB_INSC_IsEEEESG_sNS9_4plusIvEENS9_8equal_toIvEEsEE10hipError_tPvRmT2_T3_T4_T5_mT6_T7_P12ihipStream_tbENKUlT_T0_E_clISt17integral_constantIbLb1EES11_EEDaSW_SX_EUlSW_E_NS1_11comp_targetILNS1_3genE2ELNS1_11target_archE906ELNS1_3gpuE6ELNS1_3repE0EEENS1_30default_config_static_selectorELNS0_4arch9wavefront6targetE0EEEvT1_
                                        ; -- End function
	.set _ZN7rocprim17ROCPRIM_400000_NS6detail17trampoline_kernelINS0_14default_configENS1_27scan_by_key_config_selectorIisEEZZNS1_16scan_by_key_implILNS1_25lookback_scan_determinismE0ELb1ES3_N6thrust23THRUST_200600_302600_NS6detail15normal_iteratorINS9_10device_ptrIiEEEENSB_INSC_IsEEEESG_sNS9_4plusIvEENS9_8equal_toIvEEsEE10hipError_tPvRmT2_T3_T4_T5_mT6_T7_P12ihipStream_tbENKUlT_T0_E_clISt17integral_constantIbLb1EES11_EEDaSW_SX_EUlSW_E_NS1_11comp_targetILNS1_3genE2ELNS1_11target_archE906ELNS1_3gpuE6ELNS1_3repE0EEENS1_30default_config_static_selectorELNS0_4arch9wavefront6targetE0EEEvT1_.num_vgpr, 0
	.set _ZN7rocprim17ROCPRIM_400000_NS6detail17trampoline_kernelINS0_14default_configENS1_27scan_by_key_config_selectorIisEEZZNS1_16scan_by_key_implILNS1_25lookback_scan_determinismE0ELb1ES3_N6thrust23THRUST_200600_302600_NS6detail15normal_iteratorINS9_10device_ptrIiEEEENSB_INSC_IsEEEESG_sNS9_4plusIvEENS9_8equal_toIvEEsEE10hipError_tPvRmT2_T3_T4_T5_mT6_T7_P12ihipStream_tbENKUlT_T0_E_clISt17integral_constantIbLb1EES11_EEDaSW_SX_EUlSW_E_NS1_11comp_targetILNS1_3genE2ELNS1_11target_archE906ELNS1_3gpuE6ELNS1_3repE0EEENS1_30default_config_static_selectorELNS0_4arch9wavefront6targetE0EEEvT1_.num_agpr, 0
	.set _ZN7rocprim17ROCPRIM_400000_NS6detail17trampoline_kernelINS0_14default_configENS1_27scan_by_key_config_selectorIisEEZZNS1_16scan_by_key_implILNS1_25lookback_scan_determinismE0ELb1ES3_N6thrust23THRUST_200600_302600_NS6detail15normal_iteratorINS9_10device_ptrIiEEEENSB_INSC_IsEEEESG_sNS9_4plusIvEENS9_8equal_toIvEEsEE10hipError_tPvRmT2_T3_T4_T5_mT6_T7_P12ihipStream_tbENKUlT_T0_E_clISt17integral_constantIbLb1EES11_EEDaSW_SX_EUlSW_E_NS1_11comp_targetILNS1_3genE2ELNS1_11target_archE906ELNS1_3gpuE6ELNS1_3repE0EEENS1_30default_config_static_selectorELNS0_4arch9wavefront6targetE0EEEvT1_.numbered_sgpr, 0
	.set _ZN7rocprim17ROCPRIM_400000_NS6detail17trampoline_kernelINS0_14default_configENS1_27scan_by_key_config_selectorIisEEZZNS1_16scan_by_key_implILNS1_25lookback_scan_determinismE0ELb1ES3_N6thrust23THRUST_200600_302600_NS6detail15normal_iteratorINS9_10device_ptrIiEEEENSB_INSC_IsEEEESG_sNS9_4plusIvEENS9_8equal_toIvEEsEE10hipError_tPvRmT2_T3_T4_T5_mT6_T7_P12ihipStream_tbENKUlT_T0_E_clISt17integral_constantIbLb1EES11_EEDaSW_SX_EUlSW_E_NS1_11comp_targetILNS1_3genE2ELNS1_11target_archE906ELNS1_3gpuE6ELNS1_3repE0EEENS1_30default_config_static_selectorELNS0_4arch9wavefront6targetE0EEEvT1_.num_named_barrier, 0
	.set _ZN7rocprim17ROCPRIM_400000_NS6detail17trampoline_kernelINS0_14default_configENS1_27scan_by_key_config_selectorIisEEZZNS1_16scan_by_key_implILNS1_25lookback_scan_determinismE0ELb1ES3_N6thrust23THRUST_200600_302600_NS6detail15normal_iteratorINS9_10device_ptrIiEEEENSB_INSC_IsEEEESG_sNS9_4plusIvEENS9_8equal_toIvEEsEE10hipError_tPvRmT2_T3_T4_T5_mT6_T7_P12ihipStream_tbENKUlT_T0_E_clISt17integral_constantIbLb1EES11_EEDaSW_SX_EUlSW_E_NS1_11comp_targetILNS1_3genE2ELNS1_11target_archE906ELNS1_3gpuE6ELNS1_3repE0EEENS1_30default_config_static_selectorELNS0_4arch9wavefront6targetE0EEEvT1_.private_seg_size, 0
	.set _ZN7rocprim17ROCPRIM_400000_NS6detail17trampoline_kernelINS0_14default_configENS1_27scan_by_key_config_selectorIisEEZZNS1_16scan_by_key_implILNS1_25lookback_scan_determinismE0ELb1ES3_N6thrust23THRUST_200600_302600_NS6detail15normal_iteratorINS9_10device_ptrIiEEEENSB_INSC_IsEEEESG_sNS9_4plusIvEENS9_8equal_toIvEEsEE10hipError_tPvRmT2_T3_T4_T5_mT6_T7_P12ihipStream_tbENKUlT_T0_E_clISt17integral_constantIbLb1EES11_EEDaSW_SX_EUlSW_E_NS1_11comp_targetILNS1_3genE2ELNS1_11target_archE906ELNS1_3gpuE6ELNS1_3repE0EEENS1_30default_config_static_selectorELNS0_4arch9wavefront6targetE0EEEvT1_.uses_vcc, 0
	.set _ZN7rocprim17ROCPRIM_400000_NS6detail17trampoline_kernelINS0_14default_configENS1_27scan_by_key_config_selectorIisEEZZNS1_16scan_by_key_implILNS1_25lookback_scan_determinismE0ELb1ES3_N6thrust23THRUST_200600_302600_NS6detail15normal_iteratorINS9_10device_ptrIiEEEENSB_INSC_IsEEEESG_sNS9_4plusIvEENS9_8equal_toIvEEsEE10hipError_tPvRmT2_T3_T4_T5_mT6_T7_P12ihipStream_tbENKUlT_T0_E_clISt17integral_constantIbLb1EES11_EEDaSW_SX_EUlSW_E_NS1_11comp_targetILNS1_3genE2ELNS1_11target_archE906ELNS1_3gpuE6ELNS1_3repE0EEENS1_30default_config_static_selectorELNS0_4arch9wavefront6targetE0EEEvT1_.uses_flat_scratch, 0
	.set _ZN7rocprim17ROCPRIM_400000_NS6detail17trampoline_kernelINS0_14default_configENS1_27scan_by_key_config_selectorIisEEZZNS1_16scan_by_key_implILNS1_25lookback_scan_determinismE0ELb1ES3_N6thrust23THRUST_200600_302600_NS6detail15normal_iteratorINS9_10device_ptrIiEEEENSB_INSC_IsEEEESG_sNS9_4plusIvEENS9_8equal_toIvEEsEE10hipError_tPvRmT2_T3_T4_T5_mT6_T7_P12ihipStream_tbENKUlT_T0_E_clISt17integral_constantIbLb1EES11_EEDaSW_SX_EUlSW_E_NS1_11comp_targetILNS1_3genE2ELNS1_11target_archE906ELNS1_3gpuE6ELNS1_3repE0EEENS1_30default_config_static_selectorELNS0_4arch9wavefront6targetE0EEEvT1_.has_dyn_sized_stack, 0
	.set _ZN7rocprim17ROCPRIM_400000_NS6detail17trampoline_kernelINS0_14default_configENS1_27scan_by_key_config_selectorIisEEZZNS1_16scan_by_key_implILNS1_25lookback_scan_determinismE0ELb1ES3_N6thrust23THRUST_200600_302600_NS6detail15normal_iteratorINS9_10device_ptrIiEEEENSB_INSC_IsEEEESG_sNS9_4plusIvEENS9_8equal_toIvEEsEE10hipError_tPvRmT2_T3_T4_T5_mT6_T7_P12ihipStream_tbENKUlT_T0_E_clISt17integral_constantIbLb1EES11_EEDaSW_SX_EUlSW_E_NS1_11comp_targetILNS1_3genE2ELNS1_11target_archE906ELNS1_3gpuE6ELNS1_3repE0EEENS1_30default_config_static_selectorELNS0_4arch9wavefront6targetE0EEEvT1_.has_recursion, 0
	.set _ZN7rocprim17ROCPRIM_400000_NS6detail17trampoline_kernelINS0_14default_configENS1_27scan_by_key_config_selectorIisEEZZNS1_16scan_by_key_implILNS1_25lookback_scan_determinismE0ELb1ES3_N6thrust23THRUST_200600_302600_NS6detail15normal_iteratorINS9_10device_ptrIiEEEENSB_INSC_IsEEEESG_sNS9_4plusIvEENS9_8equal_toIvEEsEE10hipError_tPvRmT2_T3_T4_T5_mT6_T7_P12ihipStream_tbENKUlT_T0_E_clISt17integral_constantIbLb1EES11_EEDaSW_SX_EUlSW_E_NS1_11comp_targetILNS1_3genE2ELNS1_11target_archE906ELNS1_3gpuE6ELNS1_3repE0EEENS1_30default_config_static_selectorELNS0_4arch9wavefront6targetE0EEEvT1_.has_indirect_call, 0
	.section	.AMDGPU.csdata,"",@progbits
; Kernel info:
; codeLenInByte = 0
; TotalNumSgprs: 0
; NumVgprs: 0
; ScratchSize: 0
; MemoryBound: 0
; FloatMode: 240
; IeeeMode: 1
; LDSByteSize: 0 bytes/workgroup (compile time only)
; SGPRBlocks: 0
; VGPRBlocks: 0
; NumSGPRsForWavesPerEU: 1
; NumVGPRsForWavesPerEU: 1
; NamedBarCnt: 0
; Occupancy: 16
; WaveLimiterHint : 0
; COMPUTE_PGM_RSRC2:SCRATCH_EN: 0
; COMPUTE_PGM_RSRC2:USER_SGPR: 2
; COMPUTE_PGM_RSRC2:TRAP_HANDLER: 0
; COMPUTE_PGM_RSRC2:TGID_X_EN: 1
; COMPUTE_PGM_RSRC2:TGID_Y_EN: 0
; COMPUTE_PGM_RSRC2:TGID_Z_EN: 0
; COMPUTE_PGM_RSRC2:TIDIG_COMP_CNT: 0
	.section	.text._ZN7rocprim17ROCPRIM_400000_NS6detail17trampoline_kernelINS0_14default_configENS1_27scan_by_key_config_selectorIisEEZZNS1_16scan_by_key_implILNS1_25lookback_scan_determinismE0ELb1ES3_N6thrust23THRUST_200600_302600_NS6detail15normal_iteratorINS9_10device_ptrIiEEEENSB_INSC_IsEEEESG_sNS9_4plusIvEENS9_8equal_toIvEEsEE10hipError_tPvRmT2_T3_T4_T5_mT6_T7_P12ihipStream_tbENKUlT_T0_E_clISt17integral_constantIbLb1EES11_EEDaSW_SX_EUlSW_E_NS1_11comp_targetILNS1_3genE10ELNS1_11target_archE1200ELNS1_3gpuE4ELNS1_3repE0EEENS1_30default_config_static_selectorELNS0_4arch9wavefront6targetE0EEEvT1_,"axG",@progbits,_ZN7rocprim17ROCPRIM_400000_NS6detail17trampoline_kernelINS0_14default_configENS1_27scan_by_key_config_selectorIisEEZZNS1_16scan_by_key_implILNS1_25lookback_scan_determinismE0ELb1ES3_N6thrust23THRUST_200600_302600_NS6detail15normal_iteratorINS9_10device_ptrIiEEEENSB_INSC_IsEEEESG_sNS9_4plusIvEENS9_8equal_toIvEEsEE10hipError_tPvRmT2_T3_T4_T5_mT6_T7_P12ihipStream_tbENKUlT_T0_E_clISt17integral_constantIbLb1EES11_EEDaSW_SX_EUlSW_E_NS1_11comp_targetILNS1_3genE10ELNS1_11target_archE1200ELNS1_3gpuE4ELNS1_3repE0EEENS1_30default_config_static_selectorELNS0_4arch9wavefront6targetE0EEEvT1_,comdat
	.protected	_ZN7rocprim17ROCPRIM_400000_NS6detail17trampoline_kernelINS0_14default_configENS1_27scan_by_key_config_selectorIisEEZZNS1_16scan_by_key_implILNS1_25lookback_scan_determinismE0ELb1ES3_N6thrust23THRUST_200600_302600_NS6detail15normal_iteratorINS9_10device_ptrIiEEEENSB_INSC_IsEEEESG_sNS9_4plusIvEENS9_8equal_toIvEEsEE10hipError_tPvRmT2_T3_T4_T5_mT6_T7_P12ihipStream_tbENKUlT_T0_E_clISt17integral_constantIbLb1EES11_EEDaSW_SX_EUlSW_E_NS1_11comp_targetILNS1_3genE10ELNS1_11target_archE1200ELNS1_3gpuE4ELNS1_3repE0EEENS1_30default_config_static_selectorELNS0_4arch9wavefront6targetE0EEEvT1_ ; -- Begin function _ZN7rocprim17ROCPRIM_400000_NS6detail17trampoline_kernelINS0_14default_configENS1_27scan_by_key_config_selectorIisEEZZNS1_16scan_by_key_implILNS1_25lookback_scan_determinismE0ELb1ES3_N6thrust23THRUST_200600_302600_NS6detail15normal_iteratorINS9_10device_ptrIiEEEENSB_INSC_IsEEEESG_sNS9_4plusIvEENS9_8equal_toIvEEsEE10hipError_tPvRmT2_T3_T4_T5_mT6_T7_P12ihipStream_tbENKUlT_T0_E_clISt17integral_constantIbLb1EES11_EEDaSW_SX_EUlSW_E_NS1_11comp_targetILNS1_3genE10ELNS1_11target_archE1200ELNS1_3gpuE4ELNS1_3repE0EEENS1_30default_config_static_selectorELNS0_4arch9wavefront6targetE0EEEvT1_
	.globl	_ZN7rocprim17ROCPRIM_400000_NS6detail17trampoline_kernelINS0_14default_configENS1_27scan_by_key_config_selectorIisEEZZNS1_16scan_by_key_implILNS1_25lookback_scan_determinismE0ELb1ES3_N6thrust23THRUST_200600_302600_NS6detail15normal_iteratorINS9_10device_ptrIiEEEENSB_INSC_IsEEEESG_sNS9_4plusIvEENS9_8equal_toIvEEsEE10hipError_tPvRmT2_T3_T4_T5_mT6_T7_P12ihipStream_tbENKUlT_T0_E_clISt17integral_constantIbLb1EES11_EEDaSW_SX_EUlSW_E_NS1_11comp_targetILNS1_3genE10ELNS1_11target_archE1200ELNS1_3gpuE4ELNS1_3repE0EEENS1_30default_config_static_selectorELNS0_4arch9wavefront6targetE0EEEvT1_
	.p2align	8
	.type	_ZN7rocprim17ROCPRIM_400000_NS6detail17trampoline_kernelINS0_14default_configENS1_27scan_by_key_config_selectorIisEEZZNS1_16scan_by_key_implILNS1_25lookback_scan_determinismE0ELb1ES3_N6thrust23THRUST_200600_302600_NS6detail15normal_iteratorINS9_10device_ptrIiEEEENSB_INSC_IsEEEESG_sNS9_4plusIvEENS9_8equal_toIvEEsEE10hipError_tPvRmT2_T3_T4_T5_mT6_T7_P12ihipStream_tbENKUlT_T0_E_clISt17integral_constantIbLb1EES11_EEDaSW_SX_EUlSW_E_NS1_11comp_targetILNS1_3genE10ELNS1_11target_archE1200ELNS1_3gpuE4ELNS1_3repE0EEENS1_30default_config_static_selectorELNS0_4arch9wavefront6targetE0EEEvT1_,@function
_ZN7rocprim17ROCPRIM_400000_NS6detail17trampoline_kernelINS0_14default_configENS1_27scan_by_key_config_selectorIisEEZZNS1_16scan_by_key_implILNS1_25lookback_scan_determinismE0ELb1ES3_N6thrust23THRUST_200600_302600_NS6detail15normal_iteratorINS9_10device_ptrIiEEEENSB_INSC_IsEEEESG_sNS9_4plusIvEENS9_8equal_toIvEEsEE10hipError_tPvRmT2_T3_T4_T5_mT6_T7_P12ihipStream_tbENKUlT_T0_E_clISt17integral_constantIbLb1EES11_EEDaSW_SX_EUlSW_E_NS1_11comp_targetILNS1_3genE10ELNS1_11target_archE1200ELNS1_3gpuE4ELNS1_3repE0EEENS1_30default_config_static_selectorELNS0_4arch9wavefront6targetE0EEEvT1_: ; @_ZN7rocprim17ROCPRIM_400000_NS6detail17trampoline_kernelINS0_14default_configENS1_27scan_by_key_config_selectorIisEEZZNS1_16scan_by_key_implILNS1_25lookback_scan_determinismE0ELb1ES3_N6thrust23THRUST_200600_302600_NS6detail15normal_iteratorINS9_10device_ptrIiEEEENSB_INSC_IsEEEESG_sNS9_4plusIvEENS9_8equal_toIvEEsEE10hipError_tPvRmT2_T3_T4_T5_mT6_T7_P12ihipStream_tbENKUlT_T0_E_clISt17integral_constantIbLb1EES11_EEDaSW_SX_EUlSW_E_NS1_11comp_targetILNS1_3genE10ELNS1_11target_archE1200ELNS1_3gpuE4ELNS1_3repE0EEENS1_30default_config_static_selectorELNS0_4arch9wavefront6targetE0EEEvT1_
; %bb.0:
	.section	.rodata,"a",@progbits
	.p2align	6, 0x0
	.amdhsa_kernel _ZN7rocprim17ROCPRIM_400000_NS6detail17trampoline_kernelINS0_14default_configENS1_27scan_by_key_config_selectorIisEEZZNS1_16scan_by_key_implILNS1_25lookback_scan_determinismE0ELb1ES3_N6thrust23THRUST_200600_302600_NS6detail15normal_iteratorINS9_10device_ptrIiEEEENSB_INSC_IsEEEESG_sNS9_4plusIvEENS9_8equal_toIvEEsEE10hipError_tPvRmT2_T3_T4_T5_mT6_T7_P12ihipStream_tbENKUlT_T0_E_clISt17integral_constantIbLb1EES11_EEDaSW_SX_EUlSW_E_NS1_11comp_targetILNS1_3genE10ELNS1_11target_archE1200ELNS1_3gpuE4ELNS1_3repE0EEENS1_30default_config_static_selectorELNS0_4arch9wavefront6targetE0EEEvT1_
		.amdhsa_group_segment_fixed_size 0
		.amdhsa_private_segment_fixed_size 0
		.amdhsa_kernarg_size 112
		.amdhsa_user_sgpr_count 2
		.amdhsa_user_sgpr_dispatch_ptr 0
		.amdhsa_user_sgpr_queue_ptr 0
		.amdhsa_user_sgpr_kernarg_segment_ptr 1
		.amdhsa_user_sgpr_dispatch_id 0
		.amdhsa_user_sgpr_kernarg_preload_length 0
		.amdhsa_user_sgpr_kernarg_preload_offset 0
		.amdhsa_user_sgpr_private_segment_size 0
		.amdhsa_wavefront_size32 1
		.amdhsa_uses_dynamic_stack 0
		.amdhsa_enable_private_segment 0
		.amdhsa_system_sgpr_workgroup_id_x 1
		.amdhsa_system_sgpr_workgroup_id_y 0
		.amdhsa_system_sgpr_workgroup_id_z 0
		.amdhsa_system_sgpr_workgroup_info 0
		.amdhsa_system_vgpr_workitem_id 0
		.amdhsa_next_free_vgpr 1
		.amdhsa_next_free_sgpr 1
		.amdhsa_named_barrier_count 0
		.amdhsa_reserve_vcc 0
		.amdhsa_float_round_mode_32 0
		.amdhsa_float_round_mode_16_64 0
		.amdhsa_float_denorm_mode_32 3
		.amdhsa_float_denorm_mode_16_64 3
		.amdhsa_fp16_overflow 0
		.amdhsa_memory_ordered 1
		.amdhsa_forward_progress 1
		.amdhsa_inst_pref_size 0
		.amdhsa_round_robin_scheduling 0
		.amdhsa_exception_fp_ieee_invalid_op 0
		.amdhsa_exception_fp_denorm_src 0
		.amdhsa_exception_fp_ieee_div_zero 0
		.amdhsa_exception_fp_ieee_overflow 0
		.amdhsa_exception_fp_ieee_underflow 0
		.amdhsa_exception_fp_ieee_inexact 0
		.amdhsa_exception_int_div_zero 0
	.end_amdhsa_kernel
	.section	.text._ZN7rocprim17ROCPRIM_400000_NS6detail17trampoline_kernelINS0_14default_configENS1_27scan_by_key_config_selectorIisEEZZNS1_16scan_by_key_implILNS1_25lookback_scan_determinismE0ELb1ES3_N6thrust23THRUST_200600_302600_NS6detail15normal_iteratorINS9_10device_ptrIiEEEENSB_INSC_IsEEEESG_sNS9_4plusIvEENS9_8equal_toIvEEsEE10hipError_tPvRmT2_T3_T4_T5_mT6_T7_P12ihipStream_tbENKUlT_T0_E_clISt17integral_constantIbLb1EES11_EEDaSW_SX_EUlSW_E_NS1_11comp_targetILNS1_3genE10ELNS1_11target_archE1200ELNS1_3gpuE4ELNS1_3repE0EEENS1_30default_config_static_selectorELNS0_4arch9wavefront6targetE0EEEvT1_,"axG",@progbits,_ZN7rocprim17ROCPRIM_400000_NS6detail17trampoline_kernelINS0_14default_configENS1_27scan_by_key_config_selectorIisEEZZNS1_16scan_by_key_implILNS1_25lookback_scan_determinismE0ELb1ES3_N6thrust23THRUST_200600_302600_NS6detail15normal_iteratorINS9_10device_ptrIiEEEENSB_INSC_IsEEEESG_sNS9_4plusIvEENS9_8equal_toIvEEsEE10hipError_tPvRmT2_T3_T4_T5_mT6_T7_P12ihipStream_tbENKUlT_T0_E_clISt17integral_constantIbLb1EES11_EEDaSW_SX_EUlSW_E_NS1_11comp_targetILNS1_3genE10ELNS1_11target_archE1200ELNS1_3gpuE4ELNS1_3repE0EEENS1_30default_config_static_selectorELNS0_4arch9wavefront6targetE0EEEvT1_,comdat
.Lfunc_end1622:
	.size	_ZN7rocprim17ROCPRIM_400000_NS6detail17trampoline_kernelINS0_14default_configENS1_27scan_by_key_config_selectorIisEEZZNS1_16scan_by_key_implILNS1_25lookback_scan_determinismE0ELb1ES3_N6thrust23THRUST_200600_302600_NS6detail15normal_iteratorINS9_10device_ptrIiEEEENSB_INSC_IsEEEESG_sNS9_4plusIvEENS9_8equal_toIvEEsEE10hipError_tPvRmT2_T3_T4_T5_mT6_T7_P12ihipStream_tbENKUlT_T0_E_clISt17integral_constantIbLb1EES11_EEDaSW_SX_EUlSW_E_NS1_11comp_targetILNS1_3genE10ELNS1_11target_archE1200ELNS1_3gpuE4ELNS1_3repE0EEENS1_30default_config_static_selectorELNS0_4arch9wavefront6targetE0EEEvT1_, .Lfunc_end1622-_ZN7rocprim17ROCPRIM_400000_NS6detail17trampoline_kernelINS0_14default_configENS1_27scan_by_key_config_selectorIisEEZZNS1_16scan_by_key_implILNS1_25lookback_scan_determinismE0ELb1ES3_N6thrust23THRUST_200600_302600_NS6detail15normal_iteratorINS9_10device_ptrIiEEEENSB_INSC_IsEEEESG_sNS9_4plusIvEENS9_8equal_toIvEEsEE10hipError_tPvRmT2_T3_T4_T5_mT6_T7_P12ihipStream_tbENKUlT_T0_E_clISt17integral_constantIbLb1EES11_EEDaSW_SX_EUlSW_E_NS1_11comp_targetILNS1_3genE10ELNS1_11target_archE1200ELNS1_3gpuE4ELNS1_3repE0EEENS1_30default_config_static_selectorELNS0_4arch9wavefront6targetE0EEEvT1_
                                        ; -- End function
	.set _ZN7rocprim17ROCPRIM_400000_NS6detail17trampoline_kernelINS0_14default_configENS1_27scan_by_key_config_selectorIisEEZZNS1_16scan_by_key_implILNS1_25lookback_scan_determinismE0ELb1ES3_N6thrust23THRUST_200600_302600_NS6detail15normal_iteratorINS9_10device_ptrIiEEEENSB_INSC_IsEEEESG_sNS9_4plusIvEENS9_8equal_toIvEEsEE10hipError_tPvRmT2_T3_T4_T5_mT6_T7_P12ihipStream_tbENKUlT_T0_E_clISt17integral_constantIbLb1EES11_EEDaSW_SX_EUlSW_E_NS1_11comp_targetILNS1_3genE10ELNS1_11target_archE1200ELNS1_3gpuE4ELNS1_3repE0EEENS1_30default_config_static_selectorELNS0_4arch9wavefront6targetE0EEEvT1_.num_vgpr, 0
	.set _ZN7rocprim17ROCPRIM_400000_NS6detail17trampoline_kernelINS0_14default_configENS1_27scan_by_key_config_selectorIisEEZZNS1_16scan_by_key_implILNS1_25lookback_scan_determinismE0ELb1ES3_N6thrust23THRUST_200600_302600_NS6detail15normal_iteratorINS9_10device_ptrIiEEEENSB_INSC_IsEEEESG_sNS9_4plusIvEENS9_8equal_toIvEEsEE10hipError_tPvRmT2_T3_T4_T5_mT6_T7_P12ihipStream_tbENKUlT_T0_E_clISt17integral_constantIbLb1EES11_EEDaSW_SX_EUlSW_E_NS1_11comp_targetILNS1_3genE10ELNS1_11target_archE1200ELNS1_3gpuE4ELNS1_3repE0EEENS1_30default_config_static_selectorELNS0_4arch9wavefront6targetE0EEEvT1_.num_agpr, 0
	.set _ZN7rocprim17ROCPRIM_400000_NS6detail17trampoline_kernelINS0_14default_configENS1_27scan_by_key_config_selectorIisEEZZNS1_16scan_by_key_implILNS1_25lookback_scan_determinismE0ELb1ES3_N6thrust23THRUST_200600_302600_NS6detail15normal_iteratorINS9_10device_ptrIiEEEENSB_INSC_IsEEEESG_sNS9_4plusIvEENS9_8equal_toIvEEsEE10hipError_tPvRmT2_T3_T4_T5_mT6_T7_P12ihipStream_tbENKUlT_T0_E_clISt17integral_constantIbLb1EES11_EEDaSW_SX_EUlSW_E_NS1_11comp_targetILNS1_3genE10ELNS1_11target_archE1200ELNS1_3gpuE4ELNS1_3repE0EEENS1_30default_config_static_selectorELNS0_4arch9wavefront6targetE0EEEvT1_.numbered_sgpr, 0
	.set _ZN7rocprim17ROCPRIM_400000_NS6detail17trampoline_kernelINS0_14default_configENS1_27scan_by_key_config_selectorIisEEZZNS1_16scan_by_key_implILNS1_25lookback_scan_determinismE0ELb1ES3_N6thrust23THRUST_200600_302600_NS6detail15normal_iteratorINS9_10device_ptrIiEEEENSB_INSC_IsEEEESG_sNS9_4plusIvEENS9_8equal_toIvEEsEE10hipError_tPvRmT2_T3_T4_T5_mT6_T7_P12ihipStream_tbENKUlT_T0_E_clISt17integral_constantIbLb1EES11_EEDaSW_SX_EUlSW_E_NS1_11comp_targetILNS1_3genE10ELNS1_11target_archE1200ELNS1_3gpuE4ELNS1_3repE0EEENS1_30default_config_static_selectorELNS0_4arch9wavefront6targetE0EEEvT1_.num_named_barrier, 0
	.set _ZN7rocprim17ROCPRIM_400000_NS6detail17trampoline_kernelINS0_14default_configENS1_27scan_by_key_config_selectorIisEEZZNS1_16scan_by_key_implILNS1_25lookback_scan_determinismE0ELb1ES3_N6thrust23THRUST_200600_302600_NS6detail15normal_iteratorINS9_10device_ptrIiEEEENSB_INSC_IsEEEESG_sNS9_4plusIvEENS9_8equal_toIvEEsEE10hipError_tPvRmT2_T3_T4_T5_mT6_T7_P12ihipStream_tbENKUlT_T0_E_clISt17integral_constantIbLb1EES11_EEDaSW_SX_EUlSW_E_NS1_11comp_targetILNS1_3genE10ELNS1_11target_archE1200ELNS1_3gpuE4ELNS1_3repE0EEENS1_30default_config_static_selectorELNS0_4arch9wavefront6targetE0EEEvT1_.private_seg_size, 0
	.set _ZN7rocprim17ROCPRIM_400000_NS6detail17trampoline_kernelINS0_14default_configENS1_27scan_by_key_config_selectorIisEEZZNS1_16scan_by_key_implILNS1_25lookback_scan_determinismE0ELb1ES3_N6thrust23THRUST_200600_302600_NS6detail15normal_iteratorINS9_10device_ptrIiEEEENSB_INSC_IsEEEESG_sNS9_4plusIvEENS9_8equal_toIvEEsEE10hipError_tPvRmT2_T3_T4_T5_mT6_T7_P12ihipStream_tbENKUlT_T0_E_clISt17integral_constantIbLb1EES11_EEDaSW_SX_EUlSW_E_NS1_11comp_targetILNS1_3genE10ELNS1_11target_archE1200ELNS1_3gpuE4ELNS1_3repE0EEENS1_30default_config_static_selectorELNS0_4arch9wavefront6targetE0EEEvT1_.uses_vcc, 0
	.set _ZN7rocprim17ROCPRIM_400000_NS6detail17trampoline_kernelINS0_14default_configENS1_27scan_by_key_config_selectorIisEEZZNS1_16scan_by_key_implILNS1_25lookback_scan_determinismE0ELb1ES3_N6thrust23THRUST_200600_302600_NS6detail15normal_iteratorINS9_10device_ptrIiEEEENSB_INSC_IsEEEESG_sNS9_4plusIvEENS9_8equal_toIvEEsEE10hipError_tPvRmT2_T3_T4_T5_mT6_T7_P12ihipStream_tbENKUlT_T0_E_clISt17integral_constantIbLb1EES11_EEDaSW_SX_EUlSW_E_NS1_11comp_targetILNS1_3genE10ELNS1_11target_archE1200ELNS1_3gpuE4ELNS1_3repE0EEENS1_30default_config_static_selectorELNS0_4arch9wavefront6targetE0EEEvT1_.uses_flat_scratch, 0
	.set _ZN7rocprim17ROCPRIM_400000_NS6detail17trampoline_kernelINS0_14default_configENS1_27scan_by_key_config_selectorIisEEZZNS1_16scan_by_key_implILNS1_25lookback_scan_determinismE0ELb1ES3_N6thrust23THRUST_200600_302600_NS6detail15normal_iteratorINS9_10device_ptrIiEEEENSB_INSC_IsEEEESG_sNS9_4plusIvEENS9_8equal_toIvEEsEE10hipError_tPvRmT2_T3_T4_T5_mT6_T7_P12ihipStream_tbENKUlT_T0_E_clISt17integral_constantIbLb1EES11_EEDaSW_SX_EUlSW_E_NS1_11comp_targetILNS1_3genE10ELNS1_11target_archE1200ELNS1_3gpuE4ELNS1_3repE0EEENS1_30default_config_static_selectorELNS0_4arch9wavefront6targetE0EEEvT1_.has_dyn_sized_stack, 0
	.set _ZN7rocprim17ROCPRIM_400000_NS6detail17trampoline_kernelINS0_14default_configENS1_27scan_by_key_config_selectorIisEEZZNS1_16scan_by_key_implILNS1_25lookback_scan_determinismE0ELb1ES3_N6thrust23THRUST_200600_302600_NS6detail15normal_iteratorINS9_10device_ptrIiEEEENSB_INSC_IsEEEESG_sNS9_4plusIvEENS9_8equal_toIvEEsEE10hipError_tPvRmT2_T3_T4_T5_mT6_T7_P12ihipStream_tbENKUlT_T0_E_clISt17integral_constantIbLb1EES11_EEDaSW_SX_EUlSW_E_NS1_11comp_targetILNS1_3genE10ELNS1_11target_archE1200ELNS1_3gpuE4ELNS1_3repE0EEENS1_30default_config_static_selectorELNS0_4arch9wavefront6targetE0EEEvT1_.has_recursion, 0
	.set _ZN7rocprim17ROCPRIM_400000_NS6detail17trampoline_kernelINS0_14default_configENS1_27scan_by_key_config_selectorIisEEZZNS1_16scan_by_key_implILNS1_25lookback_scan_determinismE0ELb1ES3_N6thrust23THRUST_200600_302600_NS6detail15normal_iteratorINS9_10device_ptrIiEEEENSB_INSC_IsEEEESG_sNS9_4plusIvEENS9_8equal_toIvEEsEE10hipError_tPvRmT2_T3_T4_T5_mT6_T7_P12ihipStream_tbENKUlT_T0_E_clISt17integral_constantIbLb1EES11_EEDaSW_SX_EUlSW_E_NS1_11comp_targetILNS1_3genE10ELNS1_11target_archE1200ELNS1_3gpuE4ELNS1_3repE0EEENS1_30default_config_static_selectorELNS0_4arch9wavefront6targetE0EEEvT1_.has_indirect_call, 0
	.section	.AMDGPU.csdata,"",@progbits
; Kernel info:
; codeLenInByte = 0
; TotalNumSgprs: 0
; NumVgprs: 0
; ScratchSize: 0
; MemoryBound: 0
; FloatMode: 240
; IeeeMode: 1
; LDSByteSize: 0 bytes/workgroup (compile time only)
; SGPRBlocks: 0
; VGPRBlocks: 0
; NumSGPRsForWavesPerEU: 1
; NumVGPRsForWavesPerEU: 1
; NamedBarCnt: 0
; Occupancy: 16
; WaveLimiterHint : 0
; COMPUTE_PGM_RSRC2:SCRATCH_EN: 0
; COMPUTE_PGM_RSRC2:USER_SGPR: 2
; COMPUTE_PGM_RSRC2:TRAP_HANDLER: 0
; COMPUTE_PGM_RSRC2:TGID_X_EN: 1
; COMPUTE_PGM_RSRC2:TGID_Y_EN: 0
; COMPUTE_PGM_RSRC2:TGID_Z_EN: 0
; COMPUTE_PGM_RSRC2:TIDIG_COMP_CNT: 0
	.section	.text._ZN7rocprim17ROCPRIM_400000_NS6detail17trampoline_kernelINS0_14default_configENS1_27scan_by_key_config_selectorIisEEZZNS1_16scan_by_key_implILNS1_25lookback_scan_determinismE0ELb1ES3_N6thrust23THRUST_200600_302600_NS6detail15normal_iteratorINS9_10device_ptrIiEEEENSB_INSC_IsEEEESG_sNS9_4plusIvEENS9_8equal_toIvEEsEE10hipError_tPvRmT2_T3_T4_T5_mT6_T7_P12ihipStream_tbENKUlT_T0_E_clISt17integral_constantIbLb1EES11_EEDaSW_SX_EUlSW_E_NS1_11comp_targetILNS1_3genE9ELNS1_11target_archE1100ELNS1_3gpuE3ELNS1_3repE0EEENS1_30default_config_static_selectorELNS0_4arch9wavefront6targetE0EEEvT1_,"axG",@progbits,_ZN7rocprim17ROCPRIM_400000_NS6detail17trampoline_kernelINS0_14default_configENS1_27scan_by_key_config_selectorIisEEZZNS1_16scan_by_key_implILNS1_25lookback_scan_determinismE0ELb1ES3_N6thrust23THRUST_200600_302600_NS6detail15normal_iteratorINS9_10device_ptrIiEEEENSB_INSC_IsEEEESG_sNS9_4plusIvEENS9_8equal_toIvEEsEE10hipError_tPvRmT2_T3_T4_T5_mT6_T7_P12ihipStream_tbENKUlT_T0_E_clISt17integral_constantIbLb1EES11_EEDaSW_SX_EUlSW_E_NS1_11comp_targetILNS1_3genE9ELNS1_11target_archE1100ELNS1_3gpuE3ELNS1_3repE0EEENS1_30default_config_static_selectorELNS0_4arch9wavefront6targetE0EEEvT1_,comdat
	.protected	_ZN7rocprim17ROCPRIM_400000_NS6detail17trampoline_kernelINS0_14default_configENS1_27scan_by_key_config_selectorIisEEZZNS1_16scan_by_key_implILNS1_25lookback_scan_determinismE0ELb1ES3_N6thrust23THRUST_200600_302600_NS6detail15normal_iteratorINS9_10device_ptrIiEEEENSB_INSC_IsEEEESG_sNS9_4plusIvEENS9_8equal_toIvEEsEE10hipError_tPvRmT2_T3_T4_T5_mT6_T7_P12ihipStream_tbENKUlT_T0_E_clISt17integral_constantIbLb1EES11_EEDaSW_SX_EUlSW_E_NS1_11comp_targetILNS1_3genE9ELNS1_11target_archE1100ELNS1_3gpuE3ELNS1_3repE0EEENS1_30default_config_static_selectorELNS0_4arch9wavefront6targetE0EEEvT1_ ; -- Begin function _ZN7rocprim17ROCPRIM_400000_NS6detail17trampoline_kernelINS0_14default_configENS1_27scan_by_key_config_selectorIisEEZZNS1_16scan_by_key_implILNS1_25lookback_scan_determinismE0ELb1ES3_N6thrust23THRUST_200600_302600_NS6detail15normal_iteratorINS9_10device_ptrIiEEEENSB_INSC_IsEEEESG_sNS9_4plusIvEENS9_8equal_toIvEEsEE10hipError_tPvRmT2_T3_T4_T5_mT6_T7_P12ihipStream_tbENKUlT_T0_E_clISt17integral_constantIbLb1EES11_EEDaSW_SX_EUlSW_E_NS1_11comp_targetILNS1_3genE9ELNS1_11target_archE1100ELNS1_3gpuE3ELNS1_3repE0EEENS1_30default_config_static_selectorELNS0_4arch9wavefront6targetE0EEEvT1_
	.globl	_ZN7rocprim17ROCPRIM_400000_NS6detail17trampoline_kernelINS0_14default_configENS1_27scan_by_key_config_selectorIisEEZZNS1_16scan_by_key_implILNS1_25lookback_scan_determinismE0ELb1ES3_N6thrust23THRUST_200600_302600_NS6detail15normal_iteratorINS9_10device_ptrIiEEEENSB_INSC_IsEEEESG_sNS9_4plusIvEENS9_8equal_toIvEEsEE10hipError_tPvRmT2_T3_T4_T5_mT6_T7_P12ihipStream_tbENKUlT_T0_E_clISt17integral_constantIbLb1EES11_EEDaSW_SX_EUlSW_E_NS1_11comp_targetILNS1_3genE9ELNS1_11target_archE1100ELNS1_3gpuE3ELNS1_3repE0EEENS1_30default_config_static_selectorELNS0_4arch9wavefront6targetE0EEEvT1_
	.p2align	8
	.type	_ZN7rocprim17ROCPRIM_400000_NS6detail17trampoline_kernelINS0_14default_configENS1_27scan_by_key_config_selectorIisEEZZNS1_16scan_by_key_implILNS1_25lookback_scan_determinismE0ELb1ES3_N6thrust23THRUST_200600_302600_NS6detail15normal_iteratorINS9_10device_ptrIiEEEENSB_INSC_IsEEEESG_sNS9_4plusIvEENS9_8equal_toIvEEsEE10hipError_tPvRmT2_T3_T4_T5_mT6_T7_P12ihipStream_tbENKUlT_T0_E_clISt17integral_constantIbLb1EES11_EEDaSW_SX_EUlSW_E_NS1_11comp_targetILNS1_3genE9ELNS1_11target_archE1100ELNS1_3gpuE3ELNS1_3repE0EEENS1_30default_config_static_selectorELNS0_4arch9wavefront6targetE0EEEvT1_,@function
_ZN7rocprim17ROCPRIM_400000_NS6detail17trampoline_kernelINS0_14default_configENS1_27scan_by_key_config_selectorIisEEZZNS1_16scan_by_key_implILNS1_25lookback_scan_determinismE0ELb1ES3_N6thrust23THRUST_200600_302600_NS6detail15normal_iteratorINS9_10device_ptrIiEEEENSB_INSC_IsEEEESG_sNS9_4plusIvEENS9_8equal_toIvEEsEE10hipError_tPvRmT2_T3_T4_T5_mT6_T7_P12ihipStream_tbENKUlT_T0_E_clISt17integral_constantIbLb1EES11_EEDaSW_SX_EUlSW_E_NS1_11comp_targetILNS1_3genE9ELNS1_11target_archE1100ELNS1_3gpuE3ELNS1_3repE0EEENS1_30default_config_static_selectorELNS0_4arch9wavefront6targetE0EEEvT1_: ; @_ZN7rocprim17ROCPRIM_400000_NS6detail17trampoline_kernelINS0_14default_configENS1_27scan_by_key_config_selectorIisEEZZNS1_16scan_by_key_implILNS1_25lookback_scan_determinismE0ELb1ES3_N6thrust23THRUST_200600_302600_NS6detail15normal_iteratorINS9_10device_ptrIiEEEENSB_INSC_IsEEEESG_sNS9_4plusIvEENS9_8equal_toIvEEsEE10hipError_tPvRmT2_T3_T4_T5_mT6_T7_P12ihipStream_tbENKUlT_T0_E_clISt17integral_constantIbLb1EES11_EEDaSW_SX_EUlSW_E_NS1_11comp_targetILNS1_3genE9ELNS1_11target_archE1100ELNS1_3gpuE3ELNS1_3repE0EEENS1_30default_config_static_selectorELNS0_4arch9wavefront6targetE0EEEvT1_
; %bb.0:
	.section	.rodata,"a",@progbits
	.p2align	6, 0x0
	.amdhsa_kernel _ZN7rocprim17ROCPRIM_400000_NS6detail17trampoline_kernelINS0_14default_configENS1_27scan_by_key_config_selectorIisEEZZNS1_16scan_by_key_implILNS1_25lookback_scan_determinismE0ELb1ES3_N6thrust23THRUST_200600_302600_NS6detail15normal_iteratorINS9_10device_ptrIiEEEENSB_INSC_IsEEEESG_sNS9_4plusIvEENS9_8equal_toIvEEsEE10hipError_tPvRmT2_T3_T4_T5_mT6_T7_P12ihipStream_tbENKUlT_T0_E_clISt17integral_constantIbLb1EES11_EEDaSW_SX_EUlSW_E_NS1_11comp_targetILNS1_3genE9ELNS1_11target_archE1100ELNS1_3gpuE3ELNS1_3repE0EEENS1_30default_config_static_selectorELNS0_4arch9wavefront6targetE0EEEvT1_
		.amdhsa_group_segment_fixed_size 0
		.amdhsa_private_segment_fixed_size 0
		.amdhsa_kernarg_size 112
		.amdhsa_user_sgpr_count 2
		.amdhsa_user_sgpr_dispatch_ptr 0
		.amdhsa_user_sgpr_queue_ptr 0
		.amdhsa_user_sgpr_kernarg_segment_ptr 1
		.amdhsa_user_sgpr_dispatch_id 0
		.amdhsa_user_sgpr_kernarg_preload_length 0
		.amdhsa_user_sgpr_kernarg_preload_offset 0
		.amdhsa_user_sgpr_private_segment_size 0
		.amdhsa_wavefront_size32 1
		.amdhsa_uses_dynamic_stack 0
		.amdhsa_enable_private_segment 0
		.amdhsa_system_sgpr_workgroup_id_x 1
		.amdhsa_system_sgpr_workgroup_id_y 0
		.amdhsa_system_sgpr_workgroup_id_z 0
		.amdhsa_system_sgpr_workgroup_info 0
		.amdhsa_system_vgpr_workitem_id 0
		.amdhsa_next_free_vgpr 1
		.amdhsa_next_free_sgpr 1
		.amdhsa_named_barrier_count 0
		.amdhsa_reserve_vcc 0
		.amdhsa_float_round_mode_32 0
		.amdhsa_float_round_mode_16_64 0
		.amdhsa_float_denorm_mode_32 3
		.amdhsa_float_denorm_mode_16_64 3
		.amdhsa_fp16_overflow 0
		.amdhsa_memory_ordered 1
		.amdhsa_forward_progress 1
		.amdhsa_inst_pref_size 0
		.amdhsa_round_robin_scheduling 0
		.amdhsa_exception_fp_ieee_invalid_op 0
		.amdhsa_exception_fp_denorm_src 0
		.amdhsa_exception_fp_ieee_div_zero 0
		.amdhsa_exception_fp_ieee_overflow 0
		.amdhsa_exception_fp_ieee_underflow 0
		.amdhsa_exception_fp_ieee_inexact 0
		.amdhsa_exception_int_div_zero 0
	.end_amdhsa_kernel
	.section	.text._ZN7rocprim17ROCPRIM_400000_NS6detail17trampoline_kernelINS0_14default_configENS1_27scan_by_key_config_selectorIisEEZZNS1_16scan_by_key_implILNS1_25lookback_scan_determinismE0ELb1ES3_N6thrust23THRUST_200600_302600_NS6detail15normal_iteratorINS9_10device_ptrIiEEEENSB_INSC_IsEEEESG_sNS9_4plusIvEENS9_8equal_toIvEEsEE10hipError_tPvRmT2_T3_T4_T5_mT6_T7_P12ihipStream_tbENKUlT_T0_E_clISt17integral_constantIbLb1EES11_EEDaSW_SX_EUlSW_E_NS1_11comp_targetILNS1_3genE9ELNS1_11target_archE1100ELNS1_3gpuE3ELNS1_3repE0EEENS1_30default_config_static_selectorELNS0_4arch9wavefront6targetE0EEEvT1_,"axG",@progbits,_ZN7rocprim17ROCPRIM_400000_NS6detail17trampoline_kernelINS0_14default_configENS1_27scan_by_key_config_selectorIisEEZZNS1_16scan_by_key_implILNS1_25lookback_scan_determinismE0ELb1ES3_N6thrust23THRUST_200600_302600_NS6detail15normal_iteratorINS9_10device_ptrIiEEEENSB_INSC_IsEEEESG_sNS9_4plusIvEENS9_8equal_toIvEEsEE10hipError_tPvRmT2_T3_T4_T5_mT6_T7_P12ihipStream_tbENKUlT_T0_E_clISt17integral_constantIbLb1EES11_EEDaSW_SX_EUlSW_E_NS1_11comp_targetILNS1_3genE9ELNS1_11target_archE1100ELNS1_3gpuE3ELNS1_3repE0EEENS1_30default_config_static_selectorELNS0_4arch9wavefront6targetE0EEEvT1_,comdat
.Lfunc_end1623:
	.size	_ZN7rocprim17ROCPRIM_400000_NS6detail17trampoline_kernelINS0_14default_configENS1_27scan_by_key_config_selectorIisEEZZNS1_16scan_by_key_implILNS1_25lookback_scan_determinismE0ELb1ES3_N6thrust23THRUST_200600_302600_NS6detail15normal_iteratorINS9_10device_ptrIiEEEENSB_INSC_IsEEEESG_sNS9_4plusIvEENS9_8equal_toIvEEsEE10hipError_tPvRmT2_T3_T4_T5_mT6_T7_P12ihipStream_tbENKUlT_T0_E_clISt17integral_constantIbLb1EES11_EEDaSW_SX_EUlSW_E_NS1_11comp_targetILNS1_3genE9ELNS1_11target_archE1100ELNS1_3gpuE3ELNS1_3repE0EEENS1_30default_config_static_selectorELNS0_4arch9wavefront6targetE0EEEvT1_, .Lfunc_end1623-_ZN7rocprim17ROCPRIM_400000_NS6detail17trampoline_kernelINS0_14default_configENS1_27scan_by_key_config_selectorIisEEZZNS1_16scan_by_key_implILNS1_25lookback_scan_determinismE0ELb1ES3_N6thrust23THRUST_200600_302600_NS6detail15normal_iteratorINS9_10device_ptrIiEEEENSB_INSC_IsEEEESG_sNS9_4plusIvEENS9_8equal_toIvEEsEE10hipError_tPvRmT2_T3_T4_T5_mT6_T7_P12ihipStream_tbENKUlT_T0_E_clISt17integral_constantIbLb1EES11_EEDaSW_SX_EUlSW_E_NS1_11comp_targetILNS1_3genE9ELNS1_11target_archE1100ELNS1_3gpuE3ELNS1_3repE0EEENS1_30default_config_static_selectorELNS0_4arch9wavefront6targetE0EEEvT1_
                                        ; -- End function
	.set _ZN7rocprim17ROCPRIM_400000_NS6detail17trampoline_kernelINS0_14default_configENS1_27scan_by_key_config_selectorIisEEZZNS1_16scan_by_key_implILNS1_25lookback_scan_determinismE0ELb1ES3_N6thrust23THRUST_200600_302600_NS6detail15normal_iteratorINS9_10device_ptrIiEEEENSB_INSC_IsEEEESG_sNS9_4plusIvEENS9_8equal_toIvEEsEE10hipError_tPvRmT2_T3_T4_T5_mT6_T7_P12ihipStream_tbENKUlT_T0_E_clISt17integral_constantIbLb1EES11_EEDaSW_SX_EUlSW_E_NS1_11comp_targetILNS1_3genE9ELNS1_11target_archE1100ELNS1_3gpuE3ELNS1_3repE0EEENS1_30default_config_static_selectorELNS0_4arch9wavefront6targetE0EEEvT1_.num_vgpr, 0
	.set _ZN7rocprim17ROCPRIM_400000_NS6detail17trampoline_kernelINS0_14default_configENS1_27scan_by_key_config_selectorIisEEZZNS1_16scan_by_key_implILNS1_25lookback_scan_determinismE0ELb1ES3_N6thrust23THRUST_200600_302600_NS6detail15normal_iteratorINS9_10device_ptrIiEEEENSB_INSC_IsEEEESG_sNS9_4plusIvEENS9_8equal_toIvEEsEE10hipError_tPvRmT2_T3_T4_T5_mT6_T7_P12ihipStream_tbENKUlT_T0_E_clISt17integral_constantIbLb1EES11_EEDaSW_SX_EUlSW_E_NS1_11comp_targetILNS1_3genE9ELNS1_11target_archE1100ELNS1_3gpuE3ELNS1_3repE0EEENS1_30default_config_static_selectorELNS0_4arch9wavefront6targetE0EEEvT1_.num_agpr, 0
	.set _ZN7rocprim17ROCPRIM_400000_NS6detail17trampoline_kernelINS0_14default_configENS1_27scan_by_key_config_selectorIisEEZZNS1_16scan_by_key_implILNS1_25lookback_scan_determinismE0ELb1ES3_N6thrust23THRUST_200600_302600_NS6detail15normal_iteratorINS9_10device_ptrIiEEEENSB_INSC_IsEEEESG_sNS9_4plusIvEENS9_8equal_toIvEEsEE10hipError_tPvRmT2_T3_T4_T5_mT6_T7_P12ihipStream_tbENKUlT_T0_E_clISt17integral_constantIbLb1EES11_EEDaSW_SX_EUlSW_E_NS1_11comp_targetILNS1_3genE9ELNS1_11target_archE1100ELNS1_3gpuE3ELNS1_3repE0EEENS1_30default_config_static_selectorELNS0_4arch9wavefront6targetE0EEEvT1_.numbered_sgpr, 0
	.set _ZN7rocprim17ROCPRIM_400000_NS6detail17trampoline_kernelINS0_14default_configENS1_27scan_by_key_config_selectorIisEEZZNS1_16scan_by_key_implILNS1_25lookback_scan_determinismE0ELb1ES3_N6thrust23THRUST_200600_302600_NS6detail15normal_iteratorINS9_10device_ptrIiEEEENSB_INSC_IsEEEESG_sNS9_4plusIvEENS9_8equal_toIvEEsEE10hipError_tPvRmT2_T3_T4_T5_mT6_T7_P12ihipStream_tbENKUlT_T0_E_clISt17integral_constantIbLb1EES11_EEDaSW_SX_EUlSW_E_NS1_11comp_targetILNS1_3genE9ELNS1_11target_archE1100ELNS1_3gpuE3ELNS1_3repE0EEENS1_30default_config_static_selectorELNS0_4arch9wavefront6targetE0EEEvT1_.num_named_barrier, 0
	.set _ZN7rocprim17ROCPRIM_400000_NS6detail17trampoline_kernelINS0_14default_configENS1_27scan_by_key_config_selectorIisEEZZNS1_16scan_by_key_implILNS1_25lookback_scan_determinismE0ELb1ES3_N6thrust23THRUST_200600_302600_NS6detail15normal_iteratorINS9_10device_ptrIiEEEENSB_INSC_IsEEEESG_sNS9_4plusIvEENS9_8equal_toIvEEsEE10hipError_tPvRmT2_T3_T4_T5_mT6_T7_P12ihipStream_tbENKUlT_T0_E_clISt17integral_constantIbLb1EES11_EEDaSW_SX_EUlSW_E_NS1_11comp_targetILNS1_3genE9ELNS1_11target_archE1100ELNS1_3gpuE3ELNS1_3repE0EEENS1_30default_config_static_selectorELNS0_4arch9wavefront6targetE0EEEvT1_.private_seg_size, 0
	.set _ZN7rocprim17ROCPRIM_400000_NS6detail17trampoline_kernelINS0_14default_configENS1_27scan_by_key_config_selectorIisEEZZNS1_16scan_by_key_implILNS1_25lookback_scan_determinismE0ELb1ES3_N6thrust23THRUST_200600_302600_NS6detail15normal_iteratorINS9_10device_ptrIiEEEENSB_INSC_IsEEEESG_sNS9_4plusIvEENS9_8equal_toIvEEsEE10hipError_tPvRmT2_T3_T4_T5_mT6_T7_P12ihipStream_tbENKUlT_T0_E_clISt17integral_constantIbLb1EES11_EEDaSW_SX_EUlSW_E_NS1_11comp_targetILNS1_3genE9ELNS1_11target_archE1100ELNS1_3gpuE3ELNS1_3repE0EEENS1_30default_config_static_selectorELNS0_4arch9wavefront6targetE0EEEvT1_.uses_vcc, 0
	.set _ZN7rocprim17ROCPRIM_400000_NS6detail17trampoline_kernelINS0_14default_configENS1_27scan_by_key_config_selectorIisEEZZNS1_16scan_by_key_implILNS1_25lookback_scan_determinismE0ELb1ES3_N6thrust23THRUST_200600_302600_NS6detail15normal_iteratorINS9_10device_ptrIiEEEENSB_INSC_IsEEEESG_sNS9_4plusIvEENS9_8equal_toIvEEsEE10hipError_tPvRmT2_T3_T4_T5_mT6_T7_P12ihipStream_tbENKUlT_T0_E_clISt17integral_constantIbLb1EES11_EEDaSW_SX_EUlSW_E_NS1_11comp_targetILNS1_3genE9ELNS1_11target_archE1100ELNS1_3gpuE3ELNS1_3repE0EEENS1_30default_config_static_selectorELNS0_4arch9wavefront6targetE0EEEvT1_.uses_flat_scratch, 0
	.set _ZN7rocprim17ROCPRIM_400000_NS6detail17trampoline_kernelINS0_14default_configENS1_27scan_by_key_config_selectorIisEEZZNS1_16scan_by_key_implILNS1_25lookback_scan_determinismE0ELb1ES3_N6thrust23THRUST_200600_302600_NS6detail15normal_iteratorINS9_10device_ptrIiEEEENSB_INSC_IsEEEESG_sNS9_4plusIvEENS9_8equal_toIvEEsEE10hipError_tPvRmT2_T3_T4_T5_mT6_T7_P12ihipStream_tbENKUlT_T0_E_clISt17integral_constantIbLb1EES11_EEDaSW_SX_EUlSW_E_NS1_11comp_targetILNS1_3genE9ELNS1_11target_archE1100ELNS1_3gpuE3ELNS1_3repE0EEENS1_30default_config_static_selectorELNS0_4arch9wavefront6targetE0EEEvT1_.has_dyn_sized_stack, 0
	.set _ZN7rocprim17ROCPRIM_400000_NS6detail17trampoline_kernelINS0_14default_configENS1_27scan_by_key_config_selectorIisEEZZNS1_16scan_by_key_implILNS1_25lookback_scan_determinismE0ELb1ES3_N6thrust23THRUST_200600_302600_NS6detail15normal_iteratorINS9_10device_ptrIiEEEENSB_INSC_IsEEEESG_sNS9_4plusIvEENS9_8equal_toIvEEsEE10hipError_tPvRmT2_T3_T4_T5_mT6_T7_P12ihipStream_tbENKUlT_T0_E_clISt17integral_constantIbLb1EES11_EEDaSW_SX_EUlSW_E_NS1_11comp_targetILNS1_3genE9ELNS1_11target_archE1100ELNS1_3gpuE3ELNS1_3repE0EEENS1_30default_config_static_selectorELNS0_4arch9wavefront6targetE0EEEvT1_.has_recursion, 0
	.set _ZN7rocprim17ROCPRIM_400000_NS6detail17trampoline_kernelINS0_14default_configENS1_27scan_by_key_config_selectorIisEEZZNS1_16scan_by_key_implILNS1_25lookback_scan_determinismE0ELb1ES3_N6thrust23THRUST_200600_302600_NS6detail15normal_iteratorINS9_10device_ptrIiEEEENSB_INSC_IsEEEESG_sNS9_4plusIvEENS9_8equal_toIvEEsEE10hipError_tPvRmT2_T3_T4_T5_mT6_T7_P12ihipStream_tbENKUlT_T0_E_clISt17integral_constantIbLb1EES11_EEDaSW_SX_EUlSW_E_NS1_11comp_targetILNS1_3genE9ELNS1_11target_archE1100ELNS1_3gpuE3ELNS1_3repE0EEENS1_30default_config_static_selectorELNS0_4arch9wavefront6targetE0EEEvT1_.has_indirect_call, 0
	.section	.AMDGPU.csdata,"",@progbits
; Kernel info:
; codeLenInByte = 0
; TotalNumSgprs: 0
; NumVgprs: 0
; ScratchSize: 0
; MemoryBound: 0
; FloatMode: 240
; IeeeMode: 1
; LDSByteSize: 0 bytes/workgroup (compile time only)
; SGPRBlocks: 0
; VGPRBlocks: 0
; NumSGPRsForWavesPerEU: 1
; NumVGPRsForWavesPerEU: 1
; NamedBarCnt: 0
; Occupancy: 16
; WaveLimiterHint : 0
; COMPUTE_PGM_RSRC2:SCRATCH_EN: 0
; COMPUTE_PGM_RSRC2:USER_SGPR: 2
; COMPUTE_PGM_RSRC2:TRAP_HANDLER: 0
; COMPUTE_PGM_RSRC2:TGID_X_EN: 1
; COMPUTE_PGM_RSRC2:TGID_Y_EN: 0
; COMPUTE_PGM_RSRC2:TGID_Z_EN: 0
; COMPUTE_PGM_RSRC2:TIDIG_COMP_CNT: 0
	.section	.text._ZN7rocprim17ROCPRIM_400000_NS6detail17trampoline_kernelINS0_14default_configENS1_27scan_by_key_config_selectorIisEEZZNS1_16scan_by_key_implILNS1_25lookback_scan_determinismE0ELb1ES3_N6thrust23THRUST_200600_302600_NS6detail15normal_iteratorINS9_10device_ptrIiEEEENSB_INSC_IsEEEESG_sNS9_4plusIvEENS9_8equal_toIvEEsEE10hipError_tPvRmT2_T3_T4_T5_mT6_T7_P12ihipStream_tbENKUlT_T0_E_clISt17integral_constantIbLb1EES11_EEDaSW_SX_EUlSW_E_NS1_11comp_targetILNS1_3genE8ELNS1_11target_archE1030ELNS1_3gpuE2ELNS1_3repE0EEENS1_30default_config_static_selectorELNS0_4arch9wavefront6targetE0EEEvT1_,"axG",@progbits,_ZN7rocprim17ROCPRIM_400000_NS6detail17trampoline_kernelINS0_14default_configENS1_27scan_by_key_config_selectorIisEEZZNS1_16scan_by_key_implILNS1_25lookback_scan_determinismE0ELb1ES3_N6thrust23THRUST_200600_302600_NS6detail15normal_iteratorINS9_10device_ptrIiEEEENSB_INSC_IsEEEESG_sNS9_4plusIvEENS9_8equal_toIvEEsEE10hipError_tPvRmT2_T3_T4_T5_mT6_T7_P12ihipStream_tbENKUlT_T0_E_clISt17integral_constantIbLb1EES11_EEDaSW_SX_EUlSW_E_NS1_11comp_targetILNS1_3genE8ELNS1_11target_archE1030ELNS1_3gpuE2ELNS1_3repE0EEENS1_30default_config_static_selectorELNS0_4arch9wavefront6targetE0EEEvT1_,comdat
	.protected	_ZN7rocprim17ROCPRIM_400000_NS6detail17trampoline_kernelINS0_14default_configENS1_27scan_by_key_config_selectorIisEEZZNS1_16scan_by_key_implILNS1_25lookback_scan_determinismE0ELb1ES3_N6thrust23THRUST_200600_302600_NS6detail15normal_iteratorINS9_10device_ptrIiEEEENSB_INSC_IsEEEESG_sNS9_4plusIvEENS9_8equal_toIvEEsEE10hipError_tPvRmT2_T3_T4_T5_mT6_T7_P12ihipStream_tbENKUlT_T0_E_clISt17integral_constantIbLb1EES11_EEDaSW_SX_EUlSW_E_NS1_11comp_targetILNS1_3genE8ELNS1_11target_archE1030ELNS1_3gpuE2ELNS1_3repE0EEENS1_30default_config_static_selectorELNS0_4arch9wavefront6targetE0EEEvT1_ ; -- Begin function _ZN7rocprim17ROCPRIM_400000_NS6detail17trampoline_kernelINS0_14default_configENS1_27scan_by_key_config_selectorIisEEZZNS1_16scan_by_key_implILNS1_25lookback_scan_determinismE0ELb1ES3_N6thrust23THRUST_200600_302600_NS6detail15normal_iteratorINS9_10device_ptrIiEEEENSB_INSC_IsEEEESG_sNS9_4plusIvEENS9_8equal_toIvEEsEE10hipError_tPvRmT2_T3_T4_T5_mT6_T7_P12ihipStream_tbENKUlT_T0_E_clISt17integral_constantIbLb1EES11_EEDaSW_SX_EUlSW_E_NS1_11comp_targetILNS1_3genE8ELNS1_11target_archE1030ELNS1_3gpuE2ELNS1_3repE0EEENS1_30default_config_static_selectorELNS0_4arch9wavefront6targetE0EEEvT1_
	.globl	_ZN7rocprim17ROCPRIM_400000_NS6detail17trampoline_kernelINS0_14default_configENS1_27scan_by_key_config_selectorIisEEZZNS1_16scan_by_key_implILNS1_25lookback_scan_determinismE0ELb1ES3_N6thrust23THRUST_200600_302600_NS6detail15normal_iteratorINS9_10device_ptrIiEEEENSB_INSC_IsEEEESG_sNS9_4plusIvEENS9_8equal_toIvEEsEE10hipError_tPvRmT2_T3_T4_T5_mT6_T7_P12ihipStream_tbENKUlT_T0_E_clISt17integral_constantIbLb1EES11_EEDaSW_SX_EUlSW_E_NS1_11comp_targetILNS1_3genE8ELNS1_11target_archE1030ELNS1_3gpuE2ELNS1_3repE0EEENS1_30default_config_static_selectorELNS0_4arch9wavefront6targetE0EEEvT1_
	.p2align	8
	.type	_ZN7rocprim17ROCPRIM_400000_NS6detail17trampoline_kernelINS0_14default_configENS1_27scan_by_key_config_selectorIisEEZZNS1_16scan_by_key_implILNS1_25lookback_scan_determinismE0ELb1ES3_N6thrust23THRUST_200600_302600_NS6detail15normal_iteratorINS9_10device_ptrIiEEEENSB_INSC_IsEEEESG_sNS9_4plusIvEENS9_8equal_toIvEEsEE10hipError_tPvRmT2_T3_T4_T5_mT6_T7_P12ihipStream_tbENKUlT_T0_E_clISt17integral_constantIbLb1EES11_EEDaSW_SX_EUlSW_E_NS1_11comp_targetILNS1_3genE8ELNS1_11target_archE1030ELNS1_3gpuE2ELNS1_3repE0EEENS1_30default_config_static_selectorELNS0_4arch9wavefront6targetE0EEEvT1_,@function
_ZN7rocprim17ROCPRIM_400000_NS6detail17trampoline_kernelINS0_14default_configENS1_27scan_by_key_config_selectorIisEEZZNS1_16scan_by_key_implILNS1_25lookback_scan_determinismE0ELb1ES3_N6thrust23THRUST_200600_302600_NS6detail15normal_iteratorINS9_10device_ptrIiEEEENSB_INSC_IsEEEESG_sNS9_4plusIvEENS9_8equal_toIvEEsEE10hipError_tPvRmT2_T3_T4_T5_mT6_T7_P12ihipStream_tbENKUlT_T0_E_clISt17integral_constantIbLb1EES11_EEDaSW_SX_EUlSW_E_NS1_11comp_targetILNS1_3genE8ELNS1_11target_archE1030ELNS1_3gpuE2ELNS1_3repE0EEENS1_30default_config_static_selectorELNS0_4arch9wavefront6targetE0EEEvT1_: ; @_ZN7rocprim17ROCPRIM_400000_NS6detail17trampoline_kernelINS0_14default_configENS1_27scan_by_key_config_selectorIisEEZZNS1_16scan_by_key_implILNS1_25lookback_scan_determinismE0ELb1ES3_N6thrust23THRUST_200600_302600_NS6detail15normal_iteratorINS9_10device_ptrIiEEEENSB_INSC_IsEEEESG_sNS9_4plusIvEENS9_8equal_toIvEEsEE10hipError_tPvRmT2_T3_T4_T5_mT6_T7_P12ihipStream_tbENKUlT_T0_E_clISt17integral_constantIbLb1EES11_EEDaSW_SX_EUlSW_E_NS1_11comp_targetILNS1_3genE8ELNS1_11target_archE1030ELNS1_3gpuE2ELNS1_3repE0EEENS1_30default_config_static_selectorELNS0_4arch9wavefront6targetE0EEEvT1_
; %bb.0:
	.section	.rodata,"a",@progbits
	.p2align	6, 0x0
	.amdhsa_kernel _ZN7rocprim17ROCPRIM_400000_NS6detail17trampoline_kernelINS0_14default_configENS1_27scan_by_key_config_selectorIisEEZZNS1_16scan_by_key_implILNS1_25lookback_scan_determinismE0ELb1ES3_N6thrust23THRUST_200600_302600_NS6detail15normal_iteratorINS9_10device_ptrIiEEEENSB_INSC_IsEEEESG_sNS9_4plusIvEENS9_8equal_toIvEEsEE10hipError_tPvRmT2_T3_T4_T5_mT6_T7_P12ihipStream_tbENKUlT_T0_E_clISt17integral_constantIbLb1EES11_EEDaSW_SX_EUlSW_E_NS1_11comp_targetILNS1_3genE8ELNS1_11target_archE1030ELNS1_3gpuE2ELNS1_3repE0EEENS1_30default_config_static_selectorELNS0_4arch9wavefront6targetE0EEEvT1_
		.amdhsa_group_segment_fixed_size 0
		.amdhsa_private_segment_fixed_size 0
		.amdhsa_kernarg_size 112
		.amdhsa_user_sgpr_count 2
		.amdhsa_user_sgpr_dispatch_ptr 0
		.amdhsa_user_sgpr_queue_ptr 0
		.amdhsa_user_sgpr_kernarg_segment_ptr 1
		.amdhsa_user_sgpr_dispatch_id 0
		.amdhsa_user_sgpr_kernarg_preload_length 0
		.amdhsa_user_sgpr_kernarg_preload_offset 0
		.amdhsa_user_sgpr_private_segment_size 0
		.amdhsa_wavefront_size32 1
		.amdhsa_uses_dynamic_stack 0
		.amdhsa_enable_private_segment 0
		.amdhsa_system_sgpr_workgroup_id_x 1
		.amdhsa_system_sgpr_workgroup_id_y 0
		.amdhsa_system_sgpr_workgroup_id_z 0
		.amdhsa_system_sgpr_workgroup_info 0
		.amdhsa_system_vgpr_workitem_id 0
		.amdhsa_next_free_vgpr 1
		.amdhsa_next_free_sgpr 1
		.amdhsa_named_barrier_count 0
		.amdhsa_reserve_vcc 0
		.amdhsa_float_round_mode_32 0
		.amdhsa_float_round_mode_16_64 0
		.amdhsa_float_denorm_mode_32 3
		.amdhsa_float_denorm_mode_16_64 3
		.amdhsa_fp16_overflow 0
		.amdhsa_memory_ordered 1
		.amdhsa_forward_progress 1
		.amdhsa_inst_pref_size 0
		.amdhsa_round_robin_scheduling 0
		.amdhsa_exception_fp_ieee_invalid_op 0
		.amdhsa_exception_fp_denorm_src 0
		.amdhsa_exception_fp_ieee_div_zero 0
		.amdhsa_exception_fp_ieee_overflow 0
		.amdhsa_exception_fp_ieee_underflow 0
		.amdhsa_exception_fp_ieee_inexact 0
		.amdhsa_exception_int_div_zero 0
	.end_amdhsa_kernel
	.section	.text._ZN7rocprim17ROCPRIM_400000_NS6detail17trampoline_kernelINS0_14default_configENS1_27scan_by_key_config_selectorIisEEZZNS1_16scan_by_key_implILNS1_25lookback_scan_determinismE0ELb1ES3_N6thrust23THRUST_200600_302600_NS6detail15normal_iteratorINS9_10device_ptrIiEEEENSB_INSC_IsEEEESG_sNS9_4plusIvEENS9_8equal_toIvEEsEE10hipError_tPvRmT2_T3_T4_T5_mT6_T7_P12ihipStream_tbENKUlT_T0_E_clISt17integral_constantIbLb1EES11_EEDaSW_SX_EUlSW_E_NS1_11comp_targetILNS1_3genE8ELNS1_11target_archE1030ELNS1_3gpuE2ELNS1_3repE0EEENS1_30default_config_static_selectorELNS0_4arch9wavefront6targetE0EEEvT1_,"axG",@progbits,_ZN7rocprim17ROCPRIM_400000_NS6detail17trampoline_kernelINS0_14default_configENS1_27scan_by_key_config_selectorIisEEZZNS1_16scan_by_key_implILNS1_25lookback_scan_determinismE0ELb1ES3_N6thrust23THRUST_200600_302600_NS6detail15normal_iteratorINS9_10device_ptrIiEEEENSB_INSC_IsEEEESG_sNS9_4plusIvEENS9_8equal_toIvEEsEE10hipError_tPvRmT2_T3_T4_T5_mT6_T7_P12ihipStream_tbENKUlT_T0_E_clISt17integral_constantIbLb1EES11_EEDaSW_SX_EUlSW_E_NS1_11comp_targetILNS1_3genE8ELNS1_11target_archE1030ELNS1_3gpuE2ELNS1_3repE0EEENS1_30default_config_static_selectorELNS0_4arch9wavefront6targetE0EEEvT1_,comdat
.Lfunc_end1624:
	.size	_ZN7rocprim17ROCPRIM_400000_NS6detail17trampoline_kernelINS0_14default_configENS1_27scan_by_key_config_selectorIisEEZZNS1_16scan_by_key_implILNS1_25lookback_scan_determinismE0ELb1ES3_N6thrust23THRUST_200600_302600_NS6detail15normal_iteratorINS9_10device_ptrIiEEEENSB_INSC_IsEEEESG_sNS9_4plusIvEENS9_8equal_toIvEEsEE10hipError_tPvRmT2_T3_T4_T5_mT6_T7_P12ihipStream_tbENKUlT_T0_E_clISt17integral_constantIbLb1EES11_EEDaSW_SX_EUlSW_E_NS1_11comp_targetILNS1_3genE8ELNS1_11target_archE1030ELNS1_3gpuE2ELNS1_3repE0EEENS1_30default_config_static_selectorELNS0_4arch9wavefront6targetE0EEEvT1_, .Lfunc_end1624-_ZN7rocprim17ROCPRIM_400000_NS6detail17trampoline_kernelINS0_14default_configENS1_27scan_by_key_config_selectorIisEEZZNS1_16scan_by_key_implILNS1_25lookback_scan_determinismE0ELb1ES3_N6thrust23THRUST_200600_302600_NS6detail15normal_iteratorINS9_10device_ptrIiEEEENSB_INSC_IsEEEESG_sNS9_4plusIvEENS9_8equal_toIvEEsEE10hipError_tPvRmT2_T3_T4_T5_mT6_T7_P12ihipStream_tbENKUlT_T0_E_clISt17integral_constantIbLb1EES11_EEDaSW_SX_EUlSW_E_NS1_11comp_targetILNS1_3genE8ELNS1_11target_archE1030ELNS1_3gpuE2ELNS1_3repE0EEENS1_30default_config_static_selectorELNS0_4arch9wavefront6targetE0EEEvT1_
                                        ; -- End function
	.set _ZN7rocprim17ROCPRIM_400000_NS6detail17trampoline_kernelINS0_14default_configENS1_27scan_by_key_config_selectorIisEEZZNS1_16scan_by_key_implILNS1_25lookback_scan_determinismE0ELb1ES3_N6thrust23THRUST_200600_302600_NS6detail15normal_iteratorINS9_10device_ptrIiEEEENSB_INSC_IsEEEESG_sNS9_4plusIvEENS9_8equal_toIvEEsEE10hipError_tPvRmT2_T3_T4_T5_mT6_T7_P12ihipStream_tbENKUlT_T0_E_clISt17integral_constantIbLb1EES11_EEDaSW_SX_EUlSW_E_NS1_11comp_targetILNS1_3genE8ELNS1_11target_archE1030ELNS1_3gpuE2ELNS1_3repE0EEENS1_30default_config_static_selectorELNS0_4arch9wavefront6targetE0EEEvT1_.num_vgpr, 0
	.set _ZN7rocprim17ROCPRIM_400000_NS6detail17trampoline_kernelINS0_14default_configENS1_27scan_by_key_config_selectorIisEEZZNS1_16scan_by_key_implILNS1_25lookback_scan_determinismE0ELb1ES3_N6thrust23THRUST_200600_302600_NS6detail15normal_iteratorINS9_10device_ptrIiEEEENSB_INSC_IsEEEESG_sNS9_4plusIvEENS9_8equal_toIvEEsEE10hipError_tPvRmT2_T3_T4_T5_mT6_T7_P12ihipStream_tbENKUlT_T0_E_clISt17integral_constantIbLb1EES11_EEDaSW_SX_EUlSW_E_NS1_11comp_targetILNS1_3genE8ELNS1_11target_archE1030ELNS1_3gpuE2ELNS1_3repE0EEENS1_30default_config_static_selectorELNS0_4arch9wavefront6targetE0EEEvT1_.num_agpr, 0
	.set _ZN7rocprim17ROCPRIM_400000_NS6detail17trampoline_kernelINS0_14default_configENS1_27scan_by_key_config_selectorIisEEZZNS1_16scan_by_key_implILNS1_25lookback_scan_determinismE0ELb1ES3_N6thrust23THRUST_200600_302600_NS6detail15normal_iteratorINS9_10device_ptrIiEEEENSB_INSC_IsEEEESG_sNS9_4plusIvEENS9_8equal_toIvEEsEE10hipError_tPvRmT2_T3_T4_T5_mT6_T7_P12ihipStream_tbENKUlT_T0_E_clISt17integral_constantIbLb1EES11_EEDaSW_SX_EUlSW_E_NS1_11comp_targetILNS1_3genE8ELNS1_11target_archE1030ELNS1_3gpuE2ELNS1_3repE0EEENS1_30default_config_static_selectorELNS0_4arch9wavefront6targetE0EEEvT1_.numbered_sgpr, 0
	.set _ZN7rocprim17ROCPRIM_400000_NS6detail17trampoline_kernelINS0_14default_configENS1_27scan_by_key_config_selectorIisEEZZNS1_16scan_by_key_implILNS1_25lookback_scan_determinismE0ELb1ES3_N6thrust23THRUST_200600_302600_NS6detail15normal_iteratorINS9_10device_ptrIiEEEENSB_INSC_IsEEEESG_sNS9_4plusIvEENS9_8equal_toIvEEsEE10hipError_tPvRmT2_T3_T4_T5_mT6_T7_P12ihipStream_tbENKUlT_T0_E_clISt17integral_constantIbLb1EES11_EEDaSW_SX_EUlSW_E_NS1_11comp_targetILNS1_3genE8ELNS1_11target_archE1030ELNS1_3gpuE2ELNS1_3repE0EEENS1_30default_config_static_selectorELNS0_4arch9wavefront6targetE0EEEvT1_.num_named_barrier, 0
	.set _ZN7rocprim17ROCPRIM_400000_NS6detail17trampoline_kernelINS0_14default_configENS1_27scan_by_key_config_selectorIisEEZZNS1_16scan_by_key_implILNS1_25lookback_scan_determinismE0ELb1ES3_N6thrust23THRUST_200600_302600_NS6detail15normal_iteratorINS9_10device_ptrIiEEEENSB_INSC_IsEEEESG_sNS9_4plusIvEENS9_8equal_toIvEEsEE10hipError_tPvRmT2_T3_T4_T5_mT6_T7_P12ihipStream_tbENKUlT_T0_E_clISt17integral_constantIbLb1EES11_EEDaSW_SX_EUlSW_E_NS1_11comp_targetILNS1_3genE8ELNS1_11target_archE1030ELNS1_3gpuE2ELNS1_3repE0EEENS1_30default_config_static_selectorELNS0_4arch9wavefront6targetE0EEEvT1_.private_seg_size, 0
	.set _ZN7rocprim17ROCPRIM_400000_NS6detail17trampoline_kernelINS0_14default_configENS1_27scan_by_key_config_selectorIisEEZZNS1_16scan_by_key_implILNS1_25lookback_scan_determinismE0ELb1ES3_N6thrust23THRUST_200600_302600_NS6detail15normal_iteratorINS9_10device_ptrIiEEEENSB_INSC_IsEEEESG_sNS9_4plusIvEENS9_8equal_toIvEEsEE10hipError_tPvRmT2_T3_T4_T5_mT6_T7_P12ihipStream_tbENKUlT_T0_E_clISt17integral_constantIbLb1EES11_EEDaSW_SX_EUlSW_E_NS1_11comp_targetILNS1_3genE8ELNS1_11target_archE1030ELNS1_3gpuE2ELNS1_3repE0EEENS1_30default_config_static_selectorELNS0_4arch9wavefront6targetE0EEEvT1_.uses_vcc, 0
	.set _ZN7rocprim17ROCPRIM_400000_NS6detail17trampoline_kernelINS0_14default_configENS1_27scan_by_key_config_selectorIisEEZZNS1_16scan_by_key_implILNS1_25lookback_scan_determinismE0ELb1ES3_N6thrust23THRUST_200600_302600_NS6detail15normal_iteratorINS9_10device_ptrIiEEEENSB_INSC_IsEEEESG_sNS9_4plusIvEENS9_8equal_toIvEEsEE10hipError_tPvRmT2_T3_T4_T5_mT6_T7_P12ihipStream_tbENKUlT_T0_E_clISt17integral_constantIbLb1EES11_EEDaSW_SX_EUlSW_E_NS1_11comp_targetILNS1_3genE8ELNS1_11target_archE1030ELNS1_3gpuE2ELNS1_3repE0EEENS1_30default_config_static_selectorELNS0_4arch9wavefront6targetE0EEEvT1_.uses_flat_scratch, 0
	.set _ZN7rocprim17ROCPRIM_400000_NS6detail17trampoline_kernelINS0_14default_configENS1_27scan_by_key_config_selectorIisEEZZNS1_16scan_by_key_implILNS1_25lookback_scan_determinismE0ELb1ES3_N6thrust23THRUST_200600_302600_NS6detail15normal_iteratorINS9_10device_ptrIiEEEENSB_INSC_IsEEEESG_sNS9_4plusIvEENS9_8equal_toIvEEsEE10hipError_tPvRmT2_T3_T4_T5_mT6_T7_P12ihipStream_tbENKUlT_T0_E_clISt17integral_constantIbLb1EES11_EEDaSW_SX_EUlSW_E_NS1_11comp_targetILNS1_3genE8ELNS1_11target_archE1030ELNS1_3gpuE2ELNS1_3repE0EEENS1_30default_config_static_selectorELNS0_4arch9wavefront6targetE0EEEvT1_.has_dyn_sized_stack, 0
	.set _ZN7rocprim17ROCPRIM_400000_NS6detail17trampoline_kernelINS0_14default_configENS1_27scan_by_key_config_selectorIisEEZZNS1_16scan_by_key_implILNS1_25lookback_scan_determinismE0ELb1ES3_N6thrust23THRUST_200600_302600_NS6detail15normal_iteratorINS9_10device_ptrIiEEEENSB_INSC_IsEEEESG_sNS9_4plusIvEENS9_8equal_toIvEEsEE10hipError_tPvRmT2_T3_T4_T5_mT6_T7_P12ihipStream_tbENKUlT_T0_E_clISt17integral_constantIbLb1EES11_EEDaSW_SX_EUlSW_E_NS1_11comp_targetILNS1_3genE8ELNS1_11target_archE1030ELNS1_3gpuE2ELNS1_3repE0EEENS1_30default_config_static_selectorELNS0_4arch9wavefront6targetE0EEEvT1_.has_recursion, 0
	.set _ZN7rocprim17ROCPRIM_400000_NS6detail17trampoline_kernelINS0_14default_configENS1_27scan_by_key_config_selectorIisEEZZNS1_16scan_by_key_implILNS1_25lookback_scan_determinismE0ELb1ES3_N6thrust23THRUST_200600_302600_NS6detail15normal_iteratorINS9_10device_ptrIiEEEENSB_INSC_IsEEEESG_sNS9_4plusIvEENS9_8equal_toIvEEsEE10hipError_tPvRmT2_T3_T4_T5_mT6_T7_P12ihipStream_tbENKUlT_T0_E_clISt17integral_constantIbLb1EES11_EEDaSW_SX_EUlSW_E_NS1_11comp_targetILNS1_3genE8ELNS1_11target_archE1030ELNS1_3gpuE2ELNS1_3repE0EEENS1_30default_config_static_selectorELNS0_4arch9wavefront6targetE0EEEvT1_.has_indirect_call, 0
	.section	.AMDGPU.csdata,"",@progbits
; Kernel info:
; codeLenInByte = 0
; TotalNumSgprs: 0
; NumVgprs: 0
; ScratchSize: 0
; MemoryBound: 0
; FloatMode: 240
; IeeeMode: 1
; LDSByteSize: 0 bytes/workgroup (compile time only)
; SGPRBlocks: 0
; VGPRBlocks: 0
; NumSGPRsForWavesPerEU: 1
; NumVGPRsForWavesPerEU: 1
; NamedBarCnt: 0
; Occupancy: 16
; WaveLimiterHint : 0
; COMPUTE_PGM_RSRC2:SCRATCH_EN: 0
; COMPUTE_PGM_RSRC2:USER_SGPR: 2
; COMPUTE_PGM_RSRC2:TRAP_HANDLER: 0
; COMPUTE_PGM_RSRC2:TGID_X_EN: 1
; COMPUTE_PGM_RSRC2:TGID_Y_EN: 0
; COMPUTE_PGM_RSRC2:TGID_Z_EN: 0
; COMPUTE_PGM_RSRC2:TIDIG_COMP_CNT: 0
	.section	.text._ZN7rocprim17ROCPRIM_400000_NS6detail17trampoline_kernelINS0_14default_configENS1_27scan_by_key_config_selectorIisEEZZNS1_16scan_by_key_implILNS1_25lookback_scan_determinismE0ELb1ES3_N6thrust23THRUST_200600_302600_NS6detail15normal_iteratorINS9_10device_ptrIiEEEENSB_INSC_IsEEEESG_sNS9_4plusIvEENS9_8equal_toIvEEsEE10hipError_tPvRmT2_T3_T4_T5_mT6_T7_P12ihipStream_tbENKUlT_T0_E_clISt17integral_constantIbLb1EES10_IbLb0EEEEDaSW_SX_EUlSW_E_NS1_11comp_targetILNS1_3genE0ELNS1_11target_archE4294967295ELNS1_3gpuE0ELNS1_3repE0EEENS1_30default_config_static_selectorELNS0_4arch9wavefront6targetE0EEEvT1_,"axG",@progbits,_ZN7rocprim17ROCPRIM_400000_NS6detail17trampoline_kernelINS0_14default_configENS1_27scan_by_key_config_selectorIisEEZZNS1_16scan_by_key_implILNS1_25lookback_scan_determinismE0ELb1ES3_N6thrust23THRUST_200600_302600_NS6detail15normal_iteratorINS9_10device_ptrIiEEEENSB_INSC_IsEEEESG_sNS9_4plusIvEENS9_8equal_toIvEEsEE10hipError_tPvRmT2_T3_T4_T5_mT6_T7_P12ihipStream_tbENKUlT_T0_E_clISt17integral_constantIbLb1EES10_IbLb0EEEEDaSW_SX_EUlSW_E_NS1_11comp_targetILNS1_3genE0ELNS1_11target_archE4294967295ELNS1_3gpuE0ELNS1_3repE0EEENS1_30default_config_static_selectorELNS0_4arch9wavefront6targetE0EEEvT1_,comdat
	.protected	_ZN7rocprim17ROCPRIM_400000_NS6detail17trampoline_kernelINS0_14default_configENS1_27scan_by_key_config_selectorIisEEZZNS1_16scan_by_key_implILNS1_25lookback_scan_determinismE0ELb1ES3_N6thrust23THRUST_200600_302600_NS6detail15normal_iteratorINS9_10device_ptrIiEEEENSB_INSC_IsEEEESG_sNS9_4plusIvEENS9_8equal_toIvEEsEE10hipError_tPvRmT2_T3_T4_T5_mT6_T7_P12ihipStream_tbENKUlT_T0_E_clISt17integral_constantIbLb1EES10_IbLb0EEEEDaSW_SX_EUlSW_E_NS1_11comp_targetILNS1_3genE0ELNS1_11target_archE4294967295ELNS1_3gpuE0ELNS1_3repE0EEENS1_30default_config_static_selectorELNS0_4arch9wavefront6targetE0EEEvT1_ ; -- Begin function _ZN7rocprim17ROCPRIM_400000_NS6detail17trampoline_kernelINS0_14default_configENS1_27scan_by_key_config_selectorIisEEZZNS1_16scan_by_key_implILNS1_25lookback_scan_determinismE0ELb1ES3_N6thrust23THRUST_200600_302600_NS6detail15normal_iteratorINS9_10device_ptrIiEEEENSB_INSC_IsEEEESG_sNS9_4plusIvEENS9_8equal_toIvEEsEE10hipError_tPvRmT2_T3_T4_T5_mT6_T7_P12ihipStream_tbENKUlT_T0_E_clISt17integral_constantIbLb1EES10_IbLb0EEEEDaSW_SX_EUlSW_E_NS1_11comp_targetILNS1_3genE0ELNS1_11target_archE4294967295ELNS1_3gpuE0ELNS1_3repE0EEENS1_30default_config_static_selectorELNS0_4arch9wavefront6targetE0EEEvT1_
	.globl	_ZN7rocprim17ROCPRIM_400000_NS6detail17trampoline_kernelINS0_14default_configENS1_27scan_by_key_config_selectorIisEEZZNS1_16scan_by_key_implILNS1_25lookback_scan_determinismE0ELb1ES3_N6thrust23THRUST_200600_302600_NS6detail15normal_iteratorINS9_10device_ptrIiEEEENSB_INSC_IsEEEESG_sNS9_4plusIvEENS9_8equal_toIvEEsEE10hipError_tPvRmT2_T3_T4_T5_mT6_T7_P12ihipStream_tbENKUlT_T0_E_clISt17integral_constantIbLb1EES10_IbLb0EEEEDaSW_SX_EUlSW_E_NS1_11comp_targetILNS1_3genE0ELNS1_11target_archE4294967295ELNS1_3gpuE0ELNS1_3repE0EEENS1_30default_config_static_selectorELNS0_4arch9wavefront6targetE0EEEvT1_
	.p2align	8
	.type	_ZN7rocprim17ROCPRIM_400000_NS6detail17trampoline_kernelINS0_14default_configENS1_27scan_by_key_config_selectorIisEEZZNS1_16scan_by_key_implILNS1_25lookback_scan_determinismE0ELb1ES3_N6thrust23THRUST_200600_302600_NS6detail15normal_iteratorINS9_10device_ptrIiEEEENSB_INSC_IsEEEESG_sNS9_4plusIvEENS9_8equal_toIvEEsEE10hipError_tPvRmT2_T3_T4_T5_mT6_T7_P12ihipStream_tbENKUlT_T0_E_clISt17integral_constantIbLb1EES10_IbLb0EEEEDaSW_SX_EUlSW_E_NS1_11comp_targetILNS1_3genE0ELNS1_11target_archE4294967295ELNS1_3gpuE0ELNS1_3repE0EEENS1_30default_config_static_selectorELNS0_4arch9wavefront6targetE0EEEvT1_,@function
_ZN7rocprim17ROCPRIM_400000_NS6detail17trampoline_kernelINS0_14default_configENS1_27scan_by_key_config_selectorIisEEZZNS1_16scan_by_key_implILNS1_25lookback_scan_determinismE0ELb1ES3_N6thrust23THRUST_200600_302600_NS6detail15normal_iteratorINS9_10device_ptrIiEEEENSB_INSC_IsEEEESG_sNS9_4plusIvEENS9_8equal_toIvEEsEE10hipError_tPvRmT2_T3_T4_T5_mT6_T7_P12ihipStream_tbENKUlT_T0_E_clISt17integral_constantIbLb1EES10_IbLb0EEEEDaSW_SX_EUlSW_E_NS1_11comp_targetILNS1_3genE0ELNS1_11target_archE4294967295ELNS1_3gpuE0ELNS1_3repE0EEENS1_30default_config_static_selectorELNS0_4arch9wavefront6targetE0EEEvT1_: ; @_ZN7rocprim17ROCPRIM_400000_NS6detail17trampoline_kernelINS0_14default_configENS1_27scan_by_key_config_selectorIisEEZZNS1_16scan_by_key_implILNS1_25lookback_scan_determinismE0ELb1ES3_N6thrust23THRUST_200600_302600_NS6detail15normal_iteratorINS9_10device_ptrIiEEEENSB_INSC_IsEEEESG_sNS9_4plusIvEENS9_8equal_toIvEEsEE10hipError_tPvRmT2_T3_T4_T5_mT6_T7_P12ihipStream_tbENKUlT_T0_E_clISt17integral_constantIbLb1EES10_IbLb0EEEEDaSW_SX_EUlSW_E_NS1_11comp_targetILNS1_3genE0ELNS1_11target_archE4294967295ELNS1_3gpuE0ELNS1_3repE0EEENS1_30default_config_static_selectorELNS0_4arch9wavefront6targetE0EEEvT1_
; %bb.0:
	s_endpgm
	.section	.rodata,"a",@progbits
	.p2align	6, 0x0
	.amdhsa_kernel _ZN7rocprim17ROCPRIM_400000_NS6detail17trampoline_kernelINS0_14default_configENS1_27scan_by_key_config_selectorIisEEZZNS1_16scan_by_key_implILNS1_25lookback_scan_determinismE0ELb1ES3_N6thrust23THRUST_200600_302600_NS6detail15normal_iteratorINS9_10device_ptrIiEEEENSB_INSC_IsEEEESG_sNS9_4plusIvEENS9_8equal_toIvEEsEE10hipError_tPvRmT2_T3_T4_T5_mT6_T7_P12ihipStream_tbENKUlT_T0_E_clISt17integral_constantIbLb1EES10_IbLb0EEEEDaSW_SX_EUlSW_E_NS1_11comp_targetILNS1_3genE0ELNS1_11target_archE4294967295ELNS1_3gpuE0ELNS1_3repE0EEENS1_30default_config_static_selectorELNS0_4arch9wavefront6targetE0EEEvT1_
		.amdhsa_group_segment_fixed_size 0
		.amdhsa_private_segment_fixed_size 0
		.amdhsa_kernarg_size 112
		.amdhsa_user_sgpr_count 2
		.amdhsa_user_sgpr_dispatch_ptr 0
		.amdhsa_user_sgpr_queue_ptr 0
		.amdhsa_user_sgpr_kernarg_segment_ptr 1
		.amdhsa_user_sgpr_dispatch_id 0
		.amdhsa_user_sgpr_kernarg_preload_length 0
		.amdhsa_user_sgpr_kernarg_preload_offset 0
		.amdhsa_user_sgpr_private_segment_size 0
		.amdhsa_wavefront_size32 1
		.amdhsa_uses_dynamic_stack 0
		.amdhsa_enable_private_segment 0
		.amdhsa_system_sgpr_workgroup_id_x 1
		.amdhsa_system_sgpr_workgroup_id_y 0
		.amdhsa_system_sgpr_workgroup_id_z 0
		.amdhsa_system_sgpr_workgroup_info 0
		.amdhsa_system_vgpr_workitem_id 0
		.amdhsa_next_free_vgpr 1
		.amdhsa_next_free_sgpr 1
		.amdhsa_named_barrier_count 0
		.amdhsa_reserve_vcc 0
		.amdhsa_float_round_mode_32 0
		.amdhsa_float_round_mode_16_64 0
		.amdhsa_float_denorm_mode_32 3
		.amdhsa_float_denorm_mode_16_64 3
		.amdhsa_fp16_overflow 0
		.amdhsa_memory_ordered 1
		.amdhsa_forward_progress 1
		.amdhsa_inst_pref_size 1
		.amdhsa_round_robin_scheduling 0
		.amdhsa_exception_fp_ieee_invalid_op 0
		.amdhsa_exception_fp_denorm_src 0
		.amdhsa_exception_fp_ieee_div_zero 0
		.amdhsa_exception_fp_ieee_overflow 0
		.amdhsa_exception_fp_ieee_underflow 0
		.amdhsa_exception_fp_ieee_inexact 0
		.amdhsa_exception_int_div_zero 0
	.end_amdhsa_kernel
	.section	.text._ZN7rocprim17ROCPRIM_400000_NS6detail17trampoline_kernelINS0_14default_configENS1_27scan_by_key_config_selectorIisEEZZNS1_16scan_by_key_implILNS1_25lookback_scan_determinismE0ELb1ES3_N6thrust23THRUST_200600_302600_NS6detail15normal_iteratorINS9_10device_ptrIiEEEENSB_INSC_IsEEEESG_sNS9_4plusIvEENS9_8equal_toIvEEsEE10hipError_tPvRmT2_T3_T4_T5_mT6_T7_P12ihipStream_tbENKUlT_T0_E_clISt17integral_constantIbLb1EES10_IbLb0EEEEDaSW_SX_EUlSW_E_NS1_11comp_targetILNS1_3genE0ELNS1_11target_archE4294967295ELNS1_3gpuE0ELNS1_3repE0EEENS1_30default_config_static_selectorELNS0_4arch9wavefront6targetE0EEEvT1_,"axG",@progbits,_ZN7rocprim17ROCPRIM_400000_NS6detail17trampoline_kernelINS0_14default_configENS1_27scan_by_key_config_selectorIisEEZZNS1_16scan_by_key_implILNS1_25lookback_scan_determinismE0ELb1ES3_N6thrust23THRUST_200600_302600_NS6detail15normal_iteratorINS9_10device_ptrIiEEEENSB_INSC_IsEEEESG_sNS9_4plusIvEENS9_8equal_toIvEEsEE10hipError_tPvRmT2_T3_T4_T5_mT6_T7_P12ihipStream_tbENKUlT_T0_E_clISt17integral_constantIbLb1EES10_IbLb0EEEEDaSW_SX_EUlSW_E_NS1_11comp_targetILNS1_3genE0ELNS1_11target_archE4294967295ELNS1_3gpuE0ELNS1_3repE0EEENS1_30default_config_static_selectorELNS0_4arch9wavefront6targetE0EEEvT1_,comdat
.Lfunc_end1625:
	.size	_ZN7rocprim17ROCPRIM_400000_NS6detail17trampoline_kernelINS0_14default_configENS1_27scan_by_key_config_selectorIisEEZZNS1_16scan_by_key_implILNS1_25lookback_scan_determinismE0ELb1ES3_N6thrust23THRUST_200600_302600_NS6detail15normal_iteratorINS9_10device_ptrIiEEEENSB_INSC_IsEEEESG_sNS9_4plusIvEENS9_8equal_toIvEEsEE10hipError_tPvRmT2_T3_T4_T5_mT6_T7_P12ihipStream_tbENKUlT_T0_E_clISt17integral_constantIbLb1EES10_IbLb0EEEEDaSW_SX_EUlSW_E_NS1_11comp_targetILNS1_3genE0ELNS1_11target_archE4294967295ELNS1_3gpuE0ELNS1_3repE0EEENS1_30default_config_static_selectorELNS0_4arch9wavefront6targetE0EEEvT1_, .Lfunc_end1625-_ZN7rocprim17ROCPRIM_400000_NS6detail17trampoline_kernelINS0_14default_configENS1_27scan_by_key_config_selectorIisEEZZNS1_16scan_by_key_implILNS1_25lookback_scan_determinismE0ELb1ES3_N6thrust23THRUST_200600_302600_NS6detail15normal_iteratorINS9_10device_ptrIiEEEENSB_INSC_IsEEEESG_sNS9_4plusIvEENS9_8equal_toIvEEsEE10hipError_tPvRmT2_T3_T4_T5_mT6_T7_P12ihipStream_tbENKUlT_T0_E_clISt17integral_constantIbLb1EES10_IbLb0EEEEDaSW_SX_EUlSW_E_NS1_11comp_targetILNS1_3genE0ELNS1_11target_archE4294967295ELNS1_3gpuE0ELNS1_3repE0EEENS1_30default_config_static_selectorELNS0_4arch9wavefront6targetE0EEEvT1_
                                        ; -- End function
	.set _ZN7rocprim17ROCPRIM_400000_NS6detail17trampoline_kernelINS0_14default_configENS1_27scan_by_key_config_selectorIisEEZZNS1_16scan_by_key_implILNS1_25lookback_scan_determinismE0ELb1ES3_N6thrust23THRUST_200600_302600_NS6detail15normal_iteratorINS9_10device_ptrIiEEEENSB_INSC_IsEEEESG_sNS9_4plusIvEENS9_8equal_toIvEEsEE10hipError_tPvRmT2_T3_T4_T5_mT6_T7_P12ihipStream_tbENKUlT_T0_E_clISt17integral_constantIbLb1EES10_IbLb0EEEEDaSW_SX_EUlSW_E_NS1_11comp_targetILNS1_3genE0ELNS1_11target_archE4294967295ELNS1_3gpuE0ELNS1_3repE0EEENS1_30default_config_static_selectorELNS0_4arch9wavefront6targetE0EEEvT1_.num_vgpr, 0
	.set _ZN7rocprim17ROCPRIM_400000_NS6detail17trampoline_kernelINS0_14default_configENS1_27scan_by_key_config_selectorIisEEZZNS1_16scan_by_key_implILNS1_25lookback_scan_determinismE0ELb1ES3_N6thrust23THRUST_200600_302600_NS6detail15normal_iteratorINS9_10device_ptrIiEEEENSB_INSC_IsEEEESG_sNS9_4plusIvEENS9_8equal_toIvEEsEE10hipError_tPvRmT2_T3_T4_T5_mT6_T7_P12ihipStream_tbENKUlT_T0_E_clISt17integral_constantIbLb1EES10_IbLb0EEEEDaSW_SX_EUlSW_E_NS1_11comp_targetILNS1_3genE0ELNS1_11target_archE4294967295ELNS1_3gpuE0ELNS1_3repE0EEENS1_30default_config_static_selectorELNS0_4arch9wavefront6targetE0EEEvT1_.num_agpr, 0
	.set _ZN7rocprim17ROCPRIM_400000_NS6detail17trampoline_kernelINS0_14default_configENS1_27scan_by_key_config_selectorIisEEZZNS1_16scan_by_key_implILNS1_25lookback_scan_determinismE0ELb1ES3_N6thrust23THRUST_200600_302600_NS6detail15normal_iteratorINS9_10device_ptrIiEEEENSB_INSC_IsEEEESG_sNS9_4plusIvEENS9_8equal_toIvEEsEE10hipError_tPvRmT2_T3_T4_T5_mT6_T7_P12ihipStream_tbENKUlT_T0_E_clISt17integral_constantIbLb1EES10_IbLb0EEEEDaSW_SX_EUlSW_E_NS1_11comp_targetILNS1_3genE0ELNS1_11target_archE4294967295ELNS1_3gpuE0ELNS1_3repE0EEENS1_30default_config_static_selectorELNS0_4arch9wavefront6targetE0EEEvT1_.numbered_sgpr, 0
	.set _ZN7rocprim17ROCPRIM_400000_NS6detail17trampoline_kernelINS0_14default_configENS1_27scan_by_key_config_selectorIisEEZZNS1_16scan_by_key_implILNS1_25lookback_scan_determinismE0ELb1ES3_N6thrust23THRUST_200600_302600_NS6detail15normal_iteratorINS9_10device_ptrIiEEEENSB_INSC_IsEEEESG_sNS9_4plusIvEENS9_8equal_toIvEEsEE10hipError_tPvRmT2_T3_T4_T5_mT6_T7_P12ihipStream_tbENKUlT_T0_E_clISt17integral_constantIbLb1EES10_IbLb0EEEEDaSW_SX_EUlSW_E_NS1_11comp_targetILNS1_3genE0ELNS1_11target_archE4294967295ELNS1_3gpuE0ELNS1_3repE0EEENS1_30default_config_static_selectorELNS0_4arch9wavefront6targetE0EEEvT1_.num_named_barrier, 0
	.set _ZN7rocprim17ROCPRIM_400000_NS6detail17trampoline_kernelINS0_14default_configENS1_27scan_by_key_config_selectorIisEEZZNS1_16scan_by_key_implILNS1_25lookback_scan_determinismE0ELb1ES3_N6thrust23THRUST_200600_302600_NS6detail15normal_iteratorINS9_10device_ptrIiEEEENSB_INSC_IsEEEESG_sNS9_4plusIvEENS9_8equal_toIvEEsEE10hipError_tPvRmT2_T3_T4_T5_mT6_T7_P12ihipStream_tbENKUlT_T0_E_clISt17integral_constantIbLb1EES10_IbLb0EEEEDaSW_SX_EUlSW_E_NS1_11comp_targetILNS1_3genE0ELNS1_11target_archE4294967295ELNS1_3gpuE0ELNS1_3repE0EEENS1_30default_config_static_selectorELNS0_4arch9wavefront6targetE0EEEvT1_.private_seg_size, 0
	.set _ZN7rocprim17ROCPRIM_400000_NS6detail17trampoline_kernelINS0_14default_configENS1_27scan_by_key_config_selectorIisEEZZNS1_16scan_by_key_implILNS1_25lookback_scan_determinismE0ELb1ES3_N6thrust23THRUST_200600_302600_NS6detail15normal_iteratorINS9_10device_ptrIiEEEENSB_INSC_IsEEEESG_sNS9_4plusIvEENS9_8equal_toIvEEsEE10hipError_tPvRmT2_T3_T4_T5_mT6_T7_P12ihipStream_tbENKUlT_T0_E_clISt17integral_constantIbLb1EES10_IbLb0EEEEDaSW_SX_EUlSW_E_NS1_11comp_targetILNS1_3genE0ELNS1_11target_archE4294967295ELNS1_3gpuE0ELNS1_3repE0EEENS1_30default_config_static_selectorELNS0_4arch9wavefront6targetE0EEEvT1_.uses_vcc, 0
	.set _ZN7rocprim17ROCPRIM_400000_NS6detail17trampoline_kernelINS0_14default_configENS1_27scan_by_key_config_selectorIisEEZZNS1_16scan_by_key_implILNS1_25lookback_scan_determinismE0ELb1ES3_N6thrust23THRUST_200600_302600_NS6detail15normal_iteratorINS9_10device_ptrIiEEEENSB_INSC_IsEEEESG_sNS9_4plusIvEENS9_8equal_toIvEEsEE10hipError_tPvRmT2_T3_T4_T5_mT6_T7_P12ihipStream_tbENKUlT_T0_E_clISt17integral_constantIbLb1EES10_IbLb0EEEEDaSW_SX_EUlSW_E_NS1_11comp_targetILNS1_3genE0ELNS1_11target_archE4294967295ELNS1_3gpuE0ELNS1_3repE0EEENS1_30default_config_static_selectorELNS0_4arch9wavefront6targetE0EEEvT1_.uses_flat_scratch, 0
	.set _ZN7rocprim17ROCPRIM_400000_NS6detail17trampoline_kernelINS0_14default_configENS1_27scan_by_key_config_selectorIisEEZZNS1_16scan_by_key_implILNS1_25lookback_scan_determinismE0ELb1ES3_N6thrust23THRUST_200600_302600_NS6detail15normal_iteratorINS9_10device_ptrIiEEEENSB_INSC_IsEEEESG_sNS9_4plusIvEENS9_8equal_toIvEEsEE10hipError_tPvRmT2_T3_T4_T5_mT6_T7_P12ihipStream_tbENKUlT_T0_E_clISt17integral_constantIbLb1EES10_IbLb0EEEEDaSW_SX_EUlSW_E_NS1_11comp_targetILNS1_3genE0ELNS1_11target_archE4294967295ELNS1_3gpuE0ELNS1_3repE0EEENS1_30default_config_static_selectorELNS0_4arch9wavefront6targetE0EEEvT1_.has_dyn_sized_stack, 0
	.set _ZN7rocprim17ROCPRIM_400000_NS6detail17trampoline_kernelINS0_14default_configENS1_27scan_by_key_config_selectorIisEEZZNS1_16scan_by_key_implILNS1_25lookback_scan_determinismE0ELb1ES3_N6thrust23THRUST_200600_302600_NS6detail15normal_iteratorINS9_10device_ptrIiEEEENSB_INSC_IsEEEESG_sNS9_4plusIvEENS9_8equal_toIvEEsEE10hipError_tPvRmT2_T3_T4_T5_mT6_T7_P12ihipStream_tbENKUlT_T0_E_clISt17integral_constantIbLb1EES10_IbLb0EEEEDaSW_SX_EUlSW_E_NS1_11comp_targetILNS1_3genE0ELNS1_11target_archE4294967295ELNS1_3gpuE0ELNS1_3repE0EEENS1_30default_config_static_selectorELNS0_4arch9wavefront6targetE0EEEvT1_.has_recursion, 0
	.set _ZN7rocprim17ROCPRIM_400000_NS6detail17trampoline_kernelINS0_14default_configENS1_27scan_by_key_config_selectorIisEEZZNS1_16scan_by_key_implILNS1_25lookback_scan_determinismE0ELb1ES3_N6thrust23THRUST_200600_302600_NS6detail15normal_iteratorINS9_10device_ptrIiEEEENSB_INSC_IsEEEESG_sNS9_4plusIvEENS9_8equal_toIvEEsEE10hipError_tPvRmT2_T3_T4_T5_mT6_T7_P12ihipStream_tbENKUlT_T0_E_clISt17integral_constantIbLb1EES10_IbLb0EEEEDaSW_SX_EUlSW_E_NS1_11comp_targetILNS1_3genE0ELNS1_11target_archE4294967295ELNS1_3gpuE0ELNS1_3repE0EEENS1_30default_config_static_selectorELNS0_4arch9wavefront6targetE0EEEvT1_.has_indirect_call, 0
	.section	.AMDGPU.csdata,"",@progbits
; Kernel info:
; codeLenInByte = 4
; TotalNumSgprs: 0
; NumVgprs: 0
; ScratchSize: 0
; MemoryBound: 0
; FloatMode: 240
; IeeeMode: 1
; LDSByteSize: 0 bytes/workgroup (compile time only)
; SGPRBlocks: 0
; VGPRBlocks: 0
; NumSGPRsForWavesPerEU: 1
; NumVGPRsForWavesPerEU: 1
; NamedBarCnt: 0
; Occupancy: 16
; WaveLimiterHint : 0
; COMPUTE_PGM_RSRC2:SCRATCH_EN: 0
; COMPUTE_PGM_RSRC2:USER_SGPR: 2
; COMPUTE_PGM_RSRC2:TRAP_HANDLER: 0
; COMPUTE_PGM_RSRC2:TGID_X_EN: 1
; COMPUTE_PGM_RSRC2:TGID_Y_EN: 0
; COMPUTE_PGM_RSRC2:TGID_Z_EN: 0
; COMPUTE_PGM_RSRC2:TIDIG_COMP_CNT: 0
	.section	.text._ZN7rocprim17ROCPRIM_400000_NS6detail17trampoline_kernelINS0_14default_configENS1_27scan_by_key_config_selectorIisEEZZNS1_16scan_by_key_implILNS1_25lookback_scan_determinismE0ELb1ES3_N6thrust23THRUST_200600_302600_NS6detail15normal_iteratorINS9_10device_ptrIiEEEENSB_INSC_IsEEEESG_sNS9_4plusIvEENS9_8equal_toIvEEsEE10hipError_tPvRmT2_T3_T4_T5_mT6_T7_P12ihipStream_tbENKUlT_T0_E_clISt17integral_constantIbLb1EES10_IbLb0EEEEDaSW_SX_EUlSW_E_NS1_11comp_targetILNS1_3genE10ELNS1_11target_archE1201ELNS1_3gpuE5ELNS1_3repE0EEENS1_30default_config_static_selectorELNS0_4arch9wavefront6targetE0EEEvT1_,"axG",@progbits,_ZN7rocprim17ROCPRIM_400000_NS6detail17trampoline_kernelINS0_14default_configENS1_27scan_by_key_config_selectorIisEEZZNS1_16scan_by_key_implILNS1_25lookback_scan_determinismE0ELb1ES3_N6thrust23THRUST_200600_302600_NS6detail15normal_iteratorINS9_10device_ptrIiEEEENSB_INSC_IsEEEESG_sNS9_4plusIvEENS9_8equal_toIvEEsEE10hipError_tPvRmT2_T3_T4_T5_mT6_T7_P12ihipStream_tbENKUlT_T0_E_clISt17integral_constantIbLb1EES10_IbLb0EEEEDaSW_SX_EUlSW_E_NS1_11comp_targetILNS1_3genE10ELNS1_11target_archE1201ELNS1_3gpuE5ELNS1_3repE0EEENS1_30default_config_static_selectorELNS0_4arch9wavefront6targetE0EEEvT1_,comdat
	.protected	_ZN7rocprim17ROCPRIM_400000_NS6detail17trampoline_kernelINS0_14default_configENS1_27scan_by_key_config_selectorIisEEZZNS1_16scan_by_key_implILNS1_25lookback_scan_determinismE0ELb1ES3_N6thrust23THRUST_200600_302600_NS6detail15normal_iteratorINS9_10device_ptrIiEEEENSB_INSC_IsEEEESG_sNS9_4plusIvEENS9_8equal_toIvEEsEE10hipError_tPvRmT2_T3_T4_T5_mT6_T7_P12ihipStream_tbENKUlT_T0_E_clISt17integral_constantIbLb1EES10_IbLb0EEEEDaSW_SX_EUlSW_E_NS1_11comp_targetILNS1_3genE10ELNS1_11target_archE1201ELNS1_3gpuE5ELNS1_3repE0EEENS1_30default_config_static_selectorELNS0_4arch9wavefront6targetE0EEEvT1_ ; -- Begin function _ZN7rocprim17ROCPRIM_400000_NS6detail17trampoline_kernelINS0_14default_configENS1_27scan_by_key_config_selectorIisEEZZNS1_16scan_by_key_implILNS1_25lookback_scan_determinismE0ELb1ES3_N6thrust23THRUST_200600_302600_NS6detail15normal_iteratorINS9_10device_ptrIiEEEENSB_INSC_IsEEEESG_sNS9_4plusIvEENS9_8equal_toIvEEsEE10hipError_tPvRmT2_T3_T4_T5_mT6_T7_P12ihipStream_tbENKUlT_T0_E_clISt17integral_constantIbLb1EES10_IbLb0EEEEDaSW_SX_EUlSW_E_NS1_11comp_targetILNS1_3genE10ELNS1_11target_archE1201ELNS1_3gpuE5ELNS1_3repE0EEENS1_30default_config_static_selectorELNS0_4arch9wavefront6targetE0EEEvT1_
	.globl	_ZN7rocprim17ROCPRIM_400000_NS6detail17trampoline_kernelINS0_14default_configENS1_27scan_by_key_config_selectorIisEEZZNS1_16scan_by_key_implILNS1_25lookback_scan_determinismE0ELb1ES3_N6thrust23THRUST_200600_302600_NS6detail15normal_iteratorINS9_10device_ptrIiEEEENSB_INSC_IsEEEESG_sNS9_4plusIvEENS9_8equal_toIvEEsEE10hipError_tPvRmT2_T3_T4_T5_mT6_T7_P12ihipStream_tbENKUlT_T0_E_clISt17integral_constantIbLb1EES10_IbLb0EEEEDaSW_SX_EUlSW_E_NS1_11comp_targetILNS1_3genE10ELNS1_11target_archE1201ELNS1_3gpuE5ELNS1_3repE0EEENS1_30default_config_static_selectorELNS0_4arch9wavefront6targetE0EEEvT1_
	.p2align	8
	.type	_ZN7rocprim17ROCPRIM_400000_NS6detail17trampoline_kernelINS0_14default_configENS1_27scan_by_key_config_selectorIisEEZZNS1_16scan_by_key_implILNS1_25lookback_scan_determinismE0ELb1ES3_N6thrust23THRUST_200600_302600_NS6detail15normal_iteratorINS9_10device_ptrIiEEEENSB_INSC_IsEEEESG_sNS9_4plusIvEENS9_8equal_toIvEEsEE10hipError_tPvRmT2_T3_T4_T5_mT6_T7_P12ihipStream_tbENKUlT_T0_E_clISt17integral_constantIbLb1EES10_IbLb0EEEEDaSW_SX_EUlSW_E_NS1_11comp_targetILNS1_3genE10ELNS1_11target_archE1201ELNS1_3gpuE5ELNS1_3repE0EEENS1_30default_config_static_selectorELNS0_4arch9wavefront6targetE0EEEvT1_,@function
_ZN7rocprim17ROCPRIM_400000_NS6detail17trampoline_kernelINS0_14default_configENS1_27scan_by_key_config_selectorIisEEZZNS1_16scan_by_key_implILNS1_25lookback_scan_determinismE0ELb1ES3_N6thrust23THRUST_200600_302600_NS6detail15normal_iteratorINS9_10device_ptrIiEEEENSB_INSC_IsEEEESG_sNS9_4plusIvEENS9_8equal_toIvEEsEE10hipError_tPvRmT2_T3_T4_T5_mT6_T7_P12ihipStream_tbENKUlT_T0_E_clISt17integral_constantIbLb1EES10_IbLb0EEEEDaSW_SX_EUlSW_E_NS1_11comp_targetILNS1_3genE10ELNS1_11target_archE1201ELNS1_3gpuE5ELNS1_3repE0EEENS1_30default_config_static_selectorELNS0_4arch9wavefront6targetE0EEEvT1_: ; @_ZN7rocprim17ROCPRIM_400000_NS6detail17trampoline_kernelINS0_14default_configENS1_27scan_by_key_config_selectorIisEEZZNS1_16scan_by_key_implILNS1_25lookback_scan_determinismE0ELb1ES3_N6thrust23THRUST_200600_302600_NS6detail15normal_iteratorINS9_10device_ptrIiEEEENSB_INSC_IsEEEESG_sNS9_4plusIvEENS9_8equal_toIvEEsEE10hipError_tPvRmT2_T3_T4_T5_mT6_T7_P12ihipStream_tbENKUlT_T0_E_clISt17integral_constantIbLb1EES10_IbLb0EEEEDaSW_SX_EUlSW_E_NS1_11comp_targetILNS1_3genE10ELNS1_11target_archE1201ELNS1_3gpuE5ELNS1_3repE0EEENS1_30default_config_static_selectorELNS0_4arch9wavefront6targetE0EEEvT1_
; %bb.0:
	.section	.rodata,"a",@progbits
	.p2align	6, 0x0
	.amdhsa_kernel _ZN7rocprim17ROCPRIM_400000_NS6detail17trampoline_kernelINS0_14default_configENS1_27scan_by_key_config_selectorIisEEZZNS1_16scan_by_key_implILNS1_25lookback_scan_determinismE0ELb1ES3_N6thrust23THRUST_200600_302600_NS6detail15normal_iteratorINS9_10device_ptrIiEEEENSB_INSC_IsEEEESG_sNS9_4plusIvEENS9_8equal_toIvEEsEE10hipError_tPvRmT2_T3_T4_T5_mT6_T7_P12ihipStream_tbENKUlT_T0_E_clISt17integral_constantIbLb1EES10_IbLb0EEEEDaSW_SX_EUlSW_E_NS1_11comp_targetILNS1_3genE10ELNS1_11target_archE1201ELNS1_3gpuE5ELNS1_3repE0EEENS1_30default_config_static_selectorELNS0_4arch9wavefront6targetE0EEEvT1_
		.amdhsa_group_segment_fixed_size 0
		.amdhsa_private_segment_fixed_size 0
		.amdhsa_kernarg_size 112
		.amdhsa_user_sgpr_count 2
		.amdhsa_user_sgpr_dispatch_ptr 0
		.amdhsa_user_sgpr_queue_ptr 0
		.amdhsa_user_sgpr_kernarg_segment_ptr 1
		.amdhsa_user_sgpr_dispatch_id 0
		.amdhsa_user_sgpr_kernarg_preload_length 0
		.amdhsa_user_sgpr_kernarg_preload_offset 0
		.amdhsa_user_sgpr_private_segment_size 0
		.amdhsa_wavefront_size32 1
		.amdhsa_uses_dynamic_stack 0
		.amdhsa_enable_private_segment 0
		.amdhsa_system_sgpr_workgroup_id_x 1
		.amdhsa_system_sgpr_workgroup_id_y 0
		.amdhsa_system_sgpr_workgroup_id_z 0
		.amdhsa_system_sgpr_workgroup_info 0
		.amdhsa_system_vgpr_workitem_id 0
		.amdhsa_next_free_vgpr 1
		.amdhsa_next_free_sgpr 1
		.amdhsa_named_barrier_count 0
		.amdhsa_reserve_vcc 0
		.amdhsa_float_round_mode_32 0
		.amdhsa_float_round_mode_16_64 0
		.amdhsa_float_denorm_mode_32 3
		.amdhsa_float_denorm_mode_16_64 3
		.amdhsa_fp16_overflow 0
		.amdhsa_memory_ordered 1
		.amdhsa_forward_progress 1
		.amdhsa_inst_pref_size 0
		.amdhsa_round_robin_scheduling 0
		.amdhsa_exception_fp_ieee_invalid_op 0
		.amdhsa_exception_fp_denorm_src 0
		.amdhsa_exception_fp_ieee_div_zero 0
		.amdhsa_exception_fp_ieee_overflow 0
		.amdhsa_exception_fp_ieee_underflow 0
		.amdhsa_exception_fp_ieee_inexact 0
		.amdhsa_exception_int_div_zero 0
	.end_amdhsa_kernel
	.section	.text._ZN7rocprim17ROCPRIM_400000_NS6detail17trampoline_kernelINS0_14default_configENS1_27scan_by_key_config_selectorIisEEZZNS1_16scan_by_key_implILNS1_25lookback_scan_determinismE0ELb1ES3_N6thrust23THRUST_200600_302600_NS6detail15normal_iteratorINS9_10device_ptrIiEEEENSB_INSC_IsEEEESG_sNS9_4plusIvEENS9_8equal_toIvEEsEE10hipError_tPvRmT2_T3_T4_T5_mT6_T7_P12ihipStream_tbENKUlT_T0_E_clISt17integral_constantIbLb1EES10_IbLb0EEEEDaSW_SX_EUlSW_E_NS1_11comp_targetILNS1_3genE10ELNS1_11target_archE1201ELNS1_3gpuE5ELNS1_3repE0EEENS1_30default_config_static_selectorELNS0_4arch9wavefront6targetE0EEEvT1_,"axG",@progbits,_ZN7rocprim17ROCPRIM_400000_NS6detail17trampoline_kernelINS0_14default_configENS1_27scan_by_key_config_selectorIisEEZZNS1_16scan_by_key_implILNS1_25lookback_scan_determinismE0ELb1ES3_N6thrust23THRUST_200600_302600_NS6detail15normal_iteratorINS9_10device_ptrIiEEEENSB_INSC_IsEEEESG_sNS9_4plusIvEENS9_8equal_toIvEEsEE10hipError_tPvRmT2_T3_T4_T5_mT6_T7_P12ihipStream_tbENKUlT_T0_E_clISt17integral_constantIbLb1EES10_IbLb0EEEEDaSW_SX_EUlSW_E_NS1_11comp_targetILNS1_3genE10ELNS1_11target_archE1201ELNS1_3gpuE5ELNS1_3repE0EEENS1_30default_config_static_selectorELNS0_4arch9wavefront6targetE0EEEvT1_,comdat
.Lfunc_end1626:
	.size	_ZN7rocprim17ROCPRIM_400000_NS6detail17trampoline_kernelINS0_14default_configENS1_27scan_by_key_config_selectorIisEEZZNS1_16scan_by_key_implILNS1_25lookback_scan_determinismE0ELb1ES3_N6thrust23THRUST_200600_302600_NS6detail15normal_iteratorINS9_10device_ptrIiEEEENSB_INSC_IsEEEESG_sNS9_4plusIvEENS9_8equal_toIvEEsEE10hipError_tPvRmT2_T3_T4_T5_mT6_T7_P12ihipStream_tbENKUlT_T0_E_clISt17integral_constantIbLb1EES10_IbLb0EEEEDaSW_SX_EUlSW_E_NS1_11comp_targetILNS1_3genE10ELNS1_11target_archE1201ELNS1_3gpuE5ELNS1_3repE0EEENS1_30default_config_static_selectorELNS0_4arch9wavefront6targetE0EEEvT1_, .Lfunc_end1626-_ZN7rocprim17ROCPRIM_400000_NS6detail17trampoline_kernelINS0_14default_configENS1_27scan_by_key_config_selectorIisEEZZNS1_16scan_by_key_implILNS1_25lookback_scan_determinismE0ELb1ES3_N6thrust23THRUST_200600_302600_NS6detail15normal_iteratorINS9_10device_ptrIiEEEENSB_INSC_IsEEEESG_sNS9_4plusIvEENS9_8equal_toIvEEsEE10hipError_tPvRmT2_T3_T4_T5_mT6_T7_P12ihipStream_tbENKUlT_T0_E_clISt17integral_constantIbLb1EES10_IbLb0EEEEDaSW_SX_EUlSW_E_NS1_11comp_targetILNS1_3genE10ELNS1_11target_archE1201ELNS1_3gpuE5ELNS1_3repE0EEENS1_30default_config_static_selectorELNS0_4arch9wavefront6targetE0EEEvT1_
                                        ; -- End function
	.set _ZN7rocprim17ROCPRIM_400000_NS6detail17trampoline_kernelINS0_14default_configENS1_27scan_by_key_config_selectorIisEEZZNS1_16scan_by_key_implILNS1_25lookback_scan_determinismE0ELb1ES3_N6thrust23THRUST_200600_302600_NS6detail15normal_iteratorINS9_10device_ptrIiEEEENSB_INSC_IsEEEESG_sNS9_4plusIvEENS9_8equal_toIvEEsEE10hipError_tPvRmT2_T3_T4_T5_mT6_T7_P12ihipStream_tbENKUlT_T0_E_clISt17integral_constantIbLb1EES10_IbLb0EEEEDaSW_SX_EUlSW_E_NS1_11comp_targetILNS1_3genE10ELNS1_11target_archE1201ELNS1_3gpuE5ELNS1_3repE0EEENS1_30default_config_static_selectorELNS0_4arch9wavefront6targetE0EEEvT1_.num_vgpr, 0
	.set _ZN7rocprim17ROCPRIM_400000_NS6detail17trampoline_kernelINS0_14default_configENS1_27scan_by_key_config_selectorIisEEZZNS1_16scan_by_key_implILNS1_25lookback_scan_determinismE0ELb1ES3_N6thrust23THRUST_200600_302600_NS6detail15normal_iteratorINS9_10device_ptrIiEEEENSB_INSC_IsEEEESG_sNS9_4plusIvEENS9_8equal_toIvEEsEE10hipError_tPvRmT2_T3_T4_T5_mT6_T7_P12ihipStream_tbENKUlT_T0_E_clISt17integral_constantIbLb1EES10_IbLb0EEEEDaSW_SX_EUlSW_E_NS1_11comp_targetILNS1_3genE10ELNS1_11target_archE1201ELNS1_3gpuE5ELNS1_3repE0EEENS1_30default_config_static_selectorELNS0_4arch9wavefront6targetE0EEEvT1_.num_agpr, 0
	.set _ZN7rocprim17ROCPRIM_400000_NS6detail17trampoline_kernelINS0_14default_configENS1_27scan_by_key_config_selectorIisEEZZNS1_16scan_by_key_implILNS1_25lookback_scan_determinismE0ELb1ES3_N6thrust23THRUST_200600_302600_NS6detail15normal_iteratorINS9_10device_ptrIiEEEENSB_INSC_IsEEEESG_sNS9_4plusIvEENS9_8equal_toIvEEsEE10hipError_tPvRmT2_T3_T4_T5_mT6_T7_P12ihipStream_tbENKUlT_T0_E_clISt17integral_constantIbLb1EES10_IbLb0EEEEDaSW_SX_EUlSW_E_NS1_11comp_targetILNS1_3genE10ELNS1_11target_archE1201ELNS1_3gpuE5ELNS1_3repE0EEENS1_30default_config_static_selectorELNS0_4arch9wavefront6targetE0EEEvT1_.numbered_sgpr, 0
	.set _ZN7rocprim17ROCPRIM_400000_NS6detail17trampoline_kernelINS0_14default_configENS1_27scan_by_key_config_selectorIisEEZZNS1_16scan_by_key_implILNS1_25lookback_scan_determinismE0ELb1ES3_N6thrust23THRUST_200600_302600_NS6detail15normal_iteratorINS9_10device_ptrIiEEEENSB_INSC_IsEEEESG_sNS9_4plusIvEENS9_8equal_toIvEEsEE10hipError_tPvRmT2_T3_T4_T5_mT6_T7_P12ihipStream_tbENKUlT_T0_E_clISt17integral_constantIbLb1EES10_IbLb0EEEEDaSW_SX_EUlSW_E_NS1_11comp_targetILNS1_3genE10ELNS1_11target_archE1201ELNS1_3gpuE5ELNS1_3repE0EEENS1_30default_config_static_selectorELNS0_4arch9wavefront6targetE0EEEvT1_.num_named_barrier, 0
	.set _ZN7rocprim17ROCPRIM_400000_NS6detail17trampoline_kernelINS0_14default_configENS1_27scan_by_key_config_selectorIisEEZZNS1_16scan_by_key_implILNS1_25lookback_scan_determinismE0ELb1ES3_N6thrust23THRUST_200600_302600_NS6detail15normal_iteratorINS9_10device_ptrIiEEEENSB_INSC_IsEEEESG_sNS9_4plusIvEENS9_8equal_toIvEEsEE10hipError_tPvRmT2_T3_T4_T5_mT6_T7_P12ihipStream_tbENKUlT_T0_E_clISt17integral_constantIbLb1EES10_IbLb0EEEEDaSW_SX_EUlSW_E_NS1_11comp_targetILNS1_3genE10ELNS1_11target_archE1201ELNS1_3gpuE5ELNS1_3repE0EEENS1_30default_config_static_selectorELNS0_4arch9wavefront6targetE0EEEvT1_.private_seg_size, 0
	.set _ZN7rocprim17ROCPRIM_400000_NS6detail17trampoline_kernelINS0_14default_configENS1_27scan_by_key_config_selectorIisEEZZNS1_16scan_by_key_implILNS1_25lookback_scan_determinismE0ELb1ES3_N6thrust23THRUST_200600_302600_NS6detail15normal_iteratorINS9_10device_ptrIiEEEENSB_INSC_IsEEEESG_sNS9_4plusIvEENS9_8equal_toIvEEsEE10hipError_tPvRmT2_T3_T4_T5_mT6_T7_P12ihipStream_tbENKUlT_T0_E_clISt17integral_constantIbLb1EES10_IbLb0EEEEDaSW_SX_EUlSW_E_NS1_11comp_targetILNS1_3genE10ELNS1_11target_archE1201ELNS1_3gpuE5ELNS1_3repE0EEENS1_30default_config_static_selectorELNS0_4arch9wavefront6targetE0EEEvT1_.uses_vcc, 0
	.set _ZN7rocprim17ROCPRIM_400000_NS6detail17trampoline_kernelINS0_14default_configENS1_27scan_by_key_config_selectorIisEEZZNS1_16scan_by_key_implILNS1_25lookback_scan_determinismE0ELb1ES3_N6thrust23THRUST_200600_302600_NS6detail15normal_iteratorINS9_10device_ptrIiEEEENSB_INSC_IsEEEESG_sNS9_4plusIvEENS9_8equal_toIvEEsEE10hipError_tPvRmT2_T3_T4_T5_mT6_T7_P12ihipStream_tbENKUlT_T0_E_clISt17integral_constantIbLb1EES10_IbLb0EEEEDaSW_SX_EUlSW_E_NS1_11comp_targetILNS1_3genE10ELNS1_11target_archE1201ELNS1_3gpuE5ELNS1_3repE0EEENS1_30default_config_static_selectorELNS0_4arch9wavefront6targetE0EEEvT1_.uses_flat_scratch, 0
	.set _ZN7rocprim17ROCPRIM_400000_NS6detail17trampoline_kernelINS0_14default_configENS1_27scan_by_key_config_selectorIisEEZZNS1_16scan_by_key_implILNS1_25lookback_scan_determinismE0ELb1ES3_N6thrust23THRUST_200600_302600_NS6detail15normal_iteratorINS9_10device_ptrIiEEEENSB_INSC_IsEEEESG_sNS9_4plusIvEENS9_8equal_toIvEEsEE10hipError_tPvRmT2_T3_T4_T5_mT6_T7_P12ihipStream_tbENKUlT_T0_E_clISt17integral_constantIbLb1EES10_IbLb0EEEEDaSW_SX_EUlSW_E_NS1_11comp_targetILNS1_3genE10ELNS1_11target_archE1201ELNS1_3gpuE5ELNS1_3repE0EEENS1_30default_config_static_selectorELNS0_4arch9wavefront6targetE0EEEvT1_.has_dyn_sized_stack, 0
	.set _ZN7rocprim17ROCPRIM_400000_NS6detail17trampoline_kernelINS0_14default_configENS1_27scan_by_key_config_selectorIisEEZZNS1_16scan_by_key_implILNS1_25lookback_scan_determinismE0ELb1ES3_N6thrust23THRUST_200600_302600_NS6detail15normal_iteratorINS9_10device_ptrIiEEEENSB_INSC_IsEEEESG_sNS9_4plusIvEENS9_8equal_toIvEEsEE10hipError_tPvRmT2_T3_T4_T5_mT6_T7_P12ihipStream_tbENKUlT_T0_E_clISt17integral_constantIbLb1EES10_IbLb0EEEEDaSW_SX_EUlSW_E_NS1_11comp_targetILNS1_3genE10ELNS1_11target_archE1201ELNS1_3gpuE5ELNS1_3repE0EEENS1_30default_config_static_selectorELNS0_4arch9wavefront6targetE0EEEvT1_.has_recursion, 0
	.set _ZN7rocprim17ROCPRIM_400000_NS6detail17trampoline_kernelINS0_14default_configENS1_27scan_by_key_config_selectorIisEEZZNS1_16scan_by_key_implILNS1_25lookback_scan_determinismE0ELb1ES3_N6thrust23THRUST_200600_302600_NS6detail15normal_iteratorINS9_10device_ptrIiEEEENSB_INSC_IsEEEESG_sNS9_4plusIvEENS9_8equal_toIvEEsEE10hipError_tPvRmT2_T3_T4_T5_mT6_T7_P12ihipStream_tbENKUlT_T0_E_clISt17integral_constantIbLb1EES10_IbLb0EEEEDaSW_SX_EUlSW_E_NS1_11comp_targetILNS1_3genE10ELNS1_11target_archE1201ELNS1_3gpuE5ELNS1_3repE0EEENS1_30default_config_static_selectorELNS0_4arch9wavefront6targetE0EEEvT1_.has_indirect_call, 0
	.section	.AMDGPU.csdata,"",@progbits
; Kernel info:
; codeLenInByte = 0
; TotalNumSgprs: 0
; NumVgprs: 0
; ScratchSize: 0
; MemoryBound: 0
; FloatMode: 240
; IeeeMode: 1
; LDSByteSize: 0 bytes/workgroup (compile time only)
; SGPRBlocks: 0
; VGPRBlocks: 0
; NumSGPRsForWavesPerEU: 1
; NumVGPRsForWavesPerEU: 1
; NamedBarCnt: 0
; Occupancy: 16
; WaveLimiterHint : 0
; COMPUTE_PGM_RSRC2:SCRATCH_EN: 0
; COMPUTE_PGM_RSRC2:USER_SGPR: 2
; COMPUTE_PGM_RSRC2:TRAP_HANDLER: 0
; COMPUTE_PGM_RSRC2:TGID_X_EN: 1
; COMPUTE_PGM_RSRC2:TGID_Y_EN: 0
; COMPUTE_PGM_RSRC2:TGID_Z_EN: 0
; COMPUTE_PGM_RSRC2:TIDIG_COMP_CNT: 0
	.section	.text._ZN7rocprim17ROCPRIM_400000_NS6detail17trampoline_kernelINS0_14default_configENS1_27scan_by_key_config_selectorIisEEZZNS1_16scan_by_key_implILNS1_25lookback_scan_determinismE0ELb1ES3_N6thrust23THRUST_200600_302600_NS6detail15normal_iteratorINS9_10device_ptrIiEEEENSB_INSC_IsEEEESG_sNS9_4plusIvEENS9_8equal_toIvEEsEE10hipError_tPvRmT2_T3_T4_T5_mT6_T7_P12ihipStream_tbENKUlT_T0_E_clISt17integral_constantIbLb1EES10_IbLb0EEEEDaSW_SX_EUlSW_E_NS1_11comp_targetILNS1_3genE5ELNS1_11target_archE942ELNS1_3gpuE9ELNS1_3repE0EEENS1_30default_config_static_selectorELNS0_4arch9wavefront6targetE0EEEvT1_,"axG",@progbits,_ZN7rocprim17ROCPRIM_400000_NS6detail17trampoline_kernelINS0_14default_configENS1_27scan_by_key_config_selectorIisEEZZNS1_16scan_by_key_implILNS1_25lookback_scan_determinismE0ELb1ES3_N6thrust23THRUST_200600_302600_NS6detail15normal_iteratorINS9_10device_ptrIiEEEENSB_INSC_IsEEEESG_sNS9_4plusIvEENS9_8equal_toIvEEsEE10hipError_tPvRmT2_T3_T4_T5_mT6_T7_P12ihipStream_tbENKUlT_T0_E_clISt17integral_constantIbLb1EES10_IbLb0EEEEDaSW_SX_EUlSW_E_NS1_11comp_targetILNS1_3genE5ELNS1_11target_archE942ELNS1_3gpuE9ELNS1_3repE0EEENS1_30default_config_static_selectorELNS0_4arch9wavefront6targetE0EEEvT1_,comdat
	.protected	_ZN7rocprim17ROCPRIM_400000_NS6detail17trampoline_kernelINS0_14default_configENS1_27scan_by_key_config_selectorIisEEZZNS1_16scan_by_key_implILNS1_25lookback_scan_determinismE0ELb1ES3_N6thrust23THRUST_200600_302600_NS6detail15normal_iteratorINS9_10device_ptrIiEEEENSB_INSC_IsEEEESG_sNS9_4plusIvEENS9_8equal_toIvEEsEE10hipError_tPvRmT2_T3_T4_T5_mT6_T7_P12ihipStream_tbENKUlT_T0_E_clISt17integral_constantIbLb1EES10_IbLb0EEEEDaSW_SX_EUlSW_E_NS1_11comp_targetILNS1_3genE5ELNS1_11target_archE942ELNS1_3gpuE9ELNS1_3repE0EEENS1_30default_config_static_selectorELNS0_4arch9wavefront6targetE0EEEvT1_ ; -- Begin function _ZN7rocprim17ROCPRIM_400000_NS6detail17trampoline_kernelINS0_14default_configENS1_27scan_by_key_config_selectorIisEEZZNS1_16scan_by_key_implILNS1_25lookback_scan_determinismE0ELb1ES3_N6thrust23THRUST_200600_302600_NS6detail15normal_iteratorINS9_10device_ptrIiEEEENSB_INSC_IsEEEESG_sNS9_4plusIvEENS9_8equal_toIvEEsEE10hipError_tPvRmT2_T3_T4_T5_mT6_T7_P12ihipStream_tbENKUlT_T0_E_clISt17integral_constantIbLb1EES10_IbLb0EEEEDaSW_SX_EUlSW_E_NS1_11comp_targetILNS1_3genE5ELNS1_11target_archE942ELNS1_3gpuE9ELNS1_3repE0EEENS1_30default_config_static_selectorELNS0_4arch9wavefront6targetE0EEEvT1_
	.globl	_ZN7rocprim17ROCPRIM_400000_NS6detail17trampoline_kernelINS0_14default_configENS1_27scan_by_key_config_selectorIisEEZZNS1_16scan_by_key_implILNS1_25lookback_scan_determinismE0ELb1ES3_N6thrust23THRUST_200600_302600_NS6detail15normal_iteratorINS9_10device_ptrIiEEEENSB_INSC_IsEEEESG_sNS9_4plusIvEENS9_8equal_toIvEEsEE10hipError_tPvRmT2_T3_T4_T5_mT6_T7_P12ihipStream_tbENKUlT_T0_E_clISt17integral_constantIbLb1EES10_IbLb0EEEEDaSW_SX_EUlSW_E_NS1_11comp_targetILNS1_3genE5ELNS1_11target_archE942ELNS1_3gpuE9ELNS1_3repE0EEENS1_30default_config_static_selectorELNS0_4arch9wavefront6targetE0EEEvT1_
	.p2align	8
	.type	_ZN7rocprim17ROCPRIM_400000_NS6detail17trampoline_kernelINS0_14default_configENS1_27scan_by_key_config_selectorIisEEZZNS1_16scan_by_key_implILNS1_25lookback_scan_determinismE0ELb1ES3_N6thrust23THRUST_200600_302600_NS6detail15normal_iteratorINS9_10device_ptrIiEEEENSB_INSC_IsEEEESG_sNS9_4plusIvEENS9_8equal_toIvEEsEE10hipError_tPvRmT2_T3_T4_T5_mT6_T7_P12ihipStream_tbENKUlT_T0_E_clISt17integral_constantIbLb1EES10_IbLb0EEEEDaSW_SX_EUlSW_E_NS1_11comp_targetILNS1_3genE5ELNS1_11target_archE942ELNS1_3gpuE9ELNS1_3repE0EEENS1_30default_config_static_selectorELNS0_4arch9wavefront6targetE0EEEvT1_,@function
_ZN7rocprim17ROCPRIM_400000_NS6detail17trampoline_kernelINS0_14default_configENS1_27scan_by_key_config_selectorIisEEZZNS1_16scan_by_key_implILNS1_25lookback_scan_determinismE0ELb1ES3_N6thrust23THRUST_200600_302600_NS6detail15normal_iteratorINS9_10device_ptrIiEEEENSB_INSC_IsEEEESG_sNS9_4plusIvEENS9_8equal_toIvEEsEE10hipError_tPvRmT2_T3_T4_T5_mT6_T7_P12ihipStream_tbENKUlT_T0_E_clISt17integral_constantIbLb1EES10_IbLb0EEEEDaSW_SX_EUlSW_E_NS1_11comp_targetILNS1_3genE5ELNS1_11target_archE942ELNS1_3gpuE9ELNS1_3repE0EEENS1_30default_config_static_selectorELNS0_4arch9wavefront6targetE0EEEvT1_: ; @_ZN7rocprim17ROCPRIM_400000_NS6detail17trampoline_kernelINS0_14default_configENS1_27scan_by_key_config_selectorIisEEZZNS1_16scan_by_key_implILNS1_25lookback_scan_determinismE0ELb1ES3_N6thrust23THRUST_200600_302600_NS6detail15normal_iteratorINS9_10device_ptrIiEEEENSB_INSC_IsEEEESG_sNS9_4plusIvEENS9_8equal_toIvEEsEE10hipError_tPvRmT2_T3_T4_T5_mT6_T7_P12ihipStream_tbENKUlT_T0_E_clISt17integral_constantIbLb1EES10_IbLb0EEEEDaSW_SX_EUlSW_E_NS1_11comp_targetILNS1_3genE5ELNS1_11target_archE942ELNS1_3gpuE9ELNS1_3repE0EEENS1_30default_config_static_selectorELNS0_4arch9wavefront6targetE0EEEvT1_
; %bb.0:
	.section	.rodata,"a",@progbits
	.p2align	6, 0x0
	.amdhsa_kernel _ZN7rocprim17ROCPRIM_400000_NS6detail17trampoline_kernelINS0_14default_configENS1_27scan_by_key_config_selectorIisEEZZNS1_16scan_by_key_implILNS1_25lookback_scan_determinismE0ELb1ES3_N6thrust23THRUST_200600_302600_NS6detail15normal_iteratorINS9_10device_ptrIiEEEENSB_INSC_IsEEEESG_sNS9_4plusIvEENS9_8equal_toIvEEsEE10hipError_tPvRmT2_T3_T4_T5_mT6_T7_P12ihipStream_tbENKUlT_T0_E_clISt17integral_constantIbLb1EES10_IbLb0EEEEDaSW_SX_EUlSW_E_NS1_11comp_targetILNS1_3genE5ELNS1_11target_archE942ELNS1_3gpuE9ELNS1_3repE0EEENS1_30default_config_static_selectorELNS0_4arch9wavefront6targetE0EEEvT1_
		.amdhsa_group_segment_fixed_size 0
		.amdhsa_private_segment_fixed_size 0
		.amdhsa_kernarg_size 112
		.amdhsa_user_sgpr_count 2
		.amdhsa_user_sgpr_dispatch_ptr 0
		.amdhsa_user_sgpr_queue_ptr 0
		.amdhsa_user_sgpr_kernarg_segment_ptr 1
		.amdhsa_user_sgpr_dispatch_id 0
		.amdhsa_user_sgpr_kernarg_preload_length 0
		.amdhsa_user_sgpr_kernarg_preload_offset 0
		.amdhsa_user_sgpr_private_segment_size 0
		.amdhsa_wavefront_size32 1
		.amdhsa_uses_dynamic_stack 0
		.amdhsa_enable_private_segment 0
		.amdhsa_system_sgpr_workgroup_id_x 1
		.amdhsa_system_sgpr_workgroup_id_y 0
		.amdhsa_system_sgpr_workgroup_id_z 0
		.amdhsa_system_sgpr_workgroup_info 0
		.amdhsa_system_vgpr_workitem_id 0
		.amdhsa_next_free_vgpr 1
		.amdhsa_next_free_sgpr 1
		.amdhsa_named_barrier_count 0
		.amdhsa_reserve_vcc 0
		.amdhsa_float_round_mode_32 0
		.amdhsa_float_round_mode_16_64 0
		.amdhsa_float_denorm_mode_32 3
		.amdhsa_float_denorm_mode_16_64 3
		.amdhsa_fp16_overflow 0
		.amdhsa_memory_ordered 1
		.amdhsa_forward_progress 1
		.amdhsa_inst_pref_size 0
		.amdhsa_round_robin_scheduling 0
		.amdhsa_exception_fp_ieee_invalid_op 0
		.amdhsa_exception_fp_denorm_src 0
		.amdhsa_exception_fp_ieee_div_zero 0
		.amdhsa_exception_fp_ieee_overflow 0
		.amdhsa_exception_fp_ieee_underflow 0
		.amdhsa_exception_fp_ieee_inexact 0
		.amdhsa_exception_int_div_zero 0
	.end_amdhsa_kernel
	.section	.text._ZN7rocprim17ROCPRIM_400000_NS6detail17trampoline_kernelINS0_14default_configENS1_27scan_by_key_config_selectorIisEEZZNS1_16scan_by_key_implILNS1_25lookback_scan_determinismE0ELb1ES3_N6thrust23THRUST_200600_302600_NS6detail15normal_iteratorINS9_10device_ptrIiEEEENSB_INSC_IsEEEESG_sNS9_4plusIvEENS9_8equal_toIvEEsEE10hipError_tPvRmT2_T3_T4_T5_mT6_T7_P12ihipStream_tbENKUlT_T0_E_clISt17integral_constantIbLb1EES10_IbLb0EEEEDaSW_SX_EUlSW_E_NS1_11comp_targetILNS1_3genE5ELNS1_11target_archE942ELNS1_3gpuE9ELNS1_3repE0EEENS1_30default_config_static_selectorELNS0_4arch9wavefront6targetE0EEEvT1_,"axG",@progbits,_ZN7rocprim17ROCPRIM_400000_NS6detail17trampoline_kernelINS0_14default_configENS1_27scan_by_key_config_selectorIisEEZZNS1_16scan_by_key_implILNS1_25lookback_scan_determinismE0ELb1ES3_N6thrust23THRUST_200600_302600_NS6detail15normal_iteratorINS9_10device_ptrIiEEEENSB_INSC_IsEEEESG_sNS9_4plusIvEENS9_8equal_toIvEEsEE10hipError_tPvRmT2_T3_T4_T5_mT6_T7_P12ihipStream_tbENKUlT_T0_E_clISt17integral_constantIbLb1EES10_IbLb0EEEEDaSW_SX_EUlSW_E_NS1_11comp_targetILNS1_3genE5ELNS1_11target_archE942ELNS1_3gpuE9ELNS1_3repE0EEENS1_30default_config_static_selectorELNS0_4arch9wavefront6targetE0EEEvT1_,comdat
.Lfunc_end1627:
	.size	_ZN7rocprim17ROCPRIM_400000_NS6detail17trampoline_kernelINS0_14default_configENS1_27scan_by_key_config_selectorIisEEZZNS1_16scan_by_key_implILNS1_25lookback_scan_determinismE0ELb1ES3_N6thrust23THRUST_200600_302600_NS6detail15normal_iteratorINS9_10device_ptrIiEEEENSB_INSC_IsEEEESG_sNS9_4plusIvEENS9_8equal_toIvEEsEE10hipError_tPvRmT2_T3_T4_T5_mT6_T7_P12ihipStream_tbENKUlT_T0_E_clISt17integral_constantIbLb1EES10_IbLb0EEEEDaSW_SX_EUlSW_E_NS1_11comp_targetILNS1_3genE5ELNS1_11target_archE942ELNS1_3gpuE9ELNS1_3repE0EEENS1_30default_config_static_selectorELNS0_4arch9wavefront6targetE0EEEvT1_, .Lfunc_end1627-_ZN7rocprim17ROCPRIM_400000_NS6detail17trampoline_kernelINS0_14default_configENS1_27scan_by_key_config_selectorIisEEZZNS1_16scan_by_key_implILNS1_25lookback_scan_determinismE0ELb1ES3_N6thrust23THRUST_200600_302600_NS6detail15normal_iteratorINS9_10device_ptrIiEEEENSB_INSC_IsEEEESG_sNS9_4plusIvEENS9_8equal_toIvEEsEE10hipError_tPvRmT2_T3_T4_T5_mT6_T7_P12ihipStream_tbENKUlT_T0_E_clISt17integral_constantIbLb1EES10_IbLb0EEEEDaSW_SX_EUlSW_E_NS1_11comp_targetILNS1_3genE5ELNS1_11target_archE942ELNS1_3gpuE9ELNS1_3repE0EEENS1_30default_config_static_selectorELNS0_4arch9wavefront6targetE0EEEvT1_
                                        ; -- End function
	.set _ZN7rocprim17ROCPRIM_400000_NS6detail17trampoline_kernelINS0_14default_configENS1_27scan_by_key_config_selectorIisEEZZNS1_16scan_by_key_implILNS1_25lookback_scan_determinismE0ELb1ES3_N6thrust23THRUST_200600_302600_NS6detail15normal_iteratorINS9_10device_ptrIiEEEENSB_INSC_IsEEEESG_sNS9_4plusIvEENS9_8equal_toIvEEsEE10hipError_tPvRmT2_T3_T4_T5_mT6_T7_P12ihipStream_tbENKUlT_T0_E_clISt17integral_constantIbLb1EES10_IbLb0EEEEDaSW_SX_EUlSW_E_NS1_11comp_targetILNS1_3genE5ELNS1_11target_archE942ELNS1_3gpuE9ELNS1_3repE0EEENS1_30default_config_static_selectorELNS0_4arch9wavefront6targetE0EEEvT1_.num_vgpr, 0
	.set _ZN7rocprim17ROCPRIM_400000_NS6detail17trampoline_kernelINS0_14default_configENS1_27scan_by_key_config_selectorIisEEZZNS1_16scan_by_key_implILNS1_25lookback_scan_determinismE0ELb1ES3_N6thrust23THRUST_200600_302600_NS6detail15normal_iteratorINS9_10device_ptrIiEEEENSB_INSC_IsEEEESG_sNS9_4plusIvEENS9_8equal_toIvEEsEE10hipError_tPvRmT2_T3_T4_T5_mT6_T7_P12ihipStream_tbENKUlT_T0_E_clISt17integral_constantIbLb1EES10_IbLb0EEEEDaSW_SX_EUlSW_E_NS1_11comp_targetILNS1_3genE5ELNS1_11target_archE942ELNS1_3gpuE9ELNS1_3repE0EEENS1_30default_config_static_selectorELNS0_4arch9wavefront6targetE0EEEvT1_.num_agpr, 0
	.set _ZN7rocprim17ROCPRIM_400000_NS6detail17trampoline_kernelINS0_14default_configENS1_27scan_by_key_config_selectorIisEEZZNS1_16scan_by_key_implILNS1_25lookback_scan_determinismE0ELb1ES3_N6thrust23THRUST_200600_302600_NS6detail15normal_iteratorINS9_10device_ptrIiEEEENSB_INSC_IsEEEESG_sNS9_4plusIvEENS9_8equal_toIvEEsEE10hipError_tPvRmT2_T3_T4_T5_mT6_T7_P12ihipStream_tbENKUlT_T0_E_clISt17integral_constantIbLb1EES10_IbLb0EEEEDaSW_SX_EUlSW_E_NS1_11comp_targetILNS1_3genE5ELNS1_11target_archE942ELNS1_3gpuE9ELNS1_3repE0EEENS1_30default_config_static_selectorELNS0_4arch9wavefront6targetE0EEEvT1_.numbered_sgpr, 0
	.set _ZN7rocprim17ROCPRIM_400000_NS6detail17trampoline_kernelINS0_14default_configENS1_27scan_by_key_config_selectorIisEEZZNS1_16scan_by_key_implILNS1_25lookback_scan_determinismE0ELb1ES3_N6thrust23THRUST_200600_302600_NS6detail15normal_iteratorINS9_10device_ptrIiEEEENSB_INSC_IsEEEESG_sNS9_4plusIvEENS9_8equal_toIvEEsEE10hipError_tPvRmT2_T3_T4_T5_mT6_T7_P12ihipStream_tbENKUlT_T0_E_clISt17integral_constantIbLb1EES10_IbLb0EEEEDaSW_SX_EUlSW_E_NS1_11comp_targetILNS1_3genE5ELNS1_11target_archE942ELNS1_3gpuE9ELNS1_3repE0EEENS1_30default_config_static_selectorELNS0_4arch9wavefront6targetE0EEEvT1_.num_named_barrier, 0
	.set _ZN7rocprim17ROCPRIM_400000_NS6detail17trampoline_kernelINS0_14default_configENS1_27scan_by_key_config_selectorIisEEZZNS1_16scan_by_key_implILNS1_25lookback_scan_determinismE0ELb1ES3_N6thrust23THRUST_200600_302600_NS6detail15normal_iteratorINS9_10device_ptrIiEEEENSB_INSC_IsEEEESG_sNS9_4plusIvEENS9_8equal_toIvEEsEE10hipError_tPvRmT2_T3_T4_T5_mT6_T7_P12ihipStream_tbENKUlT_T0_E_clISt17integral_constantIbLb1EES10_IbLb0EEEEDaSW_SX_EUlSW_E_NS1_11comp_targetILNS1_3genE5ELNS1_11target_archE942ELNS1_3gpuE9ELNS1_3repE0EEENS1_30default_config_static_selectorELNS0_4arch9wavefront6targetE0EEEvT1_.private_seg_size, 0
	.set _ZN7rocprim17ROCPRIM_400000_NS6detail17trampoline_kernelINS0_14default_configENS1_27scan_by_key_config_selectorIisEEZZNS1_16scan_by_key_implILNS1_25lookback_scan_determinismE0ELb1ES3_N6thrust23THRUST_200600_302600_NS6detail15normal_iteratorINS9_10device_ptrIiEEEENSB_INSC_IsEEEESG_sNS9_4plusIvEENS9_8equal_toIvEEsEE10hipError_tPvRmT2_T3_T4_T5_mT6_T7_P12ihipStream_tbENKUlT_T0_E_clISt17integral_constantIbLb1EES10_IbLb0EEEEDaSW_SX_EUlSW_E_NS1_11comp_targetILNS1_3genE5ELNS1_11target_archE942ELNS1_3gpuE9ELNS1_3repE0EEENS1_30default_config_static_selectorELNS0_4arch9wavefront6targetE0EEEvT1_.uses_vcc, 0
	.set _ZN7rocprim17ROCPRIM_400000_NS6detail17trampoline_kernelINS0_14default_configENS1_27scan_by_key_config_selectorIisEEZZNS1_16scan_by_key_implILNS1_25lookback_scan_determinismE0ELb1ES3_N6thrust23THRUST_200600_302600_NS6detail15normal_iteratorINS9_10device_ptrIiEEEENSB_INSC_IsEEEESG_sNS9_4plusIvEENS9_8equal_toIvEEsEE10hipError_tPvRmT2_T3_T4_T5_mT6_T7_P12ihipStream_tbENKUlT_T0_E_clISt17integral_constantIbLb1EES10_IbLb0EEEEDaSW_SX_EUlSW_E_NS1_11comp_targetILNS1_3genE5ELNS1_11target_archE942ELNS1_3gpuE9ELNS1_3repE0EEENS1_30default_config_static_selectorELNS0_4arch9wavefront6targetE0EEEvT1_.uses_flat_scratch, 0
	.set _ZN7rocprim17ROCPRIM_400000_NS6detail17trampoline_kernelINS0_14default_configENS1_27scan_by_key_config_selectorIisEEZZNS1_16scan_by_key_implILNS1_25lookback_scan_determinismE0ELb1ES3_N6thrust23THRUST_200600_302600_NS6detail15normal_iteratorINS9_10device_ptrIiEEEENSB_INSC_IsEEEESG_sNS9_4plusIvEENS9_8equal_toIvEEsEE10hipError_tPvRmT2_T3_T4_T5_mT6_T7_P12ihipStream_tbENKUlT_T0_E_clISt17integral_constantIbLb1EES10_IbLb0EEEEDaSW_SX_EUlSW_E_NS1_11comp_targetILNS1_3genE5ELNS1_11target_archE942ELNS1_3gpuE9ELNS1_3repE0EEENS1_30default_config_static_selectorELNS0_4arch9wavefront6targetE0EEEvT1_.has_dyn_sized_stack, 0
	.set _ZN7rocprim17ROCPRIM_400000_NS6detail17trampoline_kernelINS0_14default_configENS1_27scan_by_key_config_selectorIisEEZZNS1_16scan_by_key_implILNS1_25lookback_scan_determinismE0ELb1ES3_N6thrust23THRUST_200600_302600_NS6detail15normal_iteratorINS9_10device_ptrIiEEEENSB_INSC_IsEEEESG_sNS9_4plusIvEENS9_8equal_toIvEEsEE10hipError_tPvRmT2_T3_T4_T5_mT6_T7_P12ihipStream_tbENKUlT_T0_E_clISt17integral_constantIbLb1EES10_IbLb0EEEEDaSW_SX_EUlSW_E_NS1_11comp_targetILNS1_3genE5ELNS1_11target_archE942ELNS1_3gpuE9ELNS1_3repE0EEENS1_30default_config_static_selectorELNS0_4arch9wavefront6targetE0EEEvT1_.has_recursion, 0
	.set _ZN7rocprim17ROCPRIM_400000_NS6detail17trampoline_kernelINS0_14default_configENS1_27scan_by_key_config_selectorIisEEZZNS1_16scan_by_key_implILNS1_25lookback_scan_determinismE0ELb1ES3_N6thrust23THRUST_200600_302600_NS6detail15normal_iteratorINS9_10device_ptrIiEEEENSB_INSC_IsEEEESG_sNS9_4plusIvEENS9_8equal_toIvEEsEE10hipError_tPvRmT2_T3_T4_T5_mT6_T7_P12ihipStream_tbENKUlT_T0_E_clISt17integral_constantIbLb1EES10_IbLb0EEEEDaSW_SX_EUlSW_E_NS1_11comp_targetILNS1_3genE5ELNS1_11target_archE942ELNS1_3gpuE9ELNS1_3repE0EEENS1_30default_config_static_selectorELNS0_4arch9wavefront6targetE0EEEvT1_.has_indirect_call, 0
	.section	.AMDGPU.csdata,"",@progbits
; Kernel info:
; codeLenInByte = 0
; TotalNumSgprs: 0
; NumVgprs: 0
; ScratchSize: 0
; MemoryBound: 0
; FloatMode: 240
; IeeeMode: 1
; LDSByteSize: 0 bytes/workgroup (compile time only)
; SGPRBlocks: 0
; VGPRBlocks: 0
; NumSGPRsForWavesPerEU: 1
; NumVGPRsForWavesPerEU: 1
; NamedBarCnt: 0
; Occupancy: 16
; WaveLimiterHint : 0
; COMPUTE_PGM_RSRC2:SCRATCH_EN: 0
; COMPUTE_PGM_RSRC2:USER_SGPR: 2
; COMPUTE_PGM_RSRC2:TRAP_HANDLER: 0
; COMPUTE_PGM_RSRC2:TGID_X_EN: 1
; COMPUTE_PGM_RSRC2:TGID_Y_EN: 0
; COMPUTE_PGM_RSRC2:TGID_Z_EN: 0
; COMPUTE_PGM_RSRC2:TIDIG_COMP_CNT: 0
	.section	.text._ZN7rocprim17ROCPRIM_400000_NS6detail17trampoline_kernelINS0_14default_configENS1_27scan_by_key_config_selectorIisEEZZNS1_16scan_by_key_implILNS1_25lookback_scan_determinismE0ELb1ES3_N6thrust23THRUST_200600_302600_NS6detail15normal_iteratorINS9_10device_ptrIiEEEENSB_INSC_IsEEEESG_sNS9_4plusIvEENS9_8equal_toIvEEsEE10hipError_tPvRmT2_T3_T4_T5_mT6_T7_P12ihipStream_tbENKUlT_T0_E_clISt17integral_constantIbLb1EES10_IbLb0EEEEDaSW_SX_EUlSW_E_NS1_11comp_targetILNS1_3genE4ELNS1_11target_archE910ELNS1_3gpuE8ELNS1_3repE0EEENS1_30default_config_static_selectorELNS0_4arch9wavefront6targetE0EEEvT1_,"axG",@progbits,_ZN7rocprim17ROCPRIM_400000_NS6detail17trampoline_kernelINS0_14default_configENS1_27scan_by_key_config_selectorIisEEZZNS1_16scan_by_key_implILNS1_25lookback_scan_determinismE0ELb1ES3_N6thrust23THRUST_200600_302600_NS6detail15normal_iteratorINS9_10device_ptrIiEEEENSB_INSC_IsEEEESG_sNS9_4plusIvEENS9_8equal_toIvEEsEE10hipError_tPvRmT2_T3_T4_T5_mT6_T7_P12ihipStream_tbENKUlT_T0_E_clISt17integral_constantIbLb1EES10_IbLb0EEEEDaSW_SX_EUlSW_E_NS1_11comp_targetILNS1_3genE4ELNS1_11target_archE910ELNS1_3gpuE8ELNS1_3repE0EEENS1_30default_config_static_selectorELNS0_4arch9wavefront6targetE0EEEvT1_,comdat
	.protected	_ZN7rocprim17ROCPRIM_400000_NS6detail17trampoline_kernelINS0_14default_configENS1_27scan_by_key_config_selectorIisEEZZNS1_16scan_by_key_implILNS1_25lookback_scan_determinismE0ELb1ES3_N6thrust23THRUST_200600_302600_NS6detail15normal_iteratorINS9_10device_ptrIiEEEENSB_INSC_IsEEEESG_sNS9_4plusIvEENS9_8equal_toIvEEsEE10hipError_tPvRmT2_T3_T4_T5_mT6_T7_P12ihipStream_tbENKUlT_T0_E_clISt17integral_constantIbLb1EES10_IbLb0EEEEDaSW_SX_EUlSW_E_NS1_11comp_targetILNS1_3genE4ELNS1_11target_archE910ELNS1_3gpuE8ELNS1_3repE0EEENS1_30default_config_static_selectorELNS0_4arch9wavefront6targetE0EEEvT1_ ; -- Begin function _ZN7rocprim17ROCPRIM_400000_NS6detail17trampoline_kernelINS0_14default_configENS1_27scan_by_key_config_selectorIisEEZZNS1_16scan_by_key_implILNS1_25lookback_scan_determinismE0ELb1ES3_N6thrust23THRUST_200600_302600_NS6detail15normal_iteratorINS9_10device_ptrIiEEEENSB_INSC_IsEEEESG_sNS9_4plusIvEENS9_8equal_toIvEEsEE10hipError_tPvRmT2_T3_T4_T5_mT6_T7_P12ihipStream_tbENKUlT_T0_E_clISt17integral_constantIbLb1EES10_IbLb0EEEEDaSW_SX_EUlSW_E_NS1_11comp_targetILNS1_3genE4ELNS1_11target_archE910ELNS1_3gpuE8ELNS1_3repE0EEENS1_30default_config_static_selectorELNS0_4arch9wavefront6targetE0EEEvT1_
	.globl	_ZN7rocprim17ROCPRIM_400000_NS6detail17trampoline_kernelINS0_14default_configENS1_27scan_by_key_config_selectorIisEEZZNS1_16scan_by_key_implILNS1_25lookback_scan_determinismE0ELb1ES3_N6thrust23THRUST_200600_302600_NS6detail15normal_iteratorINS9_10device_ptrIiEEEENSB_INSC_IsEEEESG_sNS9_4plusIvEENS9_8equal_toIvEEsEE10hipError_tPvRmT2_T3_T4_T5_mT6_T7_P12ihipStream_tbENKUlT_T0_E_clISt17integral_constantIbLb1EES10_IbLb0EEEEDaSW_SX_EUlSW_E_NS1_11comp_targetILNS1_3genE4ELNS1_11target_archE910ELNS1_3gpuE8ELNS1_3repE0EEENS1_30default_config_static_selectorELNS0_4arch9wavefront6targetE0EEEvT1_
	.p2align	8
	.type	_ZN7rocprim17ROCPRIM_400000_NS6detail17trampoline_kernelINS0_14default_configENS1_27scan_by_key_config_selectorIisEEZZNS1_16scan_by_key_implILNS1_25lookback_scan_determinismE0ELb1ES3_N6thrust23THRUST_200600_302600_NS6detail15normal_iteratorINS9_10device_ptrIiEEEENSB_INSC_IsEEEESG_sNS9_4plusIvEENS9_8equal_toIvEEsEE10hipError_tPvRmT2_T3_T4_T5_mT6_T7_P12ihipStream_tbENKUlT_T0_E_clISt17integral_constantIbLb1EES10_IbLb0EEEEDaSW_SX_EUlSW_E_NS1_11comp_targetILNS1_3genE4ELNS1_11target_archE910ELNS1_3gpuE8ELNS1_3repE0EEENS1_30default_config_static_selectorELNS0_4arch9wavefront6targetE0EEEvT1_,@function
_ZN7rocprim17ROCPRIM_400000_NS6detail17trampoline_kernelINS0_14default_configENS1_27scan_by_key_config_selectorIisEEZZNS1_16scan_by_key_implILNS1_25lookback_scan_determinismE0ELb1ES3_N6thrust23THRUST_200600_302600_NS6detail15normal_iteratorINS9_10device_ptrIiEEEENSB_INSC_IsEEEESG_sNS9_4plusIvEENS9_8equal_toIvEEsEE10hipError_tPvRmT2_T3_T4_T5_mT6_T7_P12ihipStream_tbENKUlT_T0_E_clISt17integral_constantIbLb1EES10_IbLb0EEEEDaSW_SX_EUlSW_E_NS1_11comp_targetILNS1_3genE4ELNS1_11target_archE910ELNS1_3gpuE8ELNS1_3repE0EEENS1_30default_config_static_selectorELNS0_4arch9wavefront6targetE0EEEvT1_: ; @_ZN7rocprim17ROCPRIM_400000_NS6detail17trampoline_kernelINS0_14default_configENS1_27scan_by_key_config_selectorIisEEZZNS1_16scan_by_key_implILNS1_25lookback_scan_determinismE0ELb1ES3_N6thrust23THRUST_200600_302600_NS6detail15normal_iteratorINS9_10device_ptrIiEEEENSB_INSC_IsEEEESG_sNS9_4plusIvEENS9_8equal_toIvEEsEE10hipError_tPvRmT2_T3_T4_T5_mT6_T7_P12ihipStream_tbENKUlT_T0_E_clISt17integral_constantIbLb1EES10_IbLb0EEEEDaSW_SX_EUlSW_E_NS1_11comp_targetILNS1_3genE4ELNS1_11target_archE910ELNS1_3gpuE8ELNS1_3repE0EEENS1_30default_config_static_selectorELNS0_4arch9wavefront6targetE0EEEvT1_
; %bb.0:
	.section	.rodata,"a",@progbits
	.p2align	6, 0x0
	.amdhsa_kernel _ZN7rocprim17ROCPRIM_400000_NS6detail17trampoline_kernelINS0_14default_configENS1_27scan_by_key_config_selectorIisEEZZNS1_16scan_by_key_implILNS1_25lookback_scan_determinismE0ELb1ES3_N6thrust23THRUST_200600_302600_NS6detail15normal_iteratorINS9_10device_ptrIiEEEENSB_INSC_IsEEEESG_sNS9_4plusIvEENS9_8equal_toIvEEsEE10hipError_tPvRmT2_T3_T4_T5_mT6_T7_P12ihipStream_tbENKUlT_T0_E_clISt17integral_constantIbLb1EES10_IbLb0EEEEDaSW_SX_EUlSW_E_NS1_11comp_targetILNS1_3genE4ELNS1_11target_archE910ELNS1_3gpuE8ELNS1_3repE0EEENS1_30default_config_static_selectorELNS0_4arch9wavefront6targetE0EEEvT1_
		.amdhsa_group_segment_fixed_size 0
		.amdhsa_private_segment_fixed_size 0
		.amdhsa_kernarg_size 112
		.amdhsa_user_sgpr_count 2
		.amdhsa_user_sgpr_dispatch_ptr 0
		.amdhsa_user_sgpr_queue_ptr 0
		.amdhsa_user_sgpr_kernarg_segment_ptr 1
		.amdhsa_user_sgpr_dispatch_id 0
		.amdhsa_user_sgpr_kernarg_preload_length 0
		.amdhsa_user_sgpr_kernarg_preload_offset 0
		.amdhsa_user_sgpr_private_segment_size 0
		.amdhsa_wavefront_size32 1
		.amdhsa_uses_dynamic_stack 0
		.amdhsa_enable_private_segment 0
		.amdhsa_system_sgpr_workgroup_id_x 1
		.amdhsa_system_sgpr_workgroup_id_y 0
		.amdhsa_system_sgpr_workgroup_id_z 0
		.amdhsa_system_sgpr_workgroup_info 0
		.amdhsa_system_vgpr_workitem_id 0
		.amdhsa_next_free_vgpr 1
		.amdhsa_next_free_sgpr 1
		.amdhsa_named_barrier_count 0
		.amdhsa_reserve_vcc 0
		.amdhsa_float_round_mode_32 0
		.amdhsa_float_round_mode_16_64 0
		.amdhsa_float_denorm_mode_32 3
		.amdhsa_float_denorm_mode_16_64 3
		.amdhsa_fp16_overflow 0
		.amdhsa_memory_ordered 1
		.amdhsa_forward_progress 1
		.amdhsa_inst_pref_size 0
		.amdhsa_round_robin_scheduling 0
		.amdhsa_exception_fp_ieee_invalid_op 0
		.amdhsa_exception_fp_denorm_src 0
		.amdhsa_exception_fp_ieee_div_zero 0
		.amdhsa_exception_fp_ieee_overflow 0
		.amdhsa_exception_fp_ieee_underflow 0
		.amdhsa_exception_fp_ieee_inexact 0
		.amdhsa_exception_int_div_zero 0
	.end_amdhsa_kernel
	.section	.text._ZN7rocprim17ROCPRIM_400000_NS6detail17trampoline_kernelINS0_14default_configENS1_27scan_by_key_config_selectorIisEEZZNS1_16scan_by_key_implILNS1_25lookback_scan_determinismE0ELb1ES3_N6thrust23THRUST_200600_302600_NS6detail15normal_iteratorINS9_10device_ptrIiEEEENSB_INSC_IsEEEESG_sNS9_4plusIvEENS9_8equal_toIvEEsEE10hipError_tPvRmT2_T3_T4_T5_mT6_T7_P12ihipStream_tbENKUlT_T0_E_clISt17integral_constantIbLb1EES10_IbLb0EEEEDaSW_SX_EUlSW_E_NS1_11comp_targetILNS1_3genE4ELNS1_11target_archE910ELNS1_3gpuE8ELNS1_3repE0EEENS1_30default_config_static_selectorELNS0_4arch9wavefront6targetE0EEEvT1_,"axG",@progbits,_ZN7rocprim17ROCPRIM_400000_NS6detail17trampoline_kernelINS0_14default_configENS1_27scan_by_key_config_selectorIisEEZZNS1_16scan_by_key_implILNS1_25lookback_scan_determinismE0ELb1ES3_N6thrust23THRUST_200600_302600_NS6detail15normal_iteratorINS9_10device_ptrIiEEEENSB_INSC_IsEEEESG_sNS9_4plusIvEENS9_8equal_toIvEEsEE10hipError_tPvRmT2_T3_T4_T5_mT6_T7_P12ihipStream_tbENKUlT_T0_E_clISt17integral_constantIbLb1EES10_IbLb0EEEEDaSW_SX_EUlSW_E_NS1_11comp_targetILNS1_3genE4ELNS1_11target_archE910ELNS1_3gpuE8ELNS1_3repE0EEENS1_30default_config_static_selectorELNS0_4arch9wavefront6targetE0EEEvT1_,comdat
.Lfunc_end1628:
	.size	_ZN7rocprim17ROCPRIM_400000_NS6detail17trampoline_kernelINS0_14default_configENS1_27scan_by_key_config_selectorIisEEZZNS1_16scan_by_key_implILNS1_25lookback_scan_determinismE0ELb1ES3_N6thrust23THRUST_200600_302600_NS6detail15normal_iteratorINS9_10device_ptrIiEEEENSB_INSC_IsEEEESG_sNS9_4plusIvEENS9_8equal_toIvEEsEE10hipError_tPvRmT2_T3_T4_T5_mT6_T7_P12ihipStream_tbENKUlT_T0_E_clISt17integral_constantIbLb1EES10_IbLb0EEEEDaSW_SX_EUlSW_E_NS1_11comp_targetILNS1_3genE4ELNS1_11target_archE910ELNS1_3gpuE8ELNS1_3repE0EEENS1_30default_config_static_selectorELNS0_4arch9wavefront6targetE0EEEvT1_, .Lfunc_end1628-_ZN7rocprim17ROCPRIM_400000_NS6detail17trampoline_kernelINS0_14default_configENS1_27scan_by_key_config_selectorIisEEZZNS1_16scan_by_key_implILNS1_25lookback_scan_determinismE0ELb1ES3_N6thrust23THRUST_200600_302600_NS6detail15normal_iteratorINS9_10device_ptrIiEEEENSB_INSC_IsEEEESG_sNS9_4plusIvEENS9_8equal_toIvEEsEE10hipError_tPvRmT2_T3_T4_T5_mT6_T7_P12ihipStream_tbENKUlT_T0_E_clISt17integral_constantIbLb1EES10_IbLb0EEEEDaSW_SX_EUlSW_E_NS1_11comp_targetILNS1_3genE4ELNS1_11target_archE910ELNS1_3gpuE8ELNS1_3repE0EEENS1_30default_config_static_selectorELNS0_4arch9wavefront6targetE0EEEvT1_
                                        ; -- End function
	.set _ZN7rocprim17ROCPRIM_400000_NS6detail17trampoline_kernelINS0_14default_configENS1_27scan_by_key_config_selectorIisEEZZNS1_16scan_by_key_implILNS1_25lookback_scan_determinismE0ELb1ES3_N6thrust23THRUST_200600_302600_NS6detail15normal_iteratorINS9_10device_ptrIiEEEENSB_INSC_IsEEEESG_sNS9_4plusIvEENS9_8equal_toIvEEsEE10hipError_tPvRmT2_T3_T4_T5_mT6_T7_P12ihipStream_tbENKUlT_T0_E_clISt17integral_constantIbLb1EES10_IbLb0EEEEDaSW_SX_EUlSW_E_NS1_11comp_targetILNS1_3genE4ELNS1_11target_archE910ELNS1_3gpuE8ELNS1_3repE0EEENS1_30default_config_static_selectorELNS0_4arch9wavefront6targetE0EEEvT1_.num_vgpr, 0
	.set _ZN7rocprim17ROCPRIM_400000_NS6detail17trampoline_kernelINS0_14default_configENS1_27scan_by_key_config_selectorIisEEZZNS1_16scan_by_key_implILNS1_25lookback_scan_determinismE0ELb1ES3_N6thrust23THRUST_200600_302600_NS6detail15normal_iteratorINS9_10device_ptrIiEEEENSB_INSC_IsEEEESG_sNS9_4plusIvEENS9_8equal_toIvEEsEE10hipError_tPvRmT2_T3_T4_T5_mT6_T7_P12ihipStream_tbENKUlT_T0_E_clISt17integral_constantIbLb1EES10_IbLb0EEEEDaSW_SX_EUlSW_E_NS1_11comp_targetILNS1_3genE4ELNS1_11target_archE910ELNS1_3gpuE8ELNS1_3repE0EEENS1_30default_config_static_selectorELNS0_4arch9wavefront6targetE0EEEvT1_.num_agpr, 0
	.set _ZN7rocprim17ROCPRIM_400000_NS6detail17trampoline_kernelINS0_14default_configENS1_27scan_by_key_config_selectorIisEEZZNS1_16scan_by_key_implILNS1_25lookback_scan_determinismE0ELb1ES3_N6thrust23THRUST_200600_302600_NS6detail15normal_iteratorINS9_10device_ptrIiEEEENSB_INSC_IsEEEESG_sNS9_4plusIvEENS9_8equal_toIvEEsEE10hipError_tPvRmT2_T3_T4_T5_mT6_T7_P12ihipStream_tbENKUlT_T0_E_clISt17integral_constantIbLb1EES10_IbLb0EEEEDaSW_SX_EUlSW_E_NS1_11comp_targetILNS1_3genE4ELNS1_11target_archE910ELNS1_3gpuE8ELNS1_3repE0EEENS1_30default_config_static_selectorELNS0_4arch9wavefront6targetE0EEEvT1_.numbered_sgpr, 0
	.set _ZN7rocprim17ROCPRIM_400000_NS6detail17trampoline_kernelINS0_14default_configENS1_27scan_by_key_config_selectorIisEEZZNS1_16scan_by_key_implILNS1_25lookback_scan_determinismE0ELb1ES3_N6thrust23THRUST_200600_302600_NS6detail15normal_iteratorINS9_10device_ptrIiEEEENSB_INSC_IsEEEESG_sNS9_4plusIvEENS9_8equal_toIvEEsEE10hipError_tPvRmT2_T3_T4_T5_mT6_T7_P12ihipStream_tbENKUlT_T0_E_clISt17integral_constantIbLb1EES10_IbLb0EEEEDaSW_SX_EUlSW_E_NS1_11comp_targetILNS1_3genE4ELNS1_11target_archE910ELNS1_3gpuE8ELNS1_3repE0EEENS1_30default_config_static_selectorELNS0_4arch9wavefront6targetE0EEEvT1_.num_named_barrier, 0
	.set _ZN7rocprim17ROCPRIM_400000_NS6detail17trampoline_kernelINS0_14default_configENS1_27scan_by_key_config_selectorIisEEZZNS1_16scan_by_key_implILNS1_25lookback_scan_determinismE0ELb1ES3_N6thrust23THRUST_200600_302600_NS6detail15normal_iteratorINS9_10device_ptrIiEEEENSB_INSC_IsEEEESG_sNS9_4plusIvEENS9_8equal_toIvEEsEE10hipError_tPvRmT2_T3_T4_T5_mT6_T7_P12ihipStream_tbENKUlT_T0_E_clISt17integral_constantIbLb1EES10_IbLb0EEEEDaSW_SX_EUlSW_E_NS1_11comp_targetILNS1_3genE4ELNS1_11target_archE910ELNS1_3gpuE8ELNS1_3repE0EEENS1_30default_config_static_selectorELNS0_4arch9wavefront6targetE0EEEvT1_.private_seg_size, 0
	.set _ZN7rocprim17ROCPRIM_400000_NS6detail17trampoline_kernelINS0_14default_configENS1_27scan_by_key_config_selectorIisEEZZNS1_16scan_by_key_implILNS1_25lookback_scan_determinismE0ELb1ES3_N6thrust23THRUST_200600_302600_NS6detail15normal_iteratorINS9_10device_ptrIiEEEENSB_INSC_IsEEEESG_sNS9_4plusIvEENS9_8equal_toIvEEsEE10hipError_tPvRmT2_T3_T4_T5_mT6_T7_P12ihipStream_tbENKUlT_T0_E_clISt17integral_constantIbLb1EES10_IbLb0EEEEDaSW_SX_EUlSW_E_NS1_11comp_targetILNS1_3genE4ELNS1_11target_archE910ELNS1_3gpuE8ELNS1_3repE0EEENS1_30default_config_static_selectorELNS0_4arch9wavefront6targetE0EEEvT1_.uses_vcc, 0
	.set _ZN7rocprim17ROCPRIM_400000_NS6detail17trampoline_kernelINS0_14default_configENS1_27scan_by_key_config_selectorIisEEZZNS1_16scan_by_key_implILNS1_25lookback_scan_determinismE0ELb1ES3_N6thrust23THRUST_200600_302600_NS6detail15normal_iteratorINS9_10device_ptrIiEEEENSB_INSC_IsEEEESG_sNS9_4plusIvEENS9_8equal_toIvEEsEE10hipError_tPvRmT2_T3_T4_T5_mT6_T7_P12ihipStream_tbENKUlT_T0_E_clISt17integral_constantIbLb1EES10_IbLb0EEEEDaSW_SX_EUlSW_E_NS1_11comp_targetILNS1_3genE4ELNS1_11target_archE910ELNS1_3gpuE8ELNS1_3repE0EEENS1_30default_config_static_selectorELNS0_4arch9wavefront6targetE0EEEvT1_.uses_flat_scratch, 0
	.set _ZN7rocprim17ROCPRIM_400000_NS6detail17trampoline_kernelINS0_14default_configENS1_27scan_by_key_config_selectorIisEEZZNS1_16scan_by_key_implILNS1_25lookback_scan_determinismE0ELb1ES3_N6thrust23THRUST_200600_302600_NS6detail15normal_iteratorINS9_10device_ptrIiEEEENSB_INSC_IsEEEESG_sNS9_4plusIvEENS9_8equal_toIvEEsEE10hipError_tPvRmT2_T3_T4_T5_mT6_T7_P12ihipStream_tbENKUlT_T0_E_clISt17integral_constantIbLb1EES10_IbLb0EEEEDaSW_SX_EUlSW_E_NS1_11comp_targetILNS1_3genE4ELNS1_11target_archE910ELNS1_3gpuE8ELNS1_3repE0EEENS1_30default_config_static_selectorELNS0_4arch9wavefront6targetE0EEEvT1_.has_dyn_sized_stack, 0
	.set _ZN7rocprim17ROCPRIM_400000_NS6detail17trampoline_kernelINS0_14default_configENS1_27scan_by_key_config_selectorIisEEZZNS1_16scan_by_key_implILNS1_25lookback_scan_determinismE0ELb1ES3_N6thrust23THRUST_200600_302600_NS6detail15normal_iteratorINS9_10device_ptrIiEEEENSB_INSC_IsEEEESG_sNS9_4plusIvEENS9_8equal_toIvEEsEE10hipError_tPvRmT2_T3_T4_T5_mT6_T7_P12ihipStream_tbENKUlT_T0_E_clISt17integral_constantIbLb1EES10_IbLb0EEEEDaSW_SX_EUlSW_E_NS1_11comp_targetILNS1_3genE4ELNS1_11target_archE910ELNS1_3gpuE8ELNS1_3repE0EEENS1_30default_config_static_selectorELNS0_4arch9wavefront6targetE0EEEvT1_.has_recursion, 0
	.set _ZN7rocprim17ROCPRIM_400000_NS6detail17trampoline_kernelINS0_14default_configENS1_27scan_by_key_config_selectorIisEEZZNS1_16scan_by_key_implILNS1_25lookback_scan_determinismE0ELb1ES3_N6thrust23THRUST_200600_302600_NS6detail15normal_iteratorINS9_10device_ptrIiEEEENSB_INSC_IsEEEESG_sNS9_4plusIvEENS9_8equal_toIvEEsEE10hipError_tPvRmT2_T3_T4_T5_mT6_T7_P12ihipStream_tbENKUlT_T0_E_clISt17integral_constantIbLb1EES10_IbLb0EEEEDaSW_SX_EUlSW_E_NS1_11comp_targetILNS1_3genE4ELNS1_11target_archE910ELNS1_3gpuE8ELNS1_3repE0EEENS1_30default_config_static_selectorELNS0_4arch9wavefront6targetE0EEEvT1_.has_indirect_call, 0
	.section	.AMDGPU.csdata,"",@progbits
; Kernel info:
; codeLenInByte = 0
; TotalNumSgprs: 0
; NumVgprs: 0
; ScratchSize: 0
; MemoryBound: 0
; FloatMode: 240
; IeeeMode: 1
; LDSByteSize: 0 bytes/workgroup (compile time only)
; SGPRBlocks: 0
; VGPRBlocks: 0
; NumSGPRsForWavesPerEU: 1
; NumVGPRsForWavesPerEU: 1
; NamedBarCnt: 0
; Occupancy: 16
; WaveLimiterHint : 0
; COMPUTE_PGM_RSRC2:SCRATCH_EN: 0
; COMPUTE_PGM_RSRC2:USER_SGPR: 2
; COMPUTE_PGM_RSRC2:TRAP_HANDLER: 0
; COMPUTE_PGM_RSRC2:TGID_X_EN: 1
; COMPUTE_PGM_RSRC2:TGID_Y_EN: 0
; COMPUTE_PGM_RSRC2:TGID_Z_EN: 0
; COMPUTE_PGM_RSRC2:TIDIG_COMP_CNT: 0
	.section	.text._ZN7rocprim17ROCPRIM_400000_NS6detail17trampoline_kernelINS0_14default_configENS1_27scan_by_key_config_selectorIisEEZZNS1_16scan_by_key_implILNS1_25lookback_scan_determinismE0ELb1ES3_N6thrust23THRUST_200600_302600_NS6detail15normal_iteratorINS9_10device_ptrIiEEEENSB_INSC_IsEEEESG_sNS9_4plusIvEENS9_8equal_toIvEEsEE10hipError_tPvRmT2_T3_T4_T5_mT6_T7_P12ihipStream_tbENKUlT_T0_E_clISt17integral_constantIbLb1EES10_IbLb0EEEEDaSW_SX_EUlSW_E_NS1_11comp_targetILNS1_3genE3ELNS1_11target_archE908ELNS1_3gpuE7ELNS1_3repE0EEENS1_30default_config_static_selectorELNS0_4arch9wavefront6targetE0EEEvT1_,"axG",@progbits,_ZN7rocprim17ROCPRIM_400000_NS6detail17trampoline_kernelINS0_14default_configENS1_27scan_by_key_config_selectorIisEEZZNS1_16scan_by_key_implILNS1_25lookback_scan_determinismE0ELb1ES3_N6thrust23THRUST_200600_302600_NS6detail15normal_iteratorINS9_10device_ptrIiEEEENSB_INSC_IsEEEESG_sNS9_4plusIvEENS9_8equal_toIvEEsEE10hipError_tPvRmT2_T3_T4_T5_mT6_T7_P12ihipStream_tbENKUlT_T0_E_clISt17integral_constantIbLb1EES10_IbLb0EEEEDaSW_SX_EUlSW_E_NS1_11comp_targetILNS1_3genE3ELNS1_11target_archE908ELNS1_3gpuE7ELNS1_3repE0EEENS1_30default_config_static_selectorELNS0_4arch9wavefront6targetE0EEEvT1_,comdat
	.protected	_ZN7rocprim17ROCPRIM_400000_NS6detail17trampoline_kernelINS0_14default_configENS1_27scan_by_key_config_selectorIisEEZZNS1_16scan_by_key_implILNS1_25lookback_scan_determinismE0ELb1ES3_N6thrust23THRUST_200600_302600_NS6detail15normal_iteratorINS9_10device_ptrIiEEEENSB_INSC_IsEEEESG_sNS9_4plusIvEENS9_8equal_toIvEEsEE10hipError_tPvRmT2_T3_T4_T5_mT6_T7_P12ihipStream_tbENKUlT_T0_E_clISt17integral_constantIbLb1EES10_IbLb0EEEEDaSW_SX_EUlSW_E_NS1_11comp_targetILNS1_3genE3ELNS1_11target_archE908ELNS1_3gpuE7ELNS1_3repE0EEENS1_30default_config_static_selectorELNS0_4arch9wavefront6targetE0EEEvT1_ ; -- Begin function _ZN7rocprim17ROCPRIM_400000_NS6detail17trampoline_kernelINS0_14default_configENS1_27scan_by_key_config_selectorIisEEZZNS1_16scan_by_key_implILNS1_25lookback_scan_determinismE0ELb1ES3_N6thrust23THRUST_200600_302600_NS6detail15normal_iteratorINS9_10device_ptrIiEEEENSB_INSC_IsEEEESG_sNS9_4plusIvEENS9_8equal_toIvEEsEE10hipError_tPvRmT2_T3_T4_T5_mT6_T7_P12ihipStream_tbENKUlT_T0_E_clISt17integral_constantIbLb1EES10_IbLb0EEEEDaSW_SX_EUlSW_E_NS1_11comp_targetILNS1_3genE3ELNS1_11target_archE908ELNS1_3gpuE7ELNS1_3repE0EEENS1_30default_config_static_selectorELNS0_4arch9wavefront6targetE0EEEvT1_
	.globl	_ZN7rocprim17ROCPRIM_400000_NS6detail17trampoline_kernelINS0_14default_configENS1_27scan_by_key_config_selectorIisEEZZNS1_16scan_by_key_implILNS1_25lookback_scan_determinismE0ELb1ES3_N6thrust23THRUST_200600_302600_NS6detail15normal_iteratorINS9_10device_ptrIiEEEENSB_INSC_IsEEEESG_sNS9_4plusIvEENS9_8equal_toIvEEsEE10hipError_tPvRmT2_T3_T4_T5_mT6_T7_P12ihipStream_tbENKUlT_T0_E_clISt17integral_constantIbLb1EES10_IbLb0EEEEDaSW_SX_EUlSW_E_NS1_11comp_targetILNS1_3genE3ELNS1_11target_archE908ELNS1_3gpuE7ELNS1_3repE0EEENS1_30default_config_static_selectorELNS0_4arch9wavefront6targetE0EEEvT1_
	.p2align	8
	.type	_ZN7rocprim17ROCPRIM_400000_NS6detail17trampoline_kernelINS0_14default_configENS1_27scan_by_key_config_selectorIisEEZZNS1_16scan_by_key_implILNS1_25lookback_scan_determinismE0ELb1ES3_N6thrust23THRUST_200600_302600_NS6detail15normal_iteratorINS9_10device_ptrIiEEEENSB_INSC_IsEEEESG_sNS9_4plusIvEENS9_8equal_toIvEEsEE10hipError_tPvRmT2_T3_T4_T5_mT6_T7_P12ihipStream_tbENKUlT_T0_E_clISt17integral_constantIbLb1EES10_IbLb0EEEEDaSW_SX_EUlSW_E_NS1_11comp_targetILNS1_3genE3ELNS1_11target_archE908ELNS1_3gpuE7ELNS1_3repE0EEENS1_30default_config_static_selectorELNS0_4arch9wavefront6targetE0EEEvT1_,@function
_ZN7rocprim17ROCPRIM_400000_NS6detail17trampoline_kernelINS0_14default_configENS1_27scan_by_key_config_selectorIisEEZZNS1_16scan_by_key_implILNS1_25lookback_scan_determinismE0ELb1ES3_N6thrust23THRUST_200600_302600_NS6detail15normal_iteratorINS9_10device_ptrIiEEEENSB_INSC_IsEEEESG_sNS9_4plusIvEENS9_8equal_toIvEEsEE10hipError_tPvRmT2_T3_T4_T5_mT6_T7_P12ihipStream_tbENKUlT_T0_E_clISt17integral_constantIbLb1EES10_IbLb0EEEEDaSW_SX_EUlSW_E_NS1_11comp_targetILNS1_3genE3ELNS1_11target_archE908ELNS1_3gpuE7ELNS1_3repE0EEENS1_30default_config_static_selectorELNS0_4arch9wavefront6targetE0EEEvT1_: ; @_ZN7rocprim17ROCPRIM_400000_NS6detail17trampoline_kernelINS0_14default_configENS1_27scan_by_key_config_selectorIisEEZZNS1_16scan_by_key_implILNS1_25lookback_scan_determinismE0ELb1ES3_N6thrust23THRUST_200600_302600_NS6detail15normal_iteratorINS9_10device_ptrIiEEEENSB_INSC_IsEEEESG_sNS9_4plusIvEENS9_8equal_toIvEEsEE10hipError_tPvRmT2_T3_T4_T5_mT6_T7_P12ihipStream_tbENKUlT_T0_E_clISt17integral_constantIbLb1EES10_IbLb0EEEEDaSW_SX_EUlSW_E_NS1_11comp_targetILNS1_3genE3ELNS1_11target_archE908ELNS1_3gpuE7ELNS1_3repE0EEENS1_30default_config_static_selectorELNS0_4arch9wavefront6targetE0EEEvT1_
; %bb.0:
	.section	.rodata,"a",@progbits
	.p2align	6, 0x0
	.amdhsa_kernel _ZN7rocprim17ROCPRIM_400000_NS6detail17trampoline_kernelINS0_14default_configENS1_27scan_by_key_config_selectorIisEEZZNS1_16scan_by_key_implILNS1_25lookback_scan_determinismE0ELb1ES3_N6thrust23THRUST_200600_302600_NS6detail15normal_iteratorINS9_10device_ptrIiEEEENSB_INSC_IsEEEESG_sNS9_4plusIvEENS9_8equal_toIvEEsEE10hipError_tPvRmT2_T3_T4_T5_mT6_T7_P12ihipStream_tbENKUlT_T0_E_clISt17integral_constantIbLb1EES10_IbLb0EEEEDaSW_SX_EUlSW_E_NS1_11comp_targetILNS1_3genE3ELNS1_11target_archE908ELNS1_3gpuE7ELNS1_3repE0EEENS1_30default_config_static_selectorELNS0_4arch9wavefront6targetE0EEEvT1_
		.amdhsa_group_segment_fixed_size 0
		.amdhsa_private_segment_fixed_size 0
		.amdhsa_kernarg_size 112
		.amdhsa_user_sgpr_count 2
		.amdhsa_user_sgpr_dispatch_ptr 0
		.amdhsa_user_sgpr_queue_ptr 0
		.amdhsa_user_sgpr_kernarg_segment_ptr 1
		.amdhsa_user_sgpr_dispatch_id 0
		.amdhsa_user_sgpr_kernarg_preload_length 0
		.amdhsa_user_sgpr_kernarg_preload_offset 0
		.amdhsa_user_sgpr_private_segment_size 0
		.amdhsa_wavefront_size32 1
		.amdhsa_uses_dynamic_stack 0
		.amdhsa_enable_private_segment 0
		.amdhsa_system_sgpr_workgroup_id_x 1
		.amdhsa_system_sgpr_workgroup_id_y 0
		.amdhsa_system_sgpr_workgroup_id_z 0
		.amdhsa_system_sgpr_workgroup_info 0
		.amdhsa_system_vgpr_workitem_id 0
		.amdhsa_next_free_vgpr 1
		.amdhsa_next_free_sgpr 1
		.amdhsa_named_barrier_count 0
		.amdhsa_reserve_vcc 0
		.amdhsa_float_round_mode_32 0
		.amdhsa_float_round_mode_16_64 0
		.amdhsa_float_denorm_mode_32 3
		.amdhsa_float_denorm_mode_16_64 3
		.amdhsa_fp16_overflow 0
		.amdhsa_memory_ordered 1
		.amdhsa_forward_progress 1
		.amdhsa_inst_pref_size 0
		.amdhsa_round_robin_scheduling 0
		.amdhsa_exception_fp_ieee_invalid_op 0
		.amdhsa_exception_fp_denorm_src 0
		.amdhsa_exception_fp_ieee_div_zero 0
		.amdhsa_exception_fp_ieee_overflow 0
		.amdhsa_exception_fp_ieee_underflow 0
		.amdhsa_exception_fp_ieee_inexact 0
		.amdhsa_exception_int_div_zero 0
	.end_amdhsa_kernel
	.section	.text._ZN7rocprim17ROCPRIM_400000_NS6detail17trampoline_kernelINS0_14default_configENS1_27scan_by_key_config_selectorIisEEZZNS1_16scan_by_key_implILNS1_25lookback_scan_determinismE0ELb1ES3_N6thrust23THRUST_200600_302600_NS6detail15normal_iteratorINS9_10device_ptrIiEEEENSB_INSC_IsEEEESG_sNS9_4plusIvEENS9_8equal_toIvEEsEE10hipError_tPvRmT2_T3_T4_T5_mT6_T7_P12ihipStream_tbENKUlT_T0_E_clISt17integral_constantIbLb1EES10_IbLb0EEEEDaSW_SX_EUlSW_E_NS1_11comp_targetILNS1_3genE3ELNS1_11target_archE908ELNS1_3gpuE7ELNS1_3repE0EEENS1_30default_config_static_selectorELNS0_4arch9wavefront6targetE0EEEvT1_,"axG",@progbits,_ZN7rocprim17ROCPRIM_400000_NS6detail17trampoline_kernelINS0_14default_configENS1_27scan_by_key_config_selectorIisEEZZNS1_16scan_by_key_implILNS1_25lookback_scan_determinismE0ELb1ES3_N6thrust23THRUST_200600_302600_NS6detail15normal_iteratorINS9_10device_ptrIiEEEENSB_INSC_IsEEEESG_sNS9_4plusIvEENS9_8equal_toIvEEsEE10hipError_tPvRmT2_T3_T4_T5_mT6_T7_P12ihipStream_tbENKUlT_T0_E_clISt17integral_constantIbLb1EES10_IbLb0EEEEDaSW_SX_EUlSW_E_NS1_11comp_targetILNS1_3genE3ELNS1_11target_archE908ELNS1_3gpuE7ELNS1_3repE0EEENS1_30default_config_static_selectorELNS0_4arch9wavefront6targetE0EEEvT1_,comdat
.Lfunc_end1629:
	.size	_ZN7rocprim17ROCPRIM_400000_NS6detail17trampoline_kernelINS0_14default_configENS1_27scan_by_key_config_selectorIisEEZZNS1_16scan_by_key_implILNS1_25lookback_scan_determinismE0ELb1ES3_N6thrust23THRUST_200600_302600_NS6detail15normal_iteratorINS9_10device_ptrIiEEEENSB_INSC_IsEEEESG_sNS9_4plusIvEENS9_8equal_toIvEEsEE10hipError_tPvRmT2_T3_T4_T5_mT6_T7_P12ihipStream_tbENKUlT_T0_E_clISt17integral_constantIbLb1EES10_IbLb0EEEEDaSW_SX_EUlSW_E_NS1_11comp_targetILNS1_3genE3ELNS1_11target_archE908ELNS1_3gpuE7ELNS1_3repE0EEENS1_30default_config_static_selectorELNS0_4arch9wavefront6targetE0EEEvT1_, .Lfunc_end1629-_ZN7rocprim17ROCPRIM_400000_NS6detail17trampoline_kernelINS0_14default_configENS1_27scan_by_key_config_selectorIisEEZZNS1_16scan_by_key_implILNS1_25lookback_scan_determinismE0ELb1ES3_N6thrust23THRUST_200600_302600_NS6detail15normal_iteratorINS9_10device_ptrIiEEEENSB_INSC_IsEEEESG_sNS9_4plusIvEENS9_8equal_toIvEEsEE10hipError_tPvRmT2_T3_T4_T5_mT6_T7_P12ihipStream_tbENKUlT_T0_E_clISt17integral_constantIbLb1EES10_IbLb0EEEEDaSW_SX_EUlSW_E_NS1_11comp_targetILNS1_3genE3ELNS1_11target_archE908ELNS1_3gpuE7ELNS1_3repE0EEENS1_30default_config_static_selectorELNS0_4arch9wavefront6targetE0EEEvT1_
                                        ; -- End function
	.set _ZN7rocprim17ROCPRIM_400000_NS6detail17trampoline_kernelINS0_14default_configENS1_27scan_by_key_config_selectorIisEEZZNS1_16scan_by_key_implILNS1_25lookback_scan_determinismE0ELb1ES3_N6thrust23THRUST_200600_302600_NS6detail15normal_iteratorINS9_10device_ptrIiEEEENSB_INSC_IsEEEESG_sNS9_4plusIvEENS9_8equal_toIvEEsEE10hipError_tPvRmT2_T3_T4_T5_mT6_T7_P12ihipStream_tbENKUlT_T0_E_clISt17integral_constantIbLb1EES10_IbLb0EEEEDaSW_SX_EUlSW_E_NS1_11comp_targetILNS1_3genE3ELNS1_11target_archE908ELNS1_3gpuE7ELNS1_3repE0EEENS1_30default_config_static_selectorELNS0_4arch9wavefront6targetE0EEEvT1_.num_vgpr, 0
	.set _ZN7rocprim17ROCPRIM_400000_NS6detail17trampoline_kernelINS0_14default_configENS1_27scan_by_key_config_selectorIisEEZZNS1_16scan_by_key_implILNS1_25lookback_scan_determinismE0ELb1ES3_N6thrust23THRUST_200600_302600_NS6detail15normal_iteratorINS9_10device_ptrIiEEEENSB_INSC_IsEEEESG_sNS9_4plusIvEENS9_8equal_toIvEEsEE10hipError_tPvRmT2_T3_T4_T5_mT6_T7_P12ihipStream_tbENKUlT_T0_E_clISt17integral_constantIbLb1EES10_IbLb0EEEEDaSW_SX_EUlSW_E_NS1_11comp_targetILNS1_3genE3ELNS1_11target_archE908ELNS1_3gpuE7ELNS1_3repE0EEENS1_30default_config_static_selectorELNS0_4arch9wavefront6targetE0EEEvT1_.num_agpr, 0
	.set _ZN7rocprim17ROCPRIM_400000_NS6detail17trampoline_kernelINS0_14default_configENS1_27scan_by_key_config_selectorIisEEZZNS1_16scan_by_key_implILNS1_25lookback_scan_determinismE0ELb1ES3_N6thrust23THRUST_200600_302600_NS6detail15normal_iteratorINS9_10device_ptrIiEEEENSB_INSC_IsEEEESG_sNS9_4plusIvEENS9_8equal_toIvEEsEE10hipError_tPvRmT2_T3_T4_T5_mT6_T7_P12ihipStream_tbENKUlT_T0_E_clISt17integral_constantIbLb1EES10_IbLb0EEEEDaSW_SX_EUlSW_E_NS1_11comp_targetILNS1_3genE3ELNS1_11target_archE908ELNS1_3gpuE7ELNS1_3repE0EEENS1_30default_config_static_selectorELNS0_4arch9wavefront6targetE0EEEvT1_.numbered_sgpr, 0
	.set _ZN7rocprim17ROCPRIM_400000_NS6detail17trampoline_kernelINS0_14default_configENS1_27scan_by_key_config_selectorIisEEZZNS1_16scan_by_key_implILNS1_25lookback_scan_determinismE0ELb1ES3_N6thrust23THRUST_200600_302600_NS6detail15normal_iteratorINS9_10device_ptrIiEEEENSB_INSC_IsEEEESG_sNS9_4plusIvEENS9_8equal_toIvEEsEE10hipError_tPvRmT2_T3_T4_T5_mT6_T7_P12ihipStream_tbENKUlT_T0_E_clISt17integral_constantIbLb1EES10_IbLb0EEEEDaSW_SX_EUlSW_E_NS1_11comp_targetILNS1_3genE3ELNS1_11target_archE908ELNS1_3gpuE7ELNS1_3repE0EEENS1_30default_config_static_selectorELNS0_4arch9wavefront6targetE0EEEvT1_.num_named_barrier, 0
	.set _ZN7rocprim17ROCPRIM_400000_NS6detail17trampoline_kernelINS0_14default_configENS1_27scan_by_key_config_selectorIisEEZZNS1_16scan_by_key_implILNS1_25lookback_scan_determinismE0ELb1ES3_N6thrust23THRUST_200600_302600_NS6detail15normal_iteratorINS9_10device_ptrIiEEEENSB_INSC_IsEEEESG_sNS9_4plusIvEENS9_8equal_toIvEEsEE10hipError_tPvRmT2_T3_T4_T5_mT6_T7_P12ihipStream_tbENKUlT_T0_E_clISt17integral_constantIbLb1EES10_IbLb0EEEEDaSW_SX_EUlSW_E_NS1_11comp_targetILNS1_3genE3ELNS1_11target_archE908ELNS1_3gpuE7ELNS1_3repE0EEENS1_30default_config_static_selectorELNS0_4arch9wavefront6targetE0EEEvT1_.private_seg_size, 0
	.set _ZN7rocprim17ROCPRIM_400000_NS6detail17trampoline_kernelINS0_14default_configENS1_27scan_by_key_config_selectorIisEEZZNS1_16scan_by_key_implILNS1_25lookback_scan_determinismE0ELb1ES3_N6thrust23THRUST_200600_302600_NS6detail15normal_iteratorINS9_10device_ptrIiEEEENSB_INSC_IsEEEESG_sNS9_4plusIvEENS9_8equal_toIvEEsEE10hipError_tPvRmT2_T3_T4_T5_mT6_T7_P12ihipStream_tbENKUlT_T0_E_clISt17integral_constantIbLb1EES10_IbLb0EEEEDaSW_SX_EUlSW_E_NS1_11comp_targetILNS1_3genE3ELNS1_11target_archE908ELNS1_3gpuE7ELNS1_3repE0EEENS1_30default_config_static_selectorELNS0_4arch9wavefront6targetE0EEEvT1_.uses_vcc, 0
	.set _ZN7rocprim17ROCPRIM_400000_NS6detail17trampoline_kernelINS0_14default_configENS1_27scan_by_key_config_selectorIisEEZZNS1_16scan_by_key_implILNS1_25lookback_scan_determinismE0ELb1ES3_N6thrust23THRUST_200600_302600_NS6detail15normal_iteratorINS9_10device_ptrIiEEEENSB_INSC_IsEEEESG_sNS9_4plusIvEENS9_8equal_toIvEEsEE10hipError_tPvRmT2_T3_T4_T5_mT6_T7_P12ihipStream_tbENKUlT_T0_E_clISt17integral_constantIbLb1EES10_IbLb0EEEEDaSW_SX_EUlSW_E_NS1_11comp_targetILNS1_3genE3ELNS1_11target_archE908ELNS1_3gpuE7ELNS1_3repE0EEENS1_30default_config_static_selectorELNS0_4arch9wavefront6targetE0EEEvT1_.uses_flat_scratch, 0
	.set _ZN7rocprim17ROCPRIM_400000_NS6detail17trampoline_kernelINS0_14default_configENS1_27scan_by_key_config_selectorIisEEZZNS1_16scan_by_key_implILNS1_25lookback_scan_determinismE0ELb1ES3_N6thrust23THRUST_200600_302600_NS6detail15normal_iteratorINS9_10device_ptrIiEEEENSB_INSC_IsEEEESG_sNS9_4plusIvEENS9_8equal_toIvEEsEE10hipError_tPvRmT2_T3_T4_T5_mT6_T7_P12ihipStream_tbENKUlT_T0_E_clISt17integral_constantIbLb1EES10_IbLb0EEEEDaSW_SX_EUlSW_E_NS1_11comp_targetILNS1_3genE3ELNS1_11target_archE908ELNS1_3gpuE7ELNS1_3repE0EEENS1_30default_config_static_selectorELNS0_4arch9wavefront6targetE0EEEvT1_.has_dyn_sized_stack, 0
	.set _ZN7rocprim17ROCPRIM_400000_NS6detail17trampoline_kernelINS0_14default_configENS1_27scan_by_key_config_selectorIisEEZZNS1_16scan_by_key_implILNS1_25lookback_scan_determinismE0ELb1ES3_N6thrust23THRUST_200600_302600_NS6detail15normal_iteratorINS9_10device_ptrIiEEEENSB_INSC_IsEEEESG_sNS9_4plusIvEENS9_8equal_toIvEEsEE10hipError_tPvRmT2_T3_T4_T5_mT6_T7_P12ihipStream_tbENKUlT_T0_E_clISt17integral_constantIbLb1EES10_IbLb0EEEEDaSW_SX_EUlSW_E_NS1_11comp_targetILNS1_3genE3ELNS1_11target_archE908ELNS1_3gpuE7ELNS1_3repE0EEENS1_30default_config_static_selectorELNS0_4arch9wavefront6targetE0EEEvT1_.has_recursion, 0
	.set _ZN7rocprim17ROCPRIM_400000_NS6detail17trampoline_kernelINS0_14default_configENS1_27scan_by_key_config_selectorIisEEZZNS1_16scan_by_key_implILNS1_25lookback_scan_determinismE0ELb1ES3_N6thrust23THRUST_200600_302600_NS6detail15normal_iteratorINS9_10device_ptrIiEEEENSB_INSC_IsEEEESG_sNS9_4plusIvEENS9_8equal_toIvEEsEE10hipError_tPvRmT2_T3_T4_T5_mT6_T7_P12ihipStream_tbENKUlT_T0_E_clISt17integral_constantIbLb1EES10_IbLb0EEEEDaSW_SX_EUlSW_E_NS1_11comp_targetILNS1_3genE3ELNS1_11target_archE908ELNS1_3gpuE7ELNS1_3repE0EEENS1_30default_config_static_selectorELNS0_4arch9wavefront6targetE0EEEvT1_.has_indirect_call, 0
	.section	.AMDGPU.csdata,"",@progbits
; Kernel info:
; codeLenInByte = 0
; TotalNumSgprs: 0
; NumVgprs: 0
; ScratchSize: 0
; MemoryBound: 0
; FloatMode: 240
; IeeeMode: 1
; LDSByteSize: 0 bytes/workgroup (compile time only)
; SGPRBlocks: 0
; VGPRBlocks: 0
; NumSGPRsForWavesPerEU: 1
; NumVGPRsForWavesPerEU: 1
; NamedBarCnt: 0
; Occupancy: 16
; WaveLimiterHint : 0
; COMPUTE_PGM_RSRC2:SCRATCH_EN: 0
; COMPUTE_PGM_RSRC2:USER_SGPR: 2
; COMPUTE_PGM_RSRC2:TRAP_HANDLER: 0
; COMPUTE_PGM_RSRC2:TGID_X_EN: 1
; COMPUTE_PGM_RSRC2:TGID_Y_EN: 0
; COMPUTE_PGM_RSRC2:TGID_Z_EN: 0
; COMPUTE_PGM_RSRC2:TIDIG_COMP_CNT: 0
	.section	.text._ZN7rocprim17ROCPRIM_400000_NS6detail17trampoline_kernelINS0_14default_configENS1_27scan_by_key_config_selectorIisEEZZNS1_16scan_by_key_implILNS1_25lookback_scan_determinismE0ELb1ES3_N6thrust23THRUST_200600_302600_NS6detail15normal_iteratorINS9_10device_ptrIiEEEENSB_INSC_IsEEEESG_sNS9_4plusIvEENS9_8equal_toIvEEsEE10hipError_tPvRmT2_T3_T4_T5_mT6_T7_P12ihipStream_tbENKUlT_T0_E_clISt17integral_constantIbLb1EES10_IbLb0EEEEDaSW_SX_EUlSW_E_NS1_11comp_targetILNS1_3genE2ELNS1_11target_archE906ELNS1_3gpuE6ELNS1_3repE0EEENS1_30default_config_static_selectorELNS0_4arch9wavefront6targetE0EEEvT1_,"axG",@progbits,_ZN7rocprim17ROCPRIM_400000_NS6detail17trampoline_kernelINS0_14default_configENS1_27scan_by_key_config_selectorIisEEZZNS1_16scan_by_key_implILNS1_25lookback_scan_determinismE0ELb1ES3_N6thrust23THRUST_200600_302600_NS6detail15normal_iteratorINS9_10device_ptrIiEEEENSB_INSC_IsEEEESG_sNS9_4plusIvEENS9_8equal_toIvEEsEE10hipError_tPvRmT2_T3_T4_T5_mT6_T7_P12ihipStream_tbENKUlT_T0_E_clISt17integral_constantIbLb1EES10_IbLb0EEEEDaSW_SX_EUlSW_E_NS1_11comp_targetILNS1_3genE2ELNS1_11target_archE906ELNS1_3gpuE6ELNS1_3repE0EEENS1_30default_config_static_selectorELNS0_4arch9wavefront6targetE0EEEvT1_,comdat
	.protected	_ZN7rocprim17ROCPRIM_400000_NS6detail17trampoline_kernelINS0_14default_configENS1_27scan_by_key_config_selectorIisEEZZNS1_16scan_by_key_implILNS1_25lookback_scan_determinismE0ELb1ES3_N6thrust23THRUST_200600_302600_NS6detail15normal_iteratorINS9_10device_ptrIiEEEENSB_INSC_IsEEEESG_sNS9_4plusIvEENS9_8equal_toIvEEsEE10hipError_tPvRmT2_T3_T4_T5_mT6_T7_P12ihipStream_tbENKUlT_T0_E_clISt17integral_constantIbLb1EES10_IbLb0EEEEDaSW_SX_EUlSW_E_NS1_11comp_targetILNS1_3genE2ELNS1_11target_archE906ELNS1_3gpuE6ELNS1_3repE0EEENS1_30default_config_static_selectorELNS0_4arch9wavefront6targetE0EEEvT1_ ; -- Begin function _ZN7rocprim17ROCPRIM_400000_NS6detail17trampoline_kernelINS0_14default_configENS1_27scan_by_key_config_selectorIisEEZZNS1_16scan_by_key_implILNS1_25lookback_scan_determinismE0ELb1ES3_N6thrust23THRUST_200600_302600_NS6detail15normal_iteratorINS9_10device_ptrIiEEEENSB_INSC_IsEEEESG_sNS9_4plusIvEENS9_8equal_toIvEEsEE10hipError_tPvRmT2_T3_T4_T5_mT6_T7_P12ihipStream_tbENKUlT_T0_E_clISt17integral_constantIbLb1EES10_IbLb0EEEEDaSW_SX_EUlSW_E_NS1_11comp_targetILNS1_3genE2ELNS1_11target_archE906ELNS1_3gpuE6ELNS1_3repE0EEENS1_30default_config_static_selectorELNS0_4arch9wavefront6targetE0EEEvT1_
	.globl	_ZN7rocprim17ROCPRIM_400000_NS6detail17trampoline_kernelINS0_14default_configENS1_27scan_by_key_config_selectorIisEEZZNS1_16scan_by_key_implILNS1_25lookback_scan_determinismE0ELb1ES3_N6thrust23THRUST_200600_302600_NS6detail15normal_iteratorINS9_10device_ptrIiEEEENSB_INSC_IsEEEESG_sNS9_4plusIvEENS9_8equal_toIvEEsEE10hipError_tPvRmT2_T3_T4_T5_mT6_T7_P12ihipStream_tbENKUlT_T0_E_clISt17integral_constantIbLb1EES10_IbLb0EEEEDaSW_SX_EUlSW_E_NS1_11comp_targetILNS1_3genE2ELNS1_11target_archE906ELNS1_3gpuE6ELNS1_3repE0EEENS1_30default_config_static_selectorELNS0_4arch9wavefront6targetE0EEEvT1_
	.p2align	8
	.type	_ZN7rocprim17ROCPRIM_400000_NS6detail17trampoline_kernelINS0_14default_configENS1_27scan_by_key_config_selectorIisEEZZNS1_16scan_by_key_implILNS1_25lookback_scan_determinismE0ELb1ES3_N6thrust23THRUST_200600_302600_NS6detail15normal_iteratorINS9_10device_ptrIiEEEENSB_INSC_IsEEEESG_sNS9_4plusIvEENS9_8equal_toIvEEsEE10hipError_tPvRmT2_T3_T4_T5_mT6_T7_P12ihipStream_tbENKUlT_T0_E_clISt17integral_constantIbLb1EES10_IbLb0EEEEDaSW_SX_EUlSW_E_NS1_11comp_targetILNS1_3genE2ELNS1_11target_archE906ELNS1_3gpuE6ELNS1_3repE0EEENS1_30default_config_static_selectorELNS0_4arch9wavefront6targetE0EEEvT1_,@function
_ZN7rocprim17ROCPRIM_400000_NS6detail17trampoline_kernelINS0_14default_configENS1_27scan_by_key_config_selectorIisEEZZNS1_16scan_by_key_implILNS1_25lookback_scan_determinismE0ELb1ES3_N6thrust23THRUST_200600_302600_NS6detail15normal_iteratorINS9_10device_ptrIiEEEENSB_INSC_IsEEEESG_sNS9_4plusIvEENS9_8equal_toIvEEsEE10hipError_tPvRmT2_T3_T4_T5_mT6_T7_P12ihipStream_tbENKUlT_T0_E_clISt17integral_constantIbLb1EES10_IbLb0EEEEDaSW_SX_EUlSW_E_NS1_11comp_targetILNS1_3genE2ELNS1_11target_archE906ELNS1_3gpuE6ELNS1_3repE0EEENS1_30default_config_static_selectorELNS0_4arch9wavefront6targetE0EEEvT1_: ; @_ZN7rocprim17ROCPRIM_400000_NS6detail17trampoline_kernelINS0_14default_configENS1_27scan_by_key_config_selectorIisEEZZNS1_16scan_by_key_implILNS1_25lookback_scan_determinismE0ELb1ES3_N6thrust23THRUST_200600_302600_NS6detail15normal_iteratorINS9_10device_ptrIiEEEENSB_INSC_IsEEEESG_sNS9_4plusIvEENS9_8equal_toIvEEsEE10hipError_tPvRmT2_T3_T4_T5_mT6_T7_P12ihipStream_tbENKUlT_T0_E_clISt17integral_constantIbLb1EES10_IbLb0EEEEDaSW_SX_EUlSW_E_NS1_11comp_targetILNS1_3genE2ELNS1_11target_archE906ELNS1_3gpuE6ELNS1_3repE0EEENS1_30default_config_static_selectorELNS0_4arch9wavefront6targetE0EEEvT1_
; %bb.0:
	.section	.rodata,"a",@progbits
	.p2align	6, 0x0
	.amdhsa_kernel _ZN7rocprim17ROCPRIM_400000_NS6detail17trampoline_kernelINS0_14default_configENS1_27scan_by_key_config_selectorIisEEZZNS1_16scan_by_key_implILNS1_25lookback_scan_determinismE0ELb1ES3_N6thrust23THRUST_200600_302600_NS6detail15normal_iteratorINS9_10device_ptrIiEEEENSB_INSC_IsEEEESG_sNS9_4plusIvEENS9_8equal_toIvEEsEE10hipError_tPvRmT2_T3_T4_T5_mT6_T7_P12ihipStream_tbENKUlT_T0_E_clISt17integral_constantIbLb1EES10_IbLb0EEEEDaSW_SX_EUlSW_E_NS1_11comp_targetILNS1_3genE2ELNS1_11target_archE906ELNS1_3gpuE6ELNS1_3repE0EEENS1_30default_config_static_selectorELNS0_4arch9wavefront6targetE0EEEvT1_
		.amdhsa_group_segment_fixed_size 0
		.amdhsa_private_segment_fixed_size 0
		.amdhsa_kernarg_size 112
		.amdhsa_user_sgpr_count 2
		.amdhsa_user_sgpr_dispatch_ptr 0
		.amdhsa_user_sgpr_queue_ptr 0
		.amdhsa_user_sgpr_kernarg_segment_ptr 1
		.amdhsa_user_sgpr_dispatch_id 0
		.amdhsa_user_sgpr_kernarg_preload_length 0
		.amdhsa_user_sgpr_kernarg_preload_offset 0
		.amdhsa_user_sgpr_private_segment_size 0
		.amdhsa_wavefront_size32 1
		.amdhsa_uses_dynamic_stack 0
		.amdhsa_enable_private_segment 0
		.amdhsa_system_sgpr_workgroup_id_x 1
		.amdhsa_system_sgpr_workgroup_id_y 0
		.amdhsa_system_sgpr_workgroup_id_z 0
		.amdhsa_system_sgpr_workgroup_info 0
		.amdhsa_system_vgpr_workitem_id 0
		.amdhsa_next_free_vgpr 1
		.amdhsa_next_free_sgpr 1
		.amdhsa_named_barrier_count 0
		.amdhsa_reserve_vcc 0
		.amdhsa_float_round_mode_32 0
		.amdhsa_float_round_mode_16_64 0
		.amdhsa_float_denorm_mode_32 3
		.amdhsa_float_denorm_mode_16_64 3
		.amdhsa_fp16_overflow 0
		.amdhsa_memory_ordered 1
		.amdhsa_forward_progress 1
		.amdhsa_inst_pref_size 0
		.amdhsa_round_robin_scheduling 0
		.amdhsa_exception_fp_ieee_invalid_op 0
		.amdhsa_exception_fp_denorm_src 0
		.amdhsa_exception_fp_ieee_div_zero 0
		.amdhsa_exception_fp_ieee_overflow 0
		.amdhsa_exception_fp_ieee_underflow 0
		.amdhsa_exception_fp_ieee_inexact 0
		.amdhsa_exception_int_div_zero 0
	.end_amdhsa_kernel
	.section	.text._ZN7rocprim17ROCPRIM_400000_NS6detail17trampoline_kernelINS0_14default_configENS1_27scan_by_key_config_selectorIisEEZZNS1_16scan_by_key_implILNS1_25lookback_scan_determinismE0ELb1ES3_N6thrust23THRUST_200600_302600_NS6detail15normal_iteratorINS9_10device_ptrIiEEEENSB_INSC_IsEEEESG_sNS9_4plusIvEENS9_8equal_toIvEEsEE10hipError_tPvRmT2_T3_T4_T5_mT6_T7_P12ihipStream_tbENKUlT_T0_E_clISt17integral_constantIbLb1EES10_IbLb0EEEEDaSW_SX_EUlSW_E_NS1_11comp_targetILNS1_3genE2ELNS1_11target_archE906ELNS1_3gpuE6ELNS1_3repE0EEENS1_30default_config_static_selectorELNS0_4arch9wavefront6targetE0EEEvT1_,"axG",@progbits,_ZN7rocprim17ROCPRIM_400000_NS6detail17trampoline_kernelINS0_14default_configENS1_27scan_by_key_config_selectorIisEEZZNS1_16scan_by_key_implILNS1_25lookback_scan_determinismE0ELb1ES3_N6thrust23THRUST_200600_302600_NS6detail15normal_iteratorINS9_10device_ptrIiEEEENSB_INSC_IsEEEESG_sNS9_4plusIvEENS9_8equal_toIvEEsEE10hipError_tPvRmT2_T3_T4_T5_mT6_T7_P12ihipStream_tbENKUlT_T0_E_clISt17integral_constantIbLb1EES10_IbLb0EEEEDaSW_SX_EUlSW_E_NS1_11comp_targetILNS1_3genE2ELNS1_11target_archE906ELNS1_3gpuE6ELNS1_3repE0EEENS1_30default_config_static_selectorELNS0_4arch9wavefront6targetE0EEEvT1_,comdat
.Lfunc_end1630:
	.size	_ZN7rocprim17ROCPRIM_400000_NS6detail17trampoline_kernelINS0_14default_configENS1_27scan_by_key_config_selectorIisEEZZNS1_16scan_by_key_implILNS1_25lookback_scan_determinismE0ELb1ES3_N6thrust23THRUST_200600_302600_NS6detail15normal_iteratorINS9_10device_ptrIiEEEENSB_INSC_IsEEEESG_sNS9_4plusIvEENS9_8equal_toIvEEsEE10hipError_tPvRmT2_T3_T4_T5_mT6_T7_P12ihipStream_tbENKUlT_T0_E_clISt17integral_constantIbLb1EES10_IbLb0EEEEDaSW_SX_EUlSW_E_NS1_11comp_targetILNS1_3genE2ELNS1_11target_archE906ELNS1_3gpuE6ELNS1_3repE0EEENS1_30default_config_static_selectorELNS0_4arch9wavefront6targetE0EEEvT1_, .Lfunc_end1630-_ZN7rocprim17ROCPRIM_400000_NS6detail17trampoline_kernelINS0_14default_configENS1_27scan_by_key_config_selectorIisEEZZNS1_16scan_by_key_implILNS1_25lookback_scan_determinismE0ELb1ES3_N6thrust23THRUST_200600_302600_NS6detail15normal_iteratorINS9_10device_ptrIiEEEENSB_INSC_IsEEEESG_sNS9_4plusIvEENS9_8equal_toIvEEsEE10hipError_tPvRmT2_T3_T4_T5_mT6_T7_P12ihipStream_tbENKUlT_T0_E_clISt17integral_constantIbLb1EES10_IbLb0EEEEDaSW_SX_EUlSW_E_NS1_11comp_targetILNS1_3genE2ELNS1_11target_archE906ELNS1_3gpuE6ELNS1_3repE0EEENS1_30default_config_static_selectorELNS0_4arch9wavefront6targetE0EEEvT1_
                                        ; -- End function
	.set _ZN7rocprim17ROCPRIM_400000_NS6detail17trampoline_kernelINS0_14default_configENS1_27scan_by_key_config_selectorIisEEZZNS1_16scan_by_key_implILNS1_25lookback_scan_determinismE0ELb1ES3_N6thrust23THRUST_200600_302600_NS6detail15normal_iteratorINS9_10device_ptrIiEEEENSB_INSC_IsEEEESG_sNS9_4plusIvEENS9_8equal_toIvEEsEE10hipError_tPvRmT2_T3_T4_T5_mT6_T7_P12ihipStream_tbENKUlT_T0_E_clISt17integral_constantIbLb1EES10_IbLb0EEEEDaSW_SX_EUlSW_E_NS1_11comp_targetILNS1_3genE2ELNS1_11target_archE906ELNS1_3gpuE6ELNS1_3repE0EEENS1_30default_config_static_selectorELNS0_4arch9wavefront6targetE0EEEvT1_.num_vgpr, 0
	.set _ZN7rocprim17ROCPRIM_400000_NS6detail17trampoline_kernelINS0_14default_configENS1_27scan_by_key_config_selectorIisEEZZNS1_16scan_by_key_implILNS1_25lookback_scan_determinismE0ELb1ES3_N6thrust23THRUST_200600_302600_NS6detail15normal_iteratorINS9_10device_ptrIiEEEENSB_INSC_IsEEEESG_sNS9_4plusIvEENS9_8equal_toIvEEsEE10hipError_tPvRmT2_T3_T4_T5_mT6_T7_P12ihipStream_tbENKUlT_T0_E_clISt17integral_constantIbLb1EES10_IbLb0EEEEDaSW_SX_EUlSW_E_NS1_11comp_targetILNS1_3genE2ELNS1_11target_archE906ELNS1_3gpuE6ELNS1_3repE0EEENS1_30default_config_static_selectorELNS0_4arch9wavefront6targetE0EEEvT1_.num_agpr, 0
	.set _ZN7rocprim17ROCPRIM_400000_NS6detail17trampoline_kernelINS0_14default_configENS1_27scan_by_key_config_selectorIisEEZZNS1_16scan_by_key_implILNS1_25lookback_scan_determinismE0ELb1ES3_N6thrust23THRUST_200600_302600_NS6detail15normal_iteratorINS9_10device_ptrIiEEEENSB_INSC_IsEEEESG_sNS9_4plusIvEENS9_8equal_toIvEEsEE10hipError_tPvRmT2_T3_T4_T5_mT6_T7_P12ihipStream_tbENKUlT_T0_E_clISt17integral_constantIbLb1EES10_IbLb0EEEEDaSW_SX_EUlSW_E_NS1_11comp_targetILNS1_3genE2ELNS1_11target_archE906ELNS1_3gpuE6ELNS1_3repE0EEENS1_30default_config_static_selectorELNS0_4arch9wavefront6targetE0EEEvT1_.numbered_sgpr, 0
	.set _ZN7rocprim17ROCPRIM_400000_NS6detail17trampoline_kernelINS0_14default_configENS1_27scan_by_key_config_selectorIisEEZZNS1_16scan_by_key_implILNS1_25lookback_scan_determinismE0ELb1ES3_N6thrust23THRUST_200600_302600_NS6detail15normal_iteratorINS9_10device_ptrIiEEEENSB_INSC_IsEEEESG_sNS9_4plusIvEENS9_8equal_toIvEEsEE10hipError_tPvRmT2_T3_T4_T5_mT6_T7_P12ihipStream_tbENKUlT_T0_E_clISt17integral_constantIbLb1EES10_IbLb0EEEEDaSW_SX_EUlSW_E_NS1_11comp_targetILNS1_3genE2ELNS1_11target_archE906ELNS1_3gpuE6ELNS1_3repE0EEENS1_30default_config_static_selectorELNS0_4arch9wavefront6targetE0EEEvT1_.num_named_barrier, 0
	.set _ZN7rocprim17ROCPRIM_400000_NS6detail17trampoline_kernelINS0_14default_configENS1_27scan_by_key_config_selectorIisEEZZNS1_16scan_by_key_implILNS1_25lookback_scan_determinismE0ELb1ES3_N6thrust23THRUST_200600_302600_NS6detail15normal_iteratorINS9_10device_ptrIiEEEENSB_INSC_IsEEEESG_sNS9_4plusIvEENS9_8equal_toIvEEsEE10hipError_tPvRmT2_T3_T4_T5_mT6_T7_P12ihipStream_tbENKUlT_T0_E_clISt17integral_constantIbLb1EES10_IbLb0EEEEDaSW_SX_EUlSW_E_NS1_11comp_targetILNS1_3genE2ELNS1_11target_archE906ELNS1_3gpuE6ELNS1_3repE0EEENS1_30default_config_static_selectorELNS0_4arch9wavefront6targetE0EEEvT1_.private_seg_size, 0
	.set _ZN7rocprim17ROCPRIM_400000_NS6detail17trampoline_kernelINS0_14default_configENS1_27scan_by_key_config_selectorIisEEZZNS1_16scan_by_key_implILNS1_25lookback_scan_determinismE0ELb1ES3_N6thrust23THRUST_200600_302600_NS6detail15normal_iteratorINS9_10device_ptrIiEEEENSB_INSC_IsEEEESG_sNS9_4plusIvEENS9_8equal_toIvEEsEE10hipError_tPvRmT2_T3_T4_T5_mT6_T7_P12ihipStream_tbENKUlT_T0_E_clISt17integral_constantIbLb1EES10_IbLb0EEEEDaSW_SX_EUlSW_E_NS1_11comp_targetILNS1_3genE2ELNS1_11target_archE906ELNS1_3gpuE6ELNS1_3repE0EEENS1_30default_config_static_selectorELNS0_4arch9wavefront6targetE0EEEvT1_.uses_vcc, 0
	.set _ZN7rocprim17ROCPRIM_400000_NS6detail17trampoline_kernelINS0_14default_configENS1_27scan_by_key_config_selectorIisEEZZNS1_16scan_by_key_implILNS1_25lookback_scan_determinismE0ELb1ES3_N6thrust23THRUST_200600_302600_NS6detail15normal_iteratorINS9_10device_ptrIiEEEENSB_INSC_IsEEEESG_sNS9_4plusIvEENS9_8equal_toIvEEsEE10hipError_tPvRmT2_T3_T4_T5_mT6_T7_P12ihipStream_tbENKUlT_T0_E_clISt17integral_constantIbLb1EES10_IbLb0EEEEDaSW_SX_EUlSW_E_NS1_11comp_targetILNS1_3genE2ELNS1_11target_archE906ELNS1_3gpuE6ELNS1_3repE0EEENS1_30default_config_static_selectorELNS0_4arch9wavefront6targetE0EEEvT1_.uses_flat_scratch, 0
	.set _ZN7rocprim17ROCPRIM_400000_NS6detail17trampoline_kernelINS0_14default_configENS1_27scan_by_key_config_selectorIisEEZZNS1_16scan_by_key_implILNS1_25lookback_scan_determinismE0ELb1ES3_N6thrust23THRUST_200600_302600_NS6detail15normal_iteratorINS9_10device_ptrIiEEEENSB_INSC_IsEEEESG_sNS9_4plusIvEENS9_8equal_toIvEEsEE10hipError_tPvRmT2_T3_T4_T5_mT6_T7_P12ihipStream_tbENKUlT_T0_E_clISt17integral_constantIbLb1EES10_IbLb0EEEEDaSW_SX_EUlSW_E_NS1_11comp_targetILNS1_3genE2ELNS1_11target_archE906ELNS1_3gpuE6ELNS1_3repE0EEENS1_30default_config_static_selectorELNS0_4arch9wavefront6targetE0EEEvT1_.has_dyn_sized_stack, 0
	.set _ZN7rocprim17ROCPRIM_400000_NS6detail17trampoline_kernelINS0_14default_configENS1_27scan_by_key_config_selectorIisEEZZNS1_16scan_by_key_implILNS1_25lookback_scan_determinismE0ELb1ES3_N6thrust23THRUST_200600_302600_NS6detail15normal_iteratorINS9_10device_ptrIiEEEENSB_INSC_IsEEEESG_sNS9_4plusIvEENS9_8equal_toIvEEsEE10hipError_tPvRmT2_T3_T4_T5_mT6_T7_P12ihipStream_tbENKUlT_T0_E_clISt17integral_constantIbLb1EES10_IbLb0EEEEDaSW_SX_EUlSW_E_NS1_11comp_targetILNS1_3genE2ELNS1_11target_archE906ELNS1_3gpuE6ELNS1_3repE0EEENS1_30default_config_static_selectorELNS0_4arch9wavefront6targetE0EEEvT1_.has_recursion, 0
	.set _ZN7rocprim17ROCPRIM_400000_NS6detail17trampoline_kernelINS0_14default_configENS1_27scan_by_key_config_selectorIisEEZZNS1_16scan_by_key_implILNS1_25lookback_scan_determinismE0ELb1ES3_N6thrust23THRUST_200600_302600_NS6detail15normal_iteratorINS9_10device_ptrIiEEEENSB_INSC_IsEEEESG_sNS9_4plusIvEENS9_8equal_toIvEEsEE10hipError_tPvRmT2_T3_T4_T5_mT6_T7_P12ihipStream_tbENKUlT_T0_E_clISt17integral_constantIbLb1EES10_IbLb0EEEEDaSW_SX_EUlSW_E_NS1_11comp_targetILNS1_3genE2ELNS1_11target_archE906ELNS1_3gpuE6ELNS1_3repE0EEENS1_30default_config_static_selectorELNS0_4arch9wavefront6targetE0EEEvT1_.has_indirect_call, 0
	.section	.AMDGPU.csdata,"",@progbits
; Kernel info:
; codeLenInByte = 0
; TotalNumSgprs: 0
; NumVgprs: 0
; ScratchSize: 0
; MemoryBound: 0
; FloatMode: 240
; IeeeMode: 1
; LDSByteSize: 0 bytes/workgroup (compile time only)
; SGPRBlocks: 0
; VGPRBlocks: 0
; NumSGPRsForWavesPerEU: 1
; NumVGPRsForWavesPerEU: 1
; NamedBarCnt: 0
; Occupancy: 16
; WaveLimiterHint : 0
; COMPUTE_PGM_RSRC2:SCRATCH_EN: 0
; COMPUTE_PGM_RSRC2:USER_SGPR: 2
; COMPUTE_PGM_RSRC2:TRAP_HANDLER: 0
; COMPUTE_PGM_RSRC2:TGID_X_EN: 1
; COMPUTE_PGM_RSRC2:TGID_Y_EN: 0
; COMPUTE_PGM_RSRC2:TGID_Z_EN: 0
; COMPUTE_PGM_RSRC2:TIDIG_COMP_CNT: 0
	.section	.text._ZN7rocprim17ROCPRIM_400000_NS6detail17trampoline_kernelINS0_14default_configENS1_27scan_by_key_config_selectorIisEEZZNS1_16scan_by_key_implILNS1_25lookback_scan_determinismE0ELb1ES3_N6thrust23THRUST_200600_302600_NS6detail15normal_iteratorINS9_10device_ptrIiEEEENSB_INSC_IsEEEESG_sNS9_4plusIvEENS9_8equal_toIvEEsEE10hipError_tPvRmT2_T3_T4_T5_mT6_T7_P12ihipStream_tbENKUlT_T0_E_clISt17integral_constantIbLb1EES10_IbLb0EEEEDaSW_SX_EUlSW_E_NS1_11comp_targetILNS1_3genE10ELNS1_11target_archE1200ELNS1_3gpuE4ELNS1_3repE0EEENS1_30default_config_static_selectorELNS0_4arch9wavefront6targetE0EEEvT1_,"axG",@progbits,_ZN7rocprim17ROCPRIM_400000_NS6detail17trampoline_kernelINS0_14default_configENS1_27scan_by_key_config_selectorIisEEZZNS1_16scan_by_key_implILNS1_25lookback_scan_determinismE0ELb1ES3_N6thrust23THRUST_200600_302600_NS6detail15normal_iteratorINS9_10device_ptrIiEEEENSB_INSC_IsEEEESG_sNS9_4plusIvEENS9_8equal_toIvEEsEE10hipError_tPvRmT2_T3_T4_T5_mT6_T7_P12ihipStream_tbENKUlT_T0_E_clISt17integral_constantIbLb1EES10_IbLb0EEEEDaSW_SX_EUlSW_E_NS1_11comp_targetILNS1_3genE10ELNS1_11target_archE1200ELNS1_3gpuE4ELNS1_3repE0EEENS1_30default_config_static_selectorELNS0_4arch9wavefront6targetE0EEEvT1_,comdat
	.protected	_ZN7rocprim17ROCPRIM_400000_NS6detail17trampoline_kernelINS0_14default_configENS1_27scan_by_key_config_selectorIisEEZZNS1_16scan_by_key_implILNS1_25lookback_scan_determinismE0ELb1ES3_N6thrust23THRUST_200600_302600_NS6detail15normal_iteratorINS9_10device_ptrIiEEEENSB_INSC_IsEEEESG_sNS9_4plusIvEENS9_8equal_toIvEEsEE10hipError_tPvRmT2_T3_T4_T5_mT6_T7_P12ihipStream_tbENKUlT_T0_E_clISt17integral_constantIbLb1EES10_IbLb0EEEEDaSW_SX_EUlSW_E_NS1_11comp_targetILNS1_3genE10ELNS1_11target_archE1200ELNS1_3gpuE4ELNS1_3repE0EEENS1_30default_config_static_selectorELNS0_4arch9wavefront6targetE0EEEvT1_ ; -- Begin function _ZN7rocprim17ROCPRIM_400000_NS6detail17trampoline_kernelINS0_14default_configENS1_27scan_by_key_config_selectorIisEEZZNS1_16scan_by_key_implILNS1_25lookback_scan_determinismE0ELb1ES3_N6thrust23THRUST_200600_302600_NS6detail15normal_iteratorINS9_10device_ptrIiEEEENSB_INSC_IsEEEESG_sNS9_4plusIvEENS9_8equal_toIvEEsEE10hipError_tPvRmT2_T3_T4_T5_mT6_T7_P12ihipStream_tbENKUlT_T0_E_clISt17integral_constantIbLb1EES10_IbLb0EEEEDaSW_SX_EUlSW_E_NS1_11comp_targetILNS1_3genE10ELNS1_11target_archE1200ELNS1_3gpuE4ELNS1_3repE0EEENS1_30default_config_static_selectorELNS0_4arch9wavefront6targetE0EEEvT1_
	.globl	_ZN7rocprim17ROCPRIM_400000_NS6detail17trampoline_kernelINS0_14default_configENS1_27scan_by_key_config_selectorIisEEZZNS1_16scan_by_key_implILNS1_25lookback_scan_determinismE0ELb1ES3_N6thrust23THRUST_200600_302600_NS6detail15normal_iteratorINS9_10device_ptrIiEEEENSB_INSC_IsEEEESG_sNS9_4plusIvEENS9_8equal_toIvEEsEE10hipError_tPvRmT2_T3_T4_T5_mT6_T7_P12ihipStream_tbENKUlT_T0_E_clISt17integral_constantIbLb1EES10_IbLb0EEEEDaSW_SX_EUlSW_E_NS1_11comp_targetILNS1_3genE10ELNS1_11target_archE1200ELNS1_3gpuE4ELNS1_3repE0EEENS1_30default_config_static_selectorELNS0_4arch9wavefront6targetE0EEEvT1_
	.p2align	8
	.type	_ZN7rocprim17ROCPRIM_400000_NS6detail17trampoline_kernelINS0_14default_configENS1_27scan_by_key_config_selectorIisEEZZNS1_16scan_by_key_implILNS1_25lookback_scan_determinismE0ELb1ES3_N6thrust23THRUST_200600_302600_NS6detail15normal_iteratorINS9_10device_ptrIiEEEENSB_INSC_IsEEEESG_sNS9_4plusIvEENS9_8equal_toIvEEsEE10hipError_tPvRmT2_T3_T4_T5_mT6_T7_P12ihipStream_tbENKUlT_T0_E_clISt17integral_constantIbLb1EES10_IbLb0EEEEDaSW_SX_EUlSW_E_NS1_11comp_targetILNS1_3genE10ELNS1_11target_archE1200ELNS1_3gpuE4ELNS1_3repE0EEENS1_30default_config_static_selectorELNS0_4arch9wavefront6targetE0EEEvT1_,@function
_ZN7rocprim17ROCPRIM_400000_NS6detail17trampoline_kernelINS0_14default_configENS1_27scan_by_key_config_selectorIisEEZZNS1_16scan_by_key_implILNS1_25lookback_scan_determinismE0ELb1ES3_N6thrust23THRUST_200600_302600_NS6detail15normal_iteratorINS9_10device_ptrIiEEEENSB_INSC_IsEEEESG_sNS9_4plusIvEENS9_8equal_toIvEEsEE10hipError_tPvRmT2_T3_T4_T5_mT6_T7_P12ihipStream_tbENKUlT_T0_E_clISt17integral_constantIbLb1EES10_IbLb0EEEEDaSW_SX_EUlSW_E_NS1_11comp_targetILNS1_3genE10ELNS1_11target_archE1200ELNS1_3gpuE4ELNS1_3repE0EEENS1_30default_config_static_selectorELNS0_4arch9wavefront6targetE0EEEvT1_: ; @_ZN7rocprim17ROCPRIM_400000_NS6detail17trampoline_kernelINS0_14default_configENS1_27scan_by_key_config_selectorIisEEZZNS1_16scan_by_key_implILNS1_25lookback_scan_determinismE0ELb1ES3_N6thrust23THRUST_200600_302600_NS6detail15normal_iteratorINS9_10device_ptrIiEEEENSB_INSC_IsEEEESG_sNS9_4plusIvEENS9_8equal_toIvEEsEE10hipError_tPvRmT2_T3_T4_T5_mT6_T7_P12ihipStream_tbENKUlT_T0_E_clISt17integral_constantIbLb1EES10_IbLb0EEEEDaSW_SX_EUlSW_E_NS1_11comp_targetILNS1_3genE10ELNS1_11target_archE1200ELNS1_3gpuE4ELNS1_3repE0EEENS1_30default_config_static_selectorELNS0_4arch9wavefront6targetE0EEEvT1_
; %bb.0:
	.section	.rodata,"a",@progbits
	.p2align	6, 0x0
	.amdhsa_kernel _ZN7rocprim17ROCPRIM_400000_NS6detail17trampoline_kernelINS0_14default_configENS1_27scan_by_key_config_selectorIisEEZZNS1_16scan_by_key_implILNS1_25lookback_scan_determinismE0ELb1ES3_N6thrust23THRUST_200600_302600_NS6detail15normal_iteratorINS9_10device_ptrIiEEEENSB_INSC_IsEEEESG_sNS9_4plusIvEENS9_8equal_toIvEEsEE10hipError_tPvRmT2_T3_T4_T5_mT6_T7_P12ihipStream_tbENKUlT_T0_E_clISt17integral_constantIbLb1EES10_IbLb0EEEEDaSW_SX_EUlSW_E_NS1_11comp_targetILNS1_3genE10ELNS1_11target_archE1200ELNS1_3gpuE4ELNS1_3repE0EEENS1_30default_config_static_selectorELNS0_4arch9wavefront6targetE0EEEvT1_
		.amdhsa_group_segment_fixed_size 0
		.amdhsa_private_segment_fixed_size 0
		.amdhsa_kernarg_size 112
		.amdhsa_user_sgpr_count 2
		.amdhsa_user_sgpr_dispatch_ptr 0
		.amdhsa_user_sgpr_queue_ptr 0
		.amdhsa_user_sgpr_kernarg_segment_ptr 1
		.amdhsa_user_sgpr_dispatch_id 0
		.amdhsa_user_sgpr_kernarg_preload_length 0
		.amdhsa_user_sgpr_kernarg_preload_offset 0
		.amdhsa_user_sgpr_private_segment_size 0
		.amdhsa_wavefront_size32 1
		.amdhsa_uses_dynamic_stack 0
		.amdhsa_enable_private_segment 0
		.amdhsa_system_sgpr_workgroup_id_x 1
		.amdhsa_system_sgpr_workgroup_id_y 0
		.amdhsa_system_sgpr_workgroup_id_z 0
		.amdhsa_system_sgpr_workgroup_info 0
		.amdhsa_system_vgpr_workitem_id 0
		.amdhsa_next_free_vgpr 1
		.amdhsa_next_free_sgpr 1
		.amdhsa_named_barrier_count 0
		.amdhsa_reserve_vcc 0
		.amdhsa_float_round_mode_32 0
		.amdhsa_float_round_mode_16_64 0
		.amdhsa_float_denorm_mode_32 3
		.amdhsa_float_denorm_mode_16_64 3
		.amdhsa_fp16_overflow 0
		.amdhsa_memory_ordered 1
		.amdhsa_forward_progress 1
		.amdhsa_inst_pref_size 0
		.amdhsa_round_robin_scheduling 0
		.amdhsa_exception_fp_ieee_invalid_op 0
		.amdhsa_exception_fp_denorm_src 0
		.amdhsa_exception_fp_ieee_div_zero 0
		.amdhsa_exception_fp_ieee_overflow 0
		.amdhsa_exception_fp_ieee_underflow 0
		.amdhsa_exception_fp_ieee_inexact 0
		.amdhsa_exception_int_div_zero 0
	.end_amdhsa_kernel
	.section	.text._ZN7rocprim17ROCPRIM_400000_NS6detail17trampoline_kernelINS0_14default_configENS1_27scan_by_key_config_selectorIisEEZZNS1_16scan_by_key_implILNS1_25lookback_scan_determinismE0ELb1ES3_N6thrust23THRUST_200600_302600_NS6detail15normal_iteratorINS9_10device_ptrIiEEEENSB_INSC_IsEEEESG_sNS9_4plusIvEENS9_8equal_toIvEEsEE10hipError_tPvRmT2_T3_T4_T5_mT6_T7_P12ihipStream_tbENKUlT_T0_E_clISt17integral_constantIbLb1EES10_IbLb0EEEEDaSW_SX_EUlSW_E_NS1_11comp_targetILNS1_3genE10ELNS1_11target_archE1200ELNS1_3gpuE4ELNS1_3repE0EEENS1_30default_config_static_selectorELNS0_4arch9wavefront6targetE0EEEvT1_,"axG",@progbits,_ZN7rocprim17ROCPRIM_400000_NS6detail17trampoline_kernelINS0_14default_configENS1_27scan_by_key_config_selectorIisEEZZNS1_16scan_by_key_implILNS1_25lookback_scan_determinismE0ELb1ES3_N6thrust23THRUST_200600_302600_NS6detail15normal_iteratorINS9_10device_ptrIiEEEENSB_INSC_IsEEEESG_sNS9_4plusIvEENS9_8equal_toIvEEsEE10hipError_tPvRmT2_T3_T4_T5_mT6_T7_P12ihipStream_tbENKUlT_T0_E_clISt17integral_constantIbLb1EES10_IbLb0EEEEDaSW_SX_EUlSW_E_NS1_11comp_targetILNS1_3genE10ELNS1_11target_archE1200ELNS1_3gpuE4ELNS1_3repE0EEENS1_30default_config_static_selectorELNS0_4arch9wavefront6targetE0EEEvT1_,comdat
.Lfunc_end1631:
	.size	_ZN7rocprim17ROCPRIM_400000_NS6detail17trampoline_kernelINS0_14default_configENS1_27scan_by_key_config_selectorIisEEZZNS1_16scan_by_key_implILNS1_25lookback_scan_determinismE0ELb1ES3_N6thrust23THRUST_200600_302600_NS6detail15normal_iteratorINS9_10device_ptrIiEEEENSB_INSC_IsEEEESG_sNS9_4plusIvEENS9_8equal_toIvEEsEE10hipError_tPvRmT2_T3_T4_T5_mT6_T7_P12ihipStream_tbENKUlT_T0_E_clISt17integral_constantIbLb1EES10_IbLb0EEEEDaSW_SX_EUlSW_E_NS1_11comp_targetILNS1_3genE10ELNS1_11target_archE1200ELNS1_3gpuE4ELNS1_3repE0EEENS1_30default_config_static_selectorELNS0_4arch9wavefront6targetE0EEEvT1_, .Lfunc_end1631-_ZN7rocprim17ROCPRIM_400000_NS6detail17trampoline_kernelINS0_14default_configENS1_27scan_by_key_config_selectorIisEEZZNS1_16scan_by_key_implILNS1_25lookback_scan_determinismE0ELb1ES3_N6thrust23THRUST_200600_302600_NS6detail15normal_iteratorINS9_10device_ptrIiEEEENSB_INSC_IsEEEESG_sNS9_4plusIvEENS9_8equal_toIvEEsEE10hipError_tPvRmT2_T3_T4_T5_mT6_T7_P12ihipStream_tbENKUlT_T0_E_clISt17integral_constantIbLb1EES10_IbLb0EEEEDaSW_SX_EUlSW_E_NS1_11comp_targetILNS1_3genE10ELNS1_11target_archE1200ELNS1_3gpuE4ELNS1_3repE0EEENS1_30default_config_static_selectorELNS0_4arch9wavefront6targetE0EEEvT1_
                                        ; -- End function
	.set _ZN7rocprim17ROCPRIM_400000_NS6detail17trampoline_kernelINS0_14default_configENS1_27scan_by_key_config_selectorIisEEZZNS1_16scan_by_key_implILNS1_25lookback_scan_determinismE0ELb1ES3_N6thrust23THRUST_200600_302600_NS6detail15normal_iteratorINS9_10device_ptrIiEEEENSB_INSC_IsEEEESG_sNS9_4plusIvEENS9_8equal_toIvEEsEE10hipError_tPvRmT2_T3_T4_T5_mT6_T7_P12ihipStream_tbENKUlT_T0_E_clISt17integral_constantIbLb1EES10_IbLb0EEEEDaSW_SX_EUlSW_E_NS1_11comp_targetILNS1_3genE10ELNS1_11target_archE1200ELNS1_3gpuE4ELNS1_3repE0EEENS1_30default_config_static_selectorELNS0_4arch9wavefront6targetE0EEEvT1_.num_vgpr, 0
	.set _ZN7rocprim17ROCPRIM_400000_NS6detail17trampoline_kernelINS0_14default_configENS1_27scan_by_key_config_selectorIisEEZZNS1_16scan_by_key_implILNS1_25lookback_scan_determinismE0ELb1ES3_N6thrust23THRUST_200600_302600_NS6detail15normal_iteratorINS9_10device_ptrIiEEEENSB_INSC_IsEEEESG_sNS9_4plusIvEENS9_8equal_toIvEEsEE10hipError_tPvRmT2_T3_T4_T5_mT6_T7_P12ihipStream_tbENKUlT_T0_E_clISt17integral_constantIbLb1EES10_IbLb0EEEEDaSW_SX_EUlSW_E_NS1_11comp_targetILNS1_3genE10ELNS1_11target_archE1200ELNS1_3gpuE4ELNS1_3repE0EEENS1_30default_config_static_selectorELNS0_4arch9wavefront6targetE0EEEvT1_.num_agpr, 0
	.set _ZN7rocprim17ROCPRIM_400000_NS6detail17trampoline_kernelINS0_14default_configENS1_27scan_by_key_config_selectorIisEEZZNS1_16scan_by_key_implILNS1_25lookback_scan_determinismE0ELb1ES3_N6thrust23THRUST_200600_302600_NS6detail15normal_iteratorINS9_10device_ptrIiEEEENSB_INSC_IsEEEESG_sNS9_4plusIvEENS9_8equal_toIvEEsEE10hipError_tPvRmT2_T3_T4_T5_mT6_T7_P12ihipStream_tbENKUlT_T0_E_clISt17integral_constantIbLb1EES10_IbLb0EEEEDaSW_SX_EUlSW_E_NS1_11comp_targetILNS1_3genE10ELNS1_11target_archE1200ELNS1_3gpuE4ELNS1_3repE0EEENS1_30default_config_static_selectorELNS0_4arch9wavefront6targetE0EEEvT1_.numbered_sgpr, 0
	.set _ZN7rocprim17ROCPRIM_400000_NS6detail17trampoline_kernelINS0_14default_configENS1_27scan_by_key_config_selectorIisEEZZNS1_16scan_by_key_implILNS1_25lookback_scan_determinismE0ELb1ES3_N6thrust23THRUST_200600_302600_NS6detail15normal_iteratorINS9_10device_ptrIiEEEENSB_INSC_IsEEEESG_sNS9_4plusIvEENS9_8equal_toIvEEsEE10hipError_tPvRmT2_T3_T4_T5_mT6_T7_P12ihipStream_tbENKUlT_T0_E_clISt17integral_constantIbLb1EES10_IbLb0EEEEDaSW_SX_EUlSW_E_NS1_11comp_targetILNS1_3genE10ELNS1_11target_archE1200ELNS1_3gpuE4ELNS1_3repE0EEENS1_30default_config_static_selectorELNS0_4arch9wavefront6targetE0EEEvT1_.num_named_barrier, 0
	.set _ZN7rocprim17ROCPRIM_400000_NS6detail17trampoline_kernelINS0_14default_configENS1_27scan_by_key_config_selectorIisEEZZNS1_16scan_by_key_implILNS1_25lookback_scan_determinismE0ELb1ES3_N6thrust23THRUST_200600_302600_NS6detail15normal_iteratorINS9_10device_ptrIiEEEENSB_INSC_IsEEEESG_sNS9_4plusIvEENS9_8equal_toIvEEsEE10hipError_tPvRmT2_T3_T4_T5_mT6_T7_P12ihipStream_tbENKUlT_T0_E_clISt17integral_constantIbLb1EES10_IbLb0EEEEDaSW_SX_EUlSW_E_NS1_11comp_targetILNS1_3genE10ELNS1_11target_archE1200ELNS1_3gpuE4ELNS1_3repE0EEENS1_30default_config_static_selectorELNS0_4arch9wavefront6targetE0EEEvT1_.private_seg_size, 0
	.set _ZN7rocprim17ROCPRIM_400000_NS6detail17trampoline_kernelINS0_14default_configENS1_27scan_by_key_config_selectorIisEEZZNS1_16scan_by_key_implILNS1_25lookback_scan_determinismE0ELb1ES3_N6thrust23THRUST_200600_302600_NS6detail15normal_iteratorINS9_10device_ptrIiEEEENSB_INSC_IsEEEESG_sNS9_4plusIvEENS9_8equal_toIvEEsEE10hipError_tPvRmT2_T3_T4_T5_mT6_T7_P12ihipStream_tbENKUlT_T0_E_clISt17integral_constantIbLb1EES10_IbLb0EEEEDaSW_SX_EUlSW_E_NS1_11comp_targetILNS1_3genE10ELNS1_11target_archE1200ELNS1_3gpuE4ELNS1_3repE0EEENS1_30default_config_static_selectorELNS0_4arch9wavefront6targetE0EEEvT1_.uses_vcc, 0
	.set _ZN7rocprim17ROCPRIM_400000_NS6detail17trampoline_kernelINS0_14default_configENS1_27scan_by_key_config_selectorIisEEZZNS1_16scan_by_key_implILNS1_25lookback_scan_determinismE0ELb1ES3_N6thrust23THRUST_200600_302600_NS6detail15normal_iteratorINS9_10device_ptrIiEEEENSB_INSC_IsEEEESG_sNS9_4plusIvEENS9_8equal_toIvEEsEE10hipError_tPvRmT2_T3_T4_T5_mT6_T7_P12ihipStream_tbENKUlT_T0_E_clISt17integral_constantIbLb1EES10_IbLb0EEEEDaSW_SX_EUlSW_E_NS1_11comp_targetILNS1_3genE10ELNS1_11target_archE1200ELNS1_3gpuE4ELNS1_3repE0EEENS1_30default_config_static_selectorELNS0_4arch9wavefront6targetE0EEEvT1_.uses_flat_scratch, 0
	.set _ZN7rocprim17ROCPRIM_400000_NS6detail17trampoline_kernelINS0_14default_configENS1_27scan_by_key_config_selectorIisEEZZNS1_16scan_by_key_implILNS1_25lookback_scan_determinismE0ELb1ES3_N6thrust23THRUST_200600_302600_NS6detail15normal_iteratorINS9_10device_ptrIiEEEENSB_INSC_IsEEEESG_sNS9_4plusIvEENS9_8equal_toIvEEsEE10hipError_tPvRmT2_T3_T4_T5_mT6_T7_P12ihipStream_tbENKUlT_T0_E_clISt17integral_constantIbLb1EES10_IbLb0EEEEDaSW_SX_EUlSW_E_NS1_11comp_targetILNS1_3genE10ELNS1_11target_archE1200ELNS1_3gpuE4ELNS1_3repE0EEENS1_30default_config_static_selectorELNS0_4arch9wavefront6targetE0EEEvT1_.has_dyn_sized_stack, 0
	.set _ZN7rocprim17ROCPRIM_400000_NS6detail17trampoline_kernelINS0_14default_configENS1_27scan_by_key_config_selectorIisEEZZNS1_16scan_by_key_implILNS1_25lookback_scan_determinismE0ELb1ES3_N6thrust23THRUST_200600_302600_NS6detail15normal_iteratorINS9_10device_ptrIiEEEENSB_INSC_IsEEEESG_sNS9_4plusIvEENS9_8equal_toIvEEsEE10hipError_tPvRmT2_T3_T4_T5_mT6_T7_P12ihipStream_tbENKUlT_T0_E_clISt17integral_constantIbLb1EES10_IbLb0EEEEDaSW_SX_EUlSW_E_NS1_11comp_targetILNS1_3genE10ELNS1_11target_archE1200ELNS1_3gpuE4ELNS1_3repE0EEENS1_30default_config_static_selectorELNS0_4arch9wavefront6targetE0EEEvT1_.has_recursion, 0
	.set _ZN7rocprim17ROCPRIM_400000_NS6detail17trampoline_kernelINS0_14default_configENS1_27scan_by_key_config_selectorIisEEZZNS1_16scan_by_key_implILNS1_25lookback_scan_determinismE0ELb1ES3_N6thrust23THRUST_200600_302600_NS6detail15normal_iteratorINS9_10device_ptrIiEEEENSB_INSC_IsEEEESG_sNS9_4plusIvEENS9_8equal_toIvEEsEE10hipError_tPvRmT2_T3_T4_T5_mT6_T7_P12ihipStream_tbENKUlT_T0_E_clISt17integral_constantIbLb1EES10_IbLb0EEEEDaSW_SX_EUlSW_E_NS1_11comp_targetILNS1_3genE10ELNS1_11target_archE1200ELNS1_3gpuE4ELNS1_3repE0EEENS1_30default_config_static_selectorELNS0_4arch9wavefront6targetE0EEEvT1_.has_indirect_call, 0
	.section	.AMDGPU.csdata,"",@progbits
; Kernel info:
; codeLenInByte = 0
; TotalNumSgprs: 0
; NumVgprs: 0
; ScratchSize: 0
; MemoryBound: 0
; FloatMode: 240
; IeeeMode: 1
; LDSByteSize: 0 bytes/workgroup (compile time only)
; SGPRBlocks: 0
; VGPRBlocks: 0
; NumSGPRsForWavesPerEU: 1
; NumVGPRsForWavesPerEU: 1
; NamedBarCnt: 0
; Occupancy: 16
; WaveLimiterHint : 0
; COMPUTE_PGM_RSRC2:SCRATCH_EN: 0
; COMPUTE_PGM_RSRC2:USER_SGPR: 2
; COMPUTE_PGM_RSRC2:TRAP_HANDLER: 0
; COMPUTE_PGM_RSRC2:TGID_X_EN: 1
; COMPUTE_PGM_RSRC2:TGID_Y_EN: 0
; COMPUTE_PGM_RSRC2:TGID_Z_EN: 0
; COMPUTE_PGM_RSRC2:TIDIG_COMP_CNT: 0
	.section	.text._ZN7rocprim17ROCPRIM_400000_NS6detail17trampoline_kernelINS0_14default_configENS1_27scan_by_key_config_selectorIisEEZZNS1_16scan_by_key_implILNS1_25lookback_scan_determinismE0ELb1ES3_N6thrust23THRUST_200600_302600_NS6detail15normal_iteratorINS9_10device_ptrIiEEEENSB_INSC_IsEEEESG_sNS9_4plusIvEENS9_8equal_toIvEEsEE10hipError_tPvRmT2_T3_T4_T5_mT6_T7_P12ihipStream_tbENKUlT_T0_E_clISt17integral_constantIbLb1EES10_IbLb0EEEEDaSW_SX_EUlSW_E_NS1_11comp_targetILNS1_3genE9ELNS1_11target_archE1100ELNS1_3gpuE3ELNS1_3repE0EEENS1_30default_config_static_selectorELNS0_4arch9wavefront6targetE0EEEvT1_,"axG",@progbits,_ZN7rocprim17ROCPRIM_400000_NS6detail17trampoline_kernelINS0_14default_configENS1_27scan_by_key_config_selectorIisEEZZNS1_16scan_by_key_implILNS1_25lookback_scan_determinismE0ELb1ES3_N6thrust23THRUST_200600_302600_NS6detail15normal_iteratorINS9_10device_ptrIiEEEENSB_INSC_IsEEEESG_sNS9_4plusIvEENS9_8equal_toIvEEsEE10hipError_tPvRmT2_T3_T4_T5_mT6_T7_P12ihipStream_tbENKUlT_T0_E_clISt17integral_constantIbLb1EES10_IbLb0EEEEDaSW_SX_EUlSW_E_NS1_11comp_targetILNS1_3genE9ELNS1_11target_archE1100ELNS1_3gpuE3ELNS1_3repE0EEENS1_30default_config_static_selectorELNS0_4arch9wavefront6targetE0EEEvT1_,comdat
	.protected	_ZN7rocprim17ROCPRIM_400000_NS6detail17trampoline_kernelINS0_14default_configENS1_27scan_by_key_config_selectorIisEEZZNS1_16scan_by_key_implILNS1_25lookback_scan_determinismE0ELb1ES3_N6thrust23THRUST_200600_302600_NS6detail15normal_iteratorINS9_10device_ptrIiEEEENSB_INSC_IsEEEESG_sNS9_4plusIvEENS9_8equal_toIvEEsEE10hipError_tPvRmT2_T3_T4_T5_mT6_T7_P12ihipStream_tbENKUlT_T0_E_clISt17integral_constantIbLb1EES10_IbLb0EEEEDaSW_SX_EUlSW_E_NS1_11comp_targetILNS1_3genE9ELNS1_11target_archE1100ELNS1_3gpuE3ELNS1_3repE0EEENS1_30default_config_static_selectorELNS0_4arch9wavefront6targetE0EEEvT1_ ; -- Begin function _ZN7rocprim17ROCPRIM_400000_NS6detail17trampoline_kernelINS0_14default_configENS1_27scan_by_key_config_selectorIisEEZZNS1_16scan_by_key_implILNS1_25lookback_scan_determinismE0ELb1ES3_N6thrust23THRUST_200600_302600_NS6detail15normal_iteratorINS9_10device_ptrIiEEEENSB_INSC_IsEEEESG_sNS9_4plusIvEENS9_8equal_toIvEEsEE10hipError_tPvRmT2_T3_T4_T5_mT6_T7_P12ihipStream_tbENKUlT_T0_E_clISt17integral_constantIbLb1EES10_IbLb0EEEEDaSW_SX_EUlSW_E_NS1_11comp_targetILNS1_3genE9ELNS1_11target_archE1100ELNS1_3gpuE3ELNS1_3repE0EEENS1_30default_config_static_selectorELNS0_4arch9wavefront6targetE0EEEvT1_
	.globl	_ZN7rocprim17ROCPRIM_400000_NS6detail17trampoline_kernelINS0_14default_configENS1_27scan_by_key_config_selectorIisEEZZNS1_16scan_by_key_implILNS1_25lookback_scan_determinismE0ELb1ES3_N6thrust23THRUST_200600_302600_NS6detail15normal_iteratorINS9_10device_ptrIiEEEENSB_INSC_IsEEEESG_sNS9_4plusIvEENS9_8equal_toIvEEsEE10hipError_tPvRmT2_T3_T4_T5_mT6_T7_P12ihipStream_tbENKUlT_T0_E_clISt17integral_constantIbLb1EES10_IbLb0EEEEDaSW_SX_EUlSW_E_NS1_11comp_targetILNS1_3genE9ELNS1_11target_archE1100ELNS1_3gpuE3ELNS1_3repE0EEENS1_30default_config_static_selectorELNS0_4arch9wavefront6targetE0EEEvT1_
	.p2align	8
	.type	_ZN7rocprim17ROCPRIM_400000_NS6detail17trampoline_kernelINS0_14default_configENS1_27scan_by_key_config_selectorIisEEZZNS1_16scan_by_key_implILNS1_25lookback_scan_determinismE0ELb1ES3_N6thrust23THRUST_200600_302600_NS6detail15normal_iteratorINS9_10device_ptrIiEEEENSB_INSC_IsEEEESG_sNS9_4plusIvEENS9_8equal_toIvEEsEE10hipError_tPvRmT2_T3_T4_T5_mT6_T7_P12ihipStream_tbENKUlT_T0_E_clISt17integral_constantIbLb1EES10_IbLb0EEEEDaSW_SX_EUlSW_E_NS1_11comp_targetILNS1_3genE9ELNS1_11target_archE1100ELNS1_3gpuE3ELNS1_3repE0EEENS1_30default_config_static_selectorELNS0_4arch9wavefront6targetE0EEEvT1_,@function
_ZN7rocprim17ROCPRIM_400000_NS6detail17trampoline_kernelINS0_14default_configENS1_27scan_by_key_config_selectorIisEEZZNS1_16scan_by_key_implILNS1_25lookback_scan_determinismE0ELb1ES3_N6thrust23THRUST_200600_302600_NS6detail15normal_iteratorINS9_10device_ptrIiEEEENSB_INSC_IsEEEESG_sNS9_4plusIvEENS9_8equal_toIvEEsEE10hipError_tPvRmT2_T3_T4_T5_mT6_T7_P12ihipStream_tbENKUlT_T0_E_clISt17integral_constantIbLb1EES10_IbLb0EEEEDaSW_SX_EUlSW_E_NS1_11comp_targetILNS1_3genE9ELNS1_11target_archE1100ELNS1_3gpuE3ELNS1_3repE0EEENS1_30default_config_static_selectorELNS0_4arch9wavefront6targetE0EEEvT1_: ; @_ZN7rocprim17ROCPRIM_400000_NS6detail17trampoline_kernelINS0_14default_configENS1_27scan_by_key_config_selectorIisEEZZNS1_16scan_by_key_implILNS1_25lookback_scan_determinismE0ELb1ES3_N6thrust23THRUST_200600_302600_NS6detail15normal_iteratorINS9_10device_ptrIiEEEENSB_INSC_IsEEEESG_sNS9_4plusIvEENS9_8equal_toIvEEsEE10hipError_tPvRmT2_T3_T4_T5_mT6_T7_P12ihipStream_tbENKUlT_T0_E_clISt17integral_constantIbLb1EES10_IbLb0EEEEDaSW_SX_EUlSW_E_NS1_11comp_targetILNS1_3genE9ELNS1_11target_archE1100ELNS1_3gpuE3ELNS1_3repE0EEENS1_30default_config_static_selectorELNS0_4arch9wavefront6targetE0EEEvT1_
; %bb.0:
	.section	.rodata,"a",@progbits
	.p2align	6, 0x0
	.amdhsa_kernel _ZN7rocprim17ROCPRIM_400000_NS6detail17trampoline_kernelINS0_14default_configENS1_27scan_by_key_config_selectorIisEEZZNS1_16scan_by_key_implILNS1_25lookback_scan_determinismE0ELb1ES3_N6thrust23THRUST_200600_302600_NS6detail15normal_iteratorINS9_10device_ptrIiEEEENSB_INSC_IsEEEESG_sNS9_4plusIvEENS9_8equal_toIvEEsEE10hipError_tPvRmT2_T3_T4_T5_mT6_T7_P12ihipStream_tbENKUlT_T0_E_clISt17integral_constantIbLb1EES10_IbLb0EEEEDaSW_SX_EUlSW_E_NS1_11comp_targetILNS1_3genE9ELNS1_11target_archE1100ELNS1_3gpuE3ELNS1_3repE0EEENS1_30default_config_static_selectorELNS0_4arch9wavefront6targetE0EEEvT1_
		.amdhsa_group_segment_fixed_size 0
		.amdhsa_private_segment_fixed_size 0
		.amdhsa_kernarg_size 112
		.amdhsa_user_sgpr_count 2
		.amdhsa_user_sgpr_dispatch_ptr 0
		.amdhsa_user_sgpr_queue_ptr 0
		.amdhsa_user_sgpr_kernarg_segment_ptr 1
		.amdhsa_user_sgpr_dispatch_id 0
		.amdhsa_user_sgpr_kernarg_preload_length 0
		.amdhsa_user_sgpr_kernarg_preload_offset 0
		.amdhsa_user_sgpr_private_segment_size 0
		.amdhsa_wavefront_size32 1
		.amdhsa_uses_dynamic_stack 0
		.amdhsa_enable_private_segment 0
		.amdhsa_system_sgpr_workgroup_id_x 1
		.amdhsa_system_sgpr_workgroup_id_y 0
		.amdhsa_system_sgpr_workgroup_id_z 0
		.amdhsa_system_sgpr_workgroup_info 0
		.amdhsa_system_vgpr_workitem_id 0
		.amdhsa_next_free_vgpr 1
		.amdhsa_next_free_sgpr 1
		.amdhsa_named_barrier_count 0
		.amdhsa_reserve_vcc 0
		.amdhsa_float_round_mode_32 0
		.amdhsa_float_round_mode_16_64 0
		.amdhsa_float_denorm_mode_32 3
		.amdhsa_float_denorm_mode_16_64 3
		.amdhsa_fp16_overflow 0
		.amdhsa_memory_ordered 1
		.amdhsa_forward_progress 1
		.amdhsa_inst_pref_size 0
		.amdhsa_round_robin_scheduling 0
		.amdhsa_exception_fp_ieee_invalid_op 0
		.amdhsa_exception_fp_denorm_src 0
		.amdhsa_exception_fp_ieee_div_zero 0
		.amdhsa_exception_fp_ieee_overflow 0
		.amdhsa_exception_fp_ieee_underflow 0
		.amdhsa_exception_fp_ieee_inexact 0
		.amdhsa_exception_int_div_zero 0
	.end_amdhsa_kernel
	.section	.text._ZN7rocprim17ROCPRIM_400000_NS6detail17trampoline_kernelINS0_14default_configENS1_27scan_by_key_config_selectorIisEEZZNS1_16scan_by_key_implILNS1_25lookback_scan_determinismE0ELb1ES3_N6thrust23THRUST_200600_302600_NS6detail15normal_iteratorINS9_10device_ptrIiEEEENSB_INSC_IsEEEESG_sNS9_4plusIvEENS9_8equal_toIvEEsEE10hipError_tPvRmT2_T3_T4_T5_mT6_T7_P12ihipStream_tbENKUlT_T0_E_clISt17integral_constantIbLb1EES10_IbLb0EEEEDaSW_SX_EUlSW_E_NS1_11comp_targetILNS1_3genE9ELNS1_11target_archE1100ELNS1_3gpuE3ELNS1_3repE0EEENS1_30default_config_static_selectorELNS0_4arch9wavefront6targetE0EEEvT1_,"axG",@progbits,_ZN7rocprim17ROCPRIM_400000_NS6detail17trampoline_kernelINS0_14default_configENS1_27scan_by_key_config_selectorIisEEZZNS1_16scan_by_key_implILNS1_25lookback_scan_determinismE0ELb1ES3_N6thrust23THRUST_200600_302600_NS6detail15normal_iteratorINS9_10device_ptrIiEEEENSB_INSC_IsEEEESG_sNS9_4plusIvEENS9_8equal_toIvEEsEE10hipError_tPvRmT2_T3_T4_T5_mT6_T7_P12ihipStream_tbENKUlT_T0_E_clISt17integral_constantIbLb1EES10_IbLb0EEEEDaSW_SX_EUlSW_E_NS1_11comp_targetILNS1_3genE9ELNS1_11target_archE1100ELNS1_3gpuE3ELNS1_3repE0EEENS1_30default_config_static_selectorELNS0_4arch9wavefront6targetE0EEEvT1_,comdat
.Lfunc_end1632:
	.size	_ZN7rocprim17ROCPRIM_400000_NS6detail17trampoline_kernelINS0_14default_configENS1_27scan_by_key_config_selectorIisEEZZNS1_16scan_by_key_implILNS1_25lookback_scan_determinismE0ELb1ES3_N6thrust23THRUST_200600_302600_NS6detail15normal_iteratorINS9_10device_ptrIiEEEENSB_INSC_IsEEEESG_sNS9_4plusIvEENS9_8equal_toIvEEsEE10hipError_tPvRmT2_T3_T4_T5_mT6_T7_P12ihipStream_tbENKUlT_T0_E_clISt17integral_constantIbLb1EES10_IbLb0EEEEDaSW_SX_EUlSW_E_NS1_11comp_targetILNS1_3genE9ELNS1_11target_archE1100ELNS1_3gpuE3ELNS1_3repE0EEENS1_30default_config_static_selectorELNS0_4arch9wavefront6targetE0EEEvT1_, .Lfunc_end1632-_ZN7rocprim17ROCPRIM_400000_NS6detail17trampoline_kernelINS0_14default_configENS1_27scan_by_key_config_selectorIisEEZZNS1_16scan_by_key_implILNS1_25lookback_scan_determinismE0ELb1ES3_N6thrust23THRUST_200600_302600_NS6detail15normal_iteratorINS9_10device_ptrIiEEEENSB_INSC_IsEEEESG_sNS9_4plusIvEENS9_8equal_toIvEEsEE10hipError_tPvRmT2_T3_T4_T5_mT6_T7_P12ihipStream_tbENKUlT_T0_E_clISt17integral_constantIbLb1EES10_IbLb0EEEEDaSW_SX_EUlSW_E_NS1_11comp_targetILNS1_3genE9ELNS1_11target_archE1100ELNS1_3gpuE3ELNS1_3repE0EEENS1_30default_config_static_selectorELNS0_4arch9wavefront6targetE0EEEvT1_
                                        ; -- End function
	.set _ZN7rocprim17ROCPRIM_400000_NS6detail17trampoline_kernelINS0_14default_configENS1_27scan_by_key_config_selectorIisEEZZNS1_16scan_by_key_implILNS1_25lookback_scan_determinismE0ELb1ES3_N6thrust23THRUST_200600_302600_NS6detail15normal_iteratorINS9_10device_ptrIiEEEENSB_INSC_IsEEEESG_sNS9_4plusIvEENS9_8equal_toIvEEsEE10hipError_tPvRmT2_T3_T4_T5_mT6_T7_P12ihipStream_tbENKUlT_T0_E_clISt17integral_constantIbLb1EES10_IbLb0EEEEDaSW_SX_EUlSW_E_NS1_11comp_targetILNS1_3genE9ELNS1_11target_archE1100ELNS1_3gpuE3ELNS1_3repE0EEENS1_30default_config_static_selectorELNS0_4arch9wavefront6targetE0EEEvT1_.num_vgpr, 0
	.set _ZN7rocprim17ROCPRIM_400000_NS6detail17trampoline_kernelINS0_14default_configENS1_27scan_by_key_config_selectorIisEEZZNS1_16scan_by_key_implILNS1_25lookback_scan_determinismE0ELb1ES3_N6thrust23THRUST_200600_302600_NS6detail15normal_iteratorINS9_10device_ptrIiEEEENSB_INSC_IsEEEESG_sNS9_4plusIvEENS9_8equal_toIvEEsEE10hipError_tPvRmT2_T3_T4_T5_mT6_T7_P12ihipStream_tbENKUlT_T0_E_clISt17integral_constantIbLb1EES10_IbLb0EEEEDaSW_SX_EUlSW_E_NS1_11comp_targetILNS1_3genE9ELNS1_11target_archE1100ELNS1_3gpuE3ELNS1_3repE0EEENS1_30default_config_static_selectorELNS0_4arch9wavefront6targetE0EEEvT1_.num_agpr, 0
	.set _ZN7rocprim17ROCPRIM_400000_NS6detail17trampoline_kernelINS0_14default_configENS1_27scan_by_key_config_selectorIisEEZZNS1_16scan_by_key_implILNS1_25lookback_scan_determinismE0ELb1ES3_N6thrust23THRUST_200600_302600_NS6detail15normal_iteratorINS9_10device_ptrIiEEEENSB_INSC_IsEEEESG_sNS9_4plusIvEENS9_8equal_toIvEEsEE10hipError_tPvRmT2_T3_T4_T5_mT6_T7_P12ihipStream_tbENKUlT_T0_E_clISt17integral_constantIbLb1EES10_IbLb0EEEEDaSW_SX_EUlSW_E_NS1_11comp_targetILNS1_3genE9ELNS1_11target_archE1100ELNS1_3gpuE3ELNS1_3repE0EEENS1_30default_config_static_selectorELNS0_4arch9wavefront6targetE0EEEvT1_.numbered_sgpr, 0
	.set _ZN7rocprim17ROCPRIM_400000_NS6detail17trampoline_kernelINS0_14default_configENS1_27scan_by_key_config_selectorIisEEZZNS1_16scan_by_key_implILNS1_25lookback_scan_determinismE0ELb1ES3_N6thrust23THRUST_200600_302600_NS6detail15normal_iteratorINS9_10device_ptrIiEEEENSB_INSC_IsEEEESG_sNS9_4plusIvEENS9_8equal_toIvEEsEE10hipError_tPvRmT2_T3_T4_T5_mT6_T7_P12ihipStream_tbENKUlT_T0_E_clISt17integral_constantIbLb1EES10_IbLb0EEEEDaSW_SX_EUlSW_E_NS1_11comp_targetILNS1_3genE9ELNS1_11target_archE1100ELNS1_3gpuE3ELNS1_3repE0EEENS1_30default_config_static_selectorELNS0_4arch9wavefront6targetE0EEEvT1_.num_named_barrier, 0
	.set _ZN7rocprim17ROCPRIM_400000_NS6detail17trampoline_kernelINS0_14default_configENS1_27scan_by_key_config_selectorIisEEZZNS1_16scan_by_key_implILNS1_25lookback_scan_determinismE0ELb1ES3_N6thrust23THRUST_200600_302600_NS6detail15normal_iteratorINS9_10device_ptrIiEEEENSB_INSC_IsEEEESG_sNS9_4plusIvEENS9_8equal_toIvEEsEE10hipError_tPvRmT2_T3_T4_T5_mT6_T7_P12ihipStream_tbENKUlT_T0_E_clISt17integral_constantIbLb1EES10_IbLb0EEEEDaSW_SX_EUlSW_E_NS1_11comp_targetILNS1_3genE9ELNS1_11target_archE1100ELNS1_3gpuE3ELNS1_3repE0EEENS1_30default_config_static_selectorELNS0_4arch9wavefront6targetE0EEEvT1_.private_seg_size, 0
	.set _ZN7rocprim17ROCPRIM_400000_NS6detail17trampoline_kernelINS0_14default_configENS1_27scan_by_key_config_selectorIisEEZZNS1_16scan_by_key_implILNS1_25lookback_scan_determinismE0ELb1ES3_N6thrust23THRUST_200600_302600_NS6detail15normal_iteratorINS9_10device_ptrIiEEEENSB_INSC_IsEEEESG_sNS9_4plusIvEENS9_8equal_toIvEEsEE10hipError_tPvRmT2_T3_T4_T5_mT6_T7_P12ihipStream_tbENKUlT_T0_E_clISt17integral_constantIbLb1EES10_IbLb0EEEEDaSW_SX_EUlSW_E_NS1_11comp_targetILNS1_3genE9ELNS1_11target_archE1100ELNS1_3gpuE3ELNS1_3repE0EEENS1_30default_config_static_selectorELNS0_4arch9wavefront6targetE0EEEvT1_.uses_vcc, 0
	.set _ZN7rocprim17ROCPRIM_400000_NS6detail17trampoline_kernelINS0_14default_configENS1_27scan_by_key_config_selectorIisEEZZNS1_16scan_by_key_implILNS1_25lookback_scan_determinismE0ELb1ES3_N6thrust23THRUST_200600_302600_NS6detail15normal_iteratorINS9_10device_ptrIiEEEENSB_INSC_IsEEEESG_sNS9_4plusIvEENS9_8equal_toIvEEsEE10hipError_tPvRmT2_T3_T4_T5_mT6_T7_P12ihipStream_tbENKUlT_T0_E_clISt17integral_constantIbLb1EES10_IbLb0EEEEDaSW_SX_EUlSW_E_NS1_11comp_targetILNS1_3genE9ELNS1_11target_archE1100ELNS1_3gpuE3ELNS1_3repE0EEENS1_30default_config_static_selectorELNS0_4arch9wavefront6targetE0EEEvT1_.uses_flat_scratch, 0
	.set _ZN7rocprim17ROCPRIM_400000_NS6detail17trampoline_kernelINS0_14default_configENS1_27scan_by_key_config_selectorIisEEZZNS1_16scan_by_key_implILNS1_25lookback_scan_determinismE0ELb1ES3_N6thrust23THRUST_200600_302600_NS6detail15normal_iteratorINS9_10device_ptrIiEEEENSB_INSC_IsEEEESG_sNS9_4plusIvEENS9_8equal_toIvEEsEE10hipError_tPvRmT2_T3_T4_T5_mT6_T7_P12ihipStream_tbENKUlT_T0_E_clISt17integral_constantIbLb1EES10_IbLb0EEEEDaSW_SX_EUlSW_E_NS1_11comp_targetILNS1_3genE9ELNS1_11target_archE1100ELNS1_3gpuE3ELNS1_3repE0EEENS1_30default_config_static_selectorELNS0_4arch9wavefront6targetE0EEEvT1_.has_dyn_sized_stack, 0
	.set _ZN7rocprim17ROCPRIM_400000_NS6detail17trampoline_kernelINS0_14default_configENS1_27scan_by_key_config_selectorIisEEZZNS1_16scan_by_key_implILNS1_25lookback_scan_determinismE0ELb1ES3_N6thrust23THRUST_200600_302600_NS6detail15normal_iteratorINS9_10device_ptrIiEEEENSB_INSC_IsEEEESG_sNS9_4plusIvEENS9_8equal_toIvEEsEE10hipError_tPvRmT2_T3_T4_T5_mT6_T7_P12ihipStream_tbENKUlT_T0_E_clISt17integral_constantIbLb1EES10_IbLb0EEEEDaSW_SX_EUlSW_E_NS1_11comp_targetILNS1_3genE9ELNS1_11target_archE1100ELNS1_3gpuE3ELNS1_3repE0EEENS1_30default_config_static_selectorELNS0_4arch9wavefront6targetE0EEEvT1_.has_recursion, 0
	.set _ZN7rocprim17ROCPRIM_400000_NS6detail17trampoline_kernelINS0_14default_configENS1_27scan_by_key_config_selectorIisEEZZNS1_16scan_by_key_implILNS1_25lookback_scan_determinismE0ELb1ES3_N6thrust23THRUST_200600_302600_NS6detail15normal_iteratorINS9_10device_ptrIiEEEENSB_INSC_IsEEEESG_sNS9_4plusIvEENS9_8equal_toIvEEsEE10hipError_tPvRmT2_T3_T4_T5_mT6_T7_P12ihipStream_tbENKUlT_T0_E_clISt17integral_constantIbLb1EES10_IbLb0EEEEDaSW_SX_EUlSW_E_NS1_11comp_targetILNS1_3genE9ELNS1_11target_archE1100ELNS1_3gpuE3ELNS1_3repE0EEENS1_30default_config_static_selectorELNS0_4arch9wavefront6targetE0EEEvT1_.has_indirect_call, 0
	.section	.AMDGPU.csdata,"",@progbits
; Kernel info:
; codeLenInByte = 0
; TotalNumSgprs: 0
; NumVgprs: 0
; ScratchSize: 0
; MemoryBound: 0
; FloatMode: 240
; IeeeMode: 1
; LDSByteSize: 0 bytes/workgroup (compile time only)
; SGPRBlocks: 0
; VGPRBlocks: 0
; NumSGPRsForWavesPerEU: 1
; NumVGPRsForWavesPerEU: 1
; NamedBarCnt: 0
; Occupancy: 16
; WaveLimiterHint : 0
; COMPUTE_PGM_RSRC2:SCRATCH_EN: 0
; COMPUTE_PGM_RSRC2:USER_SGPR: 2
; COMPUTE_PGM_RSRC2:TRAP_HANDLER: 0
; COMPUTE_PGM_RSRC2:TGID_X_EN: 1
; COMPUTE_PGM_RSRC2:TGID_Y_EN: 0
; COMPUTE_PGM_RSRC2:TGID_Z_EN: 0
; COMPUTE_PGM_RSRC2:TIDIG_COMP_CNT: 0
	.section	.text._ZN7rocprim17ROCPRIM_400000_NS6detail17trampoline_kernelINS0_14default_configENS1_27scan_by_key_config_selectorIisEEZZNS1_16scan_by_key_implILNS1_25lookback_scan_determinismE0ELb1ES3_N6thrust23THRUST_200600_302600_NS6detail15normal_iteratorINS9_10device_ptrIiEEEENSB_INSC_IsEEEESG_sNS9_4plusIvEENS9_8equal_toIvEEsEE10hipError_tPvRmT2_T3_T4_T5_mT6_T7_P12ihipStream_tbENKUlT_T0_E_clISt17integral_constantIbLb1EES10_IbLb0EEEEDaSW_SX_EUlSW_E_NS1_11comp_targetILNS1_3genE8ELNS1_11target_archE1030ELNS1_3gpuE2ELNS1_3repE0EEENS1_30default_config_static_selectorELNS0_4arch9wavefront6targetE0EEEvT1_,"axG",@progbits,_ZN7rocprim17ROCPRIM_400000_NS6detail17trampoline_kernelINS0_14default_configENS1_27scan_by_key_config_selectorIisEEZZNS1_16scan_by_key_implILNS1_25lookback_scan_determinismE0ELb1ES3_N6thrust23THRUST_200600_302600_NS6detail15normal_iteratorINS9_10device_ptrIiEEEENSB_INSC_IsEEEESG_sNS9_4plusIvEENS9_8equal_toIvEEsEE10hipError_tPvRmT2_T3_T4_T5_mT6_T7_P12ihipStream_tbENKUlT_T0_E_clISt17integral_constantIbLb1EES10_IbLb0EEEEDaSW_SX_EUlSW_E_NS1_11comp_targetILNS1_3genE8ELNS1_11target_archE1030ELNS1_3gpuE2ELNS1_3repE0EEENS1_30default_config_static_selectorELNS0_4arch9wavefront6targetE0EEEvT1_,comdat
	.protected	_ZN7rocprim17ROCPRIM_400000_NS6detail17trampoline_kernelINS0_14default_configENS1_27scan_by_key_config_selectorIisEEZZNS1_16scan_by_key_implILNS1_25lookback_scan_determinismE0ELb1ES3_N6thrust23THRUST_200600_302600_NS6detail15normal_iteratorINS9_10device_ptrIiEEEENSB_INSC_IsEEEESG_sNS9_4plusIvEENS9_8equal_toIvEEsEE10hipError_tPvRmT2_T3_T4_T5_mT6_T7_P12ihipStream_tbENKUlT_T0_E_clISt17integral_constantIbLb1EES10_IbLb0EEEEDaSW_SX_EUlSW_E_NS1_11comp_targetILNS1_3genE8ELNS1_11target_archE1030ELNS1_3gpuE2ELNS1_3repE0EEENS1_30default_config_static_selectorELNS0_4arch9wavefront6targetE0EEEvT1_ ; -- Begin function _ZN7rocprim17ROCPRIM_400000_NS6detail17trampoline_kernelINS0_14default_configENS1_27scan_by_key_config_selectorIisEEZZNS1_16scan_by_key_implILNS1_25lookback_scan_determinismE0ELb1ES3_N6thrust23THRUST_200600_302600_NS6detail15normal_iteratorINS9_10device_ptrIiEEEENSB_INSC_IsEEEESG_sNS9_4plusIvEENS9_8equal_toIvEEsEE10hipError_tPvRmT2_T3_T4_T5_mT6_T7_P12ihipStream_tbENKUlT_T0_E_clISt17integral_constantIbLb1EES10_IbLb0EEEEDaSW_SX_EUlSW_E_NS1_11comp_targetILNS1_3genE8ELNS1_11target_archE1030ELNS1_3gpuE2ELNS1_3repE0EEENS1_30default_config_static_selectorELNS0_4arch9wavefront6targetE0EEEvT1_
	.globl	_ZN7rocprim17ROCPRIM_400000_NS6detail17trampoline_kernelINS0_14default_configENS1_27scan_by_key_config_selectorIisEEZZNS1_16scan_by_key_implILNS1_25lookback_scan_determinismE0ELb1ES3_N6thrust23THRUST_200600_302600_NS6detail15normal_iteratorINS9_10device_ptrIiEEEENSB_INSC_IsEEEESG_sNS9_4plusIvEENS9_8equal_toIvEEsEE10hipError_tPvRmT2_T3_T4_T5_mT6_T7_P12ihipStream_tbENKUlT_T0_E_clISt17integral_constantIbLb1EES10_IbLb0EEEEDaSW_SX_EUlSW_E_NS1_11comp_targetILNS1_3genE8ELNS1_11target_archE1030ELNS1_3gpuE2ELNS1_3repE0EEENS1_30default_config_static_selectorELNS0_4arch9wavefront6targetE0EEEvT1_
	.p2align	8
	.type	_ZN7rocprim17ROCPRIM_400000_NS6detail17trampoline_kernelINS0_14default_configENS1_27scan_by_key_config_selectorIisEEZZNS1_16scan_by_key_implILNS1_25lookback_scan_determinismE0ELb1ES3_N6thrust23THRUST_200600_302600_NS6detail15normal_iteratorINS9_10device_ptrIiEEEENSB_INSC_IsEEEESG_sNS9_4plusIvEENS9_8equal_toIvEEsEE10hipError_tPvRmT2_T3_T4_T5_mT6_T7_P12ihipStream_tbENKUlT_T0_E_clISt17integral_constantIbLb1EES10_IbLb0EEEEDaSW_SX_EUlSW_E_NS1_11comp_targetILNS1_3genE8ELNS1_11target_archE1030ELNS1_3gpuE2ELNS1_3repE0EEENS1_30default_config_static_selectorELNS0_4arch9wavefront6targetE0EEEvT1_,@function
_ZN7rocprim17ROCPRIM_400000_NS6detail17trampoline_kernelINS0_14default_configENS1_27scan_by_key_config_selectorIisEEZZNS1_16scan_by_key_implILNS1_25lookback_scan_determinismE0ELb1ES3_N6thrust23THRUST_200600_302600_NS6detail15normal_iteratorINS9_10device_ptrIiEEEENSB_INSC_IsEEEESG_sNS9_4plusIvEENS9_8equal_toIvEEsEE10hipError_tPvRmT2_T3_T4_T5_mT6_T7_P12ihipStream_tbENKUlT_T0_E_clISt17integral_constantIbLb1EES10_IbLb0EEEEDaSW_SX_EUlSW_E_NS1_11comp_targetILNS1_3genE8ELNS1_11target_archE1030ELNS1_3gpuE2ELNS1_3repE0EEENS1_30default_config_static_selectorELNS0_4arch9wavefront6targetE0EEEvT1_: ; @_ZN7rocprim17ROCPRIM_400000_NS6detail17trampoline_kernelINS0_14default_configENS1_27scan_by_key_config_selectorIisEEZZNS1_16scan_by_key_implILNS1_25lookback_scan_determinismE0ELb1ES3_N6thrust23THRUST_200600_302600_NS6detail15normal_iteratorINS9_10device_ptrIiEEEENSB_INSC_IsEEEESG_sNS9_4plusIvEENS9_8equal_toIvEEsEE10hipError_tPvRmT2_T3_T4_T5_mT6_T7_P12ihipStream_tbENKUlT_T0_E_clISt17integral_constantIbLb1EES10_IbLb0EEEEDaSW_SX_EUlSW_E_NS1_11comp_targetILNS1_3genE8ELNS1_11target_archE1030ELNS1_3gpuE2ELNS1_3repE0EEENS1_30default_config_static_selectorELNS0_4arch9wavefront6targetE0EEEvT1_
; %bb.0:
	.section	.rodata,"a",@progbits
	.p2align	6, 0x0
	.amdhsa_kernel _ZN7rocprim17ROCPRIM_400000_NS6detail17trampoline_kernelINS0_14default_configENS1_27scan_by_key_config_selectorIisEEZZNS1_16scan_by_key_implILNS1_25lookback_scan_determinismE0ELb1ES3_N6thrust23THRUST_200600_302600_NS6detail15normal_iteratorINS9_10device_ptrIiEEEENSB_INSC_IsEEEESG_sNS9_4plusIvEENS9_8equal_toIvEEsEE10hipError_tPvRmT2_T3_T4_T5_mT6_T7_P12ihipStream_tbENKUlT_T0_E_clISt17integral_constantIbLb1EES10_IbLb0EEEEDaSW_SX_EUlSW_E_NS1_11comp_targetILNS1_3genE8ELNS1_11target_archE1030ELNS1_3gpuE2ELNS1_3repE0EEENS1_30default_config_static_selectorELNS0_4arch9wavefront6targetE0EEEvT1_
		.amdhsa_group_segment_fixed_size 0
		.amdhsa_private_segment_fixed_size 0
		.amdhsa_kernarg_size 112
		.amdhsa_user_sgpr_count 2
		.amdhsa_user_sgpr_dispatch_ptr 0
		.amdhsa_user_sgpr_queue_ptr 0
		.amdhsa_user_sgpr_kernarg_segment_ptr 1
		.amdhsa_user_sgpr_dispatch_id 0
		.amdhsa_user_sgpr_kernarg_preload_length 0
		.amdhsa_user_sgpr_kernarg_preload_offset 0
		.amdhsa_user_sgpr_private_segment_size 0
		.amdhsa_wavefront_size32 1
		.amdhsa_uses_dynamic_stack 0
		.amdhsa_enable_private_segment 0
		.amdhsa_system_sgpr_workgroup_id_x 1
		.amdhsa_system_sgpr_workgroup_id_y 0
		.amdhsa_system_sgpr_workgroup_id_z 0
		.amdhsa_system_sgpr_workgroup_info 0
		.amdhsa_system_vgpr_workitem_id 0
		.amdhsa_next_free_vgpr 1
		.amdhsa_next_free_sgpr 1
		.amdhsa_named_barrier_count 0
		.amdhsa_reserve_vcc 0
		.amdhsa_float_round_mode_32 0
		.amdhsa_float_round_mode_16_64 0
		.amdhsa_float_denorm_mode_32 3
		.amdhsa_float_denorm_mode_16_64 3
		.amdhsa_fp16_overflow 0
		.amdhsa_memory_ordered 1
		.amdhsa_forward_progress 1
		.amdhsa_inst_pref_size 0
		.amdhsa_round_robin_scheduling 0
		.amdhsa_exception_fp_ieee_invalid_op 0
		.amdhsa_exception_fp_denorm_src 0
		.amdhsa_exception_fp_ieee_div_zero 0
		.amdhsa_exception_fp_ieee_overflow 0
		.amdhsa_exception_fp_ieee_underflow 0
		.amdhsa_exception_fp_ieee_inexact 0
		.amdhsa_exception_int_div_zero 0
	.end_amdhsa_kernel
	.section	.text._ZN7rocprim17ROCPRIM_400000_NS6detail17trampoline_kernelINS0_14default_configENS1_27scan_by_key_config_selectorIisEEZZNS1_16scan_by_key_implILNS1_25lookback_scan_determinismE0ELb1ES3_N6thrust23THRUST_200600_302600_NS6detail15normal_iteratorINS9_10device_ptrIiEEEENSB_INSC_IsEEEESG_sNS9_4plusIvEENS9_8equal_toIvEEsEE10hipError_tPvRmT2_T3_T4_T5_mT6_T7_P12ihipStream_tbENKUlT_T0_E_clISt17integral_constantIbLb1EES10_IbLb0EEEEDaSW_SX_EUlSW_E_NS1_11comp_targetILNS1_3genE8ELNS1_11target_archE1030ELNS1_3gpuE2ELNS1_3repE0EEENS1_30default_config_static_selectorELNS0_4arch9wavefront6targetE0EEEvT1_,"axG",@progbits,_ZN7rocprim17ROCPRIM_400000_NS6detail17trampoline_kernelINS0_14default_configENS1_27scan_by_key_config_selectorIisEEZZNS1_16scan_by_key_implILNS1_25lookback_scan_determinismE0ELb1ES3_N6thrust23THRUST_200600_302600_NS6detail15normal_iteratorINS9_10device_ptrIiEEEENSB_INSC_IsEEEESG_sNS9_4plusIvEENS9_8equal_toIvEEsEE10hipError_tPvRmT2_T3_T4_T5_mT6_T7_P12ihipStream_tbENKUlT_T0_E_clISt17integral_constantIbLb1EES10_IbLb0EEEEDaSW_SX_EUlSW_E_NS1_11comp_targetILNS1_3genE8ELNS1_11target_archE1030ELNS1_3gpuE2ELNS1_3repE0EEENS1_30default_config_static_selectorELNS0_4arch9wavefront6targetE0EEEvT1_,comdat
.Lfunc_end1633:
	.size	_ZN7rocprim17ROCPRIM_400000_NS6detail17trampoline_kernelINS0_14default_configENS1_27scan_by_key_config_selectorIisEEZZNS1_16scan_by_key_implILNS1_25lookback_scan_determinismE0ELb1ES3_N6thrust23THRUST_200600_302600_NS6detail15normal_iteratorINS9_10device_ptrIiEEEENSB_INSC_IsEEEESG_sNS9_4plusIvEENS9_8equal_toIvEEsEE10hipError_tPvRmT2_T3_T4_T5_mT6_T7_P12ihipStream_tbENKUlT_T0_E_clISt17integral_constantIbLb1EES10_IbLb0EEEEDaSW_SX_EUlSW_E_NS1_11comp_targetILNS1_3genE8ELNS1_11target_archE1030ELNS1_3gpuE2ELNS1_3repE0EEENS1_30default_config_static_selectorELNS0_4arch9wavefront6targetE0EEEvT1_, .Lfunc_end1633-_ZN7rocprim17ROCPRIM_400000_NS6detail17trampoline_kernelINS0_14default_configENS1_27scan_by_key_config_selectorIisEEZZNS1_16scan_by_key_implILNS1_25lookback_scan_determinismE0ELb1ES3_N6thrust23THRUST_200600_302600_NS6detail15normal_iteratorINS9_10device_ptrIiEEEENSB_INSC_IsEEEESG_sNS9_4plusIvEENS9_8equal_toIvEEsEE10hipError_tPvRmT2_T3_T4_T5_mT6_T7_P12ihipStream_tbENKUlT_T0_E_clISt17integral_constantIbLb1EES10_IbLb0EEEEDaSW_SX_EUlSW_E_NS1_11comp_targetILNS1_3genE8ELNS1_11target_archE1030ELNS1_3gpuE2ELNS1_3repE0EEENS1_30default_config_static_selectorELNS0_4arch9wavefront6targetE0EEEvT1_
                                        ; -- End function
	.set _ZN7rocprim17ROCPRIM_400000_NS6detail17trampoline_kernelINS0_14default_configENS1_27scan_by_key_config_selectorIisEEZZNS1_16scan_by_key_implILNS1_25lookback_scan_determinismE0ELb1ES3_N6thrust23THRUST_200600_302600_NS6detail15normal_iteratorINS9_10device_ptrIiEEEENSB_INSC_IsEEEESG_sNS9_4plusIvEENS9_8equal_toIvEEsEE10hipError_tPvRmT2_T3_T4_T5_mT6_T7_P12ihipStream_tbENKUlT_T0_E_clISt17integral_constantIbLb1EES10_IbLb0EEEEDaSW_SX_EUlSW_E_NS1_11comp_targetILNS1_3genE8ELNS1_11target_archE1030ELNS1_3gpuE2ELNS1_3repE0EEENS1_30default_config_static_selectorELNS0_4arch9wavefront6targetE0EEEvT1_.num_vgpr, 0
	.set _ZN7rocprim17ROCPRIM_400000_NS6detail17trampoline_kernelINS0_14default_configENS1_27scan_by_key_config_selectorIisEEZZNS1_16scan_by_key_implILNS1_25lookback_scan_determinismE0ELb1ES3_N6thrust23THRUST_200600_302600_NS6detail15normal_iteratorINS9_10device_ptrIiEEEENSB_INSC_IsEEEESG_sNS9_4plusIvEENS9_8equal_toIvEEsEE10hipError_tPvRmT2_T3_T4_T5_mT6_T7_P12ihipStream_tbENKUlT_T0_E_clISt17integral_constantIbLb1EES10_IbLb0EEEEDaSW_SX_EUlSW_E_NS1_11comp_targetILNS1_3genE8ELNS1_11target_archE1030ELNS1_3gpuE2ELNS1_3repE0EEENS1_30default_config_static_selectorELNS0_4arch9wavefront6targetE0EEEvT1_.num_agpr, 0
	.set _ZN7rocprim17ROCPRIM_400000_NS6detail17trampoline_kernelINS0_14default_configENS1_27scan_by_key_config_selectorIisEEZZNS1_16scan_by_key_implILNS1_25lookback_scan_determinismE0ELb1ES3_N6thrust23THRUST_200600_302600_NS6detail15normal_iteratorINS9_10device_ptrIiEEEENSB_INSC_IsEEEESG_sNS9_4plusIvEENS9_8equal_toIvEEsEE10hipError_tPvRmT2_T3_T4_T5_mT6_T7_P12ihipStream_tbENKUlT_T0_E_clISt17integral_constantIbLb1EES10_IbLb0EEEEDaSW_SX_EUlSW_E_NS1_11comp_targetILNS1_3genE8ELNS1_11target_archE1030ELNS1_3gpuE2ELNS1_3repE0EEENS1_30default_config_static_selectorELNS0_4arch9wavefront6targetE0EEEvT1_.numbered_sgpr, 0
	.set _ZN7rocprim17ROCPRIM_400000_NS6detail17trampoline_kernelINS0_14default_configENS1_27scan_by_key_config_selectorIisEEZZNS1_16scan_by_key_implILNS1_25lookback_scan_determinismE0ELb1ES3_N6thrust23THRUST_200600_302600_NS6detail15normal_iteratorINS9_10device_ptrIiEEEENSB_INSC_IsEEEESG_sNS9_4plusIvEENS9_8equal_toIvEEsEE10hipError_tPvRmT2_T3_T4_T5_mT6_T7_P12ihipStream_tbENKUlT_T0_E_clISt17integral_constantIbLb1EES10_IbLb0EEEEDaSW_SX_EUlSW_E_NS1_11comp_targetILNS1_3genE8ELNS1_11target_archE1030ELNS1_3gpuE2ELNS1_3repE0EEENS1_30default_config_static_selectorELNS0_4arch9wavefront6targetE0EEEvT1_.num_named_barrier, 0
	.set _ZN7rocprim17ROCPRIM_400000_NS6detail17trampoline_kernelINS0_14default_configENS1_27scan_by_key_config_selectorIisEEZZNS1_16scan_by_key_implILNS1_25lookback_scan_determinismE0ELb1ES3_N6thrust23THRUST_200600_302600_NS6detail15normal_iteratorINS9_10device_ptrIiEEEENSB_INSC_IsEEEESG_sNS9_4plusIvEENS9_8equal_toIvEEsEE10hipError_tPvRmT2_T3_T4_T5_mT6_T7_P12ihipStream_tbENKUlT_T0_E_clISt17integral_constantIbLb1EES10_IbLb0EEEEDaSW_SX_EUlSW_E_NS1_11comp_targetILNS1_3genE8ELNS1_11target_archE1030ELNS1_3gpuE2ELNS1_3repE0EEENS1_30default_config_static_selectorELNS0_4arch9wavefront6targetE0EEEvT1_.private_seg_size, 0
	.set _ZN7rocprim17ROCPRIM_400000_NS6detail17trampoline_kernelINS0_14default_configENS1_27scan_by_key_config_selectorIisEEZZNS1_16scan_by_key_implILNS1_25lookback_scan_determinismE0ELb1ES3_N6thrust23THRUST_200600_302600_NS6detail15normal_iteratorINS9_10device_ptrIiEEEENSB_INSC_IsEEEESG_sNS9_4plusIvEENS9_8equal_toIvEEsEE10hipError_tPvRmT2_T3_T4_T5_mT6_T7_P12ihipStream_tbENKUlT_T0_E_clISt17integral_constantIbLb1EES10_IbLb0EEEEDaSW_SX_EUlSW_E_NS1_11comp_targetILNS1_3genE8ELNS1_11target_archE1030ELNS1_3gpuE2ELNS1_3repE0EEENS1_30default_config_static_selectorELNS0_4arch9wavefront6targetE0EEEvT1_.uses_vcc, 0
	.set _ZN7rocprim17ROCPRIM_400000_NS6detail17trampoline_kernelINS0_14default_configENS1_27scan_by_key_config_selectorIisEEZZNS1_16scan_by_key_implILNS1_25lookback_scan_determinismE0ELb1ES3_N6thrust23THRUST_200600_302600_NS6detail15normal_iteratorINS9_10device_ptrIiEEEENSB_INSC_IsEEEESG_sNS9_4plusIvEENS9_8equal_toIvEEsEE10hipError_tPvRmT2_T3_T4_T5_mT6_T7_P12ihipStream_tbENKUlT_T0_E_clISt17integral_constantIbLb1EES10_IbLb0EEEEDaSW_SX_EUlSW_E_NS1_11comp_targetILNS1_3genE8ELNS1_11target_archE1030ELNS1_3gpuE2ELNS1_3repE0EEENS1_30default_config_static_selectorELNS0_4arch9wavefront6targetE0EEEvT1_.uses_flat_scratch, 0
	.set _ZN7rocprim17ROCPRIM_400000_NS6detail17trampoline_kernelINS0_14default_configENS1_27scan_by_key_config_selectorIisEEZZNS1_16scan_by_key_implILNS1_25lookback_scan_determinismE0ELb1ES3_N6thrust23THRUST_200600_302600_NS6detail15normal_iteratorINS9_10device_ptrIiEEEENSB_INSC_IsEEEESG_sNS9_4plusIvEENS9_8equal_toIvEEsEE10hipError_tPvRmT2_T3_T4_T5_mT6_T7_P12ihipStream_tbENKUlT_T0_E_clISt17integral_constantIbLb1EES10_IbLb0EEEEDaSW_SX_EUlSW_E_NS1_11comp_targetILNS1_3genE8ELNS1_11target_archE1030ELNS1_3gpuE2ELNS1_3repE0EEENS1_30default_config_static_selectorELNS0_4arch9wavefront6targetE0EEEvT1_.has_dyn_sized_stack, 0
	.set _ZN7rocprim17ROCPRIM_400000_NS6detail17trampoline_kernelINS0_14default_configENS1_27scan_by_key_config_selectorIisEEZZNS1_16scan_by_key_implILNS1_25lookback_scan_determinismE0ELb1ES3_N6thrust23THRUST_200600_302600_NS6detail15normal_iteratorINS9_10device_ptrIiEEEENSB_INSC_IsEEEESG_sNS9_4plusIvEENS9_8equal_toIvEEsEE10hipError_tPvRmT2_T3_T4_T5_mT6_T7_P12ihipStream_tbENKUlT_T0_E_clISt17integral_constantIbLb1EES10_IbLb0EEEEDaSW_SX_EUlSW_E_NS1_11comp_targetILNS1_3genE8ELNS1_11target_archE1030ELNS1_3gpuE2ELNS1_3repE0EEENS1_30default_config_static_selectorELNS0_4arch9wavefront6targetE0EEEvT1_.has_recursion, 0
	.set _ZN7rocprim17ROCPRIM_400000_NS6detail17trampoline_kernelINS0_14default_configENS1_27scan_by_key_config_selectorIisEEZZNS1_16scan_by_key_implILNS1_25lookback_scan_determinismE0ELb1ES3_N6thrust23THRUST_200600_302600_NS6detail15normal_iteratorINS9_10device_ptrIiEEEENSB_INSC_IsEEEESG_sNS9_4plusIvEENS9_8equal_toIvEEsEE10hipError_tPvRmT2_T3_T4_T5_mT6_T7_P12ihipStream_tbENKUlT_T0_E_clISt17integral_constantIbLb1EES10_IbLb0EEEEDaSW_SX_EUlSW_E_NS1_11comp_targetILNS1_3genE8ELNS1_11target_archE1030ELNS1_3gpuE2ELNS1_3repE0EEENS1_30default_config_static_selectorELNS0_4arch9wavefront6targetE0EEEvT1_.has_indirect_call, 0
	.section	.AMDGPU.csdata,"",@progbits
; Kernel info:
; codeLenInByte = 0
; TotalNumSgprs: 0
; NumVgprs: 0
; ScratchSize: 0
; MemoryBound: 0
; FloatMode: 240
; IeeeMode: 1
; LDSByteSize: 0 bytes/workgroup (compile time only)
; SGPRBlocks: 0
; VGPRBlocks: 0
; NumSGPRsForWavesPerEU: 1
; NumVGPRsForWavesPerEU: 1
; NamedBarCnt: 0
; Occupancy: 16
; WaveLimiterHint : 0
; COMPUTE_PGM_RSRC2:SCRATCH_EN: 0
; COMPUTE_PGM_RSRC2:USER_SGPR: 2
; COMPUTE_PGM_RSRC2:TRAP_HANDLER: 0
; COMPUTE_PGM_RSRC2:TGID_X_EN: 1
; COMPUTE_PGM_RSRC2:TGID_Y_EN: 0
; COMPUTE_PGM_RSRC2:TGID_Z_EN: 0
; COMPUTE_PGM_RSRC2:TIDIG_COMP_CNT: 0
	.section	.text._ZN7rocprim17ROCPRIM_400000_NS6detail17trampoline_kernelINS0_14default_configENS1_27scan_by_key_config_selectorIisEEZZNS1_16scan_by_key_implILNS1_25lookback_scan_determinismE0ELb1ES3_N6thrust23THRUST_200600_302600_NS6detail15normal_iteratorINS9_10device_ptrIiEEEENSB_INSC_IsEEEESG_sNS9_4plusIvEENS9_8equal_toIvEEsEE10hipError_tPvRmT2_T3_T4_T5_mT6_T7_P12ihipStream_tbENKUlT_T0_E_clISt17integral_constantIbLb0EES10_IbLb1EEEEDaSW_SX_EUlSW_E_NS1_11comp_targetILNS1_3genE0ELNS1_11target_archE4294967295ELNS1_3gpuE0ELNS1_3repE0EEENS1_30default_config_static_selectorELNS0_4arch9wavefront6targetE0EEEvT1_,"axG",@progbits,_ZN7rocprim17ROCPRIM_400000_NS6detail17trampoline_kernelINS0_14default_configENS1_27scan_by_key_config_selectorIisEEZZNS1_16scan_by_key_implILNS1_25lookback_scan_determinismE0ELb1ES3_N6thrust23THRUST_200600_302600_NS6detail15normal_iteratorINS9_10device_ptrIiEEEENSB_INSC_IsEEEESG_sNS9_4plusIvEENS9_8equal_toIvEEsEE10hipError_tPvRmT2_T3_T4_T5_mT6_T7_P12ihipStream_tbENKUlT_T0_E_clISt17integral_constantIbLb0EES10_IbLb1EEEEDaSW_SX_EUlSW_E_NS1_11comp_targetILNS1_3genE0ELNS1_11target_archE4294967295ELNS1_3gpuE0ELNS1_3repE0EEENS1_30default_config_static_selectorELNS0_4arch9wavefront6targetE0EEEvT1_,comdat
	.protected	_ZN7rocprim17ROCPRIM_400000_NS6detail17trampoline_kernelINS0_14default_configENS1_27scan_by_key_config_selectorIisEEZZNS1_16scan_by_key_implILNS1_25lookback_scan_determinismE0ELb1ES3_N6thrust23THRUST_200600_302600_NS6detail15normal_iteratorINS9_10device_ptrIiEEEENSB_INSC_IsEEEESG_sNS9_4plusIvEENS9_8equal_toIvEEsEE10hipError_tPvRmT2_T3_T4_T5_mT6_T7_P12ihipStream_tbENKUlT_T0_E_clISt17integral_constantIbLb0EES10_IbLb1EEEEDaSW_SX_EUlSW_E_NS1_11comp_targetILNS1_3genE0ELNS1_11target_archE4294967295ELNS1_3gpuE0ELNS1_3repE0EEENS1_30default_config_static_selectorELNS0_4arch9wavefront6targetE0EEEvT1_ ; -- Begin function _ZN7rocprim17ROCPRIM_400000_NS6detail17trampoline_kernelINS0_14default_configENS1_27scan_by_key_config_selectorIisEEZZNS1_16scan_by_key_implILNS1_25lookback_scan_determinismE0ELb1ES3_N6thrust23THRUST_200600_302600_NS6detail15normal_iteratorINS9_10device_ptrIiEEEENSB_INSC_IsEEEESG_sNS9_4plusIvEENS9_8equal_toIvEEsEE10hipError_tPvRmT2_T3_T4_T5_mT6_T7_P12ihipStream_tbENKUlT_T0_E_clISt17integral_constantIbLb0EES10_IbLb1EEEEDaSW_SX_EUlSW_E_NS1_11comp_targetILNS1_3genE0ELNS1_11target_archE4294967295ELNS1_3gpuE0ELNS1_3repE0EEENS1_30default_config_static_selectorELNS0_4arch9wavefront6targetE0EEEvT1_
	.globl	_ZN7rocprim17ROCPRIM_400000_NS6detail17trampoline_kernelINS0_14default_configENS1_27scan_by_key_config_selectorIisEEZZNS1_16scan_by_key_implILNS1_25lookback_scan_determinismE0ELb1ES3_N6thrust23THRUST_200600_302600_NS6detail15normal_iteratorINS9_10device_ptrIiEEEENSB_INSC_IsEEEESG_sNS9_4plusIvEENS9_8equal_toIvEEsEE10hipError_tPvRmT2_T3_T4_T5_mT6_T7_P12ihipStream_tbENKUlT_T0_E_clISt17integral_constantIbLb0EES10_IbLb1EEEEDaSW_SX_EUlSW_E_NS1_11comp_targetILNS1_3genE0ELNS1_11target_archE4294967295ELNS1_3gpuE0ELNS1_3repE0EEENS1_30default_config_static_selectorELNS0_4arch9wavefront6targetE0EEEvT1_
	.p2align	8
	.type	_ZN7rocprim17ROCPRIM_400000_NS6detail17trampoline_kernelINS0_14default_configENS1_27scan_by_key_config_selectorIisEEZZNS1_16scan_by_key_implILNS1_25lookback_scan_determinismE0ELb1ES3_N6thrust23THRUST_200600_302600_NS6detail15normal_iteratorINS9_10device_ptrIiEEEENSB_INSC_IsEEEESG_sNS9_4plusIvEENS9_8equal_toIvEEsEE10hipError_tPvRmT2_T3_T4_T5_mT6_T7_P12ihipStream_tbENKUlT_T0_E_clISt17integral_constantIbLb0EES10_IbLb1EEEEDaSW_SX_EUlSW_E_NS1_11comp_targetILNS1_3genE0ELNS1_11target_archE4294967295ELNS1_3gpuE0ELNS1_3repE0EEENS1_30default_config_static_selectorELNS0_4arch9wavefront6targetE0EEEvT1_,@function
_ZN7rocprim17ROCPRIM_400000_NS6detail17trampoline_kernelINS0_14default_configENS1_27scan_by_key_config_selectorIisEEZZNS1_16scan_by_key_implILNS1_25lookback_scan_determinismE0ELb1ES3_N6thrust23THRUST_200600_302600_NS6detail15normal_iteratorINS9_10device_ptrIiEEEENSB_INSC_IsEEEESG_sNS9_4plusIvEENS9_8equal_toIvEEsEE10hipError_tPvRmT2_T3_T4_T5_mT6_T7_P12ihipStream_tbENKUlT_T0_E_clISt17integral_constantIbLb0EES10_IbLb1EEEEDaSW_SX_EUlSW_E_NS1_11comp_targetILNS1_3genE0ELNS1_11target_archE4294967295ELNS1_3gpuE0ELNS1_3repE0EEENS1_30default_config_static_selectorELNS0_4arch9wavefront6targetE0EEEvT1_: ; @_ZN7rocprim17ROCPRIM_400000_NS6detail17trampoline_kernelINS0_14default_configENS1_27scan_by_key_config_selectorIisEEZZNS1_16scan_by_key_implILNS1_25lookback_scan_determinismE0ELb1ES3_N6thrust23THRUST_200600_302600_NS6detail15normal_iteratorINS9_10device_ptrIiEEEENSB_INSC_IsEEEESG_sNS9_4plusIvEENS9_8equal_toIvEEsEE10hipError_tPvRmT2_T3_T4_T5_mT6_T7_P12ihipStream_tbENKUlT_T0_E_clISt17integral_constantIbLb0EES10_IbLb1EEEEDaSW_SX_EUlSW_E_NS1_11comp_targetILNS1_3genE0ELNS1_11target_archE4294967295ELNS1_3gpuE0ELNS1_3repE0EEENS1_30default_config_static_selectorELNS0_4arch9wavefront6targetE0EEEvT1_
; %bb.0:
	s_clause 0x2
	s_load_b32 s33, s[0:1], 0x20
	s_load_b128 s[20:23], s[0:1], 0x28
	s_load_b64 s[30:31], s[0:1], 0x38
	v_cmp_ne_u32_e64 s3, 0, v0
	v_cmp_eq_u32_e64 s2, 0, v0
	s_and_saveexec_b32 s4, s2
	s_cbranch_execz .LBB1634_4
; %bb.1:
	s_mov_b32 s6, exec_lo
	s_mov_b32 s5, exec_lo
	v_mbcnt_lo_u32_b32 v1, s6, 0
                                        ; implicit-def: $vgpr2
	s_delay_alu instid0(VALU_DEP_1)
	v_cmpx_eq_u32_e32 0, v1
	s_cbranch_execz .LBB1634_3
; %bb.2:
	s_load_b64 s[8:9], s[0:1], 0x68
	s_bcnt1_i32_b32 s6, s6
	s_delay_alu instid0(SALU_CYCLE_1)
	v_dual_mov_b32 v2, 0 :: v_dual_mov_b32 v3, s6
	s_wait_xcnt 0x0
	s_wait_kmcnt 0x0
	global_atomic_add_u32 v2, v2, v3, s[8:9] th:TH_ATOMIC_RETURN scope:SCOPE_DEV
.LBB1634_3:
	s_wait_xcnt 0x0
	s_or_b32 exec_lo, exec_lo, s5
	s_wait_loadcnt 0x0
	v_readfirstlane_b32 s5, v2
	s_delay_alu instid0(VALU_DEP_1)
	v_dual_mov_b32 v2, 0 :: v_dual_add_nc_u32 v1, s5, v1
	ds_store_b32 v2, v1
.LBB1634_4:
	s_or_b32 exec_lo, exec_lo, s4
	v_mov_b32_e32 v23, 0
	s_clause 0x2
	s_load_b256 s[12:19], s[0:1], 0x0
	s_load_b32 s4, s[0:1], 0x40
	s_load_b128 s[24:27], s[0:1], 0x48
	s_wait_dscnt 0x0
	s_barrier_signal -1
	s_barrier_wait -1
	ds_load_b32 v22, v23
	s_mov_b32 s5, 0
	s_wait_dscnt 0x0
	s_barrier_signal -1
	s_barrier_wait -1
	s_barrier_signal -1
	s_barrier_wait -1
	s_wait_kmcnt 0x0
	s_lshl_b64 s[0:1], s[14:15], 2
	s_lshl_b64 s[28:29], s[14:15], 1
	s_add_nc_u64 s[6:7], s[12:13], s[0:1]
	s_mul_u64 s[0:1], s[30:31], s[4:5]
	s_add_nc_u64 s[10:11], s[24:25], -1
	s_add_nc_u64 s[8:9], s[16:17], s[28:29]
	s_mul_i32 s17, s10, 0xfffff200
	v_add_nc_u64_e32 v[2:3], s[0:1], v[22:23]
	v_readfirstlane_b32 s1, v22
	s_mul_i32 s4, s1, 0xe00
	v_cmp_le_u64_e64 s0, s[10:11], v[2:3]
	s_lshl_b64 s[12:13], s[4:5], 2
	s_lshl_b64 s[24:25], s[4:5], 1
	s_add_nc_u64 s[36:37], s[6:7], s[12:13]
	s_add_nc_u64 s[34:35], s[8:9], s[24:25]
	s_and_b32 vcc_lo, exec_lo, s0
	s_cbranch_vccz .LBB1634_80
; %bb.5:
	flat_load_b32 v1, v23, s[36:37]
	s_add_co_i32 s23, s17, s22
	s_delay_alu instid0(SALU_CYCLE_1)
	v_cmp_gt_u32_e32 vcc_lo, s23, v0
	s_wait_loadcnt_dscnt 0x0
	v_mov_b32_e32 v2, v1
	s_and_saveexec_b32 s1, vcc_lo
	s_cbranch_execz .LBB1634_7
; %bb.6:
	flat_load_b32 v2, v0, s[36:37] scale_offset
.LBB1634_7:
	s_wait_xcnt 0x0
	s_or_b32 exec_lo, exec_lo, s1
	v_or_b32_e32 v3, 0x100, v0
	s_delay_alu instid0(VALU_DEP_1)
	v_cmp_gt_u32_e64 s1, s23, v3
	v_mov_b32_e32 v3, v1
	s_and_saveexec_b32 s4, s1
	s_cbranch_execz .LBB1634_9
; %bb.8:
	flat_load_b32 v3, v0, s[36:37] offset:1024 scale_offset
.LBB1634_9:
	s_wait_xcnt 0x0
	s_or_b32 exec_lo, exec_lo, s4
	v_or_b32_e32 v4, 0x200, v0
	s_delay_alu instid0(VALU_DEP_1)
	v_cmp_gt_u32_e64 s4, s23, v4
	v_mov_b32_e32 v4, v1
	s_and_saveexec_b32 s5, s4
	s_cbranch_execz .LBB1634_11
; %bb.10:
	flat_load_b32 v4, v0, s[36:37] offset:2048 scale_offset
.LBB1634_11:
	;; [unrolled: 11-line block ×12, first 2 shown]
	s_wait_xcnt 0x0
	s_or_b32 exec_lo, exec_lo, s15
	v_or_b32_e32 v15, 0xd00, v0
	s_delay_alu instid0(VALU_DEP_1) | instskip(SKIP_2) | instid1(SALU_CYCLE_1)
	v_cmp_gt_u32_e64 s15, s23, v15
	v_cmp_le_u32_e64 s16, s23, v15
	s_and_saveexec_b32 s38, s16
	s_xor_b32 s16, exec_lo, s38
	s_delay_alu instid0(SALU_CYCLE_1)
	s_and_not1_saveexec_b32 s16, s16
	s_cbranch_execz .LBB1634_33
; %bb.32:
	flat_load_b32 v1, v0, s[36:37] offset:13312 scale_offset
.LBB1634_33:
	s_wait_xcnt 0x0
	s_or_b32 exec_lo, exec_lo, s16
	v_lshlrev_b32_e32 v15, 2, v0
	s_mov_b32 s38, exec_lo
	s_wait_loadcnt_dscnt 0x0
	ds_store_2addr_stride64_b32 v15, v2, v3 offset1:4
	ds_store_2addr_stride64_b32 v15, v4, v5 offset0:8 offset1:12
	ds_store_2addr_stride64_b32 v15, v6, v7 offset0:16 offset1:20
	;; [unrolled: 1-line block ×6, first 2 shown]
	v_mov_b32_e32 v1, 0
	s_wait_dscnt 0x0
	s_barrier_signal -1
	s_barrier_wait -1
	flat_load_b32 v23, v1, s[36:37]
	s_wait_xcnt 0x0
	v_mad_u32_u24 v1, v0, 52, v15
	ds_load_2addr_b64 v[10:13], v1 offset1:1
	ds_load_2addr_b64 v[6:9], v1 offset0:2 offset1:3
	ds_load_2addr_b64 v[2:5], v1 offset0:4 offset1:5
	ds_load_b64 v[42:43], v1 offset:48
	v_mad_i32_i24 v1, 0xffffffcc, v0, v1
	s_wait_dscnt 0x3
	ds_store_b32 v1, v10 offset:15360
	s_wait_loadcnt_dscnt 0x0
	s_barrier_signal -1
	s_barrier_wait -1
	v_cmpx_ne_u32_e32 0xff, v0
; %bb.34:
	ds_load_b32 v23, v1 offset:15364
; %bb.35:
	s_or_b32 exec_lo, exec_lo, s38
	s_wait_dscnt 0x0
	s_barrier_signal -1
	s_barrier_wait -1
                                        ; implicit-def: $vgpr14
	s_and_saveexec_b32 s16, vcc_lo
	s_cbranch_execz .LBB1634_138
; %bb.36:
	flat_load_u16 v14, v0, s[34:35] scale_offset
	s_wait_xcnt 0x0
	s_or_b32 exec_lo, exec_lo, s16
                                        ; implicit-def: $vgpr15
	s_and_saveexec_b32 s16, s1
	s_cbranch_execnz .LBB1634_139
.LBB1634_37:
	s_or_b32 exec_lo, exec_lo, s16
                                        ; implicit-def: $vgpr16
	s_and_saveexec_b32 s1, s4
	s_cbranch_execz .LBB1634_140
.LBB1634_38:
	flat_load_u16 v16, v0, s[34:35] offset:1024 scale_offset
	s_wait_xcnt 0x0
	s_or_b32 exec_lo, exec_lo, s1
                                        ; implicit-def: $vgpr17
	s_and_saveexec_b32 s1, s5
	s_cbranch_execnz .LBB1634_141
.LBB1634_39:
	s_or_b32 exec_lo, exec_lo, s1
                                        ; implicit-def: $vgpr18
	s_and_saveexec_b32 s1, s6
	s_cbranch_execz .LBB1634_142
.LBB1634_40:
	flat_load_u16 v18, v0, s[34:35] offset:2048 scale_offset
	s_wait_xcnt 0x0
	s_or_b32 exec_lo, exec_lo, s1
                                        ; implicit-def: $vgpr19
	s_and_saveexec_b32 s1, s7
	s_cbranch_execnz .LBB1634_143
.LBB1634_41:
	s_or_b32 exec_lo, exec_lo, s1
                                        ; implicit-def: $vgpr20
	s_and_saveexec_b32 s1, s8
	s_cbranch_execz .LBB1634_144
.LBB1634_42:
	flat_load_u16 v20, v0, s[34:35] offset:3072 scale_offset
	s_wait_xcnt 0x0
	s_or_b32 exec_lo, exec_lo, s1
                                        ; implicit-def: $vgpr21
	s_and_saveexec_b32 s1, s9
	s_cbranch_execnz .LBB1634_145
.LBB1634_43:
	s_or_b32 exec_lo, exec_lo, s1
                                        ; implicit-def: $vgpr24
	s_and_saveexec_b32 s1, s10
	s_cbranch_execz .LBB1634_146
.LBB1634_44:
	flat_load_u16 v24, v0, s[34:35] offset:4096 scale_offset
	s_wait_xcnt 0x0
	s_or_b32 exec_lo, exec_lo, s1
                                        ; implicit-def: $vgpr25
	s_and_saveexec_b32 s1, s11
	s_cbranch_execnz .LBB1634_147
.LBB1634_45:
	s_or_b32 exec_lo, exec_lo, s1
                                        ; implicit-def: $vgpr26
	s_and_saveexec_b32 s1, s12
	s_cbranch_execz .LBB1634_148
.LBB1634_46:
	flat_load_u16 v26, v0, s[34:35] offset:5120 scale_offset
	s_wait_xcnt 0x0
	s_or_b32 exec_lo, exec_lo, s1
                                        ; implicit-def: $vgpr27
	s_and_saveexec_b32 s1, s13
	s_cbranch_execnz .LBB1634_149
.LBB1634_47:
	s_or_b32 exec_lo, exec_lo, s1
                                        ; implicit-def: $vgpr28
	s_and_saveexec_b32 s1, s14
	s_cbranch_execz .LBB1634_49
.LBB1634_48:
	flat_load_u16 v28, v0, s[34:35] offset:6144 scale_offset
.LBB1634_49:
	s_wait_xcnt 0x0
	s_or_b32 exec_lo, exec_lo, s1
	v_mul_u32_u24_e32 v45, 14, v0
                                        ; implicit-def: $vgpr29
	s_and_saveexec_b32 s1, s15
	s_cbranch_execz .LBB1634_51
; %bb.50:
	flat_load_u16 v29, v0, s[34:35] offset:6656 scale_offset
.LBB1634_51:
	s_wait_xcnt 0x0
	s_or_b32 exec_lo, exec_lo, s1
	v_lshlrev_b32_e32 v30, 1, v0
	v_mov_b64_e32 v[36:37], 0
	v_mov_b64_e32 v[40:41], 0
	;; [unrolled: 1-line block ×4, first 2 shown]
	v_sub_nc_u32_e32 v46, v1, v30
	v_mov_b64_e32 v[32:33], 0
	v_mov_b64_e32 v[30:31], 0
	v_mov_b32_e32 v1, 0
	s_mov_b32 s1, 0
	s_wait_loadcnt_dscnt 0x0
	ds_store_b16 v46, v14
	ds_store_b16 v46, v15 offset:512
	ds_store_b16 v46, v16 offset:1024
	;; [unrolled: 1-line block ×13, first 2 shown]
	v_mov_b64_e32 v[18:19], 0
	v_mov_b64_e32 v[20:21], 0
	;; [unrolled: 1-line block ×6, first 2 shown]
	s_mov_b32 s5, 0
	s_mov_b32 s4, exec_lo
	s_wait_dscnt 0x0
	s_barrier_signal -1
	s_barrier_wait -1
                                        ; implicit-def: $sgpr7
                                        ; implicit-def: $vgpr44
	v_cmpx_gt_u32_e64 s23, v45
	s_cbranch_execz .LBB1634_79
; %bb.52:
	v_mad_u32_u24 v1, v0, 26, v46
	v_cmp_eq_u32_e32 vcc_lo, v10, v11
	v_mov_b64_e32 v[36:37], 0
	v_mov_b64_e32 v[40:41], 0
	;; [unrolled: 1-line block ×3, first 2 shown]
	ds_load_u16 v1, v1
	v_mov_b64_e32 v[34:35], 0
	v_mov_b64_e32 v[32:33], 0
	;; [unrolled: 1-line block ×9, first 2 shown]
	v_or_b32_e32 v16, 1, v45
	s_mov_b32 s6, 0
	s_mov_b32 s5, exec_lo
                                        ; implicit-def: $sgpr7
                                        ; implicit-def: $vgpr44
	s_wait_dscnt 0x0
	v_cndmask_b32_e32 v10, s33, v1, vcc_lo
	v_cndmask_b32_e64 v1, 0x10000, 0, vcc_lo
	s_delay_alu instid0(VALU_DEP_2)
	v_and_b32_e32 v10, 0xffff, v10
	v_cmpx_gt_u32_e64 s23, v16
	s_cbranch_execz .LBB1634_78
; %bb.53:
	v_mul_u32_u24_e32 v14, 26, v0
	v_cmp_eq_u32_e32 vcc_lo, v11, v12
	v_mov_b64_e32 v[36:37], 0
	v_mov_b64_e32 v[40:41], 0
	;; [unrolled: 1-line block ×3, first 2 shown]
	v_dual_add_nc_u32 v46, v46, v14 :: v_dual_add_nc_u32 v30, 2, v45
	v_cndmask_b32_e64 v31, 0x10000, 0, vcc_lo
	v_mov_b64_e32 v[34:35], 0
	v_mov_b64_e32 v[32:33], 0
	ds_load_b128 v[14:17], v46 offset:2
	v_mov_b64_e32 v[18:19], 0
	v_mov_b64_e32 v[20:21], 0
	;; [unrolled: 1-line block ×5, first 2 shown]
	s_mov_b32 s8, 0
                                        ; implicit-def: $sgpr7
                                        ; implicit-def: $vgpr44
	s_wait_dscnt 0x0
	v_cndmask_b32_e32 v11, s33, v14, vcc_lo
	v_cmp_gt_u32_e32 vcc_lo, s23, v30
	s_delay_alu instid0(VALU_DEP_2) | instskip(NEXT) | instid1(VALU_DEP_1)
	v_and_b32_e32 v11, 0xffff, v11
	v_dual_mov_b32 v31, 0 :: v_dual_bitop2_b32 v30, v31, v11 bitop3:0x54
	s_and_saveexec_b32 s6, vcc_lo
	s_cbranch_execz .LBB1634_77
; %bb.54:
	v_dual_lshrrev_b32 v11, 16, v14 :: v_dual_add_nc_u32 v14, 3, v45
	v_cmp_eq_u32_e32 vcc_lo, v12, v13
	v_mov_b64_e32 v[36:37], 0
	v_mov_b64_e32 v[40:41], 0
	;; [unrolled: 1-line block ×4, first 2 shown]
	v_cndmask_b32_e32 v11, s33, v11, vcc_lo
	v_cndmask_b32_e64 v12, 0x10000, 0, vcc_lo
	v_mov_b64_e32 v[32:33], 0
	v_mov_b64_e32 v[18:19], 0
	;; [unrolled: 1-line block ×3, first 2 shown]
	v_and_b32_e32 v11, 0xffff, v11
	v_mov_b64_e32 v[24:25], 0
	v_mov_b64_e32 v[26:27], 0
	;; [unrolled: 1-line block ×3, first 2 shown]
	s_mov_b32 s9, 0
	v_or_b32_e32 v31, v12, v11
	s_mov_b32 s8, exec_lo
                                        ; implicit-def: $sgpr7
                                        ; implicit-def: $vgpr44
	v_cmpx_gt_u32_e64 s23, v14
	s_cbranch_execz .LBB1634_76
; %bb.55:
	v_cmp_eq_u32_e32 vcc_lo, v13, v6
	v_mov_b64_e32 v[36:37], 0
	v_mov_b64_e32 v[40:41], 0
	;; [unrolled: 1-line block ×4, first 2 shown]
	v_dual_cndmask_b32 v11, s33, v15 :: v_dual_add_nc_u32 v12, 4, v45
	v_cndmask_b32_e64 v13, 0x10000, 0, vcc_lo
	v_mov_b64_e32 v[18:19], 0
	v_mov_b64_e32 v[20:21], 0
	s_delay_alu instid0(VALU_DEP_4)
	v_and_b32_e32 v11, 0xffff, v11
	v_mov_b64_e32 v[24:25], 0
	v_mov_b64_e32 v[26:27], 0
	s_mov_b32 s10, 0
	s_mov_b32 s9, exec_lo
	v_dual_mov_b32 v33, 0 :: v_dual_bitop2_b32 v32, v13, v11 bitop3:0x54
                                        ; implicit-def: $sgpr7
                                        ; implicit-def: $vgpr44
	v_cmpx_gt_u32_e64 s23, v12
	s_cbranch_execz .LBB1634_75
; %bb.56:
	v_dual_lshrrev_b32 v11, 16, v15 :: v_dual_add_nc_u32 v12, 5, v45
	v_cmp_eq_u32_e32 vcc_lo, v6, v7
	v_mov_b64_e32 v[36:37], 0
	v_mov_b64_e32 v[40:41], 0
	;; [unrolled: 1-line block ×4, first 2 shown]
	v_cndmask_b32_e32 v6, s33, v11, vcc_lo
	v_cndmask_b32_e64 v11, 0x10000, 0, vcc_lo
	v_mov_b64_e32 v[18:19], 0
	v_mov_b64_e32 v[20:21], 0
	;; [unrolled: 1-line block ×3, first 2 shown]
	v_and_b32_e32 v6, 0xffff, v6
	v_mov_b64_e32 v[26:27], 0
	s_mov_b32 s11, 0
	s_mov_b32 s10, exec_lo
                                        ; implicit-def: $sgpr7
                                        ; implicit-def: $vgpr44
	s_delay_alu instid0(VALU_DEP_2)
	v_or_b32_e32 v33, v11, v6
	v_cmpx_gt_u32_e64 s23, v12
	s_cbranch_execz .LBB1634_74
; %bb.57:
	v_cmp_eq_u32_e32 vcc_lo, v7, v8
	v_mov_b64_e32 v[36:37], 0
	v_mov_b64_e32 v[40:41], 0
	;; [unrolled: 1-line block ×4, first 2 shown]
	v_dual_cndmask_b32 v6, s33, v16 :: v_dual_add_nc_u32 v7, 6, v45
	v_cndmask_b32_e64 v11, 0x10000, 0, vcc_lo
	v_mov_b64_e32 v[20:21], 0
	v_mov_b64_e32 v[24:25], 0
	s_delay_alu instid0(VALU_DEP_4) | instskip(SKIP_2) | instid1(VALU_DEP_1)
	v_and_b32_e32 v6, 0xffff, v6
	s_mov_b32 s12, 0
	s_mov_b32 s11, exec_lo
                                        ; implicit-def: $sgpr7
                                        ; implicit-def: $vgpr44
	v_dual_mov_b32 v35, 0 :: v_dual_bitop2_b32 v34, v11, v6 bitop3:0x54
	v_cmpx_gt_u32_e64 s23, v7
	s_cbranch_execz .LBB1634_73
; %bb.58:
	v_dual_lshrrev_b32 v6, 16, v16 :: v_dual_add_nc_u32 v7, 7, v45
	v_cmp_eq_u32_e32 vcc_lo, v8, v9
	v_mov_b64_e32 v[36:37], 0
	v_mov_b64_e32 v[40:41], 0
	;; [unrolled: 1-line block ×4, first 2 shown]
	v_cndmask_b32_e32 v6, s33, v6, vcc_lo
	v_cndmask_b32_e64 v8, 0x10000, 0, vcc_lo
	v_mov_b64_e32 v[20:21], 0
	v_mov_b64_e32 v[24:25], 0
	s_mov_b32 s13, 0
	v_and_b32_e32 v6, 0xffff, v6
	s_mov_b32 s12, exec_lo
                                        ; implicit-def: $sgpr7
                                        ; implicit-def: $vgpr44
	s_delay_alu instid0(VALU_DEP_1)
	v_or_b32_e32 v35, v8, v6
	v_cmpx_gt_u32_e64 s23, v7
	s_cbranch_execz .LBB1634_72
; %bb.59:
	v_cmp_eq_u32_e32 vcc_lo, v9, v2
	v_mov_b64_e32 v[36:37], 0
	v_mov_b64_e32 v[40:41], 0
	;; [unrolled: 1-line block ×4, first 2 shown]
	v_dual_cndmask_b32 v6, s33, v17 :: v_dual_mov_b32 v39, 0
	v_cndmask_b32_e64 v8, 0x10000, 0, vcc_lo
	s_mov_b32 s14, 0
	s_mov_b32 s13, exec_lo
	s_delay_alu instid0(VALU_DEP_2) | instskip(SKIP_1) | instid1(VALU_DEP_2)
	v_and_b32_e32 v6, 0xffff, v6
	v_add_nc_u32_e32 v7, 8, v45
                                        ; implicit-def: $sgpr7
                                        ; implicit-def: $vgpr44
	v_or_b32_e32 v38, v8, v6
	s_delay_alu instid0(VALU_DEP_2)
	v_cmpx_gt_u32_e64 s23, v7
	s_cbranch_execz .LBB1634_71
; %bb.60:
	v_cmp_eq_u32_e32 vcc_lo, v2, v3
	v_mov_b64_e32 v[36:37], 0
	v_mov_b64_e32 v[40:41], 0
	;; [unrolled: 1-line block ×4, first 2 shown]
	v_cndmask_b32_e64 v7, 0x10000, 0, vcc_lo
	v_lshrrev_b32_e32 v6, 16, v17
	s_mov_b32 s15, 0
	s_mov_b32 s14, exec_lo
                                        ; implicit-def: $sgpr7
                                        ; implicit-def: $vgpr44
	s_delay_alu instid0(VALU_DEP_1) | instskip(NEXT) | instid1(VALU_DEP_1)
	v_dual_cndmask_b32 v2, s33, v6, vcc_lo :: v_dual_add_nc_u32 v6, 9, v45
	v_and_b32_e32 v2, 0xffff, v2
	s_delay_alu instid0(VALU_DEP_1) | instskip(NEXT) | instid1(VALU_DEP_3)
	v_or_b32_e32 v39, v7, v2
	v_cmpx_gt_u32_e64 s23, v6
	s_cbranch_execz .LBB1634_70
; %bb.61:
	ds_load_b64 v[6:7], v46 offset:18
	v_cmp_eq_u32_e32 vcc_lo, v3, v4
	v_mov_b64_e32 v[36:37], 0
	v_mov_b64_e32 v[18:19], 0
	s_mov_b32 s16, 0
	s_mov_b32 s15, exec_lo
	v_cndmask_b32_e64 v8, 0x10000, 0, vcc_lo
                                        ; implicit-def: $sgpr7
                                        ; implicit-def: $vgpr44
	v_dual_add_nc_u32 v3, 10, v45 :: v_dual_mov_b32 v41, 0
	s_wait_dscnt 0x0
	v_cndmask_b32_e32 v2, s33, v6, vcc_lo
	s_delay_alu instid0(VALU_DEP_1) | instskip(NEXT) | instid1(VALU_DEP_1)
	v_and_b32_e32 v2, 0xffff, v2
	v_or_b32_e32 v40, v8, v2
	v_cmpx_gt_u32_e64 s23, v3
	s_cbranch_execz .LBB1634_69
; %bb.62:
	v_lshrrev_b32_e32 v2, 16, v6
	v_cmp_eq_u32_e32 vcc_lo, v4, v5
	v_add_nc_u32_e32 v4, 11, v45
	v_mov_b64_e32 v[36:37], 0
	s_mov_b32 s38, 0
	s_mov_b32 s16, exec_lo
	v_cndmask_b32_e32 v2, s33, v2, vcc_lo
	v_cndmask_b32_e64 v3, 0x10000, 0, vcc_lo
                                        ; implicit-def: $sgpr7
                                        ; implicit-def: $vgpr44
	s_delay_alu instid0(VALU_DEP_2) | instskip(NEXT) | instid1(VALU_DEP_1)
	v_and_b32_e32 v2, 0xffff, v2
	v_or_b32_e32 v41, v3, v2
	v_cmpx_gt_u32_e64 s23, v4
	s_cbranch_execz .LBB1634_68
; %bb.63:
	v_cmp_eq_u32_e32 vcc_lo, v5, v42
	s_mov_b32 s39, 0
	s_mov_b32 s38, exec_lo
                                        ; implicit-def: $sgpr7
                                        ; implicit-def: $vgpr44
	v_dual_add_nc_u32 v3, 12, v45 :: v_dual_mov_b32 v37, 0
	v_cndmask_b32_e32 v2, s33, v7, vcc_lo
	v_cndmask_b32_e64 v4, 0x10000, 0, vcc_lo
	s_delay_alu instid0(VALU_DEP_2) | instskip(NEXT) | instid1(VALU_DEP_1)
	v_and_b32_e32 v2, 0xffff, v2
	v_or_b32_e32 v36, v4, v2
	v_cmpx_gt_u32_e64 s23, v3
	s_cbranch_execz .LBB1634_67
; %bb.64:
	v_dual_lshrrev_b32 v2, 16, v7 :: v_dual_add_nc_u32 v4, 13, v45
	v_cmp_eq_u32_e32 vcc_lo, v42, v43
                                        ; implicit-def: $sgpr7
                                        ; implicit-def: $vgpr44
	s_delay_alu instid0(VALU_DEP_2) | instskip(SKIP_1) | instid1(VALU_DEP_4)
	v_cndmask_b32_e32 v2, s33, v2, vcc_lo
	v_cndmask_b32_e64 v3, 0x10000, 0, vcc_lo
	v_cmp_gt_u32_e32 vcc_lo, s23, v4
	s_mov_b32 s23, 0
	s_delay_alu instid0(VALU_DEP_3) | instskip(NEXT) | instid1(VALU_DEP_1)
	v_and_b32_e32 v2, 0xffff, v2
	v_or_b32_e32 v37, v3, v2
	s_and_saveexec_b32 s39, vcc_lo
	s_delay_alu instid0(SALU_CYCLE_1)
	s_xor_b32 s39, exec_lo, s39
	s_cbranch_execz .LBB1634_66
; %bb.65:
	ds_load_u16 v2, v46 offset:26
	v_cmp_ne_u32_e64 s7, v43, v23
	s_mov_b32 s23, exec_lo
	s_wait_dscnt 0x0
	v_cndmask_b32_e64 v44, v2, s33, s7
.LBB1634_66:
	s_or_b32 exec_lo, exec_lo, s39
	s_delay_alu instid0(SALU_CYCLE_1)
	s_and_b32 s39, s23, exec_lo
.LBB1634_67:
	s_or_b32 exec_lo, exec_lo, s38
	s_delay_alu instid0(SALU_CYCLE_1)
	s_and_b32 s38, s39, exec_lo
.LBB1634_68:
	s_or_b32 exec_lo, exec_lo, s16
	v_mov_b64_e32 v[18:19], v[36:37]
	s_and_b32 s16, s38, exec_lo
.LBB1634_69:
	s_or_b32 exec_lo, exec_lo, s15
	s_delay_alu instid0(VALU_DEP_2)
	v_mov_b64_e32 v[20:21], v[40:41]
	s_and_b32 s15, s16, exec_lo
.LBB1634_70:
	s_or_b32 exec_lo, exec_lo, s14
	s_delay_alu instid0(SALU_CYCLE_1)
	s_and_b32 s14, s15, exec_lo
.LBB1634_71:
	s_or_b32 exec_lo, exec_lo, s13
	s_delay_alu instid0(VALU_DEP_2)
	v_mov_b64_e32 v[24:25], v[38:39]
	s_and_b32 s13, s14, exec_lo
.LBB1634_72:
	s_or_b32 exec_lo, exec_lo, s12
	s_delay_alu instid0(SALU_CYCLE_1)
	s_and_b32 s12, s13, exec_lo
.LBB1634_73:
	s_or_b32 exec_lo, exec_lo, s11
	s_delay_alu instid0(VALU_DEP_2)
	v_mov_b64_e32 v[26:27], v[34:35]
	s_and_b32 s11, s12, exec_lo
.LBB1634_74:
	s_or_b32 exec_lo, exec_lo, s10
	s_delay_alu instid0(SALU_CYCLE_1)
	s_and_b32 s10, s11, exec_lo
.LBB1634_75:
	s_or_b32 exec_lo, exec_lo, s9
	s_delay_alu instid0(VALU_DEP_2)
	v_mov_b64_e32 v[28:29], v[32:33]
	s_and_b32 s9, s10, exec_lo
.LBB1634_76:
	s_or_b32 exec_lo, exec_lo, s8
	s_delay_alu instid0(SALU_CYCLE_1)
	s_and_b32 s8, s9, exec_lo
.LBB1634_77:
	s_or_b32 exec_lo, exec_lo, s6
	s_delay_alu instid0(VALU_DEP_1)
	v_mov_b64_e32 v[14:15], v[30:31]
	s_and_b32 s6, s8, exec_lo
.LBB1634_78:
	s_or_b32 exec_lo, exec_lo, s5
	s_delay_alu instid0(VALU_DEP_2)
	v_or_b32_e32 v1, v1, v10
	s_and_b32 s5, s6, exec_lo
.LBB1634_79:
	s_or_b32 exec_lo, exec_lo, s4
	s_delay_alu instid0(SALU_CYCLE_1)
	s_and_b32 vcc_lo, exec_lo, s1
	s_cbranch_vccnz .LBB1634_81
	s_branch .LBB1634_86
.LBB1634_80:
                                        ; implicit-def: $sgpr7
                                        ; implicit-def: $vgpr36_vgpr37
                                        ; implicit-def: $vgpr40_vgpr41
                                        ; implicit-def: $vgpr38_vgpr39
                                        ; implicit-def: $vgpr34_vgpr35
                                        ; implicit-def: $vgpr32_vgpr33
                                        ; implicit-def: $vgpr30_vgpr31
                                        ; implicit-def: $vgpr44
                                        ; implicit-def: $vgpr1
                                        ; implicit-def: $vgpr18_vgpr19
                                        ; implicit-def: $vgpr20_vgpr21
                                        ; implicit-def: $vgpr24_vgpr25
                                        ; implicit-def: $vgpr26_vgpr27
                                        ; implicit-def: $vgpr28_vgpr29
                                        ; implicit-def: $vgpr14_vgpr15
	s_cbranch_execz .LBB1634_86
.LBB1634_81:
	s_clause 0xd
	flat_load_b32 v1, v0, s[36:37] scale_offset
	flat_load_b32 v2, v0, s[36:37] offset:1024 scale_offset
	flat_load_b32 v3, v0, s[36:37] offset:2048 scale_offset
	;; [unrolled: 1-line block ×13, first 2 shown]
	v_dual_mov_b32 v16, 0 :: v_dual_lshlrev_b32 v15, 2, v0
	s_mov_b32 s1, exec_lo
	s_wait_loadcnt_dscnt 0xc0c
	ds_store_2addr_stride64_b32 v15, v1, v2 offset1:4
	s_wait_loadcnt_dscnt 0xa0b
	ds_store_2addr_stride64_b32 v15, v3, v4 offset0:8 offset1:12
	s_wait_loadcnt_dscnt 0x80a
	ds_store_2addr_stride64_b32 v15, v5, v6 offset0:16 offset1:20
	;; [unrolled: 2-line block ×6, first 2 shown]
	s_wait_dscnt 0x0
	s_barrier_signal -1
	s_barrier_wait -1
	flat_load_b32 v23, v16, s[36:37] offset:14336
	v_mad_u32_u24 v14, v0, 52, v15
	ds_load_b32 v1, v14
	ds_load_2addr_b32 v[20:21], v14 offset0:1 offset1:2
	ds_load_2addr_b64 v[6:9], v14 offset0:1 offset1:2
	ds_load_2addr_b64 v[10:13], v14 offset0:3 offset1:4
	;; [unrolled: 1-line block ×3, first 2 shown]
	v_mad_i32_i24 v14, 0xffffffcc, v0, v14
	s_wait_dscnt 0x4
	ds_store_b32 v14, v1 offset:15360
	s_wait_loadcnt_dscnt 0x0
	s_barrier_signal -1
	s_barrier_wait -1
	v_cmpx_ne_u32_e32 0xff, v0
; %bb.82:
	ds_load_b32 v23, v14 offset:15364
; %bb.83:
	s_or_b32 exec_lo, exec_lo, s1
	s_wait_dscnt 0x0
	s_barrier_signal -1
	s_barrier_wait -1
	s_clause 0xd
	flat_load_u16 v15, v0, s[34:35] scale_offset
	flat_load_u16 v16, v0, s[34:35] offset:512 scale_offset
	flat_load_u16 v17, v0, s[34:35] offset:1024 scale_offset
	;; [unrolled: 1-line block ×13, first 2 shown]
	v_lshlrev_b32_e32 v26, 1, v0
	v_cmp_eq_u32_e32 vcc_lo, v1, v20
	s_delay_alu instid0(VALU_DEP_2)
	v_dual_mov_b32 v1, 0x10000 :: v_dual_sub_nc_u32 v26, v14, v26
	s_wait_loadcnt_dscnt 0xd0d
	ds_store_b16 v26, v15
	s_wait_loadcnt_dscnt 0xc0d
	ds_store_b16 v26, v16 offset:512
	s_wait_loadcnt_dscnt 0xb0d
	ds_store_b16 v26, v17 offset:1024
	;; [unrolled: 2-line block ×13, first 2 shown]
	v_mov_b32_e32 v25, s33
	v_mad_u32_u24 v34, v0, 26, v26
	s_wait_dscnt 0x0
	s_barrier_signal -1
	s_barrier_wait -1
	ds_load_b128 v[14:17], v34 offset:2
	ds_load_b64 v[18:19], v34 offset:18
	ds_load_u16 v24, v34 offset:26
	s_and_saveexec_b32 s1, vcc_lo
	s_cbranch_execz .LBB1634_85
; %bb.84:
	v_mul_u32_u24_e32 v1, 26, v0
	s_delay_alu instid0(VALU_DEP_1)
	v_add_nc_u32_e32 v1, v26, v1
	ds_load_u16 v25, v1
	v_mov_b32_e32 v1, 0
.LBB1634_85:
	s_or_b32 exec_lo, exec_lo, s1
	v_cmp_eq_u32_e32 vcc_lo, v20, v6
	s_wait_dscnt 0x2
	v_lshrrev_b32_e32 v6, 16, v14
	v_cmp_eq_u32_e64 s1, v21, v7
	v_cmp_eq_u32_e64 s4, v7, v8
	v_lshrrev_b32_e32 v7, 16, v15
	v_cmp_eq_u32_e64 s8, v13, v2
	v_cmp_eq_u32_e64 s9, v2, v3
	;; [unrolled: 1-line block ×3, first 2 shown]
	s_wait_dscnt 0x1
	v_dual_cndmask_b32 v2, s33, v6, s1 :: v_dual_lshrrev_b32 v20, 16, v19
	v_cndmask_b32_e32 v3, s33, v14, vcc_lo
	v_cmp_eq_u32_e64 s5, v8, v9
	v_cmp_eq_u32_e64 s7, v12, v13
	s_wait_dscnt 0x0
	v_and_b32_e32 v6, 0xffff, v25
	v_cndmask_b32_e64 v13, 0x10000, 0, s1
	v_cndmask_b32_e64 v14, 0x10000, 0, vcc_lo
	v_and_b32_e32 v2, 0xffff, v2
	v_cmp_eq_u32_e32 vcc_lo, v4, v5
	v_lshrrev_b32_e32 v4, 16, v16
	v_and_b32_e32 v3, 0xffff, v3
	v_or_b32_e32 v1, v1, v6
	v_dual_cndmask_b32 v2, s33, v7, s5 :: v_dual_bitop2_b32 v31, v13, v2 bitop3:0x54
	v_cndmask_b32_e64 v7, 0x10000, 0, s4
	v_cmp_eq_u32_e64 s1, v10, v11
	v_or_b32_e32 v30, v14, v3
	v_cndmask_b32_e64 v3, s33, v15, s4
	v_cmp_eq_u32_e64 s4, v9, v10
	v_lshrrev_b32_e32 v8, 16, v17
	v_cndmask_b32_e64 v6, 0x10000, 0, s5
	v_and_b32_e32 v2, 0xffff, v2
	v_and_b32_e32 v3, 0xffff, v3
	v_cndmask_b32_e64 v9, s33, v16, s4
	v_cmp_eq_u32_e64 s6, v11, v12
	v_dual_lshrrev_b32 v12, 16, v18 :: v_dual_cndmask_b32 v4, s33, v4, s1
	v_or_b32_e32 v33, v6, v2
	v_cndmask_b32_e64 v2, 0x10000, 0, s4
	v_and_b32_e32 v6, 0xffff, v9
	v_dual_cndmask_b32 v3, s33, v8, s7 :: v_dual_bitop2_b32 v32, v7, v3 bitop3:0x54
	v_cndmask_b32_e64 v10, 0x10000, 0, s1
	v_and_b32_e32 v4, 0xffff, v4
	s_delay_alu instid0(VALU_DEP_4) | instskip(SKIP_2) | instid1(VALU_DEP_4)
	v_dual_cndmask_b32 v7, s33, v12, s9 :: v_dual_bitop2_b32 v34, v2, v6 bitop3:0x54
	v_cndmask_b32_e64 v2, 0x10000, 0, s7
	v_and_b32_e32 v3, 0xffff, v3
	v_dual_cndmask_b32 v8, s33, v18, s8 :: v_dual_bitop2_b32 v35, v10, v4 bitop3:0x54
	v_cndmask_b32_e64 v4, s33, v17, s6
	v_cndmask_b32_e64 v9, 0x10000, 0, s9
	;; [unrolled: 1-line block ×3, first 2 shown]
	v_and_b32_e32 v7, 0xffff, v7
	v_dual_cndmask_b32 v11, s33, v20, vcc_lo :: v_dual_bitop2_b32 v39, v2, v3 bitop3:0x54
	v_and_b32_e32 v8, 0xffff, v8
	v_cndmask_b32_e64 v12, s33, v19, s10
	v_cndmask_b32_e64 v6, 0x10000, 0, s6
	v_and_b32_e32 v4, 0xffff, v4
	v_cndmask_b32_e64 v13, 0x10000, 0, vcc_lo
	v_cndmask_b32_e64 v14, 0x10000, 0, s10
	v_or_b32_e32 v41, v9, v7
	v_and_b32_e32 v11, 0xffff, v11
	v_or_b32_e32 v40, v10, v8
	v_and_b32_e32 v12, 0xffff, v12
	v_or_b32_e32 v38, v6, v4
	v_cmp_ne_u32_e64 s7, v5, v23
	v_or_b32_e32 v37, v13, v11
	v_mov_b64_e32 v[20:21], v[40:41]
	v_or_b32_e32 v36, v14, v12
	v_mov_b64_e32 v[26:27], v[34:35]
	v_cndmask_b32_e64 v44, v24, s33, s7
	v_mov_b64_e32 v[24:25], v[38:39]
	v_mov_b64_e32 v[28:29], v[32:33]
	;; [unrolled: 1-line block ×4, first 2 shown]
	s_mov_b32 s5, -1
.LBB1634_86:
	v_mov_b32_e32 v10, 0
	s_and_saveexec_b32 s1, s5
	s_cbranch_execz .LBB1634_88
; %bb.87:
	v_and_b32_e32 v2, 0xffff, v44
	v_cndmask_b32_e64 v3, 0, 0x10000, s7
	v_mov_b64_e32 v[14:15], v[30:31]
	v_mov_b64_e32 v[28:29], v[32:33]
	;; [unrolled: 1-line block ×6, first 2 shown]
	v_or_b32_e32 v10, v3, v2
.LBB1634_88:
	s_or_b32 exec_lo, exec_lo, s1
	v_cmp_ne_u32_e32 vcc_lo, 0, v22
	v_cmp_gt_u32_e64 s14, 0x10000, v14
	v_cmp_gt_u32_e64 s13, 0x10000, v15
	;; [unrolled: 1-line block ×8, first 2 shown]
	v_dual_lshrrev_b32 v12, 3, v0 :: v_dual_bitop2_b32 v16, v24, v25 bitop3:0x54
	v_cmp_gt_u32_e64 s7, 0x10000, v20
	v_cmp_gt_u32_e64 s5, 0x10000, v21
	;; [unrolled: 1-line block ×4, first 2 shown]
	v_or3_b32 v13, v18, v19, v21
	v_cmp_gt_u32_e64 s16, 0x10000, v10
	v_lshrrev_b32_e32 v11, 16, v1
	v_cmp_gt_u32_e64 s15, 32, v0
	s_barrier_signal -1
	s_barrier_wait -1
	s_cbranch_vccz .LBB1634_150
; %bb.89:
	v_or3_b32 v3, v16, v27, v26
	v_dual_cndmask_b32 v2, 0, v1, s14 :: v_dual_bitop2_b32 v5, 28, v12 bitop3:0x40
	v_or3_b32 v4, v13, v20, v10
	s_delay_alu instid0(VALU_DEP_3) | instskip(NEXT) | instid1(VALU_DEP_3)
	v_or3_b32 v3, v3, v29, v28
	v_add_nc_u16 v2, v2, v14
	s_delay_alu instid0(VALU_DEP_2) | instskip(NEXT) | instid1(VALU_DEP_1)
	v_or3_b32 v3, v3, v15, v14
	v_bitop3_b32 v3, v4, 0xff0000, v3 bitop3:0xc8
	v_lshl_add_u32 v4, v0, 2, v5
	s_delay_alu instid0(VALU_DEP_2) | instskip(SKIP_1) | instid1(VALU_DEP_1)
	v_cmp_eq_u32_e32 vcc_lo, 0, v3
	v_dual_cndmask_b32 v2, 0, v2, s13 :: v_dual_cndmask_b32 v23, 1, v11, vcc_lo
	v_add_nc_u16 v2, v2, v15
	s_delay_alu instid0(VALU_DEP_1) | instskip(NEXT) | instid1(VALU_DEP_1)
	v_cndmask_b32_e64 v2, 0, v2, s12
	v_add_nc_u16 v2, v2, v28
	s_delay_alu instid0(VALU_DEP_1) | instskip(NEXT) | instid1(VALU_DEP_1)
	v_cndmask_b32_e64 v2, 0, v2, s11
	v_add_nc_u16 v2, v2, v29
	s_delay_alu instid0(VALU_DEP_1) | instskip(NEXT) | instid1(VALU_DEP_1)
	v_cndmask_b32_e64 v2, 0, v2, s10
	v_add_nc_u16 v2, v2, v26
	s_delay_alu instid0(VALU_DEP_1) | instskip(NEXT) | instid1(VALU_DEP_1)
	v_cndmask_b32_e64 v2, 0, v2, s9
	v_add_nc_u16 v2, v2, v27
	s_delay_alu instid0(VALU_DEP_1) | instskip(NEXT) | instid1(VALU_DEP_1)
	v_cndmask_b32_e64 v2, 0, v2, s8
	v_add_nc_u16 v2, v2, v24
	s_delay_alu instid0(VALU_DEP_1) | instskip(NEXT) | instid1(VALU_DEP_1)
	v_cndmask_b32_e64 v2, 0, v2, s6
	v_add_nc_u16 v2, v2, v25
	s_delay_alu instid0(VALU_DEP_1) | instskip(NEXT) | instid1(VALU_DEP_1)
	v_cndmask_b32_e64 v2, 0, v2, s7
	v_add_nc_u16 v2, v2, v20
	s_delay_alu instid0(VALU_DEP_1) | instskip(NEXT) | instid1(VALU_DEP_1)
	v_cndmask_b32_e64 v2, 0, v2, s5
	v_add_nc_u16 v2, v2, v21
	s_delay_alu instid0(VALU_DEP_1) | instskip(NEXT) | instid1(VALU_DEP_1)
	v_cndmask_b32_e64 v2, 0, v2, s4
	v_add_nc_u16 v2, v2, v18
	s_delay_alu instid0(VALU_DEP_1) | instskip(NEXT) | instid1(VALU_DEP_1)
	v_cndmask_b32_e64 v2, 0, v2, s1
	v_add_nc_u16 v2, v2, v19
	s_delay_alu instid0(VALU_DEP_1) | instskip(NEXT) | instid1(VALU_DEP_1)
	v_cndmask_b32_e64 v2, 0, v2, s16
	v_add_nc_u16 v17, v2, v10
	ds_store_b16 v4, v17
	ds_store_b8 v4, v23 offset:2
	s_wait_dscnt 0x0
	s_barrier_signal -1
	s_barrier_wait -1
	s_and_saveexec_b32 s16, s15
	s_cbranch_execz .LBB1634_101
; %bb.90:
	v_and_b32_e32 v2, 0xfc, v0
	v_lshlrev_b32_e32 v3, 5, v0
	s_mov_b32 s23, exec_lo
	s_delay_alu instid0(VALU_DEP_1)
	v_add_nc_u32_e32 v2, v2, v3
	ds_load_u8 v4, v2 offset:6
	ds_load_b32 v3, v2
	ds_load_u16 v5, v2 offset:4
	ds_load_u8 v6, v2 offset:10
	ds_load_u16 v7, v2 offset:8
	ds_load_u16 v8, v2 offset:12
	ds_load_u8 v9, v2 offset:14
	ds_load_u16 v30, v2 offset:16
	s_wait_dscnt 0x7
	v_cmp_eq_u16_e32 vcc_lo, 0, v4
	s_wait_dscnt 0x4
	v_dual_cndmask_b32 v31, 0, v3, vcc_lo :: v_dual_bitop2_b32 v4, v6, v4 bitop3:0x54
	v_cmp_eq_u16_e32 vcc_lo, 0, v6
	s_delay_alu instid0(VALU_DEP_2) | instskip(SKIP_4) | instid1(VALU_DEP_2)
	v_add_nc_u16 v5, v31, v5
	ds_load_u8 v31, v2 offset:18
	v_cndmask_b32_e32 v5, 0, v5, vcc_lo
	s_wait_dscnt 0x2
	v_cmp_eq_u16_e32 vcc_lo, 0, v9
	v_add_nc_u16 v5, v5, v7
	ds_load_u8 v7, v2 offset:22
	v_cndmask_b32_e32 v5, 0, v5, vcc_lo
	s_delay_alu instid0(VALU_DEP_1)
	v_add_nc_u16 v5, v5, v8
	ds_load_u16 v8, v2 offset:20
	ds_load_u16 v32, v2 offset:24
	ds_load_u8 v33, v2 offset:26
	ds_load_u16 v34, v2 offset:28
	ds_load_u8 v35, v2 offset:30
	s_wait_dscnt 0x6
	v_cmp_eq_u16_e32 vcc_lo, 0, v31
	v_bitop3_b16 v6, v4, v31, v9 bitop3:0xfe
	v_and_b32_e32 v4, 0x10000, v3
	v_cndmask_b32_e32 v5, 0, v5, vcc_lo
	s_wait_dscnt 0x5
	v_cmp_eq_u16_e32 vcc_lo, 0, v7
	s_wait_dscnt 0x2
	v_bitop3_b16 v6, v6, v33, v7 bitop3:0xfe
	s_wait_dscnt 0x0
	v_and_b32_e32 v7, 1, v35
	v_add_nc_u16 v5, v5, v30
	s_delay_alu instid0(VALU_DEP_1) | instskip(SKIP_1) | instid1(VALU_DEP_2)
	v_cndmask_b32_e32 v5, 0, v5, vcc_lo
	v_cmp_eq_u16_e32 vcc_lo, 0, v33
	v_add_nc_u16 v5, v5, v8
	s_delay_alu instid0(VALU_DEP_1) | instskip(SKIP_1) | instid1(VALU_DEP_2)
	v_cndmask_b32_e32 v5, 0, v5, vcc_lo
	v_cmp_eq_u16_e32 vcc_lo, 0, v35
	;; [unrolled: 4-line block ×3, first 2 shown]
	v_add_nc_u16 v6, v5, v34
	v_cndmask_b32_e32 v8, 0x10000, v4, vcc_lo
	v_cmp_eq_u32_e32 vcc_lo, 1, v7
	v_and_b32_e32 v5, 0xff000000, v3
	v_mbcnt_lo_u32_b32 v7, -1, 0
	v_and_b32_e32 v9, 0xffff, v6
	v_cndmask_b32_e64 v8, v8, 0x10000, vcc_lo
	s_delay_alu instid0(VALU_DEP_1) | instskip(NEXT) | instid1(VALU_DEP_3)
	v_or_b32_e32 v30, v8, v5
	v_or3_b32 v31, v5, v9, v8
	s_delay_alu instid0(VALU_DEP_2) | instskip(NEXT) | instid1(VALU_DEP_2)
	v_dual_lshrrev_b32 v9, 16, v30 :: v_dual_bitop2_b32 v8, 15, v7 bitop3:0x40
	v_mov_b32_dpp v32, v31 row_shr:1 row_mask:0xf bank_mask:0xf
	s_delay_alu instid0(VALU_DEP_2)
	v_cmpx_ne_u32_e32 0, v8
	s_cbranch_execz .LBB1634_92
; %bb.91:
	s_delay_alu instid0(VALU_DEP_2) | instskip(SKIP_1) | instid1(VALU_DEP_2)
	v_dual_lshrrev_b32 v9, 16, v30 :: v_dual_lshrrev_b32 v31, 16, v32
	v_and_b32_e32 v30, 0x10000, v30
	v_and_b32_e32 v9, 0xff, v9
	s_delay_alu instid0(VALU_DEP_1) | instskip(NEXT) | instid1(VALU_DEP_4)
	v_cmp_eq_u16_e32 vcc_lo, 0, v9
	v_dual_cndmask_b32 v32, 0, v32, vcc_lo :: v_dual_bitop2_b32 v31, 1, v31 bitop3:0x40
	s_delay_alu instid0(VALU_DEP_4) | instskip(NEXT) | instid1(VALU_DEP_2)
	v_cmp_ne_u32_e32 vcc_lo, 0, v30
	v_add_nc_u16 v6, v32, v6
	s_delay_alu instid0(VALU_DEP_3) | instskip(NEXT) | instid1(VALU_DEP_2)
	v_cndmask_b32_e64 v9, v31, 1, vcc_lo
	v_and_b32_e32 v31, 0xffff, v6
	s_delay_alu instid0(VALU_DEP_2) | instskip(NEXT) | instid1(VALU_DEP_1)
	v_lshlrev_b32_e32 v30, 16, v9
	v_or3_b32 v31, v30, v31, v5
.LBB1634_92:
	s_or_b32 exec_lo, exec_lo, s23
	s_delay_alu instid0(VALU_DEP_1)
	v_lshrrev_b32_e32 v30, 16, v31
	v_mov_b32_dpp v32, v31 row_shr:2 row_mask:0xf bank_mask:0xf
	s_mov_b32 s23, exec_lo
	v_cmpx_lt_u32_e32 1, v8
	s_cbranch_execz .LBB1634_94
; %bb.93:
	v_and_b32_e32 v30, 0xff, v30
	v_and_b32_e32 v31, 0x10000, v31
	s_delay_alu instid0(VALU_DEP_2) | instskip(SKIP_1) | instid1(VALU_DEP_1)
	v_cmp_eq_u16_e32 vcc_lo, 0, v30
	v_dual_cndmask_b32 v30, 0, v32 :: v_dual_lshrrev_b32 v9, 16, v32
	v_and_b32_e32 v9, 1, v9
	s_delay_alu instid0(VALU_DEP_4) | instskip(NEXT) | instid1(VALU_DEP_3)
	v_cmp_ne_u32_e32 vcc_lo, 0, v31
	v_add_nc_u16 v6, v30, v6
	s_delay_alu instid0(VALU_DEP_3) | instskip(NEXT) | instid1(VALU_DEP_2)
	v_cndmask_b32_e64 v9, v9, 1, vcc_lo
	v_and_b32_e32 v31, 0xffff, v6
	s_delay_alu instid0(VALU_DEP_2) | instskip(NEXT) | instid1(VALU_DEP_1)
	v_lshlrev_b32_e32 v30, 16, v9
	v_or3_b32 v31, v30, v31, v5
	v_mov_b32_e32 v30, v9
.LBB1634_94:
	s_or_b32 exec_lo, exec_lo, s23
	s_delay_alu instid0(VALU_DEP_2)
	v_mov_b32_dpp v32, v31 row_shr:4 row_mask:0xf bank_mask:0xf
	s_mov_b32 s23, exec_lo
	v_cmpx_lt_u32_e32 3, v8
	s_cbranch_execz .LBB1634_96
; %bb.95:
	v_and_b32_e32 v31, 0xff, v30
	v_dual_lshrrev_b32 v9, 16, v32 :: v_dual_bitop2_b32 v30, 1, v30 bitop3:0x40
	s_delay_alu instid0(VALU_DEP_2) | instskip(NEXT) | instid1(VALU_DEP_2)
	v_cmp_eq_u16_e32 vcc_lo, 0, v31
	v_dual_cndmask_b32 v31, 0, v32, vcc_lo :: v_dual_bitop2_b32 v9, 1, v9 bitop3:0x40
	s_delay_alu instid0(VALU_DEP_3) | instskip(NEXT) | instid1(VALU_DEP_2)
	v_cmp_eq_u32_e32 vcc_lo, 1, v30
	v_add_nc_u16 v6, v31, v6
	s_delay_alu instid0(VALU_DEP_3) | instskip(NEXT) | instid1(VALU_DEP_2)
	v_cndmask_b32_e64 v9, v9, 1, vcc_lo
	v_and_b32_e32 v31, 0xffff, v6
	s_delay_alu instid0(VALU_DEP_2) | instskip(NEXT) | instid1(VALU_DEP_1)
	v_lshlrev_b32_e32 v30, 16, v9
	v_or3_b32 v31, v30, v31, v5
	v_mov_b32_e32 v30, v9
.LBB1634_96:
	s_or_b32 exec_lo, exec_lo, s23
	s_delay_alu instid0(VALU_DEP_2)
	v_mov_b32_dpp v32, v31 row_shr:8 row_mask:0xf bank_mask:0xf
	s_mov_b32 s23, exec_lo
	v_cmpx_lt_u32_e32 7, v8
	s_cbranch_execz .LBB1634_98
; %bb.97:
	v_and_b32_e32 v9, 0xff, v30
	v_dual_lshrrev_b32 v8, 16, v32 :: v_dual_bitop2_b32 v30, 1, v30 bitop3:0x40
	s_delay_alu instid0(VALU_DEP_2) | instskip(NEXT) | instid1(VALU_DEP_2)
	v_cmp_eq_u16_e32 vcc_lo, 0, v9
	v_and_b32_e32 v8, 1, v8
	v_cndmask_b32_e32 v31, 0, v32, vcc_lo
	s_delay_alu instid0(VALU_DEP_4) | instskip(NEXT) | instid1(VALU_DEP_3)
	v_cmp_eq_u32_e32 vcc_lo, 1, v30
	v_cndmask_b32_e64 v9, v8, 1, vcc_lo
	s_delay_alu instid0(VALU_DEP_1) | instskip(NEXT) | instid1(VALU_DEP_4)
	v_lshlrev_b32_e32 v8, 16, v9
	v_add_nc_u16 v6, v31, v6
	s_delay_alu instid0(VALU_DEP_1) | instskip(NEXT) | instid1(VALU_DEP_1)
	v_and_b32_e32 v30, 0xffff, v6
	v_or3_b32 v31, v8, v30, v5
	v_mov_b32_e32 v30, v9
.LBB1634_98:
	s_or_b32 exec_lo, exec_lo, s23
	ds_swizzle_b32 v8, v31 offset:swizzle(BROADCAST,32,15)
	v_and_b32_e32 v31, 16, v7
	s_mov_b32 s23, exec_lo
	s_delay_alu instid0(VALU_DEP_1)
	v_cmpx_ne_u32_e32 0, v31
	s_cbranch_execz .LBB1634_100
; %bb.99:
	v_and_b32_e32 v9, 0xff, v30
	s_delay_alu instid0(VALU_DEP_1) | instskip(SKIP_2) | instid1(VALU_DEP_1)
	v_cmp_eq_u16_e32 vcc_lo, 0, v9
	s_wait_dscnt 0x0
	v_dual_lshrrev_b32 v31, 16, v8 :: v_dual_bitop2_b32 v9, 1, v30 bitop3:0x40
	v_dual_cndmask_b32 v8, 0, v8, vcc_lo :: v_dual_bitop2_b32 v30, 1, v31 bitop3:0x40
	s_delay_alu instid0(VALU_DEP_2) | instskip(NEXT) | instid1(VALU_DEP_2)
	v_cmp_eq_u32_e32 vcc_lo, 1, v9
	v_add_nc_u16 v6, v8, v6
	s_delay_alu instid0(VALU_DEP_3)
	v_cndmask_b32_e64 v9, v30, 1, vcc_lo
.LBB1634_100:
	s_or_b32 exec_lo, exec_lo, s23
	s_wait_dscnt 0x0
	s_delay_alu instid0(VALU_DEP_1) | instskip(SKIP_2) | instid1(VALU_DEP_3)
	v_and_b32_e32 v8, 0xff, v9
	v_add_nc_u32_e32 v9, -1, v7
	v_and_b32_e32 v6, 0xffff, v6
	; wave barrier
	v_lshlrev_b32_e32 v8, 16, v8
	s_delay_alu instid0(VALU_DEP_3) | instskip(NEXT) | instid1(VALU_DEP_2)
	v_cmp_gt_i32_e32 vcc_lo, 0, v9
	v_or3_b32 v5, v8, v6, v5
	v_cndmask_b32_e32 v7, v9, v7, vcc_lo
	s_delay_alu instid0(VALU_DEP_1) | instskip(SKIP_2) | instid1(VALU_DEP_1)
	v_lshlrev_b32_e32 v6, 2, v7
	ds_bpermute_b32 v5, v6, v5
	v_and_b32_e32 v6, 0xff0000, v3
	v_cmp_eq_u32_e32 vcc_lo, 0, v6
	s_wait_dscnt 0x0
	v_dual_lshrrev_b32 v7, 16, v5 :: v_dual_cndmask_b32 v5, 0, v5, vcc_lo
	v_cmp_eq_u32_e32 vcc_lo, 0, v4
	s_delay_alu instid0(VALU_DEP_2) | instskip(NEXT) | instid1(VALU_DEP_1)
	v_add_nc_u16 v3, v5, v3
	v_dual_cndmask_b32 v3, v3, v17, s2 :: v_dual_bitop2_b32 v6, 1, v7 bitop3:0x40
	s_delay_alu instid0(VALU_DEP_1) | instskip(NEXT) | instid1(VALU_DEP_1)
	v_cndmask_b32_e32 v4, 1, v6, vcc_lo
	v_cndmask_b32_e64 v4, v4, v23, s2
	ds_store_b16 v2, v3
	ds_store_b8 v2, v4 offset:2
	; wave barrier
	ds_load_u8 v5, v2 offset:6
	ds_load_u16 v6, v2 offset:4
	ds_load_u8 v7, v2 offset:10
	ds_load_u16 v8, v2 offset:8
	ds_load_u16 v9, v2 offset:12
	ds_load_u8 v30, v2 offset:14
	ds_load_u16 v31, v2 offset:16
	ds_load_u8 v32, v2 offset:18
	s_wait_dscnt 0x7
	v_cmp_eq_u16_e32 vcc_lo, 0, v5
	v_dual_cndmask_b32 v3, 0, v3, vcc_lo :: v_dual_bitop2_b32 v5, 1, v5 bitop3:0x40
	s_wait_dscnt 0x5
	v_cmp_eq_u16_e32 vcc_lo, 0, v7
	v_and_b32_e32 v7, 1, v7
	s_delay_alu instid0(VALU_DEP_3) | instskip(NEXT) | instid1(VALU_DEP_1)
	v_add_nc_u16 v3, v3, v6
	v_cndmask_b32_e32 v6, 0, v3, vcc_lo
	s_wait_dscnt 0x2
	v_cmp_eq_u16_e32 vcc_lo, 0, v30
	s_delay_alu instid0(VALU_DEP_2)
	v_add_nc_u16 v6, v6, v8
	ds_load_u8 v8, v2 offset:22
	ds_load_u16 v34, v2 offset:20
	ds_load_u8 v35, v2 offset:26
	ds_load_u8 v36, v2 offset:30
	v_cndmask_b32_e32 v33, 0, v6, vcc_lo
	v_cmp_eq_u32_e32 vcc_lo, 1, v5
	v_and_b32_e32 v5, 1, v30
	s_delay_alu instid0(VALU_DEP_3)
	v_add_nc_u16 v9, v33, v9
	v_cndmask_b32_e64 v4, v4, 1, vcc_lo
	s_wait_dscnt 0x4
	v_cmp_eq_u16_e32 vcc_lo, 0, v32
	ds_load_u16 v33, v2 offset:24
	ds_load_u16 v37, v2 offset:28
	v_cndmask_b32_e32 v30, 0, v9, vcc_lo
	v_cmp_eq_u32_e32 vcc_lo, 1, v7
	s_delay_alu instid0(VALU_DEP_2) | instskip(SKIP_3) | instid1(VALU_DEP_3)
	v_add_nc_u16 v30, v30, v31
	v_cndmask_b32_e64 v7, v4, 1, vcc_lo
	v_cmp_eq_u32_e32 vcc_lo, 1, v5
	v_and_b32_e32 v31, 1, v32
	v_cndmask_b32_e64 v5, v7, 1, vcc_lo
	s_wait_dscnt 0x5
	v_cmp_eq_u16_e32 vcc_lo, 0, v8
	v_dual_cndmask_b32 v32, 0, v30, vcc_lo :: v_dual_bitop2_b32 v8, 1, v8 bitop3:0x40
	v_cmp_eq_u32_e32 vcc_lo, 1, v31
	s_wait_dscnt 0x4
	s_delay_alu instid0(VALU_DEP_2)
	v_add_nc_u16 v32, v32, v34
	v_cndmask_b32_e64 v31, v5, 1, vcc_lo
	v_cmp_eq_u32_e32 vcc_lo, 1, v8
	ds_store_b16 v2, v3 offset:4
	ds_store_b8 v2, v4 offset:6
	ds_store_b16 v2, v6 offset:8
	ds_store_b8 v2, v7 offset:10
	;; [unrolled: 2-line block ×4, first 2 shown]
	v_cndmask_b32_e64 v8, v31, 1, vcc_lo
	s_wait_dscnt 0xb
	v_cmp_eq_u16_e32 vcc_lo, 0, v35
	v_dual_cndmask_b32 v35, 0, v32, vcc_lo :: v_dual_bitop2_b32 v34, 1, v35 bitop3:0x40
	s_delay_alu instid0(VALU_DEP_1) | instskip(SKIP_1) | instid1(VALU_DEP_2)
	v_cmp_eq_u32_e32 vcc_lo, 1, v34
	s_wait_dscnt 0x9
	v_add_nc_u16 v33, v35, v33
	v_and_b32_e32 v38, 1, v36
	v_cndmask_b32_e64 v34, v8, 1, vcc_lo
	s_delay_alu instid0(VALU_DEP_2) | instskip(NEXT) | instid1(VALU_DEP_2)
	v_cmp_eq_u32_e32 vcc_lo, 1, v38
	v_cndmask_b32_e64 v35, v34, 1, vcc_lo
	v_cmp_eq_u16_e32 vcc_lo, 0, v36
	v_cndmask_b32_e32 v36, 0, v33, vcc_lo
	s_wait_dscnt 0x8
	s_delay_alu instid0(VALU_DEP_1)
	v_add_nc_u16 v3, v36, v37
	ds_store_b16 v2, v32 offset:20
	ds_store_b8 v2, v8 offset:22
	ds_store_b16 v2, v33 offset:24
	ds_store_b8 v2, v34 offset:26
	;; [unrolled: 2-line block ×3, first 2 shown]
.LBB1634_101:
	s_or_b32 exec_lo, exec_lo, s16
	s_wait_dscnt 0x0
	s_barrier_signal -1
	s_barrier_wait -1
	s_and_saveexec_b32 s16, s3
	s_cbranch_execz .LBB1634_103
; %bb.102:
	v_add_nc_u32_e32 v2, -1, v0
	s_delay_alu instid0(VALU_DEP_1) | instskip(NEXT) | instid1(VALU_DEP_1)
	v_lshrrev_b32_e32 v3, 3, v2
	v_and_b32_e32 v3, 0x1ffffffc, v3
	s_delay_alu instid0(VALU_DEP_1)
	v_lshl_add_u32 v2, v2, 2, v3
	ds_load_u16 v17, v2
	ds_load_u8 v23, v2 offset:2
.LBB1634_103:
	s_or_b32 exec_lo, exec_lo, s16
	s_and_saveexec_b32 s16, s15
	s_cbranch_execz .LBB1634_155
; %bb.104:
	v_dual_mov_b32 v9, 0 :: v_dual_add_nc_u32 v30, 32, v22
	v_mbcnt_lo_u32_b32 v31, -1, 0
	ds_load_b32 v2, v9 offset:1048
	v_cmp_eq_u32_e64 s15, 0, v31
	s_and_saveexec_b32 s23, s15
	s_cbranch_execz .LBB1634_106
; %bb.105:
	v_mov_b32_e32 v3, 1
	s_wait_dscnt 0x0
	global_store_b64 v30, v[2:3], s[20:21] scale_offset scope:SCOPE_DEV
.LBB1634_106:
	s_wait_xcnt 0x0
	s_or_b32 exec_lo, exec_lo, s23
	v_xad_u32 v4, v31, -1, v22
	s_mov_b32 s23, exec_lo
	s_delay_alu instid0(VALU_DEP_1) | instskip(SKIP_4) | instid1(VALU_DEP_1)
	v_add_nc_u32_e32 v8, 32, v4
	global_load_b64 v[6:7], v8, s[20:21] scale_offset scope:SCOPE_DEV
	s_wait_loadcnt 0x0
	v_and_b32_e32 v3, 0xff, v7
	s_wait_xcnt 0x0
	v_cmpx_eq_u16_e32 0, v3
	s_cbranch_execz .LBB1634_110
; %bb.107:
	v_lshl_add_u64 v[8:9], v[8:9], 3, s[20:21]
	s_mov_b32 s34, 0
.LBB1634_108:                           ; =>This Inner Loop Header: Depth=1
	global_load_b64 v[6:7], v[8:9], off scope:SCOPE_DEV
	s_wait_loadcnt 0x0
	v_and_b32_e32 v3, 0xff, v7
	s_delay_alu instid0(VALU_DEP_1)
	v_cmp_ne_u16_e32 vcc_lo, 0, v3
	s_or_b32 s34, vcc_lo, s34
	s_wait_xcnt 0x0
	s_and_not1_b32 exec_lo, exec_lo, s34
	s_cbranch_execnz .LBB1634_108
; %bb.109:
	s_or_b32 exec_lo, exec_lo, s34
.LBB1634_110:
	s_delay_alu instid0(SALU_CYCLE_1)
	s_or_b32 exec_lo, exec_lo, s23
	v_cmp_ne_u32_e32 vcc_lo, 31, v31
	v_and_b32_e32 v39, 0xffffff, v6
	v_and_b32_e32 v5, 0xff, v7
	v_lshlrev_b32_e64 v22, v31, -1
	v_bfe_u32 v9, v6, 16, 8
	v_add_co_ci_u32_e64 v3, null, 0, v31, vcc_lo
	s_delay_alu instid0(VALU_DEP_4) | instskip(SKIP_1) | instid1(VALU_DEP_2)
	v_cmp_eq_u16_e32 vcc_lo, 2, v5
	s_mov_b32 s23, exec_lo
	v_dual_lshrrev_b32 v8, 16, v6 :: v_dual_lshlrev_b32 v3, 2, v3
	v_and_or_b32 v5, vcc_lo, v22, 0x80000000
	ds_bpermute_b32 v32, v3, v39
	v_ctz_i32_b32_e32 v5, v5
	s_delay_alu instid0(VALU_DEP_1)
	v_cmpx_lt_u32_e64 v31, v5
	s_cbranch_execz .LBB1634_112
; %bb.111:
	v_and_b32_e32 v8, 0xff0000, v6
	s_delay_alu instid0(VALU_DEP_1) | instskip(SKIP_3) | instid1(VALU_DEP_1)
	v_and_b32_e32 v33, 0x10000, v8
	v_cmp_eq_u32_e32 vcc_lo, 0, v8
	s_wait_dscnt 0x0
	v_dual_cndmask_b32 v32, 0, v32 :: v_dual_lshrrev_b32 v9, 16, v32
	v_and_b32_e32 v9, 1, v9
	v_cmp_ne_u32_e32 vcc_lo, 0, v33
	s_delay_alu instid0(VALU_DEP_3) | instskip(NEXT) | instid1(VALU_DEP_3)
	v_add_nc_u16 v6, v32, v6
	v_cndmask_b32_e64 v8, v9, 1, vcc_lo
	s_delay_alu instid0(VALU_DEP_2) | instskip(NEXT) | instid1(VALU_DEP_2)
	v_and_b32_e32 v32, 0xffff, v6
	v_lshlrev_b32_e32 v9, 16, v8
	s_delay_alu instid0(VALU_DEP_1)
	v_dual_mov_b32 v9, v8 :: v_dual_bitop2_b32 v39, v9, v32 bitop3:0x54
.LBB1634_112:
	s_or_b32 exec_lo, exec_lo, s23
	v_cmp_gt_u32_e32 vcc_lo, 30, v31
	v_add_nc_u32_e32 v33, 2, v31
	s_mov_b32 s23, exec_lo
	s_wait_dscnt 0x0
	v_cndmask_b32_e64 v32, 0, 2, vcc_lo
	s_delay_alu instid0(VALU_DEP_1)
	v_add_lshl_u32 v32, v32, v31, 2
	ds_bpermute_b32 v34, v32, v39
	v_cmpx_le_u32_e64 v33, v5
	s_cbranch_execz .LBB1634_114
; %bb.113:
	v_cmp_eq_u16_e32 vcc_lo, 0, v9
	s_wait_dscnt 0x0
	v_dual_lshrrev_b32 v8, 16, v34 :: v_dual_bitop2_b32 v9, 1, v9 bitop3:0x40
	s_delay_alu instid0(VALU_DEP_1) | instskip(NEXT) | instid1(VALU_DEP_2)
	v_dual_cndmask_b32 v34, 0, v34, vcc_lo :: v_dual_bitop2_b32 v8, 1, v8 bitop3:0x40
	v_cmp_eq_u32_e32 vcc_lo, 1, v9
	s_delay_alu instid0(VALU_DEP_2) | instskip(NEXT) | instid1(VALU_DEP_3)
	v_add_nc_u16 v6, v34, v6
	v_cndmask_b32_e64 v8, v8, 1, vcc_lo
	s_delay_alu instid0(VALU_DEP_2) | instskip(NEXT) | instid1(VALU_DEP_2)
	v_and_b32_e32 v9, 0xffff, v6
	v_lshlrev_b32_e32 v34, 16, v8
	s_delay_alu instid0(VALU_DEP_1)
	v_dual_mov_b32 v9, v8 :: v_dual_bitop2_b32 v39, v34, v9 bitop3:0x54
.LBB1634_114:
	s_or_b32 exec_lo, exec_lo, s23
	v_cmp_gt_u32_e32 vcc_lo, 28, v31
	v_add_nc_u32_e32 v35, 4, v31
	s_mov_b32 s23, exec_lo
	s_wait_dscnt 0x0
	v_cndmask_b32_e64 v34, 0, 4, vcc_lo
	s_delay_alu instid0(VALU_DEP_1)
	v_add_lshl_u32 v34, v34, v31, 2
	ds_bpermute_b32 v36, v34, v39
	v_cmpx_le_u32_e64 v35, v5
	s_cbranch_execz .LBB1634_116
; %bb.115:
	v_cmp_eq_u16_e32 vcc_lo, 0, v9
	s_wait_dscnt 0x0
	v_dual_lshrrev_b32 v8, 16, v36 :: v_dual_bitop2_b32 v9, 1, v9 bitop3:0x40
	v_cndmask_b32_e32 v36, 0, v36, vcc_lo
	s_delay_alu instid0(VALU_DEP_2) | instskip(NEXT) | instid1(VALU_DEP_3)
	v_and_b32_e32 v8, 1, v8
	v_cmp_eq_u32_e32 vcc_lo, 1, v9
	s_delay_alu instid0(VALU_DEP_3) | instskip(NEXT) | instid1(VALU_DEP_3)
	v_add_nc_u16 v6, v36, v6
	v_cndmask_b32_e64 v8, v8, 1, vcc_lo
	s_delay_alu instid0(VALU_DEP_2) | instskip(NEXT) | instid1(VALU_DEP_2)
	v_and_b32_e32 v9, 0xffff, v6
	v_lshlrev_b32_e32 v36, 16, v8
	s_delay_alu instid0(VALU_DEP_1)
	v_or_b32_e32 v39, v36, v9
	v_mov_b32_e32 v9, v8
.LBB1634_116:
	s_or_b32 exec_lo, exec_lo, s23
	v_cmp_gt_u32_e32 vcc_lo, 24, v31
	v_add_nc_u32_e32 v37, 8, v31
	s_mov_b32 s23, exec_lo
	s_wait_dscnt 0x0
	v_cndmask_b32_e64 v36, 0, 8, vcc_lo
	s_delay_alu instid0(VALU_DEP_1)
	v_add_lshl_u32 v36, v36, v31, 2
	ds_bpermute_b32 v38, v36, v39
	v_cmpx_le_u32_e64 v37, v5
	s_cbranch_execz .LBB1634_118
; %bb.117:
	v_cmp_eq_u16_e32 vcc_lo, 0, v9
	s_wait_dscnt 0x0
	v_dual_lshrrev_b32 v8, 16, v38 :: v_dual_bitop2_b32 v9, 1, v9 bitop3:0x40
	s_delay_alu instid0(VALU_DEP_1) | instskip(NEXT) | instid1(VALU_DEP_2)
	v_dual_cndmask_b32 v38, 0, v38, vcc_lo :: v_dual_bitop2_b32 v8, 1, v8 bitop3:0x40
	v_cmp_eq_u32_e32 vcc_lo, 1, v9
	s_delay_alu instid0(VALU_DEP_2) | instskip(NEXT) | instid1(VALU_DEP_3)
	v_add_nc_u16 v6, v38, v6
	v_cndmask_b32_e64 v8, v8, 1, vcc_lo
	s_delay_alu instid0(VALU_DEP_2) | instskip(NEXT) | instid1(VALU_DEP_2)
	v_and_b32_e32 v9, 0xffff, v6
	v_lshlrev_b32_e32 v38, 16, v8
	s_delay_alu instid0(VALU_DEP_1)
	v_dual_mov_b32 v9, v8 :: v_dual_bitop2_b32 v39, v38, v9 bitop3:0x54
.LBB1634_118:
	s_or_b32 exec_lo, exec_lo, s23
	s_wait_dscnt 0x0
	v_lshl_or_b32 v38, v31, 2, 64
	s_mov_b32 s23, exec_lo
	ds_bpermute_b32 v40, v38, v39
	v_add_nc_u32_e32 v39, 16, v31
	s_delay_alu instid0(VALU_DEP_1)
	v_cmpx_le_u32_e64 v39, v5
	s_cbranch_execz .LBB1634_120
; %bb.119:
	v_cmp_eq_u16_e32 vcc_lo, 0, v9
	s_wait_dscnt 0x0
	v_dual_lshrrev_b32 v5, 16, v40 :: v_dual_bitop2_b32 v9, 1, v9 bitop3:0x40
	s_delay_alu instid0(VALU_DEP_1) | instskip(NEXT) | instid1(VALU_DEP_2)
	v_dual_cndmask_b32 v8, 0, v40, vcc_lo :: v_dual_bitop2_b32 v5, 1, v5 bitop3:0x40
	v_cmp_eq_u32_e32 vcc_lo, 1, v9
	s_delay_alu instid0(VALU_DEP_2) | instskip(NEXT) | instid1(VALU_DEP_3)
	v_add_nc_u16 v6, v8, v6
	v_cndmask_b32_e64 v8, v5, 1, vcc_lo
.LBB1634_120:
	s_or_b32 exec_lo, exec_lo, s23
	v_mov_b32_e32 v5, 0
	s_branch .LBB1634_123
.LBB1634_121:                           ;   in Loop: Header=BB1634_123 Depth=1
	s_or_b32 exec_lo, exec_lo, s23
	v_and_b32_e32 v8, 0xff, v40
	s_delay_alu instid0(VALU_DEP_2) | instskip(SKIP_2) | instid1(VALU_DEP_3)
	v_and_b32_e32 v9, 1, v9
	v_subrev_nc_u32_e32 v4, 32, v4
	s_mov_b32 s23, 0
	v_cmp_eq_u16_e32 vcc_lo, 0, v8
	v_dual_cndmask_b32 v6, 0, v6, vcc_lo :: v_dual_bitop2_b32 v8, 1, v40 bitop3:0x40
	s_delay_alu instid0(VALU_DEP_1) | instskip(NEXT) | instid1(VALU_DEP_2)
	v_cmp_eq_u32_e32 vcc_lo, 1, v8
	v_add_nc_u16 v6, v6, v41
	v_cndmask_b32_e64 v8, v9, 1, vcc_lo
.LBB1634_122:                           ;   in Loop: Header=BB1634_123 Depth=1
	s_and_b32 vcc_lo, exec_lo, s23
	s_cbranch_vccnz .LBB1634_151
.LBB1634_123:                           ; =>This Loop Header: Depth=1
                                        ;     Child Loop BB1634_126 Depth 2
	v_and_b32_e32 v7, 0xff, v7
	s_wait_dscnt 0x0
	v_dual_mov_b32 v40, v8 :: v_dual_mov_b32 v41, v6
	s_mov_b32 s23, -1
                                        ; implicit-def: $vgpr8
	s_delay_alu instid0(VALU_DEP_2)
	v_cmp_ne_u16_e32 vcc_lo, 2, v7
                                        ; implicit-def: $vgpr6
	s_cmp_lg_u32 vcc_lo, exec_lo
	s_cbranch_scc1 .LBB1634_122
; %bb.124:                              ;   in Loop: Header=BB1634_123 Depth=1
	global_load_b64 v[6:7], v4, s[20:21] scale_offset scope:SCOPE_DEV
	s_mov_b32 s23, exec_lo
	s_wait_loadcnt 0x0
	v_and_b32_e32 v8, 0xff, v7
	s_wait_xcnt 0x0
	s_delay_alu instid0(VALU_DEP_1)
	v_cmpx_eq_u16_e32 0, v8
	s_cbranch_execz .LBB1634_128
; %bb.125:                              ;   in Loop: Header=BB1634_123 Depth=1
	v_lshl_add_u64 v[8:9], v[4:5], 3, s[20:21]
	s_mov_b32 s34, 0
.LBB1634_126:                           ;   Parent Loop BB1634_123 Depth=1
                                        ; =>  This Inner Loop Header: Depth=2
	global_load_b64 v[6:7], v[8:9], off scope:SCOPE_DEV
	s_wait_loadcnt 0x0
	v_and_b32_e32 v42, 0xff, v7
	s_delay_alu instid0(VALU_DEP_1)
	v_cmp_ne_u16_e32 vcc_lo, 0, v42
	s_or_b32 s34, vcc_lo, s34
	s_wait_xcnt 0x0
	s_and_not1_b32 exec_lo, exec_lo, s34
	s_cbranch_execnz .LBB1634_126
; %bb.127:                              ;   in Loop: Header=BB1634_123 Depth=1
	s_or_b32 exec_lo, exec_lo, s34
.LBB1634_128:                           ;   in Loop: Header=BB1634_123 Depth=1
	s_delay_alu instid0(SALU_CYCLE_1)
	s_or_b32 exec_lo, exec_lo, s23
	v_and_b32_e32 v43, 0xffffff, v6
	v_and_b32_e32 v8, 0xff, v7
	v_lshrrev_b32_e32 v9, 16, v6
	v_bfe_u32 v42, v6, 16, 8
	s_mov_b32 s23, exec_lo
	ds_bpermute_b32 v44, v3, v43
	v_cmp_eq_u16_e32 vcc_lo, 2, v8
	v_and_or_b32 v8, vcc_lo, v22, 0x80000000
	s_delay_alu instid0(VALU_DEP_1) | instskip(NEXT) | instid1(VALU_DEP_1)
	v_ctz_i32_b32_e32 v8, v8
	v_cmpx_lt_u32_e64 v31, v8
	s_cbranch_execz .LBB1634_130
; %bb.129:                              ;   in Loop: Header=BB1634_123 Depth=1
	v_and_b32_e32 v9, 0xff0000, v6
	s_delay_alu instid0(VALU_DEP_1) | instskip(SKIP_3) | instid1(VALU_DEP_1)
	v_and_b32_e32 v43, 0x10000, v9
	v_cmp_eq_u32_e32 vcc_lo, 0, v9
	s_wait_dscnt 0x0
	v_dual_lshrrev_b32 v42, 16, v44 :: v_dual_cndmask_b32 v44, 0, v44, vcc_lo
	v_and_b32_e32 v42, 1, v42
	v_cmp_ne_u32_e32 vcc_lo, 0, v43
	s_delay_alu instid0(VALU_DEP_3) | instskip(NEXT) | instid1(VALU_DEP_3)
	v_add_nc_u16 v6, v44, v6
	v_cndmask_b32_e64 v9, v42, 1, vcc_lo
	s_delay_alu instid0(VALU_DEP_2) | instskip(NEXT) | instid1(VALU_DEP_2)
	v_and_b32_e32 v43, 0xffff, v6
	v_lshlrev_b32_e32 v42, 16, v9
	s_delay_alu instid0(VALU_DEP_1)
	v_dual_mov_b32 v42, v9 :: v_dual_bitop2_b32 v43, v42, v43 bitop3:0x54
.LBB1634_130:                           ;   in Loop: Header=BB1634_123 Depth=1
	s_or_b32 exec_lo, exec_lo, s23
	s_wait_dscnt 0x0
	ds_bpermute_b32 v44, v32, v43
	s_mov_b32 s23, exec_lo
	v_cmpx_le_u32_e64 v33, v8
	s_cbranch_execz .LBB1634_132
; %bb.131:                              ;   in Loop: Header=BB1634_123 Depth=1
	v_cmp_eq_u16_e32 vcc_lo, 0, v42
	s_wait_dscnt 0x0
	v_dual_lshrrev_b32 v9, 16, v44 :: v_dual_bitop2_b32 v42, 1, v42 bitop3:0x40
	s_delay_alu instid0(VALU_DEP_1) | instskip(NEXT) | instid1(VALU_DEP_2)
	v_dual_cndmask_b32 v43, 0, v44, vcc_lo :: v_dual_bitop2_b32 v9, 1, v9 bitop3:0x40
	v_cmp_eq_u32_e32 vcc_lo, 1, v42
	s_delay_alu instid0(VALU_DEP_2) | instskip(NEXT) | instid1(VALU_DEP_3)
	v_add_nc_u16 v6, v43, v6
	v_cndmask_b32_e64 v9, v9, 1, vcc_lo
	s_delay_alu instid0(VALU_DEP_2) | instskip(NEXT) | instid1(VALU_DEP_2)
	v_and_b32_e32 v42, 0xffff, v6
	v_lshlrev_b32_e32 v43, 16, v9
	s_delay_alu instid0(VALU_DEP_1)
	v_dual_mov_b32 v42, v9 :: v_dual_bitop2_b32 v43, v43, v42 bitop3:0x54
.LBB1634_132:                           ;   in Loop: Header=BB1634_123 Depth=1
	s_or_b32 exec_lo, exec_lo, s23
	s_wait_dscnt 0x0
	ds_bpermute_b32 v44, v34, v43
	s_mov_b32 s23, exec_lo
	v_cmpx_le_u32_e64 v35, v8
	s_cbranch_execz .LBB1634_134
; %bb.133:                              ;   in Loop: Header=BB1634_123 Depth=1
	v_cmp_eq_u16_e32 vcc_lo, 0, v42
	s_wait_dscnt 0x0
	v_dual_lshrrev_b32 v9, 16, v44 :: v_dual_bitop2_b32 v42, 1, v42 bitop3:0x40
	s_delay_alu instid0(VALU_DEP_1) | instskip(NEXT) | instid1(VALU_DEP_2)
	v_dual_cndmask_b32 v43, 0, v44, vcc_lo :: v_dual_bitop2_b32 v9, 1, v9 bitop3:0x40
	v_cmp_eq_u32_e32 vcc_lo, 1, v42
	s_delay_alu instid0(VALU_DEP_2) | instskip(NEXT) | instid1(VALU_DEP_3)
	v_add_nc_u16 v6, v43, v6
	v_cndmask_b32_e64 v9, v9, 1, vcc_lo
	s_delay_alu instid0(VALU_DEP_2) | instskip(NEXT) | instid1(VALU_DEP_2)
	v_and_b32_e32 v42, 0xffff, v6
	v_lshlrev_b32_e32 v43, 16, v9
	s_delay_alu instid0(VALU_DEP_1)
	v_dual_mov_b32 v42, v9 :: v_dual_bitop2_b32 v43, v43, v42 bitop3:0x54
.LBB1634_134:                           ;   in Loop: Header=BB1634_123 Depth=1
	s_or_b32 exec_lo, exec_lo, s23
	s_wait_dscnt 0x0
	ds_bpermute_b32 v44, v36, v43
	s_mov_b32 s23, exec_lo
	v_cmpx_le_u32_e64 v37, v8
	s_cbranch_execz .LBB1634_136
; %bb.135:                              ;   in Loop: Header=BB1634_123 Depth=1
	v_cmp_eq_u16_e32 vcc_lo, 0, v42
	s_wait_dscnt 0x0
	v_dual_lshrrev_b32 v9, 16, v44 :: v_dual_bitop2_b32 v42, 1, v42 bitop3:0x40
	s_delay_alu instid0(VALU_DEP_1) | instskip(NEXT) | instid1(VALU_DEP_2)
	v_dual_cndmask_b32 v43, 0, v44, vcc_lo :: v_dual_bitop2_b32 v9, 1, v9 bitop3:0x40
	v_cmp_eq_u32_e32 vcc_lo, 1, v42
	s_delay_alu instid0(VALU_DEP_2) | instskip(NEXT) | instid1(VALU_DEP_3)
	v_add_nc_u16 v6, v43, v6
	v_cndmask_b32_e64 v9, v9, 1, vcc_lo
	s_delay_alu instid0(VALU_DEP_2) | instskip(NEXT) | instid1(VALU_DEP_2)
	v_and_b32_e32 v42, 0xffff, v6
	v_lshlrev_b32_e32 v43, 16, v9
	s_delay_alu instid0(VALU_DEP_1)
	v_dual_mov_b32 v42, v9 :: v_dual_bitop2_b32 v43, v43, v42 bitop3:0x54
.LBB1634_136:                           ;   in Loop: Header=BB1634_123 Depth=1
	s_or_b32 exec_lo, exec_lo, s23
	ds_bpermute_b32 v43, v38, v43
	s_mov_b32 s23, exec_lo
	v_cmpx_le_u32_e64 v39, v8
	s_cbranch_execz .LBB1634_121
; %bb.137:                              ;   in Loop: Header=BB1634_123 Depth=1
	v_cmp_eq_u16_e32 vcc_lo, 0, v42
	s_wait_dscnt 0x0
	v_dual_lshrrev_b32 v42, 16, v43 :: v_dual_bitop2_b32 v9, 1, v42 bitop3:0x40
	v_cndmask_b32_e32 v8, 0, v43, vcc_lo
	s_delay_alu instid0(VALU_DEP_2) | instskip(NEXT) | instid1(VALU_DEP_2)
	v_cmp_eq_u32_e32 vcc_lo, 1, v9
	v_add_nc_u16 v6, v8, v6
	s_delay_alu instid0(VALU_DEP_4)
	v_cndmask_b32_e64 v9, v42, 1, vcc_lo
	s_branch .LBB1634_121
.LBB1634_138:
	s_or_b32 exec_lo, exec_lo, s16
                                        ; implicit-def: $vgpr15
	s_and_saveexec_b32 s16, s1
	s_cbranch_execz .LBB1634_37
.LBB1634_139:
	flat_load_u16 v15, v0, s[34:35] offset:512 scale_offset
	s_wait_xcnt 0x0
	s_or_b32 exec_lo, exec_lo, s16
                                        ; implicit-def: $vgpr16
	s_and_saveexec_b32 s1, s4
	s_cbranch_execnz .LBB1634_38
.LBB1634_140:
	s_or_b32 exec_lo, exec_lo, s1
                                        ; implicit-def: $vgpr17
	s_and_saveexec_b32 s1, s5
	s_cbranch_execz .LBB1634_39
.LBB1634_141:
	flat_load_u16 v17, v0, s[34:35] offset:1536 scale_offset
	s_wait_xcnt 0x0
	s_or_b32 exec_lo, exec_lo, s1
                                        ; implicit-def: $vgpr18
	s_and_saveexec_b32 s1, s6
	s_cbranch_execnz .LBB1634_40
.LBB1634_142:
	s_or_b32 exec_lo, exec_lo, s1
                                        ; implicit-def: $vgpr19
	s_and_saveexec_b32 s1, s7
	s_cbranch_execz .LBB1634_41
.LBB1634_143:
	flat_load_u16 v19, v0, s[34:35] offset:2560 scale_offset
	s_wait_xcnt 0x0
	s_or_b32 exec_lo, exec_lo, s1
                                        ; implicit-def: $vgpr20
	s_and_saveexec_b32 s1, s8
	s_cbranch_execnz .LBB1634_42
.LBB1634_144:
	s_or_b32 exec_lo, exec_lo, s1
                                        ; implicit-def: $vgpr21
	s_and_saveexec_b32 s1, s9
	s_cbranch_execz .LBB1634_43
.LBB1634_145:
	flat_load_u16 v21, v0, s[34:35] offset:3584 scale_offset
	s_wait_xcnt 0x0
	s_or_b32 exec_lo, exec_lo, s1
                                        ; implicit-def: $vgpr24
	s_and_saveexec_b32 s1, s10
	s_cbranch_execnz .LBB1634_44
.LBB1634_146:
	s_or_b32 exec_lo, exec_lo, s1
                                        ; implicit-def: $vgpr25
	s_and_saveexec_b32 s1, s11
	s_cbranch_execz .LBB1634_45
.LBB1634_147:
	flat_load_u16 v25, v0, s[34:35] offset:4608 scale_offset
	s_wait_xcnt 0x0
	s_or_b32 exec_lo, exec_lo, s1
                                        ; implicit-def: $vgpr26
	s_and_saveexec_b32 s1, s12
	s_cbranch_execnz .LBB1634_46
.LBB1634_148:
	s_or_b32 exec_lo, exec_lo, s1
                                        ; implicit-def: $vgpr27
	s_and_saveexec_b32 s1, s13
	s_cbranch_execz .LBB1634_47
.LBB1634_149:
	flat_load_u16 v27, v0, s[34:35] offset:5632 scale_offset
	s_wait_xcnt 0x0
	s_or_b32 exec_lo, exec_lo, s1
                                        ; implicit-def: $vgpr28
	s_and_saveexec_b32 s1, s14
	s_cbranch_execz .LBB1634_49
	s_branch .LBB1634_48
.LBB1634_150:
                                        ; implicit-def: $vgpr4
                                        ; implicit-def: $vgpr5
                                        ; implicit-def: $vgpr6
                                        ; implicit-def: $vgpr7
                                        ; implicit-def: $vgpr8
                                        ; implicit-def: $vgpr9
                                        ; implicit-def: $vgpr17
                                        ; implicit-def: $vgpr22
                                        ; implicit-def: $vgpr23
                                        ; implicit-def: $vgpr30
                                        ; implicit-def: $vgpr31
                                        ; implicit-def: $vgpr32
                                        ; implicit-def: $vgpr33
                                        ; implicit-def: $vgpr34
	s_cbranch_execnz .LBB1634_156
	s_branch .LBB1634_175
.LBB1634_151:
	s_and_saveexec_b32 s23, s15
	s_cbranch_execz .LBB1634_153
; %bb.152:
	v_and_b32_e32 v3, 0xff0000, v2
	v_and_b32_e32 v5, 0x10000, v2
	s_delay_alu instid0(VALU_DEP_2) | instskip(SKIP_1) | instid1(VALU_DEP_3)
	v_cmp_eq_u32_e32 vcc_lo, 0, v3
	v_dual_cndmask_b32 v3, 0, v41, vcc_lo :: v_dual_bitop2_b32 v4, 1, v40 bitop3:0x40
	v_cmp_eq_u32_e32 vcc_lo, 0, v5
	s_delay_alu instid0(VALU_DEP_2) | instskip(NEXT) | instid1(VALU_DEP_1)
	v_add_nc_u16 v2, v3, v2
	v_and_b32_e32 v2, 0xffff, v2
	s_delay_alu instid0(VALU_DEP_4) | instskip(NEXT) | instid1(VALU_DEP_1)
	v_lshlrev_b32_e32 v4, 16, v4
	v_cndmask_b32_e32 v3, 0x10000, v4, vcc_lo
	s_delay_alu instid0(VALU_DEP_1)
	v_dual_mov_b32 v3, 2 :: v_dual_bitop2_b32 v2, v3, v2 bitop3:0x54
	global_store_b64 v30, v[2:3], s[20:21] scale_offset scope:SCOPE_DEV
.LBB1634_153:
	s_wait_xcnt 0x0
	s_or_b32 exec_lo, exec_lo, s23
	s_delay_alu instid0(SALU_CYCLE_1)
	s_and_b32 exec_lo, exec_lo, s2
	s_cbranch_execz .LBB1634_155
; %bb.154:
	v_mov_b32_e32 v2, 0
	ds_store_b16 v2, v41
	ds_store_b8 v2, v40 offset:2
.LBB1634_155:
	s_or_b32 exec_lo, exec_lo, s16
	v_mov_b32_e32 v2, 0
	s_wait_storecnt_dscnt 0x0
	s_barrier_signal -1
	s_barrier_wait -1
	ds_load_b32 v2, v2
	v_and_b32_e32 v3, 0xff, v23
	v_and_b32_e32 v5, 0xff0000, v1
	s_delay_alu instid0(VALU_DEP_2) | instskip(SKIP_2) | instid1(VALU_DEP_3)
	v_cmp_eq_u16_e32 vcc_lo, 0, v3
	s_wait_dscnt 0x0
	v_cndmask_b32_e32 v3, 0, v2, vcc_lo
	v_cmp_eq_u32_e32 vcc_lo, 0, v5
	s_delay_alu instid0(VALU_DEP_2) | instskip(NEXT) | instid1(VALU_DEP_1)
	v_add_nc_u16 v3, v3, v17
	v_cndmask_b32_e64 v4, v3, v2, s2
	s_delay_alu instid0(VALU_DEP_1) | instskip(NEXT) | instid1(VALU_DEP_1)
	v_cndmask_b32_e32 v2, 0, v4, vcc_lo
	v_add_nc_u16 v5, v2, v1
	s_delay_alu instid0(VALU_DEP_1) | instskip(NEXT) | instid1(VALU_DEP_1)
	v_cndmask_b32_e64 v2, 0, v5, s14
	v_add_nc_u16 v6, v2, v14
	s_delay_alu instid0(VALU_DEP_1) | instskip(NEXT) | instid1(VALU_DEP_1)
	v_cndmask_b32_e64 v2, 0, v6, s13
	;; [unrolled: 3-line block ×12, first 2 shown]
	v_add_nc_u16 v34, v2, v19
	s_branch .LBB1634_175
.LBB1634_156:
	s_cmp_eq_u64 s[30:31], 0
	v_mov_b32_e32 v2, s33
	s_cselect_b32 s1, -1, 0
	s_cmp_eq_u64 s[26:27], 0
	s_cselect_b32 s4, -1, 0
	s_delay_alu instid0(SALU_CYCLE_1) | instskip(NEXT) | instid1(SALU_CYCLE_1)
	s_or_b32 s1, s1, s4
	s_and_b32 vcc_lo, exec_lo, s1
	s_cbranch_vccnz .LBB1634_158
; %bb.157:
	v_mov_b32_e32 v2, 0
	global_load_u16 v2, v2, s[26:27]
.LBB1634_158:
	v_cmp_gt_u32_e32 vcc_lo, 0x10000, v14
	v_cmp_gt_u32_e64 s1, 0x10000, v15
	v_cmp_gt_u32_e64 s4, 0x10000, v28
	;; [unrolled: 1-line block ×4, first 2 shown]
	v_dual_cndmask_b32 v3, 0, v1, vcc_lo :: v_dual_bitop2_b32 v6, 28, v12 bitop3:0x40
	v_cmp_gt_u32_e64 s7, 0x10000, v27
	v_cmp_gt_u32_e64 s8, 0x10000, v24
	;; [unrolled: 1-line block ×3, first 2 shown]
	s_delay_alu instid0(VALU_DEP_4)
	v_add_nc_u16 v3, v3, v14
	v_cmp_gt_u32_e64 s10, 0x10000, v20
	v_cmp_gt_u32_e64 s11, 0x10000, v21
	;; [unrolled: 1-line block ×3, first 2 shown]
	v_or3_b32 v4, v16, v27, v26
	v_cndmask_b32_e64 v3, 0, v3, s1
	v_cmp_gt_u32_e64 s13, 0x10000, v19
	v_or3_b32 v5, v13, v20, v10
	v_cmp_gt_u32_e64 s14, 0x10000, v10
	v_or3_b32 v4, v4, v29, v28
	v_add_nc_u16 v3, v3, v15
	v_lshl_add_u32 v6, v0, 2, v6
	s_mov_b32 s15, exec_lo
	s_delay_alu instid0(VALU_DEP_3) | instskip(NEXT) | instid1(VALU_DEP_3)
	v_or3_b32 v4, v4, v15, v14
	v_cndmask_b32_e64 v3, 0, v3, s4
	s_delay_alu instid0(VALU_DEP_2) | instskip(NEXT) | instid1(VALU_DEP_2)
	v_bitop3_b32 v5, v5, 0xff0000, v4 bitop3:0xc8
	v_add_nc_u16 v3, v3, v28
	s_delay_alu instid0(VALU_DEP_1) | instskip(NEXT) | instid1(VALU_DEP_1)
	v_cndmask_b32_e64 v3, 0, v3, s5
	v_add_nc_u16 v3, v3, v29
	s_delay_alu instid0(VALU_DEP_1) | instskip(NEXT) | instid1(VALU_DEP_1)
	v_cndmask_b32_e64 v3, 0, v3, s6
	;; [unrolled: 3-line block ×9, first 2 shown]
	v_add_nc_u16 v3, v3, v19
	s_delay_alu instid0(VALU_DEP_1) | instskip(SKIP_1) | instid1(VALU_DEP_2)
	v_cndmask_b32_e64 v3, 0, v3, s14
	v_cmp_eq_u32_e64 s14, 0, v5
	v_add_nc_u16 v4, v3, v10
	s_delay_alu instid0(VALU_DEP_2)
	v_cndmask_b32_e64 v5, 1, v11, s14
	ds_store_b16 v6, v4
	ds_store_b8 v6, v5 offset:2
	s_wait_loadcnt_dscnt 0x0
	s_barrier_signal -1
	s_barrier_wait -1
	v_cmpx_gt_u32_e32 32, v0
	s_cbranch_execz .LBB1634_170
; %bb.159:
	v_and_b32_e32 v3, 0xfc, v0
	v_lshlrev_b32_e32 v6, 5, v0
	s_mov_b32 s16, exec_lo
	s_delay_alu instid0(VALU_DEP_1)
	v_add_nc_u32_e32 v3, v3, v6
	ds_load_u8 v7, v3 offset:6
	ds_load_b32 v6, v3
	ds_load_u16 v8, v3 offset:4
	ds_load_u8 v9, v3 offset:10
	ds_load_u16 v10, v3 offset:8
	ds_load_u16 v11, v3 offset:12
	ds_load_u8 v12, v3 offset:14
	ds_load_u16 v13, v3 offset:16
	s_wait_dscnt 0x7
	v_cmp_eq_u16_e64 s14, 0, v7
	s_wait_dscnt 0x4
	s_delay_alu instid0(VALU_DEP_1) | instskip(SKIP_1) | instid1(VALU_DEP_2)
	v_dual_cndmask_b32 v16, 0, v6, s14 :: v_dual_bitop2_b32 v7, v9, v7 bitop3:0x54
	v_cmp_eq_u16_e64 s14, 0, v9
	v_add_nc_u16 v8, v16, v8
	ds_load_u8 v16, v3 offset:18
	v_cndmask_b32_e64 v8, 0, v8, s14
	s_wait_dscnt 0x2
	v_cmp_eq_u16_e64 s14, 0, v12
	s_delay_alu instid0(VALU_DEP_2) | instskip(SKIP_2) | instid1(VALU_DEP_1)
	v_add_nc_u16 v8, v8, v10
	ds_load_u8 v10, v3 offset:22
	v_cndmask_b32_e64 v8, 0, v8, s14
	v_add_nc_u16 v8, v8, v11
	s_wait_dscnt 0x1
	v_cmp_eq_u16_e64 s14, 0, v16
	ds_load_u16 v11, v3 offset:20
	ds_load_u16 v17, v3 offset:24
	ds_load_u8 v22, v3 offset:26
	ds_load_u16 v23, v3 offset:28
	ds_load_u8 v30, v3 offset:30
	v_bitop3_b16 v9, v7, v16, v12 bitop3:0xfe
	v_and_b32_e32 v7, 0x10000, v6
	v_cndmask_b32_e64 v8, 0, v8, s14
	s_delay_alu instid0(VALU_DEP_1) | instskip(SKIP_2) | instid1(VALU_DEP_1)
	v_add_nc_u16 v8, v8, v13
	s_wait_dscnt 0x5
	v_cmp_eq_u16_e64 s14, 0, v10
	v_cndmask_b32_e64 v8, 0, v8, s14
	s_wait_dscnt 0x2
	v_cmp_eq_u16_e64 s14, 0, v22
	v_bitop3_b16 v9, v9, v22, v10 bitop3:0xfe
	s_delay_alu instid0(VALU_DEP_3) | instskip(SKIP_1) | instid1(VALU_DEP_1)
	v_add_nc_u16 v8, v8, v11
	s_wait_dscnt 0x0
	v_dual_cndmask_b32 v8, 0, v8, s14 :: v_dual_bitop2_b32 v10, 1, v30 bitop3:0x40
	v_cmp_eq_u16_e64 s14, 0, v30
	s_delay_alu instid0(VALU_DEP_2) | instskip(NEXT) | instid1(VALU_DEP_1)
	v_add_nc_u16 v8, v8, v17
	v_cndmask_b32_e64 v8, 0, v8, s14
	v_cmp_eq_u16_e64 s14, 0, v9
	s_delay_alu instid0(VALU_DEP_2) | instskip(NEXT) | instid1(VALU_DEP_2)
	v_add_nc_u16 v9, v8, v23
	v_cndmask_b32_e64 v11, 0x10000, v7, s14
	v_cmp_eq_u32_e64 s14, 1, v10
	v_and_b32_e32 v8, 0xff000000, v6
	v_mbcnt_lo_u32_b32 v10, -1, 0
	v_and_b32_e32 v12, 0xffff, v9
	s_delay_alu instid0(VALU_DEP_4) | instskip(NEXT) | instid1(VALU_DEP_1)
	v_cndmask_b32_e64 v11, v11, 0x10000, s14
	v_or_b32_e32 v13, v11, v8
	s_delay_alu instid0(VALU_DEP_3) | instskip(NEXT) | instid1(VALU_DEP_2)
	v_or3_b32 v16, v8, v12, v11
	v_dual_lshrrev_b32 v12, 16, v13 :: v_dual_bitop2_b32 v11, 15, v10 bitop3:0x40
	s_delay_alu instid0(VALU_DEP_2) | instskip(NEXT) | instid1(VALU_DEP_2)
	v_mov_b32_dpp v17, v16 row_shr:1 row_mask:0xf bank_mask:0xf
	v_cmpx_ne_u32_e32 0, v11
	s_cbranch_execz .LBB1634_161
; %bb.160:
	s_delay_alu instid0(VALU_DEP_2) | instskip(SKIP_2) | instid1(VALU_DEP_3)
	v_lshrrev_b32_e32 v16, 16, v17
	v_lshrrev_b32_e32 v12, 16, v13
	v_and_b32_e32 v13, 0x10000, v13
	v_and_b32_e32 v16, 1, v16
	s_delay_alu instid0(VALU_DEP_3) | instskip(NEXT) | instid1(VALU_DEP_1)
	v_and_b32_e32 v12, 0xff, v12
	v_cmp_eq_u16_e64 s14, 0, v12
	s_delay_alu instid0(VALU_DEP_1) | instskip(SKIP_1) | instid1(VALU_DEP_2)
	v_cndmask_b32_e64 v17, 0, v17, s14
	v_cmp_ne_u32_e64 s14, 0, v13
	v_add_nc_u16 v9, v17, v9
	s_delay_alu instid0(VALU_DEP_2) | instskip(NEXT) | instid1(VALU_DEP_2)
	v_cndmask_b32_e64 v12, v16, 1, s14
	v_and_b32_e32 v16, 0xffff, v9
	s_delay_alu instid0(VALU_DEP_2) | instskip(NEXT) | instid1(VALU_DEP_1)
	v_lshlrev_b32_e32 v13, 16, v12
	v_or3_b32 v16, v13, v16, v8
.LBB1634_161:
	s_or_b32 exec_lo, exec_lo, s16
	s_delay_alu instid0(VALU_DEP_1)
	v_lshrrev_b32_e32 v13, 16, v16
	v_mov_b32_dpp v17, v16 row_shr:2 row_mask:0xf bank_mask:0xf
	s_mov_b32 s16, exec_lo
	v_cmpx_lt_u32_e32 1, v11
	s_cbranch_execz .LBB1634_163
; %bb.162:
	v_and_b32_e32 v13, 0xff, v13
	v_and_b32_e32 v16, 0x10000, v16
	s_delay_alu instid0(VALU_DEP_2) | instskip(NEXT) | instid1(VALU_DEP_1)
	v_cmp_eq_u16_e64 s14, 0, v13
	v_dual_lshrrev_b32 v12, 16, v17 :: v_dual_cndmask_b32 v13, 0, v17, s14
	s_delay_alu instid0(VALU_DEP_1) | instskip(NEXT) | instid1(VALU_DEP_4)
	v_and_b32_e32 v12, 1, v12
	v_cmp_ne_u32_e64 s14, 0, v16
	s_delay_alu instid0(VALU_DEP_3) | instskip(NEXT) | instid1(VALU_DEP_2)
	v_add_nc_u16 v9, v13, v9
	v_cndmask_b32_e64 v12, v12, 1, s14
	s_delay_alu instid0(VALU_DEP_2) | instskip(NEXT) | instid1(VALU_DEP_2)
	v_and_b32_e32 v16, 0xffff, v9
	v_lshlrev_b32_e32 v13, 16, v12
	s_delay_alu instid0(VALU_DEP_1)
	v_or3_b32 v16, v13, v16, v8
	v_mov_b32_e32 v13, v12
.LBB1634_163:
	s_or_b32 exec_lo, exec_lo, s16
	s_delay_alu instid0(VALU_DEP_2)
	v_mov_b32_dpp v17, v16 row_shr:4 row_mask:0xf bank_mask:0xf
	s_mov_b32 s16, exec_lo
	v_cmpx_lt_u32_e32 3, v11
	s_cbranch_execz .LBB1634_165
; %bb.164:
	v_and_b32_e32 v16, 0xff, v13
	v_and_b32_e32 v13, 1, v13
	s_delay_alu instid0(VALU_DEP_2) | instskip(NEXT) | instid1(VALU_DEP_1)
	v_cmp_eq_u16_e64 s14, 0, v16
	v_dual_lshrrev_b32 v12, 16, v17 :: v_dual_cndmask_b32 v16, 0, v17, s14
	s_delay_alu instid0(VALU_DEP_1) | instskip(NEXT) | instid1(VALU_DEP_4)
	v_and_b32_e32 v12, 1, v12
	v_cmp_eq_u32_e64 s14, 1, v13
	s_delay_alu instid0(VALU_DEP_3) | instskip(NEXT) | instid1(VALU_DEP_2)
	v_add_nc_u16 v9, v16, v9
	v_cndmask_b32_e64 v12, v12, 1, s14
	s_delay_alu instid0(VALU_DEP_2) | instskip(NEXT) | instid1(VALU_DEP_2)
	v_and_b32_e32 v16, 0xffff, v9
	v_lshlrev_b32_e32 v13, 16, v12
	s_delay_alu instid0(VALU_DEP_1)
	v_or3_b32 v16, v13, v16, v8
	v_mov_b32_e32 v13, v12
.LBB1634_165:
	s_or_b32 exec_lo, exec_lo, s16
	s_delay_alu instid0(VALU_DEP_2)
	v_mov_b32_dpp v17, v16 row_shr:8 row_mask:0xf bank_mask:0xf
	s_mov_b32 s16, exec_lo
	v_cmpx_lt_u32_e32 7, v11
	s_cbranch_execz .LBB1634_167
; %bb.166:
	v_and_b32_e32 v12, 0xff, v13
	v_and_b32_e32 v13, 1, v13
	s_delay_alu instid0(VALU_DEP_2) | instskip(NEXT) | instid1(VALU_DEP_1)
	v_cmp_eq_u16_e64 s14, 0, v12
	v_dual_lshrrev_b32 v11, 16, v17 :: v_dual_cndmask_b32 v16, 0, v17, s14
	s_delay_alu instid0(VALU_DEP_1) | instskip(NEXT) | instid1(VALU_DEP_4)
	v_and_b32_e32 v11, 1, v11
	v_cmp_eq_u32_e64 s14, 1, v13
	s_delay_alu instid0(VALU_DEP_3) | instskip(NEXT) | instid1(VALU_DEP_2)
	v_add_nc_u16 v9, v16, v9
	v_cndmask_b32_e64 v12, v11, 1, s14
	s_delay_alu instid0(VALU_DEP_2) | instskip(NEXT) | instid1(VALU_DEP_2)
	v_and_b32_e32 v13, 0xffff, v9
	v_lshlrev_b32_e32 v11, 16, v12
	s_delay_alu instid0(VALU_DEP_1)
	v_or3_b32 v16, v11, v13, v8
	v_mov_b32_e32 v13, v12
.LBB1634_167:
	s_or_b32 exec_lo, exec_lo, s16
	ds_swizzle_b32 v11, v16 offset:swizzle(BROADCAST,32,15)
	v_and_b32_e32 v16, 16, v10
	s_mov_b32 s16, exec_lo
	s_delay_alu instid0(VALU_DEP_1)
	v_cmpx_ne_u32_e32 0, v16
	s_cbranch_execz .LBB1634_169
; %bb.168:
	v_and_b32_e32 v12, 0xff, v13
	s_delay_alu instid0(VALU_DEP_1) | instskip(SKIP_2) | instid1(VALU_DEP_1)
	v_cmp_eq_u16_e64 s14, 0, v12
	s_wait_dscnt 0x0
	v_dual_lshrrev_b32 v16, 16, v11 :: v_dual_bitop2_b32 v12, 1, v13 bitop3:0x40
	v_dual_cndmask_b32 v11, 0, v11, s14 :: v_dual_bitop2_b32 v13, 1, v16 bitop3:0x40
	s_delay_alu instid0(VALU_DEP_2) | instskip(NEXT) | instid1(VALU_DEP_2)
	v_cmp_eq_u32_e64 s14, 1, v12
	v_add_nc_u16 v9, v11, v9
	s_delay_alu instid0(VALU_DEP_2)
	v_cndmask_b32_e64 v12, v13, 1, s14
.LBB1634_169:
	s_or_b32 exec_lo, exec_lo, s16
	s_wait_dscnt 0x0
	s_delay_alu instid0(VALU_DEP_1) | instskip(SKIP_2) | instid1(VALU_DEP_3)
	v_and_b32_e32 v11, 0xff, v12
	v_add_nc_u32_e32 v12, -1, v10
	v_and_b32_e32 v9, 0xffff, v9
	; wave barrier
	v_lshlrev_b32_e32 v11, 16, v11
	s_delay_alu instid0(VALU_DEP_3) | instskip(NEXT) | instid1(VALU_DEP_2)
	v_cmp_gt_i32_e64 s14, 0, v12
	v_or3_b32 v8, v11, v9, v8
	s_delay_alu instid0(VALU_DEP_2) | instskip(NEXT) | instid1(VALU_DEP_1)
	v_cndmask_b32_e64 v10, v12, v10, s14
	v_lshlrev_b32_e32 v9, 2, v10
	ds_bpermute_b32 v8, v9, v8
	v_and_b32_e32 v9, 0xff0000, v6
	s_delay_alu instid0(VALU_DEP_1) | instskip(SKIP_1) | instid1(VALU_DEP_1)
	v_cmp_eq_u32_e64 s14, 0, v9
	s_wait_dscnt 0x0
	v_dual_lshrrev_b32 v10, 16, v8 :: v_dual_cndmask_b32 v8, 0, v8, s14
	v_cmp_eq_u32_e64 s14, 0, v7
	s_delay_alu instid0(VALU_DEP_2) | instskip(NEXT) | instid1(VALU_DEP_1)
	v_add_nc_u16 v6, v8, v6
	v_dual_cndmask_b32 v4, v6, v4, s2 :: v_dual_bitop2_b32 v9, 1, v10 bitop3:0x40
	s_delay_alu instid0(VALU_DEP_1) | instskip(NEXT) | instid1(VALU_DEP_1)
	v_cndmask_b32_e64 v7, 1, v9, s14
	v_cndmask_b32_e64 v5, v7, v5, s2
	ds_store_b16 v3, v4
	ds_store_b8 v3, v5 offset:2
	; wave barrier
	ds_load_u8 v6, v3 offset:6
	ds_load_u16 v7, v3 offset:4
	ds_load_u8 v8, v3 offset:10
	ds_load_u16 v9, v3 offset:8
	ds_load_u16 v10, v3 offset:12
	ds_load_u8 v11, v3 offset:14
	ds_load_u16 v12, v3 offset:16
	ds_load_u8 v13, v3 offset:18
	s_wait_dscnt 0x7
	v_cmp_eq_u16_e64 s14, 0, v6
	s_delay_alu instid0(VALU_DEP_1) | instskip(SKIP_2) | instid1(VALU_DEP_2)
	v_cndmask_b32_e64 v4, 0, v4, s14
	s_wait_dscnt 0x5
	v_cmp_eq_u16_e64 s14, 0, v8
	v_add_nc_u16 v4, v4, v7
	s_delay_alu instid0(VALU_DEP_1) | instskip(SKIP_2) | instid1(VALU_DEP_2)
	v_cndmask_b32_e64 v7, 0, v4, s14
	s_wait_dscnt 0x2
	v_cmp_eq_u16_e64 s14, 0, v11
	v_add_nc_u16 v7, v7, v9
	v_and_b32_e32 v6, 1, v6
	ds_load_u8 v9, v3 offset:22
	ds_load_u16 v17, v3 offset:20
	ds_load_u8 v22, v3 offset:26
	ds_load_u8 v23, v3 offset:30
	v_cndmask_b32_e64 v16, 0, v7, s14
	v_cmp_eq_u32_e64 s14, 1, v6
	v_and_b32_e32 v6, 1, v11
	s_delay_alu instid0(VALU_DEP_3) | instskip(NEXT) | instid1(VALU_DEP_3)
	v_add_nc_u16 v10, v16, v10
	v_cndmask_b32_e64 v5, v5, 1, s14
	s_wait_dscnt 0x4
	v_cmp_eq_u16_e64 s14, 0, v13
	v_and_b32_e32 v8, 1, v8
	ds_load_u16 v16, v3 offset:24
	ds_load_u16 v30, v3 offset:28
	v_cndmask_b32_e64 v11, 0, v10, s14
	v_cmp_eq_u32_e64 s14, 1, v8
	s_delay_alu instid0(VALU_DEP_2) | instskip(NEXT) | instid1(VALU_DEP_2)
	v_add_nc_u16 v11, v11, v12
	v_cndmask_b32_e64 v8, v5, 1, s14
	v_cmp_eq_u32_e64 s14, 1, v6
	v_and_b32_e32 v12, 1, v13
	s_wait_dscnt 0x2
	v_and_b32_e32 v31, 1, v23
	s_delay_alu instid0(VALU_DEP_3) | instskip(SKIP_1) | instid1(VALU_DEP_1)
	v_cndmask_b32_e64 v6, v8, 1, s14
	v_cmp_eq_u16_e64 s14, 0, v9
	v_dual_cndmask_b32 v13, 0, v11, s14 :: v_dual_bitop2_b32 v9, 1, v9 bitop3:0x40
	v_cmp_eq_u32_e64 s14, 1, v12
	s_delay_alu instid0(VALU_DEP_2) | instskip(NEXT) | instid1(VALU_DEP_2)
	v_add_nc_u16 v13, v13, v17
	v_cndmask_b32_e64 v12, v6, 1, s14
	s_delay_alu instid0(VALU_DEP_4)
	v_cmp_eq_u32_e64 s14, 1, v9
	v_and_b32_e32 v17, 1, v22
	ds_store_b16 v3, v4 offset:4
	ds_store_b8 v3, v5 offset:6
	ds_store_b16 v3, v7 offset:8
	ds_store_b8 v3, v8 offset:10
	;; [unrolled: 2-line block ×4, first 2 shown]
	v_cndmask_b32_e64 v9, v12, 1, s14
	v_cmp_eq_u16_e64 s14, 0, v22
	s_delay_alu instid0(VALU_DEP_1) | instskip(SKIP_2) | instid1(VALU_DEP_2)
	v_cndmask_b32_e64 v22, 0, v13, s14
	v_cmp_eq_u32_e64 s14, 1, v17
	s_wait_dscnt 0x9
	v_add_nc_u16 v16, v22, v16
	s_delay_alu instid0(VALU_DEP_2) | instskip(SKIP_1) | instid1(VALU_DEP_1)
	v_cndmask_b32_e64 v17, v9, 1, s14
	v_cmp_eq_u32_e64 s14, 1, v31
	v_cndmask_b32_e64 v22, v17, 1, s14
	v_cmp_eq_u16_e64 s14, 0, v23
	s_delay_alu instid0(VALU_DEP_1) | instskip(SKIP_1) | instid1(VALU_DEP_1)
	v_cndmask_b32_e64 v23, 0, v16, s14
	s_wait_dscnt 0x8
	v_add_nc_u16 v4, v23, v30
	ds_store_b16 v3, v13 offset:20
	ds_store_b8 v3, v9 offset:22
	ds_store_b16 v3, v16 offset:24
	ds_store_b8 v3, v17 offset:26
	;; [unrolled: 2-line block ×3, first 2 shown]
.LBB1634_170:
	s_or_b32 exec_lo, exec_lo, s15
	v_mov_b32_e32 v4, v2
	s_wait_dscnt 0x0
	s_barrier_signal -1
	s_barrier_wait -1
	s_and_saveexec_b32 s14, s3
	s_cbranch_execz .LBB1634_172
; %bb.171:
	v_add_nc_u32_e32 v3, -1, v0
	s_delay_alu instid0(VALU_DEP_1) | instskip(NEXT) | instid1(VALU_DEP_1)
	v_lshrrev_b32_e32 v4, 3, v3
	v_and_b32_e32 v4, 0x1ffffffc, v4
	s_delay_alu instid0(VALU_DEP_1) | instskip(SKIP_4) | instid1(VALU_DEP_1)
	v_lshl_add_u32 v3, v3, 2, v4
	ds_load_u8 v4, v3 offset:2
	ds_load_u16 v3, v3
	s_wait_dscnt 0x1
	v_cmp_eq_u16_e64 s3, 0, v4
	v_cndmask_b32_e64 v4, 0, v2, s3
	s_wait_dscnt 0x0
	s_delay_alu instid0(VALU_DEP_1)
	v_add_nc_u16 v4, v4, v3
.LBB1634_172:
	s_or_b32 exec_lo, exec_lo, s14
	v_and_b32_e32 v3, 0xff0000, v1
	s_delay_alu instid0(VALU_DEP_1) | instskip(NEXT) | instid1(VALU_DEP_1)
	v_cmp_eq_u32_e64 s3, 0, v3
	v_cndmask_b32_e64 v3, 0, v4, s3
	s_delay_alu instid0(VALU_DEP_1) | instskip(NEXT) | instid1(VALU_DEP_1)
	v_add_nc_u16 v5, v3, v1
	v_cndmask_b32_e32 v1, 0, v5, vcc_lo
	s_delay_alu instid0(VALU_DEP_1) | instskip(NEXT) | instid1(VALU_DEP_1)
	v_add_nc_u16 v6, v1, v14
	v_cndmask_b32_e64 v1, 0, v6, s1
	s_delay_alu instid0(VALU_DEP_1) | instskip(NEXT) | instid1(VALU_DEP_1)
	v_add_nc_u16 v7, v1, v15
	v_cndmask_b32_e64 v1, 0, v7, s4
	;; [unrolled: 3-line block ×11, first 2 shown]
	s_and_saveexec_b32 s1, s2
	s_cbranch_execz .LBB1634_174
; %bb.173:
	v_mov_b32_e32 v10, 0
	ds_load_u8 v3, v10 offset:1050
	ds_load_u16 v11, v10 offset:1048
	s_wait_dscnt 0x1
	v_cmp_eq_u32_e32 vcc_lo, 0, v3
	v_dual_cndmask_b32 v2, 0, v2 :: v_dual_lshlrev_b32 v3, 16, v3
	s_wait_dscnt 0x0
	s_delay_alu instid0(VALU_DEP_1) | instskip(NEXT) | instid1(VALU_DEP_1)
	v_add_nc_u32_e32 v2, v2, v11
	v_and_b32_e32 v2, 0xffff, v2
	s_delay_alu instid0(VALU_DEP_1)
	v_dual_mov_b32 v3, 2 :: v_dual_bitop2_b32 v2, v3, v2 bitop3:0x54
	global_store_b64 v10, v[2:3], s[20:21] offset:256 scope:SCOPE_DEV
.LBB1634_174:
	s_wait_xcnt 0x0
	s_or_b32 exec_lo, exec_lo, s1
	v_add_nc_u16 v34, v1, v19
.LBB1634_175:
	v_mov_b32_e32 v1, 0
	s_add_nc_u64 s[2:3], s[18:19], s[28:29]
	s_and_b32 vcc_lo, exec_lo, s0
	s_add_nc_u64 s[0:1], s[2:3], s[24:25]
	s_cbranch_vccz .LBB1634_231
; %bb.176:
	v_mul_u32_u24_e32 v2, 14, v0
	v_dual_mov_b32 v3, 0 :: v_dual_mov_b32 v10, 0
	v_dual_mov_b32 v11, 0 :: v_dual_mov_b32 v12, 0
	;; [unrolled: 1-line block ×3, first 2 shown]
	s_add_co_i32 s17, s17, s22
	s_mov_b32 s2, exec_lo
	v_cmpx_gt_u32_e64 s17, v2
	s_cbranch_execz .LBB1634_204
; %bb.177:
	v_dual_mov_b32 v3, 0 :: v_dual_bitop2_b32 v12, 1, v2 bitop3:0x54
	v_and_b32_e32 v1, 0xffff, v4
	v_dual_mov_b32 v10, 0 :: v_dual_mov_b32 v11, 0
	s_delay_alu instid0(VALU_DEP_3)
	v_cmp_gt_u32_e32 vcc_lo, s17, v12
	v_dual_mov_b32 v12, 0 :: v_dual_mov_b32 v13, 0
	v_mov_b32_e32 v14, 0
	s_and_saveexec_b32 s3, vcc_lo
	s_cbranch_execz .LBB1634_203
; %bb.178:
	v_perm_b32 v1, v5, v1, 0x5040100
	v_dual_mov_b32 v14, 0 :: v_dual_mov_b32 v13, 0
	v_dual_mov_b32 v12, 0 :: v_dual_add_nc_u32 v15, 2, v2
	v_dual_mov_b32 v11, 0 :: v_dual_mov_b32 v10, 0
	v_mov_b32_e32 v3, 0
	s_mov_b32 s4, exec_lo
	s_delay_alu instid0(VALU_DEP_3)
	v_cmpx_gt_u32_e64 s17, v15
	s_cbranch_execz .LBB1634_202
; %bb.179:
	v_bfi_b32 v3, 0xffff, v6, 0
	v_dual_mov_b32 v14, 0 :: v_dual_add_nc_u32 v15, 3, v2
	v_dual_mov_b32 v13, 0 :: v_dual_mov_b32 v12, 0
	v_dual_mov_b32 v11, 0 :: v_dual_mov_b32 v10, 0
	s_mov_b32 s5, exec_lo
	s_delay_alu instid0(VALU_DEP_3)
	v_cmpx_gt_u32_e64 s17, v15
	s_cbranch_execz .LBB1634_201
; %bb.180:
	v_perm_b32 v3, v7, v3, 0x5040100
	v_dual_mov_b32 v14, 0 :: v_dual_add_nc_u32 v15, 4, v2
	v_dual_mov_b32 v13, 0 :: v_dual_mov_b32 v12, 0
	v_dual_mov_b32 v11, 0 :: v_dual_mov_b32 v10, 0
	s_mov_b32 s6, exec_lo
	s_delay_alu instid0(VALU_DEP_3)
	v_cmpx_gt_u32_e64 s17, v15
	s_cbranch_execz .LBB1634_200
; %bb.181:
	v_bfi_b32 v10, 0xffff, v8, 0
	v_dual_mov_b32 v14, 0 :: v_dual_add_nc_u32 v15, 5, v2
	v_dual_mov_b32 v13, 0 :: v_dual_mov_b32 v12, 0
	v_mov_b32_e32 v11, 0
	s_mov_b32 s7, exec_lo
	s_delay_alu instid0(VALU_DEP_3)
	v_cmpx_gt_u32_e64 s17, v15
	s_cbranch_execz .LBB1634_199
; %bb.182:
	v_perm_b32 v10, v9, v10, 0x5040100
	v_dual_mov_b32 v14, 0 :: v_dual_add_nc_u32 v15, 6, v2
	v_dual_mov_b32 v13, 0 :: v_dual_mov_b32 v12, 0
	v_mov_b32_e32 v11, 0
	s_mov_b32 s8, exec_lo
	s_delay_alu instid0(VALU_DEP_3)
	v_cmpx_gt_u32_e64 s17, v15
	s_cbranch_execz .LBB1634_198
; %bb.183:
	v_dual_mov_b32 v14, 0 :: v_dual_add_nc_u32 v15, 7, v2
	v_bfi_b32 v11, 0xffff, v17, 0
	v_dual_mov_b32 v13, 0 :: v_dual_mov_b32 v12, 0
	s_mov_b32 s9, exec_lo
	s_delay_alu instid0(VALU_DEP_3)
	v_cmpx_gt_u32_e64 s17, v15
	s_cbranch_execz .LBB1634_197
; %bb.184:
	v_dual_mov_b32 v14, 0 :: v_dual_add_nc_u32 v15, 8, v2
	v_perm_b32 v11, v22, v11, 0x5040100
	v_dual_mov_b32 v13, 0 :: v_dual_mov_b32 v12, 0
	s_mov_b32 s10, exec_lo
	s_delay_alu instid0(VALU_DEP_3)
	v_cmpx_gt_u32_e64 s17, v15
	s_cbranch_execz .LBB1634_196
; %bb.185:
	v_dual_mov_b32 v14, 0 :: v_dual_add_nc_u32 v15, 9, v2
	v_bfi_b32 v12, 0xffff, v23, 0
	v_mov_b32_e32 v13, 0
	s_mov_b32 s11, exec_lo
	s_delay_alu instid0(VALU_DEP_3)
	v_cmpx_gt_u32_e64 s17, v15
	s_cbranch_execz .LBB1634_195
; %bb.186:
	v_dual_mov_b32 v14, 0 :: v_dual_add_nc_u32 v15, 10, v2
	v_perm_b32 v12, v30, v12, 0x5040100
	v_mov_b32_e32 v13, 0
	s_mov_b32 s12, exec_lo
	s_delay_alu instid0(VALU_DEP_3)
	v_cmpx_gt_u32_e64 s17, v15
	s_cbranch_execz .LBB1634_194
; %bb.187:
	v_dual_mov_b32 v14, 0 :: v_dual_add_nc_u32 v15, 11, v2
	v_bfi_b32 v13, 0xffff, v31, 0
	s_mov_b32 s13, exec_lo
	s_delay_alu instid0(VALU_DEP_2)
	v_cmpx_gt_u32_e64 s17, v15
	s_cbranch_execz .LBB1634_193
; %bb.188:
	v_dual_mov_b32 v14, 0 :: v_dual_add_nc_u32 v15, 12, v2
	v_perm_b32 v13, v32, v13, 0x5040100
	s_mov_b32 s14, exec_lo
	s_delay_alu instid0(VALU_DEP_2)
	v_cmpx_gt_u32_e64 s17, v15
	s_cbranch_execz .LBB1634_192
; %bb.189:
	v_add_nc_u32_e32 v15, 13, v2
	v_bfi_b32 v14, 0xffff, v33, 0
	s_mov_b32 s15, exec_lo
	s_delay_alu instid0(VALU_DEP_2)
	v_cmpx_gt_u32_e64 s17, v15
; %bb.190:
	s_delay_alu instid0(VALU_DEP_2)
	v_perm_b32 v14, v34, v14, 0x5040100
; %bb.191:
	s_or_b32 exec_lo, exec_lo, s15
.LBB1634_192:
	s_delay_alu instid0(SALU_CYCLE_1)
	s_or_b32 exec_lo, exec_lo, s14
.LBB1634_193:
	s_delay_alu instid0(SALU_CYCLE_1)
	s_or_b32 exec_lo, exec_lo, s13
.LBB1634_194:
	s_delay_alu instid0(SALU_CYCLE_1)
	s_or_b32 exec_lo, exec_lo, s12
.LBB1634_195:
	s_delay_alu instid0(SALU_CYCLE_1)
	s_or_b32 exec_lo, exec_lo, s11
.LBB1634_196:
	s_delay_alu instid0(SALU_CYCLE_1)
	s_or_b32 exec_lo, exec_lo, s10
.LBB1634_197:
	s_delay_alu instid0(SALU_CYCLE_1)
	s_or_b32 exec_lo, exec_lo, s9
.LBB1634_198:
	s_delay_alu instid0(SALU_CYCLE_1)
	s_or_b32 exec_lo, exec_lo, s8
.LBB1634_199:
	s_delay_alu instid0(SALU_CYCLE_1)
	s_or_b32 exec_lo, exec_lo, s7
.LBB1634_200:
	s_delay_alu instid0(SALU_CYCLE_1)
	s_or_b32 exec_lo, exec_lo, s6
.LBB1634_201:
	s_delay_alu instid0(SALU_CYCLE_1)
	s_or_b32 exec_lo, exec_lo, s5
.LBB1634_202:
	s_delay_alu instid0(SALU_CYCLE_1)
	s_or_b32 exec_lo, exec_lo, s4
.LBB1634_203:
	s_delay_alu instid0(SALU_CYCLE_1)
	s_or_b32 exec_lo, exec_lo, s3
.LBB1634_204:
	s_delay_alu instid0(SALU_CYCLE_1)
	s_or_b32 exec_lo, exec_lo, s2
	v_lshlrev_b32_e32 v24, 1, v2
	s_wait_storecnt 0x0
	s_barrier_signal -1
	s_barrier_wait -1
	ds_store_2addr_b32 v24, v1, v3 offset1:1
	ds_store_2addr_b32 v24, v10, v11 offset0:2 offset1:3
	ds_store_2addr_b32 v24, v12, v13 offset0:4 offset1:5
	ds_store_b32 v24, v14 offset:24
	v_mov_b32_e32 v3, 0
	v_mad_i32_i24 v1, 0xffffffe6, v0, v24
	s_wait_dscnt 0x0
	s_barrier_signal -1
	s_barrier_wait -1
	ds_load_u16 v25, v1 offset:512
	ds_load_u16 v21, v1 offset:1024
	;; [unrolled: 1-line block ×13, first 2 shown]
	v_lshlrev_b32_e32 v2, 1, v0
	s_mov_b32 s2, exec_lo
	s_delay_alu instid0(VALU_DEP_1)
	v_add_nc_u64_e32 v[2:3], s[0:1], v[2:3]
	v_cmpx_gt_u32_e64 s17, v0
	s_cbranch_execz .LBB1634_206
; %bb.205:
	v_mul_i32_i24_e32 v26, 0xffffffe6, v0
	s_delay_alu instid0(VALU_DEP_1)
	v_add_nc_u32_e32 v24, v24, v26
	ds_load_u16 v24, v24
	s_wait_dscnt 0x0
	flat_store_b16 v[2:3], v24
.LBB1634_206:
	s_wait_xcnt 0x0
	s_or_b32 exec_lo, exec_lo, s2
	v_or_b32_e32 v24, 0x100, v0
	s_mov_b32 s2, exec_lo
	s_delay_alu instid0(VALU_DEP_1)
	v_cmpx_gt_u32_e64 s17, v24
	s_cbranch_execz .LBB1634_208
; %bb.207:
	s_wait_dscnt 0xc
	flat_store_b16 v[2:3], v25 offset:512
.LBB1634_208:
	s_wait_xcnt 0x0
	s_or_b32 exec_lo, exec_lo, s2
	v_or_b32_e32 v24, 0x200, v0
	s_mov_b32 s2, exec_lo
	s_delay_alu instid0(VALU_DEP_1)
	v_cmpx_gt_u32_e64 s17, v24
	s_cbranch_execz .LBB1634_210
; %bb.209:
	s_wait_dscnt 0xb
	flat_store_b16 v[2:3], v21 offset:1024
.LBB1634_210:
	s_wait_xcnt 0x0
	s_or_b32 exec_lo, exec_lo, s2
	s_wait_dscnt 0xb
	v_or_b32_e32 v21, 0x300, v0
	s_mov_b32 s2, exec_lo
	s_delay_alu instid0(VALU_DEP_1)
	v_cmpx_gt_u32_e64 s17, v21
	s_cbranch_execz .LBB1634_212
; %bb.211:
	s_wait_dscnt 0xa
	flat_store_b16 v[2:3], v20 offset:1536
.LBB1634_212:
	s_wait_xcnt 0x0
	s_or_b32 exec_lo, exec_lo, s2
	s_wait_dscnt 0xa
	;; [unrolled: 12-line block ×10, first 2 shown]
	v_or_b32_e32 v11, 0xc00, v0
	s_mov_b32 s2, exec_lo
	s_delay_alu instid0(VALU_DEP_1)
	v_cmpx_gt_u32_e64 s17, v11
	s_cbranch_execz .LBB1634_230
; %bb.229:
	s_wait_dscnt 0x1
	flat_store_b16 v[2:3], v10 offset:6144
.LBB1634_230:
	s_wait_xcnt 0x0
	s_or_b32 exec_lo, exec_lo, s2
	v_or_b32_e32 v2, 0xd00, v0
	s_delay_alu instid0(VALU_DEP_1)
	v_cmp_gt_u32_e64 s2, s17, v2
	s_branch .LBB1634_233
.LBB1634_231:
	s_mov_b32 s2, 0
                                        ; implicit-def: $vgpr1
	s_cbranch_execz .LBB1634_233
; %bb.232:
	s_wait_dscnt 0x0
	v_mul_u32_u24_e32 v1, 28, v0
	v_perm_b32 v2, v7, v6, 0x5040100
	v_perm_b32 v3, v5, v4, 0x5040100
	;; [unrolled: 1-line block ×3, first 2 shown]
	v_mul_i32_i24_e32 v9, 0xffffffe6, v0
	v_perm_b32 v4, v22, v17, 0x5040100
	v_perm_b32 v6, v32, v31, 0x5040100
	;; [unrolled: 1-line block ×4, first 2 shown]
	s_wait_storecnt 0x0
	s_barrier_signal -1
	s_barrier_wait -1
	ds_store_2addr_b32 v1, v3, v2 offset1:1
	ds_store_2addr_b32 v1, v5, v4 offset0:2 offset1:3
	ds_store_2addr_b32 v1, v7, v6 offset0:4 offset1:5
	ds_store_b32 v1, v8 offset:24
	v_mad_u32_u24 v1, v0, 28, v9
	s_wait_dscnt 0x0
	s_barrier_signal -1
	s_barrier_wait -1
	ds_load_u16 v2, v1
	ds_load_u16 v3, v1 offset:512
	ds_load_u16 v4, v1 offset:1024
	;; [unrolled: 1-line block ×13, first 2 shown]
	s_or_b32 s2, s2, exec_lo
	s_wait_dscnt 0xd
	flat_store_b16 v0, v2, s[0:1] scale_offset
	s_wait_dscnt 0xd
	flat_store_b16 v0, v3, s[0:1] offset:512 scale_offset
	s_wait_dscnt 0xd
	flat_store_b16 v0, v4, s[0:1] offset:1024 scale_offset
	;; [unrolled: 2-line block ×12, first 2 shown]
.LBB1634_233:
	s_wait_xcnt 0x0
	s_delay_alu instid0(VALU_DEP_1)
	s_and_saveexec_b32 s3, s2
	s_cbranch_execz .LBB1634_235
; %bb.234:
	s_wait_dscnt 0x0
	flat_store_b16 v0, v1, s[0:1] offset:6656 scale_offset
	s_endpgm
.LBB1634_235:
	s_endpgm
	.section	.rodata,"a",@progbits
	.p2align	6, 0x0
	.amdhsa_kernel _ZN7rocprim17ROCPRIM_400000_NS6detail17trampoline_kernelINS0_14default_configENS1_27scan_by_key_config_selectorIisEEZZNS1_16scan_by_key_implILNS1_25lookback_scan_determinismE0ELb1ES3_N6thrust23THRUST_200600_302600_NS6detail15normal_iteratorINS9_10device_ptrIiEEEENSB_INSC_IsEEEESG_sNS9_4plusIvEENS9_8equal_toIvEEsEE10hipError_tPvRmT2_T3_T4_T5_mT6_T7_P12ihipStream_tbENKUlT_T0_E_clISt17integral_constantIbLb0EES10_IbLb1EEEEDaSW_SX_EUlSW_E_NS1_11comp_targetILNS1_3genE0ELNS1_11target_archE4294967295ELNS1_3gpuE0ELNS1_3repE0EEENS1_30default_config_static_selectorELNS0_4arch9wavefront6targetE0EEEvT1_
		.amdhsa_group_segment_fixed_size 16384
		.amdhsa_private_segment_fixed_size 0
		.amdhsa_kernarg_size 112
		.amdhsa_user_sgpr_count 2
		.amdhsa_user_sgpr_dispatch_ptr 0
		.amdhsa_user_sgpr_queue_ptr 0
		.amdhsa_user_sgpr_kernarg_segment_ptr 1
		.amdhsa_user_sgpr_dispatch_id 0
		.amdhsa_user_sgpr_kernarg_preload_length 0
		.amdhsa_user_sgpr_kernarg_preload_offset 0
		.amdhsa_user_sgpr_private_segment_size 0
		.amdhsa_wavefront_size32 1
		.amdhsa_uses_dynamic_stack 0
		.amdhsa_enable_private_segment 0
		.amdhsa_system_sgpr_workgroup_id_x 1
		.amdhsa_system_sgpr_workgroup_id_y 0
		.amdhsa_system_sgpr_workgroup_id_z 0
		.amdhsa_system_sgpr_workgroup_info 0
		.amdhsa_system_vgpr_workitem_id 0
		.amdhsa_next_free_vgpr 47
		.amdhsa_next_free_sgpr 40
		.amdhsa_named_barrier_count 0
		.amdhsa_reserve_vcc 1
		.amdhsa_float_round_mode_32 0
		.amdhsa_float_round_mode_16_64 0
		.amdhsa_float_denorm_mode_32 3
		.amdhsa_float_denorm_mode_16_64 3
		.amdhsa_fp16_overflow 0
		.amdhsa_memory_ordered 1
		.amdhsa_forward_progress 1
		.amdhsa_inst_pref_size 117
		.amdhsa_round_robin_scheduling 0
		.amdhsa_exception_fp_ieee_invalid_op 0
		.amdhsa_exception_fp_denorm_src 0
		.amdhsa_exception_fp_ieee_div_zero 0
		.amdhsa_exception_fp_ieee_overflow 0
		.amdhsa_exception_fp_ieee_underflow 0
		.amdhsa_exception_fp_ieee_inexact 0
		.amdhsa_exception_int_div_zero 0
	.end_amdhsa_kernel
	.section	.text._ZN7rocprim17ROCPRIM_400000_NS6detail17trampoline_kernelINS0_14default_configENS1_27scan_by_key_config_selectorIisEEZZNS1_16scan_by_key_implILNS1_25lookback_scan_determinismE0ELb1ES3_N6thrust23THRUST_200600_302600_NS6detail15normal_iteratorINS9_10device_ptrIiEEEENSB_INSC_IsEEEESG_sNS9_4plusIvEENS9_8equal_toIvEEsEE10hipError_tPvRmT2_T3_T4_T5_mT6_T7_P12ihipStream_tbENKUlT_T0_E_clISt17integral_constantIbLb0EES10_IbLb1EEEEDaSW_SX_EUlSW_E_NS1_11comp_targetILNS1_3genE0ELNS1_11target_archE4294967295ELNS1_3gpuE0ELNS1_3repE0EEENS1_30default_config_static_selectorELNS0_4arch9wavefront6targetE0EEEvT1_,"axG",@progbits,_ZN7rocprim17ROCPRIM_400000_NS6detail17trampoline_kernelINS0_14default_configENS1_27scan_by_key_config_selectorIisEEZZNS1_16scan_by_key_implILNS1_25lookback_scan_determinismE0ELb1ES3_N6thrust23THRUST_200600_302600_NS6detail15normal_iteratorINS9_10device_ptrIiEEEENSB_INSC_IsEEEESG_sNS9_4plusIvEENS9_8equal_toIvEEsEE10hipError_tPvRmT2_T3_T4_T5_mT6_T7_P12ihipStream_tbENKUlT_T0_E_clISt17integral_constantIbLb0EES10_IbLb1EEEEDaSW_SX_EUlSW_E_NS1_11comp_targetILNS1_3genE0ELNS1_11target_archE4294967295ELNS1_3gpuE0ELNS1_3repE0EEENS1_30default_config_static_selectorELNS0_4arch9wavefront6targetE0EEEvT1_,comdat
.Lfunc_end1634:
	.size	_ZN7rocprim17ROCPRIM_400000_NS6detail17trampoline_kernelINS0_14default_configENS1_27scan_by_key_config_selectorIisEEZZNS1_16scan_by_key_implILNS1_25lookback_scan_determinismE0ELb1ES3_N6thrust23THRUST_200600_302600_NS6detail15normal_iteratorINS9_10device_ptrIiEEEENSB_INSC_IsEEEESG_sNS9_4plusIvEENS9_8equal_toIvEEsEE10hipError_tPvRmT2_T3_T4_T5_mT6_T7_P12ihipStream_tbENKUlT_T0_E_clISt17integral_constantIbLb0EES10_IbLb1EEEEDaSW_SX_EUlSW_E_NS1_11comp_targetILNS1_3genE0ELNS1_11target_archE4294967295ELNS1_3gpuE0ELNS1_3repE0EEENS1_30default_config_static_selectorELNS0_4arch9wavefront6targetE0EEEvT1_, .Lfunc_end1634-_ZN7rocprim17ROCPRIM_400000_NS6detail17trampoline_kernelINS0_14default_configENS1_27scan_by_key_config_selectorIisEEZZNS1_16scan_by_key_implILNS1_25lookback_scan_determinismE0ELb1ES3_N6thrust23THRUST_200600_302600_NS6detail15normal_iteratorINS9_10device_ptrIiEEEENSB_INSC_IsEEEESG_sNS9_4plusIvEENS9_8equal_toIvEEsEE10hipError_tPvRmT2_T3_T4_T5_mT6_T7_P12ihipStream_tbENKUlT_T0_E_clISt17integral_constantIbLb0EES10_IbLb1EEEEDaSW_SX_EUlSW_E_NS1_11comp_targetILNS1_3genE0ELNS1_11target_archE4294967295ELNS1_3gpuE0ELNS1_3repE0EEENS1_30default_config_static_selectorELNS0_4arch9wavefront6targetE0EEEvT1_
                                        ; -- End function
	.set _ZN7rocprim17ROCPRIM_400000_NS6detail17trampoline_kernelINS0_14default_configENS1_27scan_by_key_config_selectorIisEEZZNS1_16scan_by_key_implILNS1_25lookback_scan_determinismE0ELb1ES3_N6thrust23THRUST_200600_302600_NS6detail15normal_iteratorINS9_10device_ptrIiEEEENSB_INSC_IsEEEESG_sNS9_4plusIvEENS9_8equal_toIvEEsEE10hipError_tPvRmT2_T3_T4_T5_mT6_T7_P12ihipStream_tbENKUlT_T0_E_clISt17integral_constantIbLb0EES10_IbLb1EEEEDaSW_SX_EUlSW_E_NS1_11comp_targetILNS1_3genE0ELNS1_11target_archE4294967295ELNS1_3gpuE0ELNS1_3repE0EEENS1_30default_config_static_selectorELNS0_4arch9wavefront6targetE0EEEvT1_.num_vgpr, 47
	.set _ZN7rocprim17ROCPRIM_400000_NS6detail17trampoline_kernelINS0_14default_configENS1_27scan_by_key_config_selectorIisEEZZNS1_16scan_by_key_implILNS1_25lookback_scan_determinismE0ELb1ES3_N6thrust23THRUST_200600_302600_NS6detail15normal_iteratorINS9_10device_ptrIiEEEENSB_INSC_IsEEEESG_sNS9_4plusIvEENS9_8equal_toIvEEsEE10hipError_tPvRmT2_T3_T4_T5_mT6_T7_P12ihipStream_tbENKUlT_T0_E_clISt17integral_constantIbLb0EES10_IbLb1EEEEDaSW_SX_EUlSW_E_NS1_11comp_targetILNS1_3genE0ELNS1_11target_archE4294967295ELNS1_3gpuE0ELNS1_3repE0EEENS1_30default_config_static_selectorELNS0_4arch9wavefront6targetE0EEEvT1_.num_agpr, 0
	.set _ZN7rocprim17ROCPRIM_400000_NS6detail17trampoline_kernelINS0_14default_configENS1_27scan_by_key_config_selectorIisEEZZNS1_16scan_by_key_implILNS1_25lookback_scan_determinismE0ELb1ES3_N6thrust23THRUST_200600_302600_NS6detail15normal_iteratorINS9_10device_ptrIiEEEENSB_INSC_IsEEEESG_sNS9_4plusIvEENS9_8equal_toIvEEsEE10hipError_tPvRmT2_T3_T4_T5_mT6_T7_P12ihipStream_tbENKUlT_T0_E_clISt17integral_constantIbLb0EES10_IbLb1EEEEDaSW_SX_EUlSW_E_NS1_11comp_targetILNS1_3genE0ELNS1_11target_archE4294967295ELNS1_3gpuE0ELNS1_3repE0EEENS1_30default_config_static_selectorELNS0_4arch9wavefront6targetE0EEEvT1_.numbered_sgpr, 40
	.set _ZN7rocprim17ROCPRIM_400000_NS6detail17trampoline_kernelINS0_14default_configENS1_27scan_by_key_config_selectorIisEEZZNS1_16scan_by_key_implILNS1_25lookback_scan_determinismE0ELb1ES3_N6thrust23THRUST_200600_302600_NS6detail15normal_iteratorINS9_10device_ptrIiEEEENSB_INSC_IsEEEESG_sNS9_4plusIvEENS9_8equal_toIvEEsEE10hipError_tPvRmT2_T3_T4_T5_mT6_T7_P12ihipStream_tbENKUlT_T0_E_clISt17integral_constantIbLb0EES10_IbLb1EEEEDaSW_SX_EUlSW_E_NS1_11comp_targetILNS1_3genE0ELNS1_11target_archE4294967295ELNS1_3gpuE0ELNS1_3repE0EEENS1_30default_config_static_selectorELNS0_4arch9wavefront6targetE0EEEvT1_.num_named_barrier, 0
	.set _ZN7rocprim17ROCPRIM_400000_NS6detail17trampoline_kernelINS0_14default_configENS1_27scan_by_key_config_selectorIisEEZZNS1_16scan_by_key_implILNS1_25lookback_scan_determinismE0ELb1ES3_N6thrust23THRUST_200600_302600_NS6detail15normal_iteratorINS9_10device_ptrIiEEEENSB_INSC_IsEEEESG_sNS9_4plusIvEENS9_8equal_toIvEEsEE10hipError_tPvRmT2_T3_T4_T5_mT6_T7_P12ihipStream_tbENKUlT_T0_E_clISt17integral_constantIbLb0EES10_IbLb1EEEEDaSW_SX_EUlSW_E_NS1_11comp_targetILNS1_3genE0ELNS1_11target_archE4294967295ELNS1_3gpuE0ELNS1_3repE0EEENS1_30default_config_static_selectorELNS0_4arch9wavefront6targetE0EEEvT1_.private_seg_size, 0
	.set _ZN7rocprim17ROCPRIM_400000_NS6detail17trampoline_kernelINS0_14default_configENS1_27scan_by_key_config_selectorIisEEZZNS1_16scan_by_key_implILNS1_25lookback_scan_determinismE0ELb1ES3_N6thrust23THRUST_200600_302600_NS6detail15normal_iteratorINS9_10device_ptrIiEEEENSB_INSC_IsEEEESG_sNS9_4plusIvEENS9_8equal_toIvEEsEE10hipError_tPvRmT2_T3_T4_T5_mT6_T7_P12ihipStream_tbENKUlT_T0_E_clISt17integral_constantIbLb0EES10_IbLb1EEEEDaSW_SX_EUlSW_E_NS1_11comp_targetILNS1_3genE0ELNS1_11target_archE4294967295ELNS1_3gpuE0ELNS1_3repE0EEENS1_30default_config_static_selectorELNS0_4arch9wavefront6targetE0EEEvT1_.uses_vcc, 1
	.set _ZN7rocprim17ROCPRIM_400000_NS6detail17trampoline_kernelINS0_14default_configENS1_27scan_by_key_config_selectorIisEEZZNS1_16scan_by_key_implILNS1_25lookback_scan_determinismE0ELb1ES3_N6thrust23THRUST_200600_302600_NS6detail15normal_iteratorINS9_10device_ptrIiEEEENSB_INSC_IsEEEESG_sNS9_4plusIvEENS9_8equal_toIvEEsEE10hipError_tPvRmT2_T3_T4_T5_mT6_T7_P12ihipStream_tbENKUlT_T0_E_clISt17integral_constantIbLb0EES10_IbLb1EEEEDaSW_SX_EUlSW_E_NS1_11comp_targetILNS1_3genE0ELNS1_11target_archE4294967295ELNS1_3gpuE0ELNS1_3repE0EEENS1_30default_config_static_selectorELNS0_4arch9wavefront6targetE0EEEvT1_.uses_flat_scratch, 1
	.set _ZN7rocprim17ROCPRIM_400000_NS6detail17trampoline_kernelINS0_14default_configENS1_27scan_by_key_config_selectorIisEEZZNS1_16scan_by_key_implILNS1_25lookback_scan_determinismE0ELb1ES3_N6thrust23THRUST_200600_302600_NS6detail15normal_iteratorINS9_10device_ptrIiEEEENSB_INSC_IsEEEESG_sNS9_4plusIvEENS9_8equal_toIvEEsEE10hipError_tPvRmT2_T3_T4_T5_mT6_T7_P12ihipStream_tbENKUlT_T0_E_clISt17integral_constantIbLb0EES10_IbLb1EEEEDaSW_SX_EUlSW_E_NS1_11comp_targetILNS1_3genE0ELNS1_11target_archE4294967295ELNS1_3gpuE0ELNS1_3repE0EEENS1_30default_config_static_selectorELNS0_4arch9wavefront6targetE0EEEvT1_.has_dyn_sized_stack, 0
	.set _ZN7rocprim17ROCPRIM_400000_NS6detail17trampoline_kernelINS0_14default_configENS1_27scan_by_key_config_selectorIisEEZZNS1_16scan_by_key_implILNS1_25lookback_scan_determinismE0ELb1ES3_N6thrust23THRUST_200600_302600_NS6detail15normal_iteratorINS9_10device_ptrIiEEEENSB_INSC_IsEEEESG_sNS9_4plusIvEENS9_8equal_toIvEEsEE10hipError_tPvRmT2_T3_T4_T5_mT6_T7_P12ihipStream_tbENKUlT_T0_E_clISt17integral_constantIbLb0EES10_IbLb1EEEEDaSW_SX_EUlSW_E_NS1_11comp_targetILNS1_3genE0ELNS1_11target_archE4294967295ELNS1_3gpuE0ELNS1_3repE0EEENS1_30default_config_static_selectorELNS0_4arch9wavefront6targetE0EEEvT1_.has_recursion, 0
	.set _ZN7rocprim17ROCPRIM_400000_NS6detail17trampoline_kernelINS0_14default_configENS1_27scan_by_key_config_selectorIisEEZZNS1_16scan_by_key_implILNS1_25lookback_scan_determinismE0ELb1ES3_N6thrust23THRUST_200600_302600_NS6detail15normal_iteratorINS9_10device_ptrIiEEEENSB_INSC_IsEEEESG_sNS9_4plusIvEENS9_8equal_toIvEEsEE10hipError_tPvRmT2_T3_T4_T5_mT6_T7_P12ihipStream_tbENKUlT_T0_E_clISt17integral_constantIbLb0EES10_IbLb1EEEEDaSW_SX_EUlSW_E_NS1_11comp_targetILNS1_3genE0ELNS1_11target_archE4294967295ELNS1_3gpuE0ELNS1_3repE0EEENS1_30default_config_static_selectorELNS0_4arch9wavefront6targetE0EEEvT1_.has_indirect_call, 0
	.section	.AMDGPU.csdata,"",@progbits
; Kernel info:
; codeLenInByte = 14956
; TotalNumSgprs: 42
; NumVgprs: 47
; ScratchSize: 0
; MemoryBound: 0
; FloatMode: 240
; IeeeMode: 1
; LDSByteSize: 16384 bytes/workgroup (compile time only)
; SGPRBlocks: 0
; VGPRBlocks: 2
; NumSGPRsForWavesPerEU: 42
; NumVGPRsForWavesPerEU: 47
; NamedBarCnt: 0
; Occupancy: 16
; WaveLimiterHint : 1
; COMPUTE_PGM_RSRC2:SCRATCH_EN: 0
; COMPUTE_PGM_RSRC2:USER_SGPR: 2
; COMPUTE_PGM_RSRC2:TRAP_HANDLER: 0
; COMPUTE_PGM_RSRC2:TGID_X_EN: 1
; COMPUTE_PGM_RSRC2:TGID_Y_EN: 0
; COMPUTE_PGM_RSRC2:TGID_Z_EN: 0
; COMPUTE_PGM_RSRC2:TIDIG_COMP_CNT: 0
	.section	.text._ZN7rocprim17ROCPRIM_400000_NS6detail17trampoline_kernelINS0_14default_configENS1_27scan_by_key_config_selectorIisEEZZNS1_16scan_by_key_implILNS1_25lookback_scan_determinismE0ELb1ES3_N6thrust23THRUST_200600_302600_NS6detail15normal_iteratorINS9_10device_ptrIiEEEENSB_INSC_IsEEEESG_sNS9_4plusIvEENS9_8equal_toIvEEsEE10hipError_tPvRmT2_T3_T4_T5_mT6_T7_P12ihipStream_tbENKUlT_T0_E_clISt17integral_constantIbLb0EES10_IbLb1EEEEDaSW_SX_EUlSW_E_NS1_11comp_targetILNS1_3genE10ELNS1_11target_archE1201ELNS1_3gpuE5ELNS1_3repE0EEENS1_30default_config_static_selectorELNS0_4arch9wavefront6targetE0EEEvT1_,"axG",@progbits,_ZN7rocprim17ROCPRIM_400000_NS6detail17trampoline_kernelINS0_14default_configENS1_27scan_by_key_config_selectorIisEEZZNS1_16scan_by_key_implILNS1_25lookback_scan_determinismE0ELb1ES3_N6thrust23THRUST_200600_302600_NS6detail15normal_iteratorINS9_10device_ptrIiEEEENSB_INSC_IsEEEESG_sNS9_4plusIvEENS9_8equal_toIvEEsEE10hipError_tPvRmT2_T3_T4_T5_mT6_T7_P12ihipStream_tbENKUlT_T0_E_clISt17integral_constantIbLb0EES10_IbLb1EEEEDaSW_SX_EUlSW_E_NS1_11comp_targetILNS1_3genE10ELNS1_11target_archE1201ELNS1_3gpuE5ELNS1_3repE0EEENS1_30default_config_static_selectorELNS0_4arch9wavefront6targetE0EEEvT1_,comdat
	.protected	_ZN7rocprim17ROCPRIM_400000_NS6detail17trampoline_kernelINS0_14default_configENS1_27scan_by_key_config_selectorIisEEZZNS1_16scan_by_key_implILNS1_25lookback_scan_determinismE0ELb1ES3_N6thrust23THRUST_200600_302600_NS6detail15normal_iteratorINS9_10device_ptrIiEEEENSB_INSC_IsEEEESG_sNS9_4plusIvEENS9_8equal_toIvEEsEE10hipError_tPvRmT2_T3_T4_T5_mT6_T7_P12ihipStream_tbENKUlT_T0_E_clISt17integral_constantIbLb0EES10_IbLb1EEEEDaSW_SX_EUlSW_E_NS1_11comp_targetILNS1_3genE10ELNS1_11target_archE1201ELNS1_3gpuE5ELNS1_3repE0EEENS1_30default_config_static_selectorELNS0_4arch9wavefront6targetE0EEEvT1_ ; -- Begin function _ZN7rocprim17ROCPRIM_400000_NS6detail17trampoline_kernelINS0_14default_configENS1_27scan_by_key_config_selectorIisEEZZNS1_16scan_by_key_implILNS1_25lookback_scan_determinismE0ELb1ES3_N6thrust23THRUST_200600_302600_NS6detail15normal_iteratorINS9_10device_ptrIiEEEENSB_INSC_IsEEEESG_sNS9_4plusIvEENS9_8equal_toIvEEsEE10hipError_tPvRmT2_T3_T4_T5_mT6_T7_P12ihipStream_tbENKUlT_T0_E_clISt17integral_constantIbLb0EES10_IbLb1EEEEDaSW_SX_EUlSW_E_NS1_11comp_targetILNS1_3genE10ELNS1_11target_archE1201ELNS1_3gpuE5ELNS1_3repE0EEENS1_30default_config_static_selectorELNS0_4arch9wavefront6targetE0EEEvT1_
	.globl	_ZN7rocprim17ROCPRIM_400000_NS6detail17trampoline_kernelINS0_14default_configENS1_27scan_by_key_config_selectorIisEEZZNS1_16scan_by_key_implILNS1_25lookback_scan_determinismE0ELb1ES3_N6thrust23THRUST_200600_302600_NS6detail15normal_iteratorINS9_10device_ptrIiEEEENSB_INSC_IsEEEESG_sNS9_4plusIvEENS9_8equal_toIvEEsEE10hipError_tPvRmT2_T3_T4_T5_mT6_T7_P12ihipStream_tbENKUlT_T0_E_clISt17integral_constantIbLb0EES10_IbLb1EEEEDaSW_SX_EUlSW_E_NS1_11comp_targetILNS1_3genE10ELNS1_11target_archE1201ELNS1_3gpuE5ELNS1_3repE0EEENS1_30default_config_static_selectorELNS0_4arch9wavefront6targetE0EEEvT1_
	.p2align	8
	.type	_ZN7rocprim17ROCPRIM_400000_NS6detail17trampoline_kernelINS0_14default_configENS1_27scan_by_key_config_selectorIisEEZZNS1_16scan_by_key_implILNS1_25lookback_scan_determinismE0ELb1ES3_N6thrust23THRUST_200600_302600_NS6detail15normal_iteratorINS9_10device_ptrIiEEEENSB_INSC_IsEEEESG_sNS9_4plusIvEENS9_8equal_toIvEEsEE10hipError_tPvRmT2_T3_T4_T5_mT6_T7_P12ihipStream_tbENKUlT_T0_E_clISt17integral_constantIbLb0EES10_IbLb1EEEEDaSW_SX_EUlSW_E_NS1_11comp_targetILNS1_3genE10ELNS1_11target_archE1201ELNS1_3gpuE5ELNS1_3repE0EEENS1_30default_config_static_selectorELNS0_4arch9wavefront6targetE0EEEvT1_,@function
_ZN7rocprim17ROCPRIM_400000_NS6detail17trampoline_kernelINS0_14default_configENS1_27scan_by_key_config_selectorIisEEZZNS1_16scan_by_key_implILNS1_25lookback_scan_determinismE0ELb1ES3_N6thrust23THRUST_200600_302600_NS6detail15normal_iteratorINS9_10device_ptrIiEEEENSB_INSC_IsEEEESG_sNS9_4plusIvEENS9_8equal_toIvEEsEE10hipError_tPvRmT2_T3_T4_T5_mT6_T7_P12ihipStream_tbENKUlT_T0_E_clISt17integral_constantIbLb0EES10_IbLb1EEEEDaSW_SX_EUlSW_E_NS1_11comp_targetILNS1_3genE10ELNS1_11target_archE1201ELNS1_3gpuE5ELNS1_3repE0EEENS1_30default_config_static_selectorELNS0_4arch9wavefront6targetE0EEEvT1_: ; @_ZN7rocprim17ROCPRIM_400000_NS6detail17trampoline_kernelINS0_14default_configENS1_27scan_by_key_config_selectorIisEEZZNS1_16scan_by_key_implILNS1_25lookback_scan_determinismE0ELb1ES3_N6thrust23THRUST_200600_302600_NS6detail15normal_iteratorINS9_10device_ptrIiEEEENSB_INSC_IsEEEESG_sNS9_4plusIvEENS9_8equal_toIvEEsEE10hipError_tPvRmT2_T3_T4_T5_mT6_T7_P12ihipStream_tbENKUlT_T0_E_clISt17integral_constantIbLb0EES10_IbLb1EEEEDaSW_SX_EUlSW_E_NS1_11comp_targetILNS1_3genE10ELNS1_11target_archE1201ELNS1_3gpuE5ELNS1_3repE0EEENS1_30default_config_static_selectorELNS0_4arch9wavefront6targetE0EEEvT1_
; %bb.0:
	.section	.rodata,"a",@progbits
	.p2align	6, 0x0
	.amdhsa_kernel _ZN7rocprim17ROCPRIM_400000_NS6detail17trampoline_kernelINS0_14default_configENS1_27scan_by_key_config_selectorIisEEZZNS1_16scan_by_key_implILNS1_25lookback_scan_determinismE0ELb1ES3_N6thrust23THRUST_200600_302600_NS6detail15normal_iteratorINS9_10device_ptrIiEEEENSB_INSC_IsEEEESG_sNS9_4plusIvEENS9_8equal_toIvEEsEE10hipError_tPvRmT2_T3_T4_T5_mT6_T7_P12ihipStream_tbENKUlT_T0_E_clISt17integral_constantIbLb0EES10_IbLb1EEEEDaSW_SX_EUlSW_E_NS1_11comp_targetILNS1_3genE10ELNS1_11target_archE1201ELNS1_3gpuE5ELNS1_3repE0EEENS1_30default_config_static_selectorELNS0_4arch9wavefront6targetE0EEEvT1_
		.amdhsa_group_segment_fixed_size 0
		.amdhsa_private_segment_fixed_size 0
		.amdhsa_kernarg_size 112
		.amdhsa_user_sgpr_count 2
		.amdhsa_user_sgpr_dispatch_ptr 0
		.amdhsa_user_sgpr_queue_ptr 0
		.amdhsa_user_sgpr_kernarg_segment_ptr 1
		.amdhsa_user_sgpr_dispatch_id 0
		.amdhsa_user_sgpr_kernarg_preload_length 0
		.amdhsa_user_sgpr_kernarg_preload_offset 0
		.amdhsa_user_sgpr_private_segment_size 0
		.amdhsa_wavefront_size32 1
		.amdhsa_uses_dynamic_stack 0
		.amdhsa_enable_private_segment 0
		.amdhsa_system_sgpr_workgroup_id_x 1
		.amdhsa_system_sgpr_workgroup_id_y 0
		.amdhsa_system_sgpr_workgroup_id_z 0
		.amdhsa_system_sgpr_workgroup_info 0
		.amdhsa_system_vgpr_workitem_id 0
		.amdhsa_next_free_vgpr 1
		.amdhsa_next_free_sgpr 1
		.amdhsa_named_barrier_count 0
		.amdhsa_reserve_vcc 0
		.amdhsa_float_round_mode_32 0
		.amdhsa_float_round_mode_16_64 0
		.amdhsa_float_denorm_mode_32 3
		.amdhsa_float_denorm_mode_16_64 3
		.amdhsa_fp16_overflow 0
		.amdhsa_memory_ordered 1
		.amdhsa_forward_progress 1
		.amdhsa_inst_pref_size 0
		.amdhsa_round_robin_scheduling 0
		.amdhsa_exception_fp_ieee_invalid_op 0
		.amdhsa_exception_fp_denorm_src 0
		.amdhsa_exception_fp_ieee_div_zero 0
		.amdhsa_exception_fp_ieee_overflow 0
		.amdhsa_exception_fp_ieee_underflow 0
		.amdhsa_exception_fp_ieee_inexact 0
		.amdhsa_exception_int_div_zero 0
	.end_amdhsa_kernel
	.section	.text._ZN7rocprim17ROCPRIM_400000_NS6detail17trampoline_kernelINS0_14default_configENS1_27scan_by_key_config_selectorIisEEZZNS1_16scan_by_key_implILNS1_25lookback_scan_determinismE0ELb1ES3_N6thrust23THRUST_200600_302600_NS6detail15normal_iteratorINS9_10device_ptrIiEEEENSB_INSC_IsEEEESG_sNS9_4plusIvEENS9_8equal_toIvEEsEE10hipError_tPvRmT2_T3_T4_T5_mT6_T7_P12ihipStream_tbENKUlT_T0_E_clISt17integral_constantIbLb0EES10_IbLb1EEEEDaSW_SX_EUlSW_E_NS1_11comp_targetILNS1_3genE10ELNS1_11target_archE1201ELNS1_3gpuE5ELNS1_3repE0EEENS1_30default_config_static_selectorELNS0_4arch9wavefront6targetE0EEEvT1_,"axG",@progbits,_ZN7rocprim17ROCPRIM_400000_NS6detail17trampoline_kernelINS0_14default_configENS1_27scan_by_key_config_selectorIisEEZZNS1_16scan_by_key_implILNS1_25lookback_scan_determinismE0ELb1ES3_N6thrust23THRUST_200600_302600_NS6detail15normal_iteratorINS9_10device_ptrIiEEEENSB_INSC_IsEEEESG_sNS9_4plusIvEENS9_8equal_toIvEEsEE10hipError_tPvRmT2_T3_T4_T5_mT6_T7_P12ihipStream_tbENKUlT_T0_E_clISt17integral_constantIbLb0EES10_IbLb1EEEEDaSW_SX_EUlSW_E_NS1_11comp_targetILNS1_3genE10ELNS1_11target_archE1201ELNS1_3gpuE5ELNS1_3repE0EEENS1_30default_config_static_selectorELNS0_4arch9wavefront6targetE0EEEvT1_,comdat
.Lfunc_end1635:
	.size	_ZN7rocprim17ROCPRIM_400000_NS6detail17trampoline_kernelINS0_14default_configENS1_27scan_by_key_config_selectorIisEEZZNS1_16scan_by_key_implILNS1_25lookback_scan_determinismE0ELb1ES3_N6thrust23THRUST_200600_302600_NS6detail15normal_iteratorINS9_10device_ptrIiEEEENSB_INSC_IsEEEESG_sNS9_4plusIvEENS9_8equal_toIvEEsEE10hipError_tPvRmT2_T3_T4_T5_mT6_T7_P12ihipStream_tbENKUlT_T0_E_clISt17integral_constantIbLb0EES10_IbLb1EEEEDaSW_SX_EUlSW_E_NS1_11comp_targetILNS1_3genE10ELNS1_11target_archE1201ELNS1_3gpuE5ELNS1_3repE0EEENS1_30default_config_static_selectorELNS0_4arch9wavefront6targetE0EEEvT1_, .Lfunc_end1635-_ZN7rocprim17ROCPRIM_400000_NS6detail17trampoline_kernelINS0_14default_configENS1_27scan_by_key_config_selectorIisEEZZNS1_16scan_by_key_implILNS1_25lookback_scan_determinismE0ELb1ES3_N6thrust23THRUST_200600_302600_NS6detail15normal_iteratorINS9_10device_ptrIiEEEENSB_INSC_IsEEEESG_sNS9_4plusIvEENS9_8equal_toIvEEsEE10hipError_tPvRmT2_T3_T4_T5_mT6_T7_P12ihipStream_tbENKUlT_T0_E_clISt17integral_constantIbLb0EES10_IbLb1EEEEDaSW_SX_EUlSW_E_NS1_11comp_targetILNS1_3genE10ELNS1_11target_archE1201ELNS1_3gpuE5ELNS1_3repE0EEENS1_30default_config_static_selectorELNS0_4arch9wavefront6targetE0EEEvT1_
                                        ; -- End function
	.set _ZN7rocprim17ROCPRIM_400000_NS6detail17trampoline_kernelINS0_14default_configENS1_27scan_by_key_config_selectorIisEEZZNS1_16scan_by_key_implILNS1_25lookback_scan_determinismE0ELb1ES3_N6thrust23THRUST_200600_302600_NS6detail15normal_iteratorINS9_10device_ptrIiEEEENSB_INSC_IsEEEESG_sNS9_4plusIvEENS9_8equal_toIvEEsEE10hipError_tPvRmT2_T3_T4_T5_mT6_T7_P12ihipStream_tbENKUlT_T0_E_clISt17integral_constantIbLb0EES10_IbLb1EEEEDaSW_SX_EUlSW_E_NS1_11comp_targetILNS1_3genE10ELNS1_11target_archE1201ELNS1_3gpuE5ELNS1_3repE0EEENS1_30default_config_static_selectorELNS0_4arch9wavefront6targetE0EEEvT1_.num_vgpr, 0
	.set _ZN7rocprim17ROCPRIM_400000_NS6detail17trampoline_kernelINS0_14default_configENS1_27scan_by_key_config_selectorIisEEZZNS1_16scan_by_key_implILNS1_25lookback_scan_determinismE0ELb1ES3_N6thrust23THRUST_200600_302600_NS6detail15normal_iteratorINS9_10device_ptrIiEEEENSB_INSC_IsEEEESG_sNS9_4plusIvEENS9_8equal_toIvEEsEE10hipError_tPvRmT2_T3_T4_T5_mT6_T7_P12ihipStream_tbENKUlT_T0_E_clISt17integral_constantIbLb0EES10_IbLb1EEEEDaSW_SX_EUlSW_E_NS1_11comp_targetILNS1_3genE10ELNS1_11target_archE1201ELNS1_3gpuE5ELNS1_3repE0EEENS1_30default_config_static_selectorELNS0_4arch9wavefront6targetE0EEEvT1_.num_agpr, 0
	.set _ZN7rocprim17ROCPRIM_400000_NS6detail17trampoline_kernelINS0_14default_configENS1_27scan_by_key_config_selectorIisEEZZNS1_16scan_by_key_implILNS1_25lookback_scan_determinismE0ELb1ES3_N6thrust23THRUST_200600_302600_NS6detail15normal_iteratorINS9_10device_ptrIiEEEENSB_INSC_IsEEEESG_sNS9_4plusIvEENS9_8equal_toIvEEsEE10hipError_tPvRmT2_T3_T4_T5_mT6_T7_P12ihipStream_tbENKUlT_T0_E_clISt17integral_constantIbLb0EES10_IbLb1EEEEDaSW_SX_EUlSW_E_NS1_11comp_targetILNS1_3genE10ELNS1_11target_archE1201ELNS1_3gpuE5ELNS1_3repE0EEENS1_30default_config_static_selectorELNS0_4arch9wavefront6targetE0EEEvT1_.numbered_sgpr, 0
	.set _ZN7rocprim17ROCPRIM_400000_NS6detail17trampoline_kernelINS0_14default_configENS1_27scan_by_key_config_selectorIisEEZZNS1_16scan_by_key_implILNS1_25lookback_scan_determinismE0ELb1ES3_N6thrust23THRUST_200600_302600_NS6detail15normal_iteratorINS9_10device_ptrIiEEEENSB_INSC_IsEEEESG_sNS9_4plusIvEENS9_8equal_toIvEEsEE10hipError_tPvRmT2_T3_T4_T5_mT6_T7_P12ihipStream_tbENKUlT_T0_E_clISt17integral_constantIbLb0EES10_IbLb1EEEEDaSW_SX_EUlSW_E_NS1_11comp_targetILNS1_3genE10ELNS1_11target_archE1201ELNS1_3gpuE5ELNS1_3repE0EEENS1_30default_config_static_selectorELNS0_4arch9wavefront6targetE0EEEvT1_.num_named_barrier, 0
	.set _ZN7rocprim17ROCPRIM_400000_NS6detail17trampoline_kernelINS0_14default_configENS1_27scan_by_key_config_selectorIisEEZZNS1_16scan_by_key_implILNS1_25lookback_scan_determinismE0ELb1ES3_N6thrust23THRUST_200600_302600_NS6detail15normal_iteratorINS9_10device_ptrIiEEEENSB_INSC_IsEEEESG_sNS9_4plusIvEENS9_8equal_toIvEEsEE10hipError_tPvRmT2_T3_T4_T5_mT6_T7_P12ihipStream_tbENKUlT_T0_E_clISt17integral_constantIbLb0EES10_IbLb1EEEEDaSW_SX_EUlSW_E_NS1_11comp_targetILNS1_3genE10ELNS1_11target_archE1201ELNS1_3gpuE5ELNS1_3repE0EEENS1_30default_config_static_selectorELNS0_4arch9wavefront6targetE0EEEvT1_.private_seg_size, 0
	.set _ZN7rocprim17ROCPRIM_400000_NS6detail17trampoline_kernelINS0_14default_configENS1_27scan_by_key_config_selectorIisEEZZNS1_16scan_by_key_implILNS1_25lookback_scan_determinismE0ELb1ES3_N6thrust23THRUST_200600_302600_NS6detail15normal_iteratorINS9_10device_ptrIiEEEENSB_INSC_IsEEEESG_sNS9_4plusIvEENS9_8equal_toIvEEsEE10hipError_tPvRmT2_T3_T4_T5_mT6_T7_P12ihipStream_tbENKUlT_T0_E_clISt17integral_constantIbLb0EES10_IbLb1EEEEDaSW_SX_EUlSW_E_NS1_11comp_targetILNS1_3genE10ELNS1_11target_archE1201ELNS1_3gpuE5ELNS1_3repE0EEENS1_30default_config_static_selectorELNS0_4arch9wavefront6targetE0EEEvT1_.uses_vcc, 0
	.set _ZN7rocprim17ROCPRIM_400000_NS6detail17trampoline_kernelINS0_14default_configENS1_27scan_by_key_config_selectorIisEEZZNS1_16scan_by_key_implILNS1_25lookback_scan_determinismE0ELb1ES3_N6thrust23THRUST_200600_302600_NS6detail15normal_iteratorINS9_10device_ptrIiEEEENSB_INSC_IsEEEESG_sNS9_4plusIvEENS9_8equal_toIvEEsEE10hipError_tPvRmT2_T3_T4_T5_mT6_T7_P12ihipStream_tbENKUlT_T0_E_clISt17integral_constantIbLb0EES10_IbLb1EEEEDaSW_SX_EUlSW_E_NS1_11comp_targetILNS1_3genE10ELNS1_11target_archE1201ELNS1_3gpuE5ELNS1_3repE0EEENS1_30default_config_static_selectorELNS0_4arch9wavefront6targetE0EEEvT1_.uses_flat_scratch, 0
	.set _ZN7rocprim17ROCPRIM_400000_NS6detail17trampoline_kernelINS0_14default_configENS1_27scan_by_key_config_selectorIisEEZZNS1_16scan_by_key_implILNS1_25lookback_scan_determinismE0ELb1ES3_N6thrust23THRUST_200600_302600_NS6detail15normal_iteratorINS9_10device_ptrIiEEEENSB_INSC_IsEEEESG_sNS9_4plusIvEENS9_8equal_toIvEEsEE10hipError_tPvRmT2_T3_T4_T5_mT6_T7_P12ihipStream_tbENKUlT_T0_E_clISt17integral_constantIbLb0EES10_IbLb1EEEEDaSW_SX_EUlSW_E_NS1_11comp_targetILNS1_3genE10ELNS1_11target_archE1201ELNS1_3gpuE5ELNS1_3repE0EEENS1_30default_config_static_selectorELNS0_4arch9wavefront6targetE0EEEvT1_.has_dyn_sized_stack, 0
	.set _ZN7rocprim17ROCPRIM_400000_NS6detail17trampoline_kernelINS0_14default_configENS1_27scan_by_key_config_selectorIisEEZZNS1_16scan_by_key_implILNS1_25lookback_scan_determinismE0ELb1ES3_N6thrust23THRUST_200600_302600_NS6detail15normal_iteratorINS9_10device_ptrIiEEEENSB_INSC_IsEEEESG_sNS9_4plusIvEENS9_8equal_toIvEEsEE10hipError_tPvRmT2_T3_T4_T5_mT6_T7_P12ihipStream_tbENKUlT_T0_E_clISt17integral_constantIbLb0EES10_IbLb1EEEEDaSW_SX_EUlSW_E_NS1_11comp_targetILNS1_3genE10ELNS1_11target_archE1201ELNS1_3gpuE5ELNS1_3repE0EEENS1_30default_config_static_selectorELNS0_4arch9wavefront6targetE0EEEvT1_.has_recursion, 0
	.set _ZN7rocprim17ROCPRIM_400000_NS6detail17trampoline_kernelINS0_14default_configENS1_27scan_by_key_config_selectorIisEEZZNS1_16scan_by_key_implILNS1_25lookback_scan_determinismE0ELb1ES3_N6thrust23THRUST_200600_302600_NS6detail15normal_iteratorINS9_10device_ptrIiEEEENSB_INSC_IsEEEESG_sNS9_4plusIvEENS9_8equal_toIvEEsEE10hipError_tPvRmT2_T3_T4_T5_mT6_T7_P12ihipStream_tbENKUlT_T0_E_clISt17integral_constantIbLb0EES10_IbLb1EEEEDaSW_SX_EUlSW_E_NS1_11comp_targetILNS1_3genE10ELNS1_11target_archE1201ELNS1_3gpuE5ELNS1_3repE0EEENS1_30default_config_static_selectorELNS0_4arch9wavefront6targetE0EEEvT1_.has_indirect_call, 0
	.section	.AMDGPU.csdata,"",@progbits
; Kernel info:
; codeLenInByte = 0
; TotalNumSgprs: 0
; NumVgprs: 0
; ScratchSize: 0
; MemoryBound: 0
; FloatMode: 240
; IeeeMode: 1
; LDSByteSize: 0 bytes/workgroup (compile time only)
; SGPRBlocks: 0
; VGPRBlocks: 0
; NumSGPRsForWavesPerEU: 1
; NumVGPRsForWavesPerEU: 1
; NamedBarCnt: 0
; Occupancy: 16
; WaveLimiterHint : 0
; COMPUTE_PGM_RSRC2:SCRATCH_EN: 0
; COMPUTE_PGM_RSRC2:USER_SGPR: 2
; COMPUTE_PGM_RSRC2:TRAP_HANDLER: 0
; COMPUTE_PGM_RSRC2:TGID_X_EN: 1
; COMPUTE_PGM_RSRC2:TGID_Y_EN: 0
; COMPUTE_PGM_RSRC2:TGID_Z_EN: 0
; COMPUTE_PGM_RSRC2:TIDIG_COMP_CNT: 0
	.section	.text._ZN7rocprim17ROCPRIM_400000_NS6detail17trampoline_kernelINS0_14default_configENS1_27scan_by_key_config_selectorIisEEZZNS1_16scan_by_key_implILNS1_25lookback_scan_determinismE0ELb1ES3_N6thrust23THRUST_200600_302600_NS6detail15normal_iteratorINS9_10device_ptrIiEEEENSB_INSC_IsEEEESG_sNS9_4plusIvEENS9_8equal_toIvEEsEE10hipError_tPvRmT2_T3_T4_T5_mT6_T7_P12ihipStream_tbENKUlT_T0_E_clISt17integral_constantIbLb0EES10_IbLb1EEEEDaSW_SX_EUlSW_E_NS1_11comp_targetILNS1_3genE5ELNS1_11target_archE942ELNS1_3gpuE9ELNS1_3repE0EEENS1_30default_config_static_selectorELNS0_4arch9wavefront6targetE0EEEvT1_,"axG",@progbits,_ZN7rocprim17ROCPRIM_400000_NS6detail17trampoline_kernelINS0_14default_configENS1_27scan_by_key_config_selectorIisEEZZNS1_16scan_by_key_implILNS1_25lookback_scan_determinismE0ELb1ES3_N6thrust23THRUST_200600_302600_NS6detail15normal_iteratorINS9_10device_ptrIiEEEENSB_INSC_IsEEEESG_sNS9_4plusIvEENS9_8equal_toIvEEsEE10hipError_tPvRmT2_T3_T4_T5_mT6_T7_P12ihipStream_tbENKUlT_T0_E_clISt17integral_constantIbLb0EES10_IbLb1EEEEDaSW_SX_EUlSW_E_NS1_11comp_targetILNS1_3genE5ELNS1_11target_archE942ELNS1_3gpuE9ELNS1_3repE0EEENS1_30default_config_static_selectorELNS0_4arch9wavefront6targetE0EEEvT1_,comdat
	.protected	_ZN7rocprim17ROCPRIM_400000_NS6detail17trampoline_kernelINS0_14default_configENS1_27scan_by_key_config_selectorIisEEZZNS1_16scan_by_key_implILNS1_25lookback_scan_determinismE0ELb1ES3_N6thrust23THRUST_200600_302600_NS6detail15normal_iteratorINS9_10device_ptrIiEEEENSB_INSC_IsEEEESG_sNS9_4plusIvEENS9_8equal_toIvEEsEE10hipError_tPvRmT2_T3_T4_T5_mT6_T7_P12ihipStream_tbENKUlT_T0_E_clISt17integral_constantIbLb0EES10_IbLb1EEEEDaSW_SX_EUlSW_E_NS1_11comp_targetILNS1_3genE5ELNS1_11target_archE942ELNS1_3gpuE9ELNS1_3repE0EEENS1_30default_config_static_selectorELNS0_4arch9wavefront6targetE0EEEvT1_ ; -- Begin function _ZN7rocprim17ROCPRIM_400000_NS6detail17trampoline_kernelINS0_14default_configENS1_27scan_by_key_config_selectorIisEEZZNS1_16scan_by_key_implILNS1_25lookback_scan_determinismE0ELb1ES3_N6thrust23THRUST_200600_302600_NS6detail15normal_iteratorINS9_10device_ptrIiEEEENSB_INSC_IsEEEESG_sNS9_4plusIvEENS9_8equal_toIvEEsEE10hipError_tPvRmT2_T3_T4_T5_mT6_T7_P12ihipStream_tbENKUlT_T0_E_clISt17integral_constantIbLb0EES10_IbLb1EEEEDaSW_SX_EUlSW_E_NS1_11comp_targetILNS1_3genE5ELNS1_11target_archE942ELNS1_3gpuE9ELNS1_3repE0EEENS1_30default_config_static_selectorELNS0_4arch9wavefront6targetE0EEEvT1_
	.globl	_ZN7rocprim17ROCPRIM_400000_NS6detail17trampoline_kernelINS0_14default_configENS1_27scan_by_key_config_selectorIisEEZZNS1_16scan_by_key_implILNS1_25lookback_scan_determinismE0ELb1ES3_N6thrust23THRUST_200600_302600_NS6detail15normal_iteratorINS9_10device_ptrIiEEEENSB_INSC_IsEEEESG_sNS9_4plusIvEENS9_8equal_toIvEEsEE10hipError_tPvRmT2_T3_T4_T5_mT6_T7_P12ihipStream_tbENKUlT_T0_E_clISt17integral_constantIbLb0EES10_IbLb1EEEEDaSW_SX_EUlSW_E_NS1_11comp_targetILNS1_3genE5ELNS1_11target_archE942ELNS1_3gpuE9ELNS1_3repE0EEENS1_30default_config_static_selectorELNS0_4arch9wavefront6targetE0EEEvT1_
	.p2align	8
	.type	_ZN7rocprim17ROCPRIM_400000_NS6detail17trampoline_kernelINS0_14default_configENS1_27scan_by_key_config_selectorIisEEZZNS1_16scan_by_key_implILNS1_25lookback_scan_determinismE0ELb1ES3_N6thrust23THRUST_200600_302600_NS6detail15normal_iteratorINS9_10device_ptrIiEEEENSB_INSC_IsEEEESG_sNS9_4plusIvEENS9_8equal_toIvEEsEE10hipError_tPvRmT2_T3_T4_T5_mT6_T7_P12ihipStream_tbENKUlT_T0_E_clISt17integral_constantIbLb0EES10_IbLb1EEEEDaSW_SX_EUlSW_E_NS1_11comp_targetILNS1_3genE5ELNS1_11target_archE942ELNS1_3gpuE9ELNS1_3repE0EEENS1_30default_config_static_selectorELNS0_4arch9wavefront6targetE0EEEvT1_,@function
_ZN7rocprim17ROCPRIM_400000_NS6detail17trampoline_kernelINS0_14default_configENS1_27scan_by_key_config_selectorIisEEZZNS1_16scan_by_key_implILNS1_25lookback_scan_determinismE0ELb1ES3_N6thrust23THRUST_200600_302600_NS6detail15normal_iteratorINS9_10device_ptrIiEEEENSB_INSC_IsEEEESG_sNS9_4plusIvEENS9_8equal_toIvEEsEE10hipError_tPvRmT2_T3_T4_T5_mT6_T7_P12ihipStream_tbENKUlT_T0_E_clISt17integral_constantIbLb0EES10_IbLb1EEEEDaSW_SX_EUlSW_E_NS1_11comp_targetILNS1_3genE5ELNS1_11target_archE942ELNS1_3gpuE9ELNS1_3repE0EEENS1_30default_config_static_selectorELNS0_4arch9wavefront6targetE0EEEvT1_: ; @_ZN7rocprim17ROCPRIM_400000_NS6detail17trampoline_kernelINS0_14default_configENS1_27scan_by_key_config_selectorIisEEZZNS1_16scan_by_key_implILNS1_25lookback_scan_determinismE0ELb1ES3_N6thrust23THRUST_200600_302600_NS6detail15normal_iteratorINS9_10device_ptrIiEEEENSB_INSC_IsEEEESG_sNS9_4plusIvEENS9_8equal_toIvEEsEE10hipError_tPvRmT2_T3_T4_T5_mT6_T7_P12ihipStream_tbENKUlT_T0_E_clISt17integral_constantIbLb0EES10_IbLb1EEEEDaSW_SX_EUlSW_E_NS1_11comp_targetILNS1_3genE5ELNS1_11target_archE942ELNS1_3gpuE9ELNS1_3repE0EEENS1_30default_config_static_selectorELNS0_4arch9wavefront6targetE0EEEvT1_
; %bb.0:
	.section	.rodata,"a",@progbits
	.p2align	6, 0x0
	.amdhsa_kernel _ZN7rocprim17ROCPRIM_400000_NS6detail17trampoline_kernelINS0_14default_configENS1_27scan_by_key_config_selectorIisEEZZNS1_16scan_by_key_implILNS1_25lookback_scan_determinismE0ELb1ES3_N6thrust23THRUST_200600_302600_NS6detail15normal_iteratorINS9_10device_ptrIiEEEENSB_INSC_IsEEEESG_sNS9_4plusIvEENS9_8equal_toIvEEsEE10hipError_tPvRmT2_T3_T4_T5_mT6_T7_P12ihipStream_tbENKUlT_T0_E_clISt17integral_constantIbLb0EES10_IbLb1EEEEDaSW_SX_EUlSW_E_NS1_11comp_targetILNS1_3genE5ELNS1_11target_archE942ELNS1_3gpuE9ELNS1_3repE0EEENS1_30default_config_static_selectorELNS0_4arch9wavefront6targetE0EEEvT1_
		.amdhsa_group_segment_fixed_size 0
		.amdhsa_private_segment_fixed_size 0
		.amdhsa_kernarg_size 112
		.amdhsa_user_sgpr_count 2
		.amdhsa_user_sgpr_dispatch_ptr 0
		.amdhsa_user_sgpr_queue_ptr 0
		.amdhsa_user_sgpr_kernarg_segment_ptr 1
		.amdhsa_user_sgpr_dispatch_id 0
		.amdhsa_user_sgpr_kernarg_preload_length 0
		.amdhsa_user_sgpr_kernarg_preload_offset 0
		.amdhsa_user_sgpr_private_segment_size 0
		.amdhsa_wavefront_size32 1
		.amdhsa_uses_dynamic_stack 0
		.amdhsa_enable_private_segment 0
		.amdhsa_system_sgpr_workgroup_id_x 1
		.amdhsa_system_sgpr_workgroup_id_y 0
		.amdhsa_system_sgpr_workgroup_id_z 0
		.amdhsa_system_sgpr_workgroup_info 0
		.amdhsa_system_vgpr_workitem_id 0
		.amdhsa_next_free_vgpr 1
		.amdhsa_next_free_sgpr 1
		.amdhsa_named_barrier_count 0
		.amdhsa_reserve_vcc 0
		.amdhsa_float_round_mode_32 0
		.amdhsa_float_round_mode_16_64 0
		.amdhsa_float_denorm_mode_32 3
		.amdhsa_float_denorm_mode_16_64 3
		.amdhsa_fp16_overflow 0
		.amdhsa_memory_ordered 1
		.amdhsa_forward_progress 1
		.amdhsa_inst_pref_size 0
		.amdhsa_round_robin_scheduling 0
		.amdhsa_exception_fp_ieee_invalid_op 0
		.amdhsa_exception_fp_denorm_src 0
		.amdhsa_exception_fp_ieee_div_zero 0
		.amdhsa_exception_fp_ieee_overflow 0
		.amdhsa_exception_fp_ieee_underflow 0
		.amdhsa_exception_fp_ieee_inexact 0
		.amdhsa_exception_int_div_zero 0
	.end_amdhsa_kernel
	.section	.text._ZN7rocprim17ROCPRIM_400000_NS6detail17trampoline_kernelINS0_14default_configENS1_27scan_by_key_config_selectorIisEEZZNS1_16scan_by_key_implILNS1_25lookback_scan_determinismE0ELb1ES3_N6thrust23THRUST_200600_302600_NS6detail15normal_iteratorINS9_10device_ptrIiEEEENSB_INSC_IsEEEESG_sNS9_4plusIvEENS9_8equal_toIvEEsEE10hipError_tPvRmT2_T3_T4_T5_mT6_T7_P12ihipStream_tbENKUlT_T0_E_clISt17integral_constantIbLb0EES10_IbLb1EEEEDaSW_SX_EUlSW_E_NS1_11comp_targetILNS1_3genE5ELNS1_11target_archE942ELNS1_3gpuE9ELNS1_3repE0EEENS1_30default_config_static_selectorELNS0_4arch9wavefront6targetE0EEEvT1_,"axG",@progbits,_ZN7rocprim17ROCPRIM_400000_NS6detail17trampoline_kernelINS0_14default_configENS1_27scan_by_key_config_selectorIisEEZZNS1_16scan_by_key_implILNS1_25lookback_scan_determinismE0ELb1ES3_N6thrust23THRUST_200600_302600_NS6detail15normal_iteratorINS9_10device_ptrIiEEEENSB_INSC_IsEEEESG_sNS9_4plusIvEENS9_8equal_toIvEEsEE10hipError_tPvRmT2_T3_T4_T5_mT6_T7_P12ihipStream_tbENKUlT_T0_E_clISt17integral_constantIbLb0EES10_IbLb1EEEEDaSW_SX_EUlSW_E_NS1_11comp_targetILNS1_3genE5ELNS1_11target_archE942ELNS1_3gpuE9ELNS1_3repE0EEENS1_30default_config_static_selectorELNS0_4arch9wavefront6targetE0EEEvT1_,comdat
.Lfunc_end1636:
	.size	_ZN7rocprim17ROCPRIM_400000_NS6detail17trampoline_kernelINS0_14default_configENS1_27scan_by_key_config_selectorIisEEZZNS1_16scan_by_key_implILNS1_25lookback_scan_determinismE0ELb1ES3_N6thrust23THRUST_200600_302600_NS6detail15normal_iteratorINS9_10device_ptrIiEEEENSB_INSC_IsEEEESG_sNS9_4plusIvEENS9_8equal_toIvEEsEE10hipError_tPvRmT2_T3_T4_T5_mT6_T7_P12ihipStream_tbENKUlT_T0_E_clISt17integral_constantIbLb0EES10_IbLb1EEEEDaSW_SX_EUlSW_E_NS1_11comp_targetILNS1_3genE5ELNS1_11target_archE942ELNS1_3gpuE9ELNS1_3repE0EEENS1_30default_config_static_selectorELNS0_4arch9wavefront6targetE0EEEvT1_, .Lfunc_end1636-_ZN7rocprim17ROCPRIM_400000_NS6detail17trampoline_kernelINS0_14default_configENS1_27scan_by_key_config_selectorIisEEZZNS1_16scan_by_key_implILNS1_25lookback_scan_determinismE0ELb1ES3_N6thrust23THRUST_200600_302600_NS6detail15normal_iteratorINS9_10device_ptrIiEEEENSB_INSC_IsEEEESG_sNS9_4plusIvEENS9_8equal_toIvEEsEE10hipError_tPvRmT2_T3_T4_T5_mT6_T7_P12ihipStream_tbENKUlT_T0_E_clISt17integral_constantIbLb0EES10_IbLb1EEEEDaSW_SX_EUlSW_E_NS1_11comp_targetILNS1_3genE5ELNS1_11target_archE942ELNS1_3gpuE9ELNS1_3repE0EEENS1_30default_config_static_selectorELNS0_4arch9wavefront6targetE0EEEvT1_
                                        ; -- End function
	.set _ZN7rocprim17ROCPRIM_400000_NS6detail17trampoline_kernelINS0_14default_configENS1_27scan_by_key_config_selectorIisEEZZNS1_16scan_by_key_implILNS1_25lookback_scan_determinismE0ELb1ES3_N6thrust23THRUST_200600_302600_NS6detail15normal_iteratorINS9_10device_ptrIiEEEENSB_INSC_IsEEEESG_sNS9_4plusIvEENS9_8equal_toIvEEsEE10hipError_tPvRmT2_T3_T4_T5_mT6_T7_P12ihipStream_tbENKUlT_T0_E_clISt17integral_constantIbLb0EES10_IbLb1EEEEDaSW_SX_EUlSW_E_NS1_11comp_targetILNS1_3genE5ELNS1_11target_archE942ELNS1_3gpuE9ELNS1_3repE0EEENS1_30default_config_static_selectorELNS0_4arch9wavefront6targetE0EEEvT1_.num_vgpr, 0
	.set _ZN7rocprim17ROCPRIM_400000_NS6detail17trampoline_kernelINS0_14default_configENS1_27scan_by_key_config_selectorIisEEZZNS1_16scan_by_key_implILNS1_25lookback_scan_determinismE0ELb1ES3_N6thrust23THRUST_200600_302600_NS6detail15normal_iteratorINS9_10device_ptrIiEEEENSB_INSC_IsEEEESG_sNS9_4plusIvEENS9_8equal_toIvEEsEE10hipError_tPvRmT2_T3_T4_T5_mT6_T7_P12ihipStream_tbENKUlT_T0_E_clISt17integral_constantIbLb0EES10_IbLb1EEEEDaSW_SX_EUlSW_E_NS1_11comp_targetILNS1_3genE5ELNS1_11target_archE942ELNS1_3gpuE9ELNS1_3repE0EEENS1_30default_config_static_selectorELNS0_4arch9wavefront6targetE0EEEvT1_.num_agpr, 0
	.set _ZN7rocprim17ROCPRIM_400000_NS6detail17trampoline_kernelINS0_14default_configENS1_27scan_by_key_config_selectorIisEEZZNS1_16scan_by_key_implILNS1_25lookback_scan_determinismE0ELb1ES3_N6thrust23THRUST_200600_302600_NS6detail15normal_iteratorINS9_10device_ptrIiEEEENSB_INSC_IsEEEESG_sNS9_4plusIvEENS9_8equal_toIvEEsEE10hipError_tPvRmT2_T3_T4_T5_mT6_T7_P12ihipStream_tbENKUlT_T0_E_clISt17integral_constantIbLb0EES10_IbLb1EEEEDaSW_SX_EUlSW_E_NS1_11comp_targetILNS1_3genE5ELNS1_11target_archE942ELNS1_3gpuE9ELNS1_3repE0EEENS1_30default_config_static_selectorELNS0_4arch9wavefront6targetE0EEEvT1_.numbered_sgpr, 0
	.set _ZN7rocprim17ROCPRIM_400000_NS6detail17trampoline_kernelINS0_14default_configENS1_27scan_by_key_config_selectorIisEEZZNS1_16scan_by_key_implILNS1_25lookback_scan_determinismE0ELb1ES3_N6thrust23THRUST_200600_302600_NS6detail15normal_iteratorINS9_10device_ptrIiEEEENSB_INSC_IsEEEESG_sNS9_4plusIvEENS9_8equal_toIvEEsEE10hipError_tPvRmT2_T3_T4_T5_mT6_T7_P12ihipStream_tbENKUlT_T0_E_clISt17integral_constantIbLb0EES10_IbLb1EEEEDaSW_SX_EUlSW_E_NS1_11comp_targetILNS1_3genE5ELNS1_11target_archE942ELNS1_3gpuE9ELNS1_3repE0EEENS1_30default_config_static_selectorELNS0_4arch9wavefront6targetE0EEEvT1_.num_named_barrier, 0
	.set _ZN7rocprim17ROCPRIM_400000_NS6detail17trampoline_kernelINS0_14default_configENS1_27scan_by_key_config_selectorIisEEZZNS1_16scan_by_key_implILNS1_25lookback_scan_determinismE0ELb1ES3_N6thrust23THRUST_200600_302600_NS6detail15normal_iteratorINS9_10device_ptrIiEEEENSB_INSC_IsEEEESG_sNS9_4plusIvEENS9_8equal_toIvEEsEE10hipError_tPvRmT2_T3_T4_T5_mT6_T7_P12ihipStream_tbENKUlT_T0_E_clISt17integral_constantIbLb0EES10_IbLb1EEEEDaSW_SX_EUlSW_E_NS1_11comp_targetILNS1_3genE5ELNS1_11target_archE942ELNS1_3gpuE9ELNS1_3repE0EEENS1_30default_config_static_selectorELNS0_4arch9wavefront6targetE0EEEvT1_.private_seg_size, 0
	.set _ZN7rocprim17ROCPRIM_400000_NS6detail17trampoline_kernelINS0_14default_configENS1_27scan_by_key_config_selectorIisEEZZNS1_16scan_by_key_implILNS1_25lookback_scan_determinismE0ELb1ES3_N6thrust23THRUST_200600_302600_NS6detail15normal_iteratorINS9_10device_ptrIiEEEENSB_INSC_IsEEEESG_sNS9_4plusIvEENS9_8equal_toIvEEsEE10hipError_tPvRmT2_T3_T4_T5_mT6_T7_P12ihipStream_tbENKUlT_T0_E_clISt17integral_constantIbLb0EES10_IbLb1EEEEDaSW_SX_EUlSW_E_NS1_11comp_targetILNS1_3genE5ELNS1_11target_archE942ELNS1_3gpuE9ELNS1_3repE0EEENS1_30default_config_static_selectorELNS0_4arch9wavefront6targetE0EEEvT1_.uses_vcc, 0
	.set _ZN7rocprim17ROCPRIM_400000_NS6detail17trampoline_kernelINS0_14default_configENS1_27scan_by_key_config_selectorIisEEZZNS1_16scan_by_key_implILNS1_25lookback_scan_determinismE0ELb1ES3_N6thrust23THRUST_200600_302600_NS6detail15normal_iteratorINS9_10device_ptrIiEEEENSB_INSC_IsEEEESG_sNS9_4plusIvEENS9_8equal_toIvEEsEE10hipError_tPvRmT2_T3_T4_T5_mT6_T7_P12ihipStream_tbENKUlT_T0_E_clISt17integral_constantIbLb0EES10_IbLb1EEEEDaSW_SX_EUlSW_E_NS1_11comp_targetILNS1_3genE5ELNS1_11target_archE942ELNS1_3gpuE9ELNS1_3repE0EEENS1_30default_config_static_selectorELNS0_4arch9wavefront6targetE0EEEvT1_.uses_flat_scratch, 0
	.set _ZN7rocprim17ROCPRIM_400000_NS6detail17trampoline_kernelINS0_14default_configENS1_27scan_by_key_config_selectorIisEEZZNS1_16scan_by_key_implILNS1_25lookback_scan_determinismE0ELb1ES3_N6thrust23THRUST_200600_302600_NS6detail15normal_iteratorINS9_10device_ptrIiEEEENSB_INSC_IsEEEESG_sNS9_4plusIvEENS9_8equal_toIvEEsEE10hipError_tPvRmT2_T3_T4_T5_mT6_T7_P12ihipStream_tbENKUlT_T0_E_clISt17integral_constantIbLb0EES10_IbLb1EEEEDaSW_SX_EUlSW_E_NS1_11comp_targetILNS1_3genE5ELNS1_11target_archE942ELNS1_3gpuE9ELNS1_3repE0EEENS1_30default_config_static_selectorELNS0_4arch9wavefront6targetE0EEEvT1_.has_dyn_sized_stack, 0
	.set _ZN7rocprim17ROCPRIM_400000_NS6detail17trampoline_kernelINS0_14default_configENS1_27scan_by_key_config_selectorIisEEZZNS1_16scan_by_key_implILNS1_25lookback_scan_determinismE0ELb1ES3_N6thrust23THRUST_200600_302600_NS6detail15normal_iteratorINS9_10device_ptrIiEEEENSB_INSC_IsEEEESG_sNS9_4plusIvEENS9_8equal_toIvEEsEE10hipError_tPvRmT2_T3_T4_T5_mT6_T7_P12ihipStream_tbENKUlT_T0_E_clISt17integral_constantIbLb0EES10_IbLb1EEEEDaSW_SX_EUlSW_E_NS1_11comp_targetILNS1_3genE5ELNS1_11target_archE942ELNS1_3gpuE9ELNS1_3repE0EEENS1_30default_config_static_selectorELNS0_4arch9wavefront6targetE0EEEvT1_.has_recursion, 0
	.set _ZN7rocprim17ROCPRIM_400000_NS6detail17trampoline_kernelINS0_14default_configENS1_27scan_by_key_config_selectorIisEEZZNS1_16scan_by_key_implILNS1_25lookback_scan_determinismE0ELb1ES3_N6thrust23THRUST_200600_302600_NS6detail15normal_iteratorINS9_10device_ptrIiEEEENSB_INSC_IsEEEESG_sNS9_4plusIvEENS9_8equal_toIvEEsEE10hipError_tPvRmT2_T3_T4_T5_mT6_T7_P12ihipStream_tbENKUlT_T0_E_clISt17integral_constantIbLb0EES10_IbLb1EEEEDaSW_SX_EUlSW_E_NS1_11comp_targetILNS1_3genE5ELNS1_11target_archE942ELNS1_3gpuE9ELNS1_3repE0EEENS1_30default_config_static_selectorELNS0_4arch9wavefront6targetE0EEEvT1_.has_indirect_call, 0
	.section	.AMDGPU.csdata,"",@progbits
; Kernel info:
; codeLenInByte = 0
; TotalNumSgprs: 0
; NumVgprs: 0
; ScratchSize: 0
; MemoryBound: 0
; FloatMode: 240
; IeeeMode: 1
; LDSByteSize: 0 bytes/workgroup (compile time only)
; SGPRBlocks: 0
; VGPRBlocks: 0
; NumSGPRsForWavesPerEU: 1
; NumVGPRsForWavesPerEU: 1
; NamedBarCnt: 0
; Occupancy: 16
; WaveLimiterHint : 0
; COMPUTE_PGM_RSRC2:SCRATCH_EN: 0
; COMPUTE_PGM_RSRC2:USER_SGPR: 2
; COMPUTE_PGM_RSRC2:TRAP_HANDLER: 0
; COMPUTE_PGM_RSRC2:TGID_X_EN: 1
; COMPUTE_PGM_RSRC2:TGID_Y_EN: 0
; COMPUTE_PGM_RSRC2:TGID_Z_EN: 0
; COMPUTE_PGM_RSRC2:TIDIG_COMP_CNT: 0
	.section	.text._ZN7rocprim17ROCPRIM_400000_NS6detail17trampoline_kernelINS0_14default_configENS1_27scan_by_key_config_selectorIisEEZZNS1_16scan_by_key_implILNS1_25lookback_scan_determinismE0ELb1ES3_N6thrust23THRUST_200600_302600_NS6detail15normal_iteratorINS9_10device_ptrIiEEEENSB_INSC_IsEEEESG_sNS9_4plusIvEENS9_8equal_toIvEEsEE10hipError_tPvRmT2_T3_T4_T5_mT6_T7_P12ihipStream_tbENKUlT_T0_E_clISt17integral_constantIbLb0EES10_IbLb1EEEEDaSW_SX_EUlSW_E_NS1_11comp_targetILNS1_3genE4ELNS1_11target_archE910ELNS1_3gpuE8ELNS1_3repE0EEENS1_30default_config_static_selectorELNS0_4arch9wavefront6targetE0EEEvT1_,"axG",@progbits,_ZN7rocprim17ROCPRIM_400000_NS6detail17trampoline_kernelINS0_14default_configENS1_27scan_by_key_config_selectorIisEEZZNS1_16scan_by_key_implILNS1_25lookback_scan_determinismE0ELb1ES3_N6thrust23THRUST_200600_302600_NS6detail15normal_iteratorINS9_10device_ptrIiEEEENSB_INSC_IsEEEESG_sNS9_4plusIvEENS9_8equal_toIvEEsEE10hipError_tPvRmT2_T3_T4_T5_mT6_T7_P12ihipStream_tbENKUlT_T0_E_clISt17integral_constantIbLb0EES10_IbLb1EEEEDaSW_SX_EUlSW_E_NS1_11comp_targetILNS1_3genE4ELNS1_11target_archE910ELNS1_3gpuE8ELNS1_3repE0EEENS1_30default_config_static_selectorELNS0_4arch9wavefront6targetE0EEEvT1_,comdat
	.protected	_ZN7rocprim17ROCPRIM_400000_NS6detail17trampoline_kernelINS0_14default_configENS1_27scan_by_key_config_selectorIisEEZZNS1_16scan_by_key_implILNS1_25lookback_scan_determinismE0ELb1ES3_N6thrust23THRUST_200600_302600_NS6detail15normal_iteratorINS9_10device_ptrIiEEEENSB_INSC_IsEEEESG_sNS9_4plusIvEENS9_8equal_toIvEEsEE10hipError_tPvRmT2_T3_T4_T5_mT6_T7_P12ihipStream_tbENKUlT_T0_E_clISt17integral_constantIbLb0EES10_IbLb1EEEEDaSW_SX_EUlSW_E_NS1_11comp_targetILNS1_3genE4ELNS1_11target_archE910ELNS1_3gpuE8ELNS1_3repE0EEENS1_30default_config_static_selectorELNS0_4arch9wavefront6targetE0EEEvT1_ ; -- Begin function _ZN7rocprim17ROCPRIM_400000_NS6detail17trampoline_kernelINS0_14default_configENS1_27scan_by_key_config_selectorIisEEZZNS1_16scan_by_key_implILNS1_25lookback_scan_determinismE0ELb1ES3_N6thrust23THRUST_200600_302600_NS6detail15normal_iteratorINS9_10device_ptrIiEEEENSB_INSC_IsEEEESG_sNS9_4plusIvEENS9_8equal_toIvEEsEE10hipError_tPvRmT2_T3_T4_T5_mT6_T7_P12ihipStream_tbENKUlT_T0_E_clISt17integral_constantIbLb0EES10_IbLb1EEEEDaSW_SX_EUlSW_E_NS1_11comp_targetILNS1_3genE4ELNS1_11target_archE910ELNS1_3gpuE8ELNS1_3repE0EEENS1_30default_config_static_selectorELNS0_4arch9wavefront6targetE0EEEvT1_
	.globl	_ZN7rocprim17ROCPRIM_400000_NS6detail17trampoline_kernelINS0_14default_configENS1_27scan_by_key_config_selectorIisEEZZNS1_16scan_by_key_implILNS1_25lookback_scan_determinismE0ELb1ES3_N6thrust23THRUST_200600_302600_NS6detail15normal_iteratorINS9_10device_ptrIiEEEENSB_INSC_IsEEEESG_sNS9_4plusIvEENS9_8equal_toIvEEsEE10hipError_tPvRmT2_T3_T4_T5_mT6_T7_P12ihipStream_tbENKUlT_T0_E_clISt17integral_constantIbLb0EES10_IbLb1EEEEDaSW_SX_EUlSW_E_NS1_11comp_targetILNS1_3genE4ELNS1_11target_archE910ELNS1_3gpuE8ELNS1_3repE0EEENS1_30default_config_static_selectorELNS0_4arch9wavefront6targetE0EEEvT1_
	.p2align	8
	.type	_ZN7rocprim17ROCPRIM_400000_NS6detail17trampoline_kernelINS0_14default_configENS1_27scan_by_key_config_selectorIisEEZZNS1_16scan_by_key_implILNS1_25lookback_scan_determinismE0ELb1ES3_N6thrust23THRUST_200600_302600_NS6detail15normal_iteratorINS9_10device_ptrIiEEEENSB_INSC_IsEEEESG_sNS9_4plusIvEENS9_8equal_toIvEEsEE10hipError_tPvRmT2_T3_T4_T5_mT6_T7_P12ihipStream_tbENKUlT_T0_E_clISt17integral_constantIbLb0EES10_IbLb1EEEEDaSW_SX_EUlSW_E_NS1_11comp_targetILNS1_3genE4ELNS1_11target_archE910ELNS1_3gpuE8ELNS1_3repE0EEENS1_30default_config_static_selectorELNS0_4arch9wavefront6targetE0EEEvT1_,@function
_ZN7rocprim17ROCPRIM_400000_NS6detail17trampoline_kernelINS0_14default_configENS1_27scan_by_key_config_selectorIisEEZZNS1_16scan_by_key_implILNS1_25lookback_scan_determinismE0ELb1ES3_N6thrust23THRUST_200600_302600_NS6detail15normal_iteratorINS9_10device_ptrIiEEEENSB_INSC_IsEEEESG_sNS9_4plusIvEENS9_8equal_toIvEEsEE10hipError_tPvRmT2_T3_T4_T5_mT6_T7_P12ihipStream_tbENKUlT_T0_E_clISt17integral_constantIbLb0EES10_IbLb1EEEEDaSW_SX_EUlSW_E_NS1_11comp_targetILNS1_3genE4ELNS1_11target_archE910ELNS1_3gpuE8ELNS1_3repE0EEENS1_30default_config_static_selectorELNS0_4arch9wavefront6targetE0EEEvT1_: ; @_ZN7rocprim17ROCPRIM_400000_NS6detail17trampoline_kernelINS0_14default_configENS1_27scan_by_key_config_selectorIisEEZZNS1_16scan_by_key_implILNS1_25lookback_scan_determinismE0ELb1ES3_N6thrust23THRUST_200600_302600_NS6detail15normal_iteratorINS9_10device_ptrIiEEEENSB_INSC_IsEEEESG_sNS9_4plusIvEENS9_8equal_toIvEEsEE10hipError_tPvRmT2_T3_T4_T5_mT6_T7_P12ihipStream_tbENKUlT_T0_E_clISt17integral_constantIbLb0EES10_IbLb1EEEEDaSW_SX_EUlSW_E_NS1_11comp_targetILNS1_3genE4ELNS1_11target_archE910ELNS1_3gpuE8ELNS1_3repE0EEENS1_30default_config_static_selectorELNS0_4arch9wavefront6targetE0EEEvT1_
; %bb.0:
	.section	.rodata,"a",@progbits
	.p2align	6, 0x0
	.amdhsa_kernel _ZN7rocprim17ROCPRIM_400000_NS6detail17trampoline_kernelINS0_14default_configENS1_27scan_by_key_config_selectorIisEEZZNS1_16scan_by_key_implILNS1_25lookback_scan_determinismE0ELb1ES3_N6thrust23THRUST_200600_302600_NS6detail15normal_iteratorINS9_10device_ptrIiEEEENSB_INSC_IsEEEESG_sNS9_4plusIvEENS9_8equal_toIvEEsEE10hipError_tPvRmT2_T3_T4_T5_mT6_T7_P12ihipStream_tbENKUlT_T0_E_clISt17integral_constantIbLb0EES10_IbLb1EEEEDaSW_SX_EUlSW_E_NS1_11comp_targetILNS1_3genE4ELNS1_11target_archE910ELNS1_3gpuE8ELNS1_3repE0EEENS1_30default_config_static_selectorELNS0_4arch9wavefront6targetE0EEEvT1_
		.amdhsa_group_segment_fixed_size 0
		.amdhsa_private_segment_fixed_size 0
		.amdhsa_kernarg_size 112
		.amdhsa_user_sgpr_count 2
		.amdhsa_user_sgpr_dispatch_ptr 0
		.amdhsa_user_sgpr_queue_ptr 0
		.amdhsa_user_sgpr_kernarg_segment_ptr 1
		.amdhsa_user_sgpr_dispatch_id 0
		.amdhsa_user_sgpr_kernarg_preload_length 0
		.amdhsa_user_sgpr_kernarg_preload_offset 0
		.amdhsa_user_sgpr_private_segment_size 0
		.amdhsa_wavefront_size32 1
		.amdhsa_uses_dynamic_stack 0
		.amdhsa_enable_private_segment 0
		.amdhsa_system_sgpr_workgroup_id_x 1
		.amdhsa_system_sgpr_workgroup_id_y 0
		.amdhsa_system_sgpr_workgroup_id_z 0
		.amdhsa_system_sgpr_workgroup_info 0
		.amdhsa_system_vgpr_workitem_id 0
		.amdhsa_next_free_vgpr 1
		.amdhsa_next_free_sgpr 1
		.amdhsa_named_barrier_count 0
		.amdhsa_reserve_vcc 0
		.amdhsa_float_round_mode_32 0
		.amdhsa_float_round_mode_16_64 0
		.amdhsa_float_denorm_mode_32 3
		.amdhsa_float_denorm_mode_16_64 3
		.amdhsa_fp16_overflow 0
		.amdhsa_memory_ordered 1
		.amdhsa_forward_progress 1
		.amdhsa_inst_pref_size 0
		.amdhsa_round_robin_scheduling 0
		.amdhsa_exception_fp_ieee_invalid_op 0
		.amdhsa_exception_fp_denorm_src 0
		.amdhsa_exception_fp_ieee_div_zero 0
		.amdhsa_exception_fp_ieee_overflow 0
		.amdhsa_exception_fp_ieee_underflow 0
		.amdhsa_exception_fp_ieee_inexact 0
		.amdhsa_exception_int_div_zero 0
	.end_amdhsa_kernel
	.section	.text._ZN7rocprim17ROCPRIM_400000_NS6detail17trampoline_kernelINS0_14default_configENS1_27scan_by_key_config_selectorIisEEZZNS1_16scan_by_key_implILNS1_25lookback_scan_determinismE0ELb1ES3_N6thrust23THRUST_200600_302600_NS6detail15normal_iteratorINS9_10device_ptrIiEEEENSB_INSC_IsEEEESG_sNS9_4plusIvEENS9_8equal_toIvEEsEE10hipError_tPvRmT2_T3_T4_T5_mT6_T7_P12ihipStream_tbENKUlT_T0_E_clISt17integral_constantIbLb0EES10_IbLb1EEEEDaSW_SX_EUlSW_E_NS1_11comp_targetILNS1_3genE4ELNS1_11target_archE910ELNS1_3gpuE8ELNS1_3repE0EEENS1_30default_config_static_selectorELNS0_4arch9wavefront6targetE0EEEvT1_,"axG",@progbits,_ZN7rocprim17ROCPRIM_400000_NS6detail17trampoline_kernelINS0_14default_configENS1_27scan_by_key_config_selectorIisEEZZNS1_16scan_by_key_implILNS1_25lookback_scan_determinismE0ELb1ES3_N6thrust23THRUST_200600_302600_NS6detail15normal_iteratorINS9_10device_ptrIiEEEENSB_INSC_IsEEEESG_sNS9_4plusIvEENS9_8equal_toIvEEsEE10hipError_tPvRmT2_T3_T4_T5_mT6_T7_P12ihipStream_tbENKUlT_T0_E_clISt17integral_constantIbLb0EES10_IbLb1EEEEDaSW_SX_EUlSW_E_NS1_11comp_targetILNS1_3genE4ELNS1_11target_archE910ELNS1_3gpuE8ELNS1_3repE0EEENS1_30default_config_static_selectorELNS0_4arch9wavefront6targetE0EEEvT1_,comdat
.Lfunc_end1637:
	.size	_ZN7rocprim17ROCPRIM_400000_NS6detail17trampoline_kernelINS0_14default_configENS1_27scan_by_key_config_selectorIisEEZZNS1_16scan_by_key_implILNS1_25lookback_scan_determinismE0ELb1ES3_N6thrust23THRUST_200600_302600_NS6detail15normal_iteratorINS9_10device_ptrIiEEEENSB_INSC_IsEEEESG_sNS9_4plusIvEENS9_8equal_toIvEEsEE10hipError_tPvRmT2_T3_T4_T5_mT6_T7_P12ihipStream_tbENKUlT_T0_E_clISt17integral_constantIbLb0EES10_IbLb1EEEEDaSW_SX_EUlSW_E_NS1_11comp_targetILNS1_3genE4ELNS1_11target_archE910ELNS1_3gpuE8ELNS1_3repE0EEENS1_30default_config_static_selectorELNS0_4arch9wavefront6targetE0EEEvT1_, .Lfunc_end1637-_ZN7rocprim17ROCPRIM_400000_NS6detail17trampoline_kernelINS0_14default_configENS1_27scan_by_key_config_selectorIisEEZZNS1_16scan_by_key_implILNS1_25lookback_scan_determinismE0ELb1ES3_N6thrust23THRUST_200600_302600_NS6detail15normal_iteratorINS9_10device_ptrIiEEEENSB_INSC_IsEEEESG_sNS9_4plusIvEENS9_8equal_toIvEEsEE10hipError_tPvRmT2_T3_T4_T5_mT6_T7_P12ihipStream_tbENKUlT_T0_E_clISt17integral_constantIbLb0EES10_IbLb1EEEEDaSW_SX_EUlSW_E_NS1_11comp_targetILNS1_3genE4ELNS1_11target_archE910ELNS1_3gpuE8ELNS1_3repE0EEENS1_30default_config_static_selectorELNS0_4arch9wavefront6targetE0EEEvT1_
                                        ; -- End function
	.set _ZN7rocprim17ROCPRIM_400000_NS6detail17trampoline_kernelINS0_14default_configENS1_27scan_by_key_config_selectorIisEEZZNS1_16scan_by_key_implILNS1_25lookback_scan_determinismE0ELb1ES3_N6thrust23THRUST_200600_302600_NS6detail15normal_iteratorINS9_10device_ptrIiEEEENSB_INSC_IsEEEESG_sNS9_4plusIvEENS9_8equal_toIvEEsEE10hipError_tPvRmT2_T3_T4_T5_mT6_T7_P12ihipStream_tbENKUlT_T0_E_clISt17integral_constantIbLb0EES10_IbLb1EEEEDaSW_SX_EUlSW_E_NS1_11comp_targetILNS1_3genE4ELNS1_11target_archE910ELNS1_3gpuE8ELNS1_3repE0EEENS1_30default_config_static_selectorELNS0_4arch9wavefront6targetE0EEEvT1_.num_vgpr, 0
	.set _ZN7rocprim17ROCPRIM_400000_NS6detail17trampoline_kernelINS0_14default_configENS1_27scan_by_key_config_selectorIisEEZZNS1_16scan_by_key_implILNS1_25lookback_scan_determinismE0ELb1ES3_N6thrust23THRUST_200600_302600_NS6detail15normal_iteratorINS9_10device_ptrIiEEEENSB_INSC_IsEEEESG_sNS9_4plusIvEENS9_8equal_toIvEEsEE10hipError_tPvRmT2_T3_T4_T5_mT6_T7_P12ihipStream_tbENKUlT_T0_E_clISt17integral_constantIbLb0EES10_IbLb1EEEEDaSW_SX_EUlSW_E_NS1_11comp_targetILNS1_3genE4ELNS1_11target_archE910ELNS1_3gpuE8ELNS1_3repE0EEENS1_30default_config_static_selectorELNS0_4arch9wavefront6targetE0EEEvT1_.num_agpr, 0
	.set _ZN7rocprim17ROCPRIM_400000_NS6detail17trampoline_kernelINS0_14default_configENS1_27scan_by_key_config_selectorIisEEZZNS1_16scan_by_key_implILNS1_25lookback_scan_determinismE0ELb1ES3_N6thrust23THRUST_200600_302600_NS6detail15normal_iteratorINS9_10device_ptrIiEEEENSB_INSC_IsEEEESG_sNS9_4plusIvEENS9_8equal_toIvEEsEE10hipError_tPvRmT2_T3_T4_T5_mT6_T7_P12ihipStream_tbENKUlT_T0_E_clISt17integral_constantIbLb0EES10_IbLb1EEEEDaSW_SX_EUlSW_E_NS1_11comp_targetILNS1_3genE4ELNS1_11target_archE910ELNS1_3gpuE8ELNS1_3repE0EEENS1_30default_config_static_selectorELNS0_4arch9wavefront6targetE0EEEvT1_.numbered_sgpr, 0
	.set _ZN7rocprim17ROCPRIM_400000_NS6detail17trampoline_kernelINS0_14default_configENS1_27scan_by_key_config_selectorIisEEZZNS1_16scan_by_key_implILNS1_25lookback_scan_determinismE0ELb1ES3_N6thrust23THRUST_200600_302600_NS6detail15normal_iteratorINS9_10device_ptrIiEEEENSB_INSC_IsEEEESG_sNS9_4plusIvEENS9_8equal_toIvEEsEE10hipError_tPvRmT2_T3_T4_T5_mT6_T7_P12ihipStream_tbENKUlT_T0_E_clISt17integral_constantIbLb0EES10_IbLb1EEEEDaSW_SX_EUlSW_E_NS1_11comp_targetILNS1_3genE4ELNS1_11target_archE910ELNS1_3gpuE8ELNS1_3repE0EEENS1_30default_config_static_selectorELNS0_4arch9wavefront6targetE0EEEvT1_.num_named_barrier, 0
	.set _ZN7rocprim17ROCPRIM_400000_NS6detail17trampoline_kernelINS0_14default_configENS1_27scan_by_key_config_selectorIisEEZZNS1_16scan_by_key_implILNS1_25lookback_scan_determinismE0ELb1ES3_N6thrust23THRUST_200600_302600_NS6detail15normal_iteratorINS9_10device_ptrIiEEEENSB_INSC_IsEEEESG_sNS9_4plusIvEENS9_8equal_toIvEEsEE10hipError_tPvRmT2_T3_T4_T5_mT6_T7_P12ihipStream_tbENKUlT_T0_E_clISt17integral_constantIbLb0EES10_IbLb1EEEEDaSW_SX_EUlSW_E_NS1_11comp_targetILNS1_3genE4ELNS1_11target_archE910ELNS1_3gpuE8ELNS1_3repE0EEENS1_30default_config_static_selectorELNS0_4arch9wavefront6targetE0EEEvT1_.private_seg_size, 0
	.set _ZN7rocprim17ROCPRIM_400000_NS6detail17trampoline_kernelINS0_14default_configENS1_27scan_by_key_config_selectorIisEEZZNS1_16scan_by_key_implILNS1_25lookback_scan_determinismE0ELb1ES3_N6thrust23THRUST_200600_302600_NS6detail15normal_iteratorINS9_10device_ptrIiEEEENSB_INSC_IsEEEESG_sNS9_4plusIvEENS9_8equal_toIvEEsEE10hipError_tPvRmT2_T3_T4_T5_mT6_T7_P12ihipStream_tbENKUlT_T0_E_clISt17integral_constantIbLb0EES10_IbLb1EEEEDaSW_SX_EUlSW_E_NS1_11comp_targetILNS1_3genE4ELNS1_11target_archE910ELNS1_3gpuE8ELNS1_3repE0EEENS1_30default_config_static_selectorELNS0_4arch9wavefront6targetE0EEEvT1_.uses_vcc, 0
	.set _ZN7rocprim17ROCPRIM_400000_NS6detail17trampoline_kernelINS0_14default_configENS1_27scan_by_key_config_selectorIisEEZZNS1_16scan_by_key_implILNS1_25lookback_scan_determinismE0ELb1ES3_N6thrust23THRUST_200600_302600_NS6detail15normal_iteratorINS9_10device_ptrIiEEEENSB_INSC_IsEEEESG_sNS9_4plusIvEENS9_8equal_toIvEEsEE10hipError_tPvRmT2_T3_T4_T5_mT6_T7_P12ihipStream_tbENKUlT_T0_E_clISt17integral_constantIbLb0EES10_IbLb1EEEEDaSW_SX_EUlSW_E_NS1_11comp_targetILNS1_3genE4ELNS1_11target_archE910ELNS1_3gpuE8ELNS1_3repE0EEENS1_30default_config_static_selectorELNS0_4arch9wavefront6targetE0EEEvT1_.uses_flat_scratch, 0
	.set _ZN7rocprim17ROCPRIM_400000_NS6detail17trampoline_kernelINS0_14default_configENS1_27scan_by_key_config_selectorIisEEZZNS1_16scan_by_key_implILNS1_25lookback_scan_determinismE0ELb1ES3_N6thrust23THRUST_200600_302600_NS6detail15normal_iteratorINS9_10device_ptrIiEEEENSB_INSC_IsEEEESG_sNS9_4plusIvEENS9_8equal_toIvEEsEE10hipError_tPvRmT2_T3_T4_T5_mT6_T7_P12ihipStream_tbENKUlT_T0_E_clISt17integral_constantIbLb0EES10_IbLb1EEEEDaSW_SX_EUlSW_E_NS1_11comp_targetILNS1_3genE4ELNS1_11target_archE910ELNS1_3gpuE8ELNS1_3repE0EEENS1_30default_config_static_selectorELNS0_4arch9wavefront6targetE0EEEvT1_.has_dyn_sized_stack, 0
	.set _ZN7rocprim17ROCPRIM_400000_NS6detail17trampoline_kernelINS0_14default_configENS1_27scan_by_key_config_selectorIisEEZZNS1_16scan_by_key_implILNS1_25lookback_scan_determinismE0ELb1ES3_N6thrust23THRUST_200600_302600_NS6detail15normal_iteratorINS9_10device_ptrIiEEEENSB_INSC_IsEEEESG_sNS9_4plusIvEENS9_8equal_toIvEEsEE10hipError_tPvRmT2_T3_T4_T5_mT6_T7_P12ihipStream_tbENKUlT_T0_E_clISt17integral_constantIbLb0EES10_IbLb1EEEEDaSW_SX_EUlSW_E_NS1_11comp_targetILNS1_3genE4ELNS1_11target_archE910ELNS1_3gpuE8ELNS1_3repE0EEENS1_30default_config_static_selectorELNS0_4arch9wavefront6targetE0EEEvT1_.has_recursion, 0
	.set _ZN7rocprim17ROCPRIM_400000_NS6detail17trampoline_kernelINS0_14default_configENS1_27scan_by_key_config_selectorIisEEZZNS1_16scan_by_key_implILNS1_25lookback_scan_determinismE0ELb1ES3_N6thrust23THRUST_200600_302600_NS6detail15normal_iteratorINS9_10device_ptrIiEEEENSB_INSC_IsEEEESG_sNS9_4plusIvEENS9_8equal_toIvEEsEE10hipError_tPvRmT2_T3_T4_T5_mT6_T7_P12ihipStream_tbENKUlT_T0_E_clISt17integral_constantIbLb0EES10_IbLb1EEEEDaSW_SX_EUlSW_E_NS1_11comp_targetILNS1_3genE4ELNS1_11target_archE910ELNS1_3gpuE8ELNS1_3repE0EEENS1_30default_config_static_selectorELNS0_4arch9wavefront6targetE0EEEvT1_.has_indirect_call, 0
	.section	.AMDGPU.csdata,"",@progbits
; Kernel info:
; codeLenInByte = 0
; TotalNumSgprs: 0
; NumVgprs: 0
; ScratchSize: 0
; MemoryBound: 0
; FloatMode: 240
; IeeeMode: 1
; LDSByteSize: 0 bytes/workgroup (compile time only)
; SGPRBlocks: 0
; VGPRBlocks: 0
; NumSGPRsForWavesPerEU: 1
; NumVGPRsForWavesPerEU: 1
; NamedBarCnt: 0
; Occupancy: 16
; WaveLimiterHint : 0
; COMPUTE_PGM_RSRC2:SCRATCH_EN: 0
; COMPUTE_PGM_RSRC2:USER_SGPR: 2
; COMPUTE_PGM_RSRC2:TRAP_HANDLER: 0
; COMPUTE_PGM_RSRC2:TGID_X_EN: 1
; COMPUTE_PGM_RSRC2:TGID_Y_EN: 0
; COMPUTE_PGM_RSRC2:TGID_Z_EN: 0
; COMPUTE_PGM_RSRC2:TIDIG_COMP_CNT: 0
	.section	.text._ZN7rocprim17ROCPRIM_400000_NS6detail17trampoline_kernelINS0_14default_configENS1_27scan_by_key_config_selectorIisEEZZNS1_16scan_by_key_implILNS1_25lookback_scan_determinismE0ELb1ES3_N6thrust23THRUST_200600_302600_NS6detail15normal_iteratorINS9_10device_ptrIiEEEENSB_INSC_IsEEEESG_sNS9_4plusIvEENS9_8equal_toIvEEsEE10hipError_tPvRmT2_T3_T4_T5_mT6_T7_P12ihipStream_tbENKUlT_T0_E_clISt17integral_constantIbLb0EES10_IbLb1EEEEDaSW_SX_EUlSW_E_NS1_11comp_targetILNS1_3genE3ELNS1_11target_archE908ELNS1_3gpuE7ELNS1_3repE0EEENS1_30default_config_static_selectorELNS0_4arch9wavefront6targetE0EEEvT1_,"axG",@progbits,_ZN7rocprim17ROCPRIM_400000_NS6detail17trampoline_kernelINS0_14default_configENS1_27scan_by_key_config_selectorIisEEZZNS1_16scan_by_key_implILNS1_25lookback_scan_determinismE0ELb1ES3_N6thrust23THRUST_200600_302600_NS6detail15normal_iteratorINS9_10device_ptrIiEEEENSB_INSC_IsEEEESG_sNS9_4plusIvEENS9_8equal_toIvEEsEE10hipError_tPvRmT2_T3_T4_T5_mT6_T7_P12ihipStream_tbENKUlT_T0_E_clISt17integral_constantIbLb0EES10_IbLb1EEEEDaSW_SX_EUlSW_E_NS1_11comp_targetILNS1_3genE3ELNS1_11target_archE908ELNS1_3gpuE7ELNS1_3repE0EEENS1_30default_config_static_selectorELNS0_4arch9wavefront6targetE0EEEvT1_,comdat
	.protected	_ZN7rocprim17ROCPRIM_400000_NS6detail17trampoline_kernelINS0_14default_configENS1_27scan_by_key_config_selectorIisEEZZNS1_16scan_by_key_implILNS1_25lookback_scan_determinismE0ELb1ES3_N6thrust23THRUST_200600_302600_NS6detail15normal_iteratorINS9_10device_ptrIiEEEENSB_INSC_IsEEEESG_sNS9_4plusIvEENS9_8equal_toIvEEsEE10hipError_tPvRmT2_T3_T4_T5_mT6_T7_P12ihipStream_tbENKUlT_T0_E_clISt17integral_constantIbLb0EES10_IbLb1EEEEDaSW_SX_EUlSW_E_NS1_11comp_targetILNS1_3genE3ELNS1_11target_archE908ELNS1_3gpuE7ELNS1_3repE0EEENS1_30default_config_static_selectorELNS0_4arch9wavefront6targetE0EEEvT1_ ; -- Begin function _ZN7rocprim17ROCPRIM_400000_NS6detail17trampoline_kernelINS0_14default_configENS1_27scan_by_key_config_selectorIisEEZZNS1_16scan_by_key_implILNS1_25lookback_scan_determinismE0ELb1ES3_N6thrust23THRUST_200600_302600_NS6detail15normal_iteratorINS9_10device_ptrIiEEEENSB_INSC_IsEEEESG_sNS9_4plusIvEENS9_8equal_toIvEEsEE10hipError_tPvRmT2_T3_T4_T5_mT6_T7_P12ihipStream_tbENKUlT_T0_E_clISt17integral_constantIbLb0EES10_IbLb1EEEEDaSW_SX_EUlSW_E_NS1_11comp_targetILNS1_3genE3ELNS1_11target_archE908ELNS1_3gpuE7ELNS1_3repE0EEENS1_30default_config_static_selectorELNS0_4arch9wavefront6targetE0EEEvT1_
	.globl	_ZN7rocprim17ROCPRIM_400000_NS6detail17trampoline_kernelINS0_14default_configENS1_27scan_by_key_config_selectorIisEEZZNS1_16scan_by_key_implILNS1_25lookback_scan_determinismE0ELb1ES3_N6thrust23THRUST_200600_302600_NS6detail15normal_iteratorINS9_10device_ptrIiEEEENSB_INSC_IsEEEESG_sNS9_4plusIvEENS9_8equal_toIvEEsEE10hipError_tPvRmT2_T3_T4_T5_mT6_T7_P12ihipStream_tbENKUlT_T0_E_clISt17integral_constantIbLb0EES10_IbLb1EEEEDaSW_SX_EUlSW_E_NS1_11comp_targetILNS1_3genE3ELNS1_11target_archE908ELNS1_3gpuE7ELNS1_3repE0EEENS1_30default_config_static_selectorELNS0_4arch9wavefront6targetE0EEEvT1_
	.p2align	8
	.type	_ZN7rocprim17ROCPRIM_400000_NS6detail17trampoline_kernelINS0_14default_configENS1_27scan_by_key_config_selectorIisEEZZNS1_16scan_by_key_implILNS1_25lookback_scan_determinismE0ELb1ES3_N6thrust23THRUST_200600_302600_NS6detail15normal_iteratorINS9_10device_ptrIiEEEENSB_INSC_IsEEEESG_sNS9_4plusIvEENS9_8equal_toIvEEsEE10hipError_tPvRmT2_T3_T4_T5_mT6_T7_P12ihipStream_tbENKUlT_T0_E_clISt17integral_constantIbLb0EES10_IbLb1EEEEDaSW_SX_EUlSW_E_NS1_11comp_targetILNS1_3genE3ELNS1_11target_archE908ELNS1_3gpuE7ELNS1_3repE0EEENS1_30default_config_static_selectorELNS0_4arch9wavefront6targetE0EEEvT1_,@function
_ZN7rocprim17ROCPRIM_400000_NS6detail17trampoline_kernelINS0_14default_configENS1_27scan_by_key_config_selectorIisEEZZNS1_16scan_by_key_implILNS1_25lookback_scan_determinismE0ELb1ES3_N6thrust23THRUST_200600_302600_NS6detail15normal_iteratorINS9_10device_ptrIiEEEENSB_INSC_IsEEEESG_sNS9_4plusIvEENS9_8equal_toIvEEsEE10hipError_tPvRmT2_T3_T4_T5_mT6_T7_P12ihipStream_tbENKUlT_T0_E_clISt17integral_constantIbLb0EES10_IbLb1EEEEDaSW_SX_EUlSW_E_NS1_11comp_targetILNS1_3genE3ELNS1_11target_archE908ELNS1_3gpuE7ELNS1_3repE0EEENS1_30default_config_static_selectorELNS0_4arch9wavefront6targetE0EEEvT1_: ; @_ZN7rocprim17ROCPRIM_400000_NS6detail17trampoline_kernelINS0_14default_configENS1_27scan_by_key_config_selectorIisEEZZNS1_16scan_by_key_implILNS1_25lookback_scan_determinismE0ELb1ES3_N6thrust23THRUST_200600_302600_NS6detail15normal_iteratorINS9_10device_ptrIiEEEENSB_INSC_IsEEEESG_sNS9_4plusIvEENS9_8equal_toIvEEsEE10hipError_tPvRmT2_T3_T4_T5_mT6_T7_P12ihipStream_tbENKUlT_T0_E_clISt17integral_constantIbLb0EES10_IbLb1EEEEDaSW_SX_EUlSW_E_NS1_11comp_targetILNS1_3genE3ELNS1_11target_archE908ELNS1_3gpuE7ELNS1_3repE0EEENS1_30default_config_static_selectorELNS0_4arch9wavefront6targetE0EEEvT1_
; %bb.0:
	.section	.rodata,"a",@progbits
	.p2align	6, 0x0
	.amdhsa_kernel _ZN7rocprim17ROCPRIM_400000_NS6detail17trampoline_kernelINS0_14default_configENS1_27scan_by_key_config_selectorIisEEZZNS1_16scan_by_key_implILNS1_25lookback_scan_determinismE0ELb1ES3_N6thrust23THRUST_200600_302600_NS6detail15normal_iteratorINS9_10device_ptrIiEEEENSB_INSC_IsEEEESG_sNS9_4plusIvEENS9_8equal_toIvEEsEE10hipError_tPvRmT2_T3_T4_T5_mT6_T7_P12ihipStream_tbENKUlT_T0_E_clISt17integral_constantIbLb0EES10_IbLb1EEEEDaSW_SX_EUlSW_E_NS1_11comp_targetILNS1_3genE3ELNS1_11target_archE908ELNS1_3gpuE7ELNS1_3repE0EEENS1_30default_config_static_selectorELNS0_4arch9wavefront6targetE0EEEvT1_
		.amdhsa_group_segment_fixed_size 0
		.amdhsa_private_segment_fixed_size 0
		.amdhsa_kernarg_size 112
		.amdhsa_user_sgpr_count 2
		.amdhsa_user_sgpr_dispatch_ptr 0
		.amdhsa_user_sgpr_queue_ptr 0
		.amdhsa_user_sgpr_kernarg_segment_ptr 1
		.amdhsa_user_sgpr_dispatch_id 0
		.amdhsa_user_sgpr_kernarg_preload_length 0
		.amdhsa_user_sgpr_kernarg_preload_offset 0
		.amdhsa_user_sgpr_private_segment_size 0
		.amdhsa_wavefront_size32 1
		.amdhsa_uses_dynamic_stack 0
		.amdhsa_enable_private_segment 0
		.amdhsa_system_sgpr_workgroup_id_x 1
		.amdhsa_system_sgpr_workgroup_id_y 0
		.amdhsa_system_sgpr_workgroup_id_z 0
		.amdhsa_system_sgpr_workgroup_info 0
		.amdhsa_system_vgpr_workitem_id 0
		.amdhsa_next_free_vgpr 1
		.amdhsa_next_free_sgpr 1
		.amdhsa_named_barrier_count 0
		.amdhsa_reserve_vcc 0
		.amdhsa_float_round_mode_32 0
		.amdhsa_float_round_mode_16_64 0
		.amdhsa_float_denorm_mode_32 3
		.amdhsa_float_denorm_mode_16_64 3
		.amdhsa_fp16_overflow 0
		.amdhsa_memory_ordered 1
		.amdhsa_forward_progress 1
		.amdhsa_inst_pref_size 0
		.amdhsa_round_robin_scheduling 0
		.amdhsa_exception_fp_ieee_invalid_op 0
		.amdhsa_exception_fp_denorm_src 0
		.amdhsa_exception_fp_ieee_div_zero 0
		.amdhsa_exception_fp_ieee_overflow 0
		.amdhsa_exception_fp_ieee_underflow 0
		.amdhsa_exception_fp_ieee_inexact 0
		.amdhsa_exception_int_div_zero 0
	.end_amdhsa_kernel
	.section	.text._ZN7rocprim17ROCPRIM_400000_NS6detail17trampoline_kernelINS0_14default_configENS1_27scan_by_key_config_selectorIisEEZZNS1_16scan_by_key_implILNS1_25lookback_scan_determinismE0ELb1ES3_N6thrust23THRUST_200600_302600_NS6detail15normal_iteratorINS9_10device_ptrIiEEEENSB_INSC_IsEEEESG_sNS9_4plusIvEENS9_8equal_toIvEEsEE10hipError_tPvRmT2_T3_T4_T5_mT6_T7_P12ihipStream_tbENKUlT_T0_E_clISt17integral_constantIbLb0EES10_IbLb1EEEEDaSW_SX_EUlSW_E_NS1_11comp_targetILNS1_3genE3ELNS1_11target_archE908ELNS1_3gpuE7ELNS1_3repE0EEENS1_30default_config_static_selectorELNS0_4arch9wavefront6targetE0EEEvT1_,"axG",@progbits,_ZN7rocprim17ROCPRIM_400000_NS6detail17trampoline_kernelINS0_14default_configENS1_27scan_by_key_config_selectorIisEEZZNS1_16scan_by_key_implILNS1_25lookback_scan_determinismE0ELb1ES3_N6thrust23THRUST_200600_302600_NS6detail15normal_iteratorINS9_10device_ptrIiEEEENSB_INSC_IsEEEESG_sNS9_4plusIvEENS9_8equal_toIvEEsEE10hipError_tPvRmT2_T3_T4_T5_mT6_T7_P12ihipStream_tbENKUlT_T0_E_clISt17integral_constantIbLb0EES10_IbLb1EEEEDaSW_SX_EUlSW_E_NS1_11comp_targetILNS1_3genE3ELNS1_11target_archE908ELNS1_3gpuE7ELNS1_3repE0EEENS1_30default_config_static_selectorELNS0_4arch9wavefront6targetE0EEEvT1_,comdat
.Lfunc_end1638:
	.size	_ZN7rocprim17ROCPRIM_400000_NS6detail17trampoline_kernelINS0_14default_configENS1_27scan_by_key_config_selectorIisEEZZNS1_16scan_by_key_implILNS1_25lookback_scan_determinismE0ELb1ES3_N6thrust23THRUST_200600_302600_NS6detail15normal_iteratorINS9_10device_ptrIiEEEENSB_INSC_IsEEEESG_sNS9_4plusIvEENS9_8equal_toIvEEsEE10hipError_tPvRmT2_T3_T4_T5_mT6_T7_P12ihipStream_tbENKUlT_T0_E_clISt17integral_constantIbLb0EES10_IbLb1EEEEDaSW_SX_EUlSW_E_NS1_11comp_targetILNS1_3genE3ELNS1_11target_archE908ELNS1_3gpuE7ELNS1_3repE0EEENS1_30default_config_static_selectorELNS0_4arch9wavefront6targetE0EEEvT1_, .Lfunc_end1638-_ZN7rocprim17ROCPRIM_400000_NS6detail17trampoline_kernelINS0_14default_configENS1_27scan_by_key_config_selectorIisEEZZNS1_16scan_by_key_implILNS1_25lookback_scan_determinismE0ELb1ES3_N6thrust23THRUST_200600_302600_NS6detail15normal_iteratorINS9_10device_ptrIiEEEENSB_INSC_IsEEEESG_sNS9_4plusIvEENS9_8equal_toIvEEsEE10hipError_tPvRmT2_T3_T4_T5_mT6_T7_P12ihipStream_tbENKUlT_T0_E_clISt17integral_constantIbLb0EES10_IbLb1EEEEDaSW_SX_EUlSW_E_NS1_11comp_targetILNS1_3genE3ELNS1_11target_archE908ELNS1_3gpuE7ELNS1_3repE0EEENS1_30default_config_static_selectorELNS0_4arch9wavefront6targetE0EEEvT1_
                                        ; -- End function
	.set _ZN7rocprim17ROCPRIM_400000_NS6detail17trampoline_kernelINS0_14default_configENS1_27scan_by_key_config_selectorIisEEZZNS1_16scan_by_key_implILNS1_25lookback_scan_determinismE0ELb1ES3_N6thrust23THRUST_200600_302600_NS6detail15normal_iteratorINS9_10device_ptrIiEEEENSB_INSC_IsEEEESG_sNS9_4plusIvEENS9_8equal_toIvEEsEE10hipError_tPvRmT2_T3_T4_T5_mT6_T7_P12ihipStream_tbENKUlT_T0_E_clISt17integral_constantIbLb0EES10_IbLb1EEEEDaSW_SX_EUlSW_E_NS1_11comp_targetILNS1_3genE3ELNS1_11target_archE908ELNS1_3gpuE7ELNS1_3repE0EEENS1_30default_config_static_selectorELNS0_4arch9wavefront6targetE0EEEvT1_.num_vgpr, 0
	.set _ZN7rocprim17ROCPRIM_400000_NS6detail17trampoline_kernelINS0_14default_configENS1_27scan_by_key_config_selectorIisEEZZNS1_16scan_by_key_implILNS1_25lookback_scan_determinismE0ELb1ES3_N6thrust23THRUST_200600_302600_NS6detail15normal_iteratorINS9_10device_ptrIiEEEENSB_INSC_IsEEEESG_sNS9_4plusIvEENS9_8equal_toIvEEsEE10hipError_tPvRmT2_T3_T4_T5_mT6_T7_P12ihipStream_tbENKUlT_T0_E_clISt17integral_constantIbLb0EES10_IbLb1EEEEDaSW_SX_EUlSW_E_NS1_11comp_targetILNS1_3genE3ELNS1_11target_archE908ELNS1_3gpuE7ELNS1_3repE0EEENS1_30default_config_static_selectorELNS0_4arch9wavefront6targetE0EEEvT1_.num_agpr, 0
	.set _ZN7rocprim17ROCPRIM_400000_NS6detail17trampoline_kernelINS0_14default_configENS1_27scan_by_key_config_selectorIisEEZZNS1_16scan_by_key_implILNS1_25lookback_scan_determinismE0ELb1ES3_N6thrust23THRUST_200600_302600_NS6detail15normal_iteratorINS9_10device_ptrIiEEEENSB_INSC_IsEEEESG_sNS9_4plusIvEENS9_8equal_toIvEEsEE10hipError_tPvRmT2_T3_T4_T5_mT6_T7_P12ihipStream_tbENKUlT_T0_E_clISt17integral_constantIbLb0EES10_IbLb1EEEEDaSW_SX_EUlSW_E_NS1_11comp_targetILNS1_3genE3ELNS1_11target_archE908ELNS1_3gpuE7ELNS1_3repE0EEENS1_30default_config_static_selectorELNS0_4arch9wavefront6targetE0EEEvT1_.numbered_sgpr, 0
	.set _ZN7rocprim17ROCPRIM_400000_NS6detail17trampoline_kernelINS0_14default_configENS1_27scan_by_key_config_selectorIisEEZZNS1_16scan_by_key_implILNS1_25lookback_scan_determinismE0ELb1ES3_N6thrust23THRUST_200600_302600_NS6detail15normal_iteratorINS9_10device_ptrIiEEEENSB_INSC_IsEEEESG_sNS9_4plusIvEENS9_8equal_toIvEEsEE10hipError_tPvRmT2_T3_T4_T5_mT6_T7_P12ihipStream_tbENKUlT_T0_E_clISt17integral_constantIbLb0EES10_IbLb1EEEEDaSW_SX_EUlSW_E_NS1_11comp_targetILNS1_3genE3ELNS1_11target_archE908ELNS1_3gpuE7ELNS1_3repE0EEENS1_30default_config_static_selectorELNS0_4arch9wavefront6targetE0EEEvT1_.num_named_barrier, 0
	.set _ZN7rocprim17ROCPRIM_400000_NS6detail17trampoline_kernelINS0_14default_configENS1_27scan_by_key_config_selectorIisEEZZNS1_16scan_by_key_implILNS1_25lookback_scan_determinismE0ELb1ES3_N6thrust23THRUST_200600_302600_NS6detail15normal_iteratorINS9_10device_ptrIiEEEENSB_INSC_IsEEEESG_sNS9_4plusIvEENS9_8equal_toIvEEsEE10hipError_tPvRmT2_T3_T4_T5_mT6_T7_P12ihipStream_tbENKUlT_T0_E_clISt17integral_constantIbLb0EES10_IbLb1EEEEDaSW_SX_EUlSW_E_NS1_11comp_targetILNS1_3genE3ELNS1_11target_archE908ELNS1_3gpuE7ELNS1_3repE0EEENS1_30default_config_static_selectorELNS0_4arch9wavefront6targetE0EEEvT1_.private_seg_size, 0
	.set _ZN7rocprim17ROCPRIM_400000_NS6detail17trampoline_kernelINS0_14default_configENS1_27scan_by_key_config_selectorIisEEZZNS1_16scan_by_key_implILNS1_25lookback_scan_determinismE0ELb1ES3_N6thrust23THRUST_200600_302600_NS6detail15normal_iteratorINS9_10device_ptrIiEEEENSB_INSC_IsEEEESG_sNS9_4plusIvEENS9_8equal_toIvEEsEE10hipError_tPvRmT2_T3_T4_T5_mT6_T7_P12ihipStream_tbENKUlT_T0_E_clISt17integral_constantIbLb0EES10_IbLb1EEEEDaSW_SX_EUlSW_E_NS1_11comp_targetILNS1_3genE3ELNS1_11target_archE908ELNS1_3gpuE7ELNS1_3repE0EEENS1_30default_config_static_selectorELNS0_4arch9wavefront6targetE0EEEvT1_.uses_vcc, 0
	.set _ZN7rocprim17ROCPRIM_400000_NS6detail17trampoline_kernelINS0_14default_configENS1_27scan_by_key_config_selectorIisEEZZNS1_16scan_by_key_implILNS1_25lookback_scan_determinismE0ELb1ES3_N6thrust23THRUST_200600_302600_NS6detail15normal_iteratorINS9_10device_ptrIiEEEENSB_INSC_IsEEEESG_sNS9_4plusIvEENS9_8equal_toIvEEsEE10hipError_tPvRmT2_T3_T4_T5_mT6_T7_P12ihipStream_tbENKUlT_T0_E_clISt17integral_constantIbLb0EES10_IbLb1EEEEDaSW_SX_EUlSW_E_NS1_11comp_targetILNS1_3genE3ELNS1_11target_archE908ELNS1_3gpuE7ELNS1_3repE0EEENS1_30default_config_static_selectorELNS0_4arch9wavefront6targetE0EEEvT1_.uses_flat_scratch, 0
	.set _ZN7rocprim17ROCPRIM_400000_NS6detail17trampoline_kernelINS0_14default_configENS1_27scan_by_key_config_selectorIisEEZZNS1_16scan_by_key_implILNS1_25lookback_scan_determinismE0ELb1ES3_N6thrust23THRUST_200600_302600_NS6detail15normal_iteratorINS9_10device_ptrIiEEEENSB_INSC_IsEEEESG_sNS9_4plusIvEENS9_8equal_toIvEEsEE10hipError_tPvRmT2_T3_T4_T5_mT6_T7_P12ihipStream_tbENKUlT_T0_E_clISt17integral_constantIbLb0EES10_IbLb1EEEEDaSW_SX_EUlSW_E_NS1_11comp_targetILNS1_3genE3ELNS1_11target_archE908ELNS1_3gpuE7ELNS1_3repE0EEENS1_30default_config_static_selectorELNS0_4arch9wavefront6targetE0EEEvT1_.has_dyn_sized_stack, 0
	.set _ZN7rocprim17ROCPRIM_400000_NS6detail17trampoline_kernelINS0_14default_configENS1_27scan_by_key_config_selectorIisEEZZNS1_16scan_by_key_implILNS1_25lookback_scan_determinismE0ELb1ES3_N6thrust23THRUST_200600_302600_NS6detail15normal_iteratorINS9_10device_ptrIiEEEENSB_INSC_IsEEEESG_sNS9_4plusIvEENS9_8equal_toIvEEsEE10hipError_tPvRmT2_T3_T4_T5_mT6_T7_P12ihipStream_tbENKUlT_T0_E_clISt17integral_constantIbLb0EES10_IbLb1EEEEDaSW_SX_EUlSW_E_NS1_11comp_targetILNS1_3genE3ELNS1_11target_archE908ELNS1_3gpuE7ELNS1_3repE0EEENS1_30default_config_static_selectorELNS0_4arch9wavefront6targetE0EEEvT1_.has_recursion, 0
	.set _ZN7rocprim17ROCPRIM_400000_NS6detail17trampoline_kernelINS0_14default_configENS1_27scan_by_key_config_selectorIisEEZZNS1_16scan_by_key_implILNS1_25lookback_scan_determinismE0ELb1ES3_N6thrust23THRUST_200600_302600_NS6detail15normal_iteratorINS9_10device_ptrIiEEEENSB_INSC_IsEEEESG_sNS9_4plusIvEENS9_8equal_toIvEEsEE10hipError_tPvRmT2_T3_T4_T5_mT6_T7_P12ihipStream_tbENKUlT_T0_E_clISt17integral_constantIbLb0EES10_IbLb1EEEEDaSW_SX_EUlSW_E_NS1_11comp_targetILNS1_3genE3ELNS1_11target_archE908ELNS1_3gpuE7ELNS1_3repE0EEENS1_30default_config_static_selectorELNS0_4arch9wavefront6targetE0EEEvT1_.has_indirect_call, 0
	.section	.AMDGPU.csdata,"",@progbits
; Kernel info:
; codeLenInByte = 0
; TotalNumSgprs: 0
; NumVgprs: 0
; ScratchSize: 0
; MemoryBound: 0
; FloatMode: 240
; IeeeMode: 1
; LDSByteSize: 0 bytes/workgroup (compile time only)
; SGPRBlocks: 0
; VGPRBlocks: 0
; NumSGPRsForWavesPerEU: 1
; NumVGPRsForWavesPerEU: 1
; NamedBarCnt: 0
; Occupancy: 16
; WaveLimiterHint : 0
; COMPUTE_PGM_RSRC2:SCRATCH_EN: 0
; COMPUTE_PGM_RSRC2:USER_SGPR: 2
; COMPUTE_PGM_RSRC2:TRAP_HANDLER: 0
; COMPUTE_PGM_RSRC2:TGID_X_EN: 1
; COMPUTE_PGM_RSRC2:TGID_Y_EN: 0
; COMPUTE_PGM_RSRC2:TGID_Z_EN: 0
; COMPUTE_PGM_RSRC2:TIDIG_COMP_CNT: 0
	.section	.text._ZN7rocprim17ROCPRIM_400000_NS6detail17trampoline_kernelINS0_14default_configENS1_27scan_by_key_config_selectorIisEEZZNS1_16scan_by_key_implILNS1_25lookback_scan_determinismE0ELb1ES3_N6thrust23THRUST_200600_302600_NS6detail15normal_iteratorINS9_10device_ptrIiEEEENSB_INSC_IsEEEESG_sNS9_4plusIvEENS9_8equal_toIvEEsEE10hipError_tPvRmT2_T3_T4_T5_mT6_T7_P12ihipStream_tbENKUlT_T0_E_clISt17integral_constantIbLb0EES10_IbLb1EEEEDaSW_SX_EUlSW_E_NS1_11comp_targetILNS1_3genE2ELNS1_11target_archE906ELNS1_3gpuE6ELNS1_3repE0EEENS1_30default_config_static_selectorELNS0_4arch9wavefront6targetE0EEEvT1_,"axG",@progbits,_ZN7rocprim17ROCPRIM_400000_NS6detail17trampoline_kernelINS0_14default_configENS1_27scan_by_key_config_selectorIisEEZZNS1_16scan_by_key_implILNS1_25lookback_scan_determinismE0ELb1ES3_N6thrust23THRUST_200600_302600_NS6detail15normal_iteratorINS9_10device_ptrIiEEEENSB_INSC_IsEEEESG_sNS9_4plusIvEENS9_8equal_toIvEEsEE10hipError_tPvRmT2_T3_T4_T5_mT6_T7_P12ihipStream_tbENKUlT_T0_E_clISt17integral_constantIbLb0EES10_IbLb1EEEEDaSW_SX_EUlSW_E_NS1_11comp_targetILNS1_3genE2ELNS1_11target_archE906ELNS1_3gpuE6ELNS1_3repE0EEENS1_30default_config_static_selectorELNS0_4arch9wavefront6targetE0EEEvT1_,comdat
	.protected	_ZN7rocprim17ROCPRIM_400000_NS6detail17trampoline_kernelINS0_14default_configENS1_27scan_by_key_config_selectorIisEEZZNS1_16scan_by_key_implILNS1_25lookback_scan_determinismE0ELb1ES3_N6thrust23THRUST_200600_302600_NS6detail15normal_iteratorINS9_10device_ptrIiEEEENSB_INSC_IsEEEESG_sNS9_4plusIvEENS9_8equal_toIvEEsEE10hipError_tPvRmT2_T3_T4_T5_mT6_T7_P12ihipStream_tbENKUlT_T0_E_clISt17integral_constantIbLb0EES10_IbLb1EEEEDaSW_SX_EUlSW_E_NS1_11comp_targetILNS1_3genE2ELNS1_11target_archE906ELNS1_3gpuE6ELNS1_3repE0EEENS1_30default_config_static_selectorELNS0_4arch9wavefront6targetE0EEEvT1_ ; -- Begin function _ZN7rocprim17ROCPRIM_400000_NS6detail17trampoline_kernelINS0_14default_configENS1_27scan_by_key_config_selectorIisEEZZNS1_16scan_by_key_implILNS1_25lookback_scan_determinismE0ELb1ES3_N6thrust23THRUST_200600_302600_NS6detail15normal_iteratorINS9_10device_ptrIiEEEENSB_INSC_IsEEEESG_sNS9_4plusIvEENS9_8equal_toIvEEsEE10hipError_tPvRmT2_T3_T4_T5_mT6_T7_P12ihipStream_tbENKUlT_T0_E_clISt17integral_constantIbLb0EES10_IbLb1EEEEDaSW_SX_EUlSW_E_NS1_11comp_targetILNS1_3genE2ELNS1_11target_archE906ELNS1_3gpuE6ELNS1_3repE0EEENS1_30default_config_static_selectorELNS0_4arch9wavefront6targetE0EEEvT1_
	.globl	_ZN7rocprim17ROCPRIM_400000_NS6detail17trampoline_kernelINS0_14default_configENS1_27scan_by_key_config_selectorIisEEZZNS1_16scan_by_key_implILNS1_25lookback_scan_determinismE0ELb1ES3_N6thrust23THRUST_200600_302600_NS6detail15normal_iteratorINS9_10device_ptrIiEEEENSB_INSC_IsEEEESG_sNS9_4plusIvEENS9_8equal_toIvEEsEE10hipError_tPvRmT2_T3_T4_T5_mT6_T7_P12ihipStream_tbENKUlT_T0_E_clISt17integral_constantIbLb0EES10_IbLb1EEEEDaSW_SX_EUlSW_E_NS1_11comp_targetILNS1_3genE2ELNS1_11target_archE906ELNS1_3gpuE6ELNS1_3repE0EEENS1_30default_config_static_selectorELNS0_4arch9wavefront6targetE0EEEvT1_
	.p2align	8
	.type	_ZN7rocprim17ROCPRIM_400000_NS6detail17trampoline_kernelINS0_14default_configENS1_27scan_by_key_config_selectorIisEEZZNS1_16scan_by_key_implILNS1_25lookback_scan_determinismE0ELb1ES3_N6thrust23THRUST_200600_302600_NS6detail15normal_iteratorINS9_10device_ptrIiEEEENSB_INSC_IsEEEESG_sNS9_4plusIvEENS9_8equal_toIvEEsEE10hipError_tPvRmT2_T3_T4_T5_mT6_T7_P12ihipStream_tbENKUlT_T0_E_clISt17integral_constantIbLb0EES10_IbLb1EEEEDaSW_SX_EUlSW_E_NS1_11comp_targetILNS1_3genE2ELNS1_11target_archE906ELNS1_3gpuE6ELNS1_3repE0EEENS1_30default_config_static_selectorELNS0_4arch9wavefront6targetE0EEEvT1_,@function
_ZN7rocprim17ROCPRIM_400000_NS6detail17trampoline_kernelINS0_14default_configENS1_27scan_by_key_config_selectorIisEEZZNS1_16scan_by_key_implILNS1_25lookback_scan_determinismE0ELb1ES3_N6thrust23THRUST_200600_302600_NS6detail15normal_iteratorINS9_10device_ptrIiEEEENSB_INSC_IsEEEESG_sNS9_4plusIvEENS9_8equal_toIvEEsEE10hipError_tPvRmT2_T3_T4_T5_mT6_T7_P12ihipStream_tbENKUlT_T0_E_clISt17integral_constantIbLb0EES10_IbLb1EEEEDaSW_SX_EUlSW_E_NS1_11comp_targetILNS1_3genE2ELNS1_11target_archE906ELNS1_3gpuE6ELNS1_3repE0EEENS1_30default_config_static_selectorELNS0_4arch9wavefront6targetE0EEEvT1_: ; @_ZN7rocprim17ROCPRIM_400000_NS6detail17trampoline_kernelINS0_14default_configENS1_27scan_by_key_config_selectorIisEEZZNS1_16scan_by_key_implILNS1_25lookback_scan_determinismE0ELb1ES3_N6thrust23THRUST_200600_302600_NS6detail15normal_iteratorINS9_10device_ptrIiEEEENSB_INSC_IsEEEESG_sNS9_4plusIvEENS9_8equal_toIvEEsEE10hipError_tPvRmT2_T3_T4_T5_mT6_T7_P12ihipStream_tbENKUlT_T0_E_clISt17integral_constantIbLb0EES10_IbLb1EEEEDaSW_SX_EUlSW_E_NS1_11comp_targetILNS1_3genE2ELNS1_11target_archE906ELNS1_3gpuE6ELNS1_3repE0EEENS1_30default_config_static_selectorELNS0_4arch9wavefront6targetE0EEEvT1_
; %bb.0:
	.section	.rodata,"a",@progbits
	.p2align	6, 0x0
	.amdhsa_kernel _ZN7rocprim17ROCPRIM_400000_NS6detail17trampoline_kernelINS0_14default_configENS1_27scan_by_key_config_selectorIisEEZZNS1_16scan_by_key_implILNS1_25lookback_scan_determinismE0ELb1ES3_N6thrust23THRUST_200600_302600_NS6detail15normal_iteratorINS9_10device_ptrIiEEEENSB_INSC_IsEEEESG_sNS9_4plusIvEENS9_8equal_toIvEEsEE10hipError_tPvRmT2_T3_T4_T5_mT6_T7_P12ihipStream_tbENKUlT_T0_E_clISt17integral_constantIbLb0EES10_IbLb1EEEEDaSW_SX_EUlSW_E_NS1_11comp_targetILNS1_3genE2ELNS1_11target_archE906ELNS1_3gpuE6ELNS1_3repE0EEENS1_30default_config_static_selectorELNS0_4arch9wavefront6targetE0EEEvT1_
		.amdhsa_group_segment_fixed_size 0
		.amdhsa_private_segment_fixed_size 0
		.amdhsa_kernarg_size 112
		.amdhsa_user_sgpr_count 2
		.amdhsa_user_sgpr_dispatch_ptr 0
		.amdhsa_user_sgpr_queue_ptr 0
		.amdhsa_user_sgpr_kernarg_segment_ptr 1
		.amdhsa_user_sgpr_dispatch_id 0
		.amdhsa_user_sgpr_kernarg_preload_length 0
		.amdhsa_user_sgpr_kernarg_preload_offset 0
		.amdhsa_user_sgpr_private_segment_size 0
		.amdhsa_wavefront_size32 1
		.amdhsa_uses_dynamic_stack 0
		.amdhsa_enable_private_segment 0
		.amdhsa_system_sgpr_workgroup_id_x 1
		.amdhsa_system_sgpr_workgroup_id_y 0
		.amdhsa_system_sgpr_workgroup_id_z 0
		.amdhsa_system_sgpr_workgroup_info 0
		.amdhsa_system_vgpr_workitem_id 0
		.amdhsa_next_free_vgpr 1
		.amdhsa_next_free_sgpr 1
		.amdhsa_named_barrier_count 0
		.amdhsa_reserve_vcc 0
		.amdhsa_float_round_mode_32 0
		.amdhsa_float_round_mode_16_64 0
		.amdhsa_float_denorm_mode_32 3
		.amdhsa_float_denorm_mode_16_64 3
		.amdhsa_fp16_overflow 0
		.amdhsa_memory_ordered 1
		.amdhsa_forward_progress 1
		.amdhsa_inst_pref_size 0
		.amdhsa_round_robin_scheduling 0
		.amdhsa_exception_fp_ieee_invalid_op 0
		.amdhsa_exception_fp_denorm_src 0
		.amdhsa_exception_fp_ieee_div_zero 0
		.amdhsa_exception_fp_ieee_overflow 0
		.amdhsa_exception_fp_ieee_underflow 0
		.amdhsa_exception_fp_ieee_inexact 0
		.amdhsa_exception_int_div_zero 0
	.end_amdhsa_kernel
	.section	.text._ZN7rocprim17ROCPRIM_400000_NS6detail17trampoline_kernelINS0_14default_configENS1_27scan_by_key_config_selectorIisEEZZNS1_16scan_by_key_implILNS1_25lookback_scan_determinismE0ELb1ES3_N6thrust23THRUST_200600_302600_NS6detail15normal_iteratorINS9_10device_ptrIiEEEENSB_INSC_IsEEEESG_sNS9_4plusIvEENS9_8equal_toIvEEsEE10hipError_tPvRmT2_T3_T4_T5_mT6_T7_P12ihipStream_tbENKUlT_T0_E_clISt17integral_constantIbLb0EES10_IbLb1EEEEDaSW_SX_EUlSW_E_NS1_11comp_targetILNS1_3genE2ELNS1_11target_archE906ELNS1_3gpuE6ELNS1_3repE0EEENS1_30default_config_static_selectorELNS0_4arch9wavefront6targetE0EEEvT1_,"axG",@progbits,_ZN7rocprim17ROCPRIM_400000_NS6detail17trampoline_kernelINS0_14default_configENS1_27scan_by_key_config_selectorIisEEZZNS1_16scan_by_key_implILNS1_25lookback_scan_determinismE0ELb1ES3_N6thrust23THRUST_200600_302600_NS6detail15normal_iteratorINS9_10device_ptrIiEEEENSB_INSC_IsEEEESG_sNS9_4plusIvEENS9_8equal_toIvEEsEE10hipError_tPvRmT2_T3_T4_T5_mT6_T7_P12ihipStream_tbENKUlT_T0_E_clISt17integral_constantIbLb0EES10_IbLb1EEEEDaSW_SX_EUlSW_E_NS1_11comp_targetILNS1_3genE2ELNS1_11target_archE906ELNS1_3gpuE6ELNS1_3repE0EEENS1_30default_config_static_selectorELNS0_4arch9wavefront6targetE0EEEvT1_,comdat
.Lfunc_end1639:
	.size	_ZN7rocprim17ROCPRIM_400000_NS6detail17trampoline_kernelINS0_14default_configENS1_27scan_by_key_config_selectorIisEEZZNS1_16scan_by_key_implILNS1_25lookback_scan_determinismE0ELb1ES3_N6thrust23THRUST_200600_302600_NS6detail15normal_iteratorINS9_10device_ptrIiEEEENSB_INSC_IsEEEESG_sNS9_4plusIvEENS9_8equal_toIvEEsEE10hipError_tPvRmT2_T3_T4_T5_mT6_T7_P12ihipStream_tbENKUlT_T0_E_clISt17integral_constantIbLb0EES10_IbLb1EEEEDaSW_SX_EUlSW_E_NS1_11comp_targetILNS1_3genE2ELNS1_11target_archE906ELNS1_3gpuE6ELNS1_3repE0EEENS1_30default_config_static_selectorELNS0_4arch9wavefront6targetE0EEEvT1_, .Lfunc_end1639-_ZN7rocprim17ROCPRIM_400000_NS6detail17trampoline_kernelINS0_14default_configENS1_27scan_by_key_config_selectorIisEEZZNS1_16scan_by_key_implILNS1_25lookback_scan_determinismE0ELb1ES3_N6thrust23THRUST_200600_302600_NS6detail15normal_iteratorINS9_10device_ptrIiEEEENSB_INSC_IsEEEESG_sNS9_4plusIvEENS9_8equal_toIvEEsEE10hipError_tPvRmT2_T3_T4_T5_mT6_T7_P12ihipStream_tbENKUlT_T0_E_clISt17integral_constantIbLb0EES10_IbLb1EEEEDaSW_SX_EUlSW_E_NS1_11comp_targetILNS1_3genE2ELNS1_11target_archE906ELNS1_3gpuE6ELNS1_3repE0EEENS1_30default_config_static_selectorELNS0_4arch9wavefront6targetE0EEEvT1_
                                        ; -- End function
	.set _ZN7rocprim17ROCPRIM_400000_NS6detail17trampoline_kernelINS0_14default_configENS1_27scan_by_key_config_selectorIisEEZZNS1_16scan_by_key_implILNS1_25lookback_scan_determinismE0ELb1ES3_N6thrust23THRUST_200600_302600_NS6detail15normal_iteratorINS9_10device_ptrIiEEEENSB_INSC_IsEEEESG_sNS9_4plusIvEENS9_8equal_toIvEEsEE10hipError_tPvRmT2_T3_T4_T5_mT6_T7_P12ihipStream_tbENKUlT_T0_E_clISt17integral_constantIbLb0EES10_IbLb1EEEEDaSW_SX_EUlSW_E_NS1_11comp_targetILNS1_3genE2ELNS1_11target_archE906ELNS1_3gpuE6ELNS1_3repE0EEENS1_30default_config_static_selectorELNS0_4arch9wavefront6targetE0EEEvT1_.num_vgpr, 0
	.set _ZN7rocprim17ROCPRIM_400000_NS6detail17trampoline_kernelINS0_14default_configENS1_27scan_by_key_config_selectorIisEEZZNS1_16scan_by_key_implILNS1_25lookback_scan_determinismE0ELb1ES3_N6thrust23THRUST_200600_302600_NS6detail15normal_iteratorINS9_10device_ptrIiEEEENSB_INSC_IsEEEESG_sNS9_4plusIvEENS9_8equal_toIvEEsEE10hipError_tPvRmT2_T3_T4_T5_mT6_T7_P12ihipStream_tbENKUlT_T0_E_clISt17integral_constantIbLb0EES10_IbLb1EEEEDaSW_SX_EUlSW_E_NS1_11comp_targetILNS1_3genE2ELNS1_11target_archE906ELNS1_3gpuE6ELNS1_3repE0EEENS1_30default_config_static_selectorELNS0_4arch9wavefront6targetE0EEEvT1_.num_agpr, 0
	.set _ZN7rocprim17ROCPRIM_400000_NS6detail17trampoline_kernelINS0_14default_configENS1_27scan_by_key_config_selectorIisEEZZNS1_16scan_by_key_implILNS1_25lookback_scan_determinismE0ELb1ES3_N6thrust23THRUST_200600_302600_NS6detail15normal_iteratorINS9_10device_ptrIiEEEENSB_INSC_IsEEEESG_sNS9_4plusIvEENS9_8equal_toIvEEsEE10hipError_tPvRmT2_T3_T4_T5_mT6_T7_P12ihipStream_tbENKUlT_T0_E_clISt17integral_constantIbLb0EES10_IbLb1EEEEDaSW_SX_EUlSW_E_NS1_11comp_targetILNS1_3genE2ELNS1_11target_archE906ELNS1_3gpuE6ELNS1_3repE0EEENS1_30default_config_static_selectorELNS0_4arch9wavefront6targetE0EEEvT1_.numbered_sgpr, 0
	.set _ZN7rocprim17ROCPRIM_400000_NS6detail17trampoline_kernelINS0_14default_configENS1_27scan_by_key_config_selectorIisEEZZNS1_16scan_by_key_implILNS1_25lookback_scan_determinismE0ELb1ES3_N6thrust23THRUST_200600_302600_NS6detail15normal_iteratorINS9_10device_ptrIiEEEENSB_INSC_IsEEEESG_sNS9_4plusIvEENS9_8equal_toIvEEsEE10hipError_tPvRmT2_T3_T4_T5_mT6_T7_P12ihipStream_tbENKUlT_T0_E_clISt17integral_constantIbLb0EES10_IbLb1EEEEDaSW_SX_EUlSW_E_NS1_11comp_targetILNS1_3genE2ELNS1_11target_archE906ELNS1_3gpuE6ELNS1_3repE0EEENS1_30default_config_static_selectorELNS0_4arch9wavefront6targetE0EEEvT1_.num_named_barrier, 0
	.set _ZN7rocprim17ROCPRIM_400000_NS6detail17trampoline_kernelINS0_14default_configENS1_27scan_by_key_config_selectorIisEEZZNS1_16scan_by_key_implILNS1_25lookback_scan_determinismE0ELb1ES3_N6thrust23THRUST_200600_302600_NS6detail15normal_iteratorINS9_10device_ptrIiEEEENSB_INSC_IsEEEESG_sNS9_4plusIvEENS9_8equal_toIvEEsEE10hipError_tPvRmT2_T3_T4_T5_mT6_T7_P12ihipStream_tbENKUlT_T0_E_clISt17integral_constantIbLb0EES10_IbLb1EEEEDaSW_SX_EUlSW_E_NS1_11comp_targetILNS1_3genE2ELNS1_11target_archE906ELNS1_3gpuE6ELNS1_3repE0EEENS1_30default_config_static_selectorELNS0_4arch9wavefront6targetE0EEEvT1_.private_seg_size, 0
	.set _ZN7rocprim17ROCPRIM_400000_NS6detail17trampoline_kernelINS0_14default_configENS1_27scan_by_key_config_selectorIisEEZZNS1_16scan_by_key_implILNS1_25lookback_scan_determinismE0ELb1ES3_N6thrust23THRUST_200600_302600_NS6detail15normal_iteratorINS9_10device_ptrIiEEEENSB_INSC_IsEEEESG_sNS9_4plusIvEENS9_8equal_toIvEEsEE10hipError_tPvRmT2_T3_T4_T5_mT6_T7_P12ihipStream_tbENKUlT_T0_E_clISt17integral_constantIbLb0EES10_IbLb1EEEEDaSW_SX_EUlSW_E_NS1_11comp_targetILNS1_3genE2ELNS1_11target_archE906ELNS1_3gpuE6ELNS1_3repE0EEENS1_30default_config_static_selectorELNS0_4arch9wavefront6targetE0EEEvT1_.uses_vcc, 0
	.set _ZN7rocprim17ROCPRIM_400000_NS6detail17trampoline_kernelINS0_14default_configENS1_27scan_by_key_config_selectorIisEEZZNS1_16scan_by_key_implILNS1_25lookback_scan_determinismE0ELb1ES3_N6thrust23THRUST_200600_302600_NS6detail15normal_iteratorINS9_10device_ptrIiEEEENSB_INSC_IsEEEESG_sNS9_4plusIvEENS9_8equal_toIvEEsEE10hipError_tPvRmT2_T3_T4_T5_mT6_T7_P12ihipStream_tbENKUlT_T0_E_clISt17integral_constantIbLb0EES10_IbLb1EEEEDaSW_SX_EUlSW_E_NS1_11comp_targetILNS1_3genE2ELNS1_11target_archE906ELNS1_3gpuE6ELNS1_3repE0EEENS1_30default_config_static_selectorELNS0_4arch9wavefront6targetE0EEEvT1_.uses_flat_scratch, 0
	.set _ZN7rocprim17ROCPRIM_400000_NS6detail17trampoline_kernelINS0_14default_configENS1_27scan_by_key_config_selectorIisEEZZNS1_16scan_by_key_implILNS1_25lookback_scan_determinismE0ELb1ES3_N6thrust23THRUST_200600_302600_NS6detail15normal_iteratorINS9_10device_ptrIiEEEENSB_INSC_IsEEEESG_sNS9_4plusIvEENS9_8equal_toIvEEsEE10hipError_tPvRmT2_T3_T4_T5_mT6_T7_P12ihipStream_tbENKUlT_T0_E_clISt17integral_constantIbLb0EES10_IbLb1EEEEDaSW_SX_EUlSW_E_NS1_11comp_targetILNS1_3genE2ELNS1_11target_archE906ELNS1_3gpuE6ELNS1_3repE0EEENS1_30default_config_static_selectorELNS0_4arch9wavefront6targetE0EEEvT1_.has_dyn_sized_stack, 0
	.set _ZN7rocprim17ROCPRIM_400000_NS6detail17trampoline_kernelINS0_14default_configENS1_27scan_by_key_config_selectorIisEEZZNS1_16scan_by_key_implILNS1_25lookback_scan_determinismE0ELb1ES3_N6thrust23THRUST_200600_302600_NS6detail15normal_iteratorINS9_10device_ptrIiEEEENSB_INSC_IsEEEESG_sNS9_4plusIvEENS9_8equal_toIvEEsEE10hipError_tPvRmT2_T3_T4_T5_mT6_T7_P12ihipStream_tbENKUlT_T0_E_clISt17integral_constantIbLb0EES10_IbLb1EEEEDaSW_SX_EUlSW_E_NS1_11comp_targetILNS1_3genE2ELNS1_11target_archE906ELNS1_3gpuE6ELNS1_3repE0EEENS1_30default_config_static_selectorELNS0_4arch9wavefront6targetE0EEEvT1_.has_recursion, 0
	.set _ZN7rocprim17ROCPRIM_400000_NS6detail17trampoline_kernelINS0_14default_configENS1_27scan_by_key_config_selectorIisEEZZNS1_16scan_by_key_implILNS1_25lookback_scan_determinismE0ELb1ES3_N6thrust23THRUST_200600_302600_NS6detail15normal_iteratorINS9_10device_ptrIiEEEENSB_INSC_IsEEEESG_sNS9_4plusIvEENS9_8equal_toIvEEsEE10hipError_tPvRmT2_T3_T4_T5_mT6_T7_P12ihipStream_tbENKUlT_T0_E_clISt17integral_constantIbLb0EES10_IbLb1EEEEDaSW_SX_EUlSW_E_NS1_11comp_targetILNS1_3genE2ELNS1_11target_archE906ELNS1_3gpuE6ELNS1_3repE0EEENS1_30default_config_static_selectorELNS0_4arch9wavefront6targetE0EEEvT1_.has_indirect_call, 0
	.section	.AMDGPU.csdata,"",@progbits
; Kernel info:
; codeLenInByte = 0
; TotalNumSgprs: 0
; NumVgprs: 0
; ScratchSize: 0
; MemoryBound: 0
; FloatMode: 240
; IeeeMode: 1
; LDSByteSize: 0 bytes/workgroup (compile time only)
; SGPRBlocks: 0
; VGPRBlocks: 0
; NumSGPRsForWavesPerEU: 1
; NumVGPRsForWavesPerEU: 1
; NamedBarCnt: 0
; Occupancy: 16
; WaveLimiterHint : 0
; COMPUTE_PGM_RSRC2:SCRATCH_EN: 0
; COMPUTE_PGM_RSRC2:USER_SGPR: 2
; COMPUTE_PGM_RSRC2:TRAP_HANDLER: 0
; COMPUTE_PGM_RSRC2:TGID_X_EN: 1
; COMPUTE_PGM_RSRC2:TGID_Y_EN: 0
; COMPUTE_PGM_RSRC2:TGID_Z_EN: 0
; COMPUTE_PGM_RSRC2:TIDIG_COMP_CNT: 0
	.section	.text._ZN7rocprim17ROCPRIM_400000_NS6detail17trampoline_kernelINS0_14default_configENS1_27scan_by_key_config_selectorIisEEZZNS1_16scan_by_key_implILNS1_25lookback_scan_determinismE0ELb1ES3_N6thrust23THRUST_200600_302600_NS6detail15normal_iteratorINS9_10device_ptrIiEEEENSB_INSC_IsEEEESG_sNS9_4plusIvEENS9_8equal_toIvEEsEE10hipError_tPvRmT2_T3_T4_T5_mT6_T7_P12ihipStream_tbENKUlT_T0_E_clISt17integral_constantIbLb0EES10_IbLb1EEEEDaSW_SX_EUlSW_E_NS1_11comp_targetILNS1_3genE10ELNS1_11target_archE1200ELNS1_3gpuE4ELNS1_3repE0EEENS1_30default_config_static_selectorELNS0_4arch9wavefront6targetE0EEEvT1_,"axG",@progbits,_ZN7rocprim17ROCPRIM_400000_NS6detail17trampoline_kernelINS0_14default_configENS1_27scan_by_key_config_selectorIisEEZZNS1_16scan_by_key_implILNS1_25lookback_scan_determinismE0ELb1ES3_N6thrust23THRUST_200600_302600_NS6detail15normal_iteratorINS9_10device_ptrIiEEEENSB_INSC_IsEEEESG_sNS9_4plusIvEENS9_8equal_toIvEEsEE10hipError_tPvRmT2_T3_T4_T5_mT6_T7_P12ihipStream_tbENKUlT_T0_E_clISt17integral_constantIbLb0EES10_IbLb1EEEEDaSW_SX_EUlSW_E_NS1_11comp_targetILNS1_3genE10ELNS1_11target_archE1200ELNS1_3gpuE4ELNS1_3repE0EEENS1_30default_config_static_selectorELNS0_4arch9wavefront6targetE0EEEvT1_,comdat
	.protected	_ZN7rocprim17ROCPRIM_400000_NS6detail17trampoline_kernelINS0_14default_configENS1_27scan_by_key_config_selectorIisEEZZNS1_16scan_by_key_implILNS1_25lookback_scan_determinismE0ELb1ES3_N6thrust23THRUST_200600_302600_NS6detail15normal_iteratorINS9_10device_ptrIiEEEENSB_INSC_IsEEEESG_sNS9_4plusIvEENS9_8equal_toIvEEsEE10hipError_tPvRmT2_T3_T4_T5_mT6_T7_P12ihipStream_tbENKUlT_T0_E_clISt17integral_constantIbLb0EES10_IbLb1EEEEDaSW_SX_EUlSW_E_NS1_11comp_targetILNS1_3genE10ELNS1_11target_archE1200ELNS1_3gpuE4ELNS1_3repE0EEENS1_30default_config_static_selectorELNS0_4arch9wavefront6targetE0EEEvT1_ ; -- Begin function _ZN7rocprim17ROCPRIM_400000_NS6detail17trampoline_kernelINS0_14default_configENS1_27scan_by_key_config_selectorIisEEZZNS1_16scan_by_key_implILNS1_25lookback_scan_determinismE0ELb1ES3_N6thrust23THRUST_200600_302600_NS6detail15normal_iteratorINS9_10device_ptrIiEEEENSB_INSC_IsEEEESG_sNS9_4plusIvEENS9_8equal_toIvEEsEE10hipError_tPvRmT2_T3_T4_T5_mT6_T7_P12ihipStream_tbENKUlT_T0_E_clISt17integral_constantIbLb0EES10_IbLb1EEEEDaSW_SX_EUlSW_E_NS1_11comp_targetILNS1_3genE10ELNS1_11target_archE1200ELNS1_3gpuE4ELNS1_3repE0EEENS1_30default_config_static_selectorELNS0_4arch9wavefront6targetE0EEEvT1_
	.globl	_ZN7rocprim17ROCPRIM_400000_NS6detail17trampoline_kernelINS0_14default_configENS1_27scan_by_key_config_selectorIisEEZZNS1_16scan_by_key_implILNS1_25lookback_scan_determinismE0ELb1ES3_N6thrust23THRUST_200600_302600_NS6detail15normal_iteratorINS9_10device_ptrIiEEEENSB_INSC_IsEEEESG_sNS9_4plusIvEENS9_8equal_toIvEEsEE10hipError_tPvRmT2_T3_T4_T5_mT6_T7_P12ihipStream_tbENKUlT_T0_E_clISt17integral_constantIbLb0EES10_IbLb1EEEEDaSW_SX_EUlSW_E_NS1_11comp_targetILNS1_3genE10ELNS1_11target_archE1200ELNS1_3gpuE4ELNS1_3repE0EEENS1_30default_config_static_selectorELNS0_4arch9wavefront6targetE0EEEvT1_
	.p2align	8
	.type	_ZN7rocprim17ROCPRIM_400000_NS6detail17trampoline_kernelINS0_14default_configENS1_27scan_by_key_config_selectorIisEEZZNS1_16scan_by_key_implILNS1_25lookback_scan_determinismE0ELb1ES3_N6thrust23THRUST_200600_302600_NS6detail15normal_iteratorINS9_10device_ptrIiEEEENSB_INSC_IsEEEESG_sNS9_4plusIvEENS9_8equal_toIvEEsEE10hipError_tPvRmT2_T3_T4_T5_mT6_T7_P12ihipStream_tbENKUlT_T0_E_clISt17integral_constantIbLb0EES10_IbLb1EEEEDaSW_SX_EUlSW_E_NS1_11comp_targetILNS1_3genE10ELNS1_11target_archE1200ELNS1_3gpuE4ELNS1_3repE0EEENS1_30default_config_static_selectorELNS0_4arch9wavefront6targetE0EEEvT1_,@function
_ZN7rocprim17ROCPRIM_400000_NS6detail17trampoline_kernelINS0_14default_configENS1_27scan_by_key_config_selectorIisEEZZNS1_16scan_by_key_implILNS1_25lookback_scan_determinismE0ELb1ES3_N6thrust23THRUST_200600_302600_NS6detail15normal_iteratorINS9_10device_ptrIiEEEENSB_INSC_IsEEEESG_sNS9_4plusIvEENS9_8equal_toIvEEsEE10hipError_tPvRmT2_T3_T4_T5_mT6_T7_P12ihipStream_tbENKUlT_T0_E_clISt17integral_constantIbLb0EES10_IbLb1EEEEDaSW_SX_EUlSW_E_NS1_11comp_targetILNS1_3genE10ELNS1_11target_archE1200ELNS1_3gpuE4ELNS1_3repE0EEENS1_30default_config_static_selectorELNS0_4arch9wavefront6targetE0EEEvT1_: ; @_ZN7rocprim17ROCPRIM_400000_NS6detail17trampoline_kernelINS0_14default_configENS1_27scan_by_key_config_selectorIisEEZZNS1_16scan_by_key_implILNS1_25lookback_scan_determinismE0ELb1ES3_N6thrust23THRUST_200600_302600_NS6detail15normal_iteratorINS9_10device_ptrIiEEEENSB_INSC_IsEEEESG_sNS9_4plusIvEENS9_8equal_toIvEEsEE10hipError_tPvRmT2_T3_T4_T5_mT6_T7_P12ihipStream_tbENKUlT_T0_E_clISt17integral_constantIbLb0EES10_IbLb1EEEEDaSW_SX_EUlSW_E_NS1_11comp_targetILNS1_3genE10ELNS1_11target_archE1200ELNS1_3gpuE4ELNS1_3repE0EEENS1_30default_config_static_selectorELNS0_4arch9wavefront6targetE0EEEvT1_
; %bb.0:
	.section	.rodata,"a",@progbits
	.p2align	6, 0x0
	.amdhsa_kernel _ZN7rocprim17ROCPRIM_400000_NS6detail17trampoline_kernelINS0_14default_configENS1_27scan_by_key_config_selectorIisEEZZNS1_16scan_by_key_implILNS1_25lookback_scan_determinismE0ELb1ES3_N6thrust23THRUST_200600_302600_NS6detail15normal_iteratorINS9_10device_ptrIiEEEENSB_INSC_IsEEEESG_sNS9_4plusIvEENS9_8equal_toIvEEsEE10hipError_tPvRmT2_T3_T4_T5_mT6_T7_P12ihipStream_tbENKUlT_T0_E_clISt17integral_constantIbLb0EES10_IbLb1EEEEDaSW_SX_EUlSW_E_NS1_11comp_targetILNS1_3genE10ELNS1_11target_archE1200ELNS1_3gpuE4ELNS1_3repE0EEENS1_30default_config_static_selectorELNS0_4arch9wavefront6targetE0EEEvT1_
		.amdhsa_group_segment_fixed_size 0
		.amdhsa_private_segment_fixed_size 0
		.amdhsa_kernarg_size 112
		.amdhsa_user_sgpr_count 2
		.amdhsa_user_sgpr_dispatch_ptr 0
		.amdhsa_user_sgpr_queue_ptr 0
		.amdhsa_user_sgpr_kernarg_segment_ptr 1
		.amdhsa_user_sgpr_dispatch_id 0
		.amdhsa_user_sgpr_kernarg_preload_length 0
		.amdhsa_user_sgpr_kernarg_preload_offset 0
		.amdhsa_user_sgpr_private_segment_size 0
		.amdhsa_wavefront_size32 1
		.amdhsa_uses_dynamic_stack 0
		.amdhsa_enable_private_segment 0
		.amdhsa_system_sgpr_workgroup_id_x 1
		.amdhsa_system_sgpr_workgroup_id_y 0
		.amdhsa_system_sgpr_workgroup_id_z 0
		.amdhsa_system_sgpr_workgroup_info 0
		.amdhsa_system_vgpr_workitem_id 0
		.amdhsa_next_free_vgpr 1
		.amdhsa_next_free_sgpr 1
		.amdhsa_named_barrier_count 0
		.amdhsa_reserve_vcc 0
		.amdhsa_float_round_mode_32 0
		.amdhsa_float_round_mode_16_64 0
		.amdhsa_float_denorm_mode_32 3
		.amdhsa_float_denorm_mode_16_64 3
		.amdhsa_fp16_overflow 0
		.amdhsa_memory_ordered 1
		.amdhsa_forward_progress 1
		.amdhsa_inst_pref_size 0
		.amdhsa_round_robin_scheduling 0
		.amdhsa_exception_fp_ieee_invalid_op 0
		.amdhsa_exception_fp_denorm_src 0
		.amdhsa_exception_fp_ieee_div_zero 0
		.amdhsa_exception_fp_ieee_overflow 0
		.amdhsa_exception_fp_ieee_underflow 0
		.amdhsa_exception_fp_ieee_inexact 0
		.amdhsa_exception_int_div_zero 0
	.end_amdhsa_kernel
	.section	.text._ZN7rocprim17ROCPRIM_400000_NS6detail17trampoline_kernelINS0_14default_configENS1_27scan_by_key_config_selectorIisEEZZNS1_16scan_by_key_implILNS1_25lookback_scan_determinismE0ELb1ES3_N6thrust23THRUST_200600_302600_NS6detail15normal_iteratorINS9_10device_ptrIiEEEENSB_INSC_IsEEEESG_sNS9_4plusIvEENS9_8equal_toIvEEsEE10hipError_tPvRmT2_T3_T4_T5_mT6_T7_P12ihipStream_tbENKUlT_T0_E_clISt17integral_constantIbLb0EES10_IbLb1EEEEDaSW_SX_EUlSW_E_NS1_11comp_targetILNS1_3genE10ELNS1_11target_archE1200ELNS1_3gpuE4ELNS1_3repE0EEENS1_30default_config_static_selectorELNS0_4arch9wavefront6targetE0EEEvT1_,"axG",@progbits,_ZN7rocprim17ROCPRIM_400000_NS6detail17trampoline_kernelINS0_14default_configENS1_27scan_by_key_config_selectorIisEEZZNS1_16scan_by_key_implILNS1_25lookback_scan_determinismE0ELb1ES3_N6thrust23THRUST_200600_302600_NS6detail15normal_iteratorINS9_10device_ptrIiEEEENSB_INSC_IsEEEESG_sNS9_4plusIvEENS9_8equal_toIvEEsEE10hipError_tPvRmT2_T3_T4_T5_mT6_T7_P12ihipStream_tbENKUlT_T0_E_clISt17integral_constantIbLb0EES10_IbLb1EEEEDaSW_SX_EUlSW_E_NS1_11comp_targetILNS1_3genE10ELNS1_11target_archE1200ELNS1_3gpuE4ELNS1_3repE0EEENS1_30default_config_static_selectorELNS0_4arch9wavefront6targetE0EEEvT1_,comdat
.Lfunc_end1640:
	.size	_ZN7rocprim17ROCPRIM_400000_NS6detail17trampoline_kernelINS0_14default_configENS1_27scan_by_key_config_selectorIisEEZZNS1_16scan_by_key_implILNS1_25lookback_scan_determinismE0ELb1ES3_N6thrust23THRUST_200600_302600_NS6detail15normal_iteratorINS9_10device_ptrIiEEEENSB_INSC_IsEEEESG_sNS9_4plusIvEENS9_8equal_toIvEEsEE10hipError_tPvRmT2_T3_T4_T5_mT6_T7_P12ihipStream_tbENKUlT_T0_E_clISt17integral_constantIbLb0EES10_IbLb1EEEEDaSW_SX_EUlSW_E_NS1_11comp_targetILNS1_3genE10ELNS1_11target_archE1200ELNS1_3gpuE4ELNS1_3repE0EEENS1_30default_config_static_selectorELNS0_4arch9wavefront6targetE0EEEvT1_, .Lfunc_end1640-_ZN7rocprim17ROCPRIM_400000_NS6detail17trampoline_kernelINS0_14default_configENS1_27scan_by_key_config_selectorIisEEZZNS1_16scan_by_key_implILNS1_25lookback_scan_determinismE0ELb1ES3_N6thrust23THRUST_200600_302600_NS6detail15normal_iteratorINS9_10device_ptrIiEEEENSB_INSC_IsEEEESG_sNS9_4plusIvEENS9_8equal_toIvEEsEE10hipError_tPvRmT2_T3_T4_T5_mT6_T7_P12ihipStream_tbENKUlT_T0_E_clISt17integral_constantIbLb0EES10_IbLb1EEEEDaSW_SX_EUlSW_E_NS1_11comp_targetILNS1_3genE10ELNS1_11target_archE1200ELNS1_3gpuE4ELNS1_3repE0EEENS1_30default_config_static_selectorELNS0_4arch9wavefront6targetE0EEEvT1_
                                        ; -- End function
	.set _ZN7rocprim17ROCPRIM_400000_NS6detail17trampoline_kernelINS0_14default_configENS1_27scan_by_key_config_selectorIisEEZZNS1_16scan_by_key_implILNS1_25lookback_scan_determinismE0ELb1ES3_N6thrust23THRUST_200600_302600_NS6detail15normal_iteratorINS9_10device_ptrIiEEEENSB_INSC_IsEEEESG_sNS9_4plusIvEENS9_8equal_toIvEEsEE10hipError_tPvRmT2_T3_T4_T5_mT6_T7_P12ihipStream_tbENKUlT_T0_E_clISt17integral_constantIbLb0EES10_IbLb1EEEEDaSW_SX_EUlSW_E_NS1_11comp_targetILNS1_3genE10ELNS1_11target_archE1200ELNS1_3gpuE4ELNS1_3repE0EEENS1_30default_config_static_selectorELNS0_4arch9wavefront6targetE0EEEvT1_.num_vgpr, 0
	.set _ZN7rocprim17ROCPRIM_400000_NS6detail17trampoline_kernelINS0_14default_configENS1_27scan_by_key_config_selectorIisEEZZNS1_16scan_by_key_implILNS1_25lookback_scan_determinismE0ELb1ES3_N6thrust23THRUST_200600_302600_NS6detail15normal_iteratorINS9_10device_ptrIiEEEENSB_INSC_IsEEEESG_sNS9_4plusIvEENS9_8equal_toIvEEsEE10hipError_tPvRmT2_T3_T4_T5_mT6_T7_P12ihipStream_tbENKUlT_T0_E_clISt17integral_constantIbLb0EES10_IbLb1EEEEDaSW_SX_EUlSW_E_NS1_11comp_targetILNS1_3genE10ELNS1_11target_archE1200ELNS1_3gpuE4ELNS1_3repE0EEENS1_30default_config_static_selectorELNS0_4arch9wavefront6targetE0EEEvT1_.num_agpr, 0
	.set _ZN7rocprim17ROCPRIM_400000_NS6detail17trampoline_kernelINS0_14default_configENS1_27scan_by_key_config_selectorIisEEZZNS1_16scan_by_key_implILNS1_25lookback_scan_determinismE0ELb1ES3_N6thrust23THRUST_200600_302600_NS6detail15normal_iteratorINS9_10device_ptrIiEEEENSB_INSC_IsEEEESG_sNS9_4plusIvEENS9_8equal_toIvEEsEE10hipError_tPvRmT2_T3_T4_T5_mT6_T7_P12ihipStream_tbENKUlT_T0_E_clISt17integral_constantIbLb0EES10_IbLb1EEEEDaSW_SX_EUlSW_E_NS1_11comp_targetILNS1_3genE10ELNS1_11target_archE1200ELNS1_3gpuE4ELNS1_3repE0EEENS1_30default_config_static_selectorELNS0_4arch9wavefront6targetE0EEEvT1_.numbered_sgpr, 0
	.set _ZN7rocprim17ROCPRIM_400000_NS6detail17trampoline_kernelINS0_14default_configENS1_27scan_by_key_config_selectorIisEEZZNS1_16scan_by_key_implILNS1_25lookback_scan_determinismE0ELb1ES3_N6thrust23THRUST_200600_302600_NS6detail15normal_iteratorINS9_10device_ptrIiEEEENSB_INSC_IsEEEESG_sNS9_4plusIvEENS9_8equal_toIvEEsEE10hipError_tPvRmT2_T3_T4_T5_mT6_T7_P12ihipStream_tbENKUlT_T0_E_clISt17integral_constantIbLb0EES10_IbLb1EEEEDaSW_SX_EUlSW_E_NS1_11comp_targetILNS1_3genE10ELNS1_11target_archE1200ELNS1_3gpuE4ELNS1_3repE0EEENS1_30default_config_static_selectorELNS0_4arch9wavefront6targetE0EEEvT1_.num_named_barrier, 0
	.set _ZN7rocprim17ROCPRIM_400000_NS6detail17trampoline_kernelINS0_14default_configENS1_27scan_by_key_config_selectorIisEEZZNS1_16scan_by_key_implILNS1_25lookback_scan_determinismE0ELb1ES3_N6thrust23THRUST_200600_302600_NS6detail15normal_iteratorINS9_10device_ptrIiEEEENSB_INSC_IsEEEESG_sNS9_4plusIvEENS9_8equal_toIvEEsEE10hipError_tPvRmT2_T3_T4_T5_mT6_T7_P12ihipStream_tbENKUlT_T0_E_clISt17integral_constantIbLb0EES10_IbLb1EEEEDaSW_SX_EUlSW_E_NS1_11comp_targetILNS1_3genE10ELNS1_11target_archE1200ELNS1_3gpuE4ELNS1_3repE0EEENS1_30default_config_static_selectorELNS0_4arch9wavefront6targetE0EEEvT1_.private_seg_size, 0
	.set _ZN7rocprim17ROCPRIM_400000_NS6detail17trampoline_kernelINS0_14default_configENS1_27scan_by_key_config_selectorIisEEZZNS1_16scan_by_key_implILNS1_25lookback_scan_determinismE0ELb1ES3_N6thrust23THRUST_200600_302600_NS6detail15normal_iteratorINS9_10device_ptrIiEEEENSB_INSC_IsEEEESG_sNS9_4plusIvEENS9_8equal_toIvEEsEE10hipError_tPvRmT2_T3_T4_T5_mT6_T7_P12ihipStream_tbENKUlT_T0_E_clISt17integral_constantIbLb0EES10_IbLb1EEEEDaSW_SX_EUlSW_E_NS1_11comp_targetILNS1_3genE10ELNS1_11target_archE1200ELNS1_3gpuE4ELNS1_3repE0EEENS1_30default_config_static_selectorELNS0_4arch9wavefront6targetE0EEEvT1_.uses_vcc, 0
	.set _ZN7rocprim17ROCPRIM_400000_NS6detail17trampoline_kernelINS0_14default_configENS1_27scan_by_key_config_selectorIisEEZZNS1_16scan_by_key_implILNS1_25lookback_scan_determinismE0ELb1ES3_N6thrust23THRUST_200600_302600_NS6detail15normal_iteratorINS9_10device_ptrIiEEEENSB_INSC_IsEEEESG_sNS9_4plusIvEENS9_8equal_toIvEEsEE10hipError_tPvRmT2_T3_T4_T5_mT6_T7_P12ihipStream_tbENKUlT_T0_E_clISt17integral_constantIbLb0EES10_IbLb1EEEEDaSW_SX_EUlSW_E_NS1_11comp_targetILNS1_3genE10ELNS1_11target_archE1200ELNS1_3gpuE4ELNS1_3repE0EEENS1_30default_config_static_selectorELNS0_4arch9wavefront6targetE0EEEvT1_.uses_flat_scratch, 0
	.set _ZN7rocprim17ROCPRIM_400000_NS6detail17trampoline_kernelINS0_14default_configENS1_27scan_by_key_config_selectorIisEEZZNS1_16scan_by_key_implILNS1_25lookback_scan_determinismE0ELb1ES3_N6thrust23THRUST_200600_302600_NS6detail15normal_iteratorINS9_10device_ptrIiEEEENSB_INSC_IsEEEESG_sNS9_4plusIvEENS9_8equal_toIvEEsEE10hipError_tPvRmT2_T3_T4_T5_mT6_T7_P12ihipStream_tbENKUlT_T0_E_clISt17integral_constantIbLb0EES10_IbLb1EEEEDaSW_SX_EUlSW_E_NS1_11comp_targetILNS1_3genE10ELNS1_11target_archE1200ELNS1_3gpuE4ELNS1_3repE0EEENS1_30default_config_static_selectorELNS0_4arch9wavefront6targetE0EEEvT1_.has_dyn_sized_stack, 0
	.set _ZN7rocprim17ROCPRIM_400000_NS6detail17trampoline_kernelINS0_14default_configENS1_27scan_by_key_config_selectorIisEEZZNS1_16scan_by_key_implILNS1_25lookback_scan_determinismE0ELb1ES3_N6thrust23THRUST_200600_302600_NS6detail15normal_iteratorINS9_10device_ptrIiEEEENSB_INSC_IsEEEESG_sNS9_4plusIvEENS9_8equal_toIvEEsEE10hipError_tPvRmT2_T3_T4_T5_mT6_T7_P12ihipStream_tbENKUlT_T0_E_clISt17integral_constantIbLb0EES10_IbLb1EEEEDaSW_SX_EUlSW_E_NS1_11comp_targetILNS1_3genE10ELNS1_11target_archE1200ELNS1_3gpuE4ELNS1_3repE0EEENS1_30default_config_static_selectorELNS0_4arch9wavefront6targetE0EEEvT1_.has_recursion, 0
	.set _ZN7rocprim17ROCPRIM_400000_NS6detail17trampoline_kernelINS0_14default_configENS1_27scan_by_key_config_selectorIisEEZZNS1_16scan_by_key_implILNS1_25lookback_scan_determinismE0ELb1ES3_N6thrust23THRUST_200600_302600_NS6detail15normal_iteratorINS9_10device_ptrIiEEEENSB_INSC_IsEEEESG_sNS9_4plusIvEENS9_8equal_toIvEEsEE10hipError_tPvRmT2_T3_T4_T5_mT6_T7_P12ihipStream_tbENKUlT_T0_E_clISt17integral_constantIbLb0EES10_IbLb1EEEEDaSW_SX_EUlSW_E_NS1_11comp_targetILNS1_3genE10ELNS1_11target_archE1200ELNS1_3gpuE4ELNS1_3repE0EEENS1_30default_config_static_selectorELNS0_4arch9wavefront6targetE0EEEvT1_.has_indirect_call, 0
	.section	.AMDGPU.csdata,"",@progbits
; Kernel info:
; codeLenInByte = 0
; TotalNumSgprs: 0
; NumVgprs: 0
; ScratchSize: 0
; MemoryBound: 0
; FloatMode: 240
; IeeeMode: 1
; LDSByteSize: 0 bytes/workgroup (compile time only)
; SGPRBlocks: 0
; VGPRBlocks: 0
; NumSGPRsForWavesPerEU: 1
; NumVGPRsForWavesPerEU: 1
; NamedBarCnt: 0
; Occupancy: 16
; WaveLimiterHint : 0
; COMPUTE_PGM_RSRC2:SCRATCH_EN: 0
; COMPUTE_PGM_RSRC2:USER_SGPR: 2
; COMPUTE_PGM_RSRC2:TRAP_HANDLER: 0
; COMPUTE_PGM_RSRC2:TGID_X_EN: 1
; COMPUTE_PGM_RSRC2:TGID_Y_EN: 0
; COMPUTE_PGM_RSRC2:TGID_Z_EN: 0
; COMPUTE_PGM_RSRC2:TIDIG_COMP_CNT: 0
	.section	.text._ZN7rocprim17ROCPRIM_400000_NS6detail17trampoline_kernelINS0_14default_configENS1_27scan_by_key_config_selectorIisEEZZNS1_16scan_by_key_implILNS1_25lookback_scan_determinismE0ELb1ES3_N6thrust23THRUST_200600_302600_NS6detail15normal_iteratorINS9_10device_ptrIiEEEENSB_INSC_IsEEEESG_sNS9_4plusIvEENS9_8equal_toIvEEsEE10hipError_tPvRmT2_T3_T4_T5_mT6_T7_P12ihipStream_tbENKUlT_T0_E_clISt17integral_constantIbLb0EES10_IbLb1EEEEDaSW_SX_EUlSW_E_NS1_11comp_targetILNS1_3genE9ELNS1_11target_archE1100ELNS1_3gpuE3ELNS1_3repE0EEENS1_30default_config_static_selectorELNS0_4arch9wavefront6targetE0EEEvT1_,"axG",@progbits,_ZN7rocprim17ROCPRIM_400000_NS6detail17trampoline_kernelINS0_14default_configENS1_27scan_by_key_config_selectorIisEEZZNS1_16scan_by_key_implILNS1_25lookback_scan_determinismE0ELb1ES3_N6thrust23THRUST_200600_302600_NS6detail15normal_iteratorINS9_10device_ptrIiEEEENSB_INSC_IsEEEESG_sNS9_4plusIvEENS9_8equal_toIvEEsEE10hipError_tPvRmT2_T3_T4_T5_mT6_T7_P12ihipStream_tbENKUlT_T0_E_clISt17integral_constantIbLb0EES10_IbLb1EEEEDaSW_SX_EUlSW_E_NS1_11comp_targetILNS1_3genE9ELNS1_11target_archE1100ELNS1_3gpuE3ELNS1_3repE0EEENS1_30default_config_static_selectorELNS0_4arch9wavefront6targetE0EEEvT1_,comdat
	.protected	_ZN7rocprim17ROCPRIM_400000_NS6detail17trampoline_kernelINS0_14default_configENS1_27scan_by_key_config_selectorIisEEZZNS1_16scan_by_key_implILNS1_25lookback_scan_determinismE0ELb1ES3_N6thrust23THRUST_200600_302600_NS6detail15normal_iteratorINS9_10device_ptrIiEEEENSB_INSC_IsEEEESG_sNS9_4plusIvEENS9_8equal_toIvEEsEE10hipError_tPvRmT2_T3_T4_T5_mT6_T7_P12ihipStream_tbENKUlT_T0_E_clISt17integral_constantIbLb0EES10_IbLb1EEEEDaSW_SX_EUlSW_E_NS1_11comp_targetILNS1_3genE9ELNS1_11target_archE1100ELNS1_3gpuE3ELNS1_3repE0EEENS1_30default_config_static_selectorELNS0_4arch9wavefront6targetE0EEEvT1_ ; -- Begin function _ZN7rocprim17ROCPRIM_400000_NS6detail17trampoline_kernelINS0_14default_configENS1_27scan_by_key_config_selectorIisEEZZNS1_16scan_by_key_implILNS1_25lookback_scan_determinismE0ELb1ES3_N6thrust23THRUST_200600_302600_NS6detail15normal_iteratorINS9_10device_ptrIiEEEENSB_INSC_IsEEEESG_sNS9_4plusIvEENS9_8equal_toIvEEsEE10hipError_tPvRmT2_T3_T4_T5_mT6_T7_P12ihipStream_tbENKUlT_T0_E_clISt17integral_constantIbLb0EES10_IbLb1EEEEDaSW_SX_EUlSW_E_NS1_11comp_targetILNS1_3genE9ELNS1_11target_archE1100ELNS1_3gpuE3ELNS1_3repE0EEENS1_30default_config_static_selectorELNS0_4arch9wavefront6targetE0EEEvT1_
	.globl	_ZN7rocprim17ROCPRIM_400000_NS6detail17trampoline_kernelINS0_14default_configENS1_27scan_by_key_config_selectorIisEEZZNS1_16scan_by_key_implILNS1_25lookback_scan_determinismE0ELb1ES3_N6thrust23THRUST_200600_302600_NS6detail15normal_iteratorINS9_10device_ptrIiEEEENSB_INSC_IsEEEESG_sNS9_4plusIvEENS9_8equal_toIvEEsEE10hipError_tPvRmT2_T3_T4_T5_mT6_T7_P12ihipStream_tbENKUlT_T0_E_clISt17integral_constantIbLb0EES10_IbLb1EEEEDaSW_SX_EUlSW_E_NS1_11comp_targetILNS1_3genE9ELNS1_11target_archE1100ELNS1_3gpuE3ELNS1_3repE0EEENS1_30default_config_static_selectorELNS0_4arch9wavefront6targetE0EEEvT1_
	.p2align	8
	.type	_ZN7rocprim17ROCPRIM_400000_NS6detail17trampoline_kernelINS0_14default_configENS1_27scan_by_key_config_selectorIisEEZZNS1_16scan_by_key_implILNS1_25lookback_scan_determinismE0ELb1ES3_N6thrust23THRUST_200600_302600_NS6detail15normal_iteratorINS9_10device_ptrIiEEEENSB_INSC_IsEEEESG_sNS9_4plusIvEENS9_8equal_toIvEEsEE10hipError_tPvRmT2_T3_T4_T5_mT6_T7_P12ihipStream_tbENKUlT_T0_E_clISt17integral_constantIbLb0EES10_IbLb1EEEEDaSW_SX_EUlSW_E_NS1_11comp_targetILNS1_3genE9ELNS1_11target_archE1100ELNS1_3gpuE3ELNS1_3repE0EEENS1_30default_config_static_selectorELNS0_4arch9wavefront6targetE0EEEvT1_,@function
_ZN7rocprim17ROCPRIM_400000_NS6detail17trampoline_kernelINS0_14default_configENS1_27scan_by_key_config_selectorIisEEZZNS1_16scan_by_key_implILNS1_25lookback_scan_determinismE0ELb1ES3_N6thrust23THRUST_200600_302600_NS6detail15normal_iteratorINS9_10device_ptrIiEEEENSB_INSC_IsEEEESG_sNS9_4plusIvEENS9_8equal_toIvEEsEE10hipError_tPvRmT2_T3_T4_T5_mT6_T7_P12ihipStream_tbENKUlT_T0_E_clISt17integral_constantIbLb0EES10_IbLb1EEEEDaSW_SX_EUlSW_E_NS1_11comp_targetILNS1_3genE9ELNS1_11target_archE1100ELNS1_3gpuE3ELNS1_3repE0EEENS1_30default_config_static_selectorELNS0_4arch9wavefront6targetE0EEEvT1_: ; @_ZN7rocprim17ROCPRIM_400000_NS6detail17trampoline_kernelINS0_14default_configENS1_27scan_by_key_config_selectorIisEEZZNS1_16scan_by_key_implILNS1_25lookback_scan_determinismE0ELb1ES3_N6thrust23THRUST_200600_302600_NS6detail15normal_iteratorINS9_10device_ptrIiEEEENSB_INSC_IsEEEESG_sNS9_4plusIvEENS9_8equal_toIvEEsEE10hipError_tPvRmT2_T3_T4_T5_mT6_T7_P12ihipStream_tbENKUlT_T0_E_clISt17integral_constantIbLb0EES10_IbLb1EEEEDaSW_SX_EUlSW_E_NS1_11comp_targetILNS1_3genE9ELNS1_11target_archE1100ELNS1_3gpuE3ELNS1_3repE0EEENS1_30default_config_static_selectorELNS0_4arch9wavefront6targetE0EEEvT1_
; %bb.0:
	.section	.rodata,"a",@progbits
	.p2align	6, 0x0
	.amdhsa_kernel _ZN7rocprim17ROCPRIM_400000_NS6detail17trampoline_kernelINS0_14default_configENS1_27scan_by_key_config_selectorIisEEZZNS1_16scan_by_key_implILNS1_25lookback_scan_determinismE0ELb1ES3_N6thrust23THRUST_200600_302600_NS6detail15normal_iteratorINS9_10device_ptrIiEEEENSB_INSC_IsEEEESG_sNS9_4plusIvEENS9_8equal_toIvEEsEE10hipError_tPvRmT2_T3_T4_T5_mT6_T7_P12ihipStream_tbENKUlT_T0_E_clISt17integral_constantIbLb0EES10_IbLb1EEEEDaSW_SX_EUlSW_E_NS1_11comp_targetILNS1_3genE9ELNS1_11target_archE1100ELNS1_3gpuE3ELNS1_3repE0EEENS1_30default_config_static_selectorELNS0_4arch9wavefront6targetE0EEEvT1_
		.amdhsa_group_segment_fixed_size 0
		.amdhsa_private_segment_fixed_size 0
		.amdhsa_kernarg_size 112
		.amdhsa_user_sgpr_count 2
		.amdhsa_user_sgpr_dispatch_ptr 0
		.amdhsa_user_sgpr_queue_ptr 0
		.amdhsa_user_sgpr_kernarg_segment_ptr 1
		.amdhsa_user_sgpr_dispatch_id 0
		.amdhsa_user_sgpr_kernarg_preload_length 0
		.amdhsa_user_sgpr_kernarg_preload_offset 0
		.amdhsa_user_sgpr_private_segment_size 0
		.amdhsa_wavefront_size32 1
		.amdhsa_uses_dynamic_stack 0
		.amdhsa_enable_private_segment 0
		.amdhsa_system_sgpr_workgroup_id_x 1
		.amdhsa_system_sgpr_workgroup_id_y 0
		.amdhsa_system_sgpr_workgroup_id_z 0
		.amdhsa_system_sgpr_workgroup_info 0
		.amdhsa_system_vgpr_workitem_id 0
		.amdhsa_next_free_vgpr 1
		.amdhsa_next_free_sgpr 1
		.amdhsa_named_barrier_count 0
		.amdhsa_reserve_vcc 0
		.amdhsa_float_round_mode_32 0
		.amdhsa_float_round_mode_16_64 0
		.amdhsa_float_denorm_mode_32 3
		.amdhsa_float_denorm_mode_16_64 3
		.amdhsa_fp16_overflow 0
		.amdhsa_memory_ordered 1
		.amdhsa_forward_progress 1
		.amdhsa_inst_pref_size 0
		.amdhsa_round_robin_scheduling 0
		.amdhsa_exception_fp_ieee_invalid_op 0
		.amdhsa_exception_fp_denorm_src 0
		.amdhsa_exception_fp_ieee_div_zero 0
		.amdhsa_exception_fp_ieee_overflow 0
		.amdhsa_exception_fp_ieee_underflow 0
		.amdhsa_exception_fp_ieee_inexact 0
		.amdhsa_exception_int_div_zero 0
	.end_amdhsa_kernel
	.section	.text._ZN7rocprim17ROCPRIM_400000_NS6detail17trampoline_kernelINS0_14default_configENS1_27scan_by_key_config_selectorIisEEZZNS1_16scan_by_key_implILNS1_25lookback_scan_determinismE0ELb1ES3_N6thrust23THRUST_200600_302600_NS6detail15normal_iteratorINS9_10device_ptrIiEEEENSB_INSC_IsEEEESG_sNS9_4plusIvEENS9_8equal_toIvEEsEE10hipError_tPvRmT2_T3_T4_T5_mT6_T7_P12ihipStream_tbENKUlT_T0_E_clISt17integral_constantIbLb0EES10_IbLb1EEEEDaSW_SX_EUlSW_E_NS1_11comp_targetILNS1_3genE9ELNS1_11target_archE1100ELNS1_3gpuE3ELNS1_3repE0EEENS1_30default_config_static_selectorELNS0_4arch9wavefront6targetE0EEEvT1_,"axG",@progbits,_ZN7rocprim17ROCPRIM_400000_NS6detail17trampoline_kernelINS0_14default_configENS1_27scan_by_key_config_selectorIisEEZZNS1_16scan_by_key_implILNS1_25lookback_scan_determinismE0ELb1ES3_N6thrust23THRUST_200600_302600_NS6detail15normal_iteratorINS9_10device_ptrIiEEEENSB_INSC_IsEEEESG_sNS9_4plusIvEENS9_8equal_toIvEEsEE10hipError_tPvRmT2_T3_T4_T5_mT6_T7_P12ihipStream_tbENKUlT_T0_E_clISt17integral_constantIbLb0EES10_IbLb1EEEEDaSW_SX_EUlSW_E_NS1_11comp_targetILNS1_3genE9ELNS1_11target_archE1100ELNS1_3gpuE3ELNS1_3repE0EEENS1_30default_config_static_selectorELNS0_4arch9wavefront6targetE0EEEvT1_,comdat
.Lfunc_end1641:
	.size	_ZN7rocprim17ROCPRIM_400000_NS6detail17trampoline_kernelINS0_14default_configENS1_27scan_by_key_config_selectorIisEEZZNS1_16scan_by_key_implILNS1_25lookback_scan_determinismE0ELb1ES3_N6thrust23THRUST_200600_302600_NS6detail15normal_iteratorINS9_10device_ptrIiEEEENSB_INSC_IsEEEESG_sNS9_4plusIvEENS9_8equal_toIvEEsEE10hipError_tPvRmT2_T3_T4_T5_mT6_T7_P12ihipStream_tbENKUlT_T0_E_clISt17integral_constantIbLb0EES10_IbLb1EEEEDaSW_SX_EUlSW_E_NS1_11comp_targetILNS1_3genE9ELNS1_11target_archE1100ELNS1_3gpuE3ELNS1_3repE0EEENS1_30default_config_static_selectorELNS0_4arch9wavefront6targetE0EEEvT1_, .Lfunc_end1641-_ZN7rocprim17ROCPRIM_400000_NS6detail17trampoline_kernelINS0_14default_configENS1_27scan_by_key_config_selectorIisEEZZNS1_16scan_by_key_implILNS1_25lookback_scan_determinismE0ELb1ES3_N6thrust23THRUST_200600_302600_NS6detail15normal_iteratorINS9_10device_ptrIiEEEENSB_INSC_IsEEEESG_sNS9_4plusIvEENS9_8equal_toIvEEsEE10hipError_tPvRmT2_T3_T4_T5_mT6_T7_P12ihipStream_tbENKUlT_T0_E_clISt17integral_constantIbLb0EES10_IbLb1EEEEDaSW_SX_EUlSW_E_NS1_11comp_targetILNS1_3genE9ELNS1_11target_archE1100ELNS1_3gpuE3ELNS1_3repE0EEENS1_30default_config_static_selectorELNS0_4arch9wavefront6targetE0EEEvT1_
                                        ; -- End function
	.set _ZN7rocprim17ROCPRIM_400000_NS6detail17trampoline_kernelINS0_14default_configENS1_27scan_by_key_config_selectorIisEEZZNS1_16scan_by_key_implILNS1_25lookback_scan_determinismE0ELb1ES3_N6thrust23THRUST_200600_302600_NS6detail15normal_iteratorINS9_10device_ptrIiEEEENSB_INSC_IsEEEESG_sNS9_4plusIvEENS9_8equal_toIvEEsEE10hipError_tPvRmT2_T3_T4_T5_mT6_T7_P12ihipStream_tbENKUlT_T0_E_clISt17integral_constantIbLb0EES10_IbLb1EEEEDaSW_SX_EUlSW_E_NS1_11comp_targetILNS1_3genE9ELNS1_11target_archE1100ELNS1_3gpuE3ELNS1_3repE0EEENS1_30default_config_static_selectorELNS0_4arch9wavefront6targetE0EEEvT1_.num_vgpr, 0
	.set _ZN7rocprim17ROCPRIM_400000_NS6detail17trampoline_kernelINS0_14default_configENS1_27scan_by_key_config_selectorIisEEZZNS1_16scan_by_key_implILNS1_25lookback_scan_determinismE0ELb1ES3_N6thrust23THRUST_200600_302600_NS6detail15normal_iteratorINS9_10device_ptrIiEEEENSB_INSC_IsEEEESG_sNS9_4plusIvEENS9_8equal_toIvEEsEE10hipError_tPvRmT2_T3_T4_T5_mT6_T7_P12ihipStream_tbENKUlT_T0_E_clISt17integral_constantIbLb0EES10_IbLb1EEEEDaSW_SX_EUlSW_E_NS1_11comp_targetILNS1_3genE9ELNS1_11target_archE1100ELNS1_3gpuE3ELNS1_3repE0EEENS1_30default_config_static_selectorELNS0_4arch9wavefront6targetE0EEEvT1_.num_agpr, 0
	.set _ZN7rocprim17ROCPRIM_400000_NS6detail17trampoline_kernelINS0_14default_configENS1_27scan_by_key_config_selectorIisEEZZNS1_16scan_by_key_implILNS1_25lookback_scan_determinismE0ELb1ES3_N6thrust23THRUST_200600_302600_NS6detail15normal_iteratorINS9_10device_ptrIiEEEENSB_INSC_IsEEEESG_sNS9_4plusIvEENS9_8equal_toIvEEsEE10hipError_tPvRmT2_T3_T4_T5_mT6_T7_P12ihipStream_tbENKUlT_T0_E_clISt17integral_constantIbLb0EES10_IbLb1EEEEDaSW_SX_EUlSW_E_NS1_11comp_targetILNS1_3genE9ELNS1_11target_archE1100ELNS1_3gpuE3ELNS1_3repE0EEENS1_30default_config_static_selectorELNS0_4arch9wavefront6targetE0EEEvT1_.numbered_sgpr, 0
	.set _ZN7rocprim17ROCPRIM_400000_NS6detail17trampoline_kernelINS0_14default_configENS1_27scan_by_key_config_selectorIisEEZZNS1_16scan_by_key_implILNS1_25lookback_scan_determinismE0ELb1ES3_N6thrust23THRUST_200600_302600_NS6detail15normal_iteratorINS9_10device_ptrIiEEEENSB_INSC_IsEEEESG_sNS9_4plusIvEENS9_8equal_toIvEEsEE10hipError_tPvRmT2_T3_T4_T5_mT6_T7_P12ihipStream_tbENKUlT_T0_E_clISt17integral_constantIbLb0EES10_IbLb1EEEEDaSW_SX_EUlSW_E_NS1_11comp_targetILNS1_3genE9ELNS1_11target_archE1100ELNS1_3gpuE3ELNS1_3repE0EEENS1_30default_config_static_selectorELNS0_4arch9wavefront6targetE0EEEvT1_.num_named_barrier, 0
	.set _ZN7rocprim17ROCPRIM_400000_NS6detail17trampoline_kernelINS0_14default_configENS1_27scan_by_key_config_selectorIisEEZZNS1_16scan_by_key_implILNS1_25lookback_scan_determinismE0ELb1ES3_N6thrust23THRUST_200600_302600_NS6detail15normal_iteratorINS9_10device_ptrIiEEEENSB_INSC_IsEEEESG_sNS9_4plusIvEENS9_8equal_toIvEEsEE10hipError_tPvRmT2_T3_T4_T5_mT6_T7_P12ihipStream_tbENKUlT_T0_E_clISt17integral_constantIbLb0EES10_IbLb1EEEEDaSW_SX_EUlSW_E_NS1_11comp_targetILNS1_3genE9ELNS1_11target_archE1100ELNS1_3gpuE3ELNS1_3repE0EEENS1_30default_config_static_selectorELNS0_4arch9wavefront6targetE0EEEvT1_.private_seg_size, 0
	.set _ZN7rocprim17ROCPRIM_400000_NS6detail17trampoline_kernelINS0_14default_configENS1_27scan_by_key_config_selectorIisEEZZNS1_16scan_by_key_implILNS1_25lookback_scan_determinismE0ELb1ES3_N6thrust23THRUST_200600_302600_NS6detail15normal_iteratorINS9_10device_ptrIiEEEENSB_INSC_IsEEEESG_sNS9_4plusIvEENS9_8equal_toIvEEsEE10hipError_tPvRmT2_T3_T4_T5_mT6_T7_P12ihipStream_tbENKUlT_T0_E_clISt17integral_constantIbLb0EES10_IbLb1EEEEDaSW_SX_EUlSW_E_NS1_11comp_targetILNS1_3genE9ELNS1_11target_archE1100ELNS1_3gpuE3ELNS1_3repE0EEENS1_30default_config_static_selectorELNS0_4arch9wavefront6targetE0EEEvT1_.uses_vcc, 0
	.set _ZN7rocprim17ROCPRIM_400000_NS6detail17trampoline_kernelINS0_14default_configENS1_27scan_by_key_config_selectorIisEEZZNS1_16scan_by_key_implILNS1_25lookback_scan_determinismE0ELb1ES3_N6thrust23THRUST_200600_302600_NS6detail15normal_iteratorINS9_10device_ptrIiEEEENSB_INSC_IsEEEESG_sNS9_4plusIvEENS9_8equal_toIvEEsEE10hipError_tPvRmT2_T3_T4_T5_mT6_T7_P12ihipStream_tbENKUlT_T0_E_clISt17integral_constantIbLb0EES10_IbLb1EEEEDaSW_SX_EUlSW_E_NS1_11comp_targetILNS1_3genE9ELNS1_11target_archE1100ELNS1_3gpuE3ELNS1_3repE0EEENS1_30default_config_static_selectorELNS0_4arch9wavefront6targetE0EEEvT1_.uses_flat_scratch, 0
	.set _ZN7rocprim17ROCPRIM_400000_NS6detail17trampoline_kernelINS0_14default_configENS1_27scan_by_key_config_selectorIisEEZZNS1_16scan_by_key_implILNS1_25lookback_scan_determinismE0ELb1ES3_N6thrust23THRUST_200600_302600_NS6detail15normal_iteratorINS9_10device_ptrIiEEEENSB_INSC_IsEEEESG_sNS9_4plusIvEENS9_8equal_toIvEEsEE10hipError_tPvRmT2_T3_T4_T5_mT6_T7_P12ihipStream_tbENKUlT_T0_E_clISt17integral_constantIbLb0EES10_IbLb1EEEEDaSW_SX_EUlSW_E_NS1_11comp_targetILNS1_3genE9ELNS1_11target_archE1100ELNS1_3gpuE3ELNS1_3repE0EEENS1_30default_config_static_selectorELNS0_4arch9wavefront6targetE0EEEvT1_.has_dyn_sized_stack, 0
	.set _ZN7rocprim17ROCPRIM_400000_NS6detail17trampoline_kernelINS0_14default_configENS1_27scan_by_key_config_selectorIisEEZZNS1_16scan_by_key_implILNS1_25lookback_scan_determinismE0ELb1ES3_N6thrust23THRUST_200600_302600_NS6detail15normal_iteratorINS9_10device_ptrIiEEEENSB_INSC_IsEEEESG_sNS9_4plusIvEENS9_8equal_toIvEEsEE10hipError_tPvRmT2_T3_T4_T5_mT6_T7_P12ihipStream_tbENKUlT_T0_E_clISt17integral_constantIbLb0EES10_IbLb1EEEEDaSW_SX_EUlSW_E_NS1_11comp_targetILNS1_3genE9ELNS1_11target_archE1100ELNS1_3gpuE3ELNS1_3repE0EEENS1_30default_config_static_selectorELNS0_4arch9wavefront6targetE0EEEvT1_.has_recursion, 0
	.set _ZN7rocprim17ROCPRIM_400000_NS6detail17trampoline_kernelINS0_14default_configENS1_27scan_by_key_config_selectorIisEEZZNS1_16scan_by_key_implILNS1_25lookback_scan_determinismE0ELb1ES3_N6thrust23THRUST_200600_302600_NS6detail15normal_iteratorINS9_10device_ptrIiEEEENSB_INSC_IsEEEESG_sNS9_4plusIvEENS9_8equal_toIvEEsEE10hipError_tPvRmT2_T3_T4_T5_mT6_T7_P12ihipStream_tbENKUlT_T0_E_clISt17integral_constantIbLb0EES10_IbLb1EEEEDaSW_SX_EUlSW_E_NS1_11comp_targetILNS1_3genE9ELNS1_11target_archE1100ELNS1_3gpuE3ELNS1_3repE0EEENS1_30default_config_static_selectorELNS0_4arch9wavefront6targetE0EEEvT1_.has_indirect_call, 0
	.section	.AMDGPU.csdata,"",@progbits
; Kernel info:
; codeLenInByte = 0
; TotalNumSgprs: 0
; NumVgprs: 0
; ScratchSize: 0
; MemoryBound: 0
; FloatMode: 240
; IeeeMode: 1
; LDSByteSize: 0 bytes/workgroup (compile time only)
; SGPRBlocks: 0
; VGPRBlocks: 0
; NumSGPRsForWavesPerEU: 1
; NumVGPRsForWavesPerEU: 1
; NamedBarCnt: 0
; Occupancy: 16
; WaveLimiterHint : 0
; COMPUTE_PGM_RSRC2:SCRATCH_EN: 0
; COMPUTE_PGM_RSRC2:USER_SGPR: 2
; COMPUTE_PGM_RSRC2:TRAP_HANDLER: 0
; COMPUTE_PGM_RSRC2:TGID_X_EN: 1
; COMPUTE_PGM_RSRC2:TGID_Y_EN: 0
; COMPUTE_PGM_RSRC2:TGID_Z_EN: 0
; COMPUTE_PGM_RSRC2:TIDIG_COMP_CNT: 0
	.section	.text._ZN7rocprim17ROCPRIM_400000_NS6detail17trampoline_kernelINS0_14default_configENS1_27scan_by_key_config_selectorIisEEZZNS1_16scan_by_key_implILNS1_25lookback_scan_determinismE0ELb1ES3_N6thrust23THRUST_200600_302600_NS6detail15normal_iteratorINS9_10device_ptrIiEEEENSB_INSC_IsEEEESG_sNS9_4plusIvEENS9_8equal_toIvEEsEE10hipError_tPvRmT2_T3_T4_T5_mT6_T7_P12ihipStream_tbENKUlT_T0_E_clISt17integral_constantIbLb0EES10_IbLb1EEEEDaSW_SX_EUlSW_E_NS1_11comp_targetILNS1_3genE8ELNS1_11target_archE1030ELNS1_3gpuE2ELNS1_3repE0EEENS1_30default_config_static_selectorELNS0_4arch9wavefront6targetE0EEEvT1_,"axG",@progbits,_ZN7rocprim17ROCPRIM_400000_NS6detail17trampoline_kernelINS0_14default_configENS1_27scan_by_key_config_selectorIisEEZZNS1_16scan_by_key_implILNS1_25lookback_scan_determinismE0ELb1ES3_N6thrust23THRUST_200600_302600_NS6detail15normal_iteratorINS9_10device_ptrIiEEEENSB_INSC_IsEEEESG_sNS9_4plusIvEENS9_8equal_toIvEEsEE10hipError_tPvRmT2_T3_T4_T5_mT6_T7_P12ihipStream_tbENKUlT_T0_E_clISt17integral_constantIbLb0EES10_IbLb1EEEEDaSW_SX_EUlSW_E_NS1_11comp_targetILNS1_3genE8ELNS1_11target_archE1030ELNS1_3gpuE2ELNS1_3repE0EEENS1_30default_config_static_selectorELNS0_4arch9wavefront6targetE0EEEvT1_,comdat
	.protected	_ZN7rocprim17ROCPRIM_400000_NS6detail17trampoline_kernelINS0_14default_configENS1_27scan_by_key_config_selectorIisEEZZNS1_16scan_by_key_implILNS1_25lookback_scan_determinismE0ELb1ES3_N6thrust23THRUST_200600_302600_NS6detail15normal_iteratorINS9_10device_ptrIiEEEENSB_INSC_IsEEEESG_sNS9_4plusIvEENS9_8equal_toIvEEsEE10hipError_tPvRmT2_T3_T4_T5_mT6_T7_P12ihipStream_tbENKUlT_T0_E_clISt17integral_constantIbLb0EES10_IbLb1EEEEDaSW_SX_EUlSW_E_NS1_11comp_targetILNS1_3genE8ELNS1_11target_archE1030ELNS1_3gpuE2ELNS1_3repE0EEENS1_30default_config_static_selectorELNS0_4arch9wavefront6targetE0EEEvT1_ ; -- Begin function _ZN7rocprim17ROCPRIM_400000_NS6detail17trampoline_kernelINS0_14default_configENS1_27scan_by_key_config_selectorIisEEZZNS1_16scan_by_key_implILNS1_25lookback_scan_determinismE0ELb1ES3_N6thrust23THRUST_200600_302600_NS6detail15normal_iteratorINS9_10device_ptrIiEEEENSB_INSC_IsEEEESG_sNS9_4plusIvEENS9_8equal_toIvEEsEE10hipError_tPvRmT2_T3_T4_T5_mT6_T7_P12ihipStream_tbENKUlT_T0_E_clISt17integral_constantIbLb0EES10_IbLb1EEEEDaSW_SX_EUlSW_E_NS1_11comp_targetILNS1_3genE8ELNS1_11target_archE1030ELNS1_3gpuE2ELNS1_3repE0EEENS1_30default_config_static_selectorELNS0_4arch9wavefront6targetE0EEEvT1_
	.globl	_ZN7rocprim17ROCPRIM_400000_NS6detail17trampoline_kernelINS0_14default_configENS1_27scan_by_key_config_selectorIisEEZZNS1_16scan_by_key_implILNS1_25lookback_scan_determinismE0ELb1ES3_N6thrust23THRUST_200600_302600_NS6detail15normal_iteratorINS9_10device_ptrIiEEEENSB_INSC_IsEEEESG_sNS9_4plusIvEENS9_8equal_toIvEEsEE10hipError_tPvRmT2_T3_T4_T5_mT6_T7_P12ihipStream_tbENKUlT_T0_E_clISt17integral_constantIbLb0EES10_IbLb1EEEEDaSW_SX_EUlSW_E_NS1_11comp_targetILNS1_3genE8ELNS1_11target_archE1030ELNS1_3gpuE2ELNS1_3repE0EEENS1_30default_config_static_selectorELNS0_4arch9wavefront6targetE0EEEvT1_
	.p2align	8
	.type	_ZN7rocprim17ROCPRIM_400000_NS6detail17trampoline_kernelINS0_14default_configENS1_27scan_by_key_config_selectorIisEEZZNS1_16scan_by_key_implILNS1_25lookback_scan_determinismE0ELb1ES3_N6thrust23THRUST_200600_302600_NS6detail15normal_iteratorINS9_10device_ptrIiEEEENSB_INSC_IsEEEESG_sNS9_4plusIvEENS9_8equal_toIvEEsEE10hipError_tPvRmT2_T3_T4_T5_mT6_T7_P12ihipStream_tbENKUlT_T0_E_clISt17integral_constantIbLb0EES10_IbLb1EEEEDaSW_SX_EUlSW_E_NS1_11comp_targetILNS1_3genE8ELNS1_11target_archE1030ELNS1_3gpuE2ELNS1_3repE0EEENS1_30default_config_static_selectorELNS0_4arch9wavefront6targetE0EEEvT1_,@function
_ZN7rocprim17ROCPRIM_400000_NS6detail17trampoline_kernelINS0_14default_configENS1_27scan_by_key_config_selectorIisEEZZNS1_16scan_by_key_implILNS1_25lookback_scan_determinismE0ELb1ES3_N6thrust23THRUST_200600_302600_NS6detail15normal_iteratorINS9_10device_ptrIiEEEENSB_INSC_IsEEEESG_sNS9_4plusIvEENS9_8equal_toIvEEsEE10hipError_tPvRmT2_T3_T4_T5_mT6_T7_P12ihipStream_tbENKUlT_T0_E_clISt17integral_constantIbLb0EES10_IbLb1EEEEDaSW_SX_EUlSW_E_NS1_11comp_targetILNS1_3genE8ELNS1_11target_archE1030ELNS1_3gpuE2ELNS1_3repE0EEENS1_30default_config_static_selectorELNS0_4arch9wavefront6targetE0EEEvT1_: ; @_ZN7rocprim17ROCPRIM_400000_NS6detail17trampoline_kernelINS0_14default_configENS1_27scan_by_key_config_selectorIisEEZZNS1_16scan_by_key_implILNS1_25lookback_scan_determinismE0ELb1ES3_N6thrust23THRUST_200600_302600_NS6detail15normal_iteratorINS9_10device_ptrIiEEEENSB_INSC_IsEEEESG_sNS9_4plusIvEENS9_8equal_toIvEEsEE10hipError_tPvRmT2_T3_T4_T5_mT6_T7_P12ihipStream_tbENKUlT_T0_E_clISt17integral_constantIbLb0EES10_IbLb1EEEEDaSW_SX_EUlSW_E_NS1_11comp_targetILNS1_3genE8ELNS1_11target_archE1030ELNS1_3gpuE2ELNS1_3repE0EEENS1_30default_config_static_selectorELNS0_4arch9wavefront6targetE0EEEvT1_
; %bb.0:
	.section	.rodata,"a",@progbits
	.p2align	6, 0x0
	.amdhsa_kernel _ZN7rocprim17ROCPRIM_400000_NS6detail17trampoline_kernelINS0_14default_configENS1_27scan_by_key_config_selectorIisEEZZNS1_16scan_by_key_implILNS1_25lookback_scan_determinismE0ELb1ES3_N6thrust23THRUST_200600_302600_NS6detail15normal_iteratorINS9_10device_ptrIiEEEENSB_INSC_IsEEEESG_sNS9_4plusIvEENS9_8equal_toIvEEsEE10hipError_tPvRmT2_T3_T4_T5_mT6_T7_P12ihipStream_tbENKUlT_T0_E_clISt17integral_constantIbLb0EES10_IbLb1EEEEDaSW_SX_EUlSW_E_NS1_11comp_targetILNS1_3genE8ELNS1_11target_archE1030ELNS1_3gpuE2ELNS1_3repE0EEENS1_30default_config_static_selectorELNS0_4arch9wavefront6targetE0EEEvT1_
		.amdhsa_group_segment_fixed_size 0
		.amdhsa_private_segment_fixed_size 0
		.amdhsa_kernarg_size 112
		.amdhsa_user_sgpr_count 2
		.amdhsa_user_sgpr_dispatch_ptr 0
		.amdhsa_user_sgpr_queue_ptr 0
		.amdhsa_user_sgpr_kernarg_segment_ptr 1
		.amdhsa_user_sgpr_dispatch_id 0
		.amdhsa_user_sgpr_kernarg_preload_length 0
		.amdhsa_user_sgpr_kernarg_preload_offset 0
		.amdhsa_user_sgpr_private_segment_size 0
		.amdhsa_wavefront_size32 1
		.amdhsa_uses_dynamic_stack 0
		.amdhsa_enable_private_segment 0
		.amdhsa_system_sgpr_workgroup_id_x 1
		.amdhsa_system_sgpr_workgroup_id_y 0
		.amdhsa_system_sgpr_workgroup_id_z 0
		.amdhsa_system_sgpr_workgroup_info 0
		.amdhsa_system_vgpr_workitem_id 0
		.amdhsa_next_free_vgpr 1
		.amdhsa_next_free_sgpr 1
		.amdhsa_named_barrier_count 0
		.amdhsa_reserve_vcc 0
		.amdhsa_float_round_mode_32 0
		.amdhsa_float_round_mode_16_64 0
		.amdhsa_float_denorm_mode_32 3
		.amdhsa_float_denorm_mode_16_64 3
		.amdhsa_fp16_overflow 0
		.amdhsa_memory_ordered 1
		.amdhsa_forward_progress 1
		.amdhsa_inst_pref_size 0
		.amdhsa_round_robin_scheduling 0
		.amdhsa_exception_fp_ieee_invalid_op 0
		.amdhsa_exception_fp_denorm_src 0
		.amdhsa_exception_fp_ieee_div_zero 0
		.amdhsa_exception_fp_ieee_overflow 0
		.amdhsa_exception_fp_ieee_underflow 0
		.amdhsa_exception_fp_ieee_inexact 0
		.amdhsa_exception_int_div_zero 0
	.end_amdhsa_kernel
	.section	.text._ZN7rocprim17ROCPRIM_400000_NS6detail17trampoline_kernelINS0_14default_configENS1_27scan_by_key_config_selectorIisEEZZNS1_16scan_by_key_implILNS1_25lookback_scan_determinismE0ELb1ES3_N6thrust23THRUST_200600_302600_NS6detail15normal_iteratorINS9_10device_ptrIiEEEENSB_INSC_IsEEEESG_sNS9_4plusIvEENS9_8equal_toIvEEsEE10hipError_tPvRmT2_T3_T4_T5_mT6_T7_P12ihipStream_tbENKUlT_T0_E_clISt17integral_constantIbLb0EES10_IbLb1EEEEDaSW_SX_EUlSW_E_NS1_11comp_targetILNS1_3genE8ELNS1_11target_archE1030ELNS1_3gpuE2ELNS1_3repE0EEENS1_30default_config_static_selectorELNS0_4arch9wavefront6targetE0EEEvT1_,"axG",@progbits,_ZN7rocprim17ROCPRIM_400000_NS6detail17trampoline_kernelINS0_14default_configENS1_27scan_by_key_config_selectorIisEEZZNS1_16scan_by_key_implILNS1_25lookback_scan_determinismE0ELb1ES3_N6thrust23THRUST_200600_302600_NS6detail15normal_iteratorINS9_10device_ptrIiEEEENSB_INSC_IsEEEESG_sNS9_4plusIvEENS9_8equal_toIvEEsEE10hipError_tPvRmT2_T3_T4_T5_mT6_T7_P12ihipStream_tbENKUlT_T0_E_clISt17integral_constantIbLb0EES10_IbLb1EEEEDaSW_SX_EUlSW_E_NS1_11comp_targetILNS1_3genE8ELNS1_11target_archE1030ELNS1_3gpuE2ELNS1_3repE0EEENS1_30default_config_static_selectorELNS0_4arch9wavefront6targetE0EEEvT1_,comdat
.Lfunc_end1642:
	.size	_ZN7rocprim17ROCPRIM_400000_NS6detail17trampoline_kernelINS0_14default_configENS1_27scan_by_key_config_selectorIisEEZZNS1_16scan_by_key_implILNS1_25lookback_scan_determinismE0ELb1ES3_N6thrust23THRUST_200600_302600_NS6detail15normal_iteratorINS9_10device_ptrIiEEEENSB_INSC_IsEEEESG_sNS9_4plusIvEENS9_8equal_toIvEEsEE10hipError_tPvRmT2_T3_T4_T5_mT6_T7_P12ihipStream_tbENKUlT_T0_E_clISt17integral_constantIbLb0EES10_IbLb1EEEEDaSW_SX_EUlSW_E_NS1_11comp_targetILNS1_3genE8ELNS1_11target_archE1030ELNS1_3gpuE2ELNS1_3repE0EEENS1_30default_config_static_selectorELNS0_4arch9wavefront6targetE0EEEvT1_, .Lfunc_end1642-_ZN7rocprim17ROCPRIM_400000_NS6detail17trampoline_kernelINS0_14default_configENS1_27scan_by_key_config_selectorIisEEZZNS1_16scan_by_key_implILNS1_25lookback_scan_determinismE0ELb1ES3_N6thrust23THRUST_200600_302600_NS6detail15normal_iteratorINS9_10device_ptrIiEEEENSB_INSC_IsEEEESG_sNS9_4plusIvEENS9_8equal_toIvEEsEE10hipError_tPvRmT2_T3_T4_T5_mT6_T7_P12ihipStream_tbENKUlT_T0_E_clISt17integral_constantIbLb0EES10_IbLb1EEEEDaSW_SX_EUlSW_E_NS1_11comp_targetILNS1_3genE8ELNS1_11target_archE1030ELNS1_3gpuE2ELNS1_3repE0EEENS1_30default_config_static_selectorELNS0_4arch9wavefront6targetE0EEEvT1_
                                        ; -- End function
	.set _ZN7rocprim17ROCPRIM_400000_NS6detail17trampoline_kernelINS0_14default_configENS1_27scan_by_key_config_selectorIisEEZZNS1_16scan_by_key_implILNS1_25lookback_scan_determinismE0ELb1ES3_N6thrust23THRUST_200600_302600_NS6detail15normal_iteratorINS9_10device_ptrIiEEEENSB_INSC_IsEEEESG_sNS9_4plusIvEENS9_8equal_toIvEEsEE10hipError_tPvRmT2_T3_T4_T5_mT6_T7_P12ihipStream_tbENKUlT_T0_E_clISt17integral_constantIbLb0EES10_IbLb1EEEEDaSW_SX_EUlSW_E_NS1_11comp_targetILNS1_3genE8ELNS1_11target_archE1030ELNS1_3gpuE2ELNS1_3repE0EEENS1_30default_config_static_selectorELNS0_4arch9wavefront6targetE0EEEvT1_.num_vgpr, 0
	.set _ZN7rocprim17ROCPRIM_400000_NS6detail17trampoline_kernelINS0_14default_configENS1_27scan_by_key_config_selectorIisEEZZNS1_16scan_by_key_implILNS1_25lookback_scan_determinismE0ELb1ES3_N6thrust23THRUST_200600_302600_NS6detail15normal_iteratorINS9_10device_ptrIiEEEENSB_INSC_IsEEEESG_sNS9_4plusIvEENS9_8equal_toIvEEsEE10hipError_tPvRmT2_T3_T4_T5_mT6_T7_P12ihipStream_tbENKUlT_T0_E_clISt17integral_constantIbLb0EES10_IbLb1EEEEDaSW_SX_EUlSW_E_NS1_11comp_targetILNS1_3genE8ELNS1_11target_archE1030ELNS1_3gpuE2ELNS1_3repE0EEENS1_30default_config_static_selectorELNS0_4arch9wavefront6targetE0EEEvT1_.num_agpr, 0
	.set _ZN7rocprim17ROCPRIM_400000_NS6detail17trampoline_kernelINS0_14default_configENS1_27scan_by_key_config_selectorIisEEZZNS1_16scan_by_key_implILNS1_25lookback_scan_determinismE0ELb1ES3_N6thrust23THRUST_200600_302600_NS6detail15normal_iteratorINS9_10device_ptrIiEEEENSB_INSC_IsEEEESG_sNS9_4plusIvEENS9_8equal_toIvEEsEE10hipError_tPvRmT2_T3_T4_T5_mT6_T7_P12ihipStream_tbENKUlT_T0_E_clISt17integral_constantIbLb0EES10_IbLb1EEEEDaSW_SX_EUlSW_E_NS1_11comp_targetILNS1_3genE8ELNS1_11target_archE1030ELNS1_3gpuE2ELNS1_3repE0EEENS1_30default_config_static_selectorELNS0_4arch9wavefront6targetE0EEEvT1_.numbered_sgpr, 0
	.set _ZN7rocprim17ROCPRIM_400000_NS6detail17trampoline_kernelINS0_14default_configENS1_27scan_by_key_config_selectorIisEEZZNS1_16scan_by_key_implILNS1_25lookback_scan_determinismE0ELb1ES3_N6thrust23THRUST_200600_302600_NS6detail15normal_iteratorINS9_10device_ptrIiEEEENSB_INSC_IsEEEESG_sNS9_4plusIvEENS9_8equal_toIvEEsEE10hipError_tPvRmT2_T3_T4_T5_mT6_T7_P12ihipStream_tbENKUlT_T0_E_clISt17integral_constantIbLb0EES10_IbLb1EEEEDaSW_SX_EUlSW_E_NS1_11comp_targetILNS1_3genE8ELNS1_11target_archE1030ELNS1_3gpuE2ELNS1_3repE0EEENS1_30default_config_static_selectorELNS0_4arch9wavefront6targetE0EEEvT1_.num_named_barrier, 0
	.set _ZN7rocprim17ROCPRIM_400000_NS6detail17trampoline_kernelINS0_14default_configENS1_27scan_by_key_config_selectorIisEEZZNS1_16scan_by_key_implILNS1_25lookback_scan_determinismE0ELb1ES3_N6thrust23THRUST_200600_302600_NS6detail15normal_iteratorINS9_10device_ptrIiEEEENSB_INSC_IsEEEESG_sNS9_4plusIvEENS9_8equal_toIvEEsEE10hipError_tPvRmT2_T3_T4_T5_mT6_T7_P12ihipStream_tbENKUlT_T0_E_clISt17integral_constantIbLb0EES10_IbLb1EEEEDaSW_SX_EUlSW_E_NS1_11comp_targetILNS1_3genE8ELNS1_11target_archE1030ELNS1_3gpuE2ELNS1_3repE0EEENS1_30default_config_static_selectorELNS0_4arch9wavefront6targetE0EEEvT1_.private_seg_size, 0
	.set _ZN7rocprim17ROCPRIM_400000_NS6detail17trampoline_kernelINS0_14default_configENS1_27scan_by_key_config_selectorIisEEZZNS1_16scan_by_key_implILNS1_25lookback_scan_determinismE0ELb1ES3_N6thrust23THRUST_200600_302600_NS6detail15normal_iteratorINS9_10device_ptrIiEEEENSB_INSC_IsEEEESG_sNS9_4plusIvEENS9_8equal_toIvEEsEE10hipError_tPvRmT2_T3_T4_T5_mT6_T7_P12ihipStream_tbENKUlT_T0_E_clISt17integral_constantIbLb0EES10_IbLb1EEEEDaSW_SX_EUlSW_E_NS1_11comp_targetILNS1_3genE8ELNS1_11target_archE1030ELNS1_3gpuE2ELNS1_3repE0EEENS1_30default_config_static_selectorELNS0_4arch9wavefront6targetE0EEEvT1_.uses_vcc, 0
	.set _ZN7rocprim17ROCPRIM_400000_NS6detail17trampoline_kernelINS0_14default_configENS1_27scan_by_key_config_selectorIisEEZZNS1_16scan_by_key_implILNS1_25lookback_scan_determinismE0ELb1ES3_N6thrust23THRUST_200600_302600_NS6detail15normal_iteratorINS9_10device_ptrIiEEEENSB_INSC_IsEEEESG_sNS9_4plusIvEENS9_8equal_toIvEEsEE10hipError_tPvRmT2_T3_T4_T5_mT6_T7_P12ihipStream_tbENKUlT_T0_E_clISt17integral_constantIbLb0EES10_IbLb1EEEEDaSW_SX_EUlSW_E_NS1_11comp_targetILNS1_3genE8ELNS1_11target_archE1030ELNS1_3gpuE2ELNS1_3repE0EEENS1_30default_config_static_selectorELNS0_4arch9wavefront6targetE0EEEvT1_.uses_flat_scratch, 0
	.set _ZN7rocprim17ROCPRIM_400000_NS6detail17trampoline_kernelINS0_14default_configENS1_27scan_by_key_config_selectorIisEEZZNS1_16scan_by_key_implILNS1_25lookback_scan_determinismE0ELb1ES3_N6thrust23THRUST_200600_302600_NS6detail15normal_iteratorINS9_10device_ptrIiEEEENSB_INSC_IsEEEESG_sNS9_4plusIvEENS9_8equal_toIvEEsEE10hipError_tPvRmT2_T3_T4_T5_mT6_T7_P12ihipStream_tbENKUlT_T0_E_clISt17integral_constantIbLb0EES10_IbLb1EEEEDaSW_SX_EUlSW_E_NS1_11comp_targetILNS1_3genE8ELNS1_11target_archE1030ELNS1_3gpuE2ELNS1_3repE0EEENS1_30default_config_static_selectorELNS0_4arch9wavefront6targetE0EEEvT1_.has_dyn_sized_stack, 0
	.set _ZN7rocprim17ROCPRIM_400000_NS6detail17trampoline_kernelINS0_14default_configENS1_27scan_by_key_config_selectorIisEEZZNS1_16scan_by_key_implILNS1_25lookback_scan_determinismE0ELb1ES3_N6thrust23THRUST_200600_302600_NS6detail15normal_iteratorINS9_10device_ptrIiEEEENSB_INSC_IsEEEESG_sNS9_4plusIvEENS9_8equal_toIvEEsEE10hipError_tPvRmT2_T3_T4_T5_mT6_T7_P12ihipStream_tbENKUlT_T0_E_clISt17integral_constantIbLb0EES10_IbLb1EEEEDaSW_SX_EUlSW_E_NS1_11comp_targetILNS1_3genE8ELNS1_11target_archE1030ELNS1_3gpuE2ELNS1_3repE0EEENS1_30default_config_static_selectorELNS0_4arch9wavefront6targetE0EEEvT1_.has_recursion, 0
	.set _ZN7rocprim17ROCPRIM_400000_NS6detail17trampoline_kernelINS0_14default_configENS1_27scan_by_key_config_selectorIisEEZZNS1_16scan_by_key_implILNS1_25lookback_scan_determinismE0ELb1ES3_N6thrust23THRUST_200600_302600_NS6detail15normal_iteratorINS9_10device_ptrIiEEEENSB_INSC_IsEEEESG_sNS9_4plusIvEENS9_8equal_toIvEEsEE10hipError_tPvRmT2_T3_T4_T5_mT6_T7_P12ihipStream_tbENKUlT_T0_E_clISt17integral_constantIbLb0EES10_IbLb1EEEEDaSW_SX_EUlSW_E_NS1_11comp_targetILNS1_3genE8ELNS1_11target_archE1030ELNS1_3gpuE2ELNS1_3repE0EEENS1_30default_config_static_selectorELNS0_4arch9wavefront6targetE0EEEvT1_.has_indirect_call, 0
	.section	.AMDGPU.csdata,"",@progbits
; Kernel info:
; codeLenInByte = 0
; TotalNumSgprs: 0
; NumVgprs: 0
; ScratchSize: 0
; MemoryBound: 0
; FloatMode: 240
; IeeeMode: 1
; LDSByteSize: 0 bytes/workgroup (compile time only)
; SGPRBlocks: 0
; VGPRBlocks: 0
; NumSGPRsForWavesPerEU: 1
; NumVGPRsForWavesPerEU: 1
; NamedBarCnt: 0
; Occupancy: 16
; WaveLimiterHint : 0
; COMPUTE_PGM_RSRC2:SCRATCH_EN: 0
; COMPUTE_PGM_RSRC2:USER_SGPR: 2
; COMPUTE_PGM_RSRC2:TRAP_HANDLER: 0
; COMPUTE_PGM_RSRC2:TGID_X_EN: 1
; COMPUTE_PGM_RSRC2:TGID_Y_EN: 0
; COMPUTE_PGM_RSRC2:TGID_Z_EN: 0
; COMPUTE_PGM_RSRC2:TIDIG_COMP_CNT: 0
	.section	.text._ZN6thrust23THRUST_200600_302600_NS11hip_rocprim14__parallel_for6kernelILj256ENS1_20__uninitialized_fill7functorINS0_10device_ptrIfEEfEEmLj1EEEvT0_T1_SA_,"axG",@progbits,_ZN6thrust23THRUST_200600_302600_NS11hip_rocprim14__parallel_for6kernelILj256ENS1_20__uninitialized_fill7functorINS0_10device_ptrIfEEfEEmLj1EEEvT0_T1_SA_,comdat
	.protected	_ZN6thrust23THRUST_200600_302600_NS11hip_rocprim14__parallel_for6kernelILj256ENS1_20__uninitialized_fill7functorINS0_10device_ptrIfEEfEEmLj1EEEvT0_T1_SA_ ; -- Begin function _ZN6thrust23THRUST_200600_302600_NS11hip_rocprim14__parallel_for6kernelILj256ENS1_20__uninitialized_fill7functorINS0_10device_ptrIfEEfEEmLj1EEEvT0_T1_SA_
	.globl	_ZN6thrust23THRUST_200600_302600_NS11hip_rocprim14__parallel_for6kernelILj256ENS1_20__uninitialized_fill7functorINS0_10device_ptrIfEEfEEmLj1EEEvT0_T1_SA_
	.p2align	8
	.type	_ZN6thrust23THRUST_200600_302600_NS11hip_rocprim14__parallel_for6kernelILj256ENS1_20__uninitialized_fill7functorINS0_10device_ptrIfEEfEEmLj1EEEvT0_T1_SA_,@function
_ZN6thrust23THRUST_200600_302600_NS11hip_rocprim14__parallel_for6kernelILj256ENS1_20__uninitialized_fill7functorINS0_10device_ptrIfEEfEEmLj1EEEvT0_T1_SA_: ; @_ZN6thrust23THRUST_200600_302600_NS11hip_rocprim14__parallel_for6kernelILj256ENS1_20__uninitialized_fill7functorINS0_10device_ptrIfEEfEEmLj1EEEvT0_T1_SA_
; %bb.0:
	s_load_b128 s[8:11], s[0:1], 0x10
	s_bfe_u32 s2, ttmp6, 0x4000c
	s_and_b32 s3, ttmp6, 15
	s_add_co_i32 s2, s2, 1
	s_getreg_b32 s4, hwreg(HW_REG_IB_STS2, 6, 4)
	s_mul_i32 s2, ttmp9, s2
	s_delay_alu instid0(SALU_CYCLE_1)
	s_add_co_i32 s3, s3, s2
	s_cmp_eq_u32 s4, 0
	s_load_b96 s[4:6], s[0:1], 0x0
	s_wait_xcnt 0x0
	s_cselect_b32 s0, ttmp9, s3
	s_mov_b32 s1, 0
	s_lshl_b32 s0, s0, 8
	s_wait_kmcnt 0x0
	s_add_nc_u64 s[0:1], s[10:11], s[0:1]
	s_delay_alu instid0(SALU_CYCLE_1) | instskip(NEXT) | instid1(SALU_CYCLE_1)
	s_sub_nc_u64 s[2:3], s[8:9], s[0:1]
	v_cmp_lt_u64_e64 s3, 0xff, s[2:3]
	s_and_b32 vcc_lo, exec_lo, s3
	s_mov_b32 s3, -1
	s_cbranch_vccz .LBB1643_3
; %bb.1:
	s_and_not1_b32 vcc_lo, exec_lo, s3
	s_cbranch_vccz .LBB1643_6
.LBB1643_2:
	s_endpgm
.LBB1643_3:
	v_cmp_gt_u32_e32 vcc_lo, s2, v0
	s_and_saveexec_b32 s2, vcc_lo
	s_cbranch_execz .LBB1643_5
; %bb.4:
	v_mov_b32_e32 v1, s6
	s_lshl_b64 s[8:9], s[0:1], 2
	s_delay_alu instid0(SALU_CYCLE_1)
	s_add_nc_u64 s[8:9], s[4:5], s[8:9]
	flat_store_b32 v0, v1, s[8:9] scale_offset
.LBB1643_5:
	s_wait_xcnt 0x0
	s_or_b32 exec_lo, exec_lo, s2
	s_cbranch_execnz .LBB1643_2
.LBB1643_6:
	v_mov_b32_e32 v1, s6
	s_lshl_b64 s[0:1], s[0:1], 2
	s_delay_alu instid0(SALU_CYCLE_1)
	s_add_nc_u64 s[0:1], s[4:5], s[0:1]
	flat_store_b32 v0, v1, s[0:1] scale_offset
	s_endpgm
	.section	.rodata,"a",@progbits
	.p2align	6, 0x0
	.amdhsa_kernel _ZN6thrust23THRUST_200600_302600_NS11hip_rocprim14__parallel_for6kernelILj256ENS1_20__uninitialized_fill7functorINS0_10device_ptrIfEEfEEmLj1EEEvT0_T1_SA_
		.amdhsa_group_segment_fixed_size 0
		.amdhsa_private_segment_fixed_size 0
		.amdhsa_kernarg_size 32
		.amdhsa_user_sgpr_count 2
		.amdhsa_user_sgpr_dispatch_ptr 0
		.amdhsa_user_sgpr_queue_ptr 0
		.amdhsa_user_sgpr_kernarg_segment_ptr 1
		.amdhsa_user_sgpr_dispatch_id 0
		.amdhsa_user_sgpr_kernarg_preload_length 0
		.amdhsa_user_sgpr_kernarg_preload_offset 0
		.amdhsa_user_sgpr_private_segment_size 0
		.amdhsa_wavefront_size32 1
		.amdhsa_uses_dynamic_stack 0
		.amdhsa_enable_private_segment 0
		.amdhsa_system_sgpr_workgroup_id_x 1
		.amdhsa_system_sgpr_workgroup_id_y 0
		.amdhsa_system_sgpr_workgroup_id_z 0
		.amdhsa_system_sgpr_workgroup_info 0
		.amdhsa_system_vgpr_workitem_id 0
		.amdhsa_next_free_vgpr 2
		.amdhsa_next_free_sgpr 12
		.amdhsa_named_barrier_count 0
		.amdhsa_reserve_vcc 1
		.amdhsa_float_round_mode_32 0
		.amdhsa_float_round_mode_16_64 0
		.amdhsa_float_denorm_mode_32 3
		.amdhsa_float_denorm_mode_16_64 3
		.amdhsa_fp16_overflow 0
		.amdhsa_memory_ordered 1
		.amdhsa_forward_progress 1
		.amdhsa_inst_pref_size 2
		.amdhsa_round_robin_scheduling 0
		.amdhsa_exception_fp_ieee_invalid_op 0
		.amdhsa_exception_fp_denorm_src 0
		.amdhsa_exception_fp_ieee_div_zero 0
		.amdhsa_exception_fp_ieee_overflow 0
		.amdhsa_exception_fp_ieee_underflow 0
		.amdhsa_exception_fp_ieee_inexact 0
		.amdhsa_exception_int_div_zero 0
	.end_amdhsa_kernel
	.section	.text._ZN6thrust23THRUST_200600_302600_NS11hip_rocprim14__parallel_for6kernelILj256ENS1_20__uninitialized_fill7functorINS0_10device_ptrIfEEfEEmLj1EEEvT0_T1_SA_,"axG",@progbits,_ZN6thrust23THRUST_200600_302600_NS11hip_rocprim14__parallel_for6kernelILj256ENS1_20__uninitialized_fill7functorINS0_10device_ptrIfEEfEEmLj1EEEvT0_T1_SA_,comdat
.Lfunc_end1643:
	.size	_ZN6thrust23THRUST_200600_302600_NS11hip_rocprim14__parallel_for6kernelILj256ENS1_20__uninitialized_fill7functorINS0_10device_ptrIfEEfEEmLj1EEEvT0_T1_SA_, .Lfunc_end1643-_ZN6thrust23THRUST_200600_302600_NS11hip_rocprim14__parallel_for6kernelILj256ENS1_20__uninitialized_fill7functorINS0_10device_ptrIfEEfEEmLj1EEEvT0_T1_SA_
                                        ; -- End function
	.set _ZN6thrust23THRUST_200600_302600_NS11hip_rocprim14__parallel_for6kernelILj256ENS1_20__uninitialized_fill7functorINS0_10device_ptrIfEEfEEmLj1EEEvT0_T1_SA_.num_vgpr, 2
	.set _ZN6thrust23THRUST_200600_302600_NS11hip_rocprim14__parallel_for6kernelILj256ENS1_20__uninitialized_fill7functorINS0_10device_ptrIfEEfEEmLj1EEEvT0_T1_SA_.num_agpr, 0
	.set _ZN6thrust23THRUST_200600_302600_NS11hip_rocprim14__parallel_for6kernelILj256ENS1_20__uninitialized_fill7functorINS0_10device_ptrIfEEfEEmLj1EEEvT0_T1_SA_.numbered_sgpr, 12
	.set _ZN6thrust23THRUST_200600_302600_NS11hip_rocprim14__parallel_for6kernelILj256ENS1_20__uninitialized_fill7functorINS0_10device_ptrIfEEfEEmLj1EEEvT0_T1_SA_.num_named_barrier, 0
	.set _ZN6thrust23THRUST_200600_302600_NS11hip_rocprim14__parallel_for6kernelILj256ENS1_20__uninitialized_fill7functorINS0_10device_ptrIfEEfEEmLj1EEEvT0_T1_SA_.private_seg_size, 0
	.set _ZN6thrust23THRUST_200600_302600_NS11hip_rocprim14__parallel_for6kernelILj256ENS1_20__uninitialized_fill7functorINS0_10device_ptrIfEEfEEmLj1EEEvT0_T1_SA_.uses_vcc, 1
	.set _ZN6thrust23THRUST_200600_302600_NS11hip_rocprim14__parallel_for6kernelILj256ENS1_20__uninitialized_fill7functorINS0_10device_ptrIfEEfEEmLj1EEEvT0_T1_SA_.uses_flat_scratch, 0
	.set _ZN6thrust23THRUST_200600_302600_NS11hip_rocprim14__parallel_for6kernelILj256ENS1_20__uninitialized_fill7functorINS0_10device_ptrIfEEfEEmLj1EEEvT0_T1_SA_.has_dyn_sized_stack, 0
	.set _ZN6thrust23THRUST_200600_302600_NS11hip_rocprim14__parallel_for6kernelILj256ENS1_20__uninitialized_fill7functorINS0_10device_ptrIfEEfEEmLj1EEEvT0_T1_SA_.has_recursion, 0
	.set _ZN6thrust23THRUST_200600_302600_NS11hip_rocprim14__parallel_for6kernelILj256ENS1_20__uninitialized_fill7functorINS0_10device_ptrIfEEfEEmLj1EEEvT0_T1_SA_.has_indirect_call, 0
	.section	.AMDGPU.csdata,"",@progbits
; Kernel info:
; codeLenInByte = 204
; TotalNumSgprs: 14
; NumVgprs: 2
; ScratchSize: 0
; MemoryBound: 0
; FloatMode: 240
; IeeeMode: 1
; LDSByteSize: 0 bytes/workgroup (compile time only)
; SGPRBlocks: 0
; VGPRBlocks: 0
; NumSGPRsForWavesPerEU: 14
; NumVGPRsForWavesPerEU: 2
; NamedBarCnt: 0
; Occupancy: 16
; WaveLimiterHint : 0
; COMPUTE_PGM_RSRC2:SCRATCH_EN: 0
; COMPUTE_PGM_RSRC2:USER_SGPR: 2
; COMPUTE_PGM_RSRC2:TRAP_HANDLER: 0
; COMPUTE_PGM_RSRC2:TGID_X_EN: 1
; COMPUTE_PGM_RSRC2:TGID_Y_EN: 0
; COMPUTE_PGM_RSRC2:TGID_Z_EN: 0
; COMPUTE_PGM_RSRC2:TIDIG_COMP_CNT: 0
	.section	.text._ZN7rocprim17ROCPRIM_400000_NS6detail17trampoline_kernelINS0_14default_configENS1_27scan_by_key_config_selectorIijEEZZNS1_16scan_by_key_implILNS1_25lookback_scan_determinismE0ELb0ES3_N6thrust23THRUST_200600_302600_NS6detail15normal_iteratorINS9_10device_ptrIiEEEENSB_INSC_IjEEEENSB_INSC_IfEEEEjNS9_4plusIvEENS9_8equal_toIvEEjEE10hipError_tPvRmT2_T3_T4_T5_mT6_T7_P12ihipStream_tbENKUlT_T0_E_clISt17integral_constantIbLb0EES13_EEDaSY_SZ_EUlSY_E_NS1_11comp_targetILNS1_3genE0ELNS1_11target_archE4294967295ELNS1_3gpuE0ELNS1_3repE0EEENS1_30default_config_static_selectorELNS0_4arch9wavefront6targetE0EEEvT1_,"axG",@progbits,_ZN7rocprim17ROCPRIM_400000_NS6detail17trampoline_kernelINS0_14default_configENS1_27scan_by_key_config_selectorIijEEZZNS1_16scan_by_key_implILNS1_25lookback_scan_determinismE0ELb0ES3_N6thrust23THRUST_200600_302600_NS6detail15normal_iteratorINS9_10device_ptrIiEEEENSB_INSC_IjEEEENSB_INSC_IfEEEEjNS9_4plusIvEENS9_8equal_toIvEEjEE10hipError_tPvRmT2_T3_T4_T5_mT6_T7_P12ihipStream_tbENKUlT_T0_E_clISt17integral_constantIbLb0EES13_EEDaSY_SZ_EUlSY_E_NS1_11comp_targetILNS1_3genE0ELNS1_11target_archE4294967295ELNS1_3gpuE0ELNS1_3repE0EEENS1_30default_config_static_selectorELNS0_4arch9wavefront6targetE0EEEvT1_,comdat
	.protected	_ZN7rocprim17ROCPRIM_400000_NS6detail17trampoline_kernelINS0_14default_configENS1_27scan_by_key_config_selectorIijEEZZNS1_16scan_by_key_implILNS1_25lookback_scan_determinismE0ELb0ES3_N6thrust23THRUST_200600_302600_NS6detail15normal_iteratorINS9_10device_ptrIiEEEENSB_INSC_IjEEEENSB_INSC_IfEEEEjNS9_4plusIvEENS9_8equal_toIvEEjEE10hipError_tPvRmT2_T3_T4_T5_mT6_T7_P12ihipStream_tbENKUlT_T0_E_clISt17integral_constantIbLb0EES13_EEDaSY_SZ_EUlSY_E_NS1_11comp_targetILNS1_3genE0ELNS1_11target_archE4294967295ELNS1_3gpuE0ELNS1_3repE0EEENS1_30default_config_static_selectorELNS0_4arch9wavefront6targetE0EEEvT1_ ; -- Begin function _ZN7rocprim17ROCPRIM_400000_NS6detail17trampoline_kernelINS0_14default_configENS1_27scan_by_key_config_selectorIijEEZZNS1_16scan_by_key_implILNS1_25lookback_scan_determinismE0ELb0ES3_N6thrust23THRUST_200600_302600_NS6detail15normal_iteratorINS9_10device_ptrIiEEEENSB_INSC_IjEEEENSB_INSC_IfEEEEjNS9_4plusIvEENS9_8equal_toIvEEjEE10hipError_tPvRmT2_T3_T4_T5_mT6_T7_P12ihipStream_tbENKUlT_T0_E_clISt17integral_constantIbLb0EES13_EEDaSY_SZ_EUlSY_E_NS1_11comp_targetILNS1_3genE0ELNS1_11target_archE4294967295ELNS1_3gpuE0ELNS1_3repE0EEENS1_30default_config_static_selectorELNS0_4arch9wavefront6targetE0EEEvT1_
	.globl	_ZN7rocprim17ROCPRIM_400000_NS6detail17trampoline_kernelINS0_14default_configENS1_27scan_by_key_config_selectorIijEEZZNS1_16scan_by_key_implILNS1_25lookback_scan_determinismE0ELb0ES3_N6thrust23THRUST_200600_302600_NS6detail15normal_iteratorINS9_10device_ptrIiEEEENSB_INSC_IjEEEENSB_INSC_IfEEEEjNS9_4plusIvEENS9_8equal_toIvEEjEE10hipError_tPvRmT2_T3_T4_T5_mT6_T7_P12ihipStream_tbENKUlT_T0_E_clISt17integral_constantIbLb0EES13_EEDaSY_SZ_EUlSY_E_NS1_11comp_targetILNS1_3genE0ELNS1_11target_archE4294967295ELNS1_3gpuE0ELNS1_3repE0EEENS1_30default_config_static_selectorELNS0_4arch9wavefront6targetE0EEEvT1_
	.p2align	8
	.type	_ZN7rocprim17ROCPRIM_400000_NS6detail17trampoline_kernelINS0_14default_configENS1_27scan_by_key_config_selectorIijEEZZNS1_16scan_by_key_implILNS1_25lookback_scan_determinismE0ELb0ES3_N6thrust23THRUST_200600_302600_NS6detail15normal_iteratorINS9_10device_ptrIiEEEENSB_INSC_IjEEEENSB_INSC_IfEEEEjNS9_4plusIvEENS9_8equal_toIvEEjEE10hipError_tPvRmT2_T3_T4_T5_mT6_T7_P12ihipStream_tbENKUlT_T0_E_clISt17integral_constantIbLb0EES13_EEDaSY_SZ_EUlSY_E_NS1_11comp_targetILNS1_3genE0ELNS1_11target_archE4294967295ELNS1_3gpuE0ELNS1_3repE0EEENS1_30default_config_static_selectorELNS0_4arch9wavefront6targetE0EEEvT1_,@function
_ZN7rocprim17ROCPRIM_400000_NS6detail17trampoline_kernelINS0_14default_configENS1_27scan_by_key_config_selectorIijEEZZNS1_16scan_by_key_implILNS1_25lookback_scan_determinismE0ELb0ES3_N6thrust23THRUST_200600_302600_NS6detail15normal_iteratorINS9_10device_ptrIiEEEENSB_INSC_IjEEEENSB_INSC_IfEEEEjNS9_4plusIvEENS9_8equal_toIvEEjEE10hipError_tPvRmT2_T3_T4_T5_mT6_T7_P12ihipStream_tbENKUlT_T0_E_clISt17integral_constantIbLb0EES13_EEDaSY_SZ_EUlSY_E_NS1_11comp_targetILNS1_3genE0ELNS1_11target_archE4294967295ELNS1_3gpuE0ELNS1_3repE0EEENS1_30default_config_static_selectorELNS0_4arch9wavefront6targetE0EEEvT1_: ; @_ZN7rocprim17ROCPRIM_400000_NS6detail17trampoline_kernelINS0_14default_configENS1_27scan_by_key_config_selectorIijEEZZNS1_16scan_by_key_implILNS1_25lookback_scan_determinismE0ELb0ES3_N6thrust23THRUST_200600_302600_NS6detail15normal_iteratorINS9_10device_ptrIiEEEENSB_INSC_IjEEEENSB_INSC_IfEEEEjNS9_4plusIvEENS9_8equal_toIvEEjEE10hipError_tPvRmT2_T3_T4_T5_mT6_T7_P12ihipStream_tbENKUlT_T0_E_clISt17integral_constantIbLb0EES13_EEDaSY_SZ_EUlSY_E_NS1_11comp_targetILNS1_3genE0ELNS1_11target_archE4294967295ELNS1_3gpuE0ELNS1_3repE0EEENS1_30default_config_static_selectorELNS0_4arch9wavefront6targetE0EEEvT1_
; %bb.0:
	s_clause 0x3
	s_load_b256 s[8:15], s[0:1], 0x0
	s_load_b256 s[16:23], s[0:1], 0x48
	s_load_b96 s[28:30], s[0:1], 0x38
	s_load_b128 s[24:27], s[0:1], 0x28
	s_getreg_b32 s4, hwreg(HW_REG_IB_STS2, 6, 4)
	s_wait_xcnt 0x0
	s_mov_b32 s1, 0
	s_barrier_signal -1
	s_barrier_wait -1
	s_wait_kmcnt 0x0
	s_lshl_b64 s[34:35], s[10:11], 2
	s_cmp_lg_u64 s[20:21], 0
	s_mov_b32 s0, s30
	s_cselect_b32 s33, -1, 0
	s_bfe_u32 s2, ttmp6, 0x4000c
	s_and_b32 s5, ttmp6, 15
	s_add_co_i32 s2, s2, 1
	s_mov_b32 s21, s1
	s_mul_i32 s6, ttmp9, s2
	s_add_nc_u64 s[2:3], s[8:9], s[34:35]
	s_add_co_i32 s6, s5, s6
	s_cmp_eq_u32 s4, 0
	s_mul_u64 s[4:5], s[28:29], s[0:1]
	s_cselect_b32 s20, ttmp9, s6
	s_add_nc_u64 s[6:7], s[12:13], s[34:35]
	s_add_nc_u64 s[36:37], s[4:5], s[20:21]
	s_add_nc_u64 s[4:5], s[16:17], -1
	s_mul_i32 s0, s20, 0xc00
	v_cmp_ge_u64_e64 s21, s[36:37], s[4:5]
	s_lshl_b64 s[16:17], s[0:1], 2
	s_mul_i32 s27, s4, 0xfffff400
	s_add_nc_u64 s[30:31], s[2:3], s[16:17]
	s_add_nc_u64 s[12:13], s[6:7], s[16:17]
	s_and_b32 vcc_lo, exec_lo, s21
	s_cbranch_vccz .LBB1644_28
; %bb.1:
	v_mov_b32_e32 v1, 0
	s_add_co_i32 s40, s27, s26
	s_delay_alu instid0(SALU_CYCLE_1)
	v_cmp_gt_u32_e64 s0, s40, v0
	flat_load_b32 v1, v1, s[30:31]
	s_wait_loadcnt_dscnt 0x0
	v_mov_b32_e32 v2, v1
	s_and_saveexec_b32 s1, s0
	s_cbranch_execz .LBB1644_3
; %bb.2:
	flat_load_b32 v2, v0, s[30:31] scale_offset
.LBB1644_3:
	s_wait_xcnt 0x0
	s_or_b32 exec_lo, exec_lo, s1
	v_or_b32_e32 v3, 0x100, v0
	v_mov_b32_e32 v4, v1
	s_delay_alu instid0(VALU_DEP_2)
	v_cmp_gt_u32_e64 s1, s40, v3
	s_and_saveexec_b32 s2, s1
	s_cbranch_execz .LBB1644_5
; %bb.4:
	flat_load_b32 v4, v0, s[30:31] offset:1024 scale_offset
.LBB1644_5:
	s_wait_xcnt 0x0
	s_or_b32 exec_lo, exec_lo, s2
	v_or_b32_e32 v3, 0x200, v0
	v_mov_b32_e32 v5, v1
	s_delay_alu instid0(VALU_DEP_2)
	v_cmp_gt_u32_e64 s2, s40, v3
	s_and_saveexec_b32 s3, s2
	s_cbranch_execz .LBB1644_7
; %bb.6:
	flat_load_b32 v5, v0, s[30:31] offset:2048 scale_offset
.LBB1644_7:
	s_wait_xcnt 0x0
	s_or_b32 exec_lo, exec_lo, s3
	v_or_b32_e32 v3, 0x300, v0
	v_mov_b32_e32 v6, v1
	s_delay_alu instid0(VALU_DEP_2)
	v_cmp_gt_u32_e64 s3, s40, v3
	s_and_saveexec_b32 s4, s3
	s_cbranch_execz .LBB1644_9
; %bb.8:
	flat_load_b32 v6, v0, s[30:31] offset:3072 scale_offset
.LBB1644_9:
	s_wait_xcnt 0x0
	s_or_b32 exec_lo, exec_lo, s4
	v_or_b32_e32 v3, 0x400, v0
	v_mov_b32_e32 v7, v1
	s_delay_alu instid0(VALU_DEP_2)
	v_cmp_gt_u32_e64 s4, s40, v3
	s_and_saveexec_b32 s5, s4
	s_cbranch_execz .LBB1644_11
; %bb.10:
	flat_load_b32 v7, v0, s[30:31] offset:4096 scale_offset
.LBB1644_11:
	s_wait_xcnt 0x0
	s_or_b32 exec_lo, exec_lo, s5
	v_or_b32_e32 v3, 0x500, v0
	v_mov_b32_e32 v8, v1
	s_delay_alu instid0(VALU_DEP_2)
	v_cmp_gt_u32_e64 s5, s40, v3
	s_and_saveexec_b32 s6, s5
	s_cbranch_execz .LBB1644_13
; %bb.12:
	flat_load_b32 v8, v0, s[30:31] offset:5120 scale_offset
.LBB1644_13:
	s_wait_xcnt 0x0
	s_or_b32 exec_lo, exec_lo, s6
	v_or_b32_e32 v3, 0x600, v0
	v_mov_b32_e32 v9, v1
	s_delay_alu instid0(VALU_DEP_2)
	v_cmp_gt_u32_e64 s6, s40, v3
	s_and_saveexec_b32 s7, s6
	s_cbranch_execz .LBB1644_15
; %bb.14:
	flat_load_b32 v9, v0, s[30:31] offset:6144 scale_offset
.LBB1644_15:
	s_wait_xcnt 0x0
	s_or_b32 exec_lo, exec_lo, s7
	v_or_b32_e32 v3, 0x700, v0
	v_mov_b32_e32 v10, v1
	s_delay_alu instid0(VALU_DEP_2)
	v_cmp_gt_u32_e64 s7, s40, v3
	s_and_saveexec_b32 s8, s7
	s_cbranch_execz .LBB1644_17
; %bb.16:
	flat_load_b32 v10, v0, s[30:31] offset:7168 scale_offset
.LBB1644_17:
	s_wait_xcnt 0x0
	s_or_b32 exec_lo, exec_lo, s8
	v_or_b32_e32 v3, 0x800, v0
	v_mov_b32_e32 v11, v1
	s_delay_alu instid0(VALU_DEP_2)
	v_cmp_gt_u32_e64 s8, s40, v3
	s_and_saveexec_b32 s9, s8
	s_cbranch_execz .LBB1644_19
; %bb.18:
	flat_load_b32 v11, v0, s[30:31] offset:8192 scale_offset
.LBB1644_19:
	s_wait_xcnt 0x0
	s_or_b32 exec_lo, exec_lo, s9
	v_or_b32_e32 v3, 0x900, v0
	v_mov_b32_e32 v12, v1
	s_delay_alu instid0(VALU_DEP_2)
	v_cmp_gt_u32_e64 s9, s40, v3
	s_and_saveexec_b32 s10, s9
	s_cbranch_execz .LBB1644_21
; %bb.20:
	flat_load_b32 v12, v0, s[30:31] offset:9216 scale_offset
.LBB1644_21:
	s_wait_xcnt 0x0
	s_or_b32 exec_lo, exec_lo, s10
	v_or_b32_e32 v3, 0xa00, v0
	v_mov_b32_e32 v13, v1
	s_delay_alu instid0(VALU_DEP_2)
	v_cmp_gt_u32_e64 s10, s40, v3
	s_and_saveexec_b32 s11, s10
	s_cbranch_execz .LBB1644_23
; %bb.22:
	flat_load_b32 v13, v0, s[30:31] offset:10240 scale_offset
.LBB1644_23:
	s_wait_xcnt 0x0
	s_or_b32 exec_lo, exec_lo, s11
	v_or_b32_e32 v3, 0xb00, v0
	s_mov_b32 s38, exec_lo
	s_delay_alu instid0(VALU_DEP_1) | instskip(SKIP_2) | instid1(SALU_CYCLE_1)
	v_cmp_gt_u32_e64 s11, s40, v3
	v_cmpx_le_u32_e64 s40, v3
	s_xor_b32 s38, exec_lo, s38
	s_and_not1_saveexec_b32 s38, s38
	s_cbranch_execz .LBB1644_25
; %bb.24:
	flat_load_b32 v1, v0, s[30:31] offset:11264 scale_offset
.LBB1644_25:
	s_wait_xcnt 0x0
	s_or_b32 exec_lo, exec_lo, s38
	v_lshlrev_b32_e32 v3, 2, v0
	s_cmp_eq_u64 s[36:37], 0
	s_mov_b64 s[38:39], s[30:31]
	s_wait_loadcnt_dscnt 0x0
	ds_store_2addr_stride64_b32 v3, v2, v4 offset1:4
	ds_store_2addr_stride64_b32 v3, v5, v6 offset0:8 offset1:12
	ds_store_2addr_stride64_b32 v3, v7, v8 offset0:16 offset1:20
	;; [unrolled: 1-line block ×5, first 2 shown]
	v_mad_u32_u24 v1, v0, 44, v3
	s_wait_dscnt 0x0
	s_barrier_signal -1
	s_barrier_wait -1
	ds_load_b128 v[14:17], v1
	ds_load_b128 v[10:13], v1 offset:16
	ds_load_b128 v[6:9], v1 offset:32
	s_cbranch_scc1 .LBB1644_31
; %bb.26:
	s_and_not1_b32 vcc_lo, exec_lo, s33
	s_cbranch_vccnz .LBB1644_29
; %bb.27:
	s_lshl_b64 s[38:39], s[36:37], 2
	s_mov_b32 s41, 0
	s_add_nc_u64 s[38:39], s[22:23], s[38:39]
	s_delay_alu instid0(SALU_CYCLE_1)
	s_add_nc_u64 s[38:39], s[38:39], -4
	s_branch .LBB1644_30
.LBB1644_28:
                                        ; implicit-def: $sgpr3
                                        ; implicit-def: $vgpr5
                                        ; implicit-def: $vgpr18_vgpr19
                                        ; implicit-def: $vgpr42_vgpr43
                                        ; implicit-def: $vgpr46_vgpr47
                                        ; implicit-def: $vgpr44_vgpr45
                                        ; implicit-def: $vgpr48_vgpr49
                                        ; implicit-def: $vgpr50_vgpr51
                                        ; implicit-def: $vgpr52_vgpr53
                                        ; implicit-def: $vgpr54_vgpr55
                                        ; implicit-def: $vgpr56_vgpr57
                                        ; implicit-def: $vgpr58_vgpr59
                                        ; implicit-def: $vgpr38_vgpr39
                                        ; implicit-def: $vgpr36_vgpr37
                                        ; implicit-def: $vgpr34_vgpr35
                                        ; implicit-def: $vgpr32_vgpr33
                                        ; implicit-def: $vgpr30_vgpr31
                                        ; implicit-def: $vgpr28_vgpr29
                                        ; implicit-def: $vgpr26_vgpr27
                                        ; implicit-def: $vgpr24_vgpr25
                                        ; implicit-def: $vgpr22_vgpr23
                                        ; implicit-def: $vgpr20_vgpr21
	v_lshlrev_b32_e32 v16, 2, v0
	s_cbranch_execnz .LBB1644_69
	s_branch .LBB1644_88
.LBB1644_29:
	s_add_nc_u64 s[38:39], s[30:31], -4
	s_mov_b32 s41, -1
.LBB1644_30:
	s_delay_alu instid0(SALU_CYCLE_1)
	s_and_not1_b32 vcc_lo, exec_lo, s41
.LBB1644_31:
	v_mov_b32_e32 v2, 0
	v_mad_i32_i24 v4, 0xffffffd4, v0, v1
	flat_load_b32 v2, v2, s[38:39]
	s_wait_xcnt 0x0
	s_mov_b32 s38, exec_lo
	s_wait_dscnt 0x1
	ds_store_b32 v4, v9 offset:12288
	s_wait_loadcnt_dscnt 0x0
	s_barrier_signal -1
	s_barrier_wait -1
	v_cmpx_ne_u32_e32 0, v0
; %bb.32:
	v_mul_i32_i24_e32 v2, 0xffffffd4, v0
	s_delay_alu instid0(VALU_DEP_1)
	v_add_nc_u32_e32 v2, v1, v2
	ds_load_b32 v2, v2 offset:12284
; %bb.33:
	s_or_b32 exec_lo, exec_lo, s38
	s_wait_dscnt 0x0
	s_barrier_signal -1
	s_barrier_wait -1
                                        ; implicit-def: $vgpr5
	s_and_saveexec_b32 s38, s0
	s_cbranch_execnz .LBB1644_72
; %bb.34:
	s_or_b32 exec_lo, exec_lo, s38
                                        ; implicit-def: $vgpr18
	s_and_saveexec_b32 s0, s1
	s_cbranch_execnz .LBB1644_73
.LBB1644_35:
	s_or_b32 exec_lo, exec_lo, s0
                                        ; implicit-def: $vgpr19
	s_and_saveexec_b32 s0, s2
	s_cbranch_execnz .LBB1644_74
.LBB1644_36:
	s_or_b32 exec_lo, exec_lo, s0
                                        ; implicit-def: $vgpr20
	s_and_saveexec_b32 s0, s3
	s_cbranch_execnz .LBB1644_75
.LBB1644_37:
	s_or_b32 exec_lo, exec_lo, s0
                                        ; implicit-def: $vgpr21
	s_and_saveexec_b32 s0, s4
	s_cbranch_execnz .LBB1644_76
.LBB1644_38:
	s_or_b32 exec_lo, exec_lo, s0
                                        ; implicit-def: $vgpr22
	s_and_saveexec_b32 s0, s5
	s_cbranch_execnz .LBB1644_77
.LBB1644_39:
	s_or_b32 exec_lo, exec_lo, s0
                                        ; implicit-def: $vgpr23
	s_and_saveexec_b32 s0, s6
	s_cbranch_execnz .LBB1644_78
.LBB1644_40:
	s_or_b32 exec_lo, exec_lo, s0
                                        ; implicit-def: $vgpr24
	s_and_saveexec_b32 s0, s7
	s_cbranch_execnz .LBB1644_79
.LBB1644_41:
	s_or_b32 exec_lo, exec_lo, s0
                                        ; implicit-def: $vgpr25
	s_and_saveexec_b32 s0, s8
	s_cbranch_execnz .LBB1644_80
.LBB1644_42:
	s_or_b32 exec_lo, exec_lo, s0
                                        ; implicit-def: $vgpr26
	s_and_saveexec_b32 s0, s9
	s_cbranch_execnz .LBB1644_81
.LBB1644_43:
	s_or_b32 exec_lo, exec_lo, s0
                                        ; implicit-def: $vgpr27
	s_and_saveexec_b32 s0, s10
	s_cbranch_execnz .LBB1644_82
.LBB1644_44:
	s_or_b32 exec_lo, exec_lo, s0
                                        ; implicit-def: $vgpr28
	s_and_saveexec_b32 s0, s11
	s_cbranch_execz .LBB1644_46
.LBB1644_45:
	flat_load_b32 v28, v0, s[12:13] offset:11264 scale_offset
.LBB1644_46:
	s_wait_xcnt 0x0
	s_or_b32 exec_lo, exec_lo, s0
	s_wait_loadcnt_dscnt 0x0
	ds_store_2addr_stride64_b32 v3, v5, v18 offset1:4
	ds_store_2addr_stride64_b32 v3, v19, v20 offset0:8 offset1:12
	ds_store_2addr_stride64_b32 v3, v21, v22 offset0:16 offset1:20
	;; [unrolled: 1-line block ×5, first 2 shown]
	v_mov_b64_e32 v[18:19], 0
	v_mov_b64_e32 v[42:43], 0
	;; [unrolled: 1-line block ×20, first 2 shown]
	v_mul_u32_u24_e32 v4, 12, v0
	s_mov_b32 s2, 0
	s_mov_b32 s1, 0
	s_mov_b32 s4, exec_lo
	s_wait_dscnt 0x0
	s_barrier_signal -1
	s_barrier_wait -1
                                        ; implicit-def: $sgpr3
                                        ; implicit-def: $vgpr5
	v_cmpx_gt_u32_e64 s40, v4
	s_cbranch_execz .LBB1644_68
; %bb.47:
	ds_load_b32 v18, v1
	v_cmp_ne_u32_e32 vcc_lo, v2, v14
	v_mov_b64_e32 v[42:43], 0
	v_mov_b64_e32 v[46:47], 0
	;; [unrolled: 1-line block ×18, first 2 shown]
	v_or_b32_e32 v3, 1, v4
	v_cndmask_b32_e64 v19, 0, 1, vcc_lo
	s_mov_b32 s0, 0
	s_mov_b32 s1, exec_lo
                                        ; implicit-def: $sgpr3
                                        ; implicit-def: $vgpr5
	s_delay_alu instid0(VALU_DEP_2)
	v_cmpx_gt_u32_e64 s40, v3
	s_cbranch_execz .LBB1644_67
; %bb.48:
	ds_load_2addr_b32 v[42:43], v1 offset0:1 offset1:2
	v_cmp_ne_u32_e32 vcc_lo, v14, v15
	v_mov_b64_e32 v[46:47], 0
	v_mov_b64_e32 v[44:45], 0
	;; [unrolled: 1-line block ×16, first 2 shown]
	v_or_b32_e32 v3, 2, v4
	v_cndmask_b32_e64 v2, 0, 1, vcc_lo
	s_mov_b32 s5, exec_lo
                                        ; implicit-def: $sgpr3
                                        ; implicit-def: $vgpr5
	s_delay_alu instid0(VALU_DEP_2)
	v_cmpx_gt_u32_e64 s40, v3
	s_cbranch_execz .LBB1644_66
; %bb.49:
	v_cmp_ne_u32_e32 vcc_lo, v15, v16
	v_mov_b64_e32 v[44:45], 0
	v_mov_b64_e32 v[48:49], 0
	;; [unrolled: 1-line block ×14, first 2 shown]
	v_or_b32_e32 v3, 3, v4
	v_cndmask_b32_e64 v47, 0, 1, vcc_lo
	s_mov_b32 s6, exec_lo
                                        ; implicit-def: $sgpr3
                                        ; implicit-def: $vgpr5
	s_delay_alu instid0(VALU_DEP_2)
	v_cmpx_gt_u32_e64 s40, v3
	s_cbranch_execz .LBB1644_65
; %bb.50:
	ds_load_2addr_b32 v[44:45], v1 offset0:3 offset1:4
	v_add_nc_u32_e32 v5, 4, v4
	v_cmp_ne_u32_e32 vcc_lo, v16, v17
	v_mov_b64_e32 v[48:49], 0
	v_mov_b64_e32 v[50:51], 0
	;; [unrolled: 1-line block ×12, first 2 shown]
	v_cndmask_b32_e64 v3, 0, 1, vcc_lo
	v_cmp_gt_u32_e32 vcc_lo, s40, v5
                                        ; implicit-def: $sgpr3
                                        ; implicit-def: $vgpr5
	s_and_saveexec_b32 s7, vcc_lo
	s_cbranch_execz .LBB1644_64
; %bb.51:
	v_add_nc_u32_e32 v5, 5, v4
	v_cmp_ne_u32_e32 vcc_lo, v17, v10
	v_mov_b64_e32 v[50:51], 0
	v_mov_b64_e32 v[52:53], 0
	;; [unrolled: 1-line block ×10, first 2 shown]
	v_cndmask_b32_e64 v49, 0, 1, vcc_lo
	v_cmp_gt_u32_e32 vcc_lo, s40, v5
                                        ; implicit-def: $sgpr3
                                        ; implicit-def: $vgpr5
	s_and_saveexec_b32 s8, vcc_lo
	s_cbranch_execz .LBB1644_63
; %bb.52:
	ds_load_2addr_b32 v[50:51], v1 offset0:5 offset1:6
	v_add_nc_u32_e32 v5, 6, v4
	v_cmp_ne_u32_e32 vcc_lo, v10, v11
	v_mov_b64_e32 v[52:53], 0
	v_mov_b64_e32 v[54:55], 0
	;; [unrolled: 1-line block ×8, first 2 shown]
	v_cndmask_b32_e64 v10, 0, 1, vcc_lo
	v_cmp_gt_u32_e32 vcc_lo, s40, v5
                                        ; implicit-def: $sgpr3
                                        ; implicit-def: $vgpr5
	s_and_saveexec_b32 s9, vcc_lo
	s_cbranch_execz .LBB1644_62
; %bb.53:
	v_add_nc_u32_e32 v5, 7, v4
	v_cmp_ne_u32_e32 vcc_lo, v11, v12
	v_mov_b64_e32 v[54:55], 0
	v_mov_b64_e32 v[56:57], 0
	;; [unrolled: 1-line block ×6, first 2 shown]
	v_cndmask_b32_e64 v53, 0, 1, vcc_lo
	v_cmp_gt_u32_e32 vcc_lo, s40, v5
                                        ; implicit-def: $sgpr3
                                        ; implicit-def: $vgpr5
	s_and_saveexec_b32 s10, vcc_lo
	s_cbranch_execz .LBB1644_61
; %bb.54:
	ds_load_2addr_b32 v[54:55], v1 offset0:7 offset1:8
	v_add_nc_u32_e32 v5, 8, v4
	v_cmp_ne_u32_e32 vcc_lo, v12, v13
	v_mov_b64_e32 v[56:57], 0
	v_mov_b64_e32 v[58:59], 0
	;; [unrolled: 1-line block ×4, first 2 shown]
	v_cndmask_b32_e64 v11, 0, 1, vcc_lo
	v_cmp_gt_u32_e32 vcc_lo, s40, v5
                                        ; implicit-def: $sgpr3
                                        ; implicit-def: $vgpr5
	s_and_saveexec_b32 s11, vcc_lo
	s_cbranch_execz .LBB1644_60
; %bb.55:
	v_add_nc_u32_e32 v5, 9, v4
	v_cmp_ne_u32_e32 vcc_lo, v13, v6
	v_mov_b64_e32 v[58:59], 0
	v_mov_b64_e32 v[20:21], 0
                                        ; implicit-def: $sgpr3
	v_cndmask_b32_e64 v57, 0, 1, vcc_lo
	v_cmp_gt_u32_e32 vcc_lo, s40, v5
                                        ; implicit-def: $vgpr5
	s_and_saveexec_b32 s38, vcc_lo
	s_cbranch_execz .LBB1644_59
; %bb.56:
	ds_load_2addr_b32 v[58:59], v1 offset0:9 offset1:10
	v_add_nc_u32_e32 v5, 10, v4
	v_cmp_ne_u32_e32 vcc_lo, v6, v7
	v_mov_b64_e32 v[20:21], 0
                                        ; implicit-def: $sgpr3
	v_cndmask_b32_e64 v6, 0, 1, vcc_lo
	s_delay_alu instid0(VALU_DEP_4) | instskip(SKIP_1) | instid1(SALU_CYCLE_1)
	v_cmp_gt_u32_e32 vcc_lo, s40, v5
                                        ; implicit-def: $vgpr5
	s_and_saveexec_b32 s39, vcc_lo
	s_xor_b32 s39, exec_lo, s39
	s_cbranch_execz .LBB1644_58
; %bb.57:
	ds_load_b32 v5, v1 offset:44
	s_wait_dscnt 0x1
	v_dual_mov_b32 v20, v59 :: v_dual_add_nc_u32 v1, 11, v4
	v_cmp_ne_u32_e64 s0, v7, v8
	v_cmp_ne_u32_e64 s3, v8, v9
	s_delay_alu instid0(VALU_DEP_3) | instskip(NEXT) | instid1(VALU_DEP_3)
	v_cmp_gt_u32_e32 vcc_lo, s40, v1
	v_cndmask_b32_e64 v21, 0, 1, s0
	s_and_b32 s0, vcc_lo, exec_lo
.LBB1644_58:
	s_or_b32 exec_lo, exec_lo, s39
	s_wait_dscnt 0x0
	v_mov_b32_e32 v59, v6
	s_and_b32 s0, s0, exec_lo
.LBB1644_59:
	s_or_b32 exec_lo, exec_lo, s38
	s_delay_alu instid0(VALU_DEP_1)
	v_mov_b64_e32 v[22:23], v[58:59]
	s_wait_dscnt 0x0
	v_mov_b32_e32 v56, v55
	s_and_b32 s0, s0, exec_lo
.LBB1644_60:
	s_or_b32 exec_lo, exec_lo, s11
	s_delay_alu instid0(VALU_DEP_1)
	v_mov_b64_e32 v[24:25], v[56:57]
	s_wait_dscnt 0x0
	v_mov_b32_e32 v55, v11
	s_and_b32 s0, s0, exec_lo
.LBB1644_61:
	s_or_b32 exec_lo, exec_lo, s10
	s_delay_alu instid0(VALU_DEP_1)
	v_mov_b64_e32 v[26:27], v[54:55]
	s_wait_dscnt 0x0
	v_mov_b32_e32 v52, v51
	s_and_b32 s0, s0, exec_lo
.LBB1644_62:
	s_or_b32 exec_lo, exec_lo, s9
	s_delay_alu instid0(VALU_DEP_1)
	v_mov_b64_e32 v[28:29], v[52:53]
	s_wait_dscnt 0x0
	v_mov_b32_e32 v51, v10
	s_and_b32 s0, s0, exec_lo
.LBB1644_63:
	s_or_b32 exec_lo, exec_lo, s8
	s_delay_alu instid0(VALU_DEP_1)
	v_mov_b64_e32 v[30:31], v[50:51]
	s_wait_dscnt 0x0
	v_mov_b32_e32 v48, v45
	s_and_b32 s0, s0, exec_lo
.LBB1644_64:
	s_or_b32 exec_lo, exec_lo, s7
	s_delay_alu instid0(VALU_DEP_1)
	v_mov_b64_e32 v[32:33], v[48:49]
	s_wait_dscnt 0x0
	v_mov_b32_e32 v45, v3
	s_and_b32 s0, s0, exec_lo
.LBB1644_65:
	s_or_b32 exec_lo, exec_lo, s6
	s_delay_alu instid0(VALU_DEP_1)
	v_mov_b64_e32 v[34:35], v[44:45]
	s_wait_dscnt 0x0
	v_mov_b32_e32 v46, v43
	s_and_b32 s0, s0, exec_lo
.LBB1644_66:
	s_or_b32 exec_lo, exec_lo, s5
	s_delay_alu instid0(VALU_DEP_1)
	v_mov_b64_e32 v[36:37], v[46:47]
	s_wait_dscnt 0x0
	v_mov_b32_e32 v43, v2
	s_and_b32 s0, s0, exec_lo
.LBB1644_67:
	s_or_b32 exec_lo, exec_lo, s1
	s_delay_alu instid0(VALU_DEP_1)
	v_mov_b64_e32 v[38:39], v[42:43]
	s_and_b32 s1, s0, exec_lo
.LBB1644_68:
	s_or_b32 exec_lo, exec_lo, s4
	v_lshlrev_b32_e32 v16, 2, v0
	s_and_b32 vcc_lo, exec_lo, s2
	s_cbranch_vccz .LBB1644_88
.LBB1644_69:
	s_clause 0xb
	flat_load_b32 v2, v0, s[30:31] scale_offset
	flat_load_b32 v3, v0, s[30:31] offset:1024 scale_offset
	flat_load_b32 v4, v0, s[30:31] offset:2048 scale_offset
	;; [unrolled: 1-line block ×11, first 2 shown]
	v_mad_u32_u24 v1, v0, 44, v16
	v_mov_b32_e32 v14, 0
	s_cmp_eq_u64 s[36:37], 0
	s_wait_loadcnt_dscnt 0xa0a
	ds_store_2addr_stride64_b32 v16, v2, v3 offset1:4
	s_wait_loadcnt_dscnt 0x809
	ds_store_2addr_stride64_b32 v16, v4, v5 offset0:8 offset1:12
	s_wait_loadcnt_dscnt 0x608
	ds_store_2addr_stride64_b32 v16, v6, v7 offset0:16 offset1:20
	;; [unrolled: 2-line block ×5, first 2 shown]
	s_wait_dscnt 0x0
	s_barrier_signal -1
	s_barrier_wait -1
	ds_load_b128 v[2:5], v1
	ds_load_b128 v[10:13], v1 offset:16
	ds_load_b128 v[6:9], v1 offset:32
	s_cbranch_scc1 .LBB1644_85
; %bb.70:
	s_and_not1_b32 vcc_lo, exec_lo, s33
	s_cbranch_vccnz .LBB1644_83
; %bb.71:
	s_lshl_b64 s[0:1], s[36:37], 2
	s_delay_alu instid0(SALU_CYCLE_1) | instskip(NEXT) | instid1(SALU_CYCLE_1)
	s_add_nc_u64 s[0:1], s[22:23], s[0:1]
	s_add_nc_u64 s[30:31], s[0:1], -4
	s_mov_b32 s0, 0
	s_branch .LBB1644_84
.LBB1644_72:
	flat_load_b32 v5, v0, s[12:13] scale_offset
	s_wait_xcnt 0x0
	s_or_b32 exec_lo, exec_lo, s38
                                        ; implicit-def: $vgpr18
	s_and_saveexec_b32 s0, s1
	s_cbranch_execz .LBB1644_35
.LBB1644_73:
	flat_load_b32 v18, v0, s[12:13] offset:1024 scale_offset
	s_wait_xcnt 0x0
	s_or_b32 exec_lo, exec_lo, s0
                                        ; implicit-def: $vgpr19
	s_and_saveexec_b32 s0, s2
	s_cbranch_execz .LBB1644_36
.LBB1644_74:
	flat_load_b32 v19, v0, s[12:13] offset:2048 scale_offset
	s_wait_xcnt 0x0
	s_or_b32 exec_lo, exec_lo, s0
                                        ; implicit-def: $vgpr20
	s_and_saveexec_b32 s0, s3
	s_cbranch_execz .LBB1644_37
.LBB1644_75:
	flat_load_b32 v20, v0, s[12:13] offset:3072 scale_offset
	s_wait_xcnt 0x0
	s_or_b32 exec_lo, exec_lo, s0
                                        ; implicit-def: $vgpr21
	s_and_saveexec_b32 s0, s4
	s_cbranch_execz .LBB1644_38
.LBB1644_76:
	flat_load_b32 v21, v0, s[12:13] offset:4096 scale_offset
	s_wait_xcnt 0x0
	s_or_b32 exec_lo, exec_lo, s0
                                        ; implicit-def: $vgpr22
	s_and_saveexec_b32 s0, s5
	s_cbranch_execz .LBB1644_39
.LBB1644_77:
	flat_load_b32 v22, v0, s[12:13] offset:5120 scale_offset
	s_wait_xcnt 0x0
	s_or_b32 exec_lo, exec_lo, s0
                                        ; implicit-def: $vgpr23
	s_and_saveexec_b32 s0, s6
	s_cbranch_execz .LBB1644_40
.LBB1644_78:
	flat_load_b32 v23, v0, s[12:13] offset:6144 scale_offset
	s_wait_xcnt 0x0
	s_or_b32 exec_lo, exec_lo, s0
                                        ; implicit-def: $vgpr24
	s_and_saveexec_b32 s0, s7
	s_cbranch_execz .LBB1644_41
.LBB1644_79:
	flat_load_b32 v24, v0, s[12:13] offset:7168 scale_offset
	s_wait_xcnt 0x0
	s_or_b32 exec_lo, exec_lo, s0
                                        ; implicit-def: $vgpr25
	s_and_saveexec_b32 s0, s8
	s_cbranch_execz .LBB1644_42
.LBB1644_80:
	flat_load_b32 v25, v0, s[12:13] offset:8192 scale_offset
	s_wait_xcnt 0x0
	s_or_b32 exec_lo, exec_lo, s0
                                        ; implicit-def: $vgpr26
	s_and_saveexec_b32 s0, s9
	s_cbranch_execz .LBB1644_43
.LBB1644_81:
	flat_load_b32 v26, v0, s[12:13] offset:9216 scale_offset
	s_wait_xcnt 0x0
	s_or_b32 exec_lo, exec_lo, s0
                                        ; implicit-def: $vgpr27
	s_and_saveexec_b32 s0, s10
	s_cbranch_execz .LBB1644_44
.LBB1644_82:
	flat_load_b32 v27, v0, s[12:13] offset:10240 scale_offset
	s_wait_xcnt 0x0
	s_or_b32 exec_lo, exec_lo, s0
                                        ; implicit-def: $vgpr28
	s_and_saveexec_b32 s0, s11
	s_cbranch_execnz .LBB1644_45
	s_branch .LBB1644_46
.LBB1644_83:
	s_add_nc_u64 s[30:31], s[30:31], -4
	s_mov_b32 s0, -1
.LBB1644_84:
	s_delay_alu instid0(SALU_CYCLE_1)
	s_and_not1_b32 vcc_lo, exec_lo, s0
.LBB1644_85:
	flat_load_b32 v14, v14, s[30:31]
	v_mad_i32_i24 v15, 0xffffffd4, v0, v1
	s_mov_b32 s0, exec_lo
	s_wait_dscnt 0x1
	ds_store_b32 v15, v9 offset:12288
	s_wait_loadcnt_dscnt 0x0
	s_barrier_signal -1
	s_barrier_wait -1
	v_cmpx_ne_u32_e32 0, v0
; %bb.86:
	v_mul_i32_i24_e32 v14, 0xffffffd4, v0
	s_delay_alu instid0(VALU_DEP_1)
	v_add_nc_u32_e32 v14, v1, v14
	ds_load_b32 v14, v14 offset:12284
; %bb.87:
	s_or_b32 exec_lo, exec_lo, s0
	s_wait_dscnt 0x0
	s_barrier_signal -1
	s_barrier_wait -1
	s_clause 0xb
	flat_load_b32 v15, v0, s[12:13] scale_offset
	flat_load_b32 v17, v0, s[12:13] offset:1024 scale_offset
	flat_load_b32 v18, v0, s[12:13] offset:2048 scale_offset
	;; [unrolled: 1-line block ×11, first 2 shown]
	v_cmp_ne_u32_e32 vcc_lo, v14, v2
	v_cmp_ne_u32_e64 s3, v8, v9
	s_mov_b32 s1, -1
	s_wait_loadcnt_dscnt 0xa0a
	ds_store_2addr_stride64_b32 v16, v15, v17 offset1:4
	s_wait_loadcnt_dscnt 0x809
	ds_store_2addr_stride64_b32 v16, v18, v20 offset0:8 offset1:12
	s_wait_loadcnt_dscnt 0x608
	ds_store_2addr_stride64_b32 v16, v21, v22 offset0:16 offset1:20
	s_wait_loadcnt_dscnt 0x407
	ds_store_2addr_stride64_b32 v16, v23, v24 offset0:24 offset1:28
	s_wait_loadcnt_dscnt 0x206
	ds_store_2addr_stride64_b32 v16, v25, v26 offset0:32 offset1:36
	s_wait_loadcnt_dscnt 0x5
	ds_store_2addr_stride64_b32 v16, v27, v28 offset0:40 offset1:44
	v_cndmask_b32_e64 v19, 0, 1, vcc_lo
	v_cmp_ne_u32_e32 vcc_lo, v2, v3
	s_wait_dscnt 0x0
	s_barrier_signal -1
	s_barrier_wait -1
	v_cndmask_b32_e64 v43, 0, 1, vcc_lo
	v_cmp_ne_u32_e32 vcc_lo, v3, v4
	ds_load_b128 v[22:25], v1
	ds_load_b128 v[26:29], v1 offset:16
	v_cndmask_b32_e64 v47, 0, 1, vcc_lo
	v_cmp_ne_u32_e32 vcc_lo, v4, v5
	v_cndmask_b32_e64 v45, 0, 1, vcc_lo
	v_cmp_ne_u32_e32 vcc_lo, v5, v10
	ds_load_b128 v[2:5], v1 offset:32
	v_cndmask_b32_e64 v49, 0, 1, vcc_lo
	v_cmp_ne_u32_e32 vcc_lo, v10, v11
	s_wait_dscnt 0x2
	v_dual_mov_b32 v18, v22 :: v_dual_mov_b32 v42, v23
	v_cndmask_b32_e64 v51, 0, 1, vcc_lo
	v_cmp_ne_u32_e32 vcc_lo, v11, v12
	v_dual_mov_b32 v46, v24 :: v_dual_mov_b32 v44, v25
	s_wait_dscnt 0x1
	v_dual_mov_b32 v48, v26 :: v_dual_mov_b32 v50, v27
	v_cndmask_b32_e64 v53, 0, 1, vcc_lo
	v_cmp_ne_u32_e32 vcc_lo, v12, v13
	v_dual_mov_b32 v52, v28 :: v_dual_mov_b32 v54, v29
	s_wait_dscnt 0x0
	v_dual_mov_b32 v56, v2 :: v_dual_mov_b32 v58, v3
	v_cndmask_b32_e64 v55, 0, 1, vcc_lo
	v_cmp_ne_u32_e32 vcc_lo, v13, v6
	v_mov_b64_e32 v[38:39], v[42:43]
	v_mov_b64_e32 v[36:37], v[46:47]
	;; [unrolled: 1-line block ×4, first 2 shown]
	v_cndmask_b32_e64 v57, 0, 1, vcc_lo
	v_cmp_ne_u32_e32 vcc_lo, v6, v7
	v_mov_b64_e32 v[30:31], v[50:51]
	v_mov_b64_e32 v[28:29], v[52:53]
	;; [unrolled: 1-line block ×4, first 2 shown]
	v_cndmask_b32_e64 v59, 0, 1, vcc_lo
	v_cmp_ne_u32_e32 vcc_lo, v7, v8
	v_mov_b32_e32 v20, v4
	s_delay_alu instid0(VALU_DEP_3)
	v_mov_b64_e32 v[22:23], v[58:59]
	v_cndmask_b32_e64 v21, 0, 1, vcc_lo
.LBB1644_88:
	v_mov_b64_e32 v[40:41], 0
	s_and_saveexec_b32 s0, s1
	s_cbranch_execz .LBB1644_90
; %bb.89:
	v_mov_b64_e32 v[22:23], v[58:59]
	v_mov_b64_e32 v[24:25], v[56:57]
	v_mov_b64_e32 v[26:27], v[54:55]
	v_mov_b64_e32 v[28:29], v[52:53]
	v_mov_b64_e32 v[30:31], v[50:51]
	v_mov_b64_e32 v[32:33], v[48:49]
	v_mov_b64_e32 v[34:35], v[44:45]
	v_mov_b64_e32 v[36:37], v[46:47]
	v_mov_b64_e32 v[38:39], v[42:43]
	v_cndmask_b32_e64 v41, 0, 1, s3
	v_mov_b32_e32 v40, v5
.LBB1644_90:
	s_or_b32 exec_lo, exec_lo, s0
	v_dual_lshrrev_b32 v1, 2, v0 :: v_dual_bitop2_b32 v42, v27, v25 bitop3:0x54
	v_or_b32_e32 v17, v23, v21
	s_cmp_lg_u32 s20, 0
	s_wait_dscnt 0x0
	v_cmp_gt_u32_e32 vcc_lo, 32, v0
	s_barrier_signal -1
	s_barrier_wait -1
	s_cbranch_scc0 .LBB1644_118
; %bb.91:
	s_mov_b64 s[10:11], 0x100000000
	v_or3_b32 v3, v42, v29, v31
	v_cmp_gt_u64_e64 s0, s[10:11], v[38:39]
	v_cmp_gt_u64_e64 s1, s[10:11], v[36:37]
	v_cmp_gt_u64_e64 s2, s[10:11], v[34:35]
	v_cmp_gt_u64_e64 s3, s[10:11], v[32:33]
	v_cmp_gt_u64_e64 s4, s[10:11], v[30:31]
	v_cmp_gt_u64_e64 s5, s[10:11], v[28:29]
	v_cmp_gt_u64_e64 s6, s[10:11], v[26:27]
	v_dual_cndmask_b32 v2, 0, v18, s0 :: v_dual_bitop2_b32 v5, 56, v1 bitop3:0x40
	v_cmp_gt_u64_e64 s7, s[10:11], v[24:25]
	v_cmp_gt_u64_e64 s8, s[10:11], v[22:23]
	;; [unrolled: 1-line block ×4, first 2 shown]
	v_add_nc_u32_e32 v2, v2, v38
	v_or3_b32 v3, v3, v33, v35
	v_lshl_add_u32 v5, v0, 3, v5
	s_delay_alu instid0(VALU_DEP_3) | instskip(NEXT) | instid1(VALU_DEP_3)
	v_cndmask_b32_e64 v2, 0, v2, s1
	v_or3_b32 v3, v3, v37, v39
	s_delay_alu instid0(VALU_DEP_2) | instskip(NEXT) | instid1(VALU_DEP_2)
	v_add_nc_u32_e32 v2, v2, v36
	v_or3_b32 v3, v41, v17, v3
	s_delay_alu instid0(VALU_DEP_2) | instskip(NEXT) | instid1(VALU_DEP_2)
	v_cndmask_b32_e64 v2, 0, v2, s2
	v_and_b32_e32 v3, 0xff, v3
	s_delay_alu instid0(VALU_DEP_2) | instskip(NEXT) | instid1(VALU_DEP_1)
	v_add_nc_u32_e32 v2, v2, v34
	v_cndmask_b32_e64 v2, 0, v2, s3
	s_delay_alu instid0(VALU_DEP_1) | instskip(NEXT) | instid1(VALU_DEP_1)
	v_add_nc_u32_e32 v2, v2, v32
	v_cndmask_b32_e64 v2, 0, v2, s4
	s_delay_alu instid0(VALU_DEP_1) | instskip(NEXT) | instid1(VALU_DEP_1)
	;; [unrolled: 3-line block ×7, first 2 shown]
	v_dual_add_nc_u32 v4, v2, v20 :: v_dual_mov_b32 v2, 0
	v_cndmask_b32_e64 v4, 0, v4, s10
	s_delay_alu instid0(VALU_DEP_2) | instskip(NEXT) | instid1(VALU_DEP_1)
	v_cmp_eq_u64_e64 s11, 0, v[2:3]
	v_dual_add_nc_u32 v12, v4, v40 :: v_dual_cndmask_b32 v13, 1, v19, s11
	ds_store_b32 v5, v12
	ds_store_b8 v5, v13 offset:4
	s_wait_dscnt 0x0
	s_barrier_signal -1
	s_barrier_wait -1
	s_and_saveexec_b32 s12, vcc_lo
	s_cbranch_execz .LBB1644_101
; %bb.92:
	v_dual_lshlrev_b32 v2, 1, v0 :: v_dual_lshlrev_b32 v3, 6, v0
	s_mov_b32 s13, exec_lo
	s_delay_alu instid0(VALU_DEP_1) | instskip(NEXT) | instid1(VALU_DEP_1)
	v_and_b32_e32 v2, 0x1f8, v2
	v_add_nc_u32_e32 v4, v2, v3
	ds_load_u8 v5, v4 offset:12
	ds_load_b64 v[2:3], v4
	ds_load_2addr_b32 v[6:7], v4 offset0:2 offset1:4
	ds_load_u8 v10, v4 offset:20
	ds_load_u8 v11, v4 offset:28
	;; [unrolled: 1-line block ×5, first 2 shown]
	ds_load_b32 v44, v4 offset:56
	s_wait_dscnt 0x8
	v_cmp_eq_u16_e64 s11, 0, v5
	s_wait_dscnt 0x5
	s_delay_alu instid0(VALU_DEP_1)
	v_dual_cndmask_b32 v45, 0, v2, s11 :: v_dual_bitop2_b32 v5, v10, v5 bitop3:0x54
	ds_load_2addr_b32 v[8:9], v4 offset0:6 offset1:8
	v_cmp_eq_u16_e64 s11, 0, v10
	s_wait_dscnt 0x4
	v_bitop3_b16 v5, v5, v14, v11 bitop3:0xfe
	v_add_nc_u32_e32 v6, v45, v6
	s_delay_alu instid0(VALU_DEP_1) | instskip(SKIP_1) | instid1(VALU_DEP_2)
	v_cndmask_b32_e64 v6, 0, v6, s11
	v_cmp_eq_u16_e64 s11, 0, v11
	v_add_nc_u32_e32 v6, v6, v7
	s_delay_alu instid0(VALU_DEP_1)
	v_cndmask_b32_e64 v45, 0, v6, s11
	ds_load_2addr_b32 v[6:7], v4 offset0:10 offset1:12
	v_cmp_eq_u16_e64 s11, 0, v14
	s_wait_dscnt 0x1
	v_add_nc_u32_e32 v8, v45, v8
	ds_load_u8 v45, v4 offset:60
	v_cndmask_b32_e64 v8, 0, v8, s11
	v_cmp_eq_u16_e64 s11, 0, v15
	s_delay_alu instid0(VALU_DEP_2) | instskip(SKIP_1) | instid1(VALU_DEP_2)
	v_add_nc_u32_e32 v8, v8, v9
	v_bitop3_b16 v9, v5, v43, v15 bitop3:0xfe
	v_dual_cndmask_b32 v8, 0, v8, s11 :: v_dual_bitop2_b32 v5, 1, v3 bitop3:0x40
	s_delay_alu instid0(VALU_DEP_2) | instskip(SKIP_1) | instid1(VALU_DEP_2)
	v_cmp_eq_u16_e64 s11, 0, v9
	s_wait_dscnt 0x0
	v_dual_add_nc_u32 v6, v8, v6 :: v_dual_bitop2_b32 v8, 1, v45 bitop3:0x40
	s_delay_alu instid0(VALU_DEP_2) | instskip(SKIP_1) | instid1(VALU_DEP_1)
	v_cndmask_b32_e64 v9, 1, v5, s11
	v_cmp_eq_u16_e64 s11, 0, v43
	v_cndmask_b32_e64 v6, 0, v6, s11
	s_delay_alu instid0(VALU_DEP_4) | instskip(SKIP_1) | instid1(VALU_DEP_2)
	v_cmp_eq_u32_e64 s11, 1, v8
	v_mbcnt_lo_u32_b32 v8, -1, 0
	v_cndmask_b32_e64 v9, v9, 1, s11
	v_cmp_eq_u16_e64 s11, 0, v45
	s_delay_alu instid0(VALU_DEP_2) | instskip(SKIP_2) | instid1(VALU_DEP_1)
	v_and_b32_e32 v10, 0xffff, v9
	v_add_nc_u32_e32 v7, v6, v7
	v_and_b32_e32 v6, 0xffffff00, v3
	v_dual_cndmask_b32 v7, 0, v7, s11 :: v_dual_bitop2_b32 v11, v6, v10 bitop3:0x54
	v_and_b32_e32 v10, 15, v8
	s_delay_alu instid0(VALU_DEP_2) | instskip(NEXT) | instid1(VALU_DEP_3)
	v_mov_b32_dpp v15, v11 row_shr:1 row_mask:0xf bank_mask:0xf
	v_add_nc_u32_e32 v7, v7, v44
	s_delay_alu instid0(VALU_DEP_1) | instskip(NEXT) | instid1(VALU_DEP_4)
	v_mov_b32_dpp v14, v7 row_shr:1 row_mask:0xf bank_mask:0xf
	v_cmpx_ne_u32_e32 0, v10
	s_cbranch_execz .LBB1644_94
; %bb.93:
	v_and_b32_e32 v11, 1, v9
	v_and_b32_e32 v15, 1, v15
	s_delay_alu instid0(VALU_DEP_2) | instskip(NEXT) | instid1(VALU_DEP_1)
	v_cmp_eq_u32_e64 s11, 1, v11
	v_cndmask_b32_e64 v15, v15, 1, s11
	v_cmp_eq_u16_e64 s11, 0, v9
	s_delay_alu instid0(VALU_DEP_2) | instskip(NEXT) | instid1(VALU_DEP_1)
	v_and_b32_e32 v11, 0xffff, v15
	v_dual_cndmask_b32 v9, 0, v14, s11 :: v_dual_bitop2_b32 v11, v6, v11 bitop3:0x54
	s_delay_alu instid0(VALU_DEP_1)
	v_dual_add_nc_u32 v7, v9, v7 :: v_dual_mov_b32 v9, v15
.LBB1644_94:
	s_or_b32 exec_lo, exec_lo, s13
	s_delay_alu instid0(VALU_DEP_1) | instskip(NEXT) | instid1(VALU_DEP_3)
	v_mov_b32_dpp v14, v7 row_shr:2 row_mask:0xf bank_mask:0xf
	v_mov_b32_dpp v15, v11 row_shr:2 row_mask:0xf bank_mask:0xf
	s_mov_b32 s13, exec_lo
	v_cmpx_lt_u32_e32 1, v10
	s_cbranch_execz .LBB1644_96
; %bb.95:
	v_and_b32_e32 v11, 1, v9
	v_and_b32_e32 v15, 1, v15
	s_delay_alu instid0(VALU_DEP_2) | instskip(NEXT) | instid1(VALU_DEP_1)
	v_cmp_eq_u32_e64 s11, 1, v11
	v_cndmask_b32_e64 v15, v15, 1, s11
	v_cmp_eq_u16_e64 s11, 0, v9
	s_delay_alu instid0(VALU_DEP_2) | instskip(NEXT) | instid1(VALU_DEP_1)
	v_and_b32_e32 v11, 0xffff, v15
	v_dual_cndmask_b32 v9, 0, v14, s11 :: v_dual_bitop2_b32 v11, v6, v11 bitop3:0x54
	s_delay_alu instid0(VALU_DEP_1)
	v_dual_add_nc_u32 v7, v9, v7 :: v_dual_mov_b32 v9, v15
.LBB1644_96:
	s_or_b32 exec_lo, exec_lo, s13
	s_delay_alu instid0(VALU_DEP_1) | instskip(NEXT) | instid1(VALU_DEP_3)
	v_mov_b32_dpp v14, v7 row_shr:4 row_mask:0xf bank_mask:0xf
	v_mov_b32_dpp v15, v11 row_shr:4 row_mask:0xf bank_mask:0xf
	s_mov_b32 s13, exec_lo
	v_cmpx_lt_u32_e32 3, v10
	;; [unrolled: 20-line block ×3, first 2 shown]
	s_cbranch_execz .LBB1644_100
; %bb.99:
	v_and_b32_e32 v10, 1, v9
	v_and_b32_e32 v11, 1, v15
	s_delay_alu instid0(VALU_DEP_2) | instskip(NEXT) | instid1(VALU_DEP_1)
	v_cmp_eq_u32_e64 s11, 1, v10
	v_cndmask_b32_e64 v10, v11, 1, s11
	v_cmp_eq_u16_e64 s11, 0, v9
	s_delay_alu instid0(VALU_DEP_2) | instskip(NEXT) | instid1(VALU_DEP_1)
	v_and_b32_e32 v11, 0xffff, v10
	v_dual_cndmask_b32 v9, 0, v14, s11 :: v_dual_bitop2_b32 v11, v6, v11 bitop3:0x54
	s_delay_alu instid0(VALU_DEP_1)
	v_dual_add_nc_u32 v7, v9, v7 :: v_dual_mov_b32 v9, v10
.LBB1644_100:
	s_or_b32 exec_lo, exec_lo, s13
	ds_swizzle_b32 v10, v11 offset:swizzle(BROADCAST,32,15)
	ds_swizzle_b32 v11, v7 offset:swizzle(BROADCAST,32,15)
	v_and_b32_e32 v14, 1, v9
	v_bfe_i32 v43, v8, 4, 1
	v_and_b32_e32 v3, 0xff, v3
	; wave barrier
	s_delay_alu instid0(VALU_DEP_3) | instskip(SKIP_2) | instid1(VALU_DEP_1)
	v_cmp_eq_u32_e64 s11, 1, v14
	s_wait_dscnt 0x1
	v_dual_add_nc_u32 v14, -1, v8 :: v_dual_bitop2_b32 v10, 1, v10 bitop3:0x40
	v_cndmask_b32_e64 v10, v10, 1, s11
	v_and_b32_e32 v15, 16, v8
	v_cmp_eq_u16_e64 s11, 0, v9
	s_wait_dscnt 0x0
	s_delay_alu instid0(VALU_DEP_1) | instskip(NEXT) | instid1(VALU_DEP_3)
	v_cndmask_b32_e64 v11, 0, v11, s11
	v_cmp_eq_u32_e64 s11, 0, v15
	s_delay_alu instid0(VALU_DEP_1) | instskip(SKIP_1) | instid1(VALU_DEP_4)
	v_cndmask_b32_e64 v9, v10, v9, s11
	v_cmp_gt_i32_e64 s11, 0, v14
	v_and_b32_e32 v10, v43, v11
	s_delay_alu instid0(VALU_DEP_3) | instskip(NEXT) | instid1(VALU_DEP_3)
	v_and_b32_e32 v9, 0xffff, v9
	v_cndmask_b32_e64 v8, v14, v8, s11
	s_delay_alu instid0(VALU_DEP_3) | instskip(SKIP_1) | instid1(VALU_DEP_3)
	v_add_nc_u32_e32 v7, v10, v7
	v_cmp_eq_u16_e64 s11, 0, v3
	v_lshlrev_b32_e32 v8, 2, v8
	ds_bpermute_b32 v7, v8, v7
	s_wait_dscnt 0x0
	v_dual_cndmask_b32 v3, 0, v7, s11 :: v_dual_bitop2_b32 v6, v6, v9 bitop3:0x54
	ds_bpermute_b32 v6, v8, v6
	v_cmp_eq_u32_e64 s11, 1, v5
	v_add_nc_u32_e32 v2, v3, v2
	s_wait_dscnt 0x0
	v_and_b32_e32 v6, 1, v6
	s_delay_alu instid0(VALU_DEP_1) | instskip(SKIP_1) | instid1(VALU_DEP_1)
	v_cndmask_b32_e64 v3, v6, 1, s11
	v_cmp_eq_u32_e64 s11, 0, v0
	v_dual_cndmask_b32 v8, v3, v13, s11 :: v_dual_cndmask_b32 v5, v2, v12, s11
	ds_store_b32 v4, v5
	ds_store_b8 v4, v8 offset:4
	; wave barrier
	ds_load_u8 v9, v4 offset:12
	ds_load_2addr_b32 v[2:3], v4 offset0:2 offset1:4
	ds_load_u8 v10, v4 offset:20
	ds_load_u8 v11, v4 offset:28
	;; [unrolled: 1-line block ×5, first 2 shown]
	ds_load_b32 v44, v4 offset:56
	ds_load_u8 v45, v4 offset:60
	ds_load_2addr_b32 v[6:7], v4 offset0:6 offset1:8
	s_wait_dscnt 0x9
	v_cmp_eq_u16_e64 s11, 0, v9
	v_and_b32_e32 v9, 1, v9
	s_delay_alu instid0(VALU_DEP_2) | instskip(SKIP_2) | instid1(VALU_DEP_2)
	v_cndmask_b32_e64 v5, 0, v5, s11
	s_wait_dscnt 0x7
	v_cmp_eq_u16_e64 s11, 0, v10
	v_add_nc_u32_e32 v5, v5, v2
	s_delay_alu instid0(VALU_DEP_1) | instskip(SKIP_2) | instid1(VALU_DEP_2)
	v_cndmask_b32_e64 v2, 0, v5, s11
	s_wait_dscnt 0x6
	v_cmp_eq_u16_e64 s11, 0, v11
	v_add_nc_u32_e32 v46, v2, v3
	ds_load_2addr_b32 v[2:3], v4 offset0:10 offset1:12
	v_cndmask_b32_e64 v47, 0, v46, s11
	s_wait_dscnt 0x6
	v_cmp_eq_u16_e64 s11, 0, v14
	ds_store_2addr_b32 v4, v5, v46 offset0:2 offset1:4
	s_wait_dscnt 0x2
	v_add_nc_u32_e32 v6, v47, v6
	s_delay_alu instid0(VALU_DEP_1) | instskip(SKIP_3) | instid1(VALU_DEP_4)
	v_cndmask_b32_e64 v47, 0, v6, s11
	v_and_b32_e32 v10, 1, v10
	v_cmp_eq_u32_e64 s11, 1, v9
	v_and_b32_e32 v9, 1, v11
	v_dual_add_nc_u32 v7, v47, v7 :: v_dual_bitop2_b32 v11, 1, v14 bitop3:0x40
	s_delay_alu instid0(VALU_DEP_3) | instskip(SKIP_1) | instid1(VALU_DEP_1)
	v_cndmask_b32_e64 v8, v8, 1, s11
	v_cmp_eq_u32_e64 s11, 1, v10
	v_cndmask_b32_e64 v10, v8, 1, s11
	v_cmp_eq_u16_e64 s11, 0, v15
	s_delay_alu instid0(VALU_DEP_1) | instskip(SKIP_2) | instid1(VALU_DEP_2)
	v_cndmask_b32_e64 v14, 0, v7, s11
	v_cmp_eq_u32_e64 s11, 1, v9
	s_wait_dscnt 0x1
	v_dual_add_nc_u32 v2, v14, v2 :: v_dual_bitop2_b32 v15, 1, v15 bitop3:0x40
	s_delay_alu instid0(VALU_DEP_2) | instskip(SKIP_1) | instid1(VALU_DEP_1)
	v_cndmask_b32_e64 v9, v10, 1, s11
	v_cmp_eq_u32_e64 s11, 1, v11
	v_cndmask_b32_e64 v11, v9, 1, s11
	v_cmp_eq_u16_e64 s11, 0, v43
	s_delay_alu instid0(VALU_DEP_1) | instskip(SKIP_1) | instid1(VALU_DEP_2)
	v_dual_cndmask_b32 v43, 0, v2, s11 :: v_dual_bitop2_b32 v14, 1, v43 bitop3:0x40
	v_cmp_eq_u32_e64 s11, 1, v15
	v_add_nc_u32_e32 v3, v43, v3
	s_delay_alu instid0(VALU_DEP_2) | instskip(NEXT) | instid1(VALU_DEP_4)
	v_cndmask_b32_e64 v15, v11, 1, s11
	v_cmp_eq_u32_e64 s11, 1, v14
	ds_store_2addr_b32 v4, v6, v7 offset0:6 offset1:8
	ds_store_2addr_b32 v4, v2, v3 offset0:10 offset1:12
	v_cndmask_b32_e64 v14, v15, 1, s11
	v_cmp_eq_u16_e64 s11, 0, v45
	s_delay_alu instid0(VALU_DEP_1) | instskip(NEXT) | instid1(VALU_DEP_1)
	v_dual_cndmask_b32 v5, 0, v3, s11 :: v_dual_bitop2_b32 v47, 1, v45 bitop3:0x40
	v_cmp_eq_u32_e64 s11, 1, v47
	s_delay_alu instid0(VALU_DEP_2) | instskip(NEXT) | instid1(VALU_DEP_2)
	v_add_nc_u32_e32 v2, v5, v44
	v_cndmask_b32_e64 v43, v14, 1, s11
	ds_store_b8 v4, v8 offset:12
	ds_store_b8 v4, v10 offset:20
	;; [unrolled: 1-line block ×6, first 2 shown]
	ds_store_b32 v4, v2 offset:56
	ds_store_b8 v4, v43 offset:60
.LBB1644_101:
	s_or_b32 exec_lo, exec_lo, s12
	v_cmp_eq_u32_e64 s11, 0, v0
	s_mov_b32 s13, exec_lo
	s_wait_dscnt 0x0
	s_barrier_signal -1
	s_barrier_wait -1
	v_cmpx_ne_u32_e32 0, v0
	s_cbranch_execz .LBB1644_103
; %bb.102:
	v_add_nc_u32_e32 v2, -1, v0
	s_delay_alu instid0(VALU_DEP_1) | instskip(NEXT) | instid1(VALU_DEP_1)
	v_lshrrev_b32_e32 v3, 2, v2
	v_and_b32_e32 v3, 0x3ffffff8, v3
	s_delay_alu instid0(VALU_DEP_1)
	v_lshl_add_u32 v2, v2, 3, v3
	ds_load_b32 v12, v2
	ds_load_u8 v13, v2 offset:4
.LBB1644_103:
	s_or_b32 exec_lo, exec_lo, s13
	s_and_saveexec_b32 s30, vcc_lo
	s_cbranch_execz .LBB1644_163
; %bb.104:
	v_mov_b32_e32 v5, 0
	v_mbcnt_lo_u32_b32 v14, -1, 0
	s_mov_b32 s23, 0
	ds_load_b64 v[2:3], v5 offset:2096
	v_cmp_eq_u32_e64 s12, 0, v14
	s_and_saveexec_b32 s13, s12
	s_cbranch_execz .LBB1644_106
; %bb.105:
	s_add_co_i32 s22, s20, 32
	v_mov_b32_e32 v4, 1
	s_lshl_b64 s[22:23], s[22:23], 4
	s_delay_alu instid0(SALU_CYCLE_1) | instskip(NEXT) | instid1(SALU_CYCLE_1)
	s_add_nc_u64 s[22:23], s[24:25], s[22:23]
	v_mov_b64_e32 v[6:7], s[22:23]
	s_wait_dscnt 0x0
	;;#ASMSTART
	global_store_b128 v[6:7], v[2:5] off scope:SCOPE_DEV	
s_wait_storecnt 0x0
	;;#ASMEND
.LBB1644_106:
	s_or_b32 exec_lo, exec_lo, s13
	v_xad_u32 v8, v14, -1, s20
	s_mov_b32 s13, exec_lo
	s_delay_alu instid0(VALU_DEP_1) | instskip(NEXT) | instid1(VALU_DEP_1)
	v_add_nc_u32_e32 v4, 32, v8
	v_lshl_add_u64 v[10:11], v[4:5], 4, s[24:25]
	;;#ASMSTART
	global_load_b128 v[4:7], v[10:11] off scope:SCOPE_DEV	
s_wait_loadcnt 0x0
	;;#ASMEND
	v_and_b32_e32 v7, 0xff, v6
	v_and_b32_e32 v5, 0xff, v5
	s_delay_alu instid0(VALU_DEP_2)
	v_cmpx_eq_u16_e32 0, v7
	s_cbranch_execz .LBB1644_110
; %bb.107:
	s_mov_b32 s22, 0
.LBB1644_108:                           ; =>This Inner Loop Header: Depth=1
	;;#ASMSTART
	global_load_b128 v[4:7], v[10:11] off scope:SCOPE_DEV	
s_wait_loadcnt 0x0
	;;#ASMEND
	v_and_b32_e32 v7, 0xff, v6
	s_delay_alu instid0(VALU_DEP_1) | instskip(SKIP_1) | instid1(SALU_CYCLE_1)
	v_cmp_ne_u16_e32 vcc_lo, 0, v7
	s_or_b32 s22, vcc_lo, s22
	s_and_not1_b32 exec_lo, exec_lo, s22
	s_cbranch_execnz .LBB1644_108
; %bb.109:
	s_or_b32 exec_lo, exec_lo, s22
	v_and_b32_e32 v5, 0xff, v5
.LBB1644_110:
	s_or_b32 exec_lo, exec_lo, s13
	v_cmp_ne_u32_e32 vcc_lo, 31, v14
	v_and_b32_e32 v9, 0xff, v6
	v_lshlrev_b32_e64 v43, v14, -1
	s_mov_b64 s[22:23], 0x100000000
	v_lshl_or_b32 v52, v14, 2, 64
	v_add_co_ci_u32_e64 v7, null, 0, v14, vcc_lo
	v_cmp_eq_u16_e32 vcc_lo, 2, v9
	v_cmp_gt_u64_e64 s13, s[22:23], v[4:5]
	s_delay_alu instid0(VALU_DEP_3) | instskip(SKIP_1) | instid1(VALU_DEP_2)
	v_dual_lshlrev_b32 v15, 2, v7 :: v_dual_bitop2_b32 v10, 1, v5 bitop3:0x40
	v_and_or_b32 v9, vcc_lo, v43, 0x80000000
	v_cmp_eq_u32_e32 vcc_lo, 1, v10
	ds_bpermute_b32 v7, v15, v5
	ds_bpermute_b32 v10, v15, v4
	v_ctz_i32_b32_e32 v9, v9
	s_wait_dscnt 0x1
	v_and_b32_e32 v7, 1, v7
	s_delay_alu instid0(VALU_DEP_1) | instskip(SKIP_1) | instid1(VALU_DEP_2)
	v_cndmask_b32_e64 v7, v7, 1, vcc_lo
	v_cmp_gt_u32_e32 vcc_lo, 30, v14
	v_and_b32_e32 v45, 0xffff, v7
	v_cndmask_b32_e64 v11, 0, 2, vcc_lo
	v_cmp_lt_u32_e32 vcc_lo, v14, v9
	s_delay_alu instid0(VALU_DEP_2) | instskip(NEXT) | instid1(VALU_DEP_4)
	v_add_lshl_u32 v44, v11, v14, 2
	v_dual_cndmask_b32 v11, v5, v45, vcc_lo :: v_dual_cndmask_b32 v7, v5, v7, vcc_lo
	s_and_b32 vcc_lo, vcc_lo, s13
	v_add_nc_u32_e32 v45, 2, v14
	s_wait_dscnt 0x0
	v_cndmask_b32_e32 v10, 0, v10, vcc_lo
	ds_bpermute_b32 v5, v44, v11
	v_and_b32_e32 v46, 1, v7
	v_and_b32_e32 v48, 0xff, v7
	v_add_nc_u32_e32 v4, v10, v4
	s_delay_alu instid0(VALU_DEP_3) | instskip(NEXT) | instid1(VALU_DEP_3)
	v_cmp_eq_u32_e32 vcc_lo, 1, v46
	v_cmp_eq_u16_e64 s13, 0, v48
	ds_bpermute_b32 v10, v44, v4
	s_wait_dscnt 0x1
	v_and_b32_e32 v5, 1, v5
	s_delay_alu instid0(VALU_DEP_1) | instskip(SKIP_3) | instid1(VALU_DEP_3)
	v_cndmask_b32_e64 v5, v5, 1, vcc_lo
	v_cmp_gt_u32_e32 vcc_lo, 28, v14
	s_wait_dscnt 0x0
	v_cndmask_b32_e64 v10, 0, v10, s13
	v_and_b32_e32 v47, 0xffff, v5
	v_cndmask_b32_e64 v46, 0, 4, vcc_lo
	v_cmp_gt_u32_e32 vcc_lo, v45, v9
	s_delay_alu instid0(VALU_DEP_2) | instskip(SKIP_3) | instid1(VALU_DEP_2)
	v_add_lshl_u32 v46, v46, v14, 2
	v_cndmask_b32_e32 v5, v5, v7, vcc_lo
	v_cndmask_b32_e64 v10, v10, 0, vcc_lo
	v_dual_cndmask_b32 v7, v47, v11, vcc_lo :: v_dual_add_nc_u32 v47, 4, v14
	v_dual_add_nc_u32 v4, v10, v4 :: v_dual_bitop2_b32 v48, 1, v5 bitop3:0x40
	ds_bpermute_b32 v11, v46, v7
	v_cmp_eq_u32_e32 vcc_lo, 1, v48
	ds_bpermute_b32 v10, v46, v4
	v_and_b32_e32 v48, 0xff, v5
	s_delay_alu instid0(VALU_DEP_1) | instskip(SKIP_1) | instid1(VALU_DEP_1)
	v_cmp_eq_u16_e64 s13, 0, v48
	s_wait_dscnt 0x0
	v_dual_cndmask_b32 v10, 0, v10, s13 :: v_dual_bitop2_b32 v11, 1, v11 bitop3:0x40
	s_delay_alu instid0(VALU_DEP_1) | instskip(SKIP_1) | instid1(VALU_DEP_2)
	v_cndmask_b32_e64 v11, v11, 1, vcc_lo
	v_cmp_gt_u32_e32 vcc_lo, 24, v14
	v_and_b32_e32 v50, 0xffff, v11
	v_cndmask_b32_e64 v49, 0, 8, vcc_lo
	v_cmp_gt_u32_e32 vcc_lo, v47, v9
	s_delay_alu instid0(VALU_DEP_2) | instskip(NEXT) | instid1(VALU_DEP_4)
	v_add_lshl_u32 v48, v49, v14, 2
	v_dual_cndmask_b32 v5, v11, v5, vcc_lo :: v_dual_cndmask_b32 v7, v50, v7, vcc_lo
	v_cndmask_b32_e64 v10, v10, 0, vcc_lo
	s_delay_alu instid0(VALU_DEP_2)
	v_dual_add_nc_u32 v49, 8, v14 :: v_dual_bitop2_b32 v50, 1, v5 bitop3:0x40
	ds_bpermute_b32 v11, v48, v7
	v_add_nc_u32_e32 v4, v10, v4
	v_and_b32_e32 v51, 0xff, v5
	v_cmp_eq_u32_e32 vcc_lo, 1, v50
	ds_bpermute_b32 v10, v48, v4
	s_wait_dscnt 0x1
	v_and_b32_e32 v11, 1, v11
	s_delay_alu instid0(VALU_DEP_1) | instskip(SKIP_1) | instid1(VALU_DEP_2)
	v_cndmask_b32_e64 v11, v11, 1, vcc_lo
	v_cmp_eq_u16_e32 vcc_lo, 0, v51
	v_and_b32_e32 v50, 0xffff, v11
	s_wait_dscnt 0x0
	v_cndmask_b32_e32 v10, 0, v10, vcc_lo
	v_cmp_gt_u32_e32 vcc_lo, v49, v9
	s_delay_alu instid0(VALU_DEP_3) | instskip(NEXT) | instid1(VALU_DEP_3)
	v_dual_cndmask_b32 v5, v11, v5, vcc_lo :: v_dual_cndmask_b32 v7, v50, v7, vcc_lo
	v_cndmask_b32_e64 v10, v10, 0, vcc_lo
	s_delay_alu instid0(VALU_DEP_2) | instskip(SKIP_3) | instid1(VALU_DEP_1)
	v_and_b32_e32 v50, 1, v5
	ds_bpermute_b32 v7, v52, v7
	v_add_nc_u32_e32 v4, v10, v4
	v_and_b32_e32 v11, 0xff, v5
	v_cmp_eq_u16_e32 vcc_lo, 0, v11
	s_wait_dscnt 0x0
	v_and_b32_e32 v7, 1, v7
	ds_bpermute_b32 v10, v52, v4
	s_wait_dscnt 0x0
	v_cndmask_b32_e32 v10, 0, v10, vcc_lo
	v_cmp_eq_u32_e32 vcc_lo, 1, v50
	v_cndmask_b32_e64 v7, v7, 1, vcc_lo
	v_add_nc_u32_e32 v53, 16, v14
	s_delay_alu instid0(VALU_DEP_1) | instskip(NEXT) | instid1(VALU_DEP_3)
	v_cmp_gt_u32_e32 vcc_lo, v53, v9
	v_dual_mov_b32 v9, 0 :: v_dual_cndmask_b32 v5, v7, v5, vcc_lo
	v_cndmask_b32_e64 v7, v10, 0, vcc_lo
	s_delay_alu instid0(VALU_DEP_1)
	v_add_nc_u32_e32 v4, v7, v4
	s_branch .LBB1644_114
.LBB1644_111:                           ;   in Loop: Header=BB1644_114 Depth=1
	s_or_b32 exec_lo, exec_lo, s31
	v_and_b32_e32 v5, 0xff, v5
.LBB1644_112:                           ;   in Loop: Header=BB1644_114 Depth=1
	s_or_b32 exec_lo, exec_lo, s13
	ds_bpermute_b32 v7, v15, v5
	v_and_b32_e32 v10, 0xff, v6
	v_cmp_gt_u64_e64 s13, s[22:23], v[4:5]
	v_subrev_nc_u32_e32 v8, 32, v8
	s_delay_alu instid0(VALU_DEP_3) | instskip(SKIP_2) | instid1(VALU_DEP_2)
	v_cmp_eq_u16_e32 vcc_lo, 2, v10
	v_and_b32_e32 v10, 1, v5
	v_and_or_b32 v11, vcc_lo, v43, 0x80000000
	v_cmp_eq_u32_e32 vcc_lo, 1, v10
	s_delay_alu instid0(VALU_DEP_2) | instskip(SKIP_3) | instid1(VALU_DEP_1)
	v_ctz_i32_b32_e32 v10, v11
	ds_bpermute_b32 v11, v15, v4
	s_wait_dscnt 0x1
	v_and_b32_e32 v7, 1, v7
	v_cndmask_b32_e64 v7, v7, 1, vcc_lo
	v_cmp_lt_u32_e32 vcc_lo, v14, v10
	s_delay_alu instid0(VALU_DEP_2) | instskip(NEXT) | instid1(VALU_DEP_1)
	v_and_b32_e32 v54, 0xffff, v7
	v_dual_cndmask_b32 v7, v5, v7 :: v_dual_cndmask_b32 v54, v5, v54
	s_and_b32 vcc_lo, vcc_lo, s13
	s_delay_alu instid0(VALU_DEP_1)
	v_and_b32_e32 v56, 0xff, v7
	v_and_b32_e32 v55, 1, v7
	ds_bpermute_b32 v5, v44, v54
	s_wait_dscnt 0x1
	v_cndmask_b32_e32 v11, 0, v11, vcc_lo
	v_cmp_eq_u16_e64 s13, 0, v56
	v_cmp_eq_u32_e32 vcc_lo, 1, v55
	s_wait_dscnt 0x0
	s_delay_alu instid0(VALU_DEP_3) | instskip(NEXT) | instid1(VALU_DEP_1)
	v_dual_add_nc_u32 v4, v11, v4 :: v_dual_bitop2_b32 v5, 1, v5 bitop3:0x40
	v_cndmask_b32_e64 v5, v5, 1, vcc_lo
	ds_bpermute_b32 v11, v44, v4
	v_cmp_gt_u32_e32 vcc_lo, v45, v10
	v_and_b32_e32 v55, 0xffff, v5
	s_delay_alu instid0(VALU_DEP_1) | instskip(NEXT) | instid1(VALU_DEP_1)
	v_dual_cndmask_b32 v5, v5, v7, vcc_lo :: v_dual_cndmask_b32 v7, v55, v54, vcc_lo
	v_and_b32_e32 v55, 1, v5
	ds_bpermute_b32 v54, v46, v7
	s_wait_dscnt 0x1
	v_cndmask_b32_e64 v11, 0, v11, s13
	s_delay_alu instid0(VALU_DEP_1) | instskip(SKIP_2) | instid1(VALU_DEP_3)
	v_cndmask_b32_e64 v11, v11, 0, vcc_lo
	v_cmp_eq_u32_e32 vcc_lo, 1, v55
	v_and_b32_e32 v55, 0xff, v5
	v_add_nc_u32_e32 v4, v11, v4
	s_delay_alu instid0(VALU_DEP_2)
	v_cmp_eq_u16_e64 s13, 0, v55
	s_wait_dscnt 0x0
	v_and_b32_e32 v54, 1, v54
	ds_bpermute_b32 v11, v46, v4
	v_cndmask_b32_e64 v54, v54, 1, vcc_lo
	v_cmp_gt_u32_e32 vcc_lo, v47, v10
	s_delay_alu instid0(VALU_DEP_2) | instskip(SKIP_3) | instid1(VALU_DEP_1)
	v_and_b32_e32 v56, 0xffff, v54
	s_wait_dscnt 0x0
	v_dual_cndmask_b32 v5, v54, v5, vcc_lo :: v_dual_cndmask_b32 v11, 0, v11, s13
	s_mov_b32 s13, 0
	v_cndmask_b32_e64 v11, v11, 0, vcc_lo
	v_cndmask_b32_e32 v7, v56, v7, vcc_lo
	s_delay_alu instid0(VALU_DEP_3) | instskip(NEXT) | instid1(VALU_DEP_3)
	v_and_b32_e32 v56, 0xff, v5
	v_add_nc_u32_e32 v4, v11, v4
	ds_bpermute_b32 v54, v48, v7
	ds_bpermute_b32 v11, v48, v4
	v_and_b32_e32 v55, 1, v5
	s_delay_alu instid0(VALU_DEP_1) | instskip(SKIP_2) | instid1(VALU_DEP_1)
	v_cmp_eq_u32_e32 vcc_lo, 1, v55
	s_wait_dscnt 0x1
	v_and_b32_e32 v54, 1, v54
	v_cndmask_b32_e64 v54, v54, 1, vcc_lo
	v_cmp_eq_u16_e32 vcc_lo, 0, v56
	s_delay_alu instid0(VALU_DEP_2) | instskip(SKIP_3) | instid1(VALU_DEP_2)
	v_and_b32_e32 v55, 0xffff, v54
	s_wait_dscnt 0x0
	v_cndmask_b32_e32 v11, 0, v11, vcc_lo
	v_cmp_gt_u32_e32 vcc_lo, v49, v10
	v_cndmask_b32_e64 v11, v11, 0, vcc_lo
	v_dual_cndmask_b32 v7, v55, v7, vcc_lo :: v_dual_cndmask_b32 v5, v54, v5, vcc_lo
	s_delay_alu instid0(VALU_DEP_2) | instskip(SKIP_4) | instid1(VALU_DEP_1)
	v_add_nc_u32_e32 v4, v11, v4
	ds_bpermute_b32 v7, v52, v7
	v_and_b32_e32 v55, 0xff, v5
	ds_bpermute_b32 v11, v52, v4
	v_and_b32_e32 v54, 1, v5
	v_cmp_eq_u32_e32 vcc_lo, 1, v54
	s_wait_dscnt 0x1
	v_cndmask_b32_e64 v7, v7, 1, vcc_lo
	v_cmp_eq_u16_e32 vcc_lo, 0, v55
	s_wait_dscnt 0x0
	v_cndmask_b32_e32 v11, 0, v11, vcc_lo
	v_cmp_gt_u32_e32 vcc_lo, v53, v10
	v_and_b32_e32 v10, 0xff, v50
	v_cndmask_b32_e32 v5, v7, v5, vcc_lo
	s_delay_alu instid0(VALU_DEP_4) | instskip(NEXT) | instid1(VALU_DEP_3)
	v_cndmask_b32_e64 v7, v11, 0, vcc_lo
	v_cmp_eq_u16_e32 vcc_lo, 0, v10
	s_delay_alu instid0(VALU_DEP_2) | instskip(NEXT) | instid1(VALU_DEP_1)
	v_dual_add_nc_u32 v4, v7, v4 :: v_dual_bitop2_b32 v7, 1, v50 bitop3:0x40
	v_dual_cndmask_b32 v4, 0, v4, vcc_lo :: v_dual_bitop2_b32 v5, 1, v5 bitop3:0x40
	s_delay_alu instid0(VALU_DEP_2) | instskip(NEXT) | instid1(VALU_DEP_2)
	v_cmp_eq_u32_e32 vcc_lo, 1, v7
	v_add_nc_u32_e32 v4, v4, v51
	s_delay_alu instid0(VALU_DEP_3)
	v_cndmask_b32_e64 v5, v5, 1, vcc_lo
.LBB1644_113:                           ;   in Loop: Header=BB1644_114 Depth=1
	s_and_b32 vcc_lo, exec_lo, s13
	s_cbranch_vccnz .LBB1644_159
.LBB1644_114:                           ; =>This Loop Header: Depth=1
                                        ;     Child Loop BB1644_117 Depth 2
	v_and_b32_e32 v6, 0xff, v6
	s_delay_alu instid0(VALU_DEP_2) | instskip(SKIP_1) | instid1(VALU_DEP_2)
	v_dual_mov_b32 v50, v5 :: v_dual_mov_b32 v51, v4
	s_mov_b32 s13, -1
                                        ; implicit-def: $vgpr5
                                        ; implicit-def: $vgpr4
	v_cmp_ne_u16_e32 vcc_lo, 2, v6
                                        ; implicit-def: $vgpr6
	s_cmp_lg_u32 vcc_lo, exec_lo
	s_cbranch_scc1 .LBB1644_113
; %bb.115:                              ;   in Loop: Header=BB1644_114 Depth=1
	v_lshl_add_u64 v[10:11], v[8:9], 4, s[24:25]
	;;#ASMSTART
	global_load_b128 v[4:7], v[10:11] off scope:SCOPE_DEV	
s_wait_loadcnt 0x0
	;;#ASMEND
	v_and_b32_e32 v7, 0xff, v6
	v_and_b32_e32 v5, 0xff, v5
	s_mov_b32 s13, exec_lo
	s_delay_alu instid0(VALU_DEP_2)
	v_cmpx_eq_u16_e32 0, v7
	s_cbranch_execz .LBB1644_112
; %bb.116:                              ;   in Loop: Header=BB1644_114 Depth=1
	s_mov_b32 s31, 0
.LBB1644_117:                           ;   Parent Loop BB1644_114 Depth=1
                                        ; =>  This Inner Loop Header: Depth=2
	;;#ASMSTART
	global_load_b128 v[4:7], v[10:11] off scope:SCOPE_DEV	
s_wait_loadcnt 0x0
	;;#ASMEND
	v_and_b32_e32 v7, 0xff, v6
	s_delay_alu instid0(VALU_DEP_1) | instskip(SKIP_1) | instid1(SALU_CYCLE_1)
	v_cmp_ne_u16_e32 vcc_lo, 0, v7
	s_or_b32 s31, vcc_lo, s31
	s_and_not1_b32 exec_lo, exec_lo, s31
	s_cbranch_execnz .LBB1644_117
	s_branch .LBB1644_111
.LBB1644_118:
                                        ; implicit-def: $vgpr13
                                        ; implicit-def: $vgpr5
                                        ; implicit-def: $vgpr9
                                        ; implicit-def: $vgpr14_vgpr15
	s_cbranch_execnz .LBB1644_164
.LBB1644_119:
	s_add_nc_u64 s[0:1], s[14:15], s[34:35]
	s_and_b32 vcc_lo, exec_lo, s21
	s_add_nc_u64 s[0:1], s[0:1], s[16:17]
	s_cbranch_vccz .LBB1644_181
.LBB1644_120:
	v_mul_u32_u24_e32 v1, 12, v0
	s_add_co_i32 s27, s27, s26
	s_mov_b32 s2, exec_lo
	s_delay_alu instid0(VALU_DEP_1)
	v_cmpx_gt_u32_e64 s27, v1
	s_cbranch_execz .LBB1644_136
; %bb.121:
	v_or_b32_e32 v17, 1, v1
	s_mov_b32 s3, exec_lo
	s_delay_alu instid0(VALU_DEP_1)
	v_cmpx_gt_u32_e64 s27, v17
	s_cbranch_execz .LBB1644_135
; %bb.122:
	v_or_b32_e32 v17, 2, v1
	;; [unrolled: 6-line block ×3, first 2 shown]
	s_mov_b32 s5, exec_lo
	s_delay_alu instid0(VALU_DEP_1)
	v_cmpx_gt_u32_e64 s27, v17
	s_cbranch_execz .LBB1644_133
; %bb.124:
	v_add_nc_u32_e32 v17, 4, v1
	s_mov_b32 s6, exec_lo
	s_delay_alu instid0(VALU_DEP_1)
	v_cmpx_gt_u32_e64 s27, v17
	s_cbranch_execz .LBB1644_132
; %bb.125:
	v_add_nc_u32_e32 v17, 5, v1
	;; [unrolled: 6-line block ×4, first 2 shown]
	s_mov_b32 s9, exec_lo
	s_delay_alu instid0(VALU_DEP_1)
	v_cmpx_gt_u32_e64 s27, v17
; %bb.128:
	v_add_nc_u32_e32 v17, 8, v1
	s_mov_b32 s10, exec_lo
	s_delay_alu instid0(VALU_DEP_1)
	v_cmpx_gt_u32_e64 s27, v17
	s_or_b32 exec_lo, exec_lo, s10
; %bb.129:
	s_delay_alu instid0(SALU_CYCLE_1)
	s_or_b32 exec_lo, exec_lo, s9
.LBB1644_130:
	s_delay_alu instid0(SALU_CYCLE_1)
	s_or_b32 exec_lo, exec_lo, s8
.LBB1644_131:
	s_delay_alu instid0(SALU_CYCLE_1)
	s_or_b32 exec_lo, exec_lo, s7
.LBB1644_132:
	s_delay_alu instid0(SALU_CYCLE_1)
	s_or_b32 exec_lo, exec_lo, s6
.LBB1644_133:
	s_delay_alu instid0(SALU_CYCLE_1)
	s_or_b32 exec_lo, exec_lo, s5
.LBB1644_134:
	s_delay_alu instid0(SALU_CYCLE_1)
	s_or_b32 exec_lo, exec_lo, s4
.LBB1644_135:
	s_delay_alu instid0(SALU_CYCLE_1)
	s_or_b32 exec_lo, exec_lo, s3
.LBB1644_136:
	s_delay_alu instid0(SALU_CYCLE_1)
	s_or_b32 exec_lo, exec_lo, s2
	v_dual_lshlrev_b32 v1, 2, v1 :: v_dual_mov_b32 v17, 0
	s_barrier_signal -1
	s_barrier_wait -1
	ds_store_b128 v1, v[6:9]
	ds_store_b128 v1, v[2:5] offset:16
	ds_store_b128 v1, v[10:13] offset:32
	v_mad_i32_i24 v6, 0xffffffd4, v0, v1
	s_wait_dscnt 0x0
	s_barrier_signal -1
	s_barrier_wait -1
	ds_load_2addr_stride64_b32 v[26:27], v6 offset0:4 offset1:8
	ds_load_2addr_stride64_b32 v[24:25], v6 offset0:12 offset1:16
	ds_load_2addr_stride64_b32 v[22:23], v6 offset0:20 offset1:24
	ds_load_2addr_stride64_b32 v[20:21], v6 offset0:28 offset1:32
	ds_load_2addr_stride64_b32 v[18:19], v6 offset0:36 offset1:40
	ds_load_b32 v7, v6 offset:11264
	v_add_nc_u64_e32 v[16:17], s[0:1], v[16:17]
	s_mov_b32 s2, exec_lo
	v_cmpx_gt_u32_e64 s27, v0
	s_cbranch_execz .LBB1644_138
; %bb.137:
	v_mul_i32_i24_e32 v6, 0xffffffd4, v0
	s_delay_alu instid0(VALU_DEP_1)
	v_add_nc_u32_e32 v1, v1, v6
	ds_load_b32 v1, v1
	s_wait_dscnt 0x0
	v_cvt_f32_u32_e32 v1, v1
	flat_store_b32 v[16:17], v1
.LBB1644_138:
	s_wait_xcnt 0x0
	s_or_b32 exec_lo, exec_lo, s2
	v_or_b32_e32 v1, 0x100, v0
	s_mov_b32 s2, exec_lo
	s_delay_alu instid0(VALU_DEP_1)
	v_cmpx_gt_u32_e64 s27, v1
	s_cbranch_execz .LBB1644_140
; %bb.139:
	s_wait_dscnt 0x5
	v_cvt_f32_u32_e32 v1, v26
	flat_store_b32 v[16:17], v1 offset:1024
.LBB1644_140:
	s_wait_xcnt 0x0
	s_or_b32 exec_lo, exec_lo, s2
	v_or_b32_e32 v1, 0x200, v0
	s_mov_b32 s2, exec_lo
	s_delay_alu instid0(VALU_DEP_1)
	v_cmpx_gt_u32_e64 s27, v1
	s_cbranch_execz .LBB1644_142
; %bb.141:
	s_wait_dscnt 0x5
	v_cvt_f32_u32_e32 v1, v27
	flat_store_b32 v[16:17], v1 offset:2048
.LBB1644_142:
	;; [unrolled: 12-line block ×10, first 2 shown]
	s_wait_xcnt 0x0
	s_or_b32 exec_lo, exec_lo, s2
	v_or_b32_e32 v1, 0xb00, v0
	s_delay_alu instid0(VALU_DEP_1)
	v_cmp_gt_u32_e64 s2, s27, v1
	s_branch .LBB1644_183
.LBB1644_159:
	s_and_saveexec_b32 s13, s12
	s_cbranch_execz .LBB1644_161
; %bb.160:
	v_and_b32_e32 v4, 0xff, v3
	s_mov_b32 s23, 0
	s_add_co_i32 s22, s20, 32
	v_and_b32_e32 v5, 1, v50
	s_lshl_b64 s[22:23], s[22:23], 4
	v_cmp_eq_u32_e32 vcc_lo, 0, v4
	s_add_nc_u64 s[22:23], s[24:25], s[22:23]
	s_delay_alu instid0(SALU_CYCLE_1) | instskip(SKIP_1) | instid1(VALU_DEP_1)
	v_mov_b64_e32 v[6:7], s[22:23]
	v_cndmask_b32_e32 v4, 0, v51, vcc_lo
	v_dual_add_nc_u32 v2, v4, v2 :: v_dual_bitop2_b32 v3, 1, v3 bitop3:0x40
	s_delay_alu instid0(VALU_DEP_1)
	v_cmp_eq_u32_e32 vcc_lo, 1, v3
	v_mov_b32_e32 v4, 2
	v_cndmask_b32_e64 v3, v5, 1, vcc_lo
	v_mov_b32_e32 v5, 0
	;;#ASMSTART
	global_store_b128 v[6:7], v[2:5] off scope:SCOPE_DEV	
s_wait_storecnt 0x0
	;;#ASMEND
.LBB1644_161:
	s_or_b32 exec_lo, exec_lo, s13
	s_delay_alu instid0(SALU_CYCLE_1)
	s_and_b32 exec_lo, exec_lo, s11
	s_cbranch_execz .LBB1644_163
; %bb.162:
	v_mov_b32_e32 v2, 0
	ds_store_b32 v2, v51
	ds_store_b8 v2, v50 offset:4
.LBB1644_163:
	s_or_b32 exec_lo, exec_lo, s30
	v_dual_mov_b32 v2, 0 :: v_dual_bitop2_b32 v3, 1, v19 bitop3:0x40
	s_wait_dscnt 0x0
	s_barrier_signal -1
	s_barrier_wait -1
	s_delay_alu instid0(VALU_DEP_1) | instskip(SKIP_4) | instid1(VALU_DEP_2)
	v_cmp_eq_u32_e32 vcc_lo, 1, v3
	ds_load_b32 v2, v2
	s_mov_b64 s[12:13], 0x100000000
	v_cndmask_b32_e64 v3, v13, 1, vcc_lo
	v_cmp_gt_u64_e32 vcc_lo, s[12:13], v[18:19]
	v_dual_cndmask_b32 v3, v3, v19, s11 :: v_dual_cndmask_b32 v4, 0, v12, vcc_lo
	s_delay_alu instid0(VALU_DEP_1) | instskip(NEXT) | instid1(VALU_DEP_2)
	v_and_b32_e32 v3, 0xff, v3
	v_cndmask_b32_e64 v4, v4, 0, s11
	s_delay_alu instid0(VALU_DEP_2) | instskip(SKIP_2) | instid1(VALU_DEP_1)
	v_cmp_eq_u16_e32 vcc_lo, 0, v3
	s_wait_dscnt 0x0
	v_cndmask_b32_e32 v2, 0, v2, vcc_lo
	v_add3_u32 v6, v4, v18, v2
	s_delay_alu instid0(VALU_DEP_1) | instskip(NEXT) | instid1(VALU_DEP_1)
	v_cndmask_b32_e64 v2, 0, v6, s0
	v_add_nc_u32_e32 v7, v2, v38
	s_delay_alu instid0(VALU_DEP_1) | instskip(NEXT) | instid1(VALU_DEP_1)
	v_cndmask_b32_e64 v2, 0, v7, s1
	v_add_nc_u32_e32 v8, v2, v36
	v_mov_b64_e32 v[14:15], v[6:7]
	s_delay_alu instid0(VALU_DEP_2) | instskip(NEXT) | instid1(VALU_DEP_1)
	v_cndmask_b32_e64 v2, 0, v8, s2
	v_add_nc_u32_e32 v9, v2, v34
	s_delay_alu instid0(VALU_DEP_1) | instskip(NEXT) | instid1(VALU_DEP_1)
	v_cndmask_b32_e64 v2, 0, v9, s3
	v_add_nc_u32_e32 v2, v2, v32
	s_delay_alu instid0(VALU_DEP_1) | instskip(NEXT) | instid1(VALU_DEP_1)
	;; [unrolled: 3-line block ×8, first 2 shown]
	v_cndmask_b32_e64 v13, 0, v12, s10
	v_add_nc_u32_e32 v13, v13, v40
	s_branch .LBB1644_119
.LBB1644_164:
	s_cmp_lg_u64 s[28:29], 0
	v_cmp_eq_u32_e32 vcc_lo, 0, v0
	s_cselect_b32 s1, -1, 0
	s_cmp_lg_u64 s[18:19], 0
	v_cmp_ne_u32_e64 s0, 0, v0
	s_cselect_b32 s2, -1, 0
	s_delay_alu instid0(SALU_CYCLE_1) | instskip(NEXT) | instid1(SALU_CYCLE_1)
	s_and_b32 s1, s1, s2
	s_and_b32 s1, vcc_lo, s1
	s_delay_alu instid0(SALU_CYCLE_1)
	s_and_saveexec_b32 s2, s1
	s_cbranch_execz .LBB1644_166
; %bb.165:
	s_mov_b64 s[4:5], 0x100000000
	s_delay_alu instid0(SALU_CYCLE_1)
	v_cmp_gt_u64_e64 s1, s[4:5], v[18:19]
	v_mov_b32_e32 v2, 0
	s_clause 0x1
	global_load_b32 v3, v2, s[18:19]
	global_load_u8 v4, v2, s[18:19] offset:4
	s_wait_loadcnt 0x1
	v_cndmask_b32_e64 v5, 0, v3, s1
	v_and_b32_e32 v3, 1, v19
	s_wait_loadcnt 0x0
	s_delay_alu instid0(VALU_DEP_2) | instskip(NEXT) | instid1(VALU_DEP_2)
	v_dual_add_nc_u32 v18, v5, v18 :: v_dual_bitop2_b32 v4, 1, v4 bitop3:0x40
	v_cmp_eq_u64_e64 s1, 0, v[2:3]
	s_delay_alu instid0(VALU_DEP_1)
	v_cndmask_b32_e64 v19, 1, v4, s1
.LBB1644_166:
	s_or_b32 exec_lo, exec_lo, s2
	s_mov_b64 s[12:13], 0x100000000
	v_or3_b32 v12, v42, v29, v31
	v_cmp_gt_u64_e64 s1, s[12:13], v[38:39]
	v_cmp_gt_u64_e64 s6, s[12:13], v[28:29]
	;; [unrolled: 1-line block ×7, first 2 shown]
	v_cndmask_b32_e64 v2, 0, v18, s1
	v_cmp_gt_u64_e64 s8, s[12:13], v[24:25]
	v_cmp_gt_u64_e64 s10, s[12:13], v[20:21]
	;; [unrolled: 1-line block ×3, first 2 shown]
	v_dual_mov_b32 v14, 0 :: v_dual_bitop2_b32 v1, 56, v1 bitop3:0x40
	v_add_nc_u32_e32 v7, v2, v38
	v_cmp_gt_u64_e64 s11, s[12:13], v[40:41]
	s_mov_b32 s13, exec_lo
	v_lshl_add_u32 v1, v0, 3, v1
	v_cndmask_b32_e64 v2, 0, v7, s2
	s_delay_alu instid0(VALU_DEP_1) | instskip(NEXT) | instid1(VALU_DEP_1)
	v_add_nc_u32_e32 v8, v2, v36
	v_cndmask_b32_e64 v2, 0, v8, s3
	s_delay_alu instid0(VALU_DEP_1) | instskip(NEXT) | instid1(VALU_DEP_1)
	v_add_nc_u32_e32 v9, v2, v34
	v_cndmask_b32_e64 v2, 0, v9, s4
	s_delay_alu instid0(VALU_DEP_1) | instskip(NEXT) | instid1(VALU_DEP_1)
	v_add_nc_u32_e32 v2, v2, v32
	v_cndmask_b32_e64 v3, 0, v2, s5
	s_delay_alu instid0(VALU_DEP_1) | instskip(NEXT) | instid1(VALU_DEP_1)
	v_add_nc_u32_e32 v3, v3, v30
	v_cndmask_b32_e64 v4, 0, v3, s6
	s_delay_alu instid0(VALU_DEP_1) | instskip(NEXT) | instid1(VALU_DEP_1)
	v_add_nc_u32_e32 v4, v4, v28
	v_cndmask_b32_e64 v5, 0, v4, s7
	s_delay_alu instid0(VALU_DEP_1) | instskip(NEXT) | instid1(VALU_DEP_1)
	v_add_nc_u32_e32 v5, v5, v26
	v_cndmask_b32_e64 v6, 0, v5, s8
	s_delay_alu instid0(VALU_DEP_1) | instskip(NEXT) | instid1(VALU_DEP_1)
	v_add_nc_u32_e32 v10, v6, v24
	v_cndmask_b32_e64 v6, 0, v10, s9
	s_delay_alu instid0(VALU_DEP_1) | instskip(SKIP_1) | instid1(VALU_DEP_2)
	v_add_nc_u32_e32 v11, v6, v22
	v_or3_b32 v6, v12, v33, v35
	v_cndmask_b32_e64 v12, 0, v11, s10
	s_delay_alu instid0(VALU_DEP_2) | instskip(NEXT) | instid1(VALU_DEP_2)
	v_or3_b32 v6, v6, v37, v39
	v_add_nc_u32_e32 v12, v12, v20
	s_delay_alu instid0(VALU_DEP_2) | instskip(NEXT) | instid1(VALU_DEP_1)
	v_or3_b32 v6, v41, v17, v6
	v_and_b32_e32 v15, 0xff, v6
	s_delay_alu instid0(VALU_DEP_1) | instskip(NEXT) | instid1(VALU_DEP_1)
	v_cmp_eq_u64_e64 s12, 0, v[14:15]
	v_dual_cndmask_b32 v13, 0, v12, s11 :: v_dual_cndmask_b32 v6, 1, v19, s12
	s_delay_alu instid0(VALU_DEP_1)
	v_add_nc_u32_e32 v13, v13, v40
	ds_store_b32 v1, v13
	ds_store_b8 v1, v6 offset:4
	s_wait_dscnt 0x0
	s_barrier_signal -1
	s_barrier_wait -1
	v_cmpx_gt_u32_e32 32, v0
	s_cbranch_execz .LBB1644_176
; %bb.167:
	v_dual_lshlrev_b32 v1, 1, v0 :: v_dual_lshlrev_b32 v14, 6, v0
	s_mov_b32 s18, exec_lo
	s_delay_alu instid0(VALU_DEP_1) | instskip(NEXT) | instid1(VALU_DEP_1)
	v_and_b32_e32 v1, 0x1f8, v1
	v_add_nc_u32_e32 v1, v1, v14
	ds_load_u8 v17, v1 offset:12
	ds_load_b64 v[14:15], v1
	ds_load_2addr_b32 v[42:43], v1 offset0:2 offset1:4
	ds_load_u8 v21, v1 offset:20
	ds_load_u8 v23, v1 offset:28
	ds_load_u8 v25, v1 offset:36
	ds_load_u8 v27, v1 offset:44
	ds_load_u8 v29, v1 offset:52
	ds_load_b32 v33, v1 offset:56
	s_wait_dscnt 0x8
	v_cmp_eq_u16_e64 s12, 0, v17
	s_wait_dscnt 0x5
	s_delay_alu instid0(VALU_DEP_1)
	v_dual_cndmask_b32 v31, 0, v14, s12 :: v_dual_bitop2_b32 v17, v21, v17 bitop3:0x54
	ds_load_2addr_b32 v[44:45], v1 offset0:6 offset1:8
	v_cmp_eq_u16_e64 s12, 0, v21
	ds_load_u8 v35, v1 offset:60
	s_wait_dscnt 0x5
	v_bitop3_b16 v17, v17, v25, v23 bitop3:0xfe
	v_add_nc_u32_e32 v31, v31, v42
	s_delay_alu instid0(VALU_DEP_1)
	v_cndmask_b32_e64 v31, 0, v31, s12
	v_cmp_eq_u16_e64 s12, 0, v23
	s_wait_dscnt 0x3
	v_bitop3_b16 v23, v17, v29, v27 bitop3:0xfe
	v_and_b32_e32 v17, 1, v15
	v_add_nc_u32_e32 v31, v31, v43
	ds_load_2addr_b32 v[42:43], v1 offset0:10 offset1:12
	v_cndmask_b32_e64 v31, 0, v31, s12
	v_cmp_eq_u16_e64 s12, 0, v25
	s_wait_dscnt 0x1
	s_delay_alu instid0(VALU_DEP_2) | instskip(NEXT) | instid1(VALU_DEP_1)
	v_dual_add_nc_u32 v31, v31, v44 :: v_dual_bitop2_b32 v25, 1, v35 bitop3:0x40
	v_cndmask_b32_e64 v31, 0, v31, s12
	v_cmp_eq_u16_e64 s12, 0, v27
	s_delay_alu instid0(VALU_DEP_2) | instskip(NEXT) | instid1(VALU_DEP_1)
	v_add_nc_u32_e32 v21, v31, v45
	v_cndmask_b32_e64 v21, 0, v21, s12
	v_cmp_eq_u16_e64 s12, 0, v23
	s_wait_dscnt 0x0
	s_delay_alu instid0(VALU_DEP_1) | instskip(SKIP_1) | instid1(VALU_DEP_1)
	v_dual_add_nc_u32 v21, v21, v42 :: v_dual_cndmask_b32 v23, 1, v17, s12
	v_cmp_eq_u16_e64 s12, 0, v29
	v_cndmask_b32_e64 v21, 0, v21, s12
	v_cmp_eq_u32_e64 s12, 1, v25
	v_mbcnt_lo_u32_b32 v25, -1, 0
	s_delay_alu instid0(VALU_DEP_2) | instskip(SKIP_1) | instid1(VALU_DEP_2)
	v_cndmask_b32_e64 v27, v23, 1, s12
	v_cmp_eq_u16_e64 s12, 0, v35
	v_and_b32_e32 v29, 0xffff, v27
	v_add_nc_u32_e32 v23, v21, v43
	v_and_b32_e32 v21, 0xffffff00, v15
	s_delay_alu instid0(VALU_DEP_1) | instskip(SKIP_1) | instid1(VALU_DEP_2)
	v_dual_cndmask_b32 v23, 0, v23, s12 :: v_dual_bitop2_b32 v31, v21, v29 bitop3:0x54
	v_and_b32_e32 v29, 15, v25
	v_mov_b32_dpp v35, v31 row_shr:1 row_mask:0xf bank_mask:0xf
	s_delay_alu instid0(VALU_DEP_3) | instskip(NEXT) | instid1(VALU_DEP_1)
	v_add_nc_u32_e32 v23, v23, v33
	v_mov_b32_dpp v33, v23 row_shr:1 row_mask:0xf bank_mask:0xf
	s_delay_alu instid0(VALU_DEP_4)
	v_cmpx_ne_u32_e32 0, v29
	s_cbranch_execz .LBB1644_169
; %bb.168:
	v_and_b32_e32 v31, 1, v27
	v_and_b32_e32 v35, 1, v35
	s_delay_alu instid0(VALU_DEP_2) | instskip(NEXT) | instid1(VALU_DEP_1)
	v_cmp_eq_u32_e64 s12, 1, v31
	v_cndmask_b32_e64 v35, v35, 1, s12
	v_cmp_eq_u16_e64 s12, 0, v27
	s_delay_alu instid0(VALU_DEP_2) | instskip(NEXT) | instid1(VALU_DEP_1)
	v_and_b32_e32 v31, 0xffff, v35
	v_dual_cndmask_b32 v27, 0, v33, s12 :: v_dual_bitop2_b32 v31, v21, v31 bitop3:0x54
	s_delay_alu instid0(VALU_DEP_1)
	v_add_nc_u32_e32 v23, v27, v23
	v_mov_b32_e32 v27, v35
.LBB1644_169:
	s_or_b32 exec_lo, exec_lo, s18
	s_delay_alu instid0(VALU_DEP_2)
	v_mov_b32_dpp v33, v23 row_shr:2 row_mask:0xf bank_mask:0xf
	v_mov_b32_dpp v35, v31 row_shr:2 row_mask:0xf bank_mask:0xf
	s_mov_b32 s18, exec_lo
	v_cmpx_lt_u32_e32 1, v29
	s_cbranch_execz .LBB1644_171
; %bb.170:
	v_and_b32_e32 v31, 1, v27
	v_and_b32_e32 v35, 1, v35
	s_delay_alu instid0(VALU_DEP_2) | instskip(NEXT) | instid1(VALU_DEP_1)
	v_cmp_eq_u32_e64 s12, 1, v31
	v_cndmask_b32_e64 v35, v35, 1, s12
	v_cmp_eq_u16_e64 s12, 0, v27
	s_delay_alu instid0(VALU_DEP_2) | instskip(NEXT) | instid1(VALU_DEP_1)
	v_and_b32_e32 v31, 0xffff, v35
	v_dual_cndmask_b32 v27, 0, v33, s12 :: v_dual_bitop2_b32 v31, v21, v31 bitop3:0x54
	s_delay_alu instid0(VALU_DEP_1)
	v_add_nc_u32_e32 v23, v27, v23
	v_mov_b32_e32 v27, v35
.LBB1644_171:
	s_or_b32 exec_lo, exec_lo, s18
	s_delay_alu instid0(VALU_DEP_2)
	v_mov_b32_dpp v33, v23 row_shr:4 row_mask:0xf bank_mask:0xf
	v_mov_b32_dpp v35, v31 row_shr:4 row_mask:0xf bank_mask:0xf
	s_mov_b32 s18, exec_lo
	v_cmpx_lt_u32_e32 3, v29
	;; [unrolled: 21-line block ×3, first 2 shown]
	s_cbranch_execz .LBB1644_175
; %bb.174:
	v_and_b32_e32 v29, 1, v27
	v_and_b32_e32 v31, 1, v35
	s_delay_alu instid0(VALU_DEP_2) | instskip(NEXT) | instid1(VALU_DEP_1)
	v_cmp_eq_u32_e64 s12, 1, v29
	v_cndmask_b32_e64 v29, v31, 1, s12
	v_cmp_eq_u16_e64 s12, 0, v27
	s_delay_alu instid0(VALU_DEP_2) | instskip(NEXT) | instid1(VALU_DEP_1)
	v_and_b32_e32 v31, 0xffff, v29
	v_dual_cndmask_b32 v27, 0, v33, s12 :: v_dual_bitop2_b32 v31, v21, v31 bitop3:0x54
	s_delay_alu instid0(VALU_DEP_1)
	v_dual_add_nc_u32 v23, v27, v23 :: v_dual_mov_b32 v27, v29
.LBB1644_175:
	s_or_b32 exec_lo, exec_lo, s18
	ds_swizzle_b32 v29, v31 offset:swizzle(BROADCAST,32,15)
	ds_swizzle_b32 v31, v23 offset:swizzle(BROADCAST,32,15)
	v_and_b32_e32 v33, 1, v27
	v_and_b32_e32 v35, 16, v25
	v_bfe_i32 v37, v25, 4, 1
	v_and_b32_e32 v15, 0xff, v15
	s_delay_alu instid0(VALU_DEP_4) | instskip(SKIP_3) | instid1(VALU_DEP_1)
	v_cmp_eq_u32_e64 s12, 1, v33
	v_add_nc_u32_e32 v33, -1, v25
	; wave barrier
	s_wait_dscnt 0x1
	v_and_b32_e32 v29, 1, v29
	v_cndmask_b32_e64 v29, v29, 1, s12
	v_cmp_eq_u16_e64 s12, 0, v27
	s_wait_dscnt 0x0
	s_delay_alu instid0(VALU_DEP_1) | instskip(SKIP_1) | instid1(VALU_DEP_1)
	v_cndmask_b32_e64 v31, 0, v31, s12
	v_cmp_eq_u32_e64 s12, 0, v35
	v_cndmask_b32_e64 v27, v29, v27, s12
	v_cmp_gt_i32_e64 s12, 0, v33
	s_delay_alu instid0(VALU_DEP_2) | instskip(NEXT) | instid1(VALU_DEP_2)
	v_and_b32_e32 v27, 0xffff, v27
	v_cndmask_b32_e64 v25, v33, v25, s12
	v_and_b32_e32 v29, v37, v31
	v_cmp_eq_u16_e64 s12, 0, v15
	s_delay_alu instid0(VALU_DEP_3)
	v_dual_lshlrev_b32 v25, 2, v25 :: v_dual_bitop2_b32 v21, v21, v27 bitop3:0x54
	ds_bpermute_b32 v21, v25, v21
	s_wait_dscnt 0x0
	v_dual_add_nc_u32 v23, v29, v23 :: v_dual_bitop2_b32 v21, 1, v21 bitop3:0x40
	ds_bpermute_b32 v23, v25, v23
	s_wait_dscnt 0x0
	v_cndmask_b32_e64 v15, 0, v23, s12
	v_cmp_eq_u32_e64 s12, 1, v17
	s_delay_alu instid0(VALU_DEP_2) | instskip(NEXT) | instid1(VALU_DEP_2)
	v_add_nc_u32_e32 v14, v15, v14
	v_cndmask_b32_e64 v15, v21, 1, s12
	s_delay_alu instid0(VALU_DEP_1)
	v_dual_cndmask_b32 v17, v14, v13 :: v_dual_cndmask_b32 v6, v15, v6
	ds_store_b32 v1, v17
	ds_store_b8 v1, v6 offset:4
	; wave barrier
	ds_load_u8 v21, v1 offset:12
	ds_load_2addr_b32 v[14:15], v1 offset0:2 offset1:4
	ds_load_u8 v23, v1 offset:20
	ds_load_u8 v25, v1 offset:28
	;; [unrolled: 1-line block ×5, first 2 shown]
	ds_load_b32 v33, v1 offset:56
	ds_load_u8 v35, v1 offset:60
	ds_load_2addr_b32 v[42:43], v1 offset0:6 offset1:8
	s_wait_dscnt 0x9
	v_cmp_eq_u16_e64 s12, 0, v21
	s_delay_alu instid0(VALU_DEP_1) | instskip(SKIP_2) | instid1(VALU_DEP_2)
	v_cndmask_b32_e64 v17, 0, v17, s12
	s_wait_dscnt 0x7
	v_cmp_eq_u16_e64 s12, 0, v23
	v_add_nc_u32_e32 v17, v17, v14
	s_delay_alu instid0(VALU_DEP_1) | instskip(SKIP_2) | instid1(VALU_DEP_2)
	v_cndmask_b32_e64 v14, 0, v17, s12
	s_wait_dscnt 0x6
	v_cmp_eq_u16_e64 s12, 0, v25
	v_add_nc_u32_e32 v37, v14, v15
	ds_load_2addr_b32 v[14:15], v1 offset0:10 offset1:12
	v_cndmask_b32_e64 v39, 0, v37, s12
	s_wait_dscnt 0x6
	v_cmp_eq_u16_e64 s12, 0, v27
	ds_store_2addr_b32 v1, v17, v37 offset0:2 offset1:4
	s_wait_dscnt 0x2
	v_dual_add_nc_u32 v39, v39, v42 :: v_dual_bitop2_b32 v21, 1, v21 bitop3:0x40
	v_and_b32_e32 v42, 1, v35
	s_delay_alu instid0(VALU_DEP_2) | instskip(NEXT) | instid1(VALU_DEP_3)
	v_cndmask_b32_e64 v41, 0, v39, s12
	v_cmp_eq_u32_e64 s12, 1, v21
	s_delay_alu instid0(VALU_DEP_2) | instskip(SKIP_1) | instid1(VALU_DEP_3)
	v_dual_add_nc_u32 v25, v41, v43 :: v_dual_bitop2_b32 v21, 1, v25 bitop3:0x40
	v_and_b32_e32 v23, 1, v23
	v_cndmask_b32_e64 v6, v6, 1, s12
	s_delay_alu instid0(VALU_DEP_2) | instskip(NEXT) | instid1(VALU_DEP_1)
	v_cmp_eq_u32_e64 s12, 1, v23
	v_cndmask_b32_e64 v23, v6, 1, s12
	v_cmp_eq_u16_e64 s12, 0, v29
	s_delay_alu instid0(VALU_DEP_1) | instskip(SKIP_2) | instid1(VALU_DEP_2)
	v_dual_cndmask_b32 v41, 0, v25, s12 :: v_dual_bitop2_b32 v27, 1, v27 bitop3:0x40
	v_cmp_eq_u32_e64 s12, 1, v21
	s_wait_dscnt 0x1
	v_dual_add_nc_u32 v14, v41, v14 :: v_dual_bitop2_b32 v41, 1, v31 bitop3:0x40
	s_delay_alu instid0(VALU_DEP_2) | instskip(SKIP_1) | instid1(VALU_DEP_1)
	v_cndmask_b32_e64 v21, v23, 1, s12
	v_cmp_eq_u32_e64 s12, 1, v27
	v_cndmask_b32_e64 v27, v21, 1, s12
	v_cmp_eq_u16_e64 s12, 0, v31
	s_delay_alu instid0(VALU_DEP_1) | instskip(NEXT) | instid1(VALU_DEP_1)
	v_dual_cndmask_b32 v31, 0, v14, s12 :: v_dual_bitop2_b32 v29, 1, v29 bitop3:0x40
	v_cmp_eq_u32_e64 s12, 1, v29
	s_delay_alu instid0(VALU_DEP_2) | instskip(NEXT) | instid1(VALU_DEP_2)
	v_add_nc_u32_e32 v15, v31, v15
	v_cndmask_b32_e64 v29, v27, 1, s12
	v_cmp_eq_u32_e64 s12, 1, v41
	ds_store_2addr_b32 v1, v39, v25 offset0:6 offset1:8
	ds_store_2addr_b32 v1, v14, v15 offset0:10 offset1:12
	v_cndmask_b32_e64 v31, v29, 1, s12
	v_cmp_eq_u16_e64 s12, 0, v35
	s_delay_alu instid0(VALU_DEP_1) | instskip(SKIP_1) | instid1(VALU_DEP_2)
	v_cndmask_b32_e64 v17, 0, v15, s12
	v_cmp_eq_u32_e64 s12, 1, v42
	v_add_nc_u32_e32 v14, v17, v33
	s_delay_alu instid0(VALU_DEP_2)
	v_cndmask_b32_e64 v35, v31, 1, s12
	ds_store_b8 v1, v6 offset:12
	ds_store_b8 v1, v23 offset:20
	;; [unrolled: 1-line block ×6, first 2 shown]
	ds_store_b32 v1, v14 offset:56
	ds_store_b8 v1, v35 offset:60
.LBB1644_176:
	s_or_b32 exec_lo, exec_lo, s13
	v_mov_b32_e32 v6, v18
	s_wait_dscnt 0x0
	s_barrier_signal -1
	s_barrier_wait -1
	s_delay_alu instid0(VALU_DEP_1)
	v_mov_b64_e32 v[14:15], v[6:7]
	s_and_saveexec_b32 s12, s0
	s_cbranch_execz .LBB1644_178
; %bb.177:
	v_add_nc_u32_e32 v1, -1, v0
	v_and_b32_e32 v3, 0xff, v19
	s_delay_alu instid0(VALU_DEP_2) | instskip(NEXT) | instid1(VALU_DEP_1)
	v_lshrrev_b32_e32 v2, 2, v1
	v_and_b32_e32 v2, 0x3ffffff8, v2
	s_delay_alu instid0(VALU_DEP_1)
	v_lshl_add_u32 v1, v1, 3, v2
	v_mov_b32_e32 v2, 0
	ds_load_b32 v1, v1
	v_cmp_eq_u64_e64 s0, 0, v[2:3]
	;;#ASMSTART
	;;#ASMEND
	s_wait_dscnt 0x0
	s_delay_alu instid0(VALU_DEP_1) | instskip(NEXT) | instid1(VALU_DEP_1)
	v_cndmask_b32_e64 v1, 0, v1, s0
	v_add_nc_u32_e32 v14, v1, v18
	s_delay_alu instid0(VALU_DEP_1) | instskip(NEXT) | instid1(VALU_DEP_1)
	v_cndmask_b32_e64 v1, 0, v14, s1
	v_add_nc_u32_e32 v15, v1, v38
	s_delay_alu instid0(VALU_DEP_1) | instskip(NEXT) | instid1(VALU_DEP_1)
	v_dual_cndmask_b32 v1, 0, v15, s2 :: v_dual_mov_b32 v18, v14
	v_dual_mov_b32 v7, v15 :: v_dual_add_nc_u32 v8, v1, v36
	s_delay_alu instid0(VALU_DEP_1) | instskip(NEXT) | instid1(VALU_DEP_1)
	v_cndmask_b32_e64 v1, 0, v8, s3
	v_add_nc_u32_e32 v9, v1, v34
	s_delay_alu instid0(VALU_DEP_1) | instskip(NEXT) | instid1(VALU_DEP_1)
	v_cndmask_b32_e64 v1, 0, v9, s4
	v_add_nc_u32_e32 v2, v1, v32
	s_delay_alu instid0(VALU_DEP_1) | instskip(NEXT) | instid1(VALU_DEP_1)
	v_cndmask_b32_e64 v1, 0, v2, s5
	v_add_nc_u32_e32 v3, v1, v30
	s_delay_alu instid0(VALU_DEP_1) | instskip(NEXT) | instid1(VALU_DEP_1)
	v_cndmask_b32_e64 v1, 0, v3, s6
	v_add_nc_u32_e32 v4, v1, v28
	s_delay_alu instid0(VALU_DEP_1) | instskip(NEXT) | instid1(VALU_DEP_1)
	v_cndmask_b32_e64 v1, 0, v4, s7
	v_add_nc_u32_e32 v5, v1, v26
	s_delay_alu instid0(VALU_DEP_1) | instskip(NEXT) | instid1(VALU_DEP_1)
	v_cndmask_b32_e64 v1, 0, v5, s8
	v_add_nc_u32_e32 v10, v1, v24
	s_delay_alu instid0(VALU_DEP_1) | instskip(NEXT) | instid1(VALU_DEP_1)
	v_cndmask_b32_e64 v1, 0, v10, s9
	v_add_nc_u32_e32 v11, v1, v22
	s_delay_alu instid0(VALU_DEP_1) | instskip(NEXT) | instid1(VALU_DEP_1)
	v_cndmask_b32_e64 v1, 0, v11, s10
	v_add_nc_u32_e32 v12, v1, v20
	s_delay_alu instid0(VALU_DEP_1) | instskip(NEXT) | instid1(VALU_DEP_1)
	v_cndmask_b32_e64 v1, 0, v12, s11
	v_add_nc_u32_e32 v13, v1, v40
.LBB1644_178:
	s_or_b32 exec_lo, exec_lo, s12
	s_and_saveexec_b32 s0, vcc_lo
	s_cbranch_execz .LBB1644_180
; %bb.179:
	v_dual_mov_b32 v23, 0 :: v_dual_mov_b32 v22, 2
	s_add_nc_u64 s[2:3], s[24:25], 0x200
	ds_load_b32 v20, v23 offset:2096
	ds_load_u8 v21, v23 offset:2100
	v_mov_b64_e32 v[24:25], s[2:3]
	s_wait_dscnt 0x0
	;;#ASMSTART
	global_store_b128 v[24:25], v[20:23] off scope:SCOPE_DEV	
s_wait_storecnt 0x0
	;;#ASMEND
.LBB1644_180:
	s_or_b32 exec_lo, exec_lo, s0
	v_mov_b32_e32 v6, v18
	s_add_nc_u64 s[0:1], s[14:15], s[34:35]
	s_and_b32 vcc_lo, exec_lo, s21
	s_add_nc_u64 s[0:1], s[0:1], s[16:17]
	s_cbranch_vccnz .LBB1644_120
.LBB1644_181:
	s_mov_b32 s2, 0
                                        ; implicit-def: $vgpr7
	s_cbranch_execz .LBB1644_183
; %bb.182:
	v_mul_u32_u24_e32 v1, 48, v0
	v_dual_mov_b32 v16, v8 :: v_dual_mov_b32 v17, v9
	v_mul_i32_i24_e32 v6, 0xffffffd4, v0
	s_wait_storecnt_dscnt 0x0
	s_barrier_signal -1
	s_barrier_wait -1
	ds_store_b128 v1, v[14:17]
	ds_store_b128 v1, v[2:5] offset:16
	ds_store_b128 v1, v[10:13] offset:32
	v_mad_u32_u24 v1, v0, 48, v6
	s_wait_dscnt 0x0
	s_barrier_signal -1
	s_barrier_wait -1
	ds_load_2addr_stride64_b32 v[2:3], v1 offset1:4
	ds_load_2addr_stride64_b32 v[4:5], v1 offset0:8 offset1:12
	ds_load_2addr_stride64_b32 v[8:9], v1 offset0:16 offset1:20
	;; [unrolled: 1-line block ×5, first 2 shown]
	s_or_b32 s2, s2, exec_lo
	s_wait_dscnt 0x5
	v_cvt_f32_u32_e32 v1, v2
	v_cvt_f32_u32_e32 v2, v3
	s_wait_dscnt 0x4
	v_cvt_f32_u32_e32 v3, v4
	v_cvt_f32_u32_e32 v4, v5
	;; [unrolled: 3-line block ×5, first 2 shown]
	s_wait_dscnt 0x0
	v_cvt_f32_u32_e32 v6, v6
	s_clause 0xa
	flat_store_b32 v0, v1, s[0:1] scale_offset
	flat_store_b32 v0, v2, s[0:1] offset:1024 scale_offset
	flat_store_b32 v0, v3, s[0:1] offset:2048 scale_offset
	;; [unrolled: 1-line block ×10, first 2 shown]
.LBB1644_183:
	s_wait_xcnt 0x0
	s_delay_alu instid0(VALU_DEP_1)
	s_and_saveexec_b32 s3, s2
	s_cbranch_execnz .LBB1644_185
; %bb.184:
	s_endpgm
.LBB1644_185:
	s_wait_dscnt 0x0
	v_cvt_f32_u32_e32 v1, v7
	flat_store_b32 v0, v1, s[0:1] offset:11264 scale_offset
	s_endpgm
	.section	.rodata,"a",@progbits
	.p2align	6, 0x0
	.amdhsa_kernel _ZN7rocprim17ROCPRIM_400000_NS6detail17trampoline_kernelINS0_14default_configENS1_27scan_by_key_config_selectorIijEEZZNS1_16scan_by_key_implILNS1_25lookback_scan_determinismE0ELb0ES3_N6thrust23THRUST_200600_302600_NS6detail15normal_iteratorINS9_10device_ptrIiEEEENSB_INSC_IjEEEENSB_INSC_IfEEEEjNS9_4plusIvEENS9_8equal_toIvEEjEE10hipError_tPvRmT2_T3_T4_T5_mT6_T7_P12ihipStream_tbENKUlT_T0_E_clISt17integral_constantIbLb0EES13_EEDaSY_SZ_EUlSY_E_NS1_11comp_targetILNS1_3genE0ELNS1_11target_archE4294967295ELNS1_3gpuE0ELNS1_3repE0EEENS1_30default_config_static_selectorELNS0_4arch9wavefront6targetE0EEEvT1_
		.amdhsa_group_segment_fixed_size 14336
		.amdhsa_private_segment_fixed_size 0
		.amdhsa_kernarg_size 112
		.amdhsa_user_sgpr_count 2
		.amdhsa_user_sgpr_dispatch_ptr 0
		.amdhsa_user_sgpr_queue_ptr 0
		.amdhsa_user_sgpr_kernarg_segment_ptr 1
		.amdhsa_user_sgpr_dispatch_id 0
		.amdhsa_user_sgpr_kernarg_preload_length 0
		.amdhsa_user_sgpr_kernarg_preload_offset 0
		.amdhsa_user_sgpr_private_segment_size 0
		.amdhsa_wavefront_size32 1
		.amdhsa_uses_dynamic_stack 0
		.amdhsa_enable_private_segment 0
		.amdhsa_system_sgpr_workgroup_id_x 1
		.amdhsa_system_sgpr_workgroup_id_y 0
		.amdhsa_system_sgpr_workgroup_id_z 0
		.amdhsa_system_sgpr_workgroup_info 0
		.amdhsa_system_vgpr_workitem_id 0
		.amdhsa_next_free_vgpr 60
		.amdhsa_next_free_sgpr 42
		.amdhsa_named_barrier_count 0
		.amdhsa_reserve_vcc 1
		.amdhsa_float_round_mode_32 0
		.amdhsa_float_round_mode_16_64 0
		.amdhsa_float_denorm_mode_32 3
		.amdhsa_float_denorm_mode_16_64 3
		.amdhsa_fp16_overflow 0
		.amdhsa_memory_ordered 1
		.amdhsa_forward_progress 1
		.amdhsa_inst_pref_size 95
		.amdhsa_round_robin_scheduling 0
		.amdhsa_exception_fp_ieee_invalid_op 0
		.amdhsa_exception_fp_denorm_src 0
		.amdhsa_exception_fp_ieee_div_zero 0
		.amdhsa_exception_fp_ieee_overflow 0
		.amdhsa_exception_fp_ieee_underflow 0
		.amdhsa_exception_fp_ieee_inexact 0
		.amdhsa_exception_int_div_zero 0
	.end_amdhsa_kernel
	.section	.text._ZN7rocprim17ROCPRIM_400000_NS6detail17trampoline_kernelINS0_14default_configENS1_27scan_by_key_config_selectorIijEEZZNS1_16scan_by_key_implILNS1_25lookback_scan_determinismE0ELb0ES3_N6thrust23THRUST_200600_302600_NS6detail15normal_iteratorINS9_10device_ptrIiEEEENSB_INSC_IjEEEENSB_INSC_IfEEEEjNS9_4plusIvEENS9_8equal_toIvEEjEE10hipError_tPvRmT2_T3_T4_T5_mT6_T7_P12ihipStream_tbENKUlT_T0_E_clISt17integral_constantIbLb0EES13_EEDaSY_SZ_EUlSY_E_NS1_11comp_targetILNS1_3genE0ELNS1_11target_archE4294967295ELNS1_3gpuE0ELNS1_3repE0EEENS1_30default_config_static_selectorELNS0_4arch9wavefront6targetE0EEEvT1_,"axG",@progbits,_ZN7rocprim17ROCPRIM_400000_NS6detail17trampoline_kernelINS0_14default_configENS1_27scan_by_key_config_selectorIijEEZZNS1_16scan_by_key_implILNS1_25lookback_scan_determinismE0ELb0ES3_N6thrust23THRUST_200600_302600_NS6detail15normal_iteratorINS9_10device_ptrIiEEEENSB_INSC_IjEEEENSB_INSC_IfEEEEjNS9_4plusIvEENS9_8equal_toIvEEjEE10hipError_tPvRmT2_T3_T4_T5_mT6_T7_P12ihipStream_tbENKUlT_T0_E_clISt17integral_constantIbLb0EES13_EEDaSY_SZ_EUlSY_E_NS1_11comp_targetILNS1_3genE0ELNS1_11target_archE4294967295ELNS1_3gpuE0ELNS1_3repE0EEENS1_30default_config_static_selectorELNS0_4arch9wavefront6targetE0EEEvT1_,comdat
.Lfunc_end1644:
	.size	_ZN7rocprim17ROCPRIM_400000_NS6detail17trampoline_kernelINS0_14default_configENS1_27scan_by_key_config_selectorIijEEZZNS1_16scan_by_key_implILNS1_25lookback_scan_determinismE0ELb0ES3_N6thrust23THRUST_200600_302600_NS6detail15normal_iteratorINS9_10device_ptrIiEEEENSB_INSC_IjEEEENSB_INSC_IfEEEEjNS9_4plusIvEENS9_8equal_toIvEEjEE10hipError_tPvRmT2_T3_T4_T5_mT6_T7_P12ihipStream_tbENKUlT_T0_E_clISt17integral_constantIbLb0EES13_EEDaSY_SZ_EUlSY_E_NS1_11comp_targetILNS1_3genE0ELNS1_11target_archE4294967295ELNS1_3gpuE0ELNS1_3repE0EEENS1_30default_config_static_selectorELNS0_4arch9wavefront6targetE0EEEvT1_, .Lfunc_end1644-_ZN7rocprim17ROCPRIM_400000_NS6detail17trampoline_kernelINS0_14default_configENS1_27scan_by_key_config_selectorIijEEZZNS1_16scan_by_key_implILNS1_25lookback_scan_determinismE0ELb0ES3_N6thrust23THRUST_200600_302600_NS6detail15normal_iteratorINS9_10device_ptrIiEEEENSB_INSC_IjEEEENSB_INSC_IfEEEEjNS9_4plusIvEENS9_8equal_toIvEEjEE10hipError_tPvRmT2_T3_T4_T5_mT6_T7_P12ihipStream_tbENKUlT_T0_E_clISt17integral_constantIbLb0EES13_EEDaSY_SZ_EUlSY_E_NS1_11comp_targetILNS1_3genE0ELNS1_11target_archE4294967295ELNS1_3gpuE0ELNS1_3repE0EEENS1_30default_config_static_selectorELNS0_4arch9wavefront6targetE0EEEvT1_
                                        ; -- End function
	.set _ZN7rocprim17ROCPRIM_400000_NS6detail17trampoline_kernelINS0_14default_configENS1_27scan_by_key_config_selectorIijEEZZNS1_16scan_by_key_implILNS1_25lookback_scan_determinismE0ELb0ES3_N6thrust23THRUST_200600_302600_NS6detail15normal_iteratorINS9_10device_ptrIiEEEENSB_INSC_IjEEEENSB_INSC_IfEEEEjNS9_4plusIvEENS9_8equal_toIvEEjEE10hipError_tPvRmT2_T3_T4_T5_mT6_T7_P12ihipStream_tbENKUlT_T0_E_clISt17integral_constantIbLb0EES13_EEDaSY_SZ_EUlSY_E_NS1_11comp_targetILNS1_3genE0ELNS1_11target_archE4294967295ELNS1_3gpuE0ELNS1_3repE0EEENS1_30default_config_static_selectorELNS0_4arch9wavefront6targetE0EEEvT1_.num_vgpr, 60
	.set _ZN7rocprim17ROCPRIM_400000_NS6detail17trampoline_kernelINS0_14default_configENS1_27scan_by_key_config_selectorIijEEZZNS1_16scan_by_key_implILNS1_25lookback_scan_determinismE0ELb0ES3_N6thrust23THRUST_200600_302600_NS6detail15normal_iteratorINS9_10device_ptrIiEEEENSB_INSC_IjEEEENSB_INSC_IfEEEEjNS9_4plusIvEENS9_8equal_toIvEEjEE10hipError_tPvRmT2_T3_T4_T5_mT6_T7_P12ihipStream_tbENKUlT_T0_E_clISt17integral_constantIbLb0EES13_EEDaSY_SZ_EUlSY_E_NS1_11comp_targetILNS1_3genE0ELNS1_11target_archE4294967295ELNS1_3gpuE0ELNS1_3repE0EEENS1_30default_config_static_selectorELNS0_4arch9wavefront6targetE0EEEvT1_.num_agpr, 0
	.set _ZN7rocprim17ROCPRIM_400000_NS6detail17trampoline_kernelINS0_14default_configENS1_27scan_by_key_config_selectorIijEEZZNS1_16scan_by_key_implILNS1_25lookback_scan_determinismE0ELb0ES3_N6thrust23THRUST_200600_302600_NS6detail15normal_iteratorINS9_10device_ptrIiEEEENSB_INSC_IjEEEENSB_INSC_IfEEEEjNS9_4plusIvEENS9_8equal_toIvEEjEE10hipError_tPvRmT2_T3_T4_T5_mT6_T7_P12ihipStream_tbENKUlT_T0_E_clISt17integral_constantIbLb0EES13_EEDaSY_SZ_EUlSY_E_NS1_11comp_targetILNS1_3genE0ELNS1_11target_archE4294967295ELNS1_3gpuE0ELNS1_3repE0EEENS1_30default_config_static_selectorELNS0_4arch9wavefront6targetE0EEEvT1_.numbered_sgpr, 42
	.set _ZN7rocprim17ROCPRIM_400000_NS6detail17trampoline_kernelINS0_14default_configENS1_27scan_by_key_config_selectorIijEEZZNS1_16scan_by_key_implILNS1_25lookback_scan_determinismE0ELb0ES3_N6thrust23THRUST_200600_302600_NS6detail15normal_iteratorINS9_10device_ptrIiEEEENSB_INSC_IjEEEENSB_INSC_IfEEEEjNS9_4plusIvEENS9_8equal_toIvEEjEE10hipError_tPvRmT2_T3_T4_T5_mT6_T7_P12ihipStream_tbENKUlT_T0_E_clISt17integral_constantIbLb0EES13_EEDaSY_SZ_EUlSY_E_NS1_11comp_targetILNS1_3genE0ELNS1_11target_archE4294967295ELNS1_3gpuE0ELNS1_3repE0EEENS1_30default_config_static_selectorELNS0_4arch9wavefront6targetE0EEEvT1_.num_named_barrier, 0
	.set _ZN7rocprim17ROCPRIM_400000_NS6detail17trampoline_kernelINS0_14default_configENS1_27scan_by_key_config_selectorIijEEZZNS1_16scan_by_key_implILNS1_25lookback_scan_determinismE0ELb0ES3_N6thrust23THRUST_200600_302600_NS6detail15normal_iteratorINS9_10device_ptrIiEEEENSB_INSC_IjEEEENSB_INSC_IfEEEEjNS9_4plusIvEENS9_8equal_toIvEEjEE10hipError_tPvRmT2_T3_T4_T5_mT6_T7_P12ihipStream_tbENKUlT_T0_E_clISt17integral_constantIbLb0EES13_EEDaSY_SZ_EUlSY_E_NS1_11comp_targetILNS1_3genE0ELNS1_11target_archE4294967295ELNS1_3gpuE0ELNS1_3repE0EEENS1_30default_config_static_selectorELNS0_4arch9wavefront6targetE0EEEvT1_.private_seg_size, 0
	.set _ZN7rocprim17ROCPRIM_400000_NS6detail17trampoline_kernelINS0_14default_configENS1_27scan_by_key_config_selectorIijEEZZNS1_16scan_by_key_implILNS1_25lookback_scan_determinismE0ELb0ES3_N6thrust23THRUST_200600_302600_NS6detail15normal_iteratorINS9_10device_ptrIiEEEENSB_INSC_IjEEEENSB_INSC_IfEEEEjNS9_4plusIvEENS9_8equal_toIvEEjEE10hipError_tPvRmT2_T3_T4_T5_mT6_T7_P12ihipStream_tbENKUlT_T0_E_clISt17integral_constantIbLb0EES13_EEDaSY_SZ_EUlSY_E_NS1_11comp_targetILNS1_3genE0ELNS1_11target_archE4294967295ELNS1_3gpuE0ELNS1_3repE0EEENS1_30default_config_static_selectorELNS0_4arch9wavefront6targetE0EEEvT1_.uses_vcc, 1
	.set _ZN7rocprim17ROCPRIM_400000_NS6detail17trampoline_kernelINS0_14default_configENS1_27scan_by_key_config_selectorIijEEZZNS1_16scan_by_key_implILNS1_25lookback_scan_determinismE0ELb0ES3_N6thrust23THRUST_200600_302600_NS6detail15normal_iteratorINS9_10device_ptrIiEEEENSB_INSC_IjEEEENSB_INSC_IfEEEEjNS9_4plusIvEENS9_8equal_toIvEEjEE10hipError_tPvRmT2_T3_T4_T5_mT6_T7_P12ihipStream_tbENKUlT_T0_E_clISt17integral_constantIbLb0EES13_EEDaSY_SZ_EUlSY_E_NS1_11comp_targetILNS1_3genE0ELNS1_11target_archE4294967295ELNS1_3gpuE0ELNS1_3repE0EEENS1_30default_config_static_selectorELNS0_4arch9wavefront6targetE0EEEvT1_.uses_flat_scratch, 1
	.set _ZN7rocprim17ROCPRIM_400000_NS6detail17trampoline_kernelINS0_14default_configENS1_27scan_by_key_config_selectorIijEEZZNS1_16scan_by_key_implILNS1_25lookback_scan_determinismE0ELb0ES3_N6thrust23THRUST_200600_302600_NS6detail15normal_iteratorINS9_10device_ptrIiEEEENSB_INSC_IjEEEENSB_INSC_IfEEEEjNS9_4plusIvEENS9_8equal_toIvEEjEE10hipError_tPvRmT2_T3_T4_T5_mT6_T7_P12ihipStream_tbENKUlT_T0_E_clISt17integral_constantIbLb0EES13_EEDaSY_SZ_EUlSY_E_NS1_11comp_targetILNS1_3genE0ELNS1_11target_archE4294967295ELNS1_3gpuE0ELNS1_3repE0EEENS1_30default_config_static_selectorELNS0_4arch9wavefront6targetE0EEEvT1_.has_dyn_sized_stack, 0
	.set _ZN7rocprim17ROCPRIM_400000_NS6detail17trampoline_kernelINS0_14default_configENS1_27scan_by_key_config_selectorIijEEZZNS1_16scan_by_key_implILNS1_25lookback_scan_determinismE0ELb0ES3_N6thrust23THRUST_200600_302600_NS6detail15normal_iteratorINS9_10device_ptrIiEEEENSB_INSC_IjEEEENSB_INSC_IfEEEEjNS9_4plusIvEENS9_8equal_toIvEEjEE10hipError_tPvRmT2_T3_T4_T5_mT6_T7_P12ihipStream_tbENKUlT_T0_E_clISt17integral_constantIbLb0EES13_EEDaSY_SZ_EUlSY_E_NS1_11comp_targetILNS1_3genE0ELNS1_11target_archE4294967295ELNS1_3gpuE0ELNS1_3repE0EEENS1_30default_config_static_selectorELNS0_4arch9wavefront6targetE0EEEvT1_.has_recursion, 0
	.set _ZN7rocprim17ROCPRIM_400000_NS6detail17trampoline_kernelINS0_14default_configENS1_27scan_by_key_config_selectorIijEEZZNS1_16scan_by_key_implILNS1_25lookback_scan_determinismE0ELb0ES3_N6thrust23THRUST_200600_302600_NS6detail15normal_iteratorINS9_10device_ptrIiEEEENSB_INSC_IjEEEENSB_INSC_IfEEEEjNS9_4plusIvEENS9_8equal_toIvEEjEE10hipError_tPvRmT2_T3_T4_T5_mT6_T7_P12ihipStream_tbENKUlT_T0_E_clISt17integral_constantIbLb0EES13_EEDaSY_SZ_EUlSY_E_NS1_11comp_targetILNS1_3genE0ELNS1_11target_archE4294967295ELNS1_3gpuE0ELNS1_3repE0EEENS1_30default_config_static_selectorELNS0_4arch9wavefront6targetE0EEEvT1_.has_indirect_call, 0
	.section	.AMDGPU.csdata,"",@progbits
; Kernel info:
; codeLenInByte = 12068
; TotalNumSgprs: 44
; NumVgprs: 60
; ScratchSize: 0
; MemoryBound: 0
; FloatMode: 240
; IeeeMode: 1
; LDSByteSize: 14336 bytes/workgroup (compile time only)
; SGPRBlocks: 0
; VGPRBlocks: 3
; NumSGPRsForWavesPerEU: 44
; NumVGPRsForWavesPerEU: 60
; NamedBarCnt: 0
; Occupancy: 16
; WaveLimiterHint : 1
; COMPUTE_PGM_RSRC2:SCRATCH_EN: 0
; COMPUTE_PGM_RSRC2:USER_SGPR: 2
; COMPUTE_PGM_RSRC2:TRAP_HANDLER: 0
; COMPUTE_PGM_RSRC2:TGID_X_EN: 1
; COMPUTE_PGM_RSRC2:TGID_Y_EN: 0
; COMPUTE_PGM_RSRC2:TGID_Z_EN: 0
; COMPUTE_PGM_RSRC2:TIDIG_COMP_CNT: 0
	.section	.text._ZN7rocprim17ROCPRIM_400000_NS6detail17trampoline_kernelINS0_14default_configENS1_27scan_by_key_config_selectorIijEEZZNS1_16scan_by_key_implILNS1_25lookback_scan_determinismE0ELb0ES3_N6thrust23THRUST_200600_302600_NS6detail15normal_iteratorINS9_10device_ptrIiEEEENSB_INSC_IjEEEENSB_INSC_IfEEEEjNS9_4plusIvEENS9_8equal_toIvEEjEE10hipError_tPvRmT2_T3_T4_T5_mT6_T7_P12ihipStream_tbENKUlT_T0_E_clISt17integral_constantIbLb0EES13_EEDaSY_SZ_EUlSY_E_NS1_11comp_targetILNS1_3genE10ELNS1_11target_archE1201ELNS1_3gpuE5ELNS1_3repE0EEENS1_30default_config_static_selectorELNS0_4arch9wavefront6targetE0EEEvT1_,"axG",@progbits,_ZN7rocprim17ROCPRIM_400000_NS6detail17trampoline_kernelINS0_14default_configENS1_27scan_by_key_config_selectorIijEEZZNS1_16scan_by_key_implILNS1_25lookback_scan_determinismE0ELb0ES3_N6thrust23THRUST_200600_302600_NS6detail15normal_iteratorINS9_10device_ptrIiEEEENSB_INSC_IjEEEENSB_INSC_IfEEEEjNS9_4plusIvEENS9_8equal_toIvEEjEE10hipError_tPvRmT2_T3_T4_T5_mT6_T7_P12ihipStream_tbENKUlT_T0_E_clISt17integral_constantIbLb0EES13_EEDaSY_SZ_EUlSY_E_NS1_11comp_targetILNS1_3genE10ELNS1_11target_archE1201ELNS1_3gpuE5ELNS1_3repE0EEENS1_30default_config_static_selectorELNS0_4arch9wavefront6targetE0EEEvT1_,comdat
	.protected	_ZN7rocprim17ROCPRIM_400000_NS6detail17trampoline_kernelINS0_14default_configENS1_27scan_by_key_config_selectorIijEEZZNS1_16scan_by_key_implILNS1_25lookback_scan_determinismE0ELb0ES3_N6thrust23THRUST_200600_302600_NS6detail15normal_iteratorINS9_10device_ptrIiEEEENSB_INSC_IjEEEENSB_INSC_IfEEEEjNS9_4plusIvEENS9_8equal_toIvEEjEE10hipError_tPvRmT2_T3_T4_T5_mT6_T7_P12ihipStream_tbENKUlT_T0_E_clISt17integral_constantIbLb0EES13_EEDaSY_SZ_EUlSY_E_NS1_11comp_targetILNS1_3genE10ELNS1_11target_archE1201ELNS1_3gpuE5ELNS1_3repE0EEENS1_30default_config_static_selectorELNS0_4arch9wavefront6targetE0EEEvT1_ ; -- Begin function _ZN7rocprim17ROCPRIM_400000_NS6detail17trampoline_kernelINS0_14default_configENS1_27scan_by_key_config_selectorIijEEZZNS1_16scan_by_key_implILNS1_25lookback_scan_determinismE0ELb0ES3_N6thrust23THRUST_200600_302600_NS6detail15normal_iteratorINS9_10device_ptrIiEEEENSB_INSC_IjEEEENSB_INSC_IfEEEEjNS9_4plusIvEENS9_8equal_toIvEEjEE10hipError_tPvRmT2_T3_T4_T5_mT6_T7_P12ihipStream_tbENKUlT_T0_E_clISt17integral_constantIbLb0EES13_EEDaSY_SZ_EUlSY_E_NS1_11comp_targetILNS1_3genE10ELNS1_11target_archE1201ELNS1_3gpuE5ELNS1_3repE0EEENS1_30default_config_static_selectorELNS0_4arch9wavefront6targetE0EEEvT1_
	.globl	_ZN7rocprim17ROCPRIM_400000_NS6detail17trampoline_kernelINS0_14default_configENS1_27scan_by_key_config_selectorIijEEZZNS1_16scan_by_key_implILNS1_25lookback_scan_determinismE0ELb0ES3_N6thrust23THRUST_200600_302600_NS6detail15normal_iteratorINS9_10device_ptrIiEEEENSB_INSC_IjEEEENSB_INSC_IfEEEEjNS9_4plusIvEENS9_8equal_toIvEEjEE10hipError_tPvRmT2_T3_T4_T5_mT6_T7_P12ihipStream_tbENKUlT_T0_E_clISt17integral_constantIbLb0EES13_EEDaSY_SZ_EUlSY_E_NS1_11comp_targetILNS1_3genE10ELNS1_11target_archE1201ELNS1_3gpuE5ELNS1_3repE0EEENS1_30default_config_static_selectorELNS0_4arch9wavefront6targetE0EEEvT1_
	.p2align	8
	.type	_ZN7rocprim17ROCPRIM_400000_NS6detail17trampoline_kernelINS0_14default_configENS1_27scan_by_key_config_selectorIijEEZZNS1_16scan_by_key_implILNS1_25lookback_scan_determinismE0ELb0ES3_N6thrust23THRUST_200600_302600_NS6detail15normal_iteratorINS9_10device_ptrIiEEEENSB_INSC_IjEEEENSB_INSC_IfEEEEjNS9_4plusIvEENS9_8equal_toIvEEjEE10hipError_tPvRmT2_T3_T4_T5_mT6_T7_P12ihipStream_tbENKUlT_T0_E_clISt17integral_constantIbLb0EES13_EEDaSY_SZ_EUlSY_E_NS1_11comp_targetILNS1_3genE10ELNS1_11target_archE1201ELNS1_3gpuE5ELNS1_3repE0EEENS1_30default_config_static_selectorELNS0_4arch9wavefront6targetE0EEEvT1_,@function
_ZN7rocprim17ROCPRIM_400000_NS6detail17trampoline_kernelINS0_14default_configENS1_27scan_by_key_config_selectorIijEEZZNS1_16scan_by_key_implILNS1_25lookback_scan_determinismE0ELb0ES3_N6thrust23THRUST_200600_302600_NS6detail15normal_iteratorINS9_10device_ptrIiEEEENSB_INSC_IjEEEENSB_INSC_IfEEEEjNS9_4plusIvEENS9_8equal_toIvEEjEE10hipError_tPvRmT2_T3_T4_T5_mT6_T7_P12ihipStream_tbENKUlT_T0_E_clISt17integral_constantIbLb0EES13_EEDaSY_SZ_EUlSY_E_NS1_11comp_targetILNS1_3genE10ELNS1_11target_archE1201ELNS1_3gpuE5ELNS1_3repE0EEENS1_30default_config_static_selectorELNS0_4arch9wavefront6targetE0EEEvT1_: ; @_ZN7rocprim17ROCPRIM_400000_NS6detail17trampoline_kernelINS0_14default_configENS1_27scan_by_key_config_selectorIijEEZZNS1_16scan_by_key_implILNS1_25lookback_scan_determinismE0ELb0ES3_N6thrust23THRUST_200600_302600_NS6detail15normal_iteratorINS9_10device_ptrIiEEEENSB_INSC_IjEEEENSB_INSC_IfEEEEjNS9_4plusIvEENS9_8equal_toIvEEjEE10hipError_tPvRmT2_T3_T4_T5_mT6_T7_P12ihipStream_tbENKUlT_T0_E_clISt17integral_constantIbLb0EES13_EEDaSY_SZ_EUlSY_E_NS1_11comp_targetILNS1_3genE10ELNS1_11target_archE1201ELNS1_3gpuE5ELNS1_3repE0EEENS1_30default_config_static_selectorELNS0_4arch9wavefront6targetE0EEEvT1_
; %bb.0:
	.section	.rodata,"a",@progbits
	.p2align	6, 0x0
	.amdhsa_kernel _ZN7rocprim17ROCPRIM_400000_NS6detail17trampoline_kernelINS0_14default_configENS1_27scan_by_key_config_selectorIijEEZZNS1_16scan_by_key_implILNS1_25lookback_scan_determinismE0ELb0ES3_N6thrust23THRUST_200600_302600_NS6detail15normal_iteratorINS9_10device_ptrIiEEEENSB_INSC_IjEEEENSB_INSC_IfEEEEjNS9_4plusIvEENS9_8equal_toIvEEjEE10hipError_tPvRmT2_T3_T4_T5_mT6_T7_P12ihipStream_tbENKUlT_T0_E_clISt17integral_constantIbLb0EES13_EEDaSY_SZ_EUlSY_E_NS1_11comp_targetILNS1_3genE10ELNS1_11target_archE1201ELNS1_3gpuE5ELNS1_3repE0EEENS1_30default_config_static_selectorELNS0_4arch9wavefront6targetE0EEEvT1_
		.amdhsa_group_segment_fixed_size 0
		.amdhsa_private_segment_fixed_size 0
		.amdhsa_kernarg_size 112
		.amdhsa_user_sgpr_count 2
		.amdhsa_user_sgpr_dispatch_ptr 0
		.amdhsa_user_sgpr_queue_ptr 0
		.amdhsa_user_sgpr_kernarg_segment_ptr 1
		.amdhsa_user_sgpr_dispatch_id 0
		.amdhsa_user_sgpr_kernarg_preload_length 0
		.amdhsa_user_sgpr_kernarg_preload_offset 0
		.amdhsa_user_sgpr_private_segment_size 0
		.amdhsa_wavefront_size32 1
		.amdhsa_uses_dynamic_stack 0
		.amdhsa_enable_private_segment 0
		.amdhsa_system_sgpr_workgroup_id_x 1
		.amdhsa_system_sgpr_workgroup_id_y 0
		.amdhsa_system_sgpr_workgroup_id_z 0
		.amdhsa_system_sgpr_workgroup_info 0
		.amdhsa_system_vgpr_workitem_id 0
		.amdhsa_next_free_vgpr 1
		.amdhsa_next_free_sgpr 1
		.amdhsa_named_barrier_count 0
		.amdhsa_reserve_vcc 0
		.amdhsa_float_round_mode_32 0
		.amdhsa_float_round_mode_16_64 0
		.amdhsa_float_denorm_mode_32 3
		.amdhsa_float_denorm_mode_16_64 3
		.amdhsa_fp16_overflow 0
		.amdhsa_memory_ordered 1
		.amdhsa_forward_progress 1
		.amdhsa_inst_pref_size 0
		.amdhsa_round_robin_scheduling 0
		.amdhsa_exception_fp_ieee_invalid_op 0
		.amdhsa_exception_fp_denorm_src 0
		.amdhsa_exception_fp_ieee_div_zero 0
		.amdhsa_exception_fp_ieee_overflow 0
		.amdhsa_exception_fp_ieee_underflow 0
		.amdhsa_exception_fp_ieee_inexact 0
		.amdhsa_exception_int_div_zero 0
	.end_amdhsa_kernel
	.section	.text._ZN7rocprim17ROCPRIM_400000_NS6detail17trampoline_kernelINS0_14default_configENS1_27scan_by_key_config_selectorIijEEZZNS1_16scan_by_key_implILNS1_25lookback_scan_determinismE0ELb0ES3_N6thrust23THRUST_200600_302600_NS6detail15normal_iteratorINS9_10device_ptrIiEEEENSB_INSC_IjEEEENSB_INSC_IfEEEEjNS9_4plusIvEENS9_8equal_toIvEEjEE10hipError_tPvRmT2_T3_T4_T5_mT6_T7_P12ihipStream_tbENKUlT_T0_E_clISt17integral_constantIbLb0EES13_EEDaSY_SZ_EUlSY_E_NS1_11comp_targetILNS1_3genE10ELNS1_11target_archE1201ELNS1_3gpuE5ELNS1_3repE0EEENS1_30default_config_static_selectorELNS0_4arch9wavefront6targetE0EEEvT1_,"axG",@progbits,_ZN7rocprim17ROCPRIM_400000_NS6detail17trampoline_kernelINS0_14default_configENS1_27scan_by_key_config_selectorIijEEZZNS1_16scan_by_key_implILNS1_25lookback_scan_determinismE0ELb0ES3_N6thrust23THRUST_200600_302600_NS6detail15normal_iteratorINS9_10device_ptrIiEEEENSB_INSC_IjEEEENSB_INSC_IfEEEEjNS9_4plusIvEENS9_8equal_toIvEEjEE10hipError_tPvRmT2_T3_T4_T5_mT6_T7_P12ihipStream_tbENKUlT_T0_E_clISt17integral_constantIbLb0EES13_EEDaSY_SZ_EUlSY_E_NS1_11comp_targetILNS1_3genE10ELNS1_11target_archE1201ELNS1_3gpuE5ELNS1_3repE0EEENS1_30default_config_static_selectorELNS0_4arch9wavefront6targetE0EEEvT1_,comdat
.Lfunc_end1645:
	.size	_ZN7rocprim17ROCPRIM_400000_NS6detail17trampoline_kernelINS0_14default_configENS1_27scan_by_key_config_selectorIijEEZZNS1_16scan_by_key_implILNS1_25lookback_scan_determinismE0ELb0ES3_N6thrust23THRUST_200600_302600_NS6detail15normal_iteratorINS9_10device_ptrIiEEEENSB_INSC_IjEEEENSB_INSC_IfEEEEjNS9_4plusIvEENS9_8equal_toIvEEjEE10hipError_tPvRmT2_T3_T4_T5_mT6_T7_P12ihipStream_tbENKUlT_T0_E_clISt17integral_constantIbLb0EES13_EEDaSY_SZ_EUlSY_E_NS1_11comp_targetILNS1_3genE10ELNS1_11target_archE1201ELNS1_3gpuE5ELNS1_3repE0EEENS1_30default_config_static_selectorELNS0_4arch9wavefront6targetE0EEEvT1_, .Lfunc_end1645-_ZN7rocprim17ROCPRIM_400000_NS6detail17trampoline_kernelINS0_14default_configENS1_27scan_by_key_config_selectorIijEEZZNS1_16scan_by_key_implILNS1_25lookback_scan_determinismE0ELb0ES3_N6thrust23THRUST_200600_302600_NS6detail15normal_iteratorINS9_10device_ptrIiEEEENSB_INSC_IjEEEENSB_INSC_IfEEEEjNS9_4plusIvEENS9_8equal_toIvEEjEE10hipError_tPvRmT2_T3_T4_T5_mT6_T7_P12ihipStream_tbENKUlT_T0_E_clISt17integral_constantIbLb0EES13_EEDaSY_SZ_EUlSY_E_NS1_11comp_targetILNS1_3genE10ELNS1_11target_archE1201ELNS1_3gpuE5ELNS1_3repE0EEENS1_30default_config_static_selectorELNS0_4arch9wavefront6targetE0EEEvT1_
                                        ; -- End function
	.set _ZN7rocprim17ROCPRIM_400000_NS6detail17trampoline_kernelINS0_14default_configENS1_27scan_by_key_config_selectorIijEEZZNS1_16scan_by_key_implILNS1_25lookback_scan_determinismE0ELb0ES3_N6thrust23THRUST_200600_302600_NS6detail15normal_iteratorINS9_10device_ptrIiEEEENSB_INSC_IjEEEENSB_INSC_IfEEEEjNS9_4plusIvEENS9_8equal_toIvEEjEE10hipError_tPvRmT2_T3_T4_T5_mT6_T7_P12ihipStream_tbENKUlT_T0_E_clISt17integral_constantIbLb0EES13_EEDaSY_SZ_EUlSY_E_NS1_11comp_targetILNS1_3genE10ELNS1_11target_archE1201ELNS1_3gpuE5ELNS1_3repE0EEENS1_30default_config_static_selectorELNS0_4arch9wavefront6targetE0EEEvT1_.num_vgpr, 0
	.set _ZN7rocprim17ROCPRIM_400000_NS6detail17trampoline_kernelINS0_14default_configENS1_27scan_by_key_config_selectorIijEEZZNS1_16scan_by_key_implILNS1_25lookback_scan_determinismE0ELb0ES3_N6thrust23THRUST_200600_302600_NS6detail15normal_iteratorINS9_10device_ptrIiEEEENSB_INSC_IjEEEENSB_INSC_IfEEEEjNS9_4plusIvEENS9_8equal_toIvEEjEE10hipError_tPvRmT2_T3_T4_T5_mT6_T7_P12ihipStream_tbENKUlT_T0_E_clISt17integral_constantIbLb0EES13_EEDaSY_SZ_EUlSY_E_NS1_11comp_targetILNS1_3genE10ELNS1_11target_archE1201ELNS1_3gpuE5ELNS1_3repE0EEENS1_30default_config_static_selectorELNS0_4arch9wavefront6targetE0EEEvT1_.num_agpr, 0
	.set _ZN7rocprim17ROCPRIM_400000_NS6detail17trampoline_kernelINS0_14default_configENS1_27scan_by_key_config_selectorIijEEZZNS1_16scan_by_key_implILNS1_25lookback_scan_determinismE0ELb0ES3_N6thrust23THRUST_200600_302600_NS6detail15normal_iteratorINS9_10device_ptrIiEEEENSB_INSC_IjEEEENSB_INSC_IfEEEEjNS9_4plusIvEENS9_8equal_toIvEEjEE10hipError_tPvRmT2_T3_T4_T5_mT6_T7_P12ihipStream_tbENKUlT_T0_E_clISt17integral_constantIbLb0EES13_EEDaSY_SZ_EUlSY_E_NS1_11comp_targetILNS1_3genE10ELNS1_11target_archE1201ELNS1_3gpuE5ELNS1_3repE0EEENS1_30default_config_static_selectorELNS0_4arch9wavefront6targetE0EEEvT1_.numbered_sgpr, 0
	.set _ZN7rocprim17ROCPRIM_400000_NS6detail17trampoline_kernelINS0_14default_configENS1_27scan_by_key_config_selectorIijEEZZNS1_16scan_by_key_implILNS1_25lookback_scan_determinismE0ELb0ES3_N6thrust23THRUST_200600_302600_NS6detail15normal_iteratorINS9_10device_ptrIiEEEENSB_INSC_IjEEEENSB_INSC_IfEEEEjNS9_4plusIvEENS9_8equal_toIvEEjEE10hipError_tPvRmT2_T3_T4_T5_mT6_T7_P12ihipStream_tbENKUlT_T0_E_clISt17integral_constantIbLb0EES13_EEDaSY_SZ_EUlSY_E_NS1_11comp_targetILNS1_3genE10ELNS1_11target_archE1201ELNS1_3gpuE5ELNS1_3repE0EEENS1_30default_config_static_selectorELNS0_4arch9wavefront6targetE0EEEvT1_.num_named_barrier, 0
	.set _ZN7rocprim17ROCPRIM_400000_NS6detail17trampoline_kernelINS0_14default_configENS1_27scan_by_key_config_selectorIijEEZZNS1_16scan_by_key_implILNS1_25lookback_scan_determinismE0ELb0ES3_N6thrust23THRUST_200600_302600_NS6detail15normal_iteratorINS9_10device_ptrIiEEEENSB_INSC_IjEEEENSB_INSC_IfEEEEjNS9_4plusIvEENS9_8equal_toIvEEjEE10hipError_tPvRmT2_T3_T4_T5_mT6_T7_P12ihipStream_tbENKUlT_T0_E_clISt17integral_constantIbLb0EES13_EEDaSY_SZ_EUlSY_E_NS1_11comp_targetILNS1_3genE10ELNS1_11target_archE1201ELNS1_3gpuE5ELNS1_3repE0EEENS1_30default_config_static_selectorELNS0_4arch9wavefront6targetE0EEEvT1_.private_seg_size, 0
	.set _ZN7rocprim17ROCPRIM_400000_NS6detail17trampoline_kernelINS0_14default_configENS1_27scan_by_key_config_selectorIijEEZZNS1_16scan_by_key_implILNS1_25lookback_scan_determinismE0ELb0ES3_N6thrust23THRUST_200600_302600_NS6detail15normal_iteratorINS9_10device_ptrIiEEEENSB_INSC_IjEEEENSB_INSC_IfEEEEjNS9_4plusIvEENS9_8equal_toIvEEjEE10hipError_tPvRmT2_T3_T4_T5_mT6_T7_P12ihipStream_tbENKUlT_T0_E_clISt17integral_constantIbLb0EES13_EEDaSY_SZ_EUlSY_E_NS1_11comp_targetILNS1_3genE10ELNS1_11target_archE1201ELNS1_3gpuE5ELNS1_3repE0EEENS1_30default_config_static_selectorELNS0_4arch9wavefront6targetE0EEEvT1_.uses_vcc, 0
	.set _ZN7rocprim17ROCPRIM_400000_NS6detail17trampoline_kernelINS0_14default_configENS1_27scan_by_key_config_selectorIijEEZZNS1_16scan_by_key_implILNS1_25lookback_scan_determinismE0ELb0ES3_N6thrust23THRUST_200600_302600_NS6detail15normal_iteratorINS9_10device_ptrIiEEEENSB_INSC_IjEEEENSB_INSC_IfEEEEjNS9_4plusIvEENS9_8equal_toIvEEjEE10hipError_tPvRmT2_T3_T4_T5_mT6_T7_P12ihipStream_tbENKUlT_T0_E_clISt17integral_constantIbLb0EES13_EEDaSY_SZ_EUlSY_E_NS1_11comp_targetILNS1_3genE10ELNS1_11target_archE1201ELNS1_3gpuE5ELNS1_3repE0EEENS1_30default_config_static_selectorELNS0_4arch9wavefront6targetE0EEEvT1_.uses_flat_scratch, 0
	.set _ZN7rocprim17ROCPRIM_400000_NS6detail17trampoline_kernelINS0_14default_configENS1_27scan_by_key_config_selectorIijEEZZNS1_16scan_by_key_implILNS1_25lookback_scan_determinismE0ELb0ES3_N6thrust23THRUST_200600_302600_NS6detail15normal_iteratorINS9_10device_ptrIiEEEENSB_INSC_IjEEEENSB_INSC_IfEEEEjNS9_4plusIvEENS9_8equal_toIvEEjEE10hipError_tPvRmT2_T3_T4_T5_mT6_T7_P12ihipStream_tbENKUlT_T0_E_clISt17integral_constantIbLb0EES13_EEDaSY_SZ_EUlSY_E_NS1_11comp_targetILNS1_3genE10ELNS1_11target_archE1201ELNS1_3gpuE5ELNS1_3repE0EEENS1_30default_config_static_selectorELNS0_4arch9wavefront6targetE0EEEvT1_.has_dyn_sized_stack, 0
	.set _ZN7rocprim17ROCPRIM_400000_NS6detail17trampoline_kernelINS0_14default_configENS1_27scan_by_key_config_selectorIijEEZZNS1_16scan_by_key_implILNS1_25lookback_scan_determinismE0ELb0ES3_N6thrust23THRUST_200600_302600_NS6detail15normal_iteratorINS9_10device_ptrIiEEEENSB_INSC_IjEEEENSB_INSC_IfEEEEjNS9_4plusIvEENS9_8equal_toIvEEjEE10hipError_tPvRmT2_T3_T4_T5_mT6_T7_P12ihipStream_tbENKUlT_T0_E_clISt17integral_constantIbLb0EES13_EEDaSY_SZ_EUlSY_E_NS1_11comp_targetILNS1_3genE10ELNS1_11target_archE1201ELNS1_3gpuE5ELNS1_3repE0EEENS1_30default_config_static_selectorELNS0_4arch9wavefront6targetE0EEEvT1_.has_recursion, 0
	.set _ZN7rocprim17ROCPRIM_400000_NS6detail17trampoline_kernelINS0_14default_configENS1_27scan_by_key_config_selectorIijEEZZNS1_16scan_by_key_implILNS1_25lookback_scan_determinismE0ELb0ES3_N6thrust23THRUST_200600_302600_NS6detail15normal_iteratorINS9_10device_ptrIiEEEENSB_INSC_IjEEEENSB_INSC_IfEEEEjNS9_4plusIvEENS9_8equal_toIvEEjEE10hipError_tPvRmT2_T3_T4_T5_mT6_T7_P12ihipStream_tbENKUlT_T0_E_clISt17integral_constantIbLb0EES13_EEDaSY_SZ_EUlSY_E_NS1_11comp_targetILNS1_3genE10ELNS1_11target_archE1201ELNS1_3gpuE5ELNS1_3repE0EEENS1_30default_config_static_selectorELNS0_4arch9wavefront6targetE0EEEvT1_.has_indirect_call, 0
	.section	.AMDGPU.csdata,"",@progbits
; Kernel info:
; codeLenInByte = 0
; TotalNumSgprs: 0
; NumVgprs: 0
; ScratchSize: 0
; MemoryBound: 0
; FloatMode: 240
; IeeeMode: 1
; LDSByteSize: 0 bytes/workgroup (compile time only)
; SGPRBlocks: 0
; VGPRBlocks: 0
; NumSGPRsForWavesPerEU: 1
; NumVGPRsForWavesPerEU: 1
; NamedBarCnt: 0
; Occupancy: 16
; WaveLimiterHint : 0
; COMPUTE_PGM_RSRC2:SCRATCH_EN: 0
; COMPUTE_PGM_RSRC2:USER_SGPR: 2
; COMPUTE_PGM_RSRC2:TRAP_HANDLER: 0
; COMPUTE_PGM_RSRC2:TGID_X_EN: 1
; COMPUTE_PGM_RSRC2:TGID_Y_EN: 0
; COMPUTE_PGM_RSRC2:TGID_Z_EN: 0
; COMPUTE_PGM_RSRC2:TIDIG_COMP_CNT: 0
	.section	.text._ZN7rocprim17ROCPRIM_400000_NS6detail17trampoline_kernelINS0_14default_configENS1_27scan_by_key_config_selectorIijEEZZNS1_16scan_by_key_implILNS1_25lookback_scan_determinismE0ELb0ES3_N6thrust23THRUST_200600_302600_NS6detail15normal_iteratorINS9_10device_ptrIiEEEENSB_INSC_IjEEEENSB_INSC_IfEEEEjNS9_4plusIvEENS9_8equal_toIvEEjEE10hipError_tPvRmT2_T3_T4_T5_mT6_T7_P12ihipStream_tbENKUlT_T0_E_clISt17integral_constantIbLb0EES13_EEDaSY_SZ_EUlSY_E_NS1_11comp_targetILNS1_3genE5ELNS1_11target_archE942ELNS1_3gpuE9ELNS1_3repE0EEENS1_30default_config_static_selectorELNS0_4arch9wavefront6targetE0EEEvT1_,"axG",@progbits,_ZN7rocprim17ROCPRIM_400000_NS6detail17trampoline_kernelINS0_14default_configENS1_27scan_by_key_config_selectorIijEEZZNS1_16scan_by_key_implILNS1_25lookback_scan_determinismE0ELb0ES3_N6thrust23THRUST_200600_302600_NS6detail15normal_iteratorINS9_10device_ptrIiEEEENSB_INSC_IjEEEENSB_INSC_IfEEEEjNS9_4plusIvEENS9_8equal_toIvEEjEE10hipError_tPvRmT2_T3_T4_T5_mT6_T7_P12ihipStream_tbENKUlT_T0_E_clISt17integral_constantIbLb0EES13_EEDaSY_SZ_EUlSY_E_NS1_11comp_targetILNS1_3genE5ELNS1_11target_archE942ELNS1_3gpuE9ELNS1_3repE0EEENS1_30default_config_static_selectorELNS0_4arch9wavefront6targetE0EEEvT1_,comdat
	.protected	_ZN7rocprim17ROCPRIM_400000_NS6detail17trampoline_kernelINS0_14default_configENS1_27scan_by_key_config_selectorIijEEZZNS1_16scan_by_key_implILNS1_25lookback_scan_determinismE0ELb0ES3_N6thrust23THRUST_200600_302600_NS6detail15normal_iteratorINS9_10device_ptrIiEEEENSB_INSC_IjEEEENSB_INSC_IfEEEEjNS9_4plusIvEENS9_8equal_toIvEEjEE10hipError_tPvRmT2_T3_T4_T5_mT6_T7_P12ihipStream_tbENKUlT_T0_E_clISt17integral_constantIbLb0EES13_EEDaSY_SZ_EUlSY_E_NS1_11comp_targetILNS1_3genE5ELNS1_11target_archE942ELNS1_3gpuE9ELNS1_3repE0EEENS1_30default_config_static_selectorELNS0_4arch9wavefront6targetE0EEEvT1_ ; -- Begin function _ZN7rocprim17ROCPRIM_400000_NS6detail17trampoline_kernelINS0_14default_configENS1_27scan_by_key_config_selectorIijEEZZNS1_16scan_by_key_implILNS1_25lookback_scan_determinismE0ELb0ES3_N6thrust23THRUST_200600_302600_NS6detail15normal_iteratorINS9_10device_ptrIiEEEENSB_INSC_IjEEEENSB_INSC_IfEEEEjNS9_4plusIvEENS9_8equal_toIvEEjEE10hipError_tPvRmT2_T3_T4_T5_mT6_T7_P12ihipStream_tbENKUlT_T0_E_clISt17integral_constantIbLb0EES13_EEDaSY_SZ_EUlSY_E_NS1_11comp_targetILNS1_3genE5ELNS1_11target_archE942ELNS1_3gpuE9ELNS1_3repE0EEENS1_30default_config_static_selectorELNS0_4arch9wavefront6targetE0EEEvT1_
	.globl	_ZN7rocprim17ROCPRIM_400000_NS6detail17trampoline_kernelINS0_14default_configENS1_27scan_by_key_config_selectorIijEEZZNS1_16scan_by_key_implILNS1_25lookback_scan_determinismE0ELb0ES3_N6thrust23THRUST_200600_302600_NS6detail15normal_iteratorINS9_10device_ptrIiEEEENSB_INSC_IjEEEENSB_INSC_IfEEEEjNS9_4plusIvEENS9_8equal_toIvEEjEE10hipError_tPvRmT2_T3_T4_T5_mT6_T7_P12ihipStream_tbENKUlT_T0_E_clISt17integral_constantIbLb0EES13_EEDaSY_SZ_EUlSY_E_NS1_11comp_targetILNS1_3genE5ELNS1_11target_archE942ELNS1_3gpuE9ELNS1_3repE0EEENS1_30default_config_static_selectorELNS0_4arch9wavefront6targetE0EEEvT1_
	.p2align	8
	.type	_ZN7rocprim17ROCPRIM_400000_NS6detail17trampoline_kernelINS0_14default_configENS1_27scan_by_key_config_selectorIijEEZZNS1_16scan_by_key_implILNS1_25lookback_scan_determinismE0ELb0ES3_N6thrust23THRUST_200600_302600_NS6detail15normal_iteratorINS9_10device_ptrIiEEEENSB_INSC_IjEEEENSB_INSC_IfEEEEjNS9_4plusIvEENS9_8equal_toIvEEjEE10hipError_tPvRmT2_T3_T4_T5_mT6_T7_P12ihipStream_tbENKUlT_T0_E_clISt17integral_constantIbLb0EES13_EEDaSY_SZ_EUlSY_E_NS1_11comp_targetILNS1_3genE5ELNS1_11target_archE942ELNS1_3gpuE9ELNS1_3repE0EEENS1_30default_config_static_selectorELNS0_4arch9wavefront6targetE0EEEvT1_,@function
_ZN7rocprim17ROCPRIM_400000_NS6detail17trampoline_kernelINS0_14default_configENS1_27scan_by_key_config_selectorIijEEZZNS1_16scan_by_key_implILNS1_25lookback_scan_determinismE0ELb0ES3_N6thrust23THRUST_200600_302600_NS6detail15normal_iteratorINS9_10device_ptrIiEEEENSB_INSC_IjEEEENSB_INSC_IfEEEEjNS9_4plusIvEENS9_8equal_toIvEEjEE10hipError_tPvRmT2_T3_T4_T5_mT6_T7_P12ihipStream_tbENKUlT_T0_E_clISt17integral_constantIbLb0EES13_EEDaSY_SZ_EUlSY_E_NS1_11comp_targetILNS1_3genE5ELNS1_11target_archE942ELNS1_3gpuE9ELNS1_3repE0EEENS1_30default_config_static_selectorELNS0_4arch9wavefront6targetE0EEEvT1_: ; @_ZN7rocprim17ROCPRIM_400000_NS6detail17trampoline_kernelINS0_14default_configENS1_27scan_by_key_config_selectorIijEEZZNS1_16scan_by_key_implILNS1_25lookback_scan_determinismE0ELb0ES3_N6thrust23THRUST_200600_302600_NS6detail15normal_iteratorINS9_10device_ptrIiEEEENSB_INSC_IjEEEENSB_INSC_IfEEEEjNS9_4plusIvEENS9_8equal_toIvEEjEE10hipError_tPvRmT2_T3_T4_T5_mT6_T7_P12ihipStream_tbENKUlT_T0_E_clISt17integral_constantIbLb0EES13_EEDaSY_SZ_EUlSY_E_NS1_11comp_targetILNS1_3genE5ELNS1_11target_archE942ELNS1_3gpuE9ELNS1_3repE0EEENS1_30default_config_static_selectorELNS0_4arch9wavefront6targetE0EEEvT1_
; %bb.0:
	.section	.rodata,"a",@progbits
	.p2align	6, 0x0
	.amdhsa_kernel _ZN7rocprim17ROCPRIM_400000_NS6detail17trampoline_kernelINS0_14default_configENS1_27scan_by_key_config_selectorIijEEZZNS1_16scan_by_key_implILNS1_25lookback_scan_determinismE0ELb0ES3_N6thrust23THRUST_200600_302600_NS6detail15normal_iteratorINS9_10device_ptrIiEEEENSB_INSC_IjEEEENSB_INSC_IfEEEEjNS9_4plusIvEENS9_8equal_toIvEEjEE10hipError_tPvRmT2_T3_T4_T5_mT6_T7_P12ihipStream_tbENKUlT_T0_E_clISt17integral_constantIbLb0EES13_EEDaSY_SZ_EUlSY_E_NS1_11comp_targetILNS1_3genE5ELNS1_11target_archE942ELNS1_3gpuE9ELNS1_3repE0EEENS1_30default_config_static_selectorELNS0_4arch9wavefront6targetE0EEEvT1_
		.amdhsa_group_segment_fixed_size 0
		.amdhsa_private_segment_fixed_size 0
		.amdhsa_kernarg_size 112
		.amdhsa_user_sgpr_count 2
		.amdhsa_user_sgpr_dispatch_ptr 0
		.amdhsa_user_sgpr_queue_ptr 0
		.amdhsa_user_sgpr_kernarg_segment_ptr 1
		.amdhsa_user_sgpr_dispatch_id 0
		.amdhsa_user_sgpr_kernarg_preload_length 0
		.amdhsa_user_sgpr_kernarg_preload_offset 0
		.amdhsa_user_sgpr_private_segment_size 0
		.amdhsa_wavefront_size32 1
		.amdhsa_uses_dynamic_stack 0
		.amdhsa_enable_private_segment 0
		.amdhsa_system_sgpr_workgroup_id_x 1
		.amdhsa_system_sgpr_workgroup_id_y 0
		.amdhsa_system_sgpr_workgroup_id_z 0
		.amdhsa_system_sgpr_workgroup_info 0
		.amdhsa_system_vgpr_workitem_id 0
		.amdhsa_next_free_vgpr 1
		.amdhsa_next_free_sgpr 1
		.amdhsa_named_barrier_count 0
		.amdhsa_reserve_vcc 0
		.amdhsa_float_round_mode_32 0
		.amdhsa_float_round_mode_16_64 0
		.amdhsa_float_denorm_mode_32 3
		.amdhsa_float_denorm_mode_16_64 3
		.amdhsa_fp16_overflow 0
		.amdhsa_memory_ordered 1
		.amdhsa_forward_progress 1
		.amdhsa_inst_pref_size 0
		.amdhsa_round_robin_scheduling 0
		.amdhsa_exception_fp_ieee_invalid_op 0
		.amdhsa_exception_fp_denorm_src 0
		.amdhsa_exception_fp_ieee_div_zero 0
		.amdhsa_exception_fp_ieee_overflow 0
		.amdhsa_exception_fp_ieee_underflow 0
		.amdhsa_exception_fp_ieee_inexact 0
		.amdhsa_exception_int_div_zero 0
	.end_amdhsa_kernel
	.section	.text._ZN7rocprim17ROCPRIM_400000_NS6detail17trampoline_kernelINS0_14default_configENS1_27scan_by_key_config_selectorIijEEZZNS1_16scan_by_key_implILNS1_25lookback_scan_determinismE0ELb0ES3_N6thrust23THRUST_200600_302600_NS6detail15normal_iteratorINS9_10device_ptrIiEEEENSB_INSC_IjEEEENSB_INSC_IfEEEEjNS9_4plusIvEENS9_8equal_toIvEEjEE10hipError_tPvRmT2_T3_T4_T5_mT6_T7_P12ihipStream_tbENKUlT_T0_E_clISt17integral_constantIbLb0EES13_EEDaSY_SZ_EUlSY_E_NS1_11comp_targetILNS1_3genE5ELNS1_11target_archE942ELNS1_3gpuE9ELNS1_3repE0EEENS1_30default_config_static_selectorELNS0_4arch9wavefront6targetE0EEEvT1_,"axG",@progbits,_ZN7rocprim17ROCPRIM_400000_NS6detail17trampoline_kernelINS0_14default_configENS1_27scan_by_key_config_selectorIijEEZZNS1_16scan_by_key_implILNS1_25lookback_scan_determinismE0ELb0ES3_N6thrust23THRUST_200600_302600_NS6detail15normal_iteratorINS9_10device_ptrIiEEEENSB_INSC_IjEEEENSB_INSC_IfEEEEjNS9_4plusIvEENS9_8equal_toIvEEjEE10hipError_tPvRmT2_T3_T4_T5_mT6_T7_P12ihipStream_tbENKUlT_T0_E_clISt17integral_constantIbLb0EES13_EEDaSY_SZ_EUlSY_E_NS1_11comp_targetILNS1_3genE5ELNS1_11target_archE942ELNS1_3gpuE9ELNS1_3repE0EEENS1_30default_config_static_selectorELNS0_4arch9wavefront6targetE0EEEvT1_,comdat
.Lfunc_end1646:
	.size	_ZN7rocprim17ROCPRIM_400000_NS6detail17trampoline_kernelINS0_14default_configENS1_27scan_by_key_config_selectorIijEEZZNS1_16scan_by_key_implILNS1_25lookback_scan_determinismE0ELb0ES3_N6thrust23THRUST_200600_302600_NS6detail15normal_iteratorINS9_10device_ptrIiEEEENSB_INSC_IjEEEENSB_INSC_IfEEEEjNS9_4plusIvEENS9_8equal_toIvEEjEE10hipError_tPvRmT2_T3_T4_T5_mT6_T7_P12ihipStream_tbENKUlT_T0_E_clISt17integral_constantIbLb0EES13_EEDaSY_SZ_EUlSY_E_NS1_11comp_targetILNS1_3genE5ELNS1_11target_archE942ELNS1_3gpuE9ELNS1_3repE0EEENS1_30default_config_static_selectorELNS0_4arch9wavefront6targetE0EEEvT1_, .Lfunc_end1646-_ZN7rocprim17ROCPRIM_400000_NS6detail17trampoline_kernelINS0_14default_configENS1_27scan_by_key_config_selectorIijEEZZNS1_16scan_by_key_implILNS1_25lookback_scan_determinismE0ELb0ES3_N6thrust23THRUST_200600_302600_NS6detail15normal_iteratorINS9_10device_ptrIiEEEENSB_INSC_IjEEEENSB_INSC_IfEEEEjNS9_4plusIvEENS9_8equal_toIvEEjEE10hipError_tPvRmT2_T3_T4_T5_mT6_T7_P12ihipStream_tbENKUlT_T0_E_clISt17integral_constantIbLb0EES13_EEDaSY_SZ_EUlSY_E_NS1_11comp_targetILNS1_3genE5ELNS1_11target_archE942ELNS1_3gpuE9ELNS1_3repE0EEENS1_30default_config_static_selectorELNS0_4arch9wavefront6targetE0EEEvT1_
                                        ; -- End function
	.set _ZN7rocprim17ROCPRIM_400000_NS6detail17trampoline_kernelINS0_14default_configENS1_27scan_by_key_config_selectorIijEEZZNS1_16scan_by_key_implILNS1_25lookback_scan_determinismE0ELb0ES3_N6thrust23THRUST_200600_302600_NS6detail15normal_iteratorINS9_10device_ptrIiEEEENSB_INSC_IjEEEENSB_INSC_IfEEEEjNS9_4plusIvEENS9_8equal_toIvEEjEE10hipError_tPvRmT2_T3_T4_T5_mT6_T7_P12ihipStream_tbENKUlT_T0_E_clISt17integral_constantIbLb0EES13_EEDaSY_SZ_EUlSY_E_NS1_11comp_targetILNS1_3genE5ELNS1_11target_archE942ELNS1_3gpuE9ELNS1_3repE0EEENS1_30default_config_static_selectorELNS0_4arch9wavefront6targetE0EEEvT1_.num_vgpr, 0
	.set _ZN7rocprim17ROCPRIM_400000_NS6detail17trampoline_kernelINS0_14default_configENS1_27scan_by_key_config_selectorIijEEZZNS1_16scan_by_key_implILNS1_25lookback_scan_determinismE0ELb0ES3_N6thrust23THRUST_200600_302600_NS6detail15normal_iteratorINS9_10device_ptrIiEEEENSB_INSC_IjEEEENSB_INSC_IfEEEEjNS9_4plusIvEENS9_8equal_toIvEEjEE10hipError_tPvRmT2_T3_T4_T5_mT6_T7_P12ihipStream_tbENKUlT_T0_E_clISt17integral_constantIbLb0EES13_EEDaSY_SZ_EUlSY_E_NS1_11comp_targetILNS1_3genE5ELNS1_11target_archE942ELNS1_3gpuE9ELNS1_3repE0EEENS1_30default_config_static_selectorELNS0_4arch9wavefront6targetE0EEEvT1_.num_agpr, 0
	.set _ZN7rocprim17ROCPRIM_400000_NS6detail17trampoline_kernelINS0_14default_configENS1_27scan_by_key_config_selectorIijEEZZNS1_16scan_by_key_implILNS1_25lookback_scan_determinismE0ELb0ES3_N6thrust23THRUST_200600_302600_NS6detail15normal_iteratorINS9_10device_ptrIiEEEENSB_INSC_IjEEEENSB_INSC_IfEEEEjNS9_4plusIvEENS9_8equal_toIvEEjEE10hipError_tPvRmT2_T3_T4_T5_mT6_T7_P12ihipStream_tbENKUlT_T0_E_clISt17integral_constantIbLb0EES13_EEDaSY_SZ_EUlSY_E_NS1_11comp_targetILNS1_3genE5ELNS1_11target_archE942ELNS1_3gpuE9ELNS1_3repE0EEENS1_30default_config_static_selectorELNS0_4arch9wavefront6targetE0EEEvT1_.numbered_sgpr, 0
	.set _ZN7rocprim17ROCPRIM_400000_NS6detail17trampoline_kernelINS0_14default_configENS1_27scan_by_key_config_selectorIijEEZZNS1_16scan_by_key_implILNS1_25lookback_scan_determinismE0ELb0ES3_N6thrust23THRUST_200600_302600_NS6detail15normal_iteratorINS9_10device_ptrIiEEEENSB_INSC_IjEEEENSB_INSC_IfEEEEjNS9_4plusIvEENS9_8equal_toIvEEjEE10hipError_tPvRmT2_T3_T4_T5_mT6_T7_P12ihipStream_tbENKUlT_T0_E_clISt17integral_constantIbLb0EES13_EEDaSY_SZ_EUlSY_E_NS1_11comp_targetILNS1_3genE5ELNS1_11target_archE942ELNS1_3gpuE9ELNS1_3repE0EEENS1_30default_config_static_selectorELNS0_4arch9wavefront6targetE0EEEvT1_.num_named_barrier, 0
	.set _ZN7rocprim17ROCPRIM_400000_NS6detail17trampoline_kernelINS0_14default_configENS1_27scan_by_key_config_selectorIijEEZZNS1_16scan_by_key_implILNS1_25lookback_scan_determinismE0ELb0ES3_N6thrust23THRUST_200600_302600_NS6detail15normal_iteratorINS9_10device_ptrIiEEEENSB_INSC_IjEEEENSB_INSC_IfEEEEjNS9_4plusIvEENS9_8equal_toIvEEjEE10hipError_tPvRmT2_T3_T4_T5_mT6_T7_P12ihipStream_tbENKUlT_T0_E_clISt17integral_constantIbLb0EES13_EEDaSY_SZ_EUlSY_E_NS1_11comp_targetILNS1_3genE5ELNS1_11target_archE942ELNS1_3gpuE9ELNS1_3repE0EEENS1_30default_config_static_selectorELNS0_4arch9wavefront6targetE0EEEvT1_.private_seg_size, 0
	.set _ZN7rocprim17ROCPRIM_400000_NS6detail17trampoline_kernelINS0_14default_configENS1_27scan_by_key_config_selectorIijEEZZNS1_16scan_by_key_implILNS1_25lookback_scan_determinismE0ELb0ES3_N6thrust23THRUST_200600_302600_NS6detail15normal_iteratorINS9_10device_ptrIiEEEENSB_INSC_IjEEEENSB_INSC_IfEEEEjNS9_4plusIvEENS9_8equal_toIvEEjEE10hipError_tPvRmT2_T3_T4_T5_mT6_T7_P12ihipStream_tbENKUlT_T0_E_clISt17integral_constantIbLb0EES13_EEDaSY_SZ_EUlSY_E_NS1_11comp_targetILNS1_3genE5ELNS1_11target_archE942ELNS1_3gpuE9ELNS1_3repE0EEENS1_30default_config_static_selectorELNS0_4arch9wavefront6targetE0EEEvT1_.uses_vcc, 0
	.set _ZN7rocprim17ROCPRIM_400000_NS6detail17trampoline_kernelINS0_14default_configENS1_27scan_by_key_config_selectorIijEEZZNS1_16scan_by_key_implILNS1_25lookback_scan_determinismE0ELb0ES3_N6thrust23THRUST_200600_302600_NS6detail15normal_iteratorINS9_10device_ptrIiEEEENSB_INSC_IjEEEENSB_INSC_IfEEEEjNS9_4plusIvEENS9_8equal_toIvEEjEE10hipError_tPvRmT2_T3_T4_T5_mT6_T7_P12ihipStream_tbENKUlT_T0_E_clISt17integral_constantIbLb0EES13_EEDaSY_SZ_EUlSY_E_NS1_11comp_targetILNS1_3genE5ELNS1_11target_archE942ELNS1_3gpuE9ELNS1_3repE0EEENS1_30default_config_static_selectorELNS0_4arch9wavefront6targetE0EEEvT1_.uses_flat_scratch, 0
	.set _ZN7rocprim17ROCPRIM_400000_NS6detail17trampoline_kernelINS0_14default_configENS1_27scan_by_key_config_selectorIijEEZZNS1_16scan_by_key_implILNS1_25lookback_scan_determinismE0ELb0ES3_N6thrust23THRUST_200600_302600_NS6detail15normal_iteratorINS9_10device_ptrIiEEEENSB_INSC_IjEEEENSB_INSC_IfEEEEjNS9_4plusIvEENS9_8equal_toIvEEjEE10hipError_tPvRmT2_T3_T4_T5_mT6_T7_P12ihipStream_tbENKUlT_T0_E_clISt17integral_constantIbLb0EES13_EEDaSY_SZ_EUlSY_E_NS1_11comp_targetILNS1_3genE5ELNS1_11target_archE942ELNS1_3gpuE9ELNS1_3repE0EEENS1_30default_config_static_selectorELNS0_4arch9wavefront6targetE0EEEvT1_.has_dyn_sized_stack, 0
	.set _ZN7rocprim17ROCPRIM_400000_NS6detail17trampoline_kernelINS0_14default_configENS1_27scan_by_key_config_selectorIijEEZZNS1_16scan_by_key_implILNS1_25lookback_scan_determinismE0ELb0ES3_N6thrust23THRUST_200600_302600_NS6detail15normal_iteratorINS9_10device_ptrIiEEEENSB_INSC_IjEEEENSB_INSC_IfEEEEjNS9_4plusIvEENS9_8equal_toIvEEjEE10hipError_tPvRmT2_T3_T4_T5_mT6_T7_P12ihipStream_tbENKUlT_T0_E_clISt17integral_constantIbLb0EES13_EEDaSY_SZ_EUlSY_E_NS1_11comp_targetILNS1_3genE5ELNS1_11target_archE942ELNS1_3gpuE9ELNS1_3repE0EEENS1_30default_config_static_selectorELNS0_4arch9wavefront6targetE0EEEvT1_.has_recursion, 0
	.set _ZN7rocprim17ROCPRIM_400000_NS6detail17trampoline_kernelINS0_14default_configENS1_27scan_by_key_config_selectorIijEEZZNS1_16scan_by_key_implILNS1_25lookback_scan_determinismE0ELb0ES3_N6thrust23THRUST_200600_302600_NS6detail15normal_iteratorINS9_10device_ptrIiEEEENSB_INSC_IjEEEENSB_INSC_IfEEEEjNS9_4plusIvEENS9_8equal_toIvEEjEE10hipError_tPvRmT2_T3_T4_T5_mT6_T7_P12ihipStream_tbENKUlT_T0_E_clISt17integral_constantIbLb0EES13_EEDaSY_SZ_EUlSY_E_NS1_11comp_targetILNS1_3genE5ELNS1_11target_archE942ELNS1_3gpuE9ELNS1_3repE0EEENS1_30default_config_static_selectorELNS0_4arch9wavefront6targetE0EEEvT1_.has_indirect_call, 0
	.section	.AMDGPU.csdata,"",@progbits
; Kernel info:
; codeLenInByte = 0
; TotalNumSgprs: 0
; NumVgprs: 0
; ScratchSize: 0
; MemoryBound: 0
; FloatMode: 240
; IeeeMode: 1
; LDSByteSize: 0 bytes/workgroup (compile time only)
; SGPRBlocks: 0
; VGPRBlocks: 0
; NumSGPRsForWavesPerEU: 1
; NumVGPRsForWavesPerEU: 1
; NamedBarCnt: 0
; Occupancy: 16
; WaveLimiterHint : 0
; COMPUTE_PGM_RSRC2:SCRATCH_EN: 0
; COMPUTE_PGM_RSRC2:USER_SGPR: 2
; COMPUTE_PGM_RSRC2:TRAP_HANDLER: 0
; COMPUTE_PGM_RSRC2:TGID_X_EN: 1
; COMPUTE_PGM_RSRC2:TGID_Y_EN: 0
; COMPUTE_PGM_RSRC2:TGID_Z_EN: 0
; COMPUTE_PGM_RSRC2:TIDIG_COMP_CNT: 0
	.section	.text._ZN7rocprim17ROCPRIM_400000_NS6detail17trampoline_kernelINS0_14default_configENS1_27scan_by_key_config_selectorIijEEZZNS1_16scan_by_key_implILNS1_25lookback_scan_determinismE0ELb0ES3_N6thrust23THRUST_200600_302600_NS6detail15normal_iteratorINS9_10device_ptrIiEEEENSB_INSC_IjEEEENSB_INSC_IfEEEEjNS9_4plusIvEENS9_8equal_toIvEEjEE10hipError_tPvRmT2_T3_T4_T5_mT6_T7_P12ihipStream_tbENKUlT_T0_E_clISt17integral_constantIbLb0EES13_EEDaSY_SZ_EUlSY_E_NS1_11comp_targetILNS1_3genE4ELNS1_11target_archE910ELNS1_3gpuE8ELNS1_3repE0EEENS1_30default_config_static_selectorELNS0_4arch9wavefront6targetE0EEEvT1_,"axG",@progbits,_ZN7rocprim17ROCPRIM_400000_NS6detail17trampoline_kernelINS0_14default_configENS1_27scan_by_key_config_selectorIijEEZZNS1_16scan_by_key_implILNS1_25lookback_scan_determinismE0ELb0ES3_N6thrust23THRUST_200600_302600_NS6detail15normal_iteratorINS9_10device_ptrIiEEEENSB_INSC_IjEEEENSB_INSC_IfEEEEjNS9_4plusIvEENS9_8equal_toIvEEjEE10hipError_tPvRmT2_T3_T4_T5_mT6_T7_P12ihipStream_tbENKUlT_T0_E_clISt17integral_constantIbLb0EES13_EEDaSY_SZ_EUlSY_E_NS1_11comp_targetILNS1_3genE4ELNS1_11target_archE910ELNS1_3gpuE8ELNS1_3repE0EEENS1_30default_config_static_selectorELNS0_4arch9wavefront6targetE0EEEvT1_,comdat
	.protected	_ZN7rocprim17ROCPRIM_400000_NS6detail17trampoline_kernelINS0_14default_configENS1_27scan_by_key_config_selectorIijEEZZNS1_16scan_by_key_implILNS1_25lookback_scan_determinismE0ELb0ES3_N6thrust23THRUST_200600_302600_NS6detail15normal_iteratorINS9_10device_ptrIiEEEENSB_INSC_IjEEEENSB_INSC_IfEEEEjNS9_4plusIvEENS9_8equal_toIvEEjEE10hipError_tPvRmT2_T3_T4_T5_mT6_T7_P12ihipStream_tbENKUlT_T0_E_clISt17integral_constantIbLb0EES13_EEDaSY_SZ_EUlSY_E_NS1_11comp_targetILNS1_3genE4ELNS1_11target_archE910ELNS1_3gpuE8ELNS1_3repE0EEENS1_30default_config_static_selectorELNS0_4arch9wavefront6targetE0EEEvT1_ ; -- Begin function _ZN7rocprim17ROCPRIM_400000_NS6detail17trampoline_kernelINS0_14default_configENS1_27scan_by_key_config_selectorIijEEZZNS1_16scan_by_key_implILNS1_25lookback_scan_determinismE0ELb0ES3_N6thrust23THRUST_200600_302600_NS6detail15normal_iteratorINS9_10device_ptrIiEEEENSB_INSC_IjEEEENSB_INSC_IfEEEEjNS9_4plusIvEENS9_8equal_toIvEEjEE10hipError_tPvRmT2_T3_T4_T5_mT6_T7_P12ihipStream_tbENKUlT_T0_E_clISt17integral_constantIbLb0EES13_EEDaSY_SZ_EUlSY_E_NS1_11comp_targetILNS1_3genE4ELNS1_11target_archE910ELNS1_3gpuE8ELNS1_3repE0EEENS1_30default_config_static_selectorELNS0_4arch9wavefront6targetE0EEEvT1_
	.globl	_ZN7rocprim17ROCPRIM_400000_NS6detail17trampoline_kernelINS0_14default_configENS1_27scan_by_key_config_selectorIijEEZZNS1_16scan_by_key_implILNS1_25lookback_scan_determinismE0ELb0ES3_N6thrust23THRUST_200600_302600_NS6detail15normal_iteratorINS9_10device_ptrIiEEEENSB_INSC_IjEEEENSB_INSC_IfEEEEjNS9_4plusIvEENS9_8equal_toIvEEjEE10hipError_tPvRmT2_T3_T4_T5_mT6_T7_P12ihipStream_tbENKUlT_T0_E_clISt17integral_constantIbLb0EES13_EEDaSY_SZ_EUlSY_E_NS1_11comp_targetILNS1_3genE4ELNS1_11target_archE910ELNS1_3gpuE8ELNS1_3repE0EEENS1_30default_config_static_selectorELNS0_4arch9wavefront6targetE0EEEvT1_
	.p2align	8
	.type	_ZN7rocprim17ROCPRIM_400000_NS6detail17trampoline_kernelINS0_14default_configENS1_27scan_by_key_config_selectorIijEEZZNS1_16scan_by_key_implILNS1_25lookback_scan_determinismE0ELb0ES3_N6thrust23THRUST_200600_302600_NS6detail15normal_iteratorINS9_10device_ptrIiEEEENSB_INSC_IjEEEENSB_INSC_IfEEEEjNS9_4plusIvEENS9_8equal_toIvEEjEE10hipError_tPvRmT2_T3_T4_T5_mT6_T7_P12ihipStream_tbENKUlT_T0_E_clISt17integral_constantIbLb0EES13_EEDaSY_SZ_EUlSY_E_NS1_11comp_targetILNS1_3genE4ELNS1_11target_archE910ELNS1_3gpuE8ELNS1_3repE0EEENS1_30default_config_static_selectorELNS0_4arch9wavefront6targetE0EEEvT1_,@function
_ZN7rocprim17ROCPRIM_400000_NS6detail17trampoline_kernelINS0_14default_configENS1_27scan_by_key_config_selectorIijEEZZNS1_16scan_by_key_implILNS1_25lookback_scan_determinismE0ELb0ES3_N6thrust23THRUST_200600_302600_NS6detail15normal_iteratorINS9_10device_ptrIiEEEENSB_INSC_IjEEEENSB_INSC_IfEEEEjNS9_4plusIvEENS9_8equal_toIvEEjEE10hipError_tPvRmT2_T3_T4_T5_mT6_T7_P12ihipStream_tbENKUlT_T0_E_clISt17integral_constantIbLb0EES13_EEDaSY_SZ_EUlSY_E_NS1_11comp_targetILNS1_3genE4ELNS1_11target_archE910ELNS1_3gpuE8ELNS1_3repE0EEENS1_30default_config_static_selectorELNS0_4arch9wavefront6targetE0EEEvT1_: ; @_ZN7rocprim17ROCPRIM_400000_NS6detail17trampoline_kernelINS0_14default_configENS1_27scan_by_key_config_selectorIijEEZZNS1_16scan_by_key_implILNS1_25lookback_scan_determinismE0ELb0ES3_N6thrust23THRUST_200600_302600_NS6detail15normal_iteratorINS9_10device_ptrIiEEEENSB_INSC_IjEEEENSB_INSC_IfEEEEjNS9_4plusIvEENS9_8equal_toIvEEjEE10hipError_tPvRmT2_T3_T4_T5_mT6_T7_P12ihipStream_tbENKUlT_T0_E_clISt17integral_constantIbLb0EES13_EEDaSY_SZ_EUlSY_E_NS1_11comp_targetILNS1_3genE4ELNS1_11target_archE910ELNS1_3gpuE8ELNS1_3repE0EEENS1_30default_config_static_selectorELNS0_4arch9wavefront6targetE0EEEvT1_
; %bb.0:
	.section	.rodata,"a",@progbits
	.p2align	6, 0x0
	.amdhsa_kernel _ZN7rocprim17ROCPRIM_400000_NS6detail17trampoline_kernelINS0_14default_configENS1_27scan_by_key_config_selectorIijEEZZNS1_16scan_by_key_implILNS1_25lookback_scan_determinismE0ELb0ES3_N6thrust23THRUST_200600_302600_NS6detail15normal_iteratorINS9_10device_ptrIiEEEENSB_INSC_IjEEEENSB_INSC_IfEEEEjNS9_4plusIvEENS9_8equal_toIvEEjEE10hipError_tPvRmT2_T3_T4_T5_mT6_T7_P12ihipStream_tbENKUlT_T0_E_clISt17integral_constantIbLb0EES13_EEDaSY_SZ_EUlSY_E_NS1_11comp_targetILNS1_3genE4ELNS1_11target_archE910ELNS1_3gpuE8ELNS1_3repE0EEENS1_30default_config_static_selectorELNS0_4arch9wavefront6targetE0EEEvT1_
		.amdhsa_group_segment_fixed_size 0
		.amdhsa_private_segment_fixed_size 0
		.amdhsa_kernarg_size 112
		.amdhsa_user_sgpr_count 2
		.amdhsa_user_sgpr_dispatch_ptr 0
		.amdhsa_user_sgpr_queue_ptr 0
		.amdhsa_user_sgpr_kernarg_segment_ptr 1
		.amdhsa_user_sgpr_dispatch_id 0
		.amdhsa_user_sgpr_kernarg_preload_length 0
		.amdhsa_user_sgpr_kernarg_preload_offset 0
		.amdhsa_user_sgpr_private_segment_size 0
		.amdhsa_wavefront_size32 1
		.amdhsa_uses_dynamic_stack 0
		.amdhsa_enable_private_segment 0
		.amdhsa_system_sgpr_workgroup_id_x 1
		.amdhsa_system_sgpr_workgroup_id_y 0
		.amdhsa_system_sgpr_workgroup_id_z 0
		.amdhsa_system_sgpr_workgroup_info 0
		.amdhsa_system_vgpr_workitem_id 0
		.amdhsa_next_free_vgpr 1
		.amdhsa_next_free_sgpr 1
		.amdhsa_named_barrier_count 0
		.amdhsa_reserve_vcc 0
		.amdhsa_float_round_mode_32 0
		.amdhsa_float_round_mode_16_64 0
		.amdhsa_float_denorm_mode_32 3
		.amdhsa_float_denorm_mode_16_64 3
		.amdhsa_fp16_overflow 0
		.amdhsa_memory_ordered 1
		.amdhsa_forward_progress 1
		.amdhsa_inst_pref_size 0
		.amdhsa_round_robin_scheduling 0
		.amdhsa_exception_fp_ieee_invalid_op 0
		.amdhsa_exception_fp_denorm_src 0
		.amdhsa_exception_fp_ieee_div_zero 0
		.amdhsa_exception_fp_ieee_overflow 0
		.amdhsa_exception_fp_ieee_underflow 0
		.amdhsa_exception_fp_ieee_inexact 0
		.amdhsa_exception_int_div_zero 0
	.end_amdhsa_kernel
	.section	.text._ZN7rocprim17ROCPRIM_400000_NS6detail17trampoline_kernelINS0_14default_configENS1_27scan_by_key_config_selectorIijEEZZNS1_16scan_by_key_implILNS1_25lookback_scan_determinismE0ELb0ES3_N6thrust23THRUST_200600_302600_NS6detail15normal_iteratorINS9_10device_ptrIiEEEENSB_INSC_IjEEEENSB_INSC_IfEEEEjNS9_4plusIvEENS9_8equal_toIvEEjEE10hipError_tPvRmT2_T3_T4_T5_mT6_T7_P12ihipStream_tbENKUlT_T0_E_clISt17integral_constantIbLb0EES13_EEDaSY_SZ_EUlSY_E_NS1_11comp_targetILNS1_3genE4ELNS1_11target_archE910ELNS1_3gpuE8ELNS1_3repE0EEENS1_30default_config_static_selectorELNS0_4arch9wavefront6targetE0EEEvT1_,"axG",@progbits,_ZN7rocprim17ROCPRIM_400000_NS6detail17trampoline_kernelINS0_14default_configENS1_27scan_by_key_config_selectorIijEEZZNS1_16scan_by_key_implILNS1_25lookback_scan_determinismE0ELb0ES3_N6thrust23THRUST_200600_302600_NS6detail15normal_iteratorINS9_10device_ptrIiEEEENSB_INSC_IjEEEENSB_INSC_IfEEEEjNS9_4plusIvEENS9_8equal_toIvEEjEE10hipError_tPvRmT2_T3_T4_T5_mT6_T7_P12ihipStream_tbENKUlT_T0_E_clISt17integral_constantIbLb0EES13_EEDaSY_SZ_EUlSY_E_NS1_11comp_targetILNS1_3genE4ELNS1_11target_archE910ELNS1_3gpuE8ELNS1_3repE0EEENS1_30default_config_static_selectorELNS0_4arch9wavefront6targetE0EEEvT1_,comdat
.Lfunc_end1647:
	.size	_ZN7rocprim17ROCPRIM_400000_NS6detail17trampoline_kernelINS0_14default_configENS1_27scan_by_key_config_selectorIijEEZZNS1_16scan_by_key_implILNS1_25lookback_scan_determinismE0ELb0ES3_N6thrust23THRUST_200600_302600_NS6detail15normal_iteratorINS9_10device_ptrIiEEEENSB_INSC_IjEEEENSB_INSC_IfEEEEjNS9_4plusIvEENS9_8equal_toIvEEjEE10hipError_tPvRmT2_T3_T4_T5_mT6_T7_P12ihipStream_tbENKUlT_T0_E_clISt17integral_constantIbLb0EES13_EEDaSY_SZ_EUlSY_E_NS1_11comp_targetILNS1_3genE4ELNS1_11target_archE910ELNS1_3gpuE8ELNS1_3repE0EEENS1_30default_config_static_selectorELNS0_4arch9wavefront6targetE0EEEvT1_, .Lfunc_end1647-_ZN7rocprim17ROCPRIM_400000_NS6detail17trampoline_kernelINS0_14default_configENS1_27scan_by_key_config_selectorIijEEZZNS1_16scan_by_key_implILNS1_25lookback_scan_determinismE0ELb0ES3_N6thrust23THRUST_200600_302600_NS6detail15normal_iteratorINS9_10device_ptrIiEEEENSB_INSC_IjEEEENSB_INSC_IfEEEEjNS9_4plusIvEENS9_8equal_toIvEEjEE10hipError_tPvRmT2_T3_T4_T5_mT6_T7_P12ihipStream_tbENKUlT_T0_E_clISt17integral_constantIbLb0EES13_EEDaSY_SZ_EUlSY_E_NS1_11comp_targetILNS1_3genE4ELNS1_11target_archE910ELNS1_3gpuE8ELNS1_3repE0EEENS1_30default_config_static_selectorELNS0_4arch9wavefront6targetE0EEEvT1_
                                        ; -- End function
	.set _ZN7rocprim17ROCPRIM_400000_NS6detail17trampoline_kernelINS0_14default_configENS1_27scan_by_key_config_selectorIijEEZZNS1_16scan_by_key_implILNS1_25lookback_scan_determinismE0ELb0ES3_N6thrust23THRUST_200600_302600_NS6detail15normal_iteratorINS9_10device_ptrIiEEEENSB_INSC_IjEEEENSB_INSC_IfEEEEjNS9_4plusIvEENS9_8equal_toIvEEjEE10hipError_tPvRmT2_T3_T4_T5_mT6_T7_P12ihipStream_tbENKUlT_T0_E_clISt17integral_constantIbLb0EES13_EEDaSY_SZ_EUlSY_E_NS1_11comp_targetILNS1_3genE4ELNS1_11target_archE910ELNS1_3gpuE8ELNS1_3repE0EEENS1_30default_config_static_selectorELNS0_4arch9wavefront6targetE0EEEvT1_.num_vgpr, 0
	.set _ZN7rocprim17ROCPRIM_400000_NS6detail17trampoline_kernelINS0_14default_configENS1_27scan_by_key_config_selectorIijEEZZNS1_16scan_by_key_implILNS1_25lookback_scan_determinismE0ELb0ES3_N6thrust23THRUST_200600_302600_NS6detail15normal_iteratorINS9_10device_ptrIiEEEENSB_INSC_IjEEEENSB_INSC_IfEEEEjNS9_4plusIvEENS9_8equal_toIvEEjEE10hipError_tPvRmT2_T3_T4_T5_mT6_T7_P12ihipStream_tbENKUlT_T0_E_clISt17integral_constantIbLb0EES13_EEDaSY_SZ_EUlSY_E_NS1_11comp_targetILNS1_3genE4ELNS1_11target_archE910ELNS1_3gpuE8ELNS1_3repE0EEENS1_30default_config_static_selectorELNS0_4arch9wavefront6targetE0EEEvT1_.num_agpr, 0
	.set _ZN7rocprim17ROCPRIM_400000_NS6detail17trampoline_kernelINS0_14default_configENS1_27scan_by_key_config_selectorIijEEZZNS1_16scan_by_key_implILNS1_25lookback_scan_determinismE0ELb0ES3_N6thrust23THRUST_200600_302600_NS6detail15normal_iteratorINS9_10device_ptrIiEEEENSB_INSC_IjEEEENSB_INSC_IfEEEEjNS9_4plusIvEENS9_8equal_toIvEEjEE10hipError_tPvRmT2_T3_T4_T5_mT6_T7_P12ihipStream_tbENKUlT_T0_E_clISt17integral_constantIbLb0EES13_EEDaSY_SZ_EUlSY_E_NS1_11comp_targetILNS1_3genE4ELNS1_11target_archE910ELNS1_3gpuE8ELNS1_3repE0EEENS1_30default_config_static_selectorELNS0_4arch9wavefront6targetE0EEEvT1_.numbered_sgpr, 0
	.set _ZN7rocprim17ROCPRIM_400000_NS6detail17trampoline_kernelINS0_14default_configENS1_27scan_by_key_config_selectorIijEEZZNS1_16scan_by_key_implILNS1_25lookback_scan_determinismE0ELb0ES3_N6thrust23THRUST_200600_302600_NS6detail15normal_iteratorINS9_10device_ptrIiEEEENSB_INSC_IjEEEENSB_INSC_IfEEEEjNS9_4plusIvEENS9_8equal_toIvEEjEE10hipError_tPvRmT2_T3_T4_T5_mT6_T7_P12ihipStream_tbENKUlT_T0_E_clISt17integral_constantIbLb0EES13_EEDaSY_SZ_EUlSY_E_NS1_11comp_targetILNS1_3genE4ELNS1_11target_archE910ELNS1_3gpuE8ELNS1_3repE0EEENS1_30default_config_static_selectorELNS0_4arch9wavefront6targetE0EEEvT1_.num_named_barrier, 0
	.set _ZN7rocprim17ROCPRIM_400000_NS6detail17trampoline_kernelINS0_14default_configENS1_27scan_by_key_config_selectorIijEEZZNS1_16scan_by_key_implILNS1_25lookback_scan_determinismE0ELb0ES3_N6thrust23THRUST_200600_302600_NS6detail15normal_iteratorINS9_10device_ptrIiEEEENSB_INSC_IjEEEENSB_INSC_IfEEEEjNS9_4plusIvEENS9_8equal_toIvEEjEE10hipError_tPvRmT2_T3_T4_T5_mT6_T7_P12ihipStream_tbENKUlT_T0_E_clISt17integral_constantIbLb0EES13_EEDaSY_SZ_EUlSY_E_NS1_11comp_targetILNS1_3genE4ELNS1_11target_archE910ELNS1_3gpuE8ELNS1_3repE0EEENS1_30default_config_static_selectorELNS0_4arch9wavefront6targetE0EEEvT1_.private_seg_size, 0
	.set _ZN7rocprim17ROCPRIM_400000_NS6detail17trampoline_kernelINS0_14default_configENS1_27scan_by_key_config_selectorIijEEZZNS1_16scan_by_key_implILNS1_25lookback_scan_determinismE0ELb0ES3_N6thrust23THRUST_200600_302600_NS6detail15normal_iteratorINS9_10device_ptrIiEEEENSB_INSC_IjEEEENSB_INSC_IfEEEEjNS9_4plusIvEENS9_8equal_toIvEEjEE10hipError_tPvRmT2_T3_T4_T5_mT6_T7_P12ihipStream_tbENKUlT_T0_E_clISt17integral_constantIbLb0EES13_EEDaSY_SZ_EUlSY_E_NS1_11comp_targetILNS1_3genE4ELNS1_11target_archE910ELNS1_3gpuE8ELNS1_3repE0EEENS1_30default_config_static_selectorELNS0_4arch9wavefront6targetE0EEEvT1_.uses_vcc, 0
	.set _ZN7rocprim17ROCPRIM_400000_NS6detail17trampoline_kernelINS0_14default_configENS1_27scan_by_key_config_selectorIijEEZZNS1_16scan_by_key_implILNS1_25lookback_scan_determinismE0ELb0ES3_N6thrust23THRUST_200600_302600_NS6detail15normal_iteratorINS9_10device_ptrIiEEEENSB_INSC_IjEEEENSB_INSC_IfEEEEjNS9_4plusIvEENS9_8equal_toIvEEjEE10hipError_tPvRmT2_T3_T4_T5_mT6_T7_P12ihipStream_tbENKUlT_T0_E_clISt17integral_constantIbLb0EES13_EEDaSY_SZ_EUlSY_E_NS1_11comp_targetILNS1_3genE4ELNS1_11target_archE910ELNS1_3gpuE8ELNS1_3repE0EEENS1_30default_config_static_selectorELNS0_4arch9wavefront6targetE0EEEvT1_.uses_flat_scratch, 0
	.set _ZN7rocprim17ROCPRIM_400000_NS6detail17trampoline_kernelINS0_14default_configENS1_27scan_by_key_config_selectorIijEEZZNS1_16scan_by_key_implILNS1_25lookback_scan_determinismE0ELb0ES3_N6thrust23THRUST_200600_302600_NS6detail15normal_iteratorINS9_10device_ptrIiEEEENSB_INSC_IjEEEENSB_INSC_IfEEEEjNS9_4plusIvEENS9_8equal_toIvEEjEE10hipError_tPvRmT2_T3_T4_T5_mT6_T7_P12ihipStream_tbENKUlT_T0_E_clISt17integral_constantIbLb0EES13_EEDaSY_SZ_EUlSY_E_NS1_11comp_targetILNS1_3genE4ELNS1_11target_archE910ELNS1_3gpuE8ELNS1_3repE0EEENS1_30default_config_static_selectorELNS0_4arch9wavefront6targetE0EEEvT1_.has_dyn_sized_stack, 0
	.set _ZN7rocprim17ROCPRIM_400000_NS6detail17trampoline_kernelINS0_14default_configENS1_27scan_by_key_config_selectorIijEEZZNS1_16scan_by_key_implILNS1_25lookback_scan_determinismE0ELb0ES3_N6thrust23THRUST_200600_302600_NS6detail15normal_iteratorINS9_10device_ptrIiEEEENSB_INSC_IjEEEENSB_INSC_IfEEEEjNS9_4plusIvEENS9_8equal_toIvEEjEE10hipError_tPvRmT2_T3_T4_T5_mT6_T7_P12ihipStream_tbENKUlT_T0_E_clISt17integral_constantIbLb0EES13_EEDaSY_SZ_EUlSY_E_NS1_11comp_targetILNS1_3genE4ELNS1_11target_archE910ELNS1_3gpuE8ELNS1_3repE0EEENS1_30default_config_static_selectorELNS0_4arch9wavefront6targetE0EEEvT1_.has_recursion, 0
	.set _ZN7rocprim17ROCPRIM_400000_NS6detail17trampoline_kernelINS0_14default_configENS1_27scan_by_key_config_selectorIijEEZZNS1_16scan_by_key_implILNS1_25lookback_scan_determinismE0ELb0ES3_N6thrust23THRUST_200600_302600_NS6detail15normal_iteratorINS9_10device_ptrIiEEEENSB_INSC_IjEEEENSB_INSC_IfEEEEjNS9_4plusIvEENS9_8equal_toIvEEjEE10hipError_tPvRmT2_T3_T4_T5_mT6_T7_P12ihipStream_tbENKUlT_T0_E_clISt17integral_constantIbLb0EES13_EEDaSY_SZ_EUlSY_E_NS1_11comp_targetILNS1_3genE4ELNS1_11target_archE910ELNS1_3gpuE8ELNS1_3repE0EEENS1_30default_config_static_selectorELNS0_4arch9wavefront6targetE0EEEvT1_.has_indirect_call, 0
	.section	.AMDGPU.csdata,"",@progbits
; Kernel info:
; codeLenInByte = 0
; TotalNumSgprs: 0
; NumVgprs: 0
; ScratchSize: 0
; MemoryBound: 0
; FloatMode: 240
; IeeeMode: 1
; LDSByteSize: 0 bytes/workgroup (compile time only)
; SGPRBlocks: 0
; VGPRBlocks: 0
; NumSGPRsForWavesPerEU: 1
; NumVGPRsForWavesPerEU: 1
; NamedBarCnt: 0
; Occupancy: 16
; WaveLimiterHint : 0
; COMPUTE_PGM_RSRC2:SCRATCH_EN: 0
; COMPUTE_PGM_RSRC2:USER_SGPR: 2
; COMPUTE_PGM_RSRC2:TRAP_HANDLER: 0
; COMPUTE_PGM_RSRC2:TGID_X_EN: 1
; COMPUTE_PGM_RSRC2:TGID_Y_EN: 0
; COMPUTE_PGM_RSRC2:TGID_Z_EN: 0
; COMPUTE_PGM_RSRC2:TIDIG_COMP_CNT: 0
	.section	.text._ZN7rocprim17ROCPRIM_400000_NS6detail17trampoline_kernelINS0_14default_configENS1_27scan_by_key_config_selectorIijEEZZNS1_16scan_by_key_implILNS1_25lookback_scan_determinismE0ELb0ES3_N6thrust23THRUST_200600_302600_NS6detail15normal_iteratorINS9_10device_ptrIiEEEENSB_INSC_IjEEEENSB_INSC_IfEEEEjNS9_4plusIvEENS9_8equal_toIvEEjEE10hipError_tPvRmT2_T3_T4_T5_mT6_T7_P12ihipStream_tbENKUlT_T0_E_clISt17integral_constantIbLb0EES13_EEDaSY_SZ_EUlSY_E_NS1_11comp_targetILNS1_3genE3ELNS1_11target_archE908ELNS1_3gpuE7ELNS1_3repE0EEENS1_30default_config_static_selectorELNS0_4arch9wavefront6targetE0EEEvT1_,"axG",@progbits,_ZN7rocprim17ROCPRIM_400000_NS6detail17trampoline_kernelINS0_14default_configENS1_27scan_by_key_config_selectorIijEEZZNS1_16scan_by_key_implILNS1_25lookback_scan_determinismE0ELb0ES3_N6thrust23THRUST_200600_302600_NS6detail15normal_iteratorINS9_10device_ptrIiEEEENSB_INSC_IjEEEENSB_INSC_IfEEEEjNS9_4plusIvEENS9_8equal_toIvEEjEE10hipError_tPvRmT2_T3_T4_T5_mT6_T7_P12ihipStream_tbENKUlT_T0_E_clISt17integral_constantIbLb0EES13_EEDaSY_SZ_EUlSY_E_NS1_11comp_targetILNS1_3genE3ELNS1_11target_archE908ELNS1_3gpuE7ELNS1_3repE0EEENS1_30default_config_static_selectorELNS0_4arch9wavefront6targetE0EEEvT1_,comdat
	.protected	_ZN7rocprim17ROCPRIM_400000_NS6detail17trampoline_kernelINS0_14default_configENS1_27scan_by_key_config_selectorIijEEZZNS1_16scan_by_key_implILNS1_25lookback_scan_determinismE0ELb0ES3_N6thrust23THRUST_200600_302600_NS6detail15normal_iteratorINS9_10device_ptrIiEEEENSB_INSC_IjEEEENSB_INSC_IfEEEEjNS9_4plusIvEENS9_8equal_toIvEEjEE10hipError_tPvRmT2_T3_T4_T5_mT6_T7_P12ihipStream_tbENKUlT_T0_E_clISt17integral_constantIbLb0EES13_EEDaSY_SZ_EUlSY_E_NS1_11comp_targetILNS1_3genE3ELNS1_11target_archE908ELNS1_3gpuE7ELNS1_3repE0EEENS1_30default_config_static_selectorELNS0_4arch9wavefront6targetE0EEEvT1_ ; -- Begin function _ZN7rocprim17ROCPRIM_400000_NS6detail17trampoline_kernelINS0_14default_configENS1_27scan_by_key_config_selectorIijEEZZNS1_16scan_by_key_implILNS1_25lookback_scan_determinismE0ELb0ES3_N6thrust23THRUST_200600_302600_NS6detail15normal_iteratorINS9_10device_ptrIiEEEENSB_INSC_IjEEEENSB_INSC_IfEEEEjNS9_4plusIvEENS9_8equal_toIvEEjEE10hipError_tPvRmT2_T3_T4_T5_mT6_T7_P12ihipStream_tbENKUlT_T0_E_clISt17integral_constantIbLb0EES13_EEDaSY_SZ_EUlSY_E_NS1_11comp_targetILNS1_3genE3ELNS1_11target_archE908ELNS1_3gpuE7ELNS1_3repE0EEENS1_30default_config_static_selectorELNS0_4arch9wavefront6targetE0EEEvT1_
	.globl	_ZN7rocprim17ROCPRIM_400000_NS6detail17trampoline_kernelINS0_14default_configENS1_27scan_by_key_config_selectorIijEEZZNS1_16scan_by_key_implILNS1_25lookback_scan_determinismE0ELb0ES3_N6thrust23THRUST_200600_302600_NS6detail15normal_iteratorINS9_10device_ptrIiEEEENSB_INSC_IjEEEENSB_INSC_IfEEEEjNS9_4plusIvEENS9_8equal_toIvEEjEE10hipError_tPvRmT2_T3_T4_T5_mT6_T7_P12ihipStream_tbENKUlT_T0_E_clISt17integral_constantIbLb0EES13_EEDaSY_SZ_EUlSY_E_NS1_11comp_targetILNS1_3genE3ELNS1_11target_archE908ELNS1_3gpuE7ELNS1_3repE0EEENS1_30default_config_static_selectorELNS0_4arch9wavefront6targetE0EEEvT1_
	.p2align	8
	.type	_ZN7rocprim17ROCPRIM_400000_NS6detail17trampoline_kernelINS0_14default_configENS1_27scan_by_key_config_selectorIijEEZZNS1_16scan_by_key_implILNS1_25lookback_scan_determinismE0ELb0ES3_N6thrust23THRUST_200600_302600_NS6detail15normal_iteratorINS9_10device_ptrIiEEEENSB_INSC_IjEEEENSB_INSC_IfEEEEjNS9_4plusIvEENS9_8equal_toIvEEjEE10hipError_tPvRmT2_T3_T4_T5_mT6_T7_P12ihipStream_tbENKUlT_T0_E_clISt17integral_constantIbLb0EES13_EEDaSY_SZ_EUlSY_E_NS1_11comp_targetILNS1_3genE3ELNS1_11target_archE908ELNS1_3gpuE7ELNS1_3repE0EEENS1_30default_config_static_selectorELNS0_4arch9wavefront6targetE0EEEvT1_,@function
_ZN7rocprim17ROCPRIM_400000_NS6detail17trampoline_kernelINS0_14default_configENS1_27scan_by_key_config_selectorIijEEZZNS1_16scan_by_key_implILNS1_25lookback_scan_determinismE0ELb0ES3_N6thrust23THRUST_200600_302600_NS6detail15normal_iteratorINS9_10device_ptrIiEEEENSB_INSC_IjEEEENSB_INSC_IfEEEEjNS9_4plusIvEENS9_8equal_toIvEEjEE10hipError_tPvRmT2_T3_T4_T5_mT6_T7_P12ihipStream_tbENKUlT_T0_E_clISt17integral_constantIbLb0EES13_EEDaSY_SZ_EUlSY_E_NS1_11comp_targetILNS1_3genE3ELNS1_11target_archE908ELNS1_3gpuE7ELNS1_3repE0EEENS1_30default_config_static_selectorELNS0_4arch9wavefront6targetE0EEEvT1_: ; @_ZN7rocprim17ROCPRIM_400000_NS6detail17trampoline_kernelINS0_14default_configENS1_27scan_by_key_config_selectorIijEEZZNS1_16scan_by_key_implILNS1_25lookback_scan_determinismE0ELb0ES3_N6thrust23THRUST_200600_302600_NS6detail15normal_iteratorINS9_10device_ptrIiEEEENSB_INSC_IjEEEENSB_INSC_IfEEEEjNS9_4plusIvEENS9_8equal_toIvEEjEE10hipError_tPvRmT2_T3_T4_T5_mT6_T7_P12ihipStream_tbENKUlT_T0_E_clISt17integral_constantIbLb0EES13_EEDaSY_SZ_EUlSY_E_NS1_11comp_targetILNS1_3genE3ELNS1_11target_archE908ELNS1_3gpuE7ELNS1_3repE0EEENS1_30default_config_static_selectorELNS0_4arch9wavefront6targetE0EEEvT1_
; %bb.0:
	.section	.rodata,"a",@progbits
	.p2align	6, 0x0
	.amdhsa_kernel _ZN7rocprim17ROCPRIM_400000_NS6detail17trampoline_kernelINS0_14default_configENS1_27scan_by_key_config_selectorIijEEZZNS1_16scan_by_key_implILNS1_25lookback_scan_determinismE0ELb0ES3_N6thrust23THRUST_200600_302600_NS6detail15normal_iteratorINS9_10device_ptrIiEEEENSB_INSC_IjEEEENSB_INSC_IfEEEEjNS9_4plusIvEENS9_8equal_toIvEEjEE10hipError_tPvRmT2_T3_T4_T5_mT6_T7_P12ihipStream_tbENKUlT_T0_E_clISt17integral_constantIbLb0EES13_EEDaSY_SZ_EUlSY_E_NS1_11comp_targetILNS1_3genE3ELNS1_11target_archE908ELNS1_3gpuE7ELNS1_3repE0EEENS1_30default_config_static_selectorELNS0_4arch9wavefront6targetE0EEEvT1_
		.amdhsa_group_segment_fixed_size 0
		.amdhsa_private_segment_fixed_size 0
		.amdhsa_kernarg_size 112
		.amdhsa_user_sgpr_count 2
		.amdhsa_user_sgpr_dispatch_ptr 0
		.amdhsa_user_sgpr_queue_ptr 0
		.amdhsa_user_sgpr_kernarg_segment_ptr 1
		.amdhsa_user_sgpr_dispatch_id 0
		.amdhsa_user_sgpr_kernarg_preload_length 0
		.amdhsa_user_sgpr_kernarg_preload_offset 0
		.amdhsa_user_sgpr_private_segment_size 0
		.amdhsa_wavefront_size32 1
		.amdhsa_uses_dynamic_stack 0
		.amdhsa_enable_private_segment 0
		.amdhsa_system_sgpr_workgroup_id_x 1
		.amdhsa_system_sgpr_workgroup_id_y 0
		.amdhsa_system_sgpr_workgroup_id_z 0
		.amdhsa_system_sgpr_workgroup_info 0
		.amdhsa_system_vgpr_workitem_id 0
		.amdhsa_next_free_vgpr 1
		.amdhsa_next_free_sgpr 1
		.amdhsa_named_barrier_count 0
		.amdhsa_reserve_vcc 0
		.amdhsa_float_round_mode_32 0
		.amdhsa_float_round_mode_16_64 0
		.amdhsa_float_denorm_mode_32 3
		.amdhsa_float_denorm_mode_16_64 3
		.amdhsa_fp16_overflow 0
		.amdhsa_memory_ordered 1
		.amdhsa_forward_progress 1
		.amdhsa_inst_pref_size 0
		.amdhsa_round_robin_scheduling 0
		.amdhsa_exception_fp_ieee_invalid_op 0
		.amdhsa_exception_fp_denorm_src 0
		.amdhsa_exception_fp_ieee_div_zero 0
		.amdhsa_exception_fp_ieee_overflow 0
		.amdhsa_exception_fp_ieee_underflow 0
		.amdhsa_exception_fp_ieee_inexact 0
		.amdhsa_exception_int_div_zero 0
	.end_amdhsa_kernel
	.section	.text._ZN7rocprim17ROCPRIM_400000_NS6detail17trampoline_kernelINS0_14default_configENS1_27scan_by_key_config_selectorIijEEZZNS1_16scan_by_key_implILNS1_25lookback_scan_determinismE0ELb0ES3_N6thrust23THRUST_200600_302600_NS6detail15normal_iteratorINS9_10device_ptrIiEEEENSB_INSC_IjEEEENSB_INSC_IfEEEEjNS9_4plusIvEENS9_8equal_toIvEEjEE10hipError_tPvRmT2_T3_T4_T5_mT6_T7_P12ihipStream_tbENKUlT_T0_E_clISt17integral_constantIbLb0EES13_EEDaSY_SZ_EUlSY_E_NS1_11comp_targetILNS1_3genE3ELNS1_11target_archE908ELNS1_3gpuE7ELNS1_3repE0EEENS1_30default_config_static_selectorELNS0_4arch9wavefront6targetE0EEEvT1_,"axG",@progbits,_ZN7rocprim17ROCPRIM_400000_NS6detail17trampoline_kernelINS0_14default_configENS1_27scan_by_key_config_selectorIijEEZZNS1_16scan_by_key_implILNS1_25lookback_scan_determinismE0ELb0ES3_N6thrust23THRUST_200600_302600_NS6detail15normal_iteratorINS9_10device_ptrIiEEEENSB_INSC_IjEEEENSB_INSC_IfEEEEjNS9_4plusIvEENS9_8equal_toIvEEjEE10hipError_tPvRmT2_T3_T4_T5_mT6_T7_P12ihipStream_tbENKUlT_T0_E_clISt17integral_constantIbLb0EES13_EEDaSY_SZ_EUlSY_E_NS1_11comp_targetILNS1_3genE3ELNS1_11target_archE908ELNS1_3gpuE7ELNS1_3repE0EEENS1_30default_config_static_selectorELNS0_4arch9wavefront6targetE0EEEvT1_,comdat
.Lfunc_end1648:
	.size	_ZN7rocprim17ROCPRIM_400000_NS6detail17trampoline_kernelINS0_14default_configENS1_27scan_by_key_config_selectorIijEEZZNS1_16scan_by_key_implILNS1_25lookback_scan_determinismE0ELb0ES3_N6thrust23THRUST_200600_302600_NS6detail15normal_iteratorINS9_10device_ptrIiEEEENSB_INSC_IjEEEENSB_INSC_IfEEEEjNS9_4plusIvEENS9_8equal_toIvEEjEE10hipError_tPvRmT2_T3_T4_T5_mT6_T7_P12ihipStream_tbENKUlT_T0_E_clISt17integral_constantIbLb0EES13_EEDaSY_SZ_EUlSY_E_NS1_11comp_targetILNS1_3genE3ELNS1_11target_archE908ELNS1_3gpuE7ELNS1_3repE0EEENS1_30default_config_static_selectorELNS0_4arch9wavefront6targetE0EEEvT1_, .Lfunc_end1648-_ZN7rocprim17ROCPRIM_400000_NS6detail17trampoline_kernelINS0_14default_configENS1_27scan_by_key_config_selectorIijEEZZNS1_16scan_by_key_implILNS1_25lookback_scan_determinismE0ELb0ES3_N6thrust23THRUST_200600_302600_NS6detail15normal_iteratorINS9_10device_ptrIiEEEENSB_INSC_IjEEEENSB_INSC_IfEEEEjNS9_4plusIvEENS9_8equal_toIvEEjEE10hipError_tPvRmT2_T3_T4_T5_mT6_T7_P12ihipStream_tbENKUlT_T0_E_clISt17integral_constantIbLb0EES13_EEDaSY_SZ_EUlSY_E_NS1_11comp_targetILNS1_3genE3ELNS1_11target_archE908ELNS1_3gpuE7ELNS1_3repE0EEENS1_30default_config_static_selectorELNS0_4arch9wavefront6targetE0EEEvT1_
                                        ; -- End function
	.set _ZN7rocprim17ROCPRIM_400000_NS6detail17trampoline_kernelINS0_14default_configENS1_27scan_by_key_config_selectorIijEEZZNS1_16scan_by_key_implILNS1_25lookback_scan_determinismE0ELb0ES3_N6thrust23THRUST_200600_302600_NS6detail15normal_iteratorINS9_10device_ptrIiEEEENSB_INSC_IjEEEENSB_INSC_IfEEEEjNS9_4plusIvEENS9_8equal_toIvEEjEE10hipError_tPvRmT2_T3_T4_T5_mT6_T7_P12ihipStream_tbENKUlT_T0_E_clISt17integral_constantIbLb0EES13_EEDaSY_SZ_EUlSY_E_NS1_11comp_targetILNS1_3genE3ELNS1_11target_archE908ELNS1_3gpuE7ELNS1_3repE0EEENS1_30default_config_static_selectorELNS0_4arch9wavefront6targetE0EEEvT1_.num_vgpr, 0
	.set _ZN7rocprim17ROCPRIM_400000_NS6detail17trampoline_kernelINS0_14default_configENS1_27scan_by_key_config_selectorIijEEZZNS1_16scan_by_key_implILNS1_25lookback_scan_determinismE0ELb0ES3_N6thrust23THRUST_200600_302600_NS6detail15normal_iteratorINS9_10device_ptrIiEEEENSB_INSC_IjEEEENSB_INSC_IfEEEEjNS9_4plusIvEENS9_8equal_toIvEEjEE10hipError_tPvRmT2_T3_T4_T5_mT6_T7_P12ihipStream_tbENKUlT_T0_E_clISt17integral_constantIbLb0EES13_EEDaSY_SZ_EUlSY_E_NS1_11comp_targetILNS1_3genE3ELNS1_11target_archE908ELNS1_3gpuE7ELNS1_3repE0EEENS1_30default_config_static_selectorELNS0_4arch9wavefront6targetE0EEEvT1_.num_agpr, 0
	.set _ZN7rocprim17ROCPRIM_400000_NS6detail17trampoline_kernelINS0_14default_configENS1_27scan_by_key_config_selectorIijEEZZNS1_16scan_by_key_implILNS1_25lookback_scan_determinismE0ELb0ES3_N6thrust23THRUST_200600_302600_NS6detail15normal_iteratorINS9_10device_ptrIiEEEENSB_INSC_IjEEEENSB_INSC_IfEEEEjNS9_4plusIvEENS9_8equal_toIvEEjEE10hipError_tPvRmT2_T3_T4_T5_mT6_T7_P12ihipStream_tbENKUlT_T0_E_clISt17integral_constantIbLb0EES13_EEDaSY_SZ_EUlSY_E_NS1_11comp_targetILNS1_3genE3ELNS1_11target_archE908ELNS1_3gpuE7ELNS1_3repE0EEENS1_30default_config_static_selectorELNS0_4arch9wavefront6targetE0EEEvT1_.numbered_sgpr, 0
	.set _ZN7rocprim17ROCPRIM_400000_NS6detail17trampoline_kernelINS0_14default_configENS1_27scan_by_key_config_selectorIijEEZZNS1_16scan_by_key_implILNS1_25lookback_scan_determinismE0ELb0ES3_N6thrust23THRUST_200600_302600_NS6detail15normal_iteratorINS9_10device_ptrIiEEEENSB_INSC_IjEEEENSB_INSC_IfEEEEjNS9_4plusIvEENS9_8equal_toIvEEjEE10hipError_tPvRmT2_T3_T4_T5_mT6_T7_P12ihipStream_tbENKUlT_T0_E_clISt17integral_constantIbLb0EES13_EEDaSY_SZ_EUlSY_E_NS1_11comp_targetILNS1_3genE3ELNS1_11target_archE908ELNS1_3gpuE7ELNS1_3repE0EEENS1_30default_config_static_selectorELNS0_4arch9wavefront6targetE0EEEvT1_.num_named_barrier, 0
	.set _ZN7rocprim17ROCPRIM_400000_NS6detail17trampoline_kernelINS0_14default_configENS1_27scan_by_key_config_selectorIijEEZZNS1_16scan_by_key_implILNS1_25lookback_scan_determinismE0ELb0ES3_N6thrust23THRUST_200600_302600_NS6detail15normal_iteratorINS9_10device_ptrIiEEEENSB_INSC_IjEEEENSB_INSC_IfEEEEjNS9_4plusIvEENS9_8equal_toIvEEjEE10hipError_tPvRmT2_T3_T4_T5_mT6_T7_P12ihipStream_tbENKUlT_T0_E_clISt17integral_constantIbLb0EES13_EEDaSY_SZ_EUlSY_E_NS1_11comp_targetILNS1_3genE3ELNS1_11target_archE908ELNS1_3gpuE7ELNS1_3repE0EEENS1_30default_config_static_selectorELNS0_4arch9wavefront6targetE0EEEvT1_.private_seg_size, 0
	.set _ZN7rocprim17ROCPRIM_400000_NS6detail17trampoline_kernelINS0_14default_configENS1_27scan_by_key_config_selectorIijEEZZNS1_16scan_by_key_implILNS1_25lookback_scan_determinismE0ELb0ES3_N6thrust23THRUST_200600_302600_NS6detail15normal_iteratorINS9_10device_ptrIiEEEENSB_INSC_IjEEEENSB_INSC_IfEEEEjNS9_4plusIvEENS9_8equal_toIvEEjEE10hipError_tPvRmT2_T3_T4_T5_mT6_T7_P12ihipStream_tbENKUlT_T0_E_clISt17integral_constantIbLb0EES13_EEDaSY_SZ_EUlSY_E_NS1_11comp_targetILNS1_3genE3ELNS1_11target_archE908ELNS1_3gpuE7ELNS1_3repE0EEENS1_30default_config_static_selectorELNS0_4arch9wavefront6targetE0EEEvT1_.uses_vcc, 0
	.set _ZN7rocprim17ROCPRIM_400000_NS6detail17trampoline_kernelINS0_14default_configENS1_27scan_by_key_config_selectorIijEEZZNS1_16scan_by_key_implILNS1_25lookback_scan_determinismE0ELb0ES3_N6thrust23THRUST_200600_302600_NS6detail15normal_iteratorINS9_10device_ptrIiEEEENSB_INSC_IjEEEENSB_INSC_IfEEEEjNS9_4plusIvEENS9_8equal_toIvEEjEE10hipError_tPvRmT2_T3_T4_T5_mT6_T7_P12ihipStream_tbENKUlT_T0_E_clISt17integral_constantIbLb0EES13_EEDaSY_SZ_EUlSY_E_NS1_11comp_targetILNS1_3genE3ELNS1_11target_archE908ELNS1_3gpuE7ELNS1_3repE0EEENS1_30default_config_static_selectorELNS0_4arch9wavefront6targetE0EEEvT1_.uses_flat_scratch, 0
	.set _ZN7rocprim17ROCPRIM_400000_NS6detail17trampoline_kernelINS0_14default_configENS1_27scan_by_key_config_selectorIijEEZZNS1_16scan_by_key_implILNS1_25lookback_scan_determinismE0ELb0ES3_N6thrust23THRUST_200600_302600_NS6detail15normal_iteratorINS9_10device_ptrIiEEEENSB_INSC_IjEEEENSB_INSC_IfEEEEjNS9_4plusIvEENS9_8equal_toIvEEjEE10hipError_tPvRmT2_T3_T4_T5_mT6_T7_P12ihipStream_tbENKUlT_T0_E_clISt17integral_constantIbLb0EES13_EEDaSY_SZ_EUlSY_E_NS1_11comp_targetILNS1_3genE3ELNS1_11target_archE908ELNS1_3gpuE7ELNS1_3repE0EEENS1_30default_config_static_selectorELNS0_4arch9wavefront6targetE0EEEvT1_.has_dyn_sized_stack, 0
	.set _ZN7rocprim17ROCPRIM_400000_NS6detail17trampoline_kernelINS0_14default_configENS1_27scan_by_key_config_selectorIijEEZZNS1_16scan_by_key_implILNS1_25lookback_scan_determinismE0ELb0ES3_N6thrust23THRUST_200600_302600_NS6detail15normal_iteratorINS9_10device_ptrIiEEEENSB_INSC_IjEEEENSB_INSC_IfEEEEjNS9_4plusIvEENS9_8equal_toIvEEjEE10hipError_tPvRmT2_T3_T4_T5_mT6_T7_P12ihipStream_tbENKUlT_T0_E_clISt17integral_constantIbLb0EES13_EEDaSY_SZ_EUlSY_E_NS1_11comp_targetILNS1_3genE3ELNS1_11target_archE908ELNS1_3gpuE7ELNS1_3repE0EEENS1_30default_config_static_selectorELNS0_4arch9wavefront6targetE0EEEvT1_.has_recursion, 0
	.set _ZN7rocprim17ROCPRIM_400000_NS6detail17trampoline_kernelINS0_14default_configENS1_27scan_by_key_config_selectorIijEEZZNS1_16scan_by_key_implILNS1_25lookback_scan_determinismE0ELb0ES3_N6thrust23THRUST_200600_302600_NS6detail15normal_iteratorINS9_10device_ptrIiEEEENSB_INSC_IjEEEENSB_INSC_IfEEEEjNS9_4plusIvEENS9_8equal_toIvEEjEE10hipError_tPvRmT2_T3_T4_T5_mT6_T7_P12ihipStream_tbENKUlT_T0_E_clISt17integral_constantIbLb0EES13_EEDaSY_SZ_EUlSY_E_NS1_11comp_targetILNS1_3genE3ELNS1_11target_archE908ELNS1_3gpuE7ELNS1_3repE0EEENS1_30default_config_static_selectorELNS0_4arch9wavefront6targetE0EEEvT1_.has_indirect_call, 0
	.section	.AMDGPU.csdata,"",@progbits
; Kernel info:
; codeLenInByte = 0
; TotalNumSgprs: 0
; NumVgprs: 0
; ScratchSize: 0
; MemoryBound: 0
; FloatMode: 240
; IeeeMode: 1
; LDSByteSize: 0 bytes/workgroup (compile time only)
; SGPRBlocks: 0
; VGPRBlocks: 0
; NumSGPRsForWavesPerEU: 1
; NumVGPRsForWavesPerEU: 1
; NamedBarCnt: 0
; Occupancy: 16
; WaveLimiterHint : 0
; COMPUTE_PGM_RSRC2:SCRATCH_EN: 0
; COMPUTE_PGM_RSRC2:USER_SGPR: 2
; COMPUTE_PGM_RSRC2:TRAP_HANDLER: 0
; COMPUTE_PGM_RSRC2:TGID_X_EN: 1
; COMPUTE_PGM_RSRC2:TGID_Y_EN: 0
; COMPUTE_PGM_RSRC2:TGID_Z_EN: 0
; COMPUTE_PGM_RSRC2:TIDIG_COMP_CNT: 0
	.section	.text._ZN7rocprim17ROCPRIM_400000_NS6detail17trampoline_kernelINS0_14default_configENS1_27scan_by_key_config_selectorIijEEZZNS1_16scan_by_key_implILNS1_25lookback_scan_determinismE0ELb0ES3_N6thrust23THRUST_200600_302600_NS6detail15normal_iteratorINS9_10device_ptrIiEEEENSB_INSC_IjEEEENSB_INSC_IfEEEEjNS9_4plusIvEENS9_8equal_toIvEEjEE10hipError_tPvRmT2_T3_T4_T5_mT6_T7_P12ihipStream_tbENKUlT_T0_E_clISt17integral_constantIbLb0EES13_EEDaSY_SZ_EUlSY_E_NS1_11comp_targetILNS1_3genE2ELNS1_11target_archE906ELNS1_3gpuE6ELNS1_3repE0EEENS1_30default_config_static_selectorELNS0_4arch9wavefront6targetE0EEEvT1_,"axG",@progbits,_ZN7rocprim17ROCPRIM_400000_NS6detail17trampoline_kernelINS0_14default_configENS1_27scan_by_key_config_selectorIijEEZZNS1_16scan_by_key_implILNS1_25lookback_scan_determinismE0ELb0ES3_N6thrust23THRUST_200600_302600_NS6detail15normal_iteratorINS9_10device_ptrIiEEEENSB_INSC_IjEEEENSB_INSC_IfEEEEjNS9_4plusIvEENS9_8equal_toIvEEjEE10hipError_tPvRmT2_T3_T4_T5_mT6_T7_P12ihipStream_tbENKUlT_T0_E_clISt17integral_constantIbLb0EES13_EEDaSY_SZ_EUlSY_E_NS1_11comp_targetILNS1_3genE2ELNS1_11target_archE906ELNS1_3gpuE6ELNS1_3repE0EEENS1_30default_config_static_selectorELNS0_4arch9wavefront6targetE0EEEvT1_,comdat
	.protected	_ZN7rocprim17ROCPRIM_400000_NS6detail17trampoline_kernelINS0_14default_configENS1_27scan_by_key_config_selectorIijEEZZNS1_16scan_by_key_implILNS1_25lookback_scan_determinismE0ELb0ES3_N6thrust23THRUST_200600_302600_NS6detail15normal_iteratorINS9_10device_ptrIiEEEENSB_INSC_IjEEEENSB_INSC_IfEEEEjNS9_4plusIvEENS9_8equal_toIvEEjEE10hipError_tPvRmT2_T3_T4_T5_mT6_T7_P12ihipStream_tbENKUlT_T0_E_clISt17integral_constantIbLb0EES13_EEDaSY_SZ_EUlSY_E_NS1_11comp_targetILNS1_3genE2ELNS1_11target_archE906ELNS1_3gpuE6ELNS1_3repE0EEENS1_30default_config_static_selectorELNS0_4arch9wavefront6targetE0EEEvT1_ ; -- Begin function _ZN7rocprim17ROCPRIM_400000_NS6detail17trampoline_kernelINS0_14default_configENS1_27scan_by_key_config_selectorIijEEZZNS1_16scan_by_key_implILNS1_25lookback_scan_determinismE0ELb0ES3_N6thrust23THRUST_200600_302600_NS6detail15normal_iteratorINS9_10device_ptrIiEEEENSB_INSC_IjEEEENSB_INSC_IfEEEEjNS9_4plusIvEENS9_8equal_toIvEEjEE10hipError_tPvRmT2_T3_T4_T5_mT6_T7_P12ihipStream_tbENKUlT_T0_E_clISt17integral_constantIbLb0EES13_EEDaSY_SZ_EUlSY_E_NS1_11comp_targetILNS1_3genE2ELNS1_11target_archE906ELNS1_3gpuE6ELNS1_3repE0EEENS1_30default_config_static_selectorELNS0_4arch9wavefront6targetE0EEEvT1_
	.globl	_ZN7rocprim17ROCPRIM_400000_NS6detail17trampoline_kernelINS0_14default_configENS1_27scan_by_key_config_selectorIijEEZZNS1_16scan_by_key_implILNS1_25lookback_scan_determinismE0ELb0ES3_N6thrust23THRUST_200600_302600_NS6detail15normal_iteratorINS9_10device_ptrIiEEEENSB_INSC_IjEEEENSB_INSC_IfEEEEjNS9_4plusIvEENS9_8equal_toIvEEjEE10hipError_tPvRmT2_T3_T4_T5_mT6_T7_P12ihipStream_tbENKUlT_T0_E_clISt17integral_constantIbLb0EES13_EEDaSY_SZ_EUlSY_E_NS1_11comp_targetILNS1_3genE2ELNS1_11target_archE906ELNS1_3gpuE6ELNS1_3repE0EEENS1_30default_config_static_selectorELNS0_4arch9wavefront6targetE0EEEvT1_
	.p2align	8
	.type	_ZN7rocprim17ROCPRIM_400000_NS6detail17trampoline_kernelINS0_14default_configENS1_27scan_by_key_config_selectorIijEEZZNS1_16scan_by_key_implILNS1_25lookback_scan_determinismE0ELb0ES3_N6thrust23THRUST_200600_302600_NS6detail15normal_iteratorINS9_10device_ptrIiEEEENSB_INSC_IjEEEENSB_INSC_IfEEEEjNS9_4plusIvEENS9_8equal_toIvEEjEE10hipError_tPvRmT2_T3_T4_T5_mT6_T7_P12ihipStream_tbENKUlT_T0_E_clISt17integral_constantIbLb0EES13_EEDaSY_SZ_EUlSY_E_NS1_11comp_targetILNS1_3genE2ELNS1_11target_archE906ELNS1_3gpuE6ELNS1_3repE0EEENS1_30default_config_static_selectorELNS0_4arch9wavefront6targetE0EEEvT1_,@function
_ZN7rocprim17ROCPRIM_400000_NS6detail17trampoline_kernelINS0_14default_configENS1_27scan_by_key_config_selectorIijEEZZNS1_16scan_by_key_implILNS1_25lookback_scan_determinismE0ELb0ES3_N6thrust23THRUST_200600_302600_NS6detail15normal_iteratorINS9_10device_ptrIiEEEENSB_INSC_IjEEEENSB_INSC_IfEEEEjNS9_4plusIvEENS9_8equal_toIvEEjEE10hipError_tPvRmT2_T3_T4_T5_mT6_T7_P12ihipStream_tbENKUlT_T0_E_clISt17integral_constantIbLb0EES13_EEDaSY_SZ_EUlSY_E_NS1_11comp_targetILNS1_3genE2ELNS1_11target_archE906ELNS1_3gpuE6ELNS1_3repE0EEENS1_30default_config_static_selectorELNS0_4arch9wavefront6targetE0EEEvT1_: ; @_ZN7rocprim17ROCPRIM_400000_NS6detail17trampoline_kernelINS0_14default_configENS1_27scan_by_key_config_selectorIijEEZZNS1_16scan_by_key_implILNS1_25lookback_scan_determinismE0ELb0ES3_N6thrust23THRUST_200600_302600_NS6detail15normal_iteratorINS9_10device_ptrIiEEEENSB_INSC_IjEEEENSB_INSC_IfEEEEjNS9_4plusIvEENS9_8equal_toIvEEjEE10hipError_tPvRmT2_T3_T4_T5_mT6_T7_P12ihipStream_tbENKUlT_T0_E_clISt17integral_constantIbLb0EES13_EEDaSY_SZ_EUlSY_E_NS1_11comp_targetILNS1_3genE2ELNS1_11target_archE906ELNS1_3gpuE6ELNS1_3repE0EEENS1_30default_config_static_selectorELNS0_4arch9wavefront6targetE0EEEvT1_
; %bb.0:
	.section	.rodata,"a",@progbits
	.p2align	6, 0x0
	.amdhsa_kernel _ZN7rocprim17ROCPRIM_400000_NS6detail17trampoline_kernelINS0_14default_configENS1_27scan_by_key_config_selectorIijEEZZNS1_16scan_by_key_implILNS1_25lookback_scan_determinismE0ELb0ES3_N6thrust23THRUST_200600_302600_NS6detail15normal_iteratorINS9_10device_ptrIiEEEENSB_INSC_IjEEEENSB_INSC_IfEEEEjNS9_4plusIvEENS9_8equal_toIvEEjEE10hipError_tPvRmT2_T3_T4_T5_mT6_T7_P12ihipStream_tbENKUlT_T0_E_clISt17integral_constantIbLb0EES13_EEDaSY_SZ_EUlSY_E_NS1_11comp_targetILNS1_3genE2ELNS1_11target_archE906ELNS1_3gpuE6ELNS1_3repE0EEENS1_30default_config_static_selectorELNS0_4arch9wavefront6targetE0EEEvT1_
		.amdhsa_group_segment_fixed_size 0
		.amdhsa_private_segment_fixed_size 0
		.amdhsa_kernarg_size 112
		.amdhsa_user_sgpr_count 2
		.amdhsa_user_sgpr_dispatch_ptr 0
		.amdhsa_user_sgpr_queue_ptr 0
		.amdhsa_user_sgpr_kernarg_segment_ptr 1
		.amdhsa_user_sgpr_dispatch_id 0
		.amdhsa_user_sgpr_kernarg_preload_length 0
		.amdhsa_user_sgpr_kernarg_preload_offset 0
		.amdhsa_user_sgpr_private_segment_size 0
		.amdhsa_wavefront_size32 1
		.amdhsa_uses_dynamic_stack 0
		.amdhsa_enable_private_segment 0
		.amdhsa_system_sgpr_workgroup_id_x 1
		.amdhsa_system_sgpr_workgroup_id_y 0
		.amdhsa_system_sgpr_workgroup_id_z 0
		.amdhsa_system_sgpr_workgroup_info 0
		.amdhsa_system_vgpr_workitem_id 0
		.amdhsa_next_free_vgpr 1
		.amdhsa_next_free_sgpr 1
		.amdhsa_named_barrier_count 0
		.amdhsa_reserve_vcc 0
		.amdhsa_float_round_mode_32 0
		.amdhsa_float_round_mode_16_64 0
		.amdhsa_float_denorm_mode_32 3
		.amdhsa_float_denorm_mode_16_64 3
		.amdhsa_fp16_overflow 0
		.amdhsa_memory_ordered 1
		.amdhsa_forward_progress 1
		.amdhsa_inst_pref_size 0
		.amdhsa_round_robin_scheduling 0
		.amdhsa_exception_fp_ieee_invalid_op 0
		.amdhsa_exception_fp_denorm_src 0
		.amdhsa_exception_fp_ieee_div_zero 0
		.amdhsa_exception_fp_ieee_overflow 0
		.amdhsa_exception_fp_ieee_underflow 0
		.amdhsa_exception_fp_ieee_inexact 0
		.amdhsa_exception_int_div_zero 0
	.end_amdhsa_kernel
	.section	.text._ZN7rocprim17ROCPRIM_400000_NS6detail17trampoline_kernelINS0_14default_configENS1_27scan_by_key_config_selectorIijEEZZNS1_16scan_by_key_implILNS1_25lookback_scan_determinismE0ELb0ES3_N6thrust23THRUST_200600_302600_NS6detail15normal_iteratorINS9_10device_ptrIiEEEENSB_INSC_IjEEEENSB_INSC_IfEEEEjNS9_4plusIvEENS9_8equal_toIvEEjEE10hipError_tPvRmT2_T3_T4_T5_mT6_T7_P12ihipStream_tbENKUlT_T0_E_clISt17integral_constantIbLb0EES13_EEDaSY_SZ_EUlSY_E_NS1_11comp_targetILNS1_3genE2ELNS1_11target_archE906ELNS1_3gpuE6ELNS1_3repE0EEENS1_30default_config_static_selectorELNS0_4arch9wavefront6targetE0EEEvT1_,"axG",@progbits,_ZN7rocprim17ROCPRIM_400000_NS6detail17trampoline_kernelINS0_14default_configENS1_27scan_by_key_config_selectorIijEEZZNS1_16scan_by_key_implILNS1_25lookback_scan_determinismE0ELb0ES3_N6thrust23THRUST_200600_302600_NS6detail15normal_iteratorINS9_10device_ptrIiEEEENSB_INSC_IjEEEENSB_INSC_IfEEEEjNS9_4plusIvEENS9_8equal_toIvEEjEE10hipError_tPvRmT2_T3_T4_T5_mT6_T7_P12ihipStream_tbENKUlT_T0_E_clISt17integral_constantIbLb0EES13_EEDaSY_SZ_EUlSY_E_NS1_11comp_targetILNS1_3genE2ELNS1_11target_archE906ELNS1_3gpuE6ELNS1_3repE0EEENS1_30default_config_static_selectorELNS0_4arch9wavefront6targetE0EEEvT1_,comdat
.Lfunc_end1649:
	.size	_ZN7rocprim17ROCPRIM_400000_NS6detail17trampoline_kernelINS0_14default_configENS1_27scan_by_key_config_selectorIijEEZZNS1_16scan_by_key_implILNS1_25lookback_scan_determinismE0ELb0ES3_N6thrust23THRUST_200600_302600_NS6detail15normal_iteratorINS9_10device_ptrIiEEEENSB_INSC_IjEEEENSB_INSC_IfEEEEjNS9_4plusIvEENS9_8equal_toIvEEjEE10hipError_tPvRmT2_T3_T4_T5_mT6_T7_P12ihipStream_tbENKUlT_T0_E_clISt17integral_constantIbLb0EES13_EEDaSY_SZ_EUlSY_E_NS1_11comp_targetILNS1_3genE2ELNS1_11target_archE906ELNS1_3gpuE6ELNS1_3repE0EEENS1_30default_config_static_selectorELNS0_4arch9wavefront6targetE0EEEvT1_, .Lfunc_end1649-_ZN7rocprim17ROCPRIM_400000_NS6detail17trampoline_kernelINS0_14default_configENS1_27scan_by_key_config_selectorIijEEZZNS1_16scan_by_key_implILNS1_25lookback_scan_determinismE0ELb0ES3_N6thrust23THRUST_200600_302600_NS6detail15normal_iteratorINS9_10device_ptrIiEEEENSB_INSC_IjEEEENSB_INSC_IfEEEEjNS9_4plusIvEENS9_8equal_toIvEEjEE10hipError_tPvRmT2_T3_T4_T5_mT6_T7_P12ihipStream_tbENKUlT_T0_E_clISt17integral_constantIbLb0EES13_EEDaSY_SZ_EUlSY_E_NS1_11comp_targetILNS1_3genE2ELNS1_11target_archE906ELNS1_3gpuE6ELNS1_3repE0EEENS1_30default_config_static_selectorELNS0_4arch9wavefront6targetE0EEEvT1_
                                        ; -- End function
	.set _ZN7rocprim17ROCPRIM_400000_NS6detail17trampoline_kernelINS0_14default_configENS1_27scan_by_key_config_selectorIijEEZZNS1_16scan_by_key_implILNS1_25lookback_scan_determinismE0ELb0ES3_N6thrust23THRUST_200600_302600_NS6detail15normal_iteratorINS9_10device_ptrIiEEEENSB_INSC_IjEEEENSB_INSC_IfEEEEjNS9_4plusIvEENS9_8equal_toIvEEjEE10hipError_tPvRmT2_T3_T4_T5_mT6_T7_P12ihipStream_tbENKUlT_T0_E_clISt17integral_constantIbLb0EES13_EEDaSY_SZ_EUlSY_E_NS1_11comp_targetILNS1_3genE2ELNS1_11target_archE906ELNS1_3gpuE6ELNS1_3repE0EEENS1_30default_config_static_selectorELNS0_4arch9wavefront6targetE0EEEvT1_.num_vgpr, 0
	.set _ZN7rocprim17ROCPRIM_400000_NS6detail17trampoline_kernelINS0_14default_configENS1_27scan_by_key_config_selectorIijEEZZNS1_16scan_by_key_implILNS1_25lookback_scan_determinismE0ELb0ES3_N6thrust23THRUST_200600_302600_NS6detail15normal_iteratorINS9_10device_ptrIiEEEENSB_INSC_IjEEEENSB_INSC_IfEEEEjNS9_4plusIvEENS9_8equal_toIvEEjEE10hipError_tPvRmT2_T3_T4_T5_mT6_T7_P12ihipStream_tbENKUlT_T0_E_clISt17integral_constantIbLb0EES13_EEDaSY_SZ_EUlSY_E_NS1_11comp_targetILNS1_3genE2ELNS1_11target_archE906ELNS1_3gpuE6ELNS1_3repE0EEENS1_30default_config_static_selectorELNS0_4arch9wavefront6targetE0EEEvT1_.num_agpr, 0
	.set _ZN7rocprim17ROCPRIM_400000_NS6detail17trampoline_kernelINS0_14default_configENS1_27scan_by_key_config_selectorIijEEZZNS1_16scan_by_key_implILNS1_25lookback_scan_determinismE0ELb0ES3_N6thrust23THRUST_200600_302600_NS6detail15normal_iteratorINS9_10device_ptrIiEEEENSB_INSC_IjEEEENSB_INSC_IfEEEEjNS9_4plusIvEENS9_8equal_toIvEEjEE10hipError_tPvRmT2_T3_T4_T5_mT6_T7_P12ihipStream_tbENKUlT_T0_E_clISt17integral_constantIbLb0EES13_EEDaSY_SZ_EUlSY_E_NS1_11comp_targetILNS1_3genE2ELNS1_11target_archE906ELNS1_3gpuE6ELNS1_3repE0EEENS1_30default_config_static_selectorELNS0_4arch9wavefront6targetE0EEEvT1_.numbered_sgpr, 0
	.set _ZN7rocprim17ROCPRIM_400000_NS6detail17trampoline_kernelINS0_14default_configENS1_27scan_by_key_config_selectorIijEEZZNS1_16scan_by_key_implILNS1_25lookback_scan_determinismE0ELb0ES3_N6thrust23THRUST_200600_302600_NS6detail15normal_iteratorINS9_10device_ptrIiEEEENSB_INSC_IjEEEENSB_INSC_IfEEEEjNS9_4plusIvEENS9_8equal_toIvEEjEE10hipError_tPvRmT2_T3_T4_T5_mT6_T7_P12ihipStream_tbENKUlT_T0_E_clISt17integral_constantIbLb0EES13_EEDaSY_SZ_EUlSY_E_NS1_11comp_targetILNS1_3genE2ELNS1_11target_archE906ELNS1_3gpuE6ELNS1_3repE0EEENS1_30default_config_static_selectorELNS0_4arch9wavefront6targetE0EEEvT1_.num_named_barrier, 0
	.set _ZN7rocprim17ROCPRIM_400000_NS6detail17trampoline_kernelINS0_14default_configENS1_27scan_by_key_config_selectorIijEEZZNS1_16scan_by_key_implILNS1_25lookback_scan_determinismE0ELb0ES3_N6thrust23THRUST_200600_302600_NS6detail15normal_iteratorINS9_10device_ptrIiEEEENSB_INSC_IjEEEENSB_INSC_IfEEEEjNS9_4plusIvEENS9_8equal_toIvEEjEE10hipError_tPvRmT2_T3_T4_T5_mT6_T7_P12ihipStream_tbENKUlT_T0_E_clISt17integral_constantIbLb0EES13_EEDaSY_SZ_EUlSY_E_NS1_11comp_targetILNS1_3genE2ELNS1_11target_archE906ELNS1_3gpuE6ELNS1_3repE0EEENS1_30default_config_static_selectorELNS0_4arch9wavefront6targetE0EEEvT1_.private_seg_size, 0
	.set _ZN7rocprim17ROCPRIM_400000_NS6detail17trampoline_kernelINS0_14default_configENS1_27scan_by_key_config_selectorIijEEZZNS1_16scan_by_key_implILNS1_25lookback_scan_determinismE0ELb0ES3_N6thrust23THRUST_200600_302600_NS6detail15normal_iteratorINS9_10device_ptrIiEEEENSB_INSC_IjEEEENSB_INSC_IfEEEEjNS9_4plusIvEENS9_8equal_toIvEEjEE10hipError_tPvRmT2_T3_T4_T5_mT6_T7_P12ihipStream_tbENKUlT_T0_E_clISt17integral_constantIbLb0EES13_EEDaSY_SZ_EUlSY_E_NS1_11comp_targetILNS1_3genE2ELNS1_11target_archE906ELNS1_3gpuE6ELNS1_3repE0EEENS1_30default_config_static_selectorELNS0_4arch9wavefront6targetE0EEEvT1_.uses_vcc, 0
	.set _ZN7rocprim17ROCPRIM_400000_NS6detail17trampoline_kernelINS0_14default_configENS1_27scan_by_key_config_selectorIijEEZZNS1_16scan_by_key_implILNS1_25lookback_scan_determinismE0ELb0ES3_N6thrust23THRUST_200600_302600_NS6detail15normal_iteratorINS9_10device_ptrIiEEEENSB_INSC_IjEEEENSB_INSC_IfEEEEjNS9_4plusIvEENS9_8equal_toIvEEjEE10hipError_tPvRmT2_T3_T4_T5_mT6_T7_P12ihipStream_tbENKUlT_T0_E_clISt17integral_constantIbLb0EES13_EEDaSY_SZ_EUlSY_E_NS1_11comp_targetILNS1_3genE2ELNS1_11target_archE906ELNS1_3gpuE6ELNS1_3repE0EEENS1_30default_config_static_selectorELNS0_4arch9wavefront6targetE0EEEvT1_.uses_flat_scratch, 0
	.set _ZN7rocprim17ROCPRIM_400000_NS6detail17trampoline_kernelINS0_14default_configENS1_27scan_by_key_config_selectorIijEEZZNS1_16scan_by_key_implILNS1_25lookback_scan_determinismE0ELb0ES3_N6thrust23THRUST_200600_302600_NS6detail15normal_iteratorINS9_10device_ptrIiEEEENSB_INSC_IjEEEENSB_INSC_IfEEEEjNS9_4plusIvEENS9_8equal_toIvEEjEE10hipError_tPvRmT2_T3_T4_T5_mT6_T7_P12ihipStream_tbENKUlT_T0_E_clISt17integral_constantIbLb0EES13_EEDaSY_SZ_EUlSY_E_NS1_11comp_targetILNS1_3genE2ELNS1_11target_archE906ELNS1_3gpuE6ELNS1_3repE0EEENS1_30default_config_static_selectorELNS0_4arch9wavefront6targetE0EEEvT1_.has_dyn_sized_stack, 0
	.set _ZN7rocprim17ROCPRIM_400000_NS6detail17trampoline_kernelINS0_14default_configENS1_27scan_by_key_config_selectorIijEEZZNS1_16scan_by_key_implILNS1_25lookback_scan_determinismE0ELb0ES3_N6thrust23THRUST_200600_302600_NS6detail15normal_iteratorINS9_10device_ptrIiEEEENSB_INSC_IjEEEENSB_INSC_IfEEEEjNS9_4plusIvEENS9_8equal_toIvEEjEE10hipError_tPvRmT2_T3_T4_T5_mT6_T7_P12ihipStream_tbENKUlT_T0_E_clISt17integral_constantIbLb0EES13_EEDaSY_SZ_EUlSY_E_NS1_11comp_targetILNS1_3genE2ELNS1_11target_archE906ELNS1_3gpuE6ELNS1_3repE0EEENS1_30default_config_static_selectorELNS0_4arch9wavefront6targetE0EEEvT1_.has_recursion, 0
	.set _ZN7rocprim17ROCPRIM_400000_NS6detail17trampoline_kernelINS0_14default_configENS1_27scan_by_key_config_selectorIijEEZZNS1_16scan_by_key_implILNS1_25lookback_scan_determinismE0ELb0ES3_N6thrust23THRUST_200600_302600_NS6detail15normal_iteratorINS9_10device_ptrIiEEEENSB_INSC_IjEEEENSB_INSC_IfEEEEjNS9_4plusIvEENS9_8equal_toIvEEjEE10hipError_tPvRmT2_T3_T4_T5_mT6_T7_P12ihipStream_tbENKUlT_T0_E_clISt17integral_constantIbLb0EES13_EEDaSY_SZ_EUlSY_E_NS1_11comp_targetILNS1_3genE2ELNS1_11target_archE906ELNS1_3gpuE6ELNS1_3repE0EEENS1_30default_config_static_selectorELNS0_4arch9wavefront6targetE0EEEvT1_.has_indirect_call, 0
	.section	.AMDGPU.csdata,"",@progbits
; Kernel info:
; codeLenInByte = 0
; TotalNumSgprs: 0
; NumVgprs: 0
; ScratchSize: 0
; MemoryBound: 0
; FloatMode: 240
; IeeeMode: 1
; LDSByteSize: 0 bytes/workgroup (compile time only)
; SGPRBlocks: 0
; VGPRBlocks: 0
; NumSGPRsForWavesPerEU: 1
; NumVGPRsForWavesPerEU: 1
; NamedBarCnt: 0
; Occupancy: 16
; WaveLimiterHint : 0
; COMPUTE_PGM_RSRC2:SCRATCH_EN: 0
; COMPUTE_PGM_RSRC2:USER_SGPR: 2
; COMPUTE_PGM_RSRC2:TRAP_HANDLER: 0
; COMPUTE_PGM_RSRC2:TGID_X_EN: 1
; COMPUTE_PGM_RSRC2:TGID_Y_EN: 0
; COMPUTE_PGM_RSRC2:TGID_Z_EN: 0
; COMPUTE_PGM_RSRC2:TIDIG_COMP_CNT: 0
	.section	.text._ZN7rocprim17ROCPRIM_400000_NS6detail17trampoline_kernelINS0_14default_configENS1_27scan_by_key_config_selectorIijEEZZNS1_16scan_by_key_implILNS1_25lookback_scan_determinismE0ELb0ES3_N6thrust23THRUST_200600_302600_NS6detail15normal_iteratorINS9_10device_ptrIiEEEENSB_INSC_IjEEEENSB_INSC_IfEEEEjNS9_4plusIvEENS9_8equal_toIvEEjEE10hipError_tPvRmT2_T3_T4_T5_mT6_T7_P12ihipStream_tbENKUlT_T0_E_clISt17integral_constantIbLb0EES13_EEDaSY_SZ_EUlSY_E_NS1_11comp_targetILNS1_3genE10ELNS1_11target_archE1200ELNS1_3gpuE4ELNS1_3repE0EEENS1_30default_config_static_selectorELNS0_4arch9wavefront6targetE0EEEvT1_,"axG",@progbits,_ZN7rocprim17ROCPRIM_400000_NS6detail17trampoline_kernelINS0_14default_configENS1_27scan_by_key_config_selectorIijEEZZNS1_16scan_by_key_implILNS1_25lookback_scan_determinismE0ELb0ES3_N6thrust23THRUST_200600_302600_NS6detail15normal_iteratorINS9_10device_ptrIiEEEENSB_INSC_IjEEEENSB_INSC_IfEEEEjNS9_4plusIvEENS9_8equal_toIvEEjEE10hipError_tPvRmT2_T3_T4_T5_mT6_T7_P12ihipStream_tbENKUlT_T0_E_clISt17integral_constantIbLb0EES13_EEDaSY_SZ_EUlSY_E_NS1_11comp_targetILNS1_3genE10ELNS1_11target_archE1200ELNS1_3gpuE4ELNS1_3repE0EEENS1_30default_config_static_selectorELNS0_4arch9wavefront6targetE0EEEvT1_,comdat
	.protected	_ZN7rocprim17ROCPRIM_400000_NS6detail17trampoline_kernelINS0_14default_configENS1_27scan_by_key_config_selectorIijEEZZNS1_16scan_by_key_implILNS1_25lookback_scan_determinismE0ELb0ES3_N6thrust23THRUST_200600_302600_NS6detail15normal_iteratorINS9_10device_ptrIiEEEENSB_INSC_IjEEEENSB_INSC_IfEEEEjNS9_4plusIvEENS9_8equal_toIvEEjEE10hipError_tPvRmT2_T3_T4_T5_mT6_T7_P12ihipStream_tbENKUlT_T0_E_clISt17integral_constantIbLb0EES13_EEDaSY_SZ_EUlSY_E_NS1_11comp_targetILNS1_3genE10ELNS1_11target_archE1200ELNS1_3gpuE4ELNS1_3repE0EEENS1_30default_config_static_selectorELNS0_4arch9wavefront6targetE0EEEvT1_ ; -- Begin function _ZN7rocprim17ROCPRIM_400000_NS6detail17trampoline_kernelINS0_14default_configENS1_27scan_by_key_config_selectorIijEEZZNS1_16scan_by_key_implILNS1_25lookback_scan_determinismE0ELb0ES3_N6thrust23THRUST_200600_302600_NS6detail15normal_iteratorINS9_10device_ptrIiEEEENSB_INSC_IjEEEENSB_INSC_IfEEEEjNS9_4plusIvEENS9_8equal_toIvEEjEE10hipError_tPvRmT2_T3_T4_T5_mT6_T7_P12ihipStream_tbENKUlT_T0_E_clISt17integral_constantIbLb0EES13_EEDaSY_SZ_EUlSY_E_NS1_11comp_targetILNS1_3genE10ELNS1_11target_archE1200ELNS1_3gpuE4ELNS1_3repE0EEENS1_30default_config_static_selectorELNS0_4arch9wavefront6targetE0EEEvT1_
	.globl	_ZN7rocprim17ROCPRIM_400000_NS6detail17trampoline_kernelINS0_14default_configENS1_27scan_by_key_config_selectorIijEEZZNS1_16scan_by_key_implILNS1_25lookback_scan_determinismE0ELb0ES3_N6thrust23THRUST_200600_302600_NS6detail15normal_iteratorINS9_10device_ptrIiEEEENSB_INSC_IjEEEENSB_INSC_IfEEEEjNS9_4plusIvEENS9_8equal_toIvEEjEE10hipError_tPvRmT2_T3_T4_T5_mT6_T7_P12ihipStream_tbENKUlT_T0_E_clISt17integral_constantIbLb0EES13_EEDaSY_SZ_EUlSY_E_NS1_11comp_targetILNS1_3genE10ELNS1_11target_archE1200ELNS1_3gpuE4ELNS1_3repE0EEENS1_30default_config_static_selectorELNS0_4arch9wavefront6targetE0EEEvT1_
	.p2align	8
	.type	_ZN7rocprim17ROCPRIM_400000_NS6detail17trampoline_kernelINS0_14default_configENS1_27scan_by_key_config_selectorIijEEZZNS1_16scan_by_key_implILNS1_25lookback_scan_determinismE0ELb0ES3_N6thrust23THRUST_200600_302600_NS6detail15normal_iteratorINS9_10device_ptrIiEEEENSB_INSC_IjEEEENSB_INSC_IfEEEEjNS9_4plusIvEENS9_8equal_toIvEEjEE10hipError_tPvRmT2_T3_T4_T5_mT6_T7_P12ihipStream_tbENKUlT_T0_E_clISt17integral_constantIbLb0EES13_EEDaSY_SZ_EUlSY_E_NS1_11comp_targetILNS1_3genE10ELNS1_11target_archE1200ELNS1_3gpuE4ELNS1_3repE0EEENS1_30default_config_static_selectorELNS0_4arch9wavefront6targetE0EEEvT1_,@function
_ZN7rocprim17ROCPRIM_400000_NS6detail17trampoline_kernelINS0_14default_configENS1_27scan_by_key_config_selectorIijEEZZNS1_16scan_by_key_implILNS1_25lookback_scan_determinismE0ELb0ES3_N6thrust23THRUST_200600_302600_NS6detail15normal_iteratorINS9_10device_ptrIiEEEENSB_INSC_IjEEEENSB_INSC_IfEEEEjNS9_4plusIvEENS9_8equal_toIvEEjEE10hipError_tPvRmT2_T3_T4_T5_mT6_T7_P12ihipStream_tbENKUlT_T0_E_clISt17integral_constantIbLb0EES13_EEDaSY_SZ_EUlSY_E_NS1_11comp_targetILNS1_3genE10ELNS1_11target_archE1200ELNS1_3gpuE4ELNS1_3repE0EEENS1_30default_config_static_selectorELNS0_4arch9wavefront6targetE0EEEvT1_: ; @_ZN7rocprim17ROCPRIM_400000_NS6detail17trampoline_kernelINS0_14default_configENS1_27scan_by_key_config_selectorIijEEZZNS1_16scan_by_key_implILNS1_25lookback_scan_determinismE0ELb0ES3_N6thrust23THRUST_200600_302600_NS6detail15normal_iteratorINS9_10device_ptrIiEEEENSB_INSC_IjEEEENSB_INSC_IfEEEEjNS9_4plusIvEENS9_8equal_toIvEEjEE10hipError_tPvRmT2_T3_T4_T5_mT6_T7_P12ihipStream_tbENKUlT_T0_E_clISt17integral_constantIbLb0EES13_EEDaSY_SZ_EUlSY_E_NS1_11comp_targetILNS1_3genE10ELNS1_11target_archE1200ELNS1_3gpuE4ELNS1_3repE0EEENS1_30default_config_static_selectorELNS0_4arch9wavefront6targetE0EEEvT1_
; %bb.0:
	.section	.rodata,"a",@progbits
	.p2align	6, 0x0
	.amdhsa_kernel _ZN7rocprim17ROCPRIM_400000_NS6detail17trampoline_kernelINS0_14default_configENS1_27scan_by_key_config_selectorIijEEZZNS1_16scan_by_key_implILNS1_25lookback_scan_determinismE0ELb0ES3_N6thrust23THRUST_200600_302600_NS6detail15normal_iteratorINS9_10device_ptrIiEEEENSB_INSC_IjEEEENSB_INSC_IfEEEEjNS9_4plusIvEENS9_8equal_toIvEEjEE10hipError_tPvRmT2_T3_T4_T5_mT6_T7_P12ihipStream_tbENKUlT_T0_E_clISt17integral_constantIbLb0EES13_EEDaSY_SZ_EUlSY_E_NS1_11comp_targetILNS1_3genE10ELNS1_11target_archE1200ELNS1_3gpuE4ELNS1_3repE0EEENS1_30default_config_static_selectorELNS0_4arch9wavefront6targetE0EEEvT1_
		.amdhsa_group_segment_fixed_size 0
		.amdhsa_private_segment_fixed_size 0
		.amdhsa_kernarg_size 112
		.amdhsa_user_sgpr_count 2
		.amdhsa_user_sgpr_dispatch_ptr 0
		.amdhsa_user_sgpr_queue_ptr 0
		.amdhsa_user_sgpr_kernarg_segment_ptr 1
		.amdhsa_user_sgpr_dispatch_id 0
		.amdhsa_user_sgpr_kernarg_preload_length 0
		.amdhsa_user_sgpr_kernarg_preload_offset 0
		.amdhsa_user_sgpr_private_segment_size 0
		.amdhsa_wavefront_size32 1
		.amdhsa_uses_dynamic_stack 0
		.amdhsa_enable_private_segment 0
		.amdhsa_system_sgpr_workgroup_id_x 1
		.amdhsa_system_sgpr_workgroup_id_y 0
		.amdhsa_system_sgpr_workgroup_id_z 0
		.amdhsa_system_sgpr_workgroup_info 0
		.amdhsa_system_vgpr_workitem_id 0
		.amdhsa_next_free_vgpr 1
		.amdhsa_next_free_sgpr 1
		.amdhsa_named_barrier_count 0
		.amdhsa_reserve_vcc 0
		.amdhsa_float_round_mode_32 0
		.amdhsa_float_round_mode_16_64 0
		.amdhsa_float_denorm_mode_32 3
		.amdhsa_float_denorm_mode_16_64 3
		.amdhsa_fp16_overflow 0
		.amdhsa_memory_ordered 1
		.amdhsa_forward_progress 1
		.amdhsa_inst_pref_size 0
		.amdhsa_round_robin_scheduling 0
		.amdhsa_exception_fp_ieee_invalid_op 0
		.amdhsa_exception_fp_denorm_src 0
		.amdhsa_exception_fp_ieee_div_zero 0
		.amdhsa_exception_fp_ieee_overflow 0
		.amdhsa_exception_fp_ieee_underflow 0
		.amdhsa_exception_fp_ieee_inexact 0
		.amdhsa_exception_int_div_zero 0
	.end_amdhsa_kernel
	.section	.text._ZN7rocprim17ROCPRIM_400000_NS6detail17trampoline_kernelINS0_14default_configENS1_27scan_by_key_config_selectorIijEEZZNS1_16scan_by_key_implILNS1_25lookback_scan_determinismE0ELb0ES3_N6thrust23THRUST_200600_302600_NS6detail15normal_iteratorINS9_10device_ptrIiEEEENSB_INSC_IjEEEENSB_INSC_IfEEEEjNS9_4plusIvEENS9_8equal_toIvEEjEE10hipError_tPvRmT2_T3_T4_T5_mT6_T7_P12ihipStream_tbENKUlT_T0_E_clISt17integral_constantIbLb0EES13_EEDaSY_SZ_EUlSY_E_NS1_11comp_targetILNS1_3genE10ELNS1_11target_archE1200ELNS1_3gpuE4ELNS1_3repE0EEENS1_30default_config_static_selectorELNS0_4arch9wavefront6targetE0EEEvT1_,"axG",@progbits,_ZN7rocprim17ROCPRIM_400000_NS6detail17trampoline_kernelINS0_14default_configENS1_27scan_by_key_config_selectorIijEEZZNS1_16scan_by_key_implILNS1_25lookback_scan_determinismE0ELb0ES3_N6thrust23THRUST_200600_302600_NS6detail15normal_iteratorINS9_10device_ptrIiEEEENSB_INSC_IjEEEENSB_INSC_IfEEEEjNS9_4plusIvEENS9_8equal_toIvEEjEE10hipError_tPvRmT2_T3_T4_T5_mT6_T7_P12ihipStream_tbENKUlT_T0_E_clISt17integral_constantIbLb0EES13_EEDaSY_SZ_EUlSY_E_NS1_11comp_targetILNS1_3genE10ELNS1_11target_archE1200ELNS1_3gpuE4ELNS1_3repE0EEENS1_30default_config_static_selectorELNS0_4arch9wavefront6targetE0EEEvT1_,comdat
.Lfunc_end1650:
	.size	_ZN7rocprim17ROCPRIM_400000_NS6detail17trampoline_kernelINS0_14default_configENS1_27scan_by_key_config_selectorIijEEZZNS1_16scan_by_key_implILNS1_25lookback_scan_determinismE0ELb0ES3_N6thrust23THRUST_200600_302600_NS6detail15normal_iteratorINS9_10device_ptrIiEEEENSB_INSC_IjEEEENSB_INSC_IfEEEEjNS9_4plusIvEENS9_8equal_toIvEEjEE10hipError_tPvRmT2_T3_T4_T5_mT6_T7_P12ihipStream_tbENKUlT_T0_E_clISt17integral_constantIbLb0EES13_EEDaSY_SZ_EUlSY_E_NS1_11comp_targetILNS1_3genE10ELNS1_11target_archE1200ELNS1_3gpuE4ELNS1_3repE0EEENS1_30default_config_static_selectorELNS0_4arch9wavefront6targetE0EEEvT1_, .Lfunc_end1650-_ZN7rocprim17ROCPRIM_400000_NS6detail17trampoline_kernelINS0_14default_configENS1_27scan_by_key_config_selectorIijEEZZNS1_16scan_by_key_implILNS1_25lookback_scan_determinismE0ELb0ES3_N6thrust23THRUST_200600_302600_NS6detail15normal_iteratorINS9_10device_ptrIiEEEENSB_INSC_IjEEEENSB_INSC_IfEEEEjNS9_4plusIvEENS9_8equal_toIvEEjEE10hipError_tPvRmT2_T3_T4_T5_mT6_T7_P12ihipStream_tbENKUlT_T0_E_clISt17integral_constantIbLb0EES13_EEDaSY_SZ_EUlSY_E_NS1_11comp_targetILNS1_3genE10ELNS1_11target_archE1200ELNS1_3gpuE4ELNS1_3repE0EEENS1_30default_config_static_selectorELNS0_4arch9wavefront6targetE0EEEvT1_
                                        ; -- End function
	.set _ZN7rocprim17ROCPRIM_400000_NS6detail17trampoline_kernelINS0_14default_configENS1_27scan_by_key_config_selectorIijEEZZNS1_16scan_by_key_implILNS1_25lookback_scan_determinismE0ELb0ES3_N6thrust23THRUST_200600_302600_NS6detail15normal_iteratorINS9_10device_ptrIiEEEENSB_INSC_IjEEEENSB_INSC_IfEEEEjNS9_4plusIvEENS9_8equal_toIvEEjEE10hipError_tPvRmT2_T3_T4_T5_mT6_T7_P12ihipStream_tbENKUlT_T0_E_clISt17integral_constantIbLb0EES13_EEDaSY_SZ_EUlSY_E_NS1_11comp_targetILNS1_3genE10ELNS1_11target_archE1200ELNS1_3gpuE4ELNS1_3repE0EEENS1_30default_config_static_selectorELNS0_4arch9wavefront6targetE0EEEvT1_.num_vgpr, 0
	.set _ZN7rocprim17ROCPRIM_400000_NS6detail17trampoline_kernelINS0_14default_configENS1_27scan_by_key_config_selectorIijEEZZNS1_16scan_by_key_implILNS1_25lookback_scan_determinismE0ELb0ES3_N6thrust23THRUST_200600_302600_NS6detail15normal_iteratorINS9_10device_ptrIiEEEENSB_INSC_IjEEEENSB_INSC_IfEEEEjNS9_4plusIvEENS9_8equal_toIvEEjEE10hipError_tPvRmT2_T3_T4_T5_mT6_T7_P12ihipStream_tbENKUlT_T0_E_clISt17integral_constantIbLb0EES13_EEDaSY_SZ_EUlSY_E_NS1_11comp_targetILNS1_3genE10ELNS1_11target_archE1200ELNS1_3gpuE4ELNS1_3repE0EEENS1_30default_config_static_selectorELNS0_4arch9wavefront6targetE0EEEvT1_.num_agpr, 0
	.set _ZN7rocprim17ROCPRIM_400000_NS6detail17trampoline_kernelINS0_14default_configENS1_27scan_by_key_config_selectorIijEEZZNS1_16scan_by_key_implILNS1_25lookback_scan_determinismE0ELb0ES3_N6thrust23THRUST_200600_302600_NS6detail15normal_iteratorINS9_10device_ptrIiEEEENSB_INSC_IjEEEENSB_INSC_IfEEEEjNS9_4plusIvEENS9_8equal_toIvEEjEE10hipError_tPvRmT2_T3_T4_T5_mT6_T7_P12ihipStream_tbENKUlT_T0_E_clISt17integral_constantIbLb0EES13_EEDaSY_SZ_EUlSY_E_NS1_11comp_targetILNS1_3genE10ELNS1_11target_archE1200ELNS1_3gpuE4ELNS1_3repE0EEENS1_30default_config_static_selectorELNS0_4arch9wavefront6targetE0EEEvT1_.numbered_sgpr, 0
	.set _ZN7rocprim17ROCPRIM_400000_NS6detail17trampoline_kernelINS0_14default_configENS1_27scan_by_key_config_selectorIijEEZZNS1_16scan_by_key_implILNS1_25lookback_scan_determinismE0ELb0ES3_N6thrust23THRUST_200600_302600_NS6detail15normal_iteratorINS9_10device_ptrIiEEEENSB_INSC_IjEEEENSB_INSC_IfEEEEjNS9_4plusIvEENS9_8equal_toIvEEjEE10hipError_tPvRmT2_T3_T4_T5_mT6_T7_P12ihipStream_tbENKUlT_T0_E_clISt17integral_constantIbLb0EES13_EEDaSY_SZ_EUlSY_E_NS1_11comp_targetILNS1_3genE10ELNS1_11target_archE1200ELNS1_3gpuE4ELNS1_3repE0EEENS1_30default_config_static_selectorELNS0_4arch9wavefront6targetE0EEEvT1_.num_named_barrier, 0
	.set _ZN7rocprim17ROCPRIM_400000_NS6detail17trampoline_kernelINS0_14default_configENS1_27scan_by_key_config_selectorIijEEZZNS1_16scan_by_key_implILNS1_25lookback_scan_determinismE0ELb0ES3_N6thrust23THRUST_200600_302600_NS6detail15normal_iteratorINS9_10device_ptrIiEEEENSB_INSC_IjEEEENSB_INSC_IfEEEEjNS9_4plusIvEENS9_8equal_toIvEEjEE10hipError_tPvRmT2_T3_T4_T5_mT6_T7_P12ihipStream_tbENKUlT_T0_E_clISt17integral_constantIbLb0EES13_EEDaSY_SZ_EUlSY_E_NS1_11comp_targetILNS1_3genE10ELNS1_11target_archE1200ELNS1_3gpuE4ELNS1_3repE0EEENS1_30default_config_static_selectorELNS0_4arch9wavefront6targetE0EEEvT1_.private_seg_size, 0
	.set _ZN7rocprim17ROCPRIM_400000_NS6detail17trampoline_kernelINS0_14default_configENS1_27scan_by_key_config_selectorIijEEZZNS1_16scan_by_key_implILNS1_25lookback_scan_determinismE0ELb0ES3_N6thrust23THRUST_200600_302600_NS6detail15normal_iteratorINS9_10device_ptrIiEEEENSB_INSC_IjEEEENSB_INSC_IfEEEEjNS9_4plusIvEENS9_8equal_toIvEEjEE10hipError_tPvRmT2_T3_T4_T5_mT6_T7_P12ihipStream_tbENKUlT_T0_E_clISt17integral_constantIbLb0EES13_EEDaSY_SZ_EUlSY_E_NS1_11comp_targetILNS1_3genE10ELNS1_11target_archE1200ELNS1_3gpuE4ELNS1_3repE0EEENS1_30default_config_static_selectorELNS0_4arch9wavefront6targetE0EEEvT1_.uses_vcc, 0
	.set _ZN7rocprim17ROCPRIM_400000_NS6detail17trampoline_kernelINS0_14default_configENS1_27scan_by_key_config_selectorIijEEZZNS1_16scan_by_key_implILNS1_25lookback_scan_determinismE0ELb0ES3_N6thrust23THRUST_200600_302600_NS6detail15normal_iteratorINS9_10device_ptrIiEEEENSB_INSC_IjEEEENSB_INSC_IfEEEEjNS9_4plusIvEENS9_8equal_toIvEEjEE10hipError_tPvRmT2_T3_T4_T5_mT6_T7_P12ihipStream_tbENKUlT_T0_E_clISt17integral_constantIbLb0EES13_EEDaSY_SZ_EUlSY_E_NS1_11comp_targetILNS1_3genE10ELNS1_11target_archE1200ELNS1_3gpuE4ELNS1_3repE0EEENS1_30default_config_static_selectorELNS0_4arch9wavefront6targetE0EEEvT1_.uses_flat_scratch, 0
	.set _ZN7rocprim17ROCPRIM_400000_NS6detail17trampoline_kernelINS0_14default_configENS1_27scan_by_key_config_selectorIijEEZZNS1_16scan_by_key_implILNS1_25lookback_scan_determinismE0ELb0ES3_N6thrust23THRUST_200600_302600_NS6detail15normal_iteratorINS9_10device_ptrIiEEEENSB_INSC_IjEEEENSB_INSC_IfEEEEjNS9_4plusIvEENS9_8equal_toIvEEjEE10hipError_tPvRmT2_T3_T4_T5_mT6_T7_P12ihipStream_tbENKUlT_T0_E_clISt17integral_constantIbLb0EES13_EEDaSY_SZ_EUlSY_E_NS1_11comp_targetILNS1_3genE10ELNS1_11target_archE1200ELNS1_3gpuE4ELNS1_3repE0EEENS1_30default_config_static_selectorELNS0_4arch9wavefront6targetE0EEEvT1_.has_dyn_sized_stack, 0
	.set _ZN7rocprim17ROCPRIM_400000_NS6detail17trampoline_kernelINS0_14default_configENS1_27scan_by_key_config_selectorIijEEZZNS1_16scan_by_key_implILNS1_25lookback_scan_determinismE0ELb0ES3_N6thrust23THRUST_200600_302600_NS6detail15normal_iteratorINS9_10device_ptrIiEEEENSB_INSC_IjEEEENSB_INSC_IfEEEEjNS9_4plusIvEENS9_8equal_toIvEEjEE10hipError_tPvRmT2_T3_T4_T5_mT6_T7_P12ihipStream_tbENKUlT_T0_E_clISt17integral_constantIbLb0EES13_EEDaSY_SZ_EUlSY_E_NS1_11comp_targetILNS1_3genE10ELNS1_11target_archE1200ELNS1_3gpuE4ELNS1_3repE0EEENS1_30default_config_static_selectorELNS0_4arch9wavefront6targetE0EEEvT1_.has_recursion, 0
	.set _ZN7rocprim17ROCPRIM_400000_NS6detail17trampoline_kernelINS0_14default_configENS1_27scan_by_key_config_selectorIijEEZZNS1_16scan_by_key_implILNS1_25lookback_scan_determinismE0ELb0ES3_N6thrust23THRUST_200600_302600_NS6detail15normal_iteratorINS9_10device_ptrIiEEEENSB_INSC_IjEEEENSB_INSC_IfEEEEjNS9_4plusIvEENS9_8equal_toIvEEjEE10hipError_tPvRmT2_T3_T4_T5_mT6_T7_P12ihipStream_tbENKUlT_T0_E_clISt17integral_constantIbLb0EES13_EEDaSY_SZ_EUlSY_E_NS1_11comp_targetILNS1_3genE10ELNS1_11target_archE1200ELNS1_3gpuE4ELNS1_3repE0EEENS1_30default_config_static_selectorELNS0_4arch9wavefront6targetE0EEEvT1_.has_indirect_call, 0
	.section	.AMDGPU.csdata,"",@progbits
; Kernel info:
; codeLenInByte = 0
; TotalNumSgprs: 0
; NumVgprs: 0
; ScratchSize: 0
; MemoryBound: 0
; FloatMode: 240
; IeeeMode: 1
; LDSByteSize: 0 bytes/workgroup (compile time only)
; SGPRBlocks: 0
; VGPRBlocks: 0
; NumSGPRsForWavesPerEU: 1
; NumVGPRsForWavesPerEU: 1
; NamedBarCnt: 0
; Occupancy: 16
; WaveLimiterHint : 0
; COMPUTE_PGM_RSRC2:SCRATCH_EN: 0
; COMPUTE_PGM_RSRC2:USER_SGPR: 2
; COMPUTE_PGM_RSRC2:TRAP_HANDLER: 0
; COMPUTE_PGM_RSRC2:TGID_X_EN: 1
; COMPUTE_PGM_RSRC2:TGID_Y_EN: 0
; COMPUTE_PGM_RSRC2:TGID_Z_EN: 0
; COMPUTE_PGM_RSRC2:TIDIG_COMP_CNT: 0
	.section	.text._ZN7rocprim17ROCPRIM_400000_NS6detail17trampoline_kernelINS0_14default_configENS1_27scan_by_key_config_selectorIijEEZZNS1_16scan_by_key_implILNS1_25lookback_scan_determinismE0ELb0ES3_N6thrust23THRUST_200600_302600_NS6detail15normal_iteratorINS9_10device_ptrIiEEEENSB_INSC_IjEEEENSB_INSC_IfEEEEjNS9_4plusIvEENS9_8equal_toIvEEjEE10hipError_tPvRmT2_T3_T4_T5_mT6_T7_P12ihipStream_tbENKUlT_T0_E_clISt17integral_constantIbLb0EES13_EEDaSY_SZ_EUlSY_E_NS1_11comp_targetILNS1_3genE9ELNS1_11target_archE1100ELNS1_3gpuE3ELNS1_3repE0EEENS1_30default_config_static_selectorELNS0_4arch9wavefront6targetE0EEEvT1_,"axG",@progbits,_ZN7rocprim17ROCPRIM_400000_NS6detail17trampoline_kernelINS0_14default_configENS1_27scan_by_key_config_selectorIijEEZZNS1_16scan_by_key_implILNS1_25lookback_scan_determinismE0ELb0ES3_N6thrust23THRUST_200600_302600_NS6detail15normal_iteratorINS9_10device_ptrIiEEEENSB_INSC_IjEEEENSB_INSC_IfEEEEjNS9_4plusIvEENS9_8equal_toIvEEjEE10hipError_tPvRmT2_T3_T4_T5_mT6_T7_P12ihipStream_tbENKUlT_T0_E_clISt17integral_constantIbLb0EES13_EEDaSY_SZ_EUlSY_E_NS1_11comp_targetILNS1_3genE9ELNS1_11target_archE1100ELNS1_3gpuE3ELNS1_3repE0EEENS1_30default_config_static_selectorELNS0_4arch9wavefront6targetE0EEEvT1_,comdat
	.protected	_ZN7rocprim17ROCPRIM_400000_NS6detail17trampoline_kernelINS0_14default_configENS1_27scan_by_key_config_selectorIijEEZZNS1_16scan_by_key_implILNS1_25lookback_scan_determinismE0ELb0ES3_N6thrust23THRUST_200600_302600_NS6detail15normal_iteratorINS9_10device_ptrIiEEEENSB_INSC_IjEEEENSB_INSC_IfEEEEjNS9_4plusIvEENS9_8equal_toIvEEjEE10hipError_tPvRmT2_T3_T4_T5_mT6_T7_P12ihipStream_tbENKUlT_T0_E_clISt17integral_constantIbLb0EES13_EEDaSY_SZ_EUlSY_E_NS1_11comp_targetILNS1_3genE9ELNS1_11target_archE1100ELNS1_3gpuE3ELNS1_3repE0EEENS1_30default_config_static_selectorELNS0_4arch9wavefront6targetE0EEEvT1_ ; -- Begin function _ZN7rocprim17ROCPRIM_400000_NS6detail17trampoline_kernelINS0_14default_configENS1_27scan_by_key_config_selectorIijEEZZNS1_16scan_by_key_implILNS1_25lookback_scan_determinismE0ELb0ES3_N6thrust23THRUST_200600_302600_NS6detail15normal_iteratorINS9_10device_ptrIiEEEENSB_INSC_IjEEEENSB_INSC_IfEEEEjNS9_4plusIvEENS9_8equal_toIvEEjEE10hipError_tPvRmT2_T3_T4_T5_mT6_T7_P12ihipStream_tbENKUlT_T0_E_clISt17integral_constantIbLb0EES13_EEDaSY_SZ_EUlSY_E_NS1_11comp_targetILNS1_3genE9ELNS1_11target_archE1100ELNS1_3gpuE3ELNS1_3repE0EEENS1_30default_config_static_selectorELNS0_4arch9wavefront6targetE0EEEvT1_
	.globl	_ZN7rocprim17ROCPRIM_400000_NS6detail17trampoline_kernelINS0_14default_configENS1_27scan_by_key_config_selectorIijEEZZNS1_16scan_by_key_implILNS1_25lookback_scan_determinismE0ELb0ES3_N6thrust23THRUST_200600_302600_NS6detail15normal_iteratorINS9_10device_ptrIiEEEENSB_INSC_IjEEEENSB_INSC_IfEEEEjNS9_4plusIvEENS9_8equal_toIvEEjEE10hipError_tPvRmT2_T3_T4_T5_mT6_T7_P12ihipStream_tbENKUlT_T0_E_clISt17integral_constantIbLb0EES13_EEDaSY_SZ_EUlSY_E_NS1_11comp_targetILNS1_3genE9ELNS1_11target_archE1100ELNS1_3gpuE3ELNS1_3repE0EEENS1_30default_config_static_selectorELNS0_4arch9wavefront6targetE0EEEvT1_
	.p2align	8
	.type	_ZN7rocprim17ROCPRIM_400000_NS6detail17trampoline_kernelINS0_14default_configENS1_27scan_by_key_config_selectorIijEEZZNS1_16scan_by_key_implILNS1_25lookback_scan_determinismE0ELb0ES3_N6thrust23THRUST_200600_302600_NS6detail15normal_iteratorINS9_10device_ptrIiEEEENSB_INSC_IjEEEENSB_INSC_IfEEEEjNS9_4plusIvEENS9_8equal_toIvEEjEE10hipError_tPvRmT2_T3_T4_T5_mT6_T7_P12ihipStream_tbENKUlT_T0_E_clISt17integral_constantIbLb0EES13_EEDaSY_SZ_EUlSY_E_NS1_11comp_targetILNS1_3genE9ELNS1_11target_archE1100ELNS1_3gpuE3ELNS1_3repE0EEENS1_30default_config_static_selectorELNS0_4arch9wavefront6targetE0EEEvT1_,@function
_ZN7rocprim17ROCPRIM_400000_NS6detail17trampoline_kernelINS0_14default_configENS1_27scan_by_key_config_selectorIijEEZZNS1_16scan_by_key_implILNS1_25lookback_scan_determinismE0ELb0ES3_N6thrust23THRUST_200600_302600_NS6detail15normal_iteratorINS9_10device_ptrIiEEEENSB_INSC_IjEEEENSB_INSC_IfEEEEjNS9_4plusIvEENS9_8equal_toIvEEjEE10hipError_tPvRmT2_T3_T4_T5_mT6_T7_P12ihipStream_tbENKUlT_T0_E_clISt17integral_constantIbLb0EES13_EEDaSY_SZ_EUlSY_E_NS1_11comp_targetILNS1_3genE9ELNS1_11target_archE1100ELNS1_3gpuE3ELNS1_3repE0EEENS1_30default_config_static_selectorELNS0_4arch9wavefront6targetE0EEEvT1_: ; @_ZN7rocprim17ROCPRIM_400000_NS6detail17trampoline_kernelINS0_14default_configENS1_27scan_by_key_config_selectorIijEEZZNS1_16scan_by_key_implILNS1_25lookback_scan_determinismE0ELb0ES3_N6thrust23THRUST_200600_302600_NS6detail15normal_iteratorINS9_10device_ptrIiEEEENSB_INSC_IjEEEENSB_INSC_IfEEEEjNS9_4plusIvEENS9_8equal_toIvEEjEE10hipError_tPvRmT2_T3_T4_T5_mT6_T7_P12ihipStream_tbENKUlT_T0_E_clISt17integral_constantIbLb0EES13_EEDaSY_SZ_EUlSY_E_NS1_11comp_targetILNS1_3genE9ELNS1_11target_archE1100ELNS1_3gpuE3ELNS1_3repE0EEENS1_30default_config_static_selectorELNS0_4arch9wavefront6targetE0EEEvT1_
; %bb.0:
	.section	.rodata,"a",@progbits
	.p2align	6, 0x0
	.amdhsa_kernel _ZN7rocprim17ROCPRIM_400000_NS6detail17trampoline_kernelINS0_14default_configENS1_27scan_by_key_config_selectorIijEEZZNS1_16scan_by_key_implILNS1_25lookback_scan_determinismE0ELb0ES3_N6thrust23THRUST_200600_302600_NS6detail15normal_iteratorINS9_10device_ptrIiEEEENSB_INSC_IjEEEENSB_INSC_IfEEEEjNS9_4plusIvEENS9_8equal_toIvEEjEE10hipError_tPvRmT2_T3_T4_T5_mT6_T7_P12ihipStream_tbENKUlT_T0_E_clISt17integral_constantIbLb0EES13_EEDaSY_SZ_EUlSY_E_NS1_11comp_targetILNS1_3genE9ELNS1_11target_archE1100ELNS1_3gpuE3ELNS1_3repE0EEENS1_30default_config_static_selectorELNS0_4arch9wavefront6targetE0EEEvT1_
		.amdhsa_group_segment_fixed_size 0
		.amdhsa_private_segment_fixed_size 0
		.amdhsa_kernarg_size 112
		.amdhsa_user_sgpr_count 2
		.amdhsa_user_sgpr_dispatch_ptr 0
		.amdhsa_user_sgpr_queue_ptr 0
		.amdhsa_user_sgpr_kernarg_segment_ptr 1
		.amdhsa_user_sgpr_dispatch_id 0
		.amdhsa_user_sgpr_kernarg_preload_length 0
		.amdhsa_user_sgpr_kernarg_preload_offset 0
		.amdhsa_user_sgpr_private_segment_size 0
		.amdhsa_wavefront_size32 1
		.amdhsa_uses_dynamic_stack 0
		.amdhsa_enable_private_segment 0
		.amdhsa_system_sgpr_workgroup_id_x 1
		.amdhsa_system_sgpr_workgroup_id_y 0
		.amdhsa_system_sgpr_workgroup_id_z 0
		.amdhsa_system_sgpr_workgroup_info 0
		.amdhsa_system_vgpr_workitem_id 0
		.amdhsa_next_free_vgpr 1
		.amdhsa_next_free_sgpr 1
		.amdhsa_named_barrier_count 0
		.amdhsa_reserve_vcc 0
		.amdhsa_float_round_mode_32 0
		.amdhsa_float_round_mode_16_64 0
		.amdhsa_float_denorm_mode_32 3
		.amdhsa_float_denorm_mode_16_64 3
		.amdhsa_fp16_overflow 0
		.amdhsa_memory_ordered 1
		.amdhsa_forward_progress 1
		.amdhsa_inst_pref_size 0
		.amdhsa_round_robin_scheduling 0
		.amdhsa_exception_fp_ieee_invalid_op 0
		.amdhsa_exception_fp_denorm_src 0
		.amdhsa_exception_fp_ieee_div_zero 0
		.amdhsa_exception_fp_ieee_overflow 0
		.amdhsa_exception_fp_ieee_underflow 0
		.amdhsa_exception_fp_ieee_inexact 0
		.amdhsa_exception_int_div_zero 0
	.end_amdhsa_kernel
	.section	.text._ZN7rocprim17ROCPRIM_400000_NS6detail17trampoline_kernelINS0_14default_configENS1_27scan_by_key_config_selectorIijEEZZNS1_16scan_by_key_implILNS1_25lookback_scan_determinismE0ELb0ES3_N6thrust23THRUST_200600_302600_NS6detail15normal_iteratorINS9_10device_ptrIiEEEENSB_INSC_IjEEEENSB_INSC_IfEEEEjNS9_4plusIvEENS9_8equal_toIvEEjEE10hipError_tPvRmT2_T3_T4_T5_mT6_T7_P12ihipStream_tbENKUlT_T0_E_clISt17integral_constantIbLb0EES13_EEDaSY_SZ_EUlSY_E_NS1_11comp_targetILNS1_3genE9ELNS1_11target_archE1100ELNS1_3gpuE3ELNS1_3repE0EEENS1_30default_config_static_selectorELNS0_4arch9wavefront6targetE0EEEvT1_,"axG",@progbits,_ZN7rocprim17ROCPRIM_400000_NS6detail17trampoline_kernelINS0_14default_configENS1_27scan_by_key_config_selectorIijEEZZNS1_16scan_by_key_implILNS1_25lookback_scan_determinismE0ELb0ES3_N6thrust23THRUST_200600_302600_NS6detail15normal_iteratorINS9_10device_ptrIiEEEENSB_INSC_IjEEEENSB_INSC_IfEEEEjNS9_4plusIvEENS9_8equal_toIvEEjEE10hipError_tPvRmT2_T3_T4_T5_mT6_T7_P12ihipStream_tbENKUlT_T0_E_clISt17integral_constantIbLb0EES13_EEDaSY_SZ_EUlSY_E_NS1_11comp_targetILNS1_3genE9ELNS1_11target_archE1100ELNS1_3gpuE3ELNS1_3repE0EEENS1_30default_config_static_selectorELNS0_4arch9wavefront6targetE0EEEvT1_,comdat
.Lfunc_end1651:
	.size	_ZN7rocprim17ROCPRIM_400000_NS6detail17trampoline_kernelINS0_14default_configENS1_27scan_by_key_config_selectorIijEEZZNS1_16scan_by_key_implILNS1_25lookback_scan_determinismE0ELb0ES3_N6thrust23THRUST_200600_302600_NS6detail15normal_iteratorINS9_10device_ptrIiEEEENSB_INSC_IjEEEENSB_INSC_IfEEEEjNS9_4plusIvEENS9_8equal_toIvEEjEE10hipError_tPvRmT2_T3_T4_T5_mT6_T7_P12ihipStream_tbENKUlT_T0_E_clISt17integral_constantIbLb0EES13_EEDaSY_SZ_EUlSY_E_NS1_11comp_targetILNS1_3genE9ELNS1_11target_archE1100ELNS1_3gpuE3ELNS1_3repE0EEENS1_30default_config_static_selectorELNS0_4arch9wavefront6targetE0EEEvT1_, .Lfunc_end1651-_ZN7rocprim17ROCPRIM_400000_NS6detail17trampoline_kernelINS0_14default_configENS1_27scan_by_key_config_selectorIijEEZZNS1_16scan_by_key_implILNS1_25lookback_scan_determinismE0ELb0ES3_N6thrust23THRUST_200600_302600_NS6detail15normal_iteratorINS9_10device_ptrIiEEEENSB_INSC_IjEEEENSB_INSC_IfEEEEjNS9_4plusIvEENS9_8equal_toIvEEjEE10hipError_tPvRmT2_T3_T4_T5_mT6_T7_P12ihipStream_tbENKUlT_T0_E_clISt17integral_constantIbLb0EES13_EEDaSY_SZ_EUlSY_E_NS1_11comp_targetILNS1_3genE9ELNS1_11target_archE1100ELNS1_3gpuE3ELNS1_3repE0EEENS1_30default_config_static_selectorELNS0_4arch9wavefront6targetE0EEEvT1_
                                        ; -- End function
	.set _ZN7rocprim17ROCPRIM_400000_NS6detail17trampoline_kernelINS0_14default_configENS1_27scan_by_key_config_selectorIijEEZZNS1_16scan_by_key_implILNS1_25lookback_scan_determinismE0ELb0ES3_N6thrust23THRUST_200600_302600_NS6detail15normal_iteratorINS9_10device_ptrIiEEEENSB_INSC_IjEEEENSB_INSC_IfEEEEjNS9_4plusIvEENS9_8equal_toIvEEjEE10hipError_tPvRmT2_T3_T4_T5_mT6_T7_P12ihipStream_tbENKUlT_T0_E_clISt17integral_constantIbLb0EES13_EEDaSY_SZ_EUlSY_E_NS1_11comp_targetILNS1_3genE9ELNS1_11target_archE1100ELNS1_3gpuE3ELNS1_3repE0EEENS1_30default_config_static_selectorELNS0_4arch9wavefront6targetE0EEEvT1_.num_vgpr, 0
	.set _ZN7rocprim17ROCPRIM_400000_NS6detail17trampoline_kernelINS0_14default_configENS1_27scan_by_key_config_selectorIijEEZZNS1_16scan_by_key_implILNS1_25lookback_scan_determinismE0ELb0ES3_N6thrust23THRUST_200600_302600_NS6detail15normal_iteratorINS9_10device_ptrIiEEEENSB_INSC_IjEEEENSB_INSC_IfEEEEjNS9_4plusIvEENS9_8equal_toIvEEjEE10hipError_tPvRmT2_T3_T4_T5_mT6_T7_P12ihipStream_tbENKUlT_T0_E_clISt17integral_constantIbLb0EES13_EEDaSY_SZ_EUlSY_E_NS1_11comp_targetILNS1_3genE9ELNS1_11target_archE1100ELNS1_3gpuE3ELNS1_3repE0EEENS1_30default_config_static_selectorELNS0_4arch9wavefront6targetE0EEEvT1_.num_agpr, 0
	.set _ZN7rocprim17ROCPRIM_400000_NS6detail17trampoline_kernelINS0_14default_configENS1_27scan_by_key_config_selectorIijEEZZNS1_16scan_by_key_implILNS1_25lookback_scan_determinismE0ELb0ES3_N6thrust23THRUST_200600_302600_NS6detail15normal_iteratorINS9_10device_ptrIiEEEENSB_INSC_IjEEEENSB_INSC_IfEEEEjNS9_4plusIvEENS9_8equal_toIvEEjEE10hipError_tPvRmT2_T3_T4_T5_mT6_T7_P12ihipStream_tbENKUlT_T0_E_clISt17integral_constantIbLb0EES13_EEDaSY_SZ_EUlSY_E_NS1_11comp_targetILNS1_3genE9ELNS1_11target_archE1100ELNS1_3gpuE3ELNS1_3repE0EEENS1_30default_config_static_selectorELNS0_4arch9wavefront6targetE0EEEvT1_.numbered_sgpr, 0
	.set _ZN7rocprim17ROCPRIM_400000_NS6detail17trampoline_kernelINS0_14default_configENS1_27scan_by_key_config_selectorIijEEZZNS1_16scan_by_key_implILNS1_25lookback_scan_determinismE0ELb0ES3_N6thrust23THRUST_200600_302600_NS6detail15normal_iteratorINS9_10device_ptrIiEEEENSB_INSC_IjEEEENSB_INSC_IfEEEEjNS9_4plusIvEENS9_8equal_toIvEEjEE10hipError_tPvRmT2_T3_T4_T5_mT6_T7_P12ihipStream_tbENKUlT_T0_E_clISt17integral_constantIbLb0EES13_EEDaSY_SZ_EUlSY_E_NS1_11comp_targetILNS1_3genE9ELNS1_11target_archE1100ELNS1_3gpuE3ELNS1_3repE0EEENS1_30default_config_static_selectorELNS0_4arch9wavefront6targetE0EEEvT1_.num_named_barrier, 0
	.set _ZN7rocprim17ROCPRIM_400000_NS6detail17trampoline_kernelINS0_14default_configENS1_27scan_by_key_config_selectorIijEEZZNS1_16scan_by_key_implILNS1_25lookback_scan_determinismE0ELb0ES3_N6thrust23THRUST_200600_302600_NS6detail15normal_iteratorINS9_10device_ptrIiEEEENSB_INSC_IjEEEENSB_INSC_IfEEEEjNS9_4plusIvEENS9_8equal_toIvEEjEE10hipError_tPvRmT2_T3_T4_T5_mT6_T7_P12ihipStream_tbENKUlT_T0_E_clISt17integral_constantIbLb0EES13_EEDaSY_SZ_EUlSY_E_NS1_11comp_targetILNS1_3genE9ELNS1_11target_archE1100ELNS1_3gpuE3ELNS1_3repE0EEENS1_30default_config_static_selectorELNS0_4arch9wavefront6targetE0EEEvT1_.private_seg_size, 0
	.set _ZN7rocprim17ROCPRIM_400000_NS6detail17trampoline_kernelINS0_14default_configENS1_27scan_by_key_config_selectorIijEEZZNS1_16scan_by_key_implILNS1_25lookback_scan_determinismE0ELb0ES3_N6thrust23THRUST_200600_302600_NS6detail15normal_iteratorINS9_10device_ptrIiEEEENSB_INSC_IjEEEENSB_INSC_IfEEEEjNS9_4plusIvEENS9_8equal_toIvEEjEE10hipError_tPvRmT2_T3_T4_T5_mT6_T7_P12ihipStream_tbENKUlT_T0_E_clISt17integral_constantIbLb0EES13_EEDaSY_SZ_EUlSY_E_NS1_11comp_targetILNS1_3genE9ELNS1_11target_archE1100ELNS1_3gpuE3ELNS1_3repE0EEENS1_30default_config_static_selectorELNS0_4arch9wavefront6targetE0EEEvT1_.uses_vcc, 0
	.set _ZN7rocprim17ROCPRIM_400000_NS6detail17trampoline_kernelINS0_14default_configENS1_27scan_by_key_config_selectorIijEEZZNS1_16scan_by_key_implILNS1_25lookback_scan_determinismE0ELb0ES3_N6thrust23THRUST_200600_302600_NS6detail15normal_iteratorINS9_10device_ptrIiEEEENSB_INSC_IjEEEENSB_INSC_IfEEEEjNS9_4plusIvEENS9_8equal_toIvEEjEE10hipError_tPvRmT2_T3_T4_T5_mT6_T7_P12ihipStream_tbENKUlT_T0_E_clISt17integral_constantIbLb0EES13_EEDaSY_SZ_EUlSY_E_NS1_11comp_targetILNS1_3genE9ELNS1_11target_archE1100ELNS1_3gpuE3ELNS1_3repE0EEENS1_30default_config_static_selectorELNS0_4arch9wavefront6targetE0EEEvT1_.uses_flat_scratch, 0
	.set _ZN7rocprim17ROCPRIM_400000_NS6detail17trampoline_kernelINS0_14default_configENS1_27scan_by_key_config_selectorIijEEZZNS1_16scan_by_key_implILNS1_25lookback_scan_determinismE0ELb0ES3_N6thrust23THRUST_200600_302600_NS6detail15normal_iteratorINS9_10device_ptrIiEEEENSB_INSC_IjEEEENSB_INSC_IfEEEEjNS9_4plusIvEENS9_8equal_toIvEEjEE10hipError_tPvRmT2_T3_T4_T5_mT6_T7_P12ihipStream_tbENKUlT_T0_E_clISt17integral_constantIbLb0EES13_EEDaSY_SZ_EUlSY_E_NS1_11comp_targetILNS1_3genE9ELNS1_11target_archE1100ELNS1_3gpuE3ELNS1_3repE0EEENS1_30default_config_static_selectorELNS0_4arch9wavefront6targetE0EEEvT1_.has_dyn_sized_stack, 0
	.set _ZN7rocprim17ROCPRIM_400000_NS6detail17trampoline_kernelINS0_14default_configENS1_27scan_by_key_config_selectorIijEEZZNS1_16scan_by_key_implILNS1_25lookback_scan_determinismE0ELb0ES3_N6thrust23THRUST_200600_302600_NS6detail15normal_iteratorINS9_10device_ptrIiEEEENSB_INSC_IjEEEENSB_INSC_IfEEEEjNS9_4plusIvEENS9_8equal_toIvEEjEE10hipError_tPvRmT2_T3_T4_T5_mT6_T7_P12ihipStream_tbENKUlT_T0_E_clISt17integral_constantIbLb0EES13_EEDaSY_SZ_EUlSY_E_NS1_11comp_targetILNS1_3genE9ELNS1_11target_archE1100ELNS1_3gpuE3ELNS1_3repE0EEENS1_30default_config_static_selectorELNS0_4arch9wavefront6targetE0EEEvT1_.has_recursion, 0
	.set _ZN7rocprim17ROCPRIM_400000_NS6detail17trampoline_kernelINS0_14default_configENS1_27scan_by_key_config_selectorIijEEZZNS1_16scan_by_key_implILNS1_25lookback_scan_determinismE0ELb0ES3_N6thrust23THRUST_200600_302600_NS6detail15normal_iteratorINS9_10device_ptrIiEEEENSB_INSC_IjEEEENSB_INSC_IfEEEEjNS9_4plusIvEENS9_8equal_toIvEEjEE10hipError_tPvRmT2_T3_T4_T5_mT6_T7_P12ihipStream_tbENKUlT_T0_E_clISt17integral_constantIbLb0EES13_EEDaSY_SZ_EUlSY_E_NS1_11comp_targetILNS1_3genE9ELNS1_11target_archE1100ELNS1_3gpuE3ELNS1_3repE0EEENS1_30default_config_static_selectorELNS0_4arch9wavefront6targetE0EEEvT1_.has_indirect_call, 0
	.section	.AMDGPU.csdata,"",@progbits
; Kernel info:
; codeLenInByte = 0
; TotalNumSgprs: 0
; NumVgprs: 0
; ScratchSize: 0
; MemoryBound: 0
; FloatMode: 240
; IeeeMode: 1
; LDSByteSize: 0 bytes/workgroup (compile time only)
; SGPRBlocks: 0
; VGPRBlocks: 0
; NumSGPRsForWavesPerEU: 1
; NumVGPRsForWavesPerEU: 1
; NamedBarCnt: 0
; Occupancy: 16
; WaveLimiterHint : 0
; COMPUTE_PGM_RSRC2:SCRATCH_EN: 0
; COMPUTE_PGM_RSRC2:USER_SGPR: 2
; COMPUTE_PGM_RSRC2:TRAP_HANDLER: 0
; COMPUTE_PGM_RSRC2:TGID_X_EN: 1
; COMPUTE_PGM_RSRC2:TGID_Y_EN: 0
; COMPUTE_PGM_RSRC2:TGID_Z_EN: 0
; COMPUTE_PGM_RSRC2:TIDIG_COMP_CNT: 0
	.section	.text._ZN7rocprim17ROCPRIM_400000_NS6detail17trampoline_kernelINS0_14default_configENS1_27scan_by_key_config_selectorIijEEZZNS1_16scan_by_key_implILNS1_25lookback_scan_determinismE0ELb0ES3_N6thrust23THRUST_200600_302600_NS6detail15normal_iteratorINS9_10device_ptrIiEEEENSB_INSC_IjEEEENSB_INSC_IfEEEEjNS9_4plusIvEENS9_8equal_toIvEEjEE10hipError_tPvRmT2_T3_T4_T5_mT6_T7_P12ihipStream_tbENKUlT_T0_E_clISt17integral_constantIbLb0EES13_EEDaSY_SZ_EUlSY_E_NS1_11comp_targetILNS1_3genE8ELNS1_11target_archE1030ELNS1_3gpuE2ELNS1_3repE0EEENS1_30default_config_static_selectorELNS0_4arch9wavefront6targetE0EEEvT1_,"axG",@progbits,_ZN7rocprim17ROCPRIM_400000_NS6detail17trampoline_kernelINS0_14default_configENS1_27scan_by_key_config_selectorIijEEZZNS1_16scan_by_key_implILNS1_25lookback_scan_determinismE0ELb0ES3_N6thrust23THRUST_200600_302600_NS6detail15normal_iteratorINS9_10device_ptrIiEEEENSB_INSC_IjEEEENSB_INSC_IfEEEEjNS9_4plusIvEENS9_8equal_toIvEEjEE10hipError_tPvRmT2_T3_T4_T5_mT6_T7_P12ihipStream_tbENKUlT_T0_E_clISt17integral_constantIbLb0EES13_EEDaSY_SZ_EUlSY_E_NS1_11comp_targetILNS1_3genE8ELNS1_11target_archE1030ELNS1_3gpuE2ELNS1_3repE0EEENS1_30default_config_static_selectorELNS0_4arch9wavefront6targetE0EEEvT1_,comdat
	.protected	_ZN7rocprim17ROCPRIM_400000_NS6detail17trampoline_kernelINS0_14default_configENS1_27scan_by_key_config_selectorIijEEZZNS1_16scan_by_key_implILNS1_25lookback_scan_determinismE0ELb0ES3_N6thrust23THRUST_200600_302600_NS6detail15normal_iteratorINS9_10device_ptrIiEEEENSB_INSC_IjEEEENSB_INSC_IfEEEEjNS9_4plusIvEENS9_8equal_toIvEEjEE10hipError_tPvRmT2_T3_T4_T5_mT6_T7_P12ihipStream_tbENKUlT_T0_E_clISt17integral_constantIbLb0EES13_EEDaSY_SZ_EUlSY_E_NS1_11comp_targetILNS1_3genE8ELNS1_11target_archE1030ELNS1_3gpuE2ELNS1_3repE0EEENS1_30default_config_static_selectorELNS0_4arch9wavefront6targetE0EEEvT1_ ; -- Begin function _ZN7rocprim17ROCPRIM_400000_NS6detail17trampoline_kernelINS0_14default_configENS1_27scan_by_key_config_selectorIijEEZZNS1_16scan_by_key_implILNS1_25lookback_scan_determinismE0ELb0ES3_N6thrust23THRUST_200600_302600_NS6detail15normal_iteratorINS9_10device_ptrIiEEEENSB_INSC_IjEEEENSB_INSC_IfEEEEjNS9_4plusIvEENS9_8equal_toIvEEjEE10hipError_tPvRmT2_T3_T4_T5_mT6_T7_P12ihipStream_tbENKUlT_T0_E_clISt17integral_constantIbLb0EES13_EEDaSY_SZ_EUlSY_E_NS1_11comp_targetILNS1_3genE8ELNS1_11target_archE1030ELNS1_3gpuE2ELNS1_3repE0EEENS1_30default_config_static_selectorELNS0_4arch9wavefront6targetE0EEEvT1_
	.globl	_ZN7rocprim17ROCPRIM_400000_NS6detail17trampoline_kernelINS0_14default_configENS1_27scan_by_key_config_selectorIijEEZZNS1_16scan_by_key_implILNS1_25lookback_scan_determinismE0ELb0ES3_N6thrust23THRUST_200600_302600_NS6detail15normal_iteratorINS9_10device_ptrIiEEEENSB_INSC_IjEEEENSB_INSC_IfEEEEjNS9_4plusIvEENS9_8equal_toIvEEjEE10hipError_tPvRmT2_T3_T4_T5_mT6_T7_P12ihipStream_tbENKUlT_T0_E_clISt17integral_constantIbLb0EES13_EEDaSY_SZ_EUlSY_E_NS1_11comp_targetILNS1_3genE8ELNS1_11target_archE1030ELNS1_3gpuE2ELNS1_3repE0EEENS1_30default_config_static_selectorELNS0_4arch9wavefront6targetE0EEEvT1_
	.p2align	8
	.type	_ZN7rocprim17ROCPRIM_400000_NS6detail17trampoline_kernelINS0_14default_configENS1_27scan_by_key_config_selectorIijEEZZNS1_16scan_by_key_implILNS1_25lookback_scan_determinismE0ELb0ES3_N6thrust23THRUST_200600_302600_NS6detail15normal_iteratorINS9_10device_ptrIiEEEENSB_INSC_IjEEEENSB_INSC_IfEEEEjNS9_4plusIvEENS9_8equal_toIvEEjEE10hipError_tPvRmT2_T3_T4_T5_mT6_T7_P12ihipStream_tbENKUlT_T0_E_clISt17integral_constantIbLb0EES13_EEDaSY_SZ_EUlSY_E_NS1_11comp_targetILNS1_3genE8ELNS1_11target_archE1030ELNS1_3gpuE2ELNS1_3repE0EEENS1_30default_config_static_selectorELNS0_4arch9wavefront6targetE0EEEvT1_,@function
_ZN7rocprim17ROCPRIM_400000_NS6detail17trampoline_kernelINS0_14default_configENS1_27scan_by_key_config_selectorIijEEZZNS1_16scan_by_key_implILNS1_25lookback_scan_determinismE0ELb0ES3_N6thrust23THRUST_200600_302600_NS6detail15normal_iteratorINS9_10device_ptrIiEEEENSB_INSC_IjEEEENSB_INSC_IfEEEEjNS9_4plusIvEENS9_8equal_toIvEEjEE10hipError_tPvRmT2_T3_T4_T5_mT6_T7_P12ihipStream_tbENKUlT_T0_E_clISt17integral_constantIbLb0EES13_EEDaSY_SZ_EUlSY_E_NS1_11comp_targetILNS1_3genE8ELNS1_11target_archE1030ELNS1_3gpuE2ELNS1_3repE0EEENS1_30default_config_static_selectorELNS0_4arch9wavefront6targetE0EEEvT1_: ; @_ZN7rocprim17ROCPRIM_400000_NS6detail17trampoline_kernelINS0_14default_configENS1_27scan_by_key_config_selectorIijEEZZNS1_16scan_by_key_implILNS1_25lookback_scan_determinismE0ELb0ES3_N6thrust23THRUST_200600_302600_NS6detail15normal_iteratorINS9_10device_ptrIiEEEENSB_INSC_IjEEEENSB_INSC_IfEEEEjNS9_4plusIvEENS9_8equal_toIvEEjEE10hipError_tPvRmT2_T3_T4_T5_mT6_T7_P12ihipStream_tbENKUlT_T0_E_clISt17integral_constantIbLb0EES13_EEDaSY_SZ_EUlSY_E_NS1_11comp_targetILNS1_3genE8ELNS1_11target_archE1030ELNS1_3gpuE2ELNS1_3repE0EEENS1_30default_config_static_selectorELNS0_4arch9wavefront6targetE0EEEvT1_
; %bb.0:
	.section	.rodata,"a",@progbits
	.p2align	6, 0x0
	.amdhsa_kernel _ZN7rocprim17ROCPRIM_400000_NS6detail17trampoline_kernelINS0_14default_configENS1_27scan_by_key_config_selectorIijEEZZNS1_16scan_by_key_implILNS1_25lookback_scan_determinismE0ELb0ES3_N6thrust23THRUST_200600_302600_NS6detail15normal_iteratorINS9_10device_ptrIiEEEENSB_INSC_IjEEEENSB_INSC_IfEEEEjNS9_4plusIvEENS9_8equal_toIvEEjEE10hipError_tPvRmT2_T3_T4_T5_mT6_T7_P12ihipStream_tbENKUlT_T0_E_clISt17integral_constantIbLb0EES13_EEDaSY_SZ_EUlSY_E_NS1_11comp_targetILNS1_3genE8ELNS1_11target_archE1030ELNS1_3gpuE2ELNS1_3repE0EEENS1_30default_config_static_selectorELNS0_4arch9wavefront6targetE0EEEvT1_
		.amdhsa_group_segment_fixed_size 0
		.amdhsa_private_segment_fixed_size 0
		.amdhsa_kernarg_size 112
		.amdhsa_user_sgpr_count 2
		.amdhsa_user_sgpr_dispatch_ptr 0
		.amdhsa_user_sgpr_queue_ptr 0
		.amdhsa_user_sgpr_kernarg_segment_ptr 1
		.amdhsa_user_sgpr_dispatch_id 0
		.amdhsa_user_sgpr_kernarg_preload_length 0
		.amdhsa_user_sgpr_kernarg_preload_offset 0
		.amdhsa_user_sgpr_private_segment_size 0
		.amdhsa_wavefront_size32 1
		.amdhsa_uses_dynamic_stack 0
		.amdhsa_enable_private_segment 0
		.amdhsa_system_sgpr_workgroup_id_x 1
		.amdhsa_system_sgpr_workgroup_id_y 0
		.amdhsa_system_sgpr_workgroup_id_z 0
		.amdhsa_system_sgpr_workgroup_info 0
		.amdhsa_system_vgpr_workitem_id 0
		.amdhsa_next_free_vgpr 1
		.amdhsa_next_free_sgpr 1
		.amdhsa_named_barrier_count 0
		.amdhsa_reserve_vcc 0
		.amdhsa_float_round_mode_32 0
		.amdhsa_float_round_mode_16_64 0
		.amdhsa_float_denorm_mode_32 3
		.amdhsa_float_denorm_mode_16_64 3
		.amdhsa_fp16_overflow 0
		.amdhsa_memory_ordered 1
		.amdhsa_forward_progress 1
		.amdhsa_inst_pref_size 0
		.amdhsa_round_robin_scheduling 0
		.amdhsa_exception_fp_ieee_invalid_op 0
		.amdhsa_exception_fp_denorm_src 0
		.amdhsa_exception_fp_ieee_div_zero 0
		.amdhsa_exception_fp_ieee_overflow 0
		.amdhsa_exception_fp_ieee_underflow 0
		.amdhsa_exception_fp_ieee_inexact 0
		.amdhsa_exception_int_div_zero 0
	.end_amdhsa_kernel
	.section	.text._ZN7rocprim17ROCPRIM_400000_NS6detail17trampoline_kernelINS0_14default_configENS1_27scan_by_key_config_selectorIijEEZZNS1_16scan_by_key_implILNS1_25lookback_scan_determinismE0ELb0ES3_N6thrust23THRUST_200600_302600_NS6detail15normal_iteratorINS9_10device_ptrIiEEEENSB_INSC_IjEEEENSB_INSC_IfEEEEjNS9_4plusIvEENS9_8equal_toIvEEjEE10hipError_tPvRmT2_T3_T4_T5_mT6_T7_P12ihipStream_tbENKUlT_T0_E_clISt17integral_constantIbLb0EES13_EEDaSY_SZ_EUlSY_E_NS1_11comp_targetILNS1_3genE8ELNS1_11target_archE1030ELNS1_3gpuE2ELNS1_3repE0EEENS1_30default_config_static_selectorELNS0_4arch9wavefront6targetE0EEEvT1_,"axG",@progbits,_ZN7rocprim17ROCPRIM_400000_NS6detail17trampoline_kernelINS0_14default_configENS1_27scan_by_key_config_selectorIijEEZZNS1_16scan_by_key_implILNS1_25lookback_scan_determinismE0ELb0ES3_N6thrust23THRUST_200600_302600_NS6detail15normal_iteratorINS9_10device_ptrIiEEEENSB_INSC_IjEEEENSB_INSC_IfEEEEjNS9_4plusIvEENS9_8equal_toIvEEjEE10hipError_tPvRmT2_T3_T4_T5_mT6_T7_P12ihipStream_tbENKUlT_T0_E_clISt17integral_constantIbLb0EES13_EEDaSY_SZ_EUlSY_E_NS1_11comp_targetILNS1_3genE8ELNS1_11target_archE1030ELNS1_3gpuE2ELNS1_3repE0EEENS1_30default_config_static_selectorELNS0_4arch9wavefront6targetE0EEEvT1_,comdat
.Lfunc_end1652:
	.size	_ZN7rocprim17ROCPRIM_400000_NS6detail17trampoline_kernelINS0_14default_configENS1_27scan_by_key_config_selectorIijEEZZNS1_16scan_by_key_implILNS1_25lookback_scan_determinismE0ELb0ES3_N6thrust23THRUST_200600_302600_NS6detail15normal_iteratorINS9_10device_ptrIiEEEENSB_INSC_IjEEEENSB_INSC_IfEEEEjNS9_4plusIvEENS9_8equal_toIvEEjEE10hipError_tPvRmT2_T3_T4_T5_mT6_T7_P12ihipStream_tbENKUlT_T0_E_clISt17integral_constantIbLb0EES13_EEDaSY_SZ_EUlSY_E_NS1_11comp_targetILNS1_3genE8ELNS1_11target_archE1030ELNS1_3gpuE2ELNS1_3repE0EEENS1_30default_config_static_selectorELNS0_4arch9wavefront6targetE0EEEvT1_, .Lfunc_end1652-_ZN7rocprim17ROCPRIM_400000_NS6detail17trampoline_kernelINS0_14default_configENS1_27scan_by_key_config_selectorIijEEZZNS1_16scan_by_key_implILNS1_25lookback_scan_determinismE0ELb0ES3_N6thrust23THRUST_200600_302600_NS6detail15normal_iteratorINS9_10device_ptrIiEEEENSB_INSC_IjEEEENSB_INSC_IfEEEEjNS9_4plusIvEENS9_8equal_toIvEEjEE10hipError_tPvRmT2_T3_T4_T5_mT6_T7_P12ihipStream_tbENKUlT_T0_E_clISt17integral_constantIbLb0EES13_EEDaSY_SZ_EUlSY_E_NS1_11comp_targetILNS1_3genE8ELNS1_11target_archE1030ELNS1_3gpuE2ELNS1_3repE0EEENS1_30default_config_static_selectorELNS0_4arch9wavefront6targetE0EEEvT1_
                                        ; -- End function
	.set _ZN7rocprim17ROCPRIM_400000_NS6detail17trampoline_kernelINS0_14default_configENS1_27scan_by_key_config_selectorIijEEZZNS1_16scan_by_key_implILNS1_25lookback_scan_determinismE0ELb0ES3_N6thrust23THRUST_200600_302600_NS6detail15normal_iteratorINS9_10device_ptrIiEEEENSB_INSC_IjEEEENSB_INSC_IfEEEEjNS9_4plusIvEENS9_8equal_toIvEEjEE10hipError_tPvRmT2_T3_T4_T5_mT6_T7_P12ihipStream_tbENKUlT_T0_E_clISt17integral_constantIbLb0EES13_EEDaSY_SZ_EUlSY_E_NS1_11comp_targetILNS1_3genE8ELNS1_11target_archE1030ELNS1_3gpuE2ELNS1_3repE0EEENS1_30default_config_static_selectorELNS0_4arch9wavefront6targetE0EEEvT1_.num_vgpr, 0
	.set _ZN7rocprim17ROCPRIM_400000_NS6detail17trampoline_kernelINS0_14default_configENS1_27scan_by_key_config_selectorIijEEZZNS1_16scan_by_key_implILNS1_25lookback_scan_determinismE0ELb0ES3_N6thrust23THRUST_200600_302600_NS6detail15normal_iteratorINS9_10device_ptrIiEEEENSB_INSC_IjEEEENSB_INSC_IfEEEEjNS9_4plusIvEENS9_8equal_toIvEEjEE10hipError_tPvRmT2_T3_T4_T5_mT6_T7_P12ihipStream_tbENKUlT_T0_E_clISt17integral_constantIbLb0EES13_EEDaSY_SZ_EUlSY_E_NS1_11comp_targetILNS1_3genE8ELNS1_11target_archE1030ELNS1_3gpuE2ELNS1_3repE0EEENS1_30default_config_static_selectorELNS0_4arch9wavefront6targetE0EEEvT1_.num_agpr, 0
	.set _ZN7rocprim17ROCPRIM_400000_NS6detail17trampoline_kernelINS0_14default_configENS1_27scan_by_key_config_selectorIijEEZZNS1_16scan_by_key_implILNS1_25lookback_scan_determinismE0ELb0ES3_N6thrust23THRUST_200600_302600_NS6detail15normal_iteratorINS9_10device_ptrIiEEEENSB_INSC_IjEEEENSB_INSC_IfEEEEjNS9_4plusIvEENS9_8equal_toIvEEjEE10hipError_tPvRmT2_T3_T4_T5_mT6_T7_P12ihipStream_tbENKUlT_T0_E_clISt17integral_constantIbLb0EES13_EEDaSY_SZ_EUlSY_E_NS1_11comp_targetILNS1_3genE8ELNS1_11target_archE1030ELNS1_3gpuE2ELNS1_3repE0EEENS1_30default_config_static_selectorELNS0_4arch9wavefront6targetE0EEEvT1_.numbered_sgpr, 0
	.set _ZN7rocprim17ROCPRIM_400000_NS6detail17trampoline_kernelINS0_14default_configENS1_27scan_by_key_config_selectorIijEEZZNS1_16scan_by_key_implILNS1_25lookback_scan_determinismE0ELb0ES3_N6thrust23THRUST_200600_302600_NS6detail15normal_iteratorINS9_10device_ptrIiEEEENSB_INSC_IjEEEENSB_INSC_IfEEEEjNS9_4plusIvEENS9_8equal_toIvEEjEE10hipError_tPvRmT2_T3_T4_T5_mT6_T7_P12ihipStream_tbENKUlT_T0_E_clISt17integral_constantIbLb0EES13_EEDaSY_SZ_EUlSY_E_NS1_11comp_targetILNS1_3genE8ELNS1_11target_archE1030ELNS1_3gpuE2ELNS1_3repE0EEENS1_30default_config_static_selectorELNS0_4arch9wavefront6targetE0EEEvT1_.num_named_barrier, 0
	.set _ZN7rocprim17ROCPRIM_400000_NS6detail17trampoline_kernelINS0_14default_configENS1_27scan_by_key_config_selectorIijEEZZNS1_16scan_by_key_implILNS1_25lookback_scan_determinismE0ELb0ES3_N6thrust23THRUST_200600_302600_NS6detail15normal_iteratorINS9_10device_ptrIiEEEENSB_INSC_IjEEEENSB_INSC_IfEEEEjNS9_4plusIvEENS9_8equal_toIvEEjEE10hipError_tPvRmT2_T3_T4_T5_mT6_T7_P12ihipStream_tbENKUlT_T0_E_clISt17integral_constantIbLb0EES13_EEDaSY_SZ_EUlSY_E_NS1_11comp_targetILNS1_3genE8ELNS1_11target_archE1030ELNS1_3gpuE2ELNS1_3repE0EEENS1_30default_config_static_selectorELNS0_4arch9wavefront6targetE0EEEvT1_.private_seg_size, 0
	.set _ZN7rocprim17ROCPRIM_400000_NS6detail17trampoline_kernelINS0_14default_configENS1_27scan_by_key_config_selectorIijEEZZNS1_16scan_by_key_implILNS1_25lookback_scan_determinismE0ELb0ES3_N6thrust23THRUST_200600_302600_NS6detail15normal_iteratorINS9_10device_ptrIiEEEENSB_INSC_IjEEEENSB_INSC_IfEEEEjNS9_4plusIvEENS9_8equal_toIvEEjEE10hipError_tPvRmT2_T3_T4_T5_mT6_T7_P12ihipStream_tbENKUlT_T0_E_clISt17integral_constantIbLb0EES13_EEDaSY_SZ_EUlSY_E_NS1_11comp_targetILNS1_3genE8ELNS1_11target_archE1030ELNS1_3gpuE2ELNS1_3repE0EEENS1_30default_config_static_selectorELNS0_4arch9wavefront6targetE0EEEvT1_.uses_vcc, 0
	.set _ZN7rocprim17ROCPRIM_400000_NS6detail17trampoline_kernelINS0_14default_configENS1_27scan_by_key_config_selectorIijEEZZNS1_16scan_by_key_implILNS1_25lookback_scan_determinismE0ELb0ES3_N6thrust23THRUST_200600_302600_NS6detail15normal_iteratorINS9_10device_ptrIiEEEENSB_INSC_IjEEEENSB_INSC_IfEEEEjNS9_4plusIvEENS9_8equal_toIvEEjEE10hipError_tPvRmT2_T3_T4_T5_mT6_T7_P12ihipStream_tbENKUlT_T0_E_clISt17integral_constantIbLb0EES13_EEDaSY_SZ_EUlSY_E_NS1_11comp_targetILNS1_3genE8ELNS1_11target_archE1030ELNS1_3gpuE2ELNS1_3repE0EEENS1_30default_config_static_selectorELNS0_4arch9wavefront6targetE0EEEvT1_.uses_flat_scratch, 0
	.set _ZN7rocprim17ROCPRIM_400000_NS6detail17trampoline_kernelINS0_14default_configENS1_27scan_by_key_config_selectorIijEEZZNS1_16scan_by_key_implILNS1_25lookback_scan_determinismE0ELb0ES3_N6thrust23THRUST_200600_302600_NS6detail15normal_iteratorINS9_10device_ptrIiEEEENSB_INSC_IjEEEENSB_INSC_IfEEEEjNS9_4plusIvEENS9_8equal_toIvEEjEE10hipError_tPvRmT2_T3_T4_T5_mT6_T7_P12ihipStream_tbENKUlT_T0_E_clISt17integral_constantIbLb0EES13_EEDaSY_SZ_EUlSY_E_NS1_11comp_targetILNS1_3genE8ELNS1_11target_archE1030ELNS1_3gpuE2ELNS1_3repE0EEENS1_30default_config_static_selectorELNS0_4arch9wavefront6targetE0EEEvT1_.has_dyn_sized_stack, 0
	.set _ZN7rocprim17ROCPRIM_400000_NS6detail17trampoline_kernelINS0_14default_configENS1_27scan_by_key_config_selectorIijEEZZNS1_16scan_by_key_implILNS1_25lookback_scan_determinismE0ELb0ES3_N6thrust23THRUST_200600_302600_NS6detail15normal_iteratorINS9_10device_ptrIiEEEENSB_INSC_IjEEEENSB_INSC_IfEEEEjNS9_4plusIvEENS9_8equal_toIvEEjEE10hipError_tPvRmT2_T3_T4_T5_mT6_T7_P12ihipStream_tbENKUlT_T0_E_clISt17integral_constantIbLb0EES13_EEDaSY_SZ_EUlSY_E_NS1_11comp_targetILNS1_3genE8ELNS1_11target_archE1030ELNS1_3gpuE2ELNS1_3repE0EEENS1_30default_config_static_selectorELNS0_4arch9wavefront6targetE0EEEvT1_.has_recursion, 0
	.set _ZN7rocprim17ROCPRIM_400000_NS6detail17trampoline_kernelINS0_14default_configENS1_27scan_by_key_config_selectorIijEEZZNS1_16scan_by_key_implILNS1_25lookback_scan_determinismE0ELb0ES3_N6thrust23THRUST_200600_302600_NS6detail15normal_iteratorINS9_10device_ptrIiEEEENSB_INSC_IjEEEENSB_INSC_IfEEEEjNS9_4plusIvEENS9_8equal_toIvEEjEE10hipError_tPvRmT2_T3_T4_T5_mT6_T7_P12ihipStream_tbENKUlT_T0_E_clISt17integral_constantIbLb0EES13_EEDaSY_SZ_EUlSY_E_NS1_11comp_targetILNS1_3genE8ELNS1_11target_archE1030ELNS1_3gpuE2ELNS1_3repE0EEENS1_30default_config_static_selectorELNS0_4arch9wavefront6targetE0EEEvT1_.has_indirect_call, 0
	.section	.AMDGPU.csdata,"",@progbits
; Kernel info:
; codeLenInByte = 0
; TotalNumSgprs: 0
; NumVgprs: 0
; ScratchSize: 0
; MemoryBound: 0
; FloatMode: 240
; IeeeMode: 1
; LDSByteSize: 0 bytes/workgroup (compile time only)
; SGPRBlocks: 0
; VGPRBlocks: 0
; NumSGPRsForWavesPerEU: 1
; NumVGPRsForWavesPerEU: 1
; NamedBarCnt: 0
; Occupancy: 16
; WaveLimiterHint : 0
; COMPUTE_PGM_RSRC2:SCRATCH_EN: 0
; COMPUTE_PGM_RSRC2:USER_SGPR: 2
; COMPUTE_PGM_RSRC2:TRAP_HANDLER: 0
; COMPUTE_PGM_RSRC2:TGID_X_EN: 1
; COMPUTE_PGM_RSRC2:TGID_Y_EN: 0
; COMPUTE_PGM_RSRC2:TGID_Z_EN: 0
; COMPUTE_PGM_RSRC2:TIDIG_COMP_CNT: 0
	.section	.text._ZN7rocprim17ROCPRIM_400000_NS6detail17trampoline_kernelINS0_14default_configENS1_27scan_by_key_config_selectorIijEEZZNS1_16scan_by_key_implILNS1_25lookback_scan_determinismE0ELb0ES3_N6thrust23THRUST_200600_302600_NS6detail15normal_iteratorINS9_10device_ptrIiEEEENSB_INSC_IjEEEENSB_INSC_IfEEEEjNS9_4plusIvEENS9_8equal_toIvEEjEE10hipError_tPvRmT2_T3_T4_T5_mT6_T7_P12ihipStream_tbENKUlT_T0_E_clISt17integral_constantIbLb1EES13_EEDaSY_SZ_EUlSY_E_NS1_11comp_targetILNS1_3genE0ELNS1_11target_archE4294967295ELNS1_3gpuE0ELNS1_3repE0EEENS1_30default_config_static_selectorELNS0_4arch9wavefront6targetE0EEEvT1_,"axG",@progbits,_ZN7rocprim17ROCPRIM_400000_NS6detail17trampoline_kernelINS0_14default_configENS1_27scan_by_key_config_selectorIijEEZZNS1_16scan_by_key_implILNS1_25lookback_scan_determinismE0ELb0ES3_N6thrust23THRUST_200600_302600_NS6detail15normal_iteratorINS9_10device_ptrIiEEEENSB_INSC_IjEEEENSB_INSC_IfEEEEjNS9_4plusIvEENS9_8equal_toIvEEjEE10hipError_tPvRmT2_T3_T4_T5_mT6_T7_P12ihipStream_tbENKUlT_T0_E_clISt17integral_constantIbLb1EES13_EEDaSY_SZ_EUlSY_E_NS1_11comp_targetILNS1_3genE0ELNS1_11target_archE4294967295ELNS1_3gpuE0ELNS1_3repE0EEENS1_30default_config_static_selectorELNS0_4arch9wavefront6targetE0EEEvT1_,comdat
	.protected	_ZN7rocprim17ROCPRIM_400000_NS6detail17trampoline_kernelINS0_14default_configENS1_27scan_by_key_config_selectorIijEEZZNS1_16scan_by_key_implILNS1_25lookback_scan_determinismE0ELb0ES3_N6thrust23THRUST_200600_302600_NS6detail15normal_iteratorINS9_10device_ptrIiEEEENSB_INSC_IjEEEENSB_INSC_IfEEEEjNS9_4plusIvEENS9_8equal_toIvEEjEE10hipError_tPvRmT2_T3_T4_T5_mT6_T7_P12ihipStream_tbENKUlT_T0_E_clISt17integral_constantIbLb1EES13_EEDaSY_SZ_EUlSY_E_NS1_11comp_targetILNS1_3genE0ELNS1_11target_archE4294967295ELNS1_3gpuE0ELNS1_3repE0EEENS1_30default_config_static_selectorELNS0_4arch9wavefront6targetE0EEEvT1_ ; -- Begin function _ZN7rocprim17ROCPRIM_400000_NS6detail17trampoline_kernelINS0_14default_configENS1_27scan_by_key_config_selectorIijEEZZNS1_16scan_by_key_implILNS1_25lookback_scan_determinismE0ELb0ES3_N6thrust23THRUST_200600_302600_NS6detail15normal_iteratorINS9_10device_ptrIiEEEENSB_INSC_IjEEEENSB_INSC_IfEEEEjNS9_4plusIvEENS9_8equal_toIvEEjEE10hipError_tPvRmT2_T3_T4_T5_mT6_T7_P12ihipStream_tbENKUlT_T0_E_clISt17integral_constantIbLb1EES13_EEDaSY_SZ_EUlSY_E_NS1_11comp_targetILNS1_3genE0ELNS1_11target_archE4294967295ELNS1_3gpuE0ELNS1_3repE0EEENS1_30default_config_static_selectorELNS0_4arch9wavefront6targetE0EEEvT1_
	.globl	_ZN7rocprim17ROCPRIM_400000_NS6detail17trampoline_kernelINS0_14default_configENS1_27scan_by_key_config_selectorIijEEZZNS1_16scan_by_key_implILNS1_25lookback_scan_determinismE0ELb0ES3_N6thrust23THRUST_200600_302600_NS6detail15normal_iteratorINS9_10device_ptrIiEEEENSB_INSC_IjEEEENSB_INSC_IfEEEEjNS9_4plusIvEENS9_8equal_toIvEEjEE10hipError_tPvRmT2_T3_T4_T5_mT6_T7_P12ihipStream_tbENKUlT_T0_E_clISt17integral_constantIbLb1EES13_EEDaSY_SZ_EUlSY_E_NS1_11comp_targetILNS1_3genE0ELNS1_11target_archE4294967295ELNS1_3gpuE0ELNS1_3repE0EEENS1_30default_config_static_selectorELNS0_4arch9wavefront6targetE0EEEvT1_
	.p2align	8
	.type	_ZN7rocprim17ROCPRIM_400000_NS6detail17trampoline_kernelINS0_14default_configENS1_27scan_by_key_config_selectorIijEEZZNS1_16scan_by_key_implILNS1_25lookback_scan_determinismE0ELb0ES3_N6thrust23THRUST_200600_302600_NS6detail15normal_iteratorINS9_10device_ptrIiEEEENSB_INSC_IjEEEENSB_INSC_IfEEEEjNS9_4plusIvEENS9_8equal_toIvEEjEE10hipError_tPvRmT2_T3_T4_T5_mT6_T7_P12ihipStream_tbENKUlT_T0_E_clISt17integral_constantIbLb1EES13_EEDaSY_SZ_EUlSY_E_NS1_11comp_targetILNS1_3genE0ELNS1_11target_archE4294967295ELNS1_3gpuE0ELNS1_3repE0EEENS1_30default_config_static_selectorELNS0_4arch9wavefront6targetE0EEEvT1_,@function
_ZN7rocprim17ROCPRIM_400000_NS6detail17trampoline_kernelINS0_14default_configENS1_27scan_by_key_config_selectorIijEEZZNS1_16scan_by_key_implILNS1_25lookback_scan_determinismE0ELb0ES3_N6thrust23THRUST_200600_302600_NS6detail15normal_iteratorINS9_10device_ptrIiEEEENSB_INSC_IjEEEENSB_INSC_IfEEEEjNS9_4plusIvEENS9_8equal_toIvEEjEE10hipError_tPvRmT2_T3_T4_T5_mT6_T7_P12ihipStream_tbENKUlT_T0_E_clISt17integral_constantIbLb1EES13_EEDaSY_SZ_EUlSY_E_NS1_11comp_targetILNS1_3genE0ELNS1_11target_archE4294967295ELNS1_3gpuE0ELNS1_3repE0EEENS1_30default_config_static_selectorELNS0_4arch9wavefront6targetE0EEEvT1_: ; @_ZN7rocprim17ROCPRIM_400000_NS6detail17trampoline_kernelINS0_14default_configENS1_27scan_by_key_config_selectorIijEEZZNS1_16scan_by_key_implILNS1_25lookback_scan_determinismE0ELb0ES3_N6thrust23THRUST_200600_302600_NS6detail15normal_iteratorINS9_10device_ptrIiEEEENSB_INSC_IjEEEENSB_INSC_IfEEEEjNS9_4plusIvEENS9_8equal_toIvEEjEE10hipError_tPvRmT2_T3_T4_T5_mT6_T7_P12ihipStream_tbENKUlT_T0_E_clISt17integral_constantIbLb1EES13_EEDaSY_SZ_EUlSY_E_NS1_11comp_targetILNS1_3genE0ELNS1_11target_archE4294967295ELNS1_3gpuE0ELNS1_3repE0EEENS1_30default_config_static_selectorELNS0_4arch9wavefront6targetE0EEEvT1_
; %bb.0:
	s_endpgm
	.section	.rodata,"a",@progbits
	.p2align	6, 0x0
	.amdhsa_kernel _ZN7rocprim17ROCPRIM_400000_NS6detail17trampoline_kernelINS0_14default_configENS1_27scan_by_key_config_selectorIijEEZZNS1_16scan_by_key_implILNS1_25lookback_scan_determinismE0ELb0ES3_N6thrust23THRUST_200600_302600_NS6detail15normal_iteratorINS9_10device_ptrIiEEEENSB_INSC_IjEEEENSB_INSC_IfEEEEjNS9_4plusIvEENS9_8equal_toIvEEjEE10hipError_tPvRmT2_T3_T4_T5_mT6_T7_P12ihipStream_tbENKUlT_T0_E_clISt17integral_constantIbLb1EES13_EEDaSY_SZ_EUlSY_E_NS1_11comp_targetILNS1_3genE0ELNS1_11target_archE4294967295ELNS1_3gpuE0ELNS1_3repE0EEENS1_30default_config_static_selectorELNS0_4arch9wavefront6targetE0EEEvT1_
		.amdhsa_group_segment_fixed_size 0
		.amdhsa_private_segment_fixed_size 0
		.amdhsa_kernarg_size 112
		.amdhsa_user_sgpr_count 2
		.amdhsa_user_sgpr_dispatch_ptr 0
		.amdhsa_user_sgpr_queue_ptr 0
		.amdhsa_user_sgpr_kernarg_segment_ptr 1
		.amdhsa_user_sgpr_dispatch_id 0
		.amdhsa_user_sgpr_kernarg_preload_length 0
		.amdhsa_user_sgpr_kernarg_preload_offset 0
		.amdhsa_user_sgpr_private_segment_size 0
		.amdhsa_wavefront_size32 1
		.amdhsa_uses_dynamic_stack 0
		.amdhsa_enable_private_segment 0
		.amdhsa_system_sgpr_workgroup_id_x 1
		.amdhsa_system_sgpr_workgroup_id_y 0
		.amdhsa_system_sgpr_workgroup_id_z 0
		.amdhsa_system_sgpr_workgroup_info 0
		.amdhsa_system_vgpr_workitem_id 0
		.amdhsa_next_free_vgpr 1
		.amdhsa_next_free_sgpr 1
		.amdhsa_named_barrier_count 0
		.amdhsa_reserve_vcc 0
		.amdhsa_float_round_mode_32 0
		.amdhsa_float_round_mode_16_64 0
		.amdhsa_float_denorm_mode_32 3
		.amdhsa_float_denorm_mode_16_64 3
		.amdhsa_fp16_overflow 0
		.amdhsa_memory_ordered 1
		.amdhsa_forward_progress 1
		.amdhsa_inst_pref_size 1
		.amdhsa_round_robin_scheduling 0
		.amdhsa_exception_fp_ieee_invalid_op 0
		.amdhsa_exception_fp_denorm_src 0
		.amdhsa_exception_fp_ieee_div_zero 0
		.amdhsa_exception_fp_ieee_overflow 0
		.amdhsa_exception_fp_ieee_underflow 0
		.amdhsa_exception_fp_ieee_inexact 0
		.amdhsa_exception_int_div_zero 0
	.end_amdhsa_kernel
	.section	.text._ZN7rocprim17ROCPRIM_400000_NS6detail17trampoline_kernelINS0_14default_configENS1_27scan_by_key_config_selectorIijEEZZNS1_16scan_by_key_implILNS1_25lookback_scan_determinismE0ELb0ES3_N6thrust23THRUST_200600_302600_NS6detail15normal_iteratorINS9_10device_ptrIiEEEENSB_INSC_IjEEEENSB_INSC_IfEEEEjNS9_4plusIvEENS9_8equal_toIvEEjEE10hipError_tPvRmT2_T3_T4_T5_mT6_T7_P12ihipStream_tbENKUlT_T0_E_clISt17integral_constantIbLb1EES13_EEDaSY_SZ_EUlSY_E_NS1_11comp_targetILNS1_3genE0ELNS1_11target_archE4294967295ELNS1_3gpuE0ELNS1_3repE0EEENS1_30default_config_static_selectorELNS0_4arch9wavefront6targetE0EEEvT1_,"axG",@progbits,_ZN7rocprim17ROCPRIM_400000_NS6detail17trampoline_kernelINS0_14default_configENS1_27scan_by_key_config_selectorIijEEZZNS1_16scan_by_key_implILNS1_25lookback_scan_determinismE0ELb0ES3_N6thrust23THRUST_200600_302600_NS6detail15normal_iteratorINS9_10device_ptrIiEEEENSB_INSC_IjEEEENSB_INSC_IfEEEEjNS9_4plusIvEENS9_8equal_toIvEEjEE10hipError_tPvRmT2_T3_T4_T5_mT6_T7_P12ihipStream_tbENKUlT_T0_E_clISt17integral_constantIbLb1EES13_EEDaSY_SZ_EUlSY_E_NS1_11comp_targetILNS1_3genE0ELNS1_11target_archE4294967295ELNS1_3gpuE0ELNS1_3repE0EEENS1_30default_config_static_selectorELNS0_4arch9wavefront6targetE0EEEvT1_,comdat
.Lfunc_end1653:
	.size	_ZN7rocprim17ROCPRIM_400000_NS6detail17trampoline_kernelINS0_14default_configENS1_27scan_by_key_config_selectorIijEEZZNS1_16scan_by_key_implILNS1_25lookback_scan_determinismE0ELb0ES3_N6thrust23THRUST_200600_302600_NS6detail15normal_iteratorINS9_10device_ptrIiEEEENSB_INSC_IjEEEENSB_INSC_IfEEEEjNS9_4plusIvEENS9_8equal_toIvEEjEE10hipError_tPvRmT2_T3_T4_T5_mT6_T7_P12ihipStream_tbENKUlT_T0_E_clISt17integral_constantIbLb1EES13_EEDaSY_SZ_EUlSY_E_NS1_11comp_targetILNS1_3genE0ELNS1_11target_archE4294967295ELNS1_3gpuE0ELNS1_3repE0EEENS1_30default_config_static_selectorELNS0_4arch9wavefront6targetE0EEEvT1_, .Lfunc_end1653-_ZN7rocprim17ROCPRIM_400000_NS6detail17trampoline_kernelINS0_14default_configENS1_27scan_by_key_config_selectorIijEEZZNS1_16scan_by_key_implILNS1_25lookback_scan_determinismE0ELb0ES3_N6thrust23THRUST_200600_302600_NS6detail15normal_iteratorINS9_10device_ptrIiEEEENSB_INSC_IjEEEENSB_INSC_IfEEEEjNS9_4plusIvEENS9_8equal_toIvEEjEE10hipError_tPvRmT2_T3_T4_T5_mT6_T7_P12ihipStream_tbENKUlT_T0_E_clISt17integral_constantIbLb1EES13_EEDaSY_SZ_EUlSY_E_NS1_11comp_targetILNS1_3genE0ELNS1_11target_archE4294967295ELNS1_3gpuE0ELNS1_3repE0EEENS1_30default_config_static_selectorELNS0_4arch9wavefront6targetE0EEEvT1_
                                        ; -- End function
	.set _ZN7rocprim17ROCPRIM_400000_NS6detail17trampoline_kernelINS0_14default_configENS1_27scan_by_key_config_selectorIijEEZZNS1_16scan_by_key_implILNS1_25lookback_scan_determinismE0ELb0ES3_N6thrust23THRUST_200600_302600_NS6detail15normal_iteratorINS9_10device_ptrIiEEEENSB_INSC_IjEEEENSB_INSC_IfEEEEjNS9_4plusIvEENS9_8equal_toIvEEjEE10hipError_tPvRmT2_T3_T4_T5_mT6_T7_P12ihipStream_tbENKUlT_T0_E_clISt17integral_constantIbLb1EES13_EEDaSY_SZ_EUlSY_E_NS1_11comp_targetILNS1_3genE0ELNS1_11target_archE4294967295ELNS1_3gpuE0ELNS1_3repE0EEENS1_30default_config_static_selectorELNS0_4arch9wavefront6targetE0EEEvT1_.num_vgpr, 0
	.set _ZN7rocprim17ROCPRIM_400000_NS6detail17trampoline_kernelINS0_14default_configENS1_27scan_by_key_config_selectorIijEEZZNS1_16scan_by_key_implILNS1_25lookback_scan_determinismE0ELb0ES3_N6thrust23THRUST_200600_302600_NS6detail15normal_iteratorINS9_10device_ptrIiEEEENSB_INSC_IjEEEENSB_INSC_IfEEEEjNS9_4plusIvEENS9_8equal_toIvEEjEE10hipError_tPvRmT2_T3_T4_T5_mT6_T7_P12ihipStream_tbENKUlT_T0_E_clISt17integral_constantIbLb1EES13_EEDaSY_SZ_EUlSY_E_NS1_11comp_targetILNS1_3genE0ELNS1_11target_archE4294967295ELNS1_3gpuE0ELNS1_3repE0EEENS1_30default_config_static_selectorELNS0_4arch9wavefront6targetE0EEEvT1_.num_agpr, 0
	.set _ZN7rocprim17ROCPRIM_400000_NS6detail17trampoline_kernelINS0_14default_configENS1_27scan_by_key_config_selectorIijEEZZNS1_16scan_by_key_implILNS1_25lookback_scan_determinismE0ELb0ES3_N6thrust23THRUST_200600_302600_NS6detail15normal_iteratorINS9_10device_ptrIiEEEENSB_INSC_IjEEEENSB_INSC_IfEEEEjNS9_4plusIvEENS9_8equal_toIvEEjEE10hipError_tPvRmT2_T3_T4_T5_mT6_T7_P12ihipStream_tbENKUlT_T0_E_clISt17integral_constantIbLb1EES13_EEDaSY_SZ_EUlSY_E_NS1_11comp_targetILNS1_3genE0ELNS1_11target_archE4294967295ELNS1_3gpuE0ELNS1_3repE0EEENS1_30default_config_static_selectorELNS0_4arch9wavefront6targetE0EEEvT1_.numbered_sgpr, 0
	.set _ZN7rocprim17ROCPRIM_400000_NS6detail17trampoline_kernelINS0_14default_configENS1_27scan_by_key_config_selectorIijEEZZNS1_16scan_by_key_implILNS1_25lookback_scan_determinismE0ELb0ES3_N6thrust23THRUST_200600_302600_NS6detail15normal_iteratorINS9_10device_ptrIiEEEENSB_INSC_IjEEEENSB_INSC_IfEEEEjNS9_4plusIvEENS9_8equal_toIvEEjEE10hipError_tPvRmT2_T3_T4_T5_mT6_T7_P12ihipStream_tbENKUlT_T0_E_clISt17integral_constantIbLb1EES13_EEDaSY_SZ_EUlSY_E_NS1_11comp_targetILNS1_3genE0ELNS1_11target_archE4294967295ELNS1_3gpuE0ELNS1_3repE0EEENS1_30default_config_static_selectorELNS0_4arch9wavefront6targetE0EEEvT1_.num_named_barrier, 0
	.set _ZN7rocprim17ROCPRIM_400000_NS6detail17trampoline_kernelINS0_14default_configENS1_27scan_by_key_config_selectorIijEEZZNS1_16scan_by_key_implILNS1_25lookback_scan_determinismE0ELb0ES3_N6thrust23THRUST_200600_302600_NS6detail15normal_iteratorINS9_10device_ptrIiEEEENSB_INSC_IjEEEENSB_INSC_IfEEEEjNS9_4plusIvEENS9_8equal_toIvEEjEE10hipError_tPvRmT2_T3_T4_T5_mT6_T7_P12ihipStream_tbENKUlT_T0_E_clISt17integral_constantIbLb1EES13_EEDaSY_SZ_EUlSY_E_NS1_11comp_targetILNS1_3genE0ELNS1_11target_archE4294967295ELNS1_3gpuE0ELNS1_3repE0EEENS1_30default_config_static_selectorELNS0_4arch9wavefront6targetE0EEEvT1_.private_seg_size, 0
	.set _ZN7rocprim17ROCPRIM_400000_NS6detail17trampoline_kernelINS0_14default_configENS1_27scan_by_key_config_selectorIijEEZZNS1_16scan_by_key_implILNS1_25lookback_scan_determinismE0ELb0ES3_N6thrust23THRUST_200600_302600_NS6detail15normal_iteratorINS9_10device_ptrIiEEEENSB_INSC_IjEEEENSB_INSC_IfEEEEjNS9_4plusIvEENS9_8equal_toIvEEjEE10hipError_tPvRmT2_T3_T4_T5_mT6_T7_P12ihipStream_tbENKUlT_T0_E_clISt17integral_constantIbLb1EES13_EEDaSY_SZ_EUlSY_E_NS1_11comp_targetILNS1_3genE0ELNS1_11target_archE4294967295ELNS1_3gpuE0ELNS1_3repE0EEENS1_30default_config_static_selectorELNS0_4arch9wavefront6targetE0EEEvT1_.uses_vcc, 0
	.set _ZN7rocprim17ROCPRIM_400000_NS6detail17trampoline_kernelINS0_14default_configENS1_27scan_by_key_config_selectorIijEEZZNS1_16scan_by_key_implILNS1_25lookback_scan_determinismE0ELb0ES3_N6thrust23THRUST_200600_302600_NS6detail15normal_iteratorINS9_10device_ptrIiEEEENSB_INSC_IjEEEENSB_INSC_IfEEEEjNS9_4plusIvEENS9_8equal_toIvEEjEE10hipError_tPvRmT2_T3_T4_T5_mT6_T7_P12ihipStream_tbENKUlT_T0_E_clISt17integral_constantIbLb1EES13_EEDaSY_SZ_EUlSY_E_NS1_11comp_targetILNS1_3genE0ELNS1_11target_archE4294967295ELNS1_3gpuE0ELNS1_3repE0EEENS1_30default_config_static_selectorELNS0_4arch9wavefront6targetE0EEEvT1_.uses_flat_scratch, 0
	.set _ZN7rocprim17ROCPRIM_400000_NS6detail17trampoline_kernelINS0_14default_configENS1_27scan_by_key_config_selectorIijEEZZNS1_16scan_by_key_implILNS1_25lookback_scan_determinismE0ELb0ES3_N6thrust23THRUST_200600_302600_NS6detail15normal_iteratorINS9_10device_ptrIiEEEENSB_INSC_IjEEEENSB_INSC_IfEEEEjNS9_4plusIvEENS9_8equal_toIvEEjEE10hipError_tPvRmT2_T3_T4_T5_mT6_T7_P12ihipStream_tbENKUlT_T0_E_clISt17integral_constantIbLb1EES13_EEDaSY_SZ_EUlSY_E_NS1_11comp_targetILNS1_3genE0ELNS1_11target_archE4294967295ELNS1_3gpuE0ELNS1_3repE0EEENS1_30default_config_static_selectorELNS0_4arch9wavefront6targetE0EEEvT1_.has_dyn_sized_stack, 0
	.set _ZN7rocprim17ROCPRIM_400000_NS6detail17trampoline_kernelINS0_14default_configENS1_27scan_by_key_config_selectorIijEEZZNS1_16scan_by_key_implILNS1_25lookback_scan_determinismE0ELb0ES3_N6thrust23THRUST_200600_302600_NS6detail15normal_iteratorINS9_10device_ptrIiEEEENSB_INSC_IjEEEENSB_INSC_IfEEEEjNS9_4plusIvEENS9_8equal_toIvEEjEE10hipError_tPvRmT2_T3_T4_T5_mT6_T7_P12ihipStream_tbENKUlT_T0_E_clISt17integral_constantIbLb1EES13_EEDaSY_SZ_EUlSY_E_NS1_11comp_targetILNS1_3genE0ELNS1_11target_archE4294967295ELNS1_3gpuE0ELNS1_3repE0EEENS1_30default_config_static_selectorELNS0_4arch9wavefront6targetE0EEEvT1_.has_recursion, 0
	.set _ZN7rocprim17ROCPRIM_400000_NS6detail17trampoline_kernelINS0_14default_configENS1_27scan_by_key_config_selectorIijEEZZNS1_16scan_by_key_implILNS1_25lookback_scan_determinismE0ELb0ES3_N6thrust23THRUST_200600_302600_NS6detail15normal_iteratorINS9_10device_ptrIiEEEENSB_INSC_IjEEEENSB_INSC_IfEEEEjNS9_4plusIvEENS9_8equal_toIvEEjEE10hipError_tPvRmT2_T3_T4_T5_mT6_T7_P12ihipStream_tbENKUlT_T0_E_clISt17integral_constantIbLb1EES13_EEDaSY_SZ_EUlSY_E_NS1_11comp_targetILNS1_3genE0ELNS1_11target_archE4294967295ELNS1_3gpuE0ELNS1_3repE0EEENS1_30default_config_static_selectorELNS0_4arch9wavefront6targetE0EEEvT1_.has_indirect_call, 0
	.section	.AMDGPU.csdata,"",@progbits
; Kernel info:
; codeLenInByte = 4
; TotalNumSgprs: 0
; NumVgprs: 0
; ScratchSize: 0
; MemoryBound: 0
; FloatMode: 240
; IeeeMode: 1
; LDSByteSize: 0 bytes/workgroup (compile time only)
; SGPRBlocks: 0
; VGPRBlocks: 0
; NumSGPRsForWavesPerEU: 1
; NumVGPRsForWavesPerEU: 1
; NamedBarCnt: 0
; Occupancy: 16
; WaveLimiterHint : 0
; COMPUTE_PGM_RSRC2:SCRATCH_EN: 0
; COMPUTE_PGM_RSRC2:USER_SGPR: 2
; COMPUTE_PGM_RSRC2:TRAP_HANDLER: 0
; COMPUTE_PGM_RSRC2:TGID_X_EN: 1
; COMPUTE_PGM_RSRC2:TGID_Y_EN: 0
; COMPUTE_PGM_RSRC2:TGID_Z_EN: 0
; COMPUTE_PGM_RSRC2:TIDIG_COMP_CNT: 0
	.section	.text._ZN7rocprim17ROCPRIM_400000_NS6detail17trampoline_kernelINS0_14default_configENS1_27scan_by_key_config_selectorIijEEZZNS1_16scan_by_key_implILNS1_25lookback_scan_determinismE0ELb0ES3_N6thrust23THRUST_200600_302600_NS6detail15normal_iteratorINS9_10device_ptrIiEEEENSB_INSC_IjEEEENSB_INSC_IfEEEEjNS9_4plusIvEENS9_8equal_toIvEEjEE10hipError_tPvRmT2_T3_T4_T5_mT6_T7_P12ihipStream_tbENKUlT_T0_E_clISt17integral_constantIbLb1EES13_EEDaSY_SZ_EUlSY_E_NS1_11comp_targetILNS1_3genE10ELNS1_11target_archE1201ELNS1_3gpuE5ELNS1_3repE0EEENS1_30default_config_static_selectorELNS0_4arch9wavefront6targetE0EEEvT1_,"axG",@progbits,_ZN7rocprim17ROCPRIM_400000_NS6detail17trampoline_kernelINS0_14default_configENS1_27scan_by_key_config_selectorIijEEZZNS1_16scan_by_key_implILNS1_25lookback_scan_determinismE0ELb0ES3_N6thrust23THRUST_200600_302600_NS6detail15normal_iteratorINS9_10device_ptrIiEEEENSB_INSC_IjEEEENSB_INSC_IfEEEEjNS9_4plusIvEENS9_8equal_toIvEEjEE10hipError_tPvRmT2_T3_T4_T5_mT6_T7_P12ihipStream_tbENKUlT_T0_E_clISt17integral_constantIbLb1EES13_EEDaSY_SZ_EUlSY_E_NS1_11comp_targetILNS1_3genE10ELNS1_11target_archE1201ELNS1_3gpuE5ELNS1_3repE0EEENS1_30default_config_static_selectorELNS0_4arch9wavefront6targetE0EEEvT1_,comdat
	.protected	_ZN7rocprim17ROCPRIM_400000_NS6detail17trampoline_kernelINS0_14default_configENS1_27scan_by_key_config_selectorIijEEZZNS1_16scan_by_key_implILNS1_25lookback_scan_determinismE0ELb0ES3_N6thrust23THRUST_200600_302600_NS6detail15normal_iteratorINS9_10device_ptrIiEEEENSB_INSC_IjEEEENSB_INSC_IfEEEEjNS9_4plusIvEENS9_8equal_toIvEEjEE10hipError_tPvRmT2_T3_T4_T5_mT6_T7_P12ihipStream_tbENKUlT_T0_E_clISt17integral_constantIbLb1EES13_EEDaSY_SZ_EUlSY_E_NS1_11comp_targetILNS1_3genE10ELNS1_11target_archE1201ELNS1_3gpuE5ELNS1_3repE0EEENS1_30default_config_static_selectorELNS0_4arch9wavefront6targetE0EEEvT1_ ; -- Begin function _ZN7rocprim17ROCPRIM_400000_NS6detail17trampoline_kernelINS0_14default_configENS1_27scan_by_key_config_selectorIijEEZZNS1_16scan_by_key_implILNS1_25lookback_scan_determinismE0ELb0ES3_N6thrust23THRUST_200600_302600_NS6detail15normal_iteratorINS9_10device_ptrIiEEEENSB_INSC_IjEEEENSB_INSC_IfEEEEjNS9_4plusIvEENS9_8equal_toIvEEjEE10hipError_tPvRmT2_T3_T4_T5_mT6_T7_P12ihipStream_tbENKUlT_T0_E_clISt17integral_constantIbLb1EES13_EEDaSY_SZ_EUlSY_E_NS1_11comp_targetILNS1_3genE10ELNS1_11target_archE1201ELNS1_3gpuE5ELNS1_3repE0EEENS1_30default_config_static_selectorELNS0_4arch9wavefront6targetE0EEEvT1_
	.globl	_ZN7rocprim17ROCPRIM_400000_NS6detail17trampoline_kernelINS0_14default_configENS1_27scan_by_key_config_selectorIijEEZZNS1_16scan_by_key_implILNS1_25lookback_scan_determinismE0ELb0ES3_N6thrust23THRUST_200600_302600_NS6detail15normal_iteratorINS9_10device_ptrIiEEEENSB_INSC_IjEEEENSB_INSC_IfEEEEjNS9_4plusIvEENS9_8equal_toIvEEjEE10hipError_tPvRmT2_T3_T4_T5_mT6_T7_P12ihipStream_tbENKUlT_T0_E_clISt17integral_constantIbLb1EES13_EEDaSY_SZ_EUlSY_E_NS1_11comp_targetILNS1_3genE10ELNS1_11target_archE1201ELNS1_3gpuE5ELNS1_3repE0EEENS1_30default_config_static_selectorELNS0_4arch9wavefront6targetE0EEEvT1_
	.p2align	8
	.type	_ZN7rocprim17ROCPRIM_400000_NS6detail17trampoline_kernelINS0_14default_configENS1_27scan_by_key_config_selectorIijEEZZNS1_16scan_by_key_implILNS1_25lookback_scan_determinismE0ELb0ES3_N6thrust23THRUST_200600_302600_NS6detail15normal_iteratorINS9_10device_ptrIiEEEENSB_INSC_IjEEEENSB_INSC_IfEEEEjNS9_4plusIvEENS9_8equal_toIvEEjEE10hipError_tPvRmT2_T3_T4_T5_mT6_T7_P12ihipStream_tbENKUlT_T0_E_clISt17integral_constantIbLb1EES13_EEDaSY_SZ_EUlSY_E_NS1_11comp_targetILNS1_3genE10ELNS1_11target_archE1201ELNS1_3gpuE5ELNS1_3repE0EEENS1_30default_config_static_selectorELNS0_4arch9wavefront6targetE0EEEvT1_,@function
_ZN7rocprim17ROCPRIM_400000_NS6detail17trampoline_kernelINS0_14default_configENS1_27scan_by_key_config_selectorIijEEZZNS1_16scan_by_key_implILNS1_25lookback_scan_determinismE0ELb0ES3_N6thrust23THRUST_200600_302600_NS6detail15normal_iteratorINS9_10device_ptrIiEEEENSB_INSC_IjEEEENSB_INSC_IfEEEEjNS9_4plusIvEENS9_8equal_toIvEEjEE10hipError_tPvRmT2_T3_T4_T5_mT6_T7_P12ihipStream_tbENKUlT_T0_E_clISt17integral_constantIbLb1EES13_EEDaSY_SZ_EUlSY_E_NS1_11comp_targetILNS1_3genE10ELNS1_11target_archE1201ELNS1_3gpuE5ELNS1_3repE0EEENS1_30default_config_static_selectorELNS0_4arch9wavefront6targetE0EEEvT1_: ; @_ZN7rocprim17ROCPRIM_400000_NS6detail17trampoline_kernelINS0_14default_configENS1_27scan_by_key_config_selectorIijEEZZNS1_16scan_by_key_implILNS1_25lookback_scan_determinismE0ELb0ES3_N6thrust23THRUST_200600_302600_NS6detail15normal_iteratorINS9_10device_ptrIiEEEENSB_INSC_IjEEEENSB_INSC_IfEEEEjNS9_4plusIvEENS9_8equal_toIvEEjEE10hipError_tPvRmT2_T3_T4_T5_mT6_T7_P12ihipStream_tbENKUlT_T0_E_clISt17integral_constantIbLb1EES13_EEDaSY_SZ_EUlSY_E_NS1_11comp_targetILNS1_3genE10ELNS1_11target_archE1201ELNS1_3gpuE5ELNS1_3repE0EEENS1_30default_config_static_selectorELNS0_4arch9wavefront6targetE0EEEvT1_
; %bb.0:
	.section	.rodata,"a",@progbits
	.p2align	6, 0x0
	.amdhsa_kernel _ZN7rocprim17ROCPRIM_400000_NS6detail17trampoline_kernelINS0_14default_configENS1_27scan_by_key_config_selectorIijEEZZNS1_16scan_by_key_implILNS1_25lookback_scan_determinismE0ELb0ES3_N6thrust23THRUST_200600_302600_NS6detail15normal_iteratorINS9_10device_ptrIiEEEENSB_INSC_IjEEEENSB_INSC_IfEEEEjNS9_4plusIvEENS9_8equal_toIvEEjEE10hipError_tPvRmT2_T3_T4_T5_mT6_T7_P12ihipStream_tbENKUlT_T0_E_clISt17integral_constantIbLb1EES13_EEDaSY_SZ_EUlSY_E_NS1_11comp_targetILNS1_3genE10ELNS1_11target_archE1201ELNS1_3gpuE5ELNS1_3repE0EEENS1_30default_config_static_selectorELNS0_4arch9wavefront6targetE0EEEvT1_
		.amdhsa_group_segment_fixed_size 0
		.amdhsa_private_segment_fixed_size 0
		.amdhsa_kernarg_size 112
		.amdhsa_user_sgpr_count 2
		.amdhsa_user_sgpr_dispatch_ptr 0
		.amdhsa_user_sgpr_queue_ptr 0
		.amdhsa_user_sgpr_kernarg_segment_ptr 1
		.amdhsa_user_sgpr_dispatch_id 0
		.amdhsa_user_sgpr_kernarg_preload_length 0
		.amdhsa_user_sgpr_kernarg_preload_offset 0
		.amdhsa_user_sgpr_private_segment_size 0
		.amdhsa_wavefront_size32 1
		.amdhsa_uses_dynamic_stack 0
		.amdhsa_enable_private_segment 0
		.amdhsa_system_sgpr_workgroup_id_x 1
		.amdhsa_system_sgpr_workgroup_id_y 0
		.amdhsa_system_sgpr_workgroup_id_z 0
		.amdhsa_system_sgpr_workgroup_info 0
		.amdhsa_system_vgpr_workitem_id 0
		.amdhsa_next_free_vgpr 1
		.amdhsa_next_free_sgpr 1
		.amdhsa_named_barrier_count 0
		.amdhsa_reserve_vcc 0
		.amdhsa_float_round_mode_32 0
		.amdhsa_float_round_mode_16_64 0
		.amdhsa_float_denorm_mode_32 3
		.amdhsa_float_denorm_mode_16_64 3
		.amdhsa_fp16_overflow 0
		.amdhsa_memory_ordered 1
		.amdhsa_forward_progress 1
		.amdhsa_inst_pref_size 0
		.amdhsa_round_robin_scheduling 0
		.amdhsa_exception_fp_ieee_invalid_op 0
		.amdhsa_exception_fp_denorm_src 0
		.amdhsa_exception_fp_ieee_div_zero 0
		.amdhsa_exception_fp_ieee_overflow 0
		.amdhsa_exception_fp_ieee_underflow 0
		.amdhsa_exception_fp_ieee_inexact 0
		.amdhsa_exception_int_div_zero 0
	.end_amdhsa_kernel
	.section	.text._ZN7rocprim17ROCPRIM_400000_NS6detail17trampoline_kernelINS0_14default_configENS1_27scan_by_key_config_selectorIijEEZZNS1_16scan_by_key_implILNS1_25lookback_scan_determinismE0ELb0ES3_N6thrust23THRUST_200600_302600_NS6detail15normal_iteratorINS9_10device_ptrIiEEEENSB_INSC_IjEEEENSB_INSC_IfEEEEjNS9_4plusIvEENS9_8equal_toIvEEjEE10hipError_tPvRmT2_T3_T4_T5_mT6_T7_P12ihipStream_tbENKUlT_T0_E_clISt17integral_constantIbLb1EES13_EEDaSY_SZ_EUlSY_E_NS1_11comp_targetILNS1_3genE10ELNS1_11target_archE1201ELNS1_3gpuE5ELNS1_3repE0EEENS1_30default_config_static_selectorELNS0_4arch9wavefront6targetE0EEEvT1_,"axG",@progbits,_ZN7rocprim17ROCPRIM_400000_NS6detail17trampoline_kernelINS0_14default_configENS1_27scan_by_key_config_selectorIijEEZZNS1_16scan_by_key_implILNS1_25lookback_scan_determinismE0ELb0ES3_N6thrust23THRUST_200600_302600_NS6detail15normal_iteratorINS9_10device_ptrIiEEEENSB_INSC_IjEEEENSB_INSC_IfEEEEjNS9_4plusIvEENS9_8equal_toIvEEjEE10hipError_tPvRmT2_T3_T4_T5_mT6_T7_P12ihipStream_tbENKUlT_T0_E_clISt17integral_constantIbLb1EES13_EEDaSY_SZ_EUlSY_E_NS1_11comp_targetILNS1_3genE10ELNS1_11target_archE1201ELNS1_3gpuE5ELNS1_3repE0EEENS1_30default_config_static_selectorELNS0_4arch9wavefront6targetE0EEEvT1_,comdat
.Lfunc_end1654:
	.size	_ZN7rocprim17ROCPRIM_400000_NS6detail17trampoline_kernelINS0_14default_configENS1_27scan_by_key_config_selectorIijEEZZNS1_16scan_by_key_implILNS1_25lookback_scan_determinismE0ELb0ES3_N6thrust23THRUST_200600_302600_NS6detail15normal_iteratorINS9_10device_ptrIiEEEENSB_INSC_IjEEEENSB_INSC_IfEEEEjNS9_4plusIvEENS9_8equal_toIvEEjEE10hipError_tPvRmT2_T3_T4_T5_mT6_T7_P12ihipStream_tbENKUlT_T0_E_clISt17integral_constantIbLb1EES13_EEDaSY_SZ_EUlSY_E_NS1_11comp_targetILNS1_3genE10ELNS1_11target_archE1201ELNS1_3gpuE5ELNS1_3repE0EEENS1_30default_config_static_selectorELNS0_4arch9wavefront6targetE0EEEvT1_, .Lfunc_end1654-_ZN7rocprim17ROCPRIM_400000_NS6detail17trampoline_kernelINS0_14default_configENS1_27scan_by_key_config_selectorIijEEZZNS1_16scan_by_key_implILNS1_25lookback_scan_determinismE0ELb0ES3_N6thrust23THRUST_200600_302600_NS6detail15normal_iteratorINS9_10device_ptrIiEEEENSB_INSC_IjEEEENSB_INSC_IfEEEEjNS9_4plusIvEENS9_8equal_toIvEEjEE10hipError_tPvRmT2_T3_T4_T5_mT6_T7_P12ihipStream_tbENKUlT_T0_E_clISt17integral_constantIbLb1EES13_EEDaSY_SZ_EUlSY_E_NS1_11comp_targetILNS1_3genE10ELNS1_11target_archE1201ELNS1_3gpuE5ELNS1_3repE0EEENS1_30default_config_static_selectorELNS0_4arch9wavefront6targetE0EEEvT1_
                                        ; -- End function
	.set _ZN7rocprim17ROCPRIM_400000_NS6detail17trampoline_kernelINS0_14default_configENS1_27scan_by_key_config_selectorIijEEZZNS1_16scan_by_key_implILNS1_25lookback_scan_determinismE0ELb0ES3_N6thrust23THRUST_200600_302600_NS6detail15normal_iteratorINS9_10device_ptrIiEEEENSB_INSC_IjEEEENSB_INSC_IfEEEEjNS9_4plusIvEENS9_8equal_toIvEEjEE10hipError_tPvRmT2_T3_T4_T5_mT6_T7_P12ihipStream_tbENKUlT_T0_E_clISt17integral_constantIbLb1EES13_EEDaSY_SZ_EUlSY_E_NS1_11comp_targetILNS1_3genE10ELNS1_11target_archE1201ELNS1_3gpuE5ELNS1_3repE0EEENS1_30default_config_static_selectorELNS0_4arch9wavefront6targetE0EEEvT1_.num_vgpr, 0
	.set _ZN7rocprim17ROCPRIM_400000_NS6detail17trampoline_kernelINS0_14default_configENS1_27scan_by_key_config_selectorIijEEZZNS1_16scan_by_key_implILNS1_25lookback_scan_determinismE0ELb0ES3_N6thrust23THRUST_200600_302600_NS6detail15normal_iteratorINS9_10device_ptrIiEEEENSB_INSC_IjEEEENSB_INSC_IfEEEEjNS9_4plusIvEENS9_8equal_toIvEEjEE10hipError_tPvRmT2_T3_T4_T5_mT6_T7_P12ihipStream_tbENKUlT_T0_E_clISt17integral_constantIbLb1EES13_EEDaSY_SZ_EUlSY_E_NS1_11comp_targetILNS1_3genE10ELNS1_11target_archE1201ELNS1_3gpuE5ELNS1_3repE0EEENS1_30default_config_static_selectorELNS0_4arch9wavefront6targetE0EEEvT1_.num_agpr, 0
	.set _ZN7rocprim17ROCPRIM_400000_NS6detail17trampoline_kernelINS0_14default_configENS1_27scan_by_key_config_selectorIijEEZZNS1_16scan_by_key_implILNS1_25lookback_scan_determinismE0ELb0ES3_N6thrust23THRUST_200600_302600_NS6detail15normal_iteratorINS9_10device_ptrIiEEEENSB_INSC_IjEEEENSB_INSC_IfEEEEjNS9_4plusIvEENS9_8equal_toIvEEjEE10hipError_tPvRmT2_T3_T4_T5_mT6_T7_P12ihipStream_tbENKUlT_T0_E_clISt17integral_constantIbLb1EES13_EEDaSY_SZ_EUlSY_E_NS1_11comp_targetILNS1_3genE10ELNS1_11target_archE1201ELNS1_3gpuE5ELNS1_3repE0EEENS1_30default_config_static_selectorELNS0_4arch9wavefront6targetE0EEEvT1_.numbered_sgpr, 0
	.set _ZN7rocprim17ROCPRIM_400000_NS6detail17trampoline_kernelINS0_14default_configENS1_27scan_by_key_config_selectorIijEEZZNS1_16scan_by_key_implILNS1_25lookback_scan_determinismE0ELb0ES3_N6thrust23THRUST_200600_302600_NS6detail15normal_iteratorINS9_10device_ptrIiEEEENSB_INSC_IjEEEENSB_INSC_IfEEEEjNS9_4plusIvEENS9_8equal_toIvEEjEE10hipError_tPvRmT2_T3_T4_T5_mT6_T7_P12ihipStream_tbENKUlT_T0_E_clISt17integral_constantIbLb1EES13_EEDaSY_SZ_EUlSY_E_NS1_11comp_targetILNS1_3genE10ELNS1_11target_archE1201ELNS1_3gpuE5ELNS1_3repE0EEENS1_30default_config_static_selectorELNS0_4arch9wavefront6targetE0EEEvT1_.num_named_barrier, 0
	.set _ZN7rocprim17ROCPRIM_400000_NS6detail17trampoline_kernelINS0_14default_configENS1_27scan_by_key_config_selectorIijEEZZNS1_16scan_by_key_implILNS1_25lookback_scan_determinismE0ELb0ES3_N6thrust23THRUST_200600_302600_NS6detail15normal_iteratorINS9_10device_ptrIiEEEENSB_INSC_IjEEEENSB_INSC_IfEEEEjNS9_4plusIvEENS9_8equal_toIvEEjEE10hipError_tPvRmT2_T3_T4_T5_mT6_T7_P12ihipStream_tbENKUlT_T0_E_clISt17integral_constantIbLb1EES13_EEDaSY_SZ_EUlSY_E_NS1_11comp_targetILNS1_3genE10ELNS1_11target_archE1201ELNS1_3gpuE5ELNS1_3repE0EEENS1_30default_config_static_selectorELNS0_4arch9wavefront6targetE0EEEvT1_.private_seg_size, 0
	.set _ZN7rocprim17ROCPRIM_400000_NS6detail17trampoline_kernelINS0_14default_configENS1_27scan_by_key_config_selectorIijEEZZNS1_16scan_by_key_implILNS1_25lookback_scan_determinismE0ELb0ES3_N6thrust23THRUST_200600_302600_NS6detail15normal_iteratorINS9_10device_ptrIiEEEENSB_INSC_IjEEEENSB_INSC_IfEEEEjNS9_4plusIvEENS9_8equal_toIvEEjEE10hipError_tPvRmT2_T3_T4_T5_mT6_T7_P12ihipStream_tbENKUlT_T0_E_clISt17integral_constantIbLb1EES13_EEDaSY_SZ_EUlSY_E_NS1_11comp_targetILNS1_3genE10ELNS1_11target_archE1201ELNS1_3gpuE5ELNS1_3repE0EEENS1_30default_config_static_selectorELNS0_4arch9wavefront6targetE0EEEvT1_.uses_vcc, 0
	.set _ZN7rocprim17ROCPRIM_400000_NS6detail17trampoline_kernelINS0_14default_configENS1_27scan_by_key_config_selectorIijEEZZNS1_16scan_by_key_implILNS1_25lookback_scan_determinismE0ELb0ES3_N6thrust23THRUST_200600_302600_NS6detail15normal_iteratorINS9_10device_ptrIiEEEENSB_INSC_IjEEEENSB_INSC_IfEEEEjNS9_4plusIvEENS9_8equal_toIvEEjEE10hipError_tPvRmT2_T3_T4_T5_mT6_T7_P12ihipStream_tbENKUlT_T0_E_clISt17integral_constantIbLb1EES13_EEDaSY_SZ_EUlSY_E_NS1_11comp_targetILNS1_3genE10ELNS1_11target_archE1201ELNS1_3gpuE5ELNS1_3repE0EEENS1_30default_config_static_selectorELNS0_4arch9wavefront6targetE0EEEvT1_.uses_flat_scratch, 0
	.set _ZN7rocprim17ROCPRIM_400000_NS6detail17trampoline_kernelINS0_14default_configENS1_27scan_by_key_config_selectorIijEEZZNS1_16scan_by_key_implILNS1_25lookback_scan_determinismE0ELb0ES3_N6thrust23THRUST_200600_302600_NS6detail15normal_iteratorINS9_10device_ptrIiEEEENSB_INSC_IjEEEENSB_INSC_IfEEEEjNS9_4plusIvEENS9_8equal_toIvEEjEE10hipError_tPvRmT2_T3_T4_T5_mT6_T7_P12ihipStream_tbENKUlT_T0_E_clISt17integral_constantIbLb1EES13_EEDaSY_SZ_EUlSY_E_NS1_11comp_targetILNS1_3genE10ELNS1_11target_archE1201ELNS1_3gpuE5ELNS1_3repE0EEENS1_30default_config_static_selectorELNS0_4arch9wavefront6targetE0EEEvT1_.has_dyn_sized_stack, 0
	.set _ZN7rocprim17ROCPRIM_400000_NS6detail17trampoline_kernelINS0_14default_configENS1_27scan_by_key_config_selectorIijEEZZNS1_16scan_by_key_implILNS1_25lookback_scan_determinismE0ELb0ES3_N6thrust23THRUST_200600_302600_NS6detail15normal_iteratorINS9_10device_ptrIiEEEENSB_INSC_IjEEEENSB_INSC_IfEEEEjNS9_4plusIvEENS9_8equal_toIvEEjEE10hipError_tPvRmT2_T3_T4_T5_mT6_T7_P12ihipStream_tbENKUlT_T0_E_clISt17integral_constantIbLb1EES13_EEDaSY_SZ_EUlSY_E_NS1_11comp_targetILNS1_3genE10ELNS1_11target_archE1201ELNS1_3gpuE5ELNS1_3repE0EEENS1_30default_config_static_selectorELNS0_4arch9wavefront6targetE0EEEvT1_.has_recursion, 0
	.set _ZN7rocprim17ROCPRIM_400000_NS6detail17trampoline_kernelINS0_14default_configENS1_27scan_by_key_config_selectorIijEEZZNS1_16scan_by_key_implILNS1_25lookback_scan_determinismE0ELb0ES3_N6thrust23THRUST_200600_302600_NS6detail15normal_iteratorINS9_10device_ptrIiEEEENSB_INSC_IjEEEENSB_INSC_IfEEEEjNS9_4plusIvEENS9_8equal_toIvEEjEE10hipError_tPvRmT2_T3_T4_T5_mT6_T7_P12ihipStream_tbENKUlT_T0_E_clISt17integral_constantIbLb1EES13_EEDaSY_SZ_EUlSY_E_NS1_11comp_targetILNS1_3genE10ELNS1_11target_archE1201ELNS1_3gpuE5ELNS1_3repE0EEENS1_30default_config_static_selectorELNS0_4arch9wavefront6targetE0EEEvT1_.has_indirect_call, 0
	.section	.AMDGPU.csdata,"",@progbits
; Kernel info:
; codeLenInByte = 0
; TotalNumSgprs: 0
; NumVgprs: 0
; ScratchSize: 0
; MemoryBound: 0
; FloatMode: 240
; IeeeMode: 1
; LDSByteSize: 0 bytes/workgroup (compile time only)
; SGPRBlocks: 0
; VGPRBlocks: 0
; NumSGPRsForWavesPerEU: 1
; NumVGPRsForWavesPerEU: 1
; NamedBarCnt: 0
; Occupancy: 16
; WaveLimiterHint : 0
; COMPUTE_PGM_RSRC2:SCRATCH_EN: 0
; COMPUTE_PGM_RSRC2:USER_SGPR: 2
; COMPUTE_PGM_RSRC2:TRAP_HANDLER: 0
; COMPUTE_PGM_RSRC2:TGID_X_EN: 1
; COMPUTE_PGM_RSRC2:TGID_Y_EN: 0
; COMPUTE_PGM_RSRC2:TGID_Z_EN: 0
; COMPUTE_PGM_RSRC2:TIDIG_COMP_CNT: 0
	.section	.text._ZN7rocprim17ROCPRIM_400000_NS6detail17trampoline_kernelINS0_14default_configENS1_27scan_by_key_config_selectorIijEEZZNS1_16scan_by_key_implILNS1_25lookback_scan_determinismE0ELb0ES3_N6thrust23THRUST_200600_302600_NS6detail15normal_iteratorINS9_10device_ptrIiEEEENSB_INSC_IjEEEENSB_INSC_IfEEEEjNS9_4plusIvEENS9_8equal_toIvEEjEE10hipError_tPvRmT2_T3_T4_T5_mT6_T7_P12ihipStream_tbENKUlT_T0_E_clISt17integral_constantIbLb1EES13_EEDaSY_SZ_EUlSY_E_NS1_11comp_targetILNS1_3genE5ELNS1_11target_archE942ELNS1_3gpuE9ELNS1_3repE0EEENS1_30default_config_static_selectorELNS0_4arch9wavefront6targetE0EEEvT1_,"axG",@progbits,_ZN7rocprim17ROCPRIM_400000_NS6detail17trampoline_kernelINS0_14default_configENS1_27scan_by_key_config_selectorIijEEZZNS1_16scan_by_key_implILNS1_25lookback_scan_determinismE0ELb0ES3_N6thrust23THRUST_200600_302600_NS6detail15normal_iteratorINS9_10device_ptrIiEEEENSB_INSC_IjEEEENSB_INSC_IfEEEEjNS9_4plusIvEENS9_8equal_toIvEEjEE10hipError_tPvRmT2_T3_T4_T5_mT6_T7_P12ihipStream_tbENKUlT_T0_E_clISt17integral_constantIbLb1EES13_EEDaSY_SZ_EUlSY_E_NS1_11comp_targetILNS1_3genE5ELNS1_11target_archE942ELNS1_3gpuE9ELNS1_3repE0EEENS1_30default_config_static_selectorELNS0_4arch9wavefront6targetE0EEEvT1_,comdat
	.protected	_ZN7rocprim17ROCPRIM_400000_NS6detail17trampoline_kernelINS0_14default_configENS1_27scan_by_key_config_selectorIijEEZZNS1_16scan_by_key_implILNS1_25lookback_scan_determinismE0ELb0ES3_N6thrust23THRUST_200600_302600_NS6detail15normal_iteratorINS9_10device_ptrIiEEEENSB_INSC_IjEEEENSB_INSC_IfEEEEjNS9_4plusIvEENS9_8equal_toIvEEjEE10hipError_tPvRmT2_T3_T4_T5_mT6_T7_P12ihipStream_tbENKUlT_T0_E_clISt17integral_constantIbLb1EES13_EEDaSY_SZ_EUlSY_E_NS1_11comp_targetILNS1_3genE5ELNS1_11target_archE942ELNS1_3gpuE9ELNS1_3repE0EEENS1_30default_config_static_selectorELNS0_4arch9wavefront6targetE0EEEvT1_ ; -- Begin function _ZN7rocprim17ROCPRIM_400000_NS6detail17trampoline_kernelINS0_14default_configENS1_27scan_by_key_config_selectorIijEEZZNS1_16scan_by_key_implILNS1_25lookback_scan_determinismE0ELb0ES3_N6thrust23THRUST_200600_302600_NS6detail15normal_iteratorINS9_10device_ptrIiEEEENSB_INSC_IjEEEENSB_INSC_IfEEEEjNS9_4plusIvEENS9_8equal_toIvEEjEE10hipError_tPvRmT2_T3_T4_T5_mT6_T7_P12ihipStream_tbENKUlT_T0_E_clISt17integral_constantIbLb1EES13_EEDaSY_SZ_EUlSY_E_NS1_11comp_targetILNS1_3genE5ELNS1_11target_archE942ELNS1_3gpuE9ELNS1_3repE0EEENS1_30default_config_static_selectorELNS0_4arch9wavefront6targetE0EEEvT1_
	.globl	_ZN7rocprim17ROCPRIM_400000_NS6detail17trampoline_kernelINS0_14default_configENS1_27scan_by_key_config_selectorIijEEZZNS1_16scan_by_key_implILNS1_25lookback_scan_determinismE0ELb0ES3_N6thrust23THRUST_200600_302600_NS6detail15normal_iteratorINS9_10device_ptrIiEEEENSB_INSC_IjEEEENSB_INSC_IfEEEEjNS9_4plusIvEENS9_8equal_toIvEEjEE10hipError_tPvRmT2_T3_T4_T5_mT6_T7_P12ihipStream_tbENKUlT_T0_E_clISt17integral_constantIbLb1EES13_EEDaSY_SZ_EUlSY_E_NS1_11comp_targetILNS1_3genE5ELNS1_11target_archE942ELNS1_3gpuE9ELNS1_3repE0EEENS1_30default_config_static_selectorELNS0_4arch9wavefront6targetE0EEEvT1_
	.p2align	8
	.type	_ZN7rocprim17ROCPRIM_400000_NS6detail17trampoline_kernelINS0_14default_configENS1_27scan_by_key_config_selectorIijEEZZNS1_16scan_by_key_implILNS1_25lookback_scan_determinismE0ELb0ES3_N6thrust23THRUST_200600_302600_NS6detail15normal_iteratorINS9_10device_ptrIiEEEENSB_INSC_IjEEEENSB_INSC_IfEEEEjNS9_4plusIvEENS9_8equal_toIvEEjEE10hipError_tPvRmT2_T3_T4_T5_mT6_T7_P12ihipStream_tbENKUlT_T0_E_clISt17integral_constantIbLb1EES13_EEDaSY_SZ_EUlSY_E_NS1_11comp_targetILNS1_3genE5ELNS1_11target_archE942ELNS1_3gpuE9ELNS1_3repE0EEENS1_30default_config_static_selectorELNS0_4arch9wavefront6targetE0EEEvT1_,@function
_ZN7rocprim17ROCPRIM_400000_NS6detail17trampoline_kernelINS0_14default_configENS1_27scan_by_key_config_selectorIijEEZZNS1_16scan_by_key_implILNS1_25lookback_scan_determinismE0ELb0ES3_N6thrust23THRUST_200600_302600_NS6detail15normal_iteratorINS9_10device_ptrIiEEEENSB_INSC_IjEEEENSB_INSC_IfEEEEjNS9_4plusIvEENS9_8equal_toIvEEjEE10hipError_tPvRmT2_T3_T4_T5_mT6_T7_P12ihipStream_tbENKUlT_T0_E_clISt17integral_constantIbLb1EES13_EEDaSY_SZ_EUlSY_E_NS1_11comp_targetILNS1_3genE5ELNS1_11target_archE942ELNS1_3gpuE9ELNS1_3repE0EEENS1_30default_config_static_selectorELNS0_4arch9wavefront6targetE0EEEvT1_: ; @_ZN7rocprim17ROCPRIM_400000_NS6detail17trampoline_kernelINS0_14default_configENS1_27scan_by_key_config_selectorIijEEZZNS1_16scan_by_key_implILNS1_25lookback_scan_determinismE0ELb0ES3_N6thrust23THRUST_200600_302600_NS6detail15normal_iteratorINS9_10device_ptrIiEEEENSB_INSC_IjEEEENSB_INSC_IfEEEEjNS9_4plusIvEENS9_8equal_toIvEEjEE10hipError_tPvRmT2_T3_T4_T5_mT6_T7_P12ihipStream_tbENKUlT_T0_E_clISt17integral_constantIbLb1EES13_EEDaSY_SZ_EUlSY_E_NS1_11comp_targetILNS1_3genE5ELNS1_11target_archE942ELNS1_3gpuE9ELNS1_3repE0EEENS1_30default_config_static_selectorELNS0_4arch9wavefront6targetE0EEEvT1_
; %bb.0:
	.section	.rodata,"a",@progbits
	.p2align	6, 0x0
	.amdhsa_kernel _ZN7rocprim17ROCPRIM_400000_NS6detail17trampoline_kernelINS0_14default_configENS1_27scan_by_key_config_selectorIijEEZZNS1_16scan_by_key_implILNS1_25lookback_scan_determinismE0ELb0ES3_N6thrust23THRUST_200600_302600_NS6detail15normal_iteratorINS9_10device_ptrIiEEEENSB_INSC_IjEEEENSB_INSC_IfEEEEjNS9_4plusIvEENS9_8equal_toIvEEjEE10hipError_tPvRmT2_T3_T4_T5_mT6_T7_P12ihipStream_tbENKUlT_T0_E_clISt17integral_constantIbLb1EES13_EEDaSY_SZ_EUlSY_E_NS1_11comp_targetILNS1_3genE5ELNS1_11target_archE942ELNS1_3gpuE9ELNS1_3repE0EEENS1_30default_config_static_selectorELNS0_4arch9wavefront6targetE0EEEvT1_
		.amdhsa_group_segment_fixed_size 0
		.amdhsa_private_segment_fixed_size 0
		.amdhsa_kernarg_size 112
		.amdhsa_user_sgpr_count 2
		.amdhsa_user_sgpr_dispatch_ptr 0
		.amdhsa_user_sgpr_queue_ptr 0
		.amdhsa_user_sgpr_kernarg_segment_ptr 1
		.amdhsa_user_sgpr_dispatch_id 0
		.amdhsa_user_sgpr_kernarg_preload_length 0
		.amdhsa_user_sgpr_kernarg_preload_offset 0
		.amdhsa_user_sgpr_private_segment_size 0
		.amdhsa_wavefront_size32 1
		.amdhsa_uses_dynamic_stack 0
		.amdhsa_enable_private_segment 0
		.amdhsa_system_sgpr_workgroup_id_x 1
		.amdhsa_system_sgpr_workgroup_id_y 0
		.amdhsa_system_sgpr_workgroup_id_z 0
		.amdhsa_system_sgpr_workgroup_info 0
		.amdhsa_system_vgpr_workitem_id 0
		.amdhsa_next_free_vgpr 1
		.amdhsa_next_free_sgpr 1
		.amdhsa_named_barrier_count 0
		.amdhsa_reserve_vcc 0
		.amdhsa_float_round_mode_32 0
		.amdhsa_float_round_mode_16_64 0
		.amdhsa_float_denorm_mode_32 3
		.amdhsa_float_denorm_mode_16_64 3
		.amdhsa_fp16_overflow 0
		.amdhsa_memory_ordered 1
		.amdhsa_forward_progress 1
		.amdhsa_inst_pref_size 0
		.amdhsa_round_robin_scheduling 0
		.amdhsa_exception_fp_ieee_invalid_op 0
		.amdhsa_exception_fp_denorm_src 0
		.amdhsa_exception_fp_ieee_div_zero 0
		.amdhsa_exception_fp_ieee_overflow 0
		.amdhsa_exception_fp_ieee_underflow 0
		.amdhsa_exception_fp_ieee_inexact 0
		.amdhsa_exception_int_div_zero 0
	.end_amdhsa_kernel
	.section	.text._ZN7rocprim17ROCPRIM_400000_NS6detail17trampoline_kernelINS0_14default_configENS1_27scan_by_key_config_selectorIijEEZZNS1_16scan_by_key_implILNS1_25lookback_scan_determinismE0ELb0ES3_N6thrust23THRUST_200600_302600_NS6detail15normal_iteratorINS9_10device_ptrIiEEEENSB_INSC_IjEEEENSB_INSC_IfEEEEjNS9_4plusIvEENS9_8equal_toIvEEjEE10hipError_tPvRmT2_T3_T4_T5_mT6_T7_P12ihipStream_tbENKUlT_T0_E_clISt17integral_constantIbLb1EES13_EEDaSY_SZ_EUlSY_E_NS1_11comp_targetILNS1_3genE5ELNS1_11target_archE942ELNS1_3gpuE9ELNS1_3repE0EEENS1_30default_config_static_selectorELNS0_4arch9wavefront6targetE0EEEvT1_,"axG",@progbits,_ZN7rocprim17ROCPRIM_400000_NS6detail17trampoline_kernelINS0_14default_configENS1_27scan_by_key_config_selectorIijEEZZNS1_16scan_by_key_implILNS1_25lookback_scan_determinismE0ELb0ES3_N6thrust23THRUST_200600_302600_NS6detail15normal_iteratorINS9_10device_ptrIiEEEENSB_INSC_IjEEEENSB_INSC_IfEEEEjNS9_4plusIvEENS9_8equal_toIvEEjEE10hipError_tPvRmT2_T3_T4_T5_mT6_T7_P12ihipStream_tbENKUlT_T0_E_clISt17integral_constantIbLb1EES13_EEDaSY_SZ_EUlSY_E_NS1_11comp_targetILNS1_3genE5ELNS1_11target_archE942ELNS1_3gpuE9ELNS1_3repE0EEENS1_30default_config_static_selectorELNS0_4arch9wavefront6targetE0EEEvT1_,comdat
.Lfunc_end1655:
	.size	_ZN7rocprim17ROCPRIM_400000_NS6detail17trampoline_kernelINS0_14default_configENS1_27scan_by_key_config_selectorIijEEZZNS1_16scan_by_key_implILNS1_25lookback_scan_determinismE0ELb0ES3_N6thrust23THRUST_200600_302600_NS6detail15normal_iteratorINS9_10device_ptrIiEEEENSB_INSC_IjEEEENSB_INSC_IfEEEEjNS9_4plusIvEENS9_8equal_toIvEEjEE10hipError_tPvRmT2_T3_T4_T5_mT6_T7_P12ihipStream_tbENKUlT_T0_E_clISt17integral_constantIbLb1EES13_EEDaSY_SZ_EUlSY_E_NS1_11comp_targetILNS1_3genE5ELNS1_11target_archE942ELNS1_3gpuE9ELNS1_3repE0EEENS1_30default_config_static_selectorELNS0_4arch9wavefront6targetE0EEEvT1_, .Lfunc_end1655-_ZN7rocprim17ROCPRIM_400000_NS6detail17trampoline_kernelINS0_14default_configENS1_27scan_by_key_config_selectorIijEEZZNS1_16scan_by_key_implILNS1_25lookback_scan_determinismE0ELb0ES3_N6thrust23THRUST_200600_302600_NS6detail15normal_iteratorINS9_10device_ptrIiEEEENSB_INSC_IjEEEENSB_INSC_IfEEEEjNS9_4plusIvEENS9_8equal_toIvEEjEE10hipError_tPvRmT2_T3_T4_T5_mT6_T7_P12ihipStream_tbENKUlT_T0_E_clISt17integral_constantIbLb1EES13_EEDaSY_SZ_EUlSY_E_NS1_11comp_targetILNS1_3genE5ELNS1_11target_archE942ELNS1_3gpuE9ELNS1_3repE0EEENS1_30default_config_static_selectorELNS0_4arch9wavefront6targetE0EEEvT1_
                                        ; -- End function
	.set _ZN7rocprim17ROCPRIM_400000_NS6detail17trampoline_kernelINS0_14default_configENS1_27scan_by_key_config_selectorIijEEZZNS1_16scan_by_key_implILNS1_25lookback_scan_determinismE0ELb0ES3_N6thrust23THRUST_200600_302600_NS6detail15normal_iteratorINS9_10device_ptrIiEEEENSB_INSC_IjEEEENSB_INSC_IfEEEEjNS9_4plusIvEENS9_8equal_toIvEEjEE10hipError_tPvRmT2_T3_T4_T5_mT6_T7_P12ihipStream_tbENKUlT_T0_E_clISt17integral_constantIbLb1EES13_EEDaSY_SZ_EUlSY_E_NS1_11comp_targetILNS1_3genE5ELNS1_11target_archE942ELNS1_3gpuE9ELNS1_3repE0EEENS1_30default_config_static_selectorELNS0_4arch9wavefront6targetE0EEEvT1_.num_vgpr, 0
	.set _ZN7rocprim17ROCPRIM_400000_NS6detail17trampoline_kernelINS0_14default_configENS1_27scan_by_key_config_selectorIijEEZZNS1_16scan_by_key_implILNS1_25lookback_scan_determinismE0ELb0ES3_N6thrust23THRUST_200600_302600_NS6detail15normal_iteratorINS9_10device_ptrIiEEEENSB_INSC_IjEEEENSB_INSC_IfEEEEjNS9_4plusIvEENS9_8equal_toIvEEjEE10hipError_tPvRmT2_T3_T4_T5_mT6_T7_P12ihipStream_tbENKUlT_T0_E_clISt17integral_constantIbLb1EES13_EEDaSY_SZ_EUlSY_E_NS1_11comp_targetILNS1_3genE5ELNS1_11target_archE942ELNS1_3gpuE9ELNS1_3repE0EEENS1_30default_config_static_selectorELNS0_4arch9wavefront6targetE0EEEvT1_.num_agpr, 0
	.set _ZN7rocprim17ROCPRIM_400000_NS6detail17trampoline_kernelINS0_14default_configENS1_27scan_by_key_config_selectorIijEEZZNS1_16scan_by_key_implILNS1_25lookback_scan_determinismE0ELb0ES3_N6thrust23THRUST_200600_302600_NS6detail15normal_iteratorINS9_10device_ptrIiEEEENSB_INSC_IjEEEENSB_INSC_IfEEEEjNS9_4plusIvEENS9_8equal_toIvEEjEE10hipError_tPvRmT2_T3_T4_T5_mT6_T7_P12ihipStream_tbENKUlT_T0_E_clISt17integral_constantIbLb1EES13_EEDaSY_SZ_EUlSY_E_NS1_11comp_targetILNS1_3genE5ELNS1_11target_archE942ELNS1_3gpuE9ELNS1_3repE0EEENS1_30default_config_static_selectorELNS0_4arch9wavefront6targetE0EEEvT1_.numbered_sgpr, 0
	.set _ZN7rocprim17ROCPRIM_400000_NS6detail17trampoline_kernelINS0_14default_configENS1_27scan_by_key_config_selectorIijEEZZNS1_16scan_by_key_implILNS1_25lookback_scan_determinismE0ELb0ES3_N6thrust23THRUST_200600_302600_NS6detail15normal_iteratorINS9_10device_ptrIiEEEENSB_INSC_IjEEEENSB_INSC_IfEEEEjNS9_4plusIvEENS9_8equal_toIvEEjEE10hipError_tPvRmT2_T3_T4_T5_mT6_T7_P12ihipStream_tbENKUlT_T0_E_clISt17integral_constantIbLb1EES13_EEDaSY_SZ_EUlSY_E_NS1_11comp_targetILNS1_3genE5ELNS1_11target_archE942ELNS1_3gpuE9ELNS1_3repE0EEENS1_30default_config_static_selectorELNS0_4arch9wavefront6targetE0EEEvT1_.num_named_barrier, 0
	.set _ZN7rocprim17ROCPRIM_400000_NS6detail17trampoline_kernelINS0_14default_configENS1_27scan_by_key_config_selectorIijEEZZNS1_16scan_by_key_implILNS1_25lookback_scan_determinismE0ELb0ES3_N6thrust23THRUST_200600_302600_NS6detail15normal_iteratorINS9_10device_ptrIiEEEENSB_INSC_IjEEEENSB_INSC_IfEEEEjNS9_4plusIvEENS9_8equal_toIvEEjEE10hipError_tPvRmT2_T3_T4_T5_mT6_T7_P12ihipStream_tbENKUlT_T0_E_clISt17integral_constantIbLb1EES13_EEDaSY_SZ_EUlSY_E_NS1_11comp_targetILNS1_3genE5ELNS1_11target_archE942ELNS1_3gpuE9ELNS1_3repE0EEENS1_30default_config_static_selectorELNS0_4arch9wavefront6targetE0EEEvT1_.private_seg_size, 0
	.set _ZN7rocprim17ROCPRIM_400000_NS6detail17trampoline_kernelINS0_14default_configENS1_27scan_by_key_config_selectorIijEEZZNS1_16scan_by_key_implILNS1_25lookback_scan_determinismE0ELb0ES3_N6thrust23THRUST_200600_302600_NS6detail15normal_iteratorINS9_10device_ptrIiEEEENSB_INSC_IjEEEENSB_INSC_IfEEEEjNS9_4plusIvEENS9_8equal_toIvEEjEE10hipError_tPvRmT2_T3_T4_T5_mT6_T7_P12ihipStream_tbENKUlT_T0_E_clISt17integral_constantIbLb1EES13_EEDaSY_SZ_EUlSY_E_NS1_11comp_targetILNS1_3genE5ELNS1_11target_archE942ELNS1_3gpuE9ELNS1_3repE0EEENS1_30default_config_static_selectorELNS0_4arch9wavefront6targetE0EEEvT1_.uses_vcc, 0
	.set _ZN7rocprim17ROCPRIM_400000_NS6detail17trampoline_kernelINS0_14default_configENS1_27scan_by_key_config_selectorIijEEZZNS1_16scan_by_key_implILNS1_25lookback_scan_determinismE0ELb0ES3_N6thrust23THRUST_200600_302600_NS6detail15normal_iteratorINS9_10device_ptrIiEEEENSB_INSC_IjEEEENSB_INSC_IfEEEEjNS9_4plusIvEENS9_8equal_toIvEEjEE10hipError_tPvRmT2_T3_T4_T5_mT6_T7_P12ihipStream_tbENKUlT_T0_E_clISt17integral_constantIbLb1EES13_EEDaSY_SZ_EUlSY_E_NS1_11comp_targetILNS1_3genE5ELNS1_11target_archE942ELNS1_3gpuE9ELNS1_3repE0EEENS1_30default_config_static_selectorELNS0_4arch9wavefront6targetE0EEEvT1_.uses_flat_scratch, 0
	.set _ZN7rocprim17ROCPRIM_400000_NS6detail17trampoline_kernelINS0_14default_configENS1_27scan_by_key_config_selectorIijEEZZNS1_16scan_by_key_implILNS1_25lookback_scan_determinismE0ELb0ES3_N6thrust23THRUST_200600_302600_NS6detail15normal_iteratorINS9_10device_ptrIiEEEENSB_INSC_IjEEEENSB_INSC_IfEEEEjNS9_4plusIvEENS9_8equal_toIvEEjEE10hipError_tPvRmT2_T3_T4_T5_mT6_T7_P12ihipStream_tbENKUlT_T0_E_clISt17integral_constantIbLb1EES13_EEDaSY_SZ_EUlSY_E_NS1_11comp_targetILNS1_3genE5ELNS1_11target_archE942ELNS1_3gpuE9ELNS1_3repE0EEENS1_30default_config_static_selectorELNS0_4arch9wavefront6targetE0EEEvT1_.has_dyn_sized_stack, 0
	.set _ZN7rocprim17ROCPRIM_400000_NS6detail17trampoline_kernelINS0_14default_configENS1_27scan_by_key_config_selectorIijEEZZNS1_16scan_by_key_implILNS1_25lookback_scan_determinismE0ELb0ES3_N6thrust23THRUST_200600_302600_NS6detail15normal_iteratorINS9_10device_ptrIiEEEENSB_INSC_IjEEEENSB_INSC_IfEEEEjNS9_4plusIvEENS9_8equal_toIvEEjEE10hipError_tPvRmT2_T3_T4_T5_mT6_T7_P12ihipStream_tbENKUlT_T0_E_clISt17integral_constantIbLb1EES13_EEDaSY_SZ_EUlSY_E_NS1_11comp_targetILNS1_3genE5ELNS1_11target_archE942ELNS1_3gpuE9ELNS1_3repE0EEENS1_30default_config_static_selectorELNS0_4arch9wavefront6targetE0EEEvT1_.has_recursion, 0
	.set _ZN7rocprim17ROCPRIM_400000_NS6detail17trampoline_kernelINS0_14default_configENS1_27scan_by_key_config_selectorIijEEZZNS1_16scan_by_key_implILNS1_25lookback_scan_determinismE0ELb0ES3_N6thrust23THRUST_200600_302600_NS6detail15normal_iteratorINS9_10device_ptrIiEEEENSB_INSC_IjEEEENSB_INSC_IfEEEEjNS9_4plusIvEENS9_8equal_toIvEEjEE10hipError_tPvRmT2_T3_T4_T5_mT6_T7_P12ihipStream_tbENKUlT_T0_E_clISt17integral_constantIbLb1EES13_EEDaSY_SZ_EUlSY_E_NS1_11comp_targetILNS1_3genE5ELNS1_11target_archE942ELNS1_3gpuE9ELNS1_3repE0EEENS1_30default_config_static_selectorELNS0_4arch9wavefront6targetE0EEEvT1_.has_indirect_call, 0
	.section	.AMDGPU.csdata,"",@progbits
; Kernel info:
; codeLenInByte = 0
; TotalNumSgprs: 0
; NumVgprs: 0
; ScratchSize: 0
; MemoryBound: 0
; FloatMode: 240
; IeeeMode: 1
; LDSByteSize: 0 bytes/workgroup (compile time only)
; SGPRBlocks: 0
; VGPRBlocks: 0
; NumSGPRsForWavesPerEU: 1
; NumVGPRsForWavesPerEU: 1
; NamedBarCnt: 0
; Occupancy: 16
; WaveLimiterHint : 0
; COMPUTE_PGM_RSRC2:SCRATCH_EN: 0
; COMPUTE_PGM_RSRC2:USER_SGPR: 2
; COMPUTE_PGM_RSRC2:TRAP_HANDLER: 0
; COMPUTE_PGM_RSRC2:TGID_X_EN: 1
; COMPUTE_PGM_RSRC2:TGID_Y_EN: 0
; COMPUTE_PGM_RSRC2:TGID_Z_EN: 0
; COMPUTE_PGM_RSRC2:TIDIG_COMP_CNT: 0
	.section	.text._ZN7rocprim17ROCPRIM_400000_NS6detail17trampoline_kernelINS0_14default_configENS1_27scan_by_key_config_selectorIijEEZZNS1_16scan_by_key_implILNS1_25lookback_scan_determinismE0ELb0ES3_N6thrust23THRUST_200600_302600_NS6detail15normal_iteratorINS9_10device_ptrIiEEEENSB_INSC_IjEEEENSB_INSC_IfEEEEjNS9_4plusIvEENS9_8equal_toIvEEjEE10hipError_tPvRmT2_T3_T4_T5_mT6_T7_P12ihipStream_tbENKUlT_T0_E_clISt17integral_constantIbLb1EES13_EEDaSY_SZ_EUlSY_E_NS1_11comp_targetILNS1_3genE4ELNS1_11target_archE910ELNS1_3gpuE8ELNS1_3repE0EEENS1_30default_config_static_selectorELNS0_4arch9wavefront6targetE0EEEvT1_,"axG",@progbits,_ZN7rocprim17ROCPRIM_400000_NS6detail17trampoline_kernelINS0_14default_configENS1_27scan_by_key_config_selectorIijEEZZNS1_16scan_by_key_implILNS1_25lookback_scan_determinismE0ELb0ES3_N6thrust23THRUST_200600_302600_NS6detail15normal_iteratorINS9_10device_ptrIiEEEENSB_INSC_IjEEEENSB_INSC_IfEEEEjNS9_4plusIvEENS9_8equal_toIvEEjEE10hipError_tPvRmT2_T3_T4_T5_mT6_T7_P12ihipStream_tbENKUlT_T0_E_clISt17integral_constantIbLb1EES13_EEDaSY_SZ_EUlSY_E_NS1_11comp_targetILNS1_3genE4ELNS1_11target_archE910ELNS1_3gpuE8ELNS1_3repE0EEENS1_30default_config_static_selectorELNS0_4arch9wavefront6targetE0EEEvT1_,comdat
	.protected	_ZN7rocprim17ROCPRIM_400000_NS6detail17trampoline_kernelINS0_14default_configENS1_27scan_by_key_config_selectorIijEEZZNS1_16scan_by_key_implILNS1_25lookback_scan_determinismE0ELb0ES3_N6thrust23THRUST_200600_302600_NS6detail15normal_iteratorINS9_10device_ptrIiEEEENSB_INSC_IjEEEENSB_INSC_IfEEEEjNS9_4plusIvEENS9_8equal_toIvEEjEE10hipError_tPvRmT2_T3_T4_T5_mT6_T7_P12ihipStream_tbENKUlT_T0_E_clISt17integral_constantIbLb1EES13_EEDaSY_SZ_EUlSY_E_NS1_11comp_targetILNS1_3genE4ELNS1_11target_archE910ELNS1_3gpuE8ELNS1_3repE0EEENS1_30default_config_static_selectorELNS0_4arch9wavefront6targetE0EEEvT1_ ; -- Begin function _ZN7rocprim17ROCPRIM_400000_NS6detail17trampoline_kernelINS0_14default_configENS1_27scan_by_key_config_selectorIijEEZZNS1_16scan_by_key_implILNS1_25lookback_scan_determinismE0ELb0ES3_N6thrust23THRUST_200600_302600_NS6detail15normal_iteratorINS9_10device_ptrIiEEEENSB_INSC_IjEEEENSB_INSC_IfEEEEjNS9_4plusIvEENS9_8equal_toIvEEjEE10hipError_tPvRmT2_T3_T4_T5_mT6_T7_P12ihipStream_tbENKUlT_T0_E_clISt17integral_constantIbLb1EES13_EEDaSY_SZ_EUlSY_E_NS1_11comp_targetILNS1_3genE4ELNS1_11target_archE910ELNS1_3gpuE8ELNS1_3repE0EEENS1_30default_config_static_selectorELNS0_4arch9wavefront6targetE0EEEvT1_
	.globl	_ZN7rocprim17ROCPRIM_400000_NS6detail17trampoline_kernelINS0_14default_configENS1_27scan_by_key_config_selectorIijEEZZNS1_16scan_by_key_implILNS1_25lookback_scan_determinismE0ELb0ES3_N6thrust23THRUST_200600_302600_NS6detail15normal_iteratorINS9_10device_ptrIiEEEENSB_INSC_IjEEEENSB_INSC_IfEEEEjNS9_4plusIvEENS9_8equal_toIvEEjEE10hipError_tPvRmT2_T3_T4_T5_mT6_T7_P12ihipStream_tbENKUlT_T0_E_clISt17integral_constantIbLb1EES13_EEDaSY_SZ_EUlSY_E_NS1_11comp_targetILNS1_3genE4ELNS1_11target_archE910ELNS1_3gpuE8ELNS1_3repE0EEENS1_30default_config_static_selectorELNS0_4arch9wavefront6targetE0EEEvT1_
	.p2align	8
	.type	_ZN7rocprim17ROCPRIM_400000_NS6detail17trampoline_kernelINS0_14default_configENS1_27scan_by_key_config_selectorIijEEZZNS1_16scan_by_key_implILNS1_25lookback_scan_determinismE0ELb0ES3_N6thrust23THRUST_200600_302600_NS6detail15normal_iteratorINS9_10device_ptrIiEEEENSB_INSC_IjEEEENSB_INSC_IfEEEEjNS9_4plusIvEENS9_8equal_toIvEEjEE10hipError_tPvRmT2_T3_T4_T5_mT6_T7_P12ihipStream_tbENKUlT_T0_E_clISt17integral_constantIbLb1EES13_EEDaSY_SZ_EUlSY_E_NS1_11comp_targetILNS1_3genE4ELNS1_11target_archE910ELNS1_3gpuE8ELNS1_3repE0EEENS1_30default_config_static_selectorELNS0_4arch9wavefront6targetE0EEEvT1_,@function
_ZN7rocprim17ROCPRIM_400000_NS6detail17trampoline_kernelINS0_14default_configENS1_27scan_by_key_config_selectorIijEEZZNS1_16scan_by_key_implILNS1_25lookback_scan_determinismE0ELb0ES3_N6thrust23THRUST_200600_302600_NS6detail15normal_iteratorINS9_10device_ptrIiEEEENSB_INSC_IjEEEENSB_INSC_IfEEEEjNS9_4plusIvEENS9_8equal_toIvEEjEE10hipError_tPvRmT2_T3_T4_T5_mT6_T7_P12ihipStream_tbENKUlT_T0_E_clISt17integral_constantIbLb1EES13_EEDaSY_SZ_EUlSY_E_NS1_11comp_targetILNS1_3genE4ELNS1_11target_archE910ELNS1_3gpuE8ELNS1_3repE0EEENS1_30default_config_static_selectorELNS0_4arch9wavefront6targetE0EEEvT1_: ; @_ZN7rocprim17ROCPRIM_400000_NS6detail17trampoline_kernelINS0_14default_configENS1_27scan_by_key_config_selectorIijEEZZNS1_16scan_by_key_implILNS1_25lookback_scan_determinismE0ELb0ES3_N6thrust23THRUST_200600_302600_NS6detail15normal_iteratorINS9_10device_ptrIiEEEENSB_INSC_IjEEEENSB_INSC_IfEEEEjNS9_4plusIvEENS9_8equal_toIvEEjEE10hipError_tPvRmT2_T3_T4_T5_mT6_T7_P12ihipStream_tbENKUlT_T0_E_clISt17integral_constantIbLb1EES13_EEDaSY_SZ_EUlSY_E_NS1_11comp_targetILNS1_3genE4ELNS1_11target_archE910ELNS1_3gpuE8ELNS1_3repE0EEENS1_30default_config_static_selectorELNS0_4arch9wavefront6targetE0EEEvT1_
; %bb.0:
	.section	.rodata,"a",@progbits
	.p2align	6, 0x0
	.amdhsa_kernel _ZN7rocprim17ROCPRIM_400000_NS6detail17trampoline_kernelINS0_14default_configENS1_27scan_by_key_config_selectorIijEEZZNS1_16scan_by_key_implILNS1_25lookback_scan_determinismE0ELb0ES3_N6thrust23THRUST_200600_302600_NS6detail15normal_iteratorINS9_10device_ptrIiEEEENSB_INSC_IjEEEENSB_INSC_IfEEEEjNS9_4plusIvEENS9_8equal_toIvEEjEE10hipError_tPvRmT2_T3_T4_T5_mT6_T7_P12ihipStream_tbENKUlT_T0_E_clISt17integral_constantIbLb1EES13_EEDaSY_SZ_EUlSY_E_NS1_11comp_targetILNS1_3genE4ELNS1_11target_archE910ELNS1_3gpuE8ELNS1_3repE0EEENS1_30default_config_static_selectorELNS0_4arch9wavefront6targetE0EEEvT1_
		.amdhsa_group_segment_fixed_size 0
		.amdhsa_private_segment_fixed_size 0
		.amdhsa_kernarg_size 112
		.amdhsa_user_sgpr_count 2
		.amdhsa_user_sgpr_dispatch_ptr 0
		.amdhsa_user_sgpr_queue_ptr 0
		.amdhsa_user_sgpr_kernarg_segment_ptr 1
		.amdhsa_user_sgpr_dispatch_id 0
		.amdhsa_user_sgpr_kernarg_preload_length 0
		.amdhsa_user_sgpr_kernarg_preload_offset 0
		.amdhsa_user_sgpr_private_segment_size 0
		.amdhsa_wavefront_size32 1
		.amdhsa_uses_dynamic_stack 0
		.amdhsa_enable_private_segment 0
		.amdhsa_system_sgpr_workgroup_id_x 1
		.amdhsa_system_sgpr_workgroup_id_y 0
		.amdhsa_system_sgpr_workgroup_id_z 0
		.amdhsa_system_sgpr_workgroup_info 0
		.amdhsa_system_vgpr_workitem_id 0
		.amdhsa_next_free_vgpr 1
		.amdhsa_next_free_sgpr 1
		.amdhsa_named_barrier_count 0
		.amdhsa_reserve_vcc 0
		.amdhsa_float_round_mode_32 0
		.amdhsa_float_round_mode_16_64 0
		.amdhsa_float_denorm_mode_32 3
		.amdhsa_float_denorm_mode_16_64 3
		.amdhsa_fp16_overflow 0
		.amdhsa_memory_ordered 1
		.amdhsa_forward_progress 1
		.amdhsa_inst_pref_size 0
		.amdhsa_round_robin_scheduling 0
		.amdhsa_exception_fp_ieee_invalid_op 0
		.amdhsa_exception_fp_denorm_src 0
		.amdhsa_exception_fp_ieee_div_zero 0
		.amdhsa_exception_fp_ieee_overflow 0
		.amdhsa_exception_fp_ieee_underflow 0
		.amdhsa_exception_fp_ieee_inexact 0
		.amdhsa_exception_int_div_zero 0
	.end_amdhsa_kernel
	.section	.text._ZN7rocprim17ROCPRIM_400000_NS6detail17trampoline_kernelINS0_14default_configENS1_27scan_by_key_config_selectorIijEEZZNS1_16scan_by_key_implILNS1_25lookback_scan_determinismE0ELb0ES3_N6thrust23THRUST_200600_302600_NS6detail15normal_iteratorINS9_10device_ptrIiEEEENSB_INSC_IjEEEENSB_INSC_IfEEEEjNS9_4plusIvEENS9_8equal_toIvEEjEE10hipError_tPvRmT2_T3_T4_T5_mT6_T7_P12ihipStream_tbENKUlT_T0_E_clISt17integral_constantIbLb1EES13_EEDaSY_SZ_EUlSY_E_NS1_11comp_targetILNS1_3genE4ELNS1_11target_archE910ELNS1_3gpuE8ELNS1_3repE0EEENS1_30default_config_static_selectorELNS0_4arch9wavefront6targetE0EEEvT1_,"axG",@progbits,_ZN7rocprim17ROCPRIM_400000_NS6detail17trampoline_kernelINS0_14default_configENS1_27scan_by_key_config_selectorIijEEZZNS1_16scan_by_key_implILNS1_25lookback_scan_determinismE0ELb0ES3_N6thrust23THRUST_200600_302600_NS6detail15normal_iteratorINS9_10device_ptrIiEEEENSB_INSC_IjEEEENSB_INSC_IfEEEEjNS9_4plusIvEENS9_8equal_toIvEEjEE10hipError_tPvRmT2_T3_T4_T5_mT6_T7_P12ihipStream_tbENKUlT_T0_E_clISt17integral_constantIbLb1EES13_EEDaSY_SZ_EUlSY_E_NS1_11comp_targetILNS1_3genE4ELNS1_11target_archE910ELNS1_3gpuE8ELNS1_3repE0EEENS1_30default_config_static_selectorELNS0_4arch9wavefront6targetE0EEEvT1_,comdat
.Lfunc_end1656:
	.size	_ZN7rocprim17ROCPRIM_400000_NS6detail17trampoline_kernelINS0_14default_configENS1_27scan_by_key_config_selectorIijEEZZNS1_16scan_by_key_implILNS1_25lookback_scan_determinismE0ELb0ES3_N6thrust23THRUST_200600_302600_NS6detail15normal_iteratorINS9_10device_ptrIiEEEENSB_INSC_IjEEEENSB_INSC_IfEEEEjNS9_4plusIvEENS9_8equal_toIvEEjEE10hipError_tPvRmT2_T3_T4_T5_mT6_T7_P12ihipStream_tbENKUlT_T0_E_clISt17integral_constantIbLb1EES13_EEDaSY_SZ_EUlSY_E_NS1_11comp_targetILNS1_3genE4ELNS1_11target_archE910ELNS1_3gpuE8ELNS1_3repE0EEENS1_30default_config_static_selectorELNS0_4arch9wavefront6targetE0EEEvT1_, .Lfunc_end1656-_ZN7rocprim17ROCPRIM_400000_NS6detail17trampoline_kernelINS0_14default_configENS1_27scan_by_key_config_selectorIijEEZZNS1_16scan_by_key_implILNS1_25lookback_scan_determinismE0ELb0ES3_N6thrust23THRUST_200600_302600_NS6detail15normal_iteratorINS9_10device_ptrIiEEEENSB_INSC_IjEEEENSB_INSC_IfEEEEjNS9_4plusIvEENS9_8equal_toIvEEjEE10hipError_tPvRmT2_T3_T4_T5_mT6_T7_P12ihipStream_tbENKUlT_T0_E_clISt17integral_constantIbLb1EES13_EEDaSY_SZ_EUlSY_E_NS1_11comp_targetILNS1_3genE4ELNS1_11target_archE910ELNS1_3gpuE8ELNS1_3repE0EEENS1_30default_config_static_selectorELNS0_4arch9wavefront6targetE0EEEvT1_
                                        ; -- End function
	.set _ZN7rocprim17ROCPRIM_400000_NS6detail17trampoline_kernelINS0_14default_configENS1_27scan_by_key_config_selectorIijEEZZNS1_16scan_by_key_implILNS1_25lookback_scan_determinismE0ELb0ES3_N6thrust23THRUST_200600_302600_NS6detail15normal_iteratorINS9_10device_ptrIiEEEENSB_INSC_IjEEEENSB_INSC_IfEEEEjNS9_4plusIvEENS9_8equal_toIvEEjEE10hipError_tPvRmT2_T3_T4_T5_mT6_T7_P12ihipStream_tbENKUlT_T0_E_clISt17integral_constantIbLb1EES13_EEDaSY_SZ_EUlSY_E_NS1_11comp_targetILNS1_3genE4ELNS1_11target_archE910ELNS1_3gpuE8ELNS1_3repE0EEENS1_30default_config_static_selectorELNS0_4arch9wavefront6targetE0EEEvT1_.num_vgpr, 0
	.set _ZN7rocprim17ROCPRIM_400000_NS6detail17trampoline_kernelINS0_14default_configENS1_27scan_by_key_config_selectorIijEEZZNS1_16scan_by_key_implILNS1_25lookback_scan_determinismE0ELb0ES3_N6thrust23THRUST_200600_302600_NS6detail15normal_iteratorINS9_10device_ptrIiEEEENSB_INSC_IjEEEENSB_INSC_IfEEEEjNS9_4plusIvEENS9_8equal_toIvEEjEE10hipError_tPvRmT2_T3_T4_T5_mT6_T7_P12ihipStream_tbENKUlT_T0_E_clISt17integral_constantIbLb1EES13_EEDaSY_SZ_EUlSY_E_NS1_11comp_targetILNS1_3genE4ELNS1_11target_archE910ELNS1_3gpuE8ELNS1_3repE0EEENS1_30default_config_static_selectorELNS0_4arch9wavefront6targetE0EEEvT1_.num_agpr, 0
	.set _ZN7rocprim17ROCPRIM_400000_NS6detail17trampoline_kernelINS0_14default_configENS1_27scan_by_key_config_selectorIijEEZZNS1_16scan_by_key_implILNS1_25lookback_scan_determinismE0ELb0ES3_N6thrust23THRUST_200600_302600_NS6detail15normal_iteratorINS9_10device_ptrIiEEEENSB_INSC_IjEEEENSB_INSC_IfEEEEjNS9_4plusIvEENS9_8equal_toIvEEjEE10hipError_tPvRmT2_T3_T4_T5_mT6_T7_P12ihipStream_tbENKUlT_T0_E_clISt17integral_constantIbLb1EES13_EEDaSY_SZ_EUlSY_E_NS1_11comp_targetILNS1_3genE4ELNS1_11target_archE910ELNS1_3gpuE8ELNS1_3repE0EEENS1_30default_config_static_selectorELNS0_4arch9wavefront6targetE0EEEvT1_.numbered_sgpr, 0
	.set _ZN7rocprim17ROCPRIM_400000_NS6detail17trampoline_kernelINS0_14default_configENS1_27scan_by_key_config_selectorIijEEZZNS1_16scan_by_key_implILNS1_25lookback_scan_determinismE0ELb0ES3_N6thrust23THRUST_200600_302600_NS6detail15normal_iteratorINS9_10device_ptrIiEEEENSB_INSC_IjEEEENSB_INSC_IfEEEEjNS9_4plusIvEENS9_8equal_toIvEEjEE10hipError_tPvRmT2_T3_T4_T5_mT6_T7_P12ihipStream_tbENKUlT_T0_E_clISt17integral_constantIbLb1EES13_EEDaSY_SZ_EUlSY_E_NS1_11comp_targetILNS1_3genE4ELNS1_11target_archE910ELNS1_3gpuE8ELNS1_3repE0EEENS1_30default_config_static_selectorELNS0_4arch9wavefront6targetE0EEEvT1_.num_named_barrier, 0
	.set _ZN7rocprim17ROCPRIM_400000_NS6detail17trampoline_kernelINS0_14default_configENS1_27scan_by_key_config_selectorIijEEZZNS1_16scan_by_key_implILNS1_25lookback_scan_determinismE0ELb0ES3_N6thrust23THRUST_200600_302600_NS6detail15normal_iteratorINS9_10device_ptrIiEEEENSB_INSC_IjEEEENSB_INSC_IfEEEEjNS9_4plusIvEENS9_8equal_toIvEEjEE10hipError_tPvRmT2_T3_T4_T5_mT6_T7_P12ihipStream_tbENKUlT_T0_E_clISt17integral_constantIbLb1EES13_EEDaSY_SZ_EUlSY_E_NS1_11comp_targetILNS1_3genE4ELNS1_11target_archE910ELNS1_3gpuE8ELNS1_3repE0EEENS1_30default_config_static_selectorELNS0_4arch9wavefront6targetE0EEEvT1_.private_seg_size, 0
	.set _ZN7rocprim17ROCPRIM_400000_NS6detail17trampoline_kernelINS0_14default_configENS1_27scan_by_key_config_selectorIijEEZZNS1_16scan_by_key_implILNS1_25lookback_scan_determinismE0ELb0ES3_N6thrust23THRUST_200600_302600_NS6detail15normal_iteratorINS9_10device_ptrIiEEEENSB_INSC_IjEEEENSB_INSC_IfEEEEjNS9_4plusIvEENS9_8equal_toIvEEjEE10hipError_tPvRmT2_T3_T4_T5_mT6_T7_P12ihipStream_tbENKUlT_T0_E_clISt17integral_constantIbLb1EES13_EEDaSY_SZ_EUlSY_E_NS1_11comp_targetILNS1_3genE4ELNS1_11target_archE910ELNS1_3gpuE8ELNS1_3repE0EEENS1_30default_config_static_selectorELNS0_4arch9wavefront6targetE0EEEvT1_.uses_vcc, 0
	.set _ZN7rocprim17ROCPRIM_400000_NS6detail17trampoline_kernelINS0_14default_configENS1_27scan_by_key_config_selectorIijEEZZNS1_16scan_by_key_implILNS1_25lookback_scan_determinismE0ELb0ES3_N6thrust23THRUST_200600_302600_NS6detail15normal_iteratorINS9_10device_ptrIiEEEENSB_INSC_IjEEEENSB_INSC_IfEEEEjNS9_4plusIvEENS9_8equal_toIvEEjEE10hipError_tPvRmT2_T3_T4_T5_mT6_T7_P12ihipStream_tbENKUlT_T0_E_clISt17integral_constantIbLb1EES13_EEDaSY_SZ_EUlSY_E_NS1_11comp_targetILNS1_3genE4ELNS1_11target_archE910ELNS1_3gpuE8ELNS1_3repE0EEENS1_30default_config_static_selectorELNS0_4arch9wavefront6targetE0EEEvT1_.uses_flat_scratch, 0
	.set _ZN7rocprim17ROCPRIM_400000_NS6detail17trampoline_kernelINS0_14default_configENS1_27scan_by_key_config_selectorIijEEZZNS1_16scan_by_key_implILNS1_25lookback_scan_determinismE0ELb0ES3_N6thrust23THRUST_200600_302600_NS6detail15normal_iteratorINS9_10device_ptrIiEEEENSB_INSC_IjEEEENSB_INSC_IfEEEEjNS9_4plusIvEENS9_8equal_toIvEEjEE10hipError_tPvRmT2_T3_T4_T5_mT6_T7_P12ihipStream_tbENKUlT_T0_E_clISt17integral_constantIbLb1EES13_EEDaSY_SZ_EUlSY_E_NS1_11comp_targetILNS1_3genE4ELNS1_11target_archE910ELNS1_3gpuE8ELNS1_3repE0EEENS1_30default_config_static_selectorELNS0_4arch9wavefront6targetE0EEEvT1_.has_dyn_sized_stack, 0
	.set _ZN7rocprim17ROCPRIM_400000_NS6detail17trampoline_kernelINS0_14default_configENS1_27scan_by_key_config_selectorIijEEZZNS1_16scan_by_key_implILNS1_25lookback_scan_determinismE0ELb0ES3_N6thrust23THRUST_200600_302600_NS6detail15normal_iteratorINS9_10device_ptrIiEEEENSB_INSC_IjEEEENSB_INSC_IfEEEEjNS9_4plusIvEENS9_8equal_toIvEEjEE10hipError_tPvRmT2_T3_T4_T5_mT6_T7_P12ihipStream_tbENKUlT_T0_E_clISt17integral_constantIbLb1EES13_EEDaSY_SZ_EUlSY_E_NS1_11comp_targetILNS1_3genE4ELNS1_11target_archE910ELNS1_3gpuE8ELNS1_3repE0EEENS1_30default_config_static_selectorELNS0_4arch9wavefront6targetE0EEEvT1_.has_recursion, 0
	.set _ZN7rocprim17ROCPRIM_400000_NS6detail17trampoline_kernelINS0_14default_configENS1_27scan_by_key_config_selectorIijEEZZNS1_16scan_by_key_implILNS1_25lookback_scan_determinismE0ELb0ES3_N6thrust23THRUST_200600_302600_NS6detail15normal_iteratorINS9_10device_ptrIiEEEENSB_INSC_IjEEEENSB_INSC_IfEEEEjNS9_4plusIvEENS9_8equal_toIvEEjEE10hipError_tPvRmT2_T3_T4_T5_mT6_T7_P12ihipStream_tbENKUlT_T0_E_clISt17integral_constantIbLb1EES13_EEDaSY_SZ_EUlSY_E_NS1_11comp_targetILNS1_3genE4ELNS1_11target_archE910ELNS1_3gpuE8ELNS1_3repE0EEENS1_30default_config_static_selectorELNS0_4arch9wavefront6targetE0EEEvT1_.has_indirect_call, 0
	.section	.AMDGPU.csdata,"",@progbits
; Kernel info:
; codeLenInByte = 0
; TotalNumSgprs: 0
; NumVgprs: 0
; ScratchSize: 0
; MemoryBound: 0
; FloatMode: 240
; IeeeMode: 1
; LDSByteSize: 0 bytes/workgroup (compile time only)
; SGPRBlocks: 0
; VGPRBlocks: 0
; NumSGPRsForWavesPerEU: 1
; NumVGPRsForWavesPerEU: 1
; NamedBarCnt: 0
; Occupancy: 16
; WaveLimiterHint : 0
; COMPUTE_PGM_RSRC2:SCRATCH_EN: 0
; COMPUTE_PGM_RSRC2:USER_SGPR: 2
; COMPUTE_PGM_RSRC2:TRAP_HANDLER: 0
; COMPUTE_PGM_RSRC2:TGID_X_EN: 1
; COMPUTE_PGM_RSRC2:TGID_Y_EN: 0
; COMPUTE_PGM_RSRC2:TGID_Z_EN: 0
; COMPUTE_PGM_RSRC2:TIDIG_COMP_CNT: 0
	.section	.text._ZN7rocprim17ROCPRIM_400000_NS6detail17trampoline_kernelINS0_14default_configENS1_27scan_by_key_config_selectorIijEEZZNS1_16scan_by_key_implILNS1_25lookback_scan_determinismE0ELb0ES3_N6thrust23THRUST_200600_302600_NS6detail15normal_iteratorINS9_10device_ptrIiEEEENSB_INSC_IjEEEENSB_INSC_IfEEEEjNS9_4plusIvEENS9_8equal_toIvEEjEE10hipError_tPvRmT2_T3_T4_T5_mT6_T7_P12ihipStream_tbENKUlT_T0_E_clISt17integral_constantIbLb1EES13_EEDaSY_SZ_EUlSY_E_NS1_11comp_targetILNS1_3genE3ELNS1_11target_archE908ELNS1_3gpuE7ELNS1_3repE0EEENS1_30default_config_static_selectorELNS0_4arch9wavefront6targetE0EEEvT1_,"axG",@progbits,_ZN7rocprim17ROCPRIM_400000_NS6detail17trampoline_kernelINS0_14default_configENS1_27scan_by_key_config_selectorIijEEZZNS1_16scan_by_key_implILNS1_25lookback_scan_determinismE0ELb0ES3_N6thrust23THRUST_200600_302600_NS6detail15normal_iteratorINS9_10device_ptrIiEEEENSB_INSC_IjEEEENSB_INSC_IfEEEEjNS9_4plusIvEENS9_8equal_toIvEEjEE10hipError_tPvRmT2_T3_T4_T5_mT6_T7_P12ihipStream_tbENKUlT_T0_E_clISt17integral_constantIbLb1EES13_EEDaSY_SZ_EUlSY_E_NS1_11comp_targetILNS1_3genE3ELNS1_11target_archE908ELNS1_3gpuE7ELNS1_3repE0EEENS1_30default_config_static_selectorELNS0_4arch9wavefront6targetE0EEEvT1_,comdat
	.protected	_ZN7rocprim17ROCPRIM_400000_NS6detail17trampoline_kernelINS0_14default_configENS1_27scan_by_key_config_selectorIijEEZZNS1_16scan_by_key_implILNS1_25lookback_scan_determinismE0ELb0ES3_N6thrust23THRUST_200600_302600_NS6detail15normal_iteratorINS9_10device_ptrIiEEEENSB_INSC_IjEEEENSB_INSC_IfEEEEjNS9_4plusIvEENS9_8equal_toIvEEjEE10hipError_tPvRmT2_T3_T4_T5_mT6_T7_P12ihipStream_tbENKUlT_T0_E_clISt17integral_constantIbLb1EES13_EEDaSY_SZ_EUlSY_E_NS1_11comp_targetILNS1_3genE3ELNS1_11target_archE908ELNS1_3gpuE7ELNS1_3repE0EEENS1_30default_config_static_selectorELNS0_4arch9wavefront6targetE0EEEvT1_ ; -- Begin function _ZN7rocprim17ROCPRIM_400000_NS6detail17trampoline_kernelINS0_14default_configENS1_27scan_by_key_config_selectorIijEEZZNS1_16scan_by_key_implILNS1_25lookback_scan_determinismE0ELb0ES3_N6thrust23THRUST_200600_302600_NS6detail15normal_iteratorINS9_10device_ptrIiEEEENSB_INSC_IjEEEENSB_INSC_IfEEEEjNS9_4plusIvEENS9_8equal_toIvEEjEE10hipError_tPvRmT2_T3_T4_T5_mT6_T7_P12ihipStream_tbENKUlT_T0_E_clISt17integral_constantIbLb1EES13_EEDaSY_SZ_EUlSY_E_NS1_11comp_targetILNS1_3genE3ELNS1_11target_archE908ELNS1_3gpuE7ELNS1_3repE0EEENS1_30default_config_static_selectorELNS0_4arch9wavefront6targetE0EEEvT1_
	.globl	_ZN7rocprim17ROCPRIM_400000_NS6detail17trampoline_kernelINS0_14default_configENS1_27scan_by_key_config_selectorIijEEZZNS1_16scan_by_key_implILNS1_25lookback_scan_determinismE0ELb0ES3_N6thrust23THRUST_200600_302600_NS6detail15normal_iteratorINS9_10device_ptrIiEEEENSB_INSC_IjEEEENSB_INSC_IfEEEEjNS9_4plusIvEENS9_8equal_toIvEEjEE10hipError_tPvRmT2_T3_T4_T5_mT6_T7_P12ihipStream_tbENKUlT_T0_E_clISt17integral_constantIbLb1EES13_EEDaSY_SZ_EUlSY_E_NS1_11comp_targetILNS1_3genE3ELNS1_11target_archE908ELNS1_3gpuE7ELNS1_3repE0EEENS1_30default_config_static_selectorELNS0_4arch9wavefront6targetE0EEEvT1_
	.p2align	8
	.type	_ZN7rocprim17ROCPRIM_400000_NS6detail17trampoline_kernelINS0_14default_configENS1_27scan_by_key_config_selectorIijEEZZNS1_16scan_by_key_implILNS1_25lookback_scan_determinismE0ELb0ES3_N6thrust23THRUST_200600_302600_NS6detail15normal_iteratorINS9_10device_ptrIiEEEENSB_INSC_IjEEEENSB_INSC_IfEEEEjNS9_4plusIvEENS9_8equal_toIvEEjEE10hipError_tPvRmT2_T3_T4_T5_mT6_T7_P12ihipStream_tbENKUlT_T0_E_clISt17integral_constantIbLb1EES13_EEDaSY_SZ_EUlSY_E_NS1_11comp_targetILNS1_3genE3ELNS1_11target_archE908ELNS1_3gpuE7ELNS1_3repE0EEENS1_30default_config_static_selectorELNS0_4arch9wavefront6targetE0EEEvT1_,@function
_ZN7rocprim17ROCPRIM_400000_NS6detail17trampoline_kernelINS0_14default_configENS1_27scan_by_key_config_selectorIijEEZZNS1_16scan_by_key_implILNS1_25lookback_scan_determinismE0ELb0ES3_N6thrust23THRUST_200600_302600_NS6detail15normal_iteratorINS9_10device_ptrIiEEEENSB_INSC_IjEEEENSB_INSC_IfEEEEjNS9_4plusIvEENS9_8equal_toIvEEjEE10hipError_tPvRmT2_T3_T4_T5_mT6_T7_P12ihipStream_tbENKUlT_T0_E_clISt17integral_constantIbLb1EES13_EEDaSY_SZ_EUlSY_E_NS1_11comp_targetILNS1_3genE3ELNS1_11target_archE908ELNS1_3gpuE7ELNS1_3repE0EEENS1_30default_config_static_selectorELNS0_4arch9wavefront6targetE0EEEvT1_: ; @_ZN7rocprim17ROCPRIM_400000_NS6detail17trampoline_kernelINS0_14default_configENS1_27scan_by_key_config_selectorIijEEZZNS1_16scan_by_key_implILNS1_25lookback_scan_determinismE0ELb0ES3_N6thrust23THRUST_200600_302600_NS6detail15normal_iteratorINS9_10device_ptrIiEEEENSB_INSC_IjEEEENSB_INSC_IfEEEEjNS9_4plusIvEENS9_8equal_toIvEEjEE10hipError_tPvRmT2_T3_T4_T5_mT6_T7_P12ihipStream_tbENKUlT_T0_E_clISt17integral_constantIbLb1EES13_EEDaSY_SZ_EUlSY_E_NS1_11comp_targetILNS1_3genE3ELNS1_11target_archE908ELNS1_3gpuE7ELNS1_3repE0EEENS1_30default_config_static_selectorELNS0_4arch9wavefront6targetE0EEEvT1_
; %bb.0:
	.section	.rodata,"a",@progbits
	.p2align	6, 0x0
	.amdhsa_kernel _ZN7rocprim17ROCPRIM_400000_NS6detail17trampoline_kernelINS0_14default_configENS1_27scan_by_key_config_selectorIijEEZZNS1_16scan_by_key_implILNS1_25lookback_scan_determinismE0ELb0ES3_N6thrust23THRUST_200600_302600_NS6detail15normal_iteratorINS9_10device_ptrIiEEEENSB_INSC_IjEEEENSB_INSC_IfEEEEjNS9_4plusIvEENS9_8equal_toIvEEjEE10hipError_tPvRmT2_T3_T4_T5_mT6_T7_P12ihipStream_tbENKUlT_T0_E_clISt17integral_constantIbLb1EES13_EEDaSY_SZ_EUlSY_E_NS1_11comp_targetILNS1_3genE3ELNS1_11target_archE908ELNS1_3gpuE7ELNS1_3repE0EEENS1_30default_config_static_selectorELNS0_4arch9wavefront6targetE0EEEvT1_
		.amdhsa_group_segment_fixed_size 0
		.amdhsa_private_segment_fixed_size 0
		.amdhsa_kernarg_size 112
		.amdhsa_user_sgpr_count 2
		.amdhsa_user_sgpr_dispatch_ptr 0
		.amdhsa_user_sgpr_queue_ptr 0
		.amdhsa_user_sgpr_kernarg_segment_ptr 1
		.amdhsa_user_sgpr_dispatch_id 0
		.amdhsa_user_sgpr_kernarg_preload_length 0
		.amdhsa_user_sgpr_kernarg_preload_offset 0
		.amdhsa_user_sgpr_private_segment_size 0
		.amdhsa_wavefront_size32 1
		.amdhsa_uses_dynamic_stack 0
		.amdhsa_enable_private_segment 0
		.amdhsa_system_sgpr_workgroup_id_x 1
		.amdhsa_system_sgpr_workgroup_id_y 0
		.amdhsa_system_sgpr_workgroup_id_z 0
		.amdhsa_system_sgpr_workgroup_info 0
		.amdhsa_system_vgpr_workitem_id 0
		.amdhsa_next_free_vgpr 1
		.amdhsa_next_free_sgpr 1
		.amdhsa_named_barrier_count 0
		.amdhsa_reserve_vcc 0
		.amdhsa_float_round_mode_32 0
		.amdhsa_float_round_mode_16_64 0
		.amdhsa_float_denorm_mode_32 3
		.amdhsa_float_denorm_mode_16_64 3
		.amdhsa_fp16_overflow 0
		.amdhsa_memory_ordered 1
		.amdhsa_forward_progress 1
		.amdhsa_inst_pref_size 0
		.amdhsa_round_robin_scheduling 0
		.amdhsa_exception_fp_ieee_invalid_op 0
		.amdhsa_exception_fp_denorm_src 0
		.amdhsa_exception_fp_ieee_div_zero 0
		.amdhsa_exception_fp_ieee_overflow 0
		.amdhsa_exception_fp_ieee_underflow 0
		.amdhsa_exception_fp_ieee_inexact 0
		.amdhsa_exception_int_div_zero 0
	.end_amdhsa_kernel
	.section	.text._ZN7rocprim17ROCPRIM_400000_NS6detail17trampoline_kernelINS0_14default_configENS1_27scan_by_key_config_selectorIijEEZZNS1_16scan_by_key_implILNS1_25lookback_scan_determinismE0ELb0ES3_N6thrust23THRUST_200600_302600_NS6detail15normal_iteratorINS9_10device_ptrIiEEEENSB_INSC_IjEEEENSB_INSC_IfEEEEjNS9_4plusIvEENS9_8equal_toIvEEjEE10hipError_tPvRmT2_T3_T4_T5_mT6_T7_P12ihipStream_tbENKUlT_T0_E_clISt17integral_constantIbLb1EES13_EEDaSY_SZ_EUlSY_E_NS1_11comp_targetILNS1_3genE3ELNS1_11target_archE908ELNS1_3gpuE7ELNS1_3repE0EEENS1_30default_config_static_selectorELNS0_4arch9wavefront6targetE0EEEvT1_,"axG",@progbits,_ZN7rocprim17ROCPRIM_400000_NS6detail17trampoline_kernelINS0_14default_configENS1_27scan_by_key_config_selectorIijEEZZNS1_16scan_by_key_implILNS1_25lookback_scan_determinismE0ELb0ES3_N6thrust23THRUST_200600_302600_NS6detail15normal_iteratorINS9_10device_ptrIiEEEENSB_INSC_IjEEEENSB_INSC_IfEEEEjNS9_4plusIvEENS9_8equal_toIvEEjEE10hipError_tPvRmT2_T3_T4_T5_mT6_T7_P12ihipStream_tbENKUlT_T0_E_clISt17integral_constantIbLb1EES13_EEDaSY_SZ_EUlSY_E_NS1_11comp_targetILNS1_3genE3ELNS1_11target_archE908ELNS1_3gpuE7ELNS1_3repE0EEENS1_30default_config_static_selectorELNS0_4arch9wavefront6targetE0EEEvT1_,comdat
.Lfunc_end1657:
	.size	_ZN7rocprim17ROCPRIM_400000_NS6detail17trampoline_kernelINS0_14default_configENS1_27scan_by_key_config_selectorIijEEZZNS1_16scan_by_key_implILNS1_25lookback_scan_determinismE0ELb0ES3_N6thrust23THRUST_200600_302600_NS6detail15normal_iteratorINS9_10device_ptrIiEEEENSB_INSC_IjEEEENSB_INSC_IfEEEEjNS9_4plusIvEENS9_8equal_toIvEEjEE10hipError_tPvRmT2_T3_T4_T5_mT6_T7_P12ihipStream_tbENKUlT_T0_E_clISt17integral_constantIbLb1EES13_EEDaSY_SZ_EUlSY_E_NS1_11comp_targetILNS1_3genE3ELNS1_11target_archE908ELNS1_3gpuE7ELNS1_3repE0EEENS1_30default_config_static_selectorELNS0_4arch9wavefront6targetE0EEEvT1_, .Lfunc_end1657-_ZN7rocprim17ROCPRIM_400000_NS6detail17trampoline_kernelINS0_14default_configENS1_27scan_by_key_config_selectorIijEEZZNS1_16scan_by_key_implILNS1_25lookback_scan_determinismE0ELb0ES3_N6thrust23THRUST_200600_302600_NS6detail15normal_iteratorINS9_10device_ptrIiEEEENSB_INSC_IjEEEENSB_INSC_IfEEEEjNS9_4plusIvEENS9_8equal_toIvEEjEE10hipError_tPvRmT2_T3_T4_T5_mT6_T7_P12ihipStream_tbENKUlT_T0_E_clISt17integral_constantIbLb1EES13_EEDaSY_SZ_EUlSY_E_NS1_11comp_targetILNS1_3genE3ELNS1_11target_archE908ELNS1_3gpuE7ELNS1_3repE0EEENS1_30default_config_static_selectorELNS0_4arch9wavefront6targetE0EEEvT1_
                                        ; -- End function
	.set _ZN7rocprim17ROCPRIM_400000_NS6detail17trampoline_kernelINS0_14default_configENS1_27scan_by_key_config_selectorIijEEZZNS1_16scan_by_key_implILNS1_25lookback_scan_determinismE0ELb0ES3_N6thrust23THRUST_200600_302600_NS6detail15normal_iteratorINS9_10device_ptrIiEEEENSB_INSC_IjEEEENSB_INSC_IfEEEEjNS9_4plusIvEENS9_8equal_toIvEEjEE10hipError_tPvRmT2_T3_T4_T5_mT6_T7_P12ihipStream_tbENKUlT_T0_E_clISt17integral_constantIbLb1EES13_EEDaSY_SZ_EUlSY_E_NS1_11comp_targetILNS1_3genE3ELNS1_11target_archE908ELNS1_3gpuE7ELNS1_3repE0EEENS1_30default_config_static_selectorELNS0_4arch9wavefront6targetE0EEEvT1_.num_vgpr, 0
	.set _ZN7rocprim17ROCPRIM_400000_NS6detail17trampoline_kernelINS0_14default_configENS1_27scan_by_key_config_selectorIijEEZZNS1_16scan_by_key_implILNS1_25lookback_scan_determinismE0ELb0ES3_N6thrust23THRUST_200600_302600_NS6detail15normal_iteratorINS9_10device_ptrIiEEEENSB_INSC_IjEEEENSB_INSC_IfEEEEjNS9_4plusIvEENS9_8equal_toIvEEjEE10hipError_tPvRmT2_T3_T4_T5_mT6_T7_P12ihipStream_tbENKUlT_T0_E_clISt17integral_constantIbLb1EES13_EEDaSY_SZ_EUlSY_E_NS1_11comp_targetILNS1_3genE3ELNS1_11target_archE908ELNS1_3gpuE7ELNS1_3repE0EEENS1_30default_config_static_selectorELNS0_4arch9wavefront6targetE0EEEvT1_.num_agpr, 0
	.set _ZN7rocprim17ROCPRIM_400000_NS6detail17trampoline_kernelINS0_14default_configENS1_27scan_by_key_config_selectorIijEEZZNS1_16scan_by_key_implILNS1_25lookback_scan_determinismE0ELb0ES3_N6thrust23THRUST_200600_302600_NS6detail15normal_iteratorINS9_10device_ptrIiEEEENSB_INSC_IjEEEENSB_INSC_IfEEEEjNS9_4plusIvEENS9_8equal_toIvEEjEE10hipError_tPvRmT2_T3_T4_T5_mT6_T7_P12ihipStream_tbENKUlT_T0_E_clISt17integral_constantIbLb1EES13_EEDaSY_SZ_EUlSY_E_NS1_11comp_targetILNS1_3genE3ELNS1_11target_archE908ELNS1_3gpuE7ELNS1_3repE0EEENS1_30default_config_static_selectorELNS0_4arch9wavefront6targetE0EEEvT1_.numbered_sgpr, 0
	.set _ZN7rocprim17ROCPRIM_400000_NS6detail17trampoline_kernelINS0_14default_configENS1_27scan_by_key_config_selectorIijEEZZNS1_16scan_by_key_implILNS1_25lookback_scan_determinismE0ELb0ES3_N6thrust23THRUST_200600_302600_NS6detail15normal_iteratorINS9_10device_ptrIiEEEENSB_INSC_IjEEEENSB_INSC_IfEEEEjNS9_4plusIvEENS9_8equal_toIvEEjEE10hipError_tPvRmT2_T3_T4_T5_mT6_T7_P12ihipStream_tbENKUlT_T0_E_clISt17integral_constantIbLb1EES13_EEDaSY_SZ_EUlSY_E_NS1_11comp_targetILNS1_3genE3ELNS1_11target_archE908ELNS1_3gpuE7ELNS1_3repE0EEENS1_30default_config_static_selectorELNS0_4arch9wavefront6targetE0EEEvT1_.num_named_barrier, 0
	.set _ZN7rocprim17ROCPRIM_400000_NS6detail17trampoline_kernelINS0_14default_configENS1_27scan_by_key_config_selectorIijEEZZNS1_16scan_by_key_implILNS1_25lookback_scan_determinismE0ELb0ES3_N6thrust23THRUST_200600_302600_NS6detail15normal_iteratorINS9_10device_ptrIiEEEENSB_INSC_IjEEEENSB_INSC_IfEEEEjNS9_4plusIvEENS9_8equal_toIvEEjEE10hipError_tPvRmT2_T3_T4_T5_mT6_T7_P12ihipStream_tbENKUlT_T0_E_clISt17integral_constantIbLb1EES13_EEDaSY_SZ_EUlSY_E_NS1_11comp_targetILNS1_3genE3ELNS1_11target_archE908ELNS1_3gpuE7ELNS1_3repE0EEENS1_30default_config_static_selectorELNS0_4arch9wavefront6targetE0EEEvT1_.private_seg_size, 0
	.set _ZN7rocprim17ROCPRIM_400000_NS6detail17trampoline_kernelINS0_14default_configENS1_27scan_by_key_config_selectorIijEEZZNS1_16scan_by_key_implILNS1_25lookback_scan_determinismE0ELb0ES3_N6thrust23THRUST_200600_302600_NS6detail15normal_iteratorINS9_10device_ptrIiEEEENSB_INSC_IjEEEENSB_INSC_IfEEEEjNS9_4plusIvEENS9_8equal_toIvEEjEE10hipError_tPvRmT2_T3_T4_T5_mT6_T7_P12ihipStream_tbENKUlT_T0_E_clISt17integral_constantIbLb1EES13_EEDaSY_SZ_EUlSY_E_NS1_11comp_targetILNS1_3genE3ELNS1_11target_archE908ELNS1_3gpuE7ELNS1_3repE0EEENS1_30default_config_static_selectorELNS0_4arch9wavefront6targetE0EEEvT1_.uses_vcc, 0
	.set _ZN7rocprim17ROCPRIM_400000_NS6detail17trampoline_kernelINS0_14default_configENS1_27scan_by_key_config_selectorIijEEZZNS1_16scan_by_key_implILNS1_25lookback_scan_determinismE0ELb0ES3_N6thrust23THRUST_200600_302600_NS6detail15normal_iteratorINS9_10device_ptrIiEEEENSB_INSC_IjEEEENSB_INSC_IfEEEEjNS9_4plusIvEENS9_8equal_toIvEEjEE10hipError_tPvRmT2_T3_T4_T5_mT6_T7_P12ihipStream_tbENKUlT_T0_E_clISt17integral_constantIbLb1EES13_EEDaSY_SZ_EUlSY_E_NS1_11comp_targetILNS1_3genE3ELNS1_11target_archE908ELNS1_3gpuE7ELNS1_3repE0EEENS1_30default_config_static_selectorELNS0_4arch9wavefront6targetE0EEEvT1_.uses_flat_scratch, 0
	.set _ZN7rocprim17ROCPRIM_400000_NS6detail17trampoline_kernelINS0_14default_configENS1_27scan_by_key_config_selectorIijEEZZNS1_16scan_by_key_implILNS1_25lookback_scan_determinismE0ELb0ES3_N6thrust23THRUST_200600_302600_NS6detail15normal_iteratorINS9_10device_ptrIiEEEENSB_INSC_IjEEEENSB_INSC_IfEEEEjNS9_4plusIvEENS9_8equal_toIvEEjEE10hipError_tPvRmT2_T3_T4_T5_mT6_T7_P12ihipStream_tbENKUlT_T0_E_clISt17integral_constantIbLb1EES13_EEDaSY_SZ_EUlSY_E_NS1_11comp_targetILNS1_3genE3ELNS1_11target_archE908ELNS1_3gpuE7ELNS1_3repE0EEENS1_30default_config_static_selectorELNS0_4arch9wavefront6targetE0EEEvT1_.has_dyn_sized_stack, 0
	.set _ZN7rocprim17ROCPRIM_400000_NS6detail17trampoline_kernelINS0_14default_configENS1_27scan_by_key_config_selectorIijEEZZNS1_16scan_by_key_implILNS1_25lookback_scan_determinismE0ELb0ES3_N6thrust23THRUST_200600_302600_NS6detail15normal_iteratorINS9_10device_ptrIiEEEENSB_INSC_IjEEEENSB_INSC_IfEEEEjNS9_4plusIvEENS9_8equal_toIvEEjEE10hipError_tPvRmT2_T3_T4_T5_mT6_T7_P12ihipStream_tbENKUlT_T0_E_clISt17integral_constantIbLb1EES13_EEDaSY_SZ_EUlSY_E_NS1_11comp_targetILNS1_3genE3ELNS1_11target_archE908ELNS1_3gpuE7ELNS1_3repE0EEENS1_30default_config_static_selectorELNS0_4arch9wavefront6targetE0EEEvT1_.has_recursion, 0
	.set _ZN7rocprim17ROCPRIM_400000_NS6detail17trampoline_kernelINS0_14default_configENS1_27scan_by_key_config_selectorIijEEZZNS1_16scan_by_key_implILNS1_25lookback_scan_determinismE0ELb0ES3_N6thrust23THRUST_200600_302600_NS6detail15normal_iteratorINS9_10device_ptrIiEEEENSB_INSC_IjEEEENSB_INSC_IfEEEEjNS9_4plusIvEENS9_8equal_toIvEEjEE10hipError_tPvRmT2_T3_T4_T5_mT6_T7_P12ihipStream_tbENKUlT_T0_E_clISt17integral_constantIbLb1EES13_EEDaSY_SZ_EUlSY_E_NS1_11comp_targetILNS1_3genE3ELNS1_11target_archE908ELNS1_3gpuE7ELNS1_3repE0EEENS1_30default_config_static_selectorELNS0_4arch9wavefront6targetE0EEEvT1_.has_indirect_call, 0
	.section	.AMDGPU.csdata,"",@progbits
; Kernel info:
; codeLenInByte = 0
; TotalNumSgprs: 0
; NumVgprs: 0
; ScratchSize: 0
; MemoryBound: 0
; FloatMode: 240
; IeeeMode: 1
; LDSByteSize: 0 bytes/workgroup (compile time only)
; SGPRBlocks: 0
; VGPRBlocks: 0
; NumSGPRsForWavesPerEU: 1
; NumVGPRsForWavesPerEU: 1
; NamedBarCnt: 0
; Occupancy: 16
; WaveLimiterHint : 0
; COMPUTE_PGM_RSRC2:SCRATCH_EN: 0
; COMPUTE_PGM_RSRC2:USER_SGPR: 2
; COMPUTE_PGM_RSRC2:TRAP_HANDLER: 0
; COMPUTE_PGM_RSRC2:TGID_X_EN: 1
; COMPUTE_PGM_RSRC2:TGID_Y_EN: 0
; COMPUTE_PGM_RSRC2:TGID_Z_EN: 0
; COMPUTE_PGM_RSRC2:TIDIG_COMP_CNT: 0
	.section	.text._ZN7rocprim17ROCPRIM_400000_NS6detail17trampoline_kernelINS0_14default_configENS1_27scan_by_key_config_selectorIijEEZZNS1_16scan_by_key_implILNS1_25lookback_scan_determinismE0ELb0ES3_N6thrust23THRUST_200600_302600_NS6detail15normal_iteratorINS9_10device_ptrIiEEEENSB_INSC_IjEEEENSB_INSC_IfEEEEjNS9_4plusIvEENS9_8equal_toIvEEjEE10hipError_tPvRmT2_T3_T4_T5_mT6_T7_P12ihipStream_tbENKUlT_T0_E_clISt17integral_constantIbLb1EES13_EEDaSY_SZ_EUlSY_E_NS1_11comp_targetILNS1_3genE2ELNS1_11target_archE906ELNS1_3gpuE6ELNS1_3repE0EEENS1_30default_config_static_selectorELNS0_4arch9wavefront6targetE0EEEvT1_,"axG",@progbits,_ZN7rocprim17ROCPRIM_400000_NS6detail17trampoline_kernelINS0_14default_configENS1_27scan_by_key_config_selectorIijEEZZNS1_16scan_by_key_implILNS1_25lookback_scan_determinismE0ELb0ES3_N6thrust23THRUST_200600_302600_NS6detail15normal_iteratorINS9_10device_ptrIiEEEENSB_INSC_IjEEEENSB_INSC_IfEEEEjNS9_4plusIvEENS9_8equal_toIvEEjEE10hipError_tPvRmT2_T3_T4_T5_mT6_T7_P12ihipStream_tbENKUlT_T0_E_clISt17integral_constantIbLb1EES13_EEDaSY_SZ_EUlSY_E_NS1_11comp_targetILNS1_3genE2ELNS1_11target_archE906ELNS1_3gpuE6ELNS1_3repE0EEENS1_30default_config_static_selectorELNS0_4arch9wavefront6targetE0EEEvT1_,comdat
	.protected	_ZN7rocprim17ROCPRIM_400000_NS6detail17trampoline_kernelINS0_14default_configENS1_27scan_by_key_config_selectorIijEEZZNS1_16scan_by_key_implILNS1_25lookback_scan_determinismE0ELb0ES3_N6thrust23THRUST_200600_302600_NS6detail15normal_iteratorINS9_10device_ptrIiEEEENSB_INSC_IjEEEENSB_INSC_IfEEEEjNS9_4plusIvEENS9_8equal_toIvEEjEE10hipError_tPvRmT2_T3_T4_T5_mT6_T7_P12ihipStream_tbENKUlT_T0_E_clISt17integral_constantIbLb1EES13_EEDaSY_SZ_EUlSY_E_NS1_11comp_targetILNS1_3genE2ELNS1_11target_archE906ELNS1_3gpuE6ELNS1_3repE0EEENS1_30default_config_static_selectorELNS0_4arch9wavefront6targetE0EEEvT1_ ; -- Begin function _ZN7rocprim17ROCPRIM_400000_NS6detail17trampoline_kernelINS0_14default_configENS1_27scan_by_key_config_selectorIijEEZZNS1_16scan_by_key_implILNS1_25lookback_scan_determinismE0ELb0ES3_N6thrust23THRUST_200600_302600_NS6detail15normal_iteratorINS9_10device_ptrIiEEEENSB_INSC_IjEEEENSB_INSC_IfEEEEjNS9_4plusIvEENS9_8equal_toIvEEjEE10hipError_tPvRmT2_T3_T4_T5_mT6_T7_P12ihipStream_tbENKUlT_T0_E_clISt17integral_constantIbLb1EES13_EEDaSY_SZ_EUlSY_E_NS1_11comp_targetILNS1_3genE2ELNS1_11target_archE906ELNS1_3gpuE6ELNS1_3repE0EEENS1_30default_config_static_selectorELNS0_4arch9wavefront6targetE0EEEvT1_
	.globl	_ZN7rocprim17ROCPRIM_400000_NS6detail17trampoline_kernelINS0_14default_configENS1_27scan_by_key_config_selectorIijEEZZNS1_16scan_by_key_implILNS1_25lookback_scan_determinismE0ELb0ES3_N6thrust23THRUST_200600_302600_NS6detail15normal_iteratorINS9_10device_ptrIiEEEENSB_INSC_IjEEEENSB_INSC_IfEEEEjNS9_4plusIvEENS9_8equal_toIvEEjEE10hipError_tPvRmT2_T3_T4_T5_mT6_T7_P12ihipStream_tbENKUlT_T0_E_clISt17integral_constantIbLb1EES13_EEDaSY_SZ_EUlSY_E_NS1_11comp_targetILNS1_3genE2ELNS1_11target_archE906ELNS1_3gpuE6ELNS1_3repE0EEENS1_30default_config_static_selectorELNS0_4arch9wavefront6targetE0EEEvT1_
	.p2align	8
	.type	_ZN7rocprim17ROCPRIM_400000_NS6detail17trampoline_kernelINS0_14default_configENS1_27scan_by_key_config_selectorIijEEZZNS1_16scan_by_key_implILNS1_25lookback_scan_determinismE0ELb0ES3_N6thrust23THRUST_200600_302600_NS6detail15normal_iteratorINS9_10device_ptrIiEEEENSB_INSC_IjEEEENSB_INSC_IfEEEEjNS9_4plusIvEENS9_8equal_toIvEEjEE10hipError_tPvRmT2_T3_T4_T5_mT6_T7_P12ihipStream_tbENKUlT_T0_E_clISt17integral_constantIbLb1EES13_EEDaSY_SZ_EUlSY_E_NS1_11comp_targetILNS1_3genE2ELNS1_11target_archE906ELNS1_3gpuE6ELNS1_3repE0EEENS1_30default_config_static_selectorELNS0_4arch9wavefront6targetE0EEEvT1_,@function
_ZN7rocprim17ROCPRIM_400000_NS6detail17trampoline_kernelINS0_14default_configENS1_27scan_by_key_config_selectorIijEEZZNS1_16scan_by_key_implILNS1_25lookback_scan_determinismE0ELb0ES3_N6thrust23THRUST_200600_302600_NS6detail15normal_iteratorINS9_10device_ptrIiEEEENSB_INSC_IjEEEENSB_INSC_IfEEEEjNS9_4plusIvEENS9_8equal_toIvEEjEE10hipError_tPvRmT2_T3_T4_T5_mT6_T7_P12ihipStream_tbENKUlT_T0_E_clISt17integral_constantIbLb1EES13_EEDaSY_SZ_EUlSY_E_NS1_11comp_targetILNS1_3genE2ELNS1_11target_archE906ELNS1_3gpuE6ELNS1_3repE0EEENS1_30default_config_static_selectorELNS0_4arch9wavefront6targetE0EEEvT1_: ; @_ZN7rocprim17ROCPRIM_400000_NS6detail17trampoline_kernelINS0_14default_configENS1_27scan_by_key_config_selectorIijEEZZNS1_16scan_by_key_implILNS1_25lookback_scan_determinismE0ELb0ES3_N6thrust23THRUST_200600_302600_NS6detail15normal_iteratorINS9_10device_ptrIiEEEENSB_INSC_IjEEEENSB_INSC_IfEEEEjNS9_4plusIvEENS9_8equal_toIvEEjEE10hipError_tPvRmT2_T3_T4_T5_mT6_T7_P12ihipStream_tbENKUlT_T0_E_clISt17integral_constantIbLb1EES13_EEDaSY_SZ_EUlSY_E_NS1_11comp_targetILNS1_3genE2ELNS1_11target_archE906ELNS1_3gpuE6ELNS1_3repE0EEENS1_30default_config_static_selectorELNS0_4arch9wavefront6targetE0EEEvT1_
; %bb.0:
	.section	.rodata,"a",@progbits
	.p2align	6, 0x0
	.amdhsa_kernel _ZN7rocprim17ROCPRIM_400000_NS6detail17trampoline_kernelINS0_14default_configENS1_27scan_by_key_config_selectorIijEEZZNS1_16scan_by_key_implILNS1_25lookback_scan_determinismE0ELb0ES3_N6thrust23THRUST_200600_302600_NS6detail15normal_iteratorINS9_10device_ptrIiEEEENSB_INSC_IjEEEENSB_INSC_IfEEEEjNS9_4plusIvEENS9_8equal_toIvEEjEE10hipError_tPvRmT2_T3_T4_T5_mT6_T7_P12ihipStream_tbENKUlT_T0_E_clISt17integral_constantIbLb1EES13_EEDaSY_SZ_EUlSY_E_NS1_11comp_targetILNS1_3genE2ELNS1_11target_archE906ELNS1_3gpuE6ELNS1_3repE0EEENS1_30default_config_static_selectorELNS0_4arch9wavefront6targetE0EEEvT1_
		.amdhsa_group_segment_fixed_size 0
		.amdhsa_private_segment_fixed_size 0
		.amdhsa_kernarg_size 112
		.amdhsa_user_sgpr_count 2
		.amdhsa_user_sgpr_dispatch_ptr 0
		.amdhsa_user_sgpr_queue_ptr 0
		.amdhsa_user_sgpr_kernarg_segment_ptr 1
		.amdhsa_user_sgpr_dispatch_id 0
		.amdhsa_user_sgpr_kernarg_preload_length 0
		.amdhsa_user_sgpr_kernarg_preload_offset 0
		.amdhsa_user_sgpr_private_segment_size 0
		.amdhsa_wavefront_size32 1
		.amdhsa_uses_dynamic_stack 0
		.amdhsa_enable_private_segment 0
		.amdhsa_system_sgpr_workgroup_id_x 1
		.amdhsa_system_sgpr_workgroup_id_y 0
		.amdhsa_system_sgpr_workgroup_id_z 0
		.amdhsa_system_sgpr_workgroup_info 0
		.amdhsa_system_vgpr_workitem_id 0
		.amdhsa_next_free_vgpr 1
		.amdhsa_next_free_sgpr 1
		.amdhsa_named_barrier_count 0
		.amdhsa_reserve_vcc 0
		.amdhsa_float_round_mode_32 0
		.amdhsa_float_round_mode_16_64 0
		.amdhsa_float_denorm_mode_32 3
		.amdhsa_float_denorm_mode_16_64 3
		.amdhsa_fp16_overflow 0
		.amdhsa_memory_ordered 1
		.amdhsa_forward_progress 1
		.amdhsa_inst_pref_size 0
		.amdhsa_round_robin_scheduling 0
		.amdhsa_exception_fp_ieee_invalid_op 0
		.amdhsa_exception_fp_denorm_src 0
		.amdhsa_exception_fp_ieee_div_zero 0
		.amdhsa_exception_fp_ieee_overflow 0
		.amdhsa_exception_fp_ieee_underflow 0
		.amdhsa_exception_fp_ieee_inexact 0
		.amdhsa_exception_int_div_zero 0
	.end_amdhsa_kernel
	.section	.text._ZN7rocprim17ROCPRIM_400000_NS6detail17trampoline_kernelINS0_14default_configENS1_27scan_by_key_config_selectorIijEEZZNS1_16scan_by_key_implILNS1_25lookback_scan_determinismE0ELb0ES3_N6thrust23THRUST_200600_302600_NS6detail15normal_iteratorINS9_10device_ptrIiEEEENSB_INSC_IjEEEENSB_INSC_IfEEEEjNS9_4plusIvEENS9_8equal_toIvEEjEE10hipError_tPvRmT2_T3_T4_T5_mT6_T7_P12ihipStream_tbENKUlT_T0_E_clISt17integral_constantIbLb1EES13_EEDaSY_SZ_EUlSY_E_NS1_11comp_targetILNS1_3genE2ELNS1_11target_archE906ELNS1_3gpuE6ELNS1_3repE0EEENS1_30default_config_static_selectorELNS0_4arch9wavefront6targetE0EEEvT1_,"axG",@progbits,_ZN7rocprim17ROCPRIM_400000_NS6detail17trampoline_kernelINS0_14default_configENS1_27scan_by_key_config_selectorIijEEZZNS1_16scan_by_key_implILNS1_25lookback_scan_determinismE0ELb0ES3_N6thrust23THRUST_200600_302600_NS6detail15normal_iteratorINS9_10device_ptrIiEEEENSB_INSC_IjEEEENSB_INSC_IfEEEEjNS9_4plusIvEENS9_8equal_toIvEEjEE10hipError_tPvRmT2_T3_T4_T5_mT6_T7_P12ihipStream_tbENKUlT_T0_E_clISt17integral_constantIbLb1EES13_EEDaSY_SZ_EUlSY_E_NS1_11comp_targetILNS1_3genE2ELNS1_11target_archE906ELNS1_3gpuE6ELNS1_3repE0EEENS1_30default_config_static_selectorELNS0_4arch9wavefront6targetE0EEEvT1_,comdat
.Lfunc_end1658:
	.size	_ZN7rocprim17ROCPRIM_400000_NS6detail17trampoline_kernelINS0_14default_configENS1_27scan_by_key_config_selectorIijEEZZNS1_16scan_by_key_implILNS1_25lookback_scan_determinismE0ELb0ES3_N6thrust23THRUST_200600_302600_NS6detail15normal_iteratorINS9_10device_ptrIiEEEENSB_INSC_IjEEEENSB_INSC_IfEEEEjNS9_4plusIvEENS9_8equal_toIvEEjEE10hipError_tPvRmT2_T3_T4_T5_mT6_T7_P12ihipStream_tbENKUlT_T0_E_clISt17integral_constantIbLb1EES13_EEDaSY_SZ_EUlSY_E_NS1_11comp_targetILNS1_3genE2ELNS1_11target_archE906ELNS1_3gpuE6ELNS1_3repE0EEENS1_30default_config_static_selectorELNS0_4arch9wavefront6targetE0EEEvT1_, .Lfunc_end1658-_ZN7rocprim17ROCPRIM_400000_NS6detail17trampoline_kernelINS0_14default_configENS1_27scan_by_key_config_selectorIijEEZZNS1_16scan_by_key_implILNS1_25lookback_scan_determinismE0ELb0ES3_N6thrust23THRUST_200600_302600_NS6detail15normal_iteratorINS9_10device_ptrIiEEEENSB_INSC_IjEEEENSB_INSC_IfEEEEjNS9_4plusIvEENS9_8equal_toIvEEjEE10hipError_tPvRmT2_T3_T4_T5_mT6_T7_P12ihipStream_tbENKUlT_T0_E_clISt17integral_constantIbLb1EES13_EEDaSY_SZ_EUlSY_E_NS1_11comp_targetILNS1_3genE2ELNS1_11target_archE906ELNS1_3gpuE6ELNS1_3repE0EEENS1_30default_config_static_selectorELNS0_4arch9wavefront6targetE0EEEvT1_
                                        ; -- End function
	.set _ZN7rocprim17ROCPRIM_400000_NS6detail17trampoline_kernelINS0_14default_configENS1_27scan_by_key_config_selectorIijEEZZNS1_16scan_by_key_implILNS1_25lookback_scan_determinismE0ELb0ES3_N6thrust23THRUST_200600_302600_NS6detail15normal_iteratorINS9_10device_ptrIiEEEENSB_INSC_IjEEEENSB_INSC_IfEEEEjNS9_4plusIvEENS9_8equal_toIvEEjEE10hipError_tPvRmT2_T3_T4_T5_mT6_T7_P12ihipStream_tbENKUlT_T0_E_clISt17integral_constantIbLb1EES13_EEDaSY_SZ_EUlSY_E_NS1_11comp_targetILNS1_3genE2ELNS1_11target_archE906ELNS1_3gpuE6ELNS1_3repE0EEENS1_30default_config_static_selectorELNS0_4arch9wavefront6targetE0EEEvT1_.num_vgpr, 0
	.set _ZN7rocprim17ROCPRIM_400000_NS6detail17trampoline_kernelINS0_14default_configENS1_27scan_by_key_config_selectorIijEEZZNS1_16scan_by_key_implILNS1_25lookback_scan_determinismE0ELb0ES3_N6thrust23THRUST_200600_302600_NS6detail15normal_iteratorINS9_10device_ptrIiEEEENSB_INSC_IjEEEENSB_INSC_IfEEEEjNS9_4plusIvEENS9_8equal_toIvEEjEE10hipError_tPvRmT2_T3_T4_T5_mT6_T7_P12ihipStream_tbENKUlT_T0_E_clISt17integral_constantIbLb1EES13_EEDaSY_SZ_EUlSY_E_NS1_11comp_targetILNS1_3genE2ELNS1_11target_archE906ELNS1_3gpuE6ELNS1_3repE0EEENS1_30default_config_static_selectorELNS0_4arch9wavefront6targetE0EEEvT1_.num_agpr, 0
	.set _ZN7rocprim17ROCPRIM_400000_NS6detail17trampoline_kernelINS0_14default_configENS1_27scan_by_key_config_selectorIijEEZZNS1_16scan_by_key_implILNS1_25lookback_scan_determinismE0ELb0ES3_N6thrust23THRUST_200600_302600_NS6detail15normal_iteratorINS9_10device_ptrIiEEEENSB_INSC_IjEEEENSB_INSC_IfEEEEjNS9_4plusIvEENS9_8equal_toIvEEjEE10hipError_tPvRmT2_T3_T4_T5_mT6_T7_P12ihipStream_tbENKUlT_T0_E_clISt17integral_constantIbLb1EES13_EEDaSY_SZ_EUlSY_E_NS1_11comp_targetILNS1_3genE2ELNS1_11target_archE906ELNS1_3gpuE6ELNS1_3repE0EEENS1_30default_config_static_selectorELNS0_4arch9wavefront6targetE0EEEvT1_.numbered_sgpr, 0
	.set _ZN7rocprim17ROCPRIM_400000_NS6detail17trampoline_kernelINS0_14default_configENS1_27scan_by_key_config_selectorIijEEZZNS1_16scan_by_key_implILNS1_25lookback_scan_determinismE0ELb0ES3_N6thrust23THRUST_200600_302600_NS6detail15normal_iteratorINS9_10device_ptrIiEEEENSB_INSC_IjEEEENSB_INSC_IfEEEEjNS9_4plusIvEENS9_8equal_toIvEEjEE10hipError_tPvRmT2_T3_T4_T5_mT6_T7_P12ihipStream_tbENKUlT_T0_E_clISt17integral_constantIbLb1EES13_EEDaSY_SZ_EUlSY_E_NS1_11comp_targetILNS1_3genE2ELNS1_11target_archE906ELNS1_3gpuE6ELNS1_3repE0EEENS1_30default_config_static_selectorELNS0_4arch9wavefront6targetE0EEEvT1_.num_named_barrier, 0
	.set _ZN7rocprim17ROCPRIM_400000_NS6detail17trampoline_kernelINS0_14default_configENS1_27scan_by_key_config_selectorIijEEZZNS1_16scan_by_key_implILNS1_25lookback_scan_determinismE0ELb0ES3_N6thrust23THRUST_200600_302600_NS6detail15normal_iteratorINS9_10device_ptrIiEEEENSB_INSC_IjEEEENSB_INSC_IfEEEEjNS9_4plusIvEENS9_8equal_toIvEEjEE10hipError_tPvRmT2_T3_T4_T5_mT6_T7_P12ihipStream_tbENKUlT_T0_E_clISt17integral_constantIbLb1EES13_EEDaSY_SZ_EUlSY_E_NS1_11comp_targetILNS1_3genE2ELNS1_11target_archE906ELNS1_3gpuE6ELNS1_3repE0EEENS1_30default_config_static_selectorELNS0_4arch9wavefront6targetE0EEEvT1_.private_seg_size, 0
	.set _ZN7rocprim17ROCPRIM_400000_NS6detail17trampoline_kernelINS0_14default_configENS1_27scan_by_key_config_selectorIijEEZZNS1_16scan_by_key_implILNS1_25lookback_scan_determinismE0ELb0ES3_N6thrust23THRUST_200600_302600_NS6detail15normal_iteratorINS9_10device_ptrIiEEEENSB_INSC_IjEEEENSB_INSC_IfEEEEjNS9_4plusIvEENS9_8equal_toIvEEjEE10hipError_tPvRmT2_T3_T4_T5_mT6_T7_P12ihipStream_tbENKUlT_T0_E_clISt17integral_constantIbLb1EES13_EEDaSY_SZ_EUlSY_E_NS1_11comp_targetILNS1_3genE2ELNS1_11target_archE906ELNS1_3gpuE6ELNS1_3repE0EEENS1_30default_config_static_selectorELNS0_4arch9wavefront6targetE0EEEvT1_.uses_vcc, 0
	.set _ZN7rocprim17ROCPRIM_400000_NS6detail17trampoline_kernelINS0_14default_configENS1_27scan_by_key_config_selectorIijEEZZNS1_16scan_by_key_implILNS1_25lookback_scan_determinismE0ELb0ES3_N6thrust23THRUST_200600_302600_NS6detail15normal_iteratorINS9_10device_ptrIiEEEENSB_INSC_IjEEEENSB_INSC_IfEEEEjNS9_4plusIvEENS9_8equal_toIvEEjEE10hipError_tPvRmT2_T3_T4_T5_mT6_T7_P12ihipStream_tbENKUlT_T0_E_clISt17integral_constantIbLb1EES13_EEDaSY_SZ_EUlSY_E_NS1_11comp_targetILNS1_3genE2ELNS1_11target_archE906ELNS1_3gpuE6ELNS1_3repE0EEENS1_30default_config_static_selectorELNS0_4arch9wavefront6targetE0EEEvT1_.uses_flat_scratch, 0
	.set _ZN7rocprim17ROCPRIM_400000_NS6detail17trampoline_kernelINS0_14default_configENS1_27scan_by_key_config_selectorIijEEZZNS1_16scan_by_key_implILNS1_25lookback_scan_determinismE0ELb0ES3_N6thrust23THRUST_200600_302600_NS6detail15normal_iteratorINS9_10device_ptrIiEEEENSB_INSC_IjEEEENSB_INSC_IfEEEEjNS9_4plusIvEENS9_8equal_toIvEEjEE10hipError_tPvRmT2_T3_T4_T5_mT6_T7_P12ihipStream_tbENKUlT_T0_E_clISt17integral_constantIbLb1EES13_EEDaSY_SZ_EUlSY_E_NS1_11comp_targetILNS1_3genE2ELNS1_11target_archE906ELNS1_3gpuE6ELNS1_3repE0EEENS1_30default_config_static_selectorELNS0_4arch9wavefront6targetE0EEEvT1_.has_dyn_sized_stack, 0
	.set _ZN7rocprim17ROCPRIM_400000_NS6detail17trampoline_kernelINS0_14default_configENS1_27scan_by_key_config_selectorIijEEZZNS1_16scan_by_key_implILNS1_25lookback_scan_determinismE0ELb0ES3_N6thrust23THRUST_200600_302600_NS6detail15normal_iteratorINS9_10device_ptrIiEEEENSB_INSC_IjEEEENSB_INSC_IfEEEEjNS9_4plusIvEENS9_8equal_toIvEEjEE10hipError_tPvRmT2_T3_T4_T5_mT6_T7_P12ihipStream_tbENKUlT_T0_E_clISt17integral_constantIbLb1EES13_EEDaSY_SZ_EUlSY_E_NS1_11comp_targetILNS1_3genE2ELNS1_11target_archE906ELNS1_3gpuE6ELNS1_3repE0EEENS1_30default_config_static_selectorELNS0_4arch9wavefront6targetE0EEEvT1_.has_recursion, 0
	.set _ZN7rocprim17ROCPRIM_400000_NS6detail17trampoline_kernelINS0_14default_configENS1_27scan_by_key_config_selectorIijEEZZNS1_16scan_by_key_implILNS1_25lookback_scan_determinismE0ELb0ES3_N6thrust23THRUST_200600_302600_NS6detail15normal_iteratorINS9_10device_ptrIiEEEENSB_INSC_IjEEEENSB_INSC_IfEEEEjNS9_4plusIvEENS9_8equal_toIvEEjEE10hipError_tPvRmT2_T3_T4_T5_mT6_T7_P12ihipStream_tbENKUlT_T0_E_clISt17integral_constantIbLb1EES13_EEDaSY_SZ_EUlSY_E_NS1_11comp_targetILNS1_3genE2ELNS1_11target_archE906ELNS1_3gpuE6ELNS1_3repE0EEENS1_30default_config_static_selectorELNS0_4arch9wavefront6targetE0EEEvT1_.has_indirect_call, 0
	.section	.AMDGPU.csdata,"",@progbits
; Kernel info:
; codeLenInByte = 0
; TotalNumSgprs: 0
; NumVgprs: 0
; ScratchSize: 0
; MemoryBound: 0
; FloatMode: 240
; IeeeMode: 1
; LDSByteSize: 0 bytes/workgroup (compile time only)
; SGPRBlocks: 0
; VGPRBlocks: 0
; NumSGPRsForWavesPerEU: 1
; NumVGPRsForWavesPerEU: 1
; NamedBarCnt: 0
; Occupancy: 16
; WaveLimiterHint : 0
; COMPUTE_PGM_RSRC2:SCRATCH_EN: 0
; COMPUTE_PGM_RSRC2:USER_SGPR: 2
; COMPUTE_PGM_RSRC2:TRAP_HANDLER: 0
; COMPUTE_PGM_RSRC2:TGID_X_EN: 1
; COMPUTE_PGM_RSRC2:TGID_Y_EN: 0
; COMPUTE_PGM_RSRC2:TGID_Z_EN: 0
; COMPUTE_PGM_RSRC2:TIDIG_COMP_CNT: 0
	.section	.text._ZN7rocprim17ROCPRIM_400000_NS6detail17trampoline_kernelINS0_14default_configENS1_27scan_by_key_config_selectorIijEEZZNS1_16scan_by_key_implILNS1_25lookback_scan_determinismE0ELb0ES3_N6thrust23THRUST_200600_302600_NS6detail15normal_iteratorINS9_10device_ptrIiEEEENSB_INSC_IjEEEENSB_INSC_IfEEEEjNS9_4plusIvEENS9_8equal_toIvEEjEE10hipError_tPvRmT2_T3_T4_T5_mT6_T7_P12ihipStream_tbENKUlT_T0_E_clISt17integral_constantIbLb1EES13_EEDaSY_SZ_EUlSY_E_NS1_11comp_targetILNS1_3genE10ELNS1_11target_archE1200ELNS1_3gpuE4ELNS1_3repE0EEENS1_30default_config_static_selectorELNS0_4arch9wavefront6targetE0EEEvT1_,"axG",@progbits,_ZN7rocprim17ROCPRIM_400000_NS6detail17trampoline_kernelINS0_14default_configENS1_27scan_by_key_config_selectorIijEEZZNS1_16scan_by_key_implILNS1_25lookback_scan_determinismE0ELb0ES3_N6thrust23THRUST_200600_302600_NS6detail15normal_iteratorINS9_10device_ptrIiEEEENSB_INSC_IjEEEENSB_INSC_IfEEEEjNS9_4plusIvEENS9_8equal_toIvEEjEE10hipError_tPvRmT2_T3_T4_T5_mT6_T7_P12ihipStream_tbENKUlT_T0_E_clISt17integral_constantIbLb1EES13_EEDaSY_SZ_EUlSY_E_NS1_11comp_targetILNS1_3genE10ELNS1_11target_archE1200ELNS1_3gpuE4ELNS1_3repE0EEENS1_30default_config_static_selectorELNS0_4arch9wavefront6targetE0EEEvT1_,comdat
	.protected	_ZN7rocprim17ROCPRIM_400000_NS6detail17trampoline_kernelINS0_14default_configENS1_27scan_by_key_config_selectorIijEEZZNS1_16scan_by_key_implILNS1_25lookback_scan_determinismE0ELb0ES3_N6thrust23THRUST_200600_302600_NS6detail15normal_iteratorINS9_10device_ptrIiEEEENSB_INSC_IjEEEENSB_INSC_IfEEEEjNS9_4plusIvEENS9_8equal_toIvEEjEE10hipError_tPvRmT2_T3_T4_T5_mT6_T7_P12ihipStream_tbENKUlT_T0_E_clISt17integral_constantIbLb1EES13_EEDaSY_SZ_EUlSY_E_NS1_11comp_targetILNS1_3genE10ELNS1_11target_archE1200ELNS1_3gpuE4ELNS1_3repE0EEENS1_30default_config_static_selectorELNS0_4arch9wavefront6targetE0EEEvT1_ ; -- Begin function _ZN7rocprim17ROCPRIM_400000_NS6detail17trampoline_kernelINS0_14default_configENS1_27scan_by_key_config_selectorIijEEZZNS1_16scan_by_key_implILNS1_25lookback_scan_determinismE0ELb0ES3_N6thrust23THRUST_200600_302600_NS6detail15normal_iteratorINS9_10device_ptrIiEEEENSB_INSC_IjEEEENSB_INSC_IfEEEEjNS9_4plusIvEENS9_8equal_toIvEEjEE10hipError_tPvRmT2_T3_T4_T5_mT6_T7_P12ihipStream_tbENKUlT_T0_E_clISt17integral_constantIbLb1EES13_EEDaSY_SZ_EUlSY_E_NS1_11comp_targetILNS1_3genE10ELNS1_11target_archE1200ELNS1_3gpuE4ELNS1_3repE0EEENS1_30default_config_static_selectorELNS0_4arch9wavefront6targetE0EEEvT1_
	.globl	_ZN7rocprim17ROCPRIM_400000_NS6detail17trampoline_kernelINS0_14default_configENS1_27scan_by_key_config_selectorIijEEZZNS1_16scan_by_key_implILNS1_25lookback_scan_determinismE0ELb0ES3_N6thrust23THRUST_200600_302600_NS6detail15normal_iteratorINS9_10device_ptrIiEEEENSB_INSC_IjEEEENSB_INSC_IfEEEEjNS9_4plusIvEENS9_8equal_toIvEEjEE10hipError_tPvRmT2_T3_T4_T5_mT6_T7_P12ihipStream_tbENKUlT_T0_E_clISt17integral_constantIbLb1EES13_EEDaSY_SZ_EUlSY_E_NS1_11comp_targetILNS1_3genE10ELNS1_11target_archE1200ELNS1_3gpuE4ELNS1_3repE0EEENS1_30default_config_static_selectorELNS0_4arch9wavefront6targetE0EEEvT1_
	.p2align	8
	.type	_ZN7rocprim17ROCPRIM_400000_NS6detail17trampoline_kernelINS0_14default_configENS1_27scan_by_key_config_selectorIijEEZZNS1_16scan_by_key_implILNS1_25lookback_scan_determinismE0ELb0ES3_N6thrust23THRUST_200600_302600_NS6detail15normal_iteratorINS9_10device_ptrIiEEEENSB_INSC_IjEEEENSB_INSC_IfEEEEjNS9_4plusIvEENS9_8equal_toIvEEjEE10hipError_tPvRmT2_T3_T4_T5_mT6_T7_P12ihipStream_tbENKUlT_T0_E_clISt17integral_constantIbLb1EES13_EEDaSY_SZ_EUlSY_E_NS1_11comp_targetILNS1_3genE10ELNS1_11target_archE1200ELNS1_3gpuE4ELNS1_3repE0EEENS1_30default_config_static_selectorELNS0_4arch9wavefront6targetE0EEEvT1_,@function
_ZN7rocprim17ROCPRIM_400000_NS6detail17trampoline_kernelINS0_14default_configENS1_27scan_by_key_config_selectorIijEEZZNS1_16scan_by_key_implILNS1_25lookback_scan_determinismE0ELb0ES3_N6thrust23THRUST_200600_302600_NS6detail15normal_iteratorINS9_10device_ptrIiEEEENSB_INSC_IjEEEENSB_INSC_IfEEEEjNS9_4plusIvEENS9_8equal_toIvEEjEE10hipError_tPvRmT2_T3_T4_T5_mT6_T7_P12ihipStream_tbENKUlT_T0_E_clISt17integral_constantIbLb1EES13_EEDaSY_SZ_EUlSY_E_NS1_11comp_targetILNS1_3genE10ELNS1_11target_archE1200ELNS1_3gpuE4ELNS1_3repE0EEENS1_30default_config_static_selectorELNS0_4arch9wavefront6targetE0EEEvT1_: ; @_ZN7rocprim17ROCPRIM_400000_NS6detail17trampoline_kernelINS0_14default_configENS1_27scan_by_key_config_selectorIijEEZZNS1_16scan_by_key_implILNS1_25lookback_scan_determinismE0ELb0ES3_N6thrust23THRUST_200600_302600_NS6detail15normal_iteratorINS9_10device_ptrIiEEEENSB_INSC_IjEEEENSB_INSC_IfEEEEjNS9_4plusIvEENS9_8equal_toIvEEjEE10hipError_tPvRmT2_T3_T4_T5_mT6_T7_P12ihipStream_tbENKUlT_T0_E_clISt17integral_constantIbLb1EES13_EEDaSY_SZ_EUlSY_E_NS1_11comp_targetILNS1_3genE10ELNS1_11target_archE1200ELNS1_3gpuE4ELNS1_3repE0EEENS1_30default_config_static_selectorELNS0_4arch9wavefront6targetE0EEEvT1_
; %bb.0:
	.section	.rodata,"a",@progbits
	.p2align	6, 0x0
	.amdhsa_kernel _ZN7rocprim17ROCPRIM_400000_NS6detail17trampoline_kernelINS0_14default_configENS1_27scan_by_key_config_selectorIijEEZZNS1_16scan_by_key_implILNS1_25lookback_scan_determinismE0ELb0ES3_N6thrust23THRUST_200600_302600_NS6detail15normal_iteratorINS9_10device_ptrIiEEEENSB_INSC_IjEEEENSB_INSC_IfEEEEjNS9_4plusIvEENS9_8equal_toIvEEjEE10hipError_tPvRmT2_T3_T4_T5_mT6_T7_P12ihipStream_tbENKUlT_T0_E_clISt17integral_constantIbLb1EES13_EEDaSY_SZ_EUlSY_E_NS1_11comp_targetILNS1_3genE10ELNS1_11target_archE1200ELNS1_3gpuE4ELNS1_3repE0EEENS1_30default_config_static_selectorELNS0_4arch9wavefront6targetE0EEEvT1_
		.amdhsa_group_segment_fixed_size 0
		.amdhsa_private_segment_fixed_size 0
		.amdhsa_kernarg_size 112
		.amdhsa_user_sgpr_count 2
		.amdhsa_user_sgpr_dispatch_ptr 0
		.amdhsa_user_sgpr_queue_ptr 0
		.amdhsa_user_sgpr_kernarg_segment_ptr 1
		.amdhsa_user_sgpr_dispatch_id 0
		.amdhsa_user_sgpr_kernarg_preload_length 0
		.amdhsa_user_sgpr_kernarg_preload_offset 0
		.amdhsa_user_sgpr_private_segment_size 0
		.amdhsa_wavefront_size32 1
		.amdhsa_uses_dynamic_stack 0
		.amdhsa_enable_private_segment 0
		.amdhsa_system_sgpr_workgroup_id_x 1
		.amdhsa_system_sgpr_workgroup_id_y 0
		.amdhsa_system_sgpr_workgroup_id_z 0
		.amdhsa_system_sgpr_workgroup_info 0
		.amdhsa_system_vgpr_workitem_id 0
		.amdhsa_next_free_vgpr 1
		.amdhsa_next_free_sgpr 1
		.amdhsa_named_barrier_count 0
		.amdhsa_reserve_vcc 0
		.amdhsa_float_round_mode_32 0
		.amdhsa_float_round_mode_16_64 0
		.amdhsa_float_denorm_mode_32 3
		.amdhsa_float_denorm_mode_16_64 3
		.amdhsa_fp16_overflow 0
		.amdhsa_memory_ordered 1
		.amdhsa_forward_progress 1
		.amdhsa_inst_pref_size 0
		.amdhsa_round_robin_scheduling 0
		.amdhsa_exception_fp_ieee_invalid_op 0
		.amdhsa_exception_fp_denorm_src 0
		.amdhsa_exception_fp_ieee_div_zero 0
		.amdhsa_exception_fp_ieee_overflow 0
		.amdhsa_exception_fp_ieee_underflow 0
		.amdhsa_exception_fp_ieee_inexact 0
		.amdhsa_exception_int_div_zero 0
	.end_amdhsa_kernel
	.section	.text._ZN7rocprim17ROCPRIM_400000_NS6detail17trampoline_kernelINS0_14default_configENS1_27scan_by_key_config_selectorIijEEZZNS1_16scan_by_key_implILNS1_25lookback_scan_determinismE0ELb0ES3_N6thrust23THRUST_200600_302600_NS6detail15normal_iteratorINS9_10device_ptrIiEEEENSB_INSC_IjEEEENSB_INSC_IfEEEEjNS9_4plusIvEENS9_8equal_toIvEEjEE10hipError_tPvRmT2_T3_T4_T5_mT6_T7_P12ihipStream_tbENKUlT_T0_E_clISt17integral_constantIbLb1EES13_EEDaSY_SZ_EUlSY_E_NS1_11comp_targetILNS1_3genE10ELNS1_11target_archE1200ELNS1_3gpuE4ELNS1_3repE0EEENS1_30default_config_static_selectorELNS0_4arch9wavefront6targetE0EEEvT1_,"axG",@progbits,_ZN7rocprim17ROCPRIM_400000_NS6detail17trampoline_kernelINS0_14default_configENS1_27scan_by_key_config_selectorIijEEZZNS1_16scan_by_key_implILNS1_25lookback_scan_determinismE0ELb0ES3_N6thrust23THRUST_200600_302600_NS6detail15normal_iteratorINS9_10device_ptrIiEEEENSB_INSC_IjEEEENSB_INSC_IfEEEEjNS9_4plusIvEENS9_8equal_toIvEEjEE10hipError_tPvRmT2_T3_T4_T5_mT6_T7_P12ihipStream_tbENKUlT_T0_E_clISt17integral_constantIbLb1EES13_EEDaSY_SZ_EUlSY_E_NS1_11comp_targetILNS1_3genE10ELNS1_11target_archE1200ELNS1_3gpuE4ELNS1_3repE0EEENS1_30default_config_static_selectorELNS0_4arch9wavefront6targetE0EEEvT1_,comdat
.Lfunc_end1659:
	.size	_ZN7rocprim17ROCPRIM_400000_NS6detail17trampoline_kernelINS0_14default_configENS1_27scan_by_key_config_selectorIijEEZZNS1_16scan_by_key_implILNS1_25lookback_scan_determinismE0ELb0ES3_N6thrust23THRUST_200600_302600_NS6detail15normal_iteratorINS9_10device_ptrIiEEEENSB_INSC_IjEEEENSB_INSC_IfEEEEjNS9_4plusIvEENS9_8equal_toIvEEjEE10hipError_tPvRmT2_T3_T4_T5_mT6_T7_P12ihipStream_tbENKUlT_T0_E_clISt17integral_constantIbLb1EES13_EEDaSY_SZ_EUlSY_E_NS1_11comp_targetILNS1_3genE10ELNS1_11target_archE1200ELNS1_3gpuE4ELNS1_3repE0EEENS1_30default_config_static_selectorELNS0_4arch9wavefront6targetE0EEEvT1_, .Lfunc_end1659-_ZN7rocprim17ROCPRIM_400000_NS6detail17trampoline_kernelINS0_14default_configENS1_27scan_by_key_config_selectorIijEEZZNS1_16scan_by_key_implILNS1_25lookback_scan_determinismE0ELb0ES3_N6thrust23THRUST_200600_302600_NS6detail15normal_iteratorINS9_10device_ptrIiEEEENSB_INSC_IjEEEENSB_INSC_IfEEEEjNS9_4plusIvEENS9_8equal_toIvEEjEE10hipError_tPvRmT2_T3_T4_T5_mT6_T7_P12ihipStream_tbENKUlT_T0_E_clISt17integral_constantIbLb1EES13_EEDaSY_SZ_EUlSY_E_NS1_11comp_targetILNS1_3genE10ELNS1_11target_archE1200ELNS1_3gpuE4ELNS1_3repE0EEENS1_30default_config_static_selectorELNS0_4arch9wavefront6targetE0EEEvT1_
                                        ; -- End function
	.set _ZN7rocprim17ROCPRIM_400000_NS6detail17trampoline_kernelINS0_14default_configENS1_27scan_by_key_config_selectorIijEEZZNS1_16scan_by_key_implILNS1_25lookback_scan_determinismE0ELb0ES3_N6thrust23THRUST_200600_302600_NS6detail15normal_iteratorINS9_10device_ptrIiEEEENSB_INSC_IjEEEENSB_INSC_IfEEEEjNS9_4plusIvEENS9_8equal_toIvEEjEE10hipError_tPvRmT2_T3_T4_T5_mT6_T7_P12ihipStream_tbENKUlT_T0_E_clISt17integral_constantIbLb1EES13_EEDaSY_SZ_EUlSY_E_NS1_11comp_targetILNS1_3genE10ELNS1_11target_archE1200ELNS1_3gpuE4ELNS1_3repE0EEENS1_30default_config_static_selectorELNS0_4arch9wavefront6targetE0EEEvT1_.num_vgpr, 0
	.set _ZN7rocprim17ROCPRIM_400000_NS6detail17trampoline_kernelINS0_14default_configENS1_27scan_by_key_config_selectorIijEEZZNS1_16scan_by_key_implILNS1_25lookback_scan_determinismE0ELb0ES3_N6thrust23THRUST_200600_302600_NS6detail15normal_iteratorINS9_10device_ptrIiEEEENSB_INSC_IjEEEENSB_INSC_IfEEEEjNS9_4plusIvEENS9_8equal_toIvEEjEE10hipError_tPvRmT2_T3_T4_T5_mT6_T7_P12ihipStream_tbENKUlT_T0_E_clISt17integral_constantIbLb1EES13_EEDaSY_SZ_EUlSY_E_NS1_11comp_targetILNS1_3genE10ELNS1_11target_archE1200ELNS1_3gpuE4ELNS1_3repE0EEENS1_30default_config_static_selectorELNS0_4arch9wavefront6targetE0EEEvT1_.num_agpr, 0
	.set _ZN7rocprim17ROCPRIM_400000_NS6detail17trampoline_kernelINS0_14default_configENS1_27scan_by_key_config_selectorIijEEZZNS1_16scan_by_key_implILNS1_25lookback_scan_determinismE0ELb0ES3_N6thrust23THRUST_200600_302600_NS6detail15normal_iteratorINS9_10device_ptrIiEEEENSB_INSC_IjEEEENSB_INSC_IfEEEEjNS9_4plusIvEENS9_8equal_toIvEEjEE10hipError_tPvRmT2_T3_T4_T5_mT6_T7_P12ihipStream_tbENKUlT_T0_E_clISt17integral_constantIbLb1EES13_EEDaSY_SZ_EUlSY_E_NS1_11comp_targetILNS1_3genE10ELNS1_11target_archE1200ELNS1_3gpuE4ELNS1_3repE0EEENS1_30default_config_static_selectorELNS0_4arch9wavefront6targetE0EEEvT1_.numbered_sgpr, 0
	.set _ZN7rocprim17ROCPRIM_400000_NS6detail17trampoline_kernelINS0_14default_configENS1_27scan_by_key_config_selectorIijEEZZNS1_16scan_by_key_implILNS1_25lookback_scan_determinismE0ELb0ES3_N6thrust23THRUST_200600_302600_NS6detail15normal_iteratorINS9_10device_ptrIiEEEENSB_INSC_IjEEEENSB_INSC_IfEEEEjNS9_4plusIvEENS9_8equal_toIvEEjEE10hipError_tPvRmT2_T3_T4_T5_mT6_T7_P12ihipStream_tbENKUlT_T0_E_clISt17integral_constantIbLb1EES13_EEDaSY_SZ_EUlSY_E_NS1_11comp_targetILNS1_3genE10ELNS1_11target_archE1200ELNS1_3gpuE4ELNS1_3repE0EEENS1_30default_config_static_selectorELNS0_4arch9wavefront6targetE0EEEvT1_.num_named_barrier, 0
	.set _ZN7rocprim17ROCPRIM_400000_NS6detail17trampoline_kernelINS0_14default_configENS1_27scan_by_key_config_selectorIijEEZZNS1_16scan_by_key_implILNS1_25lookback_scan_determinismE0ELb0ES3_N6thrust23THRUST_200600_302600_NS6detail15normal_iteratorINS9_10device_ptrIiEEEENSB_INSC_IjEEEENSB_INSC_IfEEEEjNS9_4plusIvEENS9_8equal_toIvEEjEE10hipError_tPvRmT2_T3_T4_T5_mT6_T7_P12ihipStream_tbENKUlT_T0_E_clISt17integral_constantIbLb1EES13_EEDaSY_SZ_EUlSY_E_NS1_11comp_targetILNS1_3genE10ELNS1_11target_archE1200ELNS1_3gpuE4ELNS1_3repE0EEENS1_30default_config_static_selectorELNS0_4arch9wavefront6targetE0EEEvT1_.private_seg_size, 0
	.set _ZN7rocprim17ROCPRIM_400000_NS6detail17trampoline_kernelINS0_14default_configENS1_27scan_by_key_config_selectorIijEEZZNS1_16scan_by_key_implILNS1_25lookback_scan_determinismE0ELb0ES3_N6thrust23THRUST_200600_302600_NS6detail15normal_iteratorINS9_10device_ptrIiEEEENSB_INSC_IjEEEENSB_INSC_IfEEEEjNS9_4plusIvEENS9_8equal_toIvEEjEE10hipError_tPvRmT2_T3_T4_T5_mT6_T7_P12ihipStream_tbENKUlT_T0_E_clISt17integral_constantIbLb1EES13_EEDaSY_SZ_EUlSY_E_NS1_11comp_targetILNS1_3genE10ELNS1_11target_archE1200ELNS1_3gpuE4ELNS1_3repE0EEENS1_30default_config_static_selectorELNS0_4arch9wavefront6targetE0EEEvT1_.uses_vcc, 0
	.set _ZN7rocprim17ROCPRIM_400000_NS6detail17trampoline_kernelINS0_14default_configENS1_27scan_by_key_config_selectorIijEEZZNS1_16scan_by_key_implILNS1_25lookback_scan_determinismE0ELb0ES3_N6thrust23THRUST_200600_302600_NS6detail15normal_iteratorINS9_10device_ptrIiEEEENSB_INSC_IjEEEENSB_INSC_IfEEEEjNS9_4plusIvEENS9_8equal_toIvEEjEE10hipError_tPvRmT2_T3_T4_T5_mT6_T7_P12ihipStream_tbENKUlT_T0_E_clISt17integral_constantIbLb1EES13_EEDaSY_SZ_EUlSY_E_NS1_11comp_targetILNS1_3genE10ELNS1_11target_archE1200ELNS1_3gpuE4ELNS1_3repE0EEENS1_30default_config_static_selectorELNS0_4arch9wavefront6targetE0EEEvT1_.uses_flat_scratch, 0
	.set _ZN7rocprim17ROCPRIM_400000_NS6detail17trampoline_kernelINS0_14default_configENS1_27scan_by_key_config_selectorIijEEZZNS1_16scan_by_key_implILNS1_25lookback_scan_determinismE0ELb0ES3_N6thrust23THRUST_200600_302600_NS6detail15normal_iteratorINS9_10device_ptrIiEEEENSB_INSC_IjEEEENSB_INSC_IfEEEEjNS9_4plusIvEENS9_8equal_toIvEEjEE10hipError_tPvRmT2_T3_T4_T5_mT6_T7_P12ihipStream_tbENKUlT_T0_E_clISt17integral_constantIbLb1EES13_EEDaSY_SZ_EUlSY_E_NS1_11comp_targetILNS1_3genE10ELNS1_11target_archE1200ELNS1_3gpuE4ELNS1_3repE0EEENS1_30default_config_static_selectorELNS0_4arch9wavefront6targetE0EEEvT1_.has_dyn_sized_stack, 0
	.set _ZN7rocprim17ROCPRIM_400000_NS6detail17trampoline_kernelINS0_14default_configENS1_27scan_by_key_config_selectorIijEEZZNS1_16scan_by_key_implILNS1_25lookback_scan_determinismE0ELb0ES3_N6thrust23THRUST_200600_302600_NS6detail15normal_iteratorINS9_10device_ptrIiEEEENSB_INSC_IjEEEENSB_INSC_IfEEEEjNS9_4plusIvEENS9_8equal_toIvEEjEE10hipError_tPvRmT2_T3_T4_T5_mT6_T7_P12ihipStream_tbENKUlT_T0_E_clISt17integral_constantIbLb1EES13_EEDaSY_SZ_EUlSY_E_NS1_11comp_targetILNS1_3genE10ELNS1_11target_archE1200ELNS1_3gpuE4ELNS1_3repE0EEENS1_30default_config_static_selectorELNS0_4arch9wavefront6targetE0EEEvT1_.has_recursion, 0
	.set _ZN7rocprim17ROCPRIM_400000_NS6detail17trampoline_kernelINS0_14default_configENS1_27scan_by_key_config_selectorIijEEZZNS1_16scan_by_key_implILNS1_25lookback_scan_determinismE0ELb0ES3_N6thrust23THRUST_200600_302600_NS6detail15normal_iteratorINS9_10device_ptrIiEEEENSB_INSC_IjEEEENSB_INSC_IfEEEEjNS9_4plusIvEENS9_8equal_toIvEEjEE10hipError_tPvRmT2_T3_T4_T5_mT6_T7_P12ihipStream_tbENKUlT_T0_E_clISt17integral_constantIbLb1EES13_EEDaSY_SZ_EUlSY_E_NS1_11comp_targetILNS1_3genE10ELNS1_11target_archE1200ELNS1_3gpuE4ELNS1_3repE0EEENS1_30default_config_static_selectorELNS0_4arch9wavefront6targetE0EEEvT1_.has_indirect_call, 0
	.section	.AMDGPU.csdata,"",@progbits
; Kernel info:
; codeLenInByte = 0
; TotalNumSgprs: 0
; NumVgprs: 0
; ScratchSize: 0
; MemoryBound: 0
; FloatMode: 240
; IeeeMode: 1
; LDSByteSize: 0 bytes/workgroup (compile time only)
; SGPRBlocks: 0
; VGPRBlocks: 0
; NumSGPRsForWavesPerEU: 1
; NumVGPRsForWavesPerEU: 1
; NamedBarCnt: 0
; Occupancy: 16
; WaveLimiterHint : 0
; COMPUTE_PGM_RSRC2:SCRATCH_EN: 0
; COMPUTE_PGM_RSRC2:USER_SGPR: 2
; COMPUTE_PGM_RSRC2:TRAP_HANDLER: 0
; COMPUTE_PGM_RSRC2:TGID_X_EN: 1
; COMPUTE_PGM_RSRC2:TGID_Y_EN: 0
; COMPUTE_PGM_RSRC2:TGID_Z_EN: 0
; COMPUTE_PGM_RSRC2:TIDIG_COMP_CNT: 0
	.section	.text._ZN7rocprim17ROCPRIM_400000_NS6detail17trampoline_kernelINS0_14default_configENS1_27scan_by_key_config_selectorIijEEZZNS1_16scan_by_key_implILNS1_25lookback_scan_determinismE0ELb0ES3_N6thrust23THRUST_200600_302600_NS6detail15normal_iteratorINS9_10device_ptrIiEEEENSB_INSC_IjEEEENSB_INSC_IfEEEEjNS9_4plusIvEENS9_8equal_toIvEEjEE10hipError_tPvRmT2_T3_T4_T5_mT6_T7_P12ihipStream_tbENKUlT_T0_E_clISt17integral_constantIbLb1EES13_EEDaSY_SZ_EUlSY_E_NS1_11comp_targetILNS1_3genE9ELNS1_11target_archE1100ELNS1_3gpuE3ELNS1_3repE0EEENS1_30default_config_static_selectorELNS0_4arch9wavefront6targetE0EEEvT1_,"axG",@progbits,_ZN7rocprim17ROCPRIM_400000_NS6detail17trampoline_kernelINS0_14default_configENS1_27scan_by_key_config_selectorIijEEZZNS1_16scan_by_key_implILNS1_25lookback_scan_determinismE0ELb0ES3_N6thrust23THRUST_200600_302600_NS6detail15normal_iteratorINS9_10device_ptrIiEEEENSB_INSC_IjEEEENSB_INSC_IfEEEEjNS9_4plusIvEENS9_8equal_toIvEEjEE10hipError_tPvRmT2_T3_T4_T5_mT6_T7_P12ihipStream_tbENKUlT_T0_E_clISt17integral_constantIbLb1EES13_EEDaSY_SZ_EUlSY_E_NS1_11comp_targetILNS1_3genE9ELNS1_11target_archE1100ELNS1_3gpuE3ELNS1_3repE0EEENS1_30default_config_static_selectorELNS0_4arch9wavefront6targetE0EEEvT1_,comdat
	.protected	_ZN7rocprim17ROCPRIM_400000_NS6detail17trampoline_kernelINS0_14default_configENS1_27scan_by_key_config_selectorIijEEZZNS1_16scan_by_key_implILNS1_25lookback_scan_determinismE0ELb0ES3_N6thrust23THRUST_200600_302600_NS6detail15normal_iteratorINS9_10device_ptrIiEEEENSB_INSC_IjEEEENSB_INSC_IfEEEEjNS9_4plusIvEENS9_8equal_toIvEEjEE10hipError_tPvRmT2_T3_T4_T5_mT6_T7_P12ihipStream_tbENKUlT_T0_E_clISt17integral_constantIbLb1EES13_EEDaSY_SZ_EUlSY_E_NS1_11comp_targetILNS1_3genE9ELNS1_11target_archE1100ELNS1_3gpuE3ELNS1_3repE0EEENS1_30default_config_static_selectorELNS0_4arch9wavefront6targetE0EEEvT1_ ; -- Begin function _ZN7rocprim17ROCPRIM_400000_NS6detail17trampoline_kernelINS0_14default_configENS1_27scan_by_key_config_selectorIijEEZZNS1_16scan_by_key_implILNS1_25lookback_scan_determinismE0ELb0ES3_N6thrust23THRUST_200600_302600_NS6detail15normal_iteratorINS9_10device_ptrIiEEEENSB_INSC_IjEEEENSB_INSC_IfEEEEjNS9_4plusIvEENS9_8equal_toIvEEjEE10hipError_tPvRmT2_T3_T4_T5_mT6_T7_P12ihipStream_tbENKUlT_T0_E_clISt17integral_constantIbLb1EES13_EEDaSY_SZ_EUlSY_E_NS1_11comp_targetILNS1_3genE9ELNS1_11target_archE1100ELNS1_3gpuE3ELNS1_3repE0EEENS1_30default_config_static_selectorELNS0_4arch9wavefront6targetE0EEEvT1_
	.globl	_ZN7rocprim17ROCPRIM_400000_NS6detail17trampoline_kernelINS0_14default_configENS1_27scan_by_key_config_selectorIijEEZZNS1_16scan_by_key_implILNS1_25lookback_scan_determinismE0ELb0ES3_N6thrust23THRUST_200600_302600_NS6detail15normal_iteratorINS9_10device_ptrIiEEEENSB_INSC_IjEEEENSB_INSC_IfEEEEjNS9_4plusIvEENS9_8equal_toIvEEjEE10hipError_tPvRmT2_T3_T4_T5_mT6_T7_P12ihipStream_tbENKUlT_T0_E_clISt17integral_constantIbLb1EES13_EEDaSY_SZ_EUlSY_E_NS1_11comp_targetILNS1_3genE9ELNS1_11target_archE1100ELNS1_3gpuE3ELNS1_3repE0EEENS1_30default_config_static_selectorELNS0_4arch9wavefront6targetE0EEEvT1_
	.p2align	8
	.type	_ZN7rocprim17ROCPRIM_400000_NS6detail17trampoline_kernelINS0_14default_configENS1_27scan_by_key_config_selectorIijEEZZNS1_16scan_by_key_implILNS1_25lookback_scan_determinismE0ELb0ES3_N6thrust23THRUST_200600_302600_NS6detail15normal_iteratorINS9_10device_ptrIiEEEENSB_INSC_IjEEEENSB_INSC_IfEEEEjNS9_4plusIvEENS9_8equal_toIvEEjEE10hipError_tPvRmT2_T3_T4_T5_mT6_T7_P12ihipStream_tbENKUlT_T0_E_clISt17integral_constantIbLb1EES13_EEDaSY_SZ_EUlSY_E_NS1_11comp_targetILNS1_3genE9ELNS1_11target_archE1100ELNS1_3gpuE3ELNS1_3repE0EEENS1_30default_config_static_selectorELNS0_4arch9wavefront6targetE0EEEvT1_,@function
_ZN7rocprim17ROCPRIM_400000_NS6detail17trampoline_kernelINS0_14default_configENS1_27scan_by_key_config_selectorIijEEZZNS1_16scan_by_key_implILNS1_25lookback_scan_determinismE0ELb0ES3_N6thrust23THRUST_200600_302600_NS6detail15normal_iteratorINS9_10device_ptrIiEEEENSB_INSC_IjEEEENSB_INSC_IfEEEEjNS9_4plusIvEENS9_8equal_toIvEEjEE10hipError_tPvRmT2_T3_T4_T5_mT6_T7_P12ihipStream_tbENKUlT_T0_E_clISt17integral_constantIbLb1EES13_EEDaSY_SZ_EUlSY_E_NS1_11comp_targetILNS1_3genE9ELNS1_11target_archE1100ELNS1_3gpuE3ELNS1_3repE0EEENS1_30default_config_static_selectorELNS0_4arch9wavefront6targetE0EEEvT1_: ; @_ZN7rocprim17ROCPRIM_400000_NS6detail17trampoline_kernelINS0_14default_configENS1_27scan_by_key_config_selectorIijEEZZNS1_16scan_by_key_implILNS1_25lookback_scan_determinismE0ELb0ES3_N6thrust23THRUST_200600_302600_NS6detail15normal_iteratorINS9_10device_ptrIiEEEENSB_INSC_IjEEEENSB_INSC_IfEEEEjNS9_4plusIvEENS9_8equal_toIvEEjEE10hipError_tPvRmT2_T3_T4_T5_mT6_T7_P12ihipStream_tbENKUlT_T0_E_clISt17integral_constantIbLb1EES13_EEDaSY_SZ_EUlSY_E_NS1_11comp_targetILNS1_3genE9ELNS1_11target_archE1100ELNS1_3gpuE3ELNS1_3repE0EEENS1_30default_config_static_selectorELNS0_4arch9wavefront6targetE0EEEvT1_
; %bb.0:
	.section	.rodata,"a",@progbits
	.p2align	6, 0x0
	.amdhsa_kernel _ZN7rocprim17ROCPRIM_400000_NS6detail17trampoline_kernelINS0_14default_configENS1_27scan_by_key_config_selectorIijEEZZNS1_16scan_by_key_implILNS1_25lookback_scan_determinismE0ELb0ES3_N6thrust23THRUST_200600_302600_NS6detail15normal_iteratorINS9_10device_ptrIiEEEENSB_INSC_IjEEEENSB_INSC_IfEEEEjNS9_4plusIvEENS9_8equal_toIvEEjEE10hipError_tPvRmT2_T3_T4_T5_mT6_T7_P12ihipStream_tbENKUlT_T0_E_clISt17integral_constantIbLb1EES13_EEDaSY_SZ_EUlSY_E_NS1_11comp_targetILNS1_3genE9ELNS1_11target_archE1100ELNS1_3gpuE3ELNS1_3repE0EEENS1_30default_config_static_selectorELNS0_4arch9wavefront6targetE0EEEvT1_
		.amdhsa_group_segment_fixed_size 0
		.amdhsa_private_segment_fixed_size 0
		.amdhsa_kernarg_size 112
		.amdhsa_user_sgpr_count 2
		.amdhsa_user_sgpr_dispatch_ptr 0
		.amdhsa_user_sgpr_queue_ptr 0
		.amdhsa_user_sgpr_kernarg_segment_ptr 1
		.amdhsa_user_sgpr_dispatch_id 0
		.amdhsa_user_sgpr_kernarg_preload_length 0
		.amdhsa_user_sgpr_kernarg_preload_offset 0
		.amdhsa_user_sgpr_private_segment_size 0
		.amdhsa_wavefront_size32 1
		.amdhsa_uses_dynamic_stack 0
		.amdhsa_enable_private_segment 0
		.amdhsa_system_sgpr_workgroup_id_x 1
		.amdhsa_system_sgpr_workgroup_id_y 0
		.amdhsa_system_sgpr_workgroup_id_z 0
		.amdhsa_system_sgpr_workgroup_info 0
		.amdhsa_system_vgpr_workitem_id 0
		.amdhsa_next_free_vgpr 1
		.amdhsa_next_free_sgpr 1
		.amdhsa_named_barrier_count 0
		.amdhsa_reserve_vcc 0
		.amdhsa_float_round_mode_32 0
		.amdhsa_float_round_mode_16_64 0
		.amdhsa_float_denorm_mode_32 3
		.amdhsa_float_denorm_mode_16_64 3
		.amdhsa_fp16_overflow 0
		.amdhsa_memory_ordered 1
		.amdhsa_forward_progress 1
		.amdhsa_inst_pref_size 0
		.amdhsa_round_robin_scheduling 0
		.amdhsa_exception_fp_ieee_invalid_op 0
		.amdhsa_exception_fp_denorm_src 0
		.amdhsa_exception_fp_ieee_div_zero 0
		.amdhsa_exception_fp_ieee_overflow 0
		.amdhsa_exception_fp_ieee_underflow 0
		.amdhsa_exception_fp_ieee_inexact 0
		.amdhsa_exception_int_div_zero 0
	.end_amdhsa_kernel
	.section	.text._ZN7rocprim17ROCPRIM_400000_NS6detail17trampoline_kernelINS0_14default_configENS1_27scan_by_key_config_selectorIijEEZZNS1_16scan_by_key_implILNS1_25lookback_scan_determinismE0ELb0ES3_N6thrust23THRUST_200600_302600_NS6detail15normal_iteratorINS9_10device_ptrIiEEEENSB_INSC_IjEEEENSB_INSC_IfEEEEjNS9_4plusIvEENS9_8equal_toIvEEjEE10hipError_tPvRmT2_T3_T4_T5_mT6_T7_P12ihipStream_tbENKUlT_T0_E_clISt17integral_constantIbLb1EES13_EEDaSY_SZ_EUlSY_E_NS1_11comp_targetILNS1_3genE9ELNS1_11target_archE1100ELNS1_3gpuE3ELNS1_3repE0EEENS1_30default_config_static_selectorELNS0_4arch9wavefront6targetE0EEEvT1_,"axG",@progbits,_ZN7rocprim17ROCPRIM_400000_NS6detail17trampoline_kernelINS0_14default_configENS1_27scan_by_key_config_selectorIijEEZZNS1_16scan_by_key_implILNS1_25lookback_scan_determinismE0ELb0ES3_N6thrust23THRUST_200600_302600_NS6detail15normal_iteratorINS9_10device_ptrIiEEEENSB_INSC_IjEEEENSB_INSC_IfEEEEjNS9_4plusIvEENS9_8equal_toIvEEjEE10hipError_tPvRmT2_T3_T4_T5_mT6_T7_P12ihipStream_tbENKUlT_T0_E_clISt17integral_constantIbLb1EES13_EEDaSY_SZ_EUlSY_E_NS1_11comp_targetILNS1_3genE9ELNS1_11target_archE1100ELNS1_3gpuE3ELNS1_3repE0EEENS1_30default_config_static_selectorELNS0_4arch9wavefront6targetE0EEEvT1_,comdat
.Lfunc_end1660:
	.size	_ZN7rocprim17ROCPRIM_400000_NS6detail17trampoline_kernelINS0_14default_configENS1_27scan_by_key_config_selectorIijEEZZNS1_16scan_by_key_implILNS1_25lookback_scan_determinismE0ELb0ES3_N6thrust23THRUST_200600_302600_NS6detail15normal_iteratorINS9_10device_ptrIiEEEENSB_INSC_IjEEEENSB_INSC_IfEEEEjNS9_4plusIvEENS9_8equal_toIvEEjEE10hipError_tPvRmT2_T3_T4_T5_mT6_T7_P12ihipStream_tbENKUlT_T0_E_clISt17integral_constantIbLb1EES13_EEDaSY_SZ_EUlSY_E_NS1_11comp_targetILNS1_3genE9ELNS1_11target_archE1100ELNS1_3gpuE3ELNS1_3repE0EEENS1_30default_config_static_selectorELNS0_4arch9wavefront6targetE0EEEvT1_, .Lfunc_end1660-_ZN7rocprim17ROCPRIM_400000_NS6detail17trampoline_kernelINS0_14default_configENS1_27scan_by_key_config_selectorIijEEZZNS1_16scan_by_key_implILNS1_25lookback_scan_determinismE0ELb0ES3_N6thrust23THRUST_200600_302600_NS6detail15normal_iteratorINS9_10device_ptrIiEEEENSB_INSC_IjEEEENSB_INSC_IfEEEEjNS9_4plusIvEENS9_8equal_toIvEEjEE10hipError_tPvRmT2_T3_T4_T5_mT6_T7_P12ihipStream_tbENKUlT_T0_E_clISt17integral_constantIbLb1EES13_EEDaSY_SZ_EUlSY_E_NS1_11comp_targetILNS1_3genE9ELNS1_11target_archE1100ELNS1_3gpuE3ELNS1_3repE0EEENS1_30default_config_static_selectorELNS0_4arch9wavefront6targetE0EEEvT1_
                                        ; -- End function
	.set _ZN7rocprim17ROCPRIM_400000_NS6detail17trampoline_kernelINS0_14default_configENS1_27scan_by_key_config_selectorIijEEZZNS1_16scan_by_key_implILNS1_25lookback_scan_determinismE0ELb0ES3_N6thrust23THRUST_200600_302600_NS6detail15normal_iteratorINS9_10device_ptrIiEEEENSB_INSC_IjEEEENSB_INSC_IfEEEEjNS9_4plusIvEENS9_8equal_toIvEEjEE10hipError_tPvRmT2_T3_T4_T5_mT6_T7_P12ihipStream_tbENKUlT_T0_E_clISt17integral_constantIbLb1EES13_EEDaSY_SZ_EUlSY_E_NS1_11comp_targetILNS1_3genE9ELNS1_11target_archE1100ELNS1_3gpuE3ELNS1_3repE0EEENS1_30default_config_static_selectorELNS0_4arch9wavefront6targetE0EEEvT1_.num_vgpr, 0
	.set _ZN7rocprim17ROCPRIM_400000_NS6detail17trampoline_kernelINS0_14default_configENS1_27scan_by_key_config_selectorIijEEZZNS1_16scan_by_key_implILNS1_25lookback_scan_determinismE0ELb0ES3_N6thrust23THRUST_200600_302600_NS6detail15normal_iteratorINS9_10device_ptrIiEEEENSB_INSC_IjEEEENSB_INSC_IfEEEEjNS9_4plusIvEENS9_8equal_toIvEEjEE10hipError_tPvRmT2_T3_T4_T5_mT6_T7_P12ihipStream_tbENKUlT_T0_E_clISt17integral_constantIbLb1EES13_EEDaSY_SZ_EUlSY_E_NS1_11comp_targetILNS1_3genE9ELNS1_11target_archE1100ELNS1_3gpuE3ELNS1_3repE0EEENS1_30default_config_static_selectorELNS0_4arch9wavefront6targetE0EEEvT1_.num_agpr, 0
	.set _ZN7rocprim17ROCPRIM_400000_NS6detail17trampoline_kernelINS0_14default_configENS1_27scan_by_key_config_selectorIijEEZZNS1_16scan_by_key_implILNS1_25lookback_scan_determinismE0ELb0ES3_N6thrust23THRUST_200600_302600_NS6detail15normal_iteratorINS9_10device_ptrIiEEEENSB_INSC_IjEEEENSB_INSC_IfEEEEjNS9_4plusIvEENS9_8equal_toIvEEjEE10hipError_tPvRmT2_T3_T4_T5_mT6_T7_P12ihipStream_tbENKUlT_T0_E_clISt17integral_constantIbLb1EES13_EEDaSY_SZ_EUlSY_E_NS1_11comp_targetILNS1_3genE9ELNS1_11target_archE1100ELNS1_3gpuE3ELNS1_3repE0EEENS1_30default_config_static_selectorELNS0_4arch9wavefront6targetE0EEEvT1_.numbered_sgpr, 0
	.set _ZN7rocprim17ROCPRIM_400000_NS6detail17trampoline_kernelINS0_14default_configENS1_27scan_by_key_config_selectorIijEEZZNS1_16scan_by_key_implILNS1_25lookback_scan_determinismE0ELb0ES3_N6thrust23THRUST_200600_302600_NS6detail15normal_iteratorINS9_10device_ptrIiEEEENSB_INSC_IjEEEENSB_INSC_IfEEEEjNS9_4plusIvEENS9_8equal_toIvEEjEE10hipError_tPvRmT2_T3_T4_T5_mT6_T7_P12ihipStream_tbENKUlT_T0_E_clISt17integral_constantIbLb1EES13_EEDaSY_SZ_EUlSY_E_NS1_11comp_targetILNS1_3genE9ELNS1_11target_archE1100ELNS1_3gpuE3ELNS1_3repE0EEENS1_30default_config_static_selectorELNS0_4arch9wavefront6targetE0EEEvT1_.num_named_barrier, 0
	.set _ZN7rocprim17ROCPRIM_400000_NS6detail17trampoline_kernelINS0_14default_configENS1_27scan_by_key_config_selectorIijEEZZNS1_16scan_by_key_implILNS1_25lookback_scan_determinismE0ELb0ES3_N6thrust23THRUST_200600_302600_NS6detail15normal_iteratorINS9_10device_ptrIiEEEENSB_INSC_IjEEEENSB_INSC_IfEEEEjNS9_4plusIvEENS9_8equal_toIvEEjEE10hipError_tPvRmT2_T3_T4_T5_mT6_T7_P12ihipStream_tbENKUlT_T0_E_clISt17integral_constantIbLb1EES13_EEDaSY_SZ_EUlSY_E_NS1_11comp_targetILNS1_3genE9ELNS1_11target_archE1100ELNS1_3gpuE3ELNS1_3repE0EEENS1_30default_config_static_selectorELNS0_4arch9wavefront6targetE0EEEvT1_.private_seg_size, 0
	.set _ZN7rocprim17ROCPRIM_400000_NS6detail17trampoline_kernelINS0_14default_configENS1_27scan_by_key_config_selectorIijEEZZNS1_16scan_by_key_implILNS1_25lookback_scan_determinismE0ELb0ES3_N6thrust23THRUST_200600_302600_NS6detail15normal_iteratorINS9_10device_ptrIiEEEENSB_INSC_IjEEEENSB_INSC_IfEEEEjNS9_4plusIvEENS9_8equal_toIvEEjEE10hipError_tPvRmT2_T3_T4_T5_mT6_T7_P12ihipStream_tbENKUlT_T0_E_clISt17integral_constantIbLb1EES13_EEDaSY_SZ_EUlSY_E_NS1_11comp_targetILNS1_3genE9ELNS1_11target_archE1100ELNS1_3gpuE3ELNS1_3repE0EEENS1_30default_config_static_selectorELNS0_4arch9wavefront6targetE0EEEvT1_.uses_vcc, 0
	.set _ZN7rocprim17ROCPRIM_400000_NS6detail17trampoline_kernelINS0_14default_configENS1_27scan_by_key_config_selectorIijEEZZNS1_16scan_by_key_implILNS1_25lookback_scan_determinismE0ELb0ES3_N6thrust23THRUST_200600_302600_NS6detail15normal_iteratorINS9_10device_ptrIiEEEENSB_INSC_IjEEEENSB_INSC_IfEEEEjNS9_4plusIvEENS9_8equal_toIvEEjEE10hipError_tPvRmT2_T3_T4_T5_mT6_T7_P12ihipStream_tbENKUlT_T0_E_clISt17integral_constantIbLb1EES13_EEDaSY_SZ_EUlSY_E_NS1_11comp_targetILNS1_3genE9ELNS1_11target_archE1100ELNS1_3gpuE3ELNS1_3repE0EEENS1_30default_config_static_selectorELNS0_4arch9wavefront6targetE0EEEvT1_.uses_flat_scratch, 0
	.set _ZN7rocprim17ROCPRIM_400000_NS6detail17trampoline_kernelINS0_14default_configENS1_27scan_by_key_config_selectorIijEEZZNS1_16scan_by_key_implILNS1_25lookback_scan_determinismE0ELb0ES3_N6thrust23THRUST_200600_302600_NS6detail15normal_iteratorINS9_10device_ptrIiEEEENSB_INSC_IjEEEENSB_INSC_IfEEEEjNS9_4plusIvEENS9_8equal_toIvEEjEE10hipError_tPvRmT2_T3_T4_T5_mT6_T7_P12ihipStream_tbENKUlT_T0_E_clISt17integral_constantIbLb1EES13_EEDaSY_SZ_EUlSY_E_NS1_11comp_targetILNS1_3genE9ELNS1_11target_archE1100ELNS1_3gpuE3ELNS1_3repE0EEENS1_30default_config_static_selectorELNS0_4arch9wavefront6targetE0EEEvT1_.has_dyn_sized_stack, 0
	.set _ZN7rocprim17ROCPRIM_400000_NS6detail17trampoline_kernelINS0_14default_configENS1_27scan_by_key_config_selectorIijEEZZNS1_16scan_by_key_implILNS1_25lookback_scan_determinismE0ELb0ES3_N6thrust23THRUST_200600_302600_NS6detail15normal_iteratorINS9_10device_ptrIiEEEENSB_INSC_IjEEEENSB_INSC_IfEEEEjNS9_4plusIvEENS9_8equal_toIvEEjEE10hipError_tPvRmT2_T3_T4_T5_mT6_T7_P12ihipStream_tbENKUlT_T0_E_clISt17integral_constantIbLb1EES13_EEDaSY_SZ_EUlSY_E_NS1_11comp_targetILNS1_3genE9ELNS1_11target_archE1100ELNS1_3gpuE3ELNS1_3repE0EEENS1_30default_config_static_selectorELNS0_4arch9wavefront6targetE0EEEvT1_.has_recursion, 0
	.set _ZN7rocprim17ROCPRIM_400000_NS6detail17trampoline_kernelINS0_14default_configENS1_27scan_by_key_config_selectorIijEEZZNS1_16scan_by_key_implILNS1_25lookback_scan_determinismE0ELb0ES3_N6thrust23THRUST_200600_302600_NS6detail15normal_iteratorINS9_10device_ptrIiEEEENSB_INSC_IjEEEENSB_INSC_IfEEEEjNS9_4plusIvEENS9_8equal_toIvEEjEE10hipError_tPvRmT2_T3_T4_T5_mT6_T7_P12ihipStream_tbENKUlT_T0_E_clISt17integral_constantIbLb1EES13_EEDaSY_SZ_EUlSY_E_NS1_11comp_targetILNS1_3genE9ELNS1_11target_archE1100ELNS1_3gpuE3ELNS1_3repE0EEENS1_30default_config_static_selectorELNS0_4arch9wavefront6targetE0EEEvT1_.has_indirect_call, 0
	.section	.AMDGPU.csdata,"",@progbits
; Kernel info:
; codeLenInByte = 0
; TotalNumSgprs: 0
; NumVgprs: 0
; ScratchSize: 0
; MemoryBound: 0
; FloatMode: 240
; IeeeMode: 1
; LDSByteSize: 0 bytes/workgroup (compile time only)
; SGPRBlocks: 0
; VGPRBlocks: 0
; NumSGPRsForWavesPerEU: 1
; NumVGPRsForWavesPerEU: 1
; NamedBarCnt: 0
; Occupancy: 16
; WaveLimiterHint : 0
; COMPUTE_PGM_RSRC2:SCRATCH_EN: 0
; COMPUTE_PGM_RSRC2:USER_SGPR: 2
; COMPUTE_PGM_RSRC2:TRAP_HANDLER: 0
; COMPUTE_PGM_RSRC2:TGID_X_EN: 1
; COMPUTE_PGM_RSRC2:TGID_Y_EN: 0
; COMPUTE_PGM_RSRC2:TGID_Z_EN: 0
; COMPUTE_PGM_RSRC2:TIDIG_COMP_CNT: 0
	.section	.text._ZN7rocprim17ROCPRIM_400000_NS6detail17trampoline_kernelINS0_14default_configENS1_27scan_by_key_config_selectorIijEEZZNS1_16scan_by_key_implILNS1_25lookback_scan_determinismE0ELb0ES3_N6thrust23THRUST_200600_302600_NS6detail15normal_iteratorINS9_10device_ptrIiEEEENSB_INSC_IjEEEENSB_INSC_IfEEEEjNS9_4plusIvEENS9_8equal_toIvEEjEE10hipError_tPvRmT2_T3_T4_T5_mT6_T7_P12ihipStream_tbENKUlT_T0_E_clISt17integral_constantIbLb1EES13_EEDaSY_SZ_EUlSY_E_NS1_11comp_targetILNS1_3genE8ELNS1_11target_archE1030ELNS1_3gpuE2ELNS1_3repE0EEENS1_30default_config_static_selectorELNS0_4arch9wavefront6targetE0EEEvT1_,"axG",@progbits,_ZN7rocprim17ROCPRIM_400000_NS6detail17trampoline_kernelINS0_14default_configENS1_27scan_by_key_config_selectorIijEEZZNS1_16scan_by_key_implILNS1_25lookback_scan_determinismE0ELb0ES3_N6thrust23THRUST_200600_302600_NS6detail15normal_iteratorINS9_10device_ptrIiEEEENSB_INSC_IjEEEENSB_INSC_IfEEEEjNS9_4plusIvEENS9_8equal_toIvEEjEE10hipError_tPvRmT2_T3_T4_T5_mT6_T7_P12ihipStream_tbENKUlT_T0_E_clISt17integral_constantIbLb1EES13_EEDaSY_SZ_EUlSY_E_NS1_11comp_targetILNS1_3genE8ELNS1_11target_archE1030ELNS1_3gpuE2ELNS1_3repE0EEENS1_30default_config_static_selectorELNS0_4arch9wavefront6targetE0EEEvT1_,comdat
	.protected	_ZN7rocprim17ROCPRIM_400000_NS6detail17trampoline_kernelINS0_14default_configENS1_27scan_by_key_config_selectorIijEEZZNS1_16scan_by_key_implILNS1_25lookback_scan_determinismE0ELb0ES3_N6thrust23THRUST_200600_302600_NS6detail15normal_iteratorINS9_10device_ptrIiEEEENSB_INSC_IjEEEENSB_INSC_IfEEEEjNS9_4plusIvEENS9_8equal_toIvEEjEE10hipError_tPvRmT2_T3_T4_T5_mT6_T7_P12ihipStream_tbENKUlT_T0_E_clISt17integral_constantIbLb1EES13_EEDaSY_SZ_EUlSY_E_NS1_11comp_targetILNS1_3genE8ELNS1_11target_archE1030ELNS1_3gpuE2ELNS1_3repE0EEENS1_30default_config_static_selectorELNS0_4arch9wavefront6targetE0EEEvT1_ ; -- Begin function _ZN7rocprim17ROCPRIM_400000_NS6detail17trampoline_kernelINS0_14default_configENS1_27scan_by_key_config_selectorIijEEZZNS1_16scan_by_key_implILNS1_25lookback_scan_determinismE0ELb0ES3_N6thrust23THRUST_200600_302600_NS6detail15normal_iteratorINS9_10device_ptrIiEEEENSB_INSC_IjEEEENSB_INSC_IfEEEEjNS9_4plusIvEENS9_8equal_toIvEEjEE10hipError_tPvRmT2_T3_T4_T5_mT6_T7_P12ihipStream_tbENKUlT_T0_E_clISt17integral_constantIbLb1EES13_EEDaSY_SZ_EUlSY_E_NS1_11comp_targetILNS1_3genE8ELNS1_11target_archE1030ELNS1_3gpuE2ELNS1_3repE0EEENS1_30default_config_static_selectorELNS0_4arch9wavefront6targetE0EEEvT1_
	.globl	_ZN7rocprim17ROCPRIM_400000_NS6detail17trampoline_kernelINS0_14default_configENS1_27scan_by_key_config_selectorIijEEZZNS1_16scan_by_key_implILNS1_25lookback_scan_determinismE0ELb0ES3_N6thrust23THRUST_200600_302600_NS6detail15normal_iteratorINS9_10device_ptrIiEEEENSB_INSC_IjEEEENSB_INSC_IfEEEEjNS9_4plusIvEENS9_8equal_toIvEEjEE10hipError_tPvRmT2_T3_T4_T5_mT6_T7_P12ihipStream_tbENKUlT_T0_E_clISt17integral_constantIbLb1EES13_EEDaSY_SZ_EUlSY_E_NS1_11comp_targetILNS1_3genE8ELNS1_11target_archE1030ELNS1_3gpuE2ELNS1_3repE0EEENS1_30default_config_static_selectorELNS0_4arch9wavefront6targetE0EEEvT1_
	.p2align	8
	.type	_ZN7rocprim17ROCPRIM_400000_NS6detail17trampoline_kernelINS0_14default_configENS1_27scan_by_key_config_selectorIijEEZZNS1_16scan_by_key_implILNS1_25lookback_scan_determinismE0ELb0ES3_N6thrust23THRUST_200600_302600_NS6detail15normal_iteratorINS9_10device_ptrIiEEEENSB_INSC_IjEEEENSB_INSC_IfEEEEjNS9_4plusIvEENS9_8equal_toIvEEjEE10hipError_tPvRmT2_T3_T4_T5_mT6_T7_P12ihipStream_tbENKUlT_T0_E_clISt17integral_constantIbLb1EES13_EEDaSY_SZ_EUlSY_E_NS1_11comp_targetILNS1_3genE8ELNS1_11target_archE1030ELNS1_3gpuE2ELNS1_3repE0EEENS1_30default_config_static_selectorELNS0_4arch9wavefront6targetE0EEEvT1_,@function
_ZN7rocprim17ROCPRIM_400000_NS6detail17trampoline_kernelINS0_14default_configENS1_27scan_by_key_config_selectorIijEEZZNS1_16scan_by_key_implILNS1_25lookback_scan_determinismE0ELb0ES3_N6thrust23THRUST_200600_302600_NS6detail15normal_iteratorINS9_10device_ptrIiEEEENSB_INSC_IjEEEENSB_INSC_IfEEEEjNS9_4plusIvEENS9_8equal_toIvEEjEE10hipError_tPvRmT2_T3_T4_T5_mT6_T7_P12ihipStream_tbENKUlT_T0_E_clISt17integral_constantIbLb1EES13_EEDaSY_SZ_EUlSY_E_NS1_11comp_targetILNS1_3genE8ELNS1_11target_archE1030ELNS1_3gpuE2ELNS1_3repE0EEENS1_30default_config_static_selectorELNS0_4arch9wavefront6targetE0EEEvT1_: ; @_ZN7rocprim17ROCPRIM_400000_NS6detail17trampoline_kernelINS0_14default_configENS1_27scan_by_key_config_selectorIijEEZZNS1_16scan_by_key_implILNS1_25lookback_scan_determinismE0ELb0ES3_N6thrust23THRUST_200600_302600_NS6detail15normal_iteratorINS9_10device_ptrIiEEEENSB_INSC_IjEEEENSB_INSC_IfEEEEjNS9_4plusIvEENS9_8equal_toIvEEjEE10hipError_tPvRmT2_T3_T4_T5_mT6_T7_P12ihipStream_tbENKUlT_T0_E_clISt17integral_constantIbLb1EES13_EEDaSY_SZ_EUlSY_E_NS1_11comp_targetILNS1_3genE8ELNS1_11target_archE1030ELNS1_3gpuE2ELNS1_3repE0EEENS1_30default_config_static_selectorELNS0_4arch9wavefront6targetE0EEEvT1_
; %bb.0:
	.section	.rodata,"a",@progbits
	.p2align	6, 0x0
	.amdhsa_kernel _ZN7rocprim17ROCPRIM_400000_NS6detail17trampoline_kernelINS0_14default_configENS1_27scan_by_key_config_selectorIijEEZZNS1_16scan_by_key_implILNS1_25lookback_scan_determinismE0ELb0ES3_N6thrust23THRUST_200600_302600_NS6detail15normal_iteratorINS9_10device_ptrIiEEEENSB_INSC_IjEEEENSB_INSC_IfEEEEjNS9_4plusIvEENS9_8equal_toIvEEjEE10hipError_tPvRmT2_T3_T4_T5_mT6_T7_P12ihipStream_tbENKUlT_T0_E_clISt17integral_constantIbLb1EES13_EEDaSY_SZ_EUlSY_E_NS1_11comp_targetILNS1_3genE8ELNS1_11target_archE1030ELNS1_3gpuE2ELNS1_3repE0EEENS1_30default_config_static_selectorELNS0_4arch9wavefront6targetE0EEEvT1_
		.amdhsa_group_segment_fixed_size 0
		.amdhsa_private_segment_fixed_size 0
		.amdhsa_kernarg_size 112
		.amdhsa_user_sgpr_count 2
		.amdhsa_user_sgpr_dispatch_ptr 0
		.amdhsa_user_sgpr_queue_ptr 0
		.amdhsa_user_sgpr_kernarg_segment_ptr 1
		.amdhsa_user_sgpr_dispatch_id 0
		.amdhsa_user_sgpr_kernarg_preload_length 0
		.amdhsa_user_sgpr_kernarg_preload_offset 0
		.amdhsa_user_sgpr_private_segment_size 0
		.amdhsa_wavefront_size32 1
		.amdhsa_uses_dynamic_stack 0
		.amdhsa_enable_private_segment 0
		.amdhsa_system_sgpr_workgroup_id_x 1
		.amdhsa_system_sgpr_workgroup_id_y 0
		.amdhsa_system_sgpr_workgroup_id_z 0
		.amdhsa_system_sgpr_workgroup_info 0
		.amdhsa_system_vgpr_workitem_id 0
		.amdhsa_next_free_vgpr 1
		.amdhsa_next_free_sgpr 1
		.amdhsa_named_barrier_count 0
		.amdhsa_reserve_vcc 0
		.amdhsa_float_round_mode_32 0
		.amdhsa_float_round_mode_16_64 0
		.amdhsa_float_denorm_mode_32 3
		.amdhsa_float_denorm_mode_16_64 3
		.amdhsa_fp16_overflow 0
		.amdhsa_memory_ordered 1
		.amdhsa_forward_progress 1
		.amdhsa_inst_pref_size 0
		.amdhsa_round_robin_scheduling 0
		.amdhsa_exception_fp_ieee_invalid_op 0
		.amdhsa_exception_fp_denorm_src 0
		.amdhsa_exception_fp_ieee_div_zero 0
		.amdhsa_exception_fp_ieee_overflow 0
		.amdhsa_exception_fp_ieee_underflow 0
		.amdhsa_exception_fp_ieee_inexact 0
		.amdhsa_exception_int_div_zero 0
	.end_amdhsa_kernel
	.section	.text._ZN7rocprim17ROCPRIM_400000_NS6detail17trampoline_kernelINS0_14default_configENS1_27scan_by_key_config_selectorIijEEZZNS1_16scan_by_key_implILNS1_25lookback_scan_determinismE0ELb0ES3_N6thrust23THRUST_200600_302600_NS6detail15normal_iteratorINS9_10device_ptrIiEEEENSB_INSC_IjEEEENSB_INSC_IfEEEEjNS9_4plusIvEENS9_8equal_toIvEEjEE10hipError_tPvRmT2_T3_T4_T5_mT6_T7_P12ihipStream_tbENKUlT_T0_E_clISt17integral_constantIbLb1EES13_EEDaSY_SZ_EUlSY_E_NS1_11comp_targetILNS1_3genE8ELNS1_11target_archE1030ELNS1_3gpuE2ELNS1_3repE0EEENS1_30default_config_static_selectorELNS0_4arch9wavefront6targetE0EEEvT1_,"axG",@progbits,_ZN7rocprim17ROCPRIM_400000_NS6detail17trampoline_kernelINS0_14default_configENS1_27scan_by_key_config_selectorIijEEZZNS1_16scan_by_key_implILNS1_25lookback_scan_determinismE0ELb0ES3_N6thrust23THRUST_200600_302600_NS6detail15normal_iteratorINS9_10device_ptrIiEEEENSB_INSC_IjEEEENSB_INSC_IfEEEEjNS9_4plusIvEENS9_8equal_toIvEEjEE10hipError_tPvRmT2_T3_T4_T5_mT6_T7_P12ihipStream_tbENKUlT_T0_E_clISt17integral_constantIbLb1EES13_EEDaSY_SZ_EUlSY_E_NS1_11comp_targetILNS1_3genE8ELNS1_11target_archE1030ELNS1_3gpuE2ELNS1_3repE0EEENS1_30default_config_static_selectorELNS0_4arch9wavefront6targetE0EEEvT1_,comdat
.Lfunc_end1661:
	.size	_ZN7rocprim17ROCPRIM_400000_NS6detail17trampoline_kernelINS0_14default_configENS1_27scan_by_key_config_selectorIijEEZZNS1_16scan_by_key_implILNS1_25lookback_scan_determinismE0ELb0ES3_N6thrust23THRUST_200600_302600_NS6detail15normal_iteratorINS9_10device_ptrIiEEEENSB_INSC_IjEEEENSB_INSC_IfEEEEjNS9_4plusIvEENS9_8equal_toIvEEjEE10hipError_tPvRmT2_T3_T4_T5_mT6_T7_P12ihipStream_tbENKUlT_T0_E_clISt17integral_constantIbLb1EES13_EEDaSY_SZ_EUlSY_E_NS1_11comp_targetILNS1_3genE8ELNS1_11target_archE1030ELNS1_3gpuE2ELNS1_3repE0EEENS1_30default_config_static_selectorELNS0_4arch9wavefront6targetE0EEEvT1_, .Lfunc_end1661-_ZN7rocprim17ROCPRIM_400000_NS6detail17trampoline_kernelINS0_14default_configENS1_27scan_by_key_config_selectorIijEEZZNS1_16scan_by_key_implILNS1_25lookback_scan_determinismE0ELb0ES3_N6thrust23THRUST_200600_302600_NS6detail15normal_iteratorINS9_10device_ptrIiEEEENSB_INSC_IjEEEENSB_INSC_IfEEEEjNS9_4plusIvEENS9_8equal_toIvEEjEE10hipError_tPvRmT2_T3_T4_T5_mT6_T7_P12ihipStream_tbENKUlT_T0_E_clISt17integral_constantIbLb1EES13_EEDaSY_SZ_EUlSY_E_NS1_11comp_targetILNS1_3genE8ELNS1_11target_archE1030ELNS1_3gpuE2ELNS1_3repE0EEENS1_30default_config_static_selectorELNS0_4arch9wavefront6targetE0EEEvT1_
                                        ; -- End function
	.set _ZN7rocprim17ROCPRIM_400000_NS6detail17trampoline_kernelINS0_14default_configENS1_27scan_by_key_config_selectorIijEEZZNS1_16scan_by_key_implILNS1_25lookback_scan_determinismE0ELb0ES3_N6thrust23THRUST_200600_302600_NS6detail15normal_iteratorINS9_10device_ptrIiEEEENSB_INSC_IjEEEENSB_INSC_IfEEEEjNS9_4plusIvEENS9_8equal_toIvEEjEE10hipError_tPvRmT2_T3_T4_T5_mT6_T7_P12ihipStream_tbENKUlT_T0_E_clISt17integral_constantIbLb1EES13_EEDaSY_SZ_EUlSY_E_NS1_11comp_targetILNS1_3genE8ELNS1_11target_archE1030ELNS1_3gpuE2ELNS1_3repE0EEENS1_30default_config_static_selectorELNS0_4arch9wavefront6targetE0EEEvT1_.num_vgpr, 0
	.set _ZN7rocprim17ROCPRIM_400000_NS6detail17trampoline_kernelINS0_14default_configENS1_27scan_by_key_config_selectorIijEEZZNS1_16scan_by_key_implILNS1_25lookback_scan_determinismE0ELb0ES3_N6thrust23THRUST_200600_302600_NS6detail15normal_iteratorINS9_10device_ptrIiEEEENSB_INSC_IjEEEENSB_INSC_IfEEEEjNS9_4plusIvEENS9_8equal_toIvEEjEE10hipError_tPvRmT2_T3_T4_T5_mT6_T7_P12ihipStream_tbENKUlT_T0_E_clISt17integral_constantIbLb1EES13_EEDaSY_SZ_EUlSY_E_NS1_11comp_targetILNS1_3genE8ELNS1_11target_archE1030ELNS1_3gpuE2ELNS1_3repE0EEENS1_30default_config_static_selectorELNS0_4arch9wavefront6targetE0EEEvT1_.num_agpr, 0
	.set _ZN7rocprim17ROCPRIM_400000_NS6detail17trampoline_kernelINS0_14default_configENS1_27scan_by_key_config_selectorIijEEZZNS1_16scan_by_key_implILNS1_25lookback_scan_determinismE0ELb0ES3_N6thrust23THRUST_200600_302600_NS6detail15normal_iteratorINS9_10device_ptrIiEEEENSB_INSC_IjEEEENSB_INSC_IfEEEEjNS9_4plusIvEENS9_8equal_toIvEEjEE10hipError_tPvRmT2_T3_T4_T5_mT6_T7_P12ihipStream_tbENKUlT_T0_E_clISt17integral_constantIbLb1EES13_EEDaSY_SZ_EUlSY_E_NS1_11comp_targetILNS1_3genE8ELNS1_11target_archE1030ELNS1_3gpuE2ELNS1_3repE0EEENS1_30default_config_static_selectorELNS0_4arch9wavefront6targetE0EEEvT1_.numbered_sgpr, 0
	.set _ZN7rocprim17ROCPRIM_400000_NS6detail17trampoline_kernelINS0_14default_configENS1_27scan_by_key_config_selectorIijEEZZNS1_16scan_by_key_implILNS1_25lookback_scan_determinismE0ELb0ES3_N6thrust23THRUST_200600_302600_NS6detail15normal_iteratorINS9_10device_ptrIiEEEENSB_INSC_IjEEEENSB_INSC_IfEEEEjNS9_4plusIvEENS9_8equal_toIvEEjEE10hipError_tPvRmT2_T3_T4_T5_mT6_T7_P12ihipStream_tbENKUlT_T0_E_clISt17integral_constantIbLb1EES13_EEDaSY_SZ_EUlSY_E_NS1_11comp_targetILNS1_3genE8ELNS1_11target_archE1030ELNS1_3gpuE2ELNS1_3repE0EEENS1_30default_config_static_selectorELNS0_4arch9wavefront6targetE0EEEvT1_.num_named_barrier, 0
	.set _ZN7rocprim17ROCPRIM_400000_NS6detail17trampoline_kernelINS0_14default_configENS1_27scan_by_key_config_selectorIijEEZZNS1_16scan_by_key_implILNS1_25lookback_scan_determinismE0ELb0ES3_N6thrust23THRUST_200600_302600_NS6detail15normal_iteratorINS9_10device_ptrIiEEEENSB_INSC_IjEEEENSB_INSC_IfEEEEjNS9_4plusIvEENS9_8equal_toIvEEjEE10hipError_tPvRmT2_T3_T4_T5_mT6_T7_P12ihipStream_tbENKUlT_T0_E_clISt17integral_constantIbLb1EES13_EEDaSY_SZ_EUlSY_E_NS1_11comp_targetILNS1_3genE8ELNS1_11target_archE1030ELNS1_3gpuE2ELNS1_3repE0EEENS1_30default_config_static_selectorELNS0_4arch9wavefront6targetE0EEEvT1_.private_seg_size, 0
	.set _ZN7rocprim17ROCPRIM_400000_NS6detail17trampoline_kernelINS0_14default_configENS1_27scan_by_key_config_selectorIijEEZZNS1_16scan_by_key_implILNS1_25lookback_scan_determinismE0ELb0ES3_N6thrust23THRUST_200600_302600_NS6detail15normal_iteratorINS9_10device_ptrIiEEEENSB_INSC_IjEEEENSB_INSC_IfEEEEjNS9_4plusIvEENS9_8equal_toIvEEjEE10hipError_tPvRmT2_T3_T4_T5_mT6_T7_P12ihipStream_tbENKUlT_T0_E_clISt17integral_constantIbLb1EES13_EEDaSY_SZ_EUlSY_E_NS1_11comp_targetILNS1_3genE8ELNS1_11target_archE1030ELNS1_3gpuE2ELNS1_3repE0EEENS1_30default_config_static_selectorELNS0_4arch9wavefront6targetE0EEEvT1_.uses_vcc, 0
	.set _ZN7rocprim17ROCPRIM_400000_NS6detail17trampoline_kernelINS0_14default_configENS1_27scan_by_key_config_selectorIijEEZZNS1_16scan_by_key_implILNS1_25lookback_scan_determinismE0ELb0ES3_N6thrust23THRUST_200600_302600_NS6detail15normal_iteratorINS9_10device_ptrIiEEEENSB_INSC_IjEEEENSB_INSC_IfEEEEjNS9_4plusIvEENS9_8equal_toIvEEjEE10hipError_tPvRmT2_T3_T4_T5_mT6_T7_P12ihipStream_tbENKUlT_T0_E_clISt17integral_constantIbLb1EES13_EEDaSY_SZ_EUlSY_E_NS1_11comp_targetILNS1_3genE8ELNS1_11target_archE1030ELNS1_3gpuE2ELNS1_3repE0EEENS1_30default_config_static_selectorELNS0_4arch9wavefront6targetE0EEEvT1_.uses_flat_scratch, 0
	.set _ZN7rocprim17ROCPRIM_400000_NS6detail17trampoline_kernelINS0_14default_configENS1_27scan_by_key_config_selectorIijEEZZNS1_16scan_by_key_implILNS1_25lookback_scan_determinismE0ELb0ES3_N6thrust23THRUST_200600_302600_NS6detail15normal_iteratorINS9_10device_ptrIiEEEENSB_INSC_IjEEEENSB_INSC_IfEEEEjNS9_4plusIvEENS9_8equal_toIvEEjEE10hipError_tPvRmT2_T3_T4_T5_mT6_T7_P12ihipStream_tbENKUlT_T0_E_clISt17integral_constantIbLb1EES13_EEDaSY_SZ_EUlSY_E_NS1_11comp_targetILNS1_3genE8ELNS1_11target_archE1030ELNS1_3gpuE2ELNS1_3repE0EEENS1_30default_config_static_selectorELNS0_4arch9wavefront6targetE0EEEvT1_.has_dyn_sized_stack, 0
	.set _ZN7rocprim17ROCPRIM_400000_NS6detail17trampoline_kernelINS0_14default_configENS1_27scan_by_key_config_selectorIijEEZZNS1_16scan_by_key_implILNS1_25lookback_scan_determinismE0ELb0ES3_N6thrust23THRUST_200600_302600_NS6detail15normal_iteratorINS9_10device_ptrIiEEEENSB_INSC_IjEEEENSB_INSC_IfEEEEjNS9_4plusIvEENS9_8equal_toIvEEjEE10hipError_tPvRmT2_T3_T4_T5_mT6_T7_P12ihipStream_tbENKUlT_T0_E_clISt17integral_constantIbLb1EES13_EEDaSY_SZ_EUlSY_E_NS1_11comp_targetILNS1_3genE8ELNS1_11target_archE1030ELNS1_3gpuE2ELNS1_3repE0EEENS1_30default_config_static_selectorELNS0_4arch9wavefront6targetE0EEEvT1_.has_recursion, 0
	.set _ZN7rocprim17ROCPRIM_400000_NS6detail17trampoline_kernelINS0_14default_configENS1_27scan_by_key_config_selectorIijEEZZNS1_16scan_by_key_implILNS1_25lookback_scan_determinismE0ELb0ES3_N6thrust23THRUST_200600_302600_NS6detail15normal_iteratorINS9_10device_ptrIiEEEENSB_INSC_IjEEEENSB_INSC_IfEEEEjNS9_4plusIvEENS9_8equal_toIvEEjEE10hipError_tPvRmT2_T3_T4_T5_mT6_T7_P12ihipStream_tbENKUlT_T0_E_clISt17integral_constantIbLb1EES13_EEDaSY_SZ_EUlSY_E_NS1_11comp_targetILNS1_3genE8ELNS1_11target_archE1030ELNS1_3gpuE2ELNS1_3repE0EEENS1_30default_config_static_selectorELNS0_4arch9wavefront6targetE0EEEvT1_.has_indirect_call, 0
	.section	.AMDGPU.csdata,"",@progbits
; Kernel info:
; codeLenInByte = 0
; TotalNumSgprs: 0
; NumVgprs: 0
; ScratchSize: 0
; MemoryBound: 0
; FloatMode: 240
; IeeeMode: 1
; LDSByteSize: 0 bytes/workgroup (compile time only)
; SGPRBlocks: 0
; VGPRBlocks: 0
; NumSGPRsForWavesPerEU: 1
; NumVGPRsForWavesPerEU: 1
; NamedBarCnt: 0
; Occupancy: 16
; WaveLimiterHint : 0
; COMPUTE_PGM_RSRC2:SCRATCH_EN: 0
; COMPUTE_PGM_RSRC2:USER_SGPR: 2
; COMPUTE_PGM_RSRC2:TRAP_HANDLER: 0
; COMPUTE_PGM_RSRC2:TGID_X_EN: 1
; COMPUTE_PGM_RSRC2:TGID_Y_EN: 0
; COMPUTE_PGM_RSRC2:TGID_Z_EN: 0
; COMPUTE_PGM_RSRC2:TIDIG_COMP_CNT: 0
	.section	.text._ZN7rocprim17ROCPRIM_400000_NS6detail17trampoline_kernelINS0_14default_configENS1_27scan_by_key_config_selectorIijEEZZNS1_16scan_by_key_implILNS1_25lookback_scan_determinismE0ELb0ES3_N6thrust23THRUST_200600_302600_NS6detail15normal_iteratorINS9_10device_ptrIiEEEENSB_INSC_IjEEEENSB_INSC_IfEEEEjNS9_4plusIvEENS9_8equal_toIvEEjEE10hipError_tPvRmT2_T3_T4_T5_mT6_T7_P12ihipStream_tbENKUlT_T0_E_clISt17integral_constantIbLb1EES12_IbLb0EEEEDaSY_SZ_EUlSY_E_NS1_11comp_targetILNS1_3genE0ELNS1_11target_archE4294967295ELNS1_3gpuE0ELNS1_3repE0EEENS1_30default_config_static_selectorELNS0_4arch9wavefront6targetE0EEEvT1_,"axG",@progbits,_ZN7rocprim17ROCPRIM_400000_NS6detail17trampoline_kernelINS0_14default_configENS1_27scan_by_key_config_selectorIijEEZZNS1_16scan_by_key_implILNS1_25lookback_scan_determinismE0ELb0ES3_N6thrust23THRUST_200600_302600_NS6detail15normal_iteratorINS9_10device_ptrIiEEEENSB_INSC_IjEEEENSB_INSC_IfEEEEjNS9_4plusIvEENS9_8equal_toIvEEjEE10hipError_tPvRmT2_T3_T4_T5_mT6_T7_P12ihipStream_tbENKUlT_T0_E_clISt17integral_constantIbLb1EES12_IbLb0EEEEDaSY_SZ_EUlSY_E_NS1_11comp_targetILNS1_3genE0ELNS1_11target_archE4294967295ELNS1_3gpuE0ELNS1_3repE0EEENS1_30default_config_static_selectorELNS0_4arch9wavefront6targetE0EEEvT1_,comdat
	.protected	_ZN7rocprim17ROCPRIM_400000_NS6detail17trampoline_kernelINS0_14default_configENS1_27scan_by_key_config_selectorIijEEZZNS1_16scan_by_key_implILNS1_25lookback_scan_determinismE0ELb0ES3_N6thrust23THRUST_200600_302600_NS6detail15normal_iteratorINS9_10device_ptrIiEEEENSB_INSC_IjEEEENSB_INSC_IfEEEEjNS9_4plusIvEENS9_8equal_toIvEEjEE10hipError_tPvRmT2_T3_T4_T5_mT6_T7_P12ihipStream_tbENKUlT_T0_E_clISt17integral_constantIbLb1EES12_IbLb0EEEEDaSY_SZ_EUlSY_E_NS1_11comp_targetILNS1_3genE0ELNS1_11target_archE4294967295ELNS1_3gpuE0ELNS1_3repE0EEENS1_30default_config_static_selectorELNS0_4arch9wavefront6targetE0EEEvT1_ ; -- Begin function _ZN7rocprim17ROCPRIM_400000_NS6detail17trampoline_kernelINS0_14default_configENS1_27scan_by_key_config_selectorIijEEZZNS1_16scan_by_key_implILNS1_25lookback_scan_determinismE0ELb0ES3_N6thrust23THRUST_200600_302600_NS6detail15normal_iteratorINS9_10device_ptrIiEEEENSB_INSC_IjEEEENSB_INSC_IfEEEEjNS9_4plusIvEENS9_8equal_toIvEEjEE10hipError_tPvRmT2_T3_T4_T5_mT6_T7_P12ihipStream_tbENKUlT_T0_E_clISt17integral_constantIbLb1EES12_IbLb0EEEEDaSY_SZ_EUlSY_E_NS1_11comp_targetILNS1_3genE0ELNS1_11target_archE4294967295ELNS1_3gpuE0ELNS1_3repE0EEENS1_30default_config_static_selectorELNS0_4arch9wavefront6targetE0EEEvT1_
	.globl	_ZN7rocprim17ROCPRIM_400000_NS6detail17trampoline_kernelINS0_14default_configENS1_27scan_by_key_config_selectorIijEEZZNS1_16scan_by_key_implILNS1_25lookback_scan_determinismE0ELb0ES3_N6thrust23THRUST_200600_302600_NS6detail15normal_iteratorINS9_10device_ptrIiEEEENSB_INSC_IjEEEENSB_INSC_IfEEEEjNS9_4plusIvEENS9_8equal_toIvEEjEE10hipError_tPvRmT2_T3_T4_T5_mT6_T7_P12ihipStream_tbENKUlT_T0_E_clISt17integral_constantIbLb1EES12_IbLb0EEEEDaSY_SZ_EUlSY_E_NS1_11comp_targetILNS1_3genE0ELNS1_11target_archE4294967295ELNS1_3gpuE0ELNS1_3repE0EEENS1_30default_config_static_selectorELNS0_4arch9wavefront6targetE0EEEvT1_
	.p2align	8
	.type	_ZN7rocprim17ROCPRIM_400000_NS6detail17trampoline_kernelINS0_14default_configENS1_27scan_by_key_config_selectorIijEEZZNS1_16scan_by_key_implILNS1_25lookback_scan_determinismE0ELb0ES3_N6thrust23THRUST_200600_302600_NS6detail15normal_iteratorINS9_10device_ptrIiEEEENSB_INSC_IjEEEENSB_INSC_IfEEEEjNS9_4plusIvEENS9_8equal_toIvEEjEE10hipError_tPvRmT2_T3_T4_T5_mT6_T7_P12ihipStream_tbENKUlT_T0_E_clISt17integral_constantIbLb1EES12_IbLb0EEEEDaSY_SZ_EUlSY_E_NS1_11comp_targetILNS1_3genE0ELNS1_11target_archE4294967295ELNS1_3gpuE0ELNS1_3repE0EEENS1_30default_config_static_selectorELNS0_4arch9wavefront6targetE0EEEvT1_,@function
_ZN7rocprim17ROCPRIM_400000_NS6detail17trampoline_kernelINS0_14default_configENS1_27scan_by_key_config_selectorIijEEZZNS1_16scan_by_key_implILNS1_25lookback_scan_determinismE0ELb0ES3_N6thrust23THRUST_200600_302600_NS6detail15normal_iteratorINS9_10device_ptrIiEEEENSB_INSC_IjEEEENSB_INSC_IfEEEEjNS9_4plusIvEENS9_8equal_toIvEEjEE10hipError_tPvRmT2_T3_T4_T5_mT6_T7_P12ihipStream_tbENKUlT_T0_E_clISt17integral_constantIbLb1EES12_IbLb0EEEEDaSY_SZ_EUlSY_E_NS1_11comp_targetILNS1_3genE0ELNS1_11target_archE4294967295ELNS1_3gpuE0ELNS1_3repE0EEENS1_30default_config_static_selectorELNS0_4arch9wavefront6targetE0EEEvT1_: ; @_ZN7rocprim17ROCPRIM_400000_NS6detail17trampoline_kernelINS0_14default_configENS1_27scan_by_key_config_selectorIijEEZZNS1_16scan_by_key_implILNS1_25lookback_scan_determinismE0ELb0ES3_N6thrust23THRUST_200600_302600_NS6detail15normal_iteratorINS9_10device_ptrIiEEEENSB_INSC_IjEEEENSB_INSC_IfEEEEjNS9_4plusIvEENS9_8equal_toIvEEjEE10hipError_tPvRmT2_T3_T4_T5_mT6_T7_P12ihipStream_tbENKUlT_T0_E_clISt17integral_constantIbLb1EES12_IbLb0EEEEDaSY_SZ_EUlSY_E_NS1_11comp_targetILNS1_3genE0ELNS1_11target_archE4294967295ELNS1_3gpuE0ELNS1_3repE0EEENS1_30default_config_static_selectorELNS0_4arch9wavefront6targetE0EEEvT1_
; %bb.0:
	s_endpgm
	.section	.rodata,"a",@progbits
	.p2align	6, 0x0
	.amdhsa_kernel _ZN7rocprim17ROCPRIM_400000_NS6detail17trampoline_kernelINS0_14default_configENS1_27scan_by_key_config_selectorIijEEZZNS1_16scan_by_key_implILNS1_25lookback_scan_determinismE0ELb0ES3_N6thrust23THRUST_200600_302600_NS6detail15normal_iteratorINS9_10device_ptrIiEEEENSB_INSC_IjEEEENSB_INSC_IfEEEEjNS9_4plusIvEENS9_8equal_toIvEEjEE10hipError_tPvRmT2_T3_T4_T5_mT6_T7_P12ihipStream_tbENKUlT_T0_E_clISt17integral_constantIbLb1EES12_IbLb0EEEEDaSY_SZ_EUlSY_E_NS1_11comp_targetILNS1_3genE0ELNS1_11target_archE4294967295ELNS1_3gpuE0ELNS1_3repE0EEENS1_30default_config_static_selectorELNS0_4arch9wavefront6targetE0EEEvT1_
		.amdhsa_group_segment_fixed_size 0
		.amdhsa_private_segment_fixed_size 0
		.amdhsa_kernarg_size 112
		.amdhsa_user_sgpr_count 2
		.amdhsa_user_sgpr_dispatch_ptr 0
		.amdhsa_user_sgpr_queue_ptr 0
		.amdhsa_user_sgpr_kernarg_segment_ptr 1
		.amdhsa_user_sgpr_dispatch_id 0
		.amdhsa_user_sgpr_kernarg_preload_length 0
		.amdhsa_user_sgpr_kernarg_preload_offset 0
		.amdhsa_user_sgpr_private_segment_size 0
		.amdhsa_wavefront_size32 1
		.amdhsa_uses_dynamic_stack 0
		.amdhsa_enable_private_segment 0
		.amdhsa_system_sgpr_workgroup_id_x 1
		.amdhsa_system_sgpr_workgroup_id_y 0
		.amdhsa_system_sgpr_workgroup_id_z 0
		.amdhsa_system_sgpr_workgroup_info 0
		.amdhsa_system_vgpr_workitem_id 0
		.amdhsa_next_free_vgpr 1
		.amdhsa_next_free_sgpr 1
		.amdhsa_named_barrier_count 0
		.amdhsa_reserve_vcc 0
		.amdhsa_float_round_mode_32 0
		.amdhsa_float_round_mode_16_64 0
		.amdhsa_float_denorm_mode_32 3
		.amdhsa_float_denorm_mode_16_64 3
		.amdhsa_fp16_overflow 0
		.amdhsa_memory_ordered 1
		.amdhsa_forward_progress 1
		.amdhsa_inst_pref_size 1
		.amdhsa_round_robin_scheduling 0
		.amdhsa_exception_fp_ieee_invalid_op 0
		.amdhsa_exception_fp_denorm_src 0
		.amdhsa_exception_fp_ieee_div_zero 0
		.amdhsa_exception_fp_ieee_overflow 0
		.amdhsa_exception_fp_ieee_underflow 0
		.amdhsa_exception_fp_ieee_inexact 0
		.amdhsa_exception_int_div_zero 0
	.end_amdhsa_kernel
	.section	.text._ZN7rocprim17ROCPRIM_400000_NS6detail17trampoline_kernelINS0_14default_configENS1_27scan_by_key_config_selectorIijEEZZNS1_16scan_by_key_implILNS1_25lookback_scan_determinismE0ELb0ES3_N6thrust23THRUST_200600_302600_NS6detail15normal_iteratorINS9_10device_ptrIiEEEENSB_INSC_IjEEEENSB_INSC_IfEEEEjNS9_4plusIvEENS9_8equal_toIvEEjEE10hipError_tPvRmT2_T3_T4_T5_mT6_T7_P12ihipStream_tbENKUlT_T0_E_clISt17integral_constantIbLb1EES12_IbLb0EEEEDaSY_SZ_EUlSY_E_NS1_11comp_targetILNS1_3genE0ELNS1_11target_archE4294967295ELNS1_3gpuE0ELNS1_3repE0EEENS1_30default_config_static_selectorELNS0_4arch9wavefront6targetE0EEEvT1_,"axG",@progbits,_ZN7rocprim17ROCPRIM_400000_NS6detail17trampoline_kernelINS0_14default_configENS1_27scan_by_key_config_selectorIijEEZZNS1_16scan_by_key_implILNS1_25lookback_scan_determinismE0ELb0ES3_N6thrust23THRUST_200600_302600_NS6detail15normal_iteratorINS9_10device_ptrIiEEEENSB_INSC_IjEEEENSB_INSC_IfEEEEjNS9_4plusIvEENS9_8equal_toIvEEjEE10hipError_tPvRmT2_T3_T4_T5_mT6_T7_P12ihipStream_tbENKUlT_T0_E_clISt17integral_constantIbLb1EES12_IbLb0EEEEDaSY_SZ_EUlSY_E_NS1_11comp_targetILNS1_3genE0ELNS1_11target_archE4294967295ELNS1_3gpuE0ELNS1_3repE0EEENS1_30default_config_static_selectorELNS0_4arch9wavefront6targetE0EEEvT1_,comdat
.Lfunc_end1662:
	.size	_ZN7rocprim17ROCPRIM_400000_NS6detail17trampoline_kernelINS0_14default_configENS1_27scan_by_key_config_selectorIijEEZZNS1_16scan_by_key_implILNS1_25lookback_scan_determinismE0ELb0ES3_N6thrust23THRUST_200600_302600_NS6detail15normal_iteratorINS9_10device_ptrIiEEEENSB_INSC_IjEEEENSB_INSC_IfEEEEjNS9_4plusIvEENS9_8equal_toIvEEjEE10hipError_tPvRmT2_T3_T4_T5_mT6_T7_P12ihipStream_tbENKUlT_T0_E_clISt17integral_constantIbLb1EES12_IbLb0EEEEDaSY_SZ_EUlSY_E_NS1_11comp_targetILNS1_3genE0ELNS1_11target_archE4294967295ELNS1_3gpuE0ELNS1_3repE0EEENS1_30default_config_static_selectorELNS0_4arch9wavefront6targetE0EEEvT1_, .Lfunc_end1662-_ZN7rocprim17ROCPRIM_400000_NS6detail17trampoline_kernelINS0_14default_configENS1_27scan_by_key_config_selectorIijEEZZNS1_16scan_by_key_implILNS1_25lookback_scan_determinismE0ELb0ES3_N6thrust23THRUST_200600_302600_NS6detail15normal_iteratorINS9_10device_ptrIiEEEENSB_INSC_IjEEEENSB_INSC_IfEEEEjNS9_4plusIvEENS9_8equal_toIvEEjEE10hipError_tPvRmT2_T3_T4_T5_mT6_T7_P12ihipStream_tbENKUlT_T0_E_clISt17integral_constantIbLb1EES12_IbLb0EEEEDaSY_SZ_EUlSY_E_NS1_11comp_targetILNS1_3genE0ELNS1_11target_archE4294967295ELNS1_3gpuE0ELNS1_3repE0EEENS1_30default_config_static_selectorELNS0_4arch9wavefront6targetE0EEEvT1_
                                        ; -- End function
	.set _ZN7rocprim17ROCPRIM_400000_NS6detail17trampoline_kernelINS0_14default_configENS1_27scan_by_key_config_selectorIijEEZZNS1_16scan_by_key_implILNS1_25lookback_scan_determinismE0ELb0ES3_N6thrust23THRUST_200600_302600_NS6detail15normal_iteratorINS9_10device_ptrIiEEEENSB_INSC_IjEEEENSB_INSC_IfEEEEjNS9_4plusIvEENS9_8equal_toIvEEjEE10hipError_tPvRmT2_T3_T4_T5_mT6_T7_P12ihipStream_tbENKUlT_T0_E_clISt17integral_constantIbLb1EES12_IbLb0EEEEDaSY_SZ_EUlSY_E_NS1_11comp_targetILNS1_3genE0ELNS1_11target_archE4294967295ELNS1_3gpuE0ELNS1_3repE0EEENS1_30default_config_static_selectorELNS0_4arch9wavefront6targetE0EEEvT1_.num_vgpr, 0
	.set _ZN7rocprim17ROCPRIM_400000_NS6detail17trampoline_kernelINS0_14default_configENS1_27scan_by_key_config_selectorIijEEZZNS1_16scan_by_key_implILNS1_25lookback_scan_determinismE0ELb0ES3_N6thrust23THRUST_200600_302600_NS6detail15normal_iteratorINS9_10device_ptrIiEEEENSB_INSC_IjEEEENSB_INSC_IfEEEEjNS9_4plusIvEENS9_8equal_toIvEEjEE10hipError_tPvRmT2_T3_T4_T5_mT6_T7_P12ihipStream_tbENKUlT_T0_E_clISt17integral_constantIbLb1EES12_IbLb0EEEEDaSY_SZ_EUlSY_E_NS1_11comp_targetILNS1_3genE0ELNS1_11target_archE4294967295ELNS1_3gpuE0ELNS1_3repE0EEENS1_30default_config_static_selectorELNS0_4arch9wavefront6targetE0EEEvT1_.num_agpr, 0
	.set _ZN7rocprim17ROCPRIM_400000_NS6detail17trampoline_kernelINS0_14default_configENS1_27scan_by_key_config_selectorIijEEZZNS1_16scan_by_key_implILNS1_25lookback_scan_determinismE0ELb0ES3_N6thrust23THRUST_200600_302600_NS6detail15normal_iteratorINS9_10device_ptrIiEEEENSB_INSC_IjEEEENSB_INSC_IfEEEEjNS9_4plusIvEENS9_8equal_toIvEEjEE10hipError_tPvRmT2_T3_T4_T5_mT6_T7_P12ihipStream_tbENKUlT_T0_E_clISt17integral_constantIbLb1EES12_IbLb0EEEEDaSY_SZ_EUlSY_E_NS1_11comp_targetILNS1_3genE0ELNS1_11target_archE4294967295ELNS1_3gpuE0ELNS1_3repE0EEENS1_30default_config_static_selectorELNS0_4arch9wavefront6targetE0EEEvT1_.numbered_sgpr, 0
	.set _ZN7rocprim17ROCPRIM_400000_NS6detail17trampoline_kernelINS0_14default_configENS1_27scan_by_key_config_selectorIijEEZZNS1_16scan_by_key_implILNS1_25lookback_scan_determinismE0ELb0ES3_N6thrust23THRUST_200600_302600_NS6detail15normal_iteratorINS9_10device_ptrIiEEEENSB_INSC_IjEEEENSB_INSC_IfEEEEjNS9_4plusIvEENS9_8equal_toIvEEjEE10hipError_tPvRmT2_T3_T4_T5_mT6_T7_P12ihipStream_tbENKUlT_T0_E_clISt17integral_constantIbLb1EES12_IbLb0EEEEDaSY_SZ_EUlSY_E_NS1_11comp_targetILNS1_3genE0ELNS1_11target_archE4294967295ELNS1_3gpuE0ELNS1_3repE0EEENS1_30default_config_static_selectorELNS0_4arch9wavefront6targetE0EEEvT1_.num_named_barrier, 0
	.set _ZN7rocprim17ROCPRIM_400000_NS6detail17trampoline_kernelINS0_14default_configENS1_27scan_by_key_config_selectorIijEEZZNS1_16scan_by_key_implILNS1_25lookback_scan_determinismE0ELb0ES3_N6thrust23THRUST_200600_302600_NS6detail15normal_iteratorINS9_10device_ptrIiEEEENSB_INSC_IjEEEENSB_INSC_IfEEEEjNS9_4plusIvEENS9_8equal_toIvEEjEE10hipError_tPvRmT2_T3_T4_T5_mT6_T7_P12ihipStream_tbENKUlT_T0_E_clISt17integral_constantIbLb1EES12_IbLb0EEEEDaSY_SZ_EUlSY_E_NS1_11comp_targetILNS1_3genE0ELNS1_11target_archE4294967295ELNS1_3gpuE0ELNS1_3repE0EEENS1_30default_config_static_selectorELNS0_4arch9wavefront6targetE0EEEvT1_.private_seg_size, 0
	.set _ZN7rocprim17ROCPRIM_400000_NS6detail17trampoline_kernelINS0_14default_configENS1_27scan_by_key_config_selectorIijEEZZNS1_16scan_by_key_implILNS1_25lookback_scan_determinismE0ELb0ES3_N6thrust23THRUST_200600_302600_NS6detail15normal_iteratorINS9_10device_ptrIiEEEENSB_INSC_IjEEEENSB_INSC_IfEEEEjNS9_4plusIvEENS9_8equal_toIvEEjEE10hipError_tPvRmT2_T3_T4_T5_mT6_T7_P12ihipStream_tbENKUlT_T0_E_clISt17integral_constantIbLb1EES12_IbLb0EEEEDaSY_SZ_EUlSY_E_NS1_11comp_targetILNS1_3genE0ELNS1_11target_archE4294967295ELNS1_3gpuE0ELNS1_3repE0EEENS1_30default_config_static_selectorELNS0_4arch9wavefront6targetE0EEEvT1_.uses_vcc, 0
	.set _ZN7rocprim17ROCPRIM_400000_NS6detail17trampoline_kernelINS0_14default_configENS1_27scan_by_key_config_selectorIijEEZZNS1_16scan_by_key_implILNS1_25lookback_scan_determinismE0ELb0ES3_N6thrust23THRUST_200600_302600_NS6detail15normal_iteratorINS9_10device_ptrIiEEEENSB_INSC_IjEEEENSB_INSC_IfEEEEjNS9_4plusIvEENS9_8equal_toIvEEjEE10hipError_tPvRmT2_T3_T4_T5_mT6_T7_P12ihipStream_tbENKUlT_T0_E_clISt17integral_constantIbLb1EES12_IbLb0EEEEDaSY_SZ_EUlSY_E_NS1_11comp_targetILNS1_3genE0ELNS1_11target_archE4294967295ELNS1_3gpuE0ELNS1_3repE0EEENS1_30default_config_static_selectorELNS0_4arch9wavefront6targetE0EEEvT1_.uses_flat_scratch, 0
	.set _ZN7rocprim17ROCPRIM_400000_NS6detail17trampoline_kernelINS0_14default_configENS1_27scan_by_key_config_selectorIijEEZZNS1_16scan_by_key_implILNS1_25lookback_scan_determinismE0ELb0ES3_N6thrust23THRUST_200600_302600_NS6detail15normal_iteratorINS9_10device_ptrIiEEEENSB_INSC_IjEEEENSB_INSC_IfEEEEjNS9_4plusIvEENS9_8equal_toIvEEjEE10hipError_tPvRmT2_T3_T4_T5_mT6_T7_P12ihipStream_tbENKUlT_T0_E_clISt17integral_constantIbLb1EES12_IbLb0EEEEDaSY_SZ_EUlSY_E_NS1_11comp_targetILNS1_3genE0ELNS1_11target_archE4294967295ELNS1_3gpuE0ELNS1_3repE0EEENS1_30default_config_static_selectorELNS0_4arch9wavefront6targetE0EEEvT1_.has_dyn_sized_stack, 0
	.set _ZN7rocprim17ROCPRIM_400000_NS6detail17trampoline_kernelINS0_14default_configENS1_27scan_by_key_config_selectorIijEEZZNS1_16scan_by_key_implILNS1_25lookback_scan_determinismE0ELb0ES3_N6thrust23THRUST_200600_302600_NS6detail15normal_iteratorINS9_10device_ptrIiEEEENSB_INSC_IjEEEENSB_INSC_IfEEEEjNS9_4plusIvEENS9_8equal_toIvEEjEE10hipError_tPvRmT2_T3_T4_T5_mT6_T7_P12ihipStream_tbENKUlT_T0_E_clISt17integral_constantIbLb1EES12_IbLb0EEEEDaSY_SZ_EUlSY_E_NS1_11comp_targetILNS1_3genE0ELNS1_11target_archE4294967295ELNS1_3gpuE0ELNS1_3repE0EEENS1_30default_config_static_selectorELNS0_4arch9wavefront6targetE0EEEvT1_.has_recursion, 0
	.set _ZN7rocprim17ROCPRIM_400000_NS6detail17trampoline_kernelINS0_14default_configENS1_27scan_by_key_config_selectorIijEEZZNS1_16scan_by_key_implILNS1_25lookback_scan_determinismE0ELb0ES3_N6thrust23THRUST_200600_302600_NS6detail15normal_iteratorINS9_10device_ptrIiEEEENSB_INSC_IjEEEENSB_INSC_IfEEEEjNS9_4plusIvEENS9_8equal_toIvEEjEE10hipError_tPvRmT2_T3_T4_T5_mT6_T7_P12ihipStream_tbENKUlT_T0_E_clISt17integral_constantIbLb1EES12_IbLb0EEEEDaSY_SZ_EUlSY_E_NS1_11comp_targetILNS1_3genE0ELNS1_11target_archE4294967295ELNS1_3gpuE0ELNS1_3repE0EEENS1_30default_config_static_selectorELNS0_4arch9wavefront6targetE0EEEvT1_.has_indirect_call, 0
	.section	.AMDGPU.csdata,"",@progbits
; Kernel info:
; codeLenInByte = 4
; TotalNumSgprs: 0
; NumVgprs: 0
; ScratchSize: 0
; MemoryBound: 0
; FloatMode: 240
; IeeeMode: 1
; LDSByteSize: 0 bytes/workgroup (compile time only)
; SGPRBlocks: 0
; VGPRBlocks: 0
; NumSGPRsForWavesPerEU: 1
; NumVGPRsForWavesPerEU: 1
; NamedBarCnt: 0
; Occupancy: 16
; WaveLimiterHint : 0
; COMPUTE_PGM_RSRC2:SCRATCH_EN: 0
; COMPUTE_PGM_RSRC2:USER_SGPR: 2
; COMPUTE_PGM_RSRC2:TRAP_HANDLER: 0
; COMPUTE_PGM_RSRC2:TGID_X_EN: 1
; COMPUTE_PGM_RSRC2:TGID_Y_EN: 0
; COMPUTE_PGM_RSRC2:TGID_Z_EN: 0
; COMPUTE_PGM_RSRC2:TIDIG_COMP_CNT: 0
	.section	.text._ZN7rocprim17ROCPRIM_400000_NS6detail17trampoline_kernelINS0_14default_configENS1_27scan_by_key_config_selectorIijEEZZNS1_16scan_by_key_implILNS1_25lookback_scan_determinismE0ELb0ES3_N6thrust23THRUST_200600_302600_NS6detail15normal_iteratorINS9_10device_ptrIiEEEENSB_INSC_IjEEEENSB_INSC_IfEEEEjNS9_4plusIvEENS9_8equal_toIvEEjEE10hipError_tPvRmT2_T3_T4_T5_mT6_T7_P12ihipStream_tbENKUlT_T0_E_clISt17integral_constantIbLb1EES12_IbLb0EEEEDaSY_SZ_EUlSY_E_NS1_11comp_targetILNS1_3genE10ELNS1_11target_archE1201ELNS1_3gpuE5ELNS1_3repE0EEENS1_30default_config_static_selectorELNS0_4arch9wavefront6targetE0EEEvT1_,"axG",@progbits,_ZN7rocprim17ROCPRIM_400000_NS6detail17trampoline_kernelINS0_14default_configENS1_27scan_by_key_config_selectorIijEEZZNS1_16scan_by_key_implILNS1_25lookback_scan_determinismE0ELb0ES3_N6thrust23THRUST_200600_302600_NS6detail15normal_iteratorINS9_10device_ptrIiEEEENSB_INSC_IjEEEENSB_INSC_IfEEEEjNS9_4plusIvEENS9_8equal_toIvEEjEE10hipError_tPvRmT2_T3_T4_T5_mT6_T7_P12ihipStream_tbENKUlT_T0_E_clISt17integral_constantIbLb1EES12_IbLb0EEEEDaSY_SZ_EUlSY_E_NS1_11comp_targetILNS1_3genE10ELNS1_11target_archE1201ELNS1_3gpuE5ELNS1_3repE0EEENS1_30default_config_static_selectorELNS0_4arch9wavefront6targetE0EEEvT1_,comdat
	.protected	_ZN7rocprim17ROCPRIM_400000_NS6detail17trampoline_kernelINS0_14default_configENS1_27scan_by_key_config_selectorIijEEZZNS1_16scan_by_key_implILNS1_25lookback_scan_determinismE0ELb0ES3_N6thrust23THRUST_200600_302600_NS6detail15normal_iteratorINS9_10device_ptrIiEEEENSB_INSC_IjEEEENSB_INSC_IfEEEEjNS9_4plusIvEENS9_8equal_toIvEEjEE10hipError_tPvRmT2_T3_T4_T5_mT6_T7_P12ihipStream_tbENKUlT_T0_E_clISt17integral_constantIbLb1EES12_IbLb0EEEEDaSY_SZ_EUlSY_E_NS1_11comp_targetILNS1_3genE10ELNS1_11target_archE1201ELNS1_3gpuE5ELNS1_3repE0EEENS1_30default_config_static_selectorELNS0_4arch9wavefront6targetE0EEEvT1_ ; -- Begin function _ZN7rocprim17ROCPRIM_400000_NS6detail17trampoline_kernelINS0_14default_configENS1_27scan_by_key_config_selectorIijEEZZNS1_16scan_by_key_implILNS1_25lookback_scan_determinismE0ELb0ES3_N6thrust23THRUST_200600_302600_NS6detail15normal_iteratorINS9_10device_ptrIiEEEENSB_INSC_IjEEEENSB_INSC_IfEEEEjNS9_4plusIvEENS9_8equal_toIvEEjEE10hipError_tPvRmT2_T3_T4_T5_mT6_T7_P12ihipStream_tbENKUlT_T0_E_clISt17integral_constantIbLb1EES12_IbLb0EEEEDaSY_SZ_EUlSY_E_NS1_11comp_targetILNS1_3genE10ELNS1_11target_archE1201ELNS1_3gpuE5ELNS1_3repE0EEENS1_30default_config_static_selectorELNS0_4arch9wavefront6targetE0EEEvT1_
	.globl	_ZN7rocprim17ROCPRIM_400000_NS6detail17trampoline_kernelINS0_14default_configENS1_27scan_by_key_config_selectorIijEEZZNS1_16scan_by_key_implILNS1_25lookback_scan_determinismE0ELb0ES3_N6thrust23THRUST_200600_302600_NS6detail15normal_iteratorINS9_10device_ptrIiEEEENSB_INSC_IjEEEENSB_INSC_IfEEEEjNS9_4plusIvEENS9_8equal_toIvEEjEE10hipError_tPvRmT2_T3_T4_T5_mT6_T7_P12ihipStream_tbENKUlT_T0_E_clISt17integral_constantIbLb1EES12_IbLb0EEEEDaSY_SZ_EUlSY_E_NS1_11comp_targetILNS1_3genE10ELNS1_11target_archE1201ELNS1_3gpuE5ELNS1_3repE0EEENS1_30default_config_static_selectorELNS0_4arch9wavefront6targetE0EEEvT1_
	.p2align	8
	.type	_ZN7rocprim17ROCPRIM_400000_NS6detail17trampoline_kernelINS0_14default_configENS1_27scan_by_key_config_selectorIijEEZZNS1_16scan_by_key_implILNS1_25lookback_scan_determinismE0ELb0ES3_N6thrust23THRUST_200600_302600_NS6detail15normal_iteratorINS9_10device_ptrIiEEEENSB_INSC_IjEEEENSB_INSC_IfEEEEjNS9_4plusIvEENS9_8equal_toIvEEjEE10hipError_tPvRmT2_T3_T4_T5_mT6_T7_P12ihipStream_tbENKUlT_T0_E_clISt17integral_constantIbLb1EES12_IbLb0EEEEDaSY_SZ_EUlSY_E_NS1_11comp_targetILNS1_3genE10ELNS1_11target_archE1201ELNS1_3gpuE5ELNS1_3repE0EEENS1_30default_config_static_selectorELNS0_4arch9wavefront6targetE0EEEvT1_,@function
_ZN7rocprim17ROCPRIM_400000_NS6detail17trampoline_kernelINS0_14default_configENS1_27scan_by_key_config_selectorIijEEZZNS1_16scan_by_key_implILNS1_25lookback_scan_determinismE0ELb0ES3_N6thrust23THRUST_200600_302600_NS6detail15normal_iteratorINS9_10device_ptrIiEEEENSB_INSC_IjEEEENSB_INSC_IfEEEEjNS9_4plusIvEENS9_8equal_toIvEEjEE10hipError_tPvRmT2_T3_T4_T5_mT6_T7_P12ihipStream_tbENKUlT_T0_E_clISt17integral_constantIbLb1EES12_IbLb0EEEEDaSY_SZ_EUlSY_E_NS1_11comp_targetILNS1_3genE10ELNS1_11target_archE1201ELNS1_3gpuE5ELNS1_3repE0EEENS1_30default_config_static_selectorELNS0_4arch9wavefront6targetE0EEEvT1_: ; @_ZN7rocprim17ROCPRIM_400000_NS6detail17trampoline_kernelINS0_14default_configENS1_27scan_by_key_config_selectorIijEEZZNS1_16scan_by_key_implILNS1_25lookback_scan_determinismE0ELb0ES3_N6thrust23THRUST_200600_302600_NS6detail15normal_iteratorINS9_10device_ptrIiEEEENSB_INSC_IjEEEENSB_INSC_IfEEEEjNS9_4plusIvEENS9_8equal_toIvEEjEE10hipError_tPvRmT2_T3_T4_T5_mT6_T7_P12ihipStream_tbENKUlT_T0_E_clISt17integral_constantIbLb1EES12_IbLb0EEEEDaSY_SZ_EUlSY_E_NS1_11comp_targetILNS1_3genE10ELNS1_11target_archE1201ELNS1_3gpuE5ELNS1_3repE0EEENS1_30default_config_static_selectorELNS0_4arch9wavefront6targetE0EEEvT1_
; %bb.0:
	.section	.rodata,"a",@progbits
	.p2align	6, 0x0
	.amdhsa_kernel _ZN7rocprim17ROCPRIM_400000_NS6detail17trampoline_kernelINS0_14default_configENS1_27scan_by_key_config_selectorIijEEZZNS1_16scan_by_key_implILNS1_25lookback_scan_determinismE0ELb0ES3_N6thrust23THRUST_200600_302600_NS6detail15normal_iteratorINS9_10device_ptrIiEEEENSB_INSC_IjEEEENSB_INSC_IfEEEEjNS9_4plusIvEENS9_8equal_toIvEEjEE10hipError_tPvRmT2_T3_T4_T5_mT6_T7_P12ihipStream_tbENKUlT_T0_E_clISt17integral_constantIbLb1EES12_IbLb0EEEEDaSY_SZ_EUlSY_E_NS1_11comp_targetILNS1_3genE10ELNS1_11target_archE1201ELNS1_3gpuE5ELNS1_3repE0EEENS1_30default_config_static_selectorELNS0_4arch9wavefront6targetE0EEEvT1_
		.amdhsa_group_segment_fixed_size 0
		.amdhsa_private_segment_fixed_size 0
		.amdhsa_kernarg_size 112
		.amdhsa_user_sgpr_count 2
		.amdhsa_user_sgpr_dispatch_ptr 0
		.amdhsa_user_sgpr_queue_ptr 0
		.amdhsa_user_sgpr_kernarg_segment_ptr 1
		.amdhsa_user_sgpr_dispatch_id 0
		.amdhsa_user_sgpr_kernarg_preload_length 0
		.amdhsa_user_sgpr_kernarg_preload_offset 0
		.amdhsa_user_sgpr_private_segment_size 0
		.amdhsa_wavefront_size32 1
		.amdhsa_uses_dynamic_stack 0
		.amdhsa_enable_private_segment 0
		.amdhsa_system_sgpr_workgroup_id_x 1
		.amdhsa_system_sgpr_workgroup_id_y 0
		.amdhsa_system_sgpr_workgroup_id_z 0
		.amdhsa_system_sgpr_workgroup_info 0
		.amdhsa_system_vgpr_workitem_id 0
		.amdhsa_next_free_vgpr 1
		.amdhsa_next_free_sgpr 1
		.amdhsa_named_barrier_count 0
		.amdhsa_reserve_vcc 0
		.amdhsa_float_round_mode_32 0
		.amdhsa_float_round_mode_16_64 0
		.amdhsa_float_denorm_mode_32 3
		.amdhsa_float_denorm_mode_16_64 3
		.amdhsa_fp16_overflow 0
		.amdhsa_memory_ordered 1
		.amdhsa_forward_progress 1
		.amdhsa_inst_pref_size 0
		.amdhsa_round_robin_scheduling 0
		.amdhsa_exception_fp_ieee_invalid_op 0
		.amdhsa_exception_fp_denorm_src 0
		.amdhsa_exception_fp_ieee_div_zero 0
		.amdhsa_exception_fp_ieee_overflow 0
		.amdhsa_exception_fp_ieee_underflow 0
		.amdhsa_exception_fp_ieee_inexact 0
		.amdhsa_exception_int_div_zero 0
	.end_amdhsa_kernel
	.section	.text._ZN7rocprim17ROCPRIM_400000_NS6detail17trampoline_kernelINS0_14default_configENS1_27scan_by_key_config_selectorIijEEZZNS1_16scan_by_key_implILNS1_25lookback_scan_determinismE0ELb0ES3_N6thrust23THRUST_200600_302600_NS6detail15normal_iteratorINS9_10device_ptrIiEEEENSB_INSC_IjEEEENSB_INSC_IfEEEEjNS9_4plusIvEENS9_8equal_toIvEEjEE10hipError_tPvRmT2_T3_T4_T5_mT6_T7_P12ihipStream_tbENKUlT_T0_E_clISt17integral_constantIbLb1EES12_IbLb0EEEEDaSY_SZ_EUlSY_E_NS1_11comp_targetILNS1_3genE10ELNS1_11target_archE1201ELNS1_3gpuE5ELNS1_3repE0EEENS1_30default_config_static_selectorELNS0_4arch9wavefront6targetE0EEEvT1_,"axG",@progbits,_ZN7rocprim17ROCPRIM_400000_NS6detail17trampoline_kernelINS0_14default_configENS1_27scan_by_key_config_selectorIijEEZZNS1_16scan_by_key_implILNS1_25lookback_scan_determinismE0ELb0ES3_N6thrust23THRUST_200600_302600_NS6detail15normal_iteratorINS9_10device_ptrIiEEEENSB_INSC_IjEEEENSB_INSC_IfEEEEjNS9_4plusIvEENS9_8equal_toIvEEjEE10hipError_tPvRmT2_T3_T4_T5_mT6_T7_P12ihipStream_tbENKUlT_T0_E_clISt17integral_constantIbLb1EES12_IbLb0EEEEDaSY_SZ_EUlSY_E_NS1_11comp_targetILNS1_3genE10ELNS1_11target_archE1201ELNS1_3gpuE5ELNS1_3repE0EEENS1_30default_config_static_selectorELNS0_4arch9wavefront6targetE0EEEvT1_,comdat
.Lfunc_end1663:
	.size	_ZN7rocprim17ROCPRIM_400000_NS6detail17trampoline_kernelINS0_14default_configENS1_27scan_by_key_config_selectorIijEEZZNS1_16scan_by_key_implILNS1_25lookback_scan_determinismE0ELb0ES3_N6thrust23THRUST_200600_302600_NS6detail15normal_iteratorINS9_10device_ptrIiEEEENSB_INSC_IjEEEENSB_INSC_IfEEEEjNS9_4plusIvEENS9_8equal_toIvEEjEE10hipError_tPvRmT2_T3_T4_T5_mT6_T7_P12ihipStream_tbENKUlT_T0_E_clISt17integral_constantIbLb1EES12_IbLb0EEEEDaSY_SZ_EUlSY_E_NS1_11comp_targetILNS1_3genE10ELNS1_11target_archE1201ELNS1_3gpuE5ELNS1_3repE0EEENS1_30default_config_static_selectorELNS0_4arch9wavefront6targetE0EEEvT1_, .Lfunc_end1663-_ZN7rocprim17ROCPRIM_400000_NS6detail17trampoline_kernelINS0_14default_configENS1_27scan_by_key_config_selectorIijEEZZNS1_16scan_by_key_implILNS1_25lookback_scan_determinismE0ELb0ES3_N6thrust23THRUST_200600_302600_NS6detail15normal_iteratorINS9_10device_ptrIiEEEENSB_INSC_IjEEEENSB_INSC_IfEEEEjNS9_4plusIvEENS9_8equal_toIvEEjEE10hipError_tPvRmT2_T3_T4_T5_mT6_T7_P12ihipStream_tbENKUlT_T0_E_clISt17integral_constantIbLb1EES12_IbLb0EEEEDaSY_SZ_EUlSY_E_NS1_11comp_targetILNS1_3genE10ELNS1_11target_archE1201ELNS1_3gpuE5ELNS1_3repE0EEENS1_30default_config_static_selectorELNS0_4arch9wavefront6targetE0EEEvT1_
                                        ; -- End function
	.set _ZN7rocprim17ROCPRIM_400000_NS6detail17trampoline_kernelINS0_14default_configENS1_27scan_by_key_config_selectorIijEEZZNS1_16scan_by_key_implILNS1_25lookback_scan_determinismE0ELb0ES3_N6thrust23THRUST_200600_302600_NS6detail15normal_iteratorINS9_10device_ptrIiEEEENSB_INSC_IjEEEENSB_INSC_IfEEEEjNS9_4plusIvEENS9_8equal_toIvEEjEE10hipError_tPvRmT2_T3_T4_T5_mT6_T7_P12ihipStream_tbENKUlT_T0_E_clISt17integral_constantIbLb1EES12_IbLb0EEEEDaSY_SZ_EUlSY_E_NS1_11comp_targetILNS1_3genE10ELNS1_11target_archE1201ELNS1_3gpuE5ELNS1_3repE0EEENS1_30default_config_static_selectorELNS0_4arch9wavefront6targetE0EEEvT1_.num_vgpr, 0
	.set _ZN7rocprim17ROCPRIM_400000_NS6detail17trampoline_kernelINS0_14default_configENS1_27scan_by_key_config_selectorIijEEZZNS1_16scan_by_key_implILNS1_25lookback_scan_determinismE0ELb0ES3_N6thrust23THRUST_200600_302600_NS6detail15normal_iteratorINS9_10device_ptrIiEEEENSB_INSC_IjEEEENSB_INSC_IfEEEEjNS9_4plusIvEENS9_8equal_toIvEEjEE10hipError_tPvRmT2_T3_T4_T5_mT6_T7_P12ihipStream_tbENKUlT_T0_E_clISt17integral_constantIbLb1EES12_IbLb0EEEEDaSY_SZ_EUlSY_E_NS1_11comp_targetILNS1_3genE10ELNS1_11target_archE1201ELNS1_3gpuE5ELNS1_3repE0EEENS1_30default_config_static_selectorELNS0_4arch9wavefront6targetE0EEEvT1_.num_agpr, 0
	.set _ZN7rocprim17ROCPRIM_400000_NS6detail17trampoline_kernelINS0_14default_configENS1_27scan_by_key_config_selectorIijEEZZNS1_16scan_by_key_implILNS1_25lookback_scan_determinismE0ELb0ES3_N6thrust23THRUST_200600_302600_NS6detail15normal_iteratorINS9_10device_ptrIiEEEENSB_INSC_IjEEEENSB_INSC_IfEEEEjNS9_4plusIvEENS9_8equal_toIvEEjEE10hipError_tPvRmT2_T3_T4_T5_mT6_T7_P12ihipStream_tbENKUlT_T0_E_clISt17integral_constantIbLb1EES12_IbLb0EEEEDaSY_SZ_EUlSY_E_NS1_11comp_targetILNS1_3genE10ELNS1_11target_archE1201ELNS1_3gpuE5ELNS1_3repE0EEENS1_30default_config_static_selectorELNS0_4arch9wavefront6targetE0EEEvT1_.numbered_sgpr, 0
	.set _ZN7rocprim17ROCPRIM_400000_NS6detail17trampoline_kernelINS0_14default_configENS1_27scan_by_key_config_selectorIijEEZZNS1_16scan_by_key_implILNS1_25lookback_scan_determinismE0ELb0ES3_N6thrust23THRUST_200600_302600_NS6detail15normal_iteratorINS9_10device_ptrIiEEEENSB_INSC_IjEEEENSB_INSC_IfEEEEjNS9_4plusIvEENS9_8equal_toIvEEjEE10hipError_tPvRmT2_T3_T4_T5_mT6_T7_P12ihipStream_tbENKUlT_T0_E_clISt17integral_constantIbLb1EES12_IbLb0EEEEDaSY_SZ_EUlSY_E_NS1_11comp_targetILNS1_3genE10ELNS1_11target_archE1201ELNS1_3gpuE5ELNS1_3repE0EEENS1_30default_config_static_selectorELNS0_4arch9wavefront6targetE0EEEvT1_.num_named_barrier, 0
	.set _ZN7rocprim17ROCPRIM_400000_NS6detail17trampoline_kernelINS0_14default_configENS1_27scan_by_key_config_selectorIijEEZZNS1_16scan_by_key_implILNS1_25lookback_scan_determinismE0ELb0ES3_N6thrust23THRUST_200600_302600_NS6detail15normal_iteratorINS9_10device_ptrIiEEEENSB_INSC_IjEEEENSB_INSC_IfEEEEjNS9_4plusIvEENS9_8equal_toIvEEjEE10hipError_tPvRmT2_T3_T4_T5_mT6_T7_P12ihipStream_tbENKUlT_T0_E_clISt17integral_constantIbLb1EES12_IbLb0EEEEDaSY_SZ_EUlSY_E_NS1_11comp_targetILNS1_3genE10ELNS1_11target_archE1201ELNS1_3gpuE5ELNS1_3repE0EEENS1_30default_config_static_selectorELNS0_4arch9wavefront6targetE0EEEvT1_.private_seg_size, 0
	.set _ZN7rocprim17ROCPRIM_400000_NS6detail17trampoline_kernelINS0_14default_configENS1_27scan_by_key_config_selectorIijEEZZNS1_16scan_by_key_implILNS1_25lookback_scan_determinismE0ELb0ES3_N6thrust23THRUST_200600_302600_NS6detail15normal_iteratorINS9_10device_ptrIiEEEENSB_INSC_IjEEEENSB_INSC_IfEEEEjNS9_4plusIvEENS9_8equal_toIvEEjEE10hipError_tPvRmT2_T3_T4_T5_mT6_T7_P12ihipStream_tbENKUlT_T0_E_clISt17integral_constantIbLb1EES12_IbLb0EEEEDaSY_SZ_EUlSY_E_NS1_11comp_targetILNS1_3genE10ELNS1_11target_archE1201ELNS1_3gpuE5ELNS1_3repE0EEENS1_30default_config_static_selectorELNS0_4arch9wavefront6targetE0EEEvT1_.uses_vcc, 0
	.set _ZN7rocprim17ROCPRIM_400000_NS6detail17trampoline_kernelINS0_14default_configENS1_27scan_by_key_config_selectorIijEEZZNS1_16scan_by_key_implILNS1_25lookback_scan_determinismE0ELb0ES3_N6thrust23THRUST_200600_302600_NS6detail15normal_iteratorINS9_10device_ptrIiEEEENSB_INSC_IjEEEENSB_INSC_IfEEEEjNS9_4plusIvEENS9_8equal_toIvEEjEE10hipError_tPvRmT2_T3_T4_T5_mT6_T7_P12ihipStream_tbENKUlT_T0_E_clISt17integral_constantIbLb1EES12_IbLb0EEEEDaSY_SZ_EUlSY_E_NS1_11comp_targetILNS1_3genE10ELNS1_11target_archE1201ELNS1_3gpuE5ELNS1_3repE0EEENS1_30default_config_static_selectorELNS0_4arch9wavefront6targetE0EEEvT1_.uses_flat_scratch, 0
	.set _ZN7rocprim17ROCPRIM_400000_NS6detail17trampoline_kernelINS0_14default_configENS1_27scan_by_key_config_selectorIijEEZZNS1_16scan_by_key_implILNS1_25lookback_scan_determinismE0ELb0ES3_N6thrust23THRUST_200600_302600_NS6detail15normal_iteratorINS9_10device_ptrIiEEEENSB_INSC_IjEEEENSB_INSC_IfEEEEjNS9_4plusIvEENS9_8equal_toIvEEjEE10hipError_tPvRmT2_T3_T4_T5_mT6_T7_P12ihipStream_tbENKUlT_T0_E_clISt17integral_constantIbLb1EES12_IbLb0EEEEDaSY_SZ_EUlSY_E_NS1_11comp_targetILNS1_3genE10ELNS1_11target_archE1201ELNS1_3gpuE5ELNS1_3repE0EEENS1_30default_config_static_selectorELNS0_4arch9wavefront6targetE0EEEvT1_.has_dyn_sized_stack, 0
	.set _ZN7rocprim17ROCPRIM_400000_NS6detail17trampoline_kernelINS0_14default_configENS1_27scan_by_key_config_selectorIijEEZZNS1_16scan_by_key_implILNS1_25lookback_scan_determinismE0ELb0ES3_N6thrust23THRUST_200600_302600_NS6detail15normal_iteratorINS9_10device_ptrIiEEEENSB_INSC_IjEEEENSB_INSC_IfEEEEjNS9_4plusIvEENS9_8equal_toIvEEjEE10hipError_tPvRmT2_T3_T4_T5_mT6_T7_P12ihipStream_tbENKUlT_T0_E_clISt17integral_constantIbLb1EES12_IbLb0EEEEDaSY_SZ_EUlSY_E_NS1_11comp_targetILNS1_3genE10ELNS1_11target_archE1201ELNS1_3gpuE5ELNS1_3repE0EEENS1_30default_config_static_selectorELNS0_4arch9wavefront6targetE0EEEvT1_.has_recursion, 0
	.set _ZN7rocprim17ROCPRIM_400000_NS6detail17trampoline_kernelINS0_14default_configENS1_27scan_by_key_config_selectorIijEEZZNS1_16scan_by_key_implILNS1_25lookback_scan_determinismE0ELb0ES3_N6thrust23THRUST_200600_302600_NS6detail15normal_iteratorINS9_10device_ptrIiEEEENSB_INSC_IjEEEENSB_INSC_IfEEEEjNS9_4plusIvEENS9_8equal_toIvEEjEE10hipError_tPvRmT2_T3_T4_T5_mT6_T7_P12ihipStream_tbENKUlT_T0_E_clISt17integral_constantIbLb1EES12_IbLb0EEEEDaSY_SZ_EUlSY_E_NS1_11comp_targetILNS1_3genE10ELNS1_11target_archE1201ELNS1_3gpuE5ELNS1_3repE0EEENS1_30default_config_static_selectorELNS0_4arch9wavefront6targetE0EEEvT1_.has_indirect_call, 0
	.section	.AMDGPU.csdata,"",@progbits
; Kernel info:
; codeLenInByte = 0
; TotalNumSgprs: 0
; NumVgprs: 0
; ScratchSize: 0
; MemoryBound: 0
; FloatMode: 240
; IeeeMode: 1
; LDSByteSize: 0 bytes/workgroup (compile time only)
; SGPRBlocks: 0
; VGPRBlocks: 0
; NumSGPRsForWavesPerEU: 1
; NumVGPRsForWavesPerEU: 1
; NamedBarCnt: 0
; Occupancy: 16
; WaveLimiterHint : 0
; COMPUTE_PGM_RSRC2:SCRATCH_EN: 0
; COMPUTE_PGM_RSRC2:USER_SGPR: 2
; COMPUTE_PGM_RSRC2:TRAP_HANDLER: 0
; COMPUTE_PGM_RSRC2:TGID_X_EN: 1
; COMPUTE_PGM_RSRC2:TGID_Y_EN: 0
; COMPUTE_PGM_RSRC2:TGID_Z_EN: 0
; COMPUTE_PGM_RSRC2:TIDIG_COMP_CNT: 0
	.section	.text._ZN7rocprim17ROCPRIM_400000_NS6detail17trampoline_kernelINS0_14default_configENS1_27scan_by_key_config_selectorIijEEZZNS1_16scan_by_key_implILNS1_25lookback_scan_determinismE0ELb0ES3_N6thrust23THRUST_200600_302600_NS6detail15normal_iteratorINS9_10device_ptrIiEEEENSB_INSC_IjEEEENSB_INSC_IfEEEEjNS9_4plusIvEENS9_8equal_toIvEEjEE10hipError_tPvRmT2_T3_T4_T5_mT6_T7_P12ihipStream_tbENKUlT_T0_E_clISt17integral_constantIbLb1EES12_IbLb0EEEEDaSY_SZ_EUlSY_E_NS1_11comp_targetILNS1_3genE5ELNS1_11target_archE942ELNS1_3gpuE9ELNS1_3repE0EEENS1_30default_config_static_selectorELNS0_4arch9wavefront6targetE0EEEvT1_,"axG",@progbits,_ZN7rocprim17ROCPRIM_400000_NS6detail17trampoline_kernelINS0_14default_configENS1_27scan_by_key_config_selectorIijEEZZNS1_16scan_by_key_implILNS1_25lookback_scan_determinismE0ELb0ES3_N6thrust23THRUST_200600_302600_NS6detail15normal_iteratorINS9_10device_ptrIiEEEENSB_INSC_IjEEEENSB_INSC_IfEEEEjNS9_4plusIvEENS9_8equal_toIvEEjEE10hipError_tPvRmT2_T3_T4_T5_mT6_T7_P12ihipStream_tbENKUlT_T0_E_clISt17integral_constantIbLb1EES12_IbLb0EEEEDaSY_SZ_EUlSY_E_NS1_11comp_targetILNS1_3genE5ELNS1_11target_archE942ELNS1_3gpuE9ELNS1_3repE0EEENS1_30default_config_static_selectorELNS0_4arch9wavefront6targetE0EEEvT1_,comdat
	.protected	_ZN7rocprim17ROCPRIM_400000_NS6detail17trampoline_kernelINS0_14default_configENS1_27scan_by_key_config_selectorIijEEZZNS1_16scan_by_key_implILNS1_25lookback_scan_determinismE0ELb0ES3_N6thrust23THRUST_200600_302600_NS6detail15normal_iteratorINS9_10device_ptrIiEEEENSB_INSC_IjEEEENSB_INSC_IfEEEEjNS9_4plusIvEENS9_8equal_toIvEEjEE10hipError_tPvRmT2_T3_T4_T5_mT6_T7_P12ihipStream_tbENKUlT_T0_E_clISt17integral_constantIbLb1EES12_IbLb0EEEEDaSY_SZ_EUlSY_E_NS1_11comp_targetILNS1_3genE5ELNS1_11target_archE942ELNS1_3gpuE9ELNS1_3repE0EEENS1_30default_config_static_selectorELNS0_4arch9wavefront6targetE0EEEvT1_ ; -- Begin function _ZN7rocprim17ROCPRIM_400000_NS6detail17trampoline_kernelINS0_14default_configENS1_27scan_by_key_config_selectorIijEEZZNS1_16scan_by_key_implILNS1_25lookback_scan_determinismE0ELb0ES3_N6thrust23THRUST_200600_302600_NS6detail15normal_iteratorINS9_10device_ptrIiEEEENSB_INSC_IjEEEENSB_INSC_IfEEEEjNS9_4plusIvEENS9_8equal_toIvEEjEE10hipError_tPvRmT2_T3_T4_T5_mT6_T7_P12ihipStream_tbENKUlT_T0_E_clISt17integral_constantIbLb1EES12_IbLb0EEEEDaSY_SZ_EUlSY_E_NS1_11comp_targetILNS1_3genE5ELNS1_11target_archE942ELNS1_3gpuE9ELNS1_3repE0EEENS1_30default_config_static_selectorELNS0_4arch9wavefront6targetE0EEEvT1_
	.globl	_ZN7rocprim17ROCPRIM_400000_NS6detail17trampoline_kernelINS0_14default_configENS1_27scan_by_key_config_selectorIijEEZZNS1_16scan_by_key_implILNS1_25lookback_scan_determinismE0ELb0ES3_N6thrust23THRUST_200600_302600_NS6detail15normal_iteratorINS9_10device_ptrIiEEEENSB_INSC_IjEEEENSB_INSC_IfEEEEjNS9_4plusIvEENS9_8equal_toIvEEjEE10hipError_tPvRmT2_T3_T4_T5_mT6_T7_P12ihipStream_tbENKUlT_T0_E_clISt17integral_constantIbLb1EES12_IbLb0EEEEDaSY_SZ_EUlSY_E_NS1_11comp_targetILNS1_3genE5ELNS1_11target_archE942ELNS1_3gpuE9ELNS1_3repE0EEENS1_30default_config_static_selectorELNS0_4arch9wavefront6targetE0EEEvT1_
	.p2align	8
	.type	_ZN7rocprim17ROCPRIM_400000_NS6detail17trampoline_kernelINS0_14default_configENS1_27scan_by_key_config_selectorIijEEZZNS1_16scan_by_key_implILNS1_25lookback_scan_determinismE0ELb0ES3_N6thrust23THRUST_200600_302600_NS6detail15normal_iteratorINS9_10device_ptrIiEEEENSB_INSC_IjEEEENSB_INSC_IfEEEEjNS9_4plusIvEENS9_8equal_toIvEEjEE10hipError_tPvRmT2_T3_T4_T5_mT6_T7_P12ihipStream_tbENKUlT_T0_E_clISt17integral_constantIbLb1EES12_IbLb0EEEEDaSY_SZ_EUlSY_E_NS1_11comp_targetILNS1_3genE5ELNS1_11target_archE942ELNS1_3gpuE9ELNS1_3repE0EEENS1_30default_config_static_selectorELNS0_4arch9wavefront6targetE0EEEvT1_,@function
_ZN7rocprim17ROCPRIM_400000_NS6detail17trampoline_kernelINS0_14default_configENS1_27scan_by_key_config_selectorIijEEZZNS1_16scan_by_key_implILNS1_25lookback_scan_determinismE0ELb0ES3_N6thrust23THRUST_200600_302600_NS6detail15normal_iteratorINS9_10device_ptrIiEEEENSB_INSC_IjEEEENSB_INSC_IfEEEEjNS9_4plusIvEENS9_8equal_toIvEEjEE10hipError_tPvRmT2_T3_T4_T5_mT6_T7_P12ihipStream_tbENKUlT_T0_E_clISt17integral_constantIbLb1EES12_IbLb0EEEEDaSY_SZ_EUlSY_E_NS1_11comp_targetILNS1_3genE5ELNS1_11target_archE942ELNS1_3gpuE9ELNS1_3repE0EEENS1_30default_config_static_selectorELNS0_4arch9wavefront6targetE0EEEvT1_: ; @_ZN7rocprim17ROCPRIM_400000_NS6detail17trampoline_kernelINS0_14default_configENS1_27scan_by_key_config_selectorIijEEZZNS1_16scan_by_key_implILNS1_25lookback_scan_determinismE0ELb0ES3_N6thrust23THRUST_200600_302600_NS6detail15normal_iteratorINS9_10device_ptrIiEEEENSB_INSC_IjEEEENSB_INSC_IfEEEEjNS9_4plusIvEENS9_8equal_toIvEEjEE10hipError_tPvRmT2_T3_T4_T5_mT6_T7_P12ihipStream_tbENKUlT_T0_E_clISt17integral_constantIbLb1EES12_IbLb0EEEEDaSY_SZ_EUlSY_E_NS1_11comp_targetILNS1_3genE5ELNS1_11target_archE942ELNS1_3gpuE9ELNS1_3repE0EEENS1_30default_config_static_selectorELNS0_4arch9wavefront6targetE0EEEvT1_
; %bb.0:
	.section	.rodata,"a",@progbits
	.p2align	6, 0x0
	.amdhsa_kernel _ZN7rocprim17ROCPRIM_400000_NS6detail17trampoline_kernelINS0_14default_configENS1_27scan_by_key_config_selectorIijEEZZNS1_16scan_by_key_implILNS1_25lookback_scan_determinismE0ELb0ES3_N6thrust23THRUST_200600_302600_NS6detail15normal_iteratorINS9_10device_ptrIiEEEENSB_INSC_IjEEEENSB_INSC_IfEEEEjNS9_4plusIvEENS9_8equal_toIvEEjEE10hipError_tPvRmT2_T3_T4_T5_mT6_T7_P12ihipStream_tbENKUlT_T0_E_clISt17integral_constantIbLb1EES12_IbLb0EEEEDaSY_SZ_EUlSY_E_NS1_11comp_targetILNS1_3genE5ELNS1_11target_archE942ELNS1_3gpuE9ELNS1_3repE0EEENS1_30default_config_static_selectorELNS0_4arch9wavefront6targetE0EEEvT1_
		.amdhsa_group_segment_fixed_size 0
		.amdhsa_private_segment_fixed_size 0
		.amdhsa_kernarg_size 112
		.amdhsa_user_sgpr_count 2
		.amdhsa_user_sgpr_dispatch_ptr 0
		.amdhsa_user_sgpr_queue_ptr 0
		.amdhsa_user_sgpr_kernarg_segment_ptr 1
		.amdhsa_user_sgpr_dispatch_id 0
		.amdhsa_user_sgpr_kernarg_preload_length 0
		.amdhsa_user_sgpr_kernarg_preload_offset 0
		.amdhsa_user_sgpr_private_segment_size 0
		.amdhsa_wavefront_size32 1
		.amdhsa_uses_dynamic_stack 0
		.amdhsa_enable_private_segment 0
		.amdhsa_system_sgpr_workgroup_id_x 1
		.amdhsa_system_sgpr_workgroup_id_y 0
		.amdhsa_system_sgpr_workgroup_id_z 0
		.amdhsa_system_sgpr_workgroup_info 0
		.amdhsa_system_vgpr_workitem_id 0
		.amdhsa_next_free_vgpr 1
		.amdhsa_next_free_sgpr 1
		.amdhsa_named_barrier_count 0
		.amdhsa_reserve_vcc 0
		.amdhsa_float_round_mode_32 0
		.amdhsa_float_round_mode_16_64 0
		.amdhsa_float_denorm_mode_32 3
		.amdhsa_float_denorm_mode_16_64 3
		.amdhsa_fp16_overflow 0
		.amdhsa_memory_ordered 1
		.amdhsa_forward_progress 1
		.amdhsa_inst_pref_size 0
		.amdhsa_round_robin_scheduling 0
		.amdhsa_exception_fp_ieee_invalid_op 0
		.amdhsa_exception_fp_denorm_src 0
		.amdhsa_exception_fp_ieee_div_zero 0
		.amdhsa_exception_fp_ieee_overflow 0
		.amdhsa_exception_fp_ieee_underflow 0
		.amdhsa_exception_fp_ieee_inexact 0
		.amdhsa_exception_int_div_zero 0
	.end_amdhsa_kernel
	.section	.text._ZN7rocprim17ROCPRIM_400000_NS6detail17trampoline_kernelINS0_14default_configENS1_27scan_by_key_config_selectorIijEEZZNS1_16scan_by_key_implILNS1_25lookback_scan_determinismE0ELb0ES3_N6thrust23THRUST_200600_302600_NS6detail15normal_iteratorINS9_10device_ptrIiEEEENSB_INSC_IjEEEENSB_INSC_IfEEEEjNS9_4plusIvEENS9_8equal_toIvEEjEE10hipError_tPvRmT2_T3_T4_T5_mT6_T7_P12ihipStream_tbENKUlT_T0_E_clISt17integral_constantIbLb1EES12_IbLb0EEEEDaSY_SZ_EUlSY_E_NS1_11comp_targetILNS1_3genE5ELNS1_11target_archE942ELNS1_3gpuE9ELNS1_3repE0EEENS1_30default_config_static_selectorELNS0_4arch9wavefront6targetE0EEEvT1_,"axG",@progbits,_ZN7rocprim17ROCPRIM_400000_NS6detail17trampoline_kernelINS0_14default_configENS1_27scan_by_key_config_selectorIijEEZZNS1_16scan_by_key_implILNS1_25lookback_scan_determinismE0ELb0ES3_N6thrust23THRUST_200600_302600_NS6detail15normal_iteratorINS9_10device_ptrIiEEEENSB_INSC_IjEEEENSB_INSC_IfEEEEjNS9_4plusIvEENS9_8equal_toIvEEjEE10hipError_tPvRmT2_T3_T4_T5_mT6_T7_P12ihipStream_tbENKUlT_T0_E_clISt17integral_constantIbLb1EES12_IbLb0EEEEDaSY_SZ_EUlSY_E_NS1_11comp_targetILNS1_3genE5ELNS1_11target_archE942ELNS1_3gpuE9ELNS1_3repE0EEENS1_30default_config_static_selectorELNS0_4arch9wavefront6targetE0EEEvT1_,comdat
.Lfunc_end1664:
	.size	_ZN7rocprim17ROCPRIM_400000_NS6detail17trampoline_kernelINS0_14default_configENS1_27scan_by_key_config_selectorIijEEZZNS1_16scan_by_key_implILNS1_25lookback_scan_determinismE0ELb0ES3_N6thrust23THRUST_200600_302600_NS6detail15normal_iteratorINS9_10device_ptrIiEEEENSB_INSC_IjEEEENSB_INSC_IfEEEEjNS9_4plusIvEENS9_8equal_toIvEEjEE10hipError_tPvRmT2_T3_T4_T5_mT6_T7_P12ihipStream_tbENKUlT_T0_E_clISt17integral_constantIbLb1EES12_IbLb0EEEEDaSY_SZ_EUlSY_E_NS1_11comp_targetILNS1_3genE5ELNS1_11target_archE942ELNS1_3gpuE9ELNS1_3repE0EEENS1_30default_config_static_selectorELNS0_4arch9wavefront6targetE0EEEvT1_, .Lfunc_end1664-_ZN7rocprim17ROCPRIM_400000_NS6detail17trampoline_kernelINS0_14default_configENS1_27scan_by_key_config_selectorIijEEZZNS1_16scan_by_key_implILNS1_25lookback_scan_determinismE0ELb0ES3_N6thrust23THRUST_200600_302600_NS6detail15normal_iteratorINS9_10device_ptrIiEEEENSB_INSC_IjEEEENSB_INSC_IfEEEEjNS9_4plusIvEENS9_8equal_toIvEEjEE10hipError_tPvRmT2_T3_T4_T5_mT6_T7_P12ihipStream_tbENKUlT_T0_E_clISt17integral_constantIbLb1EES12_IbLb0EEEEDaSY_SZ_EUlSY_E_NS1_11comp_targetILNS1_3genE5ELNS1_11target_archE942ELNS1_3gpuE9ELNS1_3repE0EEENS1_30default_config_static_selectorELNS0_4arch9wavefront6targetE0EEEvT1_
                                        ; -- End function
	.set _ZN7rocprim17ROCPRIM_400000_NS6detail17trampoline_kernelINS0_14default_configENS1_27scan_by_key_config_selectorIijEEZZNS1_16scan_by_key_implILNS1_25lookback_scan_determinismE0ELb0ES3_N6thrust23THRUST_200600_302600_NS6detail15normal_iteratorINS9_10device_ptrIiEEEENSB_INSC_IjEEEENSB_INSC_IfEEEEjNS9_4plusIvEENS9_8equal_toIvEEjEE10hipError_tPvRmT2_T3_T4_T5_mT6_T7_P12ihipStream_tbENKUlT_T0_E_clISt17integral_constantIbLb1EES12_IbLb0EEEEDaSY_SZ_EUlSY_E_NS1_11comp_targetILNS1_3genE5ELNS1_11target_archE942ELNS1_3gpuE9ELNS1_3repE0EEENS1_30default_config_static_selectorELNS0_4arch9wavefront6targetE0EEEvT1_.num_vgpr, 0
	.set _ZN7rocprim17ROCPRIM_400000_NS6detail17trampoline_kernelINS0_14default_configENS1_27scan_by_key_config_selectorIijEEZZNS1_16scan_by_key_implILNS1_25lookback_scan_determinismE0ELb0ES3_N6thrust23THRUST_200600_302600_NS6detail15normal_iteratorINS9_10device_ptrIiEEEENSB_INSC_IjEEEENSB_INSC_IfEEEEjNS9_4plusIvEENS9_8equal_toIvEEjEE10hipError_tPvRmT2_T3_T4_T5_mT6_T7_P12ihipStream_tbENKUlT_T0_E_clISt17integral_constantIbLb1EES12_IbLb0EEEEDaSY_SZ_EUlSY_E_NS1_11comp_targetILNS1_3genE5ELNS1_11target_archE942ELNS1_3gpuE9ELNS1_3repE0EEENS1_30default_config_static_selectorELNS0_4arch9wavefront6targetE0EEEvT1_.num_agpr, 0
	.set _ZN7rocprim17ROCPRIM_400000_NS6detail17trampoline_kernelINS0_14default_configENS1_27scan_by_key_config_selectorIijEEZZNS1_16scan_by_key_implILNS1_25lookback_scan_determinismE0ELb0ES3_N6thrust23THRUST_200600_302600_NS6detail15normal_iteratorINS9_10device_ptrIiEEEENSB_INSC_IjEEEENSB_INSC_IfEEEEjNS9_4plusIvEENS9_8equal_toIvEEjEE10hipError_tPvRmT2_T3_T4_T5_mT6_T7_P12ihipStream_tbENKUlT_T0_E_clISt17integral_constantIbLb1EES12_IbLb0EEEEDaSY_SZ_EUlSY_E_NS1_11comp_targetILNS1_3genE5ELNS1_11target_archE942ELNS1_3gpuE9ELNS1_3repE0EEENS1_30default_config_static_selectorELNS0_4arch9wavefront6targetE0EEEvT1_.numbered_sgpr, 0
	.set _ZN7rocprim17ROCPRIM_400000_NS6detail17trampoline_kernelINS0_14default_configENS1_27scan_by_key_config_selectorIijEEZZNS1_16scan_by_key_implILNS1_25lookback_scan_determinismE0ELb0ES3_N6thrust23THRUST_200600_302600_NS6detail15normal_iteratorINS9_10device_ptrIiEEEENSB_INSC_IjEEEENSB_INSC_IfEEEEjNS9_4plusIvEENS9_8equal_toIvEEjEE10hipError_tPvRmT2_T3_T4_T5_mT6_T7_P12ihipStream_tbENKUlT_T0_E_clISt17integral_constantIbLb1EES12_IbLb0EEEEDaSY_SZ_EUlSY_E_NS1_11comp_targetILNS1_3genE5ELNS1_11target_archE942ELNS1_3gpuE9ELNS1_3repE0EEENS1_30default_config_static_selectorELNS0_4arch9wavefront6targetE0EEEvT1_.num_named_barrier, 0
	.set _ZN7rocprim17ROCPRIM_400000_NS6detail17trampoline_kernelINS0_14default_configENS1_27scan_by_key_config_selectorIijEEZZNS1_16scan_by_key_implILNS1_25lookback_scan_determinismE0ELb0ES3_N6thrust23THRUST_200600_302600_NS6detail15normal_iteratorINS9_10device_ptrIiEEEENSB_INSC_IjEEEENSB_INSC_IfEEEEjNS9_4plusIvEENS9_8equal_toIvEEjEE10hipError_tPvRmT2_T3_T4_T5_mT6_T7_P12ihipStream_tbENKUlT_T0_E_clISt17integral_constantIbLb1EES12_IbLb0EEEEDaSY_SZ_EUlSY_E_NS1_11comp_targetILNS1_3genE5ELNS1_11target_archE942ELNS1_3gpuE9ELNS1_3repE0EEENS1_30default_config_static_selectorELNS0_4arch9wavefront6targetE0EEEvT1_.private_seg_size, 0
	.set _ZN7rocprim17ROCPRIM_400000_NS6detail17trampoline_kernelINS0_14default_configENS1_27scan_by_key_config_selectorIijEEZZNS1_16scan_by_key_implILNS1_25lookback_scan_determinismE0ELb0ES3_N6thrust23THRUST_200600_302600_NS6detail15normal_iteratorINS9_10device_ptrIiEEEENSB_INSC_IjEEEENSB_INSC_IfEEEEjNS9_4plusIvEENS9_8equal_toIvEEjEE10hipError_tPvRmT2_T3_T4_T5_mT6_T7_P12ihipStream_tbENKUlT_T0_E_clISt17integral_constantIbLb1EES12_IbLb0EEEEDaSY_SZ_EUlSY_E_NS1_11comp_targetILNS1_3genE5ELNS1_11target_archE942ELNS1_3gpuE9ELNS1_3repE0EEENS1_30default_config_static_selectorELNS0_4arch9wavefront6targetE0EEEvT1_.uses_vcc, 0
	.set _ZN7rocprim17ROCPRIM_400000_NS6detail17trampoline_kernelINS0_14default_configENS1_27scan_by_key_config_selectorIijEEZZNS1_16scan_by_key_implILNS1_25lookback_scan_determinismE0ELb0ES3_N6thrust23THRUST_200600_302600_NS6detail15normal_iteratorINS9_10device_ptrIiEEEENSB_INSC_IjEEEENSB_INSC_IfEEEEjNS9_4plusIvEENS9_8equal_toIvEEjEE10hipError_tPvRmT2_T3_T4_T5_mT6_T7_P12ihipStream_tbENKUlT_T0_E_clISt17integral_constantIbLb1EES12_IbLb0EEEEDaSY_SZ_EUlSY_E_NS1_11comp_targetILNS1_3genE5ELNS1_11target_archE942ELNS1_3gpuE9ELNS1_3repE0EEENS1_30default_config_static_selectorELNS0_4arch9wavefront6targetE0EEEvT1_.uses_flat_scratch, 0
	.set _ZN7rocprim17ROCPRIM_400000_NS6detail17trampoline_kernelINS0_14default_configENS1_27scan_by_key_config_selectorIijEEZZNS1_16scan_by_key_implILNS1_25lookback_scan_determinismE0ELb0ES3_N6thrust23THRUST_200600_302600_NS6detail15normal_iteratorINS9_10device_ptrIiEEEENSB_INSC_IjEEEENSB_INSC_IfEEEEjNS9_4plusIvEENS9_8equal_toIvEEjEE10hipError_tPvRmT2_T3_T4_T5_mT6_T7_P12ihipStream_tbENKUlT_T0_E_clISt17integral_constantIbLb1EES12_IbLb0EEEEDaSY_SZ_EUlSY_E_NS1_11comp_targetILNS1_3genE5ELNS1_11target_archE942ELNS1_3gpuE9ELNS1_3repE0EEENS1_30default_config_static_selectorELNS0_4arch9wavefront6targetE0EEEvT1_.has_dyn_sized_stack, 0
	.set _ZN7rocprim17ROCPRIM_400000_NS6detail17trampoline_kernelINS0_14default_configENS1_27scan_by_key_config_selectorIijEEZZNS1_16scan_by_key_implILNS1_25lookback_scan_determinismE0ELb0ES3_N6thrust23THRUST_200600_302600_NS6detail15normal_iteratorINS9_10device_ptrIiEEEENSB_INSC_IjEEEENSB_INSC_IfEEEEjNS9_4plusIvEENS9_8equal_toIvEEjEE10hipError_tPvRmT2_T3_T4_T5_mT6_T7_P12ihipStream_tbENKUlT_T0_E_clISt17integral_constantIbLb1EES12_IbLb0EEEEDaSY_SZ_EUlSY_E_NS1_11comp_targetILNS1_3genE5ELNS1_11target_archE942ELNS1_3gpuE9ELNS1_3repE0EEENS1_30default_config_static_selectorELNS0_4arch9wavefront6targetE0EEEvT1_.has_recursion, 0
	.set _ZN7rocprim17ROCPRIM_400000_NS6detail17trampoline_kernelINS0_14default_configENS1_27scan_by_key_config_selectorIijEEZZNS1_16scan_by_key_implILNS1_25lookback_scan_determinismE0ELb0ES3_N6thrust23THRUST_200600_302600_NS6detail15normal_iteratorINS9_10device_ptrIiEEEENSB_INSC_IjEEEENSB_INSC_IfEEEEjNS9_4plusIvEENS9_8equal_toIvEEjEE10hipError_tPvRmT2_T3_T4_T5_mT6_T7_P12ihipStream_tbENKUlT_T0_E_clISt17integral_constantIbLb1EES12_IbLb0EEEEDaSY_SZ_EUlSY_E_NS1_11comp_targetILNS1_3genE5ELNS1_11target_archE942ELNS1_3gpuE9ELNS1_3repE0EEENS1_30default_config_static_selectorELNS0_4arch9wavefront6targetE0EEEvT1_.has_indirect_call, 0
	.section	.AMDGPU.csdata,"",@progbits
; Kernel info:
; codeLenInByte = 0
; TotalNumSgprs: 0
; NumVgprs: 0
; ScratchSize: 0
; MemoryBound: 0
; FloatMode: 240
; IeeeMode: 1
; LDSByteSize: 0 bytes/workgroup (compile time only)
; SGPRBlocks: 0
; VGPRBlocks: 0
; NumSGPRsForWavesPerEU: 1
; NumVGPRsForWavesPerEU: 1
; NamedBarCnt: 0
; Occupancy: 16
; WaveLimiterHint : 0
; COMPUTE_PGM_RSRC2:SCRATCH_EN: 0
; COMPUTE_PGM_RSRC2:USER_SGPR: 2
; COMPUTE_PGM_RSRC2:TRAP_HANDLER: 0
; COMPUTE_PGM_RSRC2:TGID_X_EN: 1
; COMPUTE_PGM_RSRC2:TGID_Y_EN: 0
; COMPUTE_PGM_RSRC2:TGID_Z_EN: 0
; COMPUTE_PGM_RSRC2:TIDIG_COMP_CNT: 0
	.section	.text._ZN7rocprim17ROCPRIM_400000_NS6detail17trampoline_kernelINS0_14default_configENS1_27scan_by_key_config_selectorIijEEZZNS1_16scan_by_key_implILNS1_25lookback_scan_determinismE0ELb0ES3_N6thrust23THRUST_200600_302600_NS6detail15normal_iteratorINS9_10device_ptrIiEEEENSB_INSC_IjEEEENSB_INSC_IfEEEEjNS9_4plusIvEENS9_8equal_toIvEEjEE10hipError_tPvRmT2_T3_T4_T5_mT6_T7_P12ihipStream_tbENKUlT_T0_E_clISt17integral_constantIbLb1EES12_IbLb0EEEEDaSY_SZ_EUlSY_E_NS1_11comp_targetILNS1_3genE4ELNS1_11target_archE910ELNS1_3gpuE8ELNS1_3repE0EEENS1_30default_config_static_selectorELNS0_4arch9wavefront6targetE0EEEvT1_,"axG",@progbits,_ZN7rocprim17ROCPRIM_400000_NS6detail17trampoline_kernelINS0_14default_configENS1_27scan_by_key_config_selectorIijEEZZNS1_16scan_by_key_implILNS1_25lookback_scan_determinismE0ELb0ES3_N6thrust23THRUST_200600_302600_NS6detail15normal_iteratorINS9_10device_ptrIiEEEENSB_INSC_IjEEEENSB_INSC_IfEEEEjNS9_4plusIvEENS9_8equal_toIvEEjEE10hipError_tPvRmT2_T3_T4_T5_mT6_T7_P12ihipStream_tbENKUlT_T0_E_clISt17integral_constantIbLb1EES12_IbLb0EEEEDaSY_SZ_EUlSY_E_NS1_11comp_targetILNS1_3genE4ELNS1_11target_archE910ELNS1_3gpuE8ELNS1_3repE0EEENS1_30default_config_static_selectorELNS0_4arch9wavefront6targetE0EEEvT1_,comdat
	.protected	_ZN7rocprim17ROCPRIM_400000_NS6detail17trampoline_kernelINS0_14default_configENS1_27scan_by_key_config_selectorIijEEZZNS1_16scan_by_key_implILNS1_25lookback_scan_determinismE0ELb0ES3_N6thrust23THRUST_200600_302600_NS6detail15normal_iteratorINS9_10device_ptrIiEEEENSB_INSC_IjEEEENSB_INSC_IfEEEEjNS9_4plusIvEENS9_8equal_toIvEEjEE10hipError_tPvRmT2_T3_T4_T5_mT6_T7_P12ihipStream_tbENKUlT_T0_E_clISt17integral_constantIbLb1EES12_IbLb0EEEEDaSY_SZ_EUlSY_E_NS1_11comp_targetILNS1_3genE4ELNS1_11target_archE910ELNS1_3gpuE8ELNS1_3repE0EEENS1_30default_config_static_selectorELNS0_4arch9wavefront6targetE0EEEvT1_ ; -- Begin function _ZN7rocprim17ROCPRIM_400000_NS6detail17trampoline_kernelINS0_14default_configENS1_27scan_by_key_config_selectorIijEEZZNS1_16scan_by_key_implILNS1_25lookback_scan_determinismE0ELb0ES3_N6thrust23THRUST_200600_302600_NS6detail15normal_iteratorINS9_10device_ptrIiEEEENSB_INSC_IjEEEENSB_INSC_IfEEEEjNS9_4plusIvEENS9_8equal_toIvEEjEE10hipError_tPvRmT2_T3_T4_T5_mT6_T7_P12ihipStream_tbENKUlT_T0_E_clISt17integral_constantIbLb1EES12_IbLb0EEEEDaSY_SZ_EUlSY_E_NS1_11comp_targetILNS1_3genE4ELNS1_11target_archE910ELNS1_3gpuE8ELNS1_3repE0EEENS1_30default_config_static_selectorELNS0_4arch9wavefront6targetE0EEEvT1_
	.globl	_ZN7rocprim17ROCPRIM_400000_NS6detail17trampoline_kernelINS0_14default_configENS1_27scan_by_key_config_selectorIijEEZZNS1_16scan_by_key_implILNS1_25lookback_scan_determinismE0ELb0ES3_N6thrust23THRUST_200600_302600_NS6detail15normal_iteratorINS9_10device_ptrIiEEEENSB_INSC_IjEEEENSB_INSC_IfEEEEjNS9_4plusIvEENS9_8equal_toIvEEjEE10hipError_tPvRmT2_T3_T4_T5_mT6_T7_P12ihipStream_tbENKUlT_T0_E_clISt17integral_constantIbLb1EES12_IbLb0EEEEDaSY_SZ_EUlSY_E_NS1_11comp_targetILNS1_3genE4ELNS1_11target_archE910ELNS1_3gpuE8ELNS1_3repE0EEENS1_30default_config_static_selectorELNS0_4arch9wavefront6targetE0EEEvT1_
	.p2align	8
	.type	_ZN7rocprim17ROCPRIM_400000_NS6detail17trampoline_kernelINS0_14default_configENS1_27scan_by_key_config_selectorIijEEZZNS1_16scan_by_key_implILNS1_25lookback_scan_determinismE0ELb0ES3_N6thrust23THRUST_200600_302600_NS6detail15normal_iteratorINS9_10device_ptrIiEEEENSB_INSC_IjEEEENSB_INSC_IfEEEEjNS9_4plusIvEENS9_8equal_toIvEEjEE10hipError_tPvRmT2_T3_T4_T5_mT6_T7_P12ihipStream_tbENKUlT_T0_E_clISt17integral_constantIbLb1EES12_IbLb0EEEEDaSY_SZ_EUlSY_E_NS1_11comp_targetILNS1_3genE4ELNS1_11target_archE910ELNS1_3gpuE8ELNS1_3repE0EEENS1_30default_config_static_selectorELNS0_4arch9wavefront6targetE0EEEvT1_,@function
_ZN7rocprim17ROCPRIM_400000_NS6detail17trampoline_kernelINS0_14default_configENS1_27scan_by_key_config_selectorIijEEZZNS1_16scan_by_key_implILNS1_25lookback_scan_determinismE0ELb0ES3_N6thrust23THRUST_200600_302600_NS6detail15normal_iteratorINS9_10device_ptrIiEEEENSB_INSC_IjEEEENSB_INSC_IfEEEEjNS9_4plusIvEENS9_8equal_toIvEEjEE10hipError_tPvRmT2_T3_T4_T5_mT6_T7_P12ihipStream_tbENKUlT_T0_E_clISt17integral_constantIbLb1EES12_IbLb0EEEEDaSY_SZ_EUlSY_E_NS1_11comp_targetILNS1_3genE4ELNS1_11target_archE910ELNS1_3gpuE8ELNS1_3repE0EEENS1_30default_config_static_selectorELNS0_4arch9wavefront6targetE0EEEvT1_: ; @_ZN7rocprim17ROCPRIM_400000_NS6detail17trampoline_kernelINS0_14default_configENS1_27scan_by_key_config_selectorIijEEZZNS1_16scan_by_key_implILNS1_25lookback_scan_determinismE0ELb0ES3_N6thrust23THRUST_200600_302600_NS6detail15normal_iteratorINS9_10device_ptrIiEEEENSB_INSC_IjEEEENSB_INSC_IfEEEEjNS9_4plusIvEENS9_8equal_toIvEEjEE10hipError_tPvRmT2_T3_T4_T5_mT6_T7_P12ihipStream_tbENKUlT_T0_E_clISt17integral_constantIbLb1EES12_IbLb0EEEEDaSY_SZ_EUlSY_E_NS1_11comp_targetILNS1_3genE4ELNS1_11target_archE910ELNS1_3gpuE8ELNS1_3repE0EEENS1_30default_config_static_selectorELNS0_4arch9wavefront6targetE0EEEvT1_
; %bb.0:
	.section	.rodata,"a",@progbits
	.p2align	6, 0x0
	.amdhsa_kernel _ZN7rocprim17ROCPRIM_400000_NS6detail17trampoline_kernelINS0_14default_configENS1_27scan_by_key_config_selectorIijEEZZNS1_16scan_by_key_implILNS1_25lookback_scan_determinismE0ELb0ES3_N6thrust23THRUST_200600_302600_NS6detail15normal_iteratorINS9_10device_ptrIiEEEENSB_INSC_IjEEEENSB_INSC_IfEEEEjNS9_4plusIvEENS9_8equal_toIvEEjEE10hipError_tPvRmT2_T3_T4_T5_mT6_T7_P12ihipStream_tbENKUlT_T0_E_clISt17integral_constantIbLb1EES12_IbLb0EEEEDaSY_SZ_EUlSY_E_NS1_11comp_targetILNS1_3genE4ELNS1_11target_archE910ELNS1_3gpuE8ELNS1_3repE0EEENS1_30default_config_static_selectorELNS0_4arch9wavefront6targetE0EEEvT1_
		.amdhsa_group_segment_fixed_size 0
		.amdhsa_private_segment_fixed_size 0
		.amdhsa_kernarg_size 112
		.amdhsa_user_sgpr_count 2
		.amdhsa_user_sgpr_dispatch_ptr 0
		.amdhsa_user_sgpr_queue_ptr 0
		.amdhsa_user_sgpr_kernarg_segment_ptr 1
		.amdhsa_user_sgpr_dispatch_id 0
		.amdhsa_user_sgpr_kernarg_preload_length 0
		.amdhsa_user_sgpr_kernarg_preload_offset 0
		.amdhsa_user_sgpr_private_segment_size 0
		.amdhsa_wavefront_size32 1
		.amdhsa_uses_dynamic_stack 0
		.amdhsa_enable_private_segment 0
		.amdhsa_system_sgpr_workgroup_id_x 1
		.amdhsa_system_sgpr_workgroup_id_y 0
		.amdhsa_system_sgpr_workgroup_id_z 0
		.amdhsa_system_sgpr_workgroup_info 0
		.amdhsa_system_vgpr_workitem_id 0
		.amdhsa_next_free_vgpr 1
		.amdhsa_next_free_sgpr 1
		.amdhsa_named_barrier_count 0
		.amdhsa_reserve_vcc 0
		.amdhsa_float_round_mode_32 0
		.amdhsa_float_round_mode_16_64 0
		.amdhsa_float_denorm_mode_32 3
		.amdhsa_float_denorm_mode_16_64 3
		.amdhsa_fp16_overflow 0
		.amdhsa_memory_ordered 1
		.amdhsa_forward_progress 1
		.amdhsa_inst_pref_size 0
		.amdhsa_round_robin_scheduling 0
		.amdhsa_exception_fp_ieee_invalid_op 0
		.amdhsa_exception_fp_denorm_src 0
		.amdhsa_exception_fp_ieee_div_zero 0
		.amdhsa_exception_fp_ieee_overflow 0
		.amdhsa_exception_fp_ieee_underflow 0
		.amdhsa_exception_fp_ieee_inexact 0
		.amdhsa_exception_int_div_zero 0
	.end_amdhsa_kernel
	.section	.text._ZN7rocprim17ROCPRIM_400000_NS6detail17trampoline_kernelINS0_14default_configENS1_27scan_by_key_config_selectorIijEEZZNS1_16scan_by_key_implILNS1_25lookback_scan_determinismE0ELb0ES3_N6thrust23THRUST_200600_302600_NS6detail15normal_iteratorINS9_10device_ptrIiEEEENSB_INSC_IjEEEENSB_INSC_IfEEEEjNS9_4plusIvEENS9_8equal_toIvEEjEE10hipError_tPvRmT2_T3_T4_T5_mT6_T7_P12ihipStream_tbENKUlT_T0_E_clISt17integral_constantIbLb1EES12_IbLb0EEEEDaSY_SZ_EUlSY_E_NS1_11comp_targetILNS1_3genE4ELNS1_11target_archE910ELNS1_3gpuE8ELNS1_3repE0EEENS1_30default_config_static_selectorELNS0_4arch9wavefront6targetE0EEEvT1_,"axG",@progbits,_ZN7rocprim17ROCPRIM_400000_NS6detail17trampoline_kernelINS0_14default_configENS1_27scan_by_key_config_selectorIijEEZZNS1_16scan_by_key_implILNS1_25lookback_scan_determinismE0ELb0ES3_N6thrust23THRUST_200600_302600_NS6detail15normal_iteratorINS9_10device_ptrIiEEEENSB_INSC_IjEEEENSB_INSC_IfEEEEjNS9_4plusIvEENS9_8equal_toIvEEjEE10hipError_tPvRmT2_T3_T4_T5_mT6_T7_P12ihipStream_tbENKUlT_T0_E_clISt17integral_constantIbLb1EES12_IbLb0EEEEDaSY_SZ_EUlSY_E_NS1_11comp_targetILNS1_3genE4ELNS1_11target_archE910ELNS1_3gpuE8ELNS1_3repE0EEENS1_30default_config_static_selectorELNS0_4arch9wavefront6targetE0EEEvT1_,comdat
.Lfunc_end1665:
	.size	_ZN7rocprim17ROCPRIM_400000_NS6detail17trampoline_kernelINS0_14default_configENS1_27scan_by_key_config_selectorIijEEZZNS1_16scan_by_key_implILNS1_25lookback_scan_determinismE0ELb0ES3_N6thrust23THRUST_200600_302600_NS6detail15normal_iteratorINS9_10device_ptrIiEEEENSB_INSC_IjEEEENSB_INSC_IfEEEEjNS9_4plusIvEENS9_8equal_toIvEEjEE10hipError_tPvRmT2_T3_T4_T5_mT6_T7_P12ihipStream_tbENKUlT_T0_E_clISt17integral_constantIbLb1EES12_IbLb0EEEEDaSY_SZ_EUlSY_E_NS1_11comp_targetILNS1_3genE4ELNS1_11target_archE910ELNS1_3gpuE8ELNS1_3repE0EEENS1_30default_config_static_selectorELNS0_4arch9wavefront6targetE0EEEvT1_, .Lfunc_end1665-_ZN7rocprim17ROCPRIM_400000_NS6detail17trampoline_kernelINS0_14default_configENS1_27scan_by_key_config_selectorIijEEZZNS1_16scan_by_key_implILNS1_25lookback_scan_determinismE0ELb0ES3_N6thrust23THRUST_200600_302600_NS6detail15normal_iteratorINS9_10device_ptrIiEEEENSB_INSC_IjEEEENSB_INSC_IfEEEEjNS9_4plusIvEENS9_8equal_toIvEEjEE10hipError_tPvRmT2_T3_T4_T5_mT6_T7_P12ihipStream_tbENKUlT_T0_E_clISt17integral_constantIbLb1EES12_IbLb0EEEEDaSY_SZ_EUlSY_E_NS1_11comp_targetILNS1_3genE4ELNS1_11target_archE910ELNS1_3gpuE8ELNS1_3repE0EEENS1_30default_config_static_selectorELNS0_4arch9wavefront6targetE0EEEvT1_
                                        ; -- End function
	.set _ZN7rocprim17ROCPRIM_400000_NS6detail17trampoline_kernelINS0_14default_configENS1_27scan_by_key_config_selectorIijEEZZNS1_16scan_by_key_implILNS1_25lookback_scan_determinismE0ELb0ES3_N6thrust23THRUST_200600_302600_NS6detail15normal_iteratorINS9_10device_ptrIiEEEENSB_INSC_IjEEEENSB_INSC_IfEEEEjNS9_4plusIvEENS9_8equal_toIvEEjEE10hipError_tPvRmT2_T3_T4_T5_mT6_T7_P12ihipStream_tbENKUlT_T0_E_clISt17integral_constantIbLb1EES12_IbLb0EEEEDaSY_SZ_EUlSY_E_NS1_11comp_targetILNS1_3genE4ELNS1_11target_archE910ELNS1_3gpuE8ELNS1_3repE0EEENS1_30default_config_static_selectorELNS0_4arch9wavefront6targetE0EEEvT1_.num_vgpr, 0
	.set _ZN7rocprim17ROCPRIM_400000_NS6detail17trampoline_kernelINS0_14default_configENS1_27scan_by_key_config_selectorIijEEZZNS1_16scan_by_key_implILNS1_25lookback_scan_determinismE0ELb0ES3_N6thrust23THRUST_200600_302600_NS6detail15normal_iteratorINS9_10device_ptrIiEEEENSB_INSC_IjEEEENSB_INSC_IfEEEEjNS9_4plusIvEENS9_8equal_toIvEEjEE10hipError_tPvRmT2_T3_T4_T5_mT6_T7_P12ihipStream_tbENKUlT_T0_E_clISt17integral_constantIbLb1EES12_IbLb0EEEEDaSY_SZ_EUlSY_E_NS1_11comp_targetILNS1_3genE4ELNS1_11target_archE910ELNS1_3gpuE8ELNS1_3repE0EEENS1_30default_config_static_selectorELNS0_4arch9wavefront6targetE0EEEvT1_.num_agpr, 0
	.set _ZN7rocprim17ROCPRIM_400000_NS6detail17trampoline_kernelINS0_14default_configENS1_27scan_by_key_config_selectorIijEEZZNS1_16scan_by_key_implILNS1_25lookback_scan_determinismE0ELb0ES3_N6thrust23THRUST_200600_302600_NS6detail15normal_iteratorINS9_10device_ptrIiEEEENSB_INSC_IjEEEENSB_INSC_IfEEEEjNS9_4plusIvEENS9_8equal_toIvEEjEE10hipError_tPvRmT2_T3_T4_T5_mT6_T7_P12ihipStream_tbENKUlT_T0_E_clISt17integral_constantIbLb1EES12_IbLb0EEEEDaSY_SZ_EUlSY_E_NS1_11comp_targetILNS1_3genE4ELNS1_11target_archE910ELNS1_3gpuE8ELNS1_3repE0EEENS1_30default_config_static_selectorELNS0_4arch9wavefront6targetE0EEEvT1_.numbered_sgpr, 0
	.set _ZN7rocprim17ROCPRIM_400000_NS6detail17trampoline_kernelINS0_14default_configENS1_27scan_by_key_config_selectorIijEEZZNS1_16scan_by_key_implILNS1_25lookback_scan_determinismE0ELb0ES3_N6thrust23THRUST_200600_302600_NS6detail15normal_iteratorINS9_10device_ptrIiEEEENSB_INSC_IjEEEENSB_INSC_IfEEEEjNS9_4plusIvEENS9_8equal_toIvEEjEE10hipError_tPvRmT2_T3_T4_T5_mT6_T7_P12ihipStream_tbENKUlT_T0_E_clISt17integral_constantIbLb1EES12_IbLb0EEEEDaSY_SZ_EUlSY_E_NS1_11comp_targetILNS1_3genE4ELNS1_11target_archE910ELNS1_3gpuE8ELNS1_3repE0EEENS1_30default_config_static_selectorELNS0_4arch9wavefront6targetE0EEEvT1_.num_named_barrier, 0
	.set _ZN7rocprim17ROCPRIM_400000_NS6detail17trampoline_kernelINS0_14default_configENS1_27scan_by_key_config_selectorIijEEZZNS1_16scan_by_key_implILNS1_25lookback_scan_determinismE0ELb0ES3_N6thrust23THRUST_200600_302600_NS6detail15normal_iteratorINS9_10device_ptrIiEEEENSB_INSC_IjEEEENSB_INSC_IfEEEEjNS9_4plusIvEENS9_8equal_toIvEEjEE10hipError_tPvRmT2_T3_T4_T5_mT6_T7_P12ihipStream_tbENKUlT_T0_E_clISt17integral_constantIbLb1EES12_IbLb0EEEEDaSY_SZ_EUlSY_E_NS1_11comp_targetILNS1_3genE4ELNS1_11target_archE910ELNS1_3gpuE8ELNS1_3repE0EEENS1_30default_config_static_selectorELNS0_4arch9wavefront6targetE0EEEvT1_.private_seg_size, 0
	.set _ZN7rocprim17ROCPRIM_400000_NS6detail17trampoline_kernelINS0_14default_configENS1_27scan_by_key_config_selectorIijEEZZNS1_16scan_by_key_implILNS1_25lookback_scan_determinismE0ELb0ES3_N6thrust23THRUST_200600_302600_NS6detail15normal_iteratorINS9_10device_ptrIiEEEENSB_INSC_IjEEEENSB_INSC_IfEEEEjNS9_4plusIvEENS9_8equal_toIvEEjEE10hipError_tPvRmT2_T3_T4_T5_mT6_T7_P12ihipStream_tbENKUlT_T0_E_clISt17integral_constantIbLb1EES12_IbLb0EEEEDaSY_SZ_EUlSY_E_NS1_11comp_targetILNS1_3genE4ELNS1_11target_archE910ELNS1_3gpuE8ELNS1_3repE0EEENS1_30default_config_static_selectorELNS0_4arch9wavefront6targetE0EEEvT1_.uses_vcc, 0
	.set _ZN7rocprim17ROCPRIM_400000_NS6detail17trampoline_kernelINS0_14default_configENS1_27scan_by_key_config_selectorIijEEZZNS1_16scan_by_key_implILNS1_25lookback_scan_determinismE0ELb0ES3_N6thrust23THRUST_200600_302600_NS6detail15normal_iteratorINS9_10device_ptrIiEEEENSB_INSC_IjEEEENSB_INSC_IfEEEEjNS9_4plusIvEENS9_8equal_toIvEEjEE10hipError_tPvRmT2_T3_T4_T5_mT6_T7_P12ihipStream_tbENKUlT_T0_E_clISt17integral_constantIbLb1EES12_IbLb0EEEEDaSY_SZ_EUlSY_E_NS1_11comp_targetILNS1_3genE4ELNS1_11target_archE910ELNS1_3gpuE8ELNS1_3repE0EEENS1_30default_config_static_selectorELNS0_4arch9wavefront6targetE0EEEvT1_.uses_flat_scratch, 0
	.set _ZN7rocprim17ROCPRIM_400000_NS6detail17trampoline_kernelINS0_14default_configENS1_27scan_by_key_config_selectorIijEEZZNS1_16scan_by_key_implILNS1_25lookback_scan_determinismE0ELb0ES3_N6thrust23THRUST_200600_302600_NS6detail15normal_iteratorINS9_10device_ptrIiEEEENSB_INSC_IjEEEENSB_INSC_IfEEEEjNS9_4plusIvEENS9_8equal_toIvEEjEE10hipError_tPvRmT2_T3_T4_T5_mT6_T7_P12ihipStream_tbENKUlT_T0_E_clISt17integral_constantIbLb1EES12_IbLb0EEEEDaSY_SZ_EUlSY_E_NS1_11comp_targetILNS1_3genE4ELNS1_11target_archE910ELNS1_3gpuE8ELNS1_3repE0EEENS1_30default_config_static_selectorELNS0_4arch9wavefront6targetE0EEEvT1_.has_dyn_sized_stack, 0
	.set _ZN7rocprim17ROCPRIM_400000_NS6detail17trampoline_kernelINS0_14default_configENS1_27scan_by_key_config_selectorIijEEZZNS1_16scan_by_key_implILNS1_25lookback_scan_determinismE0ELb0ES3_N6thrust23THRUST_200600_302600_NS6detail15normal_iteratorINS9_10device_ptrIiEEEENSB_INSC_IjEEEENSB_INSC_IfEEEEjNS9_4plusIvEENS9_8equal_toIvEEjEE10hipError_tPvRmT2_T3_T4_T5_mT6_T7_P12ihipStream_tbENKUlT_T0_E_clISt17integral_constantIbLb1EES12_IbLb0EEEEDaSY_SZ_EUlSY_E_NS1_11comp_targetILNS1_3genE4ELNS1_11target_archE910ELNS1_3gpuE8ELNS1_3repE0EEENS1_30default_config_static_selectorELNS0_4arch9wavefront6targetE0EEEvT1_.has_recursion, 0
	.set _ZN7rocprim17ROCPRIM_400000_NS6detail17trampoline_kernelINS0_14default_configENS1_27scan_by_key_config_selectorIijEEZZNS1_16scan_by_key_implILNS1_25lookback_scan_determinismE0ELb0ES3_N6thrust23THRUST_200600_302600_NS6detail15normal_iteratorINS9_10device_ptrIiEEEENSB_INSC_IjEEEENSB_INSC_IfEEEEjNS9_4plusIvEENS9_8equal_toIvEEjEE10hipError_tPvRmT2_T3_T4_T5_mT6_T7_P12ihipStream_tbENKUlT_T0_E_clISt17integral_constantIbLb1EES12_IbLb0EEEEDaSY_SZ_EUlSY_E_NS1_11comp_targetILNS1_3genE4ELNS1_11target_archE910ELNS1_3gpuE8ELNS1_3repE0EEENS1_30default_config_static_selectorELNS0_4arch9wavefront6targetE0EEEvT1_.has_indirect_call, 0
	.section	.AMDGPU.csdata,"",@progbits
; Kernel info:
; codeLenInByte = 0
; TotalNumSgprs: 0
; NumVgprs: 0
; ScratchSize: 0
; MemoryBound: 0
; FloatMode: 240
; IeeeMode: 1
; LDSByteSize: 0 bytes/workgroup (compile time only)
; SGPRBlocks: 0
; VGPRBlocks: 0
; NumSGPRsForWavesPerEU: 1
; NumVGPRsForWavesPerEU: 1
; NamedBarCnt: 0
; Occupancy: 16
; WaveLimiterHint : 0
; COMPUTE_PGM_RSRC2:SCRATCH_EN: 0
; COMPUTE_PGM_RSRC2:USER_SGPR: 2
; COMPUTE_PGM_RSRC2:TRAP_HANDLER: 0
; COMPUTE_PGM_RSRC2:TGID_X_EN: 1
; COMPUTE_PGM_RSRC2:TGID_Y_EN: 0
; COMPUTE_PGM_RSRC2:TGID_Z_EN: 0
; COMPUTE_PGM_RSRC2:TIDIG_COMP_CNT: 0
	.section	.text._ZN7rocprim17ROCPRIM_400000_NS6detail17trampoline_kernelINS0_14default_configENS1_27scan_by_key_config_selectorIijEEZZNS1_16scan_by_key_implILNS1_25lookback_scan_determinismE0ELb0ES3_N6thrust23THRUST_200600_302600_NS6detail15normal_iteratorINS9_10device_ptrIiEEEENSB_INSC_IjEEEENSB_INSC_IfEEEEjNS9_4plusIvEENS9_8equal_toIvEEjEE10hipError_tPvRmT2_T3_T4_T5_mT6_T7_P12ihipStream_tbENKUlT_T0_E_clISt17integral_constantIbLb1EES12_IbLb0EEEEDaSY_SZ_EUlSY_E_NS1_11comp_targetILNS1_3genE3ELNS1_11target_archE908ELNS1_3gpuE7ELNS1_3repE0EEENS1_30default_config_static_selectorELNS0_4arch9wavefront6targetE0EEEvT1_,"axG",@progbits,_ZN7rocprim17ROCPRIM_400000_NS6detail17trampoline_kernelINS0_14default_configENS1_27scan_by_key_config_selectorIijEEZZNS1_16scan_by_key_implILNS1_25lookback_scan_determinismE0ELb0ES3_N6thrust23THRUST_200600_302600_NS6detail15normal_iteratorINS9_10device_ptrIiEEEENSB_INSC_IjEEEENSB_INSC_IfEEEEjNS9_4plusIvEENS9_8equal_toIvEEjEE10hipError_tPvRmT2_T3_T4_T5_mT6_T7_P12ihipStream_tbENKUlT_T0_E_clISt17integral_constantIbLb1EES12_IbLb0EEEEDaSY_SZ_EUlSY_E_NS1_11comp_targetILNS1_3genE3ELNS1_11target_archE908ELNS1_3gpuE7ELNS1_3repE0EEENS1_30default_config_static_selectorELNS0_4arch9wavefront6targetE0EEEvT1_,comdat
	.protected	_ZN7rocprim17ROCPRIM_400000_NS6detail17trampoline_kernelINS0_14default_configENS1_27scan_by_key_config_selectorIijEEZZNS1_16scan_by_key_implILNS1_25lookback_scan_determinismE0ELb0ES3_N6thrust23THRUST_200600_302600_NS6detail15normal_iteratorINS9_10device_ptrIiEEEENSB_INSC_IjEEEENSB_INSC_IfEEEEjNS9_4plusIvEENS9_8equal_toIvEEjEE10hipError_tPvRmT2_T3_T4_T5_mT6_T7_P12ihipStream_tbENKUlT_T0_E_clISt17integral_constantIbLb1EES12_IbLb0EEEEDaSY_SZ_EUlSY_E_NS1_11comp_targetILNS1_3genE3ELNS1_11target_archE908ELNS1_3gpuE7ELNS1_3repE0EEENS1_30default_config_static_selectorELNS0_4arch9wavefront6targetE0EEEvT1_ ; -- Begin function _ZN7rocprim17ROCPRIM_400000_NS6detail17trampoline_kernelINS0_14default_configENS1_27scan_by_key_config_selectorIijEEZZNS1_16scan_by_key_implILNS1_25lookback_scan_determinismE0ELb0ES3_N6thrust23THRUST_200600_302600_NS6detail15normal_iteratorINS9_10device_ptrIiEEEENSB_INSC_IjEEEENSB_INSC_IfEEEEjNS9_4plusIvEENS9_8equal_toIvEEjEE10hipError_tPvRmT2_T3_T4_T5_mT6_T7_P12ihipStream_tbENKUlT_T0_E_clISt17integral_constantIbLb1EES12_IbLb0EEEEDaSY_SZ_EUlSY_E_NS1_11comp_targetILNS1_3genE3ELNS1_11target_archE908ELNS1_3gpuE7ELNS1_3repE0EEENS1_30default_config_static_selectorELNS0_4arch9wavefront6targetE0EEEvT1_
	.globl	_ZN7rocprim17ROCPRIM_400000_NS6detail17trampoline_kernelINS0_14default_configENS1_27scan_by_key_config_selectorIijEEZZNS1_16scan_by_key_implILNS1_25lookback_scan_determinismE0ELb0ES3_N6thrust23THRUST_200600_302600_NS6detail15normal_iteratorINS9_10device_ptrIiEEEENSB_INSC_IjEEEENSB_INSC_IfEEEEjNS9_4plusIvEENS9_8equal_toIvEEjEE10hipError_tPvRmT2_T3_T4_T5_mT6_T7_P12ihipStream_tbENKUlT_T0_E_clISt17integral_constantIbLb1EES12_IbLb0EEEEDaSY_SZ_EUlSY_E_NS1_11comp_targetILNS1_3genE3ELNS1_11target_archE908ELNS1_3gpuE7ELNS1_3repE0EEENS1_30default_config_static_selectorELNS0_4arch9wavefront6targetE0EEEvT1_
	.p2align	8
	.type	_ZN7rocprim17ROCPRIM_400000_NS6detail17trampoline_kernelINS0_14default_configENS1_27scan_by_key_config_selectorIijEEZZNS1_16scan_by_key_implILNS1_25lookback_scan_determinismE0ELb0ES3_N6thrust23THRUST_200600_302600_NS6detail15normal_iteratorINS9_10device_ptrIiEEEENSB_INSC_IjEEEENSB_INSC_IfEEEEjNS9_4plusIvEENS9_8equal_toIvEEjEE10hipError_tPvRmT2_T3_T4_T5_mT6_T7_P12ihipStream_tbENKUlT_T0_E_clISt17integral_constantIbLb1EES12_IbLb0EEEEDaSY_SZ_EUlSY_E_NS1_11comp_targetILNS1_3genE3ELNS1_11target_archE908ELNS1_3gpuE7ELNS1_3repE0EEENS1_30default_config_static_selectorELNS0_4arch9wavefront6targetE0EEEvT1_,@function
_ZN7rocprim17ROCPRIM_400000_NS6detail17trampoline_kernelINS0_14default_configENS1_27scan_by_key_config_selectorIijEEZZNS1_16scan_by_key_implILNS1_25lookback_scan_determinismE0ELb0ES3_N6thrust23THRUST_200600_302600_NS6detail15normal_iteratorINS9_10device_ptrIiEEEENSB_INSC_IjEEEENSB_INSC_IfEEEEjNS9_4plusIvEENS9_8equal_toIvEEjEE10hipError_tPvRmT2_T3_T4_T5_mT6_T7_P12ihipStream_tbENKUlT_T0_E_clISt17integral_constantIbLb1EES12_IbLb0EEEEDaSY_SZ_EUlSY_E_NS1_11comp_targetILNS1_3genE3ELNS1_11target_archE908ELNS1_3gpuE7ELNS1_3repE0EEENS1_30default_config_static_selectorELNS0_4arch9wavefront6targetE0EEEvT1_: ; @_ZN7rocprim17ROCPRIM_400000_NS6detail17trampoline_kernelINS0_14default_configENS1_27scan_by_key_config_selectorIijEEZZNS1_16scan_by_key_implILNS1_25lookback_scan_determinismE0ELb0ES3_N6thrust23THRUST_200600_302600_NS6detail15normal_iteratorINS9_10device_ptrIiEEEENSB_INSC_IjEEEENSB_INSC_IfEEEEjNS9_4plusIvEENS9_8equal_toIvEEjEE10hipError_tPvRmT2_T3_T4_T5_mT6_T7_P12ihipStream_tbENKUlT_T0_E_clISt17integral_constantIbLb1EES12_IbLb0EEEEDaSY_SZ_EUlSY_E_NS1_11comp_targetILNS1_3genE3ELNS1_11target_archE908ELNS1_3gpuE7ELNS1_3repE0EEENS1_30default_config_static_selectorELNS0_4arch9wavefront6targetE0EEEvT1_
; %bb.0:
	.section	.rodata,"a",@progbits
	.p2align	6, 0x0
	.amdhsa_kernel _ZN7rocprim17ROCPRIM_400000_NS6detail17trampoline_kernelINS0_14default_configENS1_27scan_by_key_config_selectorIijEEZZNS1_16scan_by_key_implILNS1_25lookback_scan_determinismE0ELb0ES3_N6thrust23THRUST_200600_302600_NS6detail15normal_iteratorINS9_10device_ptrIiEEEENSB_INSC_IjEEEENSB_INSC_IfEEEEjNS9_4plusIvEENS9_8equal_toIvEEjEE10hipError_tPvRmT2_T3_T4_T5_mT6_T7_P12ihipStream_tbENKUlT_T0_E_clISt17integral_constantIbLb1EES12_IbLb0EEEEDaSY_SZ_EUlSY_E_NS1_11comp_targetILNS1_3genE3ELNS1_11target_archE908ELNS1_3gpuE7ELNS1_3repE0EEENS1_30default_config_static_selectorELNS0_4arch9wavefront6targetE0EEEvT1_
		.amdhsa_group_segment_fixed_size 0
		.amdhsa_private_segment_fixed_size 0
		.amdhsa_kernarg_size 112
		.amdhsa_user_sgpr_count 2
		.amdhsa_user_sgpr_dispatch_ptr 0
		.amdhsa_user_sgpr_queue_ptr 0
		.amdhsa_user_sgpr_kernarg_segment_ptr 1
		.amdhsa_user_sgpr_dispatch_id 0
		.amdhsa_user_sgpr_kernarg_preload_length 0
		.amdhsa_user_sgpr_kernarg_preload_offset 0
		.amdhsa_user_sgpr_private_segment_size 0
		.amdhsa_wavefront_size32 1
		.amdhsa_uses_dynamic_stack 0
		.amdhsa_enable_private_segment 0
		.amdhsa_system_sgpr_workgroup_id_x 1
		.amdhsa_system_sgpr_workgroup_id_y 0
		.amdhsa_system_sgpr_workgroup_id_z 0
		.amdhsa_system_sgpr_workgroup_info 0
		.amdhsa_system_vgpr_workitem_id 0
		.amdhsa_next_free_vgpr 1
		.amdhsa_next_free_sgpr 1
		.amdhsa_named_barrier_count 0
		.amdhsa_reserve_vcc 0
		.amdhsa_float_round_mode_32 0
		.amdhsa_float_round_mode_16_64 0
		.amdhsa_float_denorm_mode_32 3
		.amdhsa_float_denorm_mode_16_64 3
		.amdhsa_fp16_overflow 0
		.amdhsa_memory_ordered 1
		.amdhsa_forward_progress 1
		.amdhsa_inst_pref_size 0
		.amdhsa_round_robin_scheduling 0
		.amdhsa_exception_fp_ieee_invalid_op 0
		.amdhsa_exception_fp_denorm_src 0
		.amdhsa_exception_fp_ieee_div_zero 0
		.amdhsa_exception_fp_ieee_overflow 0
		.amdhsa_exception_fp_ieee_underflow 0
		.amdhsa_exception_fp_ieee_inexact 0
		.amdhsa_exception_int_div_zero 0
	.end_amdhsa_kernel
	.section	.text._ZN7rocprim17ROCPRIM_400000_NS6detail17trampoline_kernelINS0_14default_configENS1_27scan_by_key_config_selectorIijEEZZNS1_16scan_by_key_implILNS1_25lookback_scan_determinismE0ELb0ES3_N6thrust23THRUST_200600_302600_NS6detail15normal_iteratorINS9_10device_ptrIiEEEENSB_INSC_IjEEEENSB_INSC_IfEEEEjNS9_4plusIvEENS9_8equal_toIvEEjEE10hipError_tPvRmT2_T3_T4_T5_mT6_T7_P12ihipStream_tbENKUlT_T0_E_clISt17integral_constantIbLb1EES12_IbLb0EEEEDaSY_SZ_EUlSY_E_NS1_11comp_targetILNS1_3genE3ELNS1_11target_archE908ELNS1_3gpuE7ELNS1_3repE0EEENS1_30default_config_static_selectorELNS0_4arch9wavefront6targetE0EEEvT1_,"axG",@progbits,_ZN7rocprim17ROCPRIM_400000_NS6detail17trampoline_kernelINS0_14default_configENS1_27scan_by_key_config_selectorIijEEZZNS1_16scan_by_key_implILNS1_25lookback_scan_determinismE0ELb0ES3_N6thrust23THRUST_200600_302600_NS6detail15normal_iteratorINS9_10device_ptrIiEEEENSB_INSC_IjEEEENSB_INSC_IfEEEEjNS9_4plusIvEENS9_8equal_toIvEEjEE10hipError_tPvRmT2_T3_T4_T5_mT6_T7_P12ihipStream_tbENKUlT_T0_E_clISt17integral_constantIbLb1EES12_IbLb0EEEEDaSY_SZ_EUlSY_E_NS1_11comp_targetILNS1_3genE3ELNS1_11target_archE908ELNS1_3gpuE7ELNS1_3repE0EEENS1_30default_config_static_selectorELNS0_4arch9wavefront6targetE0EEEvT1_,comdat
.Lfunc_end1666:
	.size	_ZN7rocprim17ROCPRIM_400000_NS6detail17trampoline_kernelINS0_14default_configENS1_27scan_by_key_config_selectorIijEEZZNS1_16scan_by_key_implILNS1_25lookback_scan_determinismE0ELb0ES3_N6thrust23THRUST_200600_302600_NS6detail15normal_iteratorINS9_10device_ptrIiEEEENSB_INSC_IjEEEENSB_INSC_IfEEEEjNS9_4plusIvEENS9_8equal_toIvEEjEE10hipError_tPvRmT2_T3_T4_T5_mT6_T7_P12ihipStream_tbENKUlT_T0_E_clISt17integral_constantIbLb1EES12_IbLb0EEEEDaSY_SZ_EUlSY_E_NS1_11comp_targetILNS1_3genE3ELNS1_11target_archE908ELNS1_3gpuE7ELNS1_3repE0EEENS1_30default_config_static_selectorELNS0_4arch9wavefront6targetE0EEEvT1_, .Lfunc_end1666-_ZN7rocprim17ROCPRIM_400000_NS6detail17trampoline_kernelINS0_14default_configENS1_27scan_by_key_config_selectorIijEEZZNS1_16scan_by_key_implILNS1_25lookback_scan_determinismE0ELb0ES3_N6thrust23THRUST_200600_302600_NS6detail15normal_iteratorINS9_10device_ptrIiEEEENSB_INSC_IjEEEENSB_INSC_IfEEEEjNS9_4plusIvEENS9_8equal_toIvEEjEE10hipError_tPvRmT2_T3_T4_T5_mT6_T7_P12ihipStream_tbENKUlT_T0_E_clISt17integral_constantIbLb1EES12_IbLb0EEEEDaSY_SZ_EUlSY_E_NS1_11comp_targetILNS1_3genE3ELNS1_11target_archE908ELNS1_3gpuE7ELNS1_3repE0EEENS1_30default_config_static_selectorELNS0_4arch9wavefront6targetE0EEEvT1_
                                        ; -- End function
	.set _ZN7rocprim17ROCPRIM_400000_NS6detail17trampoline_kernelINS0_14default_configENS1_27scan_by_key_config_selectorIijEEZZNS1_16scan_by_key_implILNS1_25lookback_scan_determinismE0ELb0ES3_N6thrust23THRUST_200600_302600_NS6detail15normal_iteratorINS9_10device_ptrIiEEEENSB_INSC_IjEEEENSB_INSC_IfEEEEjNS9_4plusIvEENS9_8equal_toIvEEjEE10hipError_tPvRmT2_T3_T4_T5_mT6_T7_P12ihipStream_tbENKUlT_T0_E_clISt17integral_constantIbLb1EES12_IbLb0EEEEDaSY_SZ_EUlSY_E_NS1_11comp_targetILNS1_3genE3ELNS1_11target_archE908ELNS1_3gpuE7ELNS1_3repE0EEENS1_30default_config_static_selectorELNS0_4arch9wavefront6targetE0EEEvT1_.num_vgpr, 0
	.set _ZN7rocprim17ROCPRIM_400000_NS6detail17trampoline_kernelINS0_14default_configENS1_27scan_by_key_config_selectorIijEEZZNS1_16scan_by_key_implILNS1_25lookback_scan_determinismE0ELb0ES3_N6thrust23THRUST_200600_302600_NS6detail15normal_iteratorINS9_10device_ptrIiEEEENSB_INSC_IjEEEENSB_INSC_IfEEEEjNS9_4plusIvEENS9_8equal_toIvEEjEE10hipError_tPvRmT2_T3_T4_T5_mT6_T7_P12ihipStream_tbENKUlT_T0_E_clISt17integral_constantIbLb1EES12_IbLb0EEEEDaSY_SZ_EUlSY_E_NS1_11comp_targetILNS1_3genE3ELNS1_11target_archE908ELNS1_3gpuE7ELNS1_3repE0EEENS1_30default_config_static_selectorELNS0_4arch9wavefront6targetE0EEEvT1_.num_agpr, 0
	.set _ZN7rocprim17ROCPRIM_400000_NS6detail17trampoline_kernelINS0_14default_configENS1_27scan_by_key_config_selectorIijEEZZNS1_16scan_by_key_implILNS1_25lookback_scan_determinismE0ELb0ES3_N6thrust23THRUST_200600_302600_NS6detail15normal_iteratorINS9_10device_ptrIiEEEENSB_INSC_IjEEEENSB_INSC_IfEEEEjNS9_4plusIvEENS9_8equal_toIvEEjEE10hipError_tPvRmT2_T3_T4_T5_mT6_T7_P12ihipStream_tbENKUlT_T0_E_clISt17integral_constantIbLb1EES12_IbLb0EEEEDaSY_SZ_EUlSY_E_NS1_11comp_targetILNS1_3genE3ELNS1_11target_archE908ELNS1_3gpuE7ELNS1_3repE0EEENS1_30default_config_static_selectorELNS0_4arch9wavefront6targetE0EEEvT1_.numbered_sgpr, 0
	.set _ZN7rocprim17ROCPRIM_400000_NS6detail17trampoline_kernelINS0_14default_configENS1_27scan_by_key_config_selectorIijEEZZNS1_16scan_by_key_implILNS1_25lookback_scan_determinismE0ELb0ES3_N6thrust23THRUST_200600_302600_NS6detail15normal_iteratorINS9_10device_ptrIiEEEENSB_INSC_IjEEEENSB_INSC_IfEEEEjNS9_4plusIvEENS9_8equal_toIvEEjEE10hipError_tPvRmT2_T3_T4_T5_mT6_T7_P12ihipStream_tbENKUlT_T0_E_clISt17integral_constantIbLb1EES12_IbLb0EEEEDaSY_SZ_EUlSY_E_NS1_11comp_targetILNS1_3genE3ELNS1_11target_archE908ELNS1_3gpuE7ELNS1_3repE0EEENS1_30default_config_static_selectorELNS0_4arch9wavefront6targetE0EEEvT1_.num_named_barrier, 0
	.set _ZN7rocprim17ROCPRIM_400000_NS6detail17trampoline_kernelINS0_14default_configENS1_27scan_by_key_config_selectorIijEEZZNS1_16scan_by_key_implILNS1_25lookback_scan_determinismE0ELb0ES3_N6thrust23THRUST_200600_302600_NS6detail15normal_iteratorINS9_10device_ptrIiEEEENSB_INSC_IjEEEENSB_INSC_IfEEEEjNS9_4plusIvEENS9_8equal_toIvEEjEE10hipError_tPvRmT2_T3_T4_T5_mT6_T7_P12ihipStream_tbENKUlT_T0_E_clISt17integral_constantIbLb1EES12_IbLb0EEEEDaSY_SZ_EUlSY_E_NS1_11comp_targetILNS1_3genE3ELNS1_11target_archE908ELNS1_3gpuE7ELNS1_3repE0EEENS1_30default_config_static_selectorELNS0_4arch9wavefront6targetE0EEEvT1_.private_seg_size, 0
	.set _ZN7rocprim17ROCPRIM_400000_NS6detail17trampoline_kernelINS0_14default_configENS1_27scan_by_key_config_selectorIijEEZZNS1_16scan_by_key_implILNS1_25lookback_scan_determinismE0ELb0ES3_N6thrust23THRUST_200600_302600_NS6detail15normal_iteratorINS9_10device_ptrIiEEEENSB_INSC_IjEEEENSB_INSC_IfEEEEjNS9_4plusIvEENS9_8equal_toIvEEjEE10hipError_tPvRmT2_T3_T4_T5_mT6_T7_P12ihipStream_tbENKUlT_T0_E_clISt17integral_constantIbLb1EES12_IbLb0EEEEDaSY_SZ_EUlSY_E_NS1_11comp_targetILNS1_3genE3ELNS1_11target_archE908ELNS1_3gpuE7ELNS1_3repE0EEENS1_30default_config_static_selectorELNS0_4arch9wavefront6targetE0EEEvT1_.uses_vcc, 0
	.set _ZN7rocprim17ROCPRIM_400000_NS6detail17trampoline_kernelINS0_14default_configENS1_27scan_by_key_config_selectorIijEEZZNS1_16scan_by_key_implILNS1_25lookback_scan_determinismE0ELb0ES3_N6thrust23THRUST_200600_302600_NS6detail15normal_iteratorINS9_10device_ptrIiEEEENSB_INSC_IjEEEENSB_INSC_IfEEEEjNS9_4plusIvEENS9_8equal_toIvEEjEE10hipError_tPvRmT2_T3_T4_T5_mT6_T7_P12ihipStream_tbENKUlT_T0_E_clISt17integral_constantIbLb1EES12_IbLb0EEEEDaSY_SZ_EUlSY_E_NS1_11comp_targetILNS1_3genE3ELNS1_11target_archE908ELNS1_3gpuE7ELNS1_3repE0EEENS1_30default_config_static_selectorELNS0_4arch9wavefront6targetE0EEEvT1_.uses_flat_scratch, 0
	.set _ZN7rocprim17ROCPRIM_400000_NS6detail17trampoline_kernelINS0_14default_configENS1_27scan_by_key_config_selectorIijEEZZNS1_16scan_by_key_implILNS1_25lookback_scan_determinismE0ELb0ES3_N6thrust23THRUST_200600_302600_NS6detail15normal_iteratorINS9_10device_ptrIiEEEENSB_INSC_IjEEEENSB_INSC_IfEEEEjNS9_4plusIvEENS9_8equal_toIvEEjEE10hipError_tPvRmT2_T3_T4_T5_mT6_T7_P12ihipStream_tbENKUlT_T0_E_clISt17integral_constantIbLb1EES12_IbLb0EEEEDaSY_SZ_EUlSY_E_NS1_11comp_targetILNS1_3genE3ELNS1_11target_archE908ELNS1_3gpuE7ELNS1_3repE0EEENS1_30default_config_static_selectorELNS0_4arch9wavefront6targetE0EEEvT1_.has_dyn_sized_stack, 0
	.set _ZN7rocprim17ROCPRIM_400000_NS6detail17trampoline_kernelINS0_14default_configENS1_27scan_by_key_config_selectorIijEEZZNS1_16scan_by_key_implILNS1_25lookback_scan_determinismE0ELb0ES3_N6thrust23THRUST_200600_302600_NS6detail15normal_iteratorINS9_10device_ptrIiEEEENSB_INSC_IjEEEENSB_INSC_IfEEEEjNS9_4plusIvEENS9_8equal_toIvEEjEE10hipError_tPvRmT2_T3_T4_T5_mT6_T7_P12ihipStream_tbENKUlT_T0_E_clISt17integral_constantIbLb1EES12_IbLb0EEEEDaSY_SZ_EUlSY_E_NS1_11comp_targetILNS1_3genE3ELNS1_11target_archE908ELNS1_3gpuE7ELNS1_3repE0EEENS1_30default_config_static_selectorELNS0_4arch9wavefront6targetE0EEEvT1_.has_recursion, 0
	.set _ZN7rocprim17ROCPRIM_400000_NS6detail17trampoline_kernelINS0_14default_configENS1_27scan_by_key_config_selectorIijEEZZNS1_16scan_by_key_implILNS1_25lookback_scan_determinismE0ELb0ES3_N6thrust23THRUST_200600_302600_NS6detail15normal_iteratorINS9_10device_ptrIiEEEENSB_INSC_IjEEEENSB_INSC_IfEEEEjNS9_4plusIvEENS9_8equal_toIvEEjEE10hipError_tPvRmT2_T3_T4_T5_mT6_T7_P12ihipStream_tbENKUlT_T0_E_clISt17integral_constantIbLb1EES12_IbLb0EEEEDaSY_SZ_EUlSY_E_NS1_11comp_targetILNS1_3genE3ELNS1_11target_archE908ELNS1_3gpuE7ELNS1_3repE0EEENS1_30default_config_static_selectorELNS0_4arch9wavefront6targetE0EEEvT1_.has_indirect_call, 0
	.section	.AMDGPU.csdata,"",@progbits
; Kernel info:
; codeLenInByte = 0
; TotalNumSgprs: 0
; NumVgprs: 0
; ScratchSize: 0
; MemoryBound: 0
; FloatMode: 240
; IeeeMode: 1
; LDSByteSize: 0 bytes/workgroup (compile time only)
; SGPRBlocks: 0
; VGPRBlocks: 0
; NumSGPRsForWavesPerEU: 1
; NumVGPRsForWavesPerEU: 1
; NamedBarCnt: 0
; Occupancy: 16
; WaveLimiterHint : 0
; COMPUTE_PGM_RSRC2:SCRATCH_EN: 0
; COMPUTE_PGM_RSRC2:USER_SGPR: 2
; COMPUTE_PGM_RSRC2:TRAP_HANDLER: 0
; COMPUTE_PGM_RSRC2:TGID_X_EN: 1
; COMPUTE_PGM_RSRC2:TGID_Y_EN: 0
; COMPUTE_PGM_RSRC2:TGID_Z_EN: 0
; COMPUTE_PGM_RSRC2:TIDIG_COMP_CNT: 0
	.section	.text._ZN7rocprim17ROCPRIM_400000_NS6detail17trampoline_kernelINS0_14default_configENS1_27scan_by_key_config_selectorIijEEZZNS1_16scan_by_key_implILNS1_25lookback_scan_determinismE0ELb0ES3_N6thrust23THRUST_200600_302600_NS6detail15normal_iteratorINS9_10device_ptrIiEEEENSB_INSC_IjEEEENSB_INSC_IfEEEEjNS9_4plusIvEENS9_8equal_toIvEEjEE10hipError_tPvRmT2_T3_T4_T5_mT6_T7_P12ihipStream_tbENKUlT_T0_E_clISt17integral_constantIbLb1EES12_IbLb0EEEEDaSY_SZ_EUlSY_E_NS1_11comp_targetILNS1_3genE2ELNS1_11target_archE906ELNS1_3gpuE6ELNS1_3repE0EEENS1_30default_config_static_selectorELNS0_4arch9wavefront6targetE0EEEvT1_,"axG",@progbits,_ZN7rocprim17ROCPRIM_400000_NS6detail17trampoline_kernelINS0_14default_configENS1_27scan_by_key_config_selectorIijEEZZNS1_16scan_by_key_implILNS1_25lookback_scan_determinismE0ELb0ES3_N6thrust23THRUST_200600_302600_NS6detail15normal_iteratorINS9_10device_ptrIiEEEENSB_INSC_IjEEEENSB_INSC_IfEEEEjNS9_4plusIvEENS9_8equal_toIvEEjEE10hipError_tPvRmT2_T3_T4_T5_mT6_T7_P12ihipStream_tbENKUlT_T0_E_clISt17integral_constantIbLb1EES12_IbLb0EEEEDaSY_SZ_EUlSY_E_NS1_11comp_targetILNS1_3genE2ELNS1_11target_archE906ELNS1_3gpuE6ELNS1_3repE0EEENS1_30default_config_static_selectorELNS0_4arch9wavefront6targetE0EEEvT1_,comdat
	.protected	_ZN7rocprim17ROCPRIM_400000_NS6detail17trampoline_kernelINS0_14default_configENS1_27scan_by_key_config_selectorIijEEZZNS1_16scan_by_key_implILNS1_25lookback_scan_determinismE0ELb0ES3_N6thrust23THRUST_200600_302600_NS6detail15normal_iteratorINS9_10device_ptrIiEEEENSB_INSC_IjEEEENSB_INSC_IfEEEEjNS9_4plusIvEENS9_8equal_toIvEEjEE10hipError_tPvRmT2_T3_T4_T5_mT6_T7_P12ihipStream_tbENKUlT_T0_E_clISt17integral_constantIbLb1EES12_IbLb0EEEEDaSY_SZ_EUlSY_E_NS1_11comp_targetILNS1_3genE2ELNS1_11target_archE906ELNS1_3gpuE6ELNS1_3repE0EEENS1_30default_config_static_selectorELNS0_4arch9wavefront6targetE0EEEvT1_ ; -- Begin function _ZN7rocprim17ROCPRIM_400000_NS6detail17trampoline_kernelINS0_14default_configENS1_27scan_by_key_config_selectorIijEEZZNS1_16scan_by_key_implILNS1_25lookback_scan_determinismE0ELb0ES3_N6thrust23THRUST_200600_302600_NS6detail15normal_iteratorINS9_10device_ptrIiEEEENSB_INSC_IjEEEENSB_INSC_IfEEEEjNS9_4plusIvEENS9_8equal_toIvEEjEE10hipError_tPvRmT2_T3_T4_T5_mT6_T7_P12ihipStream_tbENKUlT_T0_E_clISt17integral_constantIbLb1EES12_IbLb0EEEEDaSY_SZ_EUlSY_E_NS1_11comp_targetILNS1_3genE2ELNS1_11target_archE906ELNS1_3gpuE6ELNS1_3repE0EEENS1_30default_config_static_selectorELNS0_4arch9wavefront6targetE0EEEvT1_
	.globl	_ZN7rocprim17ROCPRIM_400000_NS6detail17trampoline_kernelINS0_14default_configENS1_27scan_by_key_config_selectorIijEEZZNS1_16scan_by_key_implILNS1_25lookback_scan_determinismE0ELb0ES3_N6thrust23THRUST_200600_302600_NS6detail15normal_iteratorINS9_10device_ptrIiEEEENSB_INSC_IjEEEENSB_INSC_IfEEEEjNS9_4plusIvEENS9_8equal_toIvEEjEE10hipError_tPvRmT2_T3_T4_T5_mT6_T7_P12ihipStream_tbENKUlT_T0_E_clISt17integral_constantIbLb1EES12_IbLb0EEEEDaSY_SZ_EUlSY_E_NS1_11comp_targetILNS1_3genE2ELNS1_11target_archE906ELNS1_3gpuE6ELNS1_3repE0EEENS1_30default_config_static_selectorELNS0_4arch9wavefront6targetE0EEEvT1_
	.p2align	8
	.type	_ZN7rocprim17ROCPRIM_400000_NS6detail17trampoline_kernelINS0_14default_configENS1_27scan_by_key_config_selectorIijEEZZNS1_16scan_by_key_implILNS1_25lookback_scan_determinismE0ELb0ES3_N6thrust23THRUST_200600_302600_NS6detail15normal_iteratorINS9_10device_ptrIiEEEENSB_INSC_IjEEEENSB_INSC_IfEEEEjNS9_4plusIvEENS9_8equal_toIvEEjEE10hipError_tPvRmT2_T3_T4_T5_mT6_T7_P12ihipStream_tbENKUlT_T0_E_clISt17integral_constantIbLb1EES12_IbLb0EEEEDaSY_SZ_EUlSY_E_NS1_11comp_targetILNS1_3genE2ELNS1_11target_archE906ELNS1_3gpuE6ELNS1_3repE0EEENS1_30default_config_static_selectorELNS0_4arch9wavefront6targetE0EEEvT1_,@function
_ZN7rocprim17ROCPRIM_400000_NS6detail17trampoline_kernelINS0_14default_configENS1_27scan_by_key_config_selectorIijEEZZNS1_16scan_by_key_implILNS1_25lookback_scan_determinismE0ELb0ES3_N6thrust23THRUST_200600_302600_NS6detail15normal_iteratorINS9_10device_ptrIiEEEENSB_INSC_IjEEEENSB_INSC_IfEEEEjNS9_4plusIvEENS9_8equal_toIvEEjEE10hipError_tPvRmT2_T3_T4_T5_mT6_T7_P12ihipStream_tbENKUlT_T0_E_clISt17integral_constantIbLb1EES12_IbLb0EEEEDaSY_SZ_EUlSY_E_NS1_11comp_targetILNS1_3genE2ELNS1_11target_archE906ELNS1_3gpuE6ELNS1_3repE0EEENS1_30default_config_static_selectorELNS0_4arch9wavefront6targetE0EEEvT1_: ; @_ZN7rocprim17ROCPRIM_400000_NS6detail17trampoline_kernelINS0_14default_configENS1_27scan_by_key_config_selectorIijEEZZNS1_16scan_by_key_implILNS1_25lookback_scan_determinismE0ELb0ES3_N6thrust23THRUST_200600_302600_NS6detail15normal_iteratorINS9_10device_ptrIiEEEENSB_INSC_IjEEEENSB_INSC_IfEEEEjNS9_4plusIvEENS9_8equal_toIvEEjEE10hipError_tPvRmT2_T3_T4_T5_mT6_T7_P12ihipStream_tbENKUlT_T0_E_clISt17integral_constantIbLb1EES12_IbLb0EEEEDaSY_SZ_EUlSY_E_NS1_11comp_targetILNS1_3genE2ELNS1_11target_archE906ELNS1_3gpuE6ELNS1_3repE0EEENS1_30default_config_static_selectorELNS0_4arch9wavefront6targetE0EEEvT1_
; %bb.0:
	.section	.rodata,"a",@progbits
	.p2align	6, 0x0
	.amdhsa_kernel _ZN7rocprim17ROCPRIM_400000_NS6detail17trampoline_kernelINS0_14default_configENS1_27scan_by_key_config_selectorIijEEZZNS1_16scan_by_key_implILNS1_25lookback_scan_determinismE0ELb0ES3_N6thrust23THRUST_200600_302600_NS6detail15normal_iteratorINS9_10device_ptrIiEEEENSB_INSC_IjEEEENSB_INSC_IfEEEEjNS9_4plusIvEENS9_8equal_toIvEEjEE10hipError_tPvRmT2_T3_T4_T5_mT6_T7_P12ihipStream_tbENKUlT_T0_E_clISt17integral_constantIbLb1EES12_IbLb0EEEEDaSY_SZ_EUlSY_E_NS1_11comp_targetILNS1_3genE2ELNS1_11target_archE906ELNS1_3gpuE6ELNS1_3repE0EEENS1_30default_config_static_selectorELNS0_4arch9wavefront6targetE0EEEvT1_
		.amdhsa_group_segment_fixed_size 0
		.amdhsa_private_segment_fixed_size 0
		.amdhsa_kernarg_size 112
		.amdhsa_user_sgpr_count 2
		.amdhsa_user_sgpr_dispatch_ptr 0
		.amdhsa_user_sgpr_queue_ptr 0
		.amdhsa_user_sgpr_kernarg_segment_ptr 1
		.amdhsa_user_sgpr_dispatch_id 0
		.amdhsa_user_sgpr_kernarg_preload_length 0
		.amdhsa_user_sgpr_kernarg_preload_offset 0
		.amdhsa_user_sgpr_private_segment_size 0
		.amdhsa_wavefront_size32 1
		.amdhsa_uses_dynamic_stack 0
		.amdhsa_enable_private_segment 0
		.amdhsa_system_sgpr_workgroup_id_x 1
		.amdhsa_system_sgpr_workgroup_id_y 0
		.amdhsa_system_sgpr_workgroup_id_z 0
		.amdhsa_system_sgpr_workgroup_info 0
		.amdhsa_system_vgpr_workitem_id 0
		.amdhsa_next_free_vgpr 1
		.amdhsa_next_free_sgpr 1
		.amdhsa_named_barrier_count 0
		.amdhsa_reserve_vcc 0
		.amdhsa_float_round_mode_32 0
		.amdhsa_float_round_mode_16_64 0
		.amdhsa_float_denorm_mode_32 3
		.amdhsa_float_denorm_mode_16_64 3
		.amdhsa_fp16_overflow 0
		.amdhsa_memory_ordered 1
		.amdhsa_forward_progress 1
		.amdhsa_inst_pref_size 0
		.amdhsa_round_robin_scheduling 0
		.amdhsa_exception_fp_ieee_invalid_op 0
		.amdhsa_exception_fp_denorm_src 0
		.amdhsa_exception_fp_ieee_div_zero 0
		.amdhsa_exception_fp_ieee_overflow 0
		.amdhsa_exception_fp_ieee_underflow 0
		.amdhsa_exception_fp_ieee_inexact 0
		.amdhsa_exception_int_div_zero 0
	.end_amdhsa_kernel
	.section	.text._ZN7rocprim17ROCPRIM_400000_NS6detail17trampoline_kernelINS0_14default_configENS1_27scan_by_key_config_selectorIijEEZZNS1_16scan_by_key_implILNS1_25lookback_scan_determinismE0ELb0ES3_N6thrust23THRUST_200600_302600_NS6detail15normal_iteratorINS9_10device_ptrIiEEEENSB_INSC_IjEEEENSB_INSC_IfEEEEjNS9_4plusIvEENS9_8equal_toIvEEjEE10hipError_tPvRmT2_T3_T4_T5_mT6_T7_P12ihipStream_tbENKUlT_T0_E_clISt17integral_constantIbLb1EES12_IbLb0EEEEDaSY_SZ_EUlSY_E_NS1_11comp_targetILNS1_3genE2ELNS1_11target_archE906ELNS1_3gpuE6ELNS1_3repE0EEENS1_30default_config_static_selectorELNS0_4arch9wavefront6targetE0EEEvT1_,"axG",@progbits,_ZN7rocprim17ROCPRIM_400000_NS6detail17trampoline_kernelINS0_14default_configENS1_27scan_by_key_config_selectorIijEEZZNS1_16scan_by_key_implILNS1_25lookback_scan_determinismE0ELb0ES3_N6thrust23THRUST_200600_302600_NS6detail15normal_iteratorINS9_10device_ptrIiEEEENSB_INSC_IjEEEENSB_INSC_IfEEEEjNS9_4plusIvEENS9_8equal_toIvEEjEE10hipError_tPvRmT2_T3_T4_T5_mT6_T7_P12ihipStream_tbENKUlT_T0_E_clISt17integral_constantIbLb1EES12_IbLb0EEEEDaSY_SZ_EUlSY_E_NS1_11comp_targetILNS1_3genE2ELNS1_11target_archE906ELNS1_3gpuE6ELNS1_3repE0EEENS1_30default_config_static_selectorELNS0_4arch9wavefront6targetE0EEEvT1_,comdat
.Lfunc_end1667:
	.size	_ZN7rocprim17ROCPRIM_400000_NS6detail17trampoline_kernelINS0_14default_configENS1_27scan_by_key_config_selectorIijEEZZNS1_16scan_by_key_implILNS1_25lookback_scan_determinismE0ELb0ES3_N6thrust23THRUST_200600_302600_NS6detail15normal_iteratorINS9_10device_ptrIiEEEENSB_INSC_IjEEEENSB_INSC_IfEEEEjNS9_4plusIvEENS9_8equal_toIvEEjEE10hipError_tPvRmT2_T3_T4_T5_mT6_T7_P12ihipStream_tbENKUlT_T0_E_clISt17integral_constantIbLb1EES12_IbLb0EEEEDaSY_SZ_EUlSY_E_NS1_11comp_targetILNS1_3genE2ELNS1_11target_archE906ELNS1_3gpuE6ELNS1_3repE0EEENS1_30default_config_static_selectorELNS0_4arch9wavefront6targetE0EEEvT1_, .Lfunc_end1667-_ZN7rocprim17ROCPRIM_400000_NS6detail17trampoline_kernelINS0_14default_configENS1_27scan_by_key_config_selectorIijEEZZNS1_16scan_by_key_implILNS1_25lookback_scan_determinismE0ELb0ES3_N6thrust23THRUST_200600_302600_NS6detail15normal_iteratorINS9_10device_ptrIiEEEENSB_INSC_IjEEEENSB_INSC_IfEEEEjNS9_4plusIvEENS9_8equal_toIvEEjEE10hipError_tPvRmT2_T3_T4_T5_mT6_T7_P12ihipStream_tbENKUlT_T0_E_clISt17integral_constantIbLb1EES12_IbLb0EEEEDaSY_SZ_EUlSY_E_NS1_11comp_targetILNS1_3genE2ELNS1_11target_archE906ELNS1_3gpuE6ELNS1_3repE0EEENS1_30default_config_static_selectorELNS0_4arch9wavefront6targetE0EEEvT1_
                                        ; -- End function
	.set _ZN7rocprim17ROCPRIM_400000_NS6detail17trampoline_kernelINS0_14default_configENS1_27scan_by_key_config_selectorIijEEZZNS1_16scan_by_key_implILNS1_25lookback_scan_determinismE0ELb0ES3_N6thrust23THRUST_200600_302600_NS6detail15normal_iteratorINS9_10device_ptrIiEEEENSB_INSC_IjEEEENSB_INSC_IfEEEEjNS9_4plusIvEENS9_8equal_toIvEEjEE10hipError_tPvRmT2_T3_T4_T5_mT6_T7_P12ihipStream_tbENKUlT_T0_E_clISt17integral_constantIbLb1EES12_IbLb0EEEEDaSY_SZ_EUlSY_E_NS1_11comp_targetILNS1_3genE2ELNS1_11target_archE906ELNS1_3gpuE6ELNS1_3repE0EEENS1_30default_config_static_selectorELNS0_4arch9wavefront6targetE0EEEvT1_.num_vgpr, 0
	.set _ZN7rocprim17ROCPRIM_400000_NS6detail17trampoline_kernelINS0_14default_configENS1_27scan_by_key_config_selectorIijEEZZNS1_16scan_by_key_implILNS1_25lookback_scan_determinismE0ELb0ES3_N6thrust23THRUST_200600_302600_NS6detail15normal_iteratorINS9_10device_ptrIiEEEENSB_INSC_IjEEEENSB_INSC_IfEEEEjNS9_4plusIvEENS9_8equal_toIvEEjEE10hipError_tPvRmT2_T3_T4_T5_mT6_T7_P12ihipStream_tbENKUlT_T0_E_clISt17integral_constantIbLb1EES12_IbLb0EEEEDaSY_SZ_EUlSY_E_NS1_11comp_targetILNS1_3genE2ELNS1_11target_archE906ELNS1_3gpuE6ELNS1_3repE0EEENS1_30default_config_static_selectorELNS0_4arch9wavefront6targetE0EEEvT1_.num_agpr, 0
	.set _ZN7rocprim17ROCPRIM_400000_NS6detail17trampoline_kernelINS0_14default_configENS1_27scan_by_key_config_selectorIijEEZZNS1_16scan_by_key_implILNS1_25lookback_scan_determinismE0ELb0ES3_N6thrust23THRUST_200600_302600_NS6detail15normal_iteratorINS9_10device_ptrIiEEEENSB_INSC_IjEEEENSB_INSC_IfEEEEjNS9_4plusIvEENS9_8equal_toIvEEjEE10hipError_tPvRmT2_T3_T4_T5_mT6_T7_P12ihipStream_tbENKUlT_T0_E_clISt17integral_constantIbLb1EES12_IbLb0EEEEDaSY_SZ_EUlSY_E_NS1_11comp_targetILNS1_3genE2ELNS1_11target_archE906ELNS1_3gpuE6ELNS1_3repE0EEENS1_30default_config_static_selectorELNS0_4arch9wavefront6targetE0EEEvT1_.numbered_sgpr, 0
	.set _ZN7rocprim17ROCPRIM_400000_NS6detail17trampoline_kernelINS0_14default_configENS1_27scan_by_key_config_selectorIijEEZZNS1_16scan_by_key_implILNS1_25lookback_scan_determinismE0ELb0ES3_N6thrust23THRUST_200600_302600_NS6detail15normal_iteratorINS9_10device_ptrIiEEEENSB_INSC_IjEEEENSB_INSC_IfEEEEjNS9_4plusIvEENS9_8equal_toIvEEjEE10hipError_tPvRmT2_T3_T4_T5_mT6_T7_P12ihipStream_tbENKUlT_T0_E_clISt17integral_constantIbLb1EES12_IbLb0EEEEDaSY_SZ_EUlSY_E_NS1_11comp_targetILNS1_3genE2ELNS1_11target_archE906ELNS1_3gpuE6ELNS1_3repE0EEENS1_30default_config_static_selectorELNS0_4arch9wavefront6targetE0EEEvT1_.num_named_barrier, 0
	.set _ZN7rocprim17ROCPRIM_400000_NS6detail17trampoline_kernelINS0_14default_configENS1_27scan_by_key_config_selectorIijEEZZNS1_16scan_by_key_implILNS1_25lookback_scan_determinismE0ELb0ES3_N6thrust23THRUST_200600_302600_NS6detail15normal_iteratorINS9_10device_ptrIiEEEENSB_INSC_IjEEEENSB_INSC_IfEEEEjNS9_4plusIvEENS9_8equal_toIvEEjEE10hipError_tPvRmT2_T3_T4_T5_mT6_T7_P12ihipStream_tbENKUlT_T0_E_clISt17integral_constantIbLb1EES12_IbLb0EEEEDaSY_SZ_EUlSY_E_NS1_11comp_targetILNS1_3genE2ELNS1_11target_archE906ELNS1_3gpuE6ELNS1_3repE0EEENS1_30default_config_static_selectorELNS0_4arch9wavefront6targetE0EEEvT1_.private_seg_size, 0
	.set _ZN7rocprim17ROCPRIM_400000_NS6detail17trampoline_kernelINS0_14default_configENS1_27scan_by_key_config_selectorIijEEZZNS1_16scan_by_key_implILNS1_25lookback_scan_determinismE0ELb0ES3_N6thrust23THRUST_200600_302600_NS6detail15normal_iteratorINS9_10device_ptrIiEEEENSB_INSC_IjEEEENSB_INSC_IfEEEEjNS9_4plusIvEENS9_8equal_toIvEEjEE10hipError_tPvRmT2_T3_T4_T5_mT6_T7_P12ihipStream_tbENKUlT_T0_E_clISt17integral_constantIbLb1EES12_IbLb0EEEEDaSY_SZ_EUlSY_E_NS1_11comp_targetILNS1_3genE2ELNS1_11target_archE906ELNS1_3gpuE6ELNS1_3repE0EEENS1_30default_config_static_selectorELNS0_4arch9wavefront6targetE0EEEvT1_.uses_vcc, 0
	.set _ZN7rocprim17ROCPRIM_400000_NS6detail17trampoline_kernelINS0_14default_configENS1_27scan_by_key_config_selectorIijEEZZNS1_16scan_by_key_implILNS1_25lookback_scan_determinismE0ELb0ES3_N6thrust23THRUST_200600_302600_NS6detail15normal_iteratorINS9_10device_ptrIiEEEENSB_INSC_IjEEEENSB_INSC_IfEEEEjNS9_4plusIvEENS9_8equal_toIvEEjEE10hipError_tPvRmT2_T3_T4_T5_mT6_T7_P12ihipStream_tbENKUlT_T0_E_clISt17integral_constantIbLb1EES12_IbLb0EEEEDaSY_SZ_EUlSY_E_NS1_11comp_targetILNS1_3genE2ELNS1_11target_archE906ELNS1_3gpuE6ELNS1_3repE0EEENS1_30default_config_static_selectorELNS0_4arch9wavefront6targetE0EEEvT1_.uses_flat_scratch, 0
	.set _ZN7rocprim17ROCPRIM_400000_NS6detail17trampoline_kernelINS0_14default_configENS1_27scan_by_key_config_selectorIijEEZZNS1_16scan_by_key_implILNS1_25lookback_scan_determinismE0ELb0ES3_N6thrust23THRUST_200600_302600_NS6detail15normal_iteratorINS9_10device_ptrIiEEEENSB_INSC_IjEEEENSB_INSC_IfEEEEjNS9_4plusIvEENS9_8equal_toIvEEjEE10hipError_tPvRmT2_T3_T4_T5_mT6_T7_P12ihipStream_tbENKUlT_T0_E_clISt17integral_constantIbLb1EES12_IbLb0EEEEDaSY_SZ_EUlSY_E_NS1_11comp_targetILNS1_3genE2ELNS1_11target_archE906ELNS1_3gpuE6ELNS1_3repE0EEENS1_30default_config_static_selectorELNS0_4arch9wavefront6targetE0EEEvT1_.has_dyn_sized_stack, 0
	.set _ZN7rocprim17ROCPRIM_400000_NS6detail17trampoline_kernelINS0_14default_configENS1_27scan_by_key_config_selectorIijEEZZNS1_16scan_by_key_implILNS1_25lookback_scan_determinismE0ELb0ES3_N6thrust23THRUST_200600_302600_NS6detail15normal_iteratorINS9_10device_ptrIiEEEENSB_INSC_IjEEEENSB_INSC_IfEEEEjNS9_4plusIvEENS9_8equal_toIvEEjEE10hipError_tPvRmT2_T3_T4_T5_mT6_T7_P12ihipStream_tbENKUlT_T0_E_clISt17integral_constantIbLb1EES12_IbLb0EEEEDaSY_SZ_EUlSY_E_NS1_11comp_targetILNS1_3genE2ELNS1_11target_archE906ELNS1_3gpuE6ELNS1_3repE0EEENS1_30default_config_static_selectorELNS0_4arch9wavefront6targetE0EEEvT1_.has_recursion, 0
	.set _ZN7rocprim17ROCPRIM_400000_NS6detail17trampoline_kernelINS0_14default_configENS1_27scan_by_key_config_selectorIijEEZZNS1_16scan_by_key_implILNS1_25lookback_scan_determinismE0ELb0ES3_N6thrust23THRUST_200600_302600_NS6detail15normal_iteratorINS9_10device_ptrIiEEEENSB_INSC_IjEEEENSB_INSC_IfEEEEjNS9_4plusIvEENS9_8equal_toIvEEjEE10hipError_tPvRmT2_T3_T4_T5_mT6_T7_P12ihipStream_tbENKUlT_T0_E_clISt17integral_constantIbLb1EES12_IbLb0EEEEDaSY_SZ_EUlSY_E_NS1_11comp_targetILNS1_3genE2ELNS1_11target_archE906ELNS1_3gpuE6ELNS1_3repE0EEENS1_30default_config_static_selectorELNS0_4arch9wavefront6targetE0EEEvT1_.has_indirect_call, 0
	.section	.AMDGPU.csdata,"",@progbits
; Kernel info:
; codeLenInByte = 0
; TotalNumSgprs: 0
; NumVgprs: 0
; ScratchSize: 0
; MemoryBound: 0
; FloatMode: 240
; IeeeMode: 1
; LDSByteSize: 0 bytes/workgroup (compile time only)
; SGPRBlocks: 0
; VGPRBlocks: 0
; NumSGPRsForWavesPerEU: 1
; NumVGPRsForWavesPerEU: 1
; NamedBarCnt: 0
; Occupancy: 16
; WaveLimiterHint : 0
; COMPUTE_PGM_RSRC2:SCRATCH_EN: 0
; COMPUTE_PGM_RSRC2:USER_SGPR: 2
; COMPUTE_PGM_RSRC2:TRAP_HANDLER: 0
; COMPUTE_PGM_RSRC2:TGID_X_EN: 1
; COMPUTE_PGM_RSRC2:TGID_Y_EN: 0
; COMPUTE_PGM_RSRC2:TGID_Z_EN: 0
; COMPUTE_PGM_RSRC2:TIDIG_COMP_CNT: 0
	.section	.text._ZN7rocprim17ROCPRIM_400000_NS6detail17trampoline_kernelINS0_14default_configENS1_27scan_by_key_config_selectorIijEEZZNS1_16scan_by_key_implILNS1_25lookback_scan_determinismE0ELb0ES3_N6thrust23THRUST_200600_302600_NS6detail15normal_iteratorINS9_10device_ptrIiEEEENSB_INSC_IjEEEENSB_INSC_IfEEEEjNS9_4plusIvEENS9_8equal_toIvEEjEE10hipError_tPvRmT2_T3_T4_T5_mT6_T7_P12ihipStream_tbENKUlT_T0_E_clISt17integral_constantIbLb1EES12_IbLb0EEEEDaSY_SZ_EUlSY_E_NS1_11comp_targetILNS1_3genE10ELNS1_11target_archE1200ELNS1_3gpuE4ELNS1_3repE0EEENS1_30default_config_static_selectorELNS0_4arch9wavefront6targetE0EEEvT1_,"axG",@progbits,_ZN7rocprim17ROCPRIM_400000_NS6detail17trampoline_kernelINS0_14default_configENS1_27scan_by_key_config_selectorIijEEZZNS1_16scan_by_key_implILNS1_25lookback_scan_determinismE0ELb0ES3_N6thrust23THRUST_200600_302600_NS6detail15normal_iteratorINS9_10device_ptrIiEEEENSB_INSC_IjEEEENSB_INSC_IfEEEEjNS9_4plusIvEENS9_8equal_toIvEEjEE10hipError_tPvRmT2_T3_T4_T5_mT6_T7_P12ihipStream_tbENKUlT_T0_E_clISt17integral_constantIbLb1EES12_IbLb0EEEEDaSY_SZ_EUlSY_E_NS1_11comp_targetILNS1_3genE10ELNS1_11target_archE1200ELNS1_3gpuE4ELNS1_3repE0EEENS1_30default_config_static_selectorELNS0_4arch9wavefront6targetE0EEEvT1_,comdat
	.protected	_ZN7rocprim17ROCPRIM_400000_NS6detail17trampoline_kernelINS0_14default_configENS1_27scan_by_key_config_selectorIijEEZZNS1_16scan_by_key_implILNS1_25lookback_scan_determinismE0ELb0ES3_N6thrust23THRUST_200600_302600_NS6detail15normal_iteratorINS9_10device_ptrIiEEEENSB_INSC_IjEEEENSB_INSC_IfEEEEjNS9_4plusIvEENS9_8equal_toIvEEjEE10hipError_tPvRmT2_T3_T4_T5_mT6_T7_P12ihipStream_tbENKUlT_T0_E_clISt17integral_constantIbLb1EES12_IbLb0EEEEDaSY_SZ_EUlSY_E_NS1_11comp_targetILNS1_3genE10ELNS1_11target_archE1200ELNS1_3gpuE4ELNS1_3repE0EEENS1_30default_config_static_selectorELNS0_4arch9wavefront6targetE0EEEvT1_ ; -- Begin function _ZN7rocprim17ROCPRIM_400000_NS6detail17trampoline_kernelINS0_14default_configENS1_27scan_by_key_config_selectorIijEEZZNS1_16scan_by_key_implILNS1_25lookback_scan_determinismE0ELb0ES3_N6thrust23THRUST_200600_302600_NS6detail15normal_iteratorINS9_10device_ptrIiEEEENSB_INSC_IjEEEENSB_INSC_IfEEEEjNS9_4plusIvEENS9_8equal_toIvEEjEE10hipError_tPvRmT2_T3_T4_T5_mT6_T7_P12ihipStream_tbENKUlT_T0_E_clISt17integral_constantIbLb1EES12_IbLb0EEEEDaSY_SZ_EUlSY_E_NS1_11comp_targetILNS1_3genE10ELNS1_11target_archE1200ELNS1_3gpuE4ELNS1_3repE0EEENS1_30default_config_static_selectorELNS0_4arch9wavefront6targetE0EEEvT1_
	.globl	_ZN7rocprim17ROCPRIM_400000_NS6detail17trampoline_kernelINS0_14default_configENS1_27scan_by_key_config_selectorIijEEZZNS1_16scan_by_key_implILNS1_25lookback_scan_determinismE0ELb0ES3_N6thrust23THRUST_200600_302600_NS6detail15normal_iteratorINS9_10device_ptrIiEEEENSB_INSC_IjEEEENSB_INSC_IfEEEEjNS9_4plusIvEENS9_8equal_toIvEEjEE10hipError_tPvRmT2_T3_T4_T5_mT6_T7_P12ihipStream_tbENKUlT_T0_E_clISt17integral_constantIbLb1EES12_IbLb0EEEEDaSY_SZ_EUlSY_E_NS1_11comp_targetILNS1_3genE10ELNS1_11target_archE1200ELNS1_3gpuE4ELNS1_3repE0EEENS1_30default_config_static_selectorELNS0_4arch9wavefront6targetE0EEEvT1_
	.p2align	8
	.type	_ZN7rocprim17ROCPRIM_400000_NS6detail17trampoline_kernelINS0_14default_configENS1_27scan_by_key_config_selectorIijEEZZNS1_16scan_by_key_implILNS1_25lookback_scan_determinismE0ELb0ES3_N6thrust23THRUST_200600_302600_NS6detail15normal_iteratorINS9_10device_ptrIiEEEENSB_INSC_IjEEEENSB_INSC_IfEEEEjNS9_4plusIvEENS9_8equal_toIvEEjEE10hipError_tPvRmT2_T3_T4_T5_mT6_T7_P12ihipStream_tbENKUlT_T0_E_clISt17integral_constantIbLb1EES12_IbLb0EEEEDaSY_SZ_EUlSY_E_NS1_11comp_targetILNS1_3genE10ELNS1_11target_archE1200ELNS1_3gpuE4ELNS1_3repE0EEENS1_30default_config_static_selectorELNS0_4arch9wavefront6targetE0EEEvT1_,@function
_ZN7rocprim17ROCPRIM_400000_NS6detail17trampoline_kernelINS0_14default_configENS1_27scan_by_key_config_selectorIijEEZZNS1_16scan_by_key_implILNS1_25lookback_scan_determinismE0ELb0ES3_N6thrust23THRUST_200600_302600_NS6detail15normal_iteratorINS9_10device_ptrIiEEEENSB_INSC_IjEEEENSB_INSC_IfEEEEjNS9_4plusIvEENS9_8equal_toIvEEjEE10hipError_tPvRmT2_T3_T4_T5_mT6_T7_P12ihipStream_tbENKUlT_T0_E_clISt17integral_constantIbLb1EES12_IbLb0EEEEDaSY_SZ_EUlSY_E_NS1_11comp_targetILNS1_3genE10ELNS1_11target_archE1200ELNS1_3gpuE4ELNS1_3repE0EEENS1_30default_config_static_selectorELNS0_4arch9wavefront6targetE0EEEvT1_: ; @_ZN7rocprim17ROCPRIM_400000_NS6detail17trampoline_kernelINS0_14default_configENS1_27scan_by_key_config_selectorIijEEZZNS1_16scan_by_key_implILNS1_25lookback_scan_determinismE0ELb0ES3_N6thrust23THRUST_200600_302600_NS6detail15normal_iteratorINS9_10device_ptrIiEEEENSB_INSC_IjEEEENSB_INSC_IfEEEEjNS9_4plusIvEENS9_8equal_toIvEEjEE10hipError_tPvRmT2_T3_T4_T5_mT6_T7_P12ihipStream_tbENKUlT_T0_E_clISt17integral_constantIbLb1EES12_IbLb0EEEEDaSY_SZ_EUlSY_E_NS1_11comp_targetILNS1_3genE10ELNS1_11target_archE1200ELNS1_3gpuE4ELNS1_3repE0EEENS1_30default_config_static_selectorELNS0_4arch9wavefront6targetE0EEEvT1_
; %bb.0:
	.section	.rodata,"a",@progbits
	.p2align	6, 0x0
	.amdhsa_kernel _ZN7rocprim17ROCPRIM_400000_NS6detail17trampoline_kernelINS0_14default_configENS1_27scan_by_key_config_selectorIijEEZZNS1_16scan_by_key_implILNS1_25lookback_scan_determinismE0ELb0ES3_N6thrust23THRUST_200600_302600_NS6detail15normal_iteratorINS9_10device_ptrIiEEEENSB_INSC_IjEEEENSB_INSC_IfEEEEjNS9_4plusIvEENS9_8equal_toIvEEjEE10hipError_tPvRmT2_T3_T4_T5_mT6_T7_P12ihipStream_tbENKUlT_T0_E_clISt17integral_constantIbLb1EES12_IbLb0EEEEDaSY_SZ_EUlSY_E_NS1_11comp_targetILNS1_3genE10ELNS1_11target_archE1200ELNS1_3gpuE4ELNS1_3repE0EEENS1_30default_config_static_selectorELNS0_4arch9wavefront6targetE0EEEvT1_
		.amdhsa_group_segment_fixed_size 0
		.amdhsa_private_segment_fixed_size 0
		.amdhsa_kernarg_size 112
		.amdhsa_user_sgpr_count 2
		.amdhsa_user_sgpr_dispatch_ptr 0
		.amdhsa_user_sgpr_queue_ptr 0
		.amdhsa_user_sgpr_kernarg_segment_ptr 1
		.amdhsa_user_sgpr_dispatch_id 0
		.amdhsa_user_sgpr_kernarg_preload_length 0
		.amdhsa_user_sgpr_kernarg_preload_offset 0
		.amdhsa_user_sgpr_private_segment_size 0
		.amdhsa_wavefront_size32 1
		.amdhsa_uses_dynamic_stack 0
		.amdhsa_enable_private_segment 0
		.amdhsa_system_sgpr_workgroup_id_x 1
		.amdhsa_system_sgpr_workgroup_id_y 0
		.amdhsa_system_sgpr_workgroup_id_z 0
		.amdhsa_system_sgpr_workgroup_info 0
		.amdhsa_system_vgpr_workitem_id 0
		.amdhsa_next_free_vgpr 1
		.amdhsa_next_free_sgpr 1
		.amdhsa_named_barrier_count 0
		.amdhsa_reserve_vcc 0
		.amdhsa_float_round_mode_32 0
		.amdhsa_float_round_mode_16_64 0
		.amdhsa_float_denorm_mode_32 3
		.amdhsa_float_denorm_mode_16_64 3
		.amdhsa_fp16_overflow 0
		.amdhsa_memory_ordered 1
		.amdhsa_forward_progress 1
		.amdhsa_inst_pref_size 0
		.amdhsa_round_robin_scheduling 0
		.amdhsa_exception_fp_ieee_invalid_op 0
		.amdhsa_exception_fp_denorm_src 0
		.amdhsa_exception_fp_ieee_div_zero 0
		.amdhsa_exception_fp_ieee_overflow 0
		.amdhsa_exception_fp_ieee_underflow 0
		.amdhsa_exception_fp_ieee_inexact 0
		.amdhsa_exception_int_div_zero 0
	.end_amdhsa_kernel
	.section	.text._ZN7rocprim17ROCPRIM_400000_NS6detail17trampoline_kernelINS0_14default_configENS1_27scan_by_key_config_selectorIijEEZZNS1_16scan_by_key_implILNS1_25lookback_scan_determinismE0ELb0ES3_N6thrust23THRUST_200600_302600_NS6detail15normal_iteratorINS9_10device_ptrIiEEEENSB_INSC_IjEEEENSB_INSC_IfEEEEjNS9_4plusIvEENS9_8equal_toIvEEjEE10hipError_tPvRmT2_T3_T4_T5_mT6_T7_P12ihipStream_tbENKUlT_T0_E_clISt17integral_constantIbLb1EES12_IbLb0EEEEDaSY_SZ_EUlSY_E_NS1_11comp_targetILNS1_3genE10ELNS1_11target_archE1200ELNS1_3gpuE4ELNS1_3repE0EEENS1_30default_config_static_selectorELNS0_4arch9wavefront6targetE0EEEvT1_,"axG",@progbits,_ZN7rocprim17ROCPRIM_400000_NS6detail17trampoline_kernelINS0_14default_configENS1_27scan_by_key_config_selectorIijEEZZNS1_16scan_by_key_implILNS1_25lookback_scan_determinismE0ELb0ES3_N6thrust23THRUST_200600_302600_NS6detail15normal_iteratorINS9_10device_ptrIiEEEENSB_INSC_IjEEEENSB_INSC_IfEEEEjNS9_4plusIvEENS9_8equal_toIvEEjEE10hipError_tPvRmT2_T3_T4_T5_mT6_T7_P12ihipStream_tbENKUlT_T0_E_clISt17integral_constantIbLb1EES12_IbLb0EEEEDaSY_SZ_EUlSY_E_NS1_11comp_targetILNS1_3genE10ELNS1_11target_archE1200ELNS1_3gpuE4ELNS1_3repE0EEENS1_30default_config_static_selectorELNS0_4arch9wavefront6targetE0EEEvT1_,comdat
.Lfunc_end1668:
	.size	_ZN7rocprim17ROCPRIM_400000_NS6detail17trampoline_kernelINS0_14default_configENS1_27scan_by_key_config_selectorIijEEZZNS1_16scan_by_key_implILNS1_25lookback_scan_determinismE0ELb0ES3_N6thrust23THRUST_200600_302600_NS6detail15normal_iteratorINS9_10device_ptrIiEEEENSB_INSC_IjEEEENSB_INSC_IfEEEEjNS9_4plusIvEENS9_8equal_toIvEEjEE10hipError_tPvRmT2_T3_T4_T5_mT6_T7_P12ihipStream_tbENKUlT_T0_E_clISt17integral_constantIbLb1EES12_IbLb0EEEEDaSY_SZ_EUlSY_E_NS1_11comp_targetILNS1_3genE10ELNS1_11target_archE1200ELNS1_3gpuE4ELNS1_3repE0EEENS1_30default_config_static_selectorELNS0_4arch9wavefront6targetE0EEEvT1_, .Lfunc_end1668-_ZN7rocprim17ROCPRIM_400000_NS6detail17trampoline_kernelINS0_14default_configENS1_27scan_by_key_config_selectorIijEEZZNS1_16scan_by_key_implILNS1_25lookback_scan_determinismE0ELb0ES3_N6thrust23THRUST_200600_302600_NS6detail15normal_iteratorINS9_10device_ptrIiEEEENSB_INSC_IjEEEENSB_INSC_IfEEEEjNS9_4plusIvEENS9_8equal_toIvEEjEE10hipError_tPvRmT2_T3_T4_T5_mT6_T7_P12ihipStream_tbENKUlT_T0_E_clISt17integral_constantIbLb1EES12_IbLb0EEEEDaSY_SZ_EUlSY_E_NS1_11comp_targetILNS1_3genE10ELNS1_11target_archE1200ELNS1_3gpuE4ELNS1_3repE0EEENS1_30default_config_static_selectorELNS0_4arch9wavefront6targetE0EEEvT1_
                                        ; -- End function
	.set _ZN7rocprim17ROCPRIM_400000_NS6detail17trampoline_kernelINS0_14default_configENS1_27scan_by_key_config_selectorIijEEZZNS1_16scan_by_key_implILNS1_25lookback_scan_determinismE0ELb0ES3_N6thrust23THRUST_200600_302600_NS6detail15normal_iteratorINS9_10device_ptrIiEEEENSB_INSC_IjEEEENSB_INSC_IfEEEEjNS9_4plusIvEENS9_8equal_toIvEEjEE10hipError_tPvRmT2_T3_T4_T5_mT6_T7_P12ihipStream_tbENKUlT_T0_E_clISt17integral_constantIbLb1EES12_IbLb0EEEEDaSY_SZ_EUlSY_E_NS1_11comp_targetILNS1_3genE10ELNS1_11target_archE1200ELNS1_3gpuE4ELNS1_3repE0EEENS1_30default_config_static_selectorELNS0_4arch9wavefront6targetE0EEEvT1_.num_vgpr, 0
	.set _ZN7rocprim17ROCPRIM_400000_NS6detail17trampoline_kernelINS0_14default_configENS1_27scan_by_key_config_selectorIijEEZZNS1_16scan_by_key_implILNS1_25lookback_scan_determinismE0ELb0ES3_N6thrust23THRUST_200600_302600_NS6detail15normal_iteratorINS9_10device_ptrIiEEEENSB_INSC_IjEEEENSB_INSC_IfEEEEjNS9_4plusIvEENS9_8equal_toIvEEjEE10hipError_tPvRmT2_T3_T4_T5_mT6_T7_P12ihipStream_tbENKUlT_T0_E_clISt17integral_constantIbLb1EES12_IbLb0EEEEDaSY_SZ_EUlSY_E_NS1_11comp_targetILNS1_3genE10ELNS1_11target_archE1200ELNS1_3gpuE4ELNS1_3repE0EEENS1_30default_config_static_selectorELNS0_4arch9wavefront6targetE0EEEvT1_.num_agpr, 0
	.set _ZN7rocprim17ROCPRIM_400000_NS6detail17trampoline_kernelINS0_14default_configENS1_27scan_by_key_config_selectorIijEEZZNS1_16scan_by_key_implILNS1_25lookback_scan_determinismE0ELb0ES3_N6thrust23THRUST_200600_302600_NS6detail15normal_iteratorINS9_10device_ptrIiEEEENSB_INSC_IjEEEENSB_INSC_IfEEEEjNS9_4plusIvEENS9_8equal_toIvEEjEE10hipError_tPvRmT2_T3_T4_T5_mT6_T7_P12ihipStream_tbENKUlT_T0_E_clISt17integral_constantIbLb1EES12_IbLb0EEEEDaSY_SZ_EUlSY_E_NS1_11comp_targetILNS1_3genE10ELNS1_11target_archE1200ELNS1_3gpuE4ELNS1_3repE0EEENS1_30default_config_static_selectorELNS0_4arch9wavefront6targetE0EEEvT1_.numbered_sgpr, 0
	.set _ZN7rocprim17ROCPRIM_400000_NS6detail17trampoline_kernelINS0_14default_configENS1_27scan_by_key_config_selectorIijEEZZNS1_16scan_by_key_implILNS1_25lookback_scan_determinismE0ELb0ES3_N6thrust23THRUST_200600_302600_NS6detail15normal_iteratorINS9_10device_ptrIiEEEENSB_INSC_IjEEEENSB_INSC_IfEEEEjNS9_4plusIvEENS9_8equal_toIvEEjEE10hipError_tPvRmT2_T3_T4_T5_mT6_T7_P12ihipStream_tbENKUlT_T0_E_clISt17integral_constantIbLb1EES12_IbLb0EEEEDaSY_SZ_EUlSY_E_NS1_11comp_targetILNS1_3genE10ELNS1_11target_archE1200ELNS1_3gpuE4ELNS1_3repE0EEENS1_30default_config_static_selectorELNS0_4arch9wavefront6targetE0EEEvT1_.num_named_barrier, 0
	.set _ZN7rocprim17ROCPRIM_400000_NS6detail17trampoline_kernelINS0_14default_configENS1_27scan_by_key_config_selectorIijEEZZNS1_16scan_by_key_implILNS1_25lookback_scan_determinismE0ELb0ES3_N6thrust23THRUST_200600_302600_NS6detail15normal_iteratorINS9_10device_ptrIiEEEENSB_INSC_IjEEEENSB_INSC_IfEEEEjNS9_4plusIvEENS9_8equal_toIvEEjEE10hipError_tPvRmT2_T3_T4_T5_mT6_T7_P12ihipStream_tbENKUlT_T0_E_clISt17integral_constantIbLb1EES12_IbLb0EEEEDaSY_SZ_EUlSY_E_NS1_11comp_targetILNS1_3genE10ELNS1_11target_archE1200ELNS1_3gpuE4ELNS1_3repE0EEENS1_30default_config_static_selectorELNS0_4arch9wavefront6targetE0EEEvT1_.private_seg_size, 0
	.set _ZN7rocprim17ROCPRIM_400000_NS6detail17trampoline_kernelINS0_14default_configENS1_27scan_by_key_config_selectorIijEEZZNS1_16scan_by_key_implILNS1_25lookback_scan_determinismE0ELb0ES3_N6thrust23THRUST_200600_302600_NS6detail15normal_iteratorINS9_10device_ptrIiEEEENSB_INSC_IjEEEENSB_INSC_IfEEEEjNS9_4plusIvEENS9_8equal_toIvEEjEE10hipError_tPvRmT2_T3_T4_T5_mT6_T7_P12ihipStream_tbENKUlT_T0_E_clISt17integral_constantIbLb1EES12_IbLb0EEEEDaSY_SZ_EUlSY_E_NS1_11comp_targetILNS1_3genE10ELNS1_11target_archE1200ELNS1_3gpuE4ELNS1_3repE0EEENS1_30default_config_static_selectorELNS0_4arch9wavefront6targetE0EEEvT1_.uses_vcc, 0
	.set _ZN7rocprim17ROCPRIM_400000_NS6detail17trampoline_kernelINS0_14default_configENS1_27scan_by_key_config_selectorIijEEZZNS1_16scan_by_key_implILNS1_25lookback_scan_determinismE0ELb0ES3_N6thrust23THRUST_200600_302600_NS6detail15normal_iteratorINS9_10device_ptrIiEEEENSB_INSC_IjEEEENSB_INSC_IfEEEEjNS9_4plusIvEENS9_8equal_toIvEEjEE10hipError_tPvRmT2_T3_T4_T5_mT6_T7_P12ihipStream_tbENKUlT_T0_E_clISt17integral_constantIbLb1EES12_IbLb0EEEEDaSY_SZ_EUlSY_E_NS1_11comp_targetILNS1_3genE10ELNS1_11target_archE1200ELNS1_3gpuE4ELNS1_3repE0EEENS1_30default_config_static_selectorELNS0_4arch9wavefront6targetE0EEEvT1_.uses_flat_scratch, 0
	.set _ZN7rocprim17ROCPRIM_400000_NS6detail17trampoline_kernelINS0_14default_configENS1_27scan_by_key_config_selectorIijEEZZNS1_16scan_by_key_implILNS1_25lookback_scan_determinismE0ELb0ES3_N6thrust23THRUST_200600_302600_NS6detail15normal_iteratorINS9_10device_ptrIiEEEENSB_INSC_IjEEEENSB_INSC_IfEEEEjNS9_4plusIvEENS9_8equal_toIvEEjEE10hipError_tPvRmT2_T3_T4_T5_mT6_T7_P12ihipStream_tbENKUlT_T0_E_clISt17integral_constantIbLb1EES12_IbLb0EEEEDaSY_SZ_EUlSY_E_NS1_11comp_targetILNS1_3genE10ELNS1_11target_archE1200ELNS1_3gpuE4ELNS1_3repE0EEENS1_30default_config_static_selectorELNS0_4arch9wavefront6targetE0EEEvT1_.has_dyn_sized_stack, 0
	.set _ZN7rocprim17ROCPRIM_400000_NS6detail17trampoline_kernelINS0_14default_configENS1_27scan_by_key_config_selectorIijEEZZNS1_16scan_by_key_implILNS1_25lookback_scan_determinismE0ELb0ES3_N6thrust23THRUST_200600_302600_NS6detail15normal_iteratorINS9_10device_ptrIiEEEENSB_INSC_IjEEEENSB_INSC_IfEEEEjNS9_4plusIvEENS9_8equal_toIvEEjEE10hipError_tPvRmT2_T3_T4_T5_mT6_T7_P12ihipStream_tbENKUlT_T0_E_clISt17integral_constantIbLb1EES12_IbLb0EEEEDaSY_SZ_EUlSY_E_NS1_11comp_targetILNS1_3genE10ELNS1_11target_archE1200ELNS1_3gpuE4ELNS1_3repE0EEENS1_30default_config_static_selectorELNS0_4arch9wavefront6targetE0EEEvT1_.has_recursion, 0
	.set _ZN7rocprim17ROCPRIM_400000_NS6detail17trampoline_kernelINS0_14default_configENS1_27scan_by_key_config_selectorIijEEZZNS1_16scan_by_key_implILNS1_25lookback_scan_determinismE0ELb0ES3_N6thrust23THRUST_200600_302600_NS6detail15normal_iteratorINS9_10device_ptrIiEEEENSB_INSC_IjEEEENSB_INSC_IfEEEEjNS9_4plusIvEENS9_8equal_toIvEEjEE10hipError_tPvRmT2_T3_T4_T5_mT6_T7_P12ihipStream_tbENKUlT_T0_E_clISt17integral_constantIbLb1EES12_IbLb0EEEEDaSY_SZ_EUlSY_E_NS1_11comp_targetILNS1_3genE10ELNS1_11target_archE1200ELNS1_3gpuE4ELNS1_3repE0EEENS1_30default_config_static_selectorELNS0_4arch9wavefront6targetE0EEEvT1_.has_indirect_call, 0
	.section	.AMDGPU.csdata,"",@progbits
; Kernel info:
; codeLenInByte = 0
; TotalNumSgprs: 0
; NumVgprs: 0
; ScratchSize: 0
; MemoryBound: 0
; FloatMode: 240
; IeeeMode: 1
; LDSByteSize: 0 bytes/workgroup (compile time only)
; SGPRBlocks: 0
; VGPRBlocks: 0
; NumSGPRsForWavesPerEU: 1
; NumVGPRsForWavesPerEU: 1
; NamedBarCnt: 0
; Occupancy: 16
; WaveLimiterHint : 0
; COMPUTE_PGM_RSRC2:SCRATCH_EN: 0
; COMPUTE_PGM_RSRC2:USER_SGPR: 2
; COMPUTE_PGM_RSRC2:TRAP_HANDLER: 0
; COMPUTE_PGM_RSRC2:TGID_X_EN: 1
; COMPUTE_PGM_RSRC2:TGID_Y_EN: 0
; COMPUTE_PGM_RSRC2:TGID_Z_EN: 0
; COMPUTE_PGM_RSRC2:TIDIG_COMP_CNT: 0
	.section	.text._ZN7rocprim17ROCPRIM_400000_NS6detail17trampoline_kernelINS0_14default_configENS1_27scan_by_key_config_selectorIijEEZZNS1_16scan_by_key_implILNS1_25lookback_scan_determinismE0ELb0ES3_N6thrust23THRUST_200600_302600_NS6detail15normal_iteratorINS9_10device_ptrIiEEEENSB_INSC_IjEEEENSB_INSC_IfEEEEjNS9_4plusIvEENS9_8equal_toIvEEjEE10hipError_tPvRmT2_T3_T4_T5_mT6_T7_P12ihipStream_tbENKUlT_T0_E_clISt17integral_constantIbLb1EES12_IbLb0EEEEDaSY_SZ_EUlSY_E_NS1_11comp_targetILNS1_3genE9ELNS1_11target_archE1100ELNS1_3gpuE3ELNS1_3repE0EEENS1_30default_config_static_selectorELNS0_4arch9wavefront6targetE0EEEvT1_,"axG",@progbits,_ZN7rocprim17ROCPRIM_400000_NS6detail17trampoline_kernelINS0_14default_configENS1_27scan_by_key_config_selectorIijEEZZNS1_16scan_by_key_implILNS1_25lookback_scan_determinismE0ELb0ES3_N6thrust23THRUST_200600_302600_NS6detail15normal_iteratorINS9_10device_ptrIiEEEENSB_INSC_IjEEEENSB_INSC_IfEEEEjNS9_4plusIvEENS9_8equal_toIvEEjEE10hipError_tPvRmT2_T3_T4_T5_mT6_T7_P12ihipStream_tbENKUlT_T0_E_clISt17integral_constantIbLb1EES12_IbLb0EEEEDaSY_SZ_EUlSY_E_NS1_11comp_targetILNS1_3genE9ELNS1_11target_archE1100ELNS1_3gpuE3ELNS1_3repE0EEENS1_30default_config_static_selectorELNS0_4arch9wavefront6targetE0EEEvT1_,comdat
	.protected	_ZN7rocprim17ROCPRIM_400000_NS6detail17trampoline_kernelINS0_14default_configENS1_27scan_by_key_config_selectorIijEEZZNS1_16scan_by_key_implILNS1_25lookback_scan_determinismE0ELb0ES3_N6thrust23THRUST_200600_302600_NS6detail15normal_iteratorINS9_10device_ptrIiEEEENSB_INSC_IjEEEENSB_INSC_IfEEEEjNS9_4plusIvEENS9_8equal_toIvEEjEE10hipError_tPvRmT2_T3_T4_T5_mT6_T7_P12ihipStream_tbENKUlT_T0_E_clISt17integral_constantIbLb1EES12_IbLb0EEEEDaSY_SZ_EUlSY_E_NS1_11comp_targetILNS1_3genE9ELNS1_11target_archE1100ELNS1_3gpuE3ELNS1_3repE0EEENS1_30default_config_static_selectorELNS0_4arch9wavefront6targetE0EEEvT1_ ; -- Begin function _ZN7rocprim17ROCPRIM_400000_NS6detail17trampoline_kernelINS0_14default_configENS1_27scan_by_key_config_selectorIijEEZZNS1_16scan_by_key_implILNS1_25lookback_scan_determinismE0ELb0ES3_N6thrust23THRUST_200600_302600_NS6detail15normal_iteratorINS9_10device_ptrIiEEEENSB_INSC_IjEEEENSB_INSC_IfEEEEjNS9_4plusIvEENS9_8equal_toIvEEjEE10hipError_tPvRmT2_T3_T4_T5_mT6_T7_P12ihipStream_tbENKUlT_T0_E_clISt17integral_constantIbLb1EES12_IbLb0EEEEDaSY_SZ_EUlSY_E_NS1_11comp_targetILNS1_3genE9ELNS1_11target_archE1100ELNS1_3gpuE3ELNS1_3repE0EEENS1_30default_config_static_selectorELNS0_4arch9wavefront6targetE0EEEvT1_
	.globl	_ZN7rocprim17ROCPRIM_400000_NS6detail17trampoline_kernelINS0_14default_configENS1_27scan_by_key_config_selectorIijEEZZNS1_16scan_by_key_implILNS1_25lookback_scan_determinismE0ELb0ES3_N6thrust23THRUST_200600_302600_NS6detail15normal_iteratorINS9_10device_ptrIiEEEENSB_INSC_IjEEEENSB_INSC_IfEEEEjNS9_4plusIvEENS9_8equal_toIvEEjEE10hipError_tPvRmT2_T3_T4_T5_mT6_T7_P12ihipStream_tbENKUlT_T0_E_clISt17integral_constantIbLb1EES12_IbLb0EEEEDaSY_SZ_EUlSY_E_NS1_11comp_targetILNS1_3genE9ELNS1_11target_archE1100ELNS1_3gpuE3ELNS1_3repE0EEENS1_30default_config_static_selectorELNS0_4arch9wavefront6targetE0EEEvT1_
	.p2align	8
	.type	_ZN7rocprim17ROCPRIM_400000_NS6detail17trampoline_kernelINS0_14default_configENS1_27scan_by_key_config_selectorIijEEZZNS1_16scan_by_key_implILNS1_25lookback_scan_determinismE0ELb0ES3_N6thrust23THRUST_200600_302600_NS6detail15normal_iteratorINS9_10device_ptrIiEEEENSB_INSC_IjEEEENSB_INSC_IfEEEEjNS9_4plusIvEENS9_8equal_toIvEEjEE10hipError_tPvRmT2_T3_T4_T5_mT6_T7_P12ihipStream_tbENKUlT_T0_E_clISt17integral_constantIbLb1EES12_IbLb0EEEEDaSY_SZ_EUlSY_E_NS1_11comp_targetILNS1_3genE9ELNS1_11target_archE1100ELNS1_3gpuE3ELNS1_3repE0EEENS1_30default_config_static_selectorELNS0_4arch9wavefront6targetE0EEEvT1_,@function
_ZN7rocprim17ROCPRIM_400000_NS6detail17trampoline_kernelINS0_14default_configENS1_27scan_by_key_config_selectorIijEEZZNS1_16scan_by_key_implILNS1_25lookback_scan_determinismE0ELb0ES3_N6thrust23THRUST_200600_302600_NS6detail15normal_iteratorINS9_10device_ptrIiEEEENSB_INSC_IjEEEENSB_INSC_IfEEEEjNS9_4plusIvEENS9_8equal_toIvEEjEE10hipError_tPvRmT2_T3_T4_T5_mT6_T7_P12ihipStream_tbENKUlT_T0_E_clISt17integral_constantIbLb1EES12_IbLb0EEEEDaSY_SZ_EUlSY_E_NS1_11comp_targetILNS1_3genE9ELNS1_11target_archE1100ELNS1_3gpuE3ELNS1_3repE0EEENS1_30default_config_static_selectorELNS0_4arch9wavefront6targetE0EEEvT1_: ; @_ZN7rocprim17ROCPRIM_400000_NS6detail17trampoline_kernelINS0_14default_configENS1_27scan_by_key_config_selectorIijEEZZNS1_16scan_by_key_implILNS1_25lookback_scan_determinismE0ELb0ES3_N6thrust23THRUST_200600_302600_NS6detail15normal_iteratorINS9_10device_ptrIiEEEENSB_INSC_IjEEEENSB_INSC_IfEEEEjNS9_4plusIvEENS9_8equal_toIvEEjEE10hipError_tPvRmT2_T3_T4_T5_mT6_T7_P12ihipStream_tbENKUlT_T0_E_clISt17integral_constantIbLb1EES12_IbLb0EEEEDaSY_SZ_EUlSY_E_NS1_11comp_targetILNS1_3genE9ELNS1_11target_archE1100ELNS1_3gpuE3ELNS1_3repE0EEENS1_30default_config_static_selectorELNS0_4arch9wavefront6targetE0EEEvT1_
; %bb.0:
	.section	.rodata,"a",@progbits
	.p2align	6, 0x0
	.amdhsa_kernel _ZN7rocprim17ROCPRIM_400000_NS6detail17trampoline_kernelINS0_14default_configENS1_27scan_by_key_config_selectorIijEEZZNS1_16scan_by_key_implILNS1_25lookback_scan_determinismE0ELb0ES3_N6thrust23THRUST_200600_302600_NS6detail15normal_iteratorINS9_10device_ptrIiEEEENSB_INSC_IjEEEENSB_INSC_IfEEEEjNS9_4plusIvEENS9_8equal_toIvEEjEE10hipError_tPvRmT2_T3_T4_T5_mT6_T7_P12ihipStream_tbENKUlT_T0_E_clISt17integral_constantIbLb1EES12_IbLb0EEEEDaSY_SZ_EUlSY_E_NS1_11comp_targetILNS1_3genE9ELNS1_11target_archE1100ELNS1_3gpuE3ELNS1_3repE0EEENS1_30default_config_static_selectorELNS0_4arch9wavefront6targetE0EEEvT1_
		.amdhsa_group_segment_fixed_size 0
		.amdhsa_private_segment_fixed_size 0
		.amdhsa_kernarg_size 112
		.amdhsa_user_sgpr_count 2
		.amdhsa_user_sgpr_dispatch_ptr 0
		.amdhsa_user_sgpr_queue_ptr 0
		.amdhsa_user_sgpr_kernarg_segment_ptr 1
		.amdhsa_user_sgpr_dispatch_id 0
		.amdhsa_user_sgpr_kernarg_preload_length 0
		.amdhsa_user_sgpr_kernarg_preload_offset 0
		.amdhsa_user_sgpr_private_segment_size 0
		.amdhsa_wavefront_size32 1
		.amdhsa_uses_dynamic_stack 0
		.amdhsa_enable_private_segment 0
		.amdhsa_system_sgpr_workgroup_id_x 1
		.amdhsa_system_sgpr_workgroup_id_y 0
		.amdhsa_system_sgpr_workgroup_id_z 0
		.amdhsa_system_sgpr_workgroup_info 0
		.amdhsa_system_vgpr_workitem_id 0
		.amdhsa_next_free_vgpr 1
		.amdhsa_next_free_sgpr 1
		.amdhsa_named_barrier_count 0
		.amdhsa_reserve_vcc 0
		.amdhsa_float_round_mode_32 0
		.amdhsa_float_round_mode_16_64 0
		.amdhsa_float_denorm_mode_32 3
		.amdhsa_float_denorm_mode_16_64 3
		.amdhsa_fp16_overflow 0
		.amdhsa_memory_ordered 1
		.amdhsa_forward_progress 1
		.amdhsa_inst_pref_size 0
		.amdhsa_round_robin_scheduling 0
		.amdhsa_exception_fp_ieee_invalid_op 0
		.amdhsa_exception_fp_denorm_src 0
		.amdhsa_exception_fp_ieee_div_zero 0
		.amdhsa_exception_fp_ieee_overflow 0
		.amdhsa_exception_fp_ieee_underflow 0
		.amdhsa_exception_fp_ieee_inexact 0
		.amdhsa_exception_int_div_zero 0
	.end_amdhsa_kernel
	.section	.text._ZN7rocprim17ROCPRIM_400000_NS6detail17trampoline_kernelINS0_14default_configENS1_27scan_by_key_config_selectorIijEEZZNS1_16scan_by_key_implILNS1_25lookback_scan_determinismE0ELb0ES3_N6thrust23THRUST_200600_302600_NS6detail15normal_iteratorINS9_10device_ptrIiEEEENSB_INSC_IjEEEENSB_INSC_IfEEEEjNS9_4plusIvEENS9_8equal_toIvEEjEE10hipError_tPvRmT2_T3_T4_T5_mT6_T7_P12ihipStream_tbENKUlT_T0_E_clISt17integral_constantIbLb1EES12_IbLb0EEEEDaSY_SZ_EUlSY_E_NS1_11comp_targetILNS1_3genE9ELNS1_11target_archE1100ELNS1_3gpuE3ELNS1_3repE0EEENS1_30default_config_static_selectorELNS0_4arch9wavefront6targetE0EEEvT1_,"axG",@progbits,_ZN7rocprim17ROCPRIM_400000_NS6detail17trampoline_kernelINS0_14default_configENS1_27scan_by_key_config_selectorIijEEZZNS1_16scan_by_key_implILNS1_25lookback_scan_determinismE0ELb0ES3_N6thrust23THRUST_200600_302600_NS6detail15normal_iteratorINS9_10device_ptrIiEEEENSB_INSC_IjEEEENSB_INSC_IfEEEEjNS9_4plusIvEENS9_8equal_toIvEEjEE10hipError_tPvRmT2_T3_T4_T5_mT6_T7_P12ihipStream_tbENKUlT_T0_E_clISt17integral_constantIbLb1EES12_IbLb0EEEEDaSY_SZ_EUlSY_E_NS1_11comp_targetILNS1_3genE9ELNS1_11target_archE1100ELNS1_3gpuE3ELNS1_3repE0EEENS1_30default_config_static_selectorELNS0_4arch9wavefront6targetE0EEEvT1_,comdat
.Lfunc_end1669:
	.size	_ZN7rocprim17ROCPRIM_400000_NS6detail17trampoline_kernelINS0_14default_configENS1_27scan_by_key_config_selectorIijEEZZNS1_16scan_by_key_implILNS1_25lookback_scan_determinismE0ELb0ES3_N6thrust23THRUST_200600_302600_NS6detail15normal_iteratorINS9_10device_ptrIiEEEENSB_INSC_IjEEEENSB_INSC_IfEEEEjNS9_4plusIvEENS9_8equal_toIvEEjEE10hipError_tPvRmT2_T3_T4_T5_mT6_T7_P12ihipStream_tbENKUlT_T0_E_clISt17integral_constantIbLb1EES12_IbLb0EEEEDaSY_SZ_EUlSY_E_NS1_11comp_targetILNS1_3genE9ELNS1_11target_archE1100ELNS1_3gpuE3ELNS1_3repE0EEENS1_30default_config_static_selectorELNS0_4arch9wavefront6targetE0EEEvT1_, .Lfunc_end1669-_ZN7rocprim17ROCPRIM_400000_NS6detail17trampoline_kernelINS0_14default_configENS1_27scan_by_key_config_selectorIijEEZZNS1_16scan_by_key_implILNS1_25lookback_scan_determinismE0ELb0ES3_N6thrust23THRUST_200600_302600_NS6detail15normal_iteratorINS9_10device_ptrIiEEEENSB_INSC_IjEEEENSB_INSC_IfEEEEjNS9_4plusIvEENS9_8equal_toIvEEjEE10hipError_tPvRmT2_T3_T4_T5_mT6_T7_P12ihipStream_tbENKUlT_T0_E_clISt17integral_constantIbLb1EES12_IbLb0EEEEDaSY_SZ_EUlSY_E_NS1_11comp_targetILNS1_3genE9ELNS1_11target_archE1100ELNS1_3gpuE3ELNS1_3repE0EEENS1_30default_config_static_selectorELNS0_4arch9wavefront6targetE0EEEvT1_
                                        ; -- End function
	.set _ZN7rocprim17ROCPRIM_400000_NS6detail17trampoline_kernelINS0_14default_configENS1_27scan_by_key_config_selectorIijEEZZNS1_16scan_by_key_implILNS1_25lookback_scan_determinismE0ELb0ES3_N6thrust23THRUST_200600_302600_NS6detail15normal_iteratorINS9_10device_ptrIiEEEENSB_INSC_IjEEEENSB_INSC_IfEEEEjNS9_4plusIvEENS9_8equal_toIvEEjEE10hipError_tPvRmT2_T3_T4_T5_mT6_T7_P12ihipStream_tbENKUlT_T0_E_clISt17integral_constantIbLb1EES12_IbLb0EEEEDaSY_SZ_EUlSY_E_NS1_11comp_targetILNS1_3genE9ELNS1_11target_archE1100ELNS1_3gpuE3ELNS1_3repE0EEENS1_30default_config_static_selectorELNS0_4arch9wavefront6targetE0EEEvT1_.num_vgpr, 0
	.set _ZN7rocprim17ROCPRIM_400000_NS6detail17trampoline_kernelINS0_14default_configENS1_27scan_by_key_config_selectorIijEEZZNS1_16scan_by_key_implILNS1_25lookback_scan_determinismE0ELb0ES3_N6thrust23THRUST_200600_302600_NS6detail15normal_iteratorINS9_10device_ptrIiEEEENSB_INSC_IjEEEENSB_INSC_IfEEEEjNS9_4plusIvEENS9_8equal_toIvEEjEE10hipError_tPvRmT2_T3_T4_T5_mT6_T7_P12ihipStream_tbENKUlT_T0_E_clISt17integral_constantIbLb1EES12_IbLb0EEEEDaSY_SZ_EUlSY_E_NS1_11comp_targetILNS1_3genE9ELNS1_11target_archE1100ELNS1_3gpuE3ELNS1_3repE0EEENS1_30default_config_static_selectorELNS0_4arch9wavefront6targetE0EEEvT1_.num_agpr, 0
	.set _ZN7rocprim17ROCPRIM_400000_NS6detail17trampoline_kernelINS0_14default_configENS1_27scan_by_key_config_selectorIijEEZZNS1_16scan_by_key_implILNS1_25lookback_scan_determinismE0ELb0ES3_N6thrust23THRUST_200600_302600_NS6detail15normal_iteratorINS9_10device_ptrIiEEEENSB_INSC_IjEEEENSB_INSC_IfEEEEjNS9_4plusIvEENS9_8equal_toIvEEjEE10hipError_tPvRmT2_T3_T4_T5_mT6_T7_P12ihipStream_tbENKUlT_T0_E_clISt17integral_constantIbLb1EES12_IbLb0EEEEDaSY_SZ_EUlSY_E_NS1_11comp_targetILNS1_3genE9ELNS1_11target_archE1100ELNS1_3gpuE3ELNS1_3repE0EEENS1_30default_config_static_selectorELNS0_4arch9wavefront6targetE0EEEvT1_.numbered_sgpr, 0
	.set _ZN7rocprim17ROCPRIM_400000_NS6detail17trampoline_kernelINS0_14default_configENS1_27scan_by_key_config_selectorIijEEZZNS1_16scan_by_key_implILNS1_25lookback_scan_determinismE0ELb0ES3_N6thrust23THRUST_200600_302600_NS6detail15normal_iteratorINS9_10device_ptrIiEEEENSB_INSC_IjEEEENSB_INSC_IfEEEEjNS9_4plusIvEENS9_8equal_toIvEEjEE10hipError_tPvRmT2_T3_T4_T5_mT6_T7_P12ihipStream_tbENKUlT_T0_E_clISt17integral_constantIbLb1EES12_IbLb0EEEEDaSY_SZ_EUlSY_E_NS1_11comp_targetILNS1_3genE9ELNS1_11target_archE1100ELNS1_3gpuE3ELNS1_3repE0EEENS1_30default_config_static_selectorELNS0_4arch9wavefront6targetE0EEEvT1_.num_named_barrier, 0
	.set _ZN7rocprim17ROCPRIM_400000_NS6detail17trampoline_kernelINS0_14default_configENS1_27scan_by_key_config_selectorIijEEZZNS1_16scan_by_key_implILNS1_25lookback_scan_determinismE0ELb0ES3_N6thrust23THRUST_200600_302600_NS6detail15normal_iteratorINS9_10device_ptrIiEEEENSB_INSC_IjEEEENSB_INSC_IfEEEEjNS9_4plusIvEENS9_8equal_toIvEEjEE10hipError_tPvRmT2_T3_T4_T5_mT6_T7_P12ihipStream_tbENKUlT_T0_E_clISt17integral_constantIbLb1EES12_IbLb0EEEEDaSY_SZ_EUlSY_E_NS1_11comp_targetILNS1_3genE9ELNS1_11target_archE1100ELNS1_3gpuE3ELNS1_3repE0EEENS1_30default_config_static_selectorELNS0_4arch9wavefront6targetE0EEEvT1_.private_seg_size, 0
	.set _ZN7rocprim17ROCPRIM_400000_NS6detail17trampoline_kernelINS0_14default_configENS1_27scan_by_key_config_selectorIijEEZZNS1_16scan_by_key_implILNS1_25lookback_scan_determinismE0ELb0ES3_N6thrust23THRUST_200600_302600_NS6detail15normal_iteratorINS9_10device_ptrIiEEEENSB_INSC_IjEEEENSB_INSC_IfEEEEjNS9_4plusIvEENS9_8equal_toIvEEjEE10hipError_tPvRmT2_T3_T4_T5_mT6_T7_P12ihipStream_tbENKUlT_T0_E_clISt17integral_constantIbLb1EES12_IbLb0EEEEDaSY_SZ_EUlSY_E_NS1_11comp_targetILNS1_3genE9ELNS1_11target_archE1100ELNS1_3gpuE3ELNS1_3repE0EEENS1_30default_config_static_selectorELNS0_4arch9wavefront6targetE0EEEvT1_.uses_vcc, 0
	.set _ZN7rocprim17ROCPRIM_400000_NS6detail17trampoline_kernelINS0_14default_configENS1_27scan_by_key_config_selectorIijEEZZNS1_16scan_by_key_implILNS1_25lookback_scan_determinismE0ELb0ES3_N6thrust23THRUST_200600_302600_NS6detail15normal_iteratorINS9_10device_ptrIiEEEENSB_INSC_IjEEEENSB_INSC_IfEEEEjNS9_4plusIvEENS9_8equal_toIvEEjEE10hipError_tPvRmT2_T3_T4_T5_mT6_T7_P12ihipStream_tbENKUlT_T0_E_clISt17integral_constantIbLb1EES12_IbLb0EEEEDaSY_SZ_EUlSY_E_NS1_11comp_targetILNS1_3genE9ELNS1_11target_archE1100ELNS1_3gpuE3ELNS1_3repE0EEENS1_30default_config_static_selectorELNS0_4arch9wavefront6targetE0EEEvT1_.uses_flat_scratch, 0
	.set _ZN7rocprim17ROCPRIM_400000_NS6detail17trampoline_kernelINS0_14default_configENS1_27scan_by_key_config_selectorIijEEZZNS1_16scan_by_key_implILNS1_25lookback_scan_determinismE0ELb0ES3_N6thrust23THRUST_200600_302600_NS6detail15normal_iteratorINS9_10device_ptrIiEEEENSB_INSC_IjEEEENSB_INSC_IfEEEEjNS9_4plusIvEENS9_8equal_toIvEEjEE10hipError_tPvRmT2_T3_T4_T5_mT6_T7_P12ihipStream_tbENKUlT_T0_E_clISt17integral_constantIbLb1EES12_IbLb0EEEEDaSY_SZ_EUlSY_E_NS1_11comp_targetILNS1_3genE9ELNS1_11target_archE1100ELNS1_3gpuE3ELNS1_3repE0EEENS1_30default_config_static_selectorELNS0_4arch9wavefront6targetE0EEEvT1_.has_dyn_sized_stack, 0
	.set _ZN7rocprim17ROCPRIM_400000_NS6detail17trampoline_kernelINS0_14default_configENS1_27scan_by_key_config_selectorIijEEZZNS1_16scan_by_key_implILNS1_25lookback_scan_determinismE0ELb0ES3_N6thrust23THRUST_200600_302600_NS6detail15normal_iteratorINS9_10device_ptrIiEEEENSB_INSC_IjEEEENSB_INSC_IfEEEEjNS9_4plusIvEENS9_8equal_toIvEEjEE10hipError_tPvRmT2_T3_T4_T5_mT6_T7_P12ihipStream_tbENKUlT_T0_E_clISt17integral_constantIbLb1EES12_IbLb0EEEEDaSY_SZ_EUlSY_E_NS1_11comp_targetILNS1_3genE9ELNS1_11target_archE1100ELNS1_3gpuE3ELNS1_3repE0EEENS1_30default_config_static_selectorELNS0_4arch9wavefront6targetE0EEEvT1_.has_recursion, 0
	.set _ZN7rocprim17ROCPRIM_400000_NS6detail17trampoline_kernelINS0_14default_configENS1_27scan_by_key_config_selectorIijEEZZNS1_16scan_by_key_implILNS1_25lookback_scan_determinismE0ELb0ES3_N6thrust23THRUST_200600_302600_NS6detail15normal_iteratorINS9_10device_ptrIiEEEENSB_INSC_IjEEEENSB_INSC_IfEEEEjNS9_4plusIvEENS9_8equal_toIvEEjEE10hipError_tPvRmT2_T3_T4_T5_mT6_T7_P12ihipStream_tbENKUlT_T0_E_clISt17integral_constantIbLb1EES12_IbLb0EEEEDaSY_SZ_EUlSY_E_NS1_11comp_targetILNS1_3genE9ELNS1_11target_archE1100ELNS1_3gpuE3ELNS1_3repE0EEENS1_30default_config_static_selectorELNS0_4arch9wavefront6targetE0EEEvT1_.has_indirect_call, 0
	.section	.AMDGPU.csdata,"",@progbits
; Kernel info:
; codeLenInByte = 0
; TotalNumSgprs: 0
; NumVgprs: 0
; ScratchSize: 0
; MemoryBound: 0
; FloatMode: 240
; IeeeMode: 1
; LDSByteSize: 0 bytes/workgroup (compile time only)
; SGPRBlocks: 0
; VGPRBlocks: 0
; NumSGPRsForWavesPerEU: 1
; NumVGPRsForWavesPerEU: 1
; NamedBarCnt: 0
; Occupancy: 16
; WaveLimiterHint : 0
; COMPUTE_PGM_RSRC2:SCRATCH_EN: 0
; COMPUTE_PGM_RSRC2:USER_SGPR: 2
; COMPUTE_PGM_RSRC2:TRAP_HANDLER: 0
; COMPUTE_PGM_RSRC2:TGID_X_EN: 1
; COMPUTE_PGM_RSRC2:TGID_Y_EN: 0
; COMPUTE_PGM_RSRC2:TGID_Z_EN: 0
; COMPUTE_PGM_RSRC2:TIDIG_COMP_CNT: 0
	.section	.text._ZN7rocprim17ROCPRIM_400000_NS6detail17trampoline_kernelINS0_14default_configENS1_27scan_by_key_config_selectorIijEEZZNS1_16scan_by_key_implILNS1_25lookback_scan_determinismE0ELb0ES3_N6thrust23THRUST_200600_302600_NS6detail15normal_iteratorINS9_10device_ptrIiEEEENSB_INSC_IjEEEENSB_INSC_IfEEEEjNS9_4plusIvEENS9_8equal_toIvEEjEE10hipError_tPvRmT2_T3_T4_T5_mT6_T7_P12ihipStream_tbENKUlT_T0_E_clISt17integral_constantIbLb1EES12_IbLb0EEEEDaSY_SZ_EUlSY_E_NS1_11comp_targetILNS1_3genE8ELNS1_11target_archE1030ELNS1_3gpuE2ELNS1_3repE0EEENS1_30default_config_static_selectorELNS0_4arch9wavefront6targetE0EEEvT1_,"axG",@progbits,_ZN7rocprim17ROCPRIM_400000_NS6detail17trampoline_kernelINS0_14default_configENS1_27scan_by_key_config_selectorIijEEZZNS1_16scan_by_key_implILNS1_25lookback_scan_determinismE0ELb0ES3_N6thrust23THRUST_200600_302600_NS6detail15normal_iteratorINS9_10device_ptrIiEEEENSB_INSC_IjEEEENSB_INSC_IfEEEEjNS9_4plusIvEENS9_8equal_toIvEEjEE10hipError_tPvRmT2_T3_T4_T5_mT6_T7_P12ihipStream_tbENKUlT_T0_E_clISt17integral_constantIbLb1EES12_IbLb0EEEEDaSY_SZ_EUlSY_E_NS1_11comp_targetILNS1_3genE8ELNS1_11target_archE1030ELNS1_3gpuE2ELNS1_3repE0EEENS1_30default_config_static_selectorELNS0_4arch9wavefront6targetE0EEEvT1_,comdat
	.protected	_ZN7rocprim17ROCPRIM_400000_NS6detail17trampoline_kernelINS0_14default_configENS1_27scan_by_key_config_selectorIijEEZZNS1_16scan_by_key_implILNS1_25lookback_scan_determinismE0ELb0ES3_N6thrust23THRUST_200600_302600_NS6detail15normal_iteratorINS9_10device_ptrIiEEEENSB_INSC_IjEEEENSB_INSC_IfEEEEjNS9_4plusIvEENS9_8equal_toIvEEjEE10hipError_tPvRmT2_T3_T4_T5_mT6_T7_P12ihipStream_tbENKUlT_T0_E_clISt17integral_constantIbLb1EES12_IbLb0EEEEDaSY_SZ_EUlSY_E_NS1_11comp_targetILNS1_3genE8ELNS1_11target_archE1030ELNS1_3gpuE2ELNS1_3repE0EEENS1_30default_config_static_selectorELNS0_4arch9wavefront6targetE0EEEvT1_ ; -- Begin function _ZN7rocprim17ROCPRIM_400000_NS6detail17trampoline_kernelINS0_14default_configENS1_27scan_by_key_config_selectorIijEEZZNS1_16scan_by_key_implILNS1_25lookback_scan_determinismE0ELb0ES3_N6thrust23THRUST_200600_302600_NS6detail15normal_iteratorINS9_10device_ptrIiEEEENSB_INSC_IjEEEENSB_INSC_IfEEEEjNS9_4plusIvEENS9_8equal_toIvEEjEE10hipError_tPvRmT2_T3_T4_T5_mT6_T7_P12ihipStream_tbENKUlT_T0_E_clISt17integral_constantIbLb1EES12_IbLb0EEEEDaSY_SZ_EUlSY_E_NS1_11comp_targetILNS1_3genE8ELNS1_11target_archE1030ELNS1_3gpuE2ELNS1_3repE0EEENS1_30default_config_static_selectorELNS0_4arch9wavefront6targetE0EEEvT1_
	.globl	_ZN7rocprim17ROCPRIM_400000_NS6detail17trampoline_kernelINS0_14default_configENS1_27scan_by_key_config_selectorIijEEZZNS1_16scan_by_key_implILNS1_25lookback_scan_determinismE0ELb0ES3_N6thrust23THRUST_200600_302600_NS6detail15normal_iteratorINS9_10device_ptrIiEEEENSB_INSC_IjEEEENSB_INSC_IfEEEEjNS9_4plusIvEENS9_8equal_toIvEEjEE10hipError_tPvRmT2_T3_T4_T5_mT6_T7_P12ihipStream_tbENKUlT_T0_E_clISt17integral_constantIbLb1EES12_IbLb0EEEEDaSY_SZ_EUlSY_E_NS1_11comp_targetILNS1_3genE8ELNS1_11target_archE1030ELNS1_3gpuE2ELNS1_3repE0EEENS1_30default_config_static_selectorELNS0_4arch9wavefront6targetE0EEEvT1_
	.p2align	8
	.type	_ZN7rocprim17ROCPRIM_400000_NS6detail17trampoline_kernelINS0_14default_configENS1_27scan_by_key_config_selectorIijEEZZNS1_16scan_by_key_implILNS1_25lookback_scan_determinismE0ELb0ES3_N6thrust23THRUST_200600_302600_NS6detail15normal_iteratorINS9_10device_ptrIiEEEENSB_INSC_IjEEEENSB_INSC_IfEEEEjNS9_4plusIvEENS9_8equal_toIvEEjEE10hipError_tPvRmT2_T3_T4_T5_mT6_T7_P12ihipStream_tbENKUlT_T0_E_clISt17integral_constantIbLb1EES12_IbLb0EEEEDaSY_SZ_EUlSY_E_NS1_11comp_targetILNS1_3genE8ELNS1_11target_archE1030ELNS1_3gpuE2ELNS1_3repE0EEENS1_30default_config_static_selectorELNS0_4arch9wavefront6targetE0EEEvT1_,@function
_ZN7rocprim17ROCPRIM_400000_NS6detail17trampoline_kernelINS0_14default_configENS1_27scan_by_key_config_selectorIijEEZZNS1_16scan_by_key_implILNS1_25lookback_scan_determinismE0ELb0ES3_N6thrust23THRUST_200600_302600_NS6detail15normal_iteratorINS9_10device_ptrIiEEEENSB_INSC_IjEEEENSB_INSC_IfEEEEjNS9_4plusIvEENS9_8equal_toIvEEjEE10hipError_tPvRmT2_T3_T4_T5_mT6_T7_P12ihipStream_tbENKUlT_T0_E_clISt17integral_constantIbLb1EES12_IbLb0EEEEDaSY_SZ_EUlSY_E_NS1_11comp_targetILNS1_3genE8ELNS1_11target_archE1030ELNS1_3gpuE2ELNS1_3repE0EEENS1_30default_config_static_selectorELNS0_4arch9wavefront6targetE0EEEvT1_: ; @_ZN7rocprim17ROCPRIM_400000_NS6detail17trampoline_kernelINS0_14default_configENS1_27scan_by_key_config_selectorIijEEZZNS1_16scan_by_key_implILNS1_25lookback_scan_determinismE0ELb0ES3_N6thrust23THRUST_200600_302600_NS6detail15normal_iteratorINS9_10device_ptrIiEEEENSB_INSC_IjEEEENSB_INSC_IfEEEEjNS9_4plusIvEENS9_8equal_toIvEEjEE10hipError_tPvRmT2_T3_T4_T5_mT6_T7_P12ihipStream_tbENKUlT_T0_E_clISt17integral_constantIbLb1EES12_IbLb0EEEEDaSY_SZ_EUlSY_E_NS1_11comp_targetILNS1_3genE8ELNS1_11target_archE1030ELNS1_3gpuE2ELNS1_3repE0EEENS1_30default_config_static_selectorELNS0_4arch9wavefront6targetE0EEEvT1_
; %bb.0:
	.section	.rodata,"a",@progbits
	.p2align	6, 0x0
	.amdhsa_kernel _ZN7rocprim17ROCPRIM_400000_NS6detail17trampoline_kernelINS0_14default_configENS1_27scan_by_key_config_selectorIijEEZZNS1_16scan_by_key_implILNS1_25lookback_scan_determinismE0ELb0ES3_N6thrust23THRUST_200600_302600_NS6detail15normal_iteratorINS9_10device_ptrIiEEEENSB_INSC_IjEEEENSB_INSC_IfEEEEjNS9_4plusIvEENS9_8equal_toIvEEjEE10hipError_tPvRmT2_T3_T4_T5_mT6_T7_P12ihipStream_tbENKUlT_T0_E_clISt17integral_constantIbLb1EES12_IbLb0EEEEDaSY_SZ_EUlSY_E_NS1_11comp_targetILNS1_3genE8ELNS1_11target_archE1030ELNS1_3gpuE2ELNS1_3repE0EEENS1_30default_config_static_selectorELNS0_4arch9wavefront6targetE0EEEvT1_
		.amdhsa_group_segment_fixed_size 0
		.amdhsa_private_segment_fixed_size 0
		.amdhsa_kernarg_size 112
		.amdhsa_user_sgpr_count 2
		.amdhsa_user_sgpr_dispatch_ptr 0
		.amdhsa_user_sgpr_queue_ptr 0
		.amdhsa_user_sgpr_kernarg_segment_ptr 1
		.amdhsa_user_sgpr_dispatch_id 0
		.amdhsa_user_sgpr_kernarg_preload_length 0
		.amdhsa_user_sgpr_kernarg_preload_offset 0
		.amdhsa_user_sgpr_private_segment_size 0
		.amdhsa_wavefront_size32 1
		.amdhsa_uses_dynamic_stack 0
		.amdhsa_enable_private_segment 0
		.amdhsa_system_sgpr_workgroup_id_x 1
		.amdhsa_system_sgpr_workgroup_id_y 0
		.amdhsa_system_sgpr_workgroup_id_z 0
		.amdhsa_system_sgpr_workgroup_info 0
		.amdhsa_system_vgpr_workitem_id 0
		.amdhsa_next_free_vgpr 1
		.amdhsa_next_free_sgpr 1
		.amdhsa_named_barrier_count 0
		.amdhsa_reserve_vcc 0
		.amdhsa_float_round_mode_32 0
		.amdhsa_float_round_mode_16_64 0
		.amdhsa_float_denorm_mode_32 3
		.amdhsa_float_denorm_mode_16_64 3
		.amdhsa_fp16_overflow 0
		.amdhsa_memory_ordered 1
		.amdhsa_forward_progress 1
		.amdhsa_inst_pref_size 0
		.amdhsa_round_robin_scheduling 0
		.amdhsa_exception_fp_ieee_invalid_op 0
		.amdhsa_exception_fp_denorm_src 0
		.amdhsa_exception_fp_ieee_div_zero 0
		.amdhsa_exception_fp_ieee_overflow 0
		.amdhsa_exception_fp_ieee_underflow 0
		.amdhsa_exception_fp_ieee_inexact 0
		.amdhsa_exception_int_div_zero 0
	.end_amdhsa_kernel
	.section	.text._ZN7rocprim17ROCPRIM_400000_NS6detail17trampoline_kernelINS0_14default_configENS1_27scan_by_key_config_selectorIijEEZZNS1_16scan_by_key_implILNS1_25lookback_scan_determinismE0ELb0ES3_N6thrust23THRUST_200600_302600_NS6detail15normal_iteratorINS9_10device_ptrIiEEEENSB_INSC_IjEEEENSB_INSC_IfEEEEjNS9_4plusIvEENS9_8equal_toIvEEjEE10hipError_tPvRmT2_T3_T4_T5_mT6_T7_P12ihipStream_tbENKUlT_T0_E_clISt17integral_constantIbLb1EES12_IbLb0EEEEDaSY_SZ_EUlSY_E_NS1_11comp_targetILNS1_3genE8ELNS1_11target_archE1030ELNS1_3gpuE2ELNS1_3repE0EEENS1_30default_config_static_selectorELNS0_4arch9wavefront6targetE0EEEvT1_,"axG",@progbits,_ZN7rocprim17ROCPRIM_400000_NS6detail17trampoline_kernelINS0_14default_configENS1_27scan_by_key_config_selectorIijEEZZNS1_16scan_by_key_implILNS1_25lookback_scan_determinismE0ELb0ES3_N6thrust23THRUST_200600_302600_NS6detail15normal_iteratorINS9_10device_ptrIiEEEENSB_INSC_IjEEEENSB_INSC_IfEEEEjNS9_4plusIvEENS9_8equal_toIvEEjEE10hipError_tPvRmT2_T3_T4_T5_mT6_T7_P12ihipStream_tbENKUlT_T0_E_clISt17integral_constantIbLb1EES12_IbLb0EEEEDaSY_SZ_EUlSY_E_NS1_11comp_targetILNS1_3genE8ELNS1_11target_archE1030ELNS1_3gpuE2ELNS1_3repE0EEENS1_30default_config_static_selectorELNS0_4arch9wavefront6targetE0EEEvT1_,comdat
.Lfunc_end1670:
	.size	_ZN7rocprim17ROCPRIM_400000_NS6detail17trampoline_kernelINS0_14default_configENS1_27scan_by_key_config_selectorIijEEZZNS1_16scan_by_key_implILNS1_25lookback_scan_determinismE0ELb0ES3_N6thrust23THRUST_200600_302600_NS6detail15normal_iteratorINS9_10device_ptrIiEEEENSB_INSC_IjEEEENSB_INSC_IfEEEEjNS9_4plusIvEENS9_8equal_toIvEEjEE10hipError_tPvRmT2_T3_T4_T5_mT6_T7_P12ihipStream_tbENKUlT_T0_E_clISt17integral_constantIbLb1EES12_IbLb0EEEEDaSY_SZ_EUlSY_E_NS1_11comp_targetILNS1_3genE8ELNS1_11target_archE1030ELNS1_3gpuE2ELNS1_3repE0EEENS1_30default_config_static_selectorELNS0_4arch9wavefront6targetE0EEEvT1_, .Lfunc_end1670-_ZN7rocprim17ROCPRIM_400000_NS6detail17trampoline_kernelINS0_14default_configENS1_27scan_by_key_config_selectorIijEEZZNS1_16scan_by_key_implILNS1_25lookback_scan_determinismE0ELb0ES3_N6thrust23THRUST_200600_302600_NS6detail15normal_iteratorINS9_10device_ptrIiEEEENSB_INSC_IjEEEENSB_INSC_IfEEEEjNS9_4plusIvEENS9_8equal_toIvEEjEE10hipError_tPvRmT2_T3_T4_T5_mT6_T7_P12ihipStream_tbENKUlT_T0_E_clISt17integral_constantIbLb1EES12_IbLb0EEEEDaSY_SZ_EUlSY_E_NS1_11comp_targetILNS1_3genE8ELNS1_11target_archE1030ELNS1_3gpuE2ELNS1_3repE0EEENS1_30default_config_static_selectorELNS0_4arch9wavefront6targetE0EEEvT1_
                                        ; -- End function
	.set _ZN7rocprim17ROCPRIM_400000_NS6detail17trampoline_kernelINS0_14default_configENS1_27scan_by_key_config_selectorIijEEZZNS1_16scan_by_key_implILNS1_25lookback_scan_determinismE0ELb0ES3_N6thrust23THRUST_200600_302600_NS6detail15normal_iteratorINS9_10device_ptrIiEEEENSB_INSC_IjEEEENSB_INSC_IfEEEEjNS9_4plusIvEENS9_8equal_toIvEEjEE10hipError_tPvRmT2_T3_T4_T5_mT6_T7_P12ihipStream_tbENKUlT_T0_E_clISt17integral_constantIbLb1EES12_IbLb0EEEEDaSY_SZ_EUlSY_E_NS1_11comp_targetILNS1_3genE8ELNS1_11target_archE1030ELNS1_3gpuE2ELNS1_3repE0EEENS1_30default_config_static_selectorELNS0_4arch9wavefront6targetE0EEEvT1_.num_vgpr, 0
	.set _ZN7rocprim17ROCPRIM_400000_NS6detail17trampoline_kernelINS0_14default_configENS1_27scan_by_key_config_selectorIijEEZZNS1_16scan_by_key_implILNS1_25lookback_scan_determinismE0ELb0ES3_N6thrust23THRUST_200600_302600_NS6detail15normal_iteratorINS9_10device_ptrIiEEEENSB_INSC_IjEEEENSB_INSC_IfEEEEjNS9_4plusIvEENS9_8equal_toIvEEjEE10hipError_tPvRmT2_T3_T4_T5_mT6_T7_P12ihipStream_tbENKUlT_T0_E_clISt17integral_constantIbLb1EES12_IbLb0EEEEDaSY_SZ_EUlSY_E_NS1_11comp_targetILNS1_3genE8ELNS1_11target_archE1030ELNS1_3gpuE2ELNS1_3repE0EEENS1_30default_config_static_selectorELNS0_4arch9wavefront6targetE0EEEvT1_.num_agpr, 0
	.set _ZN7rocprim17ROCPRIM_400000_NS6detail17trampoline_kernelINS0_14default_configENS1_27scan_by_key_config_selectorIijEEZZNS1_16scan_by_key_implILNS1_25lookback_scan_determinismE0ELb0ES3_N6thrust23THRUST_200600_302600_NS6detail15normal_iteratorINS9_10device_ptrIiEEEENSB_INSC_IjEEEENSB_INSC_IfEEEEjNS9_4plusIvEENS9_8equal_toIvEEjEE10hipError_tPvRmT2_T3_T4_T5_mT6_T7_P12ihipStream_tbENKUlT_T0_E_clISt17integral_constantIbLb1EES12_IbLb0EEEEDaSY_SZ_EUlSY_E_NS1_11comp_targetILNS1_3genE8ELNS1_11target_archE1030ELNS1_3gpuE2ELNS1_3repE0EEENS1_30default_config_static_selectorELNS0_4arch9wavefront6targetE0EEEvT1_.numbered_sgpr, 0
	.set _ZN7rocprim17ROCPRIM_400000_NS6detail17trampoline_kernelINS0_14default_configENS1_27scan_by_key_config_selectorIijEEZZNS1_16scan_by_key_implILNS1_25lookback_scan_determinismE0ELb0ES3_N6thrust23THRUST_200600_302600_NS6detail15normal_iteratorINS9_10device_ptrIiEEEENSB_INSC_IjEEEENSB_INSC_IfEEEEjNS9_4plusIvEENS9_8equal_toIvEEjEE10hipError_tPvRmT2_T3_T4_T5_mT6_T7_P12ihipStream_tbENKUlT_T0_E_clISt17integral_constantIbLb1EES12_IbLb0EEEEDaSY_SZ_EUlSY_E_NS1_11comp_targetILNS1_3genE8ELNS1_11target_archE1030ELNS1_3gpuE2ELNS1_3repE0EEENS1_30default_config_static_selectorELNS0_4arch9wavefront6targetE0EEEvT1_.num_named_barrier, 0
	.set _ZN7rocprim17ROCPRIM_400000_NS6detail17trampoline_kernelINS0_14default_configENS1_27scan_by_key_config_selectorIijEEZZNS1_16scan_by_key_implILNS1_25lookback_scan_determinismE0ELb0ES3_N6thrust23THRUST_200600_302600_NS6detail15normal_iteratorINS9_10device_ptrIiEEEENSB_INSC_IjEEEENSB_INSC_IfEEEEjNS9_4plusIvEENS9_8equal_toIvEEjEE10hipError_tPvRmT2_T3_T4_T5_mT6_T7_P12ihipStream_tbENKUlT_T0_E_clISt17integral_constantIbLb1EES12_IbLb0EEEEDaSY_SZ_EUlSY_E_NS1_11comp_targetILNS1_3genE8ELNS1_11target_archE1030ELNS1_3gpuE2ELNS1_3repE0EEENS1_30default_config_static_selectorELNS0_4arch9wavefront6targetE0EEEvT1_.private_seg_size, 0
	.set _ZN7rocprim17ROCPRIM_400000_NS6detail17trampoline_kernelINS0_14default_configENS1_27scan_by_key_config_selectorIijEEZZNS1_16scan_by_key_implILNS1_25lookback_scan_determinismE0ELb0ES3_N6thrust23THRUST_200600_302600_NS6detail15normal_iteratorINS9_10device_ptrIiEEEENSB_INSC_IjEEEENSB_INSC_IfEEEEjNS9_4plusIvEENS9_8equal_toIvEEjEE10hipError_tPvRmT2_T3_T4_T5_mT6_T7_P12ihipStream_tbENKUlT_T0_E_clISt17integral_constantIbLb1EES12_IbLb0EEEEDaSY_SZ_EUlSY_E_NS1_11comp_targetILNS1_3genE8ELNS1_11target_archE1030ELNS1_3gpuE2ELNS1_3repE0EEENS1_30default_config_static_selectorELNS0_4arch9wavefront6targetE0EEEvT1_.uses_vcc, 0
	.set _ZN7rocprim17ROCPRIM_400000_NS6detail17trampoline_kernelINS0_14default_configENS1_27scan_by_key_config_selectorIijEEZZNS1_16scan_by_key_implILNS1_25lookback_scan_determinismE0ELb0ES3_N6thrust23THRUST_200600_302600_NS6detail15normal_iteratorINS9_10device_ptrIiEEEENSB_INSC_IjEEEENSB_INSC_IfEEEEjNS9_4plusIvEENS9_8equal_toIvEEjEE10hipError_tPvRmT2_T3_T4_T5_mT6_T7_P12ihipStream_tbENKUlT_T0_E_clISt17integral_constantIbLb1EES12_IbLb0EEEEDaSY_SZ_EUlSY_E_NS1_11comp_targetILNS1_3genE8ELNS1_11target_archE1030ELNS1_3gpuE2ELNS1_3repE0EEENS1_30default_config_static_selectorELNS0_4arch9wavefront6targetE0EEEvT1_.uses_flat_scratch, 0
	.set _ZN7rocprim17ROCPRIM_400000_NS6detail17trampoline_kernelINS0_14default_configENS1_27scan_by_key_config_selectorIijEEZZNS1_16scan_by_key_implILNS1_25lookback_scan_determinismE0ELb0ES3_N6thrust23THRUST_200600_302600_NS6detail15normal_iteratorINS9_10device_ptrIiEEEENSB_INSC_IjEEEENSB_INSC_IfEEEEjNS9_4plusIvEENS9_8equal_toIvEEjEE10hipError_tPvRmT2_T3_T4_T5_mT6_T7_P12ihipStream_tbENKUlT_T0_E_clISt17integral_constantIbLb1EES12_IbLb0EEEEDaSY_SZ_EUlSY_E_NS1_11comp_targetILNS1_3genE8ELNS1_11target_archE1030ELNS1_3gpuE2ELNS1_3repE0EEENS1_30default_config_static_selectorELNS0_4arch9wavefront6targetE0EEEvT1_.has_dyn_sized_stack, 0
	.set _ZN7rocprim17ROCPRIM_400000_NS6detail17trampoline_kernelINS0_14default_configENS1_27scan_by_key_config_selectorIijEEZZNS1_16scan_by_key_implILNS1_25lookback_scan_determinismE0ELb0ES3_N6thrust23THRUST_200600_302600_NS6detail15normal_iteratorINS9_10device_ptrIiEEEENSB_INSC_IjEEEENSB_INSC_IfEEEEjNS9_4plusIvEENS9_8equal_toIvEEjEE10hipError_tPvRmT2_T3_T4_T5_mT6_T7_P12ihipStream_tbENKUlT_T0_E_clISt17integral_constantIbLb1EES12_IbLb0EEEEDaSY_SZ_EUlSY_E_NS1_11comp_targetILNS1_3genE8ELNS1_11target_archE1030ELNS1_3gpuE2ELNS1_3repE0EEENS1_30default_config_static_selectorELNS0_4arch9wavefront6targetE0EEEvT1_.has_recursion, 0
	.set _ZN7rocprim17ROCPRIM_400000_NS6detail17trampoline_kernelINS0_14default_configENS1_27scan_by_key_config_selectorIijEEZZNS1_16scan_by_key_implILNS1_25lookback_scan_determinismE0ELb0ES3_N6thrust23THRUST_200600_302600_NS6detail15normal_iteratorINS9_10device_ptrIiEEEENSB_INSC_IjEEEENSB_INSC_IfEEEEjNS9_4plusIvEENS9_8equal_toIvEEjEE10hipError_tPvRmT2_T3_T4_T5_mT6_T7_P12ihipStream_tbENKUlT_T0_E_clISt17integral_constantIbLb1EES12_IbLb0EEEEDaSY_SZ_EUlSY_E_NS1_11comp_targetILNS1_3genE8ELNS1_11target_archE1030ELNS1_3gpuE2ELNS1_3repE0EEENS1_30default_config_static_selectorELNS0_4arch9wavefront6targetE0EEEvT1_.has_indirect_call, 0
	.section	.AMDGPU.csdata,"",@progbits
; Kernel info:
; codeLenInByte = 0
; TotalNumSgprs: 0
; NumVgprs: 0
; ScratchSize: 0
; MemoryBound: 0
; FloatMode: 240
; IeeeMode: 1
; LDSByteSize: 0 bytes/workgroup (compile time only)
; SGPRBlocks: 0
; VGPRBlocks: 0
; NumSGPRsForWavesPerEU: 1
; NumVGPRsForWavesPerEU: 1
; NamedBarCnt: 0
; Occupancy: 16
; WaveLimiterHint : 0
; COMPUTE_PGM_RSRC2:SCRATCH_EN: 0
; COMPUTE_PGM_RSRC2:USER_SGPR: 2
; COMPUTE_PGM_RSRC2:TRAP_HANDLER: 0
; COMPUTE_PGM_RSRC2:TGID_X_EN: 1
; COMPUTE_PGM_RSRC2:TGID_Y_EN: 0
; COMPUTE_PGM_RSRC2:TGID_Z_EN: 0
; COMPUTE_PGM_RSRC2:TIDIG_COMP_CNT: 0
	.section	.text._ZN7rocprim17ROCPRIM_400000_NS6detail17trampoline_kernelINS0_14default_configENS1_27scan_by_key_config_selectorIijEEZZNS1_16scan_by_key_implILNS1_25lookback_scan_determinismE0ELb0ES3_N6thrust23THRUST_200600_302600_NS6detail15normal_iteratorINS9_10device_ptrIiEEEENSB_INSC_IjEEEENSB_INSC_IfEEEEjNS9_4plusIvEENS9_8equal_toIvEEjEE10hipError_tPvRmT2_T3_T4_T5_mT6_T7_P12ihipStream_tbENKUlT_T0_E_clISt17integral_constantIbLb0EES12_IbLb1EEEEDaSY_SZ_EUlSY_E_NS1_11comp_targetILNS1_3genE0ELNS1_11target_archE4294967295ELNS1_3gpuE0ELNS1_3repE0EEENS1_30default_config_static_selectorELNS0_4arch9wavefront6targetE0EEEvT1_,"axG",@progbits,_ZN7rocprim17ROCPRIM_400000_NS6detail17trampoline_kernelINS0_14default_configENS1_27scan_by_key_config_selectorIijEEZZNS1_16scan_by_key_implILNS1_25lookback_scan_determinismE0ELb0ES3_N6thrust23THRUST_200600_302600_NS6detail15normal_iteratorINS9_10device_ptrIiEEEENSB_INSC_IjEEEENSB_INSC_IfEEEEjNS9_4plusIvEENS9_8equal_toIvEEjEE10hipError_tPvRmT2_T3_T4_T5_mT6_T7_P12ihipStream_tbENKUlT_T0_E_clISt17integral_constantIbLb0EES12_IbLb1EEEEDaSY_SZ_EUlSY_E_NS1_11comp_targetILNS1_3genE0ELNS1_11target_archE4294967295ELNS1_3gpuE0ELNS1_3repE0EEENS1_30default_config_static_selectorELNS0_4arch9wavefront6targetE0EEEvT1_,comdat
	.protected	_ZN7rocprim17ROCPRIM_400000_NS6detail17trampoline_kernelINS0_14default_configENS1_27scan_by_key_config_selectorIijEEZZNS1_16scan_by_key_implILNS1_25lookback_scan_determinismE0ELb0ES3_N6thrust23THRUST_200600_302600_NS6detail15normal_iteratorINS9_10device_ptrIiEEEENSB_INSC_IjEEEENSB_INSC_IfEEEEjNS9_4plusIvEENS9_8equal_toIvEEjEE10hipError_tPvRmT2_T3_T4_T5_mT6_T7_P12ihipStream_tbENKUlT_T0_E_clISt17integral_constantIbLb0EES12_IbLb1EEEEDaSY_SZ_EUlSY_E_NS1_11comp_targetILNS1_3genE0ELNS1_11target_archE4294967295ELNS1_3gpuE0ELNS1_3repE0EEENS1_30default_config_static_selectorELNS0_4arch9wavefront6targetE0EEEvT1_ ; -- Begin function _ZN7rocprim17ROCPRIM_400000_NS6detail17trampoline_kernelINS0_14default_configENS1_27scan_by_key_config_selectorIijEEZZNS1_16scan_by_key_implILNS1_25lookback_scan_determinismE0ELb0ES3_N6thrust23THRUST_200600_302600_NS6detail15normal_iteratorINS9_10device_ptrIiEEEENSB_INSC_IjEEEENSB_INSC_IfEEEEjNS9_4plusIvEENS9_8equal_toIvEEjEE10hipError_tPvRmT2_T3_T4_T5_mT6_T7_P12ihipStream_tbENKUlT_T0_E_clISt17integral_constantIbLb0EES12_IbLb1EEEEDaSY_SZ_EUlSY_E_NS1_11comp_targetILNS1_3genE0ELNS1_11target_archE4294967295ELNS1_3gpuE0ELNS1_3repE0EEENS1_30default_config_static_selectorELNS0_4arch9wavefront6targetE0EEEvT1_
	.globl	_ZN7rocprim17ROCPRIM_400000_NS6detail17trampoline_kernelINS0_14default_configENS1_27scan_by_key_config_selectorIijEEZZNS1_16scan_by_key_implILNS1_25lookback_scan_determinismE0ELb0ES3_N6thrust23THRUST_200600_302600_NS6detail15normal_iteratorINS9_10device_ptrIiEEEENSB_INSC_IjEEEENSB_INSC_IfEEEEjNS9_4plusIvEENS9_8equal_toIvEEjEE10hipError_tPvRmT2_T3_T4_T5_mT6_T7_P12ihipStream_tbENKUlT_T0_E_clISt17integral_constantIbLb0EES12_IbLb1EEEEDaSY_SZ_EUlSY_E_NS1_11comp_targetILNS1_3genE0ELNS1_11target_archE4294967295ELNS1_3gpuE0ELNS1_3repE0EEENS1_30default_config_static_selectorELNS0_4arch9wavefront6targetE0EEEvT1_
	.p2align	8
	.type	_ZN7rocprim17ROCPRIM_400000_NS6detail17trampoline_kernelINS0_14default_configENS1_27scan_by_key_config_selectorIijEEZZNS1_16scan_by_key_implILNS1_25lookback_scan_determinismE0ELb0ES3_N6thrust23THRUST_200600_302600_NS6detail15normal_iteratorINS9_10device_ptrIiEEEENSB_INSC_IjEEEENSB_INSC_IfEEEEjNS9_4plusIvEENS9_8equal_toIvEEjEE10hipError_tPvRmT2_T3_T4_T5_mT6_T7_P12ihipStream_tbENKUlT_T0_E_clISt17integral_constantIbLb0EES12_IbLb1EEEEDaSY_SZ_EUlSY_E_NS1_11comp_targetILNS1_3genE0ELNS1_11target_archE4294967295ELNS1_3gpuE0ELNS1_3repE0EEENS1_30default_config_static_selectorELNS0_4arch9wavefront6targetE0EEEvT1_,@function
_ZN7rocprim17ROCPRIM_400000_NS6detail17trampoline_kernelINS0_14default_configENS1_27scan_by_key_config_selectorIijEEZZNS1_16scan_by_key_implILNS1_25lookback_scan_determinismE0ELb0ES3_N6thrust23THRUST_200600_302600_NS6detail15normal_iteratorINS9_10device_ptrIiEEEENSB_INSC_IjEEEENSB_INSC_IfEEEEjNS9_4plusIvEENS9_8equal_toIvEEjEE10hipError_tPvRmT2_T3_T4_T5_mT6_T7_P12ihipStream_tbENKUlT_T0_E_clISt17integral_constantIbLb0EES12_IbLb1EEEEDaSY_SZ_EUlSY_E_NS1_11comp_targetILNS1_3genE0ELNS1_11target_archE4294967295ELNS1_3gpuE0ELNS1_3repE0EEENS1_30default_config_static_selectorELNS0_4arch9wavefront6targetE0EEEvT1_: ; @_ZN7rocprim17ROCPRIM_400000_NS6detail17trampoline_kernelINS0_14default_configENS1_27scan_by_key_config_selectorIijEEZZNS1_16scan_by_key_implILNS1_25lookback_scan_determinismE0ELb0ES3_N6thrust23THRUST_200600_302600_NS6detail15normal_iteratorINS9_10device_ptrIiEEEENSB_INSC_IjEEEENSB_INSC_IfEEEEjNS9_4plusIvEENS9_8equal_toIvEEjEE10hipError_tPvRmT2_T3_T4_T5_mT6_T7_P12ihipStream_tbENKUlT_T0_E_clISt17integral_constantIbLb0EES12_IbLb1EEEEDaSY_SZ_EUlSY_E_NS1_11comp_targetILNS1_3genE0ELNS1_11target_archE4294967295ELNS1_3gpuE0ELNS1_3repE0EEENS1_30default_config_static_selectorELNS0_4arch9wavefront6targetE0EEEvT1_
; %bb.0:
	s_clause 0x1
	s_load_b128 s[28:31], s[0:1], 0x28
	s_load_b64 s[36:37], s[0:1], 0x38
	v_cmp_ne_u32_e64 s3, 0, v0
	v_cmp_eq_u32_e64 s2, 0, v0
	s_and_saveexec_b32 s4, s2
	s_cbranch_execz .LBB1671_4
; %bb.1:
	s_mov_b32 s6, exec_lo
	s_mov_b32 s5, exec_lo
	v_mbcnt_lo_u32_b32 v1, s6, 0
                                        ; implicit-def: $vgpr2
	s_delay_alu instid0(VALU_DEP_1)
	v_cmpx_eq_u32_e32 0, v1
	s_cbranch_execz .LBB1671_3
; %bb.2:
	s_load_b64 s[8:9], s[0:1], 0x68
	s_bcnt1_i32_b32 s6, s6
	s_delay_alu instid0(SALU_CYCLE_1)
	v_dual_mov_b32 v2, 0 :: v_dual_mov_b32 v3, s6
	s_wait_xcnt 0x0
	s_wait_kmcnt 0x0
	global_atomic_add_u32 v2, v2, v3, s[8:9] th:TH_ATOMIC_RETURN scope:SCOPE_DEV
.LBB1671_3:
	s_wait_xcnt 0x0
	s_or_b32 exec_lo, exec_lo, s5
	s_wait_loadcnt 0x0
	v_readfirstlane_b32 s5, v2
	s_delay_alu instid0(VALU_DEP_1)
	v_dual_mov_b32 v2, 0 :: v_dual_add_nc_u32 v1, s5, v1
	ds_store_b32 v2, v1
.LBB1671_4:
	s_or_b32 exec_lo, exec_lo, s4
	v_mov_b32_e32 v1, 0
	s_clause 0x2
	s_load_b256 s[12:19], s[0:1], 0x0
	s_load_b32 s38, s[0:1], 0x40
	s_load_b256 s[20:27], s[0:1], 0x48
	s_wait_dscnt 0x0
	s_barrier_signal -1
	s_barrier_wait -1
	ds_load_b32 v2, v1
	s_mov_b32 s39, 0
	s_wait_dscnt 0x0
	s_mov_b32 s9, s39
	s_barrier_signal -1
	s_barrier_wait -1
	s_barrier_signal -1
	s_barrier_wait -1
	s_wait_kmcnt 0x0
	s_lshl_b64 s[34:35], s[14:15], 2
	s_mul_u64 s[6:7], s[36:37], s[38:39]
	s_cmp_lg_u64 s[24:25], 0
	s_add_nc_u64 s[0:1], s[12:13], s[34:35]
	s_add_nc_u64 s[4:5], s[16:17], s[34:35]
	s_cselect_b32 s42, -1, 0
	v_readfirstlane_b32 s38, v2
	s_add_nc_u64 s[24:25], s[6:7], s[38:39]
	s_add_nc_u64 s[6:7], s[20:21], -1
	s_mul_i32 s8, s38, 0xc00
	v_cmp_ge_u64_e64 s31, s[24:25], s[6:7]
	s_lshl_b64 s[16:17], s[8:9], 2
	s_mul_i32 s33, s6, 0xfffff400
	s_add_nc_u64 s[20:21], s[0:1], s[16:17]
	s_add_nc_u64 s[14:15], s[4:5], s[16:17]
	s_and_b32 vcc_lo, exec_lo, s31
	s_cbranch_vccz .LBB1671_32
; %bb.5:
	flat_load_b32 v1, v1, s[20:21]
	s_add_co_i32 s43, s33, s30
	s_delay_alu instid0(SALU_CYCLE_1)
	v_cmp_gt_u32_e64 s0, s43, v0
	s_wait_loadcnt_dscnt 0x0
	v_mov_b32_e32 v2, v1
	s_and_saveexec_b32 s1, s0
	s_cbranch_execz .LBB1671_7
; %bb.6:
	flat_load_b32 v2, v0, s[20:21] scale_offset
.LBB1671_7:
	s_wait_xcnt 0x0
	s_or_b32 exec_lo, exec_lo, s1
	v_or_b32_e32 v3, 0x100, v0
	v_mov_b32_e32 v4, v1
	s_delay_alu instid0(VALU_DEP_2)
	v_cmp_gt_u32_e64 s1, s43, v3
	s_and_saveexec_b32 s4, s1
	s_cbranch_execz .LBB1671_9
; %bb.8:
	flat_load_b32 v4, v0, s[20:21] offset:1024 scale_offset
.LBB1671_9:
	s_wait_xcnt 0x0
	s_or_b32 exec_lo, exec_lo, s4
	v_or_b32_e32 v3, 0x200, v0
	v_mov_b32_e32 v5, v1
	s_delay_alu instid0(VALU_DEP_2)
	v_cmp_gt_u32_e64 s4, s43, v3
	s_and_saveexec_b32 s5, s4
	s_cbranch_execz .LBB1671_11
; %bb.10:
	flat_load_b32 v5, v0, s[20:21] offset:2048 scale_offset
.LBB1671_11:
	;; [unrolled: 11-line block ×10, first 2 shown]
	s_wait_xcnt 0x0
	s_or_b32 exec_lo, exec_lo, s13
	v_or_b32_e32 v3, 0xb00, v0
	s_mov_b32 s39, exec_lo
	s_delay_alu instid0(VALU_DEP_1) | instskip(SKIP_2) | instid1(SALU_CYCLE_1)
	v_cmp_gt_u32_e64 s13, s43, v3
	v_cmpx_le_u32_e64 s43, v3
	s_xor_b32 s39, exec_lo, s39
	s_and_not1_saveexec_b32 s39, s39
	s_cbranch_execz .LBB1671_29
; %bb.28:
	flat_load_b32 v1, v0, s[20:21] offset:11264 scale_offset
.LBB1671_29:
	s_wait_xcnt 0x0
	s_or_b32 exec_lo, exec_lo, s39
	v_lshlrev_b32_e32 v3, 2, v0
	s_cmp_eq_u64 s[24:25], 0
	s_mov_b64 s[40:41], s[20:21]
	s_wait_loadcnt_dscnt 0x0
	ds_store_2addr_stride64_b32 v3, v2, v4 offset1:4
	ds_store_2addr_stride64_b32 v3, v5, v6 offset0:8 offset1:12
	ds_store_2addr_stride64_b32 v3, v7, v8 offset0:16 offset1:20
	;; [unrolled: 1-line block ×5, first 2 shown]
	v_mad_u32_u24 v1, v0, 44, v3
	s_wait_dscnt 0x0
	s_barrier_signal -1
	s_barrier_wait -1
	ds_load_b128 v[14:17], v1
	ds_load_b128 v[10:13], v1 offset:16
	ds_load_b128 v[6:9], v1 offset:32
	s_cbranch_scc1 .LBB1671_35
; %bb.30:
	s_and_not1_b32 vcc_lo, exec_lo, s42
	s_cbranch_vccnz .LBB1671_33
; %bb.31:
	s_lshl_b64 s[40:41], s[24:25], 2
	s_mov_b32 s39, 0
	s_add_nc_u64 s[40:41], s[26:27], s[40:41]
	s_delay_alu instid0(SALU_CYCLE_1)
	s_add_nc_u64 s[40:41], s[40:41], -4
	s_branch .LBB1671_34
.LBB1671_32:
                                        ; implicit-def: $sgpr4
                                        ; implicit-def: $vgpr5
                                        ; implicit-def: $vgpr18_vgpr19
                                        ; implicit-def: $vgpr42_vgpr43
                                        ; implicit-def: $vgpr46_vgpr47
                                        ; implicit-def: $vgpr44_vgpr45
                                        ; implicit-def: $vgpr48_vgpr49
                                        ; implicit-def: $vgpr50_vgpr51
                                        ; implicit-def: $vgpr52_vgpr53
                                        ; implicit-def: $vgpr54_vgpr55
                                        ; implicit-def: $vgpr56_vgpr57
                                        ; implicit-def: $vgpr58_vgpr59
                                        ; implicit-def: $vgpr38_vgpr39
                                        ; implicit-def: $vgpr36_vgpr37
                                        ; implicit-def: $vgpr34_vgpr35
                                        ; implicit-def: $vgpr32_vgpr33
                                        ; implicit-def: $vgpr30_vgpr31
                                        ; implicit-def: $vgpr28_vgpr29
                                        ; implicit-def: $vgpr26_vgpr27
                                        ; implicit-def: $vgpr24_vgpr25
                                        ; implicit-def: $vgpr22_vgpr23
                                        ; implicit-def: $vgpr20_vgpr21
	v_lshlrev_b32_e32 v16, 2, v0
	s_cbranch_execnz .LBB1671_73
	s_branch .LBB1671_92
.LBB1671_33:
	s_add_nc_u64 s[40:41], s[20:21], -4
	s_mov_b32 s39, -1
.LBB1671_34:
	s_delay_alu instid0(SALU_CYCLE_1)
	s_and_not1_b32 vcc_lo, exec_lo, s39
.LBB1671_35:
	v_mov_b32_e32 v2, 0
	v_mad_i32_i24 v4, 0xffffffd4, v0, v1
	flat_load_b32 v2, v2, s[40:41]
	s_wait_dscnt 0x1
	ds_store_b32 v4, v9 offset:12288
	s_wait_loadcnt_dscnt 0x0
	s_barrier_signal -1
	s_barrier_wait -1
	s_and_saveexec_b32 s39, s3
; %bb.36:
	v_mul_i32_i24_e32 v2, 0xffffffd4, v0
	s_delay_alu instid0(VALU_DEP_1)
	v_add_nc_u32_e32 v2, v1, v2
	ds_load_b32 v2, v2 offset:12284
; %bb.37:
	s_or_b32 exec_lo, exec_lo, s39
	s_wait_dscnt 0x0
	s_barrier_signal -1
	s_barrier_wait -1
                                        ; implicit-def: $vgpr5
	s_and_saveexec_b32 s39, s0
	s_cbranch_execnz .LBB1671_76
; %bb.38:
	s_or_b32 exec_lo, exec_lo, s39
                                        ; implicit-def: $vgpr18
	s_and_saveexec_b32 s0, s1
	s_cbranch_execnz .LBB1671_77
.LBB1671_39:
	s_or_b32 exec_lo, exec_lo, s0
                                        ; implicit-def: $vgpr19
	s_and_saveexec_b32 s0, s4
	s_cbranch_execnz .LBB1671_78
.LBB1671_40:
	s_or_b32 exec_lo, exec_lo, s0
                                        ; implicit-def: $vgpr20
	s_and_saveexec_b32 s0, s5
	s_cbranch_execnz .LBB1671_79
.LBB1671_41:
	s_or_b32 exec_lo, exec_lo, s0
                                        ; implicit-def: $vgpr21
	s_and_saveexec_b32 s0, s6
	s_cbranch_execnz .LBB1671_80
.LBB1671_42:
	s_or_b32 exec_lo, exec_lo, s0
                                        ; implicit-def: $vgpr22
	s_and_saveexec_b32 s0, s7
	s_cbranch_execnz .LBB1671_81
.LBB1671_43:
	s_or_b32 exec_lo, exec_lo, s0
                                        ; implicit-def: $vgpr23
	s_and_saveexec_b32 s0, s8
	s_cbranch_execnz .LBB1671_82
.LBB1671_44:
	s_or_b32 exec_lo, exec_lo, s0
                                        ; implicit-def: $vgpr24
	s_and_saveexec_b32 s0, s9
	s_cbranch_execnz .LBB1671_83
.LBB1671_45:
	s_or_b32 exec_lo, exec_lo, s0
                                        ; implicit-def: $vgpr25
	s_and_saveexec_b32 s0, s10
	s_cbranch_execnz .LBB1671_84
.LBB1671_46:
	s_or_b32 exec_lo, exec_lo, s0
                                        ; implicit-def: $vgpr26
	s_and_saveexec_b32 s0, s11
	s_cbranch_execnz .LBB1671_85
.LBB1671_47:
	s_or_b32 exec_lo, exec_lo, s0
                                        ; implicit-def: $vgpr27
	s_and_saveexec_b32 s0, s12
	s_cbranch_execnz .LBB1671_86
.LBB1671_48:
	s_or_b32 exec_lo, exec_lo, s0
                                        ; implicit-def: $vgpr28
	s_and_saveexec_b32 s0, s13
	s_cbranch_execz .LBB1671_50
.LBB1671_49:
	flat_load_b32 v28, v0, s[14:15] offset:11264 scale_offset
.LBB1671_50:
	s_wait_xcnt 0x0
	s_or_b32 exec_lo, exec_lo, s0
	s_wait_loadcnt_dscnt 0x0
	ds_store_2addr_stride64_b32 v3, v5, v18 offset1:4
	ds_store_2addr_stride64_b32 v3, v19, v20 offset0:8 offset1:12
	ds_store_2addr_stride64_b32 v3, v21, v22 offset0:16 offset1:20
	;; [unrolled: 1-line block ×5, first 2 shown]
	v_mov_b64_e32 v[18:19], 0
	v_mov_b64_e32 v[42:43], 0
	v_mov_b64_e32 v[46:47], 0
	v_mov_b64_e32 v[44:45], 0
	v_mov_b64_e32 v[48:49], 0
	v_mov_b64_e32 v[50:51], 0
	v_mov_b64_e32 v[52:53], 0
	v_mov_b64_e32 v[54:55], 0
	v_mov_b64_e32 v[56:57], 0
	v_mov_b64_e32 v[58:59], 0
	v_mov_b64_e32 v[38:39], 0
	v_mov_b64_e32 v[36:37], 0
	v_mov_b64_e32 v[34:35], 0
	v_mov_b64_e32 v[32:33], 0
	v_mov_b64_e32 v[30:31], 0
	v_mov_b64_e32 v[28:29], 0
	v_mov_b64_e32 v[26:27], 0
	v_mov_b64_e32 v[24:25], 0
	v_mov_b64_e32 v[22:23], 0
	v_mov_b64_e32 v[20:21], 0
	v_mul_u32_u24_e32 v4, 12, v0
	s_mov_b32 s1, 0
	s_mov_b32 s39, 0
	s_mov_b32 s5, exec_lo
	s_wait_dscnt 0x0
	s_barrier_signal -1
	s_barrier_wait -1
                                        ; implicit-def: $sgpr4
                                        ; implicit-def: $vgpr5
	v_cmpx_gt_u32_e64 s43, v4
	s_cbranch_execz .LBB1671_72
; %bb.51:
	ds_load_b32 v18, v1
	v_cmp_ne_u32_e32 vcc_lo, v2, v14
	v_mov_b64_e32 v[42:43], 0
	v_mov_b64_e32 v[46:47], 0
	;; [unrolled: 1-line block ×18, first 2 shown]
	v_or_b32_e32 v3, 1, v4
	v_cndmask_b32_e64 v19, 0, 1, vcc_lo
	s_mov_b32 s0, 0
	s_mov_b32 s6, exec_lo
                                        ; implicit-def: $sgpr4
                                        ; implicit-def: $vgpr5
	s_delay_alu instid0(VALU_DEP_2)
	v_cmpx_gt_u32_e64 s43, v3
	s_cbranch_execz .LBB1671_71
; %bb.52:
	ds_load_2addr_b32 v[42:43], v1 offset0:1 offset1:2
	v_cmp_ne_u32_e32 vcc_lo, v14, v15
	v_mov_b64_e32 v[46:47], 0
	v_mov_b64_e32 v[44:45], 0
	;; [unrolled: 1-line block ×16, first 2 shown]
	v_or_b32_e32 v3, 2, v4
	v_cndmask_b32_e64 v2, 0, 1, vcc_lo
	s_mov_b32 s7, exec_lo
                                        ; implicit-def: $sgpr4
                                        ; implicit-def: $vgpr5
	s_delay_alu instid0(VALU_DEP_2)
	v_cmpx_gt_u32_e64 s43, v3
	s_cbranch_execz .LBB1671_70
; %bb.53:
	v_cmp_ne_u32_e32 vcc_lo, v15, v16
	v_mov_b64_e32 v[44:45], 0
	v_mov_b64_e32 v[48:49], 0
	;; [unrolled: 1-line block ×14, first 2 shown]
	v_or_b32_e32 v3, 3, v4
	v_cndmask_b32_e64 v47, 0, 1, vcc_lo
	s_mov_b32 s8, exec_lo
                                        ; implicit-def: $sgpr4
                                        ; implicit-def: $vgpr5
	s_delay_alu instid0(VALU_DEP_2)
	v_cmpx_gt_u32_e64 s43, v3
	s_cbranch_execz .LBB1671_69
; %bb.54:
	ds_load_2addr_b32 v[44:45], v1 offset0:3 offset1:4
	v_add_nc_u32_e32 v5, 4, v4
	v_cmp_ne_u32_e32 vcc_lo, v16, v17
	v_mov_b64_e32 v[48:49], 0
	v_mov_b64_e32 v[50:51], 0
	;; [unrolled: 1-line block ×12, first 2 shown]
	v_cndmask_b32_e64 v3, 0, 1, vcc_lo
	v_cmp_gt_u32_e32 vcc_lo, s43, v5
                                        ; implicit-def: $sgpr4
                                        ; implicit-def: $vgpr5
	s_and_saveexec_b32 s9, vcc_lo
	s_cbranch_execz .LBB1671_68
; %bb.55:
	v_add_nc_u32_e32 v5, 5, v4
	v_cmp_ne_u32_e32 vcc_lo, v17, v10
	v_mov_b64_e32 v[50:51], 0
	v_mov_b64_e32 v[52:53], 0
	;; [unrolled: 1-line block ×10, first 2 shown]
	v_cndmask_b32_e64 v49, 0, 1, vcc_lo
	v_cmp_gt_u32_e32 vcc_lo, s43, v5
                                        ; implicit-def: $sgpr4
                                        ; implicit-def: $vgpr5
	s_and_saveexec_b32 s10, vcc_lo
	s_cbranch_execz .LBB1671_67
; %bb.56:
	ds_load_2addr_b32 v[50:51], v1 offset0:5 offset1:6
	v_add_nc_u32_e32 v5, 6, v4
	v_cmp_ne_u32_e32 vcc_lo, v10, v11
	v_mov_b64_e32 v[52:53], 0
	v_mov_b64_e32 v[54:55], 0
	;; [unrolled: 1-line block ×8, first 2 shown]
	v_cndmask_b32_e64 v10, 0, 1, vcc_lo
	v_cmp_gt_u32_e32 vcc_lo, s43, v5
                                        ; implicit-def: $sgpr4
                                        ; implicit-def: $vgpr5
	s_and_saveexec_b32 s11, vcc_lo
	s_cbranch_execz .LBB1671_66
; %bb.57:
	v_add_nc_u32_e32 v5, 7, v4
	v_cmp_ne_u32_e32 vcc_lo, v11, v12
	v_mov_b64_e32 v[54:55], 0
	v_mov_b64_e32 v[56:57], 0
	;; [unrolled: 1-line block ×6, first 2 shown]
	v_cndmask_b32_e64 v53, 0, 1, vcc_lo
	v_cmp_gt_u32_e32 vcc_lo, s43, v5
                                        ; implicit-def: $sgpr4
                                        ; implicit-def: $vgpr5
	s_and_saveexec_b32 s12, vcc_lo
	s_cbranch_execz .LBB1671_65
; %bb.58:
	ds_load_2addr_b32 v[54:55], v1 offset0:7 offset1:8
	v_add_nc_u32_e32 v5, 8, v4
	v_cmp_ne_u32_e32 vcc_lo, v12, v13
	v_mov_b64_e32 v[56:57], 0
	v_mov_b64_e32 v[58:59], 0
	v_mov_b64_e32 v[22:23], 0
	v_mov_b64_e32 v[20:21], 0
	v_cndmask_b32_e64 v11, 0, 1, vcc_lo
	v_cmp_gt_u32_e32 vcc_lo, s43, v5
                                        ; implicit-def: $sgpr4
                                        ; implicit-def: $vgpr5
	s_and_saveexec_b32 s13, vcc_lo
	s_cbranch_execz .LBB1671_64
; %bb.59:
	v_add_nc_u32_e32 v5, 9, v4
	v_cmp_ne_u32_e32 vcc_lo, v13, v6
	v_mov_b64_e32 v[58:59], 0
	v_mov_b64_e32 v[20:21], 0
                                        ; implicit-def: $sgpr4
	v_cndmask_b32_e64 v57, 0, 1, vcc_lo
	v_cmp_gt_u32_e32 vcc_lo, s43, v5
                                        ; implicit-def: $vgpr5
	s_and_saveexec_b32 s39, vcc_lo
	s_cbranch_execz .LBB1671_63
; %bb.60:
	ds_load_2addr_b32 v[58:59], v1 offset0:9 offset1:10
	v_add_nc_u32_e32 v5, 10, v4
	v_cmp_ne_u32_e32 vcc_lo, v6, v7
	v_mov_b64_e32 v[20:21], 0
                                        ; implicit-def: $sgpr4
	v_cndmask_b32_e64 v6, 0, 1, vcc_lo
	s_delay_alu instid0(VALU_DEP_4) | instskip(SKIP_1) | instid1(SALU_CYCLE_1)
	v_cmp_gt_u32_e32 vcc_lo, s43, v5
                                        ; implicit-def: $vgpr5
	s_and_saveexec_b32 s40, vcc_lo
	s_xor_b32 s40, exec_lo, s40
	s_cbranch_execz .LBB1671_62
; %bb.61:
	ds_load_b32 v5, v1 offset:44
	s_wait_dscnt 0x1
	v_dual_mov_b32 v20, v59 :: v_dual_add_nc_u32 v1, 11, v4
	v_cmp_ne_u32_e64 s0, v7, v8
	v_cmp_ne_u32_e64 s4, v8, v9
	s_delay_alu instid0(VALU_DEP_3) | instskip(NEXT) | instid1(VALU_DEP_3)
	v_cmp_gt_u32_e32 vcc_lo, s43, v1
	v_cndmask_b32_e64 v21, 0, 1, s0
	s_and_b32 s0, vcc_lo, exec_lo
.LBB1671_62:
	s_or_b32 exec_lo, exec_lo, s40
	s_wait_dscnt 0x0
	v_mov_b32_e32 v59, v6
	s_and_b32 s0, s0, exec_lo
.LBB1671_63:
	s_or_b32 exec_lo, exec_lo, s39
	s_delay_alu instid0(VALU_DEP_1)
	v_mov_b64_e32 v[22:23], v[58:59]
	s_wait_dscnt 0x0
	v_mov_b32_e32 v56, v55
	s_and_b32 s0, s0, exec_lo
.LBB1671_64:
	s_or_b32 exec_lo, exec_lo, s13
	s_delay_alu instid0(VALU_DEP_1)
	v_mov_b64_e32 v[24:25], v[56:57]
	s_wait_dscnt 0x0
	v_mov_b32_e32 v55, v11
	s_and_b32 s0, s0, exec_lo
.LBB1671_65:
	s_or_b32 exec_lo, exec_lo, s12
	s_delay_alu instid0(VALU_DEP_1)
	v_mov_b64_e32 v[26:27], v[54:55]
	s_wait_dscnt 0x0
	v_mov_b32_e32 v52, v51
	s_and_b32 s0, s0, exec_lo
.LBB1671_66:
	s_or_b32 exec_lo, exec_lo, s11
	s_delay_alu instid0(VALU_DEP_1)
	v_mov_b64_e32 v[28:29], v[52:53]
	s_wait_dscnt 0x0
	v_mov_b32_e32 v51, v10
	s_and_b32 s0, s0, exec_lo
.LBB1671_67:
	s_or_b32 exec_lo, exec_lo, s10
	s_delay_alu instid0(VALU_DEP_1)
	v_mov_b64_e32 v[30:31], v[50:51]
	s_wait_dscnt 0x0
	v_mov_b32_e32 v48, v45
	s_and_b32 s0, s0, exec_lo
.LBB1671_68:
	s_or_b32 exec_lo, exec_lo, s9
	s_delay_alu instid0(VALU_DEP_1)
	v_mov_b64_e32 v[32:33], v[48:49]
	s_wait_dscnt 0x0
	v_mov_b32_e32 v45, v3
	s_and_b32 s0, s0, exec_lo
.LBB1671_69:
	s_or_b32 exec_lo, exec_lo, s8
	s_delay_alu instid0(VALU_DEP_1)
	v_mov_b64_e32 v[34:35], v[44:45]
	s_wait_dscnt 0x0
	v_mov_b32_e32 v46, v43
	s_and_b32 s0, s0, exec_lo
.LBB1671_70:
	s_or_b32 exec_lo, exec_lo, s7
	s_delay_alu instid0(VALU_DEP_1)
	v_mov_b64_e32 v[36:37], v[46:47]
	s_wait_dscnt 0x0
	v_mov_b32_e32 v43, v2
	s_and_b32 s0, s0, exec_lo
.LBB1671_71:
	s_or_b32 exec_lo, exec_lo, s6
	s_delay_alu instid0(VALU_DEP_1)
	v_mov_b64_e32 v[38:39], v[42:43]
	s_and_b32 s39, s0, exec_lo
.LBB1671_72:
	s_or_b32 exec_lo, exec_lo, s5
	v_lshlrev_b32_e32 v16, 2, v0
	s_and_b32 vcc_lo, exec_lo, s1
	s_cbranch_vccz .LBB1671_92
.LBB1671_73:
	s_clause 0xb
	flat_load_b32 v2, v0, s[20:21] scale_offset
	flat_load_b32 v3, v0, s[20:21] offset:1024 scale_offset
	flat_load_b32 v4, v0, s[20:21] offset:2048 scale_offset
	;; [unrolled: 1-line block ×11, first 2 shown]
	v_mad_u32_u24 v1, v0, 44, v16
	v_mov_b32_e32 v14, 0
	s_cmp_eq_u64 s[24:25], 0
	s_wait_loadcnt_dscnt 0xa0a
	ds_store_2addr_stride64_b32 v16, v2, v3 offset1:4
	s_wait_loadcnt_dscnt 0x809
	ds_store_2addr_stride64_b32 v16, v4, v5 offset0:8 offset1:12
	s_wait_loadcnt_dscnt 0x608
	ds_store_2addr_stride64_b32 v16, v6, v7 offset0:16 offset1:20
	;; [unrolled: 2-line block ×5, first 2 shown]
	s_wait_dscnt 0x0
	s_barrier_signal -1
	s_barrier_wait -1
	ds_load_b128 v[2:5], v1
	ds_load_b128 v[10:13], v1 offset:16
	ds_load_b128 v[6:9], v1 offset:32
	s_cbranch_scc1 .LBB1671_89
; %bb.74:
	s_and_not1_b32 vcc_lo, exec_lo, s42
	s_cbranch_vccnz .LBB1671_87
; %bb.75:
	s_lshl_b64 s[0:1], s[24:25], 2
	s_delay_alu instid0(SALU_CYCLE_1) | instskip(NEXT) | instid1(SALU_CYCLE_1)
	s_add_nc_u64 s[0:1], s[26:27], s[0:1]
	s_add_nc_u64 s[20:21], s[0:1], -4
	s_mov_b32 s0, 0
	s_branch .LBB1671_88
.LBB1671_76:
	flat_load_b32 v5, v0, s[14:15] scale_offset
	s_wait_xcnt 0x0
	s_or_b32 exec_lo, exec_lo, s39
                                        ; implicit-def: $vgpr18
	s_and_saveexec_b32 s0, s1
	s_cbranch_execz .LBB1671_39
.LBB1671_77:
	flat_load_b32 v18, v0, s[14:15] offset:1024 scale_offset
	s_wait_xcnt 0x0
	s_or_b32 exec_lo, exec_lo, s0
                                        ; implicit-def: $vgpr19
	s_and_saveexec_b32 s0, s4
	s_cbranch_execz .LBB1671_40
.LBB1671_78:
	flat_load_b32 v19, v0, s[14:15] offset:2048 scale_offset
	s_wait_xcnt 0x0
	s_or_b32 exec_lo, exec_lo, s0
                                        ; implicit-def: $vgpr20
	s_and_saveexec_b32 s0, s5
	s_cbranch_execz .LBB1671_41
.LBB1671_79:
	flat_load_b32 v20, v0, s[14:15] offset:3072 scale_offset
	s_wait_xcnt 0x0
	s_or_b32 exec_lo, exec_lo, s0
                                        ; implicit-def: $vgpr21
	s_and_saveexec_b32 s0, s6
	s_cbranch_execz .LBB1671_42
.LBB1671_80:
	flat_load_b32 v21, v0, s[14:15] offset:4096 scale_offset
	s_wait_xcnt 0x0
	s_or_b32 exec_lo, exec_lo, s0
                                        ; implicit-def: $vgpr22
	s_and_saveexec_b32 s0, s7
	s_cbranch_execz .LBB1671_43
.LBB1671_81:
	flat_load_b32 v22, v0, s[14:15] offset:5120 scale_offset
	s_wait_xcnt 0x0
	s_or_b32 exec_lo, exec_lo, s0
                                        ; implicit-def: $vgpr23
	s_and_saveexec_b32 s0, s8
	s_cbranch_execz .LBB1671_44
.LBB1671_82:
	flat_load_b32 v23, v0, s[14:15] offset:6144 scale_offset
	s_wait_xcnt 0x0
	s_or_b32 exec_lo, exec_lo, s0
                                        ; implicit-def: $vgpr24
	s_and_saveexec_b32 s0, s9
	s_cbranch_execz .LBB1671_45
.LBB1671_83:
	flat_load_b32 v24, v0, s[14:15] offset:7168 scale_offset
	s_wait_xcnt 0x0
	s_or_b32 exec_lo, exec_lo, s0
                                        ; implicit-def: $vgpr25
	s_and_saveexec_b32 s0, s10
	s_cbranch_execz .LBB1671_46
.LBB1671_84:
	flat_load_b32 v25, v0, s[14:15] offset:8192 scale_offset
	s_wait_xcnt 0x0
	s_or_b32 exec_lo, exec_lo, s0
                                        ; implicit-def: $vgpr26
	s_and_saveexec_b32 s0, s11
	s_cbranch_execz .LBB1671_47
.LBB1671_85:
	flat_load_b32 v26, v0, s[14:15] offset:9216 scale_offset
	s_wait_xcnt 0x0
	s_or_b32 exec_lo, exec_lo, s0
                                        ; implicit-def: $vgpr27
	s_and_saveexec_b32 s0, s12
	s_cbranch_execz .LBB1671_48
.LBB1671_86:
	flat_load_b32 v27, v0, s[14:15] offset:10240 scale_offset
	s_wait_xcnt 0x0
	s_or_b32 exec_lo, exec_lo, s0
                                        ; implicit-def: $vgpr28
	s_and_saveexec_b32 s0, s13
	s_cbranch_execnz .LBB1671_49
	s_branch .LBB1671_50
.LBB1671_87:
	s_add_nc_u64 s[20:21], s[20:21], -4
	s_mov_b32 s0, -1
.LBB1671_88:
	s_delay_alu instid0(SALU_CYCLE_1)
	s_and_not1_b32 vcc_lo, exec_lo, s0
.LBB1671_89:
	flat_load_b32 v14, v14, s[20:21]
	v_mad_i32_i24 v15, 0xffffffd4, v0, v1
	s_wait_dscnt 0x1
	ds_store_b32 v15, v9 offset:12288
	s_wait_loadcnt_dscnt 0x0
	s_barrier_signal -1
	s_barrier_wait -1
	s_and_saveexec_b32 s0, s3
; %bb.90:
	v_mul_i32_i24_e32 v14, 0xffffffd4, v0
	s_delay_alu instid0(VALU_DEP_1)
	v_add_nc_u32_e32 v14, v1, v14
	ds_load_b32 v14, v14 offset:12284
; %bb.91:
	s_or_b32 exec_lo, exec_lo, s0
	s_wait_dscnt 0x0
	s_barrier_signal -1
	s_barrier_wait -1
	s_clause 0xb
	flat_load_b32 v15, v0, s[14:15] scale_offset
	flat_load_b32 v17, v0, s[14:15] offset:1024 scale_offset
	flat_load_b32 v18, v0, s[14:15] offset:2048 scale_offset
	;; [unrolled: 1-line block ×11, first 2 shown]
	v_cmp_ne_u32_e32 vcc_lo, v14, v2
	v_cmp_ne_u32_e64 s4, v8, v9
	s_mov_b32 s39, -1
	s_wait_loadcnt_dscnt 0xa0a
	ds_store_2addr_stride64_b32 v16, v15, v17 offset1:4
	s_wait_loadcnt_dscnt 0x809
	ds_store_2addr_stride64_b32 v16, v18, v20 offset0:8 offset1:12
	s_wait_loadcnt_dscnt 0x608
	ds_store_2addr_stride64_b32 v16, v21, v22 offset0:16 offset1:20
	;; [unrolled: 2-line block ×5, first 2 shown]
	v_cndmask_b32_e64 v19, 0, 1, vcc_lo
	v_cmp_ne_u32_e32 vcc_lo, v2, v3
	s_wait_dscnt 0x0
	s_barrier_signal -1
	s_barrier_wait -1
	v_cndmask_b32_e64 v43, 0, 1, vcc_lo
	v_cmp_ne_u32_e32 vcc_lo, v3, v4
	ds_load_b128 v[22:25], v1
	ds_load_b128 v[26:29], v1 offset:16
	v_cndmask_b32_e64 v47, 0, 1, vcc_lo
	v_cmp_ne_u32_e32 vcc_lo, v4, v5
	v_cndmask_b32_e64 v45, 0, 1, vcc_lo
	v_cmp_ne_u32_e32 vcc_lo, v5, v10
	ds_load_b128 v[2:5], v1 offset:32
	v_cndmask_b32_e64 v49, 0, 1, vcc_lo
	v_cmp_ne_u32_e32 vcc_lo, v10, v11
	s_wait_dscnt 0x2
	v_dual_mov_b32 v18, v22 :: v_dual_mov_b32 v42, v23
	v_cndmask_b32_e64 v51, 0, 1, vcc_lo
	v_cmp_ne_u32_e32 vcc_lo, v11, v12
	v_dual_mov_b32 v46, v24 :: v_dual_mov_b32 v44, v25
	s_wait_dscnt 0x1
	v_dual_mov_b32 v48, v26 :: v_dual_mov_b32 v50, v27
	v_cndmask_b32_e64 v53, 0, 1, vcc_lo
	v_cmp_ne_u32_e32 vcc_lo, v12, v13
	v_dual_mov_b32 v52, v28 :: v_dual_mov_b32 v54, v29
	s_wait_dscnt 0x0
	v_dual_mov_b32 v56, v2 :: v_dual_mov_b32 v58, v3
	v_cndmask_b32_e64 v55, 0, 1, vcc_lo
	v_cmp_ne_u32_e32 vcc_lo, v13, v6
	v_mov_b64_e32 v[38:39], v[42:43]
	v_mov_b64_e32 v[36:37], v[46:47]
	;; [unrolled: 1-line block ×4, first 2 shown]
	v_cndmask_b32_e64 v57, 0, 1, vcc_lo
	v_cmp_ne_u32_e32 vcc_lo, v6, v7
	v_mov_b64_e32 v[30:31], v[50:51]
	v_mov_b64_e32 v[28:29], v[52:53]
	;; [unrolled: 1-line block ×4, first 2 shown]
	v_cndmask_b32_e64 v59, 0, 1, vcc_lo
	v_cmp_ne_u32_e32 vcc_lo, v7, v8
	v_mov_b32_e32 v20, v4
	s_delay_alu instid0(VALU_DEP_3)
	v_mov_b64_e32 v[22:23], v[58:59]
	v_cndmask_b32_e64 v21, 0, 1, vcc_lo
.LBB1671_92:
	v_mov_b64_e32 v[40:41], 0
	s_and_saveexec_b32 s0, s39
	s_cbranch_execz .LBB1671_94
; %bb.93:
	v_mov_b64_e32 v[22:23], v[58:59]
	v_mov_b64_e32 v[24:25], v[56:57]
	v_mov_b64_e32 v[26:27], v[54:55]
	v_mov_b64_e32 v[28:29], v[52:53]
	v_mov_b64_e32 v[30:31], v[50:51]
	v_mov_b64_e32 v[32:33], v[48:49]
	v_mov_b64_e32 v[34:35], v[44:45]
	v_mov_b64_e32 v[36:37], v[46:47]
	v_mov_b64_e32 v[38:39], v[42:43]
	v_cndmask_b32_e64 v41, 0, 1, s4
	v_mov_b32_e32 v40, v5
.LBB1671_94:
	s_or_b32 exec_lo, exec_lo, s0
	v_dual_lshrrev_b32 v1, 2, v0 :: v_dual_bitop2_b32 v42, v27, v25 bitop3:0x54
	v_or_b32_e32 v17, v23, v21
	s_cmp_lg_u32 s38, 0
	s_wait_dscnt 0x0
	v_cmp_gt_u32_e32 vcc_lo, 32, v0
	s_barrier_signal -1
	s_barrier_wait -1
	s_cbranch_scc0 .LBB1671_122
; %bb.95:
	s_mov_b64 s[12:13], 0x100000000
	v_or3_b32 v3, v42, v29, v31
	v_cmp_gt_u64_e64 s0, s[12:13], v[38:39]
	v_cmp_gt_u64_e64 s1, s[12:13], v[36:37]
	;; [unrolled: 1-line block ×7, first 2 shown]
	v_dual_cndmask_b32 v2, 0, v18, s0 :: v_dual_bitop2_b32 v5, 56, v1 bitop3:0x40
	v_cmp_gt_u64_e64 s9, s[12:13], v[24:25]
	v_cmp_gt_u64_e64 s10, s[12:13], v[22:23]
	;; [unrolled: 1-line block ×4, first 2 shown]
	v_add_nc_u32_e32 v2, v2, v38
	v_or3_b32 v3, v3, v33, v35
	v_lshl_add_u32 v5, v0, 3, v5
	s_delay_alu instid0(VALU_DEP_3) | instskip(NEXT) | instid1(VALU_DEP_3)
	v_cndmask_b32_e64 v2, 0, v2, s1
	v_or3_b32 v3, v3, v37, v39
	s_delay_alu instid0(VALU_DEP_2) | instskip(NEXT) | instid1(VALU_DEP_2)
	v_add_nc_u32_e32 v2, v2, v36
	v_or3_b32 v3, v41, v17, v3
	s_delay_alu instid0(VALU_DEP_2) | instskip(NEXT) | instid1(VALU_DEP_2)
	v_cndmask_b32_e64 v2, 0, v2, s4
	v_and_b32_e32 v3, 0xff, v3
	s_delay_alu instid0(VALU_DEP_2) | instskip(NEXT) | instid1(VALU_DEP_1)
	v_add_nc_u32_e32 v2, v2, v34
	v_cndmask_b32_e64 v2, 0, v2, s5
	s_delay_alu instid0(VALU_DEP_1) | instskip(NEXT) | instid1(VALU_DEP_1)
	v_add_nc_u32_e32 v2, v2, v32
	v_cndmask_b32_e64 v2, 0, v2, s6
	s_delay_alu instid0(VALU_DEP_1) | instskip(NEXT) | instid1(VALU_DEP_1)
	;; [unrolled: 3-line block ×7, first 2 shown]
	v_dual_add_nc_u32 v4, v2, v20 :: v_dual_mov_b32 v2, 0
	v_cndmask_b32_e64 v4, 0, v4, s12
	s_delay_alu instid0(VALU_DEP_2) | instskip(NEXT) | instid1(VALU_DEP_1)
	v_cmp_eq_u64_e64 s13, 0, v[2:3]
	v_dual_add_nc_u32 v12, v4, v40 :: v_dual_cndmask_b32 v13, 1, v19, s13
	ds_store_b32 v5, v12
	ds_store_b8 v5, v13 offset:4
	s_wait_dscnt 0x0
	s_barrier_signal -1
	s_barrier_wait -1
	s_and_saveexec_b32 s14, vcc_lo
	s_cbranch_execz .LBB1671_105
; %bb.96:
	v_dual_lshlrev_b32 v2, 1, v0 :: v_dual_lshlrev_b32 v3, 6, v0
	s_mov_b32 s15, exec_lo
	s_delay_alu instid0(VALU_DEP_1) | instskip(NEXT) | instid1(VALU_DEP_1)
	v_and_b32_e32 v2, 0x1f8, v2
	v_add_nc_u32_e32 v4, v2, v3
	ds_load_u8 v5, v4 offset:12
	ds_load_b64 v[2:3], v4
	ds_load_2addr_b32 v[6:7], v4 offset0:2 offset1:4
	ds_load_u8 v10, v4 offset:20
	ds_load_u8 v11, v4 offset:28
	;; [unrolled: 1-line block ×5, first 2 shown]
	ds_load_b32 v44, v4 offset:56
	s_wait_dscnt 0x8
	v_cmp_eq_u16_e64 s13, 0, v5
	s_wait_dscnt 0x5
	s_delay_alu instid0(VALU_DEP_1)
	v_dual_cndmask_b32 v45, 0, v2, s13 :: v_dual_bitop2_b32 v5, v10, v5 bitop3:0x54
	ds_load_2addr_b32 v[8:9], v4 offset0:6 offset1:8
	v_cmp_eq_u16_e64 s13, 0, v10
	s_wait_dscnt 0x4
	v_bitop3_b16 v5, v5, v14, v11 bitop3:0xfe
	v_add_nc_u32_e32 v6, v45, v6
	s_delay_alu instid0(VALU_DEP_1) | instskip(SKIP_1) | instid1(VALU_DEP_2)
	v_cndmask_b32_e64 v6, 0, v6, s13
	v_cmp_eq_u16_e64 s13, 0, v11
	v_add_nc_u32_e32 v6, v6, v7
	s_delay_alu instid0(VALU_DEP_1)
	v_cndmask_b32_e64 v45, 0, v6, s13
	ds_load_2addr_b32 v[6:7], v4 offset0:10 offset1:12
	v_cmp_eq_u16_e64 s13, 0, v14
	s_wait_dscnt 0x1
	v_add_nc_u32_e32 v8, v45, v8
	ds_load_u8 v45, v4 offset:60
	v_cndmask_b32_e64 v8, 0, v8, s13
	v_cmp_eq_u16_e64 s13, 0, v15
	s_delay_alu instid0(VALU_DEP_2) | instskip(SKIP_1) | instid1(VALU_DEP_2)
	v_add_nc_u32_e32 v8, v8, v9
	v_bitop3_b16 v9, v5, v43, v15 bitop3:0xfe
	v_dual_cndmask_b32 v8, 0, v8, s13 :: v_dual_bitop2_b32 v5, 1, v3 bitop3:0x40
	s_delay_alu instid0(VALU_DEP_2) | instskip(SKIP_1) | instid1(VALU_DEP_2)
	v_cmp_eq_u16_e64 s13, 0, v9
	s_wait_dscnt 0x0
	v_dual_add_nc_u32 v6, v8, v6 :: v_dual_bitop2_b32 v8, 1, v45 bitop3:0x40
	s_delay_alu instid0(VALU_DEP_2) | instskip(SKIP_1) | instid1(VALU_DEP_1)
	v_cndmask_b32_e64 v9, 1, v5, s13
	v_cmp_eq_u16_e64 s13, 0, v43
	v_cndmask_b32_e64 v6, 0, v6, s13
	s_delay_alu instid0(VALU_DEP_4) | instskip(SKIP_1) | instid1(VALU_DEP_2)
	v_cmp_eq_u32_e64 s13, 1, v8
	v_mbcnt_lo_u32_b32 v8, -1, 0
	v_cndmask_b32_e64 v9, v9, 1, s13
	v_cmp_eq_u16_e64 s13, 0, v45
	s_delay_alu instid0(VALU_DEP_2) | instskip(SKIP_2) | instid1(VALU_DEP_1)
	v_and_b32_e32 v10, 0xffff, v9
	v_add_nc_u32_e32 v7, v6, v7
	v_and_b32_e32 v6, 0xffffff00, v3
	v_dual_cndmask_b32 v7, 0, v7, s13 :: v_dual_bitop2_b32 v11, v6, v10 bitop3:0x54
	v_and_b32_e32 v10, 15, v8
	s_delay_alu instid0(VALU_DEP_2) | instskip(NEXT) | instid1(VALU_DEP_3)
	v_mov_b32_dpp v15, v11 row_shr:1 row_mask:0xf bank_mask:0xf
	v_add_nc_u32_e32 v7, v7, v44
	s_delay_alu instid0(VALU_DEP_1) | instskip(NEXT) | instid1(VALU_DEP_4)
	v_mov_b32_dpp v14, v7 row_shr:1 row_mask:0xf bank_mask:0xf
	v_cmpx_ne_u32_e32 0, v10
	s_cbranch_execz .LBB1671_98
; %bb.97:
	v_and_b32_e32 v11, 1, v9
	v_and_b32_e32 v15, 1, v15
	s_delay_alu instid0(VALU_DEP_2) | instskip(NEXT) | instid1(VALU_DEP_1)
	v_cmp_eq_u32_e64 s13, 1, v11
	v_cndmask_b32_e64 v15, v15, 1, s13
	v_cmp_eq_u16_e64 s13, 0, v9
	s_delay_alu instid0(VALU_DEP_2) | instskip(NEXT) | instid1(VALU_DEP_1)
	v_and_b32_e32 v11, 0xffff, v15
	v_dual_cndmask_b32 v9, 0, v14, s13 :: v_dual_bitop2_b32 v11, v6, v11 bitop3:0x54
	s_delay_alu instid0(VALU_DEP_1)
	v_dual_add_nc_u32 v7, v9, v7 :: v_dual_mov_b32 v9, v15
.LBB1671_98:
	s_or_b32 exec_lo, exec_lo, s15
	s_delay_alu instid0(VALU_DEP_1) | instskip(NEXT) | instid1(VALU_DEP_3)
	v_mov_b32_dpp v14, v7 row_shr:2 row_mask:0xf bank_mask:0xf
	v_mov_b32_dpp v15, v11 row_shr:2 row_mask:0xf bank_mask:0xf
	s_mov_b32 s15, exec_lo
	v_cmpx_lt_u32_e32 1, v10
	s_cbranch_execz .LBB1671_100
; %bb.99:
	v_and_b32_e32 v11, 1, v9
	v_and_b32_e32 v15, 1, v15
	s_delay_alu instid0(VALU_DEP_2) | instskip(NEXT) | instid1(VALU_DEP_1)
	v_cmp_eq_u32_e64 s13, 1, v11
	v_cndmask_b32_e64 v15, v15, 1, s13
	v_cmp_eq_u16_e64 s13, 0, v9
	s_delay_alu instid0(VALU_DEP_2) | instskip(NEXT) | instid1(VALU_DEP_1)
	v_and_b32_e32 v11, 0xffff, v15
	v_dual_cndmask_b32 v9, 0, v14, s13 :: v_dual_bitop2_b32 v11, v6, v11 bitop3:0x54
	s_delay_alu instid0(VALU_DEP_1)
	v_dual_add_nc_u32 v7, v9, v7 :: v_dual_mov_b32 v9, v15
.LBB1671_100:
	s_or_b32 exec_lo, exec_lo, s15
	s_delay_alu instid0(VALU_DEP_1) | instskip(NEXT) | instid1(VALU_DEP_3)
	v_mov_b32_dpp v14, v7 row_shr:4 row_mask:0xf bank_mask:0xf
	v_mov_b32_dpp v15, v11 row_shr:4 row_mask:0xf bank_mask:0xf
	s_mov_b32 s15, exec_lo
	v_cmpx_lt_u32_e32 3, v10
	;; [unrolled: 20-line block ×3, first 2 shown]
	s_cbranch_execz .LBB1671_104
; %bb.103:
	v_and_b32_e32 v10, 1, v9
	v_and_b32_e32 v11, 1, v15
	s_delay_alu instid0(VALU_DEP_2) | instskip(NEXT) | instid1(VALU_DEP_1)
	v_cmp_eq_u32_e64 s13, 1, v10
	v_cndmask_b32_e64 v10, v11, 1, s13
	v_cmp_eq_u16_e64 s13, 0, v9
	s_delay_alu instid0(VALU_DEP_2) | instskip(NEXT) | instid1(VALU_DEP_1)
	v_and_b32_e32 v11, 0xffff, v10
	v_dual_cndmask_b32 v9, 0, v14, s13 :: v_dual_bitop2_b32 v11, v6, v11 bitop3:0x54
	s_delay_alu instid0(VALU_DEP_1)
	v_dual_add_nc_u32 v7, v9, v7 :: v_dual_mov_b32 v9, v10
.LBB1671_104:
	s_or_b32 exec_lo, exec_lo, s15
	ds_swizzle_b32 v10, v11 offset:swizzle(BROADCAST,32,15)
	ds_swizzle_b32 v11, v7 offset:swizzle(BROADCAST,32,15)
	v_and_b32_e32 v14, 1, v9
	v_bfe_i32 v43, v8, 4, 1
	v_and_b32_e32 v3, 0xff, v3
	; wave barrier
	s_delay_alu instid0(VALU_DEP_3) | instskip(SKIP_2) | instid1(VALU_DEP_1)
	v_cmp_eq_u32_e64 s13, 1, v14
	s_wait_dscnt 0x1
	v_dual_add_nc_u32 v14, -1, v8 :: v_dual_bitop2_b32 v10, 1, v10 bitop3:0x40
	v_cndmask_b32_e64 v10, v10, 1, s13
	v_and_b32_e32 v15, 16, v8
	v_cmp_eq_u16_e64 s13, 0, v9
	s_wait_dscnt 0x0
	s_delay_alu instid0(VALU_DEP_1) | instskip(NEXT) | instid1(VALU_DEP_3)
	v_cndmask_b32_e64 v11, 0, v11, s13
	v_cmp_eq_u32_e64 s13, 0, v15
	s_delay_alu instid0(VALU_DEP_1) | instskip(SKIP_1) | instid1(VALU_DEP_4)
	v_cndmask_b32_e64 v9, v10, v9, s13
	v_cmp_gt_i32_e64 s13, 0, v14
	v_and_b32_e32 v10, v43, v11
	s_delay_alu instid0(VALU_DEP_3) | instskip(NEXT) | instid1(VALU_DEP_3)
	v_and_b32_e32 v9, 0xffff, v9
	v_cndmask_b32_e64 v8, v14, v8, s13
	s_delay_alu instid0(VALU_DEP_3) | instskip(SKIP_1) | instid1(VALU_DEP_3)
	v_add_nc_u32_e32 v7, v10, v7
	v_cmp_eq_u16_e64 s13, 0, v3
	v_lshlrev_b32_e32 v8, 2, v8
	ds_bpermute_b32 v7, v8, v7
	s_wait_dscnt 0x0
	v_dual_cndmask_b32 v3, 0, v7, s13 :: v_dual_bitop2_b32 v6, v6, v9 bitop3:0x54
	ds_bpermute_b32 v6, v8, v6
	v_cmp_eq_u32_e64 s13, 1, v5
	v_add_nc_u32_e32 v2, v3, v2
	s_wait_dscnt 0x0
	s_delay_alu instid0(VALU_DEP_1) | instskip(NEXT) | instid1(VALU_DEP_1)
	v_dual_cndmask_b32 v5, v2, v12, s2 :: v_dual_bitop2_b32 v6, 1, v6 bitop3:0x40
	v_cndmask_b32_e64 v3, v6, 1, s13
	s_delay_alu instid0(VALU_DEP_1)
	v_cndmask_b32_e64 v8, v3, v13, s2
	ds_store_b32 v4, v5
	ds_store_b8 v4, v8 offset:4
	; wave barrier
	ds_load_u8 v9, v4 offset:12
	ds_load_2addr_b32 v[2:3], v4 offset0:2 offset1:4
	ds_load_u8 v10, v4 offset:20
	ds_load_u8 v11, v4 offset:28
	;; [unrolled: 1-line block ×5, first 2 shown]
	ds_load_b32 v44, v4 offset:56
	ds_load_u8 v45, v4 offset:60
	ds_load_2addr_b32 v[6:7], v4 offset0:6 offset1:8
	s_wait_dscnt 0x9
	v_cmp_eq_u16_e64 s13, 0, v9
	v_and_b32_e32 v9, 1, v9
	s_delay_alu instid0(VALU_DEP_2) | instskip(SKIP_2) | instid1(VALU_DEP_2)
	v_cndmask_b32_e64 v5, 0, v5, s13
	s_wait_dscnt 0x7
	v_cmp_eq_u16_e64 s13, 0, v10
	v_add_nc_u32_e32 v5, v5, v2
	s_delay_alu instid0(VALU_DEP_1) | instskip(SKIP_2) | instid1(VALU_DEP_2)
	v_cndmask_b32_e64 v2, 0, v5, s13
	s_wait_dscnt 0x6
	v_cmp_eq_u16_e64 s13, 0, v11
	v_add_nc_u32_e32 v46, v2, v3
	ds_load_2addr_b32 v[2:3], v4 offset0:10 offset1:12
	v_cndmask_b32_e64 v47, 0, v46, s13
	s_wait_dscnt 0x6
	v_cmp_eq_u16_e64 s13, 0, v14
	ds_store_2addr_b32 v4, v5, v46 offset0:2 offset1:4
	s_wait_dscnt 0x2
	v_add_nc_u32_e32 v6, v47, v6
	s_delay_alu instid0(VALU_DEP_1) | instskip(SKIP_3) | instid1(VALU_DEP_4)
	v_cndmask_b32_e64 v47, 0, v6, s13
	v_and_b32_e32 v10, 1, v10
	v_cmp_eq_u32_e64 s13, 1, v9
	v_and_b32_e32 v9, 1, v11
	v_dual_add_nc_u32 v7, v47, v7 :: v_dual_bitop2_b32 v11, 1, v14 bitop3:0x40
	s_delay_alu instid0(VALU_DEP_3) | instskip(SKIP_1) | instid1(VALU_DEP_1)
	v_cndmask_b32_e64 v8, v8, 1, s13
	v_cmp_eq_u32_e64 s13, 1, v10
	v_cndmask_b32_e64 v10, v8, 1, s13
	v_cmp_eq_u16_e64 s13, 0, v15
	s_delay_alu instid0(VALU_DEP_1) | instskip(SKIP_2) | instid1(VALU_DEP_2)
	v_cndmask_b32_e64 v14, 0, v7, s13
	v_cmp_eq_u32_e64 s13, 1, v9
	s_wait_dscnt 0x1
	v_dual_add_nc_u32 v2, v14, v2 :: v_dual_bitop2_b32 v15, 1, v15 bitop3:0x40
	s_delay_alu instid0(VALU_DEP_2) | instskip(SKIP_1) | instid1(VALU_DEP_1)
	v_cndmask_b32_e64 v9, v10, 1, s13
	v_cmp_eq_u32_e64 s13, 1, v11
	v_cndmask_b32_e64 v11, v9, 1, s13
	v_cmp_eq_u16_e64 s13, 0, v43
	s_delay_alu instid0(VALU_DEP_1) | instskip(SKIP_1) | instid1(VALU_DEP_2)
	v_dual_cndmask_b32 v43, 0, v2, s13 :: v_dual_bitop2_b32 v14, 1, v43 bitop3:0x40
	v_cmp_eq_u32_e64 s13, 1, v15
	v_add_nc_u32_e32 v3, v43, v3
	s_delay_alu instid0(VALU_DEP_2) | instskip(NEXT) | instid1(VALU_DEP_4)
	v_cndmask_b32_e64 v15, v11, 1, s13
	v_cmp_eq_u32_e64 s13, 1, v14
	ds_store_2addr_b32 v4, v6, v7 offset0:6 offset1:8
	ds_store_2addr_b32 v4, v2, v3 offset0:10 offset1:12
	v_cndmask_b32_e64 v14, v15, 1, s13
	v_cmp_eq_u16_e64 s13, 0, v45
	s_delay_alu instid0(VALU_DEP_1) | instskip(NEXT) | instid1(VALU_DEP_1)
	v_dual_cndmask_b32 v5, 0, v3, s13 :: v_dual_bitop2_b32 v47, 1, v45 bitop3:0x40
	v_cmp_eq_u32_e64 s13, 1, v47
	s_delay_alu instid0(VALU_DEP_2) | instskip(NEXT) | instid1(VALU_DEP_2)
	v_add_nc_u32_e32 v2, v5, v44
	v_cndmask_b32_e64 v43, v14, 1, s13
	ds_store_b8 v4, v8 offset:12
	ds_store_b8 v4, v10 offset:20
	ds_store_b8 v4, v9 offset:28
	ds_store_b8 v4, v11 offset:36
	ds_store_b8 v4, v15 offset:44
	ds_store_b8 v4, v14 offset:52
	ds_store_b32 v4, v2 offset:56
	ds_store_b8 v4, v43 offset:60
.LBB1671_105:
	s_or_b32 exec_lo, exec_lo, s14
	s_wait_dscnt 0x0
	s_barrier_signal -1
	s_barrier_wait -1
	s_and_saveexec_b32 s13, s3
	s_cbranch_execz .LBB1671_107
; %bb.106:
	v_add_nc_u32_e32 v2, -1, v0
	s_delay_alu instid0(VALU_DEP_1) | instskip(NEXT) | instid1(VALU_DEP_1)
	v_lshrrev_b32_e32 v3, 2, v2
	v_and_b32_e32 v3, 0x3ffffff8, v3
	s_delay_alu instid0(VALU_DEP_1)
	v_lshl_add_u32 v2, v2, 3, v3
	ds_load_b32 v12, v2
	ds_load_u8 v13, v2 offset:4
.LBB1671_107:
	s_or_b32 exec_lo, exec_lo, s13
	s_and_saveexec_b32 s24, vcc_lo
	s_cbranch_execz .LBB1671_167
; %bb.108:
	v_mov_b32_e32 v5, 0
	v_mbcnt_lo_u32_b32 v14, -1, 0
	s_mov_b32 s15, 0
	ds_load_b64 v[2:3], v5 offset:2096
	v_cmp_eq_u32_e64 s13, 0, v14
	s_and_saveexec_b32 s20, s13
	s_cbranch_execz .LBB1671_110
; %bb.109:
	s_add_co_i32 s14, s38, 32
	v_mov_b32_e32 v4, 1
	s_lshl_b64 s[14:15], s[14:15], 4
	s_delay_alu instid0(SALU_CYCLE_1) | instskip(NEXT) | instid1(SALU_CYCLE_1)
	s_add_nc_u64 s[14:15], s[28:29], s[14:15]
	v_mov_b64_e32 v[6:7], s[14:15]
	s_wait_dscnt 0x0
	;;#ASMSTART
	global_store_b128 v[6:7], v[2:5] off scope:SCOPE_DEV	
s_wait_storecnt 0x0
	;;#ASMEND
.LBB1671_110:
	s_or_b32 exec_lo, exec_lo, s20
	v_xad_u32 v8, v14, -1, s38
	s_mov_b32 s14, exec_lo
	s_delay_alu instid0(VALU_DEP_1) | instskip(NEXT) | instid1(VALU_DEP_1)
	v_add_nc_u32_e32 v4, 32, v8
	v_lshl_add_u64 v[10:11], v[4:5], 4, s[28:29]
	;;#ASMSTART
	global_load_b128 v[4:7], v[10:11] off scope:SCOPE_DEV	
s_wait_loadcnt 0x0
	;;#ASMEND
	v_and_b32_e32 v7, 0xff, v6
	v_and_b32_e32 v5, 0xff, v5
	s_delay_alu instid0(VALU_DEP_2)
	v_cmpx_eq_u16_e32 0, v7
	s_cbranch_execz .LBB1671_114
; %bb.111:
	s_mov_b32 s15, 0
.LBB1671_112:                           ; =>This Inner Loop Header: Depth=1
	;;#ASMSTART
	global_load_b128 v[4:7], v[10:11] off scope:SCOPE_DEV	
s_wait_loadcnt 0x0
	;;#ASMEND
	v_and_b32_e32 v7, 0xff, v6
	s_delay_alu instid0(VALU_DEP_1) | instskip(SKIP_1) | instid1(SALU_CYCLE_1)
	v_cmp_ne_u16_e32 vcc_lo, 0, v7
	s_or_b32 s15, vcc_lo, s15
	s_and_not1_b32 exec_lo, exec_lo, s15
	s_cbranch_execnz .LBB1671_112
; %bb.113:
	s_or_b32 exec_lo, exec_lo, s15
	v_and_b32_e32 v5, 0xff, v5
.LBB1671_114:
	s_or_b32 exec_lo, exec_lo, s14
	v_cmp_ne_u32_e32 vcc_lo, 31, v14
	v_and_b32_e32 v9, 0xff, v6
	v_lshlrev_b32_e64 v43, v14, -1
	s_mov_b64 s[20:21], 0x100000000
	v_lshl_or_b32 v52, v14, 2, 64
	v_add_co_ci_u32_e64 v7, null, 0, v14, vcc_lo
	v_cmp_eq_u16_e32 vcc_lo, 2, v9
	v_cmp_gt_u64_e64 s14, s[20:21], v[4:5]
	s_delay_alu instid0(VALU_DEP_3) | instskip(SKIP_1) | instid1(VALU_DEP_2)
	v_dual_lshlrev_b32 v15, 2, v7 :: v_dual_bitop2_b32 v10, 1, v5 bitop3:0x40
	v_and_or_b32 v9, vcc_lo, v43, 0x80000000
	v_cmp_eq_u32_e32 vcc_lo, 1, v10
	ds_bpermute_b32 v7, v15, v5
	ds_bpermute_b32 v10, v15, v4
	v_ctz_i32_b32_e32 v9, v9
	s_wait_dscnt 0x1
	v_and_b32_e32 v7, 1, v7
	s_delay_alu instid0(VALU_DEP_1) | instskip(SKIP_1) | instid1(VALU_DEP_2)
	v_cndmask_b32_e64 v7, v7, 1, vcc_lo
	v_cmp_gt_u32_e32 vcc_lo, 30, v14
	v_and_b32_e32 v45, 0xffff, v7
	v_cndmask_b32_e64 v11, 0, 2, vcc_lo
	v_cmp_lt_u32_e32 vcc_lo, v14, v9
	s_delay_alu instid0(VALU_DEP_2) | instskip(NEXT) | instid1(VALU_DEP_4)
	v_add_lshl_u32 v44, v11, v14, 2
	v_dual_cndmask_b32 v11, v5, v45, vcc_lo :: v_dual_cndmask_b32 v7, v5, v7, vcc_lo
	s_and_b32 vcc_lo, vcc_lo, s14
	v_add_nc_u32_e32 v45, 2, v14
	s_wait_dscnt 0x0
	v_cndmask_b32_e32 v10, 0, v10, vcc_lo
	ds_bpermute_b32 v5, v44, v11
	v_and_b32_e32 v46, 1, v7
	v_and_b32_e32 v48, 0xff, v7
	v_add_nc_u32_e32 v4, v10, v4
	s_delay_alu instid0(VALU_DEP_3) | instskip(NEXT) | instid1(VALU_DEP_3)
	v_cmp_eq_u32_e32 vcc_lo, 1, v46
	v_cmp_eq_u16_e64 s14, 0, v48
	ds_bpermute_b32 v10, v44, v4
	s_wait_dscnt 0x1
	v_and_b32_e32 v5, 1, v5
	s_delay_alu instid0(VALU_DEP_1) | instskip(SKIP_3) | instid1(VALU_DEP_3)
	v_cndmask_b32_e64 v5, v5, 1, vcc_lo
	v_cmp_gt_u32_e32 vcc_lo, 28, v14
	s_wait_dscnt 0x0
	v_cndmask_b32_e64 v10, 0, v10, s14
	v_and_b32_e32 v47, 0xffff, v5
	v_cndmask_b32_e64 v46, 0, 4, vcc_lo
	v_cmp_gt_u32_e32 vcc_lo, v45, v9
	s_delay_alu instid0(VALU_DEP_2) | instskip(SKIP_3) | instid1(VALU_DEP_2)
	v_add_lshl_u32 v46, v46, v14, 2
	v_cndmask_b32_e32 v5, v5, v7, vcc_lo
	v_cndmask_b32_e64 v10, v10, 0, vcc_lo
	v_dual_cndmask_b32 v7, v47, v11, vcc_lo :: v_dual_add_nc_u32 v47, 4, v14
	v_dual_add_nc_u32 v4, v10, v4 :: v_dual_bitop2_b32 v48, 1, v5 bitop3:0x40
	ds_bpermute_b32 v11, v46, v7
	v_cmp_eq_u32_e32 vcc_lo, 1, v48
	ds_bpermute_b32 v10, v46, v4
	v_and_b32_e32 v48, 0xff, v5
	s_delay_alu instid0(VALU_DEP_1) | instskip(SKIP_1) | instid1(VALU_DEP_1)
	v_cmp_eq_u16_e64 s14, 0, v48
	s_wait_dscnt 0x0
	v_dual_cndmask_b32 v10, 0, v10, s14 :: v_dual_bitop2_b32 v11, 1, v11 bitop3:0x40
	s_delay_alu instid0(VALU_DEP_1) | instskip(SKIP_1) | instid1(VALU_DEP_2)
	v_cndmask_b32_e64 v11, v11, 1, vcc_lo
	v_cmp_gt_u32_e32 vcc_lo, 24, v14
	v_and_b32_e32 v50, 0xffff, v11
	v_cndmask_b32_e64 v49, 0, 8, vcc_lo
	v_cmp_gt_u32_e32 vcc_lo, v47, v9
	s_delay_alu instid0(VALU_DEP_2) | instskip(NEXT) | instid1(VALU_DEP_4)
	v_add_lshl_u32 v48, v49, v14, 2
	v_dual_cndmask_b32 v5, v11, v5, vcc_lo :: v_dual_cndmask_b32 v7, v50, v7, vcc_lo
	v_cndmask_b32_e64 v10, v10, 0, vcc_lo
	s_delay_alu instid0(VALU_DEP_2)
	v_dual_add_nc_u32 v49, 8, v14 :: v_dual_bitop2_b32 v50, 1, v5 bitop3:0x40
	ds_bpermute_b32 v11, v48, v7
	v_add_nc_u32_e32 v4, v10, v4
	v_and_b32_e32 v51, 0xff, v5
	v_cmp_eq_u32_e32 vcc_lo, 1, v50
	ds_bpermute_b32 v10, v48, v4
	s_wait_dscnt 0x1
	v_and_b32_e32 v11, 1, v11
	s_delay_alu instid0(VALU_DEP_1) | instskip(SKIP_1) | instid1(VALU_DEP_2)
	v_cndmask_b32_e64 v11, v11, 1, vcc_lo
	v_cmp_eq_u16_e32 vcc_lo, 0, v51
	v_and_b32_e32 v50, 0xffff, v11
	s_wait_dscnt 0x0
	v_cndmask_b32_e32 v10, 0, v10, vcc_lo
	v_cmp_gt_u32_e32 vcc_lo, v49, v9
	s_delay_alu instid0(VALU_DEP_3) | instskip(NEXT) | instid1(VALU_DEP_3)
	v_dual_cndmask_b32 v5, v11, v5, vcc_lo :: v_dual_cndmask_b32 v7, v50, v7, vcc_lo
	v_cndmask_b32_e64 v10, v10, 0, vcc_lo
	s_delay_alu instid0(VALU_DEP_2) | instskip(SKIP_3) | instid1(VALU_DEP_1)
	v_and_b32_e32 v50, 1, v5
	ds_bpermute_b32 v7, v52, v7
	v_add_nc_u32_e32 v4, v10, v4
	v_and_b32_e32 v11, 0xff, v5
	v_cmp_eq_u16_e32 vcc_lo, 0, v11
	s_wait_dscnt 0x0
	v_and_b32_e32 v7, 1, v7
	ds_bpermute_b32 v10, v52, v4
	s_wait_dscnt 0x0
	v_cndmask_b32_e32 v10, 0, v10, vcc_lo
	v_cmp_eq_u32_e32 vcc_lo, 1, v50
	v_cndmask_b32_e64 v7, v7, 1, vcc_lo
	v_add_nc_u32_e32 v53, 16, v14
	s_delay_alu instid0(VALU_DEP_1) | instskip(NEXT) | instid1(VALU_DEP_3)
	v_cmp_gt_u32_e32 vcc_lo, v53, v9
	v_dual_mov_b32 v9, 0 :: v_dual_cndmask_b32 v5, v7, v5, vcc_lo
	v_cndmask_b32_e64 v7, v10, 0, vcc_lo
	s_delay_alu instid0(VALU_DEP_1)
	v_add_nc_u32_e32 v4, v7, v4
	s_branch .LBB1671_118
.LBB1671_115:                           ;   in Loop: Header=BB1671_118 Depth=1
	s_or_b32 exec_lo, exec_lo, s15
	v_and_b32_e32 v5, 0xff, v5
.LBB1671_116:                           ;   in Loop: Header=BB1671_118 Depth=1
	s_or_b32 exec_lo, exec_lo, s14
	ds_bpermute_b32 v7, v15, v5
	v_and_b32_e32 v10, 0xff, v6
	v_cmp_gt_u64_e64 s14, s[20:21], v[4:5]
	v_subrev_nc_u32_e32 v8, 32, v8
	s_delay_alu instid0(VALU_DEP_3) | instskip(SKIP_2) | instid1(VALU_DEP_2)
	v_cmp_eq_u16_e32 vcc_lo, 2, v10
	v_and_b32_e32 v10, 1, v5
	v_and_or_b32 v11, vcc_lo, v43, 0x80000000
	v_cmp_eq_u32_e32 vcc_lo, 1, v10
	s_delay_alu instid0(VALU_DEP_2) | instskip(SKIP_3) | instid1(VALU_DEP_1)
	v_ctz_i32_b32_e32 v10, v11
	ds_bpermute_b32 v11, v15, v4
	s_wait_dscnt 0x1
	v_and_b32_e32 v7, 1, v7
	v_cndmask_b32_e64 v7, v7, 1, vcc_lo
	v_cmp_lt_u32_e32 vcc_lo, v14, v10
	s_delay_alu instid0(VALU_DEP_2) | instskip(NEXT) | instid1(VALU_DEP_1)
	v_and_b32_e32 v54, 0xffff, v7
	v_dual_cndmask_b32 v7, v5, v7 :: v_dual_cndmask_b32 v54, v5, v54
	s_and_b32 vcc_lo, vcc_lo, s14
	s_delay_alu instid0(VALU_DEP_1)
	v_and_b32_e32 v56, 0xff, v7
	v_and_b32_e32 v55, 1, v7
	ds_bpermute_b32 v5, v44, v54
	s_wait_dscnt 0x1
	v_cndmask_b32_e32 v11, 0, v11, vcc_lo
	v_cmp_eq_u16_e64 s14, 0, v56
	v_cmp_eq_u32_e32 vcc_lo, 1, v55
	s_wait_dscnt 0x0
	s_delay_alu instid0(VALU_DEP_3) | instskip(NEXT) | instid1(VALU_DEP_1)
	v_dual_add_nc_u32 v4, v11, v4 :: v_dual_bitop2_b32 v5, 1, v5 bitop3:0x40
	v_cndmask_b32_e64 v5, v5, 1, vcc_lo
	ds_bpermute_b32 v11, v44, v4
	v_cmp_gt_u32_e32 vcc_lo, v45, v10
	v_and_b32_e32 v55, 0xffff, v5
	s_delay_alu instid0(VALU_DEP_1) | instskip(NEXT) | instid1(VALU_DEP_1)
	v_dual_cndmask_b32 v5, v5, v7, vcc_lo :: v_dual_cndmask_b32 v7, v55, v54, vcc_lo
	v_and_b32_e32 v55, 1, v5
	ds_bpermute_b32 v54, v46, v7
	s_wait_dscnt 0x1
	v_cndmask_b32_e64 v11, 0, v11, s14
	s_delay_alu instid0(VALU_DEP_1) | instskip(SKIP_2) | instid1(VALU_DEP_3)
	v_cndmask_b32_e64 v11, v11, 0, vcc_lo
	v_cmp_eq_u32_e32 vcc_lo, 1, v55
	v_and_b32_e32 v55, 0xff, v5
	v_add_nc_u32_e32 v4, v11, v4
	s_delay_alu instid0(VALU_DEP_2)
	v_cmp_eq_u16_e64 s14, 0, v55
	s_wait_dscnt 0x0
	v_and_b32_e32 v54, 1, v54
	ds_bpermute_b32 v11, v46, v4
	v_cndmask_b32_e64 v54, v54, 1, vcc_lo
	v_cmp_gt_u32_e32 vcc_lo, v47, v10
	s_delay_alu instid0(VALU_DEP_2) | instskip(SKIP_3) | instid1(VALU_DEP_1)
	v_and_b32_e32 v56, 0xffff, v54
	s_wait_dscnt 0x0
	v_dual_cndmask_b32 v5, v54, v5, vcc_lo :: v_dual_cndmask_b32 v11, 0, v11, s14
	s_mov_b32 s14, 0
	v_cndmask_b32_e64 v11, v11, 0, vcc_lo
	v_cndmask_b32_e32 v7, v56, v7, vcc_lo
	s_delay_alu instid0(VALU_DEP_3) | instskip(NEXT) | instid1(VALU_DEP_3)
	v_and_b32_e32 v56, 0xff, v5
	v_add_nc_u32_e32 v4, v11, v4
	ds_bpermute_b32 v54, v48, v7
	ds_bpermute_b32 v11, v48, v4
	v_and_b32_e32 v55, 1, v5
	s_delay_alu instid0(VALU_DEP_1) | instskip(SKIP_2) | instid1(VALU_DEP_1)
	v_cmp_eq_u32_e32 vcc_lo, 1, v55
	s_wait_dscnt 0x1
	v_and_b32_e32 v54, 1, v54
	v_cndmask_b32_e64 v54, v54, 1, vcc_lo
	v_cmp_eq_u16_e32 vcc_lo, 0, v56
	s_delay_alu instid0(VALU_DEP_2) | instskip(SKIP_3) | instid1(VALU_DEP_2)
	v_and_b32_e32 v55, 0xffff, v54
	s_wait_dscnt 0x0
	v_cndmask_b32_e32 v11, 0, v11, vcc_lo
	v_cmp_gt_u32_e32 vcc_lo, v49, v10
	v_cndmask_b32_e64 v11, v11, 0, vcc_lo
	v_dual_cndmask_b32 v7, v55, v7, vcc_lo :: v_dual_cndmask_b32 v5, v54, v5, vcc_lo
	s_delay_alu instid0(VALU_DEP_2) | instskip(SKIP_4) | instid1(VALU_DEP_1)
	v_add_nc_u32_e32 v4, v11, v4
	ds_bpermute_b32 v7, v52, v7
	v_and_b32_e32 v55, 0xff, v5
	ds_bpermute_b32 v11, v52, v4
	v_and_b32_e32 v54, 1, v5
	v_cmp_eq_u32_e32 vcc_lo, 1, v54
	s_wait_dscnt 0x1
	v_cndmask_b32_e64 v7, v7, 1, vcc_lo
	v_cmp_eq_u16_e32 vcc_lo, 0, v55
	s_wait_dscnt 0x0
	v_cndmask_b32_e32 v11, 0, v11, vcc_lo
	v_cmp_gt_u32_e32 vcc_lo, v53, v10
	v_and_b32_e32 v10, 0xff, v50
	v_cndmask_b32_e32 v5, v7, v5, vcc_lo
	s_delay_alu instid0(VALU_DEP_4) | instskip(NEXT) | instid1(VALU_DEP_3)
	v_cndmask_b32_e64 v7, v11, 0, vcc_lo
	v_cmp_eq_u16_e32 vcc_lo, 0, v10
	s_delay_alu instid0(VALU_DEP_2) | instskip(NEXT) | instid1(VALU_DEP_1)
	v_dual_add_nc_u32 v4, v7, v4 :: v_dual_bitop2_b32 v7, 1, v50 bitop3:0x40
	v_dual_cndmask_b32 v4, 0, v4, vcc_lo :: v_dual_bitop2_b32 v5, 1, v5 bitop3:0x40
	s_delay_alu instid0(VALU_DEP_2) | instskip(NEXT) | instid1(VALU_DEP_2)
	v_cmp_eq_u32_e32 vcc_lo, 1, v7
	v_add_nc_u32_e32 v4, v4, v51
	s_delay_alu instid0(VALU_DEP_3)
	v_cndmask_b32_e64 v5, v5, 1, vcc_lo
.LBB1671_117:                           ;   in Loop: Header=BB1671_118 Depth=1
	s_and_b32 vcc_lo, exec_lo, s14
	s_cbranch_vccnz .LBB1671_163
.LBB1671_118:                           ; =>This Loop Header: Depth=1
                                        ;     Child Loop BB1671_121 Depth 2
	v_and_b32_e32 v6, 0xff, v6
	s_delay_alu instid0(VALU_DEP_2) | instskip(SKIP_1) | instid1(VALU_DEP_2)
	v_dual_mov_b32 v50, v5 :: v_dual_mov_b32 v51, v4
	s_mov_b32 s14, -1
                                        ; implicit-def: $vgpr5
                                        ; implicit-def: $vgpr4
	v_cmp_ne_u16_e32 vcc_lo, 2, v6
                                        ; implicit-def: $vgpr6
	s_cmp_lg_u32 vcc_lo, exec_lo
	s_cbranch_scc1 .LBB1671_117
; %bb.119:                              ;   in Loop: Header=BB1671_118 Depth=1
	v_lshl_add_u64 v[10:11], v[8:9], 4, s[28:29]
	;;#ASMSTART
	global_load_b128 v[4:7], v[10:11] off scope:SCOPE_DEV	
s_wait_loadcnt 0x0
	;;#ASMEND
	v_and_b32_e32 v7, 0xff, v6
	v_and_b32_e32 v5, 0xff, v5
	s_mov_b32 s14, exec_lo
	s_delay_alu instid0(VALU_DEP_2)
	v_cmpx_eq_u16_e32 0, v7
	s_cbranch_execz .LBB1671_116
; %bb.120:                              ;   in Loop: Header=BB1671_118 Depth=1
	s_mov_b32 s15, 0
.LBB1671_121:                           ;   Parent Loop BB1671_118 Depth=1
                                        ; =>  This Inner Loop Header: Depth=2
	;;#ASMSTART
	global_load_b128 v[4:7], v[10:11] off scope:SCOPE_DEV	
s_wait_loadcnt 0x0
	;;#ASMEND
	v_and_b32_e32 v7, 0xff, v6
	s_delay_alu instid0(VALU_DEP_1) | instskip(SKIP_1) | instid1(SALU_CYCLE_1)
	v_cmp_ne_u16_e32 vcc_lo, 0, v7
	s_or_b32 s15, vcc_lo, s15
	s_and_not1_b32 exec_lo, exec_lo, s15
	s_cbranch_execnz .LBB1671_121
	s_branch .LBB1671_115
.LBB1671_122:
                                        ; implicit-def: $vgpr13
                                        ; implicit-def: $vgpr5
                                        ; implicit-def: $vgpr9
                                        ; implicit-def: $vgpr14_vgpr15
	s_cbranch_execnz .LBB1671_168
.LBB1671_123:
	s_add_nc_u64 s[0:1], s[18:19], s[34:35]
	s_and_b32 vcc_lo, exec_lo, s31
	s_add_nc_u64 s[0:1], s[0:1], s[16:17]
	s_cbranch_vccz .LBB1671_185
.LBB1671_124:
	v_mul_u32_u24_e32 v1, 12, v0
	s_add_co_i32 s33, s33, s30
	s_mov_b32 s2, exec_lo
	s_delay_alu instid0(VALU_DEP_1)
	v_cmpx_gt_u32_e64 s33, v1
	s_cbranch_execz .LBB1671_140
; %bb.125:
	v_or_b32_e32 v17, 1, v1
	s_mov_b32 s3, exec_lo
	s_delay_alu instid0(VALU_DEP_1)
	v_cmpx_gt_u32_e64 s33, v17
	s_cbranch_execz .LBB1671_139
; %bb.126:
	v_or_b32_e32 v17, 2, v1
	;; [unrolled: 6-line block ×3, first 2 shown]
	s_mov_b32 s5, exec_lo
	s_delay_alu instid0(VALU_DEP_1)
	v_cmpx_gt_u32_e64 s33, v17
	s_cbranch_execz .LBB1671_137
; %bb.128:
	v_add_nc_u32_e32 v17, 4, v1
	s_mov_b32 s6, exec_lo
	s_delay_alu instid0(VALU_DEP_1)
	v_cmpx_gt_u32_e64 s33, v17
	s_cbranch_execz .LBB1671_136
; %bb.129:
	v_add_nc_u32_e32 v17, 5, v1
	;; [unrolled: 6-line block ×4, first 2 shown]
	s_mov_b32 s9, exec_lo
	s_delay_alu instid0(VALU_DEP_1)
	v_cmpx_gt_u32_e64 s33, v17
; %bb.132:
	v_add_nc_u32_e32 v17, 8, v1
	s_mov_b32 s10, exec_lo
	s_delay_alu instid0(VALU_DEP_1)
	v_cmpx_gt_u32_e64 s33, v17
	s_or_b32 exec_lo, exec_lo, s10
; %bb.133:
	s_delay_alu instid0(SALU_CYCLE_1)
	s_or_b32 exec_lo, exec_lo, s9
.LBB1671_134:
	s_delay_alu instid0(SALU_CYCLE_1)
	s_or_b32 exec_lo, exec_lo, s8
.LBB1671_135:
	s_delay_alu instid0(SALU_CYCLE_1)
	s_or_b32 exec_lo, exec_lo, s7
.LBB1671_136:
	s_delay_alu instid0(SALU_CYCLE_1)
	s_or_b32 exec_lo, exec_lo, s6
.LBB1671_137:
	s_delay_alu instid0(SALU_CYCLE_1)
	s_or_b32 exec_lo, exec_lo, s5
.LBB1671_138:
	s_delay_alu instid0(SALU_CYCLE_1)
	s_or_b32 exec_lo, exec_lo, s4
.LBB1671_139:
	s_delay_alu instid0(SALU_CYCLE_1)
	s_or_b32 exec_lo, exec_lo, s3
.LBB1671_140:
	s_delay_alu instid0(SALU_CYCLE_1)
	s_or_b32 exec_lo, exec_lo, s2
	v_dual_lshlrev_b32 v1, 2, v1 :: v_dual_mov_b32 v17, 0
	s_barrier_signal -1
	s_barrier_wait -1
	ds_store_b128 v1, v[6:9]
	ds_store_b128 v1, v[2:5] offset:16
	ds_store_b128 v1, v[10:13] offset:32
	v_mad_i32_i24 v6, 0xffffffd4, v0, v1
	s_wait_dscnt 0x0
	s_barrier_signal -1
	s_barrier_wait -1
	ds_load_2addr_stride64_b32 v[26:27], v6 offset0:4 offset1:8
	ds_load_2addr_stride64_b32 v[24:25], v6 offset0:12 offset1:16
	;; [unrolled: 1-line block ×5, first 2 shown]
	ds_load_b32 v7, v6 offset:11264
	v_add_nc_u64_e32 v[16:17], s[0:1], v[16:17]
	s_mov_b32 s2, exec_lo
	v_cmpx_gt_u32_e64 s33, v0
	s_cbranch_execz .LBB1671_142
; %bb.141:
	v_mul_i32_i24_e32 v6, 0xffffffd4, v0
	s_delay_alu instid0(VALU_DEP_1)
	v_add_nc_u32_e32 v1, v1, v6
	ds_load_b32 v1, v1
	s_wait_dscnt 0x0
	v_cvt_f32_u32_e32 v1, v1
	flat_store_b32 v[16:17], v1
.LBB1671_142:
	s_wait_xcnt 0x0
	s_or_b32 exec_lo, exec_lo, s2
	v_or_b32_e32 v1, 0x100, v0
	s_mov_b32 s2, exec_lo
	s_delay_alu instid0(VALU_DEP_1)
	v_cmpx_gt_u32_e64 s33, v1
	s_cbranch_execz .LBB1671_144
; %bb.143:
	s_wait_dscnt 0x5
	v_cvt_f32_u32_e32 v1, v26
	flat_store_b32 v[16:17], v1 offset:1024
.LBB1671_144:
	s_wait_xcnt 0x0
	s_or_b32 exec_lo, exec_lo, s2
	v_or_b32_e32 v1, 0x200, v0
	s_mov_b32 s2, exec_lo
	s_delay_alu instid0(VALU_DEP_1)
	v_cmpx_gt_u32_e64 s33, v1
	s_cbranch_execz .LBB1671_146
; %bb.145:
	s_wait_dscnt 0x5
	v_cvt_f32_u32_e32 v1, v27
	flat_store_b32 v[16:17], v1 offset:2048
.LBB1671_146:
	;; [unrolled: 12-line block ×10, first 2 shown]
	s_wait_xcnt 0x0
	s_or_b32 exec_lo, exec_lo, s2
	v_or_b32_e32 v1, 0xb00, v0
	s_delay_alu instid0(VALU_DEP_1)
	v_cmp_gt_u32_e64 s2, s33, v1
	s_branch .LBB1671_187
.LBB1671_163:
	s_and_saveexec_b32 s14, s13
	s_cbranch_execz .LBB1671_165
; %bb.164:
	v_and_b32_e32 v4, 0xff, v3
	s_mov_b32 s21, 0
	s_add_co_i32 s20, s38, 32
	v_and_b32_e32 v5, 1, v50
	s_lshl_b64 s[20:21], s[20:21], 4
	v_cmp_eq_u32_e32 vcc_lo, 0, v4
	s_add_nc_u64 s[20:21], s[28:29], s[20:21]
	s_delay_alu instid0(SALU_CYCLE_1) | instskip(SKIP_1) | instid1(VALU_DEP_1)
	v_mov_b64_e32 v[6:7], s[20:21]
	v_cndmask_b32_e32 v4, 0, v51, vcc_lo
	v_dual_add_nc_u32 v2, v4, v2 :: v_dual_bitop2_b32 v3, 1, v3 bitop3:0x40
	s_delay_alu instid0(VALU_DEP_1)
	v_cmp_eq_u32_e32 vcc_lo, 1, v3
	v_mov_b32_e32 v4, 2
	v_cndmask_b32_e64 v3, v5, 1, vcc_lo
	v_mov_b32_e32 v5, 0
	;;#ASMSTART
	global_store_b128 v[6:7], v[2:5] off scope:SCOPE_DEV	
s_wait_storecnt 0x0
	;;#ASMEND
.LBB1671_165:
	s_or_b32 exec_lo, exec_lo, s14
	s_delay_alu instid0(SALU_CYCLE_1)
	s_and_b32 exec_lo, exec_lo, s2
	s_cbranch_execz .LBB1671_167
; %bb.166:
	v_mov_b32_e32 v2, 0
	ds_store_b32 v2, v51
	ds_store_b8 v2, v50 offset:4
.LBB1671_167:
	s_or_b32 exec_lo, exec_lo, s24
	v_dual_mov_b32 v2, 0 :: v_dual_bitop2_b32 v3, 1, v19 bitop3:0x40
	s_wait_dscnt 0x0
	s_barrier_signal -1
	s_barrier_wait -1
	s_delay_alu instid0(VALU_DEP_1) | instskip(SKIP_4) | instid1(VALU_DEP_2)
	v_cmp_eq_u32_e32 vcc_lo, 1, v3
	ds_load_b32 v2, v2
	s_mov_b64 s[14:15], 0x100000000
	v_cndmask_b32_e64 v3, v13, 1, vcc_lo
	v_cmp_gt_u64_e32 vcc_lo, s[14:15], v[18:19]
	v_dual_cndmask_b32 v3, v3, v19, s2 :: v_dual_cndmask_b32 v4, 0, v12, vcc_lo
	s_delay_alu instid0(VALU_DEP_1) | instskip(NEXT) | instid1(VALU_DEP_2)
	v_and_b32_e32 v3, 0xff, v3
	v_cndmask_b32_e64 v4, v4, 0, s2
	s_delay_alu instid0(VALU_DEP_2) | instskip(SKIP_2) | instid1(VALU_DEP_1)
	v_cmp_eq_u16_e32 vcc_lo, 0, v3
	s_wait_dscnt 0x0
	v_cndmask_b32_e32 v2, 0, v2, vcc_lo
	v_add3_u32 v6, v4, v18, v2
	s_delay_alu instid0(VALU_DEP_1) | instskip(NEXT) | instid1(VALU_DEP_1)
	v_cndmask_b32_e64 v2, 0, v6, s0
	v_add_nc_u32_e32 v7, v2, v38
	s_delay_alu instid0(VALU_DEP_1) | instskip(NEXT) | instid1(VALU_DEP_1)
	v_cndmask_b32_e64 v2, 0, v7, s1
	v_add_nc_u32_e32 v8, v2, v36
	v_mov_b64_e32 v[14:15], v[6:7]
	s_delay_alu instid0(VALU_DEP_2) | instskip(NEXT) | instid1(VALU_DEP_1)
	v_cndmask_b32_e64 v2, 0, v8, s4
	v_add_nc_u32_e32 v9, v2, v34
	s_delay_alu instid0(VALU_DEP_1) | instskip(NEXT) | instid1(VALU_DEP_1)
	v_cndmask_b32_e64 v2, 0, v9, s5
	v_add_nc_u32_e32 v2, v2, v32
	s_delay_alu instid0(VALU_DEP_1) | instskip(NEXT) | instid1(VALU_DEP_1)
	;; [unrolled: 3-line block ×8, first 2 shown]
	v_cndmask_b32_e64 v13, 0, v12, s12
	v_add_nc_u32_e32 v13, v13, v40
	s_branch .LBB1671_123
.LBB1671_168:
	s_cmp_lg_u64 s[36:37], 0
	s_cselect_b32 s0, -1, 0
	s_cmp_lg_u64 s[22:23], 0
	s_cselect_b32 s1, -1, 0
	s_delay_alu instid0(SALU_CYCLE_1) | instskip(NEXT) | instid1(SALU_CYCLE_1)
	s_and_b32 s0, s0, s1
	s_and_b32 s1, s2, s0
	s_delay_alu instid0(SALU_CYCLE_1)
	s_and_saveexec_b32 s0, s1
	s_cbranch_execz .LBB1671_170
; %bb.169:
	s_mov_b64 s[4:5], 0x100000000
	s_delay_alu instid0(SALU_CYCLE_1)
	v_cmp_gt_u64_e32 vcc_lo, s[4:5], v[18:19]
	v_mov_b32_e32 v2, 0
	s_clause 0x1
	global_load_b32 v3, v2, s[22:23]
	global_load_u8 v4, v2, s[22:23] offset:4
	s_wait_loadcnt 0x1
	v_cndmask_b32_e32 v5, 0, v3, vcc_lo
	v_and_b32_e32 v3, 1, v19
	s_wait_loadcnt 0x0
	s_delay_alu instid0(VALU_DEP_2) | instskip(NEXT) | instid1(VALU_DEP_2)
	v_dual_add_nc_u32 v18, v5, v18 :: v_dual_bitop2_b32 v4, 1, v4 bitop3:0x40
	v_cmp_eq_u64_e32 vcc_lo, 0, v[2:3]
	s_delay_alu instid0(VALU_DEP_2)
	v_cndmask_b32_e32 v19, 1, v4, vcc_lo
.LBB1671_170:
	s_or_b32 exec_lo, exec_lo, s0
	s_mov_b64 s[12:13], 0x100000000
	v_or3_b32 v12, v42, v29, v31
	v_cmp_gt_u64_e32 vcc_lo, s[12:13], v[38:39]
	v_cmp_gt_u64_e64 s6, s[12:13], v[28:29]
	v_cmp_gt_u64_e64 s0, s[12:13], v[36:37]
	;; [unrolled: 1-line block ×6, first 2 shown]
	v_cndmask_b32_e32 v2, 0, v18, vcc_lo
	v_cmp_gt_u64_e64 s8, s[12:13], v[24:25]
	v_cmp_gt_u64_e64 s10, s[12:13], v[20:21]
	;; [unrolled: 1-line block ×3, first 2 shown]
	v_dual_mov_b32 v14, 0 :: v_dual_bitop2_b32 v1, 56, v1 bitop3:0x40
	v_add_nc_u32_e32 v7, v2, v38
	v_cmp_gt_u64_e64 s11, s[12:13], v[40:41]
	s_mov_b32 s13, exec_lo
	v_lshl_add_u32 v1, v0, 3, v1
	v_cndmask_b32_e64 v2, 0, v7, s0
	s_delay_alu instid0(VALU_DEP_1) | instskip(NEXT) | instid1(VALU_DEP_1)
	v_add_nc_u32_e32 v8, v2, v36
	v_cndmask_b32_e64 v2, 0, v8, s1
	s_delay_alu instid0(VALU_DEP_1) | instskip(NEXT) | instid1(VALU_DEP_1)
	v_add_nc_u32_e32 v9, v2, v34
	;; [unrolled: 3-line block ×7, first 2 shown]
	v_cndmask_b32_e64 v6, 0, v10, s9
	s_delay_alu instid0(VALU_DEP_1) | instskip(SKIP_1) | instid1(VALU_DEP_2)
	v_add_nc_u32_e32 v11, v6, v22
	v_or3_b32 v6, v12, v33, v35
	v_cndmask_b32_e64 v12, 0, v11, s10
	s_delay_alu instid0(VALU_DEP_2) | instskip(NEXT) | instid1(VALU_DEP_2)
	v_or3_b32 v6, v6, v37, v39
	v_add_nc_u32_e32 v12, v12, v20
	s_delay_alu instid0(VALU_DEP_2) | instskip(NEXT) | instid1(VALU_DEP_1)
	v_or3_b32 v6, v41, v17, v6
	v_and_b32_e32 v15, 0xff, v6
	s_delay_alu instid0(VALU_DEP_1) | instskip(NEXT) | instid1(VALU_DEP_1)
	v_cmp_eq_u64_e64 s12, 0, v[14:15]
	v_dual_cndmask_b32 v13, 0, v12, s11 :: v_dual_cndmask_b32 v6, 1, v19, s12
	s_delay_alu instid0(VALU_DEP_1)
	v_add_nc_u32_e32 v13, v13, v40
	ds_store_b32 v1, v13
	ds_store_b8 v1, v6 offset:4
	s_wait_dscnt 0x0
	s_barrier_signal -1
	s_barrier_wait -1
	v_cmpx_gt_u32_e32 32, v0
	s_cbranch_execz .LBB1671_180
; %bb.171:
	v_dual_lshlrev_b32 v1, 1, v0 :: v_dual_lshlrev_b32 v14, 6, v0
	s_mov_b32 s14, exec_lo
	s_delay_alu instid0(VALU_DEP_1) | instskip(NEXT) | instid1(VALU_DEP_1)
	v_and_b32_e32 v1, 0x1f8, v1
	v_add_nc_u32_e32 v1, v1, v14
	ds_load_u8 v17, v1 offset:12
	ds_load_b64 v[14:15], v1
	ds_load_2addr_b32 v[42:43], v1 offset0:2 offset1:4
	ds_load_u8 v21, v1 offset:20
	ds_load_u8 v23, v1 offset:28
	;; [unrolled: 1-line block ×5, first 2 shown]
	ds_load_b32 v33, v1 offset:56
	s_wait_dscnt 0x8
	v_cmp_eq_u16_e64 s12, 0, v17
	s_wait_dscnt 0x5
	s_delay_alu instid0(VALU_DEP_1)
	v_dual_cndmask_b32 v31, 0, v14, s12 :: v_dual_bitop2_b32 v17, v21, v17 bitop3:0x54
	ds_load_2addr_b32 v[44:45], v1 offset0:6 offset1:8
	v_cmp_eq_u16_e64 s12, 0, v21
	ds_load_u8 v35, v1 offset:60
	s_wait_dscnt 0x5
	v_bitop3_b16 v17, v17, v25, v23 bitop3:0xfe
	v_add_nc_u32_e32 v31, v31, v42
	s_delay_alu instid0(VALU_DEP_1)
	v_cndmask_b32_e64 v31, 0, v31, s12
	v_cmp_eq_u16_e64 s12, 0, v23
	s_wait_dscnt 0x3
	v_bitop3_b16 v23, v17, v29, v27 bitop3:0xfe
	v_and_b32_e32 v17, 1, v15
	v_add_nc_u32_e32 v31, v31, v43
	ds_load_2addr_b32 v[42:43], v1 offset0:10 offset1:12
	v_cndmask_b32_e64 v31, 0, v31, s12
	v_cmp_eq_u16_e64 s12, 0, v25
	s_wait_dscnt 0x1
	s_delay_alu instid0(VALU_DEP_2) | instskip(NEXT) | instid1(VALU_DEP_1)
	v_dual_add_nc_u32 v31, v31, v44 :: v_dual_bitop2_b32 v25, 1, v35 bitop3:0x40
	v_cndmask_b32_e64 v31, 0, v31, s12
	v_cmp_eq_u16_e64 s12, 0, v27
	s_delay_alu instid0(VALU_DEP_2) | instskip(NEXT) | instid1(VALU_DEP_1)
	v_add_nc_u32_e32 v21, v31, v45
	v_cndmask_b32_e64 v21, 0, v21, s12
	v_cmp_eq_u16_e64 s12, 0, v23
	s_wait_dscnt 0x0
	s_delay_alu instid0(VALU_DEP_1) | instskip(SKIP_1) | instid1(VALU_DEP_1)
	v_dual_add_nc_u32 v21, v21, v42 :: v_dual_cndmask_b32 v23, 1, v17, s12
	v_cmp_eq_u16_e64 s12, 0, v29
	v_cndmask_b32_e64 v21, 0, v21, s12
	v_cmp_eq_u32_e64 s12, 1, v25
	v_mbcnt_lo_u32_b32 v25, -1, 0
	s_delay_alu instid0(VALU_DEP_2) | instskip(SKIP_1) | instid1(VALU_DEP_2)
	v_cndmask_b32_e64 v27, v23, 1, s12
	v_cmp_eq_u16_e64 s12, 0, v35
	v_and_b32_e32 v29, 0xffff, v27
	v_add_nc_u32_e32 v23, v21, v43
	v_and_b32_e32 v21, 0xffffff00, v15
	s_delay_alu instid0(VALU_DEP_1) | instskip(SKIP_1) | instid1(VALU_DEP_2)
	v_dual_cndmask_b32 v23, 0, v23, s12 :: v_dual_bitop2_b32 v31, v21, v29 bitop3:0x54
	v_and_b32_e32 v29, 15, v25
	v_mov_b32_dpp v35, v31 row_shr:1 row_mask:0xf bank_mask:0xf
	s_delay_alu instid0(VALU_DEP_3) | instskip(NEXT) | instid1(VALU_DEP_1)
	v_add_nc_u32_e32 v23, v23, v33
	v_mov_b32_dpp v33, v23 row_shr:1 row_mask:0xf bank_mask:0xf
	s_delay_alu instid0(VALU_DEP_4)
	v_cmpx_ne_u32_e32 0, v29
	s_cbranch_execz .LBB1671_173
; %bb.172:
	v_and_b32_e32 v31, 1, v27
	v_and_b32_e32 v35, 1, v35
	s_delay_alu instid0(VALU_DEP_2) | instskip(NEXT) | instid1(VALU_DEP_1)
	v_cmp_eq_u32_e64 s12, 1, v31
	v_cndmask_b32_e64 v35, v35, 1, s12
	v_cmp_eq_u16_e64 s12, 0, v27
	s_delay_alu instid0(VALU_DEP_2) | instskip(NEXT) | instid1(VALU_DEP_1)
	v_and_b32_e32 v31, 0xffff, v35
	v_dual_cndmask_b32 v27, 0, v33, s12 :: v_dual_bitop2_b32 v31, v21, v31 bitop3:0x54
	s_delay_alu instid0(VALU_DEP_1)
	v_add_nc_u32_e32 v23, v27, v23
	v_mov_b32_e32 v27, v35
.LBB1671_173:
	s_or_b32 exec_lo, exec_lo, s14
	s_delay_alu instid0(VALU_DEP_2)
	v_mov_b32_dpp v33, v23 row_shr:2 row_mask:0xf bank_mask:0xf
	v_mov_b32_dpp v35, v31 row_shr:2 row_mask:0xf bank_mask:0xf
	s_mov_b32 s14, exec_lo
	v_cmpx_lt_u32_e32 1, v29
	s_cbranch_execz .LBB1671_175
; %bb.174:
	v_and_b32_e32 v31, 1, v27
	v_and_b32_e32 v35, 1, v35
	s_delay_alu instid0(VALU_DEP_2) | instskip(NEXT) | instid1(VALU_DEP_1)
	v_cmp_eq_u32_e64 s12, 1, v31
	v_cndmask_b32_e64 v35, v35, 1, s12
	v_cmp_eq_u16_e64 s12, 0, v27
	s_delay_alu instid0(VALU_DEP_2) | instskip(NEXT) | instid1(VALU_DEP_1)
	v_and_b32_e32 v31, 0xffff, v35
	v_dual_cndmask_b32 v27, 0, v33, s12 :: v_dual_bitop2_b32 v31, v21, v31 bitop3:0x54
	s_delay_alu instid0(VALU_DEP_1)
	v_add_nc_u32_e32 v23, v27, v23
	v_mov_b32_e32 v27, v35
.LBB1671_175:
	s_or_b32 exec_lo, exec_lo, s14
	s_delay_alu instid0(VALU_DEP_2)
	v_mov_b32_dpp v33, v23 row_shr:4 row_mask:0xf bank_mask:0xf
	v_mov_b32_dpp v35, v31 row_shr:4 row_mask:0xf bank_mask:0xf
	s_mov_b32 s14, exec_lo
	v_cmpx_lt_u32_e32 3, v29
	;; [unrolled: 21-line block ×3, first 2 shown]
	s_cbranch_execz .LBB1671_179
; %bb.178:
	v_and_b32_e32 v29, 1, v27
	v_and_b32_e32 v31, 1, v35
	s_delay_alu instid0(VALU_DEP_2) | instskip(NEXT) | instid1(VALU_DEP_1)
	v_cmp_eq_u32_e64 s12, 1, v29
	v_cndmask_b32_e64 v29, v31, 1, s12
	v_cmp_eq_u16_e64 s12, 0, v27
	s_delay_alu instid0(VALU_DEP_2) | instskip(NEXT) | instid1(VALU_DEP_1)
	v_and_b32_e32 v31, 0xffff, v29
	v_dual_cndmask_b32 v27, 0, v33, s12 :: v_dual_bitop2_b32 v31, v21, v31 bitop3:0x54
	s_delay_alu instid0(VALU_DEP_1)
	v_dual_add_nc_u32 v23, v27, v23 :: v_dual_mov_b32 v27, v29
.LBB1671_179:
	s_or_b32 exec_lo, exec_lo, s14
	ds_swizzle_b32 v29, v31 offset:swizzle(BROADCAST,32,15)
	ds_swizzle_b32 v31, v23 offset:swizzle(BROADCAST,32,15)
	v_and_b32_e32 v33, 1, v27
	v_and_b32_e32 v35, 16, v25
	v_bfe_i32 v37, v25, 4, 1
	v_and_b32_e32 v15, 0xff, v15
	s_delay_alu instid0(VALU_DEP_4) | instskip(SKIP_3) | instid1(VALU_DEP_1)
	v_cmp_eq_u32_e64 s12, 1, v33
	v_add_nc_u32_e32 v33, -1, v25
	; wave barrier
	s_wait_dscnt 0x1
	v_and_b32_e32 v29, 1, v29
	v_cndmask_b32_e64 v29, v29, 1, s12
	v_cmp_eq_u16_e64 s12, 0, v27
	s_wait_dscnt 0x0
	s_delay_alu instid0(VALU_DEP_1) | instskip(SKIP_1) | instid1(VALU_DEP_1)
	v_cndmask_b32_e64 v31, 0, v31, s12
	v_cmp_eq_u32_e64 s12, 0, v35
	v_cndmask_b32_e64 v27, v29, v27, s12
	v_cmp_gt_i32_e64 s12, 0, v33
	s_delay_alu instid0(VALU_DEP_2) | instskip(NEXT) | instid1(VALU_DEP_2)
	v_and_b32_e32 v27, 0xffff, v27
	v_cndmask_b32_e64 v25, v33, v25, s12
	v_and_b32_e32 v29, v37, v31
	v_cmp_eq_u16_e64 s12, 0, v15
	s_delay_alu instid0(VALU_DEP_3)
	v_dual_lshlrev_b32 v25, 2, v25 :: v_dual_bitop2_b32 v21, v21, v27 bitop3:0x54
	ds_bpermute_b32 v21, v25, v21
	s_wait_dscnt 0x0
	v_dual_add_nc_u32 v23, v29, v23 :: v_dual_bitop2_b32 v21, 1, v21 bitop3:0x40
	ds_bpermute_b32 v23, v25, v23
	s_wait_dscnt 0x0
	v_cndmask_b32_e64 v15, 0, v23, s12
	v_cmp_eq_u32_e64 s12, 1, v17
	s_delay_alu instid0(VALU_DEP_2) | instskip(NEXT) | instid1(VALU_DEP_2)
	v_add_nc_u32_e32 v14, v15, v14
	v_cndmask_b32_e64 v15, v21, 1, s12
	s_delay_alu instid0(VALU_DEP_1)
	v_dual_cndmask_b32 v17, v14, v13, s2 :: v_dual_cndmask_b32 v6, v15, v6, s2
	ds_store_b32 v1, v17
	ds_store_b8 v1, v6 offset:4
	; wave barrier
	ds_load_u8 v21, v1 offset:12
	ds_load_2addr_b32 v[14:15], v1 offset0:2 offset1:4
	ds_load_u8 v23, v1 offset:20
	ds_load_u8 v25, v1 offset:28
	;; [unrolled: 1-line block ×5, first 2 shown]
	ds_load_b32 v33, v1 offset:56
	ds_load_u8 v35, v1 offset:60
	ds_load_2addr_b32 v[42:43], v1 offset0:6 offset1:8
	s_wait_dscnt 0x9
	v_cmp_eq_u16_e64 s12, 0, v21
	s_delay_alu instid0(VALU_DEP_1) | instskip(SKIP_2) | instid1(VALU_DEP_2)
	v_cndmask_b32_e64 v17, 0, v17, s12
	s_wait_dscnt 0x7
	v_cmp_eq_u16_e64 s12, 0, v23
	v_add_nc_u32_e32 v17, v17, v14
	s_delay_alu instid0(VALU_DEP_1) | instskip(SKIP_2) | instid1(VALU_DEP_2)
	v_cndmask_b32_e64 v14, 0, v17, s12
	s_wait_dscnt 0x6
	v_cmp_eq_u16_e64 s12, 0, v25
	v_add_nc_u32_e32 v37, v14, v15
	ds_load_2addr_b32 v[14:15], v1 offset0:10 offset1:12
	v_cndmask_b32_e64 v39, 0, v37, s12
	s_wait_dscnt 0x6
	v_cmp_eq_u16_e64 s12, 0, v27
	ds_store_2addr_b32 v1, v17, v37 offset0:2 offset1:4
	s_wait_dscnt 0x2
	v_dual_add_nc_u32 v39, v39, v42 :: v_dual_bitop2_b32 v21, 1, v21 bitop3:0x40
	v_and_b32_e32 v42, 1, v35
	s_delay_alu instid0(VALU_DEP_2) | instskip(NEXT) | instid1(VALU_DEP_3)
	v_cndmask_b32_e64 v41, 0, v39, s12
	v_cmp_eq_u32_e64 s12, 1, v21
	s_delay_alu instid0(VALU_DEP_2) | instskip(SKIP_1) | instid1(VALU_DEP_3)
	v_dual_add_nc_u32 v25, v41, v43 :: v_dual_bitop2_b32 v21, 1, v25 bitop3:0x40
	v_and_b32_e32 v23, 1, v23
	v_cndmask_b32_e64 v6, v6, 1, s12
	s_delay_alu instid0(VALU_DEP_2) | instskip(NEXT) | instid1(VALU_DEP_1)
	v_cmp_eq_u32_e64 s12, 1, v23
	v_cndmask_b32_e64 v23, v6, 1, s12
	v_cmp_eq_u16_e64 s12, 0, v29
	s_delay_alu instid0(VALU_DEP_1) | instskip(SKIP_2) | instid1(VALU_DEP_2)
	v_dual_cndmask_b32 v41, 0, v25, s12 :: v_dual_bitop2_b32 v27, 1, v27 bitop3:0x40
	v_cmp_eq_u32_e64 s12, 1, v21
	s_wait_dscnt 0x1
	v_dual_add_nc_u32 v14, v41, v14 :: v_dual_bitop2_b32 v41, 1, v31 bitop3:0x40
	s_delay_alu instid0(VALU_DEP_2) | instskip(SKIP_1) | instid1(VALU_DEP_1)
	v_cndmask_b32_e64 v21, v23, 1, s12
	v_cmp_eq_u32_e64 s12, 1, v27
	v_cndmask_b32_e64 v27, v21, 1, s12
	v_cmp_eq_u16_e64 s12, 0, v31
	s_delay_alu instid0(VALU_DEP_1) | instskip(NEXT) | instid1(VALU_DEP_1)
	v_dual_cndmask_b32 v31, 0, v14, s12 :: v_dual_bitop2_b32 v29, 1, v29 bitop3:0x40
	v_cmp_eq_u32_e64 s12, 1, v29
	s_delay_alu instid0(VALU_DEP_2) | instskip(NEXT) | instid1(VALU_DEP_2)
	v_add_nc_u32_e32 v15, v31, v15
	v_cndmask_b32_e64 v29, v27, 1, s12
	v_cmp_eq_u32_e64 s12, 1, v41
	ds_store_2addr_b32 v1, v39, v25 offset0:6 offset1:8
	ds_store_2addr_b32 v1, v14, v15 offset0:10 offset1:12
	v_cndmask_b32_e64 v31, v29, 1, s12
	v_cmp_eq_u16_e64 s12, 0, v35
	s_delay_alu instid0(VALU_DEP_1) | instskip(SKIP_1) | instid1(VALU_DEP_2)
	v_cndmask_b32_e64 v17, 0, v15, s12
	v_cmp_eq_u32_e64 s12, 1, v42
	v_add_nc_u32_e32 v14, v17, v33
	s_delay_alu instid0(VALU_DEP_2)
	v_cndmask_b32_e64 v35, v31, 1, s12
	ds_store_b8 v1, v6 offset:12
	ds_store_b8 v1, v23 offset:20
	;; [unrolled: 1-line block ×6, first 2 shown]
	ds_store_b32 v1, v14 offset:56
	ds_store_b8 v1, v35 offset:60
.LBB1671_180:
	s_or_b32 exec_lo, exec_lo, s13
	v_mov_b32_e32 v6, v18
	s_wait_dscnt 0x0
	s_barrier_signal -1
	s_barrier_wait -1
	s_delay_alu instid0(VALU_DEP_1)
	v_mov_b64_e32 v[14:15], v[6:7]
	s_and_saveexec_b32 s12, s3
	s_cbranch_execz .LBB1671_182
; %bb.181:
	v_add_nc_u32_e32 v1, -1, v0
	v_and_b32_e32 v3, 0xff, v19
	s_delay_alu instid0(VALU_DEP_2) | instskip(NEXT) | instid1(VALU_DEP_1)
	v_lshrrev_b32_e32 v2, 2, v1
	v_and_b32_e32 v2, 0x3ffffff8, v2
	s_delay_alu instid0(VALU_DEP_1)
	v_lshl_add_u32 v1, v1, 3, v2
	v_mov_b32_e32 v2, 0
	ds_load_b32 v1, v1
	v_cmp_eq_u64_e64 s3, 0, v[2:3]
	;;#ASMSTART
	;;#ASMEND
	s_wait_dscnt 0x0
	s_delay_alu instid0(VALU_DEP_1) | instskip(NEXT) | instid1(VALU_DEP_1)
	v_cndmask_b32_e64 v1, 0, v1, s3
	v_add_nc_u32_e32 v14, v1, v18
	s_delay_alu instid0(VALU_DEP_1) | instskip(NEXT) | instid1(VALU_DEP_1)
	v_cndmask_b32_e32 v1, 0, v14, vcc_lo
	v_add_nc_u32_e32 v15, v1, v38
	s_delay_alu instid0(VALU_DEP_1) | instskip(NEXT) | instid1(VALU_DEP_1)
	v_dual_cndmask_b32 v1, 0, v15, s0 :: v_dual_mov_b32 v18, v14
	v_dual_mov_b32 v7, v15 :: v_dual_add_nc_u32 v8, v1, v36
	s_delay_alu instid0(VALU_DEP_1) | instskip(NEXT) | instid1(VALU_DEP_1)
	v_cndmask_b32_e64 v1, 0, v8, s1
	v_add_nc_u32_e32 v9, v1, v34
	s_delay_alu instid0(VALU_DEP_1) | instskip(NEXT) | instid1(VALU_DEP_1)
	v_cndmask_b32_e64 v1, 0, v9, s4
	v_add_nc_u32_e32 v2, v1, v32
	s_delay_alu instid0(VALU_DEP_1) | instskip(NEXT) | instid1(VALU_DEP_1)
	v_cndmask_b32_e64 v1, 0, v2, s5
	v_add_nc_u32_e32 v3, v1, v30
	s_delay_alu instid0(VALU_DEP_1) | instskip(NEXT) | instid1(VALU_DEP_1)
	v_cndmask_b32_e64 v1, 0, v3, s6
	v_add_nc_u32_e32 v4, v1, v28
	s_delay_alu instid0(VALU_DEP_1) | instskip(NEXT) | instid1(VALU_DEP_1)
	v_cndmask_b32_e64 v1, 0, v4, s7
	v_add_nc_u32_e32 v5, v1, v26
	s_delay_alu instid0(VALU_DEP_1) | instskip(NEXT) | instid1(VALU_DEP_1)
	v_cndmask_b32_e64 v1, 0, v5, s8
	v_add_nc_u32_e32 v10, v1, v24
	s_delay_alu instid0(VALU_DEP_1) | instskip(NEXT) | instid1(VALU_DEP_1)
	v_cndmask_b32_e64 v1, 0, v10, s9
	v_add_nc_u32_e32 v11, v1, v22
	s_delay_alu instid0(VALU_DEP_1) | instskip(NEXT) | instid1(VALU_DEP_1)
	v_cndmask_b32_e64 v1, 0, v11, s10
	v_add_nc_u32_e32 v12, v1, v20
	s_delay_alu instid0(VALU_DEP_1) | instskip(NEXT) | instid1(VALU_DEP_1)
	v_cndmask_b32_e64 v1, 0, v12, s11
	v_add_nc_u32_e32 v13, v1, v40
.LBB1671_182:
	s_or_b32 exec_lo, exec_lo, s12
	s_and_saveexec_b32 s0, s2
	s_cbranch_execz .LBB1671_184
; %bb.183:
	v_dual_mov_b32 v23, 0 :: v_dual_mov_b32 v22, 2
	s_add_nc_u64 s[2:3], s[28:29], 0x200
	ds_load_b32 v20, v23 offset:2096
	ds_load_u8 v21, v23 offset:2100
	v_mov_b64_e32 v[24:25], s[2:3]
	s_wait_dscnt 0x0
	;;#ASMSTART
	global_store_b128 v[24:25], v[20:23] off scope:SCOPE_DEV	
s_wait_storecnt 0x0
	;;#ASMEND
.LBB1671_184:
	s_or_b32 exec_lo, exec_lo, s0
	v_mov_b32_e32 v6, v18
	s_add_nc_u64 s[0:1], s[18:19], s[34:35]
	s_and_b32 vcc_lo, exec_lo, s31
	s_add_nc_u64 s[0:1], s[0:1], s[16:17]
	s_cbranch_vccnz .LBB1671_124
.LBB1671_185:
	s_mov_b32 s2, 0
                                        ; implicit-def: $vgpr7
	s_cbranch_execz .LBB1671_187
; %bb.186:
	v_mul_u32_u24_e32 v1, 48, v0
	v_dual_mov_b32 v16, v8 :: v_dual_mov_b32 v17, v9
	v_mul_i32_i24_e32 v6, 0xffffffd4, v0
	s_wait_storecnt_dscnt 0x0
	s_barrier_signal -1
	s_barrier_wait -1
	ds_store_b128 v1, v[14:17]
	ds_store_b128 v1, v[2:5] offset:16
	ds_store_b128 v1, v[10:13] offset:32
	v_mad_u32_u24 v1, v0, 48, v6
	s_wait_dscnt 0x0
	s_barrier_signal -1
	s_barrier_wait -1
	ds_load_2addr_stride64_b32 v[2:3], v1 offset1:4
	ds_load_2addr_stride64_b32 v[4:5], v1 offset0:8 offset1:12
	ds_load_2addr_stride64_b32 v[8:9], v1 offset0:16 offset1:20
	;; [unrolled: 1-line block ×5, first 2 shown]
	s_or_b32 s2, s2, exec_lo
	s_wait_dscnt 0x5
	v_cvt_f32_u32_e32 v1, v2
	v_cvt_f32_u32_e32 v2, v3
	s_wait_dscnt 0x4
	v_cvt_f32_u32_e32 v3, v4
	v_cvt_f32_u32_e32 v4, v5
	;; [unrolled: 3-line block ×5, first 2 shown]
	s_wait_dscnt 0x0
	v_cvt_f32_u32_e32 v6, v6
	s_clause 0xa
	flat_store_b32 v0, v1, s[0:1] scale_offset
	flat_store_b32 v0, v2, s[0:1] offset:1024 scale_offset
	flat_store_b32 v0, v3, s[0:1] offset:2048 scale_offset
	;; [unrolled: 1-line block ×10, first 2 shown]
.LBB1671_187:
	s_wait_xcnt 0x0
	s_delay_alu instid0(VALU_DEP_1)
	s_and_saveexec_b32 s3, s2
	s_cbranch_execnz .LBB1671_189
; %bb.188:
	s_endpgm
.LBB1671_189:
	s_wait_dscnt 0x0
	v_cvt_f32_u32_e32 v1, v7
	flat_store_b32 v0, v1, s[0:1] offset:11264 scale_offset
	s_endpgm
	.section	.rodata,"a",@progbits
	.p2align	6, 0x0
	.amdhsa_kernel _ZN7rocprim17ROCPRIM_400000_NS6detail17trampoline_kernelINS0_14default_configENS1_27scan_by_key_config_selectorIijEEZZNS1_16scan_by_key_implILNS1_25lookback_scan_determinismE0ELb0ES3_N6thrust23THRUST_200600_302600_NS6detail15normal_iteratorINS9_10device_ptrIiEEEENSB_INSC_IjEEEENSB_INSC_IfEEEEjNS9_4plusIvEENS9_8equal_toIvEEjEE10hipError_tPvRmT2_T3_T4_T5_mT6_T7_P12ihipStream_tbENKUlT_T0_E_clISt17integral_constantIbLb0EES12_IbLb1EEEEDaSY_SZ_EUlSY_E_NS1_11comp_targetILNS1_3genE0ELNS1_11target_archE4294967295ELNS1_3gpuE0ELNS1_3repE0EEENS1_30default_config_static_selectorELNS0_4arch9wavefront6targetE0EEEvT1_
		.amdhsa_group_segment_fixed_size 14336
		.amdhsa_private_segment_fixed_size 0
		.amdhsa_kernarg_size 112
		.amdhsa_user_sgpr_count 2
		.amdhsa_user_sgpr_dispatch_ptr 0
		.amdhsa_user_sgpr_queue_ptr 0
		.amdhsa_user_sgpr_kernarg_segment_ptr 1
		.amdhsa_user_sgpr_dispatch_id 0
		.amdhsa_user_sgpr_kernarg_preload_length 0
		.amdhsa_user_sgpr_kernarg_preload_offset 0
		.amdhsa_user_sgpr_private_segment_size 0
		.amdhsa_wavefront_size32 1
		.amdhsa_uses_dynamic_stack 0
		.amdhsa_enable_private_segment 0
		.amdhsa_system_sgpr_workgroup_id_x 1
		.amdhsa_system_sgpr_workgroup_id_y 0
		.amdhsa_system_sgpr_workgroup_id_z 0
		.amdhsa_system_sgpr_workgroup_info 0
		.amdhsa_system_vgpr_workitem_id 0
		.amdhsa_next_free_vgpr 60
		.amdhsa_next_free_sgpr 44
		.amdhsa_named_barrier_count 0
		.amdhsa_reserve_vcc 1
		.amdhsa_float_round_mode_32 0
		.amdhsa_float_round_mode_16_64 0
		.amdhsa_float_denorm_mode_32 3
		.amdhsa_float_denorm_mode_16_64 3
		.amdhsa_fp16_overflow 0
		.amdhsa_memory_ordered 1
		.amdhsa_forward_progress 1
		.amdhsa_inst_pref_size 95
		.amdhsa_round_robin_scheduling 0
		.amdhsa_exception_fp_ieee_invalid_op 0
		.amdhsa_exception_fp_denorm_src 0
		.amdhsa_exception_fp_ieee_div_zero 0
		.amdhsa_exception_fp_ieee_overflow 0
		.amdhsa_exception_fp_ieee_underflow 0
		.amdhsa_exception_fp_ieee_inexact 0
		.amdhsa_exception_int_div_zero 0
	.end_amdhsa_kernel
	.section	.text._ZN7rocprim17ROCPRIM_400000_NS6detail17trampoline_kernelINS0_14default_configENS1_27scan_by_key_config_selectorIijEEZZNS1_16scan_by_key_implILNS1_25lookback_scan_determinismE0ELb0ES3_N6thrust23THRUST_200600_302600_NS6detail15normal_iteratorINS9_10device_ptrIiEEEENSB_INSC_IjEEEENSB_INSC_IfEEEEjNS9_4plusIvEENS9_8equal_toIvEEjEE10hipError_tPvRmT2_T3_T4_T5_mT6_T7_P12ihipStream_tbENKUlT_T0_E_clISt17integral_constantIbLb0EES12_IbLb1EEEEDaSY_SZ_EUlSY_E_NS1_11comp_targetILNS1_3genE0ELNS1_11target_archE4294967295ELNS1_3gpuE0ELNS1_3repE0EEENS1_30default_config_static_selectorELNS0_4arch9wavefront6targetE0EEEvT1_,"axG",@progbits,_ZN7rocprim17ROCPRIM_400000_NS6detail17trampoline_kernelINS0_14default_configENS1_27scan_by_key_config_selectorIijEEZZNS1_16scan_by_key_implILNS1_25lookback_scan_determinismE0ELb0ES3_N6thrust23THRUST_200600_302600_NS6detail15normal_iteratorINS9_10device_ptrIiEEEENSB_INSC_IjEEEENSB_INSC_IfEEEEjNS9_4plusIvEENS9_8equal_toIvEEjEE10hipError_tPvRmT2_T3_T4_T5_mT6_T7_P12ihipStream_tbENKUlT_T0_E_clISt17integral_constantIbLb0EES12_IbLb1EEEEDaSY_SZ_EUlSY_E_NS1_11comp_targetILNS1_3genE0ELNS1_11target_archE4294967295ELNS1_3gpuE0ELNS1_3repE0EEENS1_30default_config_static_selectorELNS0_4arch9wavefront6targetE0EEEvT1_,comdat
.Lfunc_end1671:
	.size	_ZN7rocprim17ROCPRIM_400000_NS6detail17trampoline_kernelINS0_14default_configENS1_27scan_by_key_config_selectorIijEEZZNS1_16scan_by_key_implILNS1_25lookback_scan_determinismE0ELb0ES3_N6thrust23THRUST_200600_302600_NS6detail15normal_iteratorINS9_10device_ptrIiEEEENSB_INSC_IjEEEENSB_INSC_IfEEEEjNS9_4plusIvEENS9_8equal_toIvEEjEE10hipError_tPvRmT2_T3_T4_T5_mT6_T7_P12ihipStream_tbENKUlT_T0_E_clISt17integral_constantIbLb0EES12_IbLb1EEEEDaSY_SZ_EUlSY_E_NS1_11comp_targetILNS1_3genE0ELNS1_11target_archE4294967295ELNS1_3gpuE0ELNS1_3repE0EEENS1_30default_config_static_selectorELNS0_4arch9wavefront6targetE0EEEvT1_, .Lfunc_end1671-_ZN7rocprim17ROCPRIM_400000_NS6detail17trampoline_kernelINS0_14default_configENS1_27scan_by_key_config_selectorIijEEZZNS1_16scan_by_key_implILNS1_25lookback_scan_determinismE0ELb0ES3_N6thrust23THRUST_200600_302600_NS6detail15normal_iteratorINS9_10device_ptrIiEEEENSB_INSC_IjEEEENSB_INSC_IfEEEEjNS9_4plusIvEENS9_8equal_toIvEEjEE10hipError_tPvRmT2_T3_T4_T5_mT6_T7_P12ihipStream_tbENKUlT_T0_E_clISt17integral_constantIbLb0EES12_IbLb1EEEEDaSY_SZ_EUlSY_E_NS1_11comp_targetILNS1_3genE0ELNS1_11target_archE4294967295ELNS1_3gpuE0ELNS1_3repE0EEENS1_30default_config_static_selectorELNS0_4arch9wavefront6targetE0EEEvT1_
                                        ; -- End function
	.set _ZN7rocprim17ROCPRIM_400000_NS6detail17trampoline_kernelINS0_14default_configENS1_27scan_by_key_config_selectorIijEEZZNS1_16scan_by_key_implILNS1_25lookback_scan_determinismE0ELb0ES3_N6thrust23THRUST_200600_302600_NS6detail15normal_iteratorINS9_10device_ptrIiEEEENSB_INSC_IjEEEENSB_INSC_IfEEEEjNS9_4plusIvEENS9_8equal_toIvEEjEE10hipError_tPvRmT2_T3_T4_T5_mT6_T7_P12ihipStream_tbENKUlT_T0_E_clISt17integral_constantIbLb0EES12_IbLb1EEEEDaSY_SZ_EUlSY_E_NS1_11comp_targetILNS1_3genE0ELNS1_11target_archE4294967295ELNS1_3gpuE0ELNS1_3repE0EEENS1_30default_config_static_selectorELNS0_4arch9wavefront6targetE0EEEvT1_.num_vgpr, 60
	.set _ZN7rocprim17ROCPRIM_400000_NS6detail17trampoline_kernelINS0_14default_configENS1_27scan_by_key_config_selectorIijEEZZNS1_16scan_by_key_implILNS1_25lookback_scan_determinismE0ELb0ES3_N6thrust23THRUST_200600_302600_NS6detail15normal_iteratorINS9_10device_ptrIiEEEENSB_INSC_IjEEEENSB_INSC_IfEEEEjNS9_4plusIvEENS9_8equal_toIvEEjEE10hipError_tPvRmT2_T3_T4_T5_mT6_T7_P12ihipStream_tbENKUlT_T0_E_clISt17integral_constantIbLb0EES12_IbLb1EEEEDaSY_SZ_EUlSY_E_NS1_11comp_targetILNS1_3genE0ELNS1_11target_archE4294967295ELNS1_3gpuE0ELNS1_3repE0EEENS1_30default_config_static_selectorELNS0_4arch9wavefront6targetE0EEEvT1_.num_agpr, 0
	.set _ZN7rocprim17ROCPRIM_400000_NS6detail17trampoline_kernelINS0_14default_configENS1_27scan_by_key_config_selectorIijEEZZNS1_16scan_by_key_implILNS1_25lookback_scan_determinismE0ELb0ES3_N6thrust23THRUST_200600_302600_NS6detail15normal_iteratorINS9_10device_ptrIiEEEENSB_INSC_IjEEEENSB_INSC_IfEEEEjNS9_4plusIvEENS9_8equal_toIvEEjEE10hipError_tPvRmT2_T3_T4_T5_mT6_T7_P12ihipStream_tbENKUlT_T0_E_clISt17integral_constantIbLb0EES12_IbLb1EEEEDaSY_SZ_EUlSY_E_NS1_11comp_targetILNS1_3genE0ELNS1_11target_archE4294967295ELNS1_3gpuE0ELNS1_3repE0EEENS1_30default_config_static_selectorELNS0_4arch9wavefront6targetE0EEEvT1_.numbered_sgpr, 44
	.set _ZN7rocprim17ROCPRIM_400000_NS6detail17trampoline_kernelINS0_14default_configENS1_27scan_by_key_config_selectorIijEEZZNS1_16scan_by_key_implILNS1_25lookback_scan_determinismE0ELb0ES3_N6thrust23THRUST_200600_302600_NS6detail15normal_iteratorINS9_10device_ptrIiEEEENSB_INSC_IjEEEENSB_INSC_IfEEEEjNS9_4plusIvEENS9_8equal_toIvEEjEE10hipError_tPvRmT2_T3_T4_T5_mT6_T7_P12ihipStream_tbENKUlT_T0_E_clISt17integral_constantIbLb0EES12_IbLb1EEEEDaSY_SZ_EUlSY_E_NS1_11comp_targetILNS1_3genE0ELNS1_11target_archE4294967295ELNS1_3gpuE0ELNS1_3repE0EEENS1_30default_config_static_selectorELNS0_4arch9wavefront6targetE0EEEvT1_.num_named_barrier, 0
	.set _ZN7rocprim17ROCPRIM_400000_NS6detail17trampoline_kernelINS0_14default_configENS1_27scan_by_key_config_selectorIijEEZZNS1_16scan_by_key_implILNS1_25lookback_scan_determinismE0ELb0ES3_N6thrust23THRUST_200600_302600_NS6detail15normal_iteratorINS9_10device_ptrIiEEEENSB_INSC_IjEEEENSB_INSC_IfEEEEjNS9_4plusIvEENS9_8equal_toIvEEjEE10hipError_tPvRmT2_T3_T4_T5_mT6_T7_P12ihipStream_tbENKUlT_T0_E_clISt17integral_constantIbLb0EES12_IbLb1EEEEDaSY_SZ_EUlSY_E_NS1_11comp_targetILNS1_3genE0ELNS1_11target_archE4294967295ELNS1_3gpuE0ELNS1_3repE0EEENS1_30default_config_static_selectorELNS0_4arch9wavefront6targetE0EEEvT1_.private_seg_size, 0
	.set _ZN7rocprim17ROCPRIM_400000_NS6detail17trampoline_kernelINS0_14default_configENS1_27scan_by_key_config_selectorIijEEZZNS1_16scan_by_key_implILNS1_25lookback_scan_determinismE0ELb0ES3_N6thrust23THRUST_200600_302600_NS6detail15normal_iteratorINS9_10device_ptrIiEEEENSB_INSC_IjEEEENSB_INSC_IfEEEEjNS9_4plusIvEENS9_8equal_toIvEEjEE10hipError_tPvRmT2_T3_T4_T5_mT6_T7_P12ihipStream_tbENKUlT_T0_E_clISt17integral_constantIbLb0EES12_IbLb1EEEEDaSY_SZ_EUlSY_E_NS1_11comp_targetILNS1_3genE0ELNS1_11target_archE4294967295ELNS1_3gpuE0ELNS1_3repE0EEENS1_30default_config_static_selectorELNS0_4arch9wavefront6targetE0EEEvT1_.uses_vcc, 1
	.set _ZN7rocprim17ROCPRIM_400000_NS6detail17trampoline_kernelINS0_14default_configENS1_27scan_by_key_config_selectorIijEEZZNS1_16scan_by_key_implILNS1_25lookback_scan_determinismE0ELb0ES3_N6thrust23THRUST_200600_302600_NS6detail15normal_iteratorINS9_10device_ptrIiEEEENSB_INSC_IjEEEENSB_INSC_IfEEEEjNS9_4plusIvEENS9_8equal_toIvEEjEE10hipError_tPvRmT2_T3_T4_T5_mT6_T7_P12ihipStream_tbENKUlT_T0_E_clISt17integral_constantIbLb0EES12_IbLb1EEEEDaSY_SZ_EUlSY_E_NS1_11comp_targetILNS1_3genE0ELNS1_11target_archE4294967295ELNS1_3gpuE0ELNS1_3repE0EEENS1_30default_config_static_selectorELNS0_4arch9wavefront6targetE0EEEvT1_.uses_flat_scratch, 1
	.set _ZN7rocprim17ROCPRIM_400000_NS6detail17trampoline_kernelINS0_14default_configENS1_27scan_by_key_config_selectorIijEEZZNS1_16scan_by_key_implILNS1_25lookback_scan_determinismE0ELb0ES3_N6thrust23THRUST_200600_302600_NS6detail15normal_iteratorINS9_10device_ptrIiEEEENSB_INSC_IjEEEENSB_INSC_IfEEEEjNS9_4plusIvEENS9_8equal_toIvEEjEE10hipError_tPvRmT2_T3_T4_T5_mT6_T7_P12ihipStream_tbENKUlT_T0_E_clISt17integral_constantIbLb0EES12_IbLb1EEEEDaSY_SZ_EUlSY_E_NS1_11comp_targetILNS1_3genE0ELNS1_11target_archE4294967295ELNS1_3gpuE0ELNS1_3repE0EEENS1_30default_config_static_selectorELNS0_4arch9wavefront6targetE0EEEvT1_.has_dyn_sized_stack, 0
	.set _ZN7rocprim17ROCPRIM_400000_NS6detail17trampoline_kernelINS0_14default_configENS1_27scan_by_key_config_selectorIijEEZZNS1_16scan_by_key_implILNS1_25lookback_scan_determinismE0ELb0ES3_N6thrust23THRUST_200600_302600_NS6detail15normal_iteratorINS9_10device_ptrIiEEEENSB_INSC_IjEEEENSB_INSC_IfEEEEjNS9_4plusIvEENS9_8equal_toIvEEjEE10hipError_tPvRmT2_T3_T4_T5_mT6_T7_P12ihipStream_tbENKUlT_T0_E_clISt17integral_constantIbLb0EES12_IbLb1EEEEDaSY_SZ_EUlSY_E_NS1_11comp_targetILNS1_3genE0ELNS1_11target_archE4294967295ELNS1_3gpuE0ELNS1_3repE0EEENS1_30default_config_static_selectorELNS0_4arch9wavefront6targetE0EEEvT1_.has_recursion, 0
	.set _ZN7rocprim17ROCPRIM_400000_NS6detail17trampoline_kernelINS0_14default_configENS1_27scan_by_key_config_selectorIijEEZZNS1_16scan_by_key_implILNS1_25lookback_scan_determinismE0ELb0ES3_N6thrust23THRUST_200600_302600_NS6detail15normal_iteratorINS9_10device_ptrIiEEEENSB_INSC_IjEEEENSB_INSC_IfEEEEjNS9_4plusIvEENS9_8equal_toIvEEjEE10hipError_tPvRmT2_T3_T4_T5_mT6_T7_P12ihipStream_tbENKUlT_T0_E_clISt17integral_constantIbLb0EES12_IbLb1EEEEDaSY_SZ_EUlSY_E_NS1_11comp_targetILNS1_3genE0ELNS1_11target_archE4294967295ELNS1_3gpuE0ELNS1_3repE0EEENS1_30default_config_static_selectorELNS0_4arch9wavefront6targetE0EEEvT1_.has_indirect_call, 0
	.section	.AMDGPU.csdata,"",@progbits
; Kernel info:
; codeLenInByte = 12148
; TotalNumSgprs: 46
; NumVgprs: 60
; ScratchSize: 0
; MemoryBound: 0
; FloatMode: 240
; IeeeMode: 1
; LDSByteSize: 14336 bytes/workgroup (compile time only)
; SGPRBlocks: 0
; VGPRBlocks: 3
; NumSGPRsForWavesPerEU: 46
; NumVGPRsForWavesPerEU: 60
; NamedBarCnt: 0
; Occupancy: 16
; WaveLimiterHint : 1
; COMPUTE_PGM_RSRC2:SCRATCH_EN: 0
; COMPUTE_PGM_RSRC2:USER_SGPR: 2
; COMPUTE_PGM_RSRC2:TRAP_HANDLER: 0
; COMPUTE_PGM_RSRC2:TGID_X_EN: 1
; COMPUTE_PGM_RSRC2:TGID_Y_EN: 0
; COMPUTE_PGM_RSRC2:TGID_Z_EN: 0
; COMPUTE_PGM_RSRC2:TIDIG_COMP_CNT: 0
	.section	.text._ZN7rocprim17ROCPRIM_400000_NS6detail17trampoline_kernelINS0_14default_configENS1_27scan_by_key_config_selectorIijEEZZNS1_16scan_by_key_implILNS1_25lookback_scan_determinismE0ELb0ES3_N6thrust23THRUST_200600_302600_NS6detail15normal_iteratorINS9_10device_ptrIiEEEENSB_INSC_IjEEEENSB_INSC_IfEEEEjNS9_4plusIvEENS9_8equal_toIvEEjEE10hipError_tPvRmT2_T3_T4_T5_mT6_T7_P12ihipStream_tbENKUlT_T0_E_clISt17integral_constantIbLb0EES12_IbLb1EEEEDaSY_SZ_EUlSY_E_NS1_11comp_targetILNS1_3genE10ELNS1_11target_archE1201ELNS1_3gpuE5ELNS1_3repE0EEENS1_30default_config_static_selectorELNS0_4arch9wavefront6targetE0EEEvT1_,"axG",@progbits,_ZN7rocprim17ROCPRIM_400000_NS6detail17trampoline_kernelINS0_14default_configENS1_27scan_by_key_config_selectorIijEEZZNS1_16scan_by_key_implILNS1_25lookback_scan_determinismE0ELb0ES3_N6thrust23THRUST_200600_302600_NS6detail15normal_iteratorINS9_10device_ptrIiEEEENSB_INSC_IjEEEENSB_INSC_IfEEEEjNS9_4plusIvEENS9_8equal_toIvEEjEE10hipError_tPvRmT2_T3_T4_T5_mT6_T7_P12ihipStream_tbENKUlT_T0_E_clISt17integral_constantIbLb0EES12_IbLb1EEEEDaSY_SZ_EUlSY_E_NS1_11comp_targetILNS1_3genE10ELNS1_11target_archE1201ELNS1_3gpuE5ELNS1_3repE0EEENS1_30default_config_static_selectorELNS0_4arch9wavefront6targetE0EEEvT1_,comdat
	.protected	_ZN7rocprim17ROCPRIM_400000_NS6detail17trampoline_kernelINS0_14default_configENS1_27scan_by_key_config_selectorIijEEZZNS1_16scan_by_key_implILNS1_25lookback_scan_determinismE0ELb0ES3_N6thrust23THRUST_200600_302600_NS6detail15normal_iteratorINS9_10device_ptrIiEEEENSB_INSC_IjEEEENSB_INSC_IfEEEEjNS9_4plusIvEENS9_8equal_toIvEEjEE10hipError_tPvRmT2_T3_T4_T5_mT6_T7_P12ihipStream_tbENKUlT_T0_E_clISt17integral_constantIbLb0EES12_IbLb1EEEEDaSY_SZ_EUlSY_E_NS1_11comp_targetILNS1_3genE10ELNS1_11target_archE1201ELNS1_3gpuE5ELNS1_3repE0EEENS1_30default_config_static_selectorELNS0_4arch9wavefront6targetE0EEEvT1_ ; -- Begin function _ZN7rocprim17ROCPRIM_400000_NS6detail17trampoline_kernelINS0_14default_configENS1_27scan_by_key_config_selectorIijEEZZNS1_16scan_by_key_implILNS1_25lookback_scan_determinismE0ELb0ES3_N6thrust23THRUST_200600_302600_NS6detail15normal_iteratorINS9_10device_ptrIiEEEENSB_INSC_IjEEEENSB_INSC_IfEEEEjNS9_4plusIvEENS9_8equal_toIvEEjEE10hipError_tPvRmT2_T3_T4_T5_mT6_T7_P12ihipStream_tbENKUlT_T0_E_clISt17integral_constantIbLb0EES12_IbLb1EEEEDaSY_SZ_EUlSY_E_NS1_11comp_targetILNS1_3genE10ELNS1_11target_archE1201ELNS1_3gpuE5ELNS1_3repE0EEENS1_30default_config_static_selectorELNS0_4arch9wavefront6targetE0EEEvT1_
	.globl	_ZN7rocprim17ROCPRIM_400000_NS6detail17trampoline_kernelINS0_14default_configENS1_27scan_by_key_config_selectorIijEEZZNS1_16scan_by_key_implILNS1_25lookback_scan_determinismE0ELb0ES3_N6thrust23THRUST_200600_302600_NS6detail15normal_iteratorINS9_10device_ptrIiEEEENSB_INSC_IjEEEENSB_INSC_IfEEEEjNS9_4plusIvEENS9_8equal_toIvEEjEE10hipError_tPvRmT2_T3_T4_T5_mT6_T7_P12ihipStream_tbENKUlT_T0_E_clISt17integral_constantIbLb0EES12_IbLb1EEEEDaSY_SZ_EUlSY_E_NS1_11comp_targetILNS1_3genE10ELNS1_11target_archE1201ELNS1_3gpuE5ELNS1_3repE0EEENS1_30default_config_static_selectorELNS0_4arch9wavefront6targetE0EEEvT1_
	.p2align	8
	.type	_ZN7rocprim17ROCPRIM_400000_NS6detail17trampoline_kernelINS0_14default_configENS1_27scan_by_key_config_selectorIijEEZZNS1_16scan_by_key_implILNS1_25lookback_scan_determinismE0ELb0ES3_N6thrust23THRUST_200600_302600_NS6detail15normal_iteratorINS9_10device_ptrIiEEEENSB_INSC_IjEEEENSB_INSC_IfEEEEjNS9_4plusIvEENS9_8equal_toIvEEjEE10hipError_tPvRmT2_T3_T4_T5_mT6_T7_P12ihipStream_tbENKUlT_T0_E_clISt17integral_constantIbLb0EES12_IbLb1EEEEDaSY_SZ_EUlSY_E_NS1_11comp_targetILNS1_3genE10ELNS1_11target_archE1201ELNS1_3gpuE5ELNS1_3repE0EEENS1_30default_config_static_selectorELNS0_4arch9wavefront6targetE0EEEvT1_,@function
_ZN7rocprim17ROCPRIM_400000_NS6detail17trampoline_kernelINS0_14default_configENS1_27scan_by_key_config_selectorIijEEZZNS1_16scan_by_key_implILNS1_25lookback_scan_determinismE0ELb0ES3_N6thrust23THRUST_200600_302600_NS6detail15normal_iteratorINS9_10device_ptrIiEEEENSB_INSC_IjEEEENSB_INSC_IfEEEEjNS9_4plusIvEENS9_8equal_toIvEEjEE10hipError_tPvRmT2_T3_T4_T5_mT6_T7_P12ihipStream_tbENKUlT_T0_E_clISt17integral_constantIbLb0EES12_IbLb1EEEEDaSY_SZ_EUlSY_E_NS1_11comp_targetILNS1_3genE10ELNS1_11target_archE1201ELNS1_3gpuE5ELNS1_3repE0EEENS1_30default_config_static_selectorELNS0_4arch9wavefront6targetE0EEEvT1_: ; @_ZN7rocprim17ROCPRIM_400000_NS6detail17trampoline_kernelINS0_14default_configENS1_27scan_by_key_config_selectorIijEEZZNS1_16scan_by_key_implILNS1_25lookback_scan_determinismE0ELb0ES3_N6thrust23THRUST_200600_302600_NS6detail15normal_iteratorINS9_10device_ptrIiEEEENSB_INSC_IjEEEENSB_INSC_IfEEEEjNS9_4plusIvEENS9_8equal_toIvEEjEE10hipError_tPvRmT2_T3_T4_T5_mT6_T7_P12ihipStream_tbENKUlT_T0_E_clISt17integral_constantIbLb0EES12_IbLb1EEEEDaSY_SZ_EUlSY_E_NS1_11comp_targetILNS1_3genE10ELNS1_11target_archE1201ELNS1_3gpuE5ELNS1_3repE0EEENS1_30default_config_static_selectorELNS0_4arch9wavefront6targetE0EEEvT1_
; %bb.0:
	.section	.rodata,"a",@progbits
	.p2align	6, 0x0
	.amdhsa_kernel _ZN7rocprim17ROCPRIM_400000_NS6detail17trampoline_kernelINS0_14default_configENS1_27scan_by_key_config_selectorIijEEZZNS1_16scan_by_key_implILNS1_25lookback_scan_determinismE0ELb0ES3_N6thrust23THRUST_200600_302600_NS6detail15normal_iteratorINS9_10device_ptrIiEEEENSB_INSC_IjEEEENSB_INSC_IfEEEEjNS9_4plusIvEENS9_8equal_toIvEEjEE10hipError_tPvRmT2_T3_T4_T5_mT6_T7_P12ihipStream_tbENKUlT_T0_E_clISt17integral_constantIbLb0EES12_IbLb1EEEEDaSY_SZ_EUlSY_E_NS1_11comp_targetILNS1_3genE10ELNS1_11target_archE1201ELNS1_3gpuE5ELNS1_3repE0EEENS1_30default_config_static_selectorELNS0_4arch9wavefront6targetE0EEEvT1_
		.amdhsa_group_segment_fixed_size 0
		.amdhsa_private_segment_fixed_size 0
		.amdhsa_kernarg_size 112
		.amdhsa_user_sgpr_count 2
		.amdhsa_user_sgpr_dispatch_ptr 0
		.amdhsa_user_sgpr_queue_ptr 0
		.amdhsa_user_sgpr_kernarg_segment_ptr 1
		.amdhsa_user_sgpr_dispatch_id 0
		.amdhsa_user_sgpr_kernarg_preload_length 0
		.amdhsa_user_sgpr_kernarg_preload_offset 0
		.amdhsa_user_sgpr_private_segment_size 0
		.amdhsa_wavefront_size32 1
		.amdhsa_uses_dynamic_stack 0
		.amdhsa_enable_private_segment 0
		.amdhsa_system_sgpr_workgroup_id_x 1
		.amdhsa_system_sgpr_workgroup_id_y 0
		.amdhsa_system_sgpr_workgroup_id_z 0
		.amdhsa_system_sgpr_workgroup_info 0
		.amdhsa_system_vgpr_workitem_id 0
		.amdhsa_next_free_vgpr 1
		.amdhsa_next_free_sgpr 1
		.amdhsa_named_barrier_count 0
		.amdhsa_reserve_vcc 0
		.amdhsa_float_round_mode_32 0
		.amdhsa_float_round_mode_16_64 0
		.amdhsa_float_denorm_mode_32 3
		.amdhsa_float_denorm_mode_16_64 3
		.amdhsa_fp16_overflow 0
		.amdhsa_memory_ordered 1
		.amdhsa_forward_progress 1
		.amdhsa_inst_pref_size 0
		.amdhsa_round_robin_scheduling 0
		.amdhsa_exception_fp_ieee_invalid_op 0
		.amdhsa_exception_fp_denorm_src 0
		.amdhsa_exception_fp_ieee_div_zero 0
		.amdhsa_exception_fp_ieee_overflow 0
		.amdhsa_exception_fp_ieee_underflow 0
		.amdhsa_exception_fp_ieee_inexact 0
		.amdhsa_exception_int_div_zero 0
	.end_amdhsa_kernel
	.section	.text._ZN7rocprim17ROCPRIM_400000_NS6detail17trampoline_kernelINS0_14default_configENS1_27scan_by_key_config_selectorIijEEZZNS1_16scan_by_key_implILNS1_25lookback_scan_determinismE0ELb0ES3_N6thrust23THRUST_200600_302600_NS6detail15normal_iteratorINS9_10device_ptrIiEEEENSB_INSC_IjEEEENSB_INSC_IfEEEEjNS9_4plusIvEENS9_8equal_toIvEEjEE10hipError_tPvRmT2_T3_T4_T5_mT6_T7_P12ihipStream_tbENKUlT_T0_E_clISt17integral_constantIbLb0EES12_IbLb1EEEEDaSY_SZ_EUlSY_E_NS1_11comp_targetILNS1_3genE10ELNS1_11target_archE1201ELNS1_3gpuE5ELNS1_3repE0EEENS1_30default_config_static_selectorELNS0_4arch9wavefront6targetE0EEEvT1_,"axG",@progbits,_ZN7rocprim17ROCPRIM_400000_NS6detail17trampoline_kernelINS0_14default_configENS1_27scan_by_key_config_selectorIijEEZZNS1_16scan_by_key_implILNS1_25lookback_scan_determinismE0ELb0ES3_N6thrust23THRUST_200600_302600_NS6detail15normal_iteratorINS9_10device_ptrIiEEEENSB_INSC_IjEEEENSB_INSC_IfEEEEjNS9_4plusIvEENS9_8equal_toIvEEjEE10hipError_tPvRmT2_T3_T4_T5_mT6_T7_P12ihipStream_tbENKUlT_T0_E_clISt17integral_constantIbLb0EES12_IbLb1EEEEDaSY_SZ_EUlSY_E_NS1_11comp_targetILNS1_3genE10ELNS1_11target_archE1201ELNS1_3gpuE5ELNS1_3repE0EEENS1_30default_config_static_selectorELNS0_4arch9wavefront6targetE0EEEvT1_,comdat
.Lfunc_end1672:
	.size	_ZN7rocprim17ROCPRIM_400000_NS6detail17trampoline_kernelINS0_14default_configENS1_27scan_by_key_config_selectorIijEEZZNS1_16scan_by_key_implILNS1_25lookback_scan_determinismE0ELb0ES3_N6thrust23THRUST_200600_302600_NS6detail15normal_iteratorINS9_10device_ptrIiEEEENSB_INSC_IjEEEENSB_INSC_IfEEEEjNS9_4plusIvEENS9_8equal_toIvEEjEE10hipError_tPvRmT2_T3_T4_T5_mT6_T7_P12ihipStream_tbENKUlT_T0_E_clISt17integral_constantIbLb0EES12_IbLb1EEEEDaSY_SZ_EUlSY_E_NS1_11comp_targetILNS1_3genE10ELNS1_11target_archE1201ELNS1_3gpuE5ELNS1_3repE0EEENS1_30default_config_static_selectorELNS0_4arch9wavefront6targetE0EEEvT1_, .Lfunc_end1672-_ZN7rocprim17ROCPRIM_400000_NS6detail17trampoline_kernelINS0_14default_configENS1_27scan_by_key_config_selectorIijEEZZNS1_16scan_by_key_implILNS1_25lookback_scan_determinismE0ELb0ES3_N6thrust23THRUST_200600_302600_NS6detail15normal_iteratorINS9_10device_ptrIiEEEENSB_INSC_IjEEEENSB_INSC_IfEEEEjNS9_4plusIvEENS9_8equal_toIvEEjEE10hipError_tPvRmT2_T3_T4_T5_mT6_T7_P12ihipStream_tbENKUlT_T0_E_clISt17integral_constantIbLb0EES12_IbLb1EEEEDaSY_SZ_EUlSY_E_NS1_11comp_targetILNS1_3genE10ELNS1_11target_archE1201ELNS1_3gpuE5ELNS1_3repE0EEENS1_30default_config_static_selectorELNS0_4arch9wavefront6targetE0EEEvT1_
                                        ; -- End function
	.set _ZN7rocprim17ROCPRIM_400000_NS6detail17trampoline_kernelINS0_14default_configENS1_27scan_by_key_config_selectorIijEEZZNS1_16scan_by_key_implILNS1_25lookback_scan_determinismE0ELb0ES3_N6thrust23THRUST_200600_302600_NS6detail15normal_iteratorINS9_10device_ptrIiEEEENSB_INSC_IjEEEENSB_INSC_IfEEEEjNS9_4plusIvEENS9_8equal_toIvEEjEE10hipError_tPvRmT2_T3_T4_T5_mT6_T7_P12ihipStream_tbENKUlT_T0_E_clISt17integral_constantIbLb0EES12_IbLb1EEEEDaSY_SZ_EUlSY_E_NS1_11comp_targetILNS1_3genE10ELNS1_11target_archE1201ELNS1_3gpuE5ELNS1_3repE0EEENS1_30default_config_static_selectorELNS0_4arch9wavefront6targetE0EEEvT1_.num_vgpr, 0
	.set _ZN7rocprim17ROCPRIM_400000_NS6detail17trampoline_kernelINS0_14default_configENS1_27scan_by_key_config_selectorIijEEZZNS1_16scan_by_key_implILNS1_25lookback_scan_determinismE0ELb0ES3_N6thrust23THRUST_200600_302600_NS6detail15normal_iteratorINS9_10device_ptrIiEEEENSB_INSC_IjEEEENSB_INSC_IfEEEEjNS9_4plusIvEENS9_8equal_toIvEEjEE10hipError_tPvRmT2_T3_T4_T5_mT6_T7_P12ihipStream_tbENKUlT_T0_E_clISt17integral_constantIbLb0EES12_IbLb1EEEEDaSY_SZ_EUlSY_E_NS1_11comp_targetILNS1_3genE10ELNS1_11target_archE1201ELNS1_3gpuE5ELNS1_3repE0EEENS1_30default_config_static_selectorELNS0_4arch9wavefront6targetE0EEEvT1_.num_agpr, 0
	.set _ZN7rocprim17ROCPRIM_400000_NS6detail17trampoline_kernelINS0_14default_configENS1_27scan_by_key_config_selectorIijEEZZNS1_16scan_by_key_implILNS1_25lookback_scan_determinismE0ELb0ES3_N6thrust23THRUST_200600_302600_NS6detail15normal_iteratorINS9_10device_ptrIiEEEENSB_INSC_IjEEEENSB_INSC_IfEEEEjNS9_4plusIvEENS9_8equal_toIvEEjEE10hipError_tPvRmT2_T3_T4_T5_mT6_T7_P12ihipStream_tbENKUlT_T0_E_clISt17integral_constantIbLb0EES12_IbLb1EEEEDaSY_SZ_EUlSY_E_NS1_11comp_targetILNS1_3genE10ELNS1_11target_archE1201ELNS1_3gpuE5ELNS1_3repE0EEENS1_30default_config_static_selectorELNS0_4arch9wavefront6targetE0EEEvT1_.numbered_sgpr, 0
	.set _ZN7rocprim17ROCPRIM_400000_NS6detail17trampoline_kernelINS0_14default_configENS1_27scan_by_key_config_selectorIijEEZZNS1_16scan_by_key_implILNS1_25lookback_scan_determinismE0ELb0ES3_N6thrust23THRUST_200600_302600_NS6detail15normal_iteratorINS9_10device_ptrIiEEEENSB_INSC_IjEEEENSB_INSC_IfEEEEjNS9_4plusIvEENS9_8equal_toIvEEjEE10hipError_tPvRmT2_T3_T4_T5_mT6_T7_P12ihipStream_tbENKUlT_T0_E_clISt17integral_constantIbLb0EES12_IbLb1EEEEDaSY_SZ_EUlSY_E_NS1_11comp_targetILNS1_3genE10ELNS1_11target_archE1201ELNS1_3gpuE5ELNS1_3repE0EEENS1_30default_config_static_selectorELNS0_4arch9wavefront6targetE0EEEvT1_.num_named_barrier, 0
	.set _ZN7rocprim17ROCPRIM_400000_NS6detail17trampoline_kernelINS0_14default_configENS1_27scan_by_key_config_selectorIijEEZZNS1_16scan_by_key_implILNS1_25lookback_scan_determinismE0ELb0ES3_N6thrust23THRUST_200600_302600_NS6detail15normal_iteratorINS9_10device_ptrIiEEEENSB_INSC_IjEEEENSB_INSC_IfEEEEjNS9_4plusIvEENS9_8equal_toIvEEjEE10hipError_tPvRmT2_T3_T4_T5_mT6_T7_P12ihipStream_tbENKUlT_T0_E_clISt17integral_constantIbLb0EES12_IbLb1EEEEDaSY_SZ_EUlSY_E_NS1_11comp_targetILNS1_3genE10ELNS1_11target_archE1201ELNS1_3gpuE5ELNS1_3repE0EEENS1_30default_config_static_selectorELNS0_4arch9wavefront6targetE0EEEvT1_.private_seg_size, 0
	.set _ZN7rocprim17ROCPRIM_400000_NS6detail17trampoline_kernelINS0_14default_configENS1_27scan_by_key_config_selectorIijEEZZNS1_16scan_by_key_implILNS1_25lookback_scan_determinismE0ELb0ES3_N6thrust23THRUST_200600_302600_NS6detail15normal_iteratorINS9_10device_ptrIiEEEENSB_INSC_IjEEEENSB_INSC_IfEEEEjNS9_4plusIvEENS9_8equal_toIvEEjEE10hipError_tPvRmT2_T3_T4_T5_mT6_T7_P12ihipStream_tbENKUlT_T0_E_clISt17integral_constantIbLb0EES12_IbLb1EEEEDaSY_SZ_EUlSY_E_NS1_11comp_targetILNS1_3genE10ELNS1_11target_archE1201ELNS1_3gpuE5ELNS1_3repE0EEENS1_30default_config_static_selectorELNS0_4arch9wavefront6targetE0EEEvT1_.uses_vcc, 0
	.set _ZN7rocprim17ROCPRIM_400000_NS6detail17trampoline_kernelINS0_14default_configENS1_27scan_by_key_config_selectorIijEEZZNS1_16scan_by_key_implILNS1_25lookback_scan_determinismE0ELb0ES3_N6thrust23THRUST_200600_302600_NS6detail15normal_iteratorINS9_10device_ptrIiEEEENSB_INSC_IjEEEENSB_INSC_IfEEEEjNS9_4plusIvEENS9_8equal_toIvEEjEE10hipError_tPvRmT2_T3_T4_T5_mT6_T7_P12ihipStream_tbENKUlT_T0_E_clISt17integral_constantIbLb0EES12_IbLb1EEEEDaSY_SZ_EUlSY_E_NS1_11comp_targetILNS1_3genE10ELNS1_11target_archE1201ELNS1_3gpuE5ELNS1_3repE0EEENS1_30default_config_static_selectorELNS0_4arch9wavefront6targetE0EEEvT1_.uses_flat_scratch, 0
	.set _ZN7rocprim17ROCPRIM_400000_NS6detail17trampoline_kernelINS0_14default_configENS1_27scan_by_key_config_selectorIijEEZZNS1_16scan_by_key_implILNS1_25lookback_scan_determinismE0ELb0ES3_N6thrust23THRUST_200600_302600_NS6detail15normal_iteratorINS9_10device_ptrIiEEEENSB_INSC_IjEEEENSB_INSC_IfEEEEjNS9_4plusIvEENS9_8equal_toIvEEjEE10hipError_tPvRmT2_T3_T4_T5_mT6_T7_P12ihipStream_tbENKUlT_T0_E_clISt17integral_constantIbLb0EES12_IbLb1EEEEDaSY_SZ_EUlSY_E_NS1_11comp_targetILNS1_3genE10ELNS1_11target_archE1201ELNS1_3gpuE5ELNS1_3repE0EEENS1_30default_config_static_selectorELNS0_4arch9wavefront6targetE0EEEvT1_.has_dyn_sized_stack, 0
	.set _ZN7rocprim17ROCPRIM_400000_NS6detail17trampoline_kernelINS0_14default_configENS1_27scan_by_key_config_selectorIijEEZZNS1_16scan_by_key_implILNS1_25lookback_scan_determinismE0ELb0ES3_N6thrust23THRUST_200600_302600_NS6detail15normal_iteratorINS9_10device_ptrIiEEEENSB_INSC_IjEEEENSB_INSC_IfEEEEjNS9_4plusIvEENS9_8equal_toIvEEjEE10hipError_tPvRmT2_T3_T4_T5_mT6_T7_P12ihipStream_tbENKUlT_T0_E_clISt17integral_constantIbLb0EES12_IbLb1EEEEDaSY_SZ_EUlSY_E_NS1_11comp_targetILNS1_3genE10ELNS1_11target_archE1201ELNS1_3gpuE5ELNS1_3repE0EEENS1_30default_config_static_selectorELNS0_4arch9wavefront6targetE0EEEvT1_.has_recursion, 0
	.set _ZN7rocprim17ROCPRIM_400000_NS6detail17trampoline_kernelINS0_14default_configENS1_27scan_by_key_config_selectorIijEEZZNS1_16scan_by_key_implILNS1_25lookback_scan_determinismE0ELb0ES3_N6thrust23THRUST_200600_302600_NS6detail15normal_iteratorINS9_10device_ptrIiEEEENSB_INSC_IjEEEENSB_INSC_IfEEEEjNS9_4plusIvEENS9_8equal_toIvEEjEE10hipError_tPvRmT2_T3_T4_T5_mT6_T7_P12ihipStream_tbENKUlT_T0_E_clISt17integral_constantIbLb0EES12_IbLb1EEEEDaSY_SZ_EUlSY_E_NS1_11comp_targetILNS1_3genE10ELNS1_11target_archE1201ELNS1_3gpuE5ELNS1_3repE0EEENS1_30default_config_static_selectorELNS0_4arch9wavefront6targetE0EEEvT1_.has_indirect_call, 0
	.section	.AMDGPU.csdata,"",@progbits
; Kernel info:
; codeLenInByte = 0
; TotalNumSgprs: 0
; NumVgprs: 0
; ScratchSize: 0
; MemoryBound: 0
; FloatMode: 240
; IeeeMode: 1
; LDSByteSize: 0 bytes/workgroup (compile time only)
; SGPRBlocks: 0
; VGPRBlocks: 0
; NumSGPRsForWavesPerEU: 1
; NumVGPRsForWavesPerEU: 1
; NamedBarCnt: 0
; Occupancy: 16
; WaveLimiterHint : 0
; COMPUTE_PGM_RSRC2:SCRATCH_EN: 0
; COMPUTE_PGM_RSRC2:USER_SGPR: 2
; COMPUTE_PGM_RSRC2:TRAP_HANDLER: 0
; COMPUTE_PGM_RSRC2:TGID_X_EN: 1
; COMPUTE_PGM_RSRC2:TGID_Y_EN: 0
; COMPUTE_PGM_RSRC2:TGID_Z_EN: 0
; COMPUTE_PGM_RSRC2:TIDIG_COMP_CNT: 0
	.section	.text._ZN7rocprim17ROCPRIM_400000_NS6detail17trampoline_kernelINS0_14default_configENS1_27scan_by_key_config_selectorIijEEZZNS1_16scan_by_key_implILNS1_25lookback_scan_determinismE0ELb0ES3_N6thrust23THRUST_200600_302600_NS6detail15normal_iteratorINS9_10device_ptrIiEEEENSB_INSC_IjEEEENSB_INSC_IfEEEEjNS9_4plusIvEENS9_8equal_toIvEEjEE10hipError_tPvRmT2_T3_T4_T5_mT6_T7_P12ihipStream_tbENKUlT_T0_E_clISt17integral_constantIbLb0EES12_IbLb1EEEEDaSY_SZ_EUlSY_E_NS1_11comp_targetILNS1_3genE5ELNS1_11target_archE942ELNS1_3gpuE9ELNS1_3repE0EEENS1_30default_config_static_selectorELNS0_4arch9wavefront6targetE0EEEvT1_,"axG",@progbits,_ZN7rocprim17ROCPRIM_400000_NS6detail17trampoline_kernelINS0_14default_configENS1_27scan_by_key_config_selectorIijEEZZNS1_16scan_by_key_implILNS1_25lookback_scan_determinismE0ELb0ES3_N6thrust23THRUST_200600_302600_NS6detail15normal_iteratorINS9_10device_ptrIiEEEENSB_INSC_IjEEEENSB_INSC_IfEEEEjNS9_4plusIvEENS9_8equal_toIvEEjEE10hipError_tPvRmT2_T3_T4_T5_mT6_T7_P12ihipStream_tbENKUlT_T0_E_clISt17integral_constantIbLb0EES12_IbLb1EEEEDaSY_SZ_EUlSY_E_NS1_11comp_targetILNS1_3genE5ELNS1_11target_archE942ELNS1_3gpuE9ELNS1_3repE0EEENS1_30default_config_static_selectorELNS0_4arch9wavefront6targetE0EEEvT1_,comdat
	.protected	_ZN7rocprim17ROCPRIM_400000_NS6detail17trampoline_kernelINS0_14default_configENS1_27scan_by_key_config_selectorIijEEZZNS1_16scan_by_key_implILNS1_25lookback_scan_determinismE0ELb0ES3_N6thrust23THRUST_200600_302600_NS6detail15normal_iteratorINS9_10device_ptrIiEEEENSB_INSC_IjEEEENSB_INSC_IfEEEEjNS9_4plusIvEENS9_8equal_toIvEEjEE10hipError_tPvRmT2_T3_T4_T5_mT6_T7_P12ihipStream_tbENKUlT_T0_E_clISt17integral_constantIbLb0EES12_IbLb1EEEEDaSY_SZ_EUlSY_E_NS1_11comp_targetILNS1_3genE5ELNS1_11target_archE942ELNS1_3gpuE9ELNS1_3repE0EEENS1_30default_config_static_selectorELNS0_4arch9wavefront6targetE0EEEvT1_ ; -- Begin function _ZN7rocprim17ROCPRIM_400000_NS6detail17trampoline_kernelINS0_14default_configENS1_27scan_by_key_config_selectorIijEEZZNS1_16scan_by_key_implILNS1_25lookback_scan_determinismE0ELb0ES3_N6thrust23THRUST_200600_302600_NS6detail15normal_iteratorINS9_10device_ptrIiEEEENSB_INSC_IjEEEENSB_INSC_IfEEEEjNS9_4plusIvEENS9_8equal_toIvEEjEE10hipError_tPvRmT2_T3_T4_T5_mT6_T7_P12ihipStream_tbENKUlT_T0_E_clISt17integral_constantIbLb0EES12_IbLb1EEEEDaSY_SZ_EUlSY_E_NS1_11comp_targetILNS1_3genE5ELNS1_11target_archE942ELNS1_3gpuE9ELNS1_3repE0EEENS1_30default_config_static_selectorELNS0_4arch9wavefront6targetE0EEEvT1_
	.globl	_ZN7rocprim17ROCPRIM_400000_NS6detail17trampoline_kernelINS0_14default_configENS1_27scan_by_key_config_selectorIijEEZZNS1_16scan_by_key_implILNS1_25lookback_scan_determinismE0ELb0ES3_N6thrust23THRUST_200600_302600_NS6detail15normal_iteratorINS9_10device_ptrIiEEEENSB_INSC_IjEEEENSB_INSC_IfEEEEjNS9_4plusIvEENS9_8equal_toIvEEjEE10hipError_tPvRmT2_T3_T4_T5_mT6_T7_P12ihipStream_tbENKUlT_T0_E_clISt17integral_constantIbLb0EES12_IbLb1EEEEDaSY_SZ_EUlSY_E_NS1_11comp_targetILNS1_3genE5ELNS1_11target_archE942ELNS1_3gpuE9ELNS1_3repE0EEENS1_30default_config_static_selectorELNS0_4arch9wavefront6targetE0EEEvT1_
	.p2align	8
	.type	_ZN7rocprim17ROCPRIM_400000_NS6detail17trampoline_kernelINS0_14default_configENS1_27scan_by_key_config_selectorIijEEZZNS1_16scan_by_key_implILNS1_25lookback_scan_determinismE0ELb0ES3_N6thrust23THRUST_200600_302600_NS6detail15normal_iteratorINS9_10device_ptrIiEEEENSB_INSC_IjEEEENSB_INSC_IfEEEEjNS9_4plusIvEENS9_8equal_toIvEEjEE10hipError_tPvRmT2_T3_T4_T5_mT6_T7_P12ihipStream_tbENKUlT_T0_E_clISt17integral_constantIbLb0EES12_IbLb1EEEEDaSY_SZ_EUlSY_E_NS1_11comp_targetILNS1_3genE5ELNS1_11target_archE942ELNS1_3gpuE9ELNS1_3repE0EEENS1_30default_config_static_selectorELNS0_4arch9wavefront6targetE0EEEvT1_,@function
_ZN7rocprim17ROCPRIM_400000_NS6detail17trampoline_kernelINS0_14default_configENS1_27scan_by_key_config_selectorIijEEZZNS1_16scan_by_key_implILNS1_25lookback_scan_determinismE0ELb0ES3_N6thrust23THRUST_200600_302600_NS6detail15normal_iteratorINS9_10device_ptrIiEEEENSB_INSC_IjEEEENSB_INSC_IfEEEEjNS9_4plusIvEENS9_8equal_toIvEEjEE10hipError_tPvRmT2_T3_T4_T5_mT6_T7_P12ihipStream_tbENKUlT_T0_E_clISt17integral_constantIbLb0EES12_IbLb1EEEEDaSY_SZ_EUlSY_E_NS1_11comp_targetILNS1_3genE5ELNS1_11target_archE942ELNS1_3gpuE9ELNS1_3repE0EEENS1_30default_config_static_selectorELNS0_4arch9wavefront6targetE0EEEvT1_: ; @_ZN7rocprim17ROCPRIM_400000_NS6detail17trampoline_kernelINS0_14default_configENS1_27scan_by_key_config_selectorIijEEZZNS1_16scan_by_key_implILNS1_25lookback_scan_determinismE0ELb0ES3_N6thrust23THRUST_200600_302600_NS6detail15normal_iteratorINS9_10device_ptrIiEEEENSB_INSC_IjEEEENSB_INSC_IfEEEEjNS9_4plusIvEENS9_8equal_toIvEEjEE10hipError_tPvRmT2_T3_T4_T5_mT6_T7_P12ihipStream_tbENKUlT_T0_E_clISt17integral_constantIbLb0EES12_IbLb1EEEEDaSY_SZ_EUlSY_E_NS1_11comp_targetILNS1_3genE5ELNS1_11target_archE942ELNS1_3gpuE9ELNS1_3repE0EEENS1_30default_config_static_selectorELNS0_4arch9wavefront6targetE0EEEvT1_
; %bb.0:
	.section	.rodata,"a",@progbits
	.p2align	6, 0x0
	.amdhsa_kernel _ZN7rocprim17ROCPRIM_400000_NS6detail17trampoline_kernelINS0_14default_configENS1_27scan_by_key_config_selectorIijEEZZNS1_16scan_by_key_implILNS1_25lookback_scan_determinismE0ELb0ES3_N6thrust23THRUST_200600_302600_NS6detail15normal_iteratorINS9_10device_ptrIiEEEENSB_INSC_IjEEEENSB_INSC_IfEEEEjNS9_4plusIvEENS9_8equal_toIvEEjEE10hipError_tPvRmT2_T3_T4_T5_mT6_T7_P12ihipStream_tbENKUlT_T0_E_clISt17integral_constantIbLb0EES12_IbLb1EEEEDaSY_SZ_EUlSY_E_NS1_11comp_targetILNS1_3genE5ELNS1_11target_archE942ELNS1_3gpuE9ELNS1_3repE0EEENS1_30default_config_static_selectorELNS0_4arch9wavefront6targetE0EEEvT1_
		.amdhsa_group_segment_fixed_size 0
		.amdhsa_private_segment_fixed_size 0
		.amdhsa_kernarg_size 112
		.amdhsa_user_sgpr_count 2
		.amdhsa_user_sgpr_dispatch_ptr 0
		.amdhsa_user_sgpr_queue_ptr 0
		.amdhsa_user_sgpr_kernarg_segment_ptr 1
		.amdhsa_user_sgpr_dispatch_id 0
		.amdhsa_user_sgpr_kernarg_preload_length 0
		.amdhsa_user_sgpr_kernarg_preload_offset 0
		.amdhsa_user_sgpr_private_segment_size 0
		.amdhsa_wavefront_size32 1
		.amdhsa_uses_dynamic_stack 0
		.amdhsa_enable_private_segment 0
		.amdhsa_system_sgpr_workgroup_id_x 1
		.amdhsa_system_sgpr_workgroup_id_y 0
		.amdhsa_system_sgpr_workgroup_id_z 0
		.amdhsa_system_sgpr_workgroup_info 0
		.amdhsa_system_vgpr_workitem_id 0
		.amdhsa_next_free_vgpr 1
		.amdhsa_next_free_sgpr 1
		.amdhsa_named_barrier_count 0
		.amdhsa_reserve_vcc 0
		.amdhsa_float_round_mode_32 0
		.amdhsa_float_round_mode_16_64 0
		.amdhsa_float_denorm_mode_32 3
		.amdhsa_float_denorm_mode_16_64 3
		.amdhsa_fp16_overflow 0
		.amdhsa_memory_ordered 1
		.amdhsa_forward_progress 1
		.amdhsa_inst_pref_size 0
		.amdhsa_round_robin_scheduling 0
		.amdhsa_exception_fp_ieee_invalid_op 0
		.amdhsa_exception_fp_denorm_src 0
		.amdhsa_exception_fp_ieee_div_zero 0
		.amdhsa_exception_fp_ieee_overflow 0
		.amdhsa_exception_fp_ieee_underflow 0
		.amdhsa_exception_fp_ieee_inexact 0
		.amdhsa_exception_int_div_zero 0
	.end_amdhsa_kernel
	.section	.text._ZN7rocprim17ROCPRIM_400000_NS6detail17trampoline_kernelINS0_14default_configENS1_27scan_by_key_config_selectorIijEEZZNS1_16scan_by_key_implILNS1_25lookback_scan_determinismE0ELb0ES3_N6thrust23THRUST_200600_302600_NS6detail15normal_iteratorINS9_10device_ptrIiEEEENSB_INSC_IjEEEENSB_INSC_IfEEEEjNS9_4plusIvEENS9_8equal_toIvEEjEE10hipError_tPvRmT2_T3_T4_T5_mT6_T7_P12ihipStream_tbENKUlT_T0_E_clISt17integral_constantIbLb0EES12_IbLb1EEEEDaSY_SZ_EUlSY_E_NS1_11comp_targetILNS1_3genE5ELNS1_11target_archE942ELNS1_3gpuE9ELNS1_3repE0EEENS1_30default_config_static_selectorELNS0_4arch9wavefront6targetE0EEEvT1_,"axG",@progbits,_ZN7rocprim17ROCPRIM_400000_NS6detail17trampoline_kernelINS0_14default_configENS1_27scan_by_key_config_selectorIijEEZZNS1_16scan_by_key_implILNS1_25lookback_scan_determinismE0ELb0ES3_N6thrust23THRUST_200600_302600_NS6detail15normal_iteratorINS9_10device_ptrIiEEEENSB_INSC_IjEEEENSB_INSC_IfEEEEjNS9_4plusIvEENS9_8equal_toIvEEjEE10hipError_tPvRmT2_T3_T4_T5_mT6_T7_P12ihipStream_tbENKUlT_T0_E_clISt17integral_constantIbLb0EES12_IbLb1EEEEDaSY_SZ_EUlSY_E_NS1_11comp_targetILNS1_3genE5ELNS1_11target_archE942ELNS1_3gpuE9ELNS1_3repE0EEENS1_30default_config_static_selectorELNS0_4arch9wavefront6targetE0EEEvT1_,comdat
.Lfunc_end1673:
	.size	_ZN7rocprim17ROCPRIM_400000_NS6detail17trampoline_kernelINS0_14default_configENS1_27scan_by_key_config_selectorIijEEZZNS1_16scan_by_key_implILNS1_25lookback_scan_determinismE0ELb0ES3_N6thrust23THRUST_200600_302600_NS6detail15normal_iteratorINS9_10device_ptrIiEEEENSB_INSC_IjEEEENSB_INSC_IfEEEEjNS9_4plusIvEENS9_8equal_toIvEEjEE10hipError_tPvRmT2_T3_T4_T5_mT6_T7_P12ihipStream_tbENKUlT_T0_E_clISt17integral_constantIbLb0EES12_IbLb1EEEEDaSY_SZ_EUlSY_E_NS1_11comp_targetILNS1_3genE5ELNS1_11target_archE942ELNS1_3gpuE9ELNS1_3repE0EEENS1_30default_config_static_selectorELNS0_4arch9wavefront6targetE0EEEvT1_, .Lfunc_end1673-_ZN7rocprim17ROCPRIM_400000_NS6detail17trampoline_kernelINS0_14default_configENS1_27scan_by_key_config_selectorIijEEZZNS1_16scan_by_key_implILNS1_25lookback_scan_determinismE0ELb0ES3_N6thrust23THRUST_200600_302600_NS6detail15normal_iteratorINS9_10device_ptrIiEEEENSB_INSC_IjEEEENSB_INSC_IfEEEEjNS9_4plusIvEENS9_8equal_toIvEEjEE10hipError_tPvRmT2_T3_T4_T5_mT6_T7_P12ihipStream_tbENKUlT_T0_E_clISt17integral_constantIbLb0EES12_IbLb1EEEEDaSY_SZ_EUlSY_E_NS1_11comp_targetILNS1_3genE5ELNS1_11target_archE942ELNS1_3gpuE9ELNS1_3repE0EEENS1_30default_config_static_selectorELNS0_4arch9wavefront6targetE0EEEvT1_
                                        ; -- End function
	.set _ZN7rocprim17ROCPRIM_400000_NS6detail17trampoline_kernelINS0_14default_configENS1_27scan_by_key_config_selectorIijEEZZNS1_16scan_by_key_implILNS1_25lookback_scan_determinismE0ELb0ES3_N6thrust23THRUST_200600_302600_NS6detail15normal_iteratorINS9_10device_ptrIiEEEENSB_INSC_IjEEEENSB_INSC_IfEEEEjNS9_4plusIvEENS9_8equal_toIvEEjEE10hipError_tPvRmT2_T3_T4_T5_mT6_T7_P12ihipStream_tbENKUlT_T0_E_clISt17integral_constantIbLb0EES12_IbLb1EEEEDaSY_SZ_EUlSY_E_NS1_11comp_targetILNS1_3genE5ELNS1_11target_archE942ELNS1_3gpuE9ELNS1_3repE0EEENS1_30default_config_static_selectorELNS0_4arch9wavefront6targetE0EEEvT1_.num_vgpr, 0
	.set _ZN7rocprim17ROCPRIM_400000_NS6detail17trampoline_kernelINS0_14default_configENS1_27scan_by_key_config_selectorIijEEZZNS1_16scan_by_key_implILNS1_25lookback_scan_determinismE0ELb0ES3_N6thrust23THRUST_200600_302600_NS6detail15normal_iteratorINS9_10device_ptrIiEEEENSB_INSC_IjEEEENSB_INSC_IfEEEEjNS9_4plusIvEENS9_8equal_toIvEEjEE10hipError_tPvRmT2_T3_T4_T5_mT6_T7_P12ihipStream_tbENKUlT_T0_E_clISt17integral_constantIbLb0EES12_IbLb1EEEEDaSY_SZ_EUlSY_E_NS1_11comp_targetILNS1_3genE5ELNS1_11target_archE942ELNS1_3gpuE9ELNS1_3repE0EEENS1_30default_config_static_selectorELNS0_4arch9wavefront6targetE0EEEvT1_.num_agpr, 0
	.set _ZN7rocprim17ROCPRIM_400000_NS6detail17trampoline_kernelINS0_14default_configENS1_27scan_by_key_config_selectorIijEEZZNS1_16scan_by_key_implILNS1_25lookback_scan_determinismE0ELb0ES3_N6thrust23THRUST_200600_302600_NS6detail15normal_iteratorINS9_10device_ptrIiEEEENSB_INSC_IjEEEENSB_INSC_IfEEEEjNS9_4plusIvEENS9_8equal_toIvEEjEE10hipError_tPvRmT2_T3_T4_T5_mT6_T7_P12ihipStream_tbENKUlT_T0_E_clISt17integral_constantIbLb0EES12_IbLb1EEEEDaSY_SZ_EUlSY_E_NS1_11comp_targetILNS1_3genE5ELNS1_11target_archE942ELNS1_3gpuE9ELNS1_3repE0EEENS1_30default_config_static_selectorELNS0_4arch9wavefront6targetE0EEEvT1_.numbered_sgpr, 0
	.set _ZN7rocprim17ROCPRIM_400000_NS6detail17trampoline_kernelINS0_14default_configENS1_27scan_by_key_config_selectorIijEEZZNS1_16scan_by_key_implILNS1_25lookback_scan_determinismE0ELb0ES3_N6thrust23THRUST_200600_302600_NS6detail15normal_iteratorINS9_10device_ptrIiEEEENSB_INSC_IjEEEENSB_INSC_IfEEEEjNS9_4plusIvEENS9_8equal_toIvEEjEE10hipError_tPvRmT2_T3_T4_T5_mT6_T7_P12ihipStream_tbENKUlT_T0_E_clISt17integral_constantIbLb0EES12_IbLb1EEEEDaSY_SZ_EUlSY_E_NS1_11comp_targetILNS1_3genE5ELNS1_11target_archE942ELNS1_3gpuE9ELNS1_3repE0EEENS1_30default_config_static_selectorELNS0_4arch9wavefront6targetE0EEEvT1_.num_named_barrier, 0
	.set _ZN7rocprim17ROCPRIM_400000_NS6detail17trampoline_kernelINS0_14default_configENS1_27scan_by_key_config_selectorIijEEZZNS1_16scan_by_key_implILNS1_25lookback_scan_determinismE0ELb0ES3_N6thrust23THRUST_200600_302600_NS6detail15normal_iteratorINS9_10device_ptrIiEEEENSB_INSC_IjEEEENSB_INSC_IfEEEEjNS9_4plusIvEENS9_8equal_toIvEEjEE10hipError_tPvRmT2_T3_T4_T5_mT6_T7_P12ihipStream_tbENKUlT_T0_E_clISt17integral_constantIbLb0EES12_IbLb1EEEEDaSY_SZ_EUlSY_E_NS1_11comp_targetILNS1_3genE5ELNS1_11target_archE942ELNS1_3gpuE9ELNS1_3repE0EEENS1_30default_config_static_selectorELNS0_4arch9wavefront6targetE0EEEvT1_.private_seg_size, 0
	.set _ZN7rocprim17ROCPRIM_400000_NS6detail17trampoline_kernelINS0_14default_configENS1_27scan_by_key_config_selectorIijEEZZNS1_16scan_by_key_implILNS1_25lookback_scan_determinismE0ELb0ES3_N6thrust23THRUST_200600_302600_NS6detail15normal_iteratorINS9_10device_ptrIiEEEENSB_INSC_IjEEEENSB_INSC_IfEEEEjNS9_4plusIvEENS9_8equal_toIvEEjEE10hipError_tPvRmT2_T3_T4_T5_mT6_T7_P12ihipStream_tbENKUlT_T0_E_clISt17integral_constantIbLb0EES12_IbLb1EEEEDaSY_SZ_EUlSY_E_NS1_11comp_targetILNS1_3genE5ELNS1_11target_archE942ELNS1_3gpuE9ELNS1_3repE0EEENS1_30default_config_static_selectorELNS0_4arch9wavefront6targetE0EEEvT1_.uses_vcc, 0
	.set _ZN7rocprim17ROCPRIM_400000_NS6detail17trampoline_kernelINS0_14default_configENS1_27scan_by_key_config_selectorIijEEZZNS1_16scan_by_key_implILNS1_25lookback_scan_determinismE0ELb0ES3_N6thrust23THRUST_200600_302600_NS6detail15normal_iteratorINS9_10device_ptrIiEEEENSB_INSC_IjEEEENSB_INSC_IfEEEEjNS9_4plusIvEENS9_8equal_toIvEEjEE10hipError_tPvRmT2_T3_T4_T5_mT6_T7_P12ihipStream_tbENKUlT_T0_E_clISt17integral_constantIbLb0EES12_IbLb1EEEEDaSY_SZ_EUlSY_E_NS1_11comp_targetILNS1_3genE5ELNS1_11target_archE942ELNS1_3gpuE9ELNS1_3repE0EEENS1_30default_config_static_selectorELNS0_4arch9wavefront6targetE0EEEvT1_.uses_flat_scratch, 0
	.set _ZN7rocprim17ROCPRIM_400000_NS6detail17trampoline_kernelINS0_14default_configENS1_27scan_by_key_config_selectorIijEEZZNS1_16scan_by_key_implILNS1_25lookback_scan_determinismE0ELb0ES3_N6thrust23THRUST_200600_302600_NS6detail15normal_iteratorINS9_10device_ptrIiEEEENSB_INSC_IjEEEENSB_INSC_IfEEEEjNS9_4plusIvEENS9_8equal_toIvEEjEE10hipError_tPvRmT2_T3_T4_T5_mT6_T7_P12ihipStream_tbENKUlT_T0_E_clISt17integral_constantIbLb0EES12_IbLb1EEEEDaSY_SZ_EUlSY_E_NS1_11comp_targetILNS1_3genE5ELNS1_11target_archE942ELNS1_3gpuE9ELNS1_3repE0EEENS1_30default_config_static_selectorELNS0_4arch9wavefront6targetE0EEEvT1_.has_dyn_sized_stack, 0
	.set _ZN7rocprim17ROCPRIM_400000_NS6detail17trampoline_kernelINS0_14default_configENS1_27scan_by_key_config_selectorIijEEZZNS1_16scan_by_key_implILNS1_25lookback_scan_determinismE0ELb0ES3_N6thrust23THRUST_200600_302600_NS6detail15normal_iteratorINS9_10device_ptrIiEEEENSB_INSC_IjEEEENSB_INSC_IfEEEEjNS9_4plusIvEENS9_8equal_toIvEEjEE10hipError_tPvRmT2_T3_T4_T5_mT6_T7_P12ihipStream_tbENKUlT_T0_E_clISt17integral_constantIbLb0EES12_IbLb1EEEEDaSY_SZ_EUlSY_E_NS1_11comp_targetILNS1_3genE5ELNS1_11target_archE942ELNS1_3gpuE9ELNS1_3repE0EEENS1_30default_config_static_selectorELNS0_4arch9wavefront6targetE0EEEvT1_.has_recursion, 0
	.set _ZN7rocprim17ROCPRIM_400000_NS6detail17trampoline_kernelINS0_14default_configENS1_27scan_by_key_config_selectorIijEEZZNS1_16scan_by_key_implILNS1_25lookback_scan_determinismE0ELb0ES3_N6thrust23THRUST_200600_302600_NS6detail15normal_iteratorINS9_10device_ptrIiEEEENSB_INSC_IjEEEENSB_INSC_IfEEEEjNS9_4plusIvEENS9_8equal_toIvEEjEE10hipError_tPvRmT2_T3_T4_T5_mT6_T7_P12ihipStream_tbENKUlT_T0_E_clISt17integral_constantIbLb0EES12_IbLb1EEEEDaSY_SZ_EUlSY_E_NS1_11comp_targetILNS1_3genE5ELNS1_11target_archE942ELNS1_3gpuE9ELNS1_3repE0EEENS1_30default_config_static_selectorELNS0_4arch9wavefront6targetE0EEEvT1_.has_indirect_call, 0
	.section	.AMDGPU.csdata,"",@progbits
; Kernel info:
; codeLenInByte = 0
; TotalNumSgprs: 0
; NumVgprs: 0
; ScratchSize: 0
; MemoryBound: 0
; FloatMode: 240
; IeeeMode: 1
; LDSByteSize: 0 bytes/workgroup (compile time only)
; SGPRBlocks: 0
; VGPRBlocks: 0
; NumSGPRsForWavesPerEU: 1
; NumVGPRsForWavesPerEU: 1
; NamedBarCnt: 0
; Occupancy: 16
; WaveLimiterHint : 0
; COMPUTE_PGM_RSRC2:SCRATCH_EN: 0
; COMPUTE_PGM_RSRC2:USER_SGPR: 2
; COMPUTE_PGM_RSRC2:TRAP_HANDLER: 0
; COMPUTE_PGM_RSRC2:TGID_X_EN: 1
; COMPUTE_PGM_RSRC2:TGID_Y_EN: 0
; COMPUTE_PGM_RSRC2:TGID_Z_EN: 0
; COMPUTE_PGM_RSRC2:TIDIG_COMP_CNT: 0
	.section	.text._ZN7rocprim17ROCPRIM_400000_NS6detail17trampoline_kernelINS0_14default_configENS1_27scan_by_key_config_selectorIijEEZZNS1_16scan_by_key_implILNS1_25lookback_scan_determinismE0ELb0ES3_N6thrust23THRUST_200600_302600_NS6detail15normal_iteratorINS9_10device_ptrIiEEEENSB_INSC_IjEEEENSB_INSC_IfEEEEjNS9_4plusIvEENS9_8equal_toIvEEjEE10hipError_tPvRmT2_T3_T4_T5_mT6_T7_P12ihipStream_tbENKUlT_T0_E_clISt17integral_constantIbLb0EES12_IbLb1EEEEDaSY_SZ_EUlSY_E_NS1_11comp_targetILNS1_3genE4ELNS1_11target_archE910ELNS1_3gpuE8ELNS1_3repE0EEENS1_30default_config_static_selectorELNS0_4arch9wavefront6targetE0EEEvT1_,"axG",@progbits,_ZN7rocprim17ROCPRIM_400000_NS6detail17trampoline_kernelINS0_14default_configENS1_27scan_by_key_config_selectorIijEEZZNS1_16scan_by_key_implILNS1_25lookback_scan_determinismE0ELb0ES3_N6thrust23THRUST_200600_302600_NS6detail15normal_iteratorINS9_10device_ptrIiEEEENSB_INSC_IjEEEENSB_INSC_IfEEEEjNS9_4plusIvEENS9_8equal_toIvEEjEE10hipError_tPvRmT2_T3_T4_T5_mT6_T7_P12ihipStream_tbENKUlT_T0_E_clISt17integral_constantIbLb0EES12_IbLb1EEEEDaSY_SZ_EUlSY_E_NS1_11comp_targetILNS1_3genE4ELNS1_11target_archE910ELNS1_3gpuE8ELNS1_3repE0EEENS1_30default_config_static_selectorELNS0_4arch9wavefront6targetE0EEEvT1_,comdat
	.protected	_ZN7rocprim17ROCPRIM_400000_NS6detail17trampoline_kernelINS0_14default_configENS1_27scan_by_key_config_selectorIijEEZZNS1_16scan_by_key_implILNS1_25lookback_scan_determinismE0ELb0ES3_N6thrust23THRUST_200600_302600_NS6detail15normal_iteratorINS9_10device_ptrIiEEEENSB_INSC_IjEEEENSB_INSC_IfEEEEjNS9_4plusIvEENS9_8equal_toIvEEjEE10hipError_tPvRmT2_T3_T4_T5_mT6_T7_P12ihipStream_tbENKUlT_T0_E_clISt17integral_constantIbLb0EES12_IbLb1EEEEDaSY_SZ_EUlSY_E_NS1_11comp_targetILNS1_3genE4ELNS1_11target_archE910ELNS1_3gpuE8ELNS1_3repE0EEENS1_30default_config_static_selectorELNS0_4arch9wavefront6targetE0EEEvT1_ ; -- Begin function _ZN7rocprim17ROCPRIM_400000_NS6detail17trampoline_kernelINS0_14default_configENS1_27scan_by_key_config_selectorIijEEZZNS1_16scan_by_key_implILNS1_25lookback_scan_determinismE0ELb0ES3_N6thrust23THRUST_200600_302600_NS6detail15normal_iteratorINS9_10device_ptrIiEEEENSB_INSC_IjEEEENSB_INSC_IfEEEEjNS9_4plusIvEENS9_8equal_toIvEEjEE10hipError_tPvRmT2_T3_T4_T5_mT6_T7_P12ihipStream_tbENKUlT_T0_E_clISt17integral_constantIbLb0EES12_IbLb1EEEEDaSY_SZ_EUlSY_E_NS1_11comp_targetILNS1_3genE4ELNS1_11target_archE910ELNS1_3gpuE8ELNS1_3repE0EEENS1_30default_config_static_selectorELNS0_4arch9wavefront6targetE0EEEvT1_
	.globl	_ZN7rocprim17ROCPRIM_400000_NS6detail17trampoline_kernelINS0_14default_configENS1_27scan_by_key_config_selectorIijEEZZNS1_16scan_by_key_implILNS1_25lookback_scan_determinismE0ELb0ES3_N6thrust23THRUST_200600_302600_NS6detail15normal_iteratorINS9_10device_ptrIiEEEENSB_INSC_IjEEEENSB_INSC_IfEEEEjNS9_4plusIvEENS9_8equal_toIvEEjEE10hipError_tPvRmT2_T3_T4_T5_mT6_T7_P12ihipStream_tbENKUlT_T0_E_clISt17integral_constantIbLb0EES12_IbLb1EEEEDaSY_SZ_EUlSY_E_NS1_11comp_targetILNS1_3genE4ELNS1_11target_archE910ELNS1_3gpuE8ELNS1_3repE0EEENS1_30default_config_static_selectorELNS0_4arch9wavefront6targetE0EEEvT1_
	.p2align	8
	.type	_ZN7rocprim17ROCPRIM_400000_NS6detail17trampoline_kernelINS0_14default_configENS1_27scan_by_key_config_selectorIijEEZZNS1_16scan_by_key_implILNS1_25lookback_scan_determinismE0ELb0ES3_N6thrust23THRUST_200600_302600_NS6detail15normal_iteratorINS9_10device_ptrIiEEEENSB_INSC_IjEEEENSB_INSC_IfEEEEjNS9_4plusIvEENS9_8equal_toIvEEjEE10hipError_tPvRmT2_T3_T4_T5_mT6_T7_P12ihipStream_tbENKUlT_T0_E_clISt17integral_constantIbLb0EES12_IbLb1EEEEDaSY_SZ_EUlSY_E_NS1_11comp_targetILNS1_3genE4ELNS1_11target_archE910ELNS1_3gpuE8ELNS1_3repE0EEENS1_30default_config_static_selectorELNS0_4arch9wavefront6targetE0EEEvT1_,@function
_ZN7rocprim17ROCPRIM_400000_NS6detail17trampoline_kernelINS0_14default_configENS1_27scan_by_key_config_selectorIijEEZZNS1_16scan_by_key_implILNS1_25lookback_scan_determinismE0ELb0ES3_N6thrust23THRUST_200600_302600_NS6detail15normal_iteratorINS9_10device_ptrIiEEEENSB_INSC_IjEEEENSB_INSC_IfEEEEjNS9_4plusIvEENS9_8equal_toIvEEjEE10hipError_tPvRmT2_T3_T4_T5_mT6_T7_P12ihipStream_tbENKUlT_T0_E_clISt17integral_constantIbLb0EES12_IbLb1EEEEDaSY_SZ_EUlSY_E_NS1_11comp_targetILNS1_3genE4ELNS1_11target_archE910ELNS1_3gpuE8ELNS1_3repE0EEENS1_30default_config_static_selectorELNS0_4arch9wavefront6targetE0EEEvT1_: ; @_ZN7rocprim17ROCPRIM_400000_NS6detail17trampoline_kernelINS0_14default_configENS1_27scan_by_key_config_selectorIijEEZZNS1_16scan_by_key_implILNS1_25lookback_scan_determinismE0ELb0ES3_N6thrust23THRUST_200600_302600_NS6detail15normal_iteratorINS9_10device_ptrIiEEEENSB_INSC_IjEEEENSB_INSC_IfEEEEjNS9_4plusIvEENS9_8equal_toIvEEjEE10hipError_tPvRmT2_T3_T4_T5_mT6_T7_P12ihipStream_tbENKUlT_T0_E_clISt17integral_constantIbLb0EES12_IbLb1EEEEDaSY_SZ_EUlSY_E_NS1_11comp_targetILNS1_3genE4ELNS1_11target_archE910ELNS1_3gpuE8ELNS1_3repE0EEENS1_30default_config_static_selectorELNS0_4arch9wavefront6targetE0EEEvT1_
; %bb.0:
	.section	.rodata,"a",@progbits
	.p2align	6, 0x0
	.amdhsa_kernel _ZN7rocprim17ROCPRIM_400000_NS6detail17trampoline_kernelINS0_14default_configENS1_27scan_by_key_config_selectorIijEEZZNS1_16scan_by_key_implILNS1_25lookback_scan_determinismE0ELb0ES3_N6thrust23THRUST_200600_302600_NS6detail15normal_iteratorINS9_10device_ptrIiEEEENSB_INSC_IjEEEENSB_INSC_IfEEEEjNS9_4plusIvEENS9_8equal_toIvEEjEE10hipError_tPvRmT2_T3_T4_T5_mT6_T7_P12ihipStream_tbENKUlT_T0_E_clISt17integral_constantIbLb0EES12_IbLb1EEEEDaSY_SZ_EUlSY_E_NS1_11comp_targetILNS1_3genE4ELNS1_11target_archE910ELNS1_3gpuE8ELNS1_3repE0EEENS1_30default_config_static_selectorELNS0_4arch9wavefront6targetE0EEEvT1_
		.amdhsa_group_segment_fixed_size 0
		.amdhsa_private_segment_fixed_size 0
		.amdhsa_kernarg_size 112
		.amdhsa_user_sgpr_count 2
		.amdhsa_user_sgpr_dispatch_ptr 0
		.amdhsa_user_sgpr_queue_ptr 0
		.amdhsa_user_sgpr_kernarg_segment_ptr 1
		.amdhsa_user_sgpr_dispatch_id 0
		.amdhsa_user_sgpr_kernarg_preload_length 0
		.amdhsa_user_sgpr_kernarg_preload_offset 0
		.amdhsa_user_sgpr_private_segment_size 0
		.amdhsa_wavefront_size32 1
		.amdhsa_uses_dynamic_stack 0
		.amdhsa_enable_private_segment 0
		.amdhsa_system_sgpr_workgroup_id_x 1
		.amdhsa_system_sgpr_workgroup_id_y 0
		.amdhsa_system_sgpr_workgroup_id_z 0
		.amdhsa_system_sgpr_workgroup_info 0
		.amdhsa_system_vgpr_workitem_id 0
		.amdhsa_next_free_vgpr 1
		.amdhsa_next_free_sgpr 1
		.amdhsa_named_barrier_count 0
		.amdhsa_reserve_vcc 0
		.amdhsa_float_round_mode_32 0
		.amdhsa_float_round_mode_16_64 0
		.amdhsa_float_denorm_mode_32 3
		.amdhsa_float_denorm_mode_16_64 3
		.amdhsa_fp16_overflow 0
		.amdhsa_memory_ordered 1
		.amdhsa_forward_progress 1
		.amdhsa_inst_pref_size 0
		.amdhsa_round_robin_scheduling 0
		.amdhsa_exception_fp_ieee_invalid_op 0
		.amdhsa_exception_fp_denorm_src 0
		.amdhsa_exception_fp_ieee_div_zero 0
		.amdhsa_exception_fp_ieee_overflow 0
		.amdhsa_exception_fp_ieee_underflow 0
		.amdhsa_exception_fp_ieee_inexact 0
		.amdhsa_exception_int_div_zero 0
	.end_amdhsa_kernel
	.section	.text._ZN7rocprim17ROCPRIM_400000_NS6detail17trampoline_kernelINS0_14default_configENS1_27scan_by_key_config_selectorIijEEZZNS1_16scan_by_key_implILNS1_25lookback_scan_determinismE0ELb0ES3_N6thrust23THRUST_200600_302600_NS6detail15normal_iteratorINS9_10device_ptrIiEEEENSB_INSC_IjEEEENSB_INSC_IfEEEEjNS9_4plusIvEENS9_8equal_toIvEEjEE10hipError_tPvRmT2_T3_T4_T5_mT6_T7_P12ihipStream_tbENKUlT_T0_E_clISt17integral_constantIbLb0EES12_IbLb1EEEEDaSY_SZ_EUlSY_E_NS1_11comp_targetILNS1_3genE4ELNS1_11target_archE910ELNS1_3gpuE8ELNS1_3repE0EEENS1_30default_config_static_selectorELNS0_4arch9wavefront6targetE0EEEvT1_,"axG",@progbits,_ZN7rocprim17ROCPRIM_400000_NS6detail17trampoline_kernelINS0_14default_configENS1_27scan_by_key_config_selectorIijEEZZNS1_16scan_by_key_implILNS1_25lookback_scan_determinismE0ELb0ES3_N6thrust23THRUST_200600_302600_NS6detail15normal_iteratorINS9_10device_ptrIiEEEENSB_INSC_IjEEEENSB_INSC_IfEEEEjNS9_4plusIvEENS9_8equal_toIvEEjEE10hipError_tPvRmT2_T3_T4_T5_mT6_T7_P12ihipStream_tbENKUlT_T0_E_clISt17integral_constantIbLb0EES12_IbLb1EEEEDaSY_SZ_EUlSY_E_NS1_11comp_targetILNS1_3genE4ELNS1_11target_archE910ELNS1_3gpuE8ELNS1_3repE0EEENS1_30default_config_static_selectorELNS0_4arch9wavefront6targetE0EEEvT1_,comdat
.Lfunc_end1674:
	.size	_ZN7rocprim17ROCPRIM_400000_NS6detail17trampoline_kernelINS0_14default_configENS1_27scan_by_key_config_selectorIijEEZZNS1_16scan_by_key_implILNS1_25lookback_scan_determinismE0ELb0ES3_N6thrust23THRUST_200600_302600_NS6detail15normal_iteratorINS9_10device_ptrIiEEEENSB_INSC_IjEEEENSB_INSC_IfEEEEjNS9_4plusIvEENS9_8equal_toIvEEjEE10hipError_tPvRmT2_T3_T4_T5_mT6_T7_P12ihipStream_tbENKUlT_T0_E_clISt17integral_constantIbLb0EES12_IbLb1EEEEDaSY_SZ_EUlSY_E_NS1_11comp_targetILNS1_3genE4ELNS1_11target_archE910ELNS1_3gpuE8ELNS1_3repE0EEENS1_30default_config_static_selectorELNS0_4arch9wavefront6targetE0EEEvT1_, .Lfunc_end1674-_ZN7rocprim17ROCPRIM_400000_NS6detail17trampoline_kernelINS0_14default_configENS1_27scan_by_key_config_selectorIijEEZZNS1_16scan_by_key_implILNS1_25lookback_scan_determinismE0ELb0ES3_N6thrust23THRUST_200600_302600_NS6detail15normal_iteratorINS9_10device_ptrIiEEEENSB_INSC_IjEEEENSB_INSC_IfEEEEjNS9_4plusIvEENS9_8equal_toIvEEjEE10hipError_tPvRmT2_T3_T4_T5_mT6_T7_P12ihipStream_tbENKUlT_T0_E_clISt17integral_constantIbLb0EES12_IbLb1EEEEDaSY_SZ_EUlSY_E_NS1_11comp_targetILNS1_3genE4ELNS1_11target_archE910ELNS1_3gpuE8ELNS1_3repE0EEENS1_30default_config_static_selectorELNS0_4arch9wavefront6targetE0EEEvT1_
                                        ; -- End function
	.set _ZN7rocprim17ROCPRIM_400000_NS6detail17trampoline_kernelINS0_14default_configENS1_27scan_by_key_config_selectorIijEEZZNS1_16scan_by_key_implILNS1_25lookback_scan_determinismE0ELb0ES3_N6thrust23THRUST_200600_302600_NS6detail15normal_iteratorINS9_10device_ptrIiEEEENSB_INSC_IjEEEENSB_INSC_IfEEEEjNS9_4plusIvEENS9_8equal_toIvEEjEE10hipError_tPvRmT2_T3_T4_T5_mT6_T7_P12ihipStream_tbENKUlT_T0_E_clISt17integral_constantIbLb0EES12_IbLb1EEEEDaSY_SZ_EUlSY_E_NS1_11comp_targetILNS1_3genE4ELNS1_11target_archE910ELNS1_3gpuE8ELNS1_3repE0EEENS1_30default_config_static_selectorELNS0_4arch9wavefront6targetE0EEEvT1_.num_vgpr, 0
	.set _ZN7rocprim17ROCPRIM_400000_NS6detail17trampoline_kernelINS0_14default_configENS1_27scan_by_key_config_selectorIijEEZZNS1_16scan_by_key_implILNS1_25lookback_scan_determinismE0ELb0ES3_N6thrust23THRUST_200600_302600_NS6detail15normal_iteratorINS9_10device_ptrIiEEEENSB_INSC_IjEEEENSB_INSC_IfEEEEjNS9_4plusIvEENS9_8equal_toIvEEjEE10hipError_tPvRmT2_T3_T4_T5_mT6_T7_P12ihipStream_tbENKUlT_T0_E_clISt17integral_constantIbLb0EES12_IbLb1EEEEDaSY_SZ_EUlSY_E_NS1_11comp_targetILNS1_3genE4ELNS1_11target_archE910ELNS1_3gpuE8ELNS1_3repE0EEENS1_30default_config_static_selectorELNS0_4arch9wavefront6targetE0EEEvT1_.num_agpr, 0
	.set _ZN7rocprim17ROCPRIM_400000_NS6detail17trampoline_kernelINS0_14default_configENS1_27scan_by_key_config_selectorIijEEZZNS1_16scan_by_key_implILNS1_25lookback_scan_determinismE0ELb0ES3_N6thrust23THRUST_200600_302600_NS6detail15normal_iteratorINS9_10device_ptrIiEEEENSB_INSC_IjEEEENSB_INSC_IfEEEEjNS9_4plusIvEENS9_8equal_toIvEEjEE10hipError_tPvRmT2_T3_T4_T5_mT6_T7_P12ihipStream_tbENKUlT_T0_E_clISt17integral_constantIbLb0EES12_IbLb1EEEEDaSY_SZ_EUlSY_E_NS1_11comp_targetILNS1_3genE4ELNS1_11target_archE910ELNS1_3gpuE8ELNS1_3repE0EEENS1_30default_config_static_selectorELNS0_4arch9wavefront6targetE0EEEvT1_.numbered_sgpr, 0
	.set _ZN7rocprim17ROCPRIM_400000_NS6detail17trampoline_kernelINS0_14default_configENS1_27scan_by_key_config_selectorIijEEZZNS1_16scan_by_key_implILNS1_25lookback_scan_determinismE0ELb0ES3_N6thrust23THRUST_200600_302600_NS6detail15normal_iteratorINS9_10device_ptrIiEEEENSB_INSC_IjEEEENSB_INSC_IfEEEEjNS9_4plusIvEENS9_8equal_toIvEEjEE10hipError_tPvRmT2_T3_T4_T5_mT6_T7_P12ihipStream_tbENKUlT_T0_E_clISt17integral_constantIbLb0EES12_IbLb1EEEEDaSY_SZ_EUlSY_E_NS1_11comp_targetILNS1_3genE4ELNS1_11target_archE910ELNS1_3gpuE8ELNS1_3repE0EEENS1_30default_config_static_selectorELNS0_4arch9wavefront6targetE0EEEvT1_.num_named_barrier, 0
	.set _ZN7rocprim17ROCPRIM_400000_NS6detail17trampoline_kernelINS0_14default_configENS1_27scan_by_key_config_selectorIijEEZZNS1_16scan_by_key_implILNS1_25lookback_scan_determinismE0ELb0ES3_N6thrust23THRUST_200600_302600_NS6detail15normal_iteratorINS9_10device_ptrIiEEEENSB_INSC_IjEEEENSB_INSC_IfEEEEjNS9_4plusIvEENS9_8equal_toIvEEjEE10hipError_tPvRmT2_T3_T4_T5_mT6_T7_P12ihipStream_tbENKUlT_T0_E_clISt17integral_constantIbLb0EES12_IbLb1EEEEDaSY_SZ_EUlSY_E_NS1_11comp_targetILNS1_3genE4ELNS1_11target_archE910ELNS1_3gpuE8ELNS1_3repE0EEENS1_30default_config_static_selectorELNS0_4arch9wavefront6targetE0EEEvT1_.private_seg_size, 0
	.set _ZN7rocprim17ROCPRIM_400000_NS6detail17trampoline_kernelINS0_14default_configENS1_27scan_by_key_config_selectorIijEEZZNS1_16scan_by_key_implILNS1_25lookback_scan_determinismE0ELb0ES3_N6thrust23THRUST_200600_302600_NS6detail15normal_iteratorINS9_10device_ptrIiEEEENSB_INSC_IjEEEENSB_INSC_IfEEEEjNS9_4plusIvEENS9_8equal_toIvEEjEE10hipError_tPvRmT2_T3_T4_T5_mT6_T7_P12ihipStream_tbENKUlT_T0_E_clISt17integral_constantIbLb0EES12_IbLb1EEEEDaSY_SZ_EUlSY_E_NS1_11comp_targetILNS1_3genE4ELNS1_11target_archE910ELNS1_3gpuE8ELNS1_3repE0EEENS1_30default_config_static_selectorELNS0_4arch9wavefront6targetE0EEEvT1_.uses_vcc, 0
	.set _ZN7rocprim17ROCPRIM_400000_NS6detail17trampoline_kernelINS0_14default_configENS1_27scan_by_key_config_selectorIijEEZZNS1_16scan_by_key_implILNS1_25lookback_scan_determinismE0ELb0ES3_N6thrust23THRUST_200600_302600_NS6detail15normal_iteratorINS9_10device_ptrIiEEEENSB_INSC_IjEEEENSB_INSC_IfEEEEjNS9_4plusIvEENS9_8equal_toIvEEjEE10hipError_tPvRmT2_T3_T4_T5_mT6_T7_P12ihipStream_tbENKUlT_T0_E_clISt17integral_constantIbLb0EES12_IbLb1EEEEDaSY_SZ_EUlSY_E_NS1_11comp_targetILNS1_3genE4ELNS1_11target_archE910ELNS1_3gpuE8ELNS1_3repE0EEENS1_30default_config_static_selectorELNS0_4arch9wavefront6targetE0EEEvT1_.uses_flat_scratch, 0
	.set _ZN7rocprim17ROCPRIM_400000_NS6detail17trampoline_kernelINS0_14default_configENS1_27scan_by_key_config_selectorIijEEZZNS1_16scan_by_key_implILNS1_25lookback_scan_determinismE0ELb0ES3_N6thrust23THRUST_200600_302600_NS6detail15normal_iteratorINS9_10device_ptrIiEEEENSB_INSC_IjEEEENSB_INSC_IfEEEEjNS9_4plusIvEENS9_8equal_toIvEEjEE10hipError_tPvRmT2_T3_T4_T5_mT6_T7_P12ihipStream_tbENKUlT_T0_E_clISt17integral_constantIbLb0EES12_IbLb1EEEEDaSY_SZ_EUlSY_E_NS1_11comp_targetILNS1_3genE4ELNS1_11target_archE910ELNS1_3gpuE8ELNS1_3repE0EEENS1_30default_config_static_selectorELNS0_4arch9wavefront6targetE0EEEvT1_.has_dyn_sized_stack, 0
	.set _ZN7rocprim17ROCPRIM_400000_NS6detail17trampoline_kernelINS0_14default_configENS1_27scan_by_key_config_selectorIijEEZZNS1_16scan_by_key_implILNS1_25lookback_scan_determinismE0ELb0ES3_N6thrust23THRUST_200600_302600_NS6detail15normal_iteratorINS9_10device_ptrIiEEEENSB_INSC_IjEEEENSB_INSC_IfEEEEjNS9_4plusIvEENS9_8equal_toIvEEjEE10hipError_tPvRmT2_T3_T4_T5_mT6_T7_P12ihipStream_tbENKUlT_T0_E_clISt17integral_constantIbLb0EES12_IbLb1EEEEDaSY_SZ_EUlSY_E_NS1_11comp_targetILNS1_3genE4ELNS1_11target_archE910ELNS1_3gpuE8ELNS1_3repE0EEENS1_30default_config_static_selectorELNS0_4arch9wavefront6targetE0EEEvT1_.has_recursion, 0
	.set _ZN7rocprim17ROCPRIM_400000_NS6detail17trampoline_kernelINS0_14default_configENS1_27scan_by_key_config_selectorIijEEZZNS1_16scan_by_key_implILNS1_25lookback_scan_determinismE0ELb0ES3_N6thrust23THRUST_200600_302600_NS6detail15normal_iteratorINS9_10device_ptrIiEEEENSB_INSC_IjEEEENSB_INSC_IfEEEEjNS9_4plusIvEENS9_8equal_toIvEEjEE10hipError_tPvRmT2_T3_T4_T5_mT6_T7_P12ihipStream_tbENKUlT_T0_E_clISt17integral_constantIbLb0EES12_IbLb1EEEEDaSY_SZ_EUlSY_E_NS1_11comp_targetILNS1_3genE4ELNS1_11target_archE910ELNS1_3gpuE8ELNS1_3repE0EEENS1_30default_config_static_selectorELNS0_4arch9wavefront6targetE0EEEvT1_.has_indirect_call, 0
	.section	.AMDGPU.csdata,"",@progbits
; Kernel info:
; codeLenInByte = 0
; TotalNumSgprs: 0
; NumVgprs: 0
; ScratchSize: 0
; MemoryBound: 0
; FloatMode: 240
; IeeeMode: 1
; LDSByteSize: 0 bytes/workgroup (compile time only)
; SGPRBlocks: 0
; VGPRBlocks: 0
; NumSGPRsForWavesPerEU: 1
; NumVGPRsForWavesPerEU: 1
; NamedBarCnt: 0
; Occupancy: 16
; WaveLimiterHint : 0
; COMPUTE_PGM_RSRC2:SCRATCH_EN: 0
; COMPUTE_PGM_RSRC2:USER_SGPR: 2
; COMPUTE_PGM_RSRC2:TRAP_HANDLER: 0
; COMPUTE_PGM_RSRC2:TGID_X_EN: 1
; COMPUTE_PGM_RSRC2:TGID_Y_EN: 0
; COMPUTE_PGM_RSRC2:TGID_Z_EN: 0
; COMPUTE_PGM_RSRC2:TIDIG_COMP_CNT: 0
	.section	.text._ZN7rocprim17ROCPRIM_400000_NS6detail17trampoline_kernelINS0_14default_configENS1_27scan_by_key_config_selectorIijEEZZNS1_16scan_by_key_implILNS1_25lookback_scan_determinismE0ELb0ES3_N6thrust23THRUST_200600_302600_NS6detail15normal_iteratorINS9_10device_ptrIiEEEENSB_INSC_IjEEEENSB_INSC_IfEEEEjNS9_4plusIvEENS9_8equal_toIvEEjEE10hipError_tPvRmT2_T3_T4_T5_mT6_T7_P12ihipStream_tbENKUlT_T0_E_clISt17integral_constantIbLb0EES12_IbLb1EEEEDaSY_SZ_EUlSY_E_NS1_11comp_targetILNS1_3genE3ELNS1_11target_archE908ELNS1_3gpuE7ELNS1_3repE0EEENS1_30default_config_static_selectorELNS0_4arch9wavefront6targetE0EEEvT1_,"axG",@progbits,_ZN7rocprim17ROCPRIM_400000_NS6detail17trampoline_kernelINS0_14default_configENS1_27scan_by_key_config_selectorIijEEZZNS1_16scan_by_key_implILNS1_25lookback_scan_determinismE0ELb0ES3_N6thrust23THRUST_200600_302600_NS6detail15normal_iteratorINS9_10device_ptrIiEEEENSB_INSC_IjEEEENSB_INSC_IfEEEEjNS9_4plusIvEENS9_8equal_toIvEEjEE10hipError_tPvRmT2_T3_T4_T5_mT6_T7_P12ihipStream_tbENKUlT_T0_E_clISt17integral_constantIbLb0EES12_IbLb1EEEEDaSY_SZ_EUlSY_E_NS1_11comp_targetILNS1_3genE3ELNS1_11target_archE908ELNS1_3gpuE7ELNS1_3repE0EEENS1_30default_config_static_selectorELNS0_4arch9wavefront6targetE0EEEvT1_,comdat
	.protected	_ZN7rocprim17ROCPRIM_400000_NS6detail17trampoline_kernelINS0_14default_configENS1_27scan_by_key_config_selectorIijEEZZNS1_16scan_by_key_implILNS1_25lookback_scan_determinismE0ELb0ES3_N6thrust23THRUST_200600_302600_NS6detail15normal_iteratorINS9_10device_ptrIiEEEENSB_INSC_IjEEEENSB_INSC_IfEEEEjNS9_4plusIvEENS9_8equal_toIvEEjEE10hipError_tPvRmT2_T3_T4_T5_mT6_T7_P12ihipStream_tbENKUlT_T0_E_clISt17integral_constantIbLb0EES12_IbLb1EEEEDaSY_SZ_EUlSY_E_NS1_11comp_targetILNS1_3genE3ELNS1_11target_archE908ELNS1_3gpuE7ELNS1_3repE0EEENS1_30default_config_static_selectorELNS0_4arch9wavefront6targetE0EEEvT1_ ; -- Begin function _ZN7rocprim17ROCPRIM_400000_NS6detail17trampoline_kernelINS0_14default_configENS1_27scan_by_key_config_selectorIijEEZZNS1_16scan_by_key_implILNS1_25lookback_scan_determinismE0ELb0ES3_N6thrust23THRUST_200600_302600_NS6detail15normal_iteratorINS9_10device_ptrIiEEEENSB_INSC_IjEEEENSB_INSC_IfEEEEjNS9_4plusIvEENS9_8equal_toIvEEjEE10hipError_tPvRmT2_T3_T4_T5_mT6_T7_P12ihipStream_tbENKUlT_T0_E_clISt17integral_constantIbLb0EES12_IbLb1EEEEDaSY_SZ_EUlSY_E_NS1_11comp_targetILNS1_3genE3ELNS1_11target_archE908ELNS1_3gpuE7ELNS1_3repE0EEENS1_30default_config_static_selectorELNS0_4arch9wavefront6targetE0EEEvT1_
	.globl	_ZN7rocprim17ROCPRIM_400000_NS6detail17trampoline_kernelINS0_14default_configENS1_27scan_by_key_config_selectorIijEEZZNS1_16scan_by_key_implILNS1_25lookback_scan_determinismE0ELb0ES3_N6thrust23THRUST_200600_302600_NS6detail15normal_iteratorINS9_10device_ptrIiEEEENSB_INSC_IjEEEENSB_INSC_IfEEEEjNS9_4plusIvEENS9_8equal_toIvEEjEE10hipError_tPvRmT2_T3_T4_T5_mT6_T7_P12ihipStream_tbENKUlT_T0_E_clISt17integral_constantIbLb0EES12_IbLb1EEEEDaSY_SZ_EUlSY_E_NS1_11comp_targetILNS1_3genE3ELNS1_11target_archE908ELNS1_3gpuE7ELNS1_3repE0EEENS1_30default_config_static_selectorELNS0_4arch9wavefront6targetE0EEEvT1_
	.p2align	8
	.type	_ZN7rocprim17ROCPRIM_400000_NS6detail17trampoline_kernelINS0_14default_configENS1_27scan_by_key_config_selectorIijEEZZNS1_16scan_by_key_implILNS1_25lookback_scan_determinismE0ELb0ES3_N6thrust23THRUST_200600_302600_NS6detail15normal_iteratorINS9_10device_ptrIiEEEENSB_INSC_IjEEEENSB_INSC_IfEEEEjNS9_4plusIvEENS9_8equal_toIvEEjEE10hipError_tPvRmT2_T3_T4_T5_mT6_T7_P12ihipStream_tbENKUlT_T0_E_clISt17integral_constantIbLb0EES12_IbLb1EEEEDaSY_SZ_EUlSY_E_NS1_11comp_targetILNS1_3genE3ELNS1_11target_archE908ELNS1_3gpuE7ELNS1_3repE0EEENS1_30default_config_static_selectorELNS0_4arch9wavefront6targetE0EEEvT1_,@function
_ZN7rocprim17ROCPRIM_400000_NS6detail17trampoline_kernelINS0_14default_configENS1_27scan_by_key_config_selectorIijEEZZNS1_16scan_by_key_implILNS1_25lookback_scan_determinismE0ELb0ES3_N6thrust23THRUST_200600_302600_NS6detail15normal_iteratorINS9_10device_ptrIiEEEENSB_INSC_IjEEEENSB_INSC_IfEEEEjNS9_4plusIvEENS9_8equal_toIvEEjEE10hipError_tPvRmT2_T3_T4_T5_mT6_T7_P12ihipStream_tbENKUlT_T0_E_clISt17integral_constantIbLb0EES12_IbLb1EEEEDaSY_SZ_EUlSY_E_NS1_11comp_targetILNS1_3genE3ELNS1_11target_archE908ELNS1_3gpuE7ELNS1_3repE0EEENS1_30default_config_static_selectorELNS0_4arch9wavefront6targetE0EEEvT1_: ; @_ZN7rocprim17ROCPRIM_400000_NS6detail17trampoline_kernelINS0_14default_configENS1_27scan_by_key_config_selectorIijEEZZNS1_16scan_by_key_implILNS1_25lookback_scan_determinismE0ELb0ES3_N6thrust23THRUST_200600_302600_NS6detail15normal_iteratorINS9_10device_ptrIiEEEENSB_INSC_IjEEEENSB_INSC_IfEEEEjNS9_4plusIvEENS9_8equal_toIvEEjEE10hipError_tPvRmT2_T3_T4_T5_mT6_T7_P12ihipStream_tbENKUlT_T0_E_clISt17integral_constantIbLb0EES12_IbLb1EEEEDaSY_SZ_EUlSY_E_NS1_11comp_targetILNS1_3genE3ELNS1_11target_archE908ELNS1_3gpuE7ELNS1_3repE0EEENS1_30default_config_static_selectorELNS0_4arch9wavefront6targetE0EEEvT1_
; %bb.0:
	.section	.rodata,"a",@progbits
	.p2align	6, 0x0
	.amdhsa_kernel _ZN7rocprim17ROCPRIM_400000_NS6detail17trampoline_kernelINS0_14default_configENS1_27scan_by_key_config_selectorIijEEZZNS1_16scan_by_key_implILNS1_25lookback_scan_determinismE0ELb0ES3_N6thrust23THRUST_200600_302600_NS6detail15normal_iteratorINS9_10device_ptrIiEEEENSB_INSC_IjEEEENSB_INSC_IfEEEEjNS9_4plusIvEENS9_8equal_toIvEEjEE10hipError_tPvRmT2_T3_T4_T5_mT6_T7_P12ihipStream_tbENKUlT_T0_E_clISt17integral_constantIbLb0EES12_IbLb1EEEEDaSY_SZ_EUlSY_E_NS1_11comp_targetILNS1_3genE3ELNS1_11target_archE908ELNS1_3gpuE7ELNS1_3repE0EEENS1_30default_config_static_selectorELNS0_4arch9wavefront6targetE0EEEvT1_
		.amdhsa_group_segment_fixed_size 0
		.amdhsa_private_segment_fixed_size 0
		.amdhsa_kernarg_size 112
		.amdhsa_user_sgpr_count 2
		.amdhsa_user_sgpr_dispatch_ptr 0
		.amdhsa_user_sgpr_queue_ptr 0
		.amdhsa_user_sgpr_kernarg_segment_ptr 1
		.amdhsa_user_sgpr_dispatch_id 0
		.amdhsa_user_sgpr_kernarg_preload_length 0
		.amdhsa_user_sgpr_kernarg_preload_offset 0
		.amdhsa_user_sgpr_private_segment_size 0
		.amdhsa_wavefront_size32 1
		.amdhsa_uses_dynamic_stack 0
		.amdhsa_enable_private_segment 0
		.amdhsa_system_sgpr_workgroup_id_x 1
		.amdhsa_system_sgpr_workgroup_id_y 0
		.amdhsa_system_sgpr_workgroup_id_z 0
		.amdhsa_system_sgpr_workgroup_info 0
		.amdhsa_system_vgpr_workitem_id 0
		.amdhsa_next_free_vgpr 1
		.amdhsa_next_free_sgpr 1
		.amdhsa_named_barrier_count 0
		.amdhsa_reserve_vcc 0
		.amdhsa_float_round_mode_32 0
		.amdhsa_float_round_mode_16_64 0
		.amdhsa_float_denorm_mode_32 3
		.amdhsa_float_denorm_mode_16_64 3
		.amdhsa_fp16_overflow 0
		.amdhsa_memory_ordered 1
		.amdhsa_forward_progress 1
		.amdhsa_inst_pref_size 0
		.amdhsa_round_robin_scheduling 0
		.amdhsa_exception_fp_ieee_invalid_op 0
		.amdhsa_exception_fp_denorm_src 0
		.amdhsa_exception_fp_ieee_div_zero 0
		.amdhsa_exception_fp_ieee_overflow 0
		.amdhsa_exception_fp_ieee_underflow 0
		.amdhsa_exception_fp_ieee_inexact 0
		.amdhsa_exception_int_div_zero 0
	.end_amdhsa_kernel
	.section	.text._ZN7rocprim17ROCPRIM_400000_NS6detail17trampoline_kernelINS0_14default_configENS1_27scan_by_key_config_selectorIijEEZZNS1_16scan_by_key_implILNS1_25lookback_scan_determinismE0ELb0ES3_N6thrust23THRUST_200600_302600_NS6detail15normal_iteratorINS9_10device_ptrIiEEEENSB_INSC_IjEEEENSB_INSC_IfEEEEjNS9_4plusIvEENS9_8equal_toIvEEjEE10hipError_tPvRmT2_T3_T4_T5_mT6_T7_P12ihipStream_tbENKUlT_T0_E_clISt17integral_constantIbLb0EES12_IbLb1EEEEDaSY_SZ_EUlSY_E_NS1_11comp_targetILNS1_3genE3ELNS1_11target_archE908ELNS1_3gpuE7ELNS1_3repE0EEENS1_30default_config_static_selectorELNS0_4arch9wavefront6targetE0EEEvT1_,"axG",@progbits,_ZN7rocprim17ROCPRIM_400000_NS6detail17trampoline_kernelINS0_14default_configENS1_27scan_by_key_config_selectorIijEEZZNS1_16scan_by_key_implILNS1_25lookback_scan_determinismE0ELb0ES3_N6thrust23THRUST_200600_302600_NS6detail15normal_iteratorINS9_10device_ptrIiEEEENSB_INSC_IjEEEENSB_INSC_IfEEEEjNS9_4plusIvEENS9_8equal_toIvEEjEE10hipError_tPvRmT2_T3_T4_T5_mT6_T7_P12ihipStream_tbENKUlT_T0_E_clISt17integral_constantIbLb0EES12_IbLb1EEEEDaSY_SZ_EUlSY_E_NS1_11comp_targetILNS1_3genE3ELNS1_11target_archE908ELNS1_3gpuE7ELNS1_3repE0EEENS1_30default_config_static_selectorELNS0_4arch9wavefront6targetE0EEEvT1_,comdat
.Lfunc_end1675:
	.size	_ZN7rocprim17ROCPRIM_400000_NS6detail17trampoline_kernelINS0_14default_configENS1_27scan_by_key_config_selectorIijEEZZNS1_16scan_by_key_implILNS1_25lookback_scan_determinismE0ELb0ES3_N6thrust23THRUST_200600_302600_NS6detail15normal_iteratorINS9_10device_ptrIiEEEENSB_INSC_IjEEEENSB_INSC_IfEEEEjNS9_4plusIvEENS9_8equal_toIvEEjEE10hipError_tPvRmT2_T3_T4_T5_mT6_T7_P12ihipStream_tbENKUlT_T0_E_clISt17integral_constantIbLb0EES12_IbLb1EEEEDaSY_SZ_EUlSY_E_NS1_11comp_targetILNS1_3genE3ELNS1_11target_archE908ELNS1_3gpuE7ELNS1_3repE0EEENS1_30default_config_static_selectorELNS0_4arch9wavefront6targetE0EEEvT1_, .Lfunc_end1675-_ZN7rocprim17ROCPRIM_400000_NS6detail17trampoline_kernelINS0_14default_configENS1_27scan_by_key_config_selectorIijEEZZNS1_16scan_by_key_implILNS1_25lookback_scan_determinismE0ELb0ES3_N6thrust23THRUST_200600_302600_NS6detail15normal_iteratorINS9_10device_ptrIiEEEENSB_INSC_IjEEEENSB_INSC_IfEEEEjNS9_4plusIvEENS9_8equal_toIvEEjEE10hipError_tPvRmT2_T3_T4_T5_mT6_T7_P12ihipStream_tbENKUlT_T0_E_clISt17integral_constantIbLb0EES12_IbLb1EEEEDaSY_SZ_EUlSY_E_NS1_11comp_targetILNS1_3genE3ELNS1_11target_archE908ELNS1_3gpuE7ELNS1_3repE0EEENS1_30default_config_static_selectorELNS0_4arch9wavefront6targetE0EEEvT1_
                                        ; -- End function
	.set _ZN7rocprim17ROCPRIM_400000_NS6detail17trampoline_kernelINS0_14default_configENS1_27scan_by_key_config_selectorIijEEZZNS1_16scan_by_key_implILNS1_25lookback_scan_determinismE0ELb0ES3_N6thrust23THRUST_200600_302600_NS6detail15normal_iteratorINS9_10device_ptrIiEEEENSB_INSC_IjEEEENSB_INSC_IfEEEEjNS9_4plusIvEENS9_8equal_toIvEEjEE10hipError_tPvRmT2_T3_T4_T5_mT6_T7_P12ihipStream_tbENKUlT_T0_E_clISt17integral_constantIbLb0EES12_IbLb1EEEEDaSY_SZ_EUlSY_E_NS1_11comp_targetILNS1_3genE3ELNS1_11target_archE908ELNS1_3gpuE7ELNS1_3repE0EEENS1_30default_config_static_selectorELNS0_4arch9wavefront6targetE0EEEvT1_.num_vgpr, 0
	.set _ZN7rocprim17ROCPRIM_400000_NS6detail17trampoline_kernelINS0_14default_configENS1_27scan_by_key_config_selectorIijEEZZNS1_16scan_by_key_implILNS1_25lookback_scan_determinismE0ELb0ES3_N6thrust23THRUST_200600_302600_NS6detail15normal_iteratorINS9_10device_ptrIiEEEENSB_INSC_IjEEEENSB_INSC_IfEEEEjNS9_4plusIvEENS9_8equal_toIvEEjEE10hipError_tPvRmT2_T3_T4_T5_mT6_T7_P12ihipStream_tbENKUlT_T0_E_clISt17integral_constantIbLb0EES12_IbLb1EEEEDaSY_SZ_EUlSY_E_NS1_11comp_targetILNS1_3genE3ELNS1_11target_archE908ELNS1_3gpuE7ELNS1_3repE0EEENS1_30default_config_static_selectorELNS0_4arch9wavefront6targetE0EEEvT1_.num_agpr, 0
	.set _ZN7rocprim17ROCPRIM_400000_NS6detail17trampoline_kernelINS0_14default_configENS1_27scan_by_key_config_selectorIijEEZZNS1_16scan_by_key_implILNS1_25lookback_scan_determinismE0ELb0ES3_N6thrust23THRUST_200600_302600_NS6detail15normal_iteratorINS9_10device_ptrIiEEEENSB_INSC_IjEEEENSB_INSC_IfEEEEjNS9_4plusIvEENS9_8equal_toIvEEjEE10hipError_tPvRmT2_T3_T4_T5_mT6_T7_P12ihipStream_tbENKUlT_T0_E_clISt17integral_constantIbLb0EES12_IbLb1EEEEDaSY_SZ_EUlSY_E_NS1_11comp_targetILNS1_3genE3ELNS1_11target_archE908ELNS1_3gpuE7ELNS1_3repE0EEENS1_30default_config_static_selectorELNS0_4arch9wavefront6targetE0EEEvT1_.numbered_sgpr, 0
	.set _ZN7rocprim17ROCPRIM_400000_NS6detail17trampoline_kernelINS0_14default_configENS1_27scan_by_key_config_selectorIijEEZZNS1_16scan_by_key_implILNS1_25lookback_scan_determinismE0ELb0ES3_N6thrust23THRUST_200600_302600_NS6detail15normal_iteratorINS9_10device_ptrIiEEEENSB_INSC_IjEEEENSB_INSC_IfEEEEjNS9_4plusIvEENS9_8equal_toIvEEjEE10hipError_tPvRmT2_T3_T4_T5_mT6_T7_P12ihipStream_tbENKUlT_T0_E_clISt17integral_constantIbLb0EES12_IbLb1EEEEDaSY_SZ_EUlSY_E_NS1_11comp_targetILNS1_3genE3ELNS1_11target_archE908ELNS1_3gpuE7ELNS1_3repE0EEENS1_30default_config_static_selectorELNS0_4arch9wavefront6targetE0EEEvT1_.num_named_barrier, 0
	.set _ZN7rocprim17ROCPRIM_400000_NS6detail17trampoline_kernelINS0_14default_configENS1_27scan_by_key_config_selectorIijEEZZNS1_16scan_by_key_implILNS1_25lookback_scan_determinismE0ELb0ES3_N6thrust23THRUST_200600_302600_NS6detail15normal_iteratorINS9_10device_ptrIiEEEENSB_INSC_IjEEEENSB_INSC_IfEEEEjNS9_4plusIvEENS9_8equal_toIvEEjEE10hipError_tPvRmT2_T3_T4_T5_mT6_T7_P12ihipStream_tbENKUlT_T0_E_clISt17integral_constantIbLb0EES12_IbLb1EEEEDaSY_SZ_EUlSY_E_NS1_11comp_targetILNS1_3genE3ELNS1_11target_archE908ELNS1_3gpuE7ELNS1_3repE0EEENS1_30default_config_static_selectorELNS0_4arch9wavefront6targetE0EEEvT1_.private_seg_size, 0
	.set _ZN7rocprim17ROCPRIM_400000_NS6detail17trampoline_kernelINS0_14default_configENS1_27scan_by_key_config_selectorIijEEZZNS1_16scan_by_key_implILNS1_25lookback_scan_determinismE0ELb0ES3_N6thrust23THRUST_200600_302600_NS6detail15normal_iteratorINS9_10device_ptrIiEEEENSB_INSC_IjEEEENSB_INSC_IfEEEEjNS9_4plusIvEENS9_8equal_toIvEEjEE10hipError_tPvRmT2_T3_T4_T5_mT6_T7_P12ihipStream_tbENKUlT_T0_E_clISt17integral_constantIbLb0EES12_IbLb1EEEEDaSY_SZ_EUlSY_E_NS1_11comp_targetILNS1_3genE3ELNS1_11target_archE908ELNS1_3gpuE7ELNS1_3repE0EEENS1_30default_config_static_selectorELNS0_4arch9wavefront6targetE0EEEvT1_.uses_vcc, 0
	.set _ZN7rocprim17ROCPRIM_400000_NS6detail17trampoline_kernelINS0_14default_configENS1_27scan_by_key_config_selectorIijEEZZNS1_16scan_by_key_implILNS1_25lookback_scan_determinismE0ELb0ES3_N6thrust23THRUST_200600_302600_NS6detail15normal_iteratorINS9_10device_ptrIiEEEENSB_INSC_IjEEEENSB_INSC_IfEEEEjNS9_4plusIvEENS9_8equal_toIvEEjEE10hipError_tPvRmT2_T3_T4_T5_mT6_T7_P12ihipStream_tbENKUlT_T0_E_clISt17integral_constantIbLb0EES12_IbLb1EEEEDaSY_SZ_EUlSY_E_NS1_11comp_targetILNS1_3genE3ELNS1_11target_archE908ELNS1_3gpuE7ELNS1_3repE0EEENS1_30default_config_static_selectorELNS0_4arch9wavefront6targetE0EEEvT1_.uses_flat_scratch, 0
	.set _ZN7rocprim17ROCPRIM_400000_NS6detail17trampoline_kernelINS0_14default_configENS1_27scan_by_key_config_selectorIijEEZZNS1_16scan_by_key_implILNS1_25lookback_scan_determinismE0ELb0ES3_N6thrust23THRUST_200600_302600_NS6detail15normal_iteratorINS9_10device_ptrIiEEEENSB_INSC_IjEEEENSB_INSC_IfEEEEjNS9_4plusIvEENS9_8equal_toIvEEjEE10hipError_tPvRmT2_T3_T4_T5_mT6_T7_P12ihipStream_tbENKUlT_T0_E_clISt17integral_constantIbLb0EES12_IbLb1EEEEDaSY_SZ_EUlSY_E_NS1_11comp_targetILNS1_3genE3ELNS1_11target_archE908ELNS1_3gpuE7ELNS1_3repE0EEENS1_30default_config_static_selectorELNS0_4arch9wavefront6targetE0EEEvT1_.has_dyn_sized_stack, 0
	.set _ZN7rocprim17ROCPRIM_400000_NS6detail17trampoline_kernelINS0_14default_configENS1_27scan_by_key_config_selectorIijEEZZNS1_16scan_by_key_implILNS1_25lookback_scan_determinismE0ELb0ES3_N6thrust23THRUST_200600_302600_NS6detail15normal_iteratorINS9_10device_ptrIiEEEENSB_INSC_IjEEEENSB_INSC_IfEEEEjNS9_4plusIvEENS9_8equal_toIvEEjEE10hipError_tPvRmT2_T3_T4_T5_mT6_T7_P12ihipStream_tbENKUlT_T0_E_clISt17integral_constantIbLb0EES12_IbLb1EEEEDaSY_SZ_EUlSY_E_NS1_11comp_targetILNS1_3genE3ELNS1_11target_archE908ELNS1_3gpuE7ELNS1_3repE0EEENS1_30default_config_static_selectorELNS0_4arch9wavefront6targetE0EEEvT1_.has_recursion, 0
	.set _ZN7rocprim17ROCPRIM_400000_NS6detail17trampoline_kernelINS0_14default_configENS1_27scan_by_key_config_selectorIijEEZZNS1_16scan_by_key_implILNS1_25lookback_scan_determinismE0ELb0ES3_N6thrust23THRUST_200600_302600_NS6detail15normal_iteratorINS9_10device_ptrIiEEEENSB_INSC_IjEEEENSB_INSC_IfEEEEjNS9_4plusIvEENS9_8equal_toIvEEjEE10hipError_tPvRmT2_T3_T4_T5_mT6_T7_P12ihipStream_tbENKUlT_T0_E_clISt17integral_constantIbLb0EES12_IbLb1EEEEDaSY_SZ_EUlSY_E_NS1_11comp_targetILNS1_3genE3ELNS1_11target_archE908ELNS1_3gpuE7ELNS1_3repE0EEENS1_30default_config_static_selectorELNS0_4arch9wavefront6targetE0EEEvT1_.has_indirect_call, 0
	.section	.AMDGPU.csdata,"",@progbits
; Kernel info:
; codeLenInByte = 0
; TotalNumSgprs: 0
; NumVgprs: 0
; ScratchSize: 0
; MemoryBound: 0
; FloatMode: 240
; IeeeMode: 1
; LDSByteSize: 0 bytes/workgroup (compile time only)
; SGPRBlocks: 0
; VGPRBlocks: 0
; NumSGPRsForWavesPerEU: 1
; NumVGPRsForWavesPerEU: 1
; NamedBarCnt: 0
; Occupancy: 16
; WaveLimiterHint : 0
; COMPUTE_PGM_RSRC2:SCRATCH_EN: 0
; COMPUTE_PGM_RSRC2:USER_SGPR: 2
; COMPUTE_PGM_RSRC2:TRAP_HANDLER: 0
; COMPUTE_PGM_RSRC2:TGID_X_EN: 1
; COMPUTE_PGM_RSRC2:TGID_Y_EN: 0
; COMPUTE_PGM_RSRC2:TGID_Z_EN: 0
; COMPUTE_PGM_RSRC2:TIDIG_COMP_CNT: 0
	.section	.text._ZN7rocprim17ROCPRIM_400000_NS6detail17trampoline_kernelINS0_14default_configENS1_27scan_by_key_config_selectorIijEEZZNS1_16scan_by_key_implILNS1_25lookback_scan_determinismE0ELb0ES3_N6thrust23THRUST_200600_302600_NS6detail15normal_iteratorINS9_10device_ptrIiEEEENSB_INSC_IjEEEENSB_INSC_IfEEEEjNS9_4plusIvEENS9_8equal_toIvEEjEE10hipError_tPvRmT2_T3_T4_T5_mT6_T7_P12ihipStream_tbENKUlT_T0_E_clISt17integral_constantIbLb0EES12_IbLb1EEEEDaSY_SZ_EUlSY_E_NS1_11comp_targetILNS1_3genE2ELNS1_11target_archE906ELNS1_3gpuE6ELNS1_3repE0EEENS1_30default_config_static_selectorELNS0_4arch9wavefront6targetE0EEEvT1_,"axG",@progbits,_ZN7rocprim17ROCPRIM_400000_NS6detail17trampoline_kernelINS0_14default_configENS1_27scan_by_key_config_selectorIijEEZZNS1_16scan_by_key_implILNS1_25lookback_scan_determinismE0ELb0ES3_N6thrust23THRUST_200600_302600_NS6detail15normal_iteratorINS9_10device_ptrIiEEEENSB_INSC_IjEEEENSB_INSC_IfEEEEjNS9_4plusIvEENS9_8equal_toIvEEjEE10hipError_tPvRmT2_T3_T4_T5_mT6_T7_P12ihipStream_tbENKUlT_T0_E_clISt17integral_constantIbLb0EES12_IbLb1EEEEDaSY_SZ_EUlSY_E_NS1_11comp_targetILNS1_3genE2ELNS1_11target_archE906ELNS1_3gpuE6ELNS1_3repE0EEENS1_30default_config_static_selectorELNS0_4arch9wavefront6targetE0EEEvT1_,comdat
	.protected	_ZN7rocprim17ROCPRIM_400000_NS6detail17trampoline_kernelINS0_14default_configENS1_27scan_by_key_config_selectorIijEEZZNS1_16scan_by_key_implILNS1_25lookback_scan_determinismE0ELb0ES3_N6thrust23THRUST_200600_302600_NS6detail15normal_iteratorINS9_10device_ptrIiEEEENSB_INSC_IjEEEENSB_INSC_IfEEEEjNS9_4plusIvEENS9_8equal_toIvEEjEE10hipError_tPvRmT2_T3_T4_T5_mT6_T7_P12ihipStream_tbENKUlT_T0_E_clISt17integral_constantIbLb0EES12_IbLb1EEEEDaSY_SZ_EUlSY_E_NS1_11comp_targetILNS1_3genE2ELNS1_11target_archE906ELNS1_3gpuE6ELNS1_3repE0EEENS1_30default_config_static_selectorELNS0_4arch9wavefront6targetE0EEEvT1_ ; -- Begin function _ZN7rocprim17ROCPRIM_400000_NS6detail17trampoline_kernelINS0_14default_configENS1_27scan_by_key_config_selectorIijEEZZNS1_16scan_by_key_implILNS1_25lookback_scan_determinismE0ELb0ES3_N6thrust23THRUST_200600_302600_NS6detail15normal_iteratorINS9_10device_ptrIiEEEENSB_INSC_IjEEEENSB_INSC_IfEEEEjNS9_4plusIvEENS9_8equal_toIvEEjEE10hipError_tPvRmT2_T3_T4_T5_mT6_T7_P12ihipStream_tbENKUlT_T0_E_clISt17integral_constantIbLb0EES12_IbLb1EEEEDaSY_SZ_EUlSY_E_NS1_11comp_targetILNS1_3genE2ELNS1_11target_archE906ELNS1_3gpuE6ELNS1_3repE0EEENS1_30default_config_static_selectorELNS0_4arch9wavefront6targetE0EEEvT1_
	.globl	_ZN7rocprim17ROCPRIM_400000_NS6detail17trampoline_kernelINS0_14default_configENS1_27scan_by_key_config_selectorIijEEZZNS1_16scan_by_key_implILNS1_25lookback_scan_determinismE0ELb0ES3_N6thrust23THRUST_200600_302600_NS6detail15normal_iteratorINS9_10device_ptrIiEEEENSB_INSC_IjEEEENSB_INSC_IfEEEEjNS9_4plusIvEENS9_8equal_toIvEEjEE10hipError_tPvRmT2_T3_T4_T5_mT6_T7_P12ihipStream_tbENKUlT_T0_E_clISt17integral_constantIbLb0EES12_IbLb1EEEEDaSY_SZ_EUlSY_E_NS1_11comp_targetILNS1_3genE2ELNS1_11target_archE906ELNS1_3gpuE6ELNS1_3repE0EEENS1_30default_config_static_selectorELNS0_4arch9wavefront6targetE0EEEvT1_
	.p2align	8
	.type	_ZN7rocprim17ROCPRIM_400000_NS6detail17trampoline_kernelINS0_14default_configENS1_27scan_by_key_config_selectorIijEEZZNS1_16scan_by_key_implILNS1_25lookback_scan_determinismE0ELb0ES3_N6thrust23THRUST_200600_302600_NS6detail15normal_iteratorINS9_10device_ptrIiEEEENSB_INSC_IjEEEENSB_INSC_IfEEEEjNS9_4plusIvEENS9_8equal_toIvEEjEE10hipError_tPvRmT2_T3_T4_T5_mT6_T7_P12ihipStream_tbENKUlT_T0_E_clISt17integral_constantIbLb0EES12_IbLb1EEEEDaSY_SZ_EUlSY_E_NS1_11comp_targetILNS1_3genE2ELNS1_11target_archE906ELNS1_3gpuE6ELNS1_3repE0EEENS1_30default_config_static_selectorELNS0_4arch9wavefront6targetE0EEEvT1_,@function
_ZN7rocprim17ROCPRIM_400000_NS6detail17trampoline_kernelINS0_14default_configENS1_27scan_by_key_config_selectorIijEEZZNS1_16scan_by_key_implILNS1_25lookback_scan_determinismE0ELb0ES3_N6thrust23THRUST_200600_302600_NS6detail15normal_iteratorINS9_10device_ptrIiEEEENSB_INSC_IjEEEENSB_INSC_IfEEEEjNS9_4plusIvEENS9_8equal_toIvEEjEE10hipError_tPvRmT2_T3_T4_T5_mT6_T7_P12ihipStream_tbENKUlT_T0_E_clISt17integral_constantIbLb0EES12_IbLb1EEEEDaSY_SZ_EUlSY_E_NS1_11comp_targetILNS1_3genE2ELNS1_11target_archE906ELNS1_3gpuE6ELNS1_3repE0EEENS1_30default_config_static_selectorELNS0_4arch9wavefront6targetE0EEEvT1_: ; @_ZN7rocprim17ROCPRIM_400000_NS6detail17trampoline_kernelINS0_14default_configENS1_27scan_by_key_config_selectorIijEEZZNS1_16scan_by_key_implILNS1_25lookback_scan_determinismE0ELb0ES3_N6thrust23THRUST_200600_302600_NS6detail15normal_iteratorINS9_10device_ptrIiEEEENSB_INSC_IjEEEENSB_INSC_IfEEEEjNS9_4plusIvEENS9_8equal_toIvEEjEE10hipError_tPvRmT2_T3_T4_T5_mT6_T7_P12ihipStream_tbENKUlT_T0_E_clISt17integral_constantIbLb0EES12_IbLb1EEEEDaSY_SZ_EUlSY_E_NS1_11comp_targetILNS1_3genE2ELNS1_11target_archE906ELNS1_3gpuE6ELNS1_3repE0EEENS1_30default_config_static_selectorELNS0_4arch9wavefront6targetE0EEEvT1_
; %bb.0:
	.section	.rodata,"a",@progbits
	.p2align	6, 0x0
	.amdhsa_kernel _ZN7rocprim17ROCPRIM_400000_NS6detail17trampoline_kernelINS0_14default_configENS1_27scan_by_key_config_selectorIijEEZZNS1_16scan_by_key_implILNS1_25lookback_scan_determinismE0ELb0ES3_N6thrust23THRUST_200600_302600_NS6detail15normal_iteratorINS9_10device_ptrIiEEEENSB_INSC_IjEEEENSB_INSC_IfEEEEjNS9_4plusIvEENS9_8equal_toIvEEjEE10hipError_tPvRmT2_T3_T4_T5_mT6_T7_P12ihipStream_tbENKUlT_T0_E_clISt17integral_constantIbLb0EES12_IbLb1EEEEDaSY_SZ_EUlSY_E_NS1_11comp_targetILNS1_3genE2ELNS1_11target_archE906ELNS1_3gpuE6ELNS1_3repE0EEENS1_30default_config_static_selectorELNS0_4arch9wavefront6targetE0EEEvT1_
		.amdhsa_group_segment_fixed_size 0
		.amdhsa_private_segment_fixed_size 0
		.amdhsa_kernarg_size 112
		.amdhsa_user_sgpr_count 2
		.amdhsa_user_sgpr_dispatch_ptr 0
		.amdhsa_user_sgpr_queue_ptr 0
		.amdhsa_user_sgpr_kernarg_segment_ptr 1
		.amdhsa_user_sgpr_dispatch_id 0
		.amdhsa_user_sgpr_kernarg_preload_length 0
		.amdhsa_user_sgpr_kernarg_preload_offset 0
		.amdhsa_user_sgpr_private_segment_size 0
		.amdhsa_wavefront_size32 1
		.amdhsa_uses_dynamic_stack 0
		.amdhsa_enable_private_segment 0
		.amdhsa_system_sgpr_workgroup_id_x 1
		.amdhsa_system_sgpr_workgroup_id_y 0
		.amdhsa_system_sgpr_workgroup_id_z 0
		.amdhsa_system_sgpr_workgroup_info 0
		.amdhsa_system_vgpr_workitem_id 0
		.amdhsa_next_free_vgpr 1
		.amdhsa_next_free_sgpr 1
		.amdhsa_named_barrier_count 0
		.amdhsa_reserve_vcc 0
		.amdhsa_float_round_mode_32 0
		.amdhsa_float_round_mode_16_64 0
		.amdhsa_float_denorm_mode_32 3
		.amdhsa_float_denorm_mode_16_64 3
		.amdhsa_fp16_overflow 0
		.amdhsa_memory_ordered 1
		.amdhsa_forward_progress 1
		.amdhsa_inst_pref_size 0
		.amdhsa_round_robin_scheduling 0
		.amdhsa_exception_fp_ieee_invalid_op 0
		.amdhsa_exception_fp_denorm_src 0
		.amdhsa_exception_fp_ieee_div_zero 0
		.amdhsa_exception_fp_ieee_overflow 0
		.amdhsa_exception_fp_ieee_underflow 0
		.amdhsa_exception_fp_ieee_inexact 0
		.amdhsa_exception_int_div_zero 0
	.end_amdhsa_kernel
	.section	.text._ZN7rocprim17ROCPRIM_400000_NS6detail17trampoline_kernelINS0_14default_configENS1_27scan_by_key_config_selectorIijEEZZNS1_16scan_by_key_implILNS1_25lookback_scan_determinismE0ELb0ES3_N6thrust23THRUST_200600_302600_NS6detail15normal_iteratorINS9_10device_ptrIiEEEENSB_INSC_IjEEEENSB_INSC_IfEEEEjNS9_4plusIvEENS9_8equal_toIvEEjEE10hipError_tPvRmT2_T3_T4_T5_mT6_T7_P12ihipStream_tbENKUlT_T0_E_clISt17integral_constantIbLb0EES12_IbLb1EEEEDaSY_SZ_EUlSY_E_NS1_11comp_targetILNS1_3genE2ELNS1_11target_archE906ELNS1_3gpuE6ELNS1_3repE0EEENS1_30default_config_static_selectorELNS0_4arch9wavefront6targetE0EEEvT1_,"axG",@progbits,_ZN7rocprim17ROCPRIM_400000_NS6detail17trampoline_kernelINS0_14default_configENS1_27scan_by_key_config_selectorIijEEZZNS1_16scan_by_key_implILNS1_25lookback_scan_determinismE0ELb0ES3_N6thrust23THRUST_200600_302600_NS6detail15normal_iteratorINS9_10device_ptrIiEEEENSB_INSC_IjEEEENSB_INSC_IfEEEEjNS9_4plusIvEENS9_8equal_toIvEEjEE10hipError_tPvRmT2_T3_T4_T5_mT6_T7_P12ihipStream_tbENKUlT_T0_E_clISt17integral_constantIbLb0EES12_IbLb1EEEEDaSY_SZ_EUlSY_E_NS1_11comp_targetILNS1_3genE2ELNS1_11target_archE906ELNS1_3gpuE6ELNS1_3repE0EEENS1_30default_config_static_selectorELNS0_4arch9wavefront6targetE0EEEvT1_,comdat
.Lfunc_end1676:
	.size	_ZN7rocprim17ROCPRIM_400000_NS6detail17trampoline_kernelINS0_14default_configENS1_27scan_by_key_config_selectorIijEEZZNS1_16scan_by_key_implILNS1_25lookback_scan_determinismE0ELb0ES3_N6thrust23THRUST_200600_302600_NS6detail15normal_iteratorINS9_10device_ptrIiEEEENSB_INSC_IjEEEENSB_INSC_IfEEEEjNS9_4plusIvEENS9_8equal_toIvEEjEE10hipError_tPvRmT2_T3_T4_T5_mT6_T7_P12ihipStream_tbENKUlT_T0_E_clISt17integral_constantIbLb0EES12_IbLb1EEEEDaSY_SZ_EUlSY_E_NS1_11comp_targetILNS1_3genE2ELNS1_11target_archE906ELNS1_3gpuE6ELNS1_3repE0EEENS1_30default_config_static_selectorELNS0_4arch9wavefront6targetE0EEEvT1_, .Lfunc_end1676-_ZN7rocprim17ROCPRIM_400000_NS6detail17trampoline_kernelINS0_14default_configENS1_27scan_by_key_config_selectorIijEEZZNS1_16scan_by_key_implILNS1_25lookback_scan_determinismE0ELb0ES3_N6thrust23THRUST_200600_302600_NS6detail15normal_iteratorINS9_10device_ptrIiEEEENSB_INSC_IjEEEENSB_INSC_IfEEEEjNS9_4plusIvEENS9_8equal_toIvEEjEE10hipError_tPvRmT2_T3_T4_T5_mT6_T7_P12ihipStream_tbENKUlT_T0_E_clISt17integral_constantIbLb0EES12_IbLb1EEEEDaSY_SZ_EUlSY_E_NS1_11comp_targetILNS1_3genE2ELNS1_11target_archE906ELNS1_3gpuE6ELNS1_3repE0EEENS1_30default_config_static_selectorELNS0_4arch9wavefront6targetE0EEEvT1_
                                        ; -- End function
	.set _ZN7rocprim17ROCPRIM_400000_NS6detail17trampoline_kernelINS0_14default_configENS1_27scan_by_key_config_selectorIijEEZZNS1_16scan_by_key_implILNS1_25lookback_scan_determinismE0ELb0ES3_N6thrust23THRUST_200600_302600_NS6detail15normal_iteratorINS9_10device_ptrIiEEEENSB_INSC_IjEEEENSB_INSC_IfEEEEjNS9_4plusIvEENS9_8equal_toIvEEjEE10hipError_tPvRmT2_T3_T4_T5_mT6_T7_P12ihipStream_tbENKUlT_T0_E_clISt17integral_constantIbLb0EES12_IbLb1EEEEDaSY_SZ_EUlSY_E_NS1_11comp_targetILNS1_3genE2ELNS1_11target_archE906ELNS1_3gpuE6ELNS1_3repE0EEENS1_30default_config_static_selectorELNS0_4arch9wavefront6targetE0EEEvT1_.num_vgpr, 0
	.set _ZN7rocprim17ROCPRIM_400000_NS6detail17trampoline_kernelINS0_14default_configENS1_27scan_by_key_config_selectorIijEEZZNS1_16scan_by_key_implILNS1_25lookback_scan_determinismE0ELb0ES3_N6thrust23THRUST_200600_302600_NS6detail15normal_iteratorINS9_10device_ptrIiEEEENSB_INSC_IjEEEENSB_INSC_IfEEEEjNS9_4plusIvEENS9_8equal_toIvEEjEE10hipError_tPvRmT2_T3_T4_T5_mT6_T7_P12ihipStream_tbENKUlT_T0_E_clISt17integral_constantIbLb0EES12_IbLb1EEEEDaSY_SZ_EUlSY_E_NS1_11comp_targetILNS1_3genE2ELNS1_11target_archE906ELNS1_3gpuE6ELNS1_3repE0EEENS1_30default_config_static_selectorELNS0_4arch9wavefront6targetE0EEEvT1_.num_agpr, 0
	.set _ZN7rocprim17ROCPRIM_400000_NS6detail17trampoline_kernelINS0_14default_configENS1_27scan_by_key_config_selectorIijEEZZNS1_16scan_by_key_implILNS1_25lookback_scan_determinismE0ELb0ES3_N6thrust23THRUST_200600_302600_NS6detail15normal_iteratorINS9_10device_ptrIiEEEENSB_INSC_IjEEEENSB_INSC_IfEEEEjNS9_4plusIvEENS9_8equal_toIvEEjEE10hipError_tPvRmT2_T3_T4_T5_mT6_T7_P12ihipStream_tbENKUlT_T0_E_clISt17integral_constantIbLb0EES12_IbLb1EEEEDaSY_SZ_EUlSY_E_NS1_11comp_targetILNS1_3genE2ELNS1_11target_archE906ELNS1_3gpuE6ELNS1_3repE0EEENS1_30default_config_static_selectorELNS0_4arch9wavefront6targetE0EEEvT1_.numbered_sgpr, 0
	.set _ZN7rocprim17ROCPRIM_400000_NS6detail17trampoline_kernelINS0_14default_configENS1_27scan_by_key_config_selectorIijEEZZNS1_16scan_by_key_implILNS1_25lookback_scan_determinismE0ELb0ES3_N6thrust23THRUST_200600_302600_NS6detail15normal_iteratorINS9_10device_ptrIiEEEENSB_INSC_IjEEEENSB_INSC_IfEEEEjNS9_4plusIvEENS9_8equal_toIvEEjEE10hipError_tPvRmT2_T3_T4_T5_mT6_T7_P12ihipStream_tbENKUlT_T0_E_clISt17integral_constantIbLb0EES12_IbLb1EEEEDaSY_SZ_EUlSY_E_NS1_11comp_targetILNS1_3genE2ELNS1_11target_archE906ELNS1_3gpuE6ELNS1_3repE0EEENS1_30default_config_static_selectorELNS0_4arch9wavefront6targetE0EEEvT1_.num_named_barrier, 0
	.set _ZN7rocprim17ROCPRIM_400000_NS6detail17trampoline_kernelINS0_14default_configENS1_27scan_by_key_config_selectorIijEEZZNS1_16scan_by_key_implILNS1_25lookback_scan_determinismE0ELb0ES3_N6thrust23THRUST_200600_302600_NS6detail15normal_iteratorINS9_10device_ptrIiEEEENSB_INSC_IjEEEENSB_INSC_IfEEEEjNS9_4plusIvEENS9_8equal_toIvEEjEE10hipError_tPvRmT2_T3_T4_T5_mT6_T7_P12ihipStream_tbENKUlT_T0_E_clISt17integral_constantIbLb0EES12_IbLb1EEEEDaSY_SZ_EUlSY_E_NS1_11comp_targetILNS1_3genE2ELNS1_11target_archE906ELNS1_3gpuE6ELNS1_3repE0EEENS1_30default_config_static_selectorELNS0_4arch9wavefront6targetE0EEEvT1_.private_seg_size, 0
	.set _ZN7rocprim17ROCPRIM_400000_NS6detail17trampoline_kernelINS0_14default_configENS1_27scan_by_key_config_selectorIijEEZZNS1_16scan_by_key_implILNS1_25lookback_scan_determinismE0ELb0ES3_N6thrust23THRUST_200600_302600_NS6detail15normal_iteratorINS9_10device_ptrIiEEEENSB_INSC_IjEEEENSB_INSC_IfEEEEjNS9_4plusIvEENS9_8equal_toIvEEjEE10hipError_tPvRmT2_T3_T4_T5_mT6_T7_P12ihipStream_tbENKUlT_T0_E_clISt17integral_constantIbLb0EES12_IbLb1EEEEDaSY_SZ_EUlSY_E_NS1_11comp_targetILNS1_3genE2ELNS1_11target_archE906ELNS1_3gpuE6ELNS1_3repE0EEENS1_30default_config_static_selectorELNS0_4arch9wavefront6targetE0EEEvT1_.uses_vcc, 0
	.set _ZN7rocprim17ROCPRIM_400000_NS6detail17trampoline_kernelINS0_14default_configENS1_27scan_by_key_config_selectorIijEEZZNS1_16scan_by_key_implILNS1_25lookback_scan_determinismE0ELb0ES3_N6thrust23THRUST_200600_302600_NS6detail15normal_iteratorINS9_10device_ptrIiEEEENSB_INSC_IjEEEENSB_INSC_IfEEEEjNS9_4plusIvEENS9_8equal_toIvEEjEE10hipError_tPvRmT2_T3_T4_T5_mT6_T7_P12ihipStream_tbENKUlT_T0_E_clISt17integral_constantIbLb0EES12_IbLb1EEEEDaSY_SZ_EUlSY_E_NS1_11comp_targetILNS1_3genE2ELNS1_11target_archE906ELNS1_3gpuE6ELNS1_3repE0EEENS1_30default_config_static_selectorELNS0_4arch9wavefront6targetE0EEEvT1_.uses_flat_scratch, 0
	.set _ZN7rocprim17ROCPRIM_400000_NS6detail17trampoline_kernelINS0_14default_configENS1_27scan_by_key_config_selectorIijEEZZNS1_16scan_by_key_implILNS1_25lookback_scan_determinismE0ELb0ES3_N6thrust23THRUST_200600_302600_NS6detail15normal_iteratorINS9_10device_ptrIiEEEENSB_INSC_IjEEEENSB_INSC_IfEEEEjNS9_4plusIvEENS9_8equal_toIvEEjEE10hipError_tPvRmT2_T3_T4_T5_mT6_T7_P12ihipStream_tbENKUlT_T0_E_clISt17integral_constantIbLb0EES12_IbLb1EEEEDaSY_SZ_EUlSY_E_NS1_11comp_targetILNS1_3genE2ELNS1_11target_archE906ELNS1_3gpuE6ELNS1_3repE0EEENS1_30default_config_static_selectorELNS0_4arch9wavefront6targetE0EEEvT1_.has_dyn_sized_stack, 0
	.set _ZN7rocprim17ROCPRIM_400000_NS6detail17trampoline_kernelINS0_14default_configENS1_27scan_by_key_config_selectorIijEEZZNS1_16scan_by_key_implILNS1_25lookback_scan_determinismE0ELb0ES3_N6thrust23THRUST_200600_302600_NS6detail15normal_iteratorINS9_10device_ptrIiEEEENSB_INSC_IjEEEENSB_INSC_IfEEEEjNS9_4plusIvEENS9_8equal_toIvEEjEE10hipError_tPvRmT2_T3_T4_T5_mT6_T7_P12ihipStream_tbENKUlT_T0_E_clISt17integral_constantIbLb0EES12_IbLb1EEEEDaSY_SZ_EUlSY_E_NS1_11comp_targetILNS1_3genE2ELNS1_11target_archE906ELNS1_3gpuE6ELNS1_3repE0EEENS1_30default_config_static_selectorELNS0_4arch9wavefront6targetE0EEEvT1_.has_recursion, 0
	.set _ZN7rocprim17ROCPRIM_400000_NS6detail17trampoline_kernelINS0_14default_configENS1_27scan_by_key_config_selectorIijEEZZNS1_16scan_by_key_implILNS1_25lookback_scan_determinismE0ELb0ES3_N6thrust23THRUST_200600_302600_NS6detail15normal_iteratorINS9_10device_ptrIiEEEENSB_INSC_IjEEEENSB_INSC_IfEEEEjNS9_4plusIvEENS9_8equal_toIvEEjEE10hipError_tPvRmT2_T3_T4_T5_mT6_T7_P12ihipStream_tbENKUlT_T0_E_clISt17integral_constantIbLb0EES12_IbLb1EEEEDaSY_SZ_EUlSY_E_NS1_11comp_targetILNS1_3genE2ELNS1_11target_archE906ELNS1_3gpuE6ELNS1_3repE0EEENS1_30default_config_static_selectorELNS0_4arch9wavefront6targetE0EEEvT1_.has_indirect_call, 0
	.section	.AMDGPU.csdata,"",@progbits
; Kernel info:
; codeLenInByte = 0
; TotalNumSgprs: 0
; NumVgprs: 0
; ScratchSize: 0
; MemoryBound: 0
; FloatMode: 240
; IeeeMode: 1
; LDSByteSize: 0 bytes/workgroup (compile time only)
; SGPRBlocks: 0
; VGPRBlocks: 0
; NumSGPRsForWavesPerEU: 1
; NumVGPRsForWavesPerEU: 1
; NamedBarCnt: 0
; Occupancy: 16
; WaveLimiterHint : 0
; COMPUTE_PGM_RSRC2:SCRATCH_EN: 0
; COMPUTE_PGM_RSRC2:USER_SGPR: 2
; COMPUTE_PGM_RSRC2:TRAP_HANDLER: 0
; COMPUTE_PGM_RSRC2:TGID_X_EN: 1
; COMPUTE_PGM_RSRC2:TGID_Y_EN: 0
; COMPUTE_PGM_RSRC2:TGID_Z_EN: 0
; COMPUTE_PGM_RSRC2:TIDIG_COMP_CNT: 0
	.section	.text._ZN7rocprim17ROCPRIM_400000_NS6detail17trampoline_kernelINS0_14default_configENS1_27scan_by_key_config_selectorIijEEZZNS1_16scan_by_key_implILNS1_25lookback_scan_determinismE0ELb0ES3_N6thrust23THRUST_200600_302600_NS6detail15normal_iteratorINS9_10device_ptrIiEEEENSB_INSC_IjEEEENSB_INSC_IfEEEEjNS9_4plusIvEENS9_8equal_toIvEEjEE10hipError_tPvRmT2_T3_T4_T5_mT6_T7_P12ihipStream_tbENKUlT_T0_E_clISt17integral_constantIbLb0EES12_IbLb1EEEEDaSY_SZ_EUlSY_E_NS1_11comp_targetILNS1_3genE10ELNS1_11target_archE1200ELNS1_3gpuE4ELNS1_3repE0EEENS1_30default_config_static_selectorELNS0_4arch9wavefront6targetE0EEEvT1_,"axG",@progbits,_ZN7rocprim17ROCPRIM_400000_NS6detail17trampoline_kernelINS0_14default_configENS1_27scan_by_key_config_selectorIijEEZZNS1_16scan_by_key_implILNS1_25lookback_scan_determinismE0ELb0ES3_N6thrust23THRUST_200600_302600_NS6detail15normal_iteratorINS9_10device_ptrIiEEEENSB_INSC_IjEEEENSB_INSC_IfEEEEjNS9_4plusIvEENS9_8equal_toIvEEjEE10hipError_tPvRmT2_T3_T4_T5_mT6_T7_P12ihipStream_tbENKUlT_T0_E_clISt17integral_constantIbLb0EES12_IbLb1EEEEDaSY_SZ_EUlSY_E_NS1_11comp_targetILNS1_3genE10ELNS1_11target_archE1200ELNS1_3gpuE4ELNS1_3repE0EEENS1_30default_config_static_selectorELNS0_4arch9wavefront6targetE0EEEvT1_,comdat
	.protected	_ZN7rocprim17ROCPRIM_400000_NS6detail17trampoline_kernelINS0_14default_configENS1_27scan_by_key_config_selectorIijEEZZNS1_16scan_by_key_implILNS1_25lookback_scan_determinismE0ELb0ES3_N6thrust23THRUST_200600_302600_NS6detail15normal_iteratorINS9_10device_ptrIiEEEENSB_INSC_IjEEEENSB_INSC_IfEEEEjNS9_4plusIvEENS9_8equal_toIvEEjEE10hipError_tPvRmT2_T3_T4_T5_mT6_T7_P12ihipStream_tbENKUlT_T0_E_clISt17integral_constantIbLb0EES12_IbLb1EEEEDaSY_SZ_EUlSY_E_NS1_11comp_targetILNS1_3genE10ELNS1_11target_archE1200ELNS1_3gpuE4ELNS1_3repE0EEENS1_30default_config_static_selectorELNS0_4arch9wavefront6targetE0EEEvT1_ ; -- Begin function _ZN7rocprim17ROCPRIM_400000_NS6detail17trampoline_kernelINS0_14default_configENS1_27scan_by_key_config_selectorIijEEZZNS1_16scan_by_key_implILNS1_25lookback_scan_determinismE0ELb0ES3_N6thrust23THRUST_200600_302600_NS6detail15normal_iteratorINS9_10device_ptrIiEEEENSB_INSC_IjEEEENSB_INSC_IfEEEEjNS9_4plusIvEENS9_8equal_toIvEEjEE10hipError_tPvRmT2_T3_T4_T5_mT6_T7_P12ihipStream_tbENKUlT_T0_E_clISt17integral_constantIbLb0EES12_IbLb1EEEEDaSY_SZ_EUlSY_E_NS1_11comp_targetILNS1_3genE10ELNS1_11target_archE1200ELNS1_3gpuE4ELNS1_3repE0EEENS1_30default_config_static_selectorELNS0_4arch9wavefront6targetE0EEEvT1_
	.globl	_ZN7rocprim17ROCPRIM_400000_NS6detail17trampoline_kernelINS0_14default_configENS1_27scan_by_key_config_selectorIijEEZZNS1_16scan_by_key_implILNS1_25lookback_scan_determinismE0ELb0ES3_N6thrust23THRUST_200600_302600_NS6detail15normal_iteratorINS9_10device_ptrIiEEEENSB_INSC_IjEEEENSB_INSC_IfEEEEjNS9_4plusIvEENS9_8equal_toIvEEjEE10hipError_tPvRmT2_T3_T4_T5_mT6_T7_P12ihipStream_tbENKUlT_T0_E_clISt17integral_constantIbLb0EES12_IbLb1EEEEDaSY_SZ_EUlSY_E_NS1_11comp_targetILNS1_3genE10ELNS1_11target_archE1200ELNS1_3gpuE4ELNS1_3repE0EEENS1_30default_config_static_selectorELNS0_4arch9wavefront6targetE0EEEvT1_
	.p2align	8
	.type	_ZN7rocprim17ROCPRIM_400000_NS6detail17trampoline_kernelINS0_14default_configENS1_27scan_by_key_config_selectorIijEEZZNS1_16scan_by_key_implILNS1_25lookback_scan_determinismE0ELb0ES3_N6thrust23THRUST_200600_302600_NS6detail15normal_iteratorINS9_10device_ptrIiEEEENSB_INSC_IjEEEENSB_INSC_IfEEEEjNS9_4plusIvEENS9_8equal_toIvEEjEE10hipError_tPvRmT2_T3_T4_T5_mT6_T7_P12ihipStream_tbENKUlT_T0_E_clISt17integral_constantIbLb0EES12_IbLb1EEEEDaSY_SZ_EUlSY_E_NS1_11comp_targetILNS1_3genE10ELNS1_11target_archE1200ELNS1_3gpuE4ELNS1_3repE0EEENS1_30default_config_static_selectorELNS0_4arch9wavefront6targetE0EEEvT1_,@function
_ZN7rocprim17ROCPRIM_400000_NS6detail17trampoline_kernelINS0_14default_configENS1_27scan_by_key_config_selectorIijEEZZNS1_16scan_by_key_implILNS1_25lookback_scan_determinismE0ELb0ES3_N6thrust23THRUST_200600_302600_NS6detail15normal_iteratorINS9_10device_ptrIiEEEENSB_INSC_IjEEEENSB_INSC_IfEEEEjNS9_4plusIvEENS9_8equal_toIvEEjEE10hipError_tPvRmT2_T3_T4_T5_mT6_T7_P12ihipStream_tbENKUlT_T0_E_clISt17integral_constantIbLb0EES12_IbLb1EEEEDaSY_SZ_EUlSY_E_NS1_11comp_targetILNS1_3genE10ELNS1_11target_archE1200ELNS1_3gpuE4ELNS1_3repE0EEENS1_30default_config_static_selectorELNS0_4arch9wavefront6targetE0EEEvT1_: ; @_ZN7rocprim17ROCPRIM_400000_NS6detail17trampoline_kernelINS0_14default_configENS1_27scan_by_key_config_selectorIijEEZZNS1_16scan_by_key_implILNS1_25lookback_scan_determinismE0ELb0ES3_N6thrust23THRUST_200600_302600_NS6detail15normal_iteratorINS9_10device_ptrIiEEEENSB_INSC_IjEEEENSB_INSC_IfEEEEjNS9_4plusIvEENS9_8equal_toIvEEjEE10hipError_tPvRmT2_T3_T4_T5_mT6_T7_P12ihipStream_tbENKUlT_T0_E_clISt17integral_constantIbLb0EES12_IbLb1EEEEDaSY_SZ_EUlSY_E_NS1_11comp_targetILNS1_3genE10ELNS1_11target_archE1200ELNS1_3gpuE4ELNS1_3repE0EEENS1_30default_config_static_selectorELNS0_4arch9wavefront6targetE0EEEvT1_
; %bb.0:
	.section	.rodata,"a",@progbits
	.p2align	6, 0x0
	.amdhsa_kernel _ZN7rocprim17ROCPRIM_400000_NS6detail17trampoline_kernelINS0_14default_configENS1_27scan_by_key_config_selectorIijEEZZNS1_16scan_by_key_implILNS1_25lookback_scan_determinismE0ELb0ES3_N6thrust23THRUST_200600_302600_NS6detail15normal_iteratorINS9_10device_ptrIiEEEENSB_INSC_IjEEEENSB_INSC_IfEEEEjNS9_4plusIvEENS9_8equal_toIvEEjEE10hipError_tPvRmT2_T3_T4_T5_mT6_T7_P12ihipStream_tbENKUlT_T0_E_clISt17integral_constantIbLb0EES12_IbLb1EEEEDaSY_SZ_EUlSY_E_NS1_11comp_targetILNS1_3genE10ELNS1_11target_archE1200ELNS1_3gpuE4ELNS1_3repE0EEENS1_30default_config_static_selectorELNS0_4arch9wavefront6targetE0EEEvT1_
		.amdhsa_group_segment_fixed_size 0
		.amdhsa_private_segment_fixed_size 0
		.amdhsa_kernarg_size 112
		.amdhsa_user_sgpr_count 2
		.amdhsa_user_sgpr_dispatch_ptr 0
		.amdhsa_user_sgpr_queue_ptr 0
		.amdhsa_user_sgpr_kernarg_segment_ptr 1
		.amdhsa_user_sgpr_dispatch_id 0
		.amdhsa_user_sgpr_kernarg_preload_length 0
		.amdhsa_user_sgpr_kernarg_preload_offset 0
		.amdhsa_user_sgpr_private_segment_size 0
		.amdhsa_wavefront_size32 1
		.amdhsa_uses_dynamic_stack 0
		.amdhsa_enable_private_segment 0
		.amdhsa_system_sgpr_workgroup_id_x 1
		.amdhsa_system_sgpr_workgroup_id_y 0
		.amdhsa_system_sgpr_workgroup_id_z 0
		.amdhsa_system_sgpr_workgroup_info 0
		.amdhsa_system_vgpr_workitem_id 0
		.amdhsa_next_free_vgpr 1
		.amdhsa_next_free_sgpr 1
		.amdhsa_named_barrier_count 0
		.amdhsa_reserve_vcc 0
		.amdhsa_float_round_mode_32 0
		.amdhsa_float_round_mode_16_64 0
		.amdhsa_float_denorm_mode_32 3
		.amdhsa_float_denorm_mode_16_64 3
		.amdhsa_fp16_overflow 0
		.amdhsa_memory_ordered 1
		.amdhsa_forward_progress 1
		.amdhsa_inst_pref_size 0
		.amdhsa_round_robin_scheduling 0
		.amdhsa_exception_fp_ieee_invalid_op 0
		.amdhsa_exception_fp_denorm_src 0
		.amdhsa_exception_fp_ieee_div_zero 0
		.amdhsa_exception_fp_ieee_overflow 0
		.amdhsa_exception_fp_ieee_underflow 0
		.amdhsa_exception_fp_ieee_inexact 0
		.amdhsa_exception_int_div_zero 0
	.end_amdhsa_kernel
	.section	.text._ZN7rocprim17ROCPRIM_400000_NS6detail17trampoline_kernelINS0_14default_configENS1_27scan_by_key_config_selectorIijEEZZNS1_16scan_by_key_implILNS1_25lookback_scan_determinismE0ELb0ES3_N6thrust23THRUST_200600_302600_NS6detail15normal_iteratorINS9_10device_ptrIiEEEENSB_INSC_IjEEEENSB_INSC_IfEEEEjNS9_4plusIvEENS9_8equal_toIvEEjEE10hipError_tPvRmT2_T3_T4_T5_mT6_T7_P12ihipStream_tbENKUlT_T0_E_clISt17integral_constantIbLb0EES12_IbLb1EEEEDaSY_SZ_EUlSY_E_NS1_11comp_targetILNS1_3genE10ELNS1_11target_archE1200ELNS1_3gpuE4ELNS1_3repE0EEENS1_30default_config_static_selectorELNS0_4arch9wavefront6targetE0EEEvT1_,"axG",@progbits,_ZN7rocprim17ROCPRIM_400000_NS6detail17trampoline_kernelINS0_14default_configENS1_27scan_by_key_config_selectorIijEEZZNS1_16scan_by_key_implILNS1_25lookback_scan_determinismE0ELb0ES3_N6thrust23THRUST_200600_302600_NS6detail15normal_iteratorINS9_10device_ptrIiEEEENSB_INSC_IjEEEENSB_INSC_IfEEEEjNS9_4plusIvEENS9_8equal_toIvEEjEE10hipError_tPvRmT2_T3_T4_T5_mT6_T7_P12ihipStream_tbENKUlT_T0_E_clISt17integral_constantIbLb0EES12_IbLb1EEEEDaSY_SZ_EUlSY_E_NS1_11comp_targetILNS1_3genE10ELNS1_11target_archE1200ELNS1_3gpuE4ELNS1_3repE0EEENS1_30default_config_static_selectorELNS0_4arch9wavefront6targetE0EEEvT1_,comdat
.Lfunc_end1677:
	.size	_ZN7rocprim17ROCPRIM_400000_NS6detail17trampoline_kernelINS0_14default_configENS1_27scan_by_key_config_selectorIijEEZZNS1_16scan_by_key_implILNS1_25lookback_scan_determinismE0ELb0ES3_N6thrust23THRUST_200600_302600_NS6detail15normal_iteratorINS9_10device_ptrIiEEEENSB_INSC_IjEEEENSB_INSC_IfEEEEjNS9_4plusIvEENS9_8equal_toIvEEjEE10hipError_tPvRmT2_T3_T4_T5_mT6_T7_P12ihipStream_tbENKUlT_T0_E_clISt17integral_constantIbLb0EES12_IbLb1EEEEDaSY_SZ_EUlSY_E_NS1_11comp_targetILNS1_3genE10ELNS1_11target_archE1200ELNS1_3gpuE4ELNS1_3repE0EEENS1_30default_config_static_selectorELNS0_4arch9wavefront6targetE0EEEvT1_, .Lfunc_end1677-_ZN7rocprim17ROCPRIM_400000_NS6detail17trampoline_kernelINS0_14default_configENS1_27scan_by_key_config_selectorIijEEZZNS1_16scan_by_key_implILNS1_25lookback_scan_determinismE0ELb0ES3_N6thrust23THRUST_200600_302600_NS6detail15normal_iteratorINS9_10device_ptrIiEEEENSB_INSC_IjEEEENSB_INSC_IfEEEEjNS9_4plusIvEENS9_8equal_toIvEEjEE10hipError_tPvRmT2_T3_T4_T5_mT6_T7_P12ihipStream_tbENKUlT_T0_E_clISt17integral_constantIbLb0EES12_IbLb1EEEEDaSY_SZ_EUlSY_E_NS1_11comp_targetILNS1_3genE10ELNS1_11target_archE1200ELNS1_3gpuE4ELNS1_3repE0EEENS1_30default_config_static_selectorELNS0_4arch9wavefront6targetE0EEEvT1_
                                        ; -- End function
	.set _ZN7rocprim17ROCPRIM_400000_NS6detail17trampoline_kernelINS0_14default_configENS1_27scan_by_key_config_selectorIijEEZZNS1_16scan_by_key_implILNS1_25lookback_scan_determinismE0ELb0ES3_N6thrust23THRUST_200600_302600_NS6detail15normal_iteratorINS9_10device_ptrIiEEEENSB_INSC_IjEEEENSB_INSC_IfEEEEjNS9_4plusIvEENS9_8equal_toIvEEjEE10hipError_tPvRmT2_T3_T4_T5_mT6_T7_P12ihipStream_tbENKUlT_T0_E_clISt17integral_constantIbLb0EES12_IbLb1EEEEDaSY_SZ_EUlSY_E_NS1_11comp_targetILNS1_3genE10ELNS1_11target_archE1200ELNS1_3gpuE4ELNS1_3repE0EEENS1_30default_config_static_selectorELNS0_4arch9wavefront6targetE0EEEvT1_.num_vgpr, 0
	.set _ZN7rocprim17ROCPRIM_400000_NS6detail17trampoline_kernelINS0_14default_configENS1_27scan_by_key_config_selectorIijEEZZNS1_16scan_by_key_implILNS1_25lookback_scan_determinismE0ELb0ES3_N6thrust23THRUST_200600_302600_NS6detail15normal_iteratorINS9_10device_ptrIiEEEENSB_INSC_IjEEEENSB_INSC_IfEEEEjNS9_4plusIvEENS9_8equal_toIvEEjEE10hipError_tPvRmT2_T3_T4_T5_mT6_T7_P12ihipStream_tbENKUlT_T0_E_clISt17integral_constantIbLb0EES12_IbLb1EEEEDaSY_SZ_EUlSY_E_NS1_11comp_targetILNS1_3genE10ELNS1_11target_archE1200ELNS1_3gpuE4ELNS1_3repE0EEENS1_30default_config_static_selectorELNS0_4arch9wavefront6targetE0EEEvT1_.num_agpr, 0
	.set _ZN7rocprim17ROCPRIM_400000_NS6detail17trampoline_kernelINS0_14default_configENS1_27scan_by_key_config_selectorIijEEZZNS1_16scan_by_key_implILNS1_25lookback_scan_determinismE0ELb0ES3_N6thrust23THRUST_200600_302600_NS6detail15normal_iteratorINS9_10device_ptrIiEEEENSB_INSC_IjEEEENSB_INSC_IfEEEEjNS9_4plusIvEENS9_8equal_toIvEEjEE10hipError_tPvRmT2_T3_T4_T5_mT6_T7_P12ihipStream_tbENKUlT_T0_E_clISt17integral_constantIbLb0EES12_IbLb1EEEEDaSY_SZ_EUlSY_E_NS1_11comp_targetILNS1_3genE10ELNS1_11target_archE1200ELNS1_3gpuE4ELNS1_3repE0EEENS1_30default_config_static_selectorELNS0_4arch9wavefront6targetE0EEEvT1_.numbered_sgpr, 0
	.set _ZN7rocprim17ROCPRIM_400000_NS6detail17trampoline_kernelINS0_14default_configENS1_27scan_by_key_config_selectorIijEEZZNS1_16scan_by_key_implILNS1_25lookback_scan_determinismE0ELb0ES3_N6thrust23THRUST_200600_302600_NS6detail15normal_iteratorINS9_10device_ptrIiEEEENSB_INSC_IjEEEENSB_INSC_IfEEEEjNS9_4plusIvEENS9_8equal_toIvEEjEE10hipError_tPvRmT2_T3_T4_T5_mT6_T7_P12ihipStream_tbENKUlT_T0_E_clISt17integral_constantIbLb0EES12_IbLb1EEEEDaSY_SZ_EUlSY_E_NS1_11comp_targetILNS1_3genE10ELNS1_11target_archE1200ELNS1_3gpuE4ELNS1_3repE0EEENS1_30default_config_static_selectorELNS0_4arch9wavefront6targetE0EEEvT1_.num_named_barrier, 0
	.set _ZN7rocprim17ROCPRIM_400000_NS6detail17trampoline_kernelINS0_14default_configENS1_27scan_by_key_config_selectorIijEEZZNS1_16scan_by_key_implILNS1_25lookback_scan_determinismE0ELb0ES3_N6thrust23THRUST_200600_302600_NS6detail15normal_iteratorINS9_10device_ptrIiEEEENSB_INSC_IjEEEENSB_INSC_IfEEEEjNS9_4plusIvEENS9_8equal_toIvEEjEE10hipError_tPvRmT2_T3_T4_T5_mT6_T7_P12ihipStream_tbENKUlT_T0_E_clISt17integral_constantIbLb0EES12_IbLb1EEEEDaSY_SZ_EUlSY_E_NS1_11comp_targetILNS1_3genE10ELNS1_11target_archE1200ELNS1_3gpuE4ELNS1_3repE0EEENS1_30default_config_static_selectorELNS0_4arch9wavefront6targetE0EEEvT1_.private_seg_size, 0
	.set _ZN7rocprim17ROCPRIM_400000_NS6detail17trampoline_kernelINS0_14default_configENS1_27scan_by_key_config_selectorIijEEZZNS1_16scan_by_key_implILNS1_25lookback_scan_determinismE0ELb0ES3_N6thrust23THRUST_200600_302600_NS6detail15normal_iteratorINS9_10device_ptrIiEEEENSB_INSC_IjEEEENSB_INSC_IfEEEEjNS9_4plusIvEENS9_8equal_toIvEEjEE10hipError_tPvRmT2_T3_T4_T5_mT6_T7_P12ihipStream_tbENKUlT_T0_E_clISt17integral_constantIbLb0EES12_IbLb1EEEEDaSY_SZ_EUlSY_E_NS1_11comp_targetILNS1_3genE10ELNS1_11target_archE1200ELNS1_3gpuE4ELNS1_3repE0EEENS1_30default_config_static_selectorELNS0_4arch9wavefront6targetE0EEEvT1_.uses_vcc, 0
	.set _ZN7rocprim17ROCPRIM_400000_NS6detail17trampoline_kernelINS0_14default_configENS1_27scan_by_key_config_selectorIijEEZZNS1_16scan_by_key_implILNS1_25lookback_scan_determinismE0ELb0ES3_N6thrust23THRUST_200600_302600_NS6detail15normal_iteratorINS9_10device_ptrIiEEEENSB_INSC_IjEEEENSB_INSC_IfEEEEjNS9_4plusIvEENS9_8equal_toIvEEjEE10hipError_tPvRmT2_T3_T4_T5_mT6_T7_P12ihipStream_tbENKUlT_T0_E_clISt17integral_constantIbLb0EES12_IbLb1EEEEDaSY_SZ_EUlSY_E_NS1_11comp_targetILNS1_3genE10ELNS1_11target_archE1200ELNS1_3gpuE4ELNS1_3repE0EEENS1_30default_config_static_selectorELNS0_4arch9wavefront6targetE0EEEvT1_.uses_flat_scratch, 0
	.set _ZN7rocprim17ROCPRIM_400000_NS6detail17trampoline_kernelINS0_14default_configENS1_27scan_by_key_config_selectorIijEEZZNS1_16scan_by_key_implILNS1_25lookback_scan_determinismE0ELb0ES3_N6thrust23THRUST_200600_302600_NS6detail15normal_iteratorINS9_10device_ptrIiEEEENSB_INSC_IjEEEENSB_INSC_IfEEEEjNS9_4plusIvEENS9_8equal_toIvEEjEE10hipError_tPvRmT2_T3_T4_T5_mT6_T7_P12ihipStream_tbENKUlT_T0_E_clISt17integral_constantIbLb0EES12_IbLb1EEEEDaSY_SZ_EUlSY_E_NS1_11comp_targetILNS1_3genE10ELNS1_11target_archE1200ELNS1_3gpuE4ELNS1_3repE0EEENS1_30default_config_static_selectorELNS0_4arch9wavefront6targetE0EEEvT1_.has_dyn_sized_stack, 0
	.set _ZN7rocprim17ROCPRIM_400000_NS6detail17trampoline_kernelINS0_14default_configENS1_27scan_by_key_config_selectorIijEEZZNS1_16scan_by_key_implILNS1_25lookback_scan_determinismE0ELb0ES3_N6thrust23THRUST_200600_302600_NS6detail15normal_iteratorINS9_10device_ptrIiEEEENSB_INSC_IjEEEENSB_INSC_IfEEEEjNS9_4plusIvEENS9_8equal_toIvEEjEE10hipError_tPvRmT2_T3_T4_T5_mT6_T7_P12ihipStream_tbENKUlT_T0_E_clISt17integral_constantIbLb0EES12_IbLb1EEEEDaSY_SZ_EUlSY_E_NS1_11comp_targetILNS1_3genE10ELNS1_11target_archE1200ELNS1_3gpuE4ELNS1_3repE0EEENS1_30default_config_static_selectorELNS0_4arch9wavefront6targetE0EEEvT1_.has_recursion, 0
	.set _ZN7rocprim17ROCPRIM_400000_NS6detail17trampoline_kernelINS0_14default_configENS1_27scan_by_key_config_selectorIijEEZZNS1_16scan_by_key_implILNS1_25lookback_scan_determinismE0ELb0ES3_N6thrust23THRUST_200600_302600_NS6detail15normal_iteratorINS9_10device_ptrIiEEEENSB_INSC_IjEEEENSB_INSC_IfEEEEjNS9_4plusIvEENS9_8equal_toIvEEjEE10hipError_tPvRmT2_T3_T4_T5_mT6_T7_P12ihipStream_tbENKUlT_T0_E_clISt17integral_constantIbLb0EES12_IbLb1EEEEDaSY_SZ_EUlSY_E_NS1_11comp_targetILNS1_3genE10ELNS1_11target_archE1200ELNS1_3gpuE4ELNS1_3repE0EEENS1_30default_config_static_selectorELNS0_4arch9wavefront6targetE0EEEvT1_.has_indirect_call, 0
	.section	.AMDGPU.csdata,"",@progbits
; Kernel info:
; codeLenInByte = 0
; TotalNumSgprs: 0
; NumVgprs: 0
; ScratchSize: 0
; MemoryBound: 0
; FloatMode: 240
; IeeeMode: 1
; LDSByteSize: 0 bytes/workgroup (compile time only)
; SGPRBlocks: 0
; VGPRBlocks: 0
; NumSGPRsForWavesPerEU: 1
; NumVGPRsForWavesPerEU: 1
; NamedBarCnt: 0
; Occupancy: 16
; WaveLimiterHint : 0
; COMPUTE_PGM_RSRC2:SCRATCH_EN: 0
; COMPUTE_PGM_RSRC2:USER_SGPR: 2
; COMPUTE_PGM_RSRC2:TRAP_HANDLER: 0
; COMPUTE_PGM_RSRC2:TGID_X_EN: 1
; COMPUTE_PGM_RSRC2:TGID_Y_EN: 0
; COMPUTE_PGM_RSRC2:TGID_Z_EN: 0
; COMPUTE_PGM_RSRC2:TIDIG_COMP_CNT: 0
	.section	.text._ZN7rocprim17ROCPRIM_400000_NS6detail17trampoline_kernelINS0_14default_configENS1_27scan_by_key_config_selectorIijEEZZNS1_16scan_by_key_implILNS1_25lookback_scan_determinismE0ELb0ES3_N6thrust23THRUST_200600_302600_NS6detail15normal_iteratorINS9_10device_ptrIiEEEENSB_INSC_IjEEEENSB_INSC_IfEEEEjNS9_4plusIvEENS9_8equal_toIvEEjEE10hipError_tPvRmT2_T3_T4_T5_mT6_T7_P12ihipStream_tbENKUlT_T0_E_clISt17integral_constantIbLb0EES12_IbLb1EEEEDaSY_SZ_EUlSY_E_NS1_11comp_targetILNS1_3genE9ELNS1_11target_archE1100ELNS1_3gpuE3ELNS1_3repE0EEENS1_30default_config_static_selectorELNS0_4arch9wavefront6targetE0EEEvT1_,"axG",@progbits,_ZN7rocprim17ROCPRIM_400000_NS6detail17trampoline_kernelINS0_14default_configENS1_27scan_by_key_config_selectorIijEEZZNS1_16scan_by_key_implILNS1_25lookback_scan_determinismE0ELb0ES3_N6thrust23THRUST_200600_302600_NS6detail15normal_iteratorINS9_10device_ptrIiEEEENSB_INSC_IjEEEENSB_INSC_IfEEEEjNS9_4plusIvEENS9_8equal_toIvEEjEE10hipError_tPvRmT2_T3_T4_T5_mT6_T7_P12ihipStream_tbENKUlT_T0_E_clISt17integral_constantIbLb0EES12_IbLb1EEEEDaSY_SZ_EUlSY_E_NS1_11comp_targetILNS1_3genE9ELNS1_11target_archE1100ELNS1_3gpuE3ELNS1_3repE0EEENS1_30default_config_static_selectorELNS0_4arch9wavefront6targetE0EEEvT1_,comdat
	.protected	_ZN7rocprim17ROCPRIM_400000_NS6detail17trampoline_kernelINS0_14default_configENS1_27scan_by_key_config_selectorIijEEZZNS1_16scan_by_key_implILNS1_25lookback_scan_determinismE0ELb0ES3_N6thrust23THRUST_200600_302600_NS6detail15normal_iteratorINS9_10device_ptrIiEEEENSB_INSC_IjEEEENSB_INSC_IfEEEEjNS9_4plusIvEENS9_8equal_toIvEEjEE10hipError_tPvRmT2_T3_T4_T5_mT6_T7_P12ihipStream_tbENKUlT_T0_E_clISt17integral_constantIbLb0EES12_IbLb1EEEEDaSY_SZ_EUlSY_E_NS1_11comp_targetILNS1_3genE9ELNS1_11target_archE1100ELNS1_3gpuE3ELNS1_3repE0EEENS1_30default_config_static_selectorELNS0_4arch9wavefront6targetE0EEEvT1_ ; -- Begin function _ZN7rocprim17ROCPRIM_400000_NS6detail17trampoline_kernelINS0_14default_configENS1_27scan_by_key_config_selectorIijEEZZNS1_16scan_by_key_implILNS1_25lookback_scan_determinismE0ELb0ES3_N6thrust23THRUST_200600_302600_NS6detail15normal_iteratorINS9_10device_ptrIiEEEENSB_INSC_IjEEEENSB_INSC_IfEEEEjNS9_4plusIvEENS9_8equal_toIvEEjEE10hipError_tPvRmT2_T3_T4_T5_mT6_T7_P12ihipStream_tbENKUlT_T0_E_clISt17integral_constantIbLb0EES12_IbLb1EEEEDaSY_SZ_EUlSY_E_NS1_11comp_targetILNS1_3genE9ELNS1_11target_archE1100ELNS1_3gpuE3ELNS1_3repE0EEENS1_30default_config_static_selectorELNS0_4arch9wavefront6targetE0EEEvT1_
	.globl	_ZN7rocprim17ROCPRIM_400000_NS6detail17trampoline_kernelINS0_14default_configENS1_27scan_by_key_config_selectorIijEEZZNS1_16scan_by_key_implILNS1_25lookback_scan_determinismE0ELb0ES3_N6thrust23THRUST_200600_302600_NS6detail15normal_iteratorINS9_10device_ptrIiEEEENSB_INSC_IjEEEENSB_INSC_IfEEEEjNS9_4plusIvEENS9_8equal_toIvEEjEE10hipError_tPvRmT2_T3_T4_T5_mT6_T7_P12ihipStream_tbENKUlT_T0_E_clISt17integral_constantIbLb0EES12_IbLb1EEEEDaSY_SZ_EUlSY_E_NS1_11comp_targetILNS1_3genE9ELNS1_11target_archE1100ELNS1_3gpuE3ELNS1_3repE0EEENS1_30default_config_static_selectorELNS0_4arch9wavefront6targetE0EEEvT1_
	.p2align	8
	.type	_ZN7rocprim17ROCPRIM_400000_NS6detail17trampoline_kernelINS0_14default_configENS1_27scan_by_key_config_selectorIijEEZZNS1_16scan_by_key_implILNS1_25lookback_scan_determinismE0ELb0ES3_N6thrust23THRUST_200600_302600_NS6detail15normal_iteratorINS9_10device_ptrIiEEEENSB_INSC_IjEEEENSB_INSC_IfEEEEjNS9_4plusIvEENS9_8equal_toIvEEjEE10hipError_tPvRmT2_T3_T4_T5_mT6_T7_P12ihipStream_tbENKUlT_T0_E_clISt17integral_constantIbLb0EES12_IbLb1EEEEDaSY_SZ_EUlSY_E_NS1_11comp_targetILNS1_3genE9ELNS1_11target_archE1100ELNS1_3gpuE3ELNS1_3repE0EEENS1_30default_config_static_selectorELNS0_4arch9wavefront6targetE0EEEvT1_,@function
_ZN7rocprim17ROCPRIM_400000_NS6detail17trampoline_kernelINS0_14default_configENS1_27scan_by_key_config_selectorIijEEZZNS1_16scan_by_key_implILNS1_25lookback_scan_determinismE0ELb0ES3_N6thrust23THRUST_200600_302600_NS6detail15normal_iteratorINS9_10device_ptrIiEEEENSB_INSC_IjEEEENSB_INSC_IfEEEEjNS9_4plusIvEENS9_8equal_toIvEEjEE10hipError_tPvRmT2_T3_T4_T5_mT6_T7_P12ihipStream_tbENKUlT_T0_E_clISt17integral_constantIbLb0EES12_IbLb1EEEEDaSY_SZ_EUlSY_E_NS1_11comp_targetILNS1_3genE9ELNS1_11target_archE1100ELNS1_3gpuE3ELNS1_3repE0EEENS1_30default_config_static_selectorELNS0_4arch9wavefront6targetE0EEEvT1_: ; @_ZN7rocprim17ROCPRIM_400000_NS6detail17trampoline_kernelINS0_14default_configENS1_27scan_by_key_config_selectorIijEEZZNS1_16scan_by_key_implILNS1_25lookback_scan_determinismE0ELb0ES3_N6thrust23THRUST_200600_302600_NS6detail15normal_iteratorINS9_10device_ptrIiEEEENSB_INSC_IjEEEENSB_INSC_IfEEEEjNS9_4plusIvEENS9_8equal_toIvEEjEE10hipError_tPvRmT2_T3_T4_T5_mT6_T7_P12ihipStream_tbENKUlT_T0_E_clISt17integral_constantIbLb0EES12_IbLb1EEEEDaSY_SZ_EUlSY_E_NS1_11comp_targetILNS1_3genE9ELNS1_11target_archE1100ELNS1_3gpuE3ELNS1_3repE0EEENS1_30default_config_static_selectorELNS0_4arch9wavefront6targetE0EEEvT1_
; %bb.0:
	.section	.rodata,"a",@progbits
	.p2align	6, 0x0
	.amdhsa_kernel _ZN7rocprim17ROCPRIM_400000_NS6detail17trampoline_kernelINS0_14default_configENS1_27scan_by_key_config_selectorIijEEZZNS1_16scan_by_key_implILNS1_25lookback_scan_determinismE0ELb0ES3_N6thrust23THRUST_200600_302600_NS6detail15normal_iteratorINS9_10device_ptrIiEEEENSB_INSC_IjEEEENSB_INSC_IfEEEEjNS9_4plusIvEENS9_8equal_toIvEEjEE10hipError_tPvRmT2_T3_T4_T5_mT6_T7_P12ihipStream_tbENKUlT_T0_E_clISt17integral_constantIbLb0EES12_IbLb1EEEEDaSY_SZ_EUlSY_E_NS1_11comp_targetILNS1_3genE9ELNS1_11target_archE1100ELNS1_3gpuE3ELNS1_3repE0EEENS1_30default_config_static_selectorELNS0_4arch9wavefront6targetE0EEEvT1_
		.amdhsa_group_segment_fixed_size 0
		.amdhsa_private_segment_fixed_size 0
		.amdhsa_kernarg_size 112
		.amdhsa_user_sgpr_count 2
		.amdhsa_user_sgpr_dispatch_ptr 0
		.amdhsa_user_sgpr_queue_ptr 0
		.amdhsa_user_sgpr_kernarg_segment_ptr 1
		.amdhsa_user_sgpr_dispatch_id 0
		.amdhsa_user_sgpr_kernarg_preload_length 0
		.amdhsa_user_sgpr_kernarg_preload_offset 0
		.amdhsa_user_sgpr_private_segment_size 0
		.amdhsa_wavefront_size32 1
		.amdhsa_uses_dynamic_stack 0
		.amdhsa_enable_private_segment 0
		.amdhsa_system_sgpr_workgroup_id_x 1
		.amdhsa_system_sgpr_workgroup_id_y 0
		.amdhsa_system_sgpr_workgroup_id_z 0
		.amdhsa_system_sgpr_workgroup_info 0
		.amdhsa_system_vgpr_workitem_id 0
		.amdhsa_next_free_vgpr 1
		.amdhsa_next_free_sgpr 1
		.amdhsa_named_barrier_count 0
		.amdhsa_reserve_vcc 0
		.amdhsa_float_round_mode_32 0
		.amdhsa_float_round_mode_16_64 0
		.amdhsa_float_denorm_mode_32 3
		.amdhsa_float_denorm_mode_16_64 3
		.amdhsa_fp16_overflow 0
		.amdhsa_memory_ordered 1
		.amdhsa_forward_progress 1
		.amdhsa_inst_pref_size 0
		.amdhsa_round_robin_scheduling 0
		.amdhsa_exception_fp_ieee_invalid_op 0
		.amdhsa_exception_fp_denorm_src 0
		.amdhsa_exception_fp_ieee_div_zero 0
		.amdhsa_exception_fp_ieee_overflow 0
		.amdhsa_exception_fp_ieee_underflow 0
		.amdhsa_exception_fp_ieee_inexact 0
		.amdhsa_exception_int_div_zero 0
	.end_amdhsa_kernel
	.section	.text._ZN7rocprim17ROCPRIM_400000_NS6detail17trampoline_kernelINS0_14default_configENS1_27scan_by_key_config_selectorIijEEZZNS1_16scan_by_key_implILNS1_25lookback_scan_determinismE0ELb0ES3_N6thrust23THRUST_200600_302600_NS6detail15normal_iteratorINS9_10device_ptrIiEEEENSB_INSC_IjEEEENSB_INSC_IfEEEEjNS9_4plusIvEENS9_8equal_toIvEEjEE10hipError_tPvRmT2_T3_T4_T5_mT6_T7_P12ihipStream_tbENKUlT_T0_E_clISt17integral_constantIbLb0EES12_IbLb1EEEEDaSY_SZ_EUlSY_E_NS1_11comp_targetILNS1_3genE9ELNS1_11target_archE1100ELNS1_3gpuE3ELNS1_3repE0EEENS1_30default_config_static_selectorELNS0_4arch9wavefront6targetE0EEEvT1_,"axG",@progbits,_ZN7rocprim17ROCPRIM_400000_NS6detail17trampoline_kernelINS0_14default_configENS1_27scan_by_key_config_selectorIijEEZZNS1_16scan_by_key_implILNS1_25lookback_scan_determinismE0ELb0ES3_N6thrust23THRUST_200600_302600_NS6detail15normal_iteratorINS9_10device_ptrIiEEEENSB_INSC_IjEEEENSB_INSC_IfEEEEjNS9_4plusIvEENS9_8equal_toIvEEjEE10hipError_tPvRmT2_T3_T4_T5_mT6_T7_P12ihipStream_tbENKUlT_T0_E_clISt17integral_constantIbLb0EES12_IbLb1EEEEDaSY_SZ_EUlSY_E_NS1_11comp_targetILNS1_3genE9ELNS1_11target_archE1100ELNS1_3gpuE3ELNS1_3repE0EEENS1_30default_config_static_selectorELNS0_4arch9wavefront6targetE0EEEvT1_,comdat
.Lfunc_end1678:
	.size	_ZN7rocprim17ROCPRIM_400000_NS6detail17trampoline_kernelINS0_14default_configENS1_27scan_by_key_config_selectorIijEEZZNS1_16scan_by_key_implILNS1_25lookback_scan_determinismE0ELb0ES3_N6thrust23THRUST_200600_302600_NS6detail15normal_iteratorINS9_10device_ptrIiEEEENSB_INSC_IjEEEENSB_INSC_IfEEEEjNS9_4plusIvEENS9_8equal_toIvEEjEE10hipError_tPvRmT2_T3_T4_T5_mT6_T7_P12ihipStream_tbENKUlT_T0_E_clISt17integral_constantIbLb0EES12_IbLb1EEEEDaSY_SZ_EUlSY_E_NS1_11comp_targetILNS1_3genE9ELNS1_11target_archE1100ELNS1_3gpuE3ELNS1_3repE0EEENS1_30default_config_static_selectorELNS0_4arch9wavefront6targetE0EEEvT1_, .Lfunc_end1678-_ZN7rocprim17ROCPRIM_400000_NS6detail17trampoline_kernelINS0_14default_configENS1_27scan_by_key_config_selectorIijEEZZNS1_16scan_by_key_implILNS1_25lookback_scan_determinismE0ELb0ES3_N6thrust23THRUST_200600_302600_NS6detail15normal_iteratorINS9_10device_ptrIiEEEENSB_INSC_IjEEEENSB_INSC_IfEEEEjNS9_4plusIvEENS9_8equal_toIvEEjEE10hipError_tPvRmT2_T3_T4_T5_mT6_T7_P12ihipStream_tbENKUlT_T0_E_clISt17integral_constantIbLb0EES12_IbLb1EEEEDaSY_SZ_EUlSY_E_NS1_11comp_targetILNS1_3genE9ELNS1_11target_archE1100ELNS1_3gpuE3ELNS1_3repE0EEENS1_30default_config_static_selectorELNS0_4arch9wavefront6targetE0EEEvT1_
                                        ; -- End function
	.set _ZN7rocprim17ROCPRIM_400000_NS6detail17trampoline_kernelINS0_14default_configENS1_27scan_by_key_config_selectorIijEEZZNS1_16scan_by_key_implILNS1_25lookback_scan_determinismE0ELb0ES3_N6thrust23THRUST_200600_302600_NS6detail15normal_iteratorINS9_10device_ptrIiEEEENSB_INSC_IjEEEENSB_INSC_IfEEEEjNS9_4plusIvEENS9_8equal_toIvEEjEE10hipError_tPvRmT2_T3_T4_T5_mT6_T7_P12ihipStream_tbENKUlT_T0_E_clISt17integral_constantIbLb0EES12_IbLb1EEEEDaSY_SZ_EUlSY_E_NS1_11comp_targetILNS1_3genE9ELNS1_11target_archE1100ELNS1_3gpuE3ELNS1_3repE0EEENS1_30default_config_static_selectorELNS0_4arch9wavefront6targetE0EEEvT1_.num_vgpr, 0
	.set _ZN7rocprim17ROCPRIM_400000_NS6detail17trampoline_kernelINS0_14default_configENS1_27scan_by_key_config_selectorIijEEZZNS1_16scan_by_key_implILNS1_25lookback_scan_determinismE0ELb0ES3_N6thrust23THRUST_200600_302600_NS6detail15normal_iteratorINS9_10device_ptrIiEEEENSB_INSC_IjEEEENSB_INSC_IfEEEEjNS9_4plusIvEENS9_8equal_toIvEEjEE10hipError_tPvRmT2_T3_T4_T5_mT6_T7_P12ihipStream_tbENKUlT_T0_E_clISt17integral_constantIbLb0EES12_IbLb1EEEEDaSY_SZ_EUlSY_E_NS1_11comp_targetILNS1_3genE9ELNS1_11target_archE1100ELNS1_3gpuE3ELNS1_3repE0EEENS1_30default_config_static_selectorELNS0_4arch9wavefront6targetE0EEEvT1_.num_agpr, 0
	.set _ZN7rocprim17ROCPRIM_400000_NS6detail17trampoline_kernelINS0_14default_configENS1_27scan_by_key_config_selectorIijEEZZNS1_16scan_by_key_implILNS1_25lookback_scan_determinismE0ELb0ES3_N6thrust23THRUST_200600_302600_NS6detail15normal_iteratorINS9_10device_ptrIiEEEENSB_INSC_IjEEEENSB_INSC_IfEEEEjNS9_4plusIvEENS9_8equal_toIvEEjEE10hipError_tPvRmT2_T3_T4_T5_mT6_T7_P12ihipStream_tbENKUlT_T0_E_clISt17integral_constantIbLb0EES12_IbLb1EEEEDaSY_SZ_EUlSY_E_NS1_11comp_targetILNS1_3genE9ELNS1_11target_archE1100ELNS1_3gpuE3ELNS1_3repE0EEENS1_30default_config_static_selectorELNS0_4arch9wavefront6targetE0EEEvT1_.numbered_sgpr, 0
	.set _ZN7rocprim17ROCPRIM_400000_NS6detail17trampoline_kernelINS0_14default_configENS1_27scan_by_key_config_selectorIijEEZZNS1_16scan_by_key_implILNS1_25lookback_scan_determinismE0ELb0ES3_N6thrust23THRUST_200600_302600_NS6detail15normal_iteratorINS9_10device_ptrIiEEEENSB_INSC_IjEEEENSB_INSC_IfEEEEjNS9_4plusIvEENS9_8equal_toIvEEjEE10hipError_tPvRmT2_T3_T4_T5_mT6_T7_P12ihipStream_tbENKUlT_T0_E_clISt17integral_constantIbLb0EES12_IbLb1EEEEDaSY_SZ_EUlSY_E_NS1_11comp_targetILNS1_3genE9ELNS1_11target_archE1100ELNS1_3gpuE3ELNS1_3repE0EEENS1_30default_config_static_selectorELNS0_4arch9wavefront6targetE0EEEvT1_.num_named_barrier, 0
	.set _ZN7rocprim17ROCPRIM_400000_NS6detail17trampoline_kernelINS0_14default_configENS1_27scan_by_key_config_selectorIijEEZZNS1_16scan_by_key_implILNS1_25lookback_scan_determinismE0ELb0ES3_N6thrust23THRUST_200600_302600_NS6detail15normal_iteratorINS9_10device_ptrIiEEEENSB_INSC_IjEEEENSB_INSC_IfEEEEjNS9_4plusIvEENS9_8equal_toIvEEjEE10hipError_tPvRmT2_T3_T4_T5_mT6_T7_P12ihipStream_tbENKUlT_T0_E_clISt17integral_constantIbLb0EES12_IbLb1EEEEDaSY_SZ_EUlSY_E_NS1_11comp_targetILNS1_3genE9ELNS1_11target_archE1100ELNS1_3gpuE3ELNS1_3repE0EEENS1_30default_config_static_selectorELNS0_4arch9wavefront6targetE0EEEvT1_.private_seg_size, 0
	.set _ZN7rocprim17ROCPRIM_400000_NS6detail17trampoline_kernelINS0_14default_configENS1_27scan_by_key_config_selectorIijEEZZNS1_16scan_by_key_implILNS1_25lookback_scan_determinismE0ELb0ES3_N6thrust23THRUST_200600_302600_NS6detail15normal_iteratorINS9_10device_ptrIiEEEENSB_INSC_IjEEEENSB_INSC_IfEEEEjNS9_4plusIvEENS9_8equal_toIvEEjEE10hipError_tPvRmT2_T3_T4_T5_mT6_T7_P12ihipStream_tbENKUlT_T0_E_clISt17integral_constantIbLb0EES12_IbLb1EEEEDaSY_SZ_EUlSY_E_NS1_11comp_targetILNS1_3genE9ELNS1_11target_archE1100ELNS1_3gpuE3ELNS1_3repE0EEENS1_30default_config_static_selectorELNS0_4arch9wavefront6targetE0EEEvT1_.uses_vcc, 0
	.set _ZN7rocprim17ROCPRIM_400000_NS6detail17trampoline_kernelINS0_14default_configENS1_27scan_by_key_config_selectorIijEEZZNS1_16scan_by_key_implILNS1_25lookback_scan_determinismE0ELb0ES3_N6thrust23THRUST_200600_302600_NS6detail15normal_iteratorINS9_10device_ptrIiEEEENSB_INSC_IjEEEENSB_INSC_IfEEEEjNS9_4plusIvEENS9_8equal_toIvEEjEE10hipError_tPvRmT2_T3_T4_T5_mT6_T7_P12ihipStream_tbENKUlT_T0_E_clISt17integral_constantIbLb0EES12_IbLb1EEEEDaSY_SZ_EUlSY_E_NS1_11comp_targetILNS1_3genE9ELNS1_11target_archE1100ELNS1_3gpuE3ELNS1_3repE0EEENS1_30default_config_static_selectorELNS0_4arch9wavefront6targetE0EEEvT1_.uses_flat_scratch, 0
	.set _ZN7rocprim17ROCPRIM_400000_NS6detail17trampoline_kernelINS0_14default_configENS1_27scan_by_key_config_selectorIijEEZZNS1_16scan_by_key_implILNS1_25lookback_scan_determinismE0ELb0ES3_N6thrust23THRUST_200600_302600_NS6detail15normal_iteratorINS9_10device_ptrIiEEEENSB_INSC_IjEEEENSB_INSC_IfEEEEjNS9_4plusIvEENS9_8equal_toIvEEjEE10hipError_tPvRmT2_T3_T4_T5_mT6_T7_P12ihipStream_tbENKUlT_T0_E_clISt17integral_constantIbLb0EES12_IbLb1EEEEDaSY_SZ_EUlSY_E_NS1_11comp_targetILNS1_3genE9ELNS1_11target_archE1100ELNS1_3gpuE3ELNS1_3repE0EEENS1_30default_config_static_selectorELNS0_4arch9wavefront6targetE0EEEvT1_.has_dyn_sized_stack, 0
	.set _ZN7rocprim17ROCPRIM_400000_NS6detail17trampoline_kernelINS0_14default_configENS1_27scan_by_key_config_selectorIijEEZZNS1_16scan_by_key_implILNS1_25lookback_scan_determinismE0ELb0ES3_N6thrust23THRUST_200600_302600_NS6detail15normal_iteratorINS9_10device_ptrIiEEEENSB_INSC_IjEEEENSB_INSC_IfEEEEjNS9_4plusIvEENS9_8equal_toIvEEjEE10hipError_tPvRmT2_T3_T4_T5_mT6_T7_P12ihipStream_tbENKUlT_T0_E_clISt17integral_constantIbLb0EES12_IbLb1EEEEDaSY_SZ_EUlSY_E_NS1_11comp_targetILNS1_3genE9ELNS1_11target_archE1100ELNS1_3gpuE3ELNS1_3repE0EEENS1_30default_config_static_selectorELNS0_4arch9wavefront6targetE0EEEvT1_.has_recursion, 0
	.set _ZN7rocprim17ROCPRIM_400000_NS6detail17trampoline_kernelINS0_14default_configENS1_27scan_by_key_config_selectorIijEEZZNS1_16scan_by_key_implILNS1_25lookback_scan_determinismE0ELb0ES3_N6thrust23THRUST_200600_302600_NS6detail15normal_iteratorINS9_10device_ptrIiEEEENSB_INSC_IjEEEENSB_INSC_IfEEEEjNS9_4plusIvEENS9_8equal_toIvEEjEE10hipError_tPvRmT2_T3_T4_T5_mT6_T7_P12ihipStream_tbENKUlT_T0_E_clISt17integral_constantIbLb0EES12_IbLb1EEEEDaSY_SZ_EUlSY_E_NS1_11comp_targetILNS1_3genE9ELNS1_11target_archE1100ELNS1_3gpuE3ELNS1_3repE0EEENS1_30default_config_static_selectorELNS0_4arch9wavefront6targetE0EEEvT1_.has_indirect_call, 0
	.section	.AMDGPU.csdata,"",@progbits
; Kernel info:
; codeLenInByte = 0
; TotalNumSgprs: 0
; NumVgprs: 0
; ScratchSize: 0
; MemoryBound: 0
; FloatMode: 240
; IeeeMode: 1
; LDSByteSize: 0 bytes/workgroup (compile time only)
; SGPRBlocks: 0
; VGPRBlocks: 0
; NumSGPRsForWavesPerEU: 1
; NumVGPRsForWavesPerEU: 1
; NamedBarCnt: 0
; Occupancy: 16
; WaveLimiterHint : 0
; COMPUTE_PGM_RSRC2:SCRATCH_EN: 0
; COMPUTE_PGM_RSRC2:USER_SGPR: 2
; COMPUTE_PGM_RSRC2:TRAP_HANDLER: 0
; COMPUTE_PGM_RSRC2:TGID_X_EN: 1
; COMPUTE_PGM_RSRC2:TGID_Y_EN: 0
; COMPUTE_PGM_RSRC2:TGID_Z_EN: 0
; COMPUTE_PGM_RSRC2:TIDIG_COMP_CNT: 0
	.section	.text._ZN7rocprim17ROCPRIM_400000_NS6detail17trampoline_kernelINS0_14default_configENS1_27scan_by_key_config_selectorIijEEZZNS1_16scan_by_key_implILNS1_25lookback_scan_determinismE0ELb0ES3_N6thrust23THRUST_200600_302600_NS6detail15normal_iteratorINS9_10device_ptrIiEEEENSB_INSC_IjEEEENSB_INSC_IfEEEEjNS9_4plusIvEENS9_8equal_toIvEEjEE10hipError_tPvRmT2_T3_T4_T5_mT6_T7_P12ihipStream_tbENKUlT_T0_E_clISt17integral_constantIbLb0EES12_IbLb1EEEEDaSY_SZ_EUlSY_E_NS1_11comp_targetILNS1_3genE8ELNS1_11target_archE1030ELNS1_3gpuE2ELNS1_3repE0EEENS1_30default_config_static_selectorELNS0_4arch9wavefront6targetE0EEEvT1_,"axG",@progbits,_ZN7rocprim17ROCPRIM_400000_NS6detail17trampoline_kernelINS0_14default_configENS1_27scan_by_key_config_selectorIijEEZZNS1_16scan_by_key_implILNS1_25lookback_scan_determinismE0ELb0ES3_N6thrust23THRUST_200600_302600_NS6detail15normal_iteratorINS9_10device_ptrIiEEEENSB_INSC_IjEEEENSB_INSC_IfEEEEjNS9_4plusIvEENS9_8equal_toIvEEjEE10hipError_tPvRmT2_T3_T4_T5_mT6_T7_P12ihipStream_tbENKUlT_T0_E_clISt17integral_constantIbLb0EES12_IbLb1EEEEDaSY_SZ_EUlSY_E_NS1_11comp_targetILNS1_3genE8ELNS1_11target_archE1030ELNS1_3gpuE2ELNS1_3repE0EEENS1_30default_config_static_selectorELNS0_4arch9wavefront6targetE0EEEvT1_,comdat
	.protected	_ZN7rocprim17ROCPRIM_400000_NS6detail17trampoline_kernelINS0_14default_configENS1_27scan_by_key_config_selectorIijEEZZNS1_16scan_by_key_implILNS1_25lookback_scan_determinismE0ELb0ES3_N6thrust23THRUST_200600_302600_NS6detail15normal_iteratorINS9_10device_ptrIiEEEENSB_INSC_IjEEEENSB_INSC_IfEEEEjNS9_4plusIvEENS9_8equal_toIvEEjEE10hipError_tPvRmT2_T3_T4_T5_mT6_T7_P12ihipStream_tbENKUlT_T0_E_clISt17integral_constantIbLb0EES12_IbLb1EEEEDaSY_SZ_EUlSY_E_NS1_11comp_targetILNS1_3genE8ELNS1_11target_archE1030ELNS1_3gpuE2ELNS1_3repE0EEENS1_30default_config_static_selectorELNS0_4arch9wavefront6targetE0EEEvT1_ ; -- Begin function _ZN7rocprim17ROCPRIM_400000_NS6detail17trampoline_kernelINS0_14default_configENS1_27scan_by_key_config_selectorIijEEZZNS1_16scan_by_key_implILNS1_25lookback_scan_determinismE0ELb0ES3_N6thrust23THRUST_200600_302600_NS6detail15normal_iteratorINS9_10device_ptrIiEEEENSB_INSC_IjEEEENSB_INSC_IfEEEEjNS9_4plusIvEENS9_8equal_toIvEEjEE10hipError_tPvRmT2_T3_T4_T5_mT6_T7_P12ihipStream_tbENKUlT_T0_E_clISt17integral_constantIbLb0EES12_IbLb1EEEEDaSY_SZ_EUlSY_E_NS1_11comp_targetILNS1_3genE8ELNS1_11target_archE1030ELNS1_3gpuE2ELNS1_3repE0EEENS1_30default_config_static_selectorELNS0_4arch9wavefront6targetE0EEEvT1_
	.globl	_ZN7rocprim17ROCPRIM_400000_NS6detail17trampoline_kernelINS0_14default_configENS1_27scan_by_key_config_selectorIijEEZZNS1_16scan_by_key_implILNS1_25lookback_scan_determinismE0ELb0ES3_N6thrust23THRUST_200600_302600_NS6detail15normal_iteratorINS9_10device_ptrIiEEEENSB_INSC_IjEEEENSB_INSC_IfEEEEjNS9_4plusIvEENS9_8equal_toIvEEjEE10hipError_tPvRmT2_T3_T4_T5_mT6_T7_P12ihipStream_tbENKUlT_T0_E_clISt17integral_constantIbLb0EES12_IbLb1EEEEDaSY_SZ_EUlSY_E_NS1_11comp_targetILNS1_3genE8ELNS1_11target_archE1030ELNS1_3gpuE2ELNS1_3repE0EEENS1_30default_config_static_selectorELNS0_4arch9wavefront6targetE0EEEvT1_
	.p2align	8
	.type	_ZN7rocprim17ROCPRIM_400000_NS6detail17trampoline_kernelINS0_14default_configENS1_27scan_by_key_config_selectorIijEEZZNS1_16scan_by_key_implILNS1_25lookback_scan_determinismE0ELb0ES3_N6thrust23THRUST_200600_302600_NS6detail15normal_iteratorINS9_10device_ptrIiEEEENSB_INSC_IjEEEENSB_INSC_IfEEEEjNS9_4plusIvEENS9_8equal_toIvEEjEE10hipError_tPvRmT2_T3_T4_T5_mT6_T7_P12ihipStream_tbENKUlT_T0_E_clISt17integral_constantIbLb0EES12_IbLb1EEEEDaSY_SZ_EUlSY_E_NS1_11comp_targetILNS1_3genE8ELNS1_11target_archE1030ELNS1_3gpuE2ELNS1_3repE0EEENS1_30default_config_static_selectorELNS0_4arch9wavefront6targetE0EEEvT1_,@function
_ZN7rocprim17ROCPRIM_400000_NS6detail17trampoline_kernelINS0_14default_configENS1_27scan_by_key_config_selectorIijEEZZNS1_16scan_by_key_implILNS1_25lookback_scan_determinismE0ELb0ES3_N6thrust23THRUST_200600_302600_NS6detail15normal_iteratorINS9_10device_ptrIiEEEENSB_INSC_IjEEEENSB_INSC_IfEEEEjNS9_4plusIvEENS9_8equal_toIvEEjEE10hipError_tPvRmT2_T3_T4_T5_mT6_T7_P12ihipStream_tbENKUlT_T0_E_clISt17integral_constantIbLb0EES12_IbLb1EEEEDaSY_SZ_EUlSY_E_NS1_11comp_targetILNS1_3genE8ELNS1_11target_archE1030ELNS1_3gpuE2ELNS1_3repE0EEENS1_30default_config_static_selectorELNS0_4arch9wavefront6targetE0EEEvT1_: ; @_ZN7rocprim17ROCPRIM_400000_NS6detail17trampoline_kernelINS0_14default_configENS1_27scan_by_key_config_selectorIijEEZZNS1_16scan_by_key_implILNS1_25lookback_scan_determinismE0ELb0ES3_N6thrust23THRUST_200600_302600_NS6detail15normal_iteratorINS9_10device_ptrIiEEEENSB_INSC_IjEEEENSB_INSC_IfEEEEjNS9_4plusIvEENS9_8equal_toIvEEjEE10hipError_tPvRmT2_T3_T4_T5_mT6_T7_P12ihipStream_tbENKUlT_T0_E_clISt17integral_constantIbLb0EES12_IbLb1EEEEDaSY_SZ_EUlSY_E_NS1_11comp_targetILNS1_3genE8ELNS1_11target_archE1030ELNS1_3gpuE2ELNS1_3repE0EEENS1_30default_config_static_selectorELNS0_4arch9wavefront6targetE0EEEvT1_
; %bb.0:
	.section	.rodata,"a",@progbits
	.p2align	6, 0x0
	.amdhsa_kernel _ZN7rocprim17ROCPRIM_400000_NS6detail17trampoline_kernelINS0_14default_configENS1_27scan_by_key_config_selectorIijEEZZNS1_16scan_by_key_implILNS1_25lookback_scan_determinismE0ELb0ES3_N6thrust23THRUST_200600_302600_NS6detail15normal_iteratorINS9_10device_ptrIiEEEENSB_INSC_IjEEEENSB_INSC_IfEEEEjNS9_4plusIvEENS9_8equal_toIvEEjEE10hipError_tPvRmT2_T3_T4_T5_mT6_T7_P12ihipStream_tbENKUlT_T0_E_clISt17integral_constantIbLb0EES12_IbLb1EEEEDaSY_SZ_EUlSY_E_NS1_11comp_targetILNS1_3genE8ELNS1_11target_archE1030ELNS1_3gpuE2ELNS1_3repE0EEENS1_30default_config_static_selectorELNS0_4arch9wavefront6targetE0EEEvT1_
		.amdhsa_group_segment_fixed_size 0
		.amdhsa_private_segment_fixed_size 0
		.amdhsa_kernarg_size 112
		.amdhsa_user_sgpr_count 2
		.amdhsa_user_sgpr_dispatch_ptr 0
		.amdhsa_user_sgpr_queue_ptr 0
		.amdhsa_user_sgpr_kernarg_segment_ptr 1
		.amdhsa_user_sgpr_dispatch_id 0
		.amdhsa_user_sgpr_kernarg_preload_length 0
		.amdhsa_user_sgpr_kernarg_preload_offset 0
		.amdhsa_user_sgpr_private_segment_size 0
		.amdhsa_wavefront_size32 1
		.amdhsa_uses_dynamic_stack 0
		.amdhsa_enable_private_segment 0
		.amdhsa_system_sgpr_workgroup_id_x 1
		.amdhsa_system_sgpr_workgroup_id_y 0
		.amdhsa_system_sgpr_workgroup_id_z 0
		.amdhsa_system_sgpr_workgroup_info 0
		.amdhsa_system_vgpr_workitem_id 0
		.amdhsa_next_free_vgpr 1
		.amdhsa_next_free_sgpr 1
		.amdhsa_named_barrier_count 0
		.amdhsa_reserve_vcc 0
		.amdhsa_float_round_mode_32 0
		.amdhsa_float_round_mode_16_64 0
		.amdhsa_float_denorm_mode_32 3
		.amdhsa_float_denorm_mode_16_64 3
		.amdhsa_fp16_overflow 0
		.amdhsa_memory_ordered 1
		.amdhsa_forward_progress 1
		.amdhsa_inst_pref_size 0
		.amdhsa_round_robin_scheduling 0
		.amdhsa_exception_fp_ieee_invalid_op 0
		.amdhsa_exception_fp_denorm_src 0
		.amdhsa_exception_fp_ieee_div_zero 0
		.amdhsa_exception_fp_ieee_overflow 0
		.amdhsa_exception_fp_ieee_underflow 0
		.amdhsa_exception_fp_ieee_inexact 0
		.amdhsa_exception_int_div_zero 0
	.end_amdhsa_kernel
	.section	.text._ZN7rocprim17ROCPRIM_400000_NS6detail17trampoline_kernelINS0_14default_configENS1_27scan_by_key_config_selectorIijEEZZNS1_16scan_by_key_implILNS1_25lookback_scan_determinismE0ELb0ES3_N6thrust23THRUST_200600_302600_NS6detail15normal_iteratorINS9_10device_ptrIiEEEENSB_INSC_IjEEEENSB_INSC_IfEEEEjNS9_4plusIvEENS9_8equal_toIvEEjEE10hipError_tPvRmT2_T3_T4_T5_mT6_T7_P12ihipStream_tbENKUlT_T0_E_clISt17integral_constantIbLb0EES12_IbLb1EEEEDaSY_SZ_EUlSY_E_NS1_11comp_targetILNS1_3genE8ELNS1_11target_archE1030ELNS1_3gpuE2ELNS1_3repE0EEENS1_30default_config_static_selectorELNS0_4arch9wavefront6targetE0EEEvT1_,"axG",@progbits,_ZN7rocprim17ROCPRIM_400000_NS6detail17trampoline_kernelINS0_14default_configENS1_27scan_by_key_config_selectorIijEEZZNS1_16scan_by_key_implILNS1_25lookback_scan_determinismE0ELb0ES3_N6thrust23THRUST_200600_302600_NS6detail15normal_iteratorINS9_10device_ptrIiEEEENSB_INSC_IjEEEENSB_INSC_IfEEEEjNS9_4plusIvEENS9_8equal_toIvEEjEE10hipError_tPvRmT2_T3_T4_T5_mT6_T7_P12ihipStream_tbENKUlT_T0_E_clISt17integral_constantIbLb0EES12_IbLb1EEEEDaSY_SZ_EUlSY_E_NS1_11comp_targetILNS1_3genE8ELNS1_11target_archE1030ELNS1_3gpuE2ELNS1_3repE0EEENS1_30default_config_static_selectorELNS0_4arch9wavefront6targetE0EEEvT1_,comdat
.Lfunc_end1679:
	.size	_ZN7rocprim17ROCPRIM_400000_NS6detail17trampoline_kernelINS0_14default_configENS1_27scan_by_key_config_selectorIijEEZZNS1_16scan_by_key_implILNS1_25lookback_scan_determinismE0ELb0ES3_N6thrust23THRUST_200600_302600_NS6detail15normal_iteratorINS9_10device_ptrIiEEEENSB_INSC_IjEEEENSB_INSC_IfEEEEjNS9_4plusIvEENS9_8equal_toIvEEjEE10hipError_tPvRmT2_T3_T4_T5_mT6_T7_P12ihipStream_tbENKUlT_T0_E_clISt17integral_constantIbLb0EES12_IbLb1EEEEDaSY_SZ_EUlSY_E_NS1_11comp_targetILNS1_3genE8ELNS1_11target_archE1030ELNS1_3gpuE2ELNS1_3repE0EEENS1_30default_config_static_selectorELNS0_4arch9wavefront6targetE0EEEvT1_, .Lfunc_end1679-_ZN7rocprim17ROCPRIM_400000_NS6detail17trampoline_kernelINS0_14default_configENS1_27scan_by_key_config_selectorIijEEZZNS1_16scan_by_key_implILNS1_25lookback_scan_determinismE0ELb0ES3_N6thrust23THRUST_200600_302600_NS6detail15normal_iteratorINS9_10device_ptrIiEEEENSB_INSC_IjEEEENSB_INSC_IfEEEEjNS9_4plusIvEENS9_8equal_toIvEEjEE10hipError_tPvRmT2_T3_T4_T5_mT6_T7_P12ihipStream_tbENKUlT_T0_E_clISt17integral_constantIbLb0EES12_IbLb1EEEEDaSY_SZ_EUlSY_E_NS1_11comp_targetILNS1_3genE8ELNS1_11target_archE1030ELNS1_3gpuE2ELNS1_3repE0EEENS1_30default_config_static_selectorELNS0_4arch9wavefront6targetE0EEEvT1_
                                        ; -- End function
	.set _ZN7rocprim17ROCPRIM_400000_NS6detail17trampoline_kernelINS0_14default_configENS1_27scan_by_key_config_selectorIijEEZZNS1_16scan_by_key_implILNS1_25lookback_scan_determinismE0ELb0ES3_N6thrust23THRUST_200600_302600_NS6detail15normal_iteratorINS9_10device_ptrIiEEEENSB_INSC_IjEEEENSB_INSC_IfEEEEjNS9_4plusIvEENS9_8equal_toIvEEjEE10hipError_tPvRmT2_T3_T4_T5_mT6_T7_P12ihipStream_tbENKUlT_T0_E_clISt17integral_constantIbLb0EES12_IbLb1EEEEDaSY_SZ_EUlSY_E_NS1_11comp_targetILNS1_3genE8ELNS1_11target_archE1030ELNS1_3gpuE2ELNS1_3repE0EEENS1_30default_config_static_selectorELNS0_4arch9wavefront6targetE0EEEvT1_.num_vgpr, 0
	.set _ZN7rocprim17ROCPRIM_400000_NS6detail17trampoline_kernelINS0_14default_configENS1_27scan_by_key_config_selectorIijEEZZNS1_16scan_by_key_implILNS1_25lookback_scan_determinismE0ELb0ES3_N6thrust23THRUST_200600_302600_NS6detail15normal_iteratorINS9_10device_ptrIiEEEENSB_INSC_IjEEEENSB_INSC_IfEEEEjNS9_4plusIvEENS9_8equal_toIvEEjEE10hipError_tPvRmT2_T3_T4_T5_mT6_T7_P12ihipStream_tbENKUlT_T0_E_clISt17integral_constantIbLb0EES12_IbLb1EEEEDaSY_SZ_EUlSY_E_NS1_11comp_targetILNS1_3genE8ELNS1_11target_archE1030ELNS1_3gpuE2ELNS1_3repE0EEENS1_30default_config_static_selectorELNS0_4arch9wavefront6targetE0EEEvT1_.num_agpr, 0
	.set _ZN7rocprim17ROCPRIM_400000_NS6detail17trampoline_kernelINS0_14default_configENS1_27scan_by_key_config_selectorIijEEZZNS1_16scan_by_key_implILNS1_25lookback_scan_determinismE0ELb0ES3_N6thrust23THRUST_200600_302600_NS6detail15normal_iteratorINS9_10device_ptrIiEEEENSB_INSC_IjEEEENSB_INSC_IfEEEEjNS9_4plusIvEENS9_8equal_toIvEEjEE10hipError_tPvRmT2_T3_T4_T5_mT6_T7_P12ihipStream_tbENKUlT_T0_E_clISt17integral_constantIbLb0EES12_IbLb1EEEEDaSY_SZ_EUlSY_E_NS1_11comp_targetILNS1_3genE8ELNS1_11target_archE1030ELNS1_3gpuE2ELNS1_3repE0EEENS1_30default_config_static_selectorELNS0_4arch9wavefront6targetE0EEEvT1_.numbered_sgpr, 0
	.set _ZN7rocprim17ROCPRIM_400000_NS6detail17trampoline_kernelINS0_14default_configENS1_27scan_by_key_config_selectorIijEEZZNS1_16scan_by_key_implILNS1_25lookback_scan_determinismE0ELb0ES3_N6thrust23THRUST_200600_302600_NS6detail15normal_iteratorINS9_10device_ptrIiEEEENSB_INSC_IjEEEENSB_INSC_IfEEEEjNS9_4plusIvEENS9_8equal_toIvEEjEE10hipError_tPvRmT2_T3_T4_T5_mT6_T7_P12ihipStream_tbENKUlT_T0_E_clISt17integral_constantIbLb0EES12_IbLb1EEEEDaSY_SZ_EUlSY_E_NS1_11comp_targetILNS1_3genE8ELNS1_11target_archE1030ELNS1_3gpuE2ELNS1_3repE0EEENS1_30default_config_static_selectorELNS0_4arch9wavefront6targetE0EEEvT1_.num_named_barrier, 0
	.set _ZN7rocprim17ROCPRIM_400000_NS6detail17trampoline_kernelINS0_14default_configENS1_27scan_by_key_config_selectorIijEEZZNS1_16scan_by_key_implILNS1_25lookback_scan_determinismE0ELb0ES3_N6thrust23THRUST_200600_302600_NS6detail15normal_iteratorINS9_10device_ptrIiEEEENSB_INSC_IjEEEENSB_INSC_IfEEEEjNS9_4plusIvEENS9_8equal_toIvEEjEE10hipError_tPvRmT2_T3_T4_T5_mT6_T7_P12ihipStream_tbENKUlT_T0_E_clISt17integral_constantIbLb0EES12_IbLb1EEEEDaSY_SZ_EUlSY_E_NS1_11comp_targetILNS1_3genE8ELNS1_11target_archE1030ELNS1_3gpuE2ELNS1_3repE0EEENS1_30default_config_static_selectorELNS0_4arch9wavefront6targetE0EEEvT1_.private_seg_size, 0
	.set _ZN7rocprim17ROCPRIM_400000_NS6detail17trampoline_kernelINS0_14default_configENS1_27scan_by_key_config_selectorIijEEZZNS1_16scan_by_key_implILNS1_25lookback_scan_determinismE0ELb0ES3_N6thrust23THRUST_200600_302600_NS6detail15normal_iteratorINS9_10device_ptrIiEEEENSB_INSC_IjEEEENSB_INSC_IfEEEEjNS9_4plusIvEENS9_8equal_toIvEEjEE10hipError_tPvRmT2_T3_T4_T5_mT6_T7_P12ihipStream_tbENKUlT_T0_E_clISt17integral_constantIbLb0EES12_IbLb1EEEEDaSY_SZ_EUlSY_E_NS1_11comp_targetILNS1_3genE8ELNS1_11target_archE1030ELNS1_3gpuE2ELNS1_3repE0EEENS1_30default_config_static_selectorELNS0_4arch9wavefront6targetE0EEEvT1_.uses_vcc, 0
	.set _ZN7rocprim17ROCPRIM_400000_NS6detail17trampoline_kernelINS0_14default_configENS1_27scan_by_key_config_selectorIijEEZZNS1_16scan_by_key_implILNS1_25lookback_scan_determinismE0ELb0ES3_N6thrust23THRUST_200600_302600_NS6detail15normal_iteratorINS9_10device_ptrIiEEEENSB_INSC_IjEEEENSB_INSC_IfEEEEjNS9_4plusIvEENS9_8equal_toIvEEjEE10hipError_tPvRmT2_T3_T4_T5_mT6_T7_P12ihipStream_tbENKUlT_T0_E_clISt17integral_constantIbLb0EES12_IbLb1EEEEDaSY_SZ_EUlSY_E_NS1_11comp_targetILNS1_3genE8ELNS1_11target_archE1030ELNS1_3gpuE2ELNS1_3repE0EEENS1_30default_config_static_selectorELNS0_4arch9wavefront6targetE0EEEvT1_.uses_flat_scratch, 0
	.set _ZN7rocprim17ROCPRIM_400000_NS6detail17trampoline_kernelINS0_14default_configENS1_27scan_by_key_config_selectorIijEEZZNS1_16scan_by_key_implILNS1_25lookback_scan_determinismE0ELb0ES3_N6thrust23THRUST_200600_302600_NS6detail15normal_iteratorINS9_10device_ptrIiEEEENSB_INSC_IjEEEENSB_INSC_IfEEEEjNS9_4plusIvEENS9_8equal_toIvEEjEE10hipError_tPvRmT2_T3_T4_T5_mT6_T7_P12ihipStream_tbENKUlT_T0_E_clISt17integral_constantIbLb0EES12_IbLb1EEEEDaSY_SZ_EUlSY_E_NS1_11comp_targetILNS1_3genE8ELNS1_11target_archE1030ELNS1_3gpuE2ELNS1_3repE0EEENS1_30default_config_static_selectorELNS0_4arch9wavefront6targetE0EEEvT1_.has_dyn_sized_stack, 0
	.set _ZN7rocprim17ROCPRIM_400000_NS6detail17trampoline_kernelINS0_14default_configENS1_27scan_by_key_config_selectorIijEEZZNS1_16scan_by_key_implILNS1_25lookback_scan_determinismE0ELb0ES3_N6thrust23THRUST_200600_302600_NS6detail15normal_iteratorINS9_10device_ptrIiEEEENSB_INSC_IjEEEENSB_INSC_IfEEEEjNS9_4plusIvEENS9_8equal_toIvEEjEE10hipError_tPvRmT2_T3_T4_T5_mT6_T7_P12ihipStream_tbENKUlT_T0_E_clISt17integral_constantIbLb0EES12_IbLb1EEEEDaSY_SZ_EUlSY_E_NS1_11comp_targetILNS1_3genE8ELNS1_11target_archE1030ELNS1_3gpuE2ELNS1_3repE0EEENS1_30default_config_static_selectorELNS0_4arch9wavefront6targetE0EEEvT1_.has_recursion, 0
	.set _ZN7rocprim17ROCPRIM_400000_NS6detail17trampoline_kernelINS0_14default_configENS1_27scan_by_key_config_selectorIijEEZZNS1_16scan_by_key_implILNS1_25lookback_scan_determinismE0ELb0ES3_N6thrust23THRUST_200600_302600_NS6detail15normal_iteratorINS9_10device_ptrIiEEEENSB_INSC_IjEEEENSB_INSC_IfEEEEjNS9_4plusIvEENS9_8equal_toIvEEjEE10hipError_tPvRmT2_T3_T4_T5_mT6_T7_P12ihipStream_tbENKUlT_T0_E_clISt17integral_constantIbLb0EES12_IbLb1EEEEDaSY_SZ_EUlSY_E_NS1_11comp_targetILNS1_3genE8ELNS1_11target_archE1030ELNS1_3gpuE2ELNS1_3repE0EEENS1_30default_config_static_selectorELNS0_4arch9wavefront6targetE0EEEvT1_.has_indirect_call, 0
	.section	.AMDGPU.csdata,"",@progbits
; Kernel info:
; codeLenInByte = 0
; TotalNumSgprs: 0
; NumVgprs: 0
; ScratchSize: 0
; MemoryBound: 0
; FloatMode: 240
; IeeeMode: 1
; LDSByteSize: 0 bytes/workgroup (compile time only)
; SGPRBlocks: 0
; VGPRBlocks: 0
; NumSGPRsForWavesPerEU: 1
; NumVGPRsForWavesPerEU: 1
; NamedBarCnt: 0
; Occupancy: 16
; WaveLimiterHint : 0
; COMPUTE_PGM_RSRC2:SCRATCH_EN: 0
; COMPUTE_PGM_RSRC2:USER_SGPR: 2
; COMPUTE_PGM_RSRC2:TRAP_HANDLER: 0
; COMPUTE_PGM_RSRC2:TGID_X_EN: 1
; COMPUTE_PGM_RSRC2:TGID_Y_EN: 0
; COMPUTE_PGM_RSRC2:TGID_Z_EN: 0
; COMPUTE_PGM_RSRC2:TIDIG_COMP_CNT: 0
	.section	.text._ZN7rocprim17ROCPRIM_400000_NS6detail17trampoline_kernelINS0_14default_configENS1_27scan_by_key_config_selectorIifEEZZNS1_16scan_by_key_implILNS1_25lookback_scan_determinismE0ELb1ES3_N6thrust23THRUST_200600_302600_NS6detail15normal_iteratorINS9_10device_ptrIiEEEENSB_INSC_IjEEEENSB_INSC_IfEEEEfNS9_4plusIvEENS9_8equal_toIvEEfEE10hipError_tPvRmT2_T3_T4_T5_mT6_T7_P12ihipStream_tbENKUlT_T0_E_clISt17integral_constantIbLb0EES13_EEDaSY_SZ_EUlSY_E_NS1_11comp_targetILNS1_3genE0ELNS1_11target_archE4294967295ELNS1_3gpuE0ELNS1_3repE0EEENS1_30default_config_static_selectorELNS0_4arch9wavefront6targetE0EEEvT1_,"axG",@progbits,_ZN7rocprim17ROCPRIM_400000_NS6detail17trampoline_kernelINS0_14default_configENS1_27scan_by_key_config_selectorIifEEZZNS1_16scan_by_key_implILNS1_25lookback_scan_determinismE0ELb1ES3_N6thrust23THRUST_200600_302600_NS6detail15normal_iteratorINS9_10device_ptrIiEEEENSB_INSC_IjEEEENSB_INSC_IfEEEEfNS9_4plusIvEENS9_8equal_toIvEEfEE10hipError_tPvRmT2_T3_T4_T5_mT6_T7_P12ihipStream_tbENKUlT_T0_E_clISt17integral_constantIbLb0EES13_EEDaSY_SZ_EUlSY_E_NS1_11comp_targetILNS1_3genE0ELNS1_11target_archE4294967295ELNS1_3gpuE0ELNS1_3repE0EEENS1_30default_config_static_selectorELNS0_4arch9wavefront6targetE0EEEvT1_,comdat
	.protected	_ZN7rocprim17ROCPRIM_400000_NS6detail17trampoline_kernelINS0_14default_configENS1_27scan_by_key_config_selectorIifEEZZNS1_16scan_by_key_implILNS1_25lookback_scan_determinismE0ELb1ES3_N6thrust23THRUST_200600_302600_NS6detail15normal_iteratorINS9_10device_ptrIiEEEENSB_INSC_IjEEEENSB_INSC_IfEEEEfNS9_4plusIvEENS9_8equal_toIvEEfEE10hipError_tPvRmT2_T3_T4_T5_mT6_T7_P12ihipStream_tbENKUlT_T0_E_clISt17integral_constantIbLb0EES13_EEDaSY_SZ_EUlSY_E_NS1_11comp_targetILNS1_3genE0ELNS1_11target_archE4294967295ELNS1_3gpuE0ELNS1_3repE0EEENS1_30default_config_static_selectorELNS0_4arch9wavefront6targetE0EEEvT1_ ; -- Begin function _ZN7rocprim17ROCPRIM_400000_NS6detail17trampoline_kernelINS0_14default_configENS1_27scan_by_key_config_selectorIifEEZZNS1_16scan_by_key_implILNS1_25lookback_scan_determinismE0ELb1ES3_N6thrust23THRUST_200600_302600_NS6detail15normal_iteratorINS9_10device_ptrIiEEEENSB_INSC_IjEEEENSB_INSC_IfEEEEfNS9_4plusIvEENS9_8equal_toIvEEfEE10hipError_tPvRmT2_T3_T4_T5_mT6_T7_P12ihipStream_tbENKUlT_T0_E_clISt17integral_constantIbLb0EES13_EEDaSY_SZ_EUlSY_E_NS1_11comp_targetILNS1_3genE0ELNS1_11target_archE4294967295ELNS1_3gpuE0ELNS1_3repE0EEENS1_30default_config_static_selectorELNS0_4arch9wavefront6targetE0EEEvT1_
	.globl	_ZN7rocprim17ROCPRIM_400000_NS6detail17trampoline_kernelINS0_14default_configENS1_27scan_by_key_config_selectorIifEEZZNS1_16scan_by_key_implILNS1_25lookback_scan_determinismE0ELb1ES3_N6thrust23THRUST_200600_302600_NS6detail15normal_iteratorINS9_10device_ptrIiEEEENSB_INSC_IjEEEENSB_INSC_IfEEEEfNS9_4plusIvEENS9_8equal_toIvEEfEE10hipError_tPvRmT2_T3_T4_T5_mT6_T7_P12ihipStream_tbENKUlT_T0_E_clISt17integral_constantIbLb0EES13_EEDaSY_SZ_EUlSY_E_NS1_11comp_targetILNS1_3genE0ELNS1_11target_archE4294967295ELNS1_3gpuE0ELNS1_3repE0EEENS1_30default_config_static_selectorELNS0_4arch9wavefront6targetE0EEEvT1_
	.p2align	8
	.type	_ZN7rocprim17ROCPRIM_400000_NS6detail17trampoline_kernelINS0_14default_configENS1_27scan_by_key_config_selectorIifEEZZNS1_16scan_by_key_implILNS1_25lookback_scan_determinismE0ELb1ES3_N6thrust23THRUST_200600_302600_NS6detail15normal_iteratorINS9_10device_ptrIiEEEENSB_INSC_IjEEEENSB_INSC_IfEEEEfNS9_4plusIvEENS9_8equal_toIvEEfEE10hipError_tPvRmT2_T3_T4_T5_mT6_T7_P12ihipStream_tbENKUlT_T0_E_clISt17integral_constantIbLb0EES13_EEDaSY_SZ_EUlSY_E_NS1_11comp_targetILNS1_3genE0ELNS1_11target_archE4294967295ELNS1_3gpuE0ELNS1_3repE0EEENS1_30default_config_static_selectorELNS0_4arch9wavefront6targetE0EEEvT1_,@function
_ZN7rocprim17ROCPRIM_400000_NS6detail17trampoline_kernelINS0_14default_configENS1_27scan_by_key_config_selectorIifEEZZNS1_16scan_by_key_implILNS1_25lookback_scan_determinismE0ELb1ES3_N6thrust23THRUST_200600_302600_NS6detail15normal_iteratorINS9_10device_ptrIiEEEENSB_INSC_IjEEEENSB_INSC_IfEEEEfNS9_4plusIvEENS9_8equal_toIvEEfEE10hipError_tPvRmT2_T3_T4_T5_mT6_T7_P12ihipStream_tbENKUlT_T0_E_clISt17integral_constantIbLb0EES13_EEDaSY_SZ_EUlSY_E_NS1_11comp_targetILNS1_3genE0ELNS1_11target_archE4294967295ELNS1_3gpuE0ELNS1_3repE0EEENS1_30default_config_static_selectorELNS0_4arch9wavefront6targetE0EEEvT1_: ; @_ZN7rocprim17ROCPRIM_400000_NS6detail17trampoline_kernelINS0_14default_configENS1_27scan_by_key_config_selectorIifEEZZNS1_16scan_by_key_implILNS1_25lookback_scan_determinismE0ELb1ES3_N6thrust23THRUST_200600_302600_NS6detail15normal_iteratorINS9_10device_ptrIiEEEENSB_INSC_IjEEEENSB_INSC_IfEEEEfNS9_4plusIvEENS9_8equal_toIvEEfEE10hipError_tPvRmT2_T3_T4_T5_mT6_T7_P12ihipStream_tbENKUlT_T0_E_clISt17integral_constantIbLb0EES13_EEDaSY_SZ_EUlSY_E_NS1_11comp_targetILNS1_3genE0ELNS1_11target_archE4294967295ELNS1_3gpuE0ELNS1_3repE0EEENS1_30default_config_static_selectorELNS0_4arch9wavefront6targetE0EEEvT1_
; %bb.0:
	s_clause 0x2
	s_load_b96 s[24:26], s[0:1], 0x38
	s_load_b256 s[8:15], s[0:1], 0x0
	s_load_b128 s[20:23], s[0:1], 0x48
	s_bfe_u32 s4, ttmp6, 0x4000c
	s_delay_alu instid0(SALU_CYCLE_1)
	s_add_co_i32 s4, s4, 1
	s_clause 0x1
	s_load_b32 s33, s[0:1], 0x20
	s_load_b128 s[16:19], s[0:1], 0x28
	s_and_b32 s2, ttmp6, 15
	s_wait_xcnt 0x0
	s_mul_i32 s0, ttmp9, s4
	s_getreg_b32 s5, hwreg(HW_REG_IB_STS2, 6, 4)
	s_add_co_i32 s6, s2, s0
	s_mov_b32 s3, 0
	s_barrier_signal -1
	s_mov_b32 s29, s3
	s_barrier_wait -1
	s_wait_kmcnt 0x0
	s_mov_b32 s2, s26
	s_lshl_b64 s[26:27], s[10:11], 2
	s_cmp_eq_u32 s5, 0
	s_mul_u64 s[4:5], s[24:25], s[2:3]
	s_cselect_b32 s28, ttmp9, s6
	s_add_nc_u64 s[0:1], s[8:9], s[26:27]
	s_add_nc_u64 s[4:5], s[4:5], s[28:29]
	s_add_nc_u64 s[8:9], s[20:21], -1
	s_mul_i32 s2, s28, 0xc00
	v_cmp_ge_u64_e64 s19, s[4:5], s[8:9]
	s_add_nc_u64 s[6:7], s[12:13], s[26:27]
	s_lshl_b64 s[20:21], s[2:3], 2
	s_mul_i32 s29, s8, 0xfffff400
	s_add_nc_u64 s[30:31], s[0:1], s[20:21]
	s_add_nc_u64 s[12:13], s[6:7], s[20:21]
	s_and_b32 vcc_lo, exec_lo, s19
	s_cbranch_vccz .LBB1680_66
; %bb.1:
	v_mov_b32_e32 v1, 0
	s_add_co_i32 s37, s29, s18
	s_delay_alu instid0(SALU_CYCLE_1)
	v_cmp_gt_u32_e32 vcc_lo, s37, v0
	flat_load_b32 v2, v1, s[30:31]
	s_wait_loadcnt_dscnt 0x0
	v_mov_b32_e32 v3, v2
	s_and_saveexec_b32 s0, vcc_lo
	s_cbranch_execz .LBB1680_3
; %bb.2:
	flat_load_b32 v3, v0, s[30:31] scale_offset
.LBB1680_3:
	s_wait_xcnt 0x0
	s_or_b32 exec_lo, exec_lo, s0
	v_or_b32_e32 v1, 0x100, v0
	v_mov_b32_e32 v4, v2
	s_delay_alu instid0(VALU_DEP_2)
	v_cmp_gt_u32_e64 s0, s37, v1
	s_and_saveexec_b32 s1, s0
	s_cbranch_execz .LBB1680_5
; %bb.4:
	flat_load_b32 v4, v0, s[30:31] offset:1024 scale_offset
.LBB1680_5:
	s_wait_xcnt 0x0
	s_or_b32 exec_lo, exec_lo, s1
	v_or_b32_e32 v1, 0x200, v0
	v_mov_b32_e32 v5, v2
	s_delay_alu instid0(VALU_DEP_2)
	v_cmp_gt_u32_e64 s1, s37, v1
	s_and_saveexec_b32 s2, s1
	s_cbranch_execz .LBB1680_7
; %bb.6:
	flat_load_b32 v5, v0, s[30:31] offset:2048 scale_offset
.LBB1680_7:
	s_wait_xcnt 0x0
	s_or_b32 exec_lo, exec_lo, s2
	v_or_b32_e32 v1, 0x300, v0
	v_mov_b32_e32 v6, v2
	s_delay_alu instid0(VALU_DEP_2)
	v_cmp_gt_u32_e64 s2, s37, v1
	s_and_saveexec_b32 s3, s2
	s_cbranch_execz .LBB1680_9
; %bb.8:
	flat_load_b32 v6, v0, s[30:31] offset:3072 scale_offset
.LBB1680_9:
	s_wait_xcnt 0x0
	s_or_b32 exec_lo, exec_lo, s3
	v_or_b32_e32 v1, 0x400, v0
	v_mov_b32_e32 v7, v2
	s_delay_alu instid0(VALU_DEP_2)
	v_cmp_gt_u32_e64 s3, s37, v1
	s_and_saveexec_b32 s4, s3
	s_cbranch_execz .LBB1680_11
; %bb.10:
	flat_load_b32 v7, v0, s[30:31] offset:4096 scale_offset
.LBB1680_11:
	s_wait_xcnt 0x0
	s_or_b32 exec_lo, exec_lo, s4
	v_or_b32_e32 v1, 0x500, v0
	v_mov_b32_e32 v8, v2
	s_delay_alu instid0(VALU_DEP_2)
	v_cmp_gt_u32_e64 s4, s37, v1
	s_and_saveexec_b32 s5, s4
	s_cbranch_execz .LBB1680_13
; %bb.12:
	flat_load_b32 v8, v0, s[30:31] offset:5120 scale_offset
.LBB1680_13:
	s_wait_xcnt 0x0
	s_or_b32 exec_lo, exec_lo, s5
	v_or_b32_e32 v1, 0x600, v0
	v_mov_b32_e32 v9, v2
	s_delay_alu instid0(VALU_DEP_2)
	v_cmp_gt_u32_e64 s5, s37, v1
	s_and_saveexec_b32 s6, s5
	s_cbranch_execz .LBB1680_15
; %bb.14:
	flat_load_b32 v9, v0, s[30:31] offset:6144 scale_offset
.LBB1680_15:
	s_wait_xcnt 0x0
	s_or_b32 exec_lo, exec_lo, s6
	v_or_b32_e32 v1, 0x700, v0
	v_mov_b32_e32 v10, v2
	s_delay_alu instid0(VALU_DEP_2)
	v_cmp_gt_u32_e64 s6, s37, v1
	s_and_saveexec_b32 s7, s6
	s_cbranch_execz .LBB1680_17
; %bb.16:
	flat_load_b32 v10, v0, s[30:31] offset:7168 scale_offset
.LBB1680_17:
	s_wait_xcnt 0x0
	s_or_b32 exec_lo, exec_lo, s7
	v_or_b32_e32 v1, 0x800, v0
	v_mov_b32_e32 v11, v2
	s_delay_alu instid0(VALU_DEP_2)
	v_cmp_gt_u32_e64 s7, s37, v1
	s_and_saveexec_b32 s8, s7
	s_cbranch_execz .LBB1680_19
; %bb.18:
	flat_load_b32 v11, v0, s[30:31] offset:8192 scale_offset
.LBB1680_19:
	s_wait_xcnt 0x0
	s_or_b32 exec_lo, exec_lo, s8
	v_or_b32_e32 v1, 0x900, v0
	v_mov_b32_e32 v12, v2
	s_delay_alu instid0(VALU_DEP_2)
	v_cmp_gt_u32_e64 s8, s37, v1
	s_and_saveexec_b32 s9, s8
	s_cbranch_execz .LBB1680_21
; %bb.20:
	flat_load_b32 v12, v0, s[30:31] offset:9216 scale_offset
.LBB1680_21:
	s_wait_xcnt 0x0
	s_or_b32 exec_lo, exec_lo, s9
	v_or_b32_e32 v1, 0xa00, v0
	v_mov_b32_e32 v13, v2
	s_delay_alu instid0(VALU_DEP_2)
	v_cmp_gt_u32_e64 s9, s37, v1
	s_and_saveexec_b32 s10, s9
	s_cbranch_execz .LBB1680_23
; %bb.22:
	flat_load_b32 v13, v0, s[30:31] offset:10240 scale_offset
.LBB1680_23:
	s_wait_xcnt 0x0
	s_or_b32 exec_lo, exec_lo, s10
	v_or_b32_e32 v1, 0xb00, v0
	s_delay_alu instid0(VALU_DEP_1) | instskip(SKIP_2) | instid1(SALU_CYCLE_1)
	v_cmp_gt_u32_e64 s10, s37, v1
	v_cmp_le_u32_e64 s11, s37, v1
	s_and_saveexec_b32 s34, s11
	s_xor_b32 s11, exec_lo, s34
	s_delay_alu instid0(SALU_CYCLE_1)
	s_and_not1_saveexec_b32 s11, s11
	s_cbranch_execz .LBB1680_25
; %bb.24:
	flat_load_b32 v2, v0, s[30:31] offset:11264 scale_offset
.LBB1680_25:
	s_wait_xcnt 0x0
	s_or_b32 exec_lo, exec_lo, s11
	v_lshlrev_b32_e32 v1, 2, v0
	s_mov_b32 s34, exec_lo
	s_wait_loadcnt_dscnt 0x0
	ds_store_2addr_stride64_b32 v1, v3, v4 offset1:4
	ds_store_2addr_stride64_b32 v1, v5, v6 offset0:8 offset1:12
	ds_store_2addr_stride64_b32 v1, v7, v8 offset0:16 offset1:20
	;; [unrolled: 1-line block ×5, first 2 shown]
	v_mov_b32_e32 v2, 0
	s_wait_dscnt 0x0
	s_barrier_signal -1
	s_barrier_wait -1
	flat_load_b32 v54, v2, s[30:31]
	v_mad_u32_u24 v31, v0, 44, v1
	ds_load_b128 v[10:13], v31
	ds_load_b128 v[6:9], v31 offset:16
	s_wait_xcnt 0x0
	ds_load_b128 v[2:5], v31 offset:32
	v_mad_i32_i24 v14, 0xffffffd4, v0, v31
	s_wait_dscnt 0x2
	ds_store_b32 v14, v10 offset:13312
	s_wait_loadcnt_dscnt 0x0
	s_barrier_signal -1
	s_barrier_wait -1
	v_cmpx_ne_u32_e32 0xff, v0
; %bb.26:
	v_mul_i32_i24_e32 v14, 0xffffffd4, v0
	s_delay_alu instid0(VALU_DEP_1)
	v_add_nc_u32_e32 v14, v31, v14
	ds_load_b32 v54, v14 offset:13316
; %bb.27:
	s_or_b32 exec_lo, exec_lo, s34
	s_wait_dscnt 0x0
	s_barrier_signal -1
	s_barrier_wait -1
                                        ; implicit-def: $vgpr14
	s_and_saveexec_b32 s11, vcc_lo
	s_cbranch_execz .LBB1680_122
; %bb.28:
	flat_load_b32 v14, v0, s[12:13] scale_offset
	s_wait_loadcnt_dscnt 0x0
	v_cvt_f32_u32_e32 v14, v14
	s_or_b32 exec_lo, exec_lo, s11
                                        ; implicit-def: $vgpr15
	s_and_saveexec_b32 s11, s0
	s_cbranch_execnz .LBB1680_123
.LBB1680_29:
	s_or_b32 exec_lo, exec_lo, s11
                                        ; implicit-def: $vgpr16
	s_and_saveexec_b32 s0, s1
	s_cbranch_execz .LBB1680_124
.LBB1680_30:
	flat_load_b32 v16, v0, s[12:13] offset:2048 scale_offset
	s_wait_loadcnt_dscnt 0x0
	v_cvt_f32_u32_e32 v16, v16
	s_or_b32 exec_lo, exec_lo, s0
                                        ; implicit-def: $vgpr17
	s_and_saveexec_b32 s0, s2
	s_cbranch_execnz .LBB1680_125
.LBB1680_31:
	s_or_b32 exec_lo, exec_lo, s0
                                        ; implicit-def: $vgpr18
	s_and_saveexec_b32 s0, s3
	s_cbranch_execz .LBB1680_126
.LBB1680_32:
	flat_load_b32 v18, v0, s[12:13] offset:4096 scale_offset
	s_wait_loadcnt_dscnt 0x0
	v_cvt_f32_u32_e32 v18, v18
	s_or_b32 exec_lo, exec_lo, s0
                                        ; implicit-def: $vgpr19
	s_and_saveexec_b32 s0, s4
	s_cbranch_execnz .LBB1680_127
.LBB1680_33:
	s_or_b32 exec_lo, exec_lo, s0
                                        ; implicit-def: $vgpr20
	s_and_saveexec_b32 s0, s5
	s_cbranch_execz .LBB1680_128
.LBB1680_34:
	flat_load_b32 v20, v0, s[12:13] offset:6144 scale_offset
	s_wait_loadcnt_dscnt 0x0
	v_cvt_f32_u32_e32 v20, v20
	s_or_b32 exec_lo, exec_lo, s0
                                        ; implicit-def: $vgpr21
	s_and_saveexec_b32 s0, s6
	s_cbranch_execnz .LBB1680_129
.LBB1680_35:
	s_or_b32 exec_lo, exec_lo, s0
                                        ; implicit-def: $vgpr22
	s_and_saveexec_b32 s0, s7
	s_cbranch_execz .LBB1680_130
.LBB1680_36:
	flat_load_b32 v22, v0, s[12:13] offset:8192 scale_offset
	s_wait_loadcnt_dscnt 0x0
	v_cvt_f32_u32_e32 v22, v22
	s_or_b32 exec_lo, exec_lo, s0
                                        ; implicit-def: $vgpr23
	s_and_saveexec_b32 s0, s8
	s_cbranch_execnz .LBB1680_131
.LBB1680_37:
	s_or_b32 exec_lo, exec_lo, s0
                                        ; implicit-def: $vgpr24
	s_and_saveexec_b32 s0, s9
	s_cbranch_execz .LBB1680_39
.LBB1680_38:
	flat_load_b32 v24, v0, s[12:13] offset:10240 scale_offset
	s_wait_loadcnt_dscnt 0x0
	v_cvt_f32_u32_e32 v24, v24
.LBB1680_39:
	s_or_b32 exec_lo, exec_lo, s0
	v_mul_u32_u24_e32 v60, 12, v0
                                        ; implicit-def: $vgpr25
	s_and_saveexec_b32 s0, s10
	s_cbranch_execz .LBB1680_41
; %bb.40:
	flat_load_b32 v25, v0, s[12:13] offset:11264 scale_offset
	s_wait_loadcnt_dscnt 0x0
	v_cvt_f32_u32_e32 v25, v25
.LBB1680_41:
	s_or_b32 exec_lo, exec_lo, s0
	ds_store_2addr_stride64_b32 v1, v14, v15 offset1:4
	ds_store_2addr_stride64_b32 v1, v16, v17 offset0:8 offset1:12
	ds_store_2addr_stride64_b32 v1, v18, v19 offset0:16 offset1:20
	;; [unrolled: 1-line block ×5, first 2 shown]
	v_cmp_gt_u32_e32 vcc_lo, s37, v60
	v_dual_mov_b32 v32, 0 :: v_dual_mov_b32 v58, 0
	v_dual_mov_b32 v30, 0 :: v_dual_mov_b32 v59, 0
	;; [unrolled: 1-line block ×22, first 2 shown]
	s_mov_b32 s11, 0
	s_mov_b32 s3, 0
	s_wait_dscnt 0x0
	s_barrier_signal -1
	s_barrier_wait -1
                                        ; implicit-def: $sgpr34
	s_and_saveexec_b32 s35, vcc_lo
	s_cbranch_execz .LBB1680_65
; %bb.42:
	ds_load_b32 v27, v31
	v_dual_mov_b32 v30, 0 :: v_dual_bitop2_b32 v1, 1, v60 bitop3:0x54
	v_dual_mov_b32 v32, 0 :: v_dual_mov_b32 v33, 0
	v_dual_mov_b32 v34, 0 :: v_dual_mov_b32 v56, 0
	s_delay_alu instid0(VALU_DEP_3)
	v_cmp_gt_u32_e64 s0, s37, v1
	v_dual_mov_b32 v36, 0 :: v_dual_mov_b32 v35, 0
	v_dual_mov_b32 v57, 0 :: v_dual_mov_b32 v38, 0
	;; [unrolled: 1-line block ×18, first 2 shown]
	s_mov_b32 s1, 0
	v_cmp_ne_u32_e32 vcc_lo, v10, v11
                                        ; implicit-def: $sgpr34
	s_and_saveexec_b32 s36, s0
	s_cbranch_execz .LBB1680_64
; %bb.43:
	ds_load_2addr_b32 v[14:15], v31 offset0:1 offset1:2
	v_dual_mov_b32 v30, 0 :: v_dual_bitop2_b32 v1, 2, v60 bitop3:0x54
	v_cmp_ne_u32_e64 s0, v11, v12
	v_dual_mov_b32 v32, 0 :: v_dual_mov_b32 v33, 0
	s_delay_alu instid0(VALU_DEP_3)
	v_cmp_gt_u32_e64 s1, s37, v1
	v_dual_mov_b32 v34, 0 :: v_dual_mov_b32 v36, 0
	v_dual_mov_b32 v35, 0 :: v_dual_mov_b32 v38, 0
	v_dual_mov_b32 v37, 0 :: v_dual_mov_b32 v51, 0
	v_dual_mov_b32 v40, 0 :: v_dual_mov_b32 v39, 0
	v_dual_mov_b32 v53, 0 :: v_dual_mov_b32 v42, 0
	v_dual_mov_b32 v41, 0 :: v_dual_mov_b32 v45, 0
	v_dual_mov_b32 v44, 0 :: v_dual_mov_b32 v43, 0
	v_dual_mov_b32 v46, 0 :: v_dual_mov_b32 v21, 0
	v_dual_mov_b32 v16, 0 :: v_dual_mov_b32 v48, 0
	v_dual_mov_b32 v1, 0 :: v_dual_mov_b32 v47, 0
	v_dual_mov_b32 v17, 0 :: v_dual_mov_b32 v24, 0
	v_dual_mov_b32 v18, 0 :: v_dual_mov_b32 v26, 0
	v_dual_mov_b32 v28, 0 :: v_dual_mov_b32 v19, 0
	v_dual_mov_b32 v49, 0 :: v_dual_mov_b32 v25, 0
	v_dual_mov_b32 v20, 0 :: v_dual_mov_b32 v50, 0
	v_dual_mov_b32 v55, 0 :: v_dual_mov_b32 v22, 0
	v_dual_mov_b32 v52, 0 :: v_dual_mov_b32 v23, 0
	s_mov_b32 s2, 0
                                        ; implicit-def: $sgpr34
	s_and_saveexec_b32 s38, s1
	s_cbranch_execz .LBB1680_63
; %bb.44:
	v_dual_mov_b32 v30, 0 :: v_dual_bitop2_b32 v1, 3, v60 bitop3:0x54
	v_cmp_ne_u32_e64 s1, v12, v13
	v_dual_mov_b32 v32, 0 :: v_dual_mov_b32 v33, 0
	s_delay_alu instid0(VALU_DEP_3)
	v_cmp_gt_u32_e64 s2, s37, v1
	v_dual_mov_b32 v34, 0 :: v_dual_mov_b32 v36, 0
	v_dual_mov_b32 v35, 0 :: v_dual_mov_b32 v38, 0
	;; [unrolled: 1-line block ×15, first 2 shown]
                                        ; implicit-def: $sgpr34
	s_and_saveexec_b32 s39, s2
	s_cbranch_execz .LBB1680_62
; %bb.45:
	ds_load_2addr_b32 v[10:11], v31 offset0:3 offset1:4
	v_dual_mov_b32 v30, 0 :: v_dual_add_nc_u32 v1, 4, v60
	v_cmp_ne_u32_e64 s2, v13, v6
	v_dual_mov_b32 v32, 0 :: v_dual_mov_b32 v33, 0
	s_delay_alu instid0(VALU_DEP_3)
	v_cmp_gt_u32_e64 s3, s37, v1
	v_dual_mov_b32 v34, 0 :: v_dual_mov_b32 v36, 0
	v_dual_mov_b32 v35, 0 :: v_dual_mov_b32 v38, 0
	;; [unrolled: 1-line block ×13, first 2 shown]
	s_mov_b32 s4, 0
                                        ; implicit-def: $sgpr34
	s_and_saveexec_b32 s40, s3
	s_cbranch_execz .LBB1680_61
; %bb.46:
	v_dual_mov_b32 v30, 0 :: v_dual_add_nc_u32 v1, 5, v60
	v_cmp_ne_u32_e64 s3, v6, v7
	v_dual_mov_b32 v32, 0 :: v_dual_mov_b32 v33, 0
	s_delay_alu instid0(VALU_DEP_3)
	v_cmp_gt_u32_e64 s4, s37, v1
	v_dual_mov_b32 v34, 0 :: v_dual_mov_b32 v36, 0
	v_dual_mov_b32 v35, 0 :: v_dual_mov_b32 v38, 0
	;; [unrolled: 1-line block ×11, first 2 shown]
	s_mov_b32 s5, 0
                                        ; implicit-def: $sgpr34
	s_and_saveexec_b32 s41, s4
	s_cbranch_execz .LBB1680_60
; %bb.47:
	ds_load_2addr_b32 v[12:13], v31 offset0:5 offset1:6
	v_dual_mov_b32 v30, 0 :: v_dual_add_nc_u32 v1, 6, v60
	v_cmp_ne_u32_e64 s4, v7, v8
	v_dual_mov_b32 v32, 0 :: v_dual_mov_b32 v33, 0
	s_delay_alu instid0(VALU_DEP_3)
	v_cmp_gt_u32_e64 s5, s37, v1
	v_dual_mov_b32 v34, 0 :: v_dual_mov_b32 v36, 0
	v_dual_mov_b32 v35, 0 :: v_dual_mov_b32 v38, 0
	v_dual_mov_b32 v37, 0 :: v_dual_mov_b32 v40, 0
	v_dual_mov_b32 v39, 0 :: v_dual_mov_b32 v21, 0
	v_dual_mov_b32 v16, 0 :: v_dual_mov_b32 v48, 0
	v_dual_mov_b32 v1, 0 :: v_dual_mov_b32 v47, 0
	v_dual_mov_b32 v17, 0 :: v_dual_mov_b32 v24, 0
	v_dual_mov_b32 v18, 0 :: v_dual_mov_b32 v26, 0
	v_dual_mov_b32 v19, 0 :: v_dual_mov_b32 v49, 0
	s_mov_b32 s6, 0
                                        ; implicit-def: $sgpr34
	s_and_saveexec_b32 s42, s5
	s_cbranch_execz .LBB1680_59
; %bb.48:
	v_dual_mov_b32 v30, 0 :: v_dual_add_nc_u32 v1, 7, v60
	v_cmp_ne_u32_e64 s5, v8, v9
	v_dual_mov_b32 v32, 0 :: v_dual_mov_b32 v33, 0
	s_delay_alu instid0(VALU_DEP_3)
	v_cmp_gt_u32_e64 s6, s37, v1
	v_dual_mov_b32 v34, 0 :: v_dual_mov_b32 v36, 0
	v_dual_mov_b32 v35, 0 :: v_dual_mov_b32 v38, 0
	;; [unrolled: 1-line block ×7, first 2 shown]
	s_mov_b32 s7, 0
                                        ; implicit-def: $sgpr34
	s_and_saveexec_b32 s43, s6
	s_cbranch_execz .LBB1680_58
; %bb.49:
	ds_load_2addr_b32 v[6:7], v31 offset0:7 offset1:8
	v_dual_mov_b32 v30, 0 :: v_dual_add_nc_u32 v1, 8, v60
	v_cmp_ne_u32_e64 s6, v9, v2
	v_dual_mov_b32 v32, 0 :: v_dual_mov_b32 v33, 0
	s_delay_alu instid0(VALU_DEP_3)
	v_cmp_gt_u32_e64 s7, s37, v1
	v_dual_mov_b32 v34, 0 :: v_dual_mov_b32 v36, 0
	v_dual_mov_b32 v35, 0 :: v_dual_mov_b32 v21, 0
	v_dual_mov_b32 v16, 0 :: v_dual_mov_b32 v48, 0
	v_dual_mov_b32 v1, 0 :: v_dual_mov_b32 v47, 0
	v_dual_mov_b32 v17, 0 :: v_dual_mov_b32 v24, 0
	s_mov_b32 s8, 0
                                        ; implicit-def: $sgpr34
	s_and_saveexec_b32 s44, s7
	s_cbranch_execz .LBB1680_57
; %bb.50:
	v_dual_mov_b32 v30, 0 :: v_dual_add_nc_u32 v1, 9, v60
	v_cmp_ne_u32_e64 s7, v2, v3
	v_dual_mov_b32 v32, 0 :: v_dual_mov_b32 v33, 0
	s_delay_alu instid0(VALU_DEP_3)
	v_cmp_gt_u32_e64 s8, s37, v1
	v_dual_mov_b32 v34, 0 :: v_dual_mov_b32 v21, 0
	v_dual_mov_b32 v1, 0 :: v_dual_mov_b32 v47, 0
	s_mov_b32 s9, 0
                                        ; implicit-def: $sgpr34
	s_and_saveexec_b32 s45, s8
	s_cbranch_execz .LBB1680_56
; %bb.51:
	ds_load_2addr_b32 v[8:9], v31 offset0:9 offset1:10
	v_dual_mov_b32 v30, 0 :: v_dual_add_nc_u32 v1, 10, v60
	v_cmp_ne_u32_e64 s8, v3, v4
	v_dual_mov_b32 v32, 0 :: v_dual_mov_b32 v21, 0
	s_mov_b32 s10, 0
	s_mov_b32 s46, exec_lo
                                        ; implicit-def: $sgpr34
	v_cmpx_gt_u32_e64 s37, v1
	s_cbranch_execz .LBB1680_55
; %bb.52:
	v_dual_add_nc_u32 v1, 11, v60 :: v_dual_mov_b32 v21, 0
	v_cmp_ne_u32_e64 s9, v4, v5
                                        ; implicit-def: $sgpr34
	s_delay_alu instid0(VALU_DEP_2) | instskip(SKIP_2) | instid1(SALU_CYCLE_1)
	v_cmp_gt_u32_e64 s10, s37, v1
	s_mov_b32 s37, 0
	s_and_saveexec_b32 s47, s10
	s_xor_b32 s10, exec_lo, s47
	s_cbranch_execz .LBB1680_54
; %bb.53:
	ds_load_b32 v1, v31 offset:44
	v_cmp_ne_u32_e64 s34, v5, v54
	s_mov_b32 s37, exec_lo
	s_wait_dscnt 0x0
	v_cndmask_b32_e64 v21, v1, s33, s34
.LBB1680_54:
	s_or_b32 exec_lo, exec_lo, s10
	v_cndmask_b32_e64 v30, 0, 1, s9
	s_wait_dscnt 0x0
	v_cndmask_b32_e64 v32, v9, s33, s9
	s_and_b32 s10, s37, exec_lo
.LBB1680_55:
	s_or_b32 exec_lo, exec_lo, s46
	s_wait_dscnt 0x0
	v_cndmask_b32_e64 v33, v8, s33, s8
	v_cndmask_b32_e64 v34, 0, 1, s8
	s_and_b32 s9, s10, exec_lo
	s_delay_alu instid0(VALU_DEP_1)
	v_dual_mov_b32 v1, v33 :: v_dual_mov_b32 v47, v34
.LBB1680_56:
	s_or_b32 exec_lo, exec_lo, s45
	s_wait_dscnt 0x0
	v_cndmask_b32_e64 v36, v7, s33, s7
	v_cndmask_b32_e64 v35, 0, 1, s7
	v_dual_mov_b32 v16, v32 :: v_dual_mov_b32 v48, v30
	s_and_b32 s8, s9, exec_lo
	s_delay_alu instid0(VALU_DEP_2)
	v_dual_mov_b32 v17, v36 :: v_dual_mov_b32 v24, v35
.LBB1680_57:
	s_or_b32 exec_lo, exec_lo, s44
	s_wait_dscnt 0x0
	v_cndmask_b32_e64 v38, v6, s33, s6
	v_cndmask_b32_e64 v37, 0, 1, s6
	s_and_b32 s7, s8, exec_lo
	s_delay_alu instid0(VALU_DEP_1)
	v_dual_mov_b32 v18, v38 :: v_dual_mov_b32 v26, v37
.LBB1680_58:
	s_or_b32 exec_lo, exec_lo, s43
	s_wait_dscnt 0x0
	v_cndmask_b32_e64 v40, v13, s33, s5
	v_cndmask_b32_e64 v39, 0, 1, s5
	s_and_b32 s6, s7, exec_lo
	s_delay_alu instid0(VALU_DEP_1)
	v_dual_mov_b32 v19, v40 :: v_dual_mov_b32 v49, v39
.LBB1680_59:
	s_or_b32 exec_lo, exec_lo, s42
	s_wait_dscnt 0x0
	v_cndmask_b32_e64 v42, v12, s33, s4
	v_cndmask_b32_e64 v41, 0, 1, s4
	s_and_b32 s5, s6, exec_lo
	s_delay_alu instid0(VALU_DEP_1)
	v_dual_mov_b32 v20, v42 :: v_dual_mov_b32 v50, v41
.LBB1680_60:
	s_or_b32 exec_lo, exec_lo, s41
	s_wait_dscnt 0x0
	v_cndmask_b32_e64 v44, v11, s33, s3
	v_cndmask_b32_e64 v43, 0, 1, s3
	s_and_b32 s4, s5, exec_lo
	s_delay_alu instid0(VALU_DEP_1)
	v_dual_mov_b32 v22, v44 :: v_dual_mov_b32 v52, v43
.LBB1680_61:
	s_or_b32 exec_lo, exec_lo, s40
	v_cndmask_b32_e64 v45, 0, 1, s2
	s_wait_dscnt 0x0
	v_cndmask_b32_e64 v46, v10, s33, s2
	s_and_b32 s3, s4, exec_lo
	s_delay_alu instid0(VALU_DEP_1)
	v_dual_mov_b32 v55, v45 :: v_dual_mov_b32 v23, v46
.LBB1680_62:
	s_or_b32 exec_lo, exec_lo, s39
	v_cndmask_b32_e64 v51, 0, 1, s1
	s_wait_dscnt 0x0
	v_cndmask_b32_e64 v53, v15, s33, s1
	s_and_b32 s2, s3, exec_lo
	s_delay_alu instid0(VALU_DEP_1)
	v_dual_mov_b32 v28, v51 :: v_dual_mov_b32 v25, v53
.LBB1680_63:
	s_or_b32 exec_lo, exec_lo, s38
	v_cndmask_b32_e64 v56, 0, 1, s0
	s_wait_dscnt 0x0
	v_cndmask_b32_e64 v57, v14, s33, s0
	s_and_b32 s1, s2, exec_lo
	s_delay_alu instid0(VALU_DEP_1)
	v_dual_mov_b32 v29, v56 :: v_dual_mov_b32 v15, v57
.LBB1680_64:
	s_or_b32 exec_lo, exec_lo, s36
	s_wait_dscnt 0x0
	v_cndmask_b32_e64 v59, v27, s33, vcc_lo
	v_cndmask_b32_e64 v58, 0, 1, vcc_lo
	s_and_b32 s3, s1, exec_lo
	s_delay_alu instid0(VALU_DEP_2)
	v_mov_b32_e32 v27, v59
.LBB1680_65:
	s_or_b32 exec_lo, exec_lo, s35
	v_lshlrev_b32_e32 v14, 2, v0
	s_and_b32 vcc_lo, exec_lo, s11
	s_cbranch_vccnz .LBB1680_67
	s_branch .LBB1680_72
.LBB1680_66:
                                        ; implicit-def: $sgpr34
                                        ; implicit-def: $vgpr58
                                        ; implicit-def: $vgpr32
                                        ; implicit-def: $vgpr30
                                        ; implicit-def: $vgpr59
                                        ; implicit-def: $vgpr33
                                        ; implicit-def: $vgpr34
                                        ; implicit-def: $vgpr56
                                        ; implicit-def: $vgpr36
                                        ; implicit-def: $vgpr35
                                        ; implicit-def: $vgpr57
                                        ; implicit-def: $vgpr38
                                        ; implicit-def: $vgpr37
                                        ; implicit-def: $vgpr51
                                        ; implicit-def: $vgpr40
                                        ; implicit-def: $vgpr39
                                        ; implicit-def: $vgpr53
                                        ; implicit-def: $vgpr42
                                        ; implicit-def: $vgpr41
                                        ; implicit-def: $vgpr45
                                        ; implicit-def: $vgpr44
                                        ; implicit-def: $vgpr43
                                        ; implicit-def: $vgpr46
                                        ; implicit-def: $vgpr21
                                        ; implicit-def: $vgpr16
                                        ; implicit-def: $vgpr48
                                        ; implicit-def: $vgpr27
                                        ; implicit-def: $vgpr1
                                        ; implicit-def: $vgpr47
                                        ; implicit-def: $vgpr29
                                        ; implicit-def: $vgpr17
                                        ; implicit-def: $vgpr24
                                        ; implicit-def: $vgpr15
                                        ; implicit-def: $vgpr18
                                        ; implicit-def: $vgpr26
                                        ; implicit-def: $vgpr28
                                        ; implicit-def: $vgpr19
                                        ; implicit-def: $vgpr49
                                        ; implicit-def: $vgpr25
                                        ; implicit-def: $vgpr20
                                        ; implicit-def: $vgpr50
                                        ; implicit-def: $vgpr55
                                        ; implicit-def: $vgpr22
                                        ; implicit-def: $vgpr52
                                        ; implicit-def: $vgpr23
	v_lshlrev_b32_e32 v14, 2, v0
	s_cbranch_execz .LBB1680_72
.LBB1680_67:
	s_clause 0xb
	flat_load_b32 v1, v0, s[30:31] scale_offset
	flat_load_b32 v2, v0, s[30:31] offset:1024 scale_offset
	flat_load_b32 v3, v0, s[30:31] offset:2048 scale_offset
	;; [unrolled: 1-line block ×11, first 2 shown]
	v_mov_b32_e32 v13, 0
	v_mad_u32_u24 v15, v0, 44, v14
	s_mov_b32 s0, exec_lo
	s_wait_loadcnt_dscnt 0xa0a
	ds_store_2addr_stride64_b32 v14, v1, v2 offset1:4
	s_wait_loadcnt_dscnt 0x809
	ds_store_2addr_stride64_b32 v14, v3, v4 offset0:8 offset1:12
	s_wait_loadcnt_dscnt 0x608
	ds_store_2addr_stride64_b32 v14, v5, v6 offset0:16 offset1:20
	;; [unrolled: 2-line block ×5, first 2 shown]
	s_wait_dscnt 0x0
	s_barrier_signal -1
	s_barrier_wait -1
	flat_load_b32 v1, v13, s[30:31] offset:12288
	s_wait_xcnt 0x0
	ds_load_b128 v[10:13], v15
	ds_load_b128 v[6:9], v15 offset:16
	ds_load_b128 v[2:5], v15 offset:32
	v_mad_i32_i24 v16, 0xffffffd4, v0, v15
	s_wait_dscnt 0x2
	ds_store_b32 v16, v10 offset:13312
	s_wait_loadcnt_dscnt 0x0
	s_barrier_signal -1
	s_barrier_wait -1
	v_cmpx_ne_u32_e32 0xff, v0
; %bb.68:
	v_mul_i32_i24_e32 v1, 0xffffffd4, v0
	s_delay_alu instid0(VALU_DEP_1)
	v_add_nc_u32_e32 v1, v15, v1
	ds_load_b32 v1, v1 offset:13316
; %bb.69:
	s_or_b32 exec_lo, exec_lo, s0
	s_wait_dscnt 0x0
	s_barrier_signal -1
	s_barrier_wait -1
	s_clause 0xb
	flat_load_b32 v16, v0, s[12:13] scale_offset
	flat_load_b32 v17, v0, s[12:13] offset:1024 scale_offset
	flat_load_b32 v18, v0, s[12:13] offset:2048 scale_offset
	;; [unrolled: 1-line block ×11, first 2 shown]
	v_mov_b32_e32 v59, s33
	s_mov_b32 s1, exec_lo
	v_cmp_ne_u32_e32 vcc_lo, v10, v11
	s_wait_loadcnt_dscnt 0xb0b
	v_cvt_f32_u32_e32 v16, v16
	s_wait_loadcnt_dscnt 0xa0a
	v_cvt_f32_u32_e32 v17, v17
	;; [unrolled: 2-line block ×12, first 2 shown]
	ds_store_2addr_stride64_b32 v14, v16, v17 offset1:4
	ds_store_2addr_stride64_b32 v14, v18, v19 offset0:8 offset1:12
	ds_store_2addr_stride64_b32 v14, v20, v21 offset0:16 offset1:20
	;; [unrolled: 1-line block ×5, first 2 shown]
	s_wait_dscnt 0x0
	s_barrier_signal -1
	s_barrier_wait -1
	ds_load_2addr_b32 v[24:25], v15 offset0:1 offset1:2
	ds_load_2addr_b32 v[22:23], v15 offset0:3 offset1:4
	;; [unrolled: 1-line block ×5, first 2 shown]
	ds_load_b32 v26, v15 offset:44
	v_cmpx_eq_u32_e64 v10, v11
; %bb.70:
	ds_load_b32 v59, v15
; %bb.71:
	s_or_b32 exec_lo, exec_lo, s1
	v_cndmask_b32_e64 v58, 0, 1, vcc_lo
	v_cmp_ne_u32_e32 vcc_lo, v11, v12
	v_cmp_ne_u32_e64 s0, v12, v13
	v_cmp_ne_u32_e64 s1, v13, v6
	;; [unrolled: 1-line block ×9, first 2 shown]
	v_cndmask_b32_e64 v56, 0, 1, vcc_lo
	v_cndmask_b32_e64 v51, 0, 1, s0
	v_cndmask_b32_e64 v45, 0, 1, s1
	;; [unrolled: 1-line block ×9, first 2 shown]
	s_wait_dscnt 0x5
	v_cndmask_b32_e64 v57, v24, s33, vcc_lo
	v_cndmask_b32_e64 v53, v25, s33, s0
	s_wait_dscnt 0x4
	v_cndmask_b32_e64 v46, v22, s33, s1
	v_cndmask_b32_e64 v44, v23, s33, s2
	s_wait_dscnt 0x3
	v_cndmask_b32_e64 v42, v20, s33, s3
	;; [unrolled: 3-line block ×3, first 2 shown]
	s_wait_dscnt 0x1
	v_cndmask_b32_e64 v32, v19, s33, s8
	v_cndmask_b32_e64 v36, v17, s33, s6
	;; [unrolled: 1-line block ×3, first 2 shown]
	v_cmp_ne_u32_e64 s34, v5, v1
	s_delay_alu instid0(VALU_DEP_4) | instskip(SKIP_1) | instid1(VALU_DEP_3)
	v_dual_mov_b32 v48, v30 :: v_dual_mov_b32 v16, v32
	s_wait_dscnt 0x0
	v_dual_mov_b32 v27, v59 :: v_dual_mov_b32 v1, v33
	s_delay_alu instid0(VALU_DEP_3)
	v_cndmask_b32_e64 v21, v26, s33, s34
	v_dual_mov_b32 v47, v34 :: v_dual_mov_b32 v29, v56
	v_dual_mov_b32 v17, v36 :: v_dual_mov_b32 v24, v35
	;; [unrolled: 1-line block ×8, first 2 shown]
	v_mov_b32_e32 v23, v46
	s_mov_b32 s3, -1
.LBB1680_72:
	v_mov_b32_e32 v31, 0
	s_and_saveexec_b32 s0, s3
	s_cbranch_execz .LBB1680_74
; %bb.73:
	v_cndmask_b32_e64 v31, 0, 1, s34
	v_dual_mov_b32 v23, v46 :: v_dual_mov_b32 v52, v43
	v_dual_mov_b32 v22, v44 :: v_dual_mov_b32 v55, v45
	;; [unrolled: 1-line block ×10, first 2 shown]
	v_mov_b32_e32 v16, v32
.LBB1680_74:
	s_or_b32 exec_lo, exec_lo, s0
	v_or_b32_e32 v2, v55, v52
	v_and_b32_e32 v32, 1, v31
	v_dual_add_f32 v43, v15, v27 :: v_dual_lshrrev_b32 v34, 2, v0
	v_or_b32_e32 v33, v48, v47
	v_and_b32_e32 v30, 0xff, v58
	v_and_b32_e32 v46, 0xff, v29
	;; [unrolled: 1-line block ×9, first 2 shown]
	v_bitop3_b16 v36, v2, v49, v50 bitop3:0xfe
	v_and_b32_e32 v37, 0xff, v47
	v_and_b32_e32 v35, 0xff, v48
	v_cmp_eq_u16_e64 s10, 0, v31
	v_cmp_eq_u32_e64 s11, 1, v32
	s_cmp_lg_u32 s28, 0
	v_cmp_gt_u32_e32 vcc_lo, 32, v0
	s_barrier_signal -1
	s_barrier_wait -1
	s_cbranch_scc0 .LBB1680_132
; %bb.75:
	v_cmp_eq_u16_e64 s0, 0, v46
	v_cmp_eq_u16_e64 s1, 0, v45
	;; [unrolled: 1-line block ×5, first 2 shown]
	v_dual_cndmask_b32 v2, v15, v43, s0 :: v_dual_bitop2_b32 v4, 56, v34 bitop3:0x40
	v_cmp_eq_u16_e64 s5, 0, v40
	v_cmp_eq_u16_e64 s6, 0, v39
	;; [unrolled: 1-line block ×3, first 2 shown]
	s_delay_alu instid0(VALU_DEP_4)
	v_add_f32_e32 v2, v25, v2
	v_cmp_eq_u16_e64 s8, 0, v37
	v_bitop3_b16 v3, v36, v26, v28 bitop3:0xfe
	v_cmp_eq_u16_e64 s9, 0, v35
	v_lshl_add_u32 v4, v0, 3, v4
	v_cndmask_b32_e64 v2, v25, v2, s1
	s_delay_alu instid0(VALU_DEP_4) | instskip(NEXT) | instid1(VALU_DEP_2)
	v_bitop3_b16 v3, v3, v29, v24 bitop3:0xfe
	v_add_f32_e32 v2, v23, v2
	s_delay_alu instid0(VALU_DEP_2) | instskip(NEXT) | instid1(VALU_DEP_2)
	v_bitop3_b16 v3, v33, 0xff, v3 bitop3:0xc8
	v_cndmask_b32_e64 v2, v23, v2, s2
	s_delay_alu instid0(VALU_DEP_2) | instskip(NEXT) | instid1(VALU_DEP_2)
	v_cmp_eq_u16_e64 s12, 0, v3
	v_add_f32_e32 v2, v22, v2
	s_delay_alu instid0(VALU_DEP_2) | instskip(NEXT) | instid1(VALU_DEP_2)
	v_cndmask_b32_e64 v3, 1, v30, s12
	v_cndmask_b32_e64 v2, v22, v2, s3
	s_delay_alu instid0(VALU_DEP_2) | instskip(NEXT) | instid1(VALU_DEP_2)
	v_cndmask_b32_e64 v13, v3, 1, s11
	v_add_f32_e32 v2, v20, v2
	s_delay_alu instid0(VALU_DEP_1) | instskip(NEXT) | instid1(VALU_DEP_1)
	v_cndmask_b32_e64 v2, v20, v2, s4
	v_add_f32_e32 v2, v19, v2
	s_delay_alu instid0(VALU_DEP_1) | instskip(NEXT) | instid1(VALU_DEP_1)
	;; [unrolled: 3-line block ×6, first 2 shown]
	v_cndmask_b32_e64 v2, v16, v2, s9
	v_add_f32_e32 v2, v21, v2
	s_delay_alu instid0(VALU_DEP_1)
	v_cndmask_b32_e64 v12, v21, v2, s10
	ds_store_b32 v4, v12
	ds_store_b8 v4, v13 offset:4
	s_wait_dscnt 0x0
	s_barrier_signal -1
	s_barrier_wait -1
	s_and_saveexec_b32 s12, vcc_lo
	s_cbranch_execz .LBB1680_87
; %bb.76:
	v_dual_lshlrev_b32 v2, 1, v0 :: v_dual_lshlrev_b32 v3, 6, v0
	s_mov_b32 s13, exec_lo
	s_delay_alu instid0(VALU_DEP_1) | instskip(NEXT) | instid1(VALU_DEP_1)
	v_and_b32_e32 v2, 0x1f8, v2
	v_add_nc_u32_e32 v4, v2, v3
	ds_load_2addr_b32 v[6:7], v4 offset0:2 offset1:4
	ds_load_b64 v[2:3], v4
	ds_load_u8 v5, v4 offset:12
	ds_load_2addr_b32 v[8:9], v4 offset0:6 offset1:8
	ds_load_u8 v10, v4 offset:20
	ds_load_u8 v11, v4 offset:28
	;; [unrolled: 1-line block ×5, first 2 shown]
	ds_load_b32 v50, v4 offset:56
	s_wait_dscnt 0x8
	v_add_f32_e32 v51, v2, v6
	s_wait_dscnt 0x7
	v_cmp_eq_u16_e64 s10, 0, v5
	s_wait_dscnt 0x5
	v_or_b32_e32 v5, v10, v5
	s_delay_alu instid0(VALU_DEP_2) | instskip(SKIP_2) | instid1(VALU_DEP_3)
	v_cndmask_b32_e64 v6, v6, v51, s10
	v_cmp_eq_u16_e64 s10, 0, v10
	s_wait_dscnt 0x3
	v_bitop3_b16 v5, v5, v47, v11 bitop3:0xfe
	s_delay_alu instid0(VALU_DEP_3) | instskip(NEXT) | instid1(VALU_DEP_1)
	v_add_f32_e32 v6, v7, v6
	v_cndmask_b32_e64 v51, v7, v6, s10
	ds_load_2addr_b32 v[6:7], v4 offset0:10 offset1:12
	v_cmp_eq_u16_e64 s10, 0, v11
	v_and_b32_e32 v11, 0xffffff00, v3
	v_add_f32_e32 v51, v8, v51
	s_delay_alu instid0(VALU_DEP_1) | instskip(SKIP_3) | instid1(VALU_DEP_1)
	v_cndmask_b32_e64 v8, v8, v51, s10
	v_cmp_eq_u16_e64 s10, 0, v47
	ds_load_u8 v51, v4 offset:60
	v_add_f32_e32 v8, v9, v8
	v_cndmask_b32_e64 v8, v9, v8, s10
	s_wait_dscnt 0x4
	v_cmp_eq_u16_e64 s10, 0, v48
	s_wait_dscnt 0x1
	s_delay_alu instid0(VALU_DEP_2) | instskip(NEXT) | instid1(VALU_DEP_1)
	v_add_f32_e32 v8, v6, v8
	v_cndmask_b32_e64 v6, v6, v8, s10
	v_bitop3_b16 v8, v5, v49, v48 bitop3:0xfe
	v_and_b32_e32 v5, 1, v3
	s_wait_dscnt 0x0
	v_and_b32_e32 v9, 1, v51
	s_delay_alu instid0(VALU_DEP_3) | instskip(NEXT) | instid1(VALU_DEP_1)
	v_cmp_eq_u16_e64 s10, 0, v8
	v_dual_add_f32 v6, v7, v6 :: v_dual_cndmask_b32 v8, 1, v5, s10
	v_cmp_eq_u16_e64 s10, 0, v49
	s_delay_alu instid0(VALU_DEP_1) | instskip(SKIP_1) | instid1(VALU_DEP_1)
	v_cndmask_b32_e64 v6, v7, v6, s10
	v_cmp_eq_u32_e64 s10, 1, v9
	v_cndmask_b32_e64 v9, v8, 1, s10
	v_cmp_eq_u16_e64 s10, 0, v51
	s_delay_alu instid0(VALU_DEP_2) | instskip(SKIP_1) | instid1(VALU_DEP_2)
	v_dual_add_f32 v7, v50, v6 :: v_dual_bitop2_b32 v8, v9, v11 bitop3:0x54
	v_mbcnt_lo_u32_b32 v6, -1, 0
	v_mov_b32_dpp v48, v8 row_shr:1 row_mask:0xf bank_mask:0xf
	s_delay_alu instid0(VALU_DEP_2) | instskip(NEXT) | instid1(VALU_DEP_1)
	v_dual_cndmask_b32 v7, v50, v7, s10 :: v_dual_bitop2_b32 v10, 15, v6 bitop3:0x40
	v_mov_b32_dpp v47, v7 row_shr:1 row_mask:0xf bank_mask:0xf
	s_delay_alu instid0(VALU_DEP_2)
	v_cmpx_ne_u32_e32 0, v10
	s_cbranch_execz .LBB1680_78
; %bb.77:
	s_delay_alu instid0(VALU_DEP_2) | instskip(SKIP_2) | instid1(VALU_DEP_3)
	v_dual_add_f32 v47, v7, v47 :: v_dual_bitop2_b32 v8, 1, v9 bitop3:0x40
	v_cmp_eq_u32_e64 s10, 0, v9
	v_and_b32_e32 v48, 1, v48
	v_cmp_eq_u32_e64 s11, 1, v8
	s_delay_alu instid0(VALU_DEP_3) | instskip(NEXT) | instid1(VALU_DEP_2)
	v_cndmask_b32_e64 v7, v7, v47, s10
	v_cndmask_b32_e64 v9, v48, 1, s11
	s_delay_alu instid0(VALU_DEP_1)
	v_or_b32_e32 v8, v9, v11
.LBB1680_78:
	s_or_b32 exec_lo, exec_lo, s13
	s_delay_alu instid0(VALU_DEP_3) | instskip(NEXT) | instid1(VALU_DEP_2)
	v_mov_b32_dpp v11, v7 row_shr:2 row_mask:0xf bank_mask:0xf
	v_mov_b32_dpp v47, v8 row_shr:2 row_mask:0xf bank_mask:0xf
	s_mov_b32 s13, exec_lo
	v_cmpx_lt_u32_e32 1, v10
	s_cbranch_execz .LBB1680_80
; %bb.79:
	v_dual_add_f32 v11, v7, v11 :: v_dual_bitop2_b32 v48, 1, v9 bitop3:0x40
	v_and_b32_e32 v47, 1, v47
	v_cmp_eq_u32_e64 s10, 0, v9
	s_delay_alu instid0(VALU_DEP_3) | instskip(NEXT) | instid1(VALU_DEP_2)
	v_cmp_eq_u32_e64 s11, 1, v48
	v_cndmask_b32_e64 v7, v7, v11, s10
	s_delay_alu instid0(VALU_DEP_2) | instskip(NEXT) | instid1(VALU_DEP_1)
	v_cndmask_b32_e64 v9, v47, 1, s11
	v_and_or_b32 v8, 0xffffff00, v8, v9
.LBB1680_80:
	s_or_b32 exec_lo, exec_lo, s13
	s_delay_alu instid0(VALU_DEP_3) | instskip(NEXT) | instid1(VALU_DEP_2)
	v_mov_b32_dpp v11, v7 row_shr:4 row_mask:0xf bank_mask:0xf
	v_mov_b32_dpp v47, v8 row_shr:4 row_mask:0xf bank_mask:0xf
	s_mov_b32 s13, exec_lo
	v_cmpx_lt_u32_e32 3, v10
	s_cbranch_execz .LBB1680_82
; %bb.81:
	v_dual_add_f32 v11, v7, v11 :: v_dual_bitop2_b32 v48, 1, v9 bitop3:0x40
	v_and_b32_e32 v47, 1, v47
	v_cmp_eq_u32_e64 s10, 0, v9
	s_delay_alu instid0(VALU_DEP_3) | instskip(NEXT) | instid1(VALU_DEP_2)
	v_cmp_eq_u32_e64 s11, 1, v48
	v_cndmask_b32_e64 v7, v7, v11, s10
	s_delay_alu instid0(VALU_DEP_2) | instskip(NEXT) | instid1(VALU_DEP_1)
	v_cndmask_b32_e64 v9, v47, 1, s11
	v_and_or_b32 v8, 0xffffff00, v8, v9
.LBB1680_82:
	;; [unrolled: 18-line block ×3, first 2 shown]
	s_or_b32 exec_lo, exec_lo, s13
	ds_swizzle_b32 v10, v7 offset:swizzle(BROADCAST,32,15)
	ds_swizzle_b32 v11, v8 offset:swizzle(BROADCAST,32,15)
	v_and_b32_e32 v47, 16, v6
	s_mov_b32 s11, exec_lo
	s_delay_alu instid0(VALU_DEP_1)
	v_cmpx_ne_u32_e32 0, v47
	s_cbranch_execz .LBB1680_86
; %bb.85:
	s_wait_dscnt 0x1
	v_dual_add_f32 v10, v7, v10 :: v_dual_bitop2_b32 v47, 1, v9 bitop3:0x40
	s_wait_dscnt 0x0
	v_and_b32_e32 v11, 1, v11
	s_delay_alu instid0(VALU_DEP_2) | instskip(NEXT) | instid1(VALU_DEP_1)
	v_cmp_eq_u32_e64 s10, 1, v47
	v_cndmask_b32_e64 v11, v11, 1, s10
	v_cmp_eq_u32_e64 s10, 0, v9
	s_delay_alu instid0(VALU_DEP_2) | instskip(NEXT) | instid1(VALU_DEP_2)
	v_and_or_b32 v8, 0xffffff00, v8, v11
	v_cndmask_b32_e64 v7, v7, v10, s10
.LBB1680_86:
	s_or_b32 exec_lo, exec_lo, s11
	v_add_nc_u32_e32 v9, -1, v6
	v_and_b32_e32 v3, 0xff, v3
	; wave barrier
	s_delay_alu instid0(VALU_DEP_2) | instskip(NEXT) | instid1(VALU_DEP_1)
	v_cmp_gt_i32_e64 s10, 0, v9
	v_cndmask_b32_e64 v6, v9, v6, s10
	s_delay_alu instid0(VALU_DEP_3) | instskip(NEXT) | instid1(VALU_DEP_2)
	v_cmp_eq_u32_e64 s10, 0, v3
	v_lshlrev_b32_e32 v6, 2, v6
	ds_bpermute_b32 v7, v6, v7
	ds_bpermute_b32 v6, v6, v8
	s_wait_dscnt 0x0
	v_dual_add_f32 v7, v2, v7 :: v_dual_bitop2_b32 v6, 1, v6 bitop3:0x40
	s_delay_alu instid0(VALU_DEP_1) | instskip(SKIP_1) | instid1(VALU_DEP_1)
	v_cndmask_b32_e64 v2, v2, v7, s10
	v_cmp_eq_u32_e64 s10, 1, v5
	v_cndmask_b32_e64 v3, v6, 1, s10
	v_cmp_eq_u32_e64 s10, 0, v0
	s_delay_alu instid0(VALU_DEP_1)
	v_dual_cndmask_b32 v5, v2, v12, s10 :: v_dual_cndmask_b32 v8, v3, v13, s10
	ds_store_b32 v4, v5
	ds_store_b8 v4, v8 offset:4
	; wave barrier
	ds_load_2addr_b32 v[2:3], v4 offset0:2 offset1:4
	ds_load_u8 v9, v4 offset:12
	ds_load_u8 v10, v4 offset:20
	ds_load_2addr_b32 v[6:7], v4 offset0:6 offset1:8
	ds_load_u8 v11, v4 offset:28
	ds_load_u8 v47, v4 offset:36
	;; [unrolled: 1-line block ×4, first 2 shown]
	ds_load_b32 v50, v4 offset:56
	ds_load_u8 v51, v4 offset:60
	s_wait_dscnt 0x9
	v_add_f32_e32 v5, v5, v2
	s_wait_dscnt 0x8
	v_cmp_eq_u16_e64 s10, 0, v9
	s_delay_alu instid0(VALU_DEP_1) | instskip(SKIP_2) | instid1(VALU_DEP_2)
	v_cndmask_b32_e64 v5, v2, v5, s10
	s_wait_dscnt 0x7
	v_cmp_eq_u16_e64 s10, 0, v10
	v_add_f32_e32 v2, v5, v3
	s_delay_alu instid0(VALU_DEP_1)
	v_cndmask_b32_e64 v52, v3, v2, s10
	s_wait_dscnt 0x5
	v_cmp_eq_u16_e64 s10, 0, v11
	ds_load_2addr_b32 v[2:3], v4 offset0:10 offset1:12
	v_add_f32_e32 v53, v52, v6
	ds_store_2addr_b32 v4, v5, v52 offset0:2 offset1:4
	v_cndmask_b32_e64 v6, v6, v53, s10
	s_delay_alu instid0(VALU_DEP_1) | instskip(NEXT) | instid1(VALU_DEP_1)
	v_dual_add_f32 v53, v6, v7 :: v_dual_bitop2_b32 v9, 1, v9 bitop3:0x40
	v_cmp_eq_u32_e64 s10, 1, v9
	s_delay_alu instid0(VALU_DEP_1) | instskip(SKIP_2) | instid1(VALU_DEP_1)
	v_cndmask_b32_e64 v8, v8, 1, s10
	s_wait_dscnt 0x6
	v_cmp_eq_u16_e64 s10, 0, v47
	v_dual_cndmask_b32 v7, v7, v53, s10 :: v_dual_bitop2_b32 v10, 1, v10 bitop3:0x40
	v_and_b32_e32 v9, 1, v11
	s_delay_alu instid0(VALU_DEP_2) | instskip(SKIP_1) | instid1(VALU_DEP_3)
	v_cmp_eq_u32_e64 s10, 1, v10
	s_wait_dscnt 0x1
	v_dual_add_f32 v47, v7, v2 :: v_dual_bitop2_b32 v11, 1, v47 bitop3:0x40
	s_delay_alu instid0(VALU_DEP_2) | instskip(SKIP_1) | instid1(VALU_DEP_1)
	v_cndmask_b32_e64 v10, v8, 1, s10
	v_cmp_eq_u32_e64 s10, 1, v9
	v_cndmask_b32_e64 v9, v10, 1, s10
	v_cmp_eq_u16_e64 s10, 0, v48
	s_delay_alu instid0(VALU_DEP_1) | instskip(SKIP_1) | instid1(VALU_DEP_2)
	v_dual_cndmask_b32 v2, v2, v47, s10 :: v_dual_bitop2_b32 v53, 1, v48 bitop3:0x40
	v_cmp_eq_u32_e64 s10, 1, v11
	v_add_f32_e32 v48, v2, v3
	s_delay_alu instid0(VALU_DEP_2) | instskip(NEXT) | instid1(VALU_DEP_4)
	v_cndmask_b32_e64 v11, v9, 1, s10
	v_cmp_eq_u32_e64 s10, 1, v53
	s_delay_alu instid0(VALU_DEP_1) | instskip(SKIP_1) | instid1(VALU_DEP_1)
	v_cndmask_b32_e64 v53, v11, 1, s10
	v_cmp_eq_u16_e64 s10, 0, v49
	v_dual_cndmask_b32 v3, v3, v48, s10 :: v_dual_bitop2_b32 v47, 1, v49 bitop3:0x40
	v_and_b32_e32 v54, 1, v51
	s_delay_alu instid0(VALU_DEP_2)
	v_cmp_eq_u32_e64 s10, 1, v47
	ds_store_2addr_b32 v4, v6, v7 offset0:6 offset1:8
	ds_store_2addr_b32 v4, v2, v3 offset0:10 offset1:12
	v_add_f32_e32 v5, v3, v50
	v_cndmask_b32_e64 v47, v53, 1, s10
	v_cmp_eq_u32_e64 s10, 1, v54
	s_delay_alu instid0(VALU_DEP_1) | instskip(SKIP_1) | instid1(VALU_DEP_1)
	v_cndmask_b32_e64 v48, v47, 1, s10
	v_cmp_eq_u16_e64 s10, 0, v51
	v_cndmask_b32_e64 v2, v50, v5, s10
	ds_store_b8 v4, v8 offset:12
	ds_store_b8 v4, v10 offset:20
	;; [unrolled: 1-line block ×6, first 2 shown]
	ds_store_b32 v4, v2 offset:56
	ds_store_b8 v4, v48 offset:60
.LBB1680_87:
	s_or_b32 exec_lo, exec_lo, s12
	v_cmp_eq_u32_e64 s10, 0, v0
	s_mov_b32 s12, exec_lo
	s_wait_dscnt 0x0
	s_barrier_signal -1
	s_barrier_wait -1
	v_cmpx_ne_u32_e32 0, v0
	s_cbranch_execz .LBB1680_89
; %bb.88:
	v_add_nc_u32_e32 v2, -1, v0
	s_delay_alu instid0(VALU_DEP_1) | instskip(NEXT) | instid1(VALU_DEP_1)
	v_lshrrev_b32_e32 v3, 2, v2
	v_and_b32_e32 v3, 0x3ffffff8, v3
	s_delay_alu instid0(VALU_DEP_1)
	v_lshl_add_u32 v2, v2, 3, v3
	ds_load_b32 v12, v2
	ds_load_u8 v13, v2 offset:4
.LBB1680_89:
	s_or_b32 exec_lo, exec_lo, s12
	s_and_saveexec_b32 s30, vcc_lo
	s_cbranch_execz .LBB1680_177
; %bb.90:
	v_mov_b32_e32 v5, 0
	v_mbcnt_lo_u32_b32 v47, -1, 0
	s_mov_b32 s13, 0
	ds_load_b64 v[2:3], v5 offset:2096
	v_cmp_eq_u32_e64 s11, 0, v47
	s_and_saveexec_b32 s31, s11
	s_cbranch_execz .LBB1680_92
; %bb.91:
	s_add_co_i32 s12, s28, 32
	v_mov_b32_e32 v4, 1
	s_lshl_b64 s[12:13], s[12:13], 4
	s_delay_alu instid0(SALU_CYCLE_1) | instskip(NEXT) | instid1(SALU_CYCLE_1)
	s_add_nc_u64 s[12:13], s[16:17], s[12:13]
	v_mov_b64_e32 v[6:7], s[12:13]
	s_wait_dscnt 0x0
	;;#ASMSTART
	global_store_b128 v[6:7], v[2:5] off scope:SCOPE_DEV	
s_wait_storecnt 0x0
	;;#ASMEND
.LBB1680_92:
	s_or_b32 exec_lo, exec_lo, s31
	v_xad_u32 v8, v47, -1, s28
	s_mov_b32 s12, exec_lo
	s_delay_alu instid0(VALU_DEP_1) | instskip(NEXT) | instid1(VALU_DEP_1)
	v_add_nc_u32_e32 v4, 32, v8
	v_lshl_add_u64 v[10:11], v[4:5], 4, s[16:17]
	;;#ASMSTART
	global_load_b128 v[4:7], v[10:11] off scope:SCOPE_DEV	
s_wait_loadcnt 0x0
	;;#ASMEND
	v_and_b32_e32 v7, 0xff, v6
	s_delay_alu instid0(VALU_DEP_1)
	v_cmpx_eq_u16_e32 0, v7
	s_cbranch_execz .LBB1680_96
; %bb.93:
	s_mov_b32 s13, 0
.LBB1680_94:                            ; =>This Inner Loop Header: Depth=1
	;;#ASMSTART
	global_load_b128 v[4:7], v[10:11] off scope:SCOPE_DEV	
s_wait_loadcnt 0x0
	;;#ASMEND
	v_and_b32_e32 v7, 0xff, v6
	s_delay_alu instid0(VALU_DEP_1) | instskip(SKIP_1) | instid1(SALU_CYCLE_1)
	v_cmp_ne_u16_e32 vcc_lo, 0, v7
	s_or_b32 s13, vcc_lo, s13
	s_and_not1_b32 exec_lo, exec_lo, s13
	s_cbranch_execnz .LBB1680_94
; %bb.95:
	s_or_b32 exec_lo, exec_lo, s13
.LBB1680_96:
	s_delay_alu instid0(SALU_CYCLE_1)
	s_or_b32 exec_lo, exec_lo, s12
	v_cmp_ne_u32_e32 vcc_lo, 31, v47
	v_and_b32_e32 v10, 0xff, v6
	v_and_b32_e32 v9, 0xff, v5
	v_lshlrev_b32_e64 v49, v47, -1
	s_mov_b32 s12, exec_lo
	v_add_co_ci_u32_e64 v7, null, 0, v47, vcc_lo
	v_cmp_eq_u16_e32 vcc_lo, 2, v10
	s_delay_alu instid0(VALU_DEP_2) | instskip(SKIP_4) | instid1(VALU_DEP_1)
	v_lshlrev_b32_e32 v48, 2, v7
	v_and_or_b32 v7, vcc_lo, v49, 0x80000000
	ds_bpermute_b32 v10, v48, v4
	ds_bpermute_b32 v11, v48, v9
	v_ctz_i32_b32_e32 v7, v7
	v_cmpx_lt_u32_e64 v47, v7
	s_cbranch_execz .LBB1680_98
; %bb.97:
	s_wait_dscnt 0x1
	v_dual_add_f32 v10, v4, v10 :: v_dual_bitop2_b32 v9, 1, v5 bitop3:0x40
	s_wait_dscnt 0x0
	v_and_b32_e32 v11, 1, v11
	v_and_b32_e32 v50, 0xff, v5
	s_delay_alu instid0(VALU_DEP_3) | instskip(NEXT) | instid1(VALU_DEP_3)
	v_cmp_eq_u32_e32 vcc_lo, 1, v9
	v_cndmask_b32_e64 v5, v11, 1, vcc_lo
	s_delay_alu instid0(VALU_DEP_3) | instskip(NEXT) | instid1(VALU_DEP_2)
	v_cmp_eq_u16_e32 vcc_lo, 0, v50
	v_and_b32_e32 v9, 0xffff, v5
	v_cndmask_b32_e32 v4, v4, v10, vcc_lo
.LBB1680_98:
	s_or_b32 exec_lo, exec_lo, s12
	v_cmp_gt_u32_e32 vcc_lo, 30, v47
	v_add_nc_u32_e32 v51, 2, v47
	s_mov_b32 s12, exec_lo
	s_wait_dscnt 0x1
	v_cndmask_b32_e64 v10, 0, 2, vcc_lo
	s_delay_alu instid0(VALU_DEP_1)
	v_add_lshl_u32 v50, v10, v47, 2
	ds_bpermute_b32 v10, v50, v4
	s_wait_dscnt 0x1
	ds_bpermute_b32 v11, v50, v9
	v_cmpx_le_u32_e64 v51, v7
	s_cbranch_execz .LBB1680_100
; %bb.99:
	s_wait_dscnt 0x1
	v_dual_add_f32 v10, v4, v10 :: v_dual_bitop2_b32 v9, 1, v5 bitop3:0x40
	s_wait_dscnt 0x0
	v_and_b32_e32 v11, 1, v11
	v_and_b32_e32 v52, 0xff, v5
	s_delay_alu instid0(VALU_DEP_3) | instskip(NEXT) | instid1(VALU_DEP_3)
	v_cmp_eq_u32_e32 vcc_lo, 1, v9
	v_cndmask_b32_e64 v5, v11, 1, vcc_lo
	s_delay_alu instid0(VALU_DEP_3) | instskip(NEXT) | instid1(VALU_DEP_2)
	v_cmp_eq_u16_e32 vcc_lo, 0, v52
	v_and_b32_e32 v9, 0xffff, v5
	v_cndmask_b32_e32 v4, v4, v10, vcc_lo
.LBB1680_100:
	s_or_b32 exec_lo, exec_lo, s12
	v_cmp_gt_u32_e32 vcc_lo, 28, v47
	v_add_nc_u32_e32 v53, 4, v47
	s_mov_b32 s12, exec_lo
	s_wait_dscnt 0x1
	v_cndmask_b32_e64 v10, 0, 4, vcc_lo
	s_delay_alu instid0(VALU_DEP_1)
	v_add_lshl_u32 v52, v10, v47, 2
	ds_bpermute_b32 v10, v52, v4
	s_wait_dscnt 0x1
	ds_bpermute_b32 v11, v52, v9
	v_cmpx_le_u32_e64 v53, v7
	;; [unrolled: 27-line block ×3, first 2 shown]
	s_cbranch_execz .LBB1680_104
; %bb.103:
	s_wait_dscnt 0x1
	v_dual_add_f32 v10, v4, v10 :: v_dual_bitop2_b32 v9, 1, v5 bitop3:0x40
	s_wait_dscnt 0x0
	v_and_b32_e32 v11, 1, v11
	v_and_b32_e32 v56, 0xff, v5
	s_delay_alu instid0(VALU_DEP_3) | instskip(NEXT) | instid1(VALU_DEP_3)
	v_cmp_eq_u32_e32 vcc_lo, 1, v9
	v_cndmask_b32_e64 v5, v11, 1, vcc_lo
	s_delay_alu instid0(VALU_DEP_3) | instskip(NEXT) | instid1(VALU_DEP_2)
	v_cmp_eq_u16_e32 vcc_lo, 0, v56
	v_and_b32_e32 v9, 0xffff, v5
	v_cndmask_b32_e32 v4, v4, v10, vcc_lo
.LBB1680_104:
	s_or_b32 exec_lo, exec_lo, s12
	v_lshl_or_b32 v58, v47, 2, 64
	v_add_nc_u32_e32 v59, 16, v47
	s_mov_b32 s12, exec_lo
	s_wait_dscnt 0x1
	ds_bpermute_b32 v10, v58, v4
	ds_bpermute_b32 v9, v58, v9
	v_cmpx_le_u32_e64 v59, v7
	s_cbranch_execz .LBB1680_106
; %bb.105:
	v_and_b32_e32 v7, 0xff, v5
	s_wait_dscnt 0x1
	v_dual_add_f32 v10, v4, v10 :: v_dual_bitop2_b32 v5, 1, v5 bitop3:0x40
	s_delay_alu instid0(VALU_DEP_2) | instskip(SKIP_1) | instid1(VALU_DEP_2)
	v_cmp_eq_u16_e32 vcc_lo, 0, v7
	s_wait_dscnt 0x0
	v_dual_cndmask_b32 v4, v4, v10, vcc_lo :: v_dual_bitop2_b32 v9, 1, v9 bitop3:0x40
	s_delay_alu instid0(VALU_DEP_3) | instskip(NEXT) | instid1(VALU_DEP_2)
	v_cmp_eq_u32_e32 vcc_lo, 1, v5
	v_cndmask_b32_e64 v5, v9, 1, vcc_lo
.LBB1680_106:
	s_or_b32 exec_lo, exec_lo, s12
	s_wait_dscnt 0x0
	v_mov_b32_e32 v9, 0
	s_branch .LBB1680_109
.LBB1680_107:                           ;   in Loop: Header=BB1680_109 Depth=1
	s_or_b32 exec_lo, exec_lo, s12
	s_wait_dscnt 0x1
	ds_bpermute_b32 v11, v58, v4
	ds_bpermute_b32 v10, v58, v10
	s_wait_dscnt 0x2
	v_and_b32_e32 v60, 1, v5
	v_and_b32_e32 v61, 0xff, v5
	v_subrev_nc_u32_e32 v8, 32, v8
	s_mov_b32 s12, 0
	s_wait_dscnt 0x1
	v_add_f32_e32 v11, v4, v11
	v_cmp_eq_u32_e32 vcc_lo, 1, v60
	s_wait_dscnt 0x0
	v_cndmask_b32_e64 v10, v10, 1, vcc_lo
	v_cmp_eq_u16_e32 vcc_lo, 0, v61
	v_cndmask_b32_e32 v11, v4, v11, vcc_lo
	v_cmp_gt_u32_e32 vcc_lo, v59, v7
	v_and_b32_e32 v7, 0xff, v56
	s_delay_alu instid0(VALU_DEP_3) | instskip(SKIP_1) | instid1(VALU_DEP_3)
	v_dual_cndmask_b32 v5, v10, v5 :: v_dual_cndmask_b32 v4, v11, v4
	v_and_b32_e32 v10, 1, v56
	v_cmp_eq_u16_e32 vcc_lo, 0, v7
	s_delay_alu instid0(VALU_DEP_3) | instskip(NEXT) | instid1(VALU_DEP_1)
	v_dual_add_f32 v4, v57, v4 :: v_dual_bitop2_b32 v5, 1, v5 bitop3:0x40
	v_cndmask_b32_e32 v4, v57, v4, vcc_lo
	s_delay_alu instid0(VALU_DEP_4) | instskip(NEXT) | instid1(VALU_DEP_3)
	v_cmp_eq_u32_e32 vcc_lo, 1, v10
	v_cndmask_b32_e64 v5, v5, 1, vcc_lo
.LBB1680_108:                           ;   in Loop: Header=BB1680_109 Depth=1
	s_and_b32 vcc_lo, exec_lo, s12
	s_cbranch_vccnz .LBB1680_173
.LBB1680_109:                           ; =>This Loop Header: Depth=1
                                        ;     Child Loop BB1680_112 Depth 2
	v_and_b32_e32 v6, 0xff, v6
	s_delay_alu instid0(VALU_DEP_2) | instskip(SKIP_1) | instid1(VALU_DEP_2)
	v_dual_mov_b32 v56, v5 :: v_dual_mov_b32 v57, v4
	s_mov_b32 s12, -1
	v_cmp_ne_u16_e32 vcc_lo, 2, v6
                                        ; implicit-def: $vgpr5
	s_cmp_lg_u32 vcc_lo, exec_lo
	s_cbranch_scc1 .LBB1680_108
; %bb.110:                              ;   in Loop: Header=BB1680_109 Depth=1
	v_lshl_add_u64 v[10:11], v[8:9], 4, s[16:17]
	;;#ASMSTART
	global_load_b128 v[4:7], v[10:11] off scope:SCOPE_DEV	
s_wait_loadcnt 0x0
	;;#ASMEND
	v_and_b32_e32 v7, 0xff, v6
	s_mov_b32 s12, exec_lo
	s_delay_alu instid0(VALU_DEP_1)
	v_cmpx_eq_u16_e32 0, v7
	s_cbranch_execz .LBB1680_114
; %bb.111:                              ;   in Loop: Header=BB1680_109 Depth=1
	s_mov_b32 s13, 0
.LBB1680_112:                           ;   Parent Loop BB1680_109 Depth=1
                                        ; =>  This Inner Loop Header: Depth=2
	;;#ASMSTART
	global_load_b128 v[4:7], v[10:11] off scope:SCOPE_DEV	
s_wait_loadcnt 0x0
	;;#ASMEND
	v_and_b32_e32 v7, 0xff, v6
	s_delay_alu instid0(VALU_DEP_1) | instskip(SKIP_1) | instid1(SALU_CYCLE_1)
	v_cmp_ne_u16_e32 vcc_lo, 0, v7
	s_or_b32 s13, vcc_lo, s13
	s_and_not1_b32 exec_lo, exec_lo, s13
	s_cbranch_execnz .LBB1680_112
; %bb.113:                              ;   in Loop: Header=BB1680_109 Depth=1
	s_or_b32 exec_lo, exec_lo, s13
.LBB1680_114:                           ;   in Loop: Header=BB1680_109 Depth=1
	s_delay_alu instid0(SALU_CYCLE_1)
	s_or_b32 exec_lo, exec_lo, s12
	v_and_b32_e32 v10, 0xff, v5
	v_and_b32_e32 v7, 0xff, v6
	ds_bpermute_b32 v11, v48, v4
	s_mov_b32 s12, exec_lo
	ds_bpermute_b32 v60, v48, v10
	v_cmp_eq_u16_e32 vcc_lo, 2, v7
	v_and_or_b32 v7, vcc_lo, v49, 0x80000000
	s_delay_alu instid0(VALU_DEP_1) | instskip(NEXT) | instid1(VALU_DEP_1)
	v_ctz_i32_b32_e32 v7, v7
	v_cmpx_lt_u32_e64 v47, v7
	s_cbranch_execz .LBB1680_116
; %bb.115:                              ;   in Loop: Header=BB1680_109 Depth=1
	s_wait_dscnt 0x1
	v_dual_add_f32 v11, v4, v11 :: v_dual_bitop2_b32 v10, 1, v5 bitop3:0x40
	s_wait_dscnt 0x0
	v_and_b32_e32 v60, 1, v60
	v_and_b32_e32 v61, 0xff, v5
	s_delay_alu instid0(VALU_DEP_3) | instskip(NEXT) | instid1(VALU_DEP_3)
	v_cmp_eq_u32_e32 vcc_lo, 1, v10
	v_cndmask_b32_e64 v5, v60, 1, vcc_lo
	s_delay_alu instid0(VALU_DEP_3) | instskip(NEXT) | instid1(VALU_DEP_2)
	v_cmp_eq_u16_e32 vcc_lo, 0, v61
	v_and_b32_e32 v10, 0xffff, v5
	v_cndmask_b32_e32 v4, v4, v11, vcc_lo
.LBB1680_116:                           ;   in Loop: Header=BB1680_109 Depth=1
	s_or_b32 exec_lo, exec_lo, s12
	s_wait_dscnt 0x1
	ds_bpermute_b32 v11, v50, v4
	s_wait_dscnt 0x1
	ds_bpermute_b32 v60, v50, v10
	s_mov_b32 s12, exec_lo
	v_cmpx_le_u32_e64 v51, v7
	s_cbranch_execz .LBB1680_118
; %bb.117:                              ;   in Loop: Header=BB1680_109 Depth=1
	s_wait_dscnt 0x1
	v_dual_add_f32 v11, v4, v11 :: v_dual_bitop2_b32 v10, 1, v5 bitop3:0x40
	s_wait_dscnt 0x0
	v_and_b32_e32 v60, 1, v60
	v_and_b32_e32 v61, 0xff, v5
	s_delay_alu instid0(VALU_DEP_3) | instskip(NEXT) | instid1(VALU_DEP_3)
	v_cmp_eq_u32_e32 vcc_lo, 1, v10
	v_cndmask_b32_e64 v5, v60, 1, vcc_lo
	s_delay_alu instid0(VALU_DEP_3) | instskip(NEXT) | instid1(VALU_DEP_2)
	v_cmp_eq_u16_e32 vcc_lo, 0, v61
	v_and_b32_e32 v10, 0xffff, v5
	v_cndmask_b32_e32 v4, v4, v11, vcc_lo
.LBB1680_118:                           ;   in Loop: Header=BB1680_109 Depth=1
	s_or_b32 exec_lo, exec_lo, s12
	s_wait_dscnt 0x1
	ds_bpermute_b32 v11, v52, v4
	s_wait_dscnt 0x1
	ds_bpermute_b32 v60, v52, v10
	s_mov_b32 s12, exec_lo
	v_cmpx_le_u32_e64 v53, v7
	;; [unrolled: 22-line block ×3, first 2 shown]
	s_cbranch_execz .LBB1680_107
; %bb.121:                              ;   in Loop: Header=BB1680_109 Depth=1
	s_wait_dscnt 0x1
	v_dual_add_f32 v11, v4, v11 :: v_dual_bitop2_b32 v10, 1, v5 bitop3:0x40
	s_wait_dscnt 0x0
	v_and_b32_e32 v60, 1, v60
	v_and_b32_e32 v61, 0xff, v5
	s_delay_alu instid0(VALU_DEP_3) | instskip(NEXT) | instid1(VALU_DEP_3)
	v_cmp_eq_u32_e32 vcc_lo, 1, v10
	v_cndmask_b32_e64 v5, v60, 1, vcc_lo
	s_delay_alu instid0(VALU_DEP_3) | instskip(NEXT) | instid1(VALU_DEP_2)
	v_cmp_eq_u16_e32 vcc_lo, 0, v61
	v_and_b32_e32 v10, 0xffff, v5
	v_cndmask_b32_e32 v4, v4, v11, vcc_lo
	s_branch .LBB1680_107
.LBB1680_122:
	s_or_b32 exec_lo, exec_lo, s11
                                        ; implicit-def: $vgpr15
	s_and_saveexec_b32 s11, s0
	s_cbranch_execz .LBB1680_29
.LBB1680_123:
	flat_load_b32 v15, v0, s[12:13] offset:1024 scale_offset
	s_wait_loadcnt_dscnt 0x0
	v_cvt_f32_u32_e32 v15, v15
	s_or_b32 exec_lo, exec_lo, s11
                                        ; implicit-def: $vgpr16
	s_and_saveexec_b32 s0, s1
	s_cbranch_execnz .LBB1680_30
.LBB1680_124:
	s_or_b32 exec_lo, exec_lo, s0
                                        ; implicit-def: $vgpr17
	s_and_saveexec_b32 s0, s2
	s_cbranch_execz .LBB1680_31
.LBB1680_125:
	flat_load_b32 v17, v0, s[12:13] offset:3072 scale_offset
	s_wait_loadcnt_dscnt 0x0
	v_cvt_f32_u32_e32 v17, v17
	s_or_b32 exec_lo, exec_lo, s0
                                        ; implicit-def: $vgpr18
	s_and_saveexec_b32 s0, s3
	s_cbranch_execnz .LBB1680_32
.LBB1680_126:
	s_or_b32 exec_lo, exec_lo, s0
                                        ; implicit-def: $vgpr19
	s_and_saveexec_b32 s0, s4
	s_cbranch_execz .LBB1680_33
.LBB1680_127:
	flat_load_b32 v19, v0, s[12:13] offset:5120 scale_offset
	s_wait_loadcnt_dscnt 0x0
	v_cvt_f32_u32_e32 v19, v19
	s_or_b32 exec_lo, exec_lo, s0
                                        ; implicit-def: $vgpr20
	s_and_saveexec_b32 s0, s5
	s_cbranch_execnz .LBB1680_34
.LBB1680_128:
	s_or_b32 exec_lo, exec_lo, s0
                                        ; implicit-def: $vgpr21
	s_and_saveexec_b32 s0, s6
	s_cbranch_execz .LBB1680_35
.LBB1680_129:
	flat_load_b32 v21, v0, s[12:13] offset:7168 scale_offset
	s_wait_loadcnt_dscnt 0x0
	v_cvt_f32_u32_e32 v21, v21
	s_or_b32 exec_lo, exec_lo, s0
                                        ; implicit-def: $vgpr22
	s_and_saveexec_b32 s0, s7
	s_cbranch_execnz .LBB1680_36
.LBB1680_130:
	s_or_b32 exec_lo, exec_lo, s0
                                        ; implicit-def: $vgpr23
	s_and_saveexec_b32 s0, s8
	s_cbranch_execz .LBB1680_37
.LBB1680_131:
	flat_load_b32 v23, v0, s[12:13] offset:9216 scale_offset
	s_wait_loadcnt_dscnt 0x0
	v_cvt_f32_u32_e32 v23, v23
	s_or_b32 exec_lo, exec_lo, s0
                                        ; implicit-def: $vgpr24
	s_and_saveexec_b32 s0, s9
	s_cbranch_execz .LBB1680_39
	s_branch .LBB1680_38
.LBB1680_132:
                                        ; implicit-def: $vgpr13
                                        ; implicit-def: $vgpr9
                                        ; implicit-def: $vgpr5
	s_cbranch_execnz .LBB1680_178
.LBB1680_133:
	s_add_nc_u64 s[0:1], s[14:15], s[26:27]
	s_and_b32 vcc_lo, exec_lo, s19
	s_add_nc_u64 s[0:1], s[0:1], s[20:21]
	s_cbranch_vccz .LBB1680_197
.LBB1680_134:
	v_mul_u32_u24_e32 v1, 12, v0
	s_add_co_i32 s29, s29, s18
	s_mov_b32 s2, exec_lo
	s_delay_alu instid0(VALU_DEP_1)
	v_cmpx_gt_u32_e64 s29, v1
	s_cbranch_execz .LBB1680_150
; %bb.135:
	v_or_b32_e32 v15, 1, v1
	s_mov_b32 s3, exec_lo
	s_delay_alu instid0(VALU_DEP_1)
	v_cmpx_gt_u32_e64 s29, v15
	s_cbranch_execz .LBB1680_149
; %bb.136:
	v_or_b32_e32 v15, 2, v1
	;; [unrolled: 6-line block ×3, first 2 shown]
	s_mov_b32 s5, exec_lo
	s_delay_alu instid0(VALU_DEP_1)
	v_cmpx_gt_u32_e64 s29, v15
	s_cbranch_execz .LBB1680_147
; %bb.138:
	v_add_nc_u32_e32 v15, 4, v1
	s_mov_b32 s6, exec_lo
	s_delay_alu instid0(VALU_DEP_1)
	v_cmpx_gt_u32_e64 s29, v15
	s_cbranch_execz .LBB1680_146
; %bb.139:
	v_add_nc_u32_e32 v15, 5, v1
	;; [unrolled: 6-line block ×4, first 2 shown]
	s_mov_b32 s9, exec_lo
	s_delay_alu instid0(VALU_DEP_1)
	v_cmpx_gt_u32_e64 s29, v15
; %bb.142:
	v_add_nc_u32_e32 v15, 8, v1
	s_mov_b32 s10, exec_lo
	s_delay_alu instid0(VALU_DEP_1)
	v_cmpx_gt_u32_e64 s29, v15
	s_or_b32 exec_lo, exec_lo, s10
; %bb.143:
	s_delay_alu instid0(SALU_CYCLE_1)
	s_or_b32 exec_lo, exec_lo, s9
.LBB1680_144:
	s_delay_alu instid0(SALU_CYCLE_1)
	s_or_b32 exec_lo, exec_lo, s8
.LBB1680_145:
	s_delay_alu instid0(SALU_CYCLE_1)
	s_or_b32 exec_lo, exec_lo, s7
.LBB1680_146:
	s_delay_alu instid0(SALU_CYCLE_1)
	s_or_b32 exec_lo, exec_lo, s6
.LBB1680_147:
	s_delay_alu instid0(SALU_CYCLE_1)
	s_or_b32 exec_lo, exec_lo, s5
.LBB1680_148:
	s_delay_alu instid0(SALU_CYCLE_1)
	s_or_b32 exec_lo, exec_lo, s4
.LBB1680_149:
	s_delay_alu instid0(SALU_CYCLE_1)
	s_or_b32 exec_lo, exec_lo, s3
.LBB1680_150:
	s_delay_alu instid0(SALU_CYCLE_1) | instskip(SKIP_3) | instid1(VALU_DEP_1)
	s_or_b32 exec_lo, exec_lo, s2
	v_lshlrev_b32_e32 v1, 2, v1
	s_barrier_signal -1
	s_barrier_wait -1
	v_mad_i32_i24 v15, 0xffffffd4, v0, v1
	ds_store_b128 v1, v[2:5]
	ds_store_b128 v1, v[6:9] offset:16
	ds_store_b128 v1, v[10:13] offset:32
	s_wait_dscnt 0x0
	s_barrier_signal -1
	s_barrier_wait -1
	ds_load_2addr_stride64_b32 v[26:27], v15 offset0:4 offset1:8
	ds_load_2addr_stride64_b32 v[24:25], v15 offset0:12 offset1:16
	;; [unrolled: 1-line block ×5, first 2 shown]
	ds_load_b32 v17, v15 offset:11264
	v_mov_b32_e32 v15, 0
	s_mov_b32 s2, exec_lo
	s_delay_alu instid0(VALU_DEP_1)
	v_add_nc_u64_e32 v[14:15], s[0:1], v[14:15]
	v_cmpx_gt_u32_e64 s29, v0
	s_cbranch_execz .LBB1680_152
; %bb.151:
	v_mul_i32_i24_e32 v16, 0xffffffd4, v0
	s_delay_alu instid0(VALU_DEP_1)
	v_add_nc_u32_e32 v1, v1, v16
	ds_load_b32 v1, v1
	s_wait_dscnt 0x0
	flat_store_b32 v[14:15], v1
.LBB1680_152:
	s_wait_xcnt 0x0
	s_or_b32 exec_lo, exec_lo, s2
	v_or_b32_e32 v1, 0x100, v0
	s_mov_b32 s2, exec_lo
	s_delay_alu instid0(VALU_DEP_1)
	v_cmpx_gt_u32_e64 s29, v1
	s_cbranch_execz .LBB1680_154
; %bb.153:
	s_wait_dscnt 0x5
	flat_store_b32 v[14:15], v26 offset:1024
.LBB1680_154:
	s_wait_xcnt 0x0
	s_or_b32 exec_lo, exec_lo, s2
	v_or_b32_e32 v1, 0x200, v0
	s_mov_b32 s2, exec_lo
	s_delay_alu instid0(VALU_DEP_1)
	v_cmpx_gt_u32_e64 s29, v1
	s_cbranch_execz .LBB1680_156
; %bb.155:
	s_wait_dscnt 0x5
	flat_store_b32 v[14:15], v27 offset:2048
.LBB1680_156:
	;; [unrolled: 11-line block ×10, first 2 shown]
	s_wait_xcnt 0x0
	s_or_b32 exec_lo, exec_lo, s2
	v_or_b32_e32 v1, 0xb00, v0
	s_delay_alu instid0(VALU_DEP_1)
	v_cmp_gt_u32_e64 s2, s29, v1
	s_branch .LBB1680_199
.LBB1680_173:
	s_and_saveexec_b32 s12, s11
	s_cbranch_execz .LBB1680_175
; %bb.174:
	v_and_b32_e32 v4, 0xff, v3
	v_dual_add_f32 v5, v57, v2 :: v_dual_bitop2_b32 v3, 1, v3 bitop3:0x40
	s_mov_b32 s35, 0
	s_add_co_i32 s34, s28, 32
	s_delay_alu instid0(VALU_DEP_2)
	v_cmp_eq_u32_e32 vcc_lo, 0, v4
	v_and_b32_e32 v6, 1, v56
	s_lshl_b64 s[34:35], s[34:35], 4
	v_mov_b32_e32 v4, 2
	s_add_nc_u64 s[34:35], s[16:17], s[34:35]
	v_cndmask_b32_e32 v2, v2, v5, vcc_lo
	v_cmp_eq_u32_e32 vcc_lo, 1, v3
	v_mov_b32_e32 v5, 0
	v_cndmask_b32_e64 v3, v6, 1, vcc_lo
	v_mov_b64_e32 v[6:7], s[34:35]
	;;#ASMSTART
	global_store_b128 v[6:7], v[2:5] off scope:SCOPE_DEV	
s_wait_storecnt 0x0
	;;#ASMEND
.LBB1680_175:
	s_or_b32 exec_lo, exec_lo, s12
	s_delay_alu instid0(SALU_CYCLE_1)
	s_and_b32 exec_lo, exec_lo, s10
	s_cbranch_execz .LBB1680_177
; %bb.176:
	v_mov_b32_e32 v2, 0
	ds_store_b32 v2, v57
	ds_store_b8 v2, v56 offset:4
.LBB1680_177:
	s_or_b32 exec_lo, exec_lo, s30
	s_wait_dscnt 0x0
	v_cmp_eq_u32_e32 vcc_lo, 0, v13
	v_mov_b32_e32 v2, 0
	s_barrier_signal -1
	s_barrier_wait -1
	ds_load_b32 v2, v2
	s_wait_dscnt 0x0
	v_add_f32_e32 v3, v12, v2
	s_delay_alu instid0(VALU_DEP_1) | instskip(SKIP_1) | instid1(VALU_DEP_2)
	v_cndmask_b32_e32 v3, v12, v3, vcc_lo
	v_cmp_eq_u16_e32 vcc_lo, 0, v30
	v_cndmask_b32_e64 v2, v3, v2, s10
	s_delay_alu instid0(VALU_DEP_1) | instskip(NEXT) | instid1(VALU_DEP_1)
	v_add_f32_e32 v3, v27, v2
	v_cndmask_b32_e32 v3, v27, v3, vcc_lo
	s_delay_alu instid0(VALU_DEP_1) | instskip(NEXT) | instid1(VALU_DEP_1)
	v_add_f32_e32 v4, v15, v3
	v_cndmask_b32_e64 v4, v15, v4, s0
	s_delay_alu instid0(VALU_DEP_1) | instskip(NEXT) | instid1(VALU_DEP_1)
	v_add_f32_e32 v5, v25, v4
	v_cndmask_b32_e64 v5, v25, v5, s1
	;; [unrolled: 3-line block ×10, first 2 shown]
	s_branch .LBB1680_133
.LBB1680_178:
	s_cmp_eq_u64 s[24:25], 0
	v_mov_b32_e32 v47, s33
	s_cselect_b32 s0, -1, 0
	s_cmp_eq_u64 s[22:23], 0
	s_cselect_b32 s1, -1, 0
	s_delay_alu instid0(SALU_CYCLE_1) | instskip(NEXT) | instid1(SALU_CYCLE_1)
	s_or_b32 s0, s0, s1
	s_and_b32 vcc_lo, exec_lo, s0
	s_cbranch_vccnz .LBB1680_180
; %bb.179:
	v_mov_b32_e32 v2, 0
	global_load_b32 v47, v2, s[22:23]
.LBB1680_180:
	v_cmp_eq_u16_e32 vcc_lo, 0, v46
	v_cmp_eq_u16_e64 s0, 0, v45
	v_cmp_eq_u16_e64 s1, 0, v44
	;; [unrolled: 1-line block ×4, first 2 shown]
	s_wait_xcnt 0x0
	v_dual_cndmask_b32 v2, v15, v43, vcc_lo :: v_dual_bitop2_b32 v4, 56, v34 bitop3:0x40
	v_cmp_eq_u16_e64 s4, 0, v40
	v_cmp_eq_u16_e64 s5, 0, v39
	;; [unrolled: 1-line block ×3, first 2 shown]
	s_delay_alu instid0(VALU_DEP_4)
	v_add_f32_e32 v2, v25, v2
	v_cmp_eq_u16_e64 s7, 0, v37
	v_bitop3_b16 v3, v36, v26, v28 bitop3:0xfe
	v_cmp_eq_u16_e64 s8, 0, v35
	v_lshl_add_u32 v4, v0, 3, v4
	v_cndmask_b32_e64 v2, v25, v2, s0
	s_mov_b32 s11, exec_lo
	v_bitop3_b16 v3, v3, v29, v24 bitop3:0xfe
	s_delay_alu instid0(VALU_DEP_2) | instskip(NEXT) | instid1(VALU_DEP_2)
	v_add_f32_e32 v2, v23, v2
	v_bitop3_b16 v3, v33, 0xff, v3 bitop3:0xc8
	s_delay_alu instid0(VALU_DEP_2) | instskip(NEXT) | instid1(VALU_DEP_2)
	v_cndmask_b32_e64 v2, v23, v2, s1
	v_cmp_eq_u16_e64 s9, 0, v3
	s_delay_alu instid0(VALU_DEP_2) | instskip(NEXT) | instid1(VALU_DEP_2)
	v_add_f32_e32 v2, v22, v2
	v_cndmask_b32_e64 v3, 1, v30, s9
	v_cmp_eq_u16_e64 s9, 0, v31
	s_delay_alu instid0(VALU_DEP_3) | instskip(NEXT) | instid1(VALU_DEP_1)
	v_cndmask_b32_e64 v2, v22, v2, s2
	v_add_f32_e32 v2, v20, v2
	s_delay_alu instid0(VALU_DEP_1) | instskip(NEXT) | instid1(VALU_DEP_1)
	v_cndmask_b32_e64 v2, v20, v2, s3
	v_add_f32_e32 v2, v19, v2
	s_delay_alu instid0(VALU_DEP_1) | instskip(NEXT) | instid1(VALU_DEP_1)
	;; [unrolled: 3-line block ×6, first 2 shown]
	v_cndmask_b32_e64 v2, v16, v2, s8
	v_add_f32_e32 v2, v21, v2
	s_delay_alu instid0(VALU_DEP_1) | instskip(SKIP_1) | instid1(VALU_DEP_1)
	v_cndmask_b32_e64 v5, v21, v2, s9
	v_cmp_eq_u32_e64 s9, 1, v32
	v_cndmask_b32_e64 v6, v3, 1, s9
	ds_store_b32 v4, v5
	ds_store_b8 v4, v6 offset:4
	s_wait_loadcnt_dscnt 0x0
	s_barrier_signal -1
	s_barrier_wait -1
	v_cmpx_gt_u32_e32 32, v0
	s_cbranch_execz .LBB1680_192
; %bb.181:
	v_dual_lshlrev_b32 v2, 1, v0 :: v_dual_lshlrev_b32 v3, 6, v0
	s_mov_b32 s12, exec_lo
	s_delay_alu instid0(VALU_DEP_1) | instskip(NEXT) | instid1(VALU_DEP_1)
	v_and_b32_e32 v2, 0x1f8, v2
	v_add_nc_u32_e32 v4, v2, v3
	ds_load_2addr_b32 v[8:9], v4 offset0:2 offset1:4
	ds_load_b64 v[2:3], v4
	ds_load_u8 v7, v4 offset:12
	ds_load_2addr_b32 v[10:11], v4 offset0:6 offset1:8
	ds_load_u8 v12, v4 offset:20
	ds_load_u8 v13, v4 offset:28
	;; [unrolled: 1-line block ×5, first 2 shown]
	ds_load_b32 v28, v4 offset:56
	s_wait_dscnt 0x8
	v_add_f32_e32 v29, v2, v8
	s_wait_dscnt 0x7
	v_cmp_eq_u16_e64 s9, 0, v7
	s_wait_dscnt 0x5
	v_or_b32_e32 v7, v12, v7
	s_delay_alu instid0(VALU_DEP_2) | instskip(SKIP_2) | instid1(VALU_DEP_3)
	v_cndmask_b32_e64 v8, v8, v29, s9
	v_cmp_eq_u16_e64 s9, 0, v12
	s_wait_dscnt 0x3
	v_bitop3_b16 v7, v7, v21, v13 bitop3:0xfe
	s_delay_alu instid0(VALU_DEP_3) | instskip(NEXT) | instid1(VALU_DEP_1)
	v_add_f32_e32 v8, v9, v8
	v_cndmask_b32_e64 v29, v9, v8, s9
	ds_load_2addr_b32 v[8:9], v4 offset0:10 offset1:12
	v_cmp_eq_u16_e64 s9, 0, v13
	v_and_b32_e32 v13, 0xffffff00, v3
	v_add_f32_e32 v29, v10, v29
	s_delay_alu instid0(VALU_DEP_1) | instskip(SKIP_3) | instid1(VALU_DEP_1)
	v_cndmask_b32_e64 v10, v10, v29, s9
	v_cmp_eq_u16_e64 s9, 0, v21
	ds_load_u8 v29, v4 offset:60
	v_add_f32_e32 v10, v11, v10
	v_cndmask_b32_e64 v10, v11, v10, s9
	s_wait_dscnt 0x4
	v_cmp_eq_u16_e64 s9, 0, v24
	s_wait_dscnt 0x1
	s_delay_alu instid0(VALU_DEP_2) | instskip(NEXT) | instid1(VALU_DEP_1)
	v_add_f32_e32 v10, v8, v10
	v_cndmask_b32_e64 v8, v8, v10, s9
	v_bitop3_b16 v10, v7, v26, v24 bitop3:0xfe
	v_and_b32_e32 v7, 1, v3
	s_wait_dscnt 0x0
	v_and_b32_e32 v11, 1, v29
	s_delay_alu instid0(VALU_DEP_3) | instskip(NEXT) | instid1(VALU_DEP_1)
	v_cmp_eq_u16_e64 s9, 0, v10
	v_dual_add_f32 v8, v9, v8 :: v_dual_cndmask_b32 v10, 1, v7, s9
	v_cmp_eq_u16_e64 s9, 0, v26
	s_delay_alu instid0(VALU_DEP_1) | instskip(SKIP_1) | instid1(VALU_DEP_1)
	v_cndmask_b32_e64 v8, v9, v8, s9
	v_cmp_eq_u32_e64 s9, 1, v11
	v_cndmask_b32_e64 v11, v10, 1, s9
	v_cmp_eq_u16_e64 s9, 0, v29
	s_delay_alu instid0(VALU_DEP_2) | instskip(SKIP_1) | instid1(VALU_DEP_2)
	v_dual_add_f32 v9, v28, v8 :: v_dual_bitop2_b32 v10, v11, v13 bitop3:0x54
	v_mbcnt_lo_u32_b32 v8, -1, 0
	v_mov_b32_dpp v24, v10 row_shr:1 row_mask:0xf bank_mask:0xf
	s_delay_alu instid0(VALU_DEP_2) | instskip(NEXT) | instid1(VALU_DEP_1)
	v_dual_cndmask_b32 v9, v28, v9, s9 :: v_dual_bitop2_b32 v12, 15, v8 bitop3:0x40
	v_mov_b32_dpp v21, v9 row_shr:1 row_mask:0xf bank_mask:0xf
	s_delay_alu instid0(VALU_DEP_2)
	v_cmpx_ne_u32_e32 0, v12
	s_cbranch_execz .LBB1680_183
; %bb.182:
	s_delay_alu instid0(VALU_DEP_2) | instskip(SKIP_2) | instid1(VALU_DEP_3)
	v_dual_add_f32 v21, v9, v21 :: v_dual_bitop2_b32 v10, 1, v11 bitop3:0x40
	v_cmp_eq_u32_e64 s9, 0, v11
	v_and_b32_e32 v24, 1, v24
	v_cmp_eq_u32_e64 s10, 1, v10
	s_delay_alu instid0(VALU_DEP_3) | instskip(NEXT) | instid1(VALU_DEP_2)
	v_cndmask_b32_e64 v9, v9, v21, s9
	v_cndmask_b32_e64 v11, v24, 1, s10
	s_delay_alu instid0(VALU_DEP_1)
	v_or_b32_e32 v10, v11, v13
.LBB1680_183:
	s_or_b32 exec_lo, exec_lo, s12
	s_delay_alu instid0(VALU_DEP_3) | instskip(NEXT) | instid1(VALU_DEP_2)
	v_mov_b32_dpp v13, v9 row_shr:2 row_mask:0xf bank_mask:0xf
	v_mov_b32_dpp v21, v10 row_shr:2 row_mask:0xf bank_mask:0xf
	s_mov_b32 s12, exec_lo
	v_cmpx_lt_u32_e32 1, v12
	s_cbranch_execz .LBB1680_185
; %bb.184:
	v_dual_add_f32 v13, v9, v13 :: v_dual_bitop2_b32 v24, 1, v11 bitop3:0x40
	v_and_b32_e32 v21, 1, v21
	v_cmp_eq_u32_e64 s9, 0, v11
	s_delay_alu instid0(VALU_DEP_3) | instskip(NEXT) | instid1(VALU_DEP_2)
	v_cmp_eq_u32_e64 s10, 1, v24
	v_cndmask_b32_e64 v9, v9, v13, s9
	s_delay_alu instid0(VALU_DEP_2) | instskip(NEXT) | instid1(VALU_DEP_1)
	v_cndmask_b32_e64 v11, v21, 1, s10
	v_and_or_b32 v10, 0xffffff00, v10, v11
.LBB1680_185:
	s_or_b32 exec_lo, exec_lo, s12
	s_delay_alu instid0(VALU_DEP_3) | instskip(NEXT) | instid1(VALU_DEP_2)
	v_mov_b32_dpp v13, v9 row_shr:4 row_mask:0xf bank_mask:0xf
	v_mov_b32_dpp v21, v10 row_shr:4 row_mask:0xf bank_mask:0xf
	s_mov_b32 s12, exec_lo
	v_cmpx_lt_u32_e32 3, v12
	s_cbranch_execz .LBB1680_187
; %bb.186:
	v_dual_add_f32 v13, v9, v13 :: v_dual_bitop2_b32 v24, 1, v11 bitop3:0x40
	v_and_b32_e32 v21, 1, v21
	v_cmp_eq_u32_e64 s9, 0, v11
	s_delay_alu instid0(VALU_DEP_3) | instskip(NEXT) | instid1(VALU_DEP_2)
	v_cmp_eq_u32_e64 s10, 1, v24
	v_cndmask_b32_e64 v9, v9, v13, s9
	s_delay_alu instid0(VALU_DEP_2) | instskip(NEXT) | instid1(VALU_DEP_1)
	v_cndmask_b32_e64 v11, v21, 1, s10
	v_and_or_b32 v10, 0xffffff00, v10, v11
.LBB1680_187:
	;; [unrolled: 18-line block ×3, first 2 shown]
	s_or_b32 exec_lo, exec_lo, s12
	ds_swizzle_b32 v12, v9 offset:swizzle(BROADCAST,32,15)
	ds_swizzle_b32 v13, v10 offset:swizzle(BROADCAST,32,15)
	v_and_b32_e32 v21, 16, v8
	s_mov_b32 s10, exec_lo
	s_delay_alu instid0(VALU_DEP_1)
	v_cmpx_ne_u32_e32 0, v21
	s_cbranch_execz .LBB1680_191
; %bb.190:
	s_wait_dscnt 0x1
	v_dual_add_f32 v12, v9, v12 :: v_dual_bitop2_b32 v21, 1, v11 bitop3:0x40
	s_wait_dscnt 0x0
	v_and_b32_e32 v13, 1, v13
	s_delay_alu instid0(VALU_DEP_2) | instskip(NEXT) | instid1(VALU_DEP_1)
	v_cmp_eq_u32_e64 s9, 1, v21
	v_cndmask_b32_e64 v13, v13, 1, s9
	v_cmp_eq_u32_e64 s9, 0, v11
	s_delay_alu instid0(VALU_DEP_2) | instskip(NEXT) | instid1(VALU_DEP_2)
	v_and_or_b32 v10, 0xffffff00, v10, v13
	v_cndmask_b32_e64 v9, v9, v12, s9
.LBB1680_191:
	s_or_b32 exec_lo, exec_lo, s10
	v_add_nc_u32_e32 v11, -1, v8
	v_and_b32_e32 v3, 0xff, v3
	; wave barrier
	s_delay_alu instid0(VALU_DEP_2) | instskip(NEXT) | instid1(VALU_DEP_1)
	v_cmp_gt_i32_e64 s9, 0, v11
	v_cndmask_b32_e64 v8, v11, v8, s9
	s_delay_alu instid0(VALU_DEP_3) | instskip(NEXT) | instid1(VALU_DEP_2)
	v_cmp_eq_u32_e64 s9, 0, v3
	v_lshlrev_b32_e32 v8, 2, v8
	ds_bpermute_b32 v9, v8, v9
	ds_bpermute_b32 v8, v8, v10
	s_wait_dscnt 0x0
	v_dual_add_f32 v9, v2, v9 :: v_dual_bitop2_b32 v8, 1, v8 bitop3:0x40
	s_delay_alu instid0(VALU_DEP_1) | instskip(SKIP_1) | instid1(VALU_DEP_1)
	v_cndmask_b32_e64 v2, v2, v9, s9
	v_cmp_eq_u32_e64 s9, 1, v7
	v_cndmask_b32_e64 v3, v8, 1, s9
	v_cmp_eq_u32_e64 s9, 0, v0
	s_delay_alu instid0(VALU_DEP_1)
	v_dual_cndmask_b32 v5, v2, v5, s9 :: v_dual_cndmask_b32 v8, v3, v6, s9
	ds_store_b32 v4, v5
	ds_store_b8 v4, v8 offset:4
	; wave barrier
	ds_load_2addr_b32 v[2:3], v4 offset0:2 offset1:4
	ds_load_u8 v9, v4 offset:12
	ds_load_u8 v10, v4 offset:20
	ds_load_2addr_b32 v[6:7], v4 offset0:6 offset1:8
	ds_load_u8 v11, v4 offset:28
	ds_load_u8 v12, v4 offset:36
	;; [unrolled: 1-line block ×4, first 2 shown]
	ds_load_b32 v24, v4 offset:56
	ds_load_u8 v26, v4 offset:60
	s_wait_dscnt 0x9
	v_add_f32_e32 v5, v5, v2
	s_wait_dscnt 0x8
	v_cmp_eq_u16_e64 s9, 0, v9
	s_delay_alu instid0(VALU_DEP_1) | instskip(SKIP_2) | instid1(VALU_DEP_2)
	v_cndmask_b32_e64 v5, v2, v5, s9
	s_wait_dscnt 0x7
	v_cmp_eq_u16_e64 s9, 0, v10
	v_add_f32_e32 v2, v5, v3
	s_delay_alu instid0(VALU_DEP_1)
	v_cndmask_b32_e64 v28, v3, v2, s9
	s_wait_dscnt 0x5
	v_cmp_eq_u16_e64 s9, 0, v11
	ds_load_2addr_b32 v[2:3], v4 offset0:10 offset1:12
	v_add_f32_e32 v29, v28, v6
	ds_store_2addr_b32 v4, v5, v28 offset0:2 offset1:4
	v_cndmask_b32_e64 v6, v6, v29, s9
	s_delay_alu instid0(VALU_DEP_1) | instskip(NEXT) | instid1(VALU_DEP_1)
	v_dual_add_f32 v29, v6, v7 :: v_dual_bitop2_b32 v9, 1, v9 bitop3:0x40
	v_cmp_eq_u32_e64 s9, 1, v9
	s_delay_alu instid0(VALU_DEP_1) | instskip(SKIP_2) | instid1(VALU_DEP_1)
	v_cndmask_b32_e64 v8, v8, 1, s9
	s_wait_dscnt 0x6
	v_cmp_eq_u16_e64 s9, 0, v12
	v_dual_cndmask_b32 v7, v7, v29, s9 :: v_dual_bitop2_b32 v10, 1, v10 bitop3:0x40
	v_and_b32_e32 v9, 1, v11
	s_delay_alu instid0(VALU_DEP_2) | instskip(SKIP_1) | instid1(VALU_DEP_3)
	v_cmp_eq_u32_e64 s9, 1, v10
	s_wait_dscnt 0x1
	v_dual_add_f32 v12, v7, v2 :: v_dual_bitop2_b32 v11, 1, v12 bitop3:0x40
	s_delay_alu instid0(VALU_DEP_2) | instskip(SKIP_1) | instid1(VALU_DEP_1)
	v_cndmask_b32_e64 v10, v8, 1, s9
	v_cmp_eq_u32_e64 s9, 1, v9
	v_cndmask_b32_e64 v9, v10, 1, s9
	v_cmp_eq_u16_e64 s9, 0, v13
	s_delay_alu instid0(VALU_DEP_1) | instskip(SKIP_1) | instid1(VALU_DEP_2)
	v_dual_cndmask_b32 v2, v2, v12, s9 :: v_dual_bitop2_b32 v29, 1, v13 bitop3:0x40
	v_cmp_eq_u32_e64 s9, 1, v11
	v_add_f32_e32 v13, v2, v3
	s_delay_alu instid0(VALU_DEP_2) | instskip(NEXT) | instid1(VALU_DEP_4)
	v_cndmask_b32_e64 v11, v9, 1, s9
	v_cmp_eq_u32_e64 s9, 1, v29
	s_delay_alu instid0(VALU_DEP_1) | instskip(SKIP_1) | instid1(VALU_DEP_1)
	v_cndmask_b32_e64 v29, v11, 1, s9
	v_cmp_eq_u16_e64 s9, 0, v21
	v_dual_cndmask_b32 v3, v3, v13, s9 :: v_dual_bitop2_b32 v31, 1, v26 bitop3:0x40
	v_and_b32_e32 v12, 1, v21
	ds_store_2addr_b32 v4, v6, v7 offset0:6 offset1:8
	ds_store_2addr_b32 v4, v2, v3 offset0:10 offset1:12
	v_add_f32_e32 v5, v3, v24
	v_cmp_eq_u32_e64 s9, 1, v12
	s_delay_alu instid0(VALU_DEP_1) | instskip(SKIP_1) | instid1(VALU_DEP_1)
	v_cndmask_b32_e64 v12, v29, 1, s9
	v_cmp_eq_u32_e64 s9, 1, v31
	v_cndmask_b32_e64 v13, v12, 1, s9
	v_cmp_eq_u16_e64 s9, 0, v26
	s_delay_alu instid0(VALU_DEP_1)
	v_cndmask_b32_e64 v2, v24, v5, s9
	ds_store_b8 v4, v8 offset:12
	ds_store_b8 v4, v10 offset:20
	;; [unrolled: 1-line block ×6, first 2 shown]
	ds_store_b32 v4, v2 offset:56
	ds_store_b8 v4, v13 offset:60
.LBB1680_192:
	s_or_b32 exec_lo, exec_lo, s11
	v_cmp_eq_u32_e64 s9, 0, v0
	v_mov_b32_e32 v2, v47
	s_mov_b32 s11, exec_lo
	s_wait_dscnt 0x0
	s_barrier_signal -1
	s_barrier_wait -1
	v_cmpx_ne_u32_e32 0, v0
	s_cbranch_execz .LBB1680_194
; %bb.193:
	v_add_nc_u32_e32 v2, -1, v0
	s_delay_alu instid0(VALU_DEP_1) | instskip(NEXT) | instid1(VALU_DEP_1)
	v_lshrrev_b32_e32 v3, 2, v2
	v_and_b32_e32 v3, 0x3ffffff8, v3
	s_delay_alu instid0(VALU_DEP_1)
	v_lshl_add_u32 v2, v2, 3, v3
	ds_load_b32 v3, v2
	ds_load_u8 v2, v2 offset:4
	s_wait_dscnt 0x1
	v_add_f32_e32 v4, v47, v3
	s_wait_dscnt 0x0
	v_cmp_eq_u16_e64 s10, 0, v2
	s_delay_alu instid0(VALU_DEP_1)
	v_cndmask_b32_e64 v2, v3, v4, s10
.LBB1680_194:
	s_or_b32 exec_lo, exec_lo, s11
	s_delay_alu instid0(VALU_DEP_1) | instskip(SKIP_1) | instid1(VALU_DEP_1)
	v_add_f32_e32 v3, v27, v2
	v_cmp_eq_u16_e64 s10, 0, v30
	v_cndmask_b32_e64 v3, v27, v3, s10
	s_delay_alu instid0(VALU_DEP_1) | instskip(NEXT) | instid1(VALU_DEP_1)
	v_add_f32_e32 v4, v15, v3
	v_cndmask_b32_e32 v4, v15, v4, vcc_lo
	s_delay_alu instid0(VALU_DEP_1) | instskip(NEXT) | instid1(VALU_DEP_1)
	v_add_f32_e32 v5, v25, v4
	v_cndmask_b32_e64 v5, v25, v5, s0
	s_delay_alu instid0(VALU_DEP_1) | instskip(NEXT) | instid1(VALU_DEP_1)
	v_add_f32_e32 v6, v23, v5
	v_cndmask_b32_e64 v6, v23, v6, s1
	;; [unrolled: 3-line block ×9, first 2 shown]
	s_and_saveexec_b32 s0, s9
	s_cbranch_execz .LBB1680_196
; %bb.195:
	v_mov_b32_e32 v21, 0
	s_add_nc_u64 s[2:3], s[16:17], 0x200
	ds_load_u8 v1, v21 offset:2100
	ds_load_b32 v15, v21 offset:2096
	s_wait_dscnt 0x1
	v_and_b32_e32 v20, 0xffff, v1
	s_wait_dscnt 0x0
	v_dual_add_f32 v1, v47, v15 :: v_dual_mov_b32 v18, 2
	v_mov_b32_e32 v19, v21
	s_delay_alu instid0(VALU_DEP_3)
	v_cmp_eq_u64_e32 vcc_lo, 0, v[20:21]
	v_mov_b32_e32 v17, v20
	v_mov_b64_e32 v[20:21], s[2:3]
	v_cndmask_b32_e32 v16, v15, v1, vcc_lo
	;;#ASMSTART
	global_store_b128 v[20:21], v[16:19] off scope:SCOPE_DEV	
s_wait_storecnt 0x0
	;;#ASMEND
.LBB1680_196:
	s_or_b32 exec_lo, exec_lo, s0
	s_add_nc_u64 s[0:1], s[14:15], s[26:27]
	s_and_b32 vcc_lo, exec_lo, s19
	s_add_nc_u64 s[0:1], s[0:1], s[20:21]
	s_cbranch_vccnz .LBB1680_134
.LBB1680_197:
	s_mov_b32 s2, 0
                                        ; implicit-def: $vgpr17
	s_cbranch_execz .LBB1680_199
; %bb.198:
	v_mul_u32_u24_e32 v1, 48, v0
	v_mul_i32_i24_e32 v14, 0xffffffd4, v0
	s_wait_storecnt_dscnt 0x0
	s_barrier_signal -1
	s_barrier_wait -1
	ds_store_b128 v1, v[2:5]
	ds_store_b128 v1, v[6:9] offset:16
	ds_store_b128 v1, v[10:13] offset:32
	v_mad_u32_u24 v1, v0, 48, v14
	s_wait_dscnt 0x0
	s_barrier_signal -1
	s_barrier_wait -1
	ds_load_2addr_stride64_b32 v[2:3], v1 offset1:4
	ds_load_2addr_stride64_b32 v[4:5], v1 offset0:8 offset1:12
	ds_load_2addr_stride64_b32 v[6:7], v1 offset0:16 offset1:20
	ds_load_2addr_stride64_b32 v[8:9], v1 offset0:24 offset1:28
	ds_load_2addr_stride64_b32 v[10:11], v1 offset0:32 offset1:36
	ds_load_2addr_stride64_b32 v[16:17], v1 offset0:40 offset1:44
	s_or_b32 s2, s2, exec_lo
	s_wait_dscnt 0x5
	s_clause 0x1
	flat_store_b32 v0, v2, s[0:1] scale_offset
	flat_store_b32 v0, v3, s[0:1] offset:1024 scale_offset
	s_wait_dscnt 0x6
	s_clause 0x1
	flat_store_b32 v0, v4, s[0:1] offset:2048 scale_offset
	flat_store_b32 v0, v5, s[0:1] offset:3072 scale_offset
	s_wait_dscnt 0x7
	s_clause 0x1
	flat_store_b32 v0, v6, s[0:1] offset:4096 scale_offset
	;; [unrolled: 4-line block ×4, first 2 shown]
	flat_store_b32 v0, v11, s[0:1] offset:9216 scale_offset
	s_wait_dscnt 0xa
	flat_store_b32 v0, v16, s[0:1] offset:10240 scale_offset
.LBB1680_199:
	s_wait_xcnt 0x0
	s_delay_alu instid0(VALU_DEP_1)
	s_and_saveexec_b32 s3, s2
	s_cbranch_execz .LBB1680_201
; %bb.200:
	s_wait_dscnt 0x0
	flat_store_b32 v0, v17, s[0:1] offset:11264 scale_offset
	s_endpgm
.LBB1680_201:
	s_endpgm
	.section	.rodata,"a",@progbits
	.p2align	6, 0x0
	.amdhsa_kernel _ZN7rocprim17ROCPRIM_400000_NS6detail17trampoline_kernelINS0_14default_configENS1_27scan_by_key_config_selectorIifEEZZNS1_16scan_by_key_implILNS1_25lookback_scan_determinismE0ELb1ES3_N6thrust23THRUST_200600_302600_NS6detail15normal_iteratorINS9_10device_ptrIiEEEENSB_INSC_IjEEEENSB_INSC_IfEEEEfNS9_4plusIvEENS9_8equal_toIvEEfEE10hipError_tPvRmT2_T3_T4_T5_mT6_T7_P12ihipStream_tbENKUlT_T0_E_clISt17integral_constantIbLb0EES13_EEDaSY_SZ_EUlSY_E_NS1_11comp_targetILNS1_3genE0ELNS1_11target_archE4294967295ELNS1_3gpuE0ELNS1_3repE0EEENS1_30default_config_static_selectorELNS0_4arch9wavefront6targetE0EEEvT1_
		.amdhsa_group_segment_fixed_size 14336
		.amdhsa_private_segment_fixed_size 0
		.amdhsa_kernarg_size 112
		.amdhsa_user_sgpr_count 2
		.amdhsa_user_sgpr_dispatch_ptr 0
		.amdhsa_user_sgpr_queue_ptr 0
		.amdhsa_user_sgpr_kernarg_segment_ptr 1
		.amdhsa_user_sgpr_dispatch_id 0
		.amdhsa_user_sgpr_kernarg_preload_length 0
		.amdhsa_user_sgpr_kernarg_preload_offset 0
		.amdhsa_user_sgpr_private_segment_size 0
		.amdhsa_wavefront_size32 1
		.amdhsa_uses_dynamic_stack 0
		.amdhsa_enable_private_segment 0
		.amdhsa_system_sgpr_workgroup_id_x 1
		.amdhsa_system_sgpr_workgroup_id_y 0
		.amdhsa_system_sgpr_workgroup_id_z 0
		.amdhsa_system_sgpr_workgroup_info 0
		.amdhsa_system_vgpr_workitem_id 0
		.amdhsa_next_free_vgpr 62
		.amdhsa_next_free_sgpr 48
		.amdhsa_named_barrier_count 0
		.amdhsa_reserve_vcc 1
		.amdhsa_float_round_mode_32 0
		.amdhsa_float_round_mode_16_64 0
		.amdhsa_float_denorm_mode_32 3
		.amdhsa_float_denorm_mode_16_64 3
		.amdhsa_fp16_overflow 0
		.amdhsa_memory_ordered 1
		.amdhsa_forward_progress 1
		.amdhsa_inst_pref_size 104
		.amdhsa_round_robin_scheduling 0
		.amdhsa_exception_fp_ieee_invalid_op 0
		.amdhsa_exception_fp_denorm_src 0
		.amdhsa_exception_fp_ieee_div_zero 0
		.amdhsa_exception_fp_ieee_overflow 0
		.amdhsa_exception_fp_ieee_underflow 0
		.amdhsa_exception_fp_ieee_inexact 0
		.amdhsa_exception_int_div_zero 0
	.end_amdhsa_kernel
	.section	.text._ZN7rocprim17ROCPRIM_400000_NS6detail17trampoline_kernelINS0_14default_configENS1_27scan_by_key_config_selectorIifEEZZNS1_16scan_by_key_implILNS1_25lookback_scan_determinismE0ELb1ES3_N6thrust23THRUST_200600_302600_NS6detail15normal_iteratorINS9_10device_ptrIiEEEENSB_INSC_IjEEEENSB_INSC_IfEEEEfNS9_4plusIvEENS9_8equal_toIvEEfEE10hipError_tPvRmT2_T3_T4_T5_mT6_T7_P12ihipStream_tbENKUlT_T0_E_clISt17integral_constantIbLb0EES13_EEDaSY_SZ_EUlSY_E_NS1_11comp_targetILNS1_3genE0ELNS1_11target_archE4294967295ELNS1_3gpuE0ELNS1_3repE0EEENS1_30default_config_static_selectorELNS0_4arch9wavefront6targetE0EEEvT1_,"axG",@progbits,_ZN7rocprim17ROCPRIM_400000_NS6detail17trampoline_kernelINS0_14default_configENS1_27scan_by_key_config_selectorIifEEZZNS1_16scan_by_key_implILNS1_25lookback_scan_determinismE0ELb1ES3_N6thrust23THRUST_200600_302600_NS6detail15normal_iteratorINS9_10device_ptrIiEEEENSB_INSC_IjEEEENSB_INSC_IfEEEEfNS9_4plusIvEENS9_8equal_toIvEEfEE10hipError_tPvRmT2_T3_T4_T5_mT6_T7_P12ihipStream_tbENKUlT_T0_E_clISt17integral_constantIbLb0EES13_EEDaSY_SZ_EUlSY_E_NS1_11comp_targetILNS1_3genE0ELNS1_11target_archE4294967295ELNS1_3gpuE0ELNS1_3repE0EEENS1_30default_config_static_selectorELNS0_4arch9wavefront6targetE0EEEvT1_,comdat
.Lfunc_end1680:
	.size	_ZN7rocprim17ROCPRIM_400000_NS6detail17trampoline_kernelINS0_14default_configENS1_27scan_by_key_config_selectorIifEEZZNS1_16scan_by_key_implILNS1_25lookback_scan_determinismE0ELb1ES3_N6thrust23THRUST_200600_302600_NS6detail15normal_iteratorINS9_10device_ptrIiEEEENSB_INSC_IjEEEENSB_INSC_IfEEEEfNS9_4plusIvEENS9_8equal_toIvEEfEE10hipError_tPvRmT2_T3_T4_T5_mT6_T7_P12ihipStream_tbENKUlT_T0_E_clISt17integral_constantIbLb0EES13_EEDaSY_SZ_EUlSY_E_NS1_11comp_targetILNS1_3genE0ELNS1_11target_archE4294967295ELNS1_3gpuE0ELNS1_3repE0EEENS1_30default_config_static_selectorELNS0_4arch9wavefront6targetE0EEEvT1_, .Lfunc_end1680-_ZN7rocprim17ROCPRIM_400000_NS6detail17trampoline_kernelINS0_14default_configENS1_27scan_by_key_config_selectorIifEEZZNS1_16scan_by_key_implILNS1_25lookback_scan_determinismE0ELb1ES3_N6thrust23THRUST_200600_302600_NS6detail15normal_iteratorINS9_10device_ptrIiEEEENSB_INSC_IjEEEENSB_INSC_IfEEEEfNS9_4plusIvEENS9_8equal_toIvEEfEE10hipError_tPvRmT2_T3_T4_T5_mT6_T7_P12ihipStream_tbENKUlT_T0_E_clISt17integral_constantIbLb0EES13_EEDaSY_SZ_EUlSY_E_NS1_11comp_targetILNS1_3genE0ELNS1_11target_archE4294967295ELNS1_3gpuE0ELNS1_3repE0EEENS1_30default_config_static_selectorELNS0_4arch9wavefront6targetE0EEEvT1_
                                        ; -- End function
	.set _ZN7rocprim17ROCPRIM_400000_NS6detail17trampoline_kernelINS0_14default_configENS1_27scan_by_key_config_selectorIifEEZZNS1_16scan_by_key_implILNS1_25lookback_scan_determinismE0ELb1ES3_N6thrust23THRUST_200600_302600_NS6detail15normal_iteratorINS9_10device_ptrIiEEEENSB_INSC_IjEEEENSB_INSC_IfEEEEfNS9_4plusIvEENS9_8equal_toIvEEfEE10hipError_tPvRmT2_T3_T4_T5_mT6_T7_P12ihipStream_tbENKUlT_T0_E_clISt17integral_constantIbLb0EES13_EEDaSY_SZ_EUlSY_E_NS1_11comp_targetILNS1_3genE0ELNS1_11target_archE4294967295ELNS1_3gpuE0ELNS1_3repE0EEENS1_30default_config_static_selectorELNS0_4arch9wavefront6targetE0EEEvT1_.num_vgpr, 62
	.set _ZN7rocprim17ROCPRIM_400000_NS6detail17trampoline_kernelINS0_14default_configENS1_27scan_by_key_config_selectorIifEEZZNS1_16scan_by_key_implILNS1_25lookback_scan_determinismE0ELb1ES3_N6thrust23THRUST_200600_302600_NS6detail15normal_iteratorINS9_10device_ptrIiEEEENSB_INSC_IjEEEENSB_INSC_IfEEEEfNS9_4plusIvEENS9_8equal_toIvEEfEE10hipError_tPvRmT2_T3_T4_T5_mT6_T7_P12ihipStream_tbENKUlT_T0_E_clISt17integral_constantIbLb0EES13_EEDaSY_SZ_EUlSY_E_NS1_11comp_targetILNS1_3genE0ELNS1_11target_archE4294967295ELNS1_3gpuE0ELNS1_3repE0EEENS1_30default_config_static_selectorELNS0_4arch9wavefront6targetE0EEEvT1_.num_agpr, 0
	.set _ZN7rocprim17ROCPRIM_400000_NS6detail17trampoline_kernelINS0_14default_configENS1_27scan_by_key_config_selectorIifEEZZNS1_16scan_by_key_implILNS1_25lookback_scan_determinismE0ELb1ES3_N6thrust23THRUST_200600_302600_NS6detail15normal_iteratorINS9_10device_ptrIiEEEENSB_INSC_IjEEEENSB_INSC_IfEEEEfNS9_4plusIvEENS9_8equal_toIvEEfEE10hipError_tPvRmT2_T3_T4_T5_mT6_T7_P12ihipStream_tbENKUlT_T0_E_clISt17integral_constantIbLb0EES13_EEDaSY_SZ_EUlSY_E_NS1_11comp_targetILNS1_3genE0ELNS1_11target_archE4294967295ELNS1_3gpuE0ELNS1_3repE0EEENS1_30default_config_static_selectorELNS0_4arch9wavefront6targetE0EEEvT1_.numbered_sgpr, 48
	.set _ZN7rocprim17ROCPRIM_400000_NS6detail17trampoline_kernelINS0_14default_configENS1_27scan_by_key_config_selectorIifEEZZNS1_16scan_by_key_implILNS1_25lookback_scan_determinismE0ELb1ES3_N6thrust23THRUST_200600_302600_NS6detail15normal_iteratorINS9_10device_ptrIiEEEENSB_INSC_IjEEEENSB_INSC_IfEEEEfNS9_4plusIvEENS9_8equal_toIvEEfEE10hipError_tPvRmT2_T3_T4_T5_mT6_T7_P12ihipStream_tbENKUlT_T0_E_clISt17integral_constantIbLb0EES13_EEDaSY_SZ_EUlSY_E_NS1_11comp_targetILNS1_3genE0ELNS1_11target_archE4294967295ELNS1_3gpuE0ELNS1_3repE0EEENS1_30default_config_static_selectorELNS0_4arch9wavefront6targetE0EEEvT1_.num_named_barrier, 0
	.set _ZN7rocprim17ROCPRIM_400000_NS6detail17trampoline_kernelINS0_14default_configENS1_27scan_by_key_config_selectorIifEEZZNS1_16scan_by_key_implILNS1_25lookback_scan_determinismE0ELb1ES3_N6thrust23THRUST_200600_302600_NS6detail15normal_iteratorINS9_10device_ptrIiEEEENSB_INSC_IjEEEENSB_INSC_IfEEEEfNS9_4plusIvEENS9_8equal_toIvEEfEE10hipError_tPvRmT2_T3_T4_T5_mT6_T7_P12ihipStream_tbENKUlT_T0_E_clISt17integral_constantIbLb0EES13_EEDaSY_SZ_EUlSY_E_NS1_11comp_targetILNS1_3genE0ELNS1_11target_archE4294967295ELNS1_3gpuE0ELNS1_3repE0EEENS1_30default_config_static_selectorELNS0_4arch9wavefront6targetE0EEEvT1_.private_seg_size, 0
	.set _ZN7rocprim17ROCPRIM_400000_NS6detail17trampoline_kernelINS0_14default_configENS1_27scan_by_key_config_selectorIifEEZZNS1_16scan_by_key_implILNS1_25lookback_scan_determinismE0ELb1ES3_N6thrust23THRUST_200600_302600_NS6detail15normal_iteratorINS9_10device_ptrIiEEEENSB_INSC_IjEEEENSB_INSC_IfEEEEfNS9_4plusIvEENS9_8equal_toIvEEfEE10hipError_tPvRmT2_T3_T4_T5_mT6_T7_P12ihipStream_tbENKUlT_T0_E_clISt17integral_constantIbLb0EES13_EEDaSY_SZ_EUlSY_E_NS1_11comp_targetILNS1_3genE0ELNS1_11target_archE4294967295ELNS1_3gpuE0ELNS1_3repE0EEENS1_30default_config_static_selectorELNS0_4arch9wavefront6targetE0EEEvT1_.uses_vcc, 1
	.set _ZN7rocprim17ROCPRIM_400000_NS6detail17trampoline_kernelINS0_14default_configENS1_27scan_by_key_config_selectorIifEEZZNS1_16scan_by_key_implILNS1_25lookback_scan_determinismE0ELb1ES3_N6thrust23THRUST_200600_302600_NS6detail15normal_iteratorINS9_10device_ptrIiEEEENSB_INSC_IjEEEENSB_INSC_IfEEEEfNS9_4plusIvEENS9_8equal_toIvEEfEE10hipError_tPvRmT2_T3_T4_T5_mT6_T7_P12ihipStream_tbENKUlT_T0_E_clISt17integral_constantIbLb0EES13_EEDaSY_SZ_EUlSY_E_NS1_11comp_targetILNS1_3genE0ELNS1_11target_archE4294967295ELNS1_3gpuE0ELNS1_3repE0EEENS1_30default_config_static_selectorELNS0_4arch9wavefront6targetE0EEEvT1_.uses_flat_scratch, 1
	.set _ZN7rocprim17ROCPRIM_400000_NS6detail17trampoline_kernelINS0_14default_configENS1_27scan_by_key_config_selectorIifEEZZNS1_16scan_by_key_implILNS1_25lookback_scan_determinismE0ELb1ES3_N6thrust23THRUST_200600_302600_NS6detail15normal_iteratorINS9_10device_ptrIiEEEENSB_INSC_IjEEEENSB_INSC_IfEEEEfNS9_4plusIvEENS9_8equal_toIvEEfEE10hipError_tPvRmT2_T3_T4_T5_mT6_T7_P12ihipStream_tbENKUlT_T0_E_clISt17integral_constantIbLb0EES13_EEDaSY_SZ_EUlSY_E_NS1_11comp_targetILNS1_3genE0ELNS1_11target_archE4294967295ELNS1_3gpuE0ELNS1_3repE0EEENS1_30default_config_static_selectorELNS0_4arch9wavefront6targetE0EEEvT1_.has_dyn_sized_stack, 0
	.set _ZN7rocprim17ROCPRIM_400000_NS6detail17trampoline_kernelINS0_14default_configENS1_27scan_by_key_config_selectorIifEEZZNS1_16scan_by_key_implILNS1_25lookback_scan_determinismE0ELb1ES3_N6thrust23THRUST_200600_302600_NS6detail15normal_iteratorINS9_10device_ptrIiEEEENSB_INSC_IjEEEENSB_INSC_IfEEEEfNS9_4plusIvEENS9_8equal_toIvEEfEE10hipError_tPvRmT2_T3_T4_T5_mT6_T7_P12ihipStream_tbENKUlT_T0_E_clISt17integral_constantIbLb0EES13_EEDaSY_SZ_EUlSY_E_NS1_11comp_targetILNS1_3genE0ELNS1_11target_archE4294967295ELNS1_3gpuE0ELNS1_3repE0EEENS1_30default_config_static_selectorELNS0_4arch9wavefront6targetE0EEEvT1_.has_recursion, 0
	.set _ZN7rocprim17ROCPRIM_400000_NS6detail17trampoline_kernelINS0_14default_configENS1_27scan_by_key_config_selectorIifEEZZNS1_16scan_by_key_implILNS1_25lookback_scan_determinismE0ELb1ES3_N6thrust23THRUST_200600_302600_NS6detail15normal_iteratorINS9_10device_ptrIiEEEENSB_INSC_IjEEEENSB_INSC_IfEEEEfNS9_4plusIvEENS9_8equal_toIvEEfEE10hipError_tPvRmT2_T3_T4_T5_mT6_T7_P12ihipStream_tbENKUlT_T0_E_clISt17integral_constantIbLb0EES13_EEDaSY_SZ_EUlSY_E_NS1_11comp_targetILNS1_3genE0ELNS1_11target_archE4294967295ELNS1_3gpuE0ELNS1_3repE0EEENS1_30default_config_static_selectorELNS0_4arch9wavefront6targetE0EEEvT1_.has_indirect_call, 0
	.section	.AMDGPU.csdata,"",@progbits
; Kernel info:
; codeLenInByte = 13280
; TotalNumSgprs: 50
; NumVgprs: 62
; ScratchSize: 0
; MemoryBound: 0
; FloatMode: 240
; IeeeMode: 1
; LDSByteSize: 14336 bytes/workgroup (compile time only)
; SGPRBlocks: 0
; VGPRBlocks: 3
; NumSGPRsForWavesPerEU: 50
; NumVGPRsForWavesPerEU: 62
; NamedBarCnt: 0
; Occupancy: 16
; WaveLimiterHint : 1
; COMPUTE_PGM_RSRC2:SCRATCH_EN: 0
; COMPUTE_PGM_RSRC2:USER_SGPR: 2
; COMPUTE_PGM_RSRC2:TRAP_HANDLER: 0
; COMPUTE_PGM_RSRC2:TGID_X_EN: 1
; COMPUTE_PGM_RSRC2:TGID_Y_EN: 0
; COMPUTE_PGM_RSRC2:TGID_Z_EN: 0
; COMPUTE_PGM_RSRC2:TIDIG_COMP_CNT: 0
	.section	.text._ZN7rocprim17ROCPRIM_400000_NS6detail17trampoline_kernelINS0_14default_configENS1_27scan_by_key_config_selectorIifEEZZNS1_16scan_by_key_implILNS1_25lookback_scan_determinismE0ELb1ES3_N6thrust23THRUST_200600_302600_NS6detail15normal_iteratorINS9_10device_ptrIiEEEENSB_INSC_IjEEEENSB_INSC_IfEEEEfNS9_4plusIvEENS9_8equal_toIvEEfEE10hipError_tPvRmT2_T3_T4_T5_mT6_T7_P12ihipStream_tbENKUlT_T0_E_clISt17integral_constantIbLb0EES13_EEDaSY_SZ_EUlSY_E_NS1_11comp_targetILNS1_3genE10ELNS1_11target_archE1201ELNS1_3gpuE5ELNS1_3repE0EEENS1_30default_config_static_selectorELNS0_4arch9wavefront6targetE0EEEvT1_,"axG",@progbits,_ZN7rocprim17ROCPRIM_400000_NS6detail17trampoline_kernelINS0_14default_configENS1_27scan_by_key_config_selectorIifEEZZNS1_16scan_by_key_implILNS1_25lookback_scan_determinismE0ELb1ES3_N6thrust23THRUST_200600_302600_NS6detail15normal_iteratorINS9_10device_ptrIiEEEENSB_INSC_IjEEEENSB_INSC_IfEEEEfNS9_4plusIvEENS9_8equal_toIvEEfEE10hipError_tPvRmT2_T3_T4_T5_mT6_T7_P12ihipStream_tbENKUlT_T0_E_clISt17integral_constantIbLb0EES13_EEDaSY_SZ_EUlSY_E_NS1_11comp_targetILNS1_3genE10ELNS1_11target_archE1201ELNS1_3gpuE5ELNS1_3repE0EEENS1_30default_config_static_selectorELNS0_4arch9wavefront6targetE0EEEvT1_,comdat
	.protected	_ZN7rocprim17ROCPRIM_400000_NS6detail17trampoline_kernelINS0_14default_configENS1_27scan_by_key_config_selectorIifEEZZNS1_16scan_by_key_implILNS1_25lookback_scan_determinismE0ELb1ES3_N6thrust23THRUST_200600_302600_NS6detail15normal_iteratorINS9_10device_ptrIiEEEENSB_INSC_IjEEEENSB_INSC_IfEEEEfNS9_4plusIvEENS9_8equal_toIvEEfEE10hipError_tPvRmT2_T3_T4_T5_mT6_T7_P12ihipStream_tbENKUlT_T0_E_clISt17integral_constantIbLb0EES13_EEDaSY_SZ_EUlSY_E_NS1_11comp_targetILNS1_3genE10ELNS1_11target_archE1201ELNS1_3gpuE5ELNS1_3repE0EEENS1_30default_config_static_selectorELNS0_4arch9wavefront6targetE0EEEvT1_ ; -- Begin function _ZN7rocprim17ROCPRIM_400000_NS6detail17trampoline_kernelINS0_14default_configENS1_27scan_by_key_config_selectorIifEEZZNS1_16scan_by_key_implILNS1_25lookback_scan_determinismE0ELb1ES3_N6thrust23THRUST_200600_302600_NS6detail15normal_iteratorINS9_10device_ptrIiEEEENSB_INSC_IjEEEENSB_INSC_IfEEEEfNS9_4plusIvEENS9_8equal_toIvEEfEE10hipError_tPvRmT2_T3_T4_T5_mT6_T7_P12ihipStream_tbENKUlT_T0_E_clISt17integral_constantIbLb0EES13_EEDaSY_SZ_EUlSY_E_NS1_11comp_targetILNS1_3genE10ELNS1_11target_archE1201ELNS1_3gpuE5ELNS1_3repE0EEENS1_30default_config_static_selectorELNS0_4arch9wavefront6targetE0EEEvT1_
	.globl	_ZN7rocprim17ROCPRIM_400000_NS6detail17trampoline_kernelINS0_14default_configENS1_27scan_by_key_config_selectorIifEEZZNS1_16scan_by_key_implILNS1_25lookback_scan_determinismE0ELb1ES3_N6thrust23THRUST_200600_302600_NS6detail15normal_iteratorINS9_10device_ptrIiEEEENSB_INSC_IjEEEENSB_INSC_IfEEEEfNS9_4plusIvEENS9_8equal_toIvEEfEE10hipError_tPvRmT2_T3_T4_T5_mT6_T7_P12ihipStream_tbENKUlT_T0_E_clISt17integral_constantIbLb0EES13_EEDaSY_SZ_EUlSY_E_NS1_11comp_targetILNS1_3genE10ELNS1_11target_archE1201ELNS1_3gpuE5ELNS1_3repE0EEENS1_30default_config_static_selectorELNS0_4arch9wavefront6targetE0EEEvT1_
	.p2align	8
	.type	_ZN7rocprim17ROCPRIM_400000_NS6detail17trampoline_kernelINS0_14default_configENS1_27scan_by_key_config_selectorIifEEZZNS1_16scan_by_key_implILNS1_25lookback_scan_determinismE0ELb1ES3_N6thrust23THRUST_200600_302600_NS6detail15normal_iteratorINS9_10device_ptrIiEEEENSB_INSC_IjEEEENSB_INSC_IfEEEEfNS9_4plusIvEENS9_8equal_toIvEEfEE10hipError_tPvRmT2_T3_T4_T5_mT6_T7_P12ihipStream_tbENKUlT_T0_E_clISt17integral_constantIbLb0EES13_EEDaSY_SZ_EUlSY_E_NS1_11comp_targetILNS1_3genE10ELNS1_11target_archE1201ELNS1_3gpuE5ELNS1_3repE0EEENS1_30default_config_static_selectorELNS0_4arch9wavefront6targetE0EEEvT1_,@function
_ZN7rocprim17ROCPRIM_400000_NS6detail17trampoline_kernelINS0_14default_configENS1_27scan_by_key_config_selectorIifEEZZNS1_16scan_by_key_implILNS1_25lookback_scan_determinismE0ELb1ES3_N6thrust23THRUST_200600_302600_NS6detail15normal_iteratorINS9_10device_ptrIiEEEENSB_INSC_IjEEEENSB_INSC_IfEEEEfNS9_4plusIvEENS9_8equal_toIvEEfEE10hipError_tPvRmT2_T3_T4_T5_mT6_T7_P12ihipStream_tbENKUlT_T0_E_clISt17integral_constantIbLb0EES13_EEDaSY_SZ_EUlSY_E_NS1_11comp_targetILNS1_3genE10ELNS1_11target_archE1201ELNS1_3gpuE5ELNS1_3repE0EEENS1_30default_config_static_selectorELNS0_4arch9wavefront6targetE0EEEvT1_: ; @_ZN7rocprim17ROCPRIM_400000_NS6detail17trampoline_kernelINS0_14default_configENS1_27scan_by_key_config_selectorIifEEZZNS1_16scan_by_key_implILNS1_25lookback_scan_determinismE0ELb1ES3_N6thrust23THRUST_200600_302600_NS6detail15normal_iteratorINS9_10device_ptrIiEEEENSB_INSC_IjEEEENSB_INSC_IfEEEEfNS9_4plusIvEENS9_8equal_toIvEEfEE10hipError_tPvRmT2_T3_T4_T5_mT6_T7_P12ihipStream_tbENKUlT_T0_E_clISt17integral_constantIbLb0EES13_EEDaSY_SZ_EUlSY_E_NS1_11comp_targetILNS1_3genE10ELNS1_11target_archE1201ELNS1_3gpuE5ELNS1_3repE0EEENS1_30default_config_static_selectorELNS0_4arch9wavefront6targetE0EEEvT1_
; %bb.0:
	.section	.rodata,"a",@progbits
	.p2align	6, 0x0
	.amdhsa_kernel _ZN7rocprim17ROCPRIM_400000_NS6detail17trampoline_kernelINS0_14default_configENS1_27scan_by_key_config_selectorIifEEZZNS1_16scan_by_key_implILNS1_25lookback_scan_determinismE0ELb1ES3_N6thrust23THRUST_200600_302600_NS6detail15normal_iteratorINS9_10device_ptrIiEEEENSB_INSC_IjEEEENSB_INSC_IfEEEEfNS9_4plusIvEENS9_8equal_toIvEEfEE10hipError_tPvRmT2_T3_T4_T5_mT6_T7_P12ihipStream_tbENKUlT_T0_E_clISt17integral_constantIbLb0EES13_EEDaSY_SZ_EUlSY_E_NS1_11comp_targetILNS1_3genE10ELNS1_11target_archE1201ELNS1_3gpuE5ELNS1_3repE0EEENS1_30default_config_static_selectorELNS0_4arch9wavefront6targetE0EEEvT1_
		.amdhsa_group_segment_fixed_size 0
		.amdhsa_private_segment_fixed_size 0
		.amdhsa_kernarg_size 112
		.amdhsa_user_sgpr_count 2
		.amdhsa_user_sgpr_dispatch_ptr 0
		.amdhsa_user_sgpr_queue_ptr 0
		.amdhsa_user_sgpr_kernarg_segment_ptr 1
		.amdhsa_user_sgpr_dispatch_id 0
		.amdhsa_user_sgpr_kernarg_preload_length 0
		.amdhsa_user_sgpr_kernarg_preload_offset 0
		.amdhsa_user_sgpr_private_segment_size 0
		.amdhsa_wavefront_size32 1
		.amdhsa_uses_dynamic_stack 0
		.amdhsa_enable_private_segment 0
		.amdhsa_system_sgpr_workgroup_id_x 1
		.amdhsa_system_sgpr_workgroup_id_y 0
		.amdhsa_system_sgpr_workgroup_id_z 0
		.amdhsa_system_sgpr_workgroup_info 0
		.amdhsa_system_vgpr_workitem_id 0
		.amdhsa_next_free_vgpr 1
		.amdhsa_next_free_sgpr 1
		.amdhsa_named_barrier_count 0
		.amdhsa_reserve_vcc 0
		.amdhsa_float_round_mode_32 0
		.amdhsa_float_round_mode_16_64 0
		.amdhsa_float_denorm_mode_32 3
		.amdhsa_float_denorm_mode_16_64 3
		.amdhsa_fp16_overflow 0
		.amdhsa_memory_ordered 1
		.amdhsa_forward_progress 1
		.amdhsa_inst_pref_size 0
		.amdhsa_round_robin_scheduling 0
		.amdhsa_exception_fp_ieee_invalid_op 0
		.amdhsa_exception_fp_denorm_src 0
		.amdhsa_exception_fp_ieee_div_zero 0
		.amdhsa_exception_fp_ieee_overflow 0
		.amdhsa_exception_fp_ieee_underflow 0
		.amdhsa_exception_fp_ieee_inexact 0
		.amdhsa_exception_int_div_zero 0
	.end_amdhsa_kernel
	.section	.text._ZN7rocprim17ROCPRIM_400000_NS6detail17trampoline_kernelINS0_14default_configENS1_27scan_by_key_config_selectorIifEEZZNS1_16scan_by_key_implILNS1_25lookback_scan_determinismE0ELb1ES3_N6thrust23THRUST_200600_302600_NS6detail15normal_iteratorINS9_10device_ptrIiEEEENSB_INSC_IjEEEENSB_INSC_IfEEEEfNS9_4plusIvEENS9_8equal_toIvEEfEE10hipError_tPvRmT2_T3_T4_T5_mT6_T7_P12ihipStream_tbENKUlT_T0_E_clISt17integral_constantIbLb0EES13_EEDaSY_SZ_EUlSY_E_NS1_11comp_targetILNS1_3genE10ELNS1_11target_archE1201ELNS1_3gpuE5ELNS1_3repE0EEENS1_30default_config_static_selectorELNS0_4arch9wavefront6targetE0EEEvT1_,"axG",@progbits,_ZN7rocprim17ROCPRIM_400000_NS6detail17trampoline_kernelINS0_14default_configENS1_27scan_by_key_config_selectorIifEEZZNS1_16scan_by_key_implILNS1_25lookback_scan_determinismE0ELb1ES3_N6thrust23THRUST_200600_302600_NS6detail15normal_iteratorINS9_10device_ptrIiEEEENSB_INSC_IjEEEENSB_INSC_IfEEEEfNS9_4plusIvEENS9_8equal_toIvEEfEE10hipError_tPvRmT2_T3_T4_T5_mT6_T7_P12ihipStream_tbENKUlT_T0_E_clISt17integral_constantIbLb0EES13_EEDaSY_SZ_EUlSY_E_NS1_11comp_targetILNS1_3genE10ELNS1_11target_archE1201ELNS1_3gpuE5ELNS1_3repE0EEENS1_30default_config_static_selectorELNS0_4arch9wavefront6targetE0EEEvT1_,comdat
.Lfunc_end1681:
	.size	_ZN7rocprim17ROCPRIM_400000_NS6detail17trampoline_kernelINS0_14default_configENS1_27scan_by_key_config_selectorIifEEZZNS1_16scan_by_key_implILNS1_25lookback_scan_determinismE0ELb1ES3_N6thrust23THRUST_200600_302600_NS6detail15normal_iteratorINS9_10device_ptrIiEEEENSB_INSC_IjEEEENSB_INSC_IfEEEEfNS9_4plusIvEENS9_8equal_toIvEEfEE10hipError_tPvRmT2_T3_T4_T5_mT6_T7_P12ihipStream_tbENKUlT_T0_E_clISt17integral_constantIbLb0EES13_EEDaSY_SZ_EUlSY_E_NS1_11comp_targetILNS1_3genE10ELNS1_11target_archE1201ELNS1_3gpuE5ELNS1_3repE0EEENS1_30default_config_static_selectorELNS0_4arch9wavefront6targetE0EEEvT1_, .Lfunc_end1681-_ZN7rocprim17ROCPRIM_400000_NS6detail17trampoline_kernelINS0_14default_configENS1_27scan_by_key_config_selectorIifEEZZNS1_16scan_by_key_implILNS1_25lookback_scan_determinismE0ELb1ES3_N6thrust23THRUST_200600_302600_NS6detail15normal_iteratorINS9_10device_ptrIiEEEENSB_INSC_IjEEEENSB_INSC_IfEEEEfNS9_4plusIvEENS9_8equal_toIvEEfEE10hipError_tPvRmT2_T3_T4_T5_mT6_T7_P12ihipStream_tbENKUlT_T0_E_clISt17integral_constantIbLb0EES13_EEDaSY_SZ_EUlSY_E_NS1_11comp_targetILNS1_3genE10ELNS1_11target_archE1201ELNS1_3gpuE5ELNS1_3repE0EEENS1_30default_config_static_selectorELNS0_4arch9wavefront6targetE0EEEvT1_
                                        ; -- End function
	.set _ZN7rocprim17ROCPRIM_400000_NS6detail17trampoline_kernelINS0_14default_configENS1_27scan_by_key_config_selectorIifEEZZNS1_16scan_by_key_implILNS1_25lookback_scan_determinismE0ELb1ES3_N6thrust23THRUST_200600_302600_NS6detail15normal_iteratorINS9_10device_ptrIiEEEENSB_INSC_IjEEEENSB_INSC_IfEEEEfNS9_4plusIvEENS9_8equal_toIvEEfEE10hipError_tPvRmT2_T3_T4_T5_mT6_T7_P12ihipStream_tbENKUlT_T0_E_clISt17integral_constantIbLb0EES13_EEDaSY_SZ_EUlSY_E_NS1_11comp_targetILNS1_3genE10ELNS1_11target_archE1201ELNS1_3gpuE5ELNS1_3repE0EEENS1_30default_config_static_selectorELNS0_4arch9wavefront6targetE0EEEvT1_.num_vgpr, 0
	.set _ZN7rocprim17ROCPRIM_400000_NS6detail17trampoline_kernelINS0_14default_configENS1_27scan_by_key_config_selectorIifEEZZNS1_16scan_by_key_implILNS1_25lookback_scan_determinismE0ELb1ES3_N6thrust23THRUST_200600_302600_NS6detail15normal_iteratorINS9_10device_ptrIiEEEENSB_INSC_IjEEEENSB_INSC_IfEEEEfNS9_4plusIvEENS9_8equal_toIvEEfEE10hipError_tPvRmT2_T3_T4_T5_mT6_T7_P12ihipStream_tbENKUlT_T0_E_clISt17integral_constantIbLb0EES13_EEDaSY_SZ_EUlSY_E_NS1_11comp_targetILNS1_3genE10ELNS1_11target_archE1201ELNS1_3gpuE5ELNS1_3repE0EEENS1_30default_config_static_selectorELNS0_4arch9wavefront6targetE0EEEvT1_.num_agpr, 0
	.set _ZN7rocprim17ROCPRIM_400000_NS6detail17trampoline_kernelINS0_14default_configENS1_27scan_by_key_config_selectorIifEEZZNS1_16scan_by_key_implILNS1_25lookback_scan_determinismE0ELb1ES3_N6thrust23THRUST_200600_302600_NS6detail15normal_iteratorINS9_10device_ptrIiEEEENSB_INSC_IjEEEENSB_INSC_IfEEEEfNS9_4plusIvEENS9_8equal_toIvEEfEE10hipError_tPvRmT2_T3_T4_T5_mT6_T7_P12ihipStream_tbENKUlT_T0_E_clISt17integral_constantIbLb0EES13_EEDaSY_SZ_EUlSY_E_NS1_11comp_targetILNS1_3genE10ELNS1_11target_archE1201ELNS1_3gpuE5ELNS1_3repE0EEENS1_30default_config_static_selectorELNS0_4arch9wavefront6targetE0EEEvT1_.numbered_sgpr, 0
	.set _ZN7rocprim17ROCPRIM_400000_NS6detail17trampoline_kernelINS0_14default_configENS1_27scan_by_key_config_selectorIifEEZZNS1_16scan_by_key_implILNS1_25lookback_scan_determinismE0ELb1ES3_N6thrust23THRUST_200600_302600_NS6detail15normal_iteratorINS9_10device_ptrIiEEEENSB_INSC_IjEEEENSB_INSC_IfEEEEfNS9_4plusIvEENS9_8equal_toIvEEfEE10hipError_tPvRmT2_T3_T4_T5_mT6_T7_P12ihipStream_tbENKUlT_T0_E_clISt17integral_constantIbLb0EES13_EEDaSY_SZ_EUlSY_E_NS1_11comp_targetILNS1_3genE10ELNS1_11target_archE1201ELNS1_3gpuE5ELNS1_3repE0EEENS1_30default_config_static_selectorELNS0_4arch9wavefront6targetE0EEEvT1_.num_named_barrier, 0
	.set _ZN7rocprim17ROCPRIM_400000_NS6detail17trampoline_kernelINS0_14default_configENS1_27scan_by_key_config_selectorIifEEZZNS1_16scan_by_key_implILNS1_25lookback_scan_determinismE0ELb1ES3_N6thrust23THRUST_200600_302600_NS6detail15normal_iteratorINS9_10device_ptrIiEEEENSB_INSC_IjEEEENSB_INSC_IfEEEEfNS9_4plusIvEENS9_8equal_toIvEEfEE10hipError_tPvRmT2_T3_T4_T5_mT6_T7_P12ihipStream_tbENKUlT_T0_E_clISt17integral_constantIbLb0EES13_EEDaSY_SZ_EUlSY_E_NS1_11comp_targetILNS1_3genE10ELNS1_11target_archE1201ELNS1_3gpuE5ELNS1_3repE0EEENS1_30default_config_static_selectorELNS0_4arch9wavefront6targetE0EEEvT1_.private_seg_size, 0
	.set _ZN7rocprim17ROCPRIM_400000_NS6detail17trampoline_kernelINS0_14default_configENS1_27scan_by_key_config_selectorIifEEZZNS1_16scan_by_key_implILNS1_25lookback_scan_determinismE0ELb1ES3_N6thrust23THRUST_200600_302600_NS6detail15normal_iteratorINS9_10device_ptrIiEEEENSB_INSC_IjEEEENSB_INSC_IfEEEEfNS9_4plusIvEENS9_8equal_toIvEEfEE10hipError_tPvRmT2_T3_T4_T5_mT6_T7_P12ihipStream_tbENKUlT_T0_E_clISt17integral_constantIbLb0EES13_EEDaSY_SZ_EUlSY_E_NS1_11comp_targetILNS1_3genE10ELNS1_11target_archE1201ELNS1_3gpuE5ELNS1_3repE0EEENS1_30default_config_static_selectorELNS0_4arch9wavefront6targetE0EEEvT1_.uses_vcc, 0
	.set _ZN7rocprim17ROCPRIM_400000_NS6detail17trampoline_kernelINS0_14default_configENS1_27scan_by_key_config_selectorIifEEZZNS1_16scan_by_key_implILNS1_25lookback_scan_determinismE0ELb1ES3_N6thrust23THRUST_200600_302600_NS6detail15normal_iteratorINS9_10device_ptrIiEEEENSB_INSC_IjEEEENSB_INSC_IfEEEEfNS9_4plusIvEENS9_8equal_toIvEEfEE10hipError_tPvRmT2_T3_T4_T5_mT6_T7_P12ihipStream_tbENKUlT_T0_E_clISt17integral_constantIbLb0EES13_EEDaSY_SZ_EUlSY_E_NS1_11comp_targetILNS1_3genE10ELNS1_11target_archE1201ELNS1_3gpuE5ELNS1_3repE0EEENS1_30default_config_static_selectorELNS0_4arch9wavefront6targetE0EEEvT1_.uses_flat_scratch, 0
	.set _ZN7rocprim17ROCPRIM_400000_NS6detail17trampoline_kernelINS0_14default_configENS1_27scan_by_key_config_selectorIifEEZZNS1_16scan_by_key_implILNS1_25lookback_scan_determinismE0ELb1ES3_N6thrust23THRUST_200600_302600_NS6detail15normal_iteratorINS9_10device_ptrIiEEEENSB_INSC_IjEEEENSB_INSC_IfEEEEfNS9_4plusIvEENS9_8equal_toIvEEfEE10hipError_tPvRmT2_T3_T4_T5_mT6_T7_P12ihipStream_tbENKUlT_T0_E_clISt17integral_constantIbLb0EES13_EEDaSY_SZ_EUlSY_E_NS1_11comp_targetILNS1_3genE10ELNS1_11target_archE1201ELNS1_3gpuE5ELNS1_3repE0EEENS1_30default_config_static_selectorELNS0_4arch9wavefront6targetE0EEEvT1_.has_dyn_sized_stack, 0
	.set _ZN7rocprim17ROCPRIM_400000_NS6detail17trampoline_kernelINS0_14default_configENS1_27scan_by_key_config_selectorIifEEZZNS1_16scan_by_key_implILNS1_25lookback_scan_determinismE0ELb1ES3_N6thrust23THRUST_200600_302600_NS6detail15normal_iteratorINS9_10device_ptrIiEEEENSB_INSC_IjEEEENSB_INSC_IfEEEEfNS9_4plusIvEENS9_8equal_toIvEEfEE10hipError_tPvRmT2_T3_T4_T5_mT6_T7_P12ihipStream_tbENKUlT_T0_E_clISt17integral_constantIbLb0EES13_EEDaSY_SZ_EUlSY_E_NS1_11comp_targetILNS1_3genE10ELNS1_11target_archE1201ELNS1_3gpuE5ELNS1_3repE0EEENS1_30default_config_static_selectorELNS0_4arch9wavefront6targetE0EEEvT1_.has_recursion, 0
	.set _ZN7rocprim17ROCPRIM_400000_NS6detail17trampoline_kernelINS0_14default_configENS1_27scan_by_key_config_selectorIifEEZZNS1_16scan_by_key_implILNS1_25lookback_scan_determinismE0ELb1ES3_N6thrust23THRUST_200600_302600_NS6detail15normal_iteratorINS9_10device_ptrIiEEEENSB_INSC_IjEEEENSB_INSC_IfEEEEfNS9_4plusIvEENS9_8equal_toIvEEfEE10hipError_tPvRmT2_T3_T4_T5_mT6_T7_P12ihipStream_tbENKUlT_T0_E_clISt17integral_constantIbLb0EES13_EEDaSY_SZ_EUlSY_E_NS1_11comp_targetILNS1_3genE10ELNS1_11target_archE1201ELNS1_3gpuE5ELNS1_3repE0EEENS1_30default_config_static_selectorELNS0_4arch9wavefront6targetE0EEEvT1_.has_indirect_call, 0
	.section	.AMDGPU.csdata,"",@progbits
; Kernel info:
; codeLenInByte = 0
; TotalNumSgprs: 0
; NumVgprs: 0
; ScratchSize: 0
; MemoryBound: 0
; FloatMode: 240
; IeeeMode: 1
; LDSByteSize: 0 bytes/workgroup (compile time only)
; SGPRBlocks: 0
; VGPRBlocks: 0
; NumSGPRsForWavesPerEU: 1
; NumVGPRsForWavesPerEU: 1
; NamedBarCnt: 0
; Occupancy: 16
; WaveLimiterHint : 0
; COMPUTE_PGM_RSRC2:SCRATCH_EN: 0
; COMPUTE_PGM_RSRC2:USER_SGPR: 2
; COMPUTE_PGM_RSRC2:TRAP_HANDLER: 0
; COMPUTE_PGM_RSRC2:TGID_X_EN: 1
; COMPUTE_PGM_RSRC2:TGID_Y_EN: 0
; COMPUTE_PGM_RSRC2:TGID_Z_EN: 0
; COMPUTE_PGM_RSRC2:TIDIG_COMP_CNT: 0
	.section	.text._ZN7rocprim17ROCPRIM_400000_NS6detail17trampoline_kernelINS0_14default_configENS1_27scan_by_key_config_selectorIifEEZZNS1_16scan_by_key_implILNS1_25lookback_scan_determinismE0ELb1ES3_N6thrust23THRUST_200600_302600_NS6detail15normal_iteratorINS9_10device_ptrIiEEEENSB_INSC_IjEEEENSB_INSC_IfEEEEfNS9_4plusIvEENS9_8equal_toIvEEfEE10hipError_tPvRmT2_T3_T4_T5_mT6_T7_P12ihipStream_tbENKUlT_T0_E_clISt17integral_constantIbLb0EES13_EEDaSY_SZ_EUlSY_E_NS1_11comp_targetILNS1_3genE5ELNS1_11target_archE942ELNS1_3gpuE9ELNS1_3repE0EEENS1_30default_config_static_selectorELNS0_4arch9wavefront6targetE0EEEvT1_,"axG",@progbits,_ZN7rocprim17ROCPRIM_400000_NS6detail17trampoline_kernelINS0_14default_configENS1_27scan_by_key_config_selectorIifEEZZNS1_16scan_by_key_implILNS1_25lookback_scan_determinismE0ELb1ES3_N6thrust23THRUST_200600_302600_NS6detail15normal_iteratorINS9_10device_ptrIiEEEENSB_INSC_IjEEEENSB_INSC_IfEEEEfNS9_4plusIvEENS9_8equal_toIvEEfEE10hipError_tPvRmT2_T3_T4_T5_mT6_T7_P12ihipStream_tbENKUlT_T0_E_clISt17integral_constantIbLb0EES13_EEDaSY_SZ_EUlSY_E_NS1_11comp_targetILNS1_3genE5ELNS1_11target_archE942ELNS1_3gpuE9ELNS1_3repE0EEENS1_30default_config_static_selectorELNS0_4arch9wavefront6targetE0EEEvT1_,comdat
	.protected	_ZN7rocprim17ROCPRIM_400000_NS6detail17trampoline_kernelINS0_14default_configENS1_27scan_by_key_config_selectorIifEEZZNS1_16scan_by_key_implILNS1_25lookback_scan_determinismE0ELb1ES3_N6thrust23THRUST_200600_302600_NS6detail15normal_iteratorINS9_10device_ptrIiEEEENSB_INSC_IjEEEENSB_INSC_IfEEEEfNS9_4plusIvEENS9_8equal_toIvEEfEE10hipError_tPvRmT2_T3_T4_T5_mT6_T7_P12ihipStream_tbENKUlT_T0_E_clISt17integral_constantIbLb0EES13_EEDaSY_SZ_EUlSY_E_NS1_11comp_targetILNS1_3genE5ELNS1_11target_archE942ELNS1_3gpuE9ELNS1_3repE0EEENS1_30default_config_static_selectorELNS0_4arch9wavefront6targetE0EEEvT1_ ; -- Begin function _ZN7rocprim17ROCPRIM_400000_NS6detail17trampoline_kernelINS0_14default_configENS1_27scan_by_key_config_selectorIifEEZZNS1_16scan_by_key_implILNS1_25lookback_scan_determinismE0ELb1ES3_N6thrust23THRUST_200600_302600_NS6detail15normal_iteratorINS9_10device_ptrIiEEEENSB_INSC_IjEEEENSB_INSC_IfEEEEfNS9_4plusIvEENS9_8equal_toIvEEfEE10hipError_tPvRmT2_T3_T4_T5_mT6_T7_P12ihipStream_tbENKUlT_T0_E_clISt17integral_constantIbLb0EES13_EEDaSY_SZ_EUlSY_E_NS1_11comp_targetILNS1_3genE5ELNS1_11target_archE942ELNS1_3gpuE9ELNS1_3repE0EEENS1_30default_config_static_selectorELNS0_4arch9wavefront6targetE0EEEvT1_
	.globl	_ZN7rocprim17ROCPRIM_400000_NS6detail17trampoline_kernelINS0_14default_configENS1_27scan_by_key_config_selectorIifEEZZNS1_16scan_by_key_implILNS1_25lookback_scan_determinismE0ELb1ES3_N6thrust23THRUST_200600_302600_NS6detail15normal_iteratorINS9_10device_ptrIiEEEENSB_INSC_IjEEEENSB_INSC_IfEEEEfNS9_4plusIvEENS9_8equal_toIvEEfEE10hipError_tPvRmT2_T3_T4_T5_mT6_T7_P12ihipStream_tbENKUlT_T0_E_clISt17integral_constantIbLb0EES13_EEDaSY_SZ_EUlSY_E_NS1_11comp_targetILNS1_3genE5ELNS1_11target_archE942ELNS1_3gpuE9ELNS1_3repE0EEENS1_30default_config_static_selectorELNS0_4arch9wavefront6targetE0EEEvT1_
	.p2align	8
	.type	_ZN7rocprim17ROCPRIM_400000_NS6detail17trampoline_kernelINS0_14default_configENS1_27scan_by_key_config_selectorIifEEZZNS1_16scan_by_key_implILNS1_25lookback_scan_determinismE0ELb1ES3_N6thrust23THRUST_200600_302600_NS6detail15normal_iteratorINS9_10device_ptrIiEEEENSB_INSC_IjEEEENSB_INSC_IfEEEEfNS9_4plusIvEENS9_8equal_toIvEEfEE10hipError_tPvRmT2_T3_T4_T5_mT6_T7_P12ihipStream_tbENKUlT_T0_E_clISt17integral_constantIbLb0EES13_EEDaSY_SZ_EUlSY_E_NS1_11comp_targetILNS1_3genE5ELNS1_11target_archE942ELNS1_3gpuE9ELNS1_3repE0EEENS1_30default_config_static_selectorELNS0_4arch9wavefront6targetE0EEEvT1_,@function
_ZN7rocprim17ROCPRIM_400000_NS6detail17trampoline_kernelINS0_14default_configENS1_27scan_by_key_config_selectorIifEEZZNS1_16scan_by_key_implILNS1_25lookback_scan_determinismE0ELb1ES3_N6thrust23THRUST_200600_302600_NS6detail15normal_iteratorINS9_10device_ptrIiEEEENSB_INSC_IjEEEENSB_INSC_IfEEEEfNS9_4plusIvEENS9_8equal_toIvEEfEE10hipError_tPvRmT2_T3_T4_T5_mT6_T7_P12ihipStream_tbENKUlT_T0_E_clISt17integral_constantIbLb0EES13_EEDaSY_SZ_EUlSY_E_NS1_11comp_targetILNS1_3genE5ELNS1_11target_archE942ELNS1_3gpuE9ELNS1_3repE0EEENS1_30default_config_static_selectorELNS0_4arch9wavefront6targetE0EEEvT1_: ; @_ZN7rocprim17ROCPRIM_400000_NS6detail17trampoline_kernelINS0_14default_configENS1_27scan_by_key_config_selectorIifEEZZNS1_16scan_by_key_implILNS1_25lookback_scan_determinismE0ELb1ES3_N6thrust23THRUST_200600_302600_NS6detail15normal_iteratorINS9_10device_ptrIiEEEENSB_INSC_IjEEEENSB_INSC_IfEEEEfNS9_4plusIvEENS9_8equal_toIvEEfEE10hipError_tPvRmT2_T3_T4_T5_mT6_T7_P12ihipStream_tbENKUlT_T0_E_clISt17integral_constantIbLb0EES13_EEDaSY_SZ_EUlSY_E_NS1_11comp_targetILNS1_3genE5ELNS1_11target_archE942ELNS1_3gpuE9ELNS1_3repE0EEENS1_30default_config_static_selectorELNS0_4arch9wavefront6targetE0EEEvT1_
; %bb.0:
	.section	.rodata,"a",@progbits
	.p2align	6, 0x0
	.amdhsa_kernel _ZN7rocprim17ROCPRIM_400000_NS6detail17trampoline_kernelINS0_14default_configENS1_27scan_by_key_config_selectorIifEEZZNS1_16scan_by_key_implILNS1_25lookback_scan_determinismE0ELb1ES3_N6thrust23THRUST_200600_302600_NS6detail15normal_iteratorINS9_10device_ptrIiEEEENSB_INSC_IjEEEENSB_INSC_IfEEEEfNS9_4plusIvEENS9_8equal_toIvEEfEE10hipError_tPvRmT2_T3_T4_T5_mT6_T7_P12ihipStream_tbENKUlT_T0_E_clISt17integral_constantIbLb0EES13_EEDaSY_SZ_EUlSY_E_NS1_11comp_targetILNS1_3genE5ELNS1_11target_archE942ELNS1_3gpuE9ELNS1_3repE0EEENS1_30default_config_static_selectorELNS0_4arch9wavefront6targetE0EEEvT1_
		.amdhsa_group_segment_fixed_size 0
		.amdhsa_private_segment_fixed_size 0
		.amdhsa_kernarg_size 112
		.amdhsa_user_sgpr_count 2
		.amdhsa_user_sgpr_dispatch_ptr 0
		.amdhsa_user_sgpr_queue_ptr 0
		.amdhsa_user_sgpr_kernarg_segment_ptr 1
		.amdhsa_user_sgpr_dispatch_id 0
		.amdhsa_user_sgpr_kernarg_preload_length 0
		.amdhsa_user_sgpr_kernarg_preload_offset 0
		.amdhsa_user_sgpr_private_segment_size 0
		.amdhsa_wavefront_size32 1
		.amdhsa_uses_dynamic_stack 0
		.amdhsa_enable_private_segment 0
		.amdhsa_system_sgpr_workgroup_id_x 1
		.amdhsa_system_sgpr_workgroup_id_y 0
		.amdhsa_system_sgpr_workgroup_id_z 0
		.amdhsa_system_sgpr_workgroup_info 0
		.amdhsa_system_vgpr_workitem_id 0
		.amdhsa_next_free_vgpr 1
		.amdhsa_next_free_sgpr 1
		.amdhsa_named_barrier_count 0
		.amdhsa_reserve_vcc 0
		.amdhsa_float_round_mode_32 0
		.amdhsa_float_round_mode_16_64 0
		.amdhsa_float_denorm_mode_32 3
		.amdhsa_float_denorm_mode_16_64 3
		.amdhsa_fp16_overflow 0
		.amdhsa_memory_ordered 1
		.amdhsa_forward_progress 1
		.amdhsa_inst_pref_size 0
		.amdhsa_round_robin_scheduling 0
		.amdhsa_exception_fp_ieee_invalid_op 0
		.amdhsa_exception_fp_denorm_src 0
		.amdhsa_exception_fp_ieee_div_zero 0
		.amdhsa_exception_fp_ieee_overflow 0
		.amdhsa_exception_fp_ieee_underflow 0
		.amdhsa_exception_fp_ieee_inexact 0
		.amdhsa_exception_int_div_zero 0
	.end_amdhsa_kernel
	.section	.text._ZN7rocprim17ROCPRIM_400000_NS6detail17trampoline_kernelINS0_14default_configENS1_27scan_by_key_config_selectorIifEEZZNS1_16scan_by_key_implILNS1_25lookback_scan_determinismE0ELb1ES3_N6thrust23THRUST_200600_302600_NS6detail15normal_iteratorINS9_10device_ptrIiEEEENSB_INSC_IjEEEENSB_INSC_IfEEEEfNS9_4plusIvEENS9_8equal_toIvEEfEE10hipError_tPvRmT2_T3_T4_T5_mT6_T7_P12ihipStream_tbENKUlT_T0_E_clISt17integral_constantIbLb0EES13_EEDaSY_SZ_EUlSY_E_NS1_11comp_targetILNS1_3genE5ELNS1_11target_archE942ELNS1_3gpuE9ELNS1_3repE0EEENS1_30default_config_static_selectorELNS0_4arch9wavefront6targetE0EEEvT1_,"axG",@progbits,_ZN7rocprim17ROCPRIM_400000_NS6detail17trampoline_kernelINS0_14default_configENS1_27scan_by_key_config_selectorIifEEZZNS1_16scan_by_key_implILNS1_25lookback_scan_determinismE0ELb1ES3_N6thrust23THRUST_200600_302600_NS6detail15normal_iteratorINS9_10device_ptrIiEEEENSB_INSC_IjEEEENSB_INSC_IfEEEEfNS9_4plusIvEENS9_8equal_toIvEEfEE10hipError_tPvRmT2_T3_T4_T5_mT6_T7_P12ihipStream_tbENKUlT_T0_E_clISt17integral_constantIbLb0EES13_EEDaSY_SZ_EUlSY_E_NS1_11comp_targetILNS1_3genE5ELNS1_11target_archE942ELNS1_3gpuE9ELNS1_3repE0EEENS1_30default_config_static_selectorELNS0_4arch9wavefront6targetE0EEEvT1_,comdat
.Lfunc_end1682:
	.size	_ZN7rocprim17ROCPRIM_400000_NS6detail17trampoline_kernelINS0_14default_configENS1_27scan_by_key_config_selectorIifEEZZNS1_16scan_by_key_implILNS1_25lookback_scan_determinismE0ELb1ES3_N6thrust23THRUST_200600_302600_NS6detail15normal_iteratorINS9_10device_ptrIiEEEENSB_INSC_IjEEEENSB_INSC_IfEEEEfNS9_4plusIvEENS9_8equal_toIvEEfEE10hipError_tPvRmT2_T3_T4_T5_mT6_T7_P12ihipStream_tbENKUlT_T0_E_clISt17integral_constantIbLb0EES13_EEDaSY_SZ_EUlSY_E_NS1_11comp_targetILNS1_3genE5ELNS1_11target_archE942ELNS1_3gpuE9ELNS1_3repE0EEENS1_30default_config_static_selectorELNS0_4arch9wavefront6targetE0EEEvT1_, .Lfunc_end1682-_ZN7rocprim17ROCPRIM_400000_NS6detail17trampoline_kernelINS0_14default_configENS1_27scan_by_key_config_selectorIifEEZZNS1_16scan_by_key_implILNS1_25lookback_scan_determinismE0ELb1ES3_N6thrust23THRUST_200600_302600_NS6detail15normal_iteratorINS9_10device_ptrIiEEEENSB_INSC_IjEEEENSB_INSC_IfEEEEfNS9_4plusIvEENS9_8equal_toIvEEfEE10hipError_tPvRmT2_T3_T4_T5_mT6_T7_P12ihipStream_tbENKUlT_T0_E_clISt17integral_constantIbLb0EES13_EEDaSY_SZ_EUlSY_E_NS1_11comp_targetILNS1_3genE5ELNS1_11target_archE942ELNS1_3gpuE9ELNS1_3repE0EEENS1_30default_config_static_selectorELNS0_4arch9wavefront6targetE0EEEvT1_
                                        ; -- End function
	.set _ZN7rocprim17ROCPRIM_400000_NS6detail17trampoline_kernelINS0_14default_configENS1_27scan_by_key_config_selectorIifEEZZNS1_16scan_by_key_implILNS1_25lookback_scan_determinismE0ELb1ES3_N6thrust23THRUST_200600_302600_NS6detail15normal_iteratorINS9_10device_ptrIiEEEENSB_INSC_IjEEEENSB_INSC_IfEEEEfNS9_4plusIvEENS9_8equal_toIvEEfEE10hipError_tPvRmT2_T3_T4_T5_mT6_T7_P12ihipStream_tbENKUlT_T0_E_clISt17integral_constantIbLb0EES13_EEDaSY_SZ_EUlSY_E_NS1_11comp_targetILNS1_3genE5ELNS1_11target_archE942ELNS1_3gpuE9ELNS1_3repE0EEENS1_30default_config_static_selectorELNS0_4arch9wavefront6targetE0EEEvT1_.num_vgpr, 0
	.set _ZN7rocprim17ROCPRIM_400000_NS6detail17trampoline_kernelINS0_14default_configENS1_27scan_by_key_config_selectorIifEEZZNS1_16scan_by_key_implILNS1_25lookback_scan_determinismE0ELb1ES3_N6thrust23THRUST_200600_302600_NS6detail15normal_iteratorINS9_10device_ptrIiEEEENSB_INSC_IjEEEENSB_INSC_IfEEEEfNS9_4plusIvEENS9_8equal_toIvEEfEE10hipError_tPvRmT2_T3_T4_T5_mT6_T7_P12ihipStream_tbENKUlT_T0_E_clISt17integral_constantIbLb0EES13_EEDaSY_SZ_EUlSY_E_NS1_11comp_targetILNS1_3genE5ELNS1_11target_archE942ELNS1_3gpuE9ELNS1_3repE0EEENS1_30default_config_static_selectorELNS0_4arch9wavefront6targetE0EEEvT1_.num_agpr, 0
	.set _ZN7rocprim17ROCPRIM_400000_NS6detail17trampoline_kernelINS0_14default_configENS1_27scan_by_key_config_selectorIifEEZZNS1_16scan_by_key_implILNS1_25lookback_scan_determinismE0ELb1ES3_N6thrust23THRUST_200600_302600_NS6detail15normal_iteratorINS9_10device_ptrIiEEEENSB_INSC_IjEEEENSB_INSC_IfEEEEfNS9_4plusIvEENS9_8equal_toIvEEfEE10hipError_tPvRmT2_T3_T4_T5_mT6_T7_P12ihipStream_tbENKUlT_T0_E_clISt17integral_constantIbLb0EES13_EEDaSY_SZ_EUlSY_E_NS1_11comp_targetILNS1_3genE5ELNS1_11target_archE942ELNS1_3gpuE9ELNS1_3repE0EEENS1_30default_config_static_selectorELNS0_4arch9wavefront6targetE0EEEvT1_.numbered_sgpr, 0
	.set _ZN7rocprim17ROCPRIM_400000_NS6detail17trampoline_kernelINS0_14default_configENS1_27scan_by_key_config_selectorIifEEZZNS1_16scan_by_key_implILNS1_25lookback_scan_determinismE0ELb1ES3_N6thrust23THRUST_200600_302600_NS6detail15normal_iteratorINS9_10device_ptrIiEEEENSB_INSC_IjEEEENSB_INSC_IfEEEEfNS9_4plusIvEENS9_8equal_toIvEEfEE10hipError_tPvRmT2_T3_T4_T5_mT6_T7_P12ihipStream_tbENKUlT_T0_E_clISt17integral_constantIbLb0EES13_EEDaSY_SZ_EUlSY_E_NS1_11comp_targetILNS1_3genE5ELNS1_11target_archE942ELNS1_3gpuE9ELNS1_3repE0EEENS1_30default_config_static_selectorELNS0_4arch9wavefront6targetE0EEEvT1_.num_named_barrier, 0
	.set _ZN7rocprim17ROCPRIM_400000_NS6detail17trampoline_kernelINS0_14default_configENS1_27scan_by_key_config_selectorIifEEZZNS1_16scan_by_key_implILNS1_25lookback_scan_determinismE0ELb1ES3_N6thrust23THRUST_200600_302600_NS6detail15normal_iteratorINS9_10device_ptrIiEEEENSB_INSC_IjEEEENSB_INSC_IfEEEEfNS9_4plusIvEENS9_8equal_toIvEEfEE10hipError_tPvRmT2_T3_T4_T5_mT6_T7_P12ihipStream_tbENKUlT_T0_E_clISt17integral_constantIbLb0EES13_EEDaSY_SZ_EUlSY_E_NS1_11comp_targetILNS1_3genE5ELNS1_11target_archE942ELNS1_3gpuE9ELNS1_3repE0EEENS1_30default_config_static_selectorELNS0_4arch9wavefront6targetE0EEEvT1_.private_seg_size, 0
	.set _ZN7rocprim17ROCPRIM_400000_NS6detail17trampoline_kernelINS0_14default_configENS1_27scan_by_key_config_selectorIifEEZZNS1_16scan_by_key_implILNS1_25lookback_scan_determinismE0ELb1ES3_N6thrust23THRUST_200600_302600_NS6detail15normal_iteratorINS9_10device_ptrIiEEEENSB_INSC_IjEEEENSB_INSC_IfEEEEfNS9_4plusIvEENS9_8equal_toIvEEfEE10hipError_tPvRmT2_T3_T4_T5_mT6_T7_P12ihipStream_tbENKUlT_T0_E_clISt17integral_constantIbLb0EES13_EEDaSY_SZ_EUlSY_E_NS1_11comp_targetILNS1_3genE5ELNS1_11target_archE942ELNS1_3gpuE9ELNS1_3repE0EEENS1_30default_config_static_selectorELNS0_4arch9wavefront6targetE0EEEvT1_.uses_vcc, 0
	.set _ZN7rocprim17ROCPRIM_400000_NS6detail17trampoline_kernelINS0_14default_configENS1_27scan_by_key_config_selectorIifEEZZNS1_16scan_by_key_implILNS1_25lookback_scan_determinismE0ELb1ES3_N6thrust23THRUST_200600_302600_NS6detail15normal_iteratorINS9_10device_ptrIiEEEENSB_INSC_IjEEEENSB_INSC_IfEEEEfNS9_4plusIvEENS9_8equal_toIvEEfEE10hipError_tPvRmT2_T3_T4_T5_mT6_T7_P12ihipStream_tbENKUlT_T0_E_clISt17integral_constantIbLb0EES13_EEDaSY_SZ_EUlSY_E_NS1_11comp_targetILNS1_3genE5ELNS1_11target_archE942ELNS1_3gpuE9ELNS1_3repE0EEENS1_30default_config_static_selectorELNS0_4arch9wavefront6targetE0EEEvT1_.uses_flat_scratch, 0
	.set _ZN7rocprim17ROCPRIM_400000_NS6detail17trampoline_kernelINS0_14default_configENS1_27scan_by_key_config_selectorIifEEZZNS1_16scan_by_key_implILNS1_25lookback_scan_determinismE0ELb1ES3_N6thrust23THRUST_200600_302600_NS6detail15normal_iteratorINS9_10device_ptrIiEEEENSB_INSC_IjEEEENSB_INSC_IfEEEEfNS9_4plusIvEENS9_8equal_toIvEEfEE10hipError_tPvRmT2_T3_T4_T5_mT6_T7_P12ihipStream_tbENKUlT_T0_E_clISt17integral_constantIbLb0EES13_EEDaSY_SZ_EUlSY_E_NS1_11comp_targetILNS1_3genE5ELNS1_11target_archE942ELNS1_3gpuE9ELNS1_3repE0EEENS1_30default_config_static_selectorELNS0_4arch9wavefront6targetE0EEEvT1_.has_dyn_sized_stack, 0
	.set _ZN7rocprim17ROCPRIM_400000_NS6detail17trampoline_kernelINS0_14default_configENS1_27scan_by_key_config_selectorIifEEZZNS1_16scan_by_key_implILNS1_25lookback_scan_determinismE0ELb1ES3_N6thrust23THRUST_200600_302600_NS6detail15normal_iteratorINS9_10device_ptrIiEEEENSB_INSC_IjEEEENSB_INSC_IfEEEEfNS9_4plusIvEENS9_8equal_toIvEEfEE10hipError_tPvRmT2_T3_T4_T5_mT6_T7_P12ihipStream_tbENKUlT_T0_E_clISt17integral_constantIbLb0EES13_EEDaSY_SZ_EUlSY_E_NS1_11comp_targetILNS1_3genE5ELNS1_11target_archE942ELNS1_3gpuE9ELNS1_3repE0EEENS1_30default_config_static_selectorELNS0_4arch9wavefront6targetE0EEEvT1_.has_recursion, 0
	.set _ZN7rocprim17ROCPRIM_400000_NS6detail17trampoline_kernelINS0_14default_configENS1_27scan_by_key_config_selectorIifEEZZNS1_16scan_by_key_implILNS1_25lookback_scan_determinismE0ELb1ES3_N6thrust23THRUST_200600_302600_NS6detail15normal_iteratorINS9_10device_ptrIiEEEENSB_INSC_IjEEEENSB_INSC_IfEEEEfNS9_4plusIvEENS9_8equal_toIvEEfEE10hipError_tPvRmT2_T3_T4_T5_mT6_T7_P12ihipStream_tbENKUlT_T0_E_clISt17integral_constantIbLb0EES13_EEDaSY_SZ_EUlSY_E_NS1_11comp_targetILNS1_3genE5ELNS1_11target_archE942ELNS1_3gpuE9ELNS1_3repE0EEENS1_30default_config_static_selectorELNS0_4arch9wavefront6targetE0EEEvT1_.has_indirect_call, 0
	.section	.AMDGPU.csdata,"",@progbits
; Kernel info:
; codeLenInByte = 0
; TotalNumSgprs: 0
; NumVgprs: 0
; ScratchSize: 0
; MemoryBound: 0
; FloatMode: 240
; IeeeMode: 1
; LDSByteSize: 0 bytes/workgroup (compile time only)
; SGPRBlocks: 0
; VGPRBlocks: 0
; NumSGPRsForWavesPerEU: 1
; NumVGPRsForWavesPerEU: 1
; NamedBarCnt: 0
; Occupancy: 16
; WaveLimiterHint : 0
; COMPUTE_PGM_RSRC2:SCRATCH_EN: 0
; COMPUTE_PGM_RSRC2:USER_SGPR: 2
; COMPUTE_PGM_RSRC2:TRAP_HANDLER: 0
; COMPUTE_PGM_RSRC2:TGID_X_EN: 1
; COMPUTE_PGM_RSRC2:TGID_Y_EN: 0
; COMPUTE_PGM_RSRC2:TGID_Z_EN: 0
; COMPUTE_PGM_RSRC2:TIDIG_COMP_CNT: 0
	.section	.text._ZN7rocprim17ROCPRIM_400000_NS6detail17trampoline_kernelINS0_14default_configENS1_27scan_by_key_config_selectorIifEEZZNS1_16scan_by_key_implILNS1_25lookback_scan_determinismE0ELb1ES3_N6thrust23THRUST_200600_302600_NS6detail15normal_iteratorINS9_10device_ptrIiEEEENSB_INSC_IjEEEENSB_INSC_IfEEEEfNS9_4plusIvEENS9_8equal_toIvEEfEE10hipError_tPvRmT2_T3_T4_T5_mT6_T7_P12ihipStream_tbENKUlT_T0_E_clISt17integral_constantIbLb0EES13_EEDaSY_SZ_EUlSY_E_NS1_11comp_targetILNS1_3genE4ELNS1_11target_archE910ELNS1_3gpuE8ELNS1_3repE0EEENS1_30default_config_static_selectorELNS0_4arch9wavefront6targetE0EEEvT1_,"axG",@progbits,_ZN7rocprim17ROCPRIM_400000_NS6detail17trampoline_kernelINS0_14default_configENS1_27scan_by_key_config_selectorIifEEZZNS1_16scan_by_key_implILNS1_25lookback_scan_determinismE0ELb1ES3_N6thrust23THRUST_200600_302600_NS6detail15normal_iteratorINS9_10device_ptrIiEEEENSB_INSC_IjEEEENSB_INSC_IfEEEEfNS9_4plusIvEENS9_8equal_toIvEEfEE10hipError_tPvRmT2_T3_T4_T5_mT6_T7_P12ihipStream_tbENKUlT_T0_E_clISt17integral_constantIbLb0EES13_EEDaSY_SZ_EUlSY_E_NS1_11comp_targetILNS1_3genE4ELNS1_11target_archE910ELNS1_3gpuE8ELNS1_3repE0EEENS1_30default_config_static_selectorELNS0_4arch9wavefront6targetE0EEEvT1_,comdat
	.protected	_ZN7rocprim17ROCPRIM_400000_NS6detail17trampoline_kernelINS0_14default_configENS1_27scan_by_key_config_selectorIifEEZZNS1_16scan_by_key_implILNS1_25lookback_scan_determinismE0ELb1ES3_N6thrust23THRUST_200600_302600_NS6detail15normal_iteratorINS9_10device_ptrIiEEEENSB_INSC_IjEEEENSB_INSC_IfEEEEfNS9_4plusIvEENS9_8equal_toIvEEfEE10hipError_tPvRmT2_T3_T4_T5_mT6_T7_P12ihipStream_tbENKUlT_T0_E_clISt17integral_constantIbLb0EES13_EEDaSY_SZ_EUlSY_E_NS1_11comp_targetILNS1_3genE4ELNS1_11target_archE910ELNS1_3gpuE8ELNS1_3repE0EEENS1_30default_config_static_selectorELNS0_4arch9wavefront6targetE0EEEvT1_ ; -- Begin function _ZN7rocprim17ROCPRIM_400000_NS6detail17trampoline_kernelINS0_14default_configENS1_27scan_by_key_config_selectorIifEEZZNS1_16scan_by_key_implILNS1_25lookback_scan_determinismE0ELb1ES3_N6thrust23THRUST_200600_302600_NS6detail15normal_iteratorINS9_10device_ptrIiEEEENSB_INSC_IjEEEENSB_INSC_IfEEEEfNS9_4plusIvEENS9_8equal_toIvEEfEE10hipError_tPvRmT2_T3_T4_T5_mT6_T7_P12ihipStream_tbENKUlT_T0_E_clISt17integral_constantIbLb0EES13_EEDaSY_SZ_EUlSY_E_NS1_11comp_targetILNS1_3genE4ELNS1_11target_archE910ELNS1_3gpuE8ELNS1_3repE0EEENS1_30default_config_static_selectorELNS0_4arch9wavefront6targetE0EEEvT1_
	.globl	_ZN7rocprim17ROCPRIM_400000_NS6detail17trampoline_kernelINS0_14default_configENS1_27scan_by_key_config_selectorIifEEZZNS1_16scan_by_key_implILNS1_25lookback_scan_determinismE0ELb1ES3_N6thrust23THRUST_200600_302600_NS6detail15normal_iteratorINS9_10device_ptrIiEEEENSB_INSC_IjEEEENSB_INSC_IfEEEEfNS9_4plusIvEENS9_8equal_toIvEEfEE10hipError_tPvRmT2_T3_T4_T5_mT6_T7_P12ihipStream_tbENKUlT_T0_E_clISt17integral_constantIbLb0EES13_EEDaSY_SZ_EUlSY_E_NS1_11comp_targetILNS1_3genE4ELNS1_11target_archE910ELNS1_3gpuE8ELNS1_3repE0EEENS1_30default_config_static_selectorELNS0_4arch9wavefront6targetE0EEEvT1_
	.p2align	8
	.type	_ZN7rocprim17ROCPRIM_400000_NS6detail17trampoline_kernelINS0_14default_configENS1_27scan_by_key_config_selectorIifEEZZNS1_16scan_by_key_implILNS1_25lookback_scan_determinismE0ELb1ES3_N6thrust23THRUST_200600_302600_NS6detail15normal_iteratorINS9_10device_ptrIiEEEENSB_INSC_IjEEEENSB_INSC_IfEEEEfNS9_4plusIvEENS9_8equal_toIvEEfEE10hipError_tPvRmT2_T3_T4_T5_mT6_T7_P12ihipStream_tbENKUlT_T0_E_clISt17integral_constantIbLb0EES13_EEDaSY_SZ_EUlSY_E_NS1_11comp_targetILNS1_3genE4ELNS1_11target_archE910ELNS1_3gpuE8ELNS1_3repE0EEENS1_30default_config_static_selectorELNS0_4arch9wavefront6targetE0EEEvT1_,@function
_ZN7rocprim17ROCPRIM_400000_NS6detail17trampoline_kernelINS0_14default_configENS1_27scan_by_key_config_selectorIifEEZZNS1_16scan_by_key_implILNS1_25lookback_scan_determinismE0ELb1ES3_N6thrust23THRUST_200600_302600_NS6detail15normal_iteratorINS9_10device_ptrIiEEEENSB_INSC_IjEEEENSB_INSC_IfEEEEfNS9_4plusIvEENS9_8equal_toIvEEfEE10hipError_tPvRmT2_T3_T4_T5_mT6_T7_P12ihipStream_tbENKUlT_T0_E_clISt17integral_constantIbLb0EES13_EEDaSY_SZ_EUlSY_E_NS1_11comp_targetILNS1_3genE4ELNS1_11target_archE910ELNS1_3gpuE8ELNS1_3repE0EEENS1_30default_config_static_selectorELNS0_4arch9wavefront6targetE0EEEvT1_: ; @_ZN7rocprim17ROCPRIM_400000_NS6detail17trampoline_kernelINS0_14default_configENS1_27scan_by_key_config_selectorIifEEZZNS1_16scan_by_key_implILNS1_25lookback_scan_determinismE0ELb1ES3_N6thrust23THRUST_200600_302600_NS6detail15normal_iteratorINS9_10device_ptrIiEEEENSB_INSC_IjEEEENSB_INSC_IfEEEEfNS9_4plusIvEENS9_8equal_toIvEEfEE10hipError_tPvRmT2_T3_T4_T5_mT6_T7_P12ihipStream_tbENKUlT_T0_E_clISt17integral_constantIbLb0EES13_EEDaSY_SZ_EUlSY_E_NS1_11comp_targetILNS1_3genE4ELNS1_11target_archE910ELNS1_3gpuE8ELNS1_3repE0EEENS1_30default_config_static_selectorELNS0_4arch9wavefront6targetE0EEEvT1_
; %bb.0:
	.section	.rodata,"a",@progbits
	.p2align	6, 0x0
	.amdhsa_kernel _ZN7rocprim17ROCPRIM_400000_NS6detail17trampoline_kernelINS0_14default_configENS1_27scan_by_key_config_selectorIifEEZZNS1_16scan_by_key_implILNS1_25lookback_scan_determinismE0ELb1ES3_N6thrust23THRUST_200600_302600_NS6detail15normal_iteratorINS9_10device_ptrIiEEEENSB_INSC_IjEEEENSB_INSC_IfEEEEfNS9_4plusIvEENS9_8equal_toIvEEfEE10hipError_tPvRmT2_T3_T4_T5_mT6_T7_P12ihipStream_tbENKUlT_T0_E_clISt17integral_constantIbLb0EES13_EEDaSY_SZ_EUlSY_E_NS1_11comp_targetILNS1_3genE4ELNS1_11target_archE910ELNS1_3gpuE8ELNS1_3repE0EEENS1_30default_config_static_selectorELNS0_4arch9wavefront6targetE0EEEvT1_
		.amdhsa_group_segment_fixed_size 0
		.amdhsa_private_segment_fixed_size 0
		.amdhsa_kernarg_size 112
		.amdhsa_user_sgpr_count 2
		.amdhsa_user_sgpr_dispatch_ptr 0
		.amdhsa_user_sgpr_queue_ptr 0
		.amdhsa_user_sgpr_kernarg_segment_ptr 1
		.amdhsa_user_sgpr_dispatch_id 0
		.amdhsa_user_sgpr_kernarg_preload_length 0
		.amdhsa_user_sgpr_kernarg_preload_offset 0
		.amdhsa_user_sgpr_private_segment_size 0
		.amdhsa_wavefront_size32 1
		.amdhsa_uses_dynamic_stack 0
		.amdhsa_enable_private_segment 0
		.amdhsa_system_sgpr_workgroup_id_x 1
		.amdhsa_system_sgpr_workgroup_id_y 0
		.amdhsa_system_sgpr_workgroup_id_z 0
		.amdhsa_system_sgpr_workgroup_info 0
		.amdhsa_system_vgpr_workitem_id 0
		.amdhsa_next_free_vgpr 1
		.amdhsa_next_free_sgpr 1
		.amdhsa_named_barrier_count 0
		.amdhsa_reserve_vcc 0
		.amdhsa_float_round_mode_32 0
		.amdhsa_float_round_mode_16_64 0
		.amdhsa_float_denorm_mode_32 3
		.amdhsa_float_denorm_mode_16_64 3
		.amdhsa_fp16_overflow 0
		.amdhsa_memory_ordered 1
		.amdhsa_forward_progress 1
		.amdhsa_inst_pref_size 0
		.amdhsa_round_robin_scheduling 0
		.amdhsa_exception_fp_ieee_invalid_op 0
		.amdhsa_exception_fp_denorm_src 0
		.amdhsa_exception_fp_ieee_div_zero 0
		.amdhsa_exception_fp_ieee_overflow 0
		.amdhsa_exception_fp_ieee_underflow 0
		.amdhsa_exception_fp_ieee_inexact 0
		.amdhsa_exception_int_div_zero 0
	.end_amdhsa_kernel
	.section	.text._ZN7rocprim17ROCPRIM_400000_NS6detail17trampoline_kernelINS0_14default_configENS1_27scan_by_key_config_selectorIifEEZZNS1_16scan_by_key_implILNS1_25lookback_scan_determinismE0ELb1ES3_N6thrust23THRUST_200600_302600_NS6detail15normal_iteratorINS9_10device_ptrIiEEEENSB_INSC_IjEEEENSB_INSC_IfEEEEfNS9_4plusIvEENS9_8equal_toIvEEfEE10hipError_tPvRmT2_T3_T4_T5_mT6_T7_P12ihipStream_tbENKUlT_T0_E_clISt17integral_constantIbLb0EES13_EEDaSY_SZ_EUlSY_E_NS1_11comp_targetILNS1_3genE4ELNS1_11target_archE910ELNS1_3gpuE8ELNS1_3repE0EEENS1_30default_config_static_selectorELNS0_4arch9wavefront6targetE0EEEvT1_,"axG",@progbits,_ZN7rocprim17ROCPRIM_400000_NS6detail17trampoline_kernelINS0_14default_configENS1_27scan_by_key_config_selectorIifEEZZNS1_16scan_by_key_implILNS1_25lookback_scan_determinismE0ELb1ES3_N6thrust23THRUST_200600_302600_NS6detail15normal_iteratorINS9_10device_ptrIiEEEENSB_INSC_IjEEEENSB_INSC_IfEEEEfNS9_4plusIvEENS9_8equal_toIvEEfEE10hipError_tPvRmT2_T3_T4_T5_mT6_T7_P12ihipStream_tbENKUlT_T0_E_clISt17integral_constantIbLb0EES13_EEDaSY_SZ_EUlSY_E_NS1_11comp_targetILNS1_3genE4ELNS1_11target_archE910ELNS1_3gpuE8ELNS1_3repE0EEENS1_30default_config_static_selectorELNS0_4arch9wavefront6targetE0EEEvT1_,comdat
.Lfunc_end1683:
	.size	_ZN7rocprim17ROCPRIM_400000_NS6detail17trampoline_kernelINS0_14default_configENS1_27scan_by_key_config_selectorIifEEZZNS1_16scan_by_key_implILNS1_25lookback_scan_determinismE0ELb1ES3_N6thrust23THRUST_200600_302600_NS6detail15normal_iteratorINS9_10device_ptrIiEEEENSB_INSC_IjEEEENSB_INSC_IfEEEEfNS9_4plusIvEENS9_8equal_toIvEEfEE10hipError_tPvRmT2_T3_T4_T5_mT6_T7_P12ihipStream_tbENKUlT_T0_E_clISt17integral_constantIbLb0EES13_EEDaSY_SZ_EUlSY_E_NS1_11comp_targetILNS1_3genE4ELNS1_11target_archE910ELNS1_3gpuE8ELNS1_3repE0EEENS1_30default_config_static_selectorELNS0_4arch9wavefront6targetE0EEEvT1_, .Lfunc_end1683-_ZN7rocprim17ROCPRIM_400000_NS6detail17trampoline_kernelINS0_14default_configENS1_27scan_by_key_config_selectorIifEEZZNS1_16scan_by_key_implILNS1_25lookback_scan_determinismE0ELb1ES3_N6thrust23THRUST_200600_302600_NS6detail15normal_iteratorINS9_10device_ptrIiEEEENSB_INSC_IjEEEENSB_INSC_IfEEEEfNS9_4plusIvEENS9_8equal_toIvEEfEE10hipError_tPvRmT2_T3_T4_T5_mT6_T7_P12ihipStream_tbENKUlT_T0_E_clISt17integral_constantIbLb0EES13_EEDaSY_SZ_EUlSY_E_NS1_11comp_targetILNS1_3genE4ELNS1_11target_archE910ELNS1_3gpuE8ELNS1_3repE0EEENS1_30default_config_static_selectorELNS0_4arch9wavefront6targetE0EEEvT1_
                                        ; -- End function
	.set _ZN7rocprim17ROCPRIM_400000_NS6detail17trampoline_kernelINS0_14default_configENS1_27scan_by_key_config_selectorIifEEZZNS1_16scan_by_key_implILNS1_25lookback_scan_determinismE0ELb1ES3_N6thrust23THRUST_200600_302600_NS6detail15normal_iteratorINS9_10device_ptrIiEEEENSB_INSC_IjEEEENSB_INSC_IfEEEEfNS9_4plusIvEENS9_8equal_toIvEEfEE10hipError_tPvRmT2_T3_T4_T5_mT6_T7_P12ihipStream_tbENKUlT_T0_E_clISt17integral_constantIbLb0EES13_EEDaSY_SZ_EUlSY_E_NS1_11comp_targetILNS1_3genE4ELNS1_11target_archE910ELNS1_3gpuE8ELNS1_3repE0EEENS1_30default_config_static_selectorELNS0_4arch9wavefront6targetE0EEEvT1_.num_vgpr, 0
	.set _ZN7rocprim17ROCPRIM_400000_NS6detail17trampoline_kernelINS0_14default_configENS1_27scan_by_key_config_selectorIifEEZZNS1_16scan_by_key_implILNS1_25lookback_scan_determinismE0ELb1ES3_N6thrust23THRUST_200600_302600_NS6detail15normal_iteratorINS9_10device_ptrIiEEEENSB_INSC_IjEEEENSB_INSC_IfEEEEfNS9_4plusIvEENS9_8equal_toIvEEfEE10hipError_tPvRmT2_T3_T4_T5_mT6_T7_P12ihipStream_tbENKUlT_T0_E_clISt17integral_constantIbLb0EES13_EEDaSY_SZ_EUlSY_E_NS1_11comp_targetILNS1_3genE4ELNS1_11target_archE910ELNS1_3gpuE8ELNS1_3repE0EEENS1_30default_config_static_selectorELNS0_4arch9wavefront6targetE0EEEvT1_.num_agpr, 0
	.set _ZN7rocprim17ROCPRIM_400000_NS6detail17trampoline_kernelINS0_14default_configENS1_27scan_by_key_config_selectorIifEEZZNS1_16scan_by_key_implILNS1_25lookback_scan_determinismE0ELb1ES3_N6thrust23THRUST_200600_302600_NS6detail15normal_iteratorINS9_10device_ptrIiEEEENSB_INSC_IjEEEENSB_INSC_IfEEEEfNS9_4plusIvEENS9_8equal_toIvEEfEE10hipError_tPvRmT2_T3_T4_T5_mT6_T7_P12ihipStream_tbENKUlT_T0_E_clISt17integral_constantIbLb0EES13_EEDaSY_SZ_EUlSY_E_NS1_11comp_targetILNS1_3genE4ELNS1_11target_archE910ELNS1_3gpuE8ELNS1_3repE0EEENS1_30default_config_static_selectorELNS0_4arch9wavefront6targetE0EEEvT1_.numbered_sgpr, 0
	.set _ZN7rocprim17ROCPRIM_400000_NS6detail17trampoline_kernelINS0_14default_configENS1_27scan_by_key_config_selectorIifEEZZNS1_16scan_by_key_implILNS1_25lookback_scan_determinismE0ELb1ES3_N6thrust23THRUST_200600_302600_NS6detail15normal_iteratorINS9_10device_ptrIiEEEENSB_INSC_IjEEEENSB_INSC_IfEEEEfNS9_4plusIvEENS9_8equal_toIvEEfEE10hipError_tPvRmT2_T3_T4_T5_mT6_T7_P12ihipStream_tbENKUlT_T0_E_clISt17integral_constantIbLb0EES13_EEDaSY_SZ_EUlSY_E_NS1_11comp_targetILNS1_3genE4ELNS1_11target_archE910ELNS1_3gpuE8ELNS1_3repE0EEENS1_30default_config_static_selectorELNS0_4arch9wavefront6targetE0EEEvT1_.num_named_barrier, 0
	.set _ZN7rocprim17ROCPRIM_400000_NS6detail17trampoline_kernelINS0_14default_configENS1_27scan_by_key_config_selectorIifEEZZNS1_16scan_by_key_implILNS1_25lookback_scan_determinismE0ELb1ES3_N6thrust23THRUST_200600_302600_NS6detail15normal_iteratorINS9_10device_ptrIiEEEENSB_INSC_IjEEEENSB_INSC_IfEEEEfNS9_4plusIvEENS9_8equal_toIvEEfEE10hipError_tPvRmT2_T3_T4_T5_mT6_T7_P12ihipStream_tbENKUlT_T0_E_clISt17integral_constantIbLb0EES13_EEDaSY_SZ_EUlSY_E_NS1_11comp_targetILNS1_3genE4ELNS1_11target_archE910ELNS1_3gpuE8ELNS1_3repE0EEENS1_30default_config_static_selectorELNS0_4arch9wavefront6targetE0EEEvT1_.private_seg_size, 0
	.set _ZN7rocprim17ROCPRIM_400000_NS6detail17trampoline_kernelINS0_14default_configENS1_27scan_by_key_config_selectorIifEEZZNS1_16scan_by_key_implILNS1_25lookback_scan_determinismE0ELb1ES3_N6thrust23THRUST_200600_302600_NS6detail15normal_iteratorINS9_10device_ptrIiEEEENSB_INSC_IjEEEENSB_INSC_IfEEEEfNS9_4plusIvEENS9_8equal_toIvEEfEE10hipError_tPvRmT2_T3_T4_T5_mT6_T7_P12ihipStream_tbENKUlT_T0_E_clISt17integral_constantIbLb0EES13_EEDaSY_SZ_EUlSY_E_NS1_11comp_targetILNS1_3genE4ELNS1_11target_archE910ELNS1_3gpuE8ELNS1_3repE0EEENS1_30default_config_static_selectorELNS0_4arch9wavefront6targetE0EEEvT1_.uses_vcc, 0
	.set _ZN7rocprim17ROCPRIM_400000_NS6detail17trampoline_kernelINS0_14default_configENS1_27scan_by_key_config_selectorIifEEZZNS1_16scan_by_key_implILNS1_25lookback_scan_determinismE0ELb1ES3_N6thrust23THRUST_200600_302600_NS6detail15normal_iteratorINS9_10device_ptrIiEEEENSB_INSC_IjEEEENSB_INSC_IfEEEEfNS9_4plusIvEENS9_8equal_toIvEEfEE10hipError_tPvRmT2_T3_T4_T5_mT6_T7_P12ihipStream_tbENKUlT_T0_E_clISt17integral_constantIbLb0EES13_EEDaSY_SZ_EUlSY_E_NS1_11comp_targetILNS1_3genE4ELNS1_11target_archE910ELNS1_3gpuE8ELNS1_3repE0EEENS1_30default_config_static_selectorELNS0_4arch9wavefront6targetE0EEEvT1_.uses_flat_scratch, 0
	.set _ZN7rocprim17ROCPRIM_400000_NS6detail17trampoline_kernelINS0_14default_configENS1_27scan_by_key_config_selectorIifEEZZNS1_16scan_by_key_implILNS1_25lookback_scan_determinismE0ELb1ES3_N6thrust23THRUST_200600_302600_NS6detail15normal_iteratorINS9_10device_ptrIiEEEENSB_INSC_IjEEEENSB_INSC_IfEEEEfNS9_4plusIvEENS9_8equal_toIvEEfEE10hipError_tPvRmT2_T3_T4_T5_mT6_T7_P12ihipStream_tbENKUlT_T0_E_clISt17integral_constantIbLb0EES13_EEDaSY_SZ_EUlSY_E_NS1_11comp_targetILNS1_3genE4ELNS1_11target_archE910ELNS1_3gpuE8ELNS1_3repE0EEENS1_30default_config_static_selectorELNS0_4arch9wavefront6targetE0EEEvT1_.has_dyn_sized_stack, 0
	.set _ZN7rocprim17ROCPRIM_400000_NS6detail17trampoline_kernelINS0_14default_configENS1_27scan_by_key_config_selectorIifEEZZNS1_16scan_by_key_implILNS1_25lookback_scan_determinismE0ELb1ES3_N6thrust23THRUST_200600_302600_NS6detail15normal_iteratorINS9_10device_ptrIiEEEENSB_INSC_IjEEEENSB_INSC_IfEEEEfNS9_4plusIvEENS9_8equal_toIvEEfEE10hipError_tPvRmT2_T3_T4_T5_mT6_T7_P12ihipStream_tbENKUlT_T0_E_clISt17integral_constantIbLb0EES13_EEDaSY_SZ_EUlSY_E_NS1_11comp_targetILNS1_3genE4ELNS1_11target_archE910ELNS1_3gpuE8ELNS1_3repE0EEENS1_30default_config_static_selectorELNS0_4arch9wavefront6targetE0EEEvT1_.has_recursion, 0
	.set _ZN7rocprim17ROCPRIM_400000_NS6detail17trampoline_kernelINS0_14default_configENS1_27scan_by_key_config_selectorIifEEZZNS1_16scan_by_key_implILNS1_25lookback_scan_determinismE0ELb1ES3_N6thrust23THRUST_200600_302600_NS6detail15normal_iteratorINS9_10device_ptrIiEEEENSB_INSC_IjEEEENSB_INSC_IfEEEEfNS9_4plusIvEENS9_8equal_toIvEEfEE10hipError_tPvRmT2_T3_T4_T5_mT6_T7_P12ihipStream_tbENKUlT_T0_E_clISt17integral_constantIbLb0EES13_EEDaSY_SZ_EUlSY_E_NS1_11comp_targetILNS1_3genE4ELNS1_11target_archE910ELNS1_3gpuE8ELNS1_3repE0EEENS1_30default_config_static_selectorELNS0_4arch9wavefront6targetE0EEEvT1_.has_indirect_call, 0
	.section	.AMDGPU.csdata,"",@progbits
; Kernel info:
; codeLenInByte = 0
; TotalNumSgprs: 0
; NumVgprs: 0
; ScratchSize: 0
; MemoryBound: 0
; FloatMode: 240
; IeeeMode: 1
; LDSByteSize: 0 bytes/workgroup (compile time only)
; SGPRBlocks: 0
; VGPRBlocks: 0
; NumSGPRsForWavesPerEU: 1
; NumVGPRsForWavesPerEU: 1
; NamedBarCnt: 0
; Occupancy: 16
; WaveLimiterHint : 0
; COMPUTE_PGM_RSRC2:SCRATCH_EN: 0
; COMPUTE_PGM_RSRC2:USER_SGPR: 2
; COMPUTE_PGM_RSRC2:TRAP_HANDLER: 0
; COMPUTE_PGM_RSRC2:TGID_X_EN: 1
; COMPUTE_PGM_RSRC2:TGID_Y_EN: 0
; COMPUTE_PGM_RSRC2:TGID_Z_EN: 0
; COMPUTE_PGM_RSRC2:TIDIG_COMP_CNT: 0
	.section	.text._ZN7rocprim17ROCPRIM_400000_NS6detail17trampoline_kernelINS0_14default_configENS1_27scan_by_key_config_selectorIifEEZZNS1_16scan_by_key_implILNS1_25lookback_scan_determinismE0ELb1ES3_N6thrust23THRUST_200600_302600_NS6detail15normal_iteratorINS9_10device_ptrIiEEEENSB_INSC_IjEEEENSB_INSC_IfEEEEfNS9_4plusIvEENS9_8equal_toIvEEfEE10hipError_tPvRmT2_T3_T4_T5_mT6_T7_P12ihipStream_tbENKUlT_T0_E_clISt17integral_constantIbLb0EES13_EEDaSY_SZ_EUlSY_E_NS1_11comp_targetILNS1_3genE3ELNS1_11target_archE908ELNS1_3gpuE7ELNS1_3repE0EEENS1_30default_config_static_selectorELNS0_4arch9wavefront6targetE0EEEvT1_,"axG",@progbits,_ZN7rocprim17ROCPRIM_400000_NS6detail17trampoline_kernelINS0_14default_configENS1_27scan_by_key_config_selectorIifEEZZNS1_16scan_by_key_implILNS1_25lookback_scan_determinismE0ELb1ES3_N6thrust23THRUST_200600_302600_NS6detail15normal_iteratorINS9_10device_ptrIiEEEENSB_INSC_IjEEEENSB_INSC_IfEEEEfNS9_4plusIvEENS9_8equal_toIvEEfEE10hipError_tPvRmT2_T3_T4_T5_mT6_T7_P12ihipStream_tbENKUlT_T0_E_clISt17integral_constantIbLb0EES13_EEDaSY_SZ_EUlSY_E_NS1_11comp_targetILNS1_3genE3ELNS1_11target_archE908ELNS1_3gpuE7ELNS1_3repE0EEENS1_30default_config_static_selectorELNS0_4arch9wavefront6targetE0EEEvT1_,comdat
	.protected	_ZN7rocprim17ROCPRIM_400000_NS6detail17trampoline_kernelINS0_14default_configENS1_27scan_by_key_config_selectorIifEEZZNS1_16scan_by_key_implILNS1_25lookback_scan_determinismE0ELb1ES3_N6thrust23THRUST_200600_302600_NS6detail15normal_iteratorINS9_10device_ptrIiEEEENSB_INSC_IjEEEENSB_INSC_IfEEEEfNS9_4plusIvEENS9_8equal_toIvEEfEE10hipError_tPvRmT2_T3_T4_T5_mT6_T7_P12ihipStream_tbENKUlT_T0_E_clISt17integral_constantIbLb0EES13_EEDaSY_SZ_EUlSY_E_NS1_11comp_targetILNS1_3genE3ELNS1_11target_archE908ELNS1_3gpuE7ELNS1_3repE0EEENS1_30default_config_static_selectorELNS0_4arch9wavefront6targetE0EEEvT1_ ; -- Begin function _ZN7rocprim17ROCPRIM_400000_NS6detail17trampoline_kernelINS0_14default_configENS1_27scan_by_key_config_selectorIifEEZZNS1_16scan_by_key_implILNS1_25lookback_scan_determinismE0ELb1ES3_N6thrust23THRUST_200600_302600_NS6detail15normal_iteratorINS9_10device_ptrIiEEEENSB_INSC_IjEEEENSB_INSC_IfEEEEfNS9_4plusIvEENS9_8equal_toIvEEfEE10hipError_tPvRmT2_T3_T4_T5_mT6_T7_P12ihipStream_tbENKUlT_T0_E_clISt17integral_constantIbLb0EES13_EEDaSY_SZ_EUlSY_E_NS1_11comp_targetILNS1_3genE3ELNS1_11target_archE908ELNS1_3gpuE7ELNS1_3repE0EEENS1_30default_config_static_selectorELNS0_4arch9wavefront6targetE0EEEvT1_
	.globl	_ZN7rocprim17ROCPRIM_400000_NS6detail17trampoline_kernelINS0_14default_configENS1_27scan_by_key_config_selectorIifEEZZNS1_16scan_by_key_implILNS1_25lookback_scan_determinismE0ELb1ES3_N6thrust23THRUST_200600_302600_NS6detail15normal_iteratorINS9_10device_ptrIiEEEENSB_INSC_IjEEEENSB_INSC_IfEEEEfNS9_4plusIvEENS9_8equal_toIvEEfEE10hipError_tPvRmT2_T3_T4_T5_mT6_T7_P12ihipStream_tbENKUlT_T0_E_clISt17integral_constantIbLb0EES13_EEDaSY_SZ_EUlSY_E_NS1_11comp_targetILNS1_3genE3ELNS1_11target_archE908ELNS1_3gpuE7ELNS1_3repE0EEENS1_30default_config_static_selectorELNS0_4arch9wavefront6targetE0EEEvT1_
	.p2align	8
	.type	_ZN7rocprim17ROCPRIM_400000_NS6detail17trampoline_kernelINS0_14default_configENS1_27scan_by_key_config_selectorIifEEZZNS1_16scan_by_key_implILNS1_25lookback_scan_determinismE0ELb1ES3_N6thrust23THRUST_200600_302600_NS6detail15normal_iteratorINS9_10device_ptrIiEEEENSB_INSC_IjEEEENSB_INSC_IfEEEEfNS9_4plusIvEENS9_8equal_toIvEEfEE10hipError_tPvRmT2_T3_T4_T5_mT6_T7_P12ihipStream_tbENKUlT_T0_E_clISt17integral_constantIbLb0EES13_EEDaSY_SZ_EUlSY_E_NS1_11comp_targetILNS1_3genE3ELNS1_11target_archE908ELNS1_3gpuE7ELNS1_3repE0EEENS1_30default_config_static_selectorELNS0_4arch9wavefront6targetE0EEEvT1_,@function
_ZN7rocprim17ROCPRIM_400000_NS6detail17trampoline_kernelINS0_14default_configENS1_27scan_by_key_config_selectorIifEEZZNS1_16scan_by_key_implILNS1_25lookback_scan_determinismE0ELb1ES3_N6thrust23THRUST_200600_302600_NS6detail15normal_iteratorINS9_10device_ptrIiEEEENSB_INSC_IjEEEENSB_INSC_IfEEEEfNS9_4plusIvEENS9_8equal_toIvEEfEE10hipError_tPvRmT2_T3_T4_T5_mT6_T7_P12ihipStream_tbENKUlT_T0_E_clISt17integral_constantIbLb0EES13_EEDaSY_SZ_EUlSY_E_NS1_11comp_targetILNS1_3genE3ELNS1_11target_archE908ELNS1_3gpuE7ELNS1_3repE0EEENS1_30default_config_static_selectorELNS0_4arch9wavefront6targetE0EEEvT1_: ; @_ZN7rocprim17ROCPRIM_400000_NS6detail17trampoline_kernelINS0_14default_configENS1_27scan_by_key_config_selectorIifEEZZNS1_16scan_by_key_implILNS1_25lookback_scan_determinismE0ELb1ES3_N6thrust23THRUST_200600_302600_NS6detail15normal_iteratorINS9_10device_ptrIiEEEENSB_INSC_IjEEEENSB_INSC_IfEEEEfNS9_4plusIvEENS9_8equal_toIvEEfEE10hipError_tPvRmT2_T3_T4_T5_mT6_T7_P12ihipStream_tbENKUlT_T0_E_clISt17integral_constantIbLb0EES13_EEDaSY_SZ_EUlSY_E_NS1_11comp_targetILNS1_3genE3ELNS1_11target_archE908ELNS1_3gpuE7ELNS1_3repE0EEENS1_30default_config_static_selectorELNS0_4arch9wavefront6targetE0EEEvT1_
; %bb.0:
	.section	.rodata,"a",@progbits
	.p2align	6, 0x0
	.amdhsa_kernel _ZN7rocprim17ROCPRIM_400000_NS6detail17trampoline_kernelINS0_14default_configENS1_27scan_by_key_config_selectorIifEEZZNS1_16scan_by_key_implILNS1_25lookback_scan_determinismE0ELb1ES3_N6thrust23THRUST_200600_302600_NS6detail15normal_iteratorINS9_10device_ptrIiEEEENSB_INSC_IjEEEENSB_INSC_IfEEEEfNS9_4plusIvEENS9_8equal_toIvEEfEE10hipError_tPvRmT2_T3_T4_T5_mT6_T7_P12ihipStream_tbENKUlT_T0_E_clISt17integral_constantIbLb0EES13_EEDaSY_SZ_EUlSY_E_NS1_11comp_targetILNS1_3genE3ELNS1_11target_archE908ELNS1_3gpuE7ELNS1_3repE0EEENS1_30default_config_static_selectorELNS0_4arch9wavefront6targetE0EEEvT1_
		.amdhsa_group_segment_fixed_size 0
		.amdhsa_private_segment_fixed_size 0
		.amdhsa_kernarg_size 112
		.amdhsa_user_sgpr_count 2
		.amdhsa_user_sgpr_dispatch_ptr 0
		.amdhsa_user_sgpr_queue_ptr 0
		.amdhsa_user_sgpr_kernarg_segment_ptr 1
		.amdhsa_user_sgpr_dispatch_id 0
		.amdhsa_user_sgpr_kernarg_preload_length 0
		.amdhsa_user_sgpr_kernarg_preload_offset 0
		.amdhsa_user_sgpr_private_segment_size 0
		.amdhsa_wavefront_size32 1
		.amdhsa_uses_dynamic_stack 0
		.amdhsa_enable_private_segment 0
		.amdhsa_system_sgpr_workgroup_id_x 1
		.amdhsa_system_sgpr_workgroup_id_y 0
		.amdhsa_system_sgpr_workgroup_id_z 0
		.amdhsa_system_sgpr_workgroup_info 0
		.amdhsa_system_vgpr_workitem_id 0
		.amdhsa_next_free_vgpr 1
		.amdhsa_next_free_sgpr 1
		.amdhsa_named_barrier_count 0
		.amdhsa_reserve_vcc 0
		.amdhsa_float_round_mode_32 0
		.amdhsa_float_round_mode_16_64 0
		.amdhsa_float_denorm_mode_32 3
		.amdhsa_float_denorm_mode_16_64 3
		.amdhsa_fp16_overflow 0
		.amdhsa_memory_ordered 1
		.amdhsa_forward_progress 1
		.amdhsa_inst_pref_size 0
		.amdhsa_round_robin_scheduling 0
		.amdhsa_exception_fp_ieee_invalid_op 0
		.amdhsa_exception_fp_denorm_src 0
		.amdhsa_exception_fp_ieee_div_zero 0
		.amdhsa_exception_fp_ieee_overflow 0
		.amdhsa_exception_fp_ieee_underflow 0
		.amdhsa_exception_fp_ieee_inexact 0
		.amdhsa_exception_int_div_zero 0
	.end_amdhsa_kernel
	.section	.text._ZN7rocprim17ROCPRIM_400000_NS6detail17trampoline_kernelINS0_14default_configENS1_27scan_by_key_config_selectorIifEEZZNS1_16scan_by_key_implILNS1_25lookback_scan_determinismE0ELb1ES3_N6thrust23THRUST_200600_302600_NS6detail15normal_iteratorINS9_10device_ptrIiEEEENSB_INSC_IjEEEENSB_INSC_IfEEEEfNS9_4plusIvEENS9_8equal_toIvEEfEE10hipError_tPvRmT2_T3_T4_T5_mT6_T7_P12ihipStream_tbENKUlT_T0_E_clISt17integral_constantIbLb0EES13_EEDaSY_SZ_EUlSY_E_NS1_11comp_targetILNS1_3genE3ELNS1_11target_archE908ELNS1_3gpuE7ELNS1_3repE0EEENS1_30default_config_static_selectorELNS0_4arch9wavefront6targetE0EEEvT1_,"axG",@progbits,_ZN7rocprim17ROCPRIM_400000_NS6detail17trampoline_kernelINS0_14default_configENS1_27scan_by_key_config_selectorIifEEZZNS1_16scan_by_key_implILNS1_25lookback_scan_determinismE0ELb1ES3_N6thrust23THRUST_200600_302600_NS6detail15normal_iteratorINS9_10device_ptrIiEEEENSB_INSC_IjEEEENSB_INSC_IfEEEEfNS9_4plusIvEENS9_8equal_toIvEEfEE10hipError_tPvRmT2_T3_T4_T5_mT6_T7_P12ihipStream_tbENKUlT_T0_E_clISt17integral_constantIbLb0EES13_EEDaSY_SZ_EUlSY_E_NS1_11comp_targetILNS1_3genE3ELNS1_11target_archE908ELNS1_3gpuE7ELNS1_3repE0EEENS1_30default_config_static_selectorELNS0_4arch9wavefront6targetE0EEEvT1_,comdat
.Lfunc_end1684:
	.size	_ZN7rocprim17ROCPRIM_400000_NS6detail17trampoline_kernelINS0_14default_configENS1_27scan_by_key_config_selectorIifEEZZNS1_16scan_by_key_implILNS1_25lookback_scan_determinismE0ELb1ES3_N6thrust23THRUST_200600_302600_NS6detail15normal_iteratorINS9_10device_ptrIiEEEENSB_INSC_IjEEEENSB_INSC_IfEEEEfNS9_4plusIvEENS9_8equal_toIvEEfEE10hipError_tPvRmT2_T3_T4_T5_mT6_T7_P12ihipStream_tbENKUlT_T0_E_clISt17integral_constantIbLb0EES13_EEDaSY_SZ_EUlSY_E_NS1_11comp_targetILNS1_3genE3ELNS1_11target_archE908ELNS1_3gpuE7ELNS1_3repE0EEENS1_30default_config_static_selectorELNS0_4arch9wavefront6targetE0EEEvT1_, .Lfunc_end1684-_ZN7rocprim17ROCPRIM_400000_NS6detail17trampoline_kernelINS0_14default_configENS1_27scan_by_key_config_selectorIifEEZZNS1_16scan_by_key_implILNS1_25lookback_scan_determinismE0ELb1ES3_N6thrust23THRUST_200600_302600_NS6detail15normal_iteratorINS9_10device_ptrIiEEEENSB_INSC_IjEEEENSB_INSC_IfEEEEfNS9_4plusIvEENS9_8equal_toIvEEfEE10hipError_tPvRmT2_T3_T4_T5_mT6_T7_P12ihipStream_tbENKUlT_T0_E_clISt17integral_constantIbLb0EES13_EEDaSY_SZ_EUlSY_E_NS1_11comp_targetILNS1_3genE3ELNS1_11target_archE908ELNS1_3gpuE7ELNS1_3repE0EEENS1_30default_config_static_selectorELNS0_4arch9wavefront6targetE0EEEvT1_
                                        ; -- End function
	.set _ZN7rocprim17ROCPRIM_400000_NS6detail17trampoline_kernelINS0_14default_configENS1_27scan_by_key_config_selectorIifEEZZNS1_16scan_by_key_implILNS1_25lookback_scan_determinismE0ELb1ES3_N6thrust23THRUST_200600_302600_NS6detail15normal_iteratorINS9_10device_ptrIiEEEENSB_INSC_IjEEEENSB_INSC_IfEEEEfNS9_4plusIvEENS9_8equal_toIvEEfEE10hipError_tPvRmT2_T3_T4_T5_mT6_T7_P12ihipStream_tbENKUlT_T0_E_clISt17integral_constantIbLb0EES13_EEDaSY_SZ_EUlSY_E_NS1_11comp_targetILNS1_3genE3ELNS1_11target_archE908ELNS1_3gpuE7ELNS1_3repE0EEENS1_30default_config_static_selectorELNS0_4arch9wavefront6targetE0EEEvT1_.num_vgpr, 0
	.set _ZN7rocprim17ROCPRIM_400000_NS6detail17trampoline_kernelINS0_14default_configENS1_27scan_by_key_config_selectorIifEEZZNS1_16scan_by_key_implILNS1_25lookback_scan_determinismE0ELb1ES3_N6thrust23THRUST_200600_302600_NS6detail15normal_iteratorINS9_10device_ptrIiEEEENSB_INSC_IjEEEENSB_INSC_IfEEEEfNS9_4plusIvEENS9_8equal_toIvEEfEE10hipError_tPvRmT2_T3_T4_T5_mT6_T7_P12ihipStream_tbENKUlT_T0_E_clISt17integral_constantIbLb0EES13_EEDaSY_SZ_EUlSY_E_NS1_11comp_targetILNS1_3genE3ELNS1_11target_archE908ELNS1_3gpuE7ELNS1_3repE0EEENS1_30default_config_static_selectorELNS0_4arch9wavefront6targetE0EEEvT1_.num_agpr, 0
	.set _ZN7rocprim17ROCPRIM_400000_NS6detail17trampoline_kernelINS0_14default_configENS1_27scan_by_key_config_selectorIifEEZZNS1_16scan_by_key_implILNS1_25lookback_scan_determinismE0ELb1ES3_N6thrust23THRUST_200600_302600_NS6detail15normal_iteratorINS9_10device_ptrIiEEEENSB_INSC_IjEEEENSB_INSC_IfEEEEfNS9_4plusIvEENS9_8equal_toIvEEfEE10hipError_tPvRmT2_T3_T4_T5_mT6_T7_P12ihipStream_tbENKUlT_T0_E_clISt17integral_constantIbLb0EES13_EEDaSY_SZ_EUlSY_E_NS1_11comp_targetILNS1_3genE3ELNS1_11target_archE908ELNS1_3gpuE7ELNS1_3repE0EEENS1_30default_config_static_selectorELNS0_4arch9wavefront6targetE0EEEvT1_.numbered_sgpr, 0
	.set _ZN7rocprim17ROCPRIM_400000_NS6detail17trampoline_kernelINS0_14default_configENS1_27scan_by_key_config_selectorIifEEZZNS1_16scan_by_key_implILNS1_25lookback_scan_determinismE0ELb1ES3_N6thrust23THRUST_200600_302600_NS6detail15normal_iteratorINS9_10device_ptrIiEEEENSB_INSC_IjEEEENSB_INSC_IfEEEEfNS9_4plusIvEENS9_8equal_toIvEEfEE10hipError_tPvRmT2_T3_T4_T5_mT6_T7_P12ihipStream_tbENKUlT_T0_E_clISt17integral_constantIbLb0EES13_EEDaSY_SZ_EUlSY_E_NS1_11comp_targetILNS1_3genE3ELNS1_11target_archE908ELNS1_3gpuE7ELNS1_3repE0EEENS1_30default_config_static_selectorELNS0_4arch9wavefront6targetE0EEEvT1_.num_named_barrier, 0
	.set _ZN7rocprim17ROCPRIM_400000_NS6detail17trampoline_kernelINS0_14default_configENS1_27scan_by_key_config_selectorIifEEZZNS1_16scan_by_key_implILNS1_25lookback_scan_determinismE0ELb1ES3_N6thrust23THRUST_200600_302600_NS6detail15normal_iteratorINS9_10device_ptrIiEEEENSB_INSC_IjEEEENSB_INSC_IfEEEEfNS9_4plusIvEENS9_8equal_toIvEEfEE10hipError_tPvRmT2_T3_T4_T5_mT6_T7_P12ihipStream_tbENKUlT_T0_E_clISt17integral_constantIbLb0EES13_EEDaSY_SZ_EUlSY_E_NS1_11comp_targetILNS1_3genE3ELNS1_11target_archE908ELNS1_3gpuE7ELNS1_3repE0EEENS1_30default_config_static_selectorELNS0_4arch9wavefront6targetE0EEEvT1_.private_seg_size, 0
	.set _ZN7rocprim17ROCPRIM_400000_NS6detail17trampoline_kernelINS0_14default_configENS1_27scan_by_key_config_selectorIifEEZZNS1_16scan_by_key_implILNS1_25lookback_scan_determinismE0ELb1ES3_N6thrust23THRUST_200600_302600_NS6detail15normal_iteratorINS9_10device_ptrIiEEEENSB_INSC_IjEEEENSB_INSC_IfEEEEfNS9_4plusIvEENS9_8equal_toIvEEfEE10hipError_tPvRmT2_T3_T4_T5_mT6_T7_P12ihipStream_tbENKUlT_T0_E_clISt17integral_constantIbLb0EES13_EEDaSY_SZ_EUlSY_E_NS1_11comp_targetILNS1_3genE3ELNS1_11target_archE908ELNS1_3gpuE7ELNS1_3repE0EEENS1_30default_config_static_selectorELNS0_4arch9wavefront6targetE0EEEvT1_.uses_vcc, 0
	.set _ZN7rocprim17ROCPRIM_400000_NS6detail17trampoline_kernelINS0_14default_configENS1_27scan_by_key_config_selectorIifEEZZNS1_16scan_by_key_implILNS1_25lookback_scan_determinismE0ELb1ES3_N6thrust23THRUST_200600_302600_NS6detail15normal_iteratorINS9_10device_ptrIiEEEENSB_INSC_IjEEEENSB_INSC_IfEEEEfNS9_4plusIvEENS9_8equal_toIvEEfEE10hipError_tPvRmT2_T3_T4_T5_mT6_T7_P12ihipStream_tbENKUlT_T0_E_clISt17integral_constantIbLb0EES13_EEDaSY_SZ_EUlSY_E_NS1_11comp_targetILNS1_3genE3ELNS1_11target_archE908ELNS1_3gpuE7ELNS1_3repE0EEENS1_30default_config_static_selectorELNS0_4arch9wavefront6targetE0EEEvT1_.uses_flat_scratch, 0
	.set _ZN7rocprim17ROCPRIM_400000_NS6detail17trampoline_kernelINS0_14default_configENS1_27scan_by_key_config_selectorIifEEZZNS1_16scan_by_key_implILNS1_25lookback_scan_determinismE0ELb1ES3_N6thrust23THRUST_200600_302600_NS6detail15normal_iteratorINS9_10device_ptrIiEEEENSB_INSC_IjEEEENSB_INSC_IfEEEEfNS9_4plusIvEENS9_8equal_toIvEEfEE10hipError_tPvRmT2_T3_T4_T5_mT6_T7_P12ihipStream_tbENKUlT_T0_E_clISt17integral_constantIbLb0EES13_EEDaSY_SZ_EUlSY_E_NS1_11comp_targetILNS1_3genE3ELNS1_11target_archE908ELNS1_3gpuE7ELNS1_3repE0EEENS1_30default_config_static_selectorELNS0_4arch9wavefront6targetE0EEEvT1_.has_dyn_sized_stack, 0
	.set _ZN7rocprim17ROCPRIM_400000_NS6detail17trampoline_kernelINS0_14default_configENS1_27scan_by_key_config_selectorIifEEZZNS1_16scan_by_key_implILNS1_25lookback_scan_determinismE0ELb1ES3_N6thrust23THRUST_200600_302600_NS6detail15normal_iteratorINS9_10device_ptrIiEEEENSB_INSC_IjEEEENSB_INSC_IfEEEEfNS9_4plusIvEENS9_8equal_toIvEEfEE10hipError_tPvRmT2_T3_T4_T5_mT6_T7_P12ihipStream_tbENKUlT_T0_E_clISt17integral_constantIbLb0EES13_EEDaSY_SZ_EUlSY_E_NS1_11comp_targetILNS1_3genE3ELNS1_11target_archE908ELNS1_3gpuE7ELNS1_3repE0EEENS1_30default_config_static_selectorELNS0_4arch9wavefront6targetE0EEEvT1_.has_recursion, 0
	.set _ZN7rocprim17ROCPRIM_400000_NS6detail17trampoline_kernelINS0_14default_configENS1_27scan_by_key_config_selectorIifEEZZNS1_16scan_by_key_implILNS1_25lookback_scan_determinismE0ELb1ES3_N6thrust23THRUST_200600_302600_NS6detail15normal_iteratorINS9_10device_ptrIiEEEENSB_INSC_IjEEEENSB_INSC_IfEEEEfNS9_4plusIvEENS9_8equal_toIvEEfEE10hipError_tPvRmT2_T3_T4_T5_mT6_T7_P12ihipStream_tbENKUlT_T0_E_clISt17integral_constantIbLb0EES13_EEDaSY_SZ_EUlSY_E_NS1_11comp_targetILNS1_3genE3ELNS1_11target_archE908ELNS1_3gpuE7ELNS1_3repE0EEENS1_30default_config_static_selectorELNS0_4arch9wavefront6targetE0EEEvT1_.has_indirect_call, 0
	.section	.AMDGPU.csdata,"",@progbits
; Kernel info:
; codeLenInByte = 0
; TotalNumSgprs: 0
; NumVgprs: 0
; ScratchSize: 0
; MemoryBound: 0
; FloatMode: 240
; IeeeMode: 1
; LDSByteSize: 0 bytes/workgroup (compile time only)
; SGPRBlocks: 0
; VGPRBlocks: 0
; NumSGPRsForWavesPerEU: 1
; NumVGPRsForWavesPerEU: 1
; NamedBarCnt: 0
; Occupancy: 16
; WaveLimiterHint : 0
; COMPUTE_PGM_RSRC2:SCRATCH_EN: 0
; COMPUTE_PGM_RSRC2:USER_SGPR: 2
; COMPUTE_PGM_RSRC2:TRAP_HANDLER: 0
; COMPUTE_PGM_RSRC2:TGID_X_EN: 1
; COMPUTE_PGM_RSRC2:TGID_Y_EN: 0
; COMPUTE_PGM_RSRC2:TGID_Z_EN: 0
; COMPUTE_PGM_RSRC2:TIDIG_COMP_CNT: 0
	.section	.text._ZN7rocprim17ROCPRIM_400000_NS6detail17trampoline_kernelINS0_14default_configENS1_27scan_by_key_config_selectorIifEEZZNS1_16scan_by_key_implILNS1_25lookback_scan_determinismE0ELb1ES3_N6thrust23THRUST_200600_302600_NS6detail15normal_iteratorINS9_10device_ptrIiEEEENSB_INSC_IjEEEENSB_INSC_IfEEEEfNS9_4plusIvEENS9_8equal_toIvEEfEE10hipError_tPvRmT2_T3_T4_T5_mT6_T7_P12ihipStream_tbENKUlT_T0_E_clISt17integral_constantIbLb0EES13_EEDaSY_SZ_EUlSY_E_NS1_11comp_targetILNS1_3genE2ELNS1_11target_archE906ELNS1_3gpuE6ELNS1_3repE0EEENS1_30default_config_static_selectorELNS0_4arch9wavefront6targetE0EEEvT1_,"axG",@progbits,_ZN7rocprim17ROCPRIM_400000_NS6detail17trampoline_kernelINS0_14default_configENS1_27scan_by_key_config_selectorIifEEZZNS1_16scan_by_key_implILNS1_25lookback_scan_determinismE0ELb1ES3_N6thrust23THRUST_200600_302600_NS6detail15normal_iteratorINS9_10device_ptrIiEEEENSB_INSC_IjEEEENSB_INSC_IfEEEEfNS9_4plusIvEENS9_8equal_toIvEEfEE10hipError_tPvRmT2_T3_T4_T5_mT6_T7_P12ihipStream_tbENKUlT_T0_E_clISt17integral_constantIbLb0EES13_EEDaSY_SZ_EUlSY_E_NS1_11comp_targetILNS1_3genE2ELNS1_11target_archE906ELNS1_3gpuE6ELNS1_3repE0EEENS1_30default_config_static_selectorELNS0_4arch9wavefront6targetE0EEEvT1_,comdat
	.protected	_ZN7rocprim17ROCPRIM_400000_NS6detail17trampoline_kernelINS0_14default_configENS1_27scan_by_key_config_selectorIifEEZZNS1_16scan_by_key_implILNS1_25lookback_scan_determinismE0ELb1ES3_N6thrust23THRUST_200600_302600_NS6detail15normal_iteratorINS9_10device_ptrIiEEEENSB_INSC_IjEEEENSB_INSC_IfEEEEfNS9_4plusIvEENS9_8equal_toIvEEfEE10hipError_tPvRmT2_T3_T4_T5_mT6_T7_P12ihipStream_tbENKUlT_T0_E_clISt17integral_constantIbLb0EES13_EEDaSY_SZ_EUlSY_E_NS1_11comp_targetILNS1_3genE2ELNS1_11target_archE906ELNS1_3gpuE6ELNS1_3repE0EEENS1_30default_config_static_selectorELNS0_4arch9wavefront6targetE0EEEvT1_ ; -- Begin function _ZN7rocprim17ROCPRIM_400000_NS6detail17trampoline_kernelINS0_14default_configENS1_27scan_by_key_config_selectorIifEEZZNS1_16scan_by_key_implILNS1_25lookback_scan_determinismE0ELb1ES3_N6thrust23THRUST_200600_302600_NS6detail15normal_iteratorINS9_10device_ptrIiEEEENSB_INSC_IjEEEENSB_INSC_IfEEEEfNS9_4plusIvEENS9_8equal_toIvEEfEE10hipError_tPvRmT2_T3_T4_T5_mT6_T7_P12ihipStream_tbENKUlT_T0_E_clISt17integral_constantIbLb0EES13_EEDaSY_SZ_EUlSY_E_NS1_11comp_targetILNS1_3genE2ELNS1_11target_archE906ELNS1_3gpuE6ELNS1_3repE0EEENS1_30default_config_static_selectorELNS0_4arch9wavefront6targetE0EEEvT1_
	.globl	_ZN7rocprim17ROCPRIM_400000_NS6detail17trampoline_kernelINS0_14default_configENS1_27scan_by_key_config_selectorIifEEZZNS1_16scan_by_key_implILNS1_25lookback_scan_determinismE0ELb1ES3_N6thrust23THRUST_200600_302600_NS6detail15normal_iteratorINS9_10device_ptrIiEEEENSB_INSC_IjEEEENSB_INSC_IfEEEEfNS9_4plusIvEENS9_8equal_toIvEEfEE10hipError_tPvRmT2_T3_T4_T5_mT6_T7_P12ihipStream_tbENKUlT_T0_E_clISt17integral_constantIbLb0EES13_EEDaSY_SZ_EUlSY_E_NS1_11comp_targetILNS1_3genE2ELNS1_11target_archE906ELNS1_3gpuE6ELNS1_3repE0EEENS1_30default_config_static_selectorELNS0_4arch9wavefront6targetE0EEEvT1_
	.p2align	8
	.type	_ZN7rocprim17ROCPRIM_400000_NS6detail17trampoline_kernelINS0_14default_configENS1_27scan_by_key_config_selectorIifEEZZNS1_16scan_by_key_implILNS1_25lookback_scan_determinismE0ELb1ES3_N6thrust23THRUST_200600_302600_NS6detail15normal_iteratorINS9_10device_ptrIiEEEENSB_INSC_IjEEEENSB_INSC_IfEEEEfNS9_4plusIvEENS9_8equal_toIvEEfEE10hipError_tPvRmT2_T3_T4_T5_mT6_T7_P12ihipStream_tbENKUlT_T0_E_clISt17integral_constantIbLb0EES13_EEDaSY_SZ_EUlSY_E_NS1_11comp_targetILNS1_3genE2ELNS1_11target_archE906ELNS1_3gpuE6ELNS1_3repE0EEENS1_30default_config_static_selectorELNS0_4arch9wavefront6targetE0EEEvT1_,@function
_ZN7rocprim17ROCPRIM_400000_NS6detail17trampoline_kernelINS0_14default_configENS1_27scan_by_key_config_selectorIifEEZZNS1_16scan_by_key_implILNS1_25lookback_scan_determinismE0ELb1ES3_N6thrust23THRUST_200600_302600_NS6detail15normal_iteratorINS9_10device_ptrIiEEEENSB_INSC_IjEEEENSB_INSC_IfEEEEfNS9_4plusIvEENS9_8equal_toIvEEfEE10hipError_tPvRmT2_T3_T4_T5_mT6_T7_P12ihipStream_tbENKUlT_T0_E_clISt17integral_constantIbLb0EES13_EEDaSY_SZ_EUlSY_E_NS1_11comp_targetILNS1_3genE2ELNS1_11target_archE906ELNS1_3gpuE6ELNS1_3repE0EEENS1_30default_config_static_selectorELNS0_4arch9wavefront6targetE0EEEvT1_: ; @_ZN7rocprim17ROCPRIM_400000_NS6detail17trampoline_kernelINS0_14default_configENS1_27scan_by_key_config_selectorIifEEZZNS1_16scan_by_key_implILNS1_25lookback_scan_determinismE0ELb1ES3_N6thrust23THRUST_200600_302600_NS6detail15normal_iteratorINS9_10device_ptrIiEEEENSB_INSC_IjEEEENSB_INSC_IfEEEEfNS9_4plusIvEENS9_8equal_toIvEEfEE10hipError_tPvRmT2_T3_T4_T5_mT6_T7_P12ihipStream_tbENKUlT_T0_E_clISt17integral_constantIbLb0EES13_EEDaSY_SZ_EUlSY_E_NS1_11comp_targetILNS1_3genE2ELNS1_11target_archE906ELNS1_3gpuE6ELNS1_3repE0EEENS1_30default_config_static_selectorELNS0_4arch9wavefront6targetE0EEEvT1_
; %bb.0:
	.section	.rodata,"a",@progbits
	.p2align	6, 0x0
	.amdhsa_kernel _ZN7rocprim17ROCPRIM_400000_NS6detail17trampoline_kernelINS0_14default_configENS1_27scan_by_key_config_selectorIifEEZZNS1_16scan_by_key_implILNS1_25lookback_scan_determinismE0ELb1ES3_N6thrust23THRUST_200600_302600_NS6detail15normal_iteratorINS9_10device_ptrIiEEEENSB_INSC_IjEEEENSB_INSC_IfEEEEfNS9_4plusIvEENS9_8equal_toIvEEfEE10hipError_tPvRmT2_T3_T4_T5_mT6_T7_P12ihipStream_tbENKUlT_T0_E_clISt17integral_constantIbLb0EES13_EEDaSY_SZ_EUlSY_E_NS1_11comp_targetILNS1_3genE2ELNS1_11target_archE906ELNS1_3gpuE6ELNS1_3repE0EEENS1_30default_config_static_selectorELNS0_4arch9wavefront6targetE0EEEvT1_
		.amdhsa_group_segment_fixed_size 0
		.amdhsa_private_segment_fixed_size 0
		.amdhsa_kernarg_size 112
		.amdhsa_user_sgpr_count 2
		.amdhsa_user_sgpr_dispatch_ptr 0
		.amdhsa_user_sgpr_queue_ptr 0
		.amdhsa_user_sgpr_kernarg_segment_ptr 1
		.amdhsa_user_sgpr_dispatch_id 0
		.amdhsa_user_sgpr_kernarg_preload_length 0
		.amdhsa_user_sgpr_kernarg_preload_offset 0
		.amdhsa_user_sgpr_private_segment_size 0
		.amdhsa_wavefront_size32 1
		.amdhsa_uses_dynamic_stack 0
		.amdhsa_enable_private_segment 0
		.amdhsa_system_sgpr_workgroup_id_x 1
		.amdhsa_system_sgpr_workgroup_id_y 0
		.amdhsa_system_sgpr_workgroup_id_z 0
		.amdhsa_system_sgpr_workgroup_info 0
		.amdhsa_system_vgpr_workitem_id 0
		.amdhsa_next_free_vgpr 1
		.amdhsa_next_free_sgpr 1
		.amdhsa_named_barrier_count 0
		.amdhsa_reserve_vcc 0
		.amdhsa_float_round_mode_32 0
		.amdhsa_float_round_mode_16_64 0
		.amdhsa_float_denorm_mode_32 3
		.amdhsa_float_denorm_mode_16_64 3
		.amdhsa_fp16_overflow 0
		.amdhsa_memory_ordered 1
		.amdhsa_forward_progress 1
		.amdhsa_inst_pref_size 0
		.amdhsa_round_robin_scheduling 0
		.amdhsa_exception_fp_ieee_invalid_op 0
		.amdhsa_exception_fp_denorm_src 0
		.amdhsa_exception_fp_ieee_div_zero 0
		.amdhsa_exception_fp_ieee_overflow 0
		.amdhsa_exception_fp_ieee_underflow 0
		.amdhsa_exception_fp_ieee_inexact 0
		.amdhsa_exception_int_div_zero 0
	.end_amdhsa_kernel
	.section	.text._ZN7rocprim17ROCPRIM_400000_NS6detail17trampoline_kernelINS0_14default_configENS1_27scan_by_key_config_selectorIifEEZZNS1_16scan_by_key_implILNS1_25lookback_scan_determinismE0ELb1ES3_N6thrust23THRUST_200600_302600_NS6detail15normal_iteratorINS9_10device_ptrIiEEEENSB_INSC_IjEEEENSB_INSC_IfEEEEfNS9_4plusIvEENS9_8equal_toIvEEfEE10hipError_tPvRmT2_T3_T4_T5_mT6_T7_P12ihipStream_tbENKUlT_T0_E_clISt17integral_constantIbLb0EES13_EEDaSY_SZ_EUlSY_E_NS1_11comp_targetILNS1_3genE2ELNS1_11target_archE906ELNS1_3gpuE6ELNS1_3repE0EEENS1_30default_config_static_selectorELNS0_4arch9wavefront6targetE0EEEvT1_,"axG",@progbits,_ZN7rocprim17ROCPRIM_400000_NS6detail17trampoline_kernelINS0_14default_configENS1_27scan_by_key_config_selectorIifEEZZNS1_16scan_by_key_implILNS1_25lookback_scan_determinismE0ELb1ES3_N6thrust23THRUST_200600_302600_NS6detail15normal_iteratorINS9_10device_ptrIiEEEENSB_INSC_IjEEEENSB_INSC_IfEEEEfNS9_4plusIvEENS9_8equal_toIvEEfEE10hipError_tPvRmT2_T3_T4_T5_mT6_T7_P12ihipStream_tbENKUlT_T0_E_clISt17integral_constantIbLb0EES13_EEDaSY_SZ_EUlSY_E_NS1_11comp_targetILNS1_3genE2ELNS1_11target_archE906ELNS1_3gpuE6ELNS1_3repE0EEENS1_30default_config_static_selectorELNS0_4arch9wavefront6targetE0EEEvT1_,comdat
.Lfunc_end1685:
	.size	_ZN7rocprim17ROCPRIM_400000_NS6detail17trampoline_kernelINS0_14default_configENS1_27scan_by_key_config_selectorIifEEZZNS1_16scan_by_key_implILNS1_25lookback_scan_determinismE0ELb1ES3_N6thrust23THRUST_200600_302600_NS6detail15normal_iteratorINS9_10device_ptrIiEEEENSB_INSC_IjEEEENSB_INSC_IfEEEEfNS9_4plusIvEENS9_8equal_toIvEEfEE10hipError_tPvRmT2_T3_T4_T5_mT6_T7_P12ihipStream_tbENKUlT_T0_E_clISt17integral_constantIbLb0EES13_EEDaSY_SZ_EUlSY_E_NS1_11comp_targetILNS1_3genE2ELNS1_11target_archE906ELNS1_3gpuE6ELNS1_3repE0EEENS1_30default_config_static_selectorELNS0_4arch9wavefront6targetE0EEEvT1_, .Lfunc_end1685-_ZN7rocprim17ROCPRIM_400000_NS6detail17trampoline_kernelINS0_14default_configENS1_27scan_by_key_config_selectorIifEEZZNS1_16scan_by_key_implILNS1_25lookback_scan_determinismE0ELb1ES3_N6thrust23THRUST_200600_302600_NS6detail15normal_iteratorINS9_10device_ptrIiEEEENSB_INSC_IjEEEENSB_INSC_IfEEEEfNS9_4plusIvEENS9_8equal_toIvEEfEE10hipError_tPvRmT2_T3_T4_T5_mT6_T7_P12ihipStream_tbENKUlT_T0_E_clISt17integral_constantIbLb0EES13_EEDaSY_SZ_EUlSY_E_NS1_11comp_targetILNS1_3genE2ELNS1_11target_archE906ELNS1_3gpuE6ELNS1_3repE0EEENS1_30default_config_static_selectorELNS0_4arch9wavefront6targetE0EEEvT1_
                                        ; -- End function
	.set _ZN7rocprim17ROCPRIM_400000_NS6detail17trampoline_kernelINS0_14default_configENS1_27scan_by_key_config_selectorIifEEZZNS1_16scan_by_key_implILNS1_25lookback_scan_determinismE0ELb1ES3_N6thrust23THRUST_200600_302600_NS6detail15normal_iteratorINS9_10device_ptrIiEEEENSB_INSC_IjEEEENSB_INSC_IfEEEEfNS9_4plusIvEENS9_8equal_toIvEEfEE10hipError_tPvRmT2_T3_T4_T5_mT6_T7_P12ihipStream_tbENKUlT_T0_E_clISt17integral_constantIbLb0EES13_EEDaSY_SZ_EUlSY_E_NS1_11comp_targetILNS1_3genE2ELNS1_11target_archE906ELNS1_3gpuE6ELNS1_3repE0EEENS1_30default_config_static_selectorELNS0_4arch9wavefront6targetE0EEEvT1_.num_vgpr, 0
	.set _ZN7rocprim17ROCPRIM_400000_NS6detail17trampoline_kernelINS0_14default_configENS1_27scan_by_key_config_selectorIifEEZZNS1_16scan_by_key_implILNS1_25lookback_scan_determinismE0ELb1ES3_N6thrust23THRUST_200600_302600_NS6detail15normal_iteratorINS9_10device_ptrIiEEEENSB_INSC_IjEEEENSB_INSC_IfEEEEfNS9_4plusIvEENS9_8equal_toIvEEfEE10hipError_tPvRmT2_T3_T4_T5_mT6_T7_P12ihipStream_tbENKUlT_T0_E_clISt17integral_constantIbLb0EES13_EEDaSY_SZ_EUlSY_E_NS1_11comp_targetILNS1_3genE2ELNS1_11target_archE906ELNS1_3gpuE6ELNS1_3repE0EEENS1_30default_config_static_selectorELNS0_4arch9wavefront6targetE0EEEvT1_.num_agpr, 0
	.set _ZN7rocprim17ROCPRIM_400000_NS6detail17trampoline_kernelINS0_14default_configENS1_27scan_by_key_config_selectorIifEEZZNS1_16scan_by_key_implILNS1_25lookback_scan_determinismE0ELb1ES3_N6thrust23THRUST_200600_302600_NS6detail15normal_iteratorINS9_10device_ptrIiEEEENSB_INSC_IjEEEENSB_INSC_IfEEEEfNS9_4plusIvEENS9_8equal_toIvEEfEE10hipError_tPvRmT2_T3_T4_T5_mT6_T7_P12ihipStream_tbENKUlT_T0_E_clISt17integral_constantIbLb0EES13_EEDaSY_SZ_EUlSY_E_NS1_11comp_targetILNS1_3genE2ELNS1_11target_archE906ELNS1_3gpuE6ELNS1_3repE0EEENS1_30default_config_static_selectorELNS0_4arch9wavefront6targetE0EEEvT1_.numbered_sgpr, 0
	.set _ZN7rocprim17ROCPRIM_400000_NS6detail17trampoline_kernelINS0_14default_configENS1_27scan_by_key_config_selectorIifEEZZNS1_16scan_by_key_implILNS1_25lookback_scan_determinismE0ELb1ES3_N6thrust23THRUST_200600_302600_NS6detail15normal_iteratorINS9_10device_ptrIiEEEENSB_INSC_IjEEEENSB_INSC_IfEEEEfNS9_4plusIvEENS9_8equal_toIvEEfEE10hipError_tPvRmT2_T3_T4_T5_mT6_T7_P12ihipStream_tbENKUlT_T0_E_clISt17integral_constantIbLb0EES13_EEDaSY_SZ_EUlSY_E_NS1_11comp_targetILNS1_3genE2ELNS1_11target_archE906ELNS1_3gpuE6ELNS1_3repE0EEENS1_30default_config_static_selectorELNS0_4arch9wavefront6targetE0EEEvT1_.num_named_barrier, 0
	.set _ZN7rocprim17ROCPRIM_400000_NS6detail17trampoline_kernelINS0_14default_configENS1_27scan_by_key_config_selectorIifEEZZNS1_16scan_by_key_implILNS1_25lookback_scan_determinismE0ELb1ES3_N6thrust23THRUST_200600_302600_NS6detail15normal_iteratorINS9_10device_ptrIiEEEENSB_INSC_IjEEEENSB_INSC_IfEEEEfNS9_4plusIvEENS9_8equal_toIvEEfEE10hipError_tPvRmT2_T3_T4_T5_mT6_T7_P12ihipStream_tbENKUlT_T0_E_clISt17integral_constantIbLb0EES13_EEDaSY_SZ_EUlSY_E_NS1_11comp_targetILNS1_3genE2ELNS1_11target_archE906ELNS1_3gpuE6ELNS1_3repE0EEENS1_30default_config_static_selectorELNS0_4arch9wavefront6targetE0EEEvT1_.private_seg_size, 0
	.set _ZN7rocprim17ROCPRIM_400000_NS6detail17trampoline_kernelINS0_14default_configENS1_27scan_by_key_config_selectorIifEEZZNS1_16scan_by_key_implILNS1_25lookback_scan_determinismE0ELb1ES3_N6thrust23THRUST_200600_302600_NS6detail15normal_iteratorINS9_10device_ptrIiEEEENSB_INSC_IjEEEENSB_INSC_IfEEEEfNS9_4plusIvEENS9_8equal_toIvEEfEE10hipError_tPvRmT2_T3_T4_T5_mT6_T7_P12ihipStream_tbENKUlT_T0_E_clISt17integral_constantIbLb0EES13_EEDaSY_SZ_EUlSY_E_NS1_11comp_targetILNS1_3genE2ELNS1_11target_archE906ELNS1_3gpuE6ELNS1_3repE0EEENS1_30default_config_static_selectorELNS0_4arch9wavefront6targetE0EEEvT1_.uses_vcc, 0
	.set _ZN7rocprim17ROCPRIM_400000_NS6detail17trampoline_kernelINS0_14default_configENS1_27scan_by_key_config_selectorIifEEZZNS1_16scan_by_key_implILNS1_25lookback_scan_determinismE0ELb1ES3_N6thrust23THRUST_200600_302600_NS6detail15normal_iteratorINS9_10device_ptrIiEEEENSB_INSC_IjEEEENSB_INSC_IfEEEEfNS9_4plusIvEENS9_8equal_toIvEEfEE10hipError_tPvRmT2_T3_T4_T5_mT6_T7_P12ihipStream_tbENKUlT_T0_E_clISt17integral_constantIbLb0EES13_EEDaSY_SZ_EUlSY_E_NS1_11comp_targetILNS1_3genE2ELNS1_11target_archE906ELNS1_3gpuE6ELNS1_3repE0EEENS1_30default_config_static_selectorELNS0_4arch9wavefront6targetE0EEEvT1_.uses_flat_scratch, 0
	.set _ZN7rocprim17ROCPRIM_400000_NS6detail17trampoline_kernelINS0_14default_configENS1_27scan_by_key_config_selectorIifEEZZNS1_16scan_by_key_implILNS1_25lookback_scan_determinismE0ELb1ES3_N6thrust23THRUST_200600_302600_NS6detail15normal_iteratorINS9_10device_ptrIiEEEENSB_INSC_IjEEEENSB_INSC_IfEEEEfNS9_4plusIvEENS9_8equal_toIvEEfEE10hipError_tPvRmT2_T3_T4_T5_mT6_T7_P12ihipStream_tbENKUlT_T0_E_clISt17integral_constantIbLb0EES13_EEDaSY_SZ_EUlSY_E_NS1_11comp_targetILNS1_3genE2ELNS1_11target_archE906ELNS1_3gpuE6ELNS1_3repE0EEENS1_30default_config_static_selectorELNS0_4arch9wavefront6targetE0EEEvT1_.has_dyn_sized_stack, 0
	.set _ZN7rocprim17ROCPRIM_400000_NS6detail17trampoline_kernelINS0_14default_configENS1_27scan_by_key_config_selectorIifEEZZNS1_16scan_by_key_implILNS1_25lookback_scan_determinismE0ELb1ES3_N6thrust23THRUST_200600_302600_NS6detail15normal_iteratorINS9_10device_ptrIiEEEENSB_INSC_IjEEEENSB_INSC_IfEEEEfNS9_4plusIvEENS9_8equal_toIvEEfEE10hipError_tPvRmT2_T3_T4_T5_mT6_T7_P12ihipStream_tbENKUlT_T0_E_clISt17integral_constantIbLb0EES13_EEDaSY_SZ_EUlSY_E_NS1_11comp_targetILNS1_3genE2ELNS1_11target_archE906ELNS1_3gpuE6ELNS1_3repE0EEENS1_30default_config_static_selectorELNS0_4arch9wavefront6targetE0EEEvT1_.has_recursion, 0
	.set _ZN7rocprim17ROCPRIM_400000_NS6detail17trampoline_kernelINS0_14default_configENS1_27scan_by_key_config_selectorIifEEZZNS1_16scan_by_key_implILNS1_25lookback_scan_determinismE0ELb1ES3_N6thrust23THRUST_200600_302600_NS6detail15normal_iteratorINS9_10device_ptrIiEEEENSB_INSC_IjEEEENSB_INSC_IfEEEEfNS9_4plusIvEENS9_8equal_toIvEEfEE10hipError_tPvRmT2_T3_T4_T5_mT6_T7_P12ihipStream_tbENKUlT_T0_E_clISt17integral_constantIbLb0EES13_EEDaSY_SZ_EUlSY_E_NS1_11comp_targetILNS1_3genE2ELNS1_11target_archE906ELNS1_3gpuE6ELNS1_3repE0EEENS1_30default_config_static_selectorELNS0_4arch9wavefront6targetE0EEEvT1_.has_indirect_call, 0
	.section	.AMDGPU.csdata,"",@progbits
; Kernel info:
; codeLenInByte = 0
; TotalNumSgprs: 0
; NumVgprs: 0
; ScratchSize: 0
; MemoryBound: 0
; FloatMode: 240
; IeeeMode: 1
; LDSByteSize: 0 bytes/workgroup (compile time only)
; SGPRBlocks: 0
; VGPRBlocks: 0
; NumSGPRsForWavesPerEU: 1
; NumVGPRsForWavesPerEU: 1
; NamedBarCnt: 0
; Occupancy: 16
; WaveLimiterHint : 0
; COMPUTE_PGM_RSRC2:SCRATCH_EN: 0
; COMPUTE_PGM_RSRC2:USER_SGPR: 2
; COMPUTE_PGM_RSRC2:TRAP_HANDLER: 0
; COMPUTE_PGM_RSRC2:TGID_X_EN: 1
; COMPUTE_PGM_RSRC2:TGID_Y_EN: 0
; COMPUTE_PGM_RSRC2:TGID_Z_EN: 0
; COMPUTE_PGM_RSRC2:TIDIG_COMP_CNT: 0
	.section	.text._ZN7rocprim17ROCPRIM_400000_NS6detail17trampoline_kernelINS0_14default_configENS1_27scan_by_key_config_selectorIifEEZZNS1_16scan_by_key_implILNS1_25lookback_scan_determinismE0ELb1ES3_N6thrust23THRUST_200600_302600_NS6detail15normal_iteratorINS9_10device_ptrIiEEEENSB_INSC_IjEEEENSB_INSC_IfEEEEfNS9_4plusIvEENS9_8equal_toIvEEfEE10hipError_tPvRmT2_T3_T4_T5_mT6_T7_P12ihipStream_tbENKUlT_T0_E_clISt17integral_constantIbLb0EES13_EEDaSY_SZ_EUlSY_E_NS1_11comp_targetILNS1_3genE10ELNS1_11target_archE1200ELNS1_3gpuE4ELNS1_3repE0EEENS1_30default_config_static_selectorELNS0_4arch9wavefront6targetE0EEEvT1_,"axG",@progbits,_ZN7rocprim17ROCPRIM_400000_NS6detail17trampoline_kernelINS0_14default_configENS1_27scan_by_key_config_selectorIifEEZZNS1_16scan_by_key_implILNS1_25lookback_scan_determinismE0ELb1ES3_N6thrust23THRUST_200600_302600_NS6detail15normal_iteratorINS9_10device_ptrIiEEEENSB_INSC_IjEEEENSB_INSC_IfEEEEfNS9_4plusIvEENS9_8equal_toIvEEfEE10hipError_tPvRmT2_T3_T4_T5_mT6_T7_P12ihipStream_tbENKUlT_T0_E_clISt17integral_constantIbLb0EES13_EEDaSY_SZ_EUlSY_E_NS1_11comp_targetILNS1_3genE10ELNS1_11target_archE1200ELNS1_3gpuE4ELNS1_3repE0EEENS1_30default_config_static_selectorELNS0_4arch9wavefront6targetE0EEEvT1_,comdat
	.protected	_ZN7rocprim17ROCPRIM_400000_NS6detail17trampoline_kernelINS0_14default_configENS1_27scan_by_key_config_selectorIifEEZZNS1_16scan_by_key_implILNS1_25lookback_scan_determinismE0ELb1ES3_N6thrust23THRUST_200600_302600_NS6detail15normal_iteratorINS9_10device_ptrIiEEEENSB_INSC_IjEEEENSB_INSC_IfEEEEfNS9_4plusIvEENS9_8equal_toIvEEfEE10hipError_tPvRmT2_T3_T4_T5_mT6_T7_P12ihipStream_tbENKUlT_T0_E_clISt17integral_constantIbLb0EES13_EEDaSY_SZ_EUlSY_E_NS1_11comp_targetILNS1_3genE10ELNS1_11target_archE1200ELNS1_3gpuE4ELNS1_3repE0EEENS1_30default_config_static_selectorELNS0_4arch9wavefront6targetE0EEEvT1_ ; -- Begin function _ZN7rocprim17ROCPRIM_400000_NS6detail17trampoline_kernelINS0_14default_configENS1_27scan_by_key_config_selectorIifEEZZNS1_16scan_by_key_implILNS1_25lookback_scan_determinismE0ELb1ES3_N6thrust23THRUST_200600_302600_NS6detail15normal_iteratorINS9_10device_ptrIiEEEENSB_INSC_IjEEEENSB_INSC_IfEEEEfNS9_4plusIvEENS9_8equal_toIvEEfEE10hipError_tPvRmT2_T3_T4_T5_mT6_T7_P12ihipStream_tbENKUlT_T0_E_clISt17integral_constantIbLb0EES13_EEDaSY_SZ_EUlSY_E_NS1_11comp_targetILNS1_3genE10ELNS1_11target_archE1200ELNS1_3gpuE4ELNS1_3repE0EEENS1_30default_config_static_selectorELNS0_4arch9wavefront6targetE0EEEvT1_
	.globl	_ZN7rocprim17ROCPRIM_400000_NS6detail17trampoline_kernelINS0_14default_configENS1_27scan_by_key_config_selectorIifEEZZNS1_16scan_by_key_implILNS1_25lookback_scan_determinismE0ELb1ES3_N6thrust23THRUST_200600_302600_NS6detail15normal_iteratorINS9_10device_ptrIiEEEENSB_INSC_IjEEEENSB_INSC_IfEEEEfNS9_4plusIvEENS9_8equal_toIvEEfEE10hipError_tPvRmT2_T3_T4_T5_mT6_T7_P12ihipStream_tbENKUlT_T0_E_clISt17integral_constantIbLb0EES13_EEDaSY_SZ_EUlSY_E_NS1_11comp_targetILNS1_3genE10ELNS1_11target_archE1200ELNS1_3gpuE4ELNS1_3repE0EEENS1_30default_config_static_selectorELNS0_4arch9wavefront6targetE0EEEvT1_
	.p2align	8
	.type	_ZN7rocprim17ROCPRIM_400000_NS6detail17trampoline_kernelINS0_14default_configENS1_27scan_by_key_config_selectorIifEEZZNS1_16scan_by_key_implILNS1_25lookback_scan_determinismE0ELb1ES3_N6thrust23THRUST_200600_302600_NS6detail15normal_iteratorINS9_10device_ptrIiEEEENSB_INSC_IjEEEENSB_INSC_IfEEEEfNS9_4plusIvEENS9_8equal_toIvEEfEE10hipError_tPvRmT2_T3_T4_T5_mT6_T7_P12ihipStream_tbENKUlT_T0_E_clISt17integral_constantIbLb0EES13_EEDaSY_SZ_EUlSY_E_NS1_11comp_targetILNS1_3genE10ELNS1_11target_archE1200ELNS1_3gpuE4ELNS1_3repE0EEENS1_30default_config_static_selectorELNS0_4arch9wavefront6targetE0EEEvT1_,@function
_ZN7rocprim17ROCPRIM_400000_NS6detail17trampoline_kernelINS0_14default_configENS1_27scan_by_key_config_selectorIifEEZZNS1_16scan_by_key_implILNS1_25lookback_scan_determinismE0ELb1ES3_N6thrust23THRUST_200600_302600_NS6detail15normal_iteratorINS9_10device_ptrIiEEEENSB_INSC_IjEEEENSB_INSC_IfEEEEfNS9_4plusIvEENS9_8equal_toIvEEfEE10hipError_tPvRmT2_T3_T4_T5_mT6_T7_P12ihipStream_tbENKUlT_T0_E_clISt17integral_constantIbLb0EES13_EEDaSY_SZ_EUlSY_E_NS1_11comp_targetILNS1_3genE10ELNS1_11target_archE1200ELNS1_3gpuE4ELNS1_3repE0EEENS1_30default_config_static_selectorELNS0_4arch9wavefront6targetE0EEEvT1_: ; @_ZN7rocprim17ROCPRIM_400000_NS6detail17trampoline_kernelINS0_14default_configENS1_27scan_by_key_config_selectorIifEEZZNS1_16scan_by_key_implILNS1_25lookback_scan_determinismE0ELb1ES3_N6thrust23THRUST_200600_302600_NS6detail15normal_iteratorINS9_10device_ptrIiEEEENSB_INSC_IjEEEENSB_INSC_IfEEEEfNS9_4plusIvEENS9_8equal_toIvEEfEE10hipError_tPvRmT2_T3_T4_T5_mT6_T7_P12ihipStream_tbENKUlT_T0_E_clISt17integral_constantIbLb0EES13_EEDaSY_SZ_EUlSY_E_NS1_11comp_targetILNS1_3genE10ELNS1_11target_archE1200ELNS1_3gpuE4ELNS1_3repE0EEENS1_30default_config_static_selectorELNS0_4arch9wavefront6targetE0EEEvT1_
; %bb.0:
	.section	.rodata,"a",@progbits
	.p2align	6, 0x0
	.amdhsa_kernel _ZN7rocprim17ROCPRIM_400000_NS6detail17trampoline_kernelINS0_14default_configENS1_27scan_by_key_config_selectorIifEEZZNS1_16scan_by_key_implILNS1_25lookback_scan_determinismE0ELb1ES3_N6thrust23THRUST_200600_302600_NS6detail15normal_iteratorINS9_10device_ptrIiEEEENSB_INSC_IjEEEENSB_INSC_IfEEEEfNS9_4plusIvEENS9_8equal_toIvEEfEE10hipError_tPvRmT2_T3_T4_T5_mT6_T7_P12ihipStream_tbENKUlT_T0_E_clISt17integral_constantIbLb0EES13_EEDaSY_SZ_EUlSY_E_NS1_11comp_targetILNS1_3genE10ELNS1_11target_archE1200ELNS1_3gpuE4ELNS1_3repE0EEENS1_30default_config_static_selectorELNS0_4arch9wavefront6targetE0EEEvT1_
		.amdhsa_group_segment_fixed_size 0
		.amdhsa_private_segment_fixed_size 0
		.amdhsa_kernarg_size 112
		.amdhsa_user_sgpr_count 2
		.amdhsa_user_sgpr_dispatch_ptr 0
		.amdhsa_user_sgpr_queue_ptr 0
		.amdhsa_user_sgpr_kernarg_segment_ptr 1
		.amdhsa_user_sgpr_dispatch_id 0
		.amdhsa_user_sgpr_kernarg_preload_length 0
		.amdhsa_user_sgpr_kernarg_preload_offset 0
		.amdhsa_user_sgpr_private_segment_size 0
		.amdhsa_wavefront_size32 1
		.amdhsa_uses_dynamic_stack 0
		.amdhsa_enable_private_segment 0
		.amdhsa_system_sgpr_workgroup_id_x 1
		.amdhsa_system_sgpr_workgroup_id_y 0
		.amdhsa_system_sgpr_workgroup_id_z 0
		.amdhsa_system_sgpr_workgroup_info 0
		.amdhsa_system_vgpr_workitem_id 0
		.amdhsa_next_free_vgpr 1
		.amdhsa_next_free_sgpr 1
		.amdhsa_named_barrier_count 0
		.amdhsa_reserve_vcc 0
		.amdhsa_float_round_mode_32 0
		.amdhsa_float_round_mode_16_64 0
		.amdhsa_float_denorm_mode_32 3
		.amdhsa_float_denorm_mode_16_64 3
		.amdhsa_fp16_overflow 0
		.amdhsa_memory_ordered 1
		.amdhsa_forward_progress 1
		.amdhsa_inst_pref_size 0
		.amdhsa_round_robin_scheduling 0
		.amdhsa_exception_fp_ieee_invalid_op 0
		.amdhsa_exception_fp_denorm_src 0
		.amdhsa_exception_fp_ieee_div_zero 0
		.amdhsa_exception_fp_ieee_overflow 0
		.amdhsa_exception_fp_ieee_underflow 0
		.amdhsa_exception_fp_ieee_inexact 0
		.amdhsa_exception_int_div_zero 0
	.end_amdhsa_kernel
	.section	.text._ZN7rocprim17ROCPRIM_400000_NS6detail17trampoline_kernelINS0_14default_configENS1_27scan_by_key_config_selectorIifEEZZNS1_16scan_by_key_implILNS1_25lookback_scan_determinismE0ELb1ES3_N6thrust23THRUST_200600_302600_NS6detail15normal_iteratorINS9_10device_ptrIiEEEENSB_INSC_IjEEEENSB_INSC_IfEEEEfNS9_4plusIvEENS9_8equal_toIvEEfEE10hipError_tPvRmT2_T3_T4_T5_mT6_T7_P12ihipStream_tbENKUlT_T0_E_clISt17integral_constantIbLb0EES13_EEDaSY_SZ_EUlSY_E_NS1_11comp_targetILNS1_3genE10ELNS1_11target_archE1200ELNS1_3gpuE4ELNS1_3repE0EEENS1_30default_config_static_selectorELNS0_4arch9wavefront6targetE0EEEvT1_,"axG",@progbits,_ZN7rocprim17ROCPRIM_400000_NS6detail17trampoline_kernelINS0_14default_configENS1_27scan_by_key_config_selectorIifEEZZNS1_16scan_by_key_implILNS1_25lookback_scan_determinismE0ELb1ES3_N6thrust23THRUST_200600_302600_NS6detail15normal_iteratorINS9_10device_ptrIiEEEENSB_INSC_IjEEEENSB_INSC_IfEEEEfNS9_4plusIvEENS9_8equal_toIvEEfEE10hipError_tPvRmT2_T3_T4_T5_mT6_T7_P12ihipStream_tbENKUlT_T0_E_clISt17integral_constantIbLb0EES13_EEDaSY_SZ_EUlSY_E_NS1_11comp_targetILNS1_3genE10ELNS1_11target_archE1200ELNS1_3gpuE4ELNS1_3repE0EEENS1_30default_config_static_selectorELNS0_4arch9wavefront6targetE0EEEvT1_,comdat
.Lfunc_end1686:
	.size	_ZN7rocprim17ROCPRIM_400000_NS6detail17trampoline_kernelINS0_14default_configENS1_27scan_by_key_config_selectorIifEEZZNS1_16scan_by_key_implILNS1_25lookback_scan_determinismE0ELb1ES3_N6thrust23THRUST_200600_302600_NS6detail15normal_iteratorINS9_10device_ptrIiEEEENSB_INSC_IjEEEENSB_INSC_IfEEEEfNS9_4plusIvEENS9_8equal_toIvEEfEE10hipError_tPvRmT2_T3_T4_T5_mT6_T7_P12ihipStream_tbENKUlT_T0_E_clISt17integral_constantIbLb0EES13_EEDaSY_SZ_EUlSY_E_NS1_11comp_targetILNS1_3genE10ELNS1_11target_archE1200ELNS1_3gpuE4ELNS1_3repE0EEENS1_30default_config_static_selectorELNS0_4arch9wavefront6targetE0EEEvT1_, .Lfunc_end1686-_ZN7rocprim17ROCPRIM_400000_NS6detail17trampoline_kernelINS0_14default_configENS1_27scan_by_key_config_selectorIifEEZZNS1_16scan_by_key_implILNS1_25lookback_scan_determinismE0ELb1ES3_N6thrust23THRUST_200600_302600_NS6detail15normal_iteratorINS9_10device_ptrIiEEEENSB_INSC_IjEEEENSB_INSC_IfEEEEfNS9_4plusIvEENS9_8equal_toIvEEfEE10hipError_tPvRmT2_T3_T4_T5_mT6_T7_P12ihipStream_tbENKUlT_T0_E_clISt17integral_constantIbLb0EES13_EEDaSY_SZ_EUlSY_E_NS1_11comp_targetILNS1_3genE10ELNS1_11target_archE1200ELNS1_3gpuE4ELNS1_3repE0EEENS1_30default_config_static_selectorELNS0_4arch9wavefront6targetE0EEEvT1_
                                        ; -- End function
	.set _ZN7rocprim17ROCPRIM_400000_NS6detail17trampoline_kernelINS0_14default_configENS1_27scan_by_key_config_selectorIifEEZZNS1_16scan_by_key_implILNS1_25lookback_scan_determinismE0ELb1ES3_N6thrust23THRUST_200600_302600_NS6detail15normal_iteratorINS9_10device_ptrIiEEEENSB_INSC_IjEEEENSB_INSC_IfEEEEfNS9_4plusIvEENS9_8equal_toIvEEfEE10hipError_tPvRmT2_T3_T4_T5_mT6_T7_P12ihipStream_tbENKUlT_T0_E_clISt17integral_constantIbLb0EES13_EEDaSY_SZ_EUlSY_E_NS1_11comp_targetILNS1_3genE10ELNS1_11target_archE1200ELNS1_3gpuE4ELNS1_3repE0EEENS1_30default_config_static_selectorELNS0_4arch9wavefront6targetE0EEEvT1_.num_vgpr, 0
	.set _ZN7rocprim17ROCPRIM_400000_NS6detail17trampoline_kernelINS0_14default_configENS1_27scan_by_key_config_selectorIifEEZZNS1_16scan_by_key_implILNS1_25lookback_scan_determinismE0ELb1ES3_N6thrust23THRUST_200600_302600_NS6detail15normal_iteratorINS9_10device_ptrIiEEEENSB_INSC_IjEEEENSB_INSC_IfEEEEfNS9_4plusIvEENS9_8equal_toIvEEfEE10hipError_tPvRmT2_T3_T4_T5_mT6_T7_P12ihipStream_tbENKUlT_T0_E_clISt17integral_constantIbLb0EES13_EEDaSY_SZ_EUlSY_E_NS1_11comp_targetILNS1_3genE10ELNS1_11target_archE1200ELNS1_3gpuE4ELNS1_3repE0EEENS1_30default_config_static_selectorELNS0_4arch9wavefront6targetE0EEEvT1_.num_agpr, 0
	.set _ZN7rocprim17ROCPRIM_400000_NS6detail17trampoline_kernelINS0_14default_configENS1_27scan_by_key_config_selectorIifEEZZNS1_16scan_by_key_implILNS1_25lookback_scan_determinismE0ELb1ES3_N6thrust23THRUST_200600_302600_NS6detail15normal_iteratorINS9_10device_ptrIiEEEENSB_INSC_IjEEEENSB_INSC_IfEEEEfNS9_4plusIvEENS9_8equal_toIvEEfEE10hipError_tPvRmT2_T3_T4_T5_mT6_T7_P12ihipStream_tbENKUlT_T0_E_clISt17integral_constantIbLb0EES13_EEDaSY_SZ_EUlSY_E_NS1_11comp_targetILNS1_3genE10ELNS1_11target_archE1200ELNS1_3gpuE4ELNS1_3repE0EEENS1_30default_config_static_selectorELNS0_4arch9wavefront6targetE0EEEvT1_.numbered_sgpr, 0
	.set _ZN7rocprim17ROCPRIM_400000_NS6detail17trampoline_kernelINS0_14default_configENS1_27scan_by_key_config_selectorIifEEZZNS1_16scan_by_key_implILNS1_25lookback_scan_determinismE0ELb1ES3_N6thrust23THRUST_200600_302600_NS6detail15normal_iteratorINS9_10device_ptrIiEEEENSB_INSC_IjEEEENSB_INSC_IfEEEEfNS9_4plusIvEENS9_8equal_toIvEEfEE10hipError_tPvRmT2_T3_T4_T5_mT6_T7_P12ihipStream_tbENKUlT_T0_E_clISt17integral_constantIbLb0EES13_EEDaSY_SZ_EUlSY_E_NS1_11comp_targetILNS1_3genE10ELNS1_11target_archE1200ELNS1_3gpuE4ELNS1_3repE0EEENS1_30default_config_static_selectorELNS0_4arch9wavefront6targetE0EEEvT1_.num_named_barrier, 0
	.set _ZN7rocprim17ROCPRIM_400000_NS6detail17trampoline_kernelINS0_14default_configENS1_27scan_by_key_config_selectorIifEEZZNS1_16scan_by_key_implILNS1_25lookback_scan_determinismE0ELb1ES3_N6thrust23THRUST_200600_302600_NS6detail15normal_iteratorINS9_10device_ptrIiEEEENSB_INSC_IjEEEENSB_INSC_IfEEEEfNS9_4plusIvEENS9_8equal_toIvEEfEE10hipError_tPvRmT2_T3_T4_T5_mT6_T7_P12ihipStream_tbENKUlT_T0_E_clISt17integral_constantIbLb0EES13_EEDaSY_SZ_EUlSY_E_NS1_11comp_targetILNS1_3genE10ELNS1_11target_archE1200ELNS1_3gpuE4ELNS1_3repE0EEENS1_30default_config_static_selectorELNS0_4arch9wavefront6targetE0EEEvT1_.private_seg_size, 0
	.set _ZN7rocprim17ROCPRIM_400000_NS6detail17trampoline_kernelINS0_14default_configENS1_27scan_by_key_config_selectorIifEEZZNS1_16scan_by_key_implILNS1_25lookback_scan_determinismE0ELb1ES3_N6thrust23THRUST_200600_302600_NS6detail15normal_iteratorINS9_10device_ptrIiEEEENSB_INSC_IjEEEENSB_INSC_IfEEEEfNS9_4plusIvEENS9_8equal_toIvEEfEE10hipError_tPvRmT2_T3_T4_T5_mT6_T7_P12ihipStream_tbENKUlT_T0_E_clISt17integral_constantIbLb0EES13_EEDaSY_SZ_EUlSY_E_NS1_11comp_targetILNS1_3genE10ELNS1_11target_archE1200ELNS1_3gpuE4ELNS1_3repE0EEENS1_30default_config_static_selectorELNS0_4arch9wavefront6targetE0EEEvT1_.uses_vcc, 0
	.set _ZN7rocprim17ROCPRIM_400000_NS6detail17trampoline_kernelINS0_14default_configENS1_27scan_by_key_config_selectorIifEEZZNS1_16scan_by_key_implILNS1_25lookback_scan_determinismE0ELb1ES3_N6thrust23THRUST_200600_302600_NS6detail15normal_iteratorINS9_10device_ptrIiEEEENSB_INSC_IjEEEENSB_INSC_IfEEEEfNS9_4plusIvEENS9_8equal_toIvEEfEE10hipError_tPvRmT2_T3_T4_T5_mT6_T7_P12ihipStream_tbENKUlT_T0_E_clISt17integral_constantIbLb0EES13_EEDaSY_SZ_EUlSY_E_NS1_11comp_targetILNS1_3genE10ELNS1_11target_archE1200ELNS1_3gpuE4ELNS1_3repE0EEENS1_30default_config_static_selectorELNS0_4arch9wavefront6targetE0EEEvT1_.uses_flat_scratch, 0
	.set _ZN7rocprim17ROCPRIM_400000_NS6detail17trampoline_kernelINS0_14default_configENS1_27scan_by_key_config_selectorIifEEZZNS1_16scan_by_key_implILNS1_25lookback_scan_determinismE0ELb1ES3_N6thrust23THRUST_200600_302600_NS6detail15normal_iteratorINS9_10device_ptrIiEEEENSB_INSC_IjEEEENSB_INSC_IfEEEEfNS9_4plusIvEENS9_8equal_toIvEEfEE10hipError_tPvRmT2_T3_T4_T5_mT6_T7_P12ihipStream_tbENKUlT_T0_E_clISt17integral_constantIbLb0EES13_EEDaSY_SZ_EUlSY_E_NS1_11comp_targetILNS1_3genE10ELNS1_11target_archE1200ELNS1_3gpuE4ELNS1_3repE0EEENS1_30default_config_static_selectorELNS0_4arch9wavefront6targetE0EEEvT1_.has_dyn_sized_stack, 0
	.set _ZN7rocprim17ROCPRIM_400000_NS6detail17trampoline_kernelINS0_14default_configENS1_27scan_by_key_config_selectorIifEEZZNS1_16scan_by_key_implILNS1_25lookback_scan_determinismE0ELb1ES3_N6thrust23THRUST_200600_302600_NS6detail15normal_iteratorINS9_10device_ptrIiEEEENSB_INSC_IjEEEENSB_INSC_IfEEEEfNS9_4plusIvEENS9_8equal_toIvEEfEE10hipError_tPvRmT2_T3_T4_T5_mT6_T7_P12ihipStream_tbENKUlT_T0_E_clISt17integral_constantIbLb0EES13_EEDaSY_SZ_EUlSY_E_NS1_11comp_targetILNS1_3genE10ELNS1_11target_archE1200ELNS1_3gpuE4ELNS1_3repE0EEENS1_30default_config_static_selectorELNS0_4arch9wavefront6targetE0EEEvT1_.has_recursion, 0
	.set _ZN7rocprim17ROCPRIM_400000_NS6detail17trampoline_kernelINS0_14default_configENS1_27scan_by_key_config_selectorIifEEZZNS1_16scan_by_key_implILNS1_25lookback_scan_determinismE0ELb1ES3_N6thrust23THRUST_200600_302600_NS6detail15normal_iteratorINS9_10device_ptrIiEEEENSB_INSC_IjEEEENSB_INSC_IfEEEEfNS9_4plusIvEENS9_8equal_toIvEEfEE10hipError_tPvRmT2_T3_T4_T5_mT6_T7_P12ihipStream_tbENKUlT_T0_E_clISt17integral_constantIbLb0EES13_EEDaSY_SZ_EUlSY_E_NS1_11comp_targetILNS1_3genE10ELNS1_11target_archE1200ELNS1_3gpuE4ELNS1_3repE0EEENS1_30default_config_static_selectorELNS0_4arch9wavefront6targetE0EEEvT1_.has_indirect_call, 0
	.section	.AMDGPU.csdata,"",@progbits
; Kernel info:
; codeLenInByte = 0
; TotalNumSgprs: 0
; NumVgprs: 0
; ScratchSize: 0
; MemoryBound: 0
; FloatMode: 240
; IeeeMode: 1
; LDSByteSize: 0 bytes/workgroup (compile time only)
; SGPRBlocks: 0
; VGPRBlocks: 0
; NumSGPRsForWavesPerEU: 1
; NumVGPRsForWavesPerEU: 1
; NamedBarCnt: 0
; Occupancy: 16
; WaveLimiterHint : 0
; COMPUTE_PGM_RSRC2:SCRATCH_EN: 0
; COMPUTE_PGM_RSRC2:USER_SGPR: 2
; COMPUTE_PGM_RSRC2:TRAP_HANDLER: 0
; COMPUTE_PGM_RSRC2:TGID_X_EN: 1
; COMPUTE_PGM_RSRC2:TGID_Y_EN: 0
; COMPUTE_PGM_RSRC2:TGID_Z_EN: 0
; COMPUTE_PGM_RSRC2:TIDIG_COMP_CNT: 0
	.section	.text._ZN7rocprim17ROCPRIM_400000_NS6detail17trampoline_kernelINS0_14default_configENS1_27scan_by_key_config_selectorIifEEZZNS1_16scan_by_key_implILNS1_25lookback_scan_determinismE0ELb1ES3_N6thrust23THRUST_200600_302600_NS6detail15normal_iteratorINS9_10device_ptrIiEEEENSB_INSC_IjEEEENSB_INSC_IfEEEEfNS9_4plusIvEENS9_8equal_toIvEEfEE10hipError_tPvRmT2_T3_T4_T5_mT6_T7_P12ihipStream_tbENKUlT_T0_E_clISt17integral_constantIbLb0EES13_EEDaSY_SZ_EUlSY_E_NS1_11comp_targetILNS1_3genE9ELNS1_11target_archE1100ELNS1_3gpuE3ELNS1_3repE0EEENS1_30default_config_static_selectorELNS0_4arch9wavefront6targetE0EEEvT1_,"axG",@progbits,_ZN7rocprim17ROCPRIM_400000_NS6detail17trampoline_kernelINS0_14default_configENS1_27scan_by_key_config_selectorIifEEZZNS1_16scan_by_key_implILNS1_25lookback_scan_determinismE0ELb1ES3_N6thrust23THRUST_200600_302600_NS6detail15normal_iteratorINS9_10device_ptrIiEEEENSB_INSC_IjEEEENSB_INSC_IfEEEEfNS9_4plusIvEENS9_8equal_toIvEEfEE10hipError_tPvRmT2_T3_T4_T5_mT6_T7_P12ihipStream_tbENKUlT_T0_E_clISt17integral_constantIbLb0EES13_EEDaSY_SZ_EUlSY_E_NS1_11comp_targetILNS1_3genE9ELNS1_11target_archE1100ELNS1_3gpuE3ELNS1_3repE0EEENS1_30default_config_static_selectorELNS0_4arch9wavefront6targetE0EEEvT1_,comdat
	.protected	_ZN7rocprim17ROCPRIM_400000_NS6detail17trampoline_kernelINS0_14default_configENS1_27scan_by_key_config_selectorIifEEZZNS1_16scan_by_key_implILNS1_25lookback_scan_determinismE0ELb1ES3_N6thrust23THRUST_200600_302600_NS6detail15normal_iteratorINS9_10device_ptrIiEEEENSB_INSC_IjEEEENSB_INSC_IfEEEEfNS9_4plusIvEENS9_8equal_toIvEEfEE10hipError_tPvRmT2_T3_T4_T5_mT6_T7_P12ihipStream_tbENKUlT_T0_E_clISt17integral_constantIbLb0EES13_EEDaSY_SZ_EUlSY_E_NS1_11comp_targetILNS1_3genE9ELNS1_11target_archE1100ELNS1_3gpuE3ELNS1_3repE0EEENS1_30default_config_static_selectorELNS0_4arch9wavefront6targetE0EEEvT1_ ; -- Begin function _ZN7rocprim17ROCPRIM_400000_NS6detail17trampoline_kernelINS0_14default_configENS1_27scan_by_key_config_selectorIifEEZZNS1_16scan_by_key_implILNS1_25lookback_scan_determinismE0ELb1ES3_N6thrust23THRUST_200600_302600_NS6detail15normal_iteratorINS9_10device_ptrIiEEEENSB_INSC_IjEEEENSB_INSC_IfEEEEfNS9_4plusIvEENS9_8equal_toIvEEfEE10hipError_tPvRmT2_T3_T4_T5_mT6_T7_P12ihipStream_tbENKUlT_T0_E_clISt17integral_constantIbLb0EES13_EEDaSY_SZ_EUlSY_E_NS1_11comp_targetILNS1_3genE9ELNS1_11target_archE1100ELNS1_3gpuE3ELNS1_3repE0EEENS1_30default_config_static_selectorELNS0_4arch9wavefront6targetE0EEEvT1_
	.globl	_ZN7rocprim17ROCPRIM_400000_NS6detail17trampoline_kernelINS0_14default_configENS1_27scan_by_key_config_selectorIifEEZZNS1_16scan_by_key_implILNS1_25lookback_scan_determinismE0ELb1ES3_N6thrust23THRUST_200600_302600_NS6detail15normal_iteratorINS9_10device_ptrIiEEEENSB_INSC_IjEEEENSB_INSC_IfEEEEfNS9_4plusIvEENS9_8equal_toIvEEfEE10hipError_tPvRmT2_T3_T4_T5_mT6_T7_P12ihipStream_tbENKUlT_T0_E_clISt17integral_constantIbLb0EES13_EEDaSY_SZ_EUlSY_E_NS1_11comp_targetILNS1_3genE9ELNS1_11target_archE1100ELNS1_3gpuE3ELNS1_3repE0EEENS1_30default_config_static_selectorELNS0_4arch9wavefront6targetE0EEEvT1_
	.p2align	8
	.type	_ZN7rocprim17ROCPRIM_400000_NS6detail17trampoline_kernelINS0_14default_configENS1_27scan_by_key_config_selectorIifEEZZNS1_16scan_by_key_implILNS1_25lookback_scan_determinismE0ELb1ES3_N6thrust23THRUST_200600_302600_NS6detail15normal_iteratorINS9_10device_ptrIiEEEENSB_INSC_IjEEEENSB_INSC_IfEEEEfNS9_4plusIvEENS9_8equal_toIvEEfEE10hipError_tPvRmT2_T3_T4_T5_mT6_T7_P12ihipStream_tbENKUlT_T0_E_clISt17integral_constantIbLb0EES13_EEDaSY_SZ_EUlSY_E_NS1_11comp_targetILNS1_3genE9ELNS1_11target_archE1100ELNS1_3gpuE3ELNS1_3repE0EEENS1_30default_config_static_selectorELNS0_4arch9wavefront6targetE0EEEvT1_,@function
_ZN7rocprim17ROCPRIM_400000_NS6detail17trampoline_kernelINS0_14default_configENS1_27scan_by_key_config_selectorIifEEZZNS1_16scan_by_key_implILNS1_25lookback_scan_determinismE0ELb1ES3_N6thrust23THRUST_200600_302600_NS6detail15normal_iteratorINS9_10device_ptrIiEEEENSB_INSC_IjEEEENSB_INSC_IfEEEEfNS9_4plusIvEENS9_8equal_toIvEEfEE10hipError_tPvRmT2_T3_T4_T5_mT6_T7_P12ihipStream_tbENKUlT_T0_E_clISt17integral_constantIbLb0EES13_EEDaSY_SZ_EUlSY_E_NS1_11comp_targetILNS1_3genE9ELNS1_11target_archE1100ELNS1_3gpuE3ELNS1_3repE0EEENS1_30default_config_static_selectorELNS0_4arch9wavefront6targetE0EEEvT1_: ; @_ZN7rocprim17ROCPRIM_400000_NS6detail17trampoline_kernelINS0_14default_configENS1_27scan_by_key_config_selectorIifEEZZNS1_16scan_by_key_implILNS1_25lookback_scan_determinismE0ELb1ES3_N6thrust23THRUST_200600_302600_NS6detail15normal_iteratorINS9_10device_ptrIiEEEENSB_INSC_IjEEEENSB_INSC_IfEEEEfNS9_4plusIvEENS9_8equal_toIvEEfEE10hipError_tPvRmT2_T3_T4_T5_mT6_T7_P12ihipStream_tbENKUlT_T0_E_clISt17integral_constantIbLb0EES13_EEDaSY_SZ_EUlSY_E_NS1_11comp_targetILNS1_3genE9ELNS1_11target_archE1100ELNS1_3gpuE3ELNS1_3repE0EEENS1_30default_config_static_selectorELNS0_4arch9wavefront6targetE0EEEvT1_
; %bb.0:
	.section	.rodata,"a",@progbits
	.p2align	6, 0x0
	.amdhsa_kernel _ZN7rocprim17ROCPRIM_400000_NS6detail17trampoline_kernelINS0_14default_configENS1_27scan_by_key_config_selectorIifEEZZNS1_16scan_by_key_implILNS1_25lookback_scan_determinismE0ELb1ES3_N6thrust23THRUST_200600_302600_NS6detail15normal_iteratorINS9_10device_ptrIiEEEENSB_INSC_IjEEEENSB_INSC_IfEEEEfNS9_4plusIvEENS9_8equal_toIvEEfEE10hipError_tPvRmT2_T3_T4_T5_mT6_T7_P12ihipStream_tbENKUlT_T0_E_clISt17integral_constantIbLb0EES13_EEDaSY_SZ_EUlSY_E_NS1_11comp_targetILNS1_3genE9ELNS1_11target_archE1100ELNS1_3gpuE3ELNS1_3repE0EEENS1_30default_config_static_selectorELNS0_4arch9wavefront6targetE0EEEvT1_
		.amdhsa_group_segment_fixed_size 0
		.amdhsa_private_segment_fixed_size 0
		.amdhsa_kernarg_size 112
		.amdhsa_user_sgpr_count 2
		.amdhsa_user_sgpr_dispatch_ptr 0
		.amdhsa_user_sgpr_queue_ptr 0
		.amdhsa_user_sgpr_kernarg_segment_ptr 1
		.amdhsa_user_sgpr_dispatch_id 0
		.amdhsa_user_sgpr_kernarg_preload_length 0
		.amdhsa_user_sgpr_kernarg_preload_offset 0
		.amdhsa_user_sgpr_private_segment_size 0
		.amdhsa_wavefront_size32 1
		.amdhsa_uses_dynamic_stack 0
		.amdhsa_enable_private_segment 0
		.amdhsa_system_sgpr_workgroup_id_x 1
		.amdhsa_system_sgpr_workgroup_id_y 0
		.amdhsa_system_sgpr_workgroup_id_z 0
		.amdhsa_system_sgpr_workgroup_info 0
		.amdhsa_system_vgpr_workitem_id 0
		.amdhsa_next_free_vgpr 1
		.amdhsa_next_free_sgpr 1
		.amdhsa_named_barrier_count 0
		.amdhsa_reserve_vcc 0
		.amdhsa_float_round_mode_32 0
		.amdhsa_float_round_mode_16_64 0
		.amdhsa_float_denorm_mode_32 3
		.amdhsa_float_denorm_mode_16_64 3
		.amdhsa_fp16_overflow 0
		.amdhsa_memory_ordered 1
		.amdhsa_forward_progress 1
		.amdhsa_inst_pref_size 0
		.amdhsa_round_robin_scheduling 0
		.amdhsa_exception_fp_ieee_invalid_op 0
		.amdhsa_exception_fp_denorm_src 0
		.amdhsa_exception_fp_ieee_div_zero 0
		.amdhsa_exception_fp_ieee_overflow 0
		.amdhsa_exception_fp_ieee_underflow 0
		.amdhsa_exception_fp_ieee_inexact 0
		.amdhsa_exception_int_div_zero 0
	.end_amdhsa_kernel
	.section	.text._ZN7rocprim17ROCPRIM_400000_NS6detail17trampoline_kernelINS0_14default_configENS1_27scan_by_key_config_selectorIifEEZZNS1_16scan_by_key_implILNS1_25lookback_scan_determinismE0ELb1ES3_N6thrust23THRUST_200600_302600_NS6detail15normal_iteratorINS9_10device_ptrIiEEEENSB_INSC_IjEEEENSB_INSC_IfEEEEfNS9_4plusIvEENS9_8equal_toIvEEfEE10hipError_tPvRmT2_T3_T4_T5_mT6_T7_P12ihipStream_tbENKUlT_T0_E_clISt17integral_constantIbLb0EES13_EEDaSY_SZ_EUlSY_E_NS1_11comp_targetILNS1_3genE9ELNS1_11target_archE1100ELNS1_3gpuE3ELNS1_3repE0EEENS1_30default_config_static_selectorELNS0_4arch9wavefront6targetE0EEEvT1_,"axG",@progbits,_ZN7rocprim17ROCPRIM_400000_NS6detail17trampoline_kernelINS0_14default_configENS1_27scan_by_key_config_selectorIifEEZZNS1_16scan_by_key_implILNS1_25lookback_scan_determinismE0ELb1ES3_N6thrust23THRUST_200600_302600_NS6detail15normal_iteratorINS9_10device_ptrIiEEEENSB_INSC_IjEEEENSB_INSC_IfEEEEfNS9_4plusIvEENS9_8equal_toIvEEfEE10hipError_tPvRmT2_T3_T4_T5_mT6_T7_P12ihipStream_tbENKUlT_T0_E_clISt17integral_constantIbLb0EES13_EEDaSY_SZ_EUlSY_E_NS1_11comp_targetILNS1_3genE9ELNS1_11target_archE1100ELNS1_3gpuE3ELNS1_3repE0EEENS1_30default_config_static_selectorELNS0_4arch9wavefront6targetE0EEEvT1_,comdat
.Lfunc_end1687:
	.size	_ZN7rocprim17ROCPRIM_400000_NS6detail17trampoline_kernelINS0_14default_configENS1_27scan_by_key_config_selectorIifEEZZNS1_16scan_by_key_implILNS1_25lookback_scan_determinismE0ELb1ES3_N6thrust23THRUST_200600_302600_NS6detail15normal_iteratorINS9_10device_ptrIiEEEENSB_INSC_IjEEEENSB_INSC_IfEEEEfNS9_4plusIvEENS9_8equal_toIvEEfEE10hipError_tPvRmT2_T3_T4_T5_mT6_T7_P12ihipStream_tbENKUlT_T0_E_clISt17integral_constantIbLb0EES13_EEDaSY_SZ_EUlSY_E_NS1_11comp_targetILNS1_3genE9ELNS1_11target_archE1100ELNS1_3gpuE3ELNS1_3repE0EEENS1_30default_config_static_selectorELNS0_4arch9wavefront6targetE0EEEvT1_, .Lfunc_end1687-_ZN7rocprim17ROCPRIM_400000_NS6detail17trampoline_kernelINS0_14default_configENS1_27scan_by_key_config_selectorIifEEZZNS1_16scan_by_key_implILNS1_25lookback_scan_determinismE0ELb1ES3_N6thrust23THRUST_200600_302600_NS6detail15normal_iteratorINS9_10device_ptrIiEEEENSB_INSC_IjEEEENSB_INSC_IfEEEEfNS9_4plusIvEENS9_8equal_toIvEEfEE10hipError_tPvRmT2_T3_T4_T5_mT6_T7_P12ihipStream_tbENKUlT_T0_E_clISt17integral_constantIbLb0EES13_EEDaSY_SZ_EUlSY_E_NS1_11comp_targetILNS1_3genE9ELNS1_11target_archE1100ELNS1_3gpuE3ELNS1_3repE0EEENS1_30default_config_static_selectorELNS0_4arch9wavefront6targetE0EEEvT1_
                                        ; -- End function
	.set _ZN7rocprim17ROCPRIM_400000_NS6detail17trampoline_kernelINS0_14default_configENS1_27scan_by_key_config_selectorIifEEZZNS1_16scan_by_key_implILNS1_25lookback_scan_determinismE0ELb1ES3_N6thrust23THRUST_200600_302600_NS6detail15normal_iteratorINS9_10device_ptrIiEEEENSB_INSC_IjEEEENSB_INSC_IfEEEEfNS9_4plusIvEENS9_8equal_toIvEEfEE10hipError_tPvRmT2_T3_T4_T5_mT6_T7_P12ihipStream_tbENKUlT_T0_E_clISt17integral_constantIbLb0EES13_EEDaSY_SZ_EUlSY_E_NS1_11comp_targetILNS1_3genE9ELNS1_11target_archE1100ELNS1_3gpuE3ELNS1_3repE0EEENS1_30default_config_static_selectorELNS0_4arch9wavefront6targetE0EEEvT1_.num_vgpr, 0
	.set _ZN7rocprim17ROCPRIM_400000_NS6detail17trampoline_kernelINS0_14default_configENS1_27scan_by_key_config_selectorIifEEZZNS1_16scan_by_key_implILNS1_25lookback_scan_determinismE0ELb1ES3_N6thrust23THRUST_200600_302600_NS6detail15normal_iteratorINS9_10device_ptrIiEEEENSB_INSC_IjEEEENSB_INSC_IfEEEEfNS9_4plusIvEENS9_8equal_toIvEEfEE10hipError_tPvRmT2_T3_T4_T5_mT6_T7_P12ihipStream_tbENKUlT_T0_E_clISt17integral_constantIbLb0EES13_EEDaSY_SZ_EUlSY_E_NS1_11comp_targetILNS1_3genE9ELNS1_11target_archE1100ELNS1_3gpuE3ELNS1_3repE0EEENS1_30default_config_static_selectorELNS0_4arch9wavefront6targetE0EEEvT1_.num_agpr, 0
	.set _ZN7rocprim17ROCPRIM_400000_NS6detail17trampoline_kernelINS0_14default_configENS1_27scan_by_key_config_selectorIifEEZZNS1_16scan_by_key_implILNS1_25lookback_scan_determinismE0ELb1ES3_N6thrust23THRUST_200600_302600_NS6detail15normal_iteratorINS9_10device_ptrIiEEEENSB_INSC_IjEEEENSB_INSC_IfEEEEfNS9_4plusIvEENS9_8equal_toIvEEfEE10hipError_tPvRmT2_T3_T4_T5_mT6_T7_P12ihipStream_tbENKUlT_T0_E_clISt17integral_constantIbLb0EES13_EEDaSY_SZ_EUlSY_E_NS1_11comp_targetILNS1_3genE9ELNS1_11target_archE1100ELNS1_3gpuE3ELNS1_3repE0EEENS1_30default_config_static_selectorELNS0_4arch9wavefront6targetE0EEEvT1_.numbered_sgpr, 0
	.set _ZN7rocprim17ROCPRIM_400000_NS6detail17trampoline_kernelINS0_14default_configENS1_27scan_by_key_config_selectorIifEEZZNS1_16scan_by_key_implILNS1_25lookback_scan_determinismE0ELb1ES3_N6thrust23THRUST_200600_302600_NS6detail15normal_iteratorINS9_10device_ptrIiEEEENSB_INSC_IjEEEENSB_INSC_IfEEEEfNS9_4plusIvEENS9_8equal_toIvEEfEE10hipError_tPvRmT2_T3_T4_T5_mT6_T7_P12ihipStream_tbENKUlT_T0_E_clISt17integral_constantIbLb0EES13_EEDaSY_SZ_EUlSY_E_NS1_11comp_targetILNS1_3genE9ELNS1_11target_archE1100ELNS1_3gpuE3ELNS1_3repE0EEENS1_30default_config_static_selectorELNS0_4arch9wavefront6targetE0EEEvT1_.num_named_barrier, 0
	.set _ZN7rocprim17ROCPRIM_400000_NS6detail17trampoline_kernelINS0_14default_configENS1_27scan_by_key_config_selectorIifEEZZNS1_16scan_by_key_implILNS1_25lookback_scan_determinismE0ELb1ES3_N6thrust23THRUST_200600_302600_NS6detail15normal_iteratorINS9_10device_ptrIiEEEENSB_INSC_IjEEEENSB_INSC_IfEEEEfNS9_4plusIvEENS9_8equal_toIvEEfEE10hipError_tPvRmT2_T3_T4_T5_mT6_T7_P12ihipStream_tbENKUlT_T0_E_clISt17integral_constantIbLb0EES13_EEDaSY_SZ_EUlSY_E_NS1_11comp_targetILNS1_3genE9ELNS1_11target_archE1100ELNS1_3gpuE3ELNS1_3repE0EEENS1_30default_config_static_selectorELNS0_4arch9wavefront6targetE0EEEvT1_.private_seg_size, 0
	.set _ZN7rocprim17ROCPRIM_400000_NS6detail17trampoline_kernelINS0_14default_configENS1_27scan_by_key_config_selectorIifEEZZNS1_16scan_by_key_implILNS1_25lookback_scan_determinismE0ELb1ES3_N6thrust23THRUST_200600_302600_NS6detail15normal_iteratorINS9_10device_ptrIiEEEENSB_INSC_IjEEEENSB_INSC_IfEEEEfNS9_4plusIvEENS9_8equal_toIvEEfEE10hipError_tPvRmT2_T3_T4_T5_mT6_T7_P12ihipStream_tbENKUlT_T0_E_clISt17integral_constantIbLb0EES13_EEDaSY_SZ_EUlSY_E_NS1_11comp_targetILNS1_3genE9ELNS1_11target_archE1100ELNS1_3gpuE3ELNS1_3repE0EEENS1_30default_config_static_selectorELNS0_4arch9wavefront6targetE0EEEvT1_.uses_vcc, 0
	.set _ZN7rocprim17ROCPRIM_400000_NS6detail17trampoline_kernelINS0_14default_configENS1_27scan_by_key_config_selectorIifEEZZNS1_16scan_by_key_implILNS1_25lookback_scan_determinismE0ELb1ES3_N6thrust23THRUST_200600_302600_NS6detail15normal_iteratorINS9_10device_ptrIiEEEENSB_INSC_IjEEEENSB_INSC_IfEEEEfNS9_4plusIvEENS9_8equal_toIvEEfEE10hipError_tPvRmT2_T3_T4_T5_mT6_T7_P12ihipStream_tbENKUlT_T0_E_clISt17integral_constantIbLb0EES13_EEDaSY_SZ_EUlSY_E_NS1_11comp_targetILNS1_3genE9ELNS1_11target_archE1100ELNS1_3gpuE3ELNS1_3repE0EEENS1_30default_config_static_selectorELNS0_4arch9wavefront6targetE0EEEvT1_.uses_flat_scratch, 0
	.set _ZN7rocprim17ROCPRIM_400000_NS6detail17trampoline_kernelINS0_14default_configENS1_27scan_by_key_config_selectorIifEEZZNS1_16scan_by_key_implILNS1_25lookback_scan_determinismE0ELb1ES3_N6thrust23THRUST_200600_302600_NS6detail15normal_iteratorINS9_10device_ptrIiEEEENSB_INSC_IjEEEENSB_INSC_IfEEEEfNS9_4plusIvEENS9_8equal_toIvEEfEE10hipError_tPvRmT2_T3_T4_T5_mT6_T7_P12ihipStream_tbENKUlT_T0_E_clISt17integral_constantIbLb0EES13_EEDaSY_SZ_EUlSY_E_NS1_11comp_targetILNS1_3genE9ELNS1_11target_archE1100ELNS1_3gpuE3ELNS1_3repE0EEENS1_30default_config_static_selectorELNS0_4arch9wavefront6targetE0EEEvT1_.has_dyn_sized_stack, 0
	.set _ZN7rocprim17ROCPRIM_400000_NS6detail17trampoline_kernelINS0_14default_configENS1_27scan_by_key_config_selectorIifEEZZNS1_16scan_by_key_implILNS1_25lookback_scan_determinismE0ELb1ES3_N6thrust23THRUST_200600_302600_NS6detail15normal_iteratorINS9_10device_ptrIiEEEENSB_INSC_IjEEEENSB_INSC_IfEEEEfNS9_4plusIvEENS9_8equal_toIvEEfEE10hipError_tPvRmT2_T3_T4_T5_mT6_T7_P12ihipStream_tbENKUlT_T0_E_clISt17integral_constantIbLb0EES13_EEDaSY_SZ_EUlSY_E_NS1_11comp_targetILNS1_3genE9ELNS1_11target_archE1100ELNS1_3gpuE3ELNS1_3repE0EEENS1_30default_config_static_selectorELNS0_4arch9wavefront6targetE0EEEvT1_.has_recursion, 0
	.set _ZN7rocprim17ROCPRIM_400000_NS6detail17trampoline_kernelINS0_14default_configENS1_27scan_by_key_config_selectorIifEEZZNS1_16scan_by_key_implILNS1_25lookback_scan_determinismE0ELb1ES3_N6thrust23THRUST_200600_302600_NS6detail15normal_iteratorINS9_10device_ptrIiEEEENSB_INSC_IjEEEENSB_INSC_IfEEEEfNS9_4plusIvEENS9_8equal_toIvEEfEE10hipError_tPvRmT2_T3_T4_T5_mT6_T7_P12ihipStream_tbENKUlT_T0_E_clISt17integral_constantIbLb0EES13_EEDaSY_SZ_EUlSY_E_NS1_11comp_targetILNS1_3genE9ELNS1_11target_archE1100ELNS1_3gpuE3ELNS1_3repE0EEENS1_30default_config_static_selectorELNS0_4arch9wavefront6targetE0EEEvT1_.has_indirect_call, 0
	.section	.AMDGPU.csdata,"",@progbits
; Kernel info:
; codeLenInByte = 0
; TotalNumSgprs: 0
; NumVgprs: 0
; ScratchSize: 0
; MemoryBound: 0
; FloatMode: 240
; IeeeMode: 1
; LDSByteSize: 0 bytes/workgroup (compile time only)
; SGPRBlocks: 0
; VGPRBlocks: 0
; NumSGPRsForWavesPerEU: 1
; NumVGPRsForWavesPerEU: 1
; NamedBarCnt: 0
; Occupancy: 16
; WaveLimiterHint : 0
; COMPUTE_PGM_RSRC2:SCRATCH_EN: 0
; COMPUTE_PGM_RSRC2:USER_SGPR: 2
; COMPUTE_PGM_RSRC2:TRAP_HANDLER: 0
; COMPUTE_PGM_RSRC2:TGID_X_EN: 1
; COMPUTE_PGM_RSRC2:TGID_Y_EN: 0
; COMPUTE_PGM_RSRC2:TGID_Z_EN: 0
; COMPUTE_PGM_RSRC2:TIDIG_COMP_CNT: 0
	.section	.text._ZN7rocprim17ROCPRIM_400000_NS6detail17trampoline_kernelINS0_14default_configENS1_27scan_by_key_config_selectorIifEEZZNS1_16scan_by_key_implILNS1_25lookback_scan_determinismE0ELb1ES3_N6thrust23THRUST_200600_302600_NS6detail15normal_iteratorINS9_10device_ptrIiEEEENSB_INSC_IjEEEENSB_INSC_IfEEEEfNS9_4plusIvEENS9_8equal_toIvEEfEE10hipError_tPvRmT2_T3_T4_T5_mT6_T7_P12ihipStream_tbENKUlT_T0_E_clISt17integral_constantIbLb0EES13_EEDaSY_SZ_EUlSY_E_NS1_11comp_targetILNS1_3genE8ELNS1_11target_archE1030ELNS1_3gpuE2ELNS1_3repE0EEENS1_30default_config_static_selectorELNS0_4arch9wavefront6targetE0EEEvT1_,"axG",@progbits,_ZN7rocprim17ROCPRIM_400000_NS6detail17trampoline_kernelINS0_14default_configENS1_27scan_by_key_config_selectorIifEEZZNS1_16scan_by_key_implILNS1_25lookback_scan_determinismE0ELb1ES3_N6thrust23THRUST_200600_302600_NS6detail15normal_iteratorINS9_10device_ptrIiEEEENSB_INSC_IjEEEENSB_INSC_IfEEEEfNS9_4plusIvEENS9_8equal_toIvEEfEE10hipError_tPvRmT2_T3_T4_T5_mT6_T7_P12ihipStream_tbENKUlT_T0_E_clISt17integral_constantIbLb0EES13_EEDaSY_SZ_EUlSY_E_NS1_11comp_targetILNS1_3genE8ELNS1_11target_archE1030ELNS1_3gpuE2ELNS1_3repE0EEENS1_30default_config_static_selectorELNS0_4arch9wavefront6targetE0EEEvT1_,comdat
	.protected	_ZN7rocprim17ROCPRIM_400000_NS6detail17trampoline_kernelINS0_14default_configENS1_27scan_by_key_config_selectorIifEEZZNS1_16scan_by_key_implILNS1_25lookback_scan_determinismE0ELb1ES3_N6thrust23THRUST_200600_302600_NS6detail15normal_iteratorINS9_10device_ptrIiEEEENSB_INSC_IjEEEENSB_INSC_IfEEEEfNS9_4plusIvEENS9_8equal_toIvEEfEE10hipError_tPvRmT2_T3_T4_T5_mT6_T7_P12ihipStream_tbENKUlT_T0_E_clISt17integral_constantIbLb0EES13_EEDaSY_SZ_EUlSY_E_NS1_11comp_targetILNS1_3genE8ELNS1_11target_archE1030ELNS1_3gpuE2ELNS1_3repE0EEENS1_30default_config_static_selectorELNS0_4arch9wavefront6targetE0EEEvT1_ ; -- Begin function _ZN7rocprim17ROCPRIM_400000_NS6detail17trampoline_kernelINS0_14default_configENS1_27scan_by_key_config_selectorIifEEZZNS1_16scan_by_key_implILNS1_25lookback_scan_determinismE0ELb1ES3_N6thrust23THRUST_200600_302600_NS6detail15normal_iteratorINS9_10device_ptrIiEEEENSB_INSC_IjEEEENSB_INSC_IfEEEEfNS9_4plusIvEENS9_8equal_toIvEEfEE10hipError_tPvRmT2_T3_T4_T5_mT6_T7_P12ihipStream_tbENKUlT_T0_E_clISt17integral_constantIbLb0EES13_EEDaSY_SZ_EUlSY_E_NS1_11comp_targetILNS1_3genE8ELNS1_11target_archE1030ELNS1_3gpuE2ELNS1_3repE0EEENS1_30default_config_static_selectorELNS0_4arch9wavefront6targetE0EEEvT1_
	.globl	_ZN7rocprim17ROCPRIM_400000_NS6detail17trampoline_kernelINS0_14default_configENS1_27scan_by_key_config_selectorIifEEZZNS1_16scan_by_key_implILNS1_25lookback_scan_determinismE0ELb1ES3_N6thrust23THRUST_200600_302600_NS6detail15normal_iteratorINS9_10device_ptrIiEEEENSB_INSC_IjEEEENSB_INSC_IfEEEEfNS9_4plusIvEENS9_8equal_toIvEEfEE10hipError_tPvRmT2_T3_T4_T5_mT6_T7_P12ihipStream_tbENKUlT_T0_E_clISt17integral_constantIbLb0EES13_EEDaSY_SZ_EUlSY_E_NS1_11comp_targetILNS1_3genE8ELNS1_11target_archE1030ELNS1_3gpuE2ELNS1_3repE0EEENS1_30default_config_static_selectorELNS0_4arch9wavefront6targetE0EEEvT1_
	.p2align	8
	.type	_ZN7rocprim17ROCPRIM_400000_NS6detail17trampoline_kernelINS0_14default_configENS1_27scan_by_key_config_selectorIifEEZZNS1_16scan_by_key_implILNS1_25lookback_scan_determinismE0ELb1ES3_N6thrust23THRUST_200600_302600_NS6detail15normal_iteratorINS9_10device_ptrIiEEEENSB_INSC_IjEEEENSB_INSC_IfEEEEfNS9_4plusIvEENS9_8equal_toIvEEfEE10hipError_tPvRmT2_T3_T4_T5_mT6_T7_P12ihipStream_tbENKUlT_T0_E_clISt17integral_constantIbLb0EES13_EEDaSY_SZ_EUlSY_E_NS1_11comp_targetILNS1_3genE8ELNS1_11target_archE1030ELNS1_3gpuE2ELNS1_3repE0EEENS1_30default_config_static_selectorELNS0_4arch9wavefront6targetE0EEEvT1_,@function
_ZN7rocprim17ROCPRIM_400000_NS6detail17trampoline_kernelINS0_14default_configENS1_27scan_by_key_config_selectorIifEEZZNS1_16scan_by_key_implILNS1_25lookback_scan_determinismE0ELb1ES3_N6thrust23THRUST_200600_302600_NS6detail15normal_iteratorINS9_10device_ptrIiEEEENSB_INSC_IjEEEENSB_INSC_IfEEEEfNS9_4plusIvEENS9_8equal_toIvEEfEE10hipError_tPvRmT2_T3_T4_T5_mT6_T7_P12ihipStream_tbENKUlT_T0_E_clISt17integral_constantIbLb0EES13_EEDaSY_SZ_EUlSY_E_NS1_11comp_targetILNS1_3genE8ELNS1_11target_archE1030ELNS1_3gpuE2ELNS1_3repE0EEENS1_30default_config_static_selectorELNS0_4arch9wavefront6targetE0EEEvT1_: ; @_ZN7rocprim17ROCPRIM_400000_NS6detail17trampoline_kernelINS0_14default_configENS1_27scan_by_key_config_selectorIifEEZZNS1_16scan_by_key_implILNS1_25lookback_scan_determinismE0ELb1ES3_N6thrust23THRUST_200600_302600_NS6detail15normal_iteratorINS9_10device_ptrIiEEEENSB_INSC_IjEEEENSB_INSC_IfEEEEfNS9_4plusIvEENS9_8equal_toIvEEfEE10hipError_tPvRmT2_T3_T4_T5_mT6_T7_P12ihipStream_tbENKUlT_T0_E_clISt17integral_constantIbLb0EES13_EEDaSY_SZ_EUlSY_E_NS1_11comp_targetILNS1_3genE8ELNS1_11target_archE1030ELNS1_3gpuE2ELNS1_3repE0EEENS1_30default_config_static_selectorELNS0_4arch9wavefront6targetE0EEEvT1_
; %bb.0:
	.section	.rodata,"a",@progbits
	.p2align	6, 0x0
	.amdhsa_kernel _ZN7rocprim17ROCPRIM_400000_NS6detail17trampoline_kernelINS0_14default_configENS1_27scan_by_key_config_selectorIifEEZZNS1_16scan_by_key_implILNS1_25lookback_scan_determinismE0ELb1ES3_N6thrust23THRUST_200600_302600_NS6detail15normal_iteratorINS9_10device_ptrIiEEEENSB_INSC_IjEEEENSB_INSC_IfEEEEfNS9_4plusIvEENS9_8equal_toIvEEfEE10hipError_tPvRmT2_T3_T4_T5_mT6_T7_P12ihipStream_tbENKUlT_T0_E_clISt17integral_constantIbLb0EES13_EEDaSY_SZ_EUlSY_E_NS1_11comp_targetILNS1_3genE8ELNS1_11target_archE1030ELNS1_3gpuE2ELNS1_3repE0EEENS1_30default_config_static_selectorELNS0_4arch9wavefront6targetE0EEEvT1_
		.amdhsa_group_segment_fixed_size 0
		.amdhsa_private_segment_fixed_size 0
		.amdhsa_kernarg_size 112
		.amdhsa_user_sgpr_count 2
		.amdhsa_user_sgpr_dispatch_ptr 0
		.amdhsa_user_sgpr_queue_ptr 0
		.amdhsa_user_sgpr_kernarg_segment_ptr 1
		.amdhsa_user_sgpr_dispatch_id 0
		.amdhsa_user_sgpr_kernarg_preload_length 0
		.amdhsa_user_sgpr_kernarg_preload_offset 0
		.amdhsa_user_sgpr_private_segment_size 0
		.amdhsa_wavefront_size32 1
		.amdhsa_uses_dynamic_stack 0
		.amdhsa_enable_private_segment 0
		.amdhsa_system_sgpr_workgroup_id_x 1
		.amdhsa_system_sgpr_workgroup_id_y 0
		.amdhsa_system_sgpr_workgroup_id_z 0
		.amdhsa_system_sgpr_workgroup_info 0
		.amdhsa_system_vgpr_workitem_id 0
		.amdhsa_next_free_vgpr 1
		.amdhsa_next_free_sgpr 1
		.amdhsa_named_barrier_count 0
		.amdhsa_reserve_vcc 0
		.amdhsa_float_round_mode_32 0
		.amdhsa_float_round_mode_16_64 0
		.amdhsa_float_denorm_mode_32 3
		.amdhsa_float_denorm_mode_16_64 3
		.amdhsa_fp16_overflow 0
		.amdhsa_memory_ordered 1
		.amdhsa_forward_progress 1
		.amdhsa_inst_pref_size 0
		.amdhsa_round_robin_scheduling 0
		.amdhsa_exception_fp_ieee_invalid_op 0
		.amdhsa_exception_fp_denorm_src 0
		.amdhsa_exception_fp_ieee_div_zero 0
		.amdhsa_exception_fp_ieee_overflow 0
		.amdhsa_exception_fp_ieee_underflow 0
		.amdhsa_exception_fp_ieee_inexact 0
		.amdhsa_exception_int_div_zero 0
	.end_amdhsa_kernel
	.section	.text._ZN7rocprim17ROCPRIM_400000_NS6detail17trampoline_kernelINS0_14default_configENS1_27scan_by_key_config_selectorIifEEZZNS1_16scan_by_key_implILNS1_25lookback_scan_determinismE0ELb1ES3_N6thrust23THRUST_200600_302600_NS6detail15normal_iteratorINS9_10device_ptrIiEEEENSB_INSC_IjEEEENSB_INSC_IfEEEEfNS9_4plusIvEENS9_8equal_toIvEEfEE10hipError_tPvRmT2_T3_T4_T5_mT6_T7_P12ihipStream_tbENKUlT_T0_E_clISt17integral_constantIbLb0EES13_EEDaSY_SZ_EUlSY_E_NS1_11comp_targetILNS1_3genE8ELNS1_11target_archE1030ELNS1_3gpuE2ELNS1_3repE0EEENS1_30default_config_static_selectorELNS0_4arch9wavefront6targetE0EEEvT1_,"axG",@progbits,_ZN7rocprim17ROCPRIM_400000_NS6detail17trampoline_kernelINS0_14default_configENS1_27scan_by_key_config_selectorIifEEZZNS1_16scan_by_key_implILNS1_25lookback_scan_determinismE0ELb1ES3_N6thrust23THRUST_200600_302600_NS6detail15normal_iteratorINS9_10device_ptrIiEEEENSB_INSC_IjEEEENSB_INSC_IfEEEEfNS9_4plusIvEENS9_8equal_toIvEEfEE10hipError_tPvRmT2_T3_T4_T5_mT6_T7_P12ihipStream_tbENKUlT_T0_E_clISt17integral_constantIbLb0EES13_EEDaSY_SZ_EUlSY_E_NS1_11comp_targetILNS1_3genE8ELNS1_11target_archE1030ELNS1_3gpuE2ELNS1_3repE0EEENS1_30default_config_static_selectorELNS0_4arch9wavefront6targetE0EEEvT1_,comdat
.Lfunc_end1688:
	.size	_ZN7rocprim17ROCPRIM_400000_NS6detail17trampoline_kernelINS0_14default_configENS1_27scan_by_key_config_selectorIifEEZZNS1_16scan_by_key_implILNS1_25lookback_scan_determinismE0ELb1ES3_N6thrust23THRUST_200600_302600_NS6detail15normal_iteratorINS9_10device_ptrIiEEEENSB_INSC_IjEEEENSB_INSC_IfEEEEfNS9_4plusIvEENS9_8equal_toIvEEfEE10hipError_tPvRmT2_T3_T4_T5_mT6_T7_P12ihipStream_tbENKUlT_T0_E_clISt17integral_constantIbLb0EES13_EEDaSY_SZ_EUlSY_E_NS1_11comp_targetILNS1_3genE8ELNS1_11target_archE1030ELNS1_3gpuE2ELNS1_3repE0EEENS1_30default_config_static_selectorELNS0_4arch9wavefront6targetE0EEEvT1_, .Lfunc_end1688-_ZN7rocprim17ROCPRIM_400000_NS6detail17trampoline_kernelINS0_14default_configENS1_27scan_by_key_config_selectorIifEEZZNS1_16scan_by_key_implILNS1_25lookback_scan_determinismE0ELb1ES3_N6thrust23THRUST_200600_302600_NS6detail15normal_iteratorINS9_10device_ptrIiEEEENSB_INSC_IjEEEENSB_INSC_IfEEEEfNS9_4plusIvEENS9_8equal_toIvEEfEE10hipError_tPvRmT2_T3_T4_T5_mT6_T7_P12ihipStream_tbENKUlT_T0_E_clISt17integral_constantIbLb0EES13_EEDaSY_SZ_EUlSY_E_NS1_11comp_targetILNS1_3genE8ELNS1_11target_archE1030ELNS1_3gpuE2ELNS1_3repE0EEENS1_30default_config_static_selectorELNS0_4arch9wavefront6targetE0EEEvT1_
                                        ; -- End function
	.set _ZN7rocprim17ROCPRIM_400000_NS6detail17trampoline_kernelINS0_14default_configENS1_27scan_by_key_config_selectorIifEEZZNS1_16scan_by_key_implILNS1_25lookback_scan_determinismE0ELb1ES3_N6thrust23THRUST_200600_302600_NS6detail15normal_iteratorINS9_10device_ptrIiEEEENSB_INSC_IjEEEENSB_INSC_IfEEEEfNS9_4plusIvEENS9_8equal_toIvEEfEE10hipError_tPvRmT2_T3_T4_T5_mT6_T7_P12ihipStream_tbENKUlT_T0_E_clISt17integral_constantIbLb0EES13_EEDaSY_SZ_EUlSY_E_NS1_11comp_targetILNS1_3genE8ELNS1_11target_archE1030ELNS1_3gpuE2ELNS1_3repE0EEENS1_30default_config_static_selectorELNS0_4arch9wavefront6targetE0EEEvT1_.num_vgpr, 0
	.set _ZN7rocprim17ROCPRIM_400000_NS6detail17trampoline_kernelINS0_14default_configENS1_27scan_by_key_config_selectorIifEEZZNS1_16scan_by_key_implILNS1_25lookback_scan_determinismE0ELb1ES3_N6thrust23THRUST_200600_302600_NS6detail15normal_iteratorINS9_10device_ptrIiEEEENSB_INSC_IjEEEENSB_INSC_IfEEEEfNS9_4plusIvEENS9_8equal_toIvEEfEE10hipError_tPvRmT2_T3_T4_T5_mT6_T7_P12ihipStream_tbENKUlT_T0_E_clISt17integral_constantIbLb0EES13_EEDaSY_SZ_EUlSY_E_NS1_11comp_targetILNS1_3genE8ELNS1_11target_archE1030ELNS1_3gpuE2ELNS1_3repE0EEENS1_30default_config_static_selectorELNS0_4arch9wavefront6targetE0EEEvT1_.num_agpr, 0
	.set _ZN7rocprim17ROCPRIM_400000_NS6detail17trampoline_kernelINS0_14default_configENS1_27scan_by_key_config_selectorIifEEZZNS1_16scan_by_key_implILNS1_25lookback_scan_determinismE0ELb1ES3_N6thrust23THRUST_200600_302600_NS6detail15normal_iteratorINS9_10device_ptrIiEEEENSB_INSC_IjEEEENSB_INSC_IfEEEEfNS9_4plusIvEENS9_8equal_toIvEEfEE10hipError_tPvRmT2_T3_T4_T5_mT6_T7_P12ihipStream_tbENKUlT_T0_E_clISt17integral_constantIbLb0EES13_EEDaSY_SZ_EUlSY_E_NS1_11comp_targetILNS1_3genE8ELNS1_11target_archE1030ELNS1_3gpuE2ELNS1_3repE0EEENS1_30default_config_static_selectorELNS0_4arch9wavefront6targetE0EEEvT1_.numbered_sgpr, 0
	.set _ZN7rocprim17ROCPRIM_400000_NS6detail17trampoline_kernelINS0_14default_configENS1_27scan_by_key_config_selectorIifEEZZNS1_16scan_by_key_implILNS1_25lookback_scan_determinismE0ELb1ES3_N6thrust23THRUST_200600_302600_NS6detail15normal_iteratorINS9_10device_ptrIiEEEENSB_INSC_IjEEEENSB_INSC_IfEEEEfNS9_4plusIvEENS9_8equal_toIvEEfEE10hipError_tPvRmT2_T3_T4_T5_mT6_T7_P12ihipStream_tbENKUlT_T0_E_clISt17integral_constantIbLb0EES13_EEDaSY_SZ_EUlSY_E_NS1_11comp_targetILNS1_3genE8ELNS1_11target_archE1030ELNS1_3gpuE2ELNS1_3repE0EEENS1_30default_config_static_selectorELNS0_4arch9wavefront6targetE0EEEvT1_.num_named_barrier, 0
	.set _ZN7rocprim17ROCPRIM_400000_NS6detail17trampoline_kernelINS0_14default_configENS1_27scan_by_key_config_selectorIifEEZZNS1_16scan_by_key_implILNS1_25lookback_scan_determinismE0ELb1ES3_N6thrust23THRUST_200600_302600_NS6detail15normal_iteratorINS9_10device_ptrIiEEEENSB_INSC_IjEEEENSB_INSC_IfEEEEfNS9_4plusIvEENS9_8equal_toIvEEfEE10hipError_tPvRmT2_T3_T4_T5_mT6_T7_P12ihipStream_tbENKUlT_T0_E_clISt17integral_constantIbLb0EES13_EEDaSY_SZ_EUlSY_E_NS1_11comp_targetILNS1_3genE8ELNS1_11target_archE1030ELNS1_3gpuE2ELNS1_3repE0EEENS1_30default_config_static_selectorELNS0_4arch9wavefront6targetE0EEEvT1_.private_seg_size, 0
	.set _ZN7rocprim17ROCPRIM_400000_NS6detail17trampoline_kernelINS0_14default_configENS1_27scan_by_key_config_selectorIifEEZZNS1_16scan_by_key_implILNS1_25lookback_scan_determinismE0ELb1ES3_N6thrust23THRUST_200600_302600_NS6detail15normal_iteratorINS9_10device_ptrIiEEEENSB_INSC_IjEEEENSB_INSC_IfEEEEfNS9_4plusIvEENS9_8equal_toIvEEfEE10hipError_tPvRmT2_T3_T4_T5_mT6_T7_P12ihipStream_tbENKUlT_T0_E_clISt17integral_constantIbLb0EES13_EEDaSY_SZ_EUlSY_E_NS1_11comp_targetILNS1_3genE8ELNS1_11target_archE1030ELNS1_3gpuE2ELNS1_3repE0EEENS1_30default_config_static_selectorELNS0_4arch9wavefront6targetE0EEEvT1_.uses_vcc, 0
	.set _ZN7rocprim17ROCPRIM_400000_NS6detail17trampoline_kernelINS0_14default_configENS1_27scan_by_key_config_selectorIifEEZZNS1_16scan_by_key_implILNS1_25lookback_scan_determinismE0ELb1ES3_N6thrust23THRUST_200600_302600_NS6detail15normal_iteratorINS9_10device_ptrIiEEEENSB_INSC_IjEEEENSB_INSC_IfEEEEfNS9_4plusIvEENS9_8equal_toIvEEfEE10hipError_tPvRmT2_T3_T4_T5_mT6_T7_P12ihipStream_tbENKUlT_T0_E_clISt17integral_constantIbLb0EES13_EEDaSY_SZ_EUlSY_E_NS1_11comp_targetILNS1_3genE8ELNS1_11target_archE1030ELNS1_3gpuE2ELNS1_3repE0EEENS1_30default_config_static_selectorELNS0_4arch9wavefront6targetE0EEEvT1_.uses_flat_scratch, 0
	.set _ZN7rocprim17ROCPRIM_400000_NS6detail17trampoline_kernelINS0_14default_configENS1_27scan_by_key_config_selectorIifEEZZNS1_16scan_by_key_implILNS1_25lookback_scan_determinismE0ELb1ES3_N6thrust23THRUST_200600_302600_NS6detail15normal_iteratorINS9_10device_ptrIiEEEENSB_INSC_IjEEEENSB_INSC_IfEEEEfNS9_4plusIvEENS9_8equal_toIvEEfEE10hipError_tPvRmT2_T3_T4_T5_mT6_T7_P12ihipStream_tbENKUlT_T0_E_clISt17integral_constantIbLb0EES13_EEDaSY_SZ_EUlSY_E_NS1_11comp_targetILNS1_3genE8ELNS1_11target_archE1030ELNS1_3gpuE2ELNS1_3repE0EEENS1_30default_config_static_selectorELNS0_4arch9wavefront6targetE0EEEvT1_.has_dyn_sized_stack, 0
	.set _ZN7rocprim17ROCPRIM_400000_NS6detail17trampoline_kernelINS0_14default_configENS1_27scan_by_key_config_selectorIifEEZZNS1_16scan_by_key_implILNS1_25lookback_scan_determinismE0ELb1ES3_N6thrust23THRUST_200600_302600_NS6detail15normal_iteratorINS9_10device_ptrIiEEEENSB_INSC_IjEEEENSB_INSC_IfEEEEfNS9_4plusIvEENS9_8equal_toIvEEfEE10hipError_tPvRmT2_T3_T4_T5_mT6_T7_P12ihipStream_tbENKUlT_T0_E_clISt17integral_constantIbLb0EES13_EEDaSY_SZ_EUlSY_E_NS1_11comp_targetILNS1_3genE8ELNS1_11target_archE1030ELNS1_3gpuE2ELNS1_3repE0EEENS1_30default_config_static_selectorELNS0_4arch9wavefront6targetE0EEEvT1_.has_recursion, 0
	.set _ZN7rocprim17ROCPRIM_400000_NS6detail17trampoline_kernelINS0_14default_configENS1_27scan_by_key_config_selectorIifEEZZNS1_16scan_by_key_implILNS1_25lookback_scan_determinismE0ELb1ES3_N6thrust23THRUST_200600_302600_NS6detail15normal_iteratorINS9_10device_ptrIiEEEENSB_INSC_IjEEEENSB_INSC_IfEEEEfNS9_4plusIvEENS9_8equal_toIvEEfEE10hipError_tPvRmT2_T3_T4_T5_mT6_T7_P12ihipStream_tbENKUlT_T0_E_clISt17integral_constantIbLb0EES13_EEDaSY_SZ_EUlSY_E_NS1_11comp_targetILNS1_3genE8ELNS1_11target_archE1030ELNS1_3gpuE2ELNS1_3repE0EEENS1_30default_config_static_selectorELNS0_4arch9wavefront6targetE0EEEvT1_.has_indirect_call, 0
	.section	.AMDGPU.csdata,"",@progbits
; Kernel info:
; codeLenInByte = 0
; TotalNumSgprs: 0
; NumVgprs: 0
; ScratchSize: 0
; MemoryBound: 0
; FloatMode: 240
; IeeeMode: 1
; LDSByteSize: 0 bytes/workgroup (compile time only)
; SGPRBlocks: 0
; VGPRBlocks: 0
; NumSGPRsForWavesPerEU: 1
; NumVGPRsForWavesPerEU: 1
; NamedBarCnt: 0
; Occupancy: 16
; WaveLimiterHint : 0
; COMPUTE_PGM_RSRC2:SCRATCH_EN: 0
; COMPUTE_PGM_RSRC2:USER_SGPR: 2
; COMPUTE_PGM_RSRC2:TRAP_HANDLER: 0
; COMPUTE_PGM_RSRC2:TGID_X_EN: 1
; COMPUTE_PGM_RSRC2:TGID_Y_EN: 0
; COMPUTE_PGM_RSRC2:TGID_Z_EN: 0
; COMPUTE_PGM_RSRC2:TIDIG_COMP_CNT: 0
	.section	.text._ZN7rocprim17ROCPRIM_400000_NS6detail17trampoline_kernelINS0_14default_configENS1_27scan_by_key_config_selectorIifEEZZNS1_16scan_by_key_implILNS1_25lookback_scan_determinismE0ELb1ES3_N6thrust23THRUST_200600_302600_NS6detail15normal_iteratorINS9_10device_ptrIiEEEENSB_INSC_IjEEEENSB_INSC_IfEEEEfNS9_4plusIvEENS9_8equal_toIvEEfEE10hipError_tPvRmT2_T3_T4_T5_mT6_T7_P12ihipStream_tbENKUlT_T0_E_clISt17integral_constantIbLb1EES13_EEDaSY_SZ_EUlSY_E_NS1_11comp_targetILNS1_3genE0ELNS1_11target_archE4294967295ELNS1_3gpuE0ELNS1_3repE0EEENS1_30default_config_static_selectorELNS0_4arch9wavefront6targetE0EEEvT1_,"axG",@progbits,_ZN7rocprim17ROCPRIM_400000_NS6detail17trampoline_kernelINS0_14default_configENS1_27scan_by_key_config_selectorIifEEZZNS1_16scan_by_key_implILNS1_25lookback_scan_determinismE0ELb1ES3_N6thrust23THRUST_200600_302600_NS6detail15normal_iteratorINS9_10device_ptrIiEEEENSB_INSC_IjEEEENSB_INSC_IfEEEEfNS9_4plusIvEENS9_8equal_toIvEEfEE10hipError_tPvRmT2_T3_T4_T5_mT6_T7_P12ihipStream_tbENKUlT_T0_E_clISt17integral_constantIbLb1EES13_EEDaSY_SZ_EUlSY_E_NS1_11comp_targetILNS1_3genE0ELNS1_11target_archE4294967295ELNS1_3gpuE0ELNS1_3repE0EEENS1_30default_config_static_selectorELNS0_4arch9wavefront6targetE0EEEvT1_,comdat
	.protected	_ZN7rocprim17ROCPRIM_400000_NS6detail17trampoline_kernelINS0_14default_configENS1_27scan_by_key_config_selectorIifEEZZNS1_16scan_by_key_implILNS1_25lookback_scan_determinismE0ELb1ES3_N6thrust23THRUST_200600_302600_NS6detail15normal_iteratorINS9_10device_ptrIiEEEENSB_INSC_IjEEEENSB_INSC_IfEEEEfNS9_4plusIvEENS9_8equal_toIvEEfEE10hipError_tPvRmT2_T3_T4_T5_mT6_T7_P12ihipStream_tbENKUlT_T0_E_clISt17integral_constantIbLb1EES13_EEDaSY_SZ_EUlSY_E_NS1_11comp_targetILNS1_3genE0ELNS1_11target_archE4294967295ELNS1_3gpuE0ELNS1_3repE0EEENS1_30default_config_static_selectorELNS0_4arch9wavefront6targetE0EEEvT1_ ; -- Begin function _ZN7rocprim17ROCPRIM_400000_NS6detail17trampoline_kernelINS0_14default_configENS1_27scan_by_key_config_selectorIifEEZZNS1_16scan_by_key_implILNS1_25lookback_scan_determinismE0ELb1ES3_N6thrust23THRUST_200600_302600_NS6detail15normal_iteratorINS9_10device_ptrIiEEEENSB_INSC_IjEEEENSB_INSC_IfEEEEfNS9_4plusIvEENS9_8equal_toIvEEfEE10hipError_tPvRmT2_T3_T4_T5_mT6_T7_P12ihipStream_tbENKUlT_T0_E_clISt17integral_constantIbLb1EES13_EEDaSY_SZ_EUlSY_E_NS1_11comp_targetILNS1_3genE0ELNS1_11target_archE4294967295ELNS1_3gpuE0ELNS1_3repE0EEENS1_30default_config_static_selectorELNS0_4arch9wavefront6targetE0EEEvT1_
	.globl	_ZN7rocprim17ROCPRIM_400000_NS6detail17trampoline_kernelINS0_14default_configENS1_27scan_by_key_config_selectorIifEEZZNS1_16scan_by_key_implILNS1_25lookback_scan_determinismE0ELb1ES3_N6thrust23THRUST_200600_302600_NS6detail15normal_iteratorINS9_10device_ptrIiEEEENSB_INSC_IjEEEENSB_INSC_IfEEEEfNS9_4plusIvEENS9_8equal_toIvEEfEE10hipError_tPvRmT2_T3_T4_T5_mT6_T7_P12ihipStream_tbENKUlT_T0_E_clISt17integral_constantIbLb1EES13_EEDaSY_SZ_EUlSY_E_NS1_11comp_targetILNS1_3genE0ELNS1_11target_archE4294967295ELNS1_3gpuE0ELNS1_3repE0EEENS1_30default_config_static_selectorELNS0_4arch9wavefront6targetE0EEEvT1_
	.p2align	8
	.type	_ZN7rocprim17ROCPRIM_400000_NS6detail17trampoline_kernelINS0_14default_configENS1_27scan_by_key_config_selectorIifEEZZNS1_16scan_by_key_implILNS1_25lookback_scan_determinismE0ELb1ES3_N6thrust23THRUST_200600_302600_NS6detail15normal_iteratorINS9_10device_ptrIiEEEENSB_INSC_IjEEEENSB_INSC_IfEEEEfNS9_4plusIvEENS9_8equal_toIvEEfEE10hipError_tPvRmT2_T3_T4_T5_mT6_T7_P12ihipStream_tbENKUlT_T0_E_clISt17integral_constantIbLb1EES13_EEDaSY_SZ_EUlSY_E_NS1_11comp_targetILNS1_3genE0ELNS1_11target_archE4294967295ELNS1_3gpuE0ELNS1_3repE0EEENS1_30default_config_static_selectorELNS0_4arch9wavefront6targetE0EEEvT1_,@function
_ZN7rocprim17ROCPRIM_400000_NS6detail17trampoline_kernelINS0_14default_configENS1_27scan_by_key_config_selectorIifEEZZNS1_16scan_by_key_implILNS1_25lookback_scan_determinismE0ELb1ES3_N6thrust23THRUST_200600_302600_NS6detail15normal_iteratorINS9_10device_ptrIiEEEENSB_INSC_IjEEEENSB_INSC_IfEEEEfNS9_4plusIvEENS9_8equal_toIvEEfEE10hipError_tPvRmT2_T3_T4_T5_mT6_T7_P12ihipStream_tbENKUlT_T0_E_clISt17integral_constantIbLb1EES13_EEDaSY_SZ_EUlSY_E_NS1_11comp_targetILNS1_3genE0ELNS1_11target_archE4294967295ELNS1_3gpuE0ELNS1_3repE0EEENS1_30default_config_static_selectorELNS0_4arch9wavefront6targetE0EEEvT1_: ; @_ZN7rocprim17ROCPRIM_400000_NS6detail17trampoline_kernelINS0_14default_configENS1_27scan_by_key_config_selectorIifEEZZNS1_16scan_by_key_implILNS1_25lookback_scan_determinismE0ELb1ES3_N6thrust23THRUST_200600_302600_NS6detail15normal_iteratorINS9_10device_ptrIiEEEENSB_INSC_IjEEEENSB_INSC_IfEEEEfNS9_4plusIvEENS9_8equal_toIvEEfEE10hipError_tPvRmT2_T3_T4_T5_mT6_T7_P12ihipStream_tbENKUlT_T0_E_clISt17integral_constantIbLb1EES13_EEDaSY_SZ_EUlSY_E_NS1_11comp_targetILNS1_3genE0ELNS1_11target_archE4294967295ELNS1_3gpuE0ELNS1_3repE0EEENS1_30default_config_static_selectorELNS0_4arch9wavefront6targetE0EEEvT1_
; %bb.0:
	s_endpgm
	.section	.rodata,"a",@progbits
	.p2align	6, 0x0
	.amdhsa_kernel _ZN7rocprim17ROCPRIM_400000_NS6detail17trampoline_kernelINS0_14default_configENS1_27scan_by_key_config_selectorIifEEZZNS1_16scan_by_key_implILNS1_25lookback_scan_determinismE0ELb1ES3_N6thrust23THRUST_200600_302600_NS6detail15normal_iteratorINS9_10device_ptrIiEEEENSB_INSC_IjEEEENSB_INSC_IfEEEEfNS9_4plusIvEENS9_8equal_toIvEEfEE10hipError_tPvRmT2_T3_T4_T5_mT6_T7_P12ihipStream_tbENKUlT_T0_E_clISt17integral_constantIbLb1EES13_EEDaSY_SZ_EUlSY_E_NS1_11comp_targetILNS1_3genE0ELNS1_11target_archE4294967295ELNS1_3gpuE0ELNS1_3repE0EEENS1_30default_config_static_selectorELNS0_4arch9wavefront6targetE0EEEvT1_
		.amdhsa_group_segment_fixed_size 0
		.amdhsa_private_segment_fixed_size 0
		.amdhsa_kernarg_size 112
		.amdhsa_user_sgpr_count 2
		.amdhsa_user_sgpr_dispatch_ptr 0
		.amdhsa_user_sgpr_queue_ptr 0
		.amdhsa_user_sgpr_kernarg_segment_ptr 1
		.amdhsa_user_sgpr_dispatch_id 0
		.amdhsa_user_sgpr_kernarg_preload_length 0
		.amdhsa_user_sgpr_kernarg_preload_offset 0
		.amdhsa_user_sgpr_private_segment_size 0
		.amdhsa_wavefront_size32 1
		.amdhsa_uses_dynamic_stack 0
		.amdhsa_enable_private_segment 0
		.amdhsa_system_sgpr_workgroup_id_x 1
		.amdhsa_system_sgpr_workgroup_id_y 0
		.amdhsa_system_sgpr_workgroup_id_z 0
		.amdhsa_system_sgpr_workgroup_info 0
		.amdhsa_system_vgpr_workitem_id 0
		.amdhsa_next_free_vgpr 1
		.amdhsa_next_free_sgpr 1
		.amdhsa_named_barrier_count 0
		.amdhsa_reserve_vcc 0
		.amdhsa_float_round_mode_32 0
		.amdhsa_float_round_mode_16_64 0
		.amdhsa_float_denorm_mode_32 3
		.amdhsa_float_denorm_mode_16_64 3
		.amdhsa_fp16_overflow 0
		.amdhsa_memory_ordered 1
		.amdhsa_forward_progress 1
		.amdhsa_inst_pref_size 1
		.amdhsa_round_robin_scheduling 0
		.amdhsa_exception_fp_ieee_invalid_op 0
		.amdhsa_exception_fp_denorm_src 0
		.amdhsa_exception_fp_ieee_div_zero 0
		.amdhsa_exception_fp_ieee_overflow 0
		.amdhsa_exception_fp_ieee_underflow 0
		.amdhsa_exception_fp_ieee_inexact 0
		.amdhsa_exception_int_div_zero 0
	.end_amdhsa_kernel
	.section	.text._ZN7rocprim17ROCPRIM_400000_NS6detail17trampoline_kernelINS0_14default_configENS1_27scan_by_key_config_selectorIifEEZZNS1_16scan_by_key_implILNS1_25lookback_scan_determinismE0ELb1ES3_N6thrust23THRUST_200600_302600_NS6detail15normal_iteratorINS9_10device_ptrIiEEEENSB_INSC_IjEEEENSB_INSC_IfEEEEfNS9_4plusIvEENS9_8equal_toIvEEfEE10hipError_tPvRmT2_T3_T4_T5_mT6_T7_P12ihipStream_tbENKUlT_T0_E_clISt17integral_constantIbLb1EES13_EEDaSY_SZ_EUlSY_E_NS1_11comp_targetILNS1_3genE0ELNS1_11target_archE4294967295ELNS1_3gpuE0ELNS1_3repE0EEENS1_30default_config_static_selectorELNS0_4arch9wavefront6targetE0EEEvT1_,"axG",@progbits,_ZN7rocprim17ROCPRIM_400000_NS6detail17trampoline_kernelINS0_14default_configENS1_27scan_by_key_config_selectorIifEEZZNS1_16scan_by_key_implILNS1_25lookback_scan_determinismE0ELb1ES3_N6thrust23THRUST_200600_302600_NS6detail15normal_iteratorINS9_10device_ptrIiEEEENSB_INSC_IjEEEENSB_INSC_IfEEEEfNS9_4plusIvEENS9_8equal_toIvEEfEE10hipError_tPvRmT2_T3_T4_T5_mT6_T7_P12ihipStream_tbENKUlT_T0_E_clISt17integral_constantIbLb1EES13_EEDaSY_SZ_EUlSY_E_NS1_11comp_targetILNS1_3genE0ELNS1_11target_archE4294967295ELNS1_3gpuE0ELNS1_3repE0EEENS1_30default_config_static_selectorELNS0_4arch9wavefront6targetE0EEEvT1_,comdat
.Lfunc_end1689:
	.size	_ZN7rocprim17ROCPRIM_400000_NS6detail17trampoline_kernelINS0_14default_configENS1_27scan_by_key_config_selectorIifEEZZNS1_16scan_by_key_implILNS1_25lookback_scan_determinismE0ELb1ES3_N6thrust23THRUST_200600_302600_NS6detail15normal_iteratorINS9_10device_ptrIiEEEENSB_INSC_IjEEEENSB_INSC_IfEEEEfNS9_4plusIvEENS9_8equal_toIvEEfEE10hipError_tPvRmT2_T3_T4_T5_mT6_T7_P12ihipStream_tbENKUlT_T0_E_clISt17integral_constantIbLb1EES13_EEDaSY_SZ_EUlSY_E_NS1_11comp_targetILNS1_3genE0ELNS1_11target_archE4294967295ELNS1_3gpuE0ELNS1_3repE0EEENS1_30default_config_static_selectorELNS0_4arch9wavefront6targetE0EEEvT1_, .Lfunc_end1689-_ZN7rocprim17ROCPRIM_400000_NS6detail17trampoline_kernelINS0_14default_configENS1_27scan_by_key_config_selectorIifEEZZNS1_16scan_by_key_implILNS1_25lookback_scan_determinismE0ELb1ES3_N6thrust23THRUST_200600_302600_NS6detail15normal_iteratorINS9_10device_ptrIiEEEENSB_INSC_IjEEEENSB_INSC_IfEEEEfNS9_4plusIvEENS9_8equal_toIvEEfEE10hipError_tPvRmT2_T3_T4_T5_mT6_T7_P12ihipStream_tbENKUlT_T0_E_clISt17integral_constantIbLb1EES13_EEDaSY_SZ_EUlSY_E_NS1_11comp_targetILNS1_3genE0ELNS1_11target_archE4294967295ELNS1_3gpuE0ELNS1_3repE0EEENS1_30default_config_static_selectorELNS0_4arch9wavefront6targetE0EEEvT1_
                                        ; -- End function
	.set _ZN7rocprim17ROCPRIM_400000_NS6detail17trampoline_kernelINS0_14default_configENS1_27scan_by_key_config_selectorIifEEZZNS1_16scan_by_key_implILNS1_25lookback_scan_determinismE0ELb1ES3_N6thrust23THRUST_200600_302600_NS6detail15normal_iteratorINS9_10device_ptrIiEEEENSB_INSC_IjEEEENSB_INSC_IfEEEEfNS9_4plusIvEENS9_8equal_toIvEEfEE10hipError_tPvRmT2_T3_T4_T5_mT6_T7_P12ihipStream_tbENKUlT_T0_E_clISt17integral_constantIbLb1EES13_EEDaSY_SZ_EUlSY_E_NS1_11comp_targetILNS1_3genE0ELNS1_11target_archE4294967295ELNS1_3gpuE0ELNS1_3repE0EEENS1_30default_config_static_selectorELNS0_4arch9wavefront6targetE0EEEvT1_.num_vgpr, 0
	.set _ZN7rocprim17ROCPRIM_400000_NS6detail17trampoline_kernelINS0_14default_configENS1_27scan_by_key_config_selectorIifEEZZNS1_16scan_by_key_implILNS1_25lookback_scan_determinismE0ELb1ES3_N6thrust23THRUST_200600_302600_NS6detail15normal_iteratorINS9_10device_ptrIiEEEENSB_INSC_IjEEEENSB_INSC_IfEEEEfNS9_4plusIvEENS9_8equal_toIvEEfEE10hipError_tPvRmT2_T3_T4_T5_mT6_T7_P12ihipStream_tbENKUlT_T0_E_clISt17integral_constantIbLb1EES13_EEDaSY_SZ_EUlSY_E_NS1_11comp_targetILNS1_3genE0ELNS1_11target_archE4294967295ELNS1_3gpuE0ELNS1_3repE0EEENS1_30default_config_static_selectorELNS0_4arch9wavefront6targetE0EEEvT1_.num_agpr, 0
	.set _ZN7rocprim17ROCPRIM_400000_NS6detail17trampoline_kernelINS0_14default_configENS1_27scan_by_key_config_selectorIifEEZZNS1_16scan_by_key_implILNS1_25lookback_scan_determinismE0ELb1ES3_N6thrust23THRUST_200600_302600_NS6detail15normal_iteratorINS9_10device_ptrIiEEEENSB_INSC_IjEEEENSB_INSC_IfEEEEfNS9_4plusIvEENS9_8equal_toIvEEfEE10hipError_tPvRmT2_T3_T4_T5_mT6_T7_P12ihipStream_tbENKUlT_T0_E_clISt17integral_constantIbLb1EES13_EEDaSY_SZ_EUlSY_E_NS1_11comp_targetILNS1_3genE0ELNS1_11target_archE4294967295ELNS1_3gpuE0ELNS1_3repE0EEENS1_30default_config_static_selectorELNS0_4arch9wavefront6targetE0EEEvT1_.numbered_sgpr, 0
	.set _ZN7rocprim17ROCPRIM_400000_NS6detail17trampoline_kernelINS0_14default_configENS1_27scan_by_key_config_selectorIifEEZZNS1_16scan_by_key_implILNS1_25lookback_scan_determinismE0ELb1ES3_N6thrust23THRUST_200600_302600_NS6detail15normal_iteratorINS9_10device_ptrIiEEEENSB_INSC_IjEEEENSB_INSC_IfEEEEfNS9_4plusIvEENS9_8equal_toIvEEfEE10hipError_tPvRmT2_T3_T4_T5_mT6_T7_P12ihipStream_tbENKUlT_T0_E_clISt17integral_constantIbLb1EES13_EEDaSY_SZ_EUlSY_E_NS1_11comp_targetILNS1_3genE0ELNS1_11target_archE4294967295ELNS1_3gpuE0ELNS1_3repE0EEENS1_30default_config_static_selectorELNS0_4arch9wavefront6targetE0EEEvT1_.num_named_barrier, 0
	.set _ZN7rocprim17ROCPRIM_400000_NS6detail17trampoline_kernelINS0_14default_configENS1_27scan_by_key_config_selectorIifEEZZNS1_16scan_by_key_implILNS1_25lookback_scan_determinismE0ELb1ES3_N6thrust23THRUST_200600_302600_NS6detail15normal_iteratorINS9_10device_ptrIiEEEENSB_INSC_IjEEEENSB_INSC_IfEEEEfNS9_4plusIvEENS9_8equal_toIvEEfEE10hipError_tPvRmT2_T3_T4_T5_mT6_T7_P12ihipStream_tbENKUlT_T0_E_clISt17integral_constantIbLb1EES13_EEDaSY_SZ_EUlSY_E_NS1_11comp_targetILNS1_3genE0ELNS1_11target_archE4294967295ELNS1_3gpuE0ELNS1_3repE0EEENS1_30default_config_static_selectorELNS0_4arch9wavefront6targetE0EEEvT1_.private_seg_size, 0
	.set _ZN7rocprim17ROCPRIM_400000_NS6detail17trampoline_kernelINS0_14default_configENS1_27scan_by_key_config_selectorIifEEZZNS1_16scan_by_key_implILNS1_25lookback_scan_determinismE0ELb1ES3_N6thrust23THRUST_200600_302600_NS6detail15normal_iteratorINS9_10device_ptrIiEEEENSB_INSC_IjEEEENSB_INSC_IfEEEEfNS9_4plusIvEENS9_8equal_toIvEEfEE10hipError_tPvRmT2_T3_T4_T5_mT6_T7_P12ihipStream_tbENKUlT_T0_E_clISt17integral_constantIbLb1EES13_EEDaSY_SZ_EUlSY_E_NS1_11comp_targetILNS1_3genE0ELNS1_11target_archE4294967295ELNS1_3gpuE0ELNS1_3repE0EEENS1_30default_config_static_selectorELNS0_4arch9wavefront6targetE0EEEvT1_.uses_vcc, 0
	.set _ZN7rocprim17ROCPRIM_400000_NS6detail17trampoline_kernelINS0_14default_configENS1_27scan_by_key_config_selectorIifEEZZNS1_16scan_by_key_implILNS1_25lookback_scan_determinismE0ELb1ES3_N6thrust23THRUST_200600_302600_NS6detail15normal_iteratorINS9_10device_ptrIiEEEENSB_INSC_IjEEEENSB_INSC_IfEEEEfNS9_4plusIvEENS9_8equal_toIvEEfEE10hipError_tPvRmT2_T3_T4_T5_mT6_T7_P12ihipStream_tbENKUlT_T0_E_clISt17integral_constantIbLb1EES13_EEDaSY_SZ_EUlSY_E_NS1_11comp_targetILNS1_3genE0ELNS1_11target_archE4294967295ELNS1_3gpuE0ELNS1_3repE0EEENS1_30default_config_static_selectorELNS0_4arch9wavefront6targetE0EEEvT1_.uses_flat_scratch, 0
	.set _ZN7rocprim17ROCPRIM_400000_NS6detail17trampoline_kernelINS0_14default_configENS1_27scan_by_key_config_selectorIifEEZZNS1_16scan_by_key_implILNS1_25lookback_scan_determinismE0ELb1ES3_N6thrust23THRUST_200600_302600_NS6detail15normal_iteratorINS9_10device_ptrIiEEEENSB_INSC_IjEEEENSB_INSC_IfEEEEfNS9_4plusIvEENS9_8equal_toIvEEfEE10hipError_tPvRmT2_T3_T4_T5_mT6_T7_P12ihipStream_tbENKUlT_T0_E_clISt17integral_constantIbLb1EES13_EEDaSY_SZ_EUlSY_E_NS1_11comp_targetILNS1_3genE0ELNS1_11target_archE4294967295ELNS1_3gpuE0ELNS1_3repE0EEENS1_30default_config_static_selectorELNS0_4arch9wavefront6targetE0EEEvT1_.has_dyn_sized_stack, 0
	.set _ZN7rocprim17ROCPRIM_400000_NS6detail17trampoline_kernelINS0_14default_configENS1_27scan_by_key_config_selectorIifEEZZNS1_16scan_by_key_implILNS1_25lookback_scan_determinismE0ELb1ES3_N6thrust23THRUST_200600_302600_NS6detail15normal_iteratorINS9_10device_ptrIiEEEENSB_INSC_IjEEEENSB_INSC_IfEEEEfNS9_4plusIvEENS9_8equal_toIvEEfEE10hipError_tPvRmT2_T3_T4_T5_mT6_T7_P12ihipStream_tbENKUlT_T0_E_clISt17integral_constantIbLb1EES13_EEDaSY_SZ_EUlSY_E_NS1_11comp_targetILNS1_3genE0ELNS1_11target_archE4294967295ELNS1_3gpuE0ELNS1_3repE0EEENS1_30default_config_static_selectorELNS0_4arch9wavefront6targetE0EEEvT1_.has_recursion, 0
	.set _ZN7rocprim17ROCPRIM_400000_NS6detail17trampoline_kernelINS0_14default_configENS1_27scan_by_key_config_selectorIifEEZZNS1_16scan_by_key_implILNS1_25lookback_scan_determinismE0ELb1ES3_N6thrust23THRUST_200600_302600_NS6detail15normal_iteratorINS9_10device_ptrIiEEEENSB_INSC_IjEEEENSB_INSC_IfEEEEfNS9_4plusIvEENS9_8equal_toIvEEfEE10hipError_tPvRmT2_T3_T4_T5_mT6_T7_P12ihipStream_tbENKUlT_T0_E_clISt17integral_constantIbLb1EES13_EEDaSY_SZ_EUlSY_E_NS1_11comp_targetILNS1_3genE0ELNS1_11target_archE4294967295ELNS1_3gpuE0ELNS1_3repE0EEENS1_30default_config_static_selectorELNS0_4arch9wavefront6targetE0EEEvT1_.has_indirect_call, 0
	.section	.AMDGPU.csdata,"",@progbits
; Kernel info:
; codeLenInByte = 4
; TotalNumSgprs: 0
; NumVgprs: 0
; ScratchSize: 0
; MemoryBound: 0
; FloatMode: 240
; IeeeMode: 1
; LDSByteSize: 0 bytes/workgroup (compile time only)
; SGPRBlocks: 0
; VGPRBlocks: 0
; NumSGPRsForWavesPerEU: 1
; NumVGPRsForWavesPerEU: 1
; NamedBarCnt: 0
; Occupancy: 16
; WaveLimiterHint : 0
; COMPUTE_PGM_RSRC2:SCRATCH_EN: 0
; COMPUTE_PGM_RSRC2:USER_SGPR: 2
; COMPUTE_PGM_RSRC2:TRAP_HANDLER: 0
; COMPUTE_PGM_RSRC2:TGID_X_EN: 1
; COMPUTE_PGM_RSRC2:TGID_Y_EN: 0
; COMPUTE_PGM_RSRC2:TGID_Z_EN: 0
; COMPUTE_PGM_RSRC2:TIDIG_COMP_CNT: 0
	.section	.text._ZN7rocprim17ROCPRIM_400000_NS6detail17trampoline_kernelINS0_14default_configENS1_27scan_by_key_config_selectorIifEEZZNS1_16scan_by_key_implILNS1_25lookback_scan_determinismE0ELb1ES3_N6thrust23THRUST_200600_302600_NS6detail15normal_iteratorINS9_10device_ptrIiEEEENSB_INSC_IjEEEENSB_INSC_IfEEEEfNS9_4plusIvEENS9_8equal_toIvEEfEE10hipError_tPvRmT2_T3_T4_T5_mT6_T7_P12ihipStream_tbENKUlT_T0_E_clISt17integral_constantIbLb1EES13_EEDaSY_SZ_EUlSY_E_NS1_11comp_targetILNS1_3genE10ELNS1_11target_archE1201ELNS1_3gpuE5ELNS1_3repE0EEENS1_30default_config_static_selectorELNS0_4arch9wavefront6targetE0EEEvT1_,"axG",@progbits,_ZN7rocprim17ROCPRIM_400000_NS6detail17trampoline_kernelINS0_14default_configENS1_27scan_by_key_config_selectorIifEEZZNS1_16scan_by_key_implILNS1_25lookback_scan_determinismE0ELb1ES3_N6thrust23THRUST_200600_302600_NS6detail15normal_iteratorINS9_10device_ptrIiEEEENSB_INSC_IjEEEENSB_INSC_IfEEEEfNS9_4plusIvEENS9_8equal_toIvEEfEE10hipError_tPvRmT2_T3_T4_T5_mT6_T7_P12ihipStream_tbENKUlT_T0_E_clISt17integral_constantIbLb1EES13_EEDaSY_SZ_EUlSY_E_NS1_11comp_targetILNS1_3genE10ELNS1_11target_archE1201ELNS1_3gpuE5ELNS1_3repE0EEENS1_30default_config_static_selectorELNS0_4arch9wavefront6targetE0EEEvT1_,comdat
	.protected	_ZN7rocprim17ROCPRIM_400000_NS6detail17trampoline_kernelINS0_14default_configENS1_27scan_by_key_config_selectorIifEEZZNS1_16scan_by_key_implILNS1_25lookback_scan_determinismE0ELb1ES3_N6thrust23THRUST_200600_302600_NS6detail15normal_iteratorINS9_10device_ptrIiEEEENSB_INSC_IjEEEENSB_INSC_IfEEEEfNS9_4plusIvEENS9_8equal_toIvEEfEE10hipError_tPvRmT2_T3_T4_T5_mT6_T7_P12ihipStream_tbENKUlT_T0_E_clISt17integral_constantIbLb1EES13_EEDaSY_SZ_EUlSY_E_NS1_11comp_targetILNS1_3genE10ELNS1_11target_archE1201ELNS1_3gpuE5ELNS1_3repE0EEENS1_30default_config_static_selectorELNS0_4arch9wavefront6targetE0EEEvT1_ ; -- Begin function _ZN7rocprim17ROCPRIM_400000_NS6detail17trampoline_kernelINS0_14default_configENS1_27scan_by_key_config_selectorIifEEZZNS1_16scan_by_key_implILNS1_25lookback_scan_determinismE0ELb1ES3_N6thrust23THRUST_200600_302600_NS6detail15normal_iteratorINS9_10device_ptrIiEEEENSB_INSC_IjEEEENSB_INSC_IfEEEEfNS9_4plusIvEENS9_8equal_toIvEEfEE10hipError_tPvRmT2_T3_T4_T5_mT6_T7_P12ihipStream_tbENKUlT_T0_E_clISt17integral_constantIbLb1EES13_EEDaSY_SZ_EUlSY_E_NS1_11comp_targetILNS1_3genE10ELNS1_11target_archE1201ELNS1_3gpuE5ELNS1_3repE0EEENS1_30default_config_static_selectorELNS0_4arch9wavefront6targetE0EEEvT1_
	.globl	_ZN7rocprim17ROCPRIM_400000_NS6detail17trampoline_kernelINS0_14default_configENS1_27scan_by_key_config_selectorIifEEZZNS1_16scan_by_key_implILNS1_25lookback_scan_determinismE0ELb1ES3_N6thrust23THRUST_200600_302600_NS6detail15normal_iteratorINS9_10device_ptrIiEEEENSB_INSC_IjEEEENSB_INSC_IfEEEEfNS9_4plusIvEENS9_8equal_toIvEEfEE10hipError_tPvRmT2_T3_T4_T5_mT6_T7_P12ihipStream_tbENKUlT_T0_E_clISt17integral_constantIbLb1EES13_EEDaSY_SZ_EUlSY_E_NS1_11comp_targetILNS1_3genE10ELNS1_11target_archE1201ELNS1_3gpuE5ELNS1_3repE0EEENS1_30default_config_static_selectorELNS0_4arch9wavefront6targetE0EEEvT1_
	.p2align	8
	.type	_ZN7rocprim17ROCPRIM_400000_NS6detail17trampoline_kernelINS0_14default_configENS1_27scan_by_key_config_selectorIifEEZZNS1_16scan_by_key_implILNS1_25lookback_scan_determinismE0ELb1ES3_N6thrust23THRUST_200600_302600_NS6detail15normal_iteratorINS9_10device_ptrIiEEEENSB_INSC_IjEEEENSB_INSC_IfEEEEfNS9_4plusIvEENS9_8equal_toIvEEfEE10hipError_tPvRmT2_T3_T4_T5_mT6_T7_P12ihipStream_tbENKUlT_T0_E_clISt17integral_constantIbLb1EES13_EEDaSY_SZ_EUlSY_E_NS1_11comp_targetILNS1_3genE10ELNS1_11target_archE1201ELNS1_3gpuE5ELNS1_3repE0EEENS1_30default_config_static_selectorELNS0_4arch9wavefront6targetE0EEEvT1_,@function
_ZN7rocprim17ROCPRIM_400000_NS6detail17trampoline_kernelINS0_14default_configENS1_27scan_by_key_config_selectorIifEEZZNS1_16scan_by_key_implILNS1_25lookback_scan_determinismE0ELb1ES3_N6thrust23THRUST_200600_302600_NS6detail15normal_iteratorINS9_10device_ptrIiEEEENSB_INSC_IjEEEENSB_INSC_IfEEEEfNS9_4plusIvEENS9_8equal_toIvEEfEE10hipError_tPvRmT2_T3_T4_T5_mT6_T7_P12ihipStream_tbENKUlT_T0_E_clISt17integral_constantIbLb1EES13_EEDaSY_SZ_EUlSY_E_NS1_11comp_targetILNS1_3genE10ELNS1_11target_archE1201ELNS1_3gpuE5ELNS1_3repE0EEENS1_30default_config_static_selectorELNS0_4arch9wavefront6targetE0EEEvT1_: ; @_ZN7rocprim17ROCPRIM_400000_NS6detail17trampoline_kernelINS0_14default_configENS1_27scan_by_key_config_selectorIifEEZZNS1_16scan_by_key_implILNS1_25lookback_scan_determinismE0ELb1ES3_N6thrust23THRUST_200600_302600_NS6detail15normal_iteratorINS9_10device_ptrIiEEEENSB_INSC_IjEEEENSB_INSC_IfEEEEfNS9_4plusIvEENS9_8equal_toIvEEfEE10hipError_tPvRmT2_T3_T4_T5_mT6_T7_P12ihipStream_tbENKUlT_T0_E_clISt17integral_constantIbLb1EES13_EEDaSY_SZ_EUlSY_E_NS1_11comp_targetILNS1_3genE10ELNS1_11target_archE1201ELNS1_3gpuE5ELNS1_3repE0EEENS1_30default_config_static_selectorELNS0_4arch9wavefront6targetE0EEEvT1_
; %bb.0:
	.section	.rodata,"a",@progbits
	.p2align	6, 0x0
	.amdhsa_kernel _ZN7rocprim17ROCPRIM_400000_NS6detail17trampoline_kernelINS0_14default_configENS1_27scan_by_key_config_selectorIifEEZZNS1_16scan_by_key_implILNS1_25lookback_scan_determinismE0ELb1ES3_N6thrust23THRUST_200600_302600_NS6detail15normal_iteratorINS9_10device_ptrIiEEEENSB_INSC_IjEEEENSB_INSC_IfEEEEfNS9_4plusIvEENS9_8equal_toIvEEfEE10hipError_tPvRmT2_T3_T4_T5_mT6_T7_P12ihipStream_tbENKUlT_T0_E_clISt17integral_constantIbLb1EES13_EEDaSY_SZ_EUlSY_E_NS1_11comp_targetILNS1_3genE10ELNS1_11target_archE1201ELNS1_3gpuE5ELNS1_3repE0EEENS1_30default_config_static_selectorELNS0_4arch9wavefront6targetE0EEEvT1_
		.amdhsa_group_segment_fixed_size 0
		.amdhsa_private_segment_fixed_size 0
		.amdhsa_kernarg_size 112
		.amdhsa_user_sgpr_count 2
		.amdhsa_user_sgpr_dispatch_ptr 0
		.amdhsa_user_sgpr_queue_ptr 0
		.amdhsa_user_sgpr_kernarg_segment_ptr 1
		.amdhsa_user_sgpr_dispatch_id 0
		.amdhsa_user_sgpr_kernarg_preload_length 0
		.amdhsa_user_sgpr_kernarg_preload_offset 0
		.amdhsa_user_sgpr_private_segment_size 0
		.amdhsa_wavefront_size32 1
		.amdhsa_uses_dynamic_stack 0
		.amdhsa_enable_private_segment 0
		.amdhsa_system_sgpr_workgroup_id_x 1
		.amdhsa_system_sgpr_workgroup_id_y 0
		.amdhsa_system_sgpr_workgroup_id_z 0
		.amdhsa_system_sgpr_workgroup_info 0
		.amdhsa_system_vgpr_workitem_id 0
		.amdhsa_next_free_vgpr 1
		.amdhsa_next_free_sgpr 1
		.amdhsa_named_barrier_count 0
		.amdhsa_reserve_vcc 0
		.amdhsa_float_round_mode_32 0
		.amdhsa_float_round_mode_16_64 0
		.amdhsa_float_denorm_mode_32 3
		.amdhsa_float_denorm_mode_16_64 3
		.amdhsa_fp16_overflow 0
		.amdhsa_memory_ordered 1
		.amdhsa_forward_progress 1
		.amdhsa_inst_pref_size 0
		.amdhsa_round_robin_scheduling 0
		.amdhsa_exception_fp_ieee_invalid_op 0
		.amdhsa_exception_fp_denorm_src 0
		.amdhsa_exception_fp_ieee_div_zero 0
		.amdhsa_exception_fp_ieee_overflow 0
		.amdhsa_exception_fp_ieee_underflow 0
		.amdhsa_exception_fp_ieee_inexact 0
		.amdhsa_exception_int_div_zero 0
	.end_amdhsa_kernel
	.section	.text._ZN7rocprim17ROCPRIM_400000_NS6detail17trampoline_kernelINS0_14default_configENS1_27scan_by_key_config_selectorIifEEZZNS1_16scan_by_key_implILNS1_25lookback_scan_determinismE0ELb1ES3_N6thrust23THRUST_200600_302600_NS6detail15normal_iteratorINS9_10device_ptrIiEEEENSB_INSC_IjEEEENSB_INSC_IfEEEEfNS9_4plusIvEENS9_8equal_toIvEEfEE10hipError_tPvRmT2_T3_T4_T5_mT6_T7_P12ihipStream_tbENKUlT_T0_E_clISt17integral_constantIbLb1EES13_EEDaSY_SZ_EUlSY_E_NS1_11comp_targetILNS1_3genE10ELNS1_11target_archE1201ELNS1_3gpuE5ELNS1_3repE0EEENS1_30default_config_static_selectorELNS0_4arch9wavefront6targetE0EEEvT1_,"axG",@progbits,_ZN7rocprim17ROCPRIM_400000_NS6detail17trampoline_kernelINS0_14default_configENS1_27scan_by_key_config_selectorIifEEZZNS1_16scan_by_key_implILNS1_25lookback_scan_determinismE0ELb1ES3_N6thrust23THRUST_200600_302600_NS6detail15normal_iteratorINS9_10device_ptrIiEEEENSB_INSC_IjEEEENSB_INSC_IfEEEEfNS9_4plusIvEENS9_8equal_toIvEEfEE10hipError_tPvRmT2_T3_T4_T5_mT6_T7_P12ihipStream_tbENKUlT_T0_E_clISt17integral_constantIbLb1EES13_EEDaSY_SZ_EUlSY_E_NS1_11comp_targetILNS1_3genE10ELNS1_11target_archE1201ELNS1_3gpuE5ELNS1_3repE0EEENS1_30default_config_static_selectorELNS0_4arch9wavefront6targetE0EEEvT1_,comdat
.Lfunc_end1690:
	.size	_ZN7rocprim17ROCPRIM_400000_NS6detail17trampoline_kernelINS0_14default_configENS1_27scan_by_key_config_selectorIifEEZZNS1_16scan_by_key_implILNS1_25lookback_scan_determinismE0ELb1ES3_N6thrust23THRUST_200600_302600_NS6detail15normal_iteratorINS9_10device_ptrIiEEEENSB_INSC_IjEEEENSB_INSC_IfEEEEfNS9_4plusIvEENS9_8equal_toIvEEfEE10hipError_tPvRmT2_T3_T4_T5_mT6_T7_P12ihipStream_tbENKUlT_T0_E_clISt17integral_constantIbLb1EES13_EEDaSY_SZ_EUlSY_E_NS1_11comp_targetILNS1_3genE10ELNS1_11target_archE1201ELNS1_3gpuE5ELNS1_3repE0EEENS1_30default_config_static_selectorELNS0_4arch9wavefront6targetE0EEEvT1_, .Lfunc_end1690-_ZN7rocprim17ROCPRIM_400000_NS6detail17trampoline_kernelINS0_14default_configENS1_27scan_by_key_config_selectorIifEEZZNS1_16scan_by_key_implILNS1_25lookback_scan_determinismE0ELb1ES3_N6thrust23THRUST_200600_302600_NS6detail15normal_iteratorINS9_10device_ptrIiEEEENSB_INSC_IjEEEENSB_INSC_IfEEEEfNS9_4plusIvEENS9_8equal_toIvEEfEE10hipError_tPvRmT2_T3_T4_T5_mT6_T7_P12ihipStream_tbENKUlT_T0_E_clISt17integral_constantIbLb1EES13_EEDaSY_SZ_EUlSY_E_NS1_11comp_targetILNS1_3genE10ELNS1_11target_archE1201ELNS1_3gpuE5ELNS1_3repE0EEENS1_30default_config_static_selectorELNS0_4arch9wavefront6targetE0EEEvT1_
                                        ; -- End function
	.set _ZN7rocprim17ROCPRIM_400000_NS6detail17trampoline_kernelINS0_14default_configENS1_27scan_by_key_config_selectorIifEEZZNS1_16scan_by_key_implILNS1_25lookback_scan_determinismE0ELb1ES3_N6thrust23THRUST_200600_302600_NS6detail15normal_iteratorINS9_10device_ptrIiEEEENSB_INSC_IjEEEENSB_INSC_IfEEEEfNS9_4plusIvEENS9_8equal_toIvEEfEE10hipError_tPvRmT2_T3_T4_T5_mT6_T7_P12ihipStream_tbENKUlT_T0_E_clISt17integral_constantIbLb1EES13_EEDaSY_SZ_EUlSY_E_NS1_11comp_targetILNS1_3genE10ELNS1_11target_archE1201ELNS1_3gpuE5ELNS1_3repE0EEENS1_30default_config_static_selectorELNS0_4arch9wavefront6targetE0EEEvT1_.num_vgpr, 0
	.set _ZN7rocprim17ROCPRIM_400000_NS6detail17trampoline_kernelINS0_14default_configENS1_27scan_by_key_config_selectorIifEEZZNS1_16scan_by_key_implILNS1_25lookback_scan_determinismE0ELb1ES3_N6thrust23THRUST_200600_302600_NS6detail15normal_iteratorINS9_10device_ptrIiEEEENSB_INSC_IjEEEENSB_INSC_IfEEEEfNS9_4plusIvEENS9_8equal_toIvEEfEE10hipError_tPvRmT2_T3_T4_T5_mT6_T7_P12ihipStream_tbENKUlT_T0_E_clISt17integral_constantIbLb1EES13_EEDaSY_SZ_EUlSY_E_NS1_11comp_targetILNS1_3genE10ELNS1_11target_archE1201ELNS1_3gpuE5ELNS1_3repE0EEENS1_30default_config_static_selectorELNS0_4arch9wavefront6targetE0EEEvT1_.num_agpr, 0
	.set _ZN7rocprim17ROCPRIM_400000_NS6detail17trampoline_kernelINS0_14default_configENS1_27scan_by_key_config_selectorIifEEZZNS1_16scan_by_key_implILNS1_25lookback_scan_determinismE0ELb1ES3_N6thrust23THRUST_200600_302600_NS6detail15normal_iteratorINS9_10device_ptrIiEEEENSB_INSC_IjEEEENSB_INSC_IfEEEEfNS9_4plusIvEENS9_8equal_toIvEEfEE10hipError_tPvRmT2_T3_T4_T5_mT6_T7_P12ihipStream_tbENKUlT_T0_E_clISt17integral_constantIbLb1EES13_EEDaSY_SZ_EUlSY_E_NS1_11comp_targetILNS1_3genE10ELNS1_11target_archE1201ELNS1_3gpuE5ELNS1_3repE0EEENS1_30default_config_static_selectorELNS0_4arch9wavefront6targetE0EEEvT1_.numbered_sgpr, 0
	.set _ZN7rocprim17ROCPRIM_400000_NS6detail17trampoline_kernelINS0_14default_configENS1_27scan_by_key_config_selectorIifEEZZNS1_16scan_by_key_implILNS1_25lookback_scan_determinismE0ELb1ES3_N6thrust23THRUST_200600_302600_NS6detail15normal_iteratorINS9_10device_ptrIiEEEENSB_INSC_IjEEEENSB_INSC_IfEEEEfNS9_4plusIvEENS9_8equal_toIvEEfEE10hipError_tPvRmT2_T3_T4_T5_mT6_T7_P12ihipStream_tbENKUlT_T0_E_clISt17integral_constantIbLb1EES13_EEDaSY_SZ_EUlSY_E_NS1_11comp_targetILNS1_3genE10ELNS1_11target_archE1201ELNS1_3gpuE5ELNS1_3repE0EEENS1_30default_config_static_selectorELNS0_4arch9wavefront6targetE0EEEvT1_.num_named_barrier, 0
	.set _ZN7rocprim17ROCPRIM_400000_NS6detail17trampoline_kernelINS0_14default_configENS1_27scan_by_key_config_selectorIifEEZZNS1_16scan_by_key_implILNS1_25lookback_scan_determinismE0ELb1ES3_N6thrust23THRUST_200600_302600_NS6detail15normal_iteratorINS9_10device_ptrIiEEEENSB_INSC_IjEEEENSB_INSC_IfEEEEfNS9_4plusIvEENS9_8equal_toIvEEfEE10hipError_tPvRmT2_T3_T4_T5_mT6_T7_P12ihipStream_tbENKUlT_T0_E_clISt17integral_constantIbLb1EES13_EEDaSY_SZ_EUlSY_E_NS1_11comp_targetILNS1_3genE10ELNS1_11target_archE1201ELNS1_3gpuE5ELNS1_3repE0EEENS1_30default_config_static_selectorELNS0_4arch9wavefront6targetE0EEEvT1_.private_seg_size, 0
	.set _ZN7rocprim17ROCPRIM_400000_NS6detail17trampoline_kernelINS0_14default_configENS1_27scan_by_key_config_selectorIifEEZZNS1_16scan_by_key_implILNS1_25lookback_scan_determinismE0ELb1ES3_N6thrust23THRUST_200600_302600_NS6detail15normal_iteratorINS9_10device_ptrIiEEEENSB_INSC_IjEEEENSB_INSC_IfEEEEfNS9_4plusIvEENS9_8equal_toIvEEfEE10hipError_tPvRmT2_T3_T4_T5_mT6_T7_P12ihipStream_tbENKUlT_T0_E_clISt17integral_constantIbLb1EES13_EEDaSY_SZ_EUlSY_E_NS1_11comp_targetILNS1_3genE10ELNS1_11target_archE1201ELNS1_3gpuE5ELNS1_3repE0EEENS1_30default_config_static_selectorELNS0_4arch9wavefront6targetE0EEEvT1_.uses_vcc, 0
	.set _ZN7rocprim17ROCPRIM_400000_NS6detail17trampoline_kernelINS0_14default_configENS1_27scan_by_key_config_selectorIifEEZZNS1_16scan_by_key_implILNS1_25lookback_scan_determinismE0ELb1ES3_N6thrust23THRUST_200600_302600_NS6detail15normal_iteratorINS9_10device_ptrIiEEEENSB_INSC_IjEEEENSB_INSC_IfEEEEfNS9_4plusIvEENS9_8equal_toIvEEfEE10hipError_tPvRmT2_T3_T4_T5_mT6_T7_P12ihipStream_tbENKUlT_T0_E_clISt17integral_constantIbLb1EES13_EEDaSY_SZ_EUlSY_E_NS1_11comp_targetILNS1_3genE10ELNS1_11target_archE1201ELNS1_3gpuE5ELNS1_3repE0EEENS1_30default_config_static_selectorELNS0_4arch9wavefront6targetE0EEEvT1_.uses_flat_scratch, 0
	.set _ZN7rocprim17ROCPRIM_400000_NS6detail17trampoline_kernelINS0_14default_configENS1_27scan_by_key_config_selectorIifEEZZNS1_16scan_by_key_implILNS1_25lookback_scan_determinismE0ELb1ES3_N6thrust23THRUST_200600_302600_NS6detail15normal_iteratorINS9_10device_ptrIiEEEENSB_INSC_IjEEEENSB_INSC_IfEEEEfNS9_4plusIvEENS9_8equal_toIvEEfEE10hipError_tPvRmT2_T3_T4_T5_mT6_T7_P12ihipStream_tbENKUlT_T0_E_clISt17integral_constantIbLb1EES13_EEDaSY_SZ_EUlSY_E_NS1_11comp_targetILNS1_3genE10ELNS1_11target_archE1201ELNS1_3gpuE5ELNS1_3repE0EEENS1_30default_config_static_selectorELNS0_4arch9wavefront6targetE0EEEvT1_.has_dyn_sized_stack, 0
	.set _ZN7rocprim17ROCPRIM_400000_NS6detail17trampoline_kernelINS0_14default_configENS1_27scan_by_key_config_selectorIifEEZZNS1_16scan_by_key_implILNS1_25lookback_scan_determinismE0ELb1ES3_N6thrust23THRUST_200600_302600_NS6detail15normal_iteratorINS9_10device_ptrIiEEEENSB_INSC_IjEEEENSB_INSC_IfEEEEfNS9_4plusIvEENS9_8equal_toIvEEfEE10hipError_tPvRmT2_T3_T4_T5_mT6_T7_P12ihipStream_tbENKUlT_T0_E_clISt17integral_constantIbLb1EES13_EEDaSY_SZ_EUlSY_E_NS1_11comp_targetILNS1_3genE10ELNS1_11target_archE1201ELNS1_3gpuE5ELNS1_3repE0EEENS1_30default_config_static_selectorELNS0_4arch9wavefront6targetE0EEEvT1_.has_recursion, 0
	.set _ZN7rocprim17ROCPRIM_400000_NS6detail17trampoline_kernelINS0_14default_configENS1_27scan_by_key_config_selectorIifEEZZNS1_16scan_by_key_implILNS1_25lookback_scan_determinismE0ELb1ES3_N6thrust23THRUST_200600_302600_NS6detail15normal_iteratorINS9_10device_ptrIiEEEENSB_INSC_IjEEEENSB_INSC_IfEEEEfNS9_4plusIvEENS9_8equal_toIvEEfEE10hipError_tPvRmT2_T3_T4_T5_mT6_T7_P12ihipStream_tbENKUlT_T0_E_clISt17integral_constantIbLb1EES13_EEDaSY_SZ_EUlSY_E_NS1_11comp_targetILNS1_3genE10ELNS1_11target_archE1201ELNS1_3gpuE5ELNS1_3repE0EEENS1_30default_config_static_selectorELNS0_4arch9wavefront6targetE0EEEvT1_.has_indirect_call, 0
	.section	.AMDGPU.csdata,"",@progbits
; Kernel info:
; codeLenInByte = 0
; TotalNumSgprs: 0
; NumVgprs: 0
; ScratchSize: 0
; MemoryBound: 0
; FloatMode: 240
; IeeeMode: 1
; LDSByteSize: 0 bytes/workgroup (compile time only)
; SGPRBlocks: 0
; VGPRBlocks: 0
; NumSGPRsForWavesPerEU: 1
; NumVGPRsForWavesPerEU: 1
; NamedBarCnt: 0
; Occupancy: 16
; WaveLimiterHint : 0
; COMPUTE_PGM_RSRC2:SCRATCH_EN: 0
; COMPUTE_PGM_RSRC2:USER_SGPR: 2
; COMPUTE_PGM_RSRC2:TRAP_HANDLER: 0
; COMPUTE_PGM_RSRC2:TGID_X_EN: 1
; COMPUTE_PGM_RSRC2:TGID_Y_EN: 0
; COMPUTE_PGM_RSRC2:TGID_Z_EN: 0
; COMPUTE_PGM_RSRC2:TIDIG_COMP_CNT: 0
	.section	.text._ZN7rocprim17ROCPRIM_400000_NS6detail17trampoline_kernelINS0_14default_configENS1_27scan_by_key_config_selectorIifEEZZNS1_16scan_by_key_implILNS1_25lookback_scan_determinismE0ELb1ES3_N6thrust23THRUST_200600_302600_NS6detail15normal_iteratorINS9_10device_ptrIiEEEENSB_INSC_IjEEEENSB_INSC_IfEEEEfNS9_4plusIvEENS9_8equal_toIvEEfEE10hipError_tPvRmT2_T3_T4_T5_mT6_T7_P12ihipStream_tbENKUlT_T0_E_clISt17integral_constantIbLb1EES13_EEDaSY_SZ_EUlSY_E_NS1_11comp_targetILNS1_3genE5ELNS1_11target_archE942ELNS1_3gpuE9ELNS1_3repE0EEENS1_30default_config_static_selectorELNS0_4arch9wavefront6targetE0EEEvT1_,"axG",@progbits,_ZN7rocprim17ROCPRIM_400000_NS6detail17trampoline_kernelINS0_14default_configENS1_27scan_by_key_config_selectorIifEEZZNS1_16scan_by_key_implILNS1_25lookback_scan_determinismE0ELb1ES3_N6thrust23THRUST_200600_302600_NS6detail15normal_iteratorINS9_10device_ptrIiEEEENSB_INSC_IjEEEENSB_INSC_IfEEEEfNS9_4plusIvEENS9_8equal_toIvEEfEE10hipError_tPvRmT2_T3_T4_T5_mT6_T7_P12ihipStream_tbENKUlT_T0_E_clISt17integral_constantIbLb1EES13_EEDaSY_SZ_EUlSY_E_NS1_11comp_targetILNS1_3genE5ELNS1_11target_archE942ELNS1_3gpuE9ELNS1_3repE0EEENS1_30default_config_static_selectorELNS0_4arch9wavefront6targetE0EEEvT1_,comdat
	.protected	_ZN7rocprim17ROCPRIM_400000_NS6detail17trampoline_kernelINS0_14default_configENS1_27scan_by_key_config_selectorIifEEZZNS1_16scan_by_key_implILNS1_25lookback_scan_determinismE0ELb1ES3_N6thrust23THRUST_200600_302600_NS6detail15normal_iteratorINS9_10device_ptrIiEEEENSB_INSC_IjEEEENSB_INSC_IfEEEEfNS9_4plusIvEENS9_8equal_toIvEEfEE10hipError_tPvRmT2_T3_T4_T5_mT6_T7_P12ihipStream_tbENKUlT_T0_E_clISt17integral_constantIbLb1EES13_EEDaSY_SZ_EUlSY_E_NS1_11comp_targetILNS1_3genE5ELNS1_11target_archE942ELNS1_3gpuE9ELNS1_3repE0EEENS1_30default_config_static_selectorELNS0_4arch9wavefront6targetE0EEEvT1_ ; -- Begin function _ZN7rocprim17ROCPRIM_400000_NS6detail17trampoline_kernelINS0_14default_configENS1_27scan_by_key_config_selectorIifEEZZNS1_16scan_by_key_implILNS1_25lookback_scan_determinismE0ELb1ES3_N6thrust23THRUST_200600_302600_NS6detail15normal_iteratorINS9_10device_ptrIiEEEENSB_INSC_IjEEEENSB_INSC_IfEEEEfNS9_4plusIvEENS9_8equal_toIvEEfEE10hipError_tPvRmT2_T3_T4_T5_mT6_T7_P12ihipStream_tbENKUlT_T0_E_clISt17integral_constantIbLb1EES13_EEDaSY_SZ_EUlSY_E_NS1_11comp_targetILNS1_3genE5ELNS1_11target_archE942ELNS1_3gpuE9ELNS1_3repE0EEENS1_30default_config_static_selectorELNS0_4arch9wavefront6targetE0EEEvT1_
	.globl	_ZN7rocprim17ROCPRIM_400000_NS6detail17trampoline_kernelINS0_14default_configENS1_27scan_by_key_config_selectorIifEEZZNS1_16scan_by_key_implILNS1_25lookback_scan_determinismE0ELb1ES3_N6thrust23THRUST_200600_302600_NS6detail15normal_iteratorINS9_10device_ptrIiEEEENSB_INSC_IjEEEENSB_INSC_IfEEEEfNS9_4plusIvEENS9_8equal_toIvEEfEE10hipError_tPvRmT2_T3_T4_T5_mT6_T7_P12ihipStream_tbENKUlT_T0_E_clISt17integral_constantIbLb1EES13_EEDaSY_SZ_EUlSY_E_NS1_11comp_targetILNS1_3genE5ELNS1_11target_archE942ELNS1_3gpuE9ELNS1_3repE0EEENS1_30default_config_static_selectorELNS0_4arch9wavefront6targetE0EEEvT1_
	.p2align	8
	.type	_ZN7rocprim17ROCPRIM_400000_NS6detail17trampoline_kernelINS0_14default_configENS1_27scan_by_key_config_selectorIifEEZZNS1_16scan_by_key_implILNS1_25lookback_scan_determinismE0ELb1ES3_N6thrust23THRUST_200600_302600_NS6detail15normal_iteratorINS9_10device_ptrIiEEEENSB_INSC_IjEEEENSB_INSC_IfEEEEfNS9_4plusIvEENS9_8equal_toIvEEfEE10hipError_tPvRmT2_T3_T4_T5_mT6_T7_P12ihipStream_tbENKUlT_T0_E_clISt17integral_constantIbLb1EES13_EEDaSY_SZ_EUlSY_E_NS1_11comp_targetILNS1_3genE5ELNS1_11target_archE942ELNS1_3gpuE9ELNS1_3repE0EEENS1_30default_config_static_selectorELNS0_4arch9wavefront6targetE0EEEvT1_,@function
_ZN7rocprim17ROCPRIM_400000_NS6detail17trampoline_kernelINS0_14default_configENS1_27scan_by_key_config_selectorIifEEZZNS1_16scan_by_key_implILNS1_25lookback_scan_determinismE0ELb1ES3_N6thrust23THRUST_200600_302600_NS6detail15normal_iteratorINS9_10device_ptrIiEEEENSB_INSC_IjEEEENSB_INSC_IfEEEEfNS9_4plusIvEENS9_8equal_toIvEEfEE10hipError_tPvRmT2_T3_T4_T5_mT6_T7_P12ihipStream_tbENKUlT_T0_E_clISt17integral_constantIbLb1EES13_EEDaSY_SZ_EUlSY_E_NS1_11comp_targetILNS1_3genE5ELNS1_11target_archE942ELNS1_3gpuE9ELNS1_3repE0EEENS1_30default_config_static_selectorELNS0_4arch9wavefront6targetE0EEEvT1_: ; @_ZN7rocprim17ROCPRIM_400000_NS6detail17trampoline_kernelINS0_14default_configENS1_27scan_by_key_config_selectorIifEEZZNS1_16scan_by_key_implILNS1_25lookback_scan_determinismE0ELb1ES3_N6thrust23THRUST_200600_302600_NS6detail15normal_iteratorINS9_10device_ptrIiEEEENSB_INSC_IjEEEENSB_INSC_IfEEEEfNS9_4plusIvEENS9_8equal_toIvEEfEE10hipError_tPvRmT2_T3_T4_T5_mT6_T7_P12ihipStream_tbENKUlT_T0_E_clISt17integral_constantIbLb1EES13_EEDaSY_SZ_EUlSY_E_NS1_11comp_targetILNS1_3genE5ELNS1_11target_archE942ELNS1_3gpuE9ELNS1_3repE0EEENS1_30default_config_static_selectorELNS0_4arch9wavefront6targetE0EEEvT1_
; %bb.0:
	.section	.rodata,"a",@progbits
	.p2align	6, 0x0
	.amdhsa_kernel _ZN7rocprim17ROCPRIM_400000_NS6detail17trampoline_kernelINS0_14default_configENS1_27scan_by_key_config_selectorIifEEZZNS1_16scan_by_key_implILNS1_25lookback_scan_determinismE0ELb1ES3_N6thrust23THRUST_200600_302600_NS6detail15normal_iteratorINS9_10device_ptrIiEEEENSB_INSC_IjEEEENSB_INSC_IfEEEEfNS9_4plusIvEENS9_8equal_toIvEEfEE10hipError_tPvRmT2_T3_T4_T5_mT6_T7_P12ihipStream_tbENKUlT_T0_E_clISt17integral_constantIbLb1EES13_EEDaSY_SZ_EUlSY_E_NS1_11comp_targetILNS1_3genE5ELNS1_11target_archE942ELNS1_3gpuE9ELNS1_3repE0EEENS1_30default_config_static_selectorELNS0_4arch9wavefront6targetE0EEEvT1_
		.amdhsa_group_segment_fixed_size 0
		.amdhsa_private_segment_fixed_size 0
		.amdhsa_kernarg_size 112
		.amdhsa_user_sgpr_count 2
		.amdhsa_user_sgpr_dispatch_ptr 0
		.amdhsa_user_sgpr_queue_ptr 0
		.amdhsa_user_sgpr_kernarg_segment_ptr 1
		.amdhsa_user_sgpr_dispatch_id 0
		.amdhsa_user_sgpr_kernarg_preload_length 0
		.amdhsa_user_sgpr_kernarg_preload_offset 0
		.amdhsa_user_sgpr_private_segment_size 0
		.amdhsa_wavefront_size32 1
		.amdhsa_uses_dynamic_stack 0
		.amdhsa_enable_private_segment 0
		.amdhsa_system_sgpr_workgroup_id_x 1
		.amdhsa_system_sgpr_workgroup_id_y 0
		.amdhsa_system_sgpr_workgroup_id_z 0
		.amdhsa_system_sgpr_workgroup_info 0
		.amdhsa_system_vgpr_workitem_id 0
		.amdhsa_next_free_vgpr 1
		.amdhsa_next_free_sgpr 1
		.amdhsa_named_barrier_count 0
		.amdhsa_reserve_vcc 0
		.amdhsa_float_round_mode_32 0
		.amdhsa_float_round_mode_16_64 0
		.amdhsa_float_denorm_mode_32 3
		.amdhsa_float_denorm_mode_16_64 3
		.amdhsa_fp16_overflow 0
		.amdhsa_memory_ordered 1
		.amdhsa_forward_progress 1
		.amdhsa_inst_pref_size 0
		.amdhsa_round_robin_scheduling 0
		.amdhsa_exception_fp_ieee_invalid_op 0
		.amdhsa_exception_fp_denorm_src 0
		.amdhsa_exception_fp_ieee_div_zero 0
		.amdhsa_exception_fp_ieee_overflow 0
		.amdhsa_exception_fp_ieee_underflow 0
		.amdhsa_exception_fp_ieee_inexact 0
		.amdhsa_exception_int_div_zero 0
	.end_amdhsa_kernel
	.section	.text._ZN7rocprim17ROCPRIM_400000_NS6detail17trampoline_kernelINS0_14default_configENS1_27scan_by_key_config_selectorIifEEZZNS1_16scan_by_key_implILNS1_25lookback_scan_determinismE0ELb1ES3_N6thrust23THRUST_200600_302600_NS6detail15normal_iteratorINS9_10device_ptrIiEEEENSB_INSC_IjEEEENSB_INSC_IfEEEEfNS9_4plusIvEENS9_8equal_toIvEEfEE10hipError_tPvRmT2_T3_T4_T5_mT6_T7_P12ihipStream_tbENKUlT_T0_E_clISt17integral_constantIbLb1EES13_EEDaSY_SZ_EUlSY_E_NS1_11comp_targetILNS1_3genE5ELNS1_11target_archE942ELNS1_3gpuE9ELNS1_3repE0EEENS1_30default_config_static_selectorELNS0_4arch9wavefront6targetE0EEEvT1_,"axG",@progbits,_ZN7rocprim17ROCPRIM_400000_NS6detail17trampoline_kernelINS0_14default_configENS1_27scan_by_key_config_selectorIifEEZZNS1_16scan_by_key_implILNS1_25lookback_scan_determinismE0ELb1ES3_N6thrust23THRUST_200600_302600_NS6detail15normal_iteratorINS9_10device_ptrIiEEEENSB_INSC_IjEEEENSB_INSC_IfEEEEfNS9_4plusIvEENS9_8equal_toIvEEfEE10hipError_tPvRmT2_T3_T4_T5_mT6_T7_P12ihipStream_tbENKUlT_T0_E_clISt17integral_constantIbLb1EES13_EEDaSY_SZ_EUlSY_E_NS1_11comp_targetILNS1_3genE5ELNS1_11target_archE942ELNS1_3gpuE9ELNS1_3repE0EEENS1_30default_config_static_selectorELNS0_4arch9wavefront6targetE0EEEvT1_,comdat
.Lfunc_end1691:
	.size	_ZN7rocprim17ROCPRIM_400000_NS6detail17trampoline_kernelINS0_14default_configENS1_27scan_by_key_config_selectorIifEEZZNS1_16scan_by_key_implILNS1_25lookback_scan_determinismE0ELb1ES3_N6thrust23THRUST_200600_302600_NS6detail15normal_iteratorINS9_10device_ptrIiEEEENSB_INSC_IjEEEENSB_INSC_IfEEEEfNS9_4plusIvEENS9_8equal_toIvEEfEE10hipError_tPvRmT2_T3_T4_T5_mT6_T7_P12ihipStream_tbENKUlT_T0_E_clISt17integral_constantIbLb1EES13_EEDaSY_SZ_EUlSY_E_NS1_11comp_targetILNS1_3genE5ELNS1_11target_archE942ELNS1_3gpuE9ELNS1_3repE0EEENS1_30default_config_static_selectorELNS0_4arch9wavefront6targetE0EEEvT1_, .Lfunc_end1691-_ZN7rocprim17ROCPRIM_400000_NS6detail17trampoline_kernelINS0_14default_configENS1_27scan_by_key_config_selectorIifEEZZNS1_16scan_by_key_implILNS1_25lookback_scan_determinismE0ELb1ES3_N6thrust23THRUST_200600_302600_NS6detail15normal_iteratorINS9_10device_ptrIiEEEENSB_INSC_IjEEEENSB_INSC_IfEEEEfNS9_4plusIvEENS9_8equal_toIvEEfEE10hipError_tPvRmT2_T3_T4_T5_mT6_T7_P12ihipStream_tbENKUlT_T0_E_clISt17integral_constantIbLb1EES13_EEDaSY_SZ_EUlSY_E_NS1_11comp_targetILNS1_3genE5ELNS1_11target_archE942ELNS1_3gpuE9ELNS1_3repE0EEENS1_30default_config_static_selectorELNS0_4arch9wavefront6targetE0EEEvT1_
                                        ; -- End function
	.set _ZN7rocprim17ROCPRIM_400000_NS6detail17trampoline_kernelINS0_14default_configENS1_27scan_by_key_config_selectorIifEEZZNS1_16scan_by_key_implILNS1_25lookback_scan_determinismE0ELb1ES3_N6thrust23THRUST_200600_302600_NS6detail15normal_iteratorINS9_10device_ptrIiEEEENSB_INSC_IjEEEENSB_INSC_IfEEEEfNS9_4plusIvEENS9_8equal_toIvEEfEE10hipError_tPvRmT2_T3_T4_T5_mT6_T7_P12ihipStream_tbENKUlT_T0_E_clISt17integral_constantIbLb1EES13_EEDaSY_SZ_EUlSY_E_NS1_11comp_targetILNS1_3genE5ELNS1_11target_archE942ELNS1_3gpuE9ELNS1_3repE0EEENS1_30default_config_static_selectorELNS0_4arch9wavefront6targetE0EEEvT1_.num_vgpr, 0
	.set _ZN7rocprim17ROCPRIM_400000_NS6detail17trampoline_kernelINS0_14default_configENS1_27scan_by_key_config_selectorIifEEZZNS1_16scan_by_key_implILNS1_25lookback_scan_determinismE0ELb1ES3_N6thrust23THRUST_200600_302600_NS6detail15normal_iteratorINS9_10device_ptrIiEEEENSB_INSC_IjEEEENSB_INSC_IfEEEEfNS9_4plusIvEENS9_8equal_toIvEEfEE10hipError_tPvRmT2_T3_T4_T5_mT6_T7_P12ihipStream_tbENKUlT_T0_E_clISt17integral_constantIbLb1EES13_EEDaSY_SZ_EUlSY_E_NS1_11comp_targetILNS1_3genE5ELNS1_11target_archE942ELNS1_3gpuE9ELNS1_3repE0EEENS1_30default_config_static_selectorELNS0_4arch9wavefront6targetE0EEEvT1_.num_agpr, 0
	.set _ZN7rocprim17ROCPRIM_400000_NS6detail17trampoline_kernelINS0_14default_configENS1_27scan_by_key_config_selectorIifEEZZNS1_16scan_by_key_implILNS1_25lookback_scan_determinismE0ELb1ES3_N6thrust23THRUST_200600_302600_NS6detail15normal_iteratorINS9_10device_ptrIiEEEENSB_INSC_IjEEEENSB_INSC_IfEEEEfNS9_4plusIvEENS9_8equal_toIvEEfEE10hipError_tPvRmT2_T3_T4_T5_mT6_T7_P12ihipStream_tbENKUlT_T0_E_clISt17integral_constantIbLb1EES13_EEDaSY_SZ_EUlSY_E_NS1_11comp_targetILNS1_3genE5ELNS1_11target_archE942ELNS1_3gpuE9ELNS1_3repE0EEENS1_30default_config_static_selectorELNS0_4arch9wavefront6targetE0EEEvT1_.numbered_sgpr, 0
	.set _ZN7rocprim17ROCPRIM_400000_NS6detail17trampoline_kernelINS0_14default_configENS1_27scan_by_key_config_selectorIifEEZZNS1_16scan_by_key_implILNS1_25lookback_scan_determinismE0ELb1ES3_N6thrust23THRUST_200600_302600_NS6detail15normal_iteratorINS9_10device_ptrIiEEEENSB_INSC_IjEEEENSB_INSC_IfEEEEfNS9_4plusIvEENS9_8equal_toIvEEfEE10hipError_tPvRmT2_T3_T4_T5_mT6_T7_P12ihipStream_tbENKUlT_T0_E_clISt17integral_constantIbLb1EES13_EEDaSY_SZ_EUlSY_E_NS1_11comp_targetILNS1_3genE5ELNS1_11target_archE942ELNS1_3gpuE9ELNS1_3repE0EEENS1_30default_config_static_selectorELNS0_4arch9wavefront6targetE0EEEvT1_.num_named_barrier, 0
	.set _ZN7rocprim17ROCPRIM_400000_NS6detail17trampoline_kernelINS0_14default_configENS1_27scan_by_key_config_selectorIifEEZZNS1_16scan_by_key_implILNS1_25lookback_scan_determinismE0ELb1ES3_N6thrust23THRUST_200600_302600_NS6detail15normal_iteratorINS9_10device_ptrIiEEEENSB_INSC_IjEEEENSB_INSC_IfEEEEfNS9_4plusIvEENS9_8equal_toIvEEfEE10hipError_tPvRmT2_T3_T4_T5_mT6_T7_P12ihipStream_tbENKUlT_T0_E_clISt17integral_constantIbLb1EES13_EEDaSY_SZ_EUlSY_E_NS1_11comp_targetILNS1_3genE5ELNS1_11target_archE942ELNS1_3gpuE9ELNS1_3repE0EEENS1_30default_config_static_selectorELNS0_4arch9wavefront6targetE0EEEvT1_.private_seg_size, 0
	.set _ZN7rocprim17ROCPRIM_400000_NS6detail17trampoline_kernelINS0_14default_configENS1_27scan_by_key_config_selectorIifEEZZNS1_16scan_by_key_implILNS1_25lookback_scan_determinismE0ELb1ES3_N6thrust23THRUST_200600_302600_NS6detail15normal_iteratorINS9_10device_ptrIiEEEENSB_INSC_IjEEEENSB_INSC_IfEEEEfNS9_4plusIvEENS9_8equal_toIvEEfEE10hipError_tPvRmT2_T3_T4_T5_mT6_T7_P12ihipStream_tbENKUlT_T0_E_clISt17integral_constantIbLb1EES13_EEDaSY_SZ_EUlSY_E_NS1_11comp_targetILNS1_3genE5ELNS1_11target_archE942ELNS1_3gpuE9ELNS1_3repE0EEENS1_30default_config_static_selectorELNS0_4arch9wavefront6targetE0EEEvT1_.uses_vcc, 0
	.set _ZN7rocprim17ROCPRIM_400000_NS6detail17trampoline_kernelINS0_14default_configENS1_27scan_by_key_config_selectorIifEEZZNS1_16scan_by_key_implILNS1_25lookback_scan_determinismE0ELb1ES3_N6thrust23THRUST_200600_302600_NS6detail15normal_iteratorINS9_10device_ptrIiEEEENSB_INSC_IjEEEENSB_INSC_IfEEEEfNS9_4plusIvEENS9_8equal_toIvEEfEE10hipError_tPvRmT2_T3_T4_T5_mT6_T7_P12ihipStream_tbENKUlT_T0_E_clISt17integral_constantIbLb1EES13_EEDaSY_SZ_EUlSY_E_NS1_11comp_targetILNS1_3genE5ELNS1_11target_archE942ELNS1_3gpuE9ELNS1_3repE0EEENS1_30default_config_static_selectorELNS0_4arch9wavefront6targetE0EEEvT1_.uses_flat_scratch, 0
	.set _ZN7rocprim17ROCPRIM_400000_NS6detail17trampoline_kernelINS0_14default_configENS1_27scan_by_key_config_selectorIifEEZZNS1_16scan_by_key_implILNS1_25lookback_scan_determinismE0ELb1ES3_N6thrust23THRUST_200600_302600_NS6detail15normal_iteratorINS9_10device_ptrIiEEEENSB_INSC_IjEEEENSB_INSC_IfEEEEfNS9_4plusIvEENS9_8equal_toIvEEfEE10hipError_tPvRmT2_T3_T4_T5_mT6_T7_P12ihipStream_tbENKUlT_T0_E_clISt17integral_constantIbLb1EES13_EEDaSY_SZ_EUlSY_E_NS1_11comp_targetILNS1_3genE5ELNS1_11target_archE942ELNS1_3gpuE9ELNS1_3repE0EEENS1_30default_config_static_selectorELNS0_4arch9wavefront6targetE0EEEvT1_.has_dyn_sized_stack, 0
	.set _ZN7rocprim17ROCPRIM_400000_NS6detail17trampoline_kernelINS0_14default_configENS1_27scan_by_key_config_selectorIifEEZZNS1_16scan_by_key_implILNS1_25lookback_scan_determinismE0ELb1ES3_N6thrust23THRUST_200600_302600_NS6detail15normal_iteratorINS9_10device_ptrIiEEEENSB_INSC_IjEEEENSB_INSC_IfEEEEfNS9_4plusIvEENS9_8equal_toIvEEfEE10hipError_tPvRmT2_T3_T4_T5_mT6_T7_P12ihipStream_tbENKUlT_T0_E_clISt17integral_constantIbLb1EES13_EEDaSY_SZ_EUlSY_E_NS1_11comp_targetILNS1_3genE5ELNS1_11target_archE942ELNS1_3gpuE9ELNS1_3repE0EEENS1_30default_config_static_selectorELNS0_4arch9wavefront6targetE0EEEvT1_.has_recursion, 0
	.set _ZN7rocprim17ROCPRIM_400000_NS6detail17trampoline_kernelINS0_14default_configENS1_27scan_by_key_config_selectorIifEEZZNS1_16scan_by_key_implILNS1_25lookback_scan_determinismE0ELb1ES3_N6thrust23THRUST_200600_302600_NS6detail15normal_iteratorINS9_10device_ptrIiEEEENSB_INSC_IjEEEENSB_INSC_IfEEEEfNS9_4plusIvEENS9_8equal_toIvEEfEE10hipError_tPvRmT2_T3_T4_T5_mT6_T7_P12ihipStream_tbENKUlT_T0_E_clISt17integral_constantIbLb1EES13_EEDaSY_SZ_EUlSY_E_NS1_11comp_targetILNS1_3genE5ELNS1_11target_archE942ELNS1_3gpuE9ELNS1_3repE0EEENS1_30default_config_static_selectorELNS0_4arch9wavefront6targetE0EEEvT1_.has_indirect_call, 0
	.section	.AMDGPU.csdata,"",@progbits
; Kernel info:
; codeLenInByte = 0
; TotalNumSgprs: 0
; NumVgprs: 0
; ScratchSize: 0
; MemoryBound: 0
; FloatMode: 240
; IeeeMode: 1
; LDSByteSize: 0 bytes/workgroup (compile time only)
; SGPRBlocks: 0
; VGPRBlocks: 0
; NumSGPRsForWavesPerEU: 1
; NumVGPRsForWavesPerEU: 1
; NamedBarCnt: 0
; Occupancy: 16
; WaveLimiterHint : 0
; COMPUTE_PGM_RSRC2:SCRATCH_EN: 0
; COMPUTE_PGM_RSRC2:USER_SGPR: 2
; COMPUTE_PGM_RSRC2:TRAP_HANDLER: 0
; COMPUTE_PGM_RSRC2:TGID_X_EN: 1
; COMPUTE_PGM_RSRC2:TGID_Y_EN: 0
; COMPUTE_PGM_RSRC2:TGID_Z_EN: 0
; COMPUTE_PGM_RSRC2:TIDIG_COMP_CNT: 0
	.section	.text._ZN7rocprim17ROCPRIM_400000_NS6detail17trampoline_kernelINS0_14default_configENS1_27scan_by_key_config_selectorIifEEZZNS1_16scan_by_key_implILNS1_25lookback_scan_determinismE0ELb1ES3_N6thrust23THRUST_200600_302600_NS6detail15normal_iteratorINS9_10device_ptrIiEEEENSB_INSC_IjEEEENSB_INSC_IfEEEEfNS9_4plusIvEENS9_8equal_toIvEEfEE10hipError_tPvRmT2_T3_T4_T5_mT6_T7_P12ihipStream_tbENKUlT_T0_E_clISt17integral_constantIbLb1EES13_EEDaSY_SZ_EUlSY_E_NS1_11comp_targetILNS1_3genE4ELNS1_11target_archE910ELNS1_3gpuE8ELNS1_3repE0EEENS1_30default_config_static_selectorELNS0_4arch9wavefront6targetE0EEEvT1_,"axG",@progbits,_ZN7rocprim17ROCPRIM_400000_NS6detail17trampoline_kernelINS0_14default_configENS1_27scan_by_key_config_selectorIifEEZZNS1_16scan_by_key_implILNS1_25lookback_scan_determinismE0ELb1ES3_N6thrust23THRUST_200600_302600_NS6detail15normal_iteratorINS9_10device_ptrIiEEEENSB_INSC_IjEEEENSB_INSC_IfEEEEfNS9_4plusIvEENS9_8equal_toIvEEfEE10hipError_tPvRmT2_T3_T4_T5_mT6_T7_P12ihipStream_tbENKUlT_T0_E_clISt17integral_constantIbLb1EES13_EEDaSY_SZ_EUlSY_E_NS1_11comp_targetILNS1_3genE4ELNS1_11target_archE910ELNS1_3gpuE8ELNS1_3repE0EEENS1_30default_config_static_selectorELNS0_4arch9wavefront6targetE0EEEvT1_,comdat
	.protected	_ZN7rocprim17ROCPRIM_400000_NS6detail17trampoline_kernelINS0_14default_configENS1_27scan_by_key_config_selectorIifEEZZNS1_16scan_by_key_implILNS1_25lookback_scan_determinismE0ELb1ES3_N6thrust23THRUST_200600_302600_NS6detail15normal_iteratorINS9_10device_ptrIiEEEENSB_INSC_IjEEEENSB_INSC_IfEEEEfNS9_4plusIvEENS9_8equal_toIvEEfEE10hipError_tPvRmT2_T3_T4_T5_mT6_T7_P12ihipStream_tbENKUlT_T0_E_clISt17integral_constantIbLb1EES13_EEDaSY_SZ_EUlSY_E_NS1_11comp_targetILNS1_3genE4ELNS1_11target_archE910ELNS1_3gpuE8ELNS1_3repE0EEENS1_30default_config_static_selectorELNS0_4arch9wavefront6targetE0EEEvT1_ ; -- Begin function _ZN7rocprim17ROCPRIM_400000_NS6detail17trampoline_kernelINS0_14default_configENS1_27scan_by_key_config_selectorIifEEZZNS1_16scan_by_key_implILNS1_25lookback_scan_determinismE0ELb1ES3_N6thrust23THRUST_200600_302600_NS6detail15normal_iteratorINS9_10device_ptrIiEEEENSB_INSC_IjEEEENSB_INSC_IfEEEEfNS9_4plusIvEENS9_8equal_toIvEEfEE10hipError_tPvRmT2_T3_T4_T5_mT6_T7_P12ihipStream_tbENKUlT_T0_E_clISt17integral_constantIbLb1EES13_EEDaSY_SZ_EUlSY_E_NS1_11comp_targetILNS1_3genE4ELNS1_11target_archE910ELNS1_3gpuE8ELNS1_3repE0EEENS1_30default_config_static_selectorELNS0_4arch9wavefront6targetE0EEEvT1_
	.globl	_ZN7rocprim17ROCPRIM_400000_NS6detail17trampoline_kernelINS0_14default_configENS1_27scan_by_key_config_selectorIifEEZZNS1_16scan_by_key_implILNS1_25lookback_scan_determinismE0ELb1ES3_N6thrust23THRUST_200600_302600_NS6detail15normal_iteratorINS9_10device_ptrIiEEEENSB_INSC_IjEEEENSB_INSC_IfEEEEfNS9_4plusIvEENS9_8equal_toIvEEfEE10hipError_tPvRmT2_T3_T4_T5_mT6_T7_P12ihipStream_tbENKUlT_T0_E_clISt17integral_constantIbLb1EES13_EEDaSY_SZ_EUlSY_E_NS1_11comp_targetILNS1_3genE4ELNS1_11target_archE910ELNS1_3gpuE8ELNS1_3repE0EEENS1_30default_config_static_selectorELNS0_4arch9wavefront6targetE0EEEvT1_
	.p2align	8
	.type	_ZN7rocprim17ROCPRIM_400000_NS6detail17trampoline_kernelINS0_14default_configENS1_27scan_by_key_config_selectorIifEEZZNS1_16scan_by_key_implILNS1_25lookback_scan_determinismE0ELb1ES3_N6thrust23THRUST_200600_302600_NS6detail15normal_iteratorINS9_10device_ptrIiEEEENSB_INSC_IjEEEENSB_INSC_IfEEEEfNS9_4plusIvEENS9_8equal_toIvEEfEE10hipError_tPvRmT2_T3_T4_T5_mT6_T7_P12ihipStream_tbENKUlT_T0_E_clISt17integral_constantIbLb1EES13_EEDaSY_SZ_EUlSY_E_NS1_11comp_targetILNS1_3genE4ELNS1_11target_archE910ELNS1_3gpuE8ELNS1_3repE0EEENS1_30default_config_static_selectorELNS0_4arch9wavefront6targetE0EEEvT1_,@function
_ZN7rocprim17ROCPRIM_400000_NS6detail17trampoline_kernelINS0_14default_configENS1_27scan_by_key_config_selectorIifEEZZNS1_16scan_by_key_implILNS1_25lookback_scan_determinismE0ELb1ES3_N6thrust23THRUST_200600_302600_NS6detail15normal_iteratorINS9_10device_ptrIiEEEENSB_INSC_IjEEEENSB_INSC_IfEEEEfNS9_4plusIvEENS9_8equal_toIvEEfEE10hipError_tPvRmT2_T3_T4_T5_mT6_T7_P12ihipStream_tbENKUlT_T0_E_clISt17integral_constantIbLb1EES13_EEDaSY_SZ_EUlSY_E_NS1_11comp_targetILNS1_3genE4ELNS1_11target_archE910ELNS1_3gpuE8ELNS1_3repE0EEENS1_30default_config_static_selectorELNS0_4arch9wavefront6targetE0EEEvT1_: ; @_ZN7rocprim17ROCPRIM_400000_NS6detail17trampoline_kernelINS0_14default_configENS1_27scan_by_key_config_selectorIifEEZZNS1_16scan_by_key_implILNS1_25lookback_scan_determinismE0ELb1ES3_N6thrust23THRUST_200600_302600_NS6detail15normal_iteratorINS9_10device_ptrIiEEEENSB_INSC_IjEEEENSB_INSC_IfEEEEfNS9_4plusIvEENS9_8equal_toIvEEfEE10hipError_tPvRmT2_T3_T4_T5_mT6_T7_P12ihipStream_tbENKUlT_T0_E_clISt17integral_constantIbLb1EES13_EEDaSY_SZ_EUlSY_E_NS1_11comp_targetILNS1_3genE4ELNS1_11target_archE910ELNS1_3gpuE8ELNS1_3repE0EEENS1_30default_config_static_selectorELNS0_4arch9wavefront6targetE0EEEvT1_
; %bb.0:
	.section	.rodata,"a",@progbits
	.p2align	6, 0x0
	.amdhsa_kernel _ZN7rocprim17ROCPRIM_400000_NS6detail17trampoline_kernelINS0_14default_configENS1_27scan_by_key_config_selectorIifEEZZNS1_16scan_by_key_implILNS1_25lookback_scan_determinismE0ELb1ES3_N6thrust23THRUST_200600_302600_NS6detail15normal_iteratorINS9_10device_ptrIiEEEENSB_INSC_IjEEEENSB_INSC_IfEEEEfNS9_4plusIvEENS9_8equal_toIvEEfEE10hipError_tPvRmT2_T3_T4_T5_mT6_T7_P12ihipStream_tbENKUlT_T0_E_clISt17integral_constantIbLb1EES13_EEDaSY_SZ_EUlSY_E_NS1_11comp_targetILNS1_3genE4ELNS1_11target_archE910ELNS1_3gpuE8ELNS1_3repE0EEENS1_30default_config_static_selectorELNS0_4arch9wavefront6targetE0EEEvT1_
		.amdhsa_group_segment_fixed_size 0
		.amdhsa_private_segment_fixed_size 0
		.amdhsa_kernarg_size 112
		.amdhsa_user_sgpr_count 2
		.amdhsa_user_sgpr_dispatch_ptr 0
		.amdhsa_user_sgpr_queue_ptr 0
		.amdhsa_user_sgpr_kernarg_segment_ptr 1
		.amdhsa_user_sgpr_dispatch_id 0
		.amdhsa_user_sgpr_kernarg_preload_length 0
		.amdhsa_user_sgpr_kernarg_preload_offset 0
		.amdhsa_user_sgpr_private_segment_size 0
		.amdhsa_wavefront_size32 1
		.amdhsa_uses_dynamic_stack 0
		.amdhsa_enable_private_segment 0
		.amdhsa_system_sgpr_workgroup_id_x 1
		.amdhsa_system_sgpr_workgroup_id_y 0
		.amdhsa_system_sgpr_workgroup_id_z 0
		.amdhsa_system_sgpr_workgroup_info 0
		.amdhsa_system_vgpr_workitem_id 0
		.amdhsa_next_free_vgpr 1
		.amdhsa_next_free_sgpr 1
		.amdhsa_named_barrier_count 0
		.amdhsa_reserve_vcc 0
		.amdhsa_float_round_mode_32 0
		.amdhsa_float_round_mode_16_64 0
		.amdhsa_float_denorm_mode_32 3
		.amdhsa_float_denorm_mode_16_64 3
		.amdhsa_fp16_overflow 0
		.amdhsa_memory_ordered 1
		.amdhsa_forward_progress 1
		.amdhsa_inst_pref_size 0
		.amdhsa_round_robin_scheduling 0
		.amdhsa_exception_fp_ieee_invalid_op 0
		.amdhsa_exception_fp_denorm_src 0
		.amdhsa_exception_fp_ieee_div_zero 0
		.amdhsa_exception_fp_ieee_overflow 0
		.amdhsa_exception_fp_ieee_underflow 0
		.amdhsa_exception_fp_ieee_inexact 0
		.amdhsa_exception_int_div_zero 0
	.end_amdhsa_kernel
	.section	.text._ZN7rocprim17ROCPRIM_400000_NS6detail17trampoline_kernelINS0_14default_configENS1_27scan_by_key_config_selectorIifEEZZNS1_16scan_by_key_implILNS1_25lookback_scan_determinismE0ELb1ES3_N6thrust23THRUST_200600_302600_NS6detail15normal_iteratorINS9_10device_ptrIiEEEENSB_INSC_IjEEEENSB_INSC_IfEEEEfNS9_4plusIvEENS9_8equal_toIvEEfEE10hipError_tPvRmT2_T3_T4_T5_mT6_T7_P12ihipStream_tbENKUlT_T0_E_clISt17integral_constantIbLb1EES13_EEDaSY_SZ_EUlSY_E_NS1_11comp_targetILNS1_3genE4ELNS1_11target_archE910ELNS1_3gpuE8ELNS1_3repE0EEENS1_30default_config_static_selectorELNS0_4arch9wavefront6targetE0EEEvT1_,"axG",@progbits,_ZN7rocprim17ROCPRIM_400000_NS6detail17trampoline_kernelINS0_14default_configENS1_27scan_by_key_config_selectorIifEEZZNS1_16scan_by_key_implILNS1_25lookback_scan_determinismE0ELb1ES3_N6thrust23THRUST_200600_302600_NS6detail15normal_iteratorINS9_10device_ptrIiEEEENSB_INSC_IjEEEENSB_INSC_IfEEEEfNS9_4plusIvEENS9_8equal_toIvEEfEE10hipError_tPvRmT2_T3_T4_T5_mT6_T7_P12ihipStream_tbENKUlT_T0_E_clISt17integral_constantIbLb1EES13_EEDaSY_SZ_EUlSY_E_NS1_11comp_targetILNS1_3genE4ELNS1_11target_archE910ELNS1_3gpuE8ELNS1_3repE0EEENS1_30default_config_static_selectorELNS0_4arch9wavefront6targetE0EEEvT1_,comdat
.Lfunc_end1692:
	.size	_ZN7rocprim17ROCPRIM_400000_NS6detail17trampoline_kernelINS0_14default_configENS1_27scan_by_key_config_selectorIifEEZZNS1_16scan_by_key_implILNS1_25lookback_scan_determinismE0ELb1ES3_N6thrust23THRUST_200600_302600_NS6detail15normal_iteratorINS9_10device_ptrIiEEEENSB_INSC_IjEEEENSB_INSC_IfEEEEfNS9_4plusIvEENS9_8equal_toIvEEfEE10hipError_tPvRmT2_T3_T4_T5_mT6_T7_P12ihipStream_tbENKUlT_T0_E_clISt17integral_constantIbLb1EES13_EEDaSY_SZ_EUlSY_E_NS1_11comp_targetILNS1_3genE4ELNS1_11target_archE910ELNS1_3gpuE8ELNS1_3repE0EEENS1_30default_config_static_selectorELNS0_4arch9wavefront6targetE0EEEvT1_, .Lfunc_end1692-_ZN7rocprim17ROCPRIM_400000_NS6detail17trampoline_kernelINS0_14default_configENS1_27scan_by_key_config_selectorIifEEZZNS1_16scan_by_key_implILNS1_25lookback_scan_determinismE0ELb1ES3_N6thrust23THRUST_200600_302600_NS6detail15normal_iteratorINS9_10device_ptrIiEEEENSB_INSC_IjEEEENSB_INSC_IfEEEEfNS9_4plusIvEENS9_8equal_toIvEEfEE10hipError_tPvRmT2_T3_T4_T5_mT6_T7_P12ihipStream_tbENKUlT_T0_E_clISt17integral_constantIbLb1EES13_EEDaSY_SZ_EUlSY_E_NS1_11comp_targetILNS1_3genE4ELNS1_11target_archE910ELNS1_3gpuE8ELNS1_3repE0EEENS1_30default_config_static_selectorELNS0_4arch9wavefront6targetE0EEEvT1_
                                        ; -- End function
	.set _ZN7rocprim17ROCPRIM_400000_NS6detail17trampoline_kernelINS0_14default_configENS1_27scan_by_key_config_selectorIifEEZZNS1_16scan_by_key_implILNS1_25lookback_scan_determinismE0ELb1ES3_N6thrust23THRUST_200600_302600_NS6detail15normal_iteratorINS9_10device_ptrIiEEEENSB_INSC_IjEEEENSB_INSC_IfEEEEfNS9_4plusIvEENS9_8equal_toIvEEfEE10hipError_tPvRmT2_T3_T4_T5_mT6_T7_P12ihipStream_tbENKUlT_T0_E_clISt17integral_constantIbLb1EES13_EEDaSY_SZ_EUlSY_E_NS1_11comp_targetILNS1_3genE4ELNS1_11target_archE910ELNS1_3gpuE8ELNS1_3repE0EEENS1_30default_config_static_selectorELNS0_4arch9wavefront6targetE0EEEvT1_.num_vgpr, 0
	.set _ZN7rocprim17ROCPRIM_400000_NS6detail17trampoline_kernelINS0_14default_configENS1_27scan_by_key_config_selectorIifEEZZNS1_16scan_by_key_implILNS1_25lookback_scan_determinismE0ELb1ES3_N6thrust23THRUST_200600_302600_NS6detail15normal_iteratorINS9_10device_ptrIiEEEENSB_INSC_IjEEEENSB_INSC_IfEEEEfNS9_4plusIvEENS9_8equal_toIvEEfEE10hipError_tPvRmT2_T3_T4_T5_mT6_T7_P12ihipStream_tbENKUlT_T0_E_clISt17integral_constantIbLb1EES13_EEDaSY_SZ_EUlSY_E_NS1_11comp_targetILNS1_3genE4ELNS1_11target_archE910ELNS1_3gpuE8ELNS1_3repE0EEENS1_30default_config_static_selectorELNS0_4arch9wavefront6targetE0EEEvT1_.num_agpr, 0
	.set _ZN7rocprim17ROCPRIM_400000_NS6detail17trampoline_kernelINS0_14default_configENS1_27scan_by_key_config_selectorIifEEZZNS1_16scan_by_key_implILNS1_25lookback_scan_determinismE0ELb1ES3_N6thrust23THRUST_200600_302600_NS6detail15normal_iteratorINS9_10device_ptrIiEEEENSB_INSC_IjEEEENSB_INSC_IfEEEEfNS9_4plusIvEENS9_8equal_toIvEEfEE10hipError_tPvRmT2_T3_T4_T5_mT6_T7_P12ihipStream_tbENKUlT_T0_E_clISt17integral_constantIbLb1EES13_EEDaSY_SZ_EUlSY_E_NS1_11comp_targetILNS1_3genE4ELNS1_11target_archE910ELNS1_3gpuE8ELNS1_3repE0EEENS1_30default_config_static_selectorELNS0_4arch9wavefront6targetE0EEEvT1_.numbered_sgpr, 0
	.set _ZN7rocprim17ROCPRIM_400000_NS6detail17trampoline_kernelINS0_14default_configENS1_27scan_by_key_config_selectorIifEEZZNS1_16scan_by_key_implILNS1_25lookback_scan_determinismE0ELb1ES3_N6thrust23THRUST_200600_302600_NS6detail15normal_iteratorINS9_10device_ptrIiEEEENSB_INSC_IjEEEENSB_INSC_IfEEEEfNS9_4plusIvEENS9_8equal_toIvEEfEE10hipError_tPvRmT2_T3_T4_T5_mT6_T7_P12ihipStream_tbENKUlT_T0_E_clISt17integral_constantIbLb1EES13_EEDaSY_SZ_EUlSY_E_NS1_11comp_targetILNS1_3genE4ELNS1_11target_archE910ELNS1_3gpuE8ELNS1_3repE0EEENS1_30default_config_static_selectorELNS0_4arch9wavefront6targetE0EEEvT1_.num_named_barrier, 0
	.set _ZN7rocprim17ROCPRIM_400000_NS6detail17trampoline_kernelINS0_14default_configENS1_27scan_by_key_config_selectorIifEEZZNS1_16scan_by_key_implILNS1_25lookback_scan_determinismE0ELb1ES3_N6thrust23THRUST_200600_302600_NS6detail15normal_iteratorINS9_10device_ptrIiEEEENSB_INSC_IjEEEENSB_INSC_IfEEEEfNS9_4plusIvEENS9_8equal_toIvEEfEE10hipError_tPvRmT2_T3_T4_T5_mT6_T7_P12ihipStream_tbENKUlT_T0_E_clISt17integral_constantIbLb1EES13_EEDaSY_SZ_EUlSY_E_NS1_11comp_targetILNS1_3genE4ELNS1_11target_archE910ELNS1_3gpuE8ELNS1_3repE0EEENS1_30default_config_static_selectorELNS0_4arch9wavefront6targetE0EEEvT1_.private_seg_size, 0
	.set _ZN7rocprim17ROCPRIM_400000_NS6detail17trampoline_kernelINS0_14default_configENS1_27scan_by_key_config_selectorIifEEZZNS1_16scan_by_key_implILNS1_25lookback_scan_determinismE0ELb1ES3_N6thrust23THRUST_200600_302600_NS6detail15normal_iteratorINS9_10device_ptrIiEEEENSB_INSC_IjEEEENSB_INSC_IfEEEEfNS9_4plusIvEENS9_8equal_toIvEEfEE10hipError_tPvRmT2_T3_T4_T5_mT6_T7_P12ihipStream_tbENKUlT_T0_E_clISt17integral_constantIbLb1EES13_EEDaSY_SZ_EUlSY_E_NS1_11comp_targetILNS1_3genE4ELNS1_11target_archE910ELNS1_3gpuE8ELNS1_3repE0EEENS1_30default_config_static_selectorELNS0_4arch9wavefront6targetE0EEEvT1_.uses_vcc, 0
	.set _ZN7rocprim17ROCPRIM_400000_NS6detail17trampoline_kernelINS0_14default_configENS1_27scan_by_key_config_selectorIifEEZZNS1_16scan_by_key_implILNS1_25lookback_scan_determinismE0ELb1ES3_N6thrust23THRUST_200600_302600_NS6detail15normal_iteratorINS9_10device_ptrIiEEEENSB_INSC_IjEEEENSB_INSC_IfEEEEfNS9_4plusIvEENS9_8equal_toIvEEfEE10hipError_tPvRmT2_T3_T4_T5_mT6_T7_P12ihipStream_tbENKUlT_T0_E_clISt17integral_constantIbLb1EES13_EEDaSY_SZ_EUlSY_E_NS1_11comp_targetILNS1_3genE4ELNS1_11target_archE910ELNS1_3gpuE8ELNS1_3repE0EEENS1_30default_config_static_selectorELNS0_4arch9wavefront6targetE0EEEvT1_.uses_flat_scratch, 0
	.set _ZN7rocprim17ROCPRIM_400000_NS6detail17trampoline_kernelINS0_14default_configENS1_27scan_by_key_config_selectorIifEEZZNS1_16scan_by_key_implILNS1_25lookback_scan_determinismE0ELb1ES3_N6thrust23THRUST_200600_302600_NS6detail15normal_iteratorINS9_10device_ptrIiEEEENSB_INSC_IjEEEENSB_INSC_IfEEEEfNS9_4plusIvEENS9_8equal_toIvEEfEE10hipError_tPvRmT2_T3_T4_T5_mT6_T7_P12ihipStream_tbENKUlT_T0_E_clISt17integral_constantIbLb1EES13_EEDaSY_SZ_EUlSY_E_NS1_11comp_targetILNS1_3genE4ELNS1_11target_archE910ELNS1_3gpuE8ELNS1_3repE0EEENS1_30default_config_static_selectorELNS0_4arch9wavefront6targetE0EEEvT1_.has_dyn_sized_stack, 0
	.set _ZN7rocprim17ROCPRIM_400000_NS6detail17trampoline_kernelINS0_14default_configENS1_27scan_by_key_config_selectorIifEEZZNS1_16scan_by_key_implILNS1_25lookback_scan_determinismE0ELb1ES3_N6thrust23THRUST_200600_302600_NS6detail15normal_iteratorINS9_10device_ptrIiEEEENSB_INSC_IjEEEENSB_INSC_IfEEEEfNS9_4plusIvEENS9_8equal_toIvEEfEE10hipError_tPvRmT2_T3_T4_T5_mT6_T7_P12ihipStream_tbENKUlT_T0_E_clISt17integral_constantIbLb1EES13_EEDaSY_SZ_EUlSY_E_NS1_11comp_targetILNS1_3genE4ELNS1_11target_archE910ELNS1_3gpuE8ELNS1_3repE0EEENS1_30default_config_static_selectorELNS0_4arch9wavefront6targetE0EEEvT1_.has_recursion, 0
	.set _ZN7rocprim17ROCPRIM_400000_NS6detail17trampoline_kernelINS0_14default_configENS1_27scan_by_key_config_selectorIifEEZZNS1_16scan_by_key_implILNS1_25lookback_scan_determinismE0ELb1ES3_N6thrust23THRUST_200600_302600_NS6detail15normal_iteratorINS9_10device_ptrIiEEEENSB_INSC_IjEEEENSB_INSC_IfEEEEfNS9_4plusIvEENS9_8equal_toIvEEfEE10hipError_tPvRmT2_T3_T4_T5_mT6_T7_P12ihipStream_tbENKUlT_T0_E_clISt17integral_constantIbLb1EES13_EEDaSY_SZ_EUlSY_E_NS1_11comp_targetILNS1_3genE4ELNS1_11target_archE910ELNS1_3gpuE8ELNS1_3repE0EEENS1_30default_config_static_selectorELNS0_4arch9wavefront6targetE0EEEvT1_.has_indirect_call, 0
	.section	.AMDGPU.csdata,"",@progbits
; Kernel info:
; codeLenInByte = 0
; TotalNumSgprs: 0
; NumVgprs: 0
; ScratchSize: 0
; MemoryBound: 0
; FloatMode: 240
; IeeeMode: 1
; LDSByteSize: 0 bytes/workgroup (compile time only)
; SGPRBlocks: 0
; VGPRBlocks: 0
; NumSGPRsForWavesPerEU: 1
; NumVGPRsForWavesPerEU: 1
; NamedBarCnt: 0
; Occupancy: 16
; WaveLimiterHint : 0
; COMPUTE_PGM_RSRC2:SCRATCH_EN: 0
; COMPUTE_PGM_RSRC2:USER_SGPR: 2
; COMPUTE_PGM_RSRC2:TRAP_HANDLER: 0
; COMPUTE_PGM_RSRC2:TGID_X_EN: 1
; COMPUTE_PGM_RSRC2:TGID_Y_EN: 0
; COMPUTE_PGM_RSRC2:TGID_Z_EN: 0
; COMPUTE_PGM_RSRC2:TIDIG_COMP_CNT: 0
	.section	.text._ZN7rocprim17ROCPRIM_400000_NS6detail17trampoline_kernelINS0_14default_configENS1_27scan_by_key_config_selectorIifEEZZNS1_16scan_by_key_implILNS1_25lookback_scan_determinismE0ELb1ES3_N6thrust23THRUST_200600_302600_NS6detail15normal_iteratorINS9_10device_ptrIiEEEENSB_INSC_IjEEEENSB_INSC_IfEEEEfNS9_4plusIvEENS9_8equal_toIvEEfEE10hipError_tPvRmT2_T3_T4_T5_mT6_T7_P12ihipStream_tbENKUlT_T0_E_clISt17integral_constantIbLb1EES13_EEDaSY_SZ_EUlSY_E_NS1_11comp_targetILNS1_3genE3ELNS1_11target_archE908ELNS1_3gpuE7ELNS1_3repE0EEENS1_30default_config_static_selectorELNS0_4arch9wavefront6targetE0EEEvT1_,"axG",@progbits,_ZN7rocprim17ROCPRIM_400000_NS6detail17trampoline_kernelINS0_14default_configENS1_27scan_by_key_config_selectorIifEEZZNS1_16scan_by_key_implILNS1_25lookback_scan_determinismE0ELb1ES3_N6thrust23THRUST_200600_302600_NS6detail15normal_iteratorINS9_10device_ptrIiEEEENSB_INSC_IjEEEENSB_INSC_IfEEEEfNS9_4plusIvEENS9_8equal_toIvEEfEE10hipError_tPvRmT2_T3_T4_T5_mT6_T7_P12ihipStream_tbENKUlT_T0_E_clISt17integral_constantIbLb1EES13_EEDaSY_SZ_EUlSY_E_NS1_11comp_targetILNS1_3genE3ELNS1_11target_archE908ELNS1_3gpuE7ELNS1_3repE0EEENS1_30default_config_static_selectorELNS0_4arch9wavefront6targetE0EEEvT1_,comdat
	.protected	_ZN7rocprim17ROCPRIM_400000_NS6detail17trampoline_kernelINS0_14default_configENS1_27scan_by_key_config_selectorIifEEZZNS1_16scan_by_key_implILNS1_25lookback_scan_determinismE0ELb1ES3_N6thrust23THRUST_200600_302600_NS6detail15normal_iteratorINS9_10device_ptrIiEEEENSB_INSC_IjEEEENSB_INSC_IfEEEEfNS9_4plusIvEENS9_8equal_toIvEEfEE10hipError_tPvRmT2_T3_T4_T5_mT6_T7_P12ihipStream_tbENKUlT_T0_E_clISt17integral_constantIbLb1EES13_EEDaSY_SZ_EUlSY_E_NS1_11comp_targetILNS1_3genE3ELNS1_11target_archE908ELNS1_3gpuE7ELNS1_3repE0EEENS1_30default_config_static_selectorELNS0_4arch9wavefront6targetE0EEEvT1_ ; -- Begin function _ZN7rocprim17ROCPRIM_400000_NS6detail17trampoline_kernelINS0_14default_configENS1_27scan_by_key_config_selectorIifEEZZNS1_16scan_by_key_implILNS1_25lookback_scan_determinismE0ELb1ES3_N6thrust23THRUST_200600_302600_NS6detail15normal_iteratorINS9_10device_ptrIiEEEENSB_INSC_IjEEEENSB_INSC_IfEEEEfNS9_4plusIvEENS9_8equal_toIvEEfEE10hipError_tPvRmT2_T3_T4_T5_mT6_T7_P12ihipStream_tbENKUlT_T0_E_clISt17integral_constantIbLb1EES13_EEDaSY_SZ_EUlSY_E_NS1_11comp_targetILNS1_3genE3ELNS1_11target_archE908ELNS1_3gpuE7ELNS1_3repE0EEENS1_30default_config_static_selectorELNS0_4arch9wavefront6targetE0EEEvT1_
	.globl	_ZN7rocprim17ROCPRIM_400000_NS6detail17trampoline_kernelINS0_14default_configENS1_27scan_by_key_config_selectorIifEEZZNS1_16scan_by_key_implILNS1_25lookback_scan_determinismE0ELb1ES3_N6thrust23THRUST_200600_302600_NS6detail15normal_iteratorINS9_10device_ptrIiEEEENSB_INSC_IjEEEENSB_INSC_IfEEEEfNS9_4plusIvEENS9_8equal_toIvEEfEE10hipError_tPvRmT2_T3_T4_T5_mT6_T7_P12ihipStream_tbENKUlT_T0_E_clISt17integral_constantIbLb1EES13_EEDaSY_SZ_EUlSY_E_NS1_11comp_targetILNS1_3genE3ELNS1_11target_archE908ELNS1_3gpuE7ELNS1_3repE0EEENS1_30default_config_static_selectorELNS0_4arch9wavefront6targetE0EEEvT1_
	.p2align	8
	.type	_ZN7rocprim17ROCPRIM_400000_NS6detail17trampoline_kernelINS0_14default_configENS1_27scan_by_key_config_selectorIifEEZZNS1_16scan_by_key_implILNS1_25lookback_scan_determinismE0ELb1ES3_N6thrust23THRUST_200600_302600_NS6detail15normal_iteratorINS9_10device_ptrIiEEEENSB_INSC_IjEEEENSB_INSC_IfEEEEfNS9_4plusIvEENS9_8equal_toIvEEfEE10hipError_tPvRmT2_T3_T4_T5_mT6_T7_P12ihipStream_tbENKUlT_T0_E_clISt17integral_constantIbLb1EES13_EEDaSY_SZ_EUlSY_E_NS1_11comp_targetILNS1_3genE3ELNS1_11target_archE908ELNS1_3gpuE7ELNS1_3repE0EEENS1_30default_config_static_selectorELNS0_4arch9wavefront6targetE0EEEvT1_,@function
_ZN7rocprim17ROCPRIM_400000_NS6detail17trampoline_kernelINS0_14default_configENS1_27scan_by_key_config_selectorIifEEZZNS1_16scan_by_key_implILNS1_25lookback_scan_determinismE0ELb1ES3_N6thrust23THRUST_200600_302600_NS6detail15normal_iteratorINS9_10device_ptrIiEEEENSB_INSC_IjEEEENSB_INSC_IfEEEEfNS9_4plusIvEENS9_8equal_toIvEEfEE10hipError_tPvRmT2_T3_T4_T5_mT6_T7_P12ihipStream_tbENKUlT_T0_E_clISt17integral_constantIbLb1EES13_EEDaSY_SZ_EUlSY_E_NS1_11comp_targetILNS1_3genE3ELNS1_11target_archE908ELNS1_3gpuE7ELNS1_3repE0EEENS1_30default_config_static_selectorELNS0_4arch9wavefront6targetE0EEEvT1_: ; @_ZN7rocprim17ROCPRIM_400000_NS6detail17trampoline_kernelINS0_14default_configENS1_27scan_by_key_config_selectorIifEEZZNS1_16scan_by_key_implILNS1_25lookback_scan_determinismE0ELb1ES3_N6thrust23THRUST_200600_302600_NS6detail15normal_iteratorINS9_10device_ptrIiEEEENSB_INSC_IjEEEENSB_INSC_IfEEEEfNS9_4plusIvEENS9_8equal_toIvEEfEE10hipError_tPvRmT2_T3_T4_T5_mT6_T7_P12ihipStream_tbENKUlT_T0_E_clISt17integral_constantIbLb1EES13_EEDaSY_SZ_EUlSY_E_NS1_11comp_targetILNS1_3genE3ELNS1_11target_archE908ELNS1_3gpuE7ELNS1_3repE0EEENS1_30default_config_static_selectorELNS0_4arch9wavefront6targetE0EEEvT1_
; %bb.0:
	.section	.rodata,"a",@progbits
	.p2align	6, 0x0
	.amdhsa_kernel _ZN7rocprim17ROCPRIM_400000_NS6detail17trampoline_kernelINS0_14default_configENS1_27scan_by_key_config_selectorIifEEZZNS1_16scan_by_key_implILNS1_25lookback_scan_determinismE0ELb1ES3_N6thrust23THRUST_200600_302600_NS6detail15normal_iteratorINS9_10device_ptrIiEEEENSB_INSC_IjEEEENSB_INSC_IfEEEEfNS9_4plusIvEENS9_8equal_toIvEEfEE10hipError_tPvRmT2_T3_T4_T5_mT6_T7_P12ihipStream_tbENKUlT_T0_E_clISt17integral_constantIbLb1EES13_EEDaSY_SZ_EUlSY_E_NS1_11comp_targetILNS1_3genE3ELNS1_11target_archE908ELNS1_3gpuE7ELNS1_3repE0EEENS1_30default_config_static_selectorELNS0_4arch9wavefront6targetE0EEEvT1_
		.amdhsa_group_segment_fixed_size 0
		.amdhsa_private_segment_fixed_size 0
		.amdhsa_kernarg_size 112
		.amdhsa_user_sgpr_count 2
		.amdhsa_user_sgpr_dispatch_ptr 0
		.amdhsa_user_sgpr_queue_ptr 0
		.amdhsa_user_sgpr_kernarg_segment_ptr 1
		.amdhsa_user_sgpr_dispatch_id 0
		.amdhsa_user_sgpr_kernarg_preload_length 0
		.amdhsa_user_sgpr_kernarg_preload_offset 0
		.amdhsa_user_sgpr_private_segment_size 0
		.amdhsa_wavefront_size32 1
		.amdhsa_uses_dynamic_stack 0
		.amdhsa_enable_private_segment 0
		.amdhsa_system_sgpr_workgroup_id_x 1
		.amdhsa_system_sgpr_workgroup_id_y 0
		.amdhsa_system_sgpr_workgroup_id_z 0
		.amdhsa_system_sgpr_workgroup_info 0
		.amdhsa_system_vgpr_workitem_id 0
		.amdhsa_next_free_vgpr 1
		.amdhsa_next_free_sgpr 1
		.amdhsa_named_barrier_count 0
		.amdhsa_reserve_vcc 0
		.amdhsa_float_round_mode_32 0
		.amdhsa_float_round_mode_16_64 0
		.amdhsa_float_denorm_mode_32 3
		.amdhsa_float_denorm_mode_16_64 3
		.amdhsa_fp16_overflow 0
		.amdhsa_memory_ordered 1
		.amdhsa_forward_progress 1
		.amdhsa_inst_pref_size 0
		.amdhsa_round_robin_scheduling 0
		.amdhsa_exception_fp_ieee_invalid_op 0
		.amdhsa_exception_fp_denorm_src 0
		.amdhsa_exception_fp_ieee_div_zero 0
		.amdhsa_exception_fp_ieee_overflow 0
		.amdhsa_exception_fp_ieee_underflow 0
		.amdhsa_exception_fp_ieee_inexact 0
		.amdhsa_exception_int_div_zero 0
	.end_amdhsa_kernel
	.section	.text._ZN7rocprim17ROCPRIM_400000_NS6detail17trampoline_kernelINS0_14default_configENS1_27scan_by_key_config_selectorIifEEZZNS1_16scan_by_key_implILNS1_25lookback_scan_determinismE0ELb1ES3_N6thrust23THRUST_200600_302600_NS6detail15normal_iteratorINS9_10device_ptrIiEEEENSB_INSC_IjEEEENSB_INSC_IfEEEEfNS9_4plusIvEENS9_8equal_toIvEEfEE10hipError_tPvRmT2_T3_T4_T5_mT6_T7_P12ihipStream_tbENKUlT_T0_E_clISt17integral_constantIbLb1EES13_EEDaSY_SZ_EUlSY_E_NS1_11comp_targetILNS1_3genE3ELNS1_11target_archE908ELNS1_3gpuE7ELNS1_3repE0EEENS1_30default_config_static_selectorELNS0_4arch9wavefront6targetE0EEEvT1_,"axG",@progbits,_ZN7rocprim17ROCPRIM_400000_NS6detail17trampoline_kernelINS0_14default_configENS1_27scan_by_key_config_selectorIifEEZZNS1_16scan_by_key_implILNS1_25lookback_scan_determinismE0ELb1ES3_N6thrust23THRUST_200600_302600_NS6detail15normal_iteratorINS9_10device_ptrIiEEEENSB_INSC_IjEEEENSB_INSC_IfEEEEfNS9_4plusIvEENS9_8equal_toIvEEfEE10hipError_tPvRmT2_T3_T4_T5_mT6_T7_P12ihipStream_tbENKUlT_T0_E_clISt17integral_constantIbLb1EES13_EEDaSY_SZ_EUlSY_E_NS1_11comp_targetILNS1_3genE3ELNS1_11target_archE908ELNS1_3gpuE7ELNS1_3repE0EEENS1_30default_config_static_selectorELNS0_4arch9wavefront6targetE0EEEvT1_,comdat
.Lfunc_end1693:
	.size	_ZN7rocprim17ROCPRIM_400000_NS6detail17trampoline_kernelINS0_14default_configENS1_27scan_by_key_config_selectorIifEEZZNS1_16scan_by_key_implILNS1_25lookback_scan_determinismE0ELb1ES3_N6thrust23THRUST_200600_302600_NS6detail15normal_iteratorINS9_10device_ptrIiEEEENSB_INSC_IjEEEENSB_INSC_IfEEEEfNS9_4plusIvEENS9_8equal_toIvEEfEE10hipError_tPvRmT2_T3_T4_T5_mT6_T7_P12ihipStream_tbENKUlT_T0_E_clISt17integral_constantIbLb1EES13_EEDaSY_SZ_EUlSY_E_NS1_11comp_targetILNS1_3genE3ELNS1_11target_archE908ELNS1_3gpuE7ELNS1_3repE0EEENS1_30default_config_static_selectorELNS0_4arch9wavefront6targetE0EEEvT1_, .Lfunc_end1693-_ZN7rocprim17ROCPRIM_400000_NS6detail17trampoline_kernelINS0_14default_configENS1_27scan_by_key_config_selectorIifEEZZNS1_16scan_by_key_implILNS1_25lookback_scan_determinismE0ELb1ES3_N6thrust23THRUST_200600_302600_NS6detail15normal_iteratorINS9_10device_ptrIiEEEENSB_INSC_IjEEEENSB_INSC_IfEEEEfNS9_4plusIvEENS9_8equal_toIvEEfEE10hipError_tPvRmT2_T3_T4_T5_mT6_T7_P12ihipStream_tbENKUlT_T0_E_clISt17integral_constantIbLb1EES13_EEDaSY_SZ_EUlSY_E_NS1_11comp_targetILNS1_3genE3ELNS1_11target_archE908ELNS1_3gpuE7ELNS1_3repE0EEENS1_30default_config_static_selectorELNS0_4arch9wavefront6targetE0EEEvT1_
                                        ; -- End function
	.set _ZN7rocprim17ROCPRIM_400000_NS6detail17trampoline_kernelINS0_14default_configENS1_27scan_by_key_config_selectorIifEEZZNS1_16scan_by_key_implILNS1_25lookback_scan_determinismE0ELb1ES3_N6thrust23THRUST_200600_302600_NS6detail15normal_iteratorINS9_10device_ptrIiEEEENSB_INSC_IjEEEENSB_INSC_IfEEEEfNS9_4plusIvEENS9_8equal_toIvEEfEE10hipError_tPvRmT2_T3_T4_T5_mT6_T7_P12ihipStream_tbENKUlT_T0_E_clISt17integral_constantIbLb1EES13_EEDaSY_SZ_EUlSY_E_NS1_11comp_targetILNS1_3genE3ELNS1_11target_archE908ELNS1_3gpuE7ELNS1_3repE0EEENS1_30default_config_static_selectorELNS0_4arch9wavefront6targetE0EEEvT1_.num_vgpr, 0
	.set _ZN7rocprim17ROCPRIM_400000_NS6detail17trampoline_kernelINS0_14default_configENS1_27scan_by_key_config_selectorIifEEZZNS1_16scan_by_key_implILNS1_25lookback_scan_determinismE0ELb1ES3_N6thrust23THRUST_200600_302600_NS6detail15normal_iteratorINS9_10device_ptrIiEEEENSB_INSC_IjEEEENSB_INSC_IfEEEEfNS9_4plusIvEENS9_8equal_toIvEEfEE10hipError_tPvRmT2_T3_T4_T5_mT6_T7_P12ihipStream_tbENKUlT_T0_E_clISt17integral_constantIbLb1EES13_EEDaSY_SZ_EUlSY_E_NS1_11comp_targetILNS1_3genE3ELNS1_11target_archE908ELNS1_3gpuE7ELNS1_3repE0EEENS1_30default_config_static_selectorELNS0_4arch9wavefront6targetE0EEEvT1_.num_agpr, 0
	.set _ZN7rocprim17ROCPRIM_400000_NS6detail17trampoline_kernelINS0_14default_configENS1_27scan_by_key_config_selectorIifEEZZNS1_16scan_by_key_implILNS1_25lookback_scan_determinismE0ELb1ES3_N6thrust23THRUST_200600_302600_NS6detail15normal_iteratorINS9_10device_ptrIiEEEENSB_INSC_IjEEEENSB_INSC_IfEEEEfNS9_4plusIvEENS9_8equal_toIvEEfEE10hipError_tPvRmT2_T3_T4_T5_mT6_T7_P12ihipStream_tbENKUlT_T0_E_clISt17integral_constantIbLb1EES13_EEDaSY_SZ_EUlSY_E_NS1_11comp_targetILNS1_3genE3ELNS1_11target_archE908ELNS1_3gpuE7ELNS1_3repE0EEENS1_30default_config_static_selectorELNS0_4arch9wavefront6targetE0EEEvT1_.numbered_sgpr, 0
	.set _ZN7rocprim17ROCPRIM_400000_NS6detail17trampoline_kernelINS0_14default_configENS1_27scan_by_key_config_selectorIifEEZZNS1_16scan_by_key_implILNS1_25lookback_scan_determinismE0ELb1ES3_N6thrust23THRUST_200600_302600_NS6detail15normal_iteratorINS9_10device_ptrIiEEEENSB_INSC_IjEEEENSB_INSC_IfEEEEfNS9_4plusIvEENS9_8equal_toIvEEfEE10hipError_tPvRmT2_T3_T4_T5_mT6_T7_P12ihipStream_tbENKUlT_T0_E_clISt17integral_constantIbLb1EES13_EEDaSY_SZ_EUlSY_E_NS1_11comp_targetILNS1_3genE3ELNS1_11target_archE908ELNS1_3gpuE7ELNS1_3repE0EEENS1_30default_config_static_selectorELNS0_4arch9wavefront6targetE0EEEvT1_.num_named_barrier, 0
	.set _ZN7rocprim17ROCPRIM_400000_NS6detail17trampoline_kernelINS0_14default_configENS1_27scan_by_key_config_selectorIifEEZZNS1_16scan_by_key_implILNS1_25lookback_scan_determinismE0ELb1ES3_N6thrust23THRUST_200600_302600_NS6detail15normal_iteratorINS9_10device_ptrIiEEEENSB_INSC_IjEEEENSB_INSC_IfEEEEfNS9_4plusIvEENS9_8equal_toIvEEfEE10hipError_tPvRmT2_T3_T4_T5_mT6_T7_P12ihipStream_tbENKUlT_T0_E_clISt17integral_constantIbLb1EES13_EEDaSY_SZ_EUlSY_E_NS1_11comp_targetILNS1_3genE3ELNS1_11target_archE908ELNS1_3gpuE7ELNS1_3repE0EEENS1_30default_config_static_selectorELNS0_4arch9wavefront6targetE0EEEvT1_.private_seg_size, 0
	.set _ZN7rocprim17ROCPRIM_400000_NS6detail17trampoline_kernelINS0_14default_configENS1_27scan_by_key_config_selectorIifEEZZNS1_16scan_by_key_implILNS1_25lookback_scan_determinismE0ELb1ES3_N6thrust23THRUST_200600_302600_NS6detail15normal_iteratorINS9_10device_ptrIiEEEENSB_INSC_IjEEEENSB_INSC_IfEEEEfNS9_4plusIvEENS9_8equal_toIvEEfEE10hipError_tPvRmT2_T3_T4_T5_mT6_T7_P12ihipStream_tbENKUlT_T0_E_clISt17integral_constantIbLb1EES13_EEDaSY_SZ_EUlSY_E_NS1_11comp_targetILNS1_3genE3ELNS1_11target_archE908ELNS1_3gpuE7ELNS1_3repE0EEENS1_30default_config_static_selectorELNS0_4arch9wavefront6targetE0EEEvT1_.uses_vcc, 0
	.set _ZN7rocprim17ROCPRIM_400000_NS6detail17trampoline_kernelINS0_14default_configENS1_27scan_by_key_config_selectorIifEEZZNS1_16scan_by_key_implILNS1_25lookback_scan_determinismE0ELb1ES3_N6thrust23THRUST_200600_302600_NS6detail15normal_iteratorINS9_10device_ptrIiEEEENSB_INSC_IjEEEENSB_INSC_IfEEEEfNS9_4plusIvEENS9_8equal_toIvEEfEE10hipError_tPvRmT2_T3_T4_T5_mT6_T7_P12ihipStream_tbENKUlT_T0_E_clISt17integral_constantIbLb1EES13_EEDaSY_SZ_EUlSY_E_NS1_11comp_targetILNS1_3genE3ELNS1_11target_archE908ELNS1_3gpuE7ELNS1_3repE0EEENS1_30default_config_static_selectorELNS0_4arch9wavefront6targetE0EEEvT1_.uses_flat_scratch, 0
	.set _ZN7rocprim17ROCPRIM_400000_NS6detail17trampoline_kernelINS0_14default_configENS1_27scan_by_key_config_selectorIifEEZZNS1_16scan_by_key_implILNS1_25lookback_scan_determinismE0ELb1ES3_N6thrust23THRUST_200600_302600_NS6detail15normal_iteratorINS9_10device_ptrIiEEEENSB_INSC_IjEEEENSB_INSC_IfEEEEfNS9_4plusIvEENS9_8equal_toIvEEfEE10hipError_tPvRmT2_T3_T4_T5_mT6_T7_P12ihipStream_tbENKUlT_T0_E_clISt17integral_constantIbLb1EES13_EEDaSY_SZ_EUlSY_E_NS1_11comp_targetILNS1_3genE3ELNS1_11target_archE908ELNS1_3gpuE7ELNS1_3repE0EEENS1_30default_config_static_selectorELNS0_4arch9wavefront6targetE0EEEvT1_.has_dyn_sized_stack, 0
	.set _ZN7rocprim17ROCPRIM_400000_NS6detail17trampoline_kernelINS0_14default_configENS1_27scan_by_key_config_selectorIifEEZZNS1_16scan_by_key_implILNS1_25lookback_scan_determinismE0ELb1ES3_N6thrust23THRUST_200600_302600_NS6detail15normal_iteratorINS9_10device_ptrIiEEEENSB_INSC_IjEEEENSB_INSC_IfEEEEfNS9_4plusIvEENS9_8equal_toIvEEfEE10hipError_tPvRmT2_T3_T4_T5_mT6_T7_P12ihipStream_tbENKUlT_T0_E_clISt17integral_constantIbLb1EES13_EEDaSY_SZ_EUlSY_E_NS1_11comp_targetILNS1_3genE3ELNS1_11target_archE908ELNS1_3gpuE7ELNS1_3repE0EEENS1_30default_config_static_selectorELNS0_4arch9wavefront6targetE0EEEvT1_.has_recursion, 0
	.set _ZN7rocprim17ROCPRIM_400000_NS6detail17trampoline_kernelINS0_14default_configENS1_27scan_by_key_config_selectorIifEEZZNS1_16scan_by_key_implILNS1_25lookback_scan_determinismE0ELb1ES3_N6thrust23THRUST_200600_302600_NS6detail15normal_iteratorINS9_10device_ptrIiEEEENSB_INSC_IjEEEENSB_INSC_IfEEEEfNS9_4plusIvEENS9_8equal_toIvEEfEE10hipError_tPvRmT2_T3_T4_T5_mT6_T7_P12ihipStream_tbENKUlT_T0_E_clISt17integral_constantIbLb1EES13_EEDaSY_SZ_EUlSY_E_NS1_11comp_targetILNS1_3genE3ELNS1_11target_archE908ELNS1_3gpuE7ELNS1_3repE0EEENS1_30default_config_static_selectorELNS0_4arch9wavefront6targetE0EEEvT1_.has_indirect_call, 0
	.section	.AMDGPU.csdata,"",@progbits
; Kernel info:
; codeLenInByte = 0
; TotalNumSgprs: 0
; NumVgprs: 0
; ScratchSize: 0
; MemoryBound: 0
; FloatMode: 240
; IeeeMode: 1
; LDSByteSize: 0 bytes/workgroup (compile time only)
; SGPRBlocks: 0
; VGPRBlocks: 0
; NumSGPRsForWavesPerEU: 1
; NumVGPRsForWavesPerEU: 1
; NamedBarCnt: 0
; Occupancy: 16
; WaveLimiterHint : 0
; COMPUTE_PGM_RSRC2:SCRATCH_EN: 0
; COMPUTE_PGM_RSRC2:USER_SGPR: 2
; COMPUTE_PGM_RSRC2:TRAP_HANDLER: 0
; COMPUTE_PGM_RSRC2:TGID_X_EN: 1
; COMPUTE_PGM_RSRC2:TGID_Y_EN: 0
; COMPUTE_PGM_RSRC2:TGID_Z_EN: 0
; COMPUTE_PGM_RSRC2:TIDIG_COMP_CNT: 0
	.section	.text._ZN7rocprim17ROCPRIM_400000_NS6detail17trampoline_kernelINS0_14default_configENS1_27scan_by_key_config_selectorIifEEZZNS1_16scan_by_key_implILNS1_25lookback_scan_determinismE0ELb1ES3_N6thrust23THRUST_200600_302600_NS6detail15normal_iteratorINS9_10device_ptrIiEEEENSB_INSC_IjEEEENSB_INSC_IfEEEEfNS9_4plusIvEENS9_8equal_toIvEEfEE10hipError_tPvRmT2_T3_T4_T5_mT6_T7_P12ihipStream_tbENKUlT_T0_E_clISt17integral_constantIbLb1EES13_EEDaSY_SZ_EUlSY_E_NS1_11comp_targetILNS1_3genE2ELNS1_11target_archE906ELNS1_3gpuE6ELNS1_3repE0EEENS1_30default_config_static_selectorELNS0_4arch9wavefront6targetE0EEEvT1_,"axG",@progbits,_ZN7rocprim17ROCPRIM_400000_NS6detail17trampoline_kernelINS0_14default_configENS1_27scan_by_key_config_selectorIifEEZZNS1_16scan_by_key_implILNS1_25lookback_scan_determinismE0ELb1ES3_N6thrust23THRUST_200600_302600_NS6detail15normal_iteratorINS9_10device_ptrIiEEEENSB_INSC_IjEEEENSB_INSC_IfEEEEfNS9_4plusIvEENS9_8equal_toIvEEfEE10hipError_tPvRmT2_T3_T4_T5_mT6_T7_P12ihipStream_tbENKUlT_T0_E_clISt17integral_constantIbLb1EES13_EEDaSY_SZ_EUlSY_E_NS1_11comp_targetILNS1_3genE2ELNS1_11target_archE906ELNS1_3gpuE6ELNS1_3repE0EEENS1_30default_config_static_selectorELNS0_4arch9wavefront6targetE0EEEvT1_,comdat
	.protected	_ZN7rocprim17ROCPRIM_400000_NS6detail17trampoline_kernelINS0_14default_configENS1_27scan_by_key_config_selectorIifEEZZNS1_16scan_by_key_implILNS1_25lookback_scan_determinismE0ELb1ES3_N6thrust23THRUST_200600_302600_NS6detail15normal_iteratorINS9_10device_ptrIiEEEENSB_INSC_IjEEEENSB_INSC_IfEEEEfNS9_4plusIvEENS9_8equal_toIvEEfEE10hipError_tPvRmT2_T3_T4_T5_mT6_T7_P12ihipStream_tbENKUlT_T0_E_clISt17integral_constantIbLb1EES13_EEDaSY_SZ_EUlSY_E_NS1_11comp_targetILNS1_3genE2ELNS1_11target_archE906ELNS1_3gpuE6ELNS1_3repE0EEENS1_30default_config_static_selectorELNS0_4arch9wavefront6targetE0EEEvT1_ ; -- Begin function _ZN7rocprim17ROCPRIM_400000_NS6detail17trampoline_kernelINS0_14default_configENS1_27scan_by_key_config_selectorIifEEZZNS1_16scan_by_key_implILNS1_25lookback_scan_determinismE0ELb1ES3_N6thrust23THRUST_200600_302600_NS6detail15normal_iteratorINS9_10device_ptrIiEEEENSB_INSC_IjEEEENSB_INSC_IfEEEEfNS9_4plusIvEENS9_8equal_toIvEEfEE10hipError_tPvRmT2_T3_T4_T5_mT6_T7_P12ihipStream_tbENKUlT_T0_E_clISt17integral_constantIbLb1EES13_EEDaSY_SZ_EUlSY_E_NS1_11comp_targetILNS1_3genE2ELNS1_11target_archE906ELNS1_3gpuE6ELNS1_3repE0EEENS1_30default_config_static_selectorELNS0_4arch9wavefront6targetE0EEEvT1_
	.globl	_ZN7rocprim17ROCPRIM_400000_NS6detail17trampoline_kernelINS0_14default_configENS1_27scan_by_key_config_selectorIifEEZZNS1_16scan_by_key_implILNS1_25lookback_scan_determinismE0ELb1ES3_N6thrust23THRUST_200600_302600_NS6detail15normal_iteratorINS9_10device_ptrIiEEEENSB_INSC_IjEEEENSB_INSC_IfEEEEfNS9_4plusIvEENS9_8equal_toIvEEfEE10hipError_tPvRmT2_T3_T4_T5_mT6_T7_P12ihipStream_tbENKUlT_T0_E_clISt17integral_constantIbLb1EES13_EEDaSY_SZ_EUlSY_E_NS1_11comp_targetILNS1_3genE2ELNS1_11target_archE906ELNS1_3gpuE6ELNS1_3repE0EEENS1_30default_config_static_selectorELNS0_4arch9wavefront6targetE0EEEvT1_
	.p2align	8
	.type	_ZN7rocprim17ROCPRIM_400000_NS6detail17trampoline_kernelINS0_14default_configENS1_27scan_by_key_config_selectorIifEEZZNS1_16scan_by_key_implILNS1_25lookback_scan_determinismE0ELb1ES3_N6thrust23THRUST_200600_302600_NS6detail15normal_iteratorINS9_10device_ptrIiEEEENSB_INSC_IjEEEENSB_INSC_IfEEEEfNS9_4plusIvEENS9_8equal_toIvEEfEE10hipError_tPvRmT2_T3_T4_T5_mT6_T7_P12ihipStream_tbENKUlT_T0_E_clISt17integral_constantIbLb1EES13_EEDaSY_SZ_EUlSY_E_NS1_11comp_targetILNS1_3genE2ELNS1_11target_archE906ELNS1_3gpuE6ELNS1_3repE0EEENS1_30default_config_static_selectorELNS0_4arch9wavefront6targetE0EEEvT1_,@function
_ZN7rocprim17ROCPRIM_400000_NS6detail17trampoline_kernelINS0_14default_configENS1_27scan_by_key_config_selectorIifEEZZNS1_16scan_by_key_implILNS1_25lookback_scan_determinismE0ELb1ES3_N6thrust23THRUST_200600_302600_NS6detail15normal_iteratorINS9_10device_ptrIiEEEENSB_INSC_IjEEEENSB_INSC_IfEEEEfNS9_4plusIvEENS9_8equal_toIvEEfEE10hipError_tPvRmT2_T3_T4_T5_mT6_T7_P12ihipStream_tbENKUlT_T0_E_clISt17integral_constantIbLb1EES13_EEDaSY_SZ_EUlSY_E_NS1_11comp_targetILNS1_3genE2ELNS1_11target_archE906ELNS1_3gpuE6ELNS1_3repE0EEENS1_30default_config_static_selectorELNS0_4arch9wavefront6targetE0EEEvT1_: ; @_ZN7rocprim17ROCPRIM_400000_NS6detail17trampoline_kernelINS0_14default_configENS1_27scan_by_key_config_selectorIifEEZZNS1_16scan_by_key_implILNS1_25lookback_scan_determinismE0ELb1ES3_N6thrust23THRUST_200600_302600_NS6detail15normal_iteratorINS9_10device_ptrIiEEEENSB_INSC_IjEEEENSB_INSC_IfEEEEfNS9_4plusIvEENS9_8equal_toIvEEfEE10hipError_tPvRmT2_T3_T4_T5_mT6_T7_P12ihipStream_tbENKUlT_T0_E_clISt17integral_constantIbLb1EES13_EEDaSY_SZ_EUlSY_E_NS1_11comp_targetILNS1_3genE2ELNS1_11target_archE906ELNS1_3gpuE6ELNS1_3repE0EEENS1_30default_config_static_selectorELNS0_4arch9wavefront6targetE0EEEvT1_
; %bb.0:
	.section	.rodata,"a",@progbits
	.p2align	6, 0x0
	.amdhsa_kernel _ZN7rocprim17ROCPRIM_400000_NS6detail17trampoline_kernelINS0_14default_configENS1_27scan_by_key_config_selectorIifEEZZNS1_16scan_by_key_implILNS1_25lookback_scan_determinismE0ELb1ES3_N6thrust23THRUST_200600_302600_NS6detail15normal_iteratorINS9_10device_ptrIiEEEENSB_INSC_IjEEEENSB_INSC_IfEEEEfNS9_4plusIvEENS9_8equal_toIvEEfEE10hipError_tPvRmT2_T3_T4_T5_mT6_T7_P12ihipStream_tbENKUlT_T0_E_clISt17integral_constantIbLb1EES13_EEDaSY_SZ_EUlSY_E_NS1_11comp_targetILNS1_3genE2ELNS1_11target_archE906ELNS1_3gpuE6ELNS1_3repE0EEENS1_30default_config_static_selectorELNS0_4arch9wavefront6targetE0EEEvT1_
		.amdhsa_group_segment_fixed_size 0
		.amdhsa_private_segment_fixed_size 0
		.amdhsa_kernarg_size 112
		.amdhsa_user_sgpr_count 2
		.amdhsa_user_sgpr_dispatch_ptr 0
		.amdhsa_user_sgpr_queue_ptr 0
		.amdhsa_user_sgpr_kernarg_segment_ptr 1
		.amdhsa_user_sgpr_dispatch_id 0
		.amdhsa_user_sgpr_kernarg_preload_length 0
		.amdhsa_user_sgpr_kernarg_preload_offset 0
		.amdhsa_user_sgpr_private_segment_size 0
		.amdhsa_wavefront_size32 1
		.amdhsa_uses_dynamic_stack 0
		.amdhsa_enable_private_segment 0
		.amdhsa_system_sgpr_workgroup_id_x 1
		.amdhsa_system_sgpr_workgroup_id_y 0
		.amdhsa_system_sgpr_workgroup_id_z 0
		.amdhsa_system_sgpr_workgroup_info 0
		.amdhsa_system_vgpr_workitem_id 0
		.amdhsa_next_free_vgpr 1
		.amdhsa_next_free_sgpr 1
		.amdhsa_named_barrier_count 0
		.amdhsa_reserve_vcc 0
		.amdhsa_float_round_mode_32 0
		.amdhsa_float_round_mode_16_64 0
		.amdhsa_float_denorm_mode_32 3
		.amdhsa_float_denorm_mode_16_64 3
		.amdhsa_fp16_overflow 0
		.amdhsa_memory_ordered 1
		.amdhsa_forward_progress 1
		.amdhsa_inst_pref_size 0
		.amdhsa_round_robin_scheduling 0
		.amdhsa_exception_fp_ieee_invalid_op 0
		.amdhsa_exception_fp_denorm_src 0
		.amdhsa_exception_fp_ieee_div_zero 0
		.amdhsa_exception_fp_ieee_overflow 0
		.amdhsa_exception_fp_ieee_underflow 0
		.amdhsa_exception_fp_ieee_inexact 0
		.amdhsa_exception_int_div_zero 0
	.end_amdhsa_kernel
	.section	.text._ZN7rocprim17ROCPRIM_400000_NS6detail17trampoline_kernelINS0_14default_configENS1_27scan_by_key_config_selectorIifEEZZNS1_16scan_by_key_implILNS1_25lookback_scan_determinismE0ELb1ES3_N6thrust23THRUST_200600_302600_NS6detail15normal_iteratorINS9_10device_ptrIiEEEENSB_INSC_IjEEEENSB_INSC_IfEEEEfNS9_4plusIvEENS9_8equal_toIvEEfEE10hipError_tPvRmT2_T3_T4_T5_mT6_T7_P12ihipStream_tbENKUlT_T0_E_clISt17integral_constantIbLb1EES13_EEDaSY_SZ_EUlSY_E_NS1_11comp_targetILNS1_3genE2ELNS1_11target_archE906ELNS1_3gpuE6ELNS1_3repE0EEENS1_30default_config_static_selectorELNS0_4arch9wavefront6targetE0EEEvT1_,"axG",@progbits,_ZN7rocprim17ROCPRIM_400000_NS6detail17trampoline_kernelINS0_14default_configENS1_27scan_by_key_config_selectorIifEEZZNS1_16scan_by_key_implILNS1_25lookback_scan_determinismE0ELb1ES3_N6thrust23THRUST_200600_302600_NS6detail15normal_iteratorINS9_10device_ptrIiEEEENSB_INSC_IjEEEENSB_INSC_IfEEEEfNS9_4plusIvEENS9_8equal_toIvEEfEE10hipError_tPvRmT2_T3_T4_T5_mT6_T7_P12ihipStream_tbENKUlT_T0_E_clISt17integral_constantIbLb1EES13_EEDaSY_SZ_EUlSY_E_NS1_11comp_targetILNS1_3genE2ELNS1_11target_archE906ELNS1_3gpuE6ELNS1_3repE0EEENS1_30default_config_static_selectorELNS0_4arch9wavefront6targetE0EEEvT1_,comdat
.Lfunc_end1694:
	.size	_ZN7rocprim17ROCPRIM_400000_NS6detail17trampoline_kernelINS0_14default_configENS1_27scan_by_key_config_selectorIifEEZZNS1_16scan_by_key_implILNS1_25lookback_scan_determinismE0ELb1ES3_N6thrust23THRUST_200600_302600_NS6detail15normal_iteratorINS9_10device_ptrIiEEEENSB_INSC_IjEEEENSB_INSC_IfEEEEfNS9_4plusIvEENS9_8equal_toIvEEfEE10hipError_tPvRmT2_T3_T4_T5_mT6_T7_P12ihipStream_tbENKUlT_T0_E_clISt17integral_constantIbLb1EES13_EEDaSY_SZ_EUlSY_E_NS1_11comp_targetILNS1_3genE2ELNS1_11target_archE906ELNS1_3gpuE6ELNS1_3repE0EEENS1_30default_config_static_selectorELNS0_4arch9wavefront6targetE0EEEvT1_, .Lfunc_end1694-_ZN7rocprim17ROCPRIM_400000_NS6detail17trampoline_kernelINS0_14default_configENS1_27scan_by_key_config_selectorIifEEZZNS1_16scan_by_key_implILNS1_25lookback_scan_determinismE0ELb1ES3_N6thrust23THRUST_200600_302600_NS6detail15normal_iteratorINS9_10device_ptrIiEEEENSB_INSC_IjEEEENSB_INSC_IfEEEEfNS9_4plusIvEENS9_8equal_toIvEEfEE10hipError_tPvRmT2_T3_T4_T5_mT6_T7_P12ihipStream_tbENKUlT_T0_E_clISt17integral_constantIbLb1EES13_EEDaSY_SZ_EUlSY_E_NS1_11comp_targetILNS1_3genE2ELNS1_11target_archE906ELNS1_3gpuE6ELNS1_3repE0EEENS1_30default_config_static_selectorELNS0_4arch9wavefront6targetE0EEEvT1_
                                        ; -- End function
	.set _ZN7rocprim17ROCPRIM_400000_NS6detail17trampoline_kernelINS0_14default_configENS1_27scan_by_key_config_selectorIifEEZZNS1_16scan_by_key_implILNS1_25lookback_scan_determinismE0ELb1ES3_N6thrust23THRUST_200600_302600_NS6detail15normal_iteratorINS9_10device_ptrIiEEEENSB_INSC_IjEEEENSB_INSC_IfEEEEfNS9_4plusIvEENS9_8equal_toIvEEfEE10hipError_tPvRmT2_T3_T4_T5_mT6_T7_P12ihipStream_tbENKUlT_T0_E_clISt17integral_constantIbLb1EES13_EEDaSY_SZ_EUlSY_E_NS1_11comp_targetILNS1_3genE2ELNS1_11target_archE906ELNS1_3gpuE6ELNS1_3repE0EEENS1_30default_config_static_selectorELNS0_4arch9wavefront6targetE0EEEvT1_.num_vgpr, 0
	.set _ZN7rocprim17ROCPRIM_400000_NS6detail17trampoline_kernelINS0_14default_configENS1_27scan_by_key_config_selectorIifEEZZNS1_16scan_by_key_implILNS1_25lookback_scan_determinismE0ELb1ES3_N6thrust23THRUST_200600_302600_NS6detail15normal_iteratorINS9_10device_ptrIiEEEENSB_INSC_IjEEEENSB_INSC_IfEEEEfNS9_4plusIvEENS9_8equal_toIvEEfEE10hipError_tPvRmT2_T3_T4_T5_mT6_T7_P12ihipStream_tbENKUlT_T0_E_clISt17integral_constantIbLb1EES13_EEDaSY_SZ_EUlSY_E_NS1_11comp_targetILNS1_3genE2ELNS1_11target_archE906ELNS1_3gpuE6ELNS1_3repE0EEENS1_30default_config_static_selectorELNS0_4arch9wavefront6targetE0EEEvT1_.num_agpr, 0
	.set _ZN7rocprim17ROCPRIM_400000_NS6detail17trampoline_kernelINS0_14default_configENS1_27scan_by_key_config_selectorIifEEZZNS1_16scan_by_key_implILNS1_25lookback_scan_determinismE0ELb1ES3_N6thrust23THRUST_200600_302600_NS6detail15normal_iteratorINS9_10device_ptrIiEEEENSB_INSC_IjEEEENSB_INSC_IfEEEEfNS9_4plusIvEENS9_8equal_toIvEEfEE10hipError_tPvRmT2_T3_T4_T5_mT6_T7_P12ihipStream_tbENKUlT_T0_E_clISt17integral_constantIbLb1EES13_EEDaSY_SZ_EUlSY_E_NS1_11comp_targetILNS1_3genE2ELNS1_11target_archE906ELNS1_3gpuE6ELNS1_3repE0EEENS1_30default_config_static_selectorELNS0_4arch9wavefront6targetE0EEEvT1_.numbered_sgpr, 0
	.set _ZN7rocprim17ROCPRIM_400000_NS6detail17trampoline_kernelINS0_14default_configENS1_27scan_by_key_config_selectorIifEEZZNS1_16scan_by_key_implILNS1_25lookback_scan_determinismE0ELb1ES3_N6thrust23THRUST_200600_302600_NS6detail15normal_iteratorINS9_10device_ptrIiEEEENSB_INSC_IjEEEENSB_INSC_IfEEEEfNS9_4plusIvEENS9_8equal_toIvEEfEE10hipError_tPvRmT2_T3_T4_T5_mT6_T7_P12ihipStream_tbENKUlT_T0_E_clISt17integral_constantIbLb1EES13_EEDaSY_SZ_EUlSY_E_NS1_11comp_targetILNS1_3genE2ELNS1_11target_archE906ELNS1_3gpuE6ELNS1_3repE0EEENS1_30default_config_static_selectorELNS0_4arch9wavefront6targetE0EEEvT1_.num_named_barrier, 0
	.set _ZN7rocprim17ROCPRIM_400000_NS6detail17trampoline_kernelINS0_14default_configENS1_27scan_by_key_config_selectorIifEEZZNS1_16scan_by_key_implILNS1_25lookback_scan_determinismE0ELb1ES3_N6thrust23THRUST_200600_302600_NS6detail15normal_iteratorINS9_10device_ptrIiEEEENSB_INSC_IjEEEENSB_INSC_IfEEEEfNS9_4plusIvEENS9_8equal_toIvEEfEE10hipError_tPvRmT2_T3_T4_T5_mT6_T7_P12ihipStream_tbENKUlT_T0_E_clISt17integral_constantIbLb1EES13_EEDaSY_SZ_EUlSY_E_NS1_11comp_targetILNS1_3genE2ELNS1_11target_archE906ELNS1_3gpuE6ELNS1_3repE0EEENS1_30default_config_static_selectorELNS0_4arch9wavefront6targetE0EEEvT1_.private_seg_size, 0
	.set _ZN7rocprim17ROCPRIM_400000_NS6detail17trampoline_kernelINS0_14default_configENS1_27scan_by_key_config_selectorIifEEZZNS1_16scan_by_key_implILNS1_25lookback_scan_determinismE0ELb1ES3_N6thrust23THRUST_200600_302600_NS6detail15normal_iteratorINS9_10device_ptrIiEEEENSB_INSC_IjEEEENSB_INSC_IfEEEEfNS9_4plusIvEENS9_8equal_toIvEEfEE10hipError_tPvRmT2_T3_T4_T5_mT6_T7_P12ihipStream_tbENKUlT_T0_E_clISt17integral_constantIbLb1EES13_EEDaSY_SZ_EUlSY_E_NS1_11comp_targetILNS1_3genE2ELNS1_11target_archE906ELNS1_3gpuE6ELNS1_3repE0EEENS1_30default_config_static_selectorELNS0_4arch9wavefront6targetE0EEEvT1_.uses_vcc, 0
	.set _ZN7rocprim17ROCPRIM_400000_NS6detail17trampoline_kernelINS0_14default_configENS1_27scan_by_key_config_selectorIifEEZZNS1_16scan_by_key_implILNS1_25lookback_scan_determinismE0ELb1ES3_N6thrust23THRUST_200600_302600_NS6detail15normal_iteratorINS9_10device_ptrIiEEEENSB_INSC_IjEEEENSB_INSC_IfEEEEfNS9_4plusIvEENS9_8equal_toIvEEfEE10hipError_tPvRmT2_T3_T4_T5_mT6_T7_P12ihipStream_tbENKUlT_T0_E_clISt17integral_constantIbLb1EES13_EEDaSY_SZ_EUlSY_E_NS1_11comp_targetILNS1_3genE2ELNS1_11target_archE906ELNS1_3gpuE6ELNS1_3repE0EEENS1_30default_config_static_selectorELNS0_4arch9wavefront6targetE0EEEvT1_.uses_flat_scratch, 0
	.set _ZN7rocprim17ROCPRIM_400000_NS6detail17trampoline_kernelINS0_14default_configENS1_27scan_by_key_config_selectorIifEEZZNS1_16scan_by_key_implILNS1_25lookback_scan_determinismE0ELb1ES3_N6thrust23THRUST_200600_302600_NS6detail15normal_iteratorINS9_10device_ptrIiEEEENSB_INSC_IjEEEENSB_INSC_IfEEEEfNS9_4plusIvEENS9_8equal_toIvEEfEE10hipError_tPvRmT2_T3_T4_T5_mT6_T7_P12ihipStream_tbENKUlT_T0_E_clISt17integral_constantIbLb1EES13_EEDaSY_SZ_EUlSY_E_NS1_11comp_targetILNS1_3genE2ELNS1_11target_archE906ELNS1_3gpuE6ELNS1_3repE0EEENS1_30default_config_static_selectorELNS0_4arch9wavefront6targetE0EEEvT1_.has_dyn_sized_stack, 0
	.set _ZN7rocprim17ROCPRIM_400000_NS6detail17trampoline_kernelINS0_14default_configENS1_27scan_by_key_config_selectorIifEEZZNS1_16scan_by_key_implILNS1_25lookback_scan_determinismE0ELb1ES3_N6thrust23THRUST_200600_302600_NS6detail15normal_iteratorINS9_10device_ptrIiEEEENSB_INSC_IjEEEENSB_INSC_IfEEEEfNS9_4plusIvEENS9_8equal_toIvEEfEE10hipError_tPvRmT2_T3_T4_T5_mT6_T7_P12ihipStream_tbENKUlT_T0_E_clISt17integral_constantIbLb1EES13_EEDaSY_SZ_EUlSY_E_NS1_11comp_targetILNS1_3genE2ELNS1_11target_archE906ELNS1_3gpuE6ELNS1_3repE0EEENS1_30default_config_static_selectorELNS0_4arch9wavefront6targetE0EEEvT1_.has_recursion, 0
	.set _ZN7rocprim17ROCPRIM_400000_NS6detail17trampoline_kernelINS0_14default_configENS1_27scan_by_key_config_selectorIifEEZZNS1_16scan_by_key_implILNS1_25lookback_scan_determinismE0ELb1ES3_N6thrust23THRUST_200600_302600_NS6detail15normal_iteratorINS9_10device_ptrIiEEEENSB_INSC_IjEEEENSB_INSC_IfEEEEfNS9_4plusIvEENS9_8equal_toIvEEfEE10hipError_tPvRmT2_T3_T4_T5_mT6_T7_P12ihipStream_tbENKUlT_T0_E_clISt17integral_constantIbLb1EES13_EEDaSY_SZ_EUlSY_E_NS1_11comp_targetILNS1_3genE2ELNS1_11target_archE906ELNS1_3gpuE6ELNS1_3repE0EEENS1_30default_config_static_selectorELNS0_4arch9wavefront6targetE0EEEvT1_.has_indirect_call, 0
	.section	.AMDGPU.csdata,"",@progbits
; Kernel info:
; codeLenInByte = 0
; TotalNumSgprs: 0
; NumVgprs: 0
; ScratchSize: 0
; MemoryBound: 0
; FloatMode: 240
; IeeeMode: 1
; LDSByteSize: 0 bytes/workgroup (compile time only)
; SGPRBlocks: 0
; VGPRBlocks: 0
; NumSGPRsForWavesPerEU: 1
; NumVGPRsForWavesPerEU: 1
; NamedBarCnt: 0
; Occupancy: 16
; WaveLimiterHint : 0
; COMPUTE_PGM_RSRC2:SCRATCH_EN: 0
; COMPUTE_PGM_RSRC2:USER_SGPR: 2
; COMPUTE_PGM_RSRC2:TRAP_HANDLER: 0
; COMPUTE_PGM_RSRC2:TGID_X_EN: 1
; COMPUTE_PGM_RSRC2:TGID_Y_EN: 0
; COMPUTE_PGM_RSRC2:TGID_Z_EN: 0
; COMPUTE_PGM_RSRC2:TIDIG_COMP_CNT: 0
	.section	.text._ZN7rocprim17ROCPRIM_400000_NS6detail17trampoline_kernelINS0_14default_configENS1_27scan_by_key_config_selectorIifEEZZNS1_16scan_by_key_implILNS1_25lookback_scan_determinismE0ELb1ES3_N6thrust23THRUST_200600_302600_NS6detail15normal_iteratorINS9_10device_ptrIiEEEENSB_INSC_IjEEEENSB_INSC_IfEEEEfNS9_4plusIvEENS9_8equal_toIvEEfEE10hipError_tPvRmT2_T3_T4_T5_mT6_T7_P12ihipStream_tbENKUlT_T0_E_clISt17integral_constantIbLb1EES13_EEDaSY_SZ_EUlSY_E_NS1_11comp_targetILNS1_3genE10ELNS1_11target_archE1200ELNS1_3gpuE4ELNS1_3repE0EEENS1_30default_config_static_selectorELNS0_4arch9wavefront6targetE0EEEvT1_,"axG",@progbits,_ZN7rocprim17ROCPRIM_400000_NS6detail17trampoline_kernelINS0_14default_configENS1_27scan_by_key_config_selectorIifEEZZNS1_16scan_by_key_implILNS1_25lookback_scan_determinismE0ELb1ES3_N6thrust23THRUST_200600_302600_NS6detail15normal_iteratorINS9_10device_ptrIiEEEENSB_INSC_IjEEEENSB_INSC_IfEEEEfNS9_4plusIvEENS9_8equal_toIvEEfEE10hipError_tPvRmT2_T3_T4_T5_mT6_T7_P12ihipStream_tbENKUlT_T0_E_clISt17integral_constantIbLb1EES13_EEDaSY_SZ_EUlSY_E_NS1_11comp_targetILNS1_3genE10ELNS1_11target_archE1200ELNS1_3gpuE4ELNS1_3repE0EEENS1_30default_config_static_selectorELNS0_4arch9wavefront6targetE0EEEvT1_,comdat
	.protected	_ZN7rocprim17ROCPRIM_400000_NS6detail17trampoline_kernelINS0_14default_configENS1_27scan_by_key_config_selectorIifEEZZNS1_16scan_by_key_implILNS1_25lookback_scan_determinismE0ELb1ES3_N6thrust23THRUST_200600_302600_NS6detail15normal_iteratorINS9_10device_ptrIiEEEENSB_INSC_IjEEEENSB_INSC_IfEEEEfNS9_4plusIvEENS9_8equal_toIvEEfEE10hipError_tPvRmT2_T3_T4_T5_mT6_T7_P12ihipStream_tbENKUlT_T0_E_clISt17integral_constantIbLb1EES13_EEDaSY_SZ_EUlSY_E_NS1_11comp_targetILNS1_3genE10ELNS1_11target_archE1200ELNS1_3gpuE4ELNS1_3repE0EEENS1_30default_config_static_selectorELNS0_4arch9wavefront6targetE0EEEvT1_ ; -- Begin function _ZN7rocprim17ROCPRIM_400000_NS6detail17trampoline_kernelINS0_14default_configENS1_27scan_by_key_config_selectorIifEEZZNS1_16scan_by_key_implILNS1_25lookback_scan_determinismE0ELb1ES3_N6thrust23THRUST_200600_302600_NS6detail15normal_iteratorINS9_10device_ptrIiEEEENSB_INSC_IjEEEENSB_INSC_IfEEEEfNS9_4plusIvEENS9_8equal_toIvEEfEE10hipError_tPvRmT2_T3_T4_T5_mT6_T7_P12ihipStream_tbENKUlT_T0_E_clISt17integral_constantIbLb1EES13_EEDaSY_SZ_EUlSY_E_NS1_11comp_targetILNS1_3genE10ELNS1_11target_archE1200ELNS1_3gpuE4ELNS1_3repE0EEENS1_30default_config_static_selectorELNS0_4arch9wavefront6targetE0EEEvT1_
	.globl	_ZN7rocprim17ROCPRIM_400000_NS6detail17trampoline_kernelINS0_14default_configENS1_27scan_by_key_config_selectorIifEEZZNS1_16scan_by_key_implILNS1_25lookback_scan_determinismE0ELb1ES3_N6thrust23THRUST_200600_302600_NS6detail15normal_iteratorINS9_10device_ptrIiEEEENSB_INSC_IjEEEENSB_INSC_IfEEEEfNS9_4plusIvEENS9_8equal_toIvEEfEE10hipError_tPvRmT2_T3_T4_T5_mT6_T7_P12ihipStream_tbENKUlT_T0_E_clISt17integral_constantIbLb1EES13_EEDaSY_SZ_EUlSY_E_NS1_11comp_targetILNS1_3genE10ELNS1_11target_archE1200ELNS1_3gpuE4ELNS1_3repE0EEENS1_30default_config_static_selectorELNS0_4arch9wavefront6targetE0EEEvT1_
	.p2align	8
	.type	_ZN7rocprim17ROCPRIM_400000_NS6detail17trampoline_kernelINS0_14default_configENS1_27scan_by_key_config_selectorIifEEZZNS1_16scan_by_key_implILNS1_25lookback_scan_determinismE0ELb1ES3_N6thrust23THRUST_200600_302600_NS6detail15normal_iteratorINS9_10device_ptrIiEEEENSB_INSC_IjEEEENSB_INSC_IfEEEEfNS9_4plusIvEENS9_8equal_toIvEEfEE10hipError_tPvRmT2_T3_T4_T5_mT6_T7_P12ihipStream_tbENKUlT_T0_E_clISt17integral_constantIbLb1EES13_EEDaSY_SZ_EUlSY_E_NS1_11comp_targetILNS1_3genE10ELNS1_11target_archE1200ELNS1_3gpuE4ELNS1_3repE0EEENS1_30default_config_static_selectorELNS0_4arch9wavefront6targetE0EEEvT1_,@function
_ZN7rocprim17ROCPRIM_400000_NS6detail17trampoline_kernelINS0_14default_configENS1_27scan_by_key_config_selectorIifEEZZNS1_16scan_by_key_implILNS1_25lookback_scan_determinismE0ELb1ES3_N6thrust23THRUST_200600_302600_NS6detail15normal_iteratorINS9_10device_ptrIiEEEENSB_INSC_IjEEEENSB_INSC_IfEEEEfNS9_4plusIvEENS9_8equal_toIvEEfEE10hipError_tPvRmT2_T3_T4_T5_mT6_T7_P12ihipStream_tbENKUlT_T0_E_clISt17integral_constantIbLb1EES13_EEDaSY_SZ_EUlSY_E_NS1_11comp_targetILNS1_3genE10ELNS1_11target_archE1200ELNS1_3gpuE4ELNS1_3repE0EEENS1_30default_config_static_selectorELNS0_4arch9wavefront6targetE0EEEvT1_: ; @_ZN7rocprim17ROCPRIM_400000_NS6detail17trampoline_kernelINS0_14default_configENS1_27scan_by_key_config_selectorIifEEZZNS1_16scan_by_key_implILNS1_25lookback_scan_determinismE0ELb1ES3_N6thrust23THRUST_200600_302600_NS6detail15normal_iteratorINS9_10device_ptrIiEEEENSB_INSC_IjEEEENSB_INSC_IfEEEEfNS9_4plusIvEENS9_8equal_toIvEEfEE10hipError_tPvRmT2_T3_T4_T5_mT6_T7_P12ihipStream_tbENKUlT_T0_E_clISt17integral_constantIbLb1EES13_EEDaSY_SZ_EUlSY_E_NS1_11comp_targetILNS1_3genE10ELNS1_11target_archE1200ELNS1_3gpuE4ELNS1_3repE0EEENS1_30default_config_static_selectorELNS0_4arch9wavefront6targetE0EEEvT1_
; %bb.0:
	.section	.rodata,"a",@progbits
	.p2align	6, 0x0
	.amdhsa_kernel _ZN7rocprim17ROCPRIM_400000_NS6detail17trampoline_kernelINS0_14default_configENS1_27scan_by_key_config_selectorIifEEZZNS1_16scan_by_key_implILNS1_25lookback_scan_determinismE0ELb1ES3_N6thrust23THRUST_200600_302600_NS6detail15normal_iteratorINS9_10device_ptrIiEEEENSB_INSC_IjEEEENSB_INSC_IfEEEEfNS9_4plusIvEENS9_8equal_toIvEEfEE10hipError_tPvRmT2_T3_T4_T5_mT6_T7_P12ihipStream_tbENKUlT_T0_E_clISt17integral_constantIbLb1EES13_EEDaSY_SZ_EUlSY_E_NS1_11comp_targetILNS1_3genE10ELNS1_11target_archE1200ELNS1_3gpuE4ELNS1_3repE0EEENS1_30default_config_static_selectorELNS0_4arch9wavefront6targetE0EEEvT1_
		.amdhsa_group_segment_fixed_size 0
		.amdhsa_private_segment_fixed_size 0
		.amdhsa_kernarg_size 112
		.amdhsa_user_sgpr_count 2
		.amdhsa_user_sgpr_dispatch_ptr 0
		.amdhsa_user_sgpr_queue_ptr 0
		.amdhsa_user_sgpr_kernarg_segment_ptr 1
		.amdhsa_user_sgpr_dispatch_id 0
		.amdhsa_user_sgpr_kernarg_preload_length 0
		.amdhsa_user_sgpr_kernarg_preload_offset 0
		.amdhsa_user_sgpr_private_segment_size 0
		.amdhsa_wavefront_size32 1
		.amdhsa_uses_dynamic_stack 0
		.amdhsa_enable_private_segment 0
		.amdhsa_system_sgpr_workgroup_id_x 1
		.amdhsa_system_sgpr_workgroup_id_y 0
		.amdhsa_system_sgpr_workgroup_id_z 0
		.amdhsa_system_sgpr_workgroup_info 0
		.amdhsa_system_vgpr_workitem_id 0
		.amdhsa_next_free_vgpr 1
		.amdhsa_next_free_sgpr 1
		.amdhsa_named_barrier_count 0
		.amdhsa_reserve_vcc 0
		.amdhsa_float_round_mode_32 0
		.amdhsa_float_round_mode_16_64 0
		.amdhsa_float_denorm_mode_32 3
		.amdhsa_float_denorm_mode_16_64 3
		.amdhsa_fp16_overflow 0
		.amdhsa_memory_ordered 1
		.amdhsa_forward_progress 1
		.amdhsa_inst_pref_size 0
		.amdhsa_round_robin_scheduling 0
		.amdhsa_exception_fp_ieee_invalid_op 0
		.amdhsa_exception_fp_denorm_src 0
		.amdhsa_exception_fp_ieee_div_zero 0
		.amdhsa_exception_fp_ieee_overflow 0
		.amdhsa_exception_fp_ieee_underflow 0
		.amdhsa_exception_fp_ieee_inexact 0
		.amdhsa_exception_int_div_zero 0
	.end_amdhsa_kernel
	.section	.text._ZN7rocprim17ROCPRIM_400000_NS6detail17trampoline_kernelINS0_14default_configENS1_27scan_by_key_config_selectorIifEEZZNS1_16scan_by_key_implILNS1_25lookback_scan_determinismE0ELb1ES3_N6thrust23THRUST_200600_302600_NS6detail15normal_iteratorINS9_10device_ptrIiEEEENSB_INSC_IjEEEENSB_INSC_IfEEEEfNS9_4plusIvEENS9_8equal_toIvEEfEE10hipError_tPvRmT2_T3_T4_T5_mT6_T7_P12ihipStream_tbENKUlT_T0_E_clISt17integral_constantIbLb1EES13_EEDaSY_SZ_EUlSY_E_NS1_11comp_targetILNS1_3genE10ELNS1_11target_archE1200ELNS1_3gpuE4ELNS1_3repE0EEENS1_30default_config_static_selectorELNS0_4arch9wavefront6targetE0EEEvT1_,"axG",@progbits,_ZN7rocprim17ROCPRIM_400000_NS6detail17trampoline_kernelINS0_14default_configENS1_27scan_by_key_config_selectorIifEEZZNS1_16scan_by_key_implILNS1_25lookback_scan_determinismE0ELb1ES3_N6thrust23THRUST_200600_302600_NS6detail15normal_iteratorINS9_10device_ptrIiEEEENSB_INSC_IjEEEENSB_INSC_IfEEEEfNS9_4plusIvEENS9_8equal_toIvEEfEE10hipError_tPvRmT2_T3_T4_T5_mT6_T7_P12ihipStream_tbENKUlT_T0_E_clISt17integral_constantIbLb1EES13_EEDaSY_SZ_EUlSY_E_NS1_11comp_targetILNS1_3genE10ELNS1_11target_archE1200ELNS1_3gpuE4ELNS1_3repE0EEENS1_30default_config_static_selectorELNS0_4arch9wavefront6targetE0EEEvT1_,comdat
.Lfunc_end1695:
	.size	_ZN7rocprim17ROCPRIM_400000_NS6detail17trampoline_kernelINS0_14default_configENS1_27scan_by_key_config_selectorIifEEZZNS1_16scan_by_key_implILNS1_25lookback_scan_determinismE0ELb1ES3_N6thrust23THRUST_200600_302600_NS6detail15normal_iteratorINS9_10device_ptrIiEEEENSB_INSC_IjEEEENSB_INSC_IfEEEEfNS9_4plusIvEENS9_8equal_toIvEEfEE10hipError_tPvRmT2_T3_T4_T5_mT6_T7_P12ihipStream_tbENKUlT_T0_E_clISt17integral_constantIbLb1EES13_EEDaSY_SZ_EUlSY_E_NS1_11comp_targetILNS1_3genE10ELNS1_11target_archE1200ELNS1_3gpuE4ELNS1_3repE0EEENS1_30default_config_static_selectorELNS0_4arch9wavefront6targetE0EEEvT1_, .Lfunc_end1695-_ZN7rocprim17ROCPRIM_400000_NS6detail17trampoline_kernelINS0_14default_configENS1_27scan_by_key_config_selectorIifEEZZNS1_16scan_by_key_implILNS1_25lookback_scan_determinismE0ELb1ES3_N6thrust23THRUST_200600_302600_NS6detail15normal_iteratorINS9_10device_ptrIiEEEENSB_INSC_IjEEEENSB_INSC_IfEEEEfNS9_4plusIvEENS9_8equal_toIvEEfEE10hipError_tPvRmT2_T3_T4_T5_mT6_T7_P12ihipStream_tbENKUlT_T0_E_clISt17integral_constantIbLb1EES13_EEDaSY_SZ_EUlSY_E_NS1_11comp_targetILNS1_3genE10ELNS1_11target_archE1200ELNS1_3gpuE4ELNS1_3repE0EEENS1_30default_config_static_selectorELNS0_4arch9wavefront6targetE0EEEvT1_
                                        ; -- End function
	.set _ZN7rocprim17ROCPRIM_400000_NS6detail17trampoline_kernelINS0_14default_configENS1_27scan_by_key_config_selectorIifEEZZNS1_16scan_by_key_implILNS1_25lookback_scan_determinismE0ELb1ES3_N6thrust23THRUST_200600_302600_NS6detail15normal_iteratorINS9_10device_ptrIiEEEENSB_INSC_IjEEEENSB_INSC_IfEEEEfNS9_4plusIvEENS9_8equal_toIvEEfEE10hipError_tPvRmT2_T3_T4_T5_mT6_T7_P12ihipStream_tbENKUlT_T0_E_clISt17integral_constantIbLb1EES13_EEDaSY_SZ_EUlSY_E_NS1_11comp_targetILNS1_3genE10ELNS1_11target_archE1200ELNS1_3gpuE4ELNS1_3repE0EEENS1_30default_config_static_selectorELNS0_4arch9wavefront6targetE0EEEvT1_.num_vgpr, 0
	.set _ZN7rocprim17ROCPRIM_400000_NS6detail17trampoline_kernelINS0_14default_configENS1_27scan_by_key_config_selectorIifEEZZNS1_16scan_by_key_implILNS1_25lookback_scan_determinismE0ELb1ES3_N6thrust23THRUST_200600_302600_NS6detail15normal_iteratorINS9_10device_ptrIiEEEENSB_INSC_IjEEEENSB_INSC_IfEEEEfNS9_4plusIvEENS9_8equal_toIvEEfEE10hipError_tPvRmT2_T3_T4_T5_mT6_T7_P12ihipStream_tbENKUlT_T0_E_clISt17integral_constantIbLb1EES13_EEDaSY_SZ_EUlSY_E_NS1_11comp_targetILNS1_3genE10ELNS1_11target_archE1200ELNS1_3gpuE4ELNS1_3repE0EEENS1_30default_config_static_selectorELNS0_4arch9wavefront6targetE0EEEvT1_.num_agpr, 0
	.set _ZN7rocprim17ROCPRIM_400000_NS6detail17trampoline_kernelINS0_14default_configENS1_27scan_by_key_config_selectorIifEEZZNS1_16scan_by_key_implILNS1_25lookback_scan_determinismE0ELb1ES3_N6thrust23THRUST_200600_302600_NS6detail15normal_iteratorINS9_10device_ptrIiEEEENSB_INSC_IjEEEENSB_INSC_IfEEEEfNS9_4plusIvEENS9_8equal_toIvEEfEE10hipError_tPvRmT2_T3_T4_T5_mT6_T7_P12ihipStream_tbENKUlT_T0_E_clISt17integral_constantIbLb1EES13_EEDaSY_SZ_EUlSY_E_NS1_11comp_targetILNS1_3genE10ELNS1_11target_archE1200ELNS1_3gpuE4ELNS1_3repE0EEENS1_30default_config_static_selectorELNS0_4arch9wavefront6targetE0EEEvT1_.numbered_sgpr, 0
	.set _ZN7rocprim17ROCPRIM_400000_NS6detail17trampoline_kernelINS0_14default_configENS1_27scan_by_key_config_selectorIifEEZZNS1_16scan_by_key_implILNS1_25lookback_scan_determinismE0ELb1ES3_N6thrust23THRUST_200600_302600_NS6detail15normal_iteratorINS9_10device_ptrIiEEEENSB_INSC_IjEEEENSB_INSC_IfEEEEfNS9_4plusIvEENS9_8equal_toIvEEfEE10hipError_tPvRmT2_T3_T4_T5_mT6_T7_P12ihipStream_tbENKUlT_T0_E_clISt17integral_constantIbLb1EES13_EEDaSY_SZ_EUlSY_E_NS1_11comp_targetILNS1_3genE10ELNS1_11target_archE1200ELNS1_3gpuE4ELNS1_3repE0EEENS1_30default_config_static_selectorELNS0_4arch9wavefront6targetE0EEEvT1_.num_named_barrier, 0
	.set _ZN7rocprim17ROCPRIM_400000_NS6detail17trampoline_kernelINS0_14default_configENS1_27scan_by_key_config_selectorIifEEZZNS1_16scan_by_key_implILNS1_25lookback_scan_determinismE0ELb1ES3_N6thrust23THRUST_200600_302600_NS6detail15normal_iteratorINS9_10device_ptrIiEEEENSB_INSC_IjEEEENSB_INSC_IfEEEEfNS9_4plusIvEENS9_8equal_toIvEEfEE10hipError_tPvRmT2_T3_T4_T5_mT6_T7_P12ihipStream_tbENKUlT_T0_E_clISt17integral_constantIbLb1EES13_EEDaSY_SZ_EUlSY_E_NS1_11comp_targetILNS1_3genE10ELNS1_11target_archE1200ELNS1_3gpuE4ELNS1_3repE0EEENS1_30default_config_static_selectorELNS0_4arch9wavefront6targetE0EEEvT1_.private_seg_size, 0
	.set _ZN7rocprim17ROCPRIM_400000_NS6detail17trampoline_kernelINS0_14default_configENS1_27scan_by_key_config_selectorIifEEZZNS1_16scan_by_key_implILNS1_25lookback_scan_determinismE0ELb1ES3_N6thrust23THRUST_200600_302600_NS6detail15normal_iteratorINS9_10device_ptrIiEEEENSB_INSC_IjEEEENSB_INSC_IfEEEEfNS9_4plusIvEENS9_8equal_toIvEEfEE10hipError_tPvRmT2_T3_T4_T5_mT6_T7_P12ihipStream_tbENKUlT_T0_E_clISt17integral_constantIbLb1EES13_EEDaSY_SZ_EUlSY_E_NS1_11comp_targetILNS1_3genE10ELNS1_11target_archE1200ELNS1_3gpuE4ELNS1_3repE0EEENS1_30default_config_static_selectorELNS0_4arch9wavefront6targetE0EEEvT1_.uses_vcc, 0
	.set _ZN7rocprim17ROCPRIM_400000_NS6detail17trampoline_kernelINS0_14default_configENS1_27scan_by_key_config_selectorIifEEZZNS1_16scan_by_key_implILNS1_25lookback_scan_determinismE0ELb1ES3_N6thrust23THRUST_200600_302600_NS6detail15normal_iteratorINS9_10device_ptrIiEEEENSB_INSC_IjEEEENSB_INSC_IfEEEEfNS9_4plusIvEENS9_8equal_toIvEEfEE10hipError_tPvRmT2_T3_T4_T5_mT6_T7_P12ihipStream_tbENKUlT_T0_E_clISt17integral_constantIbLb1EES13_EEDaSY_SZ_EUlSY_E_NS1_11comp_targetILNS1_3genE10ELNS1_11target_archE1200ELNS1_3gpuE4ELNS1_3repE0EEENS1_30default_config_static_selectorELNS0_4arch9wavefront6targetE0EEEvT1_.uses_flat_scratch, 0
	.set _ZN7rocprim17ROCPRIM_400000_NS6detail17trampoline_kernelINS0_14default_configENS1_27scan_by_key_config_selectorIifEEZZNS1_16scan_by_key_implILNS1_25lookback_scan_determinismE0ELb1ES3_N6thrust23THRUST_200600_302600_NS6detail15normal_iteratorINS9_10device_ptrIiEEEENSB_INSC_IjEEEENSB_INSC_IfEEEEfNS9_4plusIvEENS9_8equal_toIvEEfEE10hipError_tPvRmT2_T3_T4_T5_mT6_T7_P12ihipStream_tbENKUlT_T0_E_clISt17integral_constantIbLb1EES13_EEDaSY_SZ_EUlSY_E_NS1_11comp_targetILNS1_3genE10ELNS1_11target_archE1200ELNS1_3gpuE4ELNS1_3repE0EEENS1_30default_config_static_selectorELNS0_4arch9wavefront6targetE0EEEvT1_.has_dyn_sized_stack, 0
	.set _ZN7rocprim17ROCPRIM_400000_NS6detail17trampoline_kernelINS0_14default_configENS1_27scan_by_key_config_selectorIifEEZZNS1_16scan_by_key_implILNS1_25lookback_scan_determinismE0ELb1ES3_N6thrust23THRUST_200600_302600_NS6detail15normal_iteratorINS9_10device_ptrIiEEEENSB_INSC_IjEEEENSB_INSC_IfEEEEfNS9_4plusIvEENS9_8equal_toIvEEfEE10hipError_tPvRmT2_T3_T4_T5_mT6_T7_P12ihipStream_tbENKUlT_T0_E_clISt17integral_constantIbLb1EES13_EEDaSY_SZ_EUlSY_E_NS1_11comp_targetILNS1_3genE10ELNS1_11target_archE1200ELNS1_3gpuE4ELNS1_3repE0EEENS1_30default_config_static_selectorELNS0_4arch9wavefront6targetE0EEEvT1_.has_recursion, 0
	.set _ZN7rocprim17ROCPRIM_400000_NS6detail17trampoline_kernelINS0_14default_configENS1_27scan_by_key_config_selectorIifEEZZNS1_16scan_by_key_implILNS1_25lookback_scan_determinismE0ELb1ES3_N6thrust23THRUST_200600_302600_NS6detail15normal_iteratorINS9_10device_ptrIiEEEENSB_INSC_IjEEEENSB_INSC_IfEEEEfNS9_4plusIvEENS9_8equal_toIvEEfEE10hipError_tPvRmT2_T3_T4_T5_mT6_T7_P12ihipStream_tbENKUlT_T0_E_clISt17integral_constantIbLb1EES13_EEDaSY_SZ_EUlSY_E_NS1_11comp_targetILNS1_3genE10ELNS1_11target_archE1200ELNS1_3gpuE4ELNS1_3repE0EEENS1_30default_config_static_selectorELNS0_4arch9wavefront6targetE0EEEvT1_.has_indirect_call, 0
	.section	.AMDGPU.csdata,"",@progbits
; Kernel info:
; codeLenInByte = 0
; TotalNumSgprs: 0
; NumVgprs: 0
; ScratchSize: 0
; MemoryBound: 0
; FloatMode: 240
; IeeeMode: 1
; LDSByteSize: 0 bytes/workgroup (compile time only)
; SGPRBlocks: 0
; VGPRBlocks: 0
; NumSGPRsForWavesPerEU: 1
; NumVGPRsForWavesPerEU: 1
; NamedBarCnt: 0
; Occupancy: 16
; WaveLimiterHint : 0
; COMPUTE_PGM_RSRC2:SCRATCH_EN: 0
; COMPUTE_PGM_RSRC2:USER_SGPR: 2
; COMPUTE_PGM_RSRC2:TRAP_HANDLER: 0
; COMPUTE_PGM_RSRC2:TGID_X_EN: 1
; COMPUTE_PGM_RSRC2:TGID_Y_EN: 0
; COMPUTE_PGM_RSRC2:TGID_Z_EN: 0
; COMPUTE_PGM_RSRC2:TIDIG_COMP_CNT: 0
	.section	.text._ZN7rocprim17ROCPRIM_400000_NS6detail17trampoline_kernelINS0_14default_configENS1_27scan_by_key_config_selectorIifEEZZNS1_16scan_by_key_implILNS1_25lookback_scan_determinismE0ELb1ES3_N6thrust23THRUST_200600_302600_NS6detail15normal_iteratorINS9_10device_ptrIiEEEENSB_INSC_IjEEEENSB_INSC_IfEEEEfNS9_4plusIvEENS9_8equal_toIvEEfEE10hipError_tPvRmT2_T3_T4_T5_mT6_T7_P12ihipStream_tbENKUlT_T0_E_clISt17integral_constantIbLb1EES13_EEDaSY_SZ_EUlSY_E_NS1_11comp_targetILNS1_3genE9ELNS1_11target_archE1100ELNS1_3gpuE3ELNS1_3repE0EEENS1_30default_config_static_selectorELNS0_4arch9wavefront6targetE0EEEvT1_,"axG",@progbits,_ZN7rocprim17ROCPRIM_400000_NS6detail17trampoline_kernelINS0_14default_configENS1_27scan_by_key_config_selectorIifEEZZNS1_16scan_by_key_implILNS1_25lookback_scan_determinismE0ELb1ES3_N6thrust23THRUST_200600_302600_NS6detail15normal_iteratorINS9_10device_ptrIiEEEENSB_INSC_IjEEEENSB_INSC_IfEEEEfNS9_4plusIvEENS9_8equal_toIvEEfEE10hipError_tPvRmT2_T3_T4_T5_mT6_T7_P12ihipStream_tbENKUlT_T0_E_clISt17integral_constantIbLb1EES13_EEDaSY_SZ_EUlSY_E_NS1_11comp_targetILNS1_3genE9ELNS1_11target_archE1100ELNS1_3gpuE3ELNS1_3repE0EEENS1_30default_config_static_selectorELNS0_4arch9wavefront6targetE0EEEvT1_,comdat
	.protected	_ZN7rocprim17ROCPRIM_400000_NS6detail17trampoline_kernelINS0_14default_configENS1_27scan_by_key_config_selectorIifEEZZNS1_16scan_by_key_implILNS1_25lookback_scan_determinismE0ELb1ES3_N6thrust23THRUST_200600_302600_NS6detail15normal_iteratorINS9_10device_ptrIiEEEENSB_INSC_IjEEEENSB_INSC_IfEEEEfNS9_4plusIvEENS9_8equal_toIvEEfEE10hipError_tPvRmT2_T3_T4_T5_mT6_T7_P12ihipStream_tbENKUlT_T0_E_clISt17integral_constantIbLb1EES13_EEDaSY_SZ_EUlSY_E_NS1_11comp_targetILNS1_3genE9ELNS1_11target_archE1100ELNS1_3gpuE3ELNS1_3repE0EEENS1_30default_config_static_selectorELNS0_4arch9wavefront6targetE0EEEvT1_ ; -- Begin function _ZN7rocprim17ROCPRIM_400000_NS6detail17trampoline_kernelINS0_14default_configENS1_27scan_by_key_config_selectorIifEEZZNS1_16scan_by_key_implILNS1_25lookback_scan_determinismE0ELb1ES3_N6thrust23THRUST_200600_302600_NS6detail15normal_iteratorINS9_10device_ptrIiEEEENSB_INSC_IjEEEENSB_INSC_IfEEEEfNS9_4plusIvEENS9_8equal_toIvEEfEE10hipError_tPvRmT2_T3_T4_T5_mT6_T7_P12ihipStream_tbENKUlT_T0_E_clISt17integral_constantIbLb1EES13_EEDaSY_SZ_EUlSY_E_NS1_11comp_targetILNS1_3genE9ELNS1_11target_archE1100ELNS1_3gpuE3ELNS1_3repE0EEENS1_30default_config_static_selectorELNS0_4arch9wavefront6targetE0EEEvT1_
	.globl	_ZN7rocprim17ROCPRIM_400000_NS6detail17trampoline_kernelINS0_14default_configENS1_27scan_by_key_config_selectorIifEEZZNS1_16scan_by_key_implILNS1_25lookback_scan_determinismE0ELb1ES3_N6thrust23THRUST_200600_302600_NS6detail15normal_iteratorINS9_10device_ptrIiEEEENSB_INSC_IjEEEENSB_INSC_IfEEEEfNS9_4plusIvEENS9_8equal_toIvEEfEE10hipError_tPvRmT2_T3_T4_T5_mT6_T7_P12ihipStream_tbENKUlT_T0_E_clISt17integral_constantIbLb1EES13_EEDaSY_SZ_EUlSY_E_NS1_11comp_targetILNS1_3genE9ELNS1_11target_archE1100ELNS1_3gpuE3ELNS1_3repE0EEENS1_30default_config_static_selectorELNS0_4arch9wavefront6targetE0EEEvT1_
	.p2align	8
	.type	_ZN7rocprim17ROCPRIM_400000_NS6detail17trampoline_kernelINS0_14default_configENS1_27scan_by_key_config_selectorIifEEZZNS1_16scan_by_key_implILNS1_25lookback_scan_determinismE0ELb1ES3_N6thrust23THRUST_200600_302600_NS6detail15normal_iteratorINS9_10device_ptrIiEEEENSB_INSC_IjEEEENSB_INSC_IfEEEEfNS9_4plusIvEENS9_8equal_toIvEEfEE10hipError_tPvRmT2_T3_T4_T5_mT6_T7_P12ihipStream_tbENKUlT_T0_E_clISt17integral_constantIbLb1EES13_EEDaSY_SZ_EUlSY_E_NS1_11comp_targetILNS1_3genE9ELNS1_11target_archE1100ELNS1_3gpuE3ELNS1_3repE0EEENS1_30default_config_static_selectorELNS0_4arch9wavefront6targetE0EEEvT1_,@function
_ZN7rocprim17ROCPRIM_400000_NS6detail17trampoline_kernelINS0_14default_configENS1_27scan_by_key_config_selectorIifEEZZNS1_16scan_by_key_implILNS1_25lookback_scan_determinismE0ELb1ES3_N6thrust23THRUST_200600_302600_NS6detail15normal_iteratorINS9_10device_ptrIiEEEENSB_INSC_IjEEEENSB_INSC_IfEEEEfNS9_4plusIvEENS9_8equal_toIvEEfEE10hipError_tPvRmT2_T3_T4_T5_mT6_T7_P12ihipStream_tbENKUlT_T0_E_clISt17integral_constantIbLb1EES13_EEDaSY_SZ_EUlSY_E_NS1_11comp_targetILNS1_3genE9ELNS1_11target_archE1100ELNS1_3gpuE3ELNS1_3repE0EEENS1_30default_config_static_selectorELNS0_4arch9wavefront6targetE0EEEvT1_: ; @_ZN7rocprim17ROCPRIM_400000_NS6detail17trampoline_kernelINS0_14default_configENS1_27scan_by_key_config_selectorIifEEZZNS1_16scan_by_key_implILNS1_25lookback_scan_determinismE0ELb1ES3_N6thrust23THRUST_200600_302600_NS6detail15normal_iteratorINS9_10device_ptrIiEEEENSB_INSC_IjEEEENSB_INSC_IfEEEEfNS9_4plusIvEENS9_8equal_toIvEEfEE10hipError_tPvRmT2_T3_T4_T5_mT6_T7_P12ihipStream_tbENKUlT_T0_E_clISt17integral_constantIbLb1EES13_EEDaSY_SZ_EUlSY_E_NS1_11comp_targetILNS1_3genE9ELNS1_11target_archE1100ELNS1_3gpuE3ELNS1_3repE0EEENS1_30default_config_static_selectorELNS0_4arch9wavefront6targetE0EEEvT1_
; %bb.0:
	.section	.rodata,"a",@progbits
	.p2align	6, 0x0
	.amdhsa_kernel _ZN7rocprim17ROCPRIM_400000_NS6detail17trampoline_kernelINS0_14default_configENS1_27scan_by_key_config_selectorIifEEZZNS1_16scan_by_key_implILNS1_25lookback_scan_determinismE0ELb1ES3_N6thrust23THRUST_200600_302600_NS6detail15normal_iteratorINS9_10device_ptrIiEEEENSB_INSC_IjEEEENSB_INSC_IfEEEEfNS9_4plusIvEENS9_8equal_toIvEEfEE10hipError_tPvRmT2_T3_T4_T5_mT6_T7_P12ihipStream_tbENKUlT_T0_E_clISt17integral_constantIbLb1EES13_EEDaSY_SZ_EUlSY_E_NS1_11comp_targetILNS1_3genE9ELNS1_11target_archE1100ELNS1_3gpuE3ELNS1_3repE0EEENS1_30default_config_static_selectorELNS0_4arch9wavefront6targetE0EEEvT1_
		.amdhsa_group_segment_fixed_size 0
		.amdhsa_private_segment_fixed_size 0
		.amdhsa_kernarg_size 112
		.amdhsa_user_sgpr_count 2
		.amdhsa_user_sgpr_dispatch_ptr 0
		.amdhsa_user_sgpr_queue_ptr 0
		.amdhsa_user_sgpr_kernarg_segment_ptr 1
		.amdhsa_user_sgpr_dispatch_id 0
		.amdhsa_user_sgpr_kernarg_preload_length 0
		.amdhsa_user_sgpr_kernarg_preload_offset 0
		.amdhsa_user_sgpr_private_segment_size 0
		.amdhsa_wavefront_size32 1
		.amdhsa_uses_dynamic_stack 0
		.amdhsa_enable_private_segment 0
		.amdhsa_system_sgpr_workgroup_id_x 1
		.amdhsa_system_sgpr_workgroup_id_y 0
		.amdhsa_system_sgpr_workgroup_id_z 0
		.amdhsa_system_sgpr_workgroup_info 0
		.amdhsa_system_vgpr_workitem_id 0
		.amdhsa_next_free_vgpr 1
		.amdhsa_next_free_sgpr 1
		.amdhsa_named_barrier_count 0
		.amdhsa_reserve_vcc 0
		.amdhsa_float_round_mode_32 0
		.amdhsa_float_round_mode_16_64 0
		.amdhsa_float_denorm_mode_32 3
		.amdhsa_float_denorm_mode_16_64 3
		.amdhsa_fp16_overflow 0
		.amdhsa_memory_ordered 1
		.amdhsa_forward_progress 1
		.amdhsa_inst_pref_size 0
		.amdhsa_round_robin_scheduling 0
		.amdhsa_exception_fp_ieee_invalid_op 0
		.amdhsa_exception_fp_denorm_src 0
		.amdhsa_exception_fp_ieee_div_zero 0
		.amdhsa_exception_fp_ieee_overflow 0
		.amdhsa_exception_fp_ieee_underflow 0
		.amdhsa_exception_fp_ieee_inexact 0
		.amdhsa_exception_int_div_zero 0
	.end_amdhsa_kernel
	.section	.text._ZN7rocprim17ROCPRIM_400000_NS6detail17trampoline_kernelINS0_14default_configENS1_27scan_by_key_config_selectorIifEEZZNS1_16scan_by_key_implILNS1_25lookback_scan_determinismE0ELb1ES3_N6thrust23THRUST_200600_302600_NS6detail15normal_iteratorINS9_10device_ptrIiEEEENSB_INSC_IjEEEENSB_INSC_IfEEEEfNS9_4plusIvEENS9_8equal_toIvEEfEE10hipError_tPvRmT2_T3_T4_T5_mT6_T7_P12ihipStream_tbENKUlT_T0_E_clISt17integral_constantIbLb1EES13_EEDaSY_SZ_EUlSY_E_NS1_11comp_targetILNS1_3genE9ELNS1_11target_archE1100ELNS1_3gpuE3ELNS1_3repE0EEENS1_30default_config_static_selectorELNS0_4arch9wavefront6targetE0EEEvT1_,"axG",@progbits,_ZN7rocprim17ROCPRIM_400000_NS6detail17trampoline_kernelINS0_14default_configENS1_27scan_by_key_config_selectorIifEEZZNS1_16scan_by_key_implILNS1_25lookback_scan_determinismE0ELb1ES3_N6thrust23THRUST_200600_302600_NS6detail15normal_iteratorINS9_10device_ptrIiEEEENSB_INSC_IjEEEENSB_INSC_IfEEEEfNS9_4plusIvEENS9_8equal_toIvEEfEE10hipError_tPvRmT2_T3_T4_T5_mT6_T7_P12ihipStream_tbENKUlT_T0_E_clISt17integral_constantIbLb1EES13_EEDaSY_SZ_EUlSY_E_NS1_11comp_targetILNS1_3genE9ELNS1_11target_archE1100ELNS1_3gpuE3ELNS1_3repE0EEENS1_30default_config_static_selectorELNS0_4arch9wavefront6targetE0EEEvT1_,comdat
.Lfunc_end1696:
	.size	_ZN7rocprim17ROCPRIM_400000_NS6detail17trampoline_kernelINS0_14default_configENS1_27scan_by_key_config_selectorIifEEZZNS1_16scan_by_key_implILNS1_25lookback_scan_determinismE0ELb1ES3_N6thrust23THRUST_200600_302600_NS6detail15normal_iteratorINS9_10device_ptrIiEEEENSB_INSC_IjEEEENSB_INSC_IfEEEEfNS9_4plusIvEENS9_8equal_toIvEEfEE10hipError_tPvRmT2_T3_T4_T5_mT6_T7_P12ihipStream_tbENKUlT_T0_E_clISt17integral_constantIbLb1EES13_EEDaSY_SZ_EUlSY_E_NS1_11comp_targetILNS1_3genE9ELNS1_11target_archE1100ELNS1_3gpuE3ELNS1_3repE0EEENS1_30default_config_static_selectorELNS0_4arch9wavefront6targetE0EEEvT1_, .Lfunc_end1696-_ZN7rocprim17ROCPRIM_400000_NS6detail17trampoline_kernelINS0_14default_configENS1_27scan_by_key_config_selectorIifEEZZNS1_16scan_by_key_implILNS1_25lookback_scan_determinismE0ELb1ES3_N6thrust23THRUST_200600_302600_NS6detail15normal_iteratorINS9_10device_ptrIiEEEENSB_INSC_IjEEEENSB_INSC_IfEEEEfNS9_4plusIvEENS9_8equal_toIvEEfEE10hipError_tPvRmT2_T3_T4_T5_mT6_T7_P12ihipStream_tbENKUlT_T0_E_clISt17integral_constantIbLb1EES13_EEDaSY_SZ_EUlSY_E_NS1_11comp_targetILNS1_3genE9ELNS1_11target_archE1100ELNS1_3gpuE3ELNS1_3repE0EEENS1_30default_config_static_selectorELNS0_4arch9wavefront6targetE0EEEvT1_
                                        ; -- End function
	.set _ZN7rocprim17ROCPRIM_400000_NS6detail17trampoline_kernelINS0_14default_configENS1_27scan_by_key_config_selectorIifEEZZNS1_16scan_by_key_implILNS1_25lookback_scan_determinismE0ELb1ES3_N6thrust23THRUST_200600_302600_NS6detail15normal_iteratorINS9_10device_ptrIiEEEENSB_INSC_IjEEEENSB_INSC_IfEEEEfNS9_4plusIvEENS9_8equal_toIvEEfEE10hipError_tPvRmT2_T3_T4_T5_mT6_T7_P12ihipStream_tbENKUlT_T0_E_clISt17integral_constantIbLb1EES13_EEDaSY_SZ_EUlSY_E_NS1_11comp_targetILNS1_3genE9ELNS1_11target_archE1100ELNS1_3gpuE3ELNS1_3repE0EEENS1_30default_config_static_selectorELNS0_4arch9wavefront6targetE0EEEvT1_.num_vgpr, 0
	.set _ZN7rocprim17ROCPRIM_400000_NS6detail17trampoline_kernelINS0_14default_configENS1_27scan_by_key_config_selectorIifEEZZNS1_16scan_by_key_implILNS1_25lookback_scan_determinismE0ELb1ES3_N6thrust23THRUST_200600_302600_NS6detail15normal_iteratorINS9_10device_ptrIiEEEENSB_INSC_IjEEEENSB_INSC_IfEEEEfNS9_4plusIvEENS9_8equal_toIvEEfEE10hipError_tPvRmT2_T3_T4_T5_mT6_T7_P12ihipStream_tbENKUlT_T0_E_clISt17integral_constantIbLb1EES13_EEDaSY_SZ_EUlSY_E_NS1_11comp_targetILNS1_3genE9ELNS1_11target_archE1100ELNS1_3gpuE3ELNS1_3repE0EEENS1_30default_config_static_selectorELNS0_4arch9wavefront6targetE0EEEvT1_.num_agpr, 0
	.set _ZN7rocprim17ROCPRIM_400000_NS6detail17trampoline_kernelINS0_14default_configENS1_27scan_by_key_config_selectorIifEEZZNS1_16scan_by_key_implILNS1_25lookback_scan_determinismE0ELb1ES3_N6thrust23THRUST_200600_302600_NS6detail15normal_iteratorINS9_10device_ptrIiEEEENSB_INSC_IjEEEENSB_INSC_IfEEEEfNS9_4plusIvEENS9_8equal_toIvEEfEE10hipError_tPvRmT2_T3_T4_T5_mT6_T7_P12ihipStream_tbENKUlT_T0_E_clISt17integral_constantIbLb1EES13_EEDaSY_SZ_EUlSY_E_NS1_11comp_targetILNS1_3genE9ELNS1_11target_archE1100ELNS1_3gpuE3ELNS1_3repE0EEENS1_30default_config_static_selectorELNS0_4arch9wavefront6targetE0EEEvT1_.numbered_sgpr, 0
	.set _ZN7rocprim17ROCPRIM_400000_NS6detail17trampoline_kernelINS0_14default_configENS1_27scan_by_key_config_selectorIifEEZZNS1_16scan_by_key_implILNS1_25lookback_scan_determinismE0ELb1ES3_N6thrust23THRUST_200600_302600_NS6detail15normal_iteratorINS9_10device_ptrIiEEEENSB_INSC_IjEEEENSB_INSC_IfEEEEfNS9_4plusIvEENS9_8equal_toIvEEfEE10hipError_tPvRmT2_T3_T4_T5_mT6_T7_P12ihipStream_tbENKUlT_T0_E_clISt17integral_constantIbLb1EES13_EEDaSY_SZ_EUlSY_E_NS1_11comp_targetILNS1_3genE9ELNS1_11target_archE1100ELNS1_3gpuE3ELNS1_3repE0EEENS1_30default_config_static_selectorELNS0_4arch9wavefront6targetE0EEEvT1_.num_named_barrier, 0
	.set _ZN7rocprim17ROCPRIM_400000_NS6detail17trampoline_kernelINS0_14default_configENS1_27scan_by_key_config_selectorIifEEZZNS1_16scan_by_key_implILNS1_25lookback_scan_determinismE0ELb1ES3_N6thrust23THRUST_200600_302600_NS6detail15normal_iteratorINS9_10device_ptrIiEEEENSB_INSC_IjEEEENSB_INSC_IfEEEEfNS9_4plusIvEENS9_8equal_toIvEEfEE10hipError_tPvRmT2_T3_T4_T5_mT6_T7_P12ihipStream_tbENKUlT_T0_E_clISt17integral_constantIbLb1EES13_EEDaSY_SZ_EUlSY_E_NS1_11comp_targetILNS1_3genE9ELNS1_11target_archE1100ELNS1_3gpuE3ELNS1_3repE0EEENS1_30default_config_static_selectorELNS0_4arch9wavefront6targetE0EEEvT1_.private_seg_size, 0
	.set _ZN7rocprim17ROCPRIM_400000_NS6detail17trampoline_kernelINS0_14default_configENS1_27scan_by_key_config_selectorIifEEZZNS1_16scan_by_key_implILNS1_25lookback_scan_determinismE0ELb1ES3_N6thrust23THRUST_200600_302600_NS6detail15normal_iteratorINS9_10device_ptrIiEEEENSB_INSC_IjEEEENSB_INSC_IfEEEEfNS9_4plusIvEENS9_8equal_toIvEEfEE10hipError_tPvRmT2_T3_T4_T5_mT6_T7_P12ihipStream_tbENKUlT_T0_E_clISt17integral_constantIbLb1EES13_EEDaSY_SZ_EUlSY_E_NS1_11comp_targetILNS1_3genE9ELNS1_11target_archE1100ELNS1_3gpuE3ELNS1_3repE0EEENS1_30default_config_static_selectorELNS0_4arch9wavefront6targetE0EEEvT1_.uses_vcc, 0
	.set _ZN7rocprim17ROCPRIM_400000_NS6detail17trampoline_kernelINS0_14default_configENS1_27scan_by_key_config_selectorIifEEZZNS1_16scan_by_key_implILNS1_25lookback_scan_determinismE0ELb1ES3_N6thrust23THRUST_200600_302600_NS6detail15normal_iteratorINS9_10device_ptrIiEEEENSB_INSC_IjEEEENSB_INSC_IfEEEEfNS9_4plusIvEENS9_8equal_toIvEEfEE10hipError_tPvRmT2_T3_T4_T5_mT6_T7_P12ihipStream_tbENKUlT_T0_E_clISt17integral_constantIbLb1EES13_EEDaSY_SZ_EUlSY_E_NS1_11comp_targetILNS1_3genE9ELNS1_11target_archE1100ELNS1_3gpuE3ELNS1_3repE0EEENS1_30default_config_static_selectorELNS0_4arch9wavefront6targetE0EEEvT1_.uses_flat_scratch, 0
	.set _ZN7rocprim17ROCPRIM_400000_NS6detail17trampoline_kernelINS0_14default_configENS1_27scan_by_key_config_selectorIifEEZZNS1_16scan_by_key_implILNS1_25lookback_scan_determinismE0ELb1ES3_N6thrust23THRUST_200600_302600_NS6detail15normal_iteratorINS9_10device_ptrIiEEEENSB_INSC_IjEEEENSB_INSC_IfEEEEfNS9_4plusIvEENS9_8equal_toIvEEfEE10hipError_tPvRmT2_T3_T4_T5_mT6_T7_P12ihipStream_tbENKUlT_T0_E_clISt17integral_constantIbLb1EES13_EEDaSY_SZ_EUlSY_E_NS1_11comp_targetILNS1_3genE9ELNS1_11target_archE1100ELNS1_3gpuE3ELNS1_3repE0EEENS1_30default_config_static_selectorELNS0_4arch9wavefront6targetE0EEEvT1_.has_dyn_sized_stack, 0
	.set _ZN7rocprim17ROCPRIM_400000_NS6detail17trampoline_kernelINS0_14default_configENS1_27scan_by_key_config_selectorIifEEZZNS1_16scan_by_key_implILNS1_25lookback_scan_determinismE0ELb1ES3_N6thrust23THRUST_200600_302600_NS6detail15normal_iteratorINS9_10device_ptrIiEEEENSB_INSC_IjEEEENSB_INSC_IfEEEEfNS9_4plusIvEENS9_8equal_toIvEEfEE10hipError_tPvRmT2_T3_T4_T5_mT6_T7_P12ihipStream_tbENKUlT_T0_E_clISt17integral_constantIbLb1EES13_EEDaSY_SZ_EUlSY_E_NS1_11comp_targetILNS1_3genE9ELNS1_11target_archE1100ELNS1_3gpuE3ELNS1_3repE0EEENS1_30default_config_static_selectorELNS0_4arch9wavefront6targetE0EEEvT1_.has_recursion, 0
	.set _ZN7rocprim17ROCPRIM_400000_NS6detail17trampoline_kernelINS0_14default_configENS1_27scan_by_key_config_selectorIifEEZZNS1_16scan_by_key_implILNS1_25lookback_scan_determinismE0ELb1ES3_N6thrust23THRUST_200600_302600_NS6detail15normal_iteratorINS9_10device_ptrIiEEEENSB_INSC_IjEEEENSB_INSC_IfEEEEfNS9_4plusIvEENS9_8equal_toIvEEfEE10hipError_tPvRmT2_T3_T4_T5_mT6_T7_P12ihipStream_tbENKUlT_T0_E_clISt17integral_constantIbLb1EES13_EEDaSY_SZ_EUlSY_E_NS1_11comp_targetILNS1_3genE9ELNS1_11target_archE1100ELNS1_3gpuE3ELNS1_3repE0EEENS1_30default_config_static_selectorELNS0_4arch9wavefront6targetE0EEEvT1_.has_indirect_call, 0
	.section	.AMDGPU.csdata,"",@progbits
; Kernel info:
; codeLenInByte = 0
; TotalNumSgprs: 0
; NumVgprs: 0
; ScratchSize: 0
; MemoryBound: 0
; FloatMode: 240
; IeeeMode: 1
; LDSByteSize: 0 bytes/workgroup (compile time only)
; SGPRBlocks: 0
; VGPRBlocks: 0
; NumSGPRsForWavesPerEU: 1
; NumVGPRsForWavesPerEU: 1
; NamedBarCnt: 0
; Occupancy: 16
; WaveLimiterHint : 0
; COMPUTE_PGM_RSRC2:SCRATCH_EN: 0
; COMPUTE_PGM_RSRC2:USER_SGPR: 2
; COMPUTE_PGM_RSRC2:TRAP_HANDLER: 0
; COMPUTE_PGM_RSRC2:TGID_X_EN: 1
; COMPUTE_PGM_RSRC2:TGID_Y_EN: 0
; COMPUTE_PGM_RSRC2:TGID_Z_EN: 0
; COMPUTE_PGM_RSRC2:TIDIG_COMP_CNT: 0
	.section	.text._ZN7rocprim17ROCPRIM_400000_NS6detail17trampoline_kernelINS0_14default_configENS1_27scan_by_key_config_selectorIifEEZZNS1_16scan_by_key_implILNS1_25lookback_scan_determinismE0ELb1ES3_N6thrust23THRUST_200600_302600_NS6detail15normal_iteratorINS9_10device_ptrIiEEEENSB_INSC_IjEEEENSB_INSC_IfEEEEfNS9_4plusIvEENS9_8equal_toIvEEfEE10hipError_tPvRmT2_T3_T4_T5_mT6_T7_P12ihipStream_tbENKUlT_T0_E_clISt17integral_constantIbLb1EES13_EEDaSY_SZ_EUlSY_E_NS1_11comp_targetILNS1_3genE8ELNS1_11target_archE1030ELNS1_3gpuE2ELNS1_3repE0EEENS1_30default_config_static_selectorELNS0_4arch9wavefront6targetE0EEEvT1_,"axG",@progbits,_ZN7rocprim17ROCPRIM_400000_NS6detail17trampoline_kernelINS0_14default_configENS1_27scan_by_key_config_selectorIifEEZZNS1_16scan_by_key_implILNS1_25lookback_scan_determinismE0ELb1ES3_N6thrust23THRUST_200600_302600_NS6detail15normal_iteratorINS9_10device_ptrIiEEEENSB_INSC_IjEEEENSB_INSC_IfEEEEfNS9_4plusIvEENS9_8equal_toIvEEfEE10hipError_tPvRmT2_T3_T4_T5_mT6_T7_P12ihipStream_tbENKUlT_T0_E_clISt17integral_constantIbLb1EES13_EEDaSY_SZ_EUlSY_E_NS1_11comp_targetILNS1_3genE8ELNS1_11target_archE1030ELNS1_3gpuE2ELNS1_3repE0EEENS1_30default_config_static_selectorELNS0_4arch9wavefront6targetE0EEEvT1_,comdat
	.protected	_ZN7rocprim17ROCPRIM_400000_NS6detail17trampoline_kernelINS0_14default_configENS1_27scan_by_key_config_selectorIifEEZZNS1_16scan_by_key_implILNS1_25lookback_scan_determinismE0ELb1ES3_N6thrust23THRUST_200600_302600_NS6detail15normal_iteratorINS9_10device_ptrIiEEEENSB_INSC_IjEEEENSB_INSC_IfEEEEfNS9_4plusIvEENS9_8equal_toIvEEfEE10hipError_tPvRmT2_T3_T4_T5_mT6_T7_P12ihipStream_tbENKUlT_T0_E_clISt17integral_constantIbLb1EES13_EEDaSY_SZ_EUlSY_E_NS1_11comp_targetILNS1_3genE8ELNS1_11target_archE1030ELNS1_3gpuE2ELNS1_3repE0EEENS1_30default_config_static_selectorELNS0_4arch9wavefront6targetE0EEEvT1_ ; -- Begin function _ZN7rocprim17ROCPRIM_400000_NS6detail17trampoline_kernelINS0_14default_configENS1_27scan_by_key_config_selectorIifEEZZNS1_16scan_by_key_implILNS1_25lookback_scan_determinismE0ELb1ES3_N6thrust23THRUST_200600_302600_NS6detail15normal_iteratorINS9_10device_ptrIiEEEENSB_INSC_IjEEEENSB_INSC_IfEEEEfNS9_4plusIvEENS9_8equal_toIvEEfEE10hipError_tPvRmT2_T3_T4_T5_mT6_T7_P12ihipStream_tbENKUlT_T0_E_clISt17integral_constantIbLb1EES13_EEDaSY_SZ_EUlSY_E_NS1_11comp_targetILNS1_3genE8ELNS1_11target_archE1030ELNS1_3gpuE2ELNS1_3repE0EEENS1_30default_config_static_selectorELNS0_4arch9wavefront6targetE0EEEvT1_
	.globl	_ZN7rocprim17ROCPRIM_400000_NS6detail17trampoline_kernelINS0_14default_configENS1_27scan_by_key_config_selectorIifEEZZNS1_16scan_by_key_implILNS1_25lookback_scan_determinismE0ELb1ES3_N6thrust23THRUST_200600_302600_NS6detail15normal_iteratorINS9_10device_ptrIiEEEENSB_INSC_IjEEEENSB_INSC_IfEEEEfNS9_4plusIvEENS9_8equal_toIvEEfEE10hipError_tPvRmT2_T3_T4_T5_mT6_T7_P12ihipStream_tbENKUlT_T0_E_clISt17integral_constantIbLb1EES13_EEDaSY_SZ_EUlSY_E_NS1_11comp_targetILNS1_3genE8ELNS1_11target_archE1030ELNS1_3gpuE2ELNS1_3repE0EEENS1_30default_config_static_selectorELNS0_4arch9wavefront6targetE0EEEvT1_
	.p2align	8
	.type	_ZN7rocprim17ROCPRIM_400000_NS6detail17trampoline_kernelINS0_14default_configENS1_27scan_by_key_config_selectorIifEEZZNS1_16scan_by_key_implILNS1_25lookback_scan_determinismE0ELb1ES3_N6thrust23THRUST_200600_302600_NS6detail15normal_iteratorINS9_10device_ptrIiEEEENSB_INSC_IjEEEENSB_INSC_IfEEEEfNS9_4plusIvEENS9_8equal_toIvEEfEE10hipError_tPvRmT2_T3_T4_T5_mT6_T7_P12ihipStream_tbENKUlT_T0_E_clISt17integral_constantIbLb1EES13_EEDaSY_SZ_EUlSY_E_NS1_11comp_targetILNS1_3genE8ELNS1_11target_archE1030ELNS1_3gpuE2ELNS1_3repE0EEENS1_30default_config_static_selectorELNS0_4arch9wavefront6targetE0EEEvT1_,@function
_ZN7rocprim17ROCPRIM_400000_NS6detail17trampoline_kernelINS0_14default_configENS1_27scan_by_key_config_selectorIifEEZZNS1_16scan_by_key_implILNS1_25lookback_scan_determinismE0ELb1ES3_N6thrust23THRUST_200600_302600_NS6detail15normal_iteratorINS9_10device_ptrIiEEEENSB_INSC_IjEEEENSB_INSC_IfEEEEfNS9_4plusIvEENS9_8equal_toIvEEfEE10hipError_tPvRmT2_T3_T4_T5_mT6_T7_P12ihipStream_tbENKUlT_T0_E_clISt17integral_constantIbLb1EES13_EEDaSY_SZ_EUlSY_E_NS1_11comp_targetILNS1_3genE8ELNS1_11target_archE1030ELNS1_3gpuE2ELNS1_3repE0EEENS1_30default_config_static_selectorELNS0_4arch9wavefront6targetE0EEEvT1_: ; @_ZN7rocprim17ROCPRIM_400000_NS6detail17trampoline_kernelINS0_14default_configENS1_27scan_by_key_config_selectorIifEEZZNS1_16scan_by_key_implILNS1_25lookback_scan_determinismE0ELb1ES3_N6thrust23THRUST_200600_302600_NS6detail15normal_iteratorINS9_10device_ptrIiEEEENSB_INSC_IjEEEENSB_INSC_IfEEEEfNS9_4plusIvEENS9_8equal_toIvEEfEE10hipError_tPvRmT2_T3_T4_T5_mT6_T7_P12ihipStream_tbENKUlT_T0_E_clISt17integral_constantIbLb1EES13_EEDaSY_SZ_EUlSY_E_NS1_11comp_targetILNS1_3genE8ELNS1_11target_archE1030ELNS1_3gpuE2ELNS1_3repE0EEENS1_30default_config_static_selectorELNS0_4arch9wavefront6targetE0EEEvT1_
; %bb.0:
	.section	.rodata,"a",@progbits
	.p2align	6, 0x0
	.amdhsa_kernel _ZN7rocprim17ROCPRIM_400000_NS6detail17trampoline_kernelINS0_14default_configENS1_27scan_by_key_config_selectorIifEEZZNS1_16scan_by_key_implILNS1_25lookback_scan_determinismE0ELb1ES3_N6thrust23THRUST_200600_302600_NS6detail15normal_iteratorINS9_10device_ptrIiEEEENSB_INSC_IjEEEENSB_INSC_IfEEEEfNS9_4plusIvEENS9_8equal_toIvEEfEE10hipError_tPvRmT2_T3_T4_T5_mT6_T7_P12ihipStream_tbENKUlT_T0_E_clISt17integral_constantIbLb1EES13_EEDaSY_SZ_EUlSY_E_NS1_11comp_targetILNS1_3genE8ELNS1_11target_archE1030ELNS1_3gpuE2ELNS1_3repE0EEENS1_30default_config_static_selectorELNS0_4arch9wavefront6targetE0EEEvT1_
		.amdhsa_group_segment_fixed_size 0
		.amdhsa_private_segment_fixed_size 0
		.amdhsa_kernarg_size 112
		.amdhsa_user_sgpr_count 2
		.amdhsa_user_sgpr_dispatch_ptr 0
		.amdhsa_user_sgpr_queue_ptr 0
		.amdhsa_user_sgpr_kernarg_segment_ptr 1
		.amdhsa_user_sgpr_dispatch_id 0
		.amdhsa_user_sgpr_kernarg_preload_length 0
		.amdhsa_user_sgpr_kernarg_preload_offset 0
		.amdhsa_user_sgpr_private_segment_size 0
		.amdhsa_wavefront_size32 1
		.amdhsa_uses_dynamic_stack 0
		.amdhsa_enable_private_segment 0
		.amdhsa_system_sgpr_workgroup_id_x 1
		.amdhsa_system_sgpr_workgroup_id_y 0
		.amdhsa_system_sgpr_workgroup_id_z 0
		.amdhsa_system_sgpr_workgroup_info 0
		.amdhsa_system_vgpr_workitem_id 0
		.amdhsa_next_free_vgpr 1
		.amdhsa_next_free_sgpr 1
		.amdhsa_named_barrier_count 0
		.amdhsa_reserve_vcc 0
		.amdhsa_float_round_mode_32 0
		.amdhsa_float_round_mode_16_64 0
		.amdhsa_float_denorm_mode_32 3
		.amdhsa_float_denorm_mode_16_64 3
		.amdhsa_fp16_overflow 0
		.amdhsa_memory_ordered 1
		.amdhsa_forward_progress 1
		.amdhsa_inst_pref_size 0
		.amdhsa_round_robin_scheduling 0
		.amdhsa_exception_fp_ieee_invalid_op 0
		.amdhsa_exception_fp_denorm_src 0
		.amdhsa_exception_fp_ieee_div_zero 0
		.amdhsa_exception_fp_ieee_overflow 0
		.amdhsa_exception_fp_ieee_underflow 0
		.amdhsa_exception_fp_ieee_inexact 0
		.amdhsa_exception_int_div_zero 0
	.end_amdhsa_kernel
	.section	.text._ZN7rocprim17ROCPRIM_400000_NS6detail17trampoline_kernelINS0_14default_configENS1_27scan_by_key_config_selectorIifEEZZNS1_16scan_by_key_implILNS1_25lookback_scan_determinismE0ELb1ES3_N6thrust23THRUST_200600_302600_NS6detail15normal_iteratorINS9_10device_ptrIiEEEENSB_INSC_IjEEEENSB_INSC_IfEEEEfNS9_4plusIvEENS9_8equal_toIvEEfEE10hipError_tPvRmT2_T3_T4_T5_mT6_T7_P12ihipStream_tbENKUlT_T0_E_clISt17integral_constantIbLb1EES13_EEDaSY_SZ_EUlSY_E_NS1_11comp_targetILNS1_3genE8ELNS1_11target_archE1030ELNS1_3gpuE2ELNS1_3repE0EEENS1_30default_config_static_selectorELNS0_4arch9wavefront6targetE0EEEvT1_,"axG",@progbits,_ZN7rocprim17ROCPRIM_400000_NS6detail17trampoline_kernelINS0_14default_configENS1_27scan_by_key_config_selectorIifEEZZNS1_16scan_by_key_implILNS1_25lookback_scan_determinismE0ELb1ES3_N6thrust23THRUST_200600_302600_NS6detail15normal_iteratorINS9_10device_ptrIiEEEENSB_INSC_IjEEEENSB_INSC_IfEEEEfNS9_4plusIvEENS9_8equal_toIvEEfEE10hipError_tPvRmT2_T3_T4_T5_mT6_T7_P12ihipStream_tbENKUlT_T0_E_clISt17integral_constantIbLb1EES13_EEDaSY_SZ_EUlSY_E_NS1_11comp_targetILNS1_3genE8ELNS1_11target_archE1030ELNS1_3gpuE2ELNS1_3repE0EEENS1_30default_config_static_selectorELNS0_4arch9wavefront6targetE0EEEvT1_,comdat
.Lfunc_end1697:
	.size	_ZN7rocprim17ROCPRIM_400000_NS6detail17trampoline_kernelINS0_14default_configENS1_27scan_by_key_config_selectorIifEEZZNS1_16scan_by_key_implILNS1_25lookback_scan_determinismE0ELb1ES3_N6thrust23THRUST_200600_302600_NS6detail15normal_iteratorINS9_10device_ptrIiEEEENSB_INSC_IjEEEENSB_INSC_IfEEEEfNS9_4plusIvEENS9_8equal_toIvEEfEE10hipError_tPvRmT2_T3_T4_T5_mT6_T7_P12ihipStream_tbENKUlT_T0_E_clISt17integral_constantIbLb1EES13_EEDaSY_SZ_EUlSY_E_NS1_11comp_targetILNS1_3genE8ELNS1_11target_archE1030ELNS1_3gpuE2ELNS1_3repE0EEENS1_30default_config_static_selectorELNS0_4arch9wavefront6targetE0EEEvT1_, .Lfunc_end1697-_ZN7rocprim17ROCPRIM_400000_NS6detail17trampoline_kernelINS0_14default_configENS1_27scan_by_key_config_selectorIifEEZZNS1_16scan_by_key_implILNS1_25lookback_scan_determinismE0ELb1ES3_N6thrust23THRUST_200600_302600_NS6detail15normal_iteratorINS9_10device_ptrIiEEEENSB_INSC_IjEEEENSB_INSC_IfEEEEfNS9_4plusIvEENS9_8equal_toIvEEfEE10hipError_tPvRmT2_T3_T4_T5_mT6_T7_P12ihipStream_tbENKUlT_T0_E_clISt17integral_constantIbLb1EES13_EEDaSY_SZ_EUlSY_E_NS1_11comp_targetILNS1_3genE8ELNS1_11target_archE1030ELNS1_3gpuE2ELNS1_3repE0EEENS1_30default_config_static_selectorELNS0_4arch9wavefront6targetE0EEEvT1_
                                        ; -- End function
	.set _ZN7rocprim17ROCPRIM_400000_NS6detail17trampoline_kernelINS0_14default_configENS1_27scan_by_key_config_selectorIifEEZZNS1_16scan_by_key_implILNS1_25lookback_scan_determinismE0ELb1ES3_N6thrust23THRUST_200600_302600_NS6detail15normal_iteratorINS9_10device_ptrIiEEEENSB_INSC_IjEEEENSB_INSC_IfEEEEfNS9_4plusIvEENS9_8equal_toIvEEfEE10hipError_tPvRmT2_T3_T4_T5_mT6_T7_P12ihipStream_tbENKUlT_T0_E_clISt17integral_constantIbLb1EES13_EEDaSY_SZ_EUlSY_E_NS1_11comp_targetILNS1_3genE8ELNS1_11target_archE1030ELNS1_3gpuE2ELNS1_3repE0EEENS1_30default_config_static_selectorELNS0_4arch9wavefront6targetE0EEEvT1_.num_vgpr, 0
	.set _ZN7rocprim17ROCPRIM_400000_NS6detail17trampoline_kernelINS0_14default_configENS1_27scan_by_key_config_selectorIifEEZZNS1_16scan_by_key_implILNS1_25lookback_scan_determinismE0ELb1ES3_N6thrust23THRUST_200600_302600_NS6detail15normal_iteratorINS9_10device_ptrIiEEEENSB_INSC_IjEEEENSB_INSC_IfEEEEfNS9_4plusIvEENS9_8equal_toIvEEfEE10hipError_tPvRmT2_T3_T4_T5_mT6_T7_P12ihipStream_tbENKUlT_T0_E_clISt17integral_constantIbLb1EES13_EEDaSY_SZ_EUlSY_E_NS1_11comp_targetILNS1_3genE8ELNS1_11target_archE1030ELNS1_3gpuE2ELNS1_3repE0EEENS1_30default_config_static_selectorELNS0_4arch9wavefront6targetE0EEEvT1_.num_agpr, 0
	.set _ZN7rocprim17ROCPRIM_400000_NS6detail17trampoline_kernelINS0_14default_configENS1_27scan_by_key_config_selectorIifEEZZNS1_16scan_by_key_implILNS1_25lookback_scan_determinismE0ELb1ES3_N6thrust23THRUST_200600_302600_NS6detail15normal_iteratorINS9_10device_ptrIiEEEENSB_INSC_IjEEEENSB_INSC_IfEEEEfNS9_4plusIvEENS9_8equal_toIvEEfEE10hipError_tPvRmT2_T3_T4_T5_mT6_T7_P12ihipStream_tbENKUlT_T0_E_clISt17integral_constantIbLb1EES13_EEDaSY_SZ_EUlSY_E_NS1_11comp_targetILNS1_3genE8ELNS1_11target_archE1030ELNS1_3gpuE2ELNS1_3repE0EEENS1_30default_config_static_selectorELNS0_4arch9wavefront6targetE0EEEvT1_.numbered_sgpr, 0
	.set _ZN7rocprim17ROCPRIM_400000_NS6detail17trampoline_kernelINS0_14default_configENS1_27scan_by_key_config_selectorIifEEZZNS1_16scan_by_key_implILNS1_25lookback_scan_determinismE0ELb1ES3_N6thrust23THRUST_200600_302600_NS6detail15normal_iteratorINS9_10device_ptrIiEEEENSB_INSC_IjEEEENSB_INSC_IfEEEEfNS9_4plusIvEENS9_8equal_toIvEEfEE10hipError_tPvRmT2_T3_T4_T5_mT6_T7_P12ihipStream_tbENKUlT_T0_E_clISt17integral_constantIbLb1EES13_EEDaSY_SZ_EUlSY_E_NS1_11comp_targetILNS1_3genE8ELNS1_11target_archE1030ELNS1_3gpuE2ELNS1_3repE0EEENS1_30default_config_static_selectorELNS0_4arch9wavefront6targetE0EEEvT1_.num_named_barrier, 0
	.set _ZN7rocprim17ROCPRIM_400000_NS6detail17trampoline_kernelINS0_14default_configENS1_27scan_by_key_config_selectorIifEEZZNS1_16scan_by_key_implILNS1_25lookback_scan_determinismE0ELb1ES3_N6thrust23THRUST_200600_302600_NS6detail15normal_iteratorINS9_10device_ptrIiEEEENSB_INSC_IjEEEENSB_INSC_IfEEEEfNS9_4plusIvEENS9_8equal_toIvEEfEE10hipError_tPvRmT2_T3_T4_T5_mT6_T7_P12ihipStream_tbENKUlT_T0_E_clISt17integral_constantIbLb1EES13_EEDaSY_SZ_EUlSY_E_NS1_11comp_targetILNS1_3genE8ELNS1_11target_archE1030ELNS1_3gpuE2ELNS1_3repE0EEENS1_30default_config_static_selectorELNS0_4arch9wavefront6targetE0EEEvT1_.private_seg_size, 0
	.set _ZN7rocprim17ROCPRIM_400000_NS6detail17trampoline_kernelINS0_14default_configENS1_27scan_by_key_config_selectorIifEEZZNS1_16scan_by_key_implILNS1_25lookback_scan_determinismE0ELb1ES3_N6thrust23THRUST_200600_302600_NS6detail15normal_iteratorINS9_10device_ptrIiEEEENSB_INSC_IjEEEENSB_INSC_IfEEEEfNS9_4plusIvEENS9_8equal_toIvEEfEE10hipError_tPvRmT2_T3_T4_T5_mT6_T7_P12ihipStream_tbENKUlT_T0_E_clISt17integral_constantIbLb1EES13_EEDaSY_SZ_EUlSY_E_NS1_11comp_targetILNS1_3genE8ELNS1_11target_archE1030ELNS1_3gpuE2ELNS1_3repE0EEENS1_30default_config_static_selectorELNS0_4arch9wavefront6targetE0EEEvT1_.uses_vcc, 0
	.set _ZN7rocprim17ROCPRIM_400000_NS6detail17trampoline_kernelINS0_14default_configENS1_27scan_by_key_config_selectorIifEEZZNS1_16scan_by_key_implILNS1_25lookback_scan_determinismE0ELb1ES3_N6thrust23THRUST_200600_302600_NS6detail15normal_iteratorINS9_10device_ptrIiEEEENSB_INSC_IjEEEENSB_INSC_IfEEEEfNS9_4plusIvEENS9_8equal_toIvEEfEE10hipError_tPvRmT2_T3_T4_T5_mT6_T7_P12ihipStream_tbENKUlT_T0_E_clISt17integral_constantIbLb1EES13_EEDaSY_SZ_EUlSY_E_NS1_11comp_targetILNS1_3genE8ELNS1_11target_archE1030ELNS1_3gpuE2ELNS1_3repE0EEENS1_30default_config_static_selectorELNS0_4arch9wavefront6targetE0EEEvT1_.uses_flat_scratch, 0
	.set _ZN7rocprim17ROCPRIM_400000_NS6detail17trampoline_kernelINS0_14default_configENS1_27scan_by_key_config_selectorIifEEZZNS1_16scan_by_key_implILNS1_25lookback_scan_determinismE0ELb1ES3_N6thrust23THRUST_200600_302600_NS6detail15normal_iteratorINS9_10device_ptrIiEEEENSB_INSC_IjEEEENSB_INSC_IfEEEEfNS9_4plusIvEENS9_8equal_toIvEEfEE10hipError_tPvRmT2_T3_T4_T5_mT6_T7_P12ihipStream_tbENKUlT_T0_E_clISt17integral_constantIbLb1EES13_EEDaSY_SZ_EUlSY_E_NS1_11comp_targetILNS1_3genE8ELNS1_11target_archE1030ELNS1_3gpuE2ELNS1_3repE0EEENS1_30default_config_static_selectorELNS0_4arch9wavefront6targetE0EEEvT1_.has_dyn_sized_stack, 0
	.set _ZN7rocprim17ROCPRIM_400000_NS6detail17trampoline_kernelINS0_14default_configENS1_27scan_by_key_config_selectorIifEEZZNS1_16scan_by_key_implILNS1_25lookback_scan_determinismE0ELb1ES3_N6thrust23THRUST_200600_302600_NS6detail15normal_iteratorINS9_10device_ptrIiEEEENSB_INSC_IjEEEENSB_INSC_IfEEEEfNS9_4plusIvEENS9_8equal_toIvEEfEE10hipError_tPvRmT2_T3_T4_T5_mT6_T7_P12ihipStream_tbENKUlT_T0_E_clISt17integral_constantIbLb1EES13_EEDaSY_SZ_EUlSY_E_NS1_11comp_targetILNS1_3genE8ELNS1_11target_archE1030ELNS1_3gpuE2ELNS1_3repE0EEENS1_30default_config_static_selectorELNS0_4arch9wavefront6targetE0EEEvT1_.has_recursion, 0
	.set _ZN7rocprim17ROCPRIM_400000_NS6detail17trampoline_kernelINS0_14default_configENS1_27scan_by_key_config_selectorIifEEZZNS1_16scan_by_key_implILNS1_25lookback_scan_determinismE0ELb1ES3_N6thrust23THRUST_200600_302600_NS6detail15normal_iteratorINS9_10device_ptrIiEEEENSB_INSC_IjEEEENSB_INSC_IfEEEEfNS9_4plusIvEENS9_8equal_toIvEEfEE10hipError_tPvRmT2_T3_T4_T5_mT6_T7_P12ihipStream_tbENKUlT_T0_E_clISt17integral_constantIbLb1EES13_EEDaSY_SZ_EUlSY_E_NS1_11comp_targetILNS1_3genE8ELNS1_11target_archE1030ELNS1_3gpuE2ELNS1_3repE0EEENS1_30default_config_static_selectorELNS0_4arch9wavefront6targetE0EEEvT1_.has_indirect_call, 0
	.section	.AMDGPU.csdata,"",@progbits
; Kernel info:
; codeLenInByte = 0
; TotalNumSgprs: 0
; NumVgprs: 0
; ScratchSize: 0
; MemoryBound: 0
; FloatMode: 240
; IeeeMode: 1
; LDSByteSize: 0 bytes/workgroup (compile time only)
; SGPRBlocks: 0
; VGPRBlocks: 0
; NumSGPRsForWavesPerEU: 1
; NumVGPRsForWavesPerEU: 1
; NamedBarCnt: 0
; Occupancy: 16
; WaveLimiterHint : 0
; COMPUTE_PGM_RSRC2:SCRATCH_EN: 0
; COMPUTE_PGM_RSRC2:USER_SGPR: 2
; COMPUTE_PGM_RSRC2:TRAP_HANDLER: 0
; COMPUTE_PGM_RSRC2:TGID_X_EN: 1
; COMPUTE_PGM_RSRC2:TGID_Y_EN: 0
; COMPUTE_PGM_RSRC2:TGID_Z_EN: 0
; COMPUTE_PGM_RSRC2:TIDIG_COMP_CNT: 0
	.section	.text._ZN7rocprim17ROCPRIM_400000_NS6detail17trampoline_kernelINS0_14default_configENS1_27scan_by_key_config_selectorIifEEZZNS1_16scan_by_key_implILNS1_25lookback_scan_determinismE0ELb1ES3_N6thrust23THRUST_200600_302600_NS6detail15normal_iteratorINS9_10device_ptrIiEEEENSB_INSC_IjEEEENSB_INSC_IfEEEEfNS9_4plusIvEENS9_8equal_toIvEEfEE10hipError_tPvRmT2_T3_T4_T5_mT6_T7_P12ihipStream_tbENKUlT_T0_E_clISt17integral_constantIbLb1EES12_IbLb0EEEEDaSY_SZ_EUlSY_E_NS1_11comp_targetILNS1_3genE0ELNS1_11target_archE4294967295ELNS1_3gpuE0ELNS1_3repE0EEENS1_30default_config_static_selectorELNS0_4arch9wavefront6targetE0EEEvT1_,"axG",@progbits,_ZN7rocprim17ROCPRIM_400000_NS6detail17trampoline_kernelINS0_14default_configENS1_27scan_by_key_config_selectorIifEEZZNS1_16scan_by_key_implILNS1_25lookback_scan_determinismE0ELb1ES3_N6thrust23THRUST_200600_302600_NS6detail15normal_iteratorINS9_10device_ptrIiEEEENSB_INSC_IjEEEENSB_INSC_IfEEEEfNS9_4plusIvEENS9_8equal_toIvEEfEE10hipError_tPvRmT2_T3_T4_T5_mT6_T7_P12ihipStream_tbENKUlT_T0_E_clISt17integral_constantIbLb1EES12_IbLb0EEEEDaSY_SZ_EUlSY_E_NS1_11comp_targetILNS1_3genE0ELNS1_11target_archE4294967295ELNS1_3gpuE0ELNS1_3repE0EEENS1_30default_config_static_selectorELNS0_4arch9wavefront6targetE0EEEvT1_,comdat
	.protected	_ZN7rocprim17ROCPRIM_400000_NS6detail17trampoline_kernelINS0_14default_configENS1_27scan_by_key_config_selectorIifEEZZNS1_16scan_by_key_implILNS1_25lookback_scan_determinismE0ELb1ES3_N6thrust23THRUST_200600_302600_NS6detail15normal_iteratorINS9_10device_ptrIiEEEENSB_INSC_IjEEEENSB_INSC_IfEEEEfNS9_4plusIvEENS9_8equal_toIvEEfEE10hipError_tPvRmT2_T3_T4_T5_mT6_T7_P12ihipStream_tbENKUlT_T0_E_clISt17integral_constantIbLb1EES12_IbLb0EEEEDaSY_SZ_EUlSY_E_NS1_11comp_targetILNS1_3genE0ELNS1_11target_archE4294967295ELNS1_3gpuE0ELNS1_3repE0EEENS1_30default_config_static_selectorELNS0_4arch9wavefront6targetE0EEEvT1_ ; -- Begin function _ZN7rocprim17ROCPRIM_400000_NS6detail17trampoline_kernelINS0_14default_configENS1_27scan_by_key_config_selectorIifEEZZNS1_16scan_by_key_implILNS1_25lookback_scan_determinismE0ELb1ES3_N6thrust23THRUST_200600_302600_NS6detail15normal_iteratorINS9_10device_ptrIiEEEENSB_INSC_IjEEEENSB_INSC_IfEEEEfNS9_4plusIvEENS9_8equal_toIvEEfEE10hipError_tPvRmT2_T3_T4_T5_mT6_T7_P12ihipStream_tbENKUlT_T0_E_clISt17integral_constantIbLb1EES12_IbLb0EEEEDaSY_SZ_EUlSY_E_NS1_11comp_targetILNS1_3genE0ELNS1_11target_archE4294967295ELNS1_3gpuE0ELNS1_3repE0EEENS1_30default_config_static_selectorELNS0_4arch9wavefront6targetE0EEEvT1_
	.globl	_ZN7rocprim17ROCPRIM_400000_NS6detail17trampoline_kernelINS0_14default_configENS1_27scan_by_key_config_selectorIifEEZZNS1_16scan_by_key_implILNS1_25lookback_scan_determinismE0ELb1ES3_N6thrust23THRUST_200600_302600_NS6detail15normal_iteratorINS9_10device_ptrIiEEEENSB_INSC_IjEEEENSB_INSC_IfEEEEfNS9_4plusIvEENS9_8equal_toIvEEfEE10hipError_tPvRmT2_T3_T4_T5_mT6_T7_P12ihipStream_tbENKUlT_T0_E_clISt17integral_constantIbLb1EES12_IbLb0EEEEDaSY_SZ_EUlSY_E_NS1_11comp_targetILNS1_3genE0ELNS1_11target_archE4294967295ELNS1_3gpuE0ELNS1_3repE0EEENS1_30default_config_static_selectorELNS0_4arch9wavefront6targetE0EEEvT1_
	.p2align	8
	.type	_ZN7rocprim17ROCPRIM_400000_NS6detail17trampoline_kernelINS0_14default_configENS1_27scan_by_key_config_selectorIifEEZZNS1_16scan_by_key_implILNS1_25lookback_scan_determinismE0ELb1ES3_N6thrust23THRUST_200600_302600_NS6detail15normal_iteratorINS9_10device_ptrIiEEEENSB_INSC_IjEEEENSB_INSC_IfEEEEfNS9_4plusIvEENS9_8equal_toIvEEfEE10hipError_tPvRmT2_T3_T4_T5_mT6_T7_P12ihipStream_tbENKUlT_T0_E_clISt17integral_constantIbLb1EES12_IbLb0EEEEDaSY_SZ_EUlSY_E_NS1_11comp_targetILNS1_3genE0ELNS1_11target_archE4294967295ELNS1_3gpuE0ELNS1_3repE0EEENS1_30default_config_static_selectorELNS0_4arch9wavefront6targetE0EEEvT1_,@function
_ZN7rocprim17ROCPRIM_400000_NS6detail17trampoline_kernelINS0_14default_configENS1_27scan_by_key_config_selectorIifEEZZNS1_16scan_by_key_implILNS1_25lookback_scan_determinismE0ELb1ES3_N6thrust23THRUST_200600_302600_NS6detail15normal_iteratorINS9_10device_ptrIiEEEENSB_INSC_IjEEEENSB_INSC_IfEEEEfNS9_4plusIvEENS9_8equal_toIvEEfEE10hipError_tPvRmT2_T3_T4_T5_mT6_T7_P12ihipStream_tbENKUlT_T0_E_clISt17integral_constantIbLb1EES12_IbLb0EEEEDaSY_SZ_EUlSY_E_NS1_11comp_targetILNS1_3genE0ELNS1_11target_archE4294967295ELNS1_3gpuE0ELNS1_3repE0EEENS1_30default_config_static_selectorELNS0_4arch9wavefront6targetE0EEEvT1_: ; @_ZN7rocprim17ROCPRIM_400000_NS6detail17trampoline_kernelINS0_14default_configENS1_27scan_by_key_config_selectorIifEEZZNS1_16scan_by_key_implILNS1_25lookback_scan_determinismE0ELb1ES3_N6thrust23THRUST_200600_302600_NS6detail15normal_iteratorINS9_10device_ptrIiEEEENSB_INSC_IjEEEENSB_INSC_IfEEEEfNS9_4plusIvEENS9_8equal_toIvEEfEE10hipError_tPvRmT2_T3_T4_T5_mT6_T7_P12ihipStream_tbENKUlT_T0_E_clISt17integral_constantIbLb1EES12_IbLb0EEEEDaSY_SZ_EUlSY_E_NS1_11comp_targetILNS1_3genE0ELNS1_11target_archE4294967295ELNS1_3gpuE0ELNS1_3repE0EEENS1_30default_config_static_selectorELNS0_4arch9wavefront6targetE0EEEvT1_
; %bb.0:
	s_endpgm
	.section	.rodata,"a",@progbits
	.p2align	6, 0x0
	.amdhsa_kernel _ZN7rocprim17ROCPRIM_400000_NS6detail17trampoline_kernelINS0_14default_configENS1_27scan_by_key_config_selectorIifEEZZNS1_16scan_by_key_implILNS1_25lookback_scan_determinismE0ELb1ES3_N6thrust23THRUST_200600_302600_NS6detail15normal_iteratorINS9_10device_ptrIiEEEENSB_INSC_IjEEEENSB_INSC_IfEEEEfNS9_4plusIvEENS9_8equal_toIvEEfEE10hipError_tPvRmT2_T3_T4_T5_mT6_T7_P12ihipStream_tbENKUlT_T0_E_clISt17integral_constantIbLb1EES12_IbLb0EEEEDaSY_SZ_EUlSY_E_NS1_11comp_targetILNS1_3genE0ELNS1_11target_archE4294967295ELNS1_3gpuE0ELNS1_3repE0EEENS1_30default_config_static_selectorELNS0_4arch9wavefront6targetE0EEEvT1_
		.amdhsa_group_segment_fixed_size 0
		.amdhsa_private_segment_fixed_size 0
		.amdhsa_kernarg_size 112
		.amdhsa_user_sgpr_count 2
		.amdhsa_user_sgpr_dispatch_ptr 0
		.amdhsa_user_sgpr_queue_ptr 0
		.amdhsa_user_sgpr_kernarg_segment_ptr 1
		.amdhsa_user_sgpr_dispatch_id 0
		.amdhsa_user_sgpr_kernarg_preload_length 0
		.amdhsa_user_sgpr_kernarg_preload_offset 0
		.amdhsa_user_sgpr_private_segment_size 0
		.amdhsa_wavefront_size32 1
		.amdhsa_uses_dynamic_stack 0
		.amdhsa_enable_private_segment 0
		.amdhsa_system_sgpr_workgroup_id_x 1
		.amdhsa_system_sgpr_workgroup_id_y 0
		.amdhsa_system_sgpr_workgroup_id_z 0
		.amdhsa_system_sgpr_workgroup_info 0
		.amdhsa_system_vgpr_workitem_id 0
		.amdhsa_next_free_vgpr 1
		.amdhsa_next_free_sgpr 1
		.amdhsa_named_barrier_count 0
		.amdhsa_reserve_vcc 0
		.amdhsa_float_round_mode_32 0
		.amdhsa_float_round_mode_16_64 0
		.amdhsa_float_denorm_mode_32 3
		.amdhsa_float_denorm_mode_16_64 3
		.amdhsa_fp16_overflow 0
		.amdhsa_memory_ordered 1
		.amdhsa_forward_progress 1
		.amdhsa_inst_pref_size 1
		.amdhsa_round_robin_scheduling 0
		.amdhsa_exception_fp_ieee_invalid_op 0
		.amdhsa_exception_fp_denorm_src 0
		.amdhsa_exception_fp_ieee_div_zero 0
		.amdhsa_exception_fp_ieee_overflow 0
		.amdhsa_exception_fp_ieee_underflow 0
		.amdhsa_exception_fp_ieee_inexact 0
		.amdhsa_exception_int_div_zero 0
	.end_amdhsa_kernel
	.section	.text._ZN7rocprim17ROCPRIM_400000_NS6detail17trampoline_kernelINS0_14default_configENS1_27scan_by_key_config_selectorIifEEZZNS1_16scan_by_key_implILNS1_25lookback_scan_determinismE0ELb1ES3_N6thrust23THRUST_200600_302600_NS6detail15normal_iteratorINS9_10device_ptrIiEEEENSB_INSC_IjEEEENSB_INSC_IfEEEEfNS9_4plusIvEENS9_8equal_toIvEEfEE10hipError_tPvRmT2_T3_T4_T5_mT6_T7_P12ihipStream_tbENKUlT_T0_E_clISt17integral_constantIbLb1EES12_IbLb0EEEEDaSY_SZ_EUlSY_E_NS1_11comp_targetILNS1_3genE0ELNS1_11target_archE4294967295ELNS1_3gpuE0ELNS1_3repE0EEENS1_30default_config_static_selectorELNS0_4arch9wavefront6targetE0EEEvT1_,"axG",@progbits,_ZN7rocprim17ROCPRIM_400000_NS6detail17trampoline_kernelINS0_14default_configENS1_27scan_by_key_config_selectorIifEEZZNS1_16scan_by_key_implILNS1_25lookback_scan_determinismE0ELb1ES3_N6thrust23THRUST_200600_302600_NS6detail15normal_iteratorINS9_10device_ptrIiEEEENSB_INSC_IjEEEENSB_INSC_IfEEEEfNS9_4plusIvEENS9_8equal_toIvEEfEE10hipError_tPvRmT2_T3_T4_T5_mT6_T7_P12ihipStream_tbENKUlT_T0_E_clISt17integral_constantIbLb1EES12_IbLb0EEEEDaSY_SZ_EUlSY_E_NS1_11comp_targetILNS1_3genE0ELNS1_11target_archE4294967295ELNS1_3gpuE0ELNS1_3repE0EEENS1_30default_config_static_selectorELNS0_4arch9wavefront6targetE0EEEvT1_,comdat
.Lfunc_end1698:
	.size	_ZN7rocprim17ROCPRIM_400000_NS6detail17trampoline_kernelINS0_14default_configENS1_27scan_by_key_config_selectorIifEEZZNS1_16scan_by_key_implILNS1_25lookback_scan_determinismE0ELb1ES3_N6thrust23THRUST_200600_302600_NS6detail15normal_iteratorINS9_10device_ptrIiEEEENSB_INSC_IjEEEENSB_INSC_IfEEEEfNS9_4plusIvEENS9_8equal_toIvEEfEE10hipError_tPvRmT2_T3_T4_T5_mT6_T7_P12ihipStream_tbENKUlT_T0_E_clISt17integral_constantIbLb1EES12_IbLb0EEEEDaSY_SZ_EUlSY_E_NS1_11comp_targetILNS1_3genE0ELNS1_11target_archE4294967295ELNS1_3gpuE0ELNS1_3repE0EEENS1_30default_config_static_selectorELNS0_4arch9wavefront6targetE0EEEvT1_, .Lfunc_end1698-_ZN7rocprim17ROCPRIM_400000_NS6detail17trampoline_kernelINS0_14default_configENS1_27scan_by_key_config_selectorIifEEZZNS1_16scan_by_key_implILNS1_25lookback_scan_determinismE0ELb1ES3_N6thrust23THRUST_200600_302600_NS6detail15normal_iteratorINS9_10device_ptrIiEEEENSB_INSC_IjEEEENSB_INSC_IfEEEEfNS9_4plusIvEENS9_8equal_toIvEEfEE10hipError_tPvRmT2_T3_T4_T5_mT6_T7_P12ihipStream_tbENKUlT_T0_E_clISt17integral_constantIbLb1EES12_IbLb0EEEEDaSY_SZ_EUlSY_E_NS1_11comp_targetILNS1_3genE0ELNS1_11target_archE4294967295ELNS1_3gpuE0ELNS1_3repE0EEENS1_30default_config_static_selectorELNS0_4arch9wavefront6targetE0EEEvT1_
                                        ; -- End function
	.set _ZN7rocprim17ROCPRIM_400000_NS6detail17trampoline_kernelINS0_14default_configENS1_27scan_by_key_config_selectorIifEEZZNS1_16scan_by_key_implILNS1_25lookback_scan_determinismE0ELb1ES3_N6thrust23THRUST_200600_302600_NS6detail15normal_iteratorINS9_10device_ptrIiEEEENSB_INSC_IjEEEENSB_INSC_IfEEEEfNS9_4plusIvEENS9_8equal_toIvEEfEE10hipError_tPvRmT2_T3_T4_T5_mT6_T7_P12ihipStream_tbENKUlT_T0_E_clISt17integral_constantIbLb1EES12_IbLb0EEEEDaSY_SZ_EUlSY_E_NS1_11comp_targetILNS1_3genE0ELNS1_11target_archE4294967295ELNS1_3gpuE0ELNS1_3repE0EEENS1_30default_config_static_selectorELNS0_4arch9wavefront6targetE0EEEvT1_.num_vgpr, 0
	.set _ZN7rocprim17ROCPRIM_400000_NS6detail17trampoline_kernelINS0_14default_configENS1_27scan_by_key_config_selectorIifEEZZNS1_16scan_by_key_implILNS1_25lookback_scan_determinismE0ELb1ES3_N6thrust23THRUST_200600_302600_NS6detail15normal_iteratorINS9_10device_ptrIiEEEENSB_INSC_IjEEEENSB_INSC_IfEEEEfNS9_4plusIvEENS9_8equal_toIvEEfEE10hipError_tPvRmT2_T3_T4_T5_mT6_T7_P12ihipStream_tbENKUlT_T0_E_clISt17integral_constantIbLb1EES12_IbLb0EEEEDaSY_SZ_EUlSY_E_NS1_11comp_targetILNS1_3genE0ELNS1_11target_archE4294967295ELNS1_3gpuE0ELNS1_3repE0EEENS1_30default_config_static_selectorELNS0_4arch9wavefront6targetE0EEEvT1_.num_agpr, 0
	.set _ZN7rocprim17ROCPRIM_400000_NS6detail17trampoline_kernelINS0_14default_configENS1_27scan_by_key_config_selectorIifEEZZNS1_16scan_by_key_implILNS1_25lookback_scan_determinismE0ELb1ES3_N6thrust23THRUST_200600_302600_NS6detail15normal_iteratorINS9_10device_ptrIiEEEENSB_INSC_IjEEEENSB_INSC_IfEEEEfNS9_4plusIvEENS9_8equal_toIvEEfEE10hipError_tPvRmT2_T3_T4_T5_mT6_T7_P12ihipStream_tbENKUlT_T0_E_clISt17integral_constantIbLb1EES12_IbLb0EEEEDaSY_SZ_EUlSY_E_NS1_11comp_targetILNS1_3genE0ELNS1_11target_archE4294967295ELNS1_3gpuE0ELNS1_3repE0EEENS1_30default_config_static_selectorELNS0_4arch9wavefront6targetE0EEEvT1_.numbered_sgpr, 0
	.set _ZN7rocprim17ROCPRIM_400000_NS6detail17trampoline_kernelINS0_14default_configENS1_27scan_by_key_config_selectorIifEEZZNS1_16scan_by_key_implILNS1_25lookback_scan_determinismE0ELb1ES3_N6thrust23THRUST_200600_302600_NS6detail15normal_iteratorINS9_10device_ptrIiEEEENSB_INSC_IjEEEENSB_INSC_IfEEEEfNS9_4plusIvEENS9_8equal_toIvEEfEE10hipError_tPvRmT2_T3_T4_T5_mT6_T7_P12ihipStream_tbENKUlT_T0_E_clISt17integral_constantIbLb1EES12_IbLb0EEEEDaSY_SZ_EUlSY_E_NS1_11comp_targetILNS1_3genE0ELNS1_11target_archE4294967295ELNS1_3gpuE0ELNS1_3repE0EEENS1_30default_config_static_selectorELNS0_4arch9wavefront6targetE0EEEvT1_.num_named_barrier, 0
	.set _ZN7rocprim17ROCPRIM_400000_NS6detail17trampoline_kernelINS0_14default_configENS1_27scan_by_key_config_selectorIifEEZZNS1_16scan_by_key_implILNS1_25lookback_scan_determinismE0ELb1ES3_N6thrust23THRUST_200600_302600_NS6detail15normal_iteratorINS9_10device_ptrIiEEEENSB_INSC_IjEEEENSB_INSC_IfEEEEfNS9_4plusIvEENS9_8equal_toIvEEfEE10hipError_tPvRmT2_T3_T4_T5_mT6_T7_P12ihipStream_tbENKUlT_T0_E_clISt17integral_constantIbLb1EES12_IbLb0EEEEDaSY_SZ_EUlSY_E_NS1_11comp_targetILNS1_3genE0ELNS1_11target_archE4294967295ELNS1_3gpuE0ELNS1_3repE0EEENS1_30default_config_static_selectorELNS0_4arch9wavefront6targetE0EEEvT1_.private_seg_size, 0
	.set _ZN7rocprim17ROCPRIM_400000_NS6detail17trampoline_kernelINS0_14default_configENS1_27scan_by_key_config_selectorIifEEZZNS1_16scan_by_key_implILNS1_25lookback_scan_determinismE0ELb1ES3_N6thrust23THRUST_200600_302600_NS6detail15normal_iteratorINS9_10device_ptrIiEEEENSB_INSC_IjEEEENSB_INSC_IfEEEEfNS9_4plusIvEENS9_8equal_toIvEEfEE10hipError_tPvRmT2_T3_T4_T5_mT6_T7_P12ihipStream_tbENKUlT_T0_E_clISt17integral_constantIbLb1EES12_IbLb0EEEEDaSY_SZ_EUlSY_E_NS1_11comp_targetILNS1_3genE0ELNS1_11target_archE4294967295ELNS1_3gpuE0ELNS1_3repE0EEENS1_30default_config_static_selectorELNS0_4arch9wavefront6targetE0EEEvT1_.uses_vcc, 0
	.set _ZN7rocprim17ROCPRIM_400000_NS6detail17trampoline_kernelINS0_14default_configENS1_27scan_by_key_config_selectorIifEEZZNS1_16scan_by_key_implILNS1_25lookback_scan_determinismE0ELb1ES3_N6thrust23THRUST_200600_302600_NS6detail15normal_iteratorINS9_10device_ptrIiEEEENSB_INSC_IjEEEENSB_INSC_IfEEEEfNS9_4plusIvEENS9_8equal_toIvEEfEE10hipError_tPvRmT2_T3_T4_T5_mT6_T7_P12ihipStream_tbENKUlT_T0_E_clISt17integral_constantIbLb1EES12_IbLb0EEEEDaSY_SZ_EUlSY_E_NS1_11comp_targetILNS1_3genE0ELNS1_11target_archE4294967295ELNS1_3gpuE0ELNS1_3repE0EEENS1_30default_config_static_selectorELNS0_4arch9wavefront6targetE0EEEvT1_.uses_flat_scratch, 0
	.set _ZN7rocprim17ROCPRIM_400000_NS6detail17trampoline_kernelINS0_14default_configENS1_27scan_by_key_config_selectorIifEEZZNS1_16scan_by_key_implILNS1_25lookback_scan_determinismE0ELb1ES3_N6thrust23THRUST_200600_302600_NS6detail15normal_iteratorINS9_10device_ptrIiEEEENSB_INSC_IjEEEENSB_INSC_IfEEEEfNS9_4plusIvEENS9_8equal_toIvEEfEE10hipError_tPvRmT2_T3_T4_T5_mT6_T7_P12ihipStream_tbENKUlT_T0_E_clISt17integral_constantIbLb1EES12_IbLb0EEEEDaSY_SZ_EUlSY_E_NS1_11comp_targetILNS1_3genE0ELNS1_11target_archE4294967295ELNS1_3gpuE0ELNS1_3repE0EEENS1_30default_config_static_selectorELNS0_4arch9wavefront6targetE0EEEvT1_.has_dyn_sized_stack, 0
	.set _ZN7rocprim17ROCPRIM_400000_NS6detail17trampoline_kernelINS0_14default_configENS1_27scan_by_key_config_selectorIifEEZZNS1_16scan_by_key_implILNS1_25lookback_scan_determinismE0ELb1ES3_N6thrust23THRUST_200600_302600_NS6detail15normal_iteratorINS9_10device_ptrIiEEEENSB_INSC_IjEEEENSB_INSC_IfEEEEfNS9_4plusIvEENS9_8equal_toIvEEfEE10hipError_tPvRmT2_T3_T4_T5_mT6_T7_P12ihipStream_tbENKUlT_T0_E_clISt17integral_constantIbLb1EES12_IbLb0EEEEDaSY_SZ_EUlSY_E_NS1_11comp_targetILNS1_3genE0ELNS1_11target_archE4294967295ELNS1_3gpuE0ELNS1_3repE0EEENS1_30default_config_static_selectorELNS0_4arch9wavefront6targetE0EEEvT1_.has_recursion, 0
	.set _ZN7rocprim17ROCPRIM_400000_NS6detail17trampoline_kernelINS0_14default_configENS1_27scan_by_key_config_selectorIifEEZZNS1_16scan_by_key_implILNS1_25lookback_scan_determinismE0ELb1ES3_N6thrust23THRUST_200600_302600_NS6detail15normal_iteratorINS9_10device_ptrIiEEEENSB_INSC_IjEEEENSB_INSC_IfEEEEfNS9_4plusIvEENS9_8equal_toIvEEfEE10hipError_tPvRmT2_T3_T4_T5_mT6_T7_P12ihipStream_tbENKUlT_T0_E_clISt17integral_constantIbLb1EES12_IbLb0EEEEDaSY_SZ_EUlSY_E_NS1_11comp_targetILNS1_3genE0ELNS1_11target_archE4294967295ELNS1_3gpuE0ELNS1_3repE0EEENS1_30default_config_static_selectorELNS0_4arch9wavefront6targetE0EEEvT1_.has_indirect_call, 0
	.section	.AMDGPU.csdata,"",@progbits
; Kernel info:
; codeLenInByte = 4
; TotalNumSgprs: 0
; NumVgprs: 0
; ScratchSize: 0
; MemoryBound: 0
; FloatMode: 240
; IeeeMode: 1
; LDSByteSize: 0 bytes/workgroup (compile time only)
; SGPRBlocks: 0
; VGPRBlocks: 0
; NumSGPRsForWavesPerEU: 1
; NumVGPRsForWavesPerEU: 1
; NamedBarCnt: 0
; Occupancy: 16
; WaveLimiterHint : 0
; COMPUTE_PGM_RSRC2:SCRATCH_EN: 0
; COMPUTE_PGM_RSRC2:USER_SGPR: 2
; COMPUTE_PGM_RSRC2:TRAP_HANDLER: 0
; COMPUTE_PGM_RSRC2:TGID_X_EN: 1
; COMPUTE_PGM_RSRC2:TGID_Y_EN: 0
; COMPUTE_PGM_RSRC2:TGID_Z_EN: 0
; COMPUTE_PGM_RSRC2:TIDIG_COMP_CNT: 0
	.section	.text._ZN7rocprim17ROCPRIM_400000_NS6detail17trampoline_kernelINS0_14default_configENS1_27scan_by_key_config_selectorIifEEZZNS1_16scan_by_key_implILNS1_25lookback_scan_determinismE0ELb1ES3_N6thrust23THRUST_200600_302600_NS6detail15normal_iteratorINS9_10device_ptrIiEEEENSB_INSC_IjEEEENSB_INSC_IfEEEEfNS9_4plusIvEENS9_8equal_toIvEEfEE10hipError_tPvRmT2_T3_T4_T5_mT6_T7_P12ihipStream_tbENKUlT_T0_E_clISt17integral_constantIbLb1EES12_IbLb0EEEEDaSY_SZ_EUlSY_E_NS1_11comp_targetILNS1_3genE10ELNS1_11target_archE1201ELNS1_3gpuE5ELNS1_3repE0EEENS1_30default_config_static_selectorELNS0_4arch9wavefront6targetE0EEEvT1_,"axG",@progbits,_ZN7rocprim17ROCPRIM_400000_NS6detail17trampoline_kernelINS0_14default_configENS1_27scan_by_key_config_selectorIifEEZZNS1_16scan_by_key_implILNS1_25lookback_scan_determinismE0ELb1ES3_N6thrust23THRUST_200600_302600_NS6detail15normal_iteratorINS9_10device_ptrIiEEEENSB_INSC_IjEEEENSB_INSC_IfEEEEfNS9_4plusIvEENS9_8equal_toIvEEfEE10hipError_tPvRmT2_T3_T4_T5_mT6_T7_P12ihipStream_tbENKUlT_T0_E_clISt17integral_constantIbLb1EES12_IbLb0EEEEDaSY_SZ_EUlSY_E_NS1_11comp_targetILNS1_3genE10ELNS1_11target_archE1201ELNS1_3gpuE5ELNS1_3repE0EEENS1_30default_config_static_selectorELNS0_4arch9wavefront6targetE0EEEvT1_,comdat
	.protected	_ZN7rocprim17ROCPRIM_400000_NS6detail17trampoline_kernelINS0_14default_configENS1_27scan_by_key_config_selectorIifEEZZNS1_16scan_by_key_implILNS1_25lookback_scan_determinismE0ELb1ES3_N6thrust23THRUST_200600_302600_NS6detail15normal_iteratorINS9_10device_ptrIiEEEENSB_INSC_IjEEEENSB_INSC_IfEEEEfNS9_4plusIvEENS9_8equal_toIvEEfEE10hipError_tPvRmT2_T3_T4_T5_mT6_T7_P12ihipStream_tbENKUlT_T0_E_clISt17integral_constantIbLb1EES12_IbLb0EEEEDaSY_SZ_EUlSY_E_NS1_11comp_targetILNS1_3genE10ELNS1_11target_archE1201ELNS1_3gpuE5ELNS1_3repE0EEENS1_30default_config_static_selectorELNS0_4arch9wavefront6targetE0EEEvT1_ ; -- Begin function _ZN7rocprim17ROCPRIM_400000_NS6detail17trampoline_kernelINS0_14default_configENS1_27scan_by_key_config_selectorIifEEZZNS1_16scan_by_key_implILNS1_25lookback_scan_determinismE0ELb1ES3_N6thrust23THRUST_200600_302600_NS6detail15normal_iteratorINS9_10device_ptrIiEEEENSB_INSC_IjEEEENSB_INSC_IfEEEEfNS9_4plusIvEENS9_8equal_toIvEEfEE10hipError_tPvRmT2_T3_T4_T5_mT6_T7_P12ihipStream_tbENKUlT_T0_E_clISt17integral_constantIbLb1EES12_IbLb0EEEEDaSY_SZ_EUlSY_E_NS1_11comp_targetILNS1_3genE10ELNS1_11target_archE1201ELNS1_3gpuE5ELNS1_3repE0EEENS1_30default_config_static_selectorELNS0_4arch9wavefront6targetE0EEEvT1_
	.globl	_ZN7rocprim17ROCPRIM_400000_NS6detail17trampoline_kernelINS0_14default_configENS1_27scan_by_key_config_selectorIifEEZZNS1_16scan_by_key_implILNS1_25lookback_scan_determinismE0ELb1ES3_N6thrust23THRUST_200600_302600_NS6detail15normal_iteratorINS9_10device_ptrIiEEEENSB_INSC_IjEEEENSB_INSC_IfEEEEfNS9_4plusIvEENS9_8equal_toIvEEfEE10hipError_tPvRmT2_T3_T4_T5_mT6_T7_P12ihipStream_tbENKUlT_T0_E_clISt17integral_constantIbLb1EES12_IbLb0EEEEDaSY_SZ_EUlSY_E_NS1_11comp_targetILNS1_3genE10ELNS1_11target_archE1201ELNS1_3gpuE5ELNS1_3repE0EEENS1_30default_config_static_selectorELNS0_4arch9wavefront6targetE0EEEvT1_
	.p2align	8
	.type	_ZN7rocprim17ROCPRIM_400000_NS6detail17trampoline_kernelINS0_14default_configENS1_27scan_by_key_config_selectorIifEEZZNS1_16scan_by_key_implILNS1_25lookback_scan_determinismE0ELb1ES3_N6thrust23THRUST_200600_302600_NS6detail15normal_iteratorINS9_10device_ptrIiEEEENSB_INSC_IjEEEENSB_INSC_IfEEEEfNS9_4plusIvEENS9_8equal_toIvEEfEE10hipError_tPvRmT2_T3_T4_T5_mT6_T7_P12ihipStream_tbENKUlT_T0_E_clISt17integral_constantIbLb1EES12_IbLb0EEEEDaSY_SZ_EUlSY_E_NS1_11comp_targetILNS1_3genE10ELNS1_11target_archE1201ELNS1_3gpuE5ELNS1_3repE0EEENS1_30default_config_static_selectorELNS0_4arch9wavefront6targetE0EEEvT1_,@function
_ZN7rocprim17ROCPRIM_400000_NS6detail17trampoline_kernelINS0_14default_configENS1_27scan_by_key_config_selectorIifEEZZNS1_16scan_by_key_implILNS1_25lookback_scan_determinismE0ELb1ES3_N6thrust23THRUST_200600_302600_NS6detail15normal_iteratorINS9_10device_ptrIiEEEENSB_INSC_IjEEEENSB_INSC_IfEEEEfNS9_4plusIvEENS9_8equal_toIvEEfEE10hipError_tPvRmT2_T3_T4_T5_mT6_T7_P12ihipStream_tbENKUlT_T0_E_clISt17integral_constantIbLb1EES12_IbLb0EEEEDaSY_SZ_EUlSY_E_NS1_11comp_targetILNS1_3genE10ELNS1_11target_archE1201ELNS1_3gpuE5ELNS1_3repE0EEENS1_30default_config_static_selectorELNS0_4arch9wavefront6targetE0EEEvT1_: ; @_ZN7rocprim17ROCPRIM_400000_NS6detail17trampoline_kernelINS0_14default_configENS1_27scan_by_key_config_selectorIifEEZZNS1_16scan_by_key_implILNS1_25lookback_scan_determinismE0ELb1ES3_N6thrust23THRUST_200600_302600_NS6detail15normal_iteratorINS9_10device_ptrIiEEEENSB_INSC_IjEEEENSB_INSC_IfEEEEfNS9_4plusIvEENS9_8equal_toIvEEfEE10hipError_tPvRmT2_T3_T4_T5_mT6_T7_P12ihipStream_tbENKUlT_T0_E_clISt17integral_constantIbLb1EES12_IbLb0EEEEDaSY_SZ_EUlSY_E_NS1_11comp_targetILNS1_3genE10ELNS1_11target_archE1201ELNS1_3gpuE5ELNS1_3repE0EEENS1_30default_config_static_selectorELNS0_4arch9wavefront6targetE0EEEvT1_
; %bb.0:
	.section	.rodata,"a",@progbits
	.p2align	6, 0x0
	.amdhsa_kernel _ZN7rocprim17ROCPRIM_400000_NS6detail17trampoline_kernelINS0_14default_configENS1_27scan_by_key_config_selectorIifEEZZNS1_16scan_by_key_implILNS1_25lookback_scan_determinismE0ELb1ES3_N6thrust23THRUST_200600_302600_NS6detail15normal_iteratorINS9_10device_ptrIiEEEENSB_INSC_IjEEEENSB_INSC_IfEEEEfNS9_4plusIvEENS9_8equal_toIvEEfEE10hipError_tPvRmT2_T3_T4_T5_mT6_T7_P12ihipStream_tbENKUlT_T0_E_clISt17integral_constantIbLb1EES12_IbLb0EEEEDaSY_SZ_EUlSY_E_NS1_11comp_targetILNS1_3genE10ELNS1_11target_archE1201ELNS1_3gpuE5ELNS1_3repE0EEENS1_30default_config_static_selectorELNS0_4arch9wavefront6targetE0EEEvT1_
		.amdhsa_group_segment_fixed_size 0
		.amdhsa_private_segment_fixed_size 0
		.amdhsa_kernarg_size 112
		.amdhsa_user_sgpr_count 2
		.amdhsa_user_sgpr_dispatch_ptr 0
		.amdhsa_user_sgpr_queue_ptr 0
		.amdhsa_user_sgpr_kernarg_segment_ptr 1
		.amdhsa_user_sgpr_dispatch_id 0
		.amdhsa_user_sgpr_kernarg_preload_length 0
		.amdhsa_user_sgpr_kernarg_preload_offset 0
		.amdhsa_user_sgpr_private_segment_size 0
		.amdhsa_wavefront_size32 1
		.amdhsa_uses_dynamic_stack 0
		.amdhsa_enable_private_segment 0
		.amdhsa_system_sgpr_workgroup_id_x 1
		.amdhsa_system_sgpr_workgroup_id_y 0
		.amdhsa_system_sgpr_workgroup_id_z 0
		.amdhsa_system_sgpr_workgroup_info 0
		.amdhsa_system_vgpr_workitem_id 0
		.amdhsa_next_free_vgpr 1
		.amdhsa_next_free_sgpr 1
		.amdhsa_named_barrier_count 0
		.amdhsa_reserve_vcc 0
		.amdhsa_float_round_mode_32 0
		.amdhsa_float_round_mode_16_64 0
		.amdhsa_float_denorm_mode_32 3
		.amdhsa_float_denorm_mode_16_64 3
		.amdhsa_fp16_overflow 0
		.amdhsa_memory_ordered 1
		.amdhsa_forward_progress 1
		.amdhsa_inst_pref_size 0
		.amdhsa_round_robin_scheduling 0
		.amdhsa_exception_fp_ieee_invalid_op 0
		.amdhsa_exception_fp_denorm_src 0
		.amdhsa_exception_fp_ieee_div_zero 0
		.amdhsa_exception_fp_ieee_overflow 0
		.amdhsa_exception_fp_ieee_underflow 0
		.amdhsa_exception_fp_ieee_inexact 0
		.amdhsa_exception_int_div_zero 0
	.end_amdhsa_kernel
	.section	.text._ZN7rocprim17ROCPRIM_400000_NS6detail17trampoline_kernelINS0_14default_configENS1_27scan_by_key_config_selectorIifEEZZNS1_16scan_by_key_implILNS1_25lookback_scan_determinismE0ELb1ES3_N6thrust23THRUST_200600_302600_NS6detail15normal_iteratorINS9_10device_ptrIiEEEENSB_INSC_IjEEEENSB_INSC_IfEEEEfNS9_4plusIvEENS9_8equal_toIvEEfEE10hipError_tPvRmT2_T3_T4_T5_mT6_T7_P12ihipStream_tbENKUlT_T0_E_clISt17integral_constantIbLb1EES12_IbLb0EEEEDaSY_SZ_EUlSY_E_NS1_11comp_targetILNS1_3genE10ELNS1_11target_archE1201ELNS1_3gpuE5ELNS1_3repE0EEENS1_30default_config_static_selectorELNS0_4arch9wavefront6targetE0EEEvT1_,"axG",@progbits,_ZN7rocprim17ROCPRIM_400000_NS6detail17trampoline_kernelINS0_14default_configENS1_27scan_by_key_config_selectorIifEEZZNS1_16scan_by_key_implILNS1_25lookback_scan_determinismE0ELb1ES3_N6thrust23THRUST_200600_302600_NS6detail15normal_iteratorINS9_10device_ptrIiEEEENSB_INSC_IjEEEENSB_INSC_IfEEEEfNS9_4plusIvEENS9_8equal_toIvEEfEE10hipError_tPvRmT2_T3_T4_T5_mT6_T7_P12ihipStream_tbENKUlT_T0_E_clISt17integral_constantIbLb1EES12_IbLb0EEEEDaSY_SZ_EUlSY_E_NS1_11comp_targetILNS1_3genE10ELNS1_11target_archE1201ELNS1_3gpuE5ELNS1_3repE0EEENS1_30default_config_static_selectorELNS0_4arch9wavefront6targetE0EEEvT1_,comdat
.Lfunc_end1699:
	.size	_ZN7rocprim17ROCPRIM_400000_NS6detail17trampoline_kernelINS0_14default_configENS1_27scan_by_key_config_selectorIifEEZZNS1_16scan_by_key_implILNS1_25lookback_scan_determinismE0ELb1ES3_N6thrust23THRUST_200600_302600_NS6detail15normal_iteratorINS9_10device_ptrIiEEEENSB_INSC_IjEEEENSB_INSC_IfEEEEfNS9_4plusIvEENS9_8equal_toIvEEfEE10hipError_tPvRmT2_T3_T4_T5_mT6_T7_P12ihipStream_tbENKUlT_T0_E_clISt17integral_constantIbLb1EES12_IbLb0EEEEDaSY_SZ_EUlSY_E_NS1_11comp_targetILNS1_3genE10ELNS1_11target_archE1201ELNS1_3gpuE5ELNS1_3repE0EEENS1_30default_config_static_selectorELNS0_4arch9wavefront6targetE0EEEvT1_, .Lfunc_end1699-_ZN7rocprim17ROCPRIM_400000_NS6detail17trampoline_kernelINS0_14default_configENS1_27scan_by_key_config_selectorIifEEZZNS1_16scan_by_key_implILNS1_25lookback_scan_determinismE0ELb1ES3_N6thrust23THRUST_200600_302600_NS6detail15normal_iteratorINS9_10device_ptrIiEEEENSB_INSC_IjEEEENSB_INSC_IfEEEEfNS9_4plusIvEENS9_8equal_toIvEEfEE10hipError_tPvRmT2_T3_T4_T5_mT6_T7_P12ihipStream_tbENKUlT_T0_E_clISt17integral_constantIbLb1EES12_IbLb0EEEEDaSY_SZ_EUlSY_E_NS1_11comp_targetILNS1_3genE10ELNS1_11target_archE1201ELNS1_3gpuE5ELNS1_3repE0EEENS1_30default_config_static_selectorELNS0_4arch9wavefront6targetE0EEEvT1_
                                        ; -- End function
	.set _ZN7rocprim17ROCPRIM_400000_NS6detail17trampoline_kernelINS0_14default_configENS1_27scan_by_key_config_selectorIifEEZZNS1_16scan_by_key_implILNS1_25lookback_scan_determinismE0ELb1ES3_N6thrust23THRUST_200600_302600_NS6detail15normal_iteratorINS9_10device_ptrIiEEEENSB_INSC_IjEEEENSB_INSC_IfEEEEfNS9_4plusIvEENS9_8equal_toIvEEfEE10hipError_tPvRmT2_T3_T4_T5_mT6_T7_P12ihipStream_tbENKUlT_T0_E_clISt17integral_constantIbLb1EES12_IbLb0EEEEDaSY_SZ_EUlSY_E_NS1_11comp_targetILNS1_3genE10ELNS1_11target_archE1201ELNS1_3gpuE5ELNS1_3repE0EEENS1_30default_config_static_selectorELNS0_4arch9wavefront6targetE0EEEvT1_.num_vgpr, 0
	.set _ZN7rocprim17ROCPRIM_400000_NS6detail17trampoline_kernelINS0_14default_configENS1_27scan_by_key_config_selectorIifEEZZNS1_16scan_by_key_implILNS1_25lookback_scan_determinismE0ELb1ES3_N6thrust23THRUST_200600_302600_NS6detail15normal_iteratorINS9_10device_ptrIiEEEENSB_INSC_IjEEEENSB_INSC_IfEEEEfNS9_4plusIvEENS9_8equal_toIvEEfEE10hipError_tPvRmT2_T3_T4_T5_mT6_T7_P12ihipStream_tbENKUlT_T0_E_clISt17integral_constantIbLb1EES12_IbLb0EEEEDaSY_SZ_EUlSY_E_NS1_11comp_targetILNS1_3genE10ELNS1_11target_archE1201ELNS1_3gpuE5ELNS1_3repE0EEENS1_30default_config_static_selectorELNS0_4arch9wavefront6targetE0EEEvT1_.num_agpr, 0
	.set _ZN7rocprim17ROCPRIM_400000_NS6detail17trampoline_kernelINS0_14default_configENS1_27scan_by_key_config_selectorIifEEZZNS1_16scan_by_key_implILNS1_25lookback_scan_determinismE0ELb1ES3_N6thrust23THRUST_200600_302600_NS6detail15normal_iteratorINS9_10device_ptrIiEEEENSB_INSC_IjEEEENSB_INSC_IfEEEEfNS9_4plusIvEENS9_8equal_toIvEEfEE10hipError_tPvRmT2_T3_T4_T5_mT6_T7_P12ihipStream_tbENKUlT_T0_E_clISt17integral_constantIbLb1EES12_IbLb0EEEEDaSY_SZ_EUlSY_E_NS1_11comp_targetILNS1_3genE10ELNS1_11target_archE1201ELNS1_3gpuE5ELNS1_3repE0EEENS1_30default_config_static_selectorELNS0_4arch9wavefront6targetE0EEEvT1_.numbered_sgpr, 0
	.set _ZN7rocprim17ROCPRIM_400000_NS6detail17trampoline_kernelINS0_14default_configENS1_27scan_by_key_config_selectorIifEEZZNS1_16scan_by_key_implILNS1_25lookback_scan_determinismE0ELb1ES3_N6thrust23THRUST_200600_302600_NS6detail15normal_iteratorINS9_10device_ptrIiEEEENSB_INSC_IjEEEENSB_INSC_IfEEEEfNS9_4plusIvEENS9_8equal_toIvEEfEE10hipError_tPvRmT2_T3_T4_T5_mT6_T7_P12ihipStream_tbENKUlT_T0_E_clISt17integral_constantIbLb1EES12_IbLb0EEEEDaSY_SZ_EUlSY_E_NS1_11comp_targetILNS1_3genE10ELNS1_11target_archE1201ELNS1_3gpuE5ELNS1_3repE0EEENS1_30default_config_static_selectorELNS0_4arch9wavefront6targetE0EEEvT1_.num_named_barrier, 0
	.set _ZN7rocprim17ROCPRIM_400000_NS6detail17trampoline_kernelINS0_14default_configENS1_27scan_by_key_config_selectorIifEEZZNS1_16scan_by_key_implILNS1_25lookback_scan_determinismE0ELb1ES3_N6thrust23THRUST_200600_302600_NS6detail15normal_iteratorINS9_10device_ptrIiEEEENSB_INSC_IjEEEENSB_INSC_IfEEEEfNS9_4plusIvEENS9_8equal_toIvEEfEE10hipError_tPvRmT2_T3_T4_T5_mT6_T7_P12ihipStream_tbENKUlT_T0_E_clISt17integral_constantIbLb1EES12_IbLb0EEEEDaSY_SZ_EUlSY_E_NS1_11comp_targetILNS1_3genE10ELNS1_11target_archE1201ELNS1_3gpuE5ELNS1_3repE0EEENS1_30default_config_static_selectorELNS0_4arch9wavefront6targetE0EEEvT1_.private_seg_size, 0
	.set _ZN7rocprim17ROCPRIM_400000_NS6detail17trampoline_kernelINS0_14default_configENS1_27scan_by_key_config_selectorIifEEZZNS1_16scan_by_key_implILNS1_25lookback_scan_determinismE0ELb1ES3_N6thrust23THRUST_200600_302600_NS6detail15normal_iteratorINS9_10device_ptrIiEEEENSB_INSC_IjEEEENSB_INSC_IfEEEEfNS9_4plusIvEENS9_8equal_toIvEEfEE10hipError_tPvRmT2_T3_T4_T5_mT6_T7_P12ihipStream_tbENKUlT_T0_E_clISt17integral_constantIbLb1EES12_IbLb0EEEEDaSY_SZ_EUlSY_E_NS1_11comp_targetILNS1_3genE10ELNS1_11target_archE1201ELNS1_3gpuE5ELNS1_3repE0EEENS1_30default_config_static_selectorELNS0_4arch9wavefront6targetE0EEEvT1_.uses_vcc, 0
	.set _ZN7rocprim17ROCPRIM_400000_NS6detail17trampoline_kernelINS0_14default_configENS1_27scan_by_key_config_selectorIifEEZZNS1_16scan_by_key_implILNS1_25lookback_scan_determinismE0ELb1ES3_N6thrust23THRUST_200600_302600_NS6detail15normal_iteratorINS9_10device_ptrIiEEEENSB_INSC_IjEEEENSB_INSC_IfEEEEfNS9_4plusIvEENS9_8equal_toIvEEfEE10hipError_tPvRmT2_T3_T4_T5_mT6_T7_P12ihipStream_tbENKUlT_T0_E_clISt17integral_constantIbLb1EES12_IbLb0EEEEDaSY_SZ_EUlSY_E_NS1_11comp_targetILNS1_3genE10ELNS1_11target_archE1201ELNS1_3gpuE5ELNS1_3repE0EEENS1_30default_config_static_selectorELNS0_4arch9wavefront6targetE0EEEvT1_.uses_flat_scratch, 0
	.set _ZN7rocprim17ROCPRIM_400000_NS6detail17trampoline_kernelINS0_14default_configENS1_27scan_by_key_config_selectorIifEEZZNS1_16scan_by_key_implILNS1_25lookback_scan_determinismE0ELb1ES3_N6thrust23THRUST_200600_302600_NS6detail15normal_iteratorINS9_10device_ptrIiEEEENSB_INSC_IjEEEENSB_INSC_IfEEEEfNS9_4plusIvEENS9_8equal_toIvEEfEE10hipError_tPvRmT2_T3_T4_T5_mT6_T7_P12ihipStream_tbENKUlT_T0_E_clISt17integral_constantIbLb1EES12_IbLb0EEEEDaSY_SZ_EUlSY_E_NS1_11comp_targetILNS1_3genE10ELNS1_11target_archE1201ELNS1_3gpuE5ELNS1_3repE0EEENS1_30default_config_static_selectorELNS0_4arch9wavefront6targetE0EEEvT1_.has_dyn_sized_stack, 0
	.set _ZN7rocprim17ROCPRIM_400000_NS6detail17trampoline_kernelINS0_14default_configENS1_27scan_by_key_config_selectorIifEEZZNS1_16scan_by_key_implILNS1_25lookback_scan_determinismE0ELb1ES3_N6thrust23THRUST_200600_302600_NS6detail15normal_iteratorINS9_10device_ptrIiEEEENSB_INSC_IjEEEENSB_INSC_IfEEEEfNS9_4plusIvEENS9_8equal_toIvEEfEE10hipError_tPvRmT2_T3_T4_T5_mT6_T7_P12ihipStream_tbENKUlT_T0_E_clISt17integral_constantIbLb1EES12_IbLb0EEEEDaSY_SZ_EUlSY_E_NS1_11comp_targetILNS1_3genE10ELNS1_11target_archE1201ELNS1_3gpuE5ELNS1_3repE0EEENS1_30default_config_static_selectorELNS0_4arch9wavefront6targetE0EEEvT1_.has_recursion, 0
	.set _ZN7rocprim17ROCPRIM_400000_NS6detail17trampoline_kernelINS0_14default_configENS1_27scan_by_key_config_selectorIifEEZZNS1_16scan_by_key_implILNS1_25lookback_scan_determinismE0ELb1ES3_N6thrust23THRUST_200600_302600_NS6detail15normal_iteratorINS9_10device_ptrIiEEEENSB_INSC_IjEEEENSB_INSC_IfEEEEfNS9_4plusIvEENS9_8equal_toIvEEfEE10hipError_tPvRmT2_T3_T4_T5_mT6_T7_P12ihipStream_tbENKUlT_T0_E_clISt17integral_constantIbLb1EES12_IbLb0EEEEDaSY_SZ_EUlSY_E_NS1_11comp_targetILNS1_3genE10ELNS1_11target_archE1201ELNS1_3gpuE5ELNS1_3repE0EEENS1_30default_config_static_selectorELNS0_4arch9wavefront6targetE0EEEvT1_.has_indirect_call, 0
	.section	.AMDGPU.csdata,"",@progbits
; Kernel info:
; codeLenInByte = 0
; TotalNumSgprs: 0
; NumVgprs: 0
; ScratchSize: 0
; MemoryBound: 0
; FloatMode: 240
; IeeeMode: 1
; LDSByteSize: 0 bytes/workgroup (compile time only)
; SGPRBlocks: 0
; VGPRBlocks: 0
; NumSGPRsForWavesPerEU: 1
; NumVGPRsForWavesPerEU: 1
; NamedBarCnt: 0
; Occupancy: 16
; WaveLimiterHint : 0
; COMPUTE_PGM_RSRC2:SCRATCH_EN: 0
; COMPUTE_PGM_RSRC2:USER_SGPR: 2
; COMPUTE_PGM_RSRC2:TRAP_HANDLER: 0
; COMPUTE_PGM_RSRC2:TGID_X_EN: 1
; COMPUTE_PGM_RSRC2:TGID_Y_EN: 0
; COMPUTE_PGM_RSRC2:TGID_Z_EN: 0
; COMPUTE_PGM_RSRC2:TIDIG_COMP_CNT: 0
	.section	.text._ZN7rocprim17ROCPRIM_400000_NS6detail17trampoline_kernelINS0_14default_configENS1_27scan_by_key_config_selectorIifEEZZNS1_16scan_by_key_implILNS1_25lookback_scan_determinismE0ELb1ES3_N6thrust23THRUST_200600_302600_NS6detail15normal_iteratorINS9_10device_ptrIiEEEENSB_INSC_IjEEEENSB_INSC_IfEEEEfNS9_4plusIvEENS9_8equal_toIvEEfEE10hipError_tPvRmT2_T3_T4_T5_mT6_T7_P12ihipStream_tbENKUlT_T0_E_clISt17integral_constantIbLb1EES12_IbLb0EEEEDaSY_SZ_EUlSY_E_NS1_11comp_targetILNS1_3genE5ELNS1_11target_archE942ELNS1_3gpuE9ELNS1_3repE0EEENS1_30default_config_static_selectorELNS0_4arch9wavefront6targetE0EEEvT1_,"axG",@progbits,_ZN7rocprim17ROCPRIM_400000_NS6detail17trampoline_kernelINS0_14default_configENS1_27scan_by_key_config_selectorIifEEZZNS1_16scan_by_key_implILNS1_25lookback_scan_determinismE0ELb1ES3_N6thrust23THRUST_200600_302600_NS6detail15normal_iteratorINS9_10device_ptrIiEEEENSB_INSC_IjEEEENSB_INSC_IfEEEEfNS9_4plusIvEENS9_8equal_toIvEEfEE10hipError_tPvRmT2_T3_T4_T5_mT6_T7_P12ihipStream_tbENKUlT_T0_E_clISt17integral_constantIbLb1EES12_IbLb0EEEEDaSY_SZ_EUlSY_E_NS1_11comp_targetILNS1_3genE5ELNS1_11target_archE942ELNS1_3gpuE9ELNS1_3repE0EEENS1_30default_config_static_selectorELNS0_4arch9wavefront6targetE0EEEvT1_,comdat
	.protected	_ZN7rocprim17ROCPRIM_400000_NS6detail17trampoline_kernelINS0_14default_configENS1_27scan_by_key_config_selectorIifEEZZNS1_16scan_by_key_implILNS1_25lookback_scan_determinismE0ELb1ES3_N6thrust23THRUST_200600_302600_NS6detail15normal_iteratorINS9_10device_ptrIiEEEENSB_INSC_IjEEEENSB_INSC_IfEEEEfNS9_4plusIvEENS9_8equal_toIvEEfEE10hipError_tPvRmT2_T3_T4_T5_mT6_T7_P12ihipStream_tbENKUlT_T0_E_clISt17integral_constantIbLb1EES12_IbLb0EEEEDaSY_SZ_EUlSY_E_NS1_11comp_targetILNS1_3genE5ELNS1_11target_archE942ELNS1_3gpuE9ELNS1_3repE0EEENS1_30default_config_static_selectorELNS0_4arch9wavefront6targetE0EEEvT1_ ; -- Begin function _ZN7rocprim17ROCPRIM_400000_NS6detail17trampoline_kernelINS0_14default_configENS1_27scan_by_key_config_selectorIifEEZZNS1_16scan_by_key_implILNS1_25lookback_scan_determinismE0ELb1ES3_N6thrust23THRUST_200600_302600_NS6detail15normal_iteratorINS9_10device_ptrIiEEEENSB_INSC_IjEEEENSB_INSC_IfEEEEfNS9_4plusIvEENS9_8equal_toIvEEfEE10hipError_tPvRmT2_T3_T4_T5_mT6_T7_P12ihipStream_tbENKUlT_T0_E_clISt17integral_constantIbLb1EES12_IbLb0EEEEDaSY_SZ_EUlSY_E_NS1_11comp_targetILNS1_3genE5ELNS1_11target_archE942ELNS1_3gpuE9ELNS1_3repE0EEENS1_30default_config_static_selectorELNS0_4arch9wavefront6targetE0EEEvT1_
	.globl	_ZN7rocprim17ROCPRIM_400000_NS6detail17trampoline_kernelINS0_14default_configENS1_27scan_by_key_config_selectorIifEEZZNS1_16scan_by_key_implILNS1_25lookback_scan_determinismE0ELb1ES3_N6thrust23THRUST_200600_302600_NS6detail15normal_iteratorINS9_10device_ptrIiEEEENSB_INSC_IjEEEENSB_INSC_IfEEEEfNS9_4plusIvEENS9_8equal_toIvEEfEE10hipError_tPvRmT2_T3_T4_T5_mT6_T7_P12ihipStream_tbENKUlT_T0_E_clISt17integral_constantIbLb1EES12_IbLb0EEEEDaSY_SZ_EUlSY_E_NS1_11comp_targetILNS1_3genE5ELNS1_11target_archE942ELNS1_3gpuE9ELNS1_3repE0EEENS1_30default_config_static_selectorELNS0_4arch9wavefront6targetE0EEEvT1_
	.p2align	8
	.type	_ZN7rocprim17ROCPRIM_400000_NS6detail17trampoline_kernelINS0_14default_configENS1_27scan_by_key_config_selectorIifEEZZNS1_16scan_by_key_implILNS1_25lookback_scan_determinismE0ELb1ES3_N6thrust23THRUST_200600_302600_NS6detail15normal_iteratorINS9_10device_ptrIiEEEENSB_INSC_IjEEEENSB_INSC_IfEEEEfNS9_4plusIvEENS9_8equal_toIvEEfEE10hipError_tPvRmT2_T3_T4_T5_mT6_T7_P12ihipStream_tbENKUlT_T0_E_clISt17integral_constantIbLb1EES12_IbLb0EEEEDaSY_SZ_EUlSY_E_NS1_11comp_targetILNS1_3genE5ELNS1_11target_archE942ELNS1_3gpuE9ELNS1_3repE0EEENS1_30default_config_static_selectorELNS0_4arch9wavefront6targetE0EEEvT1_,@function
_ZN7rocprim17ROCPRIM_400000_NS6detail17trampoline_kernelINS0_14default_configENS1_27scan_by_key_config_selectorIifEEZZNS1_16scan_by_key_implILNS1_25lookback_scan_determinismE0ELb1ES3_N6thrust23THRUST_200600_302600_NS6detail15normal_iteratorINS9_10device_ptrIiEEEENSB_INSC_IjEEEENSB_INSC_IfEEEEfNS9_4plusIvEENS9_8equal_toIvEEfEE10hipError_tPvRmT2_T3_T4_T5_mT6_T7_P12ihipStream_tbENKUlT_T0_E_clISt17integral_constantIbLb1EES12_IbLb0EEEEDaSY_SZ_EUlSY_E_NS1_11comp_targetILNS1_3genE5ELNS1_11target_archE942ELNS1_3gpuE9ELNS1_3repE0EEENS1_30default_config_static_selectorELNS0_4arch9wavefront6targetE0EEEvT1_: ; @_ZN7rocprim17ROCPRIM_400000_NS6detail17trampoline_kernelINS0_14default_configENS1_27scan_by_key_config_selectorIifEEZZNS1_16scan_by_key_implILNS1_25lookback_scan_determinismE0ELb1ES3_N6thrust23THRUST_200600_302600_NS6detail15normal_iteratorINS9_10device_ptrIiEEEENSB_INSC_IjEEEENSB_INSC_IfEEEEfNS9_4plusIvEENS9_8equal_toIvEEfEE10hipError_tPvRmT2_T3_T4_T5_mT6_T7_P12ihipStream_tbENKUlT_T0_E_clISt17integral_constantIbLb1EES12_IbLb0EEEEDaSY_SZ_EUlSY_E_NS1_11comp_targetILNS1_3genE5ELNS1_11target_archE942ELNS1_3gpuE9ELNS1_3repE0EEENS1_30default_config_static_selectorELNS0_4arch9wavefront6targetE0EEEvT1_
; %bb.0:
	.section	.rodata,"a",@progbits
	.p2align	6, 0x0
	.amdhsa_kernel _ZN7rocprim17ROCPRIM_400000_NS6detail17trampoline_kernelINS0_14default_configENS1_27scan_by_key_config_selectorIifEEZZNS1_16scan_by_key_implILNS1_25lookback_scan_determinismE0ELb1ES3_N6thrust23THRUST_200600_302600_NS6detail15normal_iteratorINS9_10device_ptrIiEEEENSB_INSC_IjEEEENSB_INSC_IfEEEEfNS9_4plusIvEENS9_8equal_toIvEEfEE10hipError_tPvRmT2_T3_T4_T5_mT6_T7_P12ihipStream_tbENKUlT_T0_E_clISt17integral_constantIbLb1EES12_IbLb0EEEEDaSY_SZ_EUlSY_E_NS1_11comp_targetILNS1_3genE5ELNS1_11target_archE942ELNS1_3gpuE9ELNS1_3repE0EEENS1_30default_config_static_selectorELNS0_4arch9wavefront6targetE0EEEvT1_
		.amdhsa_group_segment_fixed_size 0
		.amdhsa_private_segment_fixed_size 0
		.amdhsa_kernarg_size 112
		.amdhsa_user_sgpr_count 2
		.amdhsa_user_sgpr_dispatch_ptr 0
		.amdhsa_user_sgpr_queue_ptr 0
		.amdhsa_user_sgpr_kernarg_segment_ptr 1
		.amdhsa_user_sgpr_dispatch_id 0
		.amdhsa_user_sgpr_kernarg_preload_length 0
		.amdhsa_user_sgpr_kernarg_preload_offset 0
		.amdhsa_user_sgpr_private_segment_size 0
		.amdhsa_wavefront_size32 1
		.amdhsa_uses_dynamic_stack 0
		.amdhsa_enable_private_segment 0
		.amdhsa_system_sgpr_workgroup_id_x 1
		.amdhsa_system_sgpr_workgroup_id_y 0
		.amdhsa_system_sgpr_workgroup_id_z 0
		.amdhsa_system_sgpr_workgroup_info 0
		.amdhsa_system_vgpr_workitem_id 0
		.amdhsa_next_free_vgpr 1
		.amdhsa_next_free_sgpr 1
		.amdhsa_named_barrier_count 0
		.amdhsa_reserve_vcc 0
		.amdhsa_float_round_mode_32 0
		.amdhsa_float_round_mode_16_64 0
		.amdhsa_float_denorm_mode_32 3
		.amdhsa_float_denorm_mode_16_64 3
		.amdhsa_fp16_overflow 0
		.amdhsa_memory_ordered 1
		.amdhsa_forward_progress 1
		.amdhsa_inst_pref_size 0
		.amdhsa_round_robin_scheduling 0
		.amdhsa_exception_fp_ieee_invalid_op 0
		.amdhsa_exception_fp_denorm_src 0
		.amdhsa_exception_fp_ieee_div_zero 0
		.amdhsa_exception_fp_ieee_overflow 0
		.amdhsa_exception_fp_ieee_underflow 0
		.amdhsa_exception_fp_ieee_inexact 0
		.amdhsa_exception_int_div_zero 0
	.end_amdhsa_kernel
	.section	.text._ZN7rocprim17ROCPRIM_400000_NS6detail17trampoline_kernelINS0_14default_configENS1_27scan_by_key_config_selectorIifEEZZNS1_16scan_by_key_implILNS1_25lookback_scan_determinismE0ELb1ES3_N6thrust23THRUST_200600_302600_NS6detail15normal_iteratorINS9_10device_ptrIiEEEENSB_INSC_IjEEEENSB_INSC_IfEEEEfNS9_4plusIvEENS9_8equal_toIvEEfEE10hipError_tPvRmT2_T3_T4_T5_mT6_T7_P12ihipStream_tbENKUlT_T0_E_clISt17integral_constantIbLb1EES12_IbLb0EEEEDaSY_SZ_EUlSY_E_NS1_11comp_targetILNS1_3genE5ELNS1_11target_archE942ELNS1_3gpuE9ELNS1_3repE0EEENS1_30default_config_static_selectorELNS0_4arch9wavefront6targetE0EEEvT1_,"axG",@progbits,_ZN7rocprim17ROCPRIM_400000_NS6detail17trampoline_kernelINS0_14default_configENS1_27scan_by_key_config_selectorIifEEZZNS1_16scan_by_key_implILNS1_25lookback_scan_determinismE0ELb1ES3_N6thrust23THRUST_200600_302600_NS6detail15normal_iteratorINS9_10device_ptrIiEEEENSB_INSC_IjEEEENSB_INSC_IfEEEEfNS9_4plusIvEENS9_8equal_toIvEEfEE10hipError_tPvRmT2_T3_T4_T5_mT6_T7_P12ihipStream_tbENKUlT_T0_E_clISt17integral_constantIbLb1EES12_IbLb0EEEEDaSY_SZ_EUlSY_E_NS1_11comp_targetILNS1_3genE5ELNS1_11target_archE942ELNS1_3gpuE9ELNS1_3repE0EEENS1_30default_config_static_selectorELNS0_4arch9wavefront6targetE0EEEvT1_,comdat
.Lfunc_end1700:
	.size	_ZN7rocprim17ROCPRIM_400000_NS6detail17trampoline_kernelINS0_14default_configENS1_27scan_by_key_config_selectorIifEEZZNS1_16scan_by_key_implILNS1_25lookback_scan_determinismE0ELb1ES3_N6thrust23THRUST_200600_302600_NS6detail15normal_iteratorINS9_10device_ptrIiEEEENSB_INSC_IjEEEENSB_INSC_IfEEEEfNS9_4plusIvEENS9_8equal_toIvEEfEE10hipError_tPvRmT2_T3_T4_T5_mT6_T7_P12ihipStream_tbENKUlT_T0_E_clISt17integral_constantIbLb1EES12_IbLb0EEEEDaSY_SZ_EUlSY_E_NS1_11comp_targetILNS1_3genE5ELNS1_11target_archE942ELNS1_3gpuE9ELNS1_3repE0EEENS1_30default_config_static_selectorELNS0_4arch9wavefront6targetE0EEEvT1_, .Lfunc_end1700-_ZN7rocprim17ROCPRIM_400000_NS6detail17trampoline_kernelINS0_14default_configENS1_27scan_by_key_config_selectorIifEEZZNS1_16scan_by_key_implILNS1_25lookback_scan_determinismE0ELb1ES3_N6thrust23THRUST_200600_302600_NS6detail15normal_iteratorINS9_10device_ptrIiEEEENSB_INSC_IjEEEENSB_INSC_IfEEEEfNS9_4plusIvEENS9_8equal_toIvEEfEE10hipError_tPvRmT2_T3_T4_T5_mT6_T7_P12ihipStream_tbENKUlT_T0_E_clISt17integral_constantIbLb1EES12_IbLb0EEEEDaSY_SZ_EUlSY_E_NS1_11comp_targetILNS1_3genE5ELNS1_11target_archE942ELNS1_3gpuE9ELNS1_3repE0EEENS1_30default_config_static_selectorELNS0_4arch9wavefront6targetE0EEEvT1_
                                        ; -- End function
	.set _ZN7rocprim17ROCPRIM_400000_NS6detail17trampoline_kernelINS0_14default_configENS1_27scan_by_key_config_selectorIifEEZZNS1_16scan_by_key_implILNS1_25lookback_scan_determinismE0ELb1ES3_N6thrust23THRUST_200600_302600_NS6detail15normal_iteratorINS9_10device_ptrIiEEEENSB_INSC_IjEEEENSB_INSC_IfEEEEfNS9_4plusIvEENS9_8equal_toIvEEfEE10hipError_tPvRmT2_T3_T4_T5_mT6_T7_P12ihipStream_tbENKUlT_T0_E_clISt17integral_constantIbLb1EES12_IbLb0EEEEDaSY_SZ_EUlSY_E_NS1_11comp_targetILNS1_3genE5ELNS1_11target_archE942ELNS1_3gpuE9ELNS1_3repE0EEENS1_30default_config_static_selectorELNS0_4arch9wavefront6targetE0EEEvT1_.num_vgpr, 0
	.set _ZN7rocprim17ROCPRIM_400000_NS6detail17trampoline_kernelINS0_14default_configENS1_27scan_by_key_config_selectorIifEEZZNS1_16scan_by_key_implILNS1_25lookback_scan_determinismE0ELb1ES3_N6thrust23THRUST_200600_302600_NS6detail15normal_iteratorINS9_10device_ptrIiEEEENSB_INSC_IjEEEENSB_INSC_IfEEEEfNS9_4plusIvEENS9_8equal_toIvEEfEE10hipError_tPvRmT2_T3_T4_T5_mT6_T7_P12ihipStream_tbENKUlT_T0_E_clISt17integral_constantIbLb1EES12_IbLb0EEEEDaSY_SZ_EUlSY_E_NS1_11comp_targetILNS1_3genE5ELNS1_11target_archE942ELNS1_3gpuE9ELNS1_3repE0EEENS1_30default_config_static_selectorELNS0_4arch9wavefront6targetE0EEEvT1_.num_agpr, 0
	.set _ZN7rocprim17ROCPRIM_400000_NS6detail17trampoline_kernelINS0_14default_configENS1_27scan_by_key_config_selectorIifEEZZNS1_16scan_by_key_implILNS1_25lookback_scan_determinismE0ELb1ES3_N6thrust23THRUST_200600_302600_NS6detail15normal_iteratorINS9_10device_ptrIiEEEENSB_INSC_IjEEEENSB_INSC_IfEEEEfNS9_4plusIvEENS9_8equal_toIvEEfEE10hipError_tPvRmT2_T3_T4_T5_mT6_T7_P12ihipStream_tbENKUlT_T0_E_clISt17integral_constantIbLb1EES12_IbLb0EEEEDaSY_SZ_EUlSY_E_NS1_11comp_targetILNS1_3genE5ELNS1_11target_archE942ELNS1_3gpuE9ELNS1_3repE0EEENS1_30default_config_static_selectorELNS0_4arch9wavefront6targetE0EEEvT1_.numbered_sgpr, 0
	.set _ZN7rocprim17ROCPRIM_400000_NS6detail17trampoline_kernelINS0_14default_configENS1_27scan_by_key_config_selectorIifEEZZNS1_16scan_by_key_implILNS1_25lookback_scan_determinismE0ELb1ES3_N6thrust23THRUST_200600_302600_NS6detail15normal_iteratorINS9_10device_ptrIiEEEENSB_INSC_IjEEEENSB_INSC_IfEEEEfNS9_4plusIvEENS9_8equal_toIvEEfEE10hipError_tPvRmT2_T3_T4_T5_mT6_T7_P12ihipStream_tbENKUlT_T0_E_clISt17integral_constantIbLb1EES12_IbLb0EEEEDaSY_SZ_EUlSY_E_NS1_11comp_targetILNS1_3genE5ELNS1_11target_archE942ELNS1_3gpuE9ELNS1_3repE0EEENS1_30default_config_static_selectorELNS0_4arch9wavefront6targetE0EEEvT1_.num_named_barrier, 0
	.set _ZN7rocprim17ROCPRIM_400000_NS6detail17trampoline_kernelINS0_14default_configENS1_27scan_by_key_config_selectorIifEEZZNS1_16scan_by_key_implILNS1_25lookback_scan_determinismE0ELb1ES3_N6thrust23THRUST_200600_302600_NS6detail15normal_iteratorINS9_10device_ptrIiEEEENSB_INSC_IjEEEENSB_INSC_IfEEEEfNS9_4plusIvEENS9_8equal_toIvEEfEE10hipError_tPvRmT2_T3_T4_T5_mT6_T7_P12ihipStream_tbENKUlT_T0_E_clISt17integral_constantIbLb1EES12_IbLb0EEEEDaSY_SZ_EUlSY_E_NS1_11comp_targetILNS1_3genE5ELNS1_11target_archE942ELNS1_3gpuE9ELNS1_3repE0EEENS1_30default_config_static_selectorELNS0_4arch9wavefront6targetE0EEEvT1_.private_seg_size, 0
	.set _ZN7rocprim17ROCPRIM_400000_NS6detail17trampoline_kernelINS0_14default_configENS1_27scan_by_key_config_selectorIifEEZZNS1_16scan_by_key_implILNS1_25lookback_scan_determinismE0ELb1ES3_N6thrust23THRUST_200600_302600_NS6detail15normal_iteratorINS9_10device_ptrIiEEEENSB_INSC_IjEEEENSB_INSC_IfEEEEfNS9_4plusIvEENS9_8equal_toIvEEfEE10hipError_tPvRmT2_T3_T4_T5_mT6_T7_P12ihipStream_tbENKUlT_T0_E_clISt17integral_constantIbLb1EES12_IbLb0EEEEDaSY_SZ_EUlSY_E_NS1_11comp_targetILNS1_3genE5ELNS1_11target_archE942ELNS1_3gpuE9ELNS1_3repE0EEENS1_30default_config_static_selectorELNS0_4arch9wavefront6targetE0EEEvT1_.uses_vcc, 0
	.set _ZN7rocprim17ROCPRIM_400000_NS6detail17trampoline_kernelINS0_14default_configENS1_27scan_by_key_config_selectorIifEEZZNS1_16scan_by_key_implILNS1_25lookback_scan_determinismE0ELb1ES3_N6thrust23THRUST_200600_302600_NS6detail15normal_iteratorINS9_10device_ptrIiEEEENSB_INSC_IjEEEENSB_INSC_IfEEEEfNS9_4plusIvEENS9_8equal_toIvEEfEE10hipError_tPvRmT2_T3_T4_T5_mT6_T7_P12ihipStream_tbENKUlT_T0_E_clISt17integral_constantIbLb1EES12_IbLb0EEEEDaSY_SZ_EUlSY_E_NS1_11comp_targetILNS1_3genE5ELNS1_11target_archE942ELNS1_3gpuE9ELNS1_3repE0EEENS1_30default_config_static_selectorELNS0_4arch9wavefront6targetE0EEEvT1_.uses_flat_scratch, 0
	.set _ZN7rocprim17ROCPRIM_400000_NS6detail17trampoline_kernelINS0_14default_configENS1_27scan_by_key_config_selectorIifEEZZNS1_16scan_by_key_implILNS1_25lookback_scan_determinismE0ELb1ES3_N6thrust23THRUST_200600_302600_NS6detail15normal_iteratorINS9_10device_ptrIiEEEENSB_INSC_IjEEEENSB_INSC_IfEEEEfNS9_4plusIvEENS9_8equal_toIvEEfEE10hipError_tPvRmT2_T3_T4_T5_mT6_T7_P12ihipStream_tbENKUlT_T0_E_clISt17integral_constantIbLb1EES12_IbLb0EEEEDaSY_SZ_EUlSY_E_NS1_11comp_targetILNS1_3genE5ELNS1_11target_archE942ELNS1_3gpuE9ELNS1_3repE0EEENS1_30default_config_static_selectorELNS0_4arch9wavefront6targetE0EEEvT1_.has_dyn_sized_stack, 0
	.set _ZN7rocprim17ROCPRIM_400000_NS6detail17trampoline_kernelINS0_14default_configENS1_27scan_by_key_config_selectorIifEEZZNS1_16scan_by_key_implILNS1_25lookback_scan_determinismE0ELb1ES3_N6thrust23THRUST_200600_302600_NS6detail15normal_iteratorINS9_10device_ptrIiEEEENSB_INSC_IjEEEENSB_INSC_IfEEEEfNS9_4plusIvEENS9_8equal_toIvEEfEE10hipError_tPvRmT2_T3_T4_T5_mT6_T7_P12ihipStream_tbENKUlT_T0_E_clISt17integral_constantIbLb1EES12_IbLb0EEEEDaSY_SZ_EUlSY_E_NS1_11comp_targetILNS1_3genE5ELNS1_11target_archE942ELNS1_3gpuE9ELNS1_3repE0EEENS1_30default_config_static_selectorELNS0_4arch9wavefront6targetE0EEEvT1_.has_recursion, 0
	.set _ZN7rocprim17ROCPRIM_400000_NS6detail17trampoline_kernelINS0_14default_configENS1_27scan_by_key_config_selectorIifEEZZNS1_16scan_by_key_implILNS1_25lookback_scan_determinismE0ELb1ES3_N6thrust23THRUST_200600_302600_NS6detail15normal_iteratorINS9_10device_ptrIiEEEENSB_INSC_IjEEEENSB_INSC_IfEEEEfNS9_4plusIvEENS9_8equal_toIvEEfEE10hipError_tPvRmT2_T3_T4_T5_mT6_T7_P12ihipStream_tbENKUlT_T0_E_clISt17integral_constantIbLb1EES12_IbLb0EEEEDaSY_SZ_EUlSY_E_NS1_11comp_targetILNS1_3genE5ELNS1_11target_archE942ELNS1_3gpuE9ELNS1_3repE0EEENS1_30default_config_static_selectorELNS0_4arch9wavefront6targetE0EEEvT1_.has_indirect_call, 0
	.section	.AMDGPU.csdata,"",@progbits
; Kernel info:
; codeLenInByte = 0
; TotalNumSgprs: 0
; NumVgprs: 0
; ScratchSize: 0
; MemoryBound: 0
; FloatMode: 240
; IeeeMode: 1
; LDSByteSize: 0 bytes/workgroup (compile time only)
; SGPRBlocks: 0
; VGPRBlocks: 0
; NumSGPRsForWavesPerEU: 1
; NumVGPRsForWavesPerEU: 1
; NamedBarCnt: 0
; Occupancy: 16
; WaveLimiterHint : 0
; COMPUTE_PGM_RSRC2:SCRATCH_EN: 0
; COMPUTE_PGM_RSRC2:USER_SGPR: 2
; COMPUTE_PGM_RSRC2:TRAP_HANDLER: 0
; COMPUTE_PGM_RSRC2:TGID_X_EN: 1
; COMPUTE_PGM_RSRC2:TGID_Y_EN: 0
; COMPUTE_PGM_RSRC2:TGID_Z_EN: 0
; COMPUTE_PGM_RSRC2:TIDIG_COMP_CNT: 0
	.section	.text._ZN7rocprim17ROCPRIM_400000_NS6detail17trampoline_kernelINS0_14default_configENS1_27scan_by_key_config_selectorIifEEZZNS1_16scan_by_key_implILNS1_25lookback_scan_determinismE0ELb1ES3_N6thrust23THRUST_200600_302600_NS6detail15normal_iteratorINS9_10device_ptrIiEEEENSB_INSC_IjEEEENSB_INSC_IfEEEEfNS9_4plusIvEENS9_8equal_toIvEEfEE10hipError_tPvRmT2_T3_T4_T5_mT6_T7_P12ihipStream_tbENKUlT_T0_E_clISt17integral_constantIbLb1EES12_IbLb0EEEEDaSY_SZ_EUlSY_E_NS1_11comp_targetILNS1_3genE4ELNS1_11target_archE910ELNS1_3gpuE8ELNS1_3repE0EEENS1_30default_config_static_selectorELNS0_4arch9wavefront6targetE0EEEvT1_,"axG",@progbits,_ZN7rocprim17ROCPRIM_400000_NS6detail17trampoline_kernelINS0_14default_configENS1_27scan_by_key_config_selectorIifEEZZNS1_16scan_by_key_implILNS1_25lookback_scan_determinismE0ELb1ES3_N6thrust23THRUST_200600_302600_NS6detail15normal_iteratorINS9_10device_ptrIiEEEENSB_INSC_IjEEEENSB_INSC_IfEEEEfNS9_4plusIvEENS9_8equal_toIvEEfEE10hipError_tPvRmT2_T3_T4_T5_mT6_T7_P12ihipStream_tbENKUlT_T0_E_clISt17integral_constantIbLb1EES12_IbLb0EEEEDaSY_SZ_EUlSY_E_NS1_11comp_targetILNS1_3genE4ELNS1_11target_archE910ELNS1_3gpuE8ELNS1_3repE0EEENS1_30default_config_static_selectorELNS0_4arch9wavefront6targetE0EEEvT1_,comdat
	.protected	_ZN7rocprim17ROCPRIM_400000_NS6detail17trampoline_kernelINS0_14default_configENS1_27scan_by_key_config_selectorIifEEZZNS1_16scan_by_key_implILNS1_25lookback_scan_determinismE0ELb1ES3_N6thrust23THRUST_200600_302600_NS6detail15normal_iteratorINS9_10device_ptrIiEEEENSB_INSC_IjEEEENSB_INSC_IfEEEEfNS9_4plusIvEENS9_8equal_toIvEEfEE10hipError_tPvRmT2_T3_T4_T5_mT6_T7_P12ihipStream_tbENKUlT_T0_E_clISt17integral_constantIbLb1EES12_IbLb0EEEEDaSY_SZ_EUlSY_E_NS1_11comp_targetILNS1_3genE4ELNS1_11target_archE910ELNS1_3gpuE8ELNS1_3repE0EEENS1_30default_config_static_selectorELNS0_4arch9wavefront6targetE0EEEvT1_ ; -- Begin function _ZN7rocprim17ROCPRIM_400000_NS6detail17trampoline_kernelINS0_14default_configENS1_27scan_by_key_config_selectorIifEEZZNS1_16scan_by_key_implILNS1_25lookback_scan_determinismE0ELb1ES3_N6thrust23THRUST_200600_302600_NS6detail15normal_iteratorINS9_10device_ptrIiEEEENSB_INSC_IjEEEENSB_INSC_IfEEEEfNS9_4plusIvEENS9_8equal_toIvEEfEE10hipError_tPvRmT2_T3_T4_T5_mT6_T7_P12ihipStream_tbENKUlT_T0_E_clISt17integral_constantIbLb1EES12_IbLb0EEEEDaSY_SZ_EUlSY_E_NS1_11comp_targetILNS1_3genE4ELNS1_11target_archE910ELNS1_3gpuE8ELNS1_3repE0EEENS1_30default_config_static_selectorELNS0_4arch9wavefront6targetE0EEEvT1_
	.globl	_ZN7rocprim17ROCPRIM_400000_NS6detail17trampoline_kernelINS0_14default_configENS1_27scan_by_key_config_selectorIifEEZZNS1_16scan_by_key_implILNS1_25lookback_scan_determinismE0ELb1ES3_N6thrust23THRUST_200600_302600_NS6detail15normal_iteratorINS9_10device_ptrIiEEEENSB_INSC_IjEEEENSB_INSC_IfEEEEfNS9_4plusIvEENS9_8equal_toIvEEfEE10hipError_tPvRmT2_T3_T4_T5_mT6_T7_P12ihipStream_tbENKUlT_T0_E_clISt17integral_constantIbLb1EES12_IbLb0EEEEDaSY_SZ_EUlSY_E_NS1_11comp_targetILNS1_3genE4ELNS1_11target_archE910ELNS1_3gpuE8ELNS1_3repE0EEENS1_30default_config_static_selectorELNS0_4arch9wavefront6targetE0EEEvT1_
	.p2align	8
	.type	_ZN7rocprim17ROCPRIM_400000_NS6detail17trampoline_kernelINS0_14default_configENS1_27scan_by_key_config_selectorIifEEZZNS1_16scan_by_key_implILNS1_25lookback_scan_determinismE0ELb1ES3_N6thrust23THRUST_200600_302600_NS6detail15normal_iteratorINS9_10device_ptrIiEEEENSB_INSC_IjEEEENSB_INSC_IfEEEEfNS9_4plusIvEENS9_8equal_toIvEEfEE10hipError_tPvRmT2_T3_T4_T5_mT6_T7_P12ihipStream_tbENKUlT_T0_E_clISt17integral_constantIbLb1EES12_IbLb0EEEEDaSY_SZ_EUlSY_E_NS1_11comp_targetILNS1_3genE4ELNS1_11target_archE910ELNS1_3gpuE8ELNS1_3repE0EEENS1_30default_config_static_selectorELNS0_4arch9wavefront6targetE0EEEvT1_,@function
_ZN7rocprim17ROCPRIM_400000_NS6detail17trampoline_kernelINS0_14default_configENS1_27scan_by_key_config_selectorIifEEZZNS1_16scan_by_key_implILNS1_25lookback_scan_determinismE0ELb1ES3_N6thrust23THRUST_200600_302600_NS6detail15normal_iteratorINS9_10device_ptrIiEEEENSB_INSC_IjEEEENSB_INSC_IfEEEEfNS9_4plusIvEENS9_8equal_toIvEEfEE10hipError_tPvRmT2_T3_T4_T5_mT6_T7_P12ihipStream_tbENKUlT_T0_E_clISt17integral_constantIbLb1EES12_IbLb0EEEEDaSY_SZ_EUlSY_E_NS1_11comp_targetILNS1_3genE4ELNS1_11target_archE910ELNS1_3gpuE8ELNS1_3repE0EEENS1_30default_config_static_selectorELNS0_4arch9wavefront6targetE0EEEvT1_: ; @_ZN7rocprim17ROCPRIM_400000_NS6detail17trampoline_kernelINS0_14default_configENS1_27scan_by_key_config_selectorIifEEZZNS1_16scan_by_key_implILNS1_25lookback_scan_determinismE0ELb1ES3_N6thrust23THRUST_200600_302600_NS6detail15normal_iteratorINS9_10device_ptrIiEEEENSB_INSC_IjEEEENSB_INSC_IfEEEEfNS9_4plusIvEENS9_8equal_toIvEEfEE10hipError_tPvRmT2_T3_T4_T5_mT6_T7_P12ihipStream_tbENKUlT_T0_E_clISt17integral_constantIbLb1EES12_IbLb0EEEEDaSY_SZ_EUlSY_E_NS1_11comp_targetILNS1_3genE4ELNS1_11target_archE910ELNS1_3gpuE8ELNS1_3repE0EEENS1_30default_config_static_selectorELNS0_4arch9wavefront6targetE0EEEvT1_
; %bb.0:
	.section	.rodata,"a",@progbits
	.p2align	6, 0x0
	.amdhsa_kernel _ZN7rocprim17ROCPRIM_400000_NS6detail17trampoline_kernelINS0_14default_configENS1_27scan_by_key_config_selectorIifEEZZNS1_16scan_by_key_implILNS1_25lookback_scan_determinismE0ELb1ES3_N6thrust23THRUST_200600_302600_NS6detail15normal_iteratorINS9_10device_ptrIiEEEENSB_INSC_IjEEEENSB_INSC_IfEEEEfNS9_4plusIvEENS9_8equal_toIvEEfEE10hipError_tPvRmT2_T3_T4_T5_mT6_T7_P12ihipStream_tbENKUlT_T0_E_clISt17integral_constantIbLb1EES12_IbLb0EEEEDaSY_SZ_EUlSY_E_NS1_11comp_targetILNS1_3genE4ELNS1_11target_archE910ELNS1_3gpuE8ELNS1_3repE0EEENS1_30default_config_static_selectorELNS0_4arch9wavefront6targetE0EEEvT1_
		.amdhsa_group_segment_fixed_size 0
		.amdhsa_private_segment_fixed_size 0
		.amdhsa_kernarg_size 112
		.amdhsa_user_sgpr_count 2
		.amdhsa_user_sgpr_dispatch_ptr 0
		.amdhsa_user_sgpr_queue_ptr 0
		.amdhsa_user_sgpr_kernarg_segment_ptr 1
		.amdhsa_user_sgpr_dispatch_id 0
		.amdhsa_user_sgpr_kernarg_preload_length 0
		.amdhsa_user_sgpr_kernarg_preload_offset 0
		.amdhsa_user_sgpr_private_segment_size 0
		.amdhsa_wavefront_size32 1
		.amdhsa_uses_dynamic_stack 0
		.amdhsa_enable_private_segment 0
		.amdhsa_system_sgpr_workgroup_id_x 1
		.amdhsa_system_sgpr_workgroup_id_y 0
		.amdhsa_system_sgpr_workgroup_id_z 0
		.amdhsa_system_sgpr_workgroup_info 0
		.amdhsa_system_vgpr_workitem_id 0
		.amdhsa_next_free_vgpr 1
		.amdhsa_next_free_sgpr 1
		.amdhsa_named_barrier_count 0
		.amdhsa_reserve_vcc 0
		.amdhsa_float_round_mode_32 0
		.amdhsa_float_round_mode_16_64 0
		.amdhsa_float_denorm_mode_32 3
		.amdhsa_float_denorm_mode_16_64 3
		.amdhsa_fp16_overflow 0
		.amdhsa_memory_ordered 1
		.amdhsa_forward_progress 1
		.amdhsa_inst_pref_size 0
		.amdhsa_round_robin_scheduling 0
		.amdhsa_exception_fp_ieee_invalid_op 0
		.amdhsa_exception_fp_denorm_src 0
		.amdhsa_exception_fp_ieee_div_zero 0
		.amdhsa_exception_fp_ieee_overflow 0
		.amdhsa_exception_fp_ieee_underflow 0
		.amdhsa_exception_fp_ieee_inexact 0
		.amdhsa_exception_int_div_zero 0
	.end_amdhsa_kernel
	.section	.text._ZN7rocprim17ROCPRIM_400000_NS6detail17trampoline_kernelINS0_14default_configENS1_27scan_by_key_config_selectorIifEEZZNS1_16scan_by_key_implILNS1_25lookback_scan_determinismE0ELb1ES3_N6thrust23THRUST_200600_302600_NS6detail15normal_iteratorINS9_10device_ptrIiEEEENSB_INSC_IjEEEENSB_INSC_IfEEEEfNS9_4plusIvEENS9_8equal_toIvEEfEE10hipError_tPvRmT2_T3_T4_T5_mT6_T7_P12ihipStream_tbENKUlT_T0_E_clISt17integral_constantIbLb1EES12_IbLb0EEEEDaSY_SZ_EUlSY_E_NS1_11comp_targetILNS1_3genE4ELNS1_11target_archE910ELNS1_3gpuE8ELNS1_3repE0EEENS1_30default_config_static_selectorELNS0_4arch9wavefront6targetE0EEEvT1_,"axG",@progbits,_ZN7rocprim17ROCPRIM_400000_NS6detail17trampoline_kernelINS0_14default_configENS1_27scan_by_key_config_selectorIifEEZZNS1_16scan_by_key_implILNS1_25lookback_scan_determinismE0ELb1ES3_N6thrust23THRUST_200600_302600_NS6detail15normal_iteratorINS9_10device_ptrIiEEEENSB_INSC_IjEEEENSB_INSC_IfEEEEfNS9_4plusIvEENS9_8equal_toIvEEfEE10hipError_tPvRmT2_T3_T4_T5_mT6_T7_P12ihipStream_tbENKUlT_T0_E_clISt17integral_constantIbLb1EES12_IbLb0EEEEDaSY_SZ_EUlSY_E_NS1_11comp_targetILNS1_3genE4ELNS1_11target_archE910ELNS1_3gpuE8ELNS1_3repE0EEENS1_30default_config_static_selectorELNS0_4arch9wavefront6targetE0EEEvT1_,comdat
.Lfunc_end1701:
	.size	_ZN7rocprim17ROCPRIM_400000_NS6detail17trampoline_kernelINS0_14default_configENS1_27scan_by_key_config_selectorIifEEZZNS1_16scan_by_key_implILNS1_25lookback_scan_determinismE0ELb1ES3_N6thrust23THRUST_200600_302600_NS6detail15normal_iteratorINS9_10device_ptrIiEEEENSB_INSC_IjEEEENSB_INSC_IfEEEEfNS9_4plusIvEENS9_8equal_toIvEEfEE10hipError_tPvRmT2_T3_T4_T5_mT6_T7_P12ihipStream_tbENKUlT_T0_E_clISt17integral_constantIbLb1EES12_IbLb0EEEEDaSY_SZ_EUlSY_E_NS1_11comp_targetILNS1_3genE4ELNS1_11target_archE910ELNS1_3gpuE8ELNS1_3repE0EEENS1_30default_config_static_selectorELNS0_4arch9wavefront6targetE0EEEvT1_, .Lfunc_end1701-_ZN7rocprim17ROCPRIM_400000_NS6detail17trampoline_kernelINS0_14default_configENS1_27scan_by_key_config_selectorIifEEZZNS1_16scan_by_key_implILNS1_25lookback_scan_determinismE0ELb1ES3_N6thrust23THRUST_200600_302600_NS6detail15normal_iteratorINS9_10device_ptrIiEEEENSB_INSC_IjEEEENSB_INSC_IfEEEEfNS9_4plusIvEENS9_8equal_toIvEEfEE10hipError_tPvRmT2_T3_T4_T5_mT6_T7_P12ihipStream_tbENKUlT_T0_E_clISt17integral_constantIbLb1EES12_IbLb0EEEEDaSY_SZ_EUlSY_E_NS1_11comp_targetILNS1_3genE4ELNS1_11target_archE910ELNS1_3gpuE8ELNS1_3repE0EEENS1_30default_config_static_selectorELNS0_4arch9wavefront6targetE0EEEvT1_
                                        ; -- End function
	.set _ZN7rocprim17ROCPRIM_400000_NS6detail17trampoline_kernelINS0_14default_configENS1_27scan_by_key_config_selectorIifEEZZNS1_16scan_by_key_implILNS1_25lookback_scan_determinismE0ELb1ES3_N6thrust23THRUST_200600_302600_NS6detail15normal_iteratorINS9_10device_ptrIiEEEENSB_INSC_IjEEEENSB_INSC_IfEEEEfNS9_4plusIvEENS9_8equal_toIvEEfEE10hipError_tPvRmT2_T3_T4_T5_mT6_T7_P12ihipStream_tbENKUlT_T0_E_clISt17integral_constantIbLb1EES12_IbLb0EEEEDaSY_SZ_EUlSY_E_NS1_11comp_targetILNS1_3genE4ELNS1_11target_archE910ELNS1_3gpuE8ELNS1_3repE0EEENS1_30default_config_static_selectorELNS0_4arch9wavefront6targetE0EEEvT1_.num_vgpr, 0
	.set _ZN7rocprim17ROCPRIM_400000_NS6detail17trampoline_kernelINS0_14default_configENS1_27scan_by_key_config_selectorIifEEZZNS1_16scan_by_key_implILNS1_25lookback_scan_determinismE0ELb1ES3_N6thrust23THRUST_200600_302600_NS6detail15normal_iteratorINS9_10device_ptrIiEEEENSB_INSC_IjEEEENSB_INSC_IfEEEEfNS9_4plusIvEENS9_8equal_toIvEEfEE10hipError_tPvRmT2_T3_T4_T5_mT6_T7_P12ihipStream_tbENKUlT_T0_E_clISt17integral_constantIbLb1EES12_IbLb0EEEEDaSY_SZ_EUlSY_E_NS1_11comp_targetILNS1_3genE4ELNS1_11target_archE910ELNS1_3gpuE8ELNS1_3repE0EEENS1_30default_config_static_selectorELNS0_4arch9wavefront6targetE0EEEvT1_.num_agpr, 0
	.set _ZN7rocprim17ROCPRIM_400000_NS6detail17trampoline_kernelINS0_14default_configENS1_27scan_by_key_config_selectorIifEEZZNS1_16scan_by_key_implILNS1_25lookback_scan_determinismE0ELb1ES3_N6thrust23THRUST_200600_302600_NS6detail15normal_iteratorINS9_10device_ptrIiEEEENSB_INSC_IjEEEENSB_INSC_IfEEEEfNS9_4plusIvEENS9_8equal_toIvEEfEE10hipError_tPvRmT2_T3_T4_T5_mT6_T7_P12ihipStream_tbENKUlT_T0_E_clISt17integral_constantIbLb1EES12_IbLb0EEEEDaSY_SZ_EUlSY_E_NS1_11comp_targetILNS1_3genE4ELNS1_11target_archE910ELNS1_3gpuE8ELNS1_3repE0EEENS1_30default_config_static_selectorELNS0_4arch9wavefront6targetE0EEEvT1_.numbered_sgpr, 0
	.set _ZN7rocprim17ROCPRIM_400000_NS6detail17trampoline_kernelINS0_14default_configENS1_27scan_by_key_config_selectorIifEEZZNS1_16scan_by_key_implILNS1_25lookback_scan_determinismE0ELb1ES3_N6thrust23THRUST_200600_302600_NS6detail15normal_iteratorINS9_10device_ptrIiEEEENSB_INSC_IjEEEENSB_INSC_IfEEEEfNS9_4plusIvEENS9_8equal_toIvEEfEE10hipError_tPvRmT2_T3_T4_T5_mT6_T7_P12ihipStream_tbENKUlT_T0_E_clISt17integral_constantIbLb1EES12_IbLb0EEEEDaSY_SZ_EUlSY_E_NS1_11comp_targetILNS1_3genE4ELNS1_11target_archE910ELNS1_3gpuE8ELNS1_3repE0EEENS1_30default_config_static_selectorELNS0_4arch9wavefront6targetE0EEEvT1_.num_named_barrier, 0
	.set _ZN7rocprim17ROCPRIM_400000_NS6detail17trampoline_kernelINS0_14default_configENS1_27scan_by_key_config_selectorIifEEZZNS1_16scan_by_key_implILNS1_25lookback_scan_determinismE0ELb1ES3_N6thrust23THRUST_200600_302600_NS6detail15normal_iteratorINS9_10device_ptrIiEEEENSB_INSC_IjEEEENSB_INSC_IfEEEEfNS9_4plusIvEENS9_8equal_toIvEEfEE10hipError_tPvRmT2_T3_T4_T5_mT6_T7_P12ihipStream_tbENKUlT_T0_E_clISt17integral_constantIbLb1EES12_IbLb0EEEEDaSY_SZ_EUlSY_E_NS1_11comp_targetILNS1_3genE4ELNS1_11target_archE910ELNS1_3gpuE8ELNS1_3repE0EEENS1_30default_config_static_selectorELNS0_4arch9wavefront6targetE0EEEvT1_.private_seg_size, 0
	.set _ZN7rocprim17ROCPRIM_400000_NS6detail17trampoline_kernelINS0_14default_configENS1_27scan_by_key_config_selectorIifEEZZNS1_16scan_by_key_implILNS1_25lookback_scan_determinismE0ELb1ES3_N6thrust23THRUST_200600_302600_NS6detail15normal_iteratorINS9_10device_ptrIiEEEENSB_INSC_IjEEEENSB_INSC_IfEEEEfNS9_4plusIvEENS9_8equal_toIvEEfEE10hipError_tPvRmT2_T3_T4_T5_mT6_T7_P12ihipStream_tbENKUlT_T0_E_clISt17integral_constantIbLb1EES12_IbLb0EEEEDaSY_SZ_EUlSY_E_NS1_11comp_targetILNS1_3genE4ELNS1_11target_archE910ELNS1_3gpuE8ELNS1_3repE0EEENS1_30default_config_static_selectorELNS0_4arch9wavefront6targetE0EEEvT1_.uses_vcc, 0
	.set _ZN7rocprim17ROCPRIM_400000_NS6detail17trampoline_kernelINS0_14default_configENS1_27scan_by_key_config_selectorIifEEZZNS1_16scan_by_key_implILNS1_25lookback_scan_determinismE0ELb1ES3_N6thrust23THRUST_200600_302600_NS6detail15normal_iteratorINS9_10device_ptrIiEEEENSB_INSC_IjEEEENSB_INSC_IfEEEEfNS9_4plusIvEENS9_8equal_toIvEEfEE10hipError_tPvRmT2_T3_T4_T5_mT6_T7_P12ihipStream_tbENKUlT_T0_E_clISt17integral_constantIbLb1EES12_IbLb0EEEEDaSY_SZ_EUlSY_E_NS1_11comp_targetILNS1_3genE4ELNS1_11target_archE910ELNS1_3gpuE8ELNS1_3repE0EEENS1_30default_config_static_selectorELNS0_4arch9wavefront6targetE0EEEvT1_.uses_flat_scratch, 0
	.set _ZN7rocprim17ROCPRIM_400000_NS6detail17trampoline_kernelINS0_14default_configENS1_27scan_by_key_config_selectorIifEEZZNS1_16scan_by_key_implILNS1_25lookback_scan_determinismE0ELb1ES3_N6thrust23THRUST_200600_302600_NS6detail15normal_iteratorINS9_10device_ptrIiEEEENSB_INSC_IjEEEENSB_INSC_IfEEEEfNS9_4plusIvEENS9_8equal_toIvEEfEE10hipError_tPvRmT2_T3_T4_T5_mT6_T7_P12ihipStream_tbENKUlT_T0_E_clISt17integral_constantIbLb1EES12_IbLb0EEEEDaSY_SZ_EUlSY_E_NS1_11comp_targetILNS1_3genE4ELNS1_11target_archE910ELNS1_3gpuE8ELNS1_3repE0EEENS1_30default_config_static_selectorELNS0_4arch9wavefront6targetE0EEEvT1_.has_dyn_sized_stack, 0
	.set _ZN7rocprim17ROCPRIM_400000_NS6detail17trampoline_kernelINS0_14default_configENS1_27scan_by_key_config_selectorIifEEZZNS1_16scan_by_key_implILNS1_25lookback_scan_determinismE0ELb1ES3_N6thrust23THRUST_200600_302600_NS6detail15normal_iteratorINS9_10device_ptrIiEEEENSB_INSC_IjEEEENSB_INSC_IfEEEEfNS9_4plusIvEENS9_8equal_toIvEEfEE10hipError_tPvRmT2_T3_T4_T5_mT6_T7_P12ihipStream_tbENKUlT_T0_E_clISt17integral_constantIbLb1EES12_IbLb0EEEEDaSY_SZ_EUlSY_E_NS1_11comp_targetILNS1_3genE4ELNS1_11target_archE910ELNS1_3gpuE8ELNS1_3repE0EEENS1_30default_config_static_selectorELNS0_4arch9wavefront6targetE0EEEvT1_.has_recursion, 0
	.set _ZN7rocprim17ROCPRIM_400000_NS6detail17trampoline_kernelINS0_14default_configENS1_27scan_by_key_config_selectorIifEEZZNS1_16scan_by_key_implILNS1_25lookback_scan_determinismE0ELb1ES3_N6thrust23THRUST_200600_302600_NS6detail15normal_iteratorINS9_10device_ptrIiEEEENSB_INSC_IjEEEENSB_INSC_IfEEEEfNS9_4plusIvEENS9_8equal_toIvEEfEE10hipError_tPvRmT2_T3_T4_T5_mT6_T7_P12ihipStream_tbENKUlT_T0_E_clISt17integral_constantIbLb1EES12_IbLb0EEEEDaSY_SZ_EUlSY_E_NS1_11comp_targetILNS1_3genE4ELNS1_11target_archE910ELNS1_3gpuE8ELNS1_3repE0EEENS1_30default_config_static_selectorELNS0_4arch9wavefront6targetE0EEEvT1_.has_indirect_call, 0
	.section	.AMDGPU.csdata,"",@progbits
; Kernel info:
; codeLenInByte = 0
; TotalNumSgprs: 0
; NumVgprs: 0
; ScratchSize: 0
; MemoryBound: 0
; FloatMode: 240
; IeeeMode: 1
; LDSByteSize: 0 bytes/workgroup (compile time only)
; SGPRBlocks: 0
; VGPRBlocks: 0
; NumSGPRsForWavesPerEU: 1
; NumVGPRsForWavesPerEU: 1
; NamedBarCnt: 0
; Occupancy: 16
; WaveLimiterHint : 0
; COMPUTE_PGM_RSRC2:SCRATCH_EN: 0
; COMPUTE_PGM_RSRC2:USER_SGPR: 2
; COMPUTE_PGM_RSRC2:TRAP_HANDLER: 0
; COMPUTE_PGM_RSRC2:TGID_X_EN: 1
; COMPUTE_PGM_RSRC2:TGID_Y_EN: 0
; COMPUTE_PGM_RSRC2:TGID_Z_EN: 0
; COMPUTE_PGM_RSRC2:TIDIG_COMP_CNT: 0
	.section	.text._ZN7rocprim17ROCPRIM_400000_NS6detail17trampoline_kernelINS0_14default_configENS1_27scan_by_key_config_selectorIifEEZZNS1_16scan_by_key_implILNS1_25lookback_scan_determinismE0ELb1ES3_N6thrust23THRUST_200600_302600_NS6detail15normal_iteratorINS9_10device_ptrIiEEEENSB_INSC_IjEEEENSB_INSC_IfEEEEfNS9_4plusIvEENS9_8equal_toIvEEfEE10hipError_tPvRmT2_T3_T4_T5_mT6_T7_P12ihipStream_tbENKUlT_T0_E_clISt17integral_constantIbLb1EES12_IbLb0EEEEDaSY_SZ_EUlSY_E_NS1_11comp_targetILNS1_3genE3ELNS1_11target_archE908ELNS1_3gpuE7ELNS1_3repE0EEENS1_30default_config_static_selectorELNS0_4arch9wavefront6targetE0EEEvT1_,"axG",@progbits,_ZN7rocprim17ROCPRIM_400000_NS6detail17trampoline_kernelINS0_14default_configENS1_27scan_by_key_config_selectorIifEEZZNS1_16scan_by_key_implILNS1_25lookback_scan_determinismE0ELb1ES3_N6thrust23THRUST_200600_302600_NS6detail15normal_iteratorINS9_10device_ptrIiEEEENSB_INSC_IjEEEENSB_INSC_IfEEEEfNS9_4plusIvEENS9_8equal_toIvEEfEE10hipError_tPvRmT2_T3_T4_T5_mT6_T7_P12ihipStream_tbENKUlT_T0_E_clISt17integral_constantIbLb1EES12_IbLb0EEEEDaSY_SZ_EUlSY_E_NS1_11comp_targetILNS1_3genE3ELNS1_11target_archE908ELNS1_3gpuE7ELNS1_3repE0EEENS1_30default_config_static_selectorELNS0_4arch9wavefront6targetE0EEEvT1_,comdat
	.protected	_ZN7rocprim17ROCPRIM_400000_NS6detail17trampoline_kernelINS0_14default_configENS1_27scan_by_key_config_selectorIifEEZZNS1_16scan_by_key_implILNS1_25lookback_scan_determinismE0ELb1ES3_N6thrust23THRUST_200600_302600_NS6detail15normal_iteratorINS9_10device_ptrIiEEEENSB_INSC_IjEEEENSB_INSC_IfEEEEfNS9_4plusIvEENS9_8equal_toIvEEfEE10hipError_tPvRmT2_T3_T4_T5_mT6_T7_P12ihipStream_tbENKUlT_T0_E_clISt17integral_constantIbLb1EES12_IbLb0EEEEDaSY_SZ_EUlSY_E_NS1_11comp_targetILNS1_3genE3ELNS1_11target_archE908ELNS1_3gpuE7ELNS1_3repE0EEENS1_30default_config_static_selectorELNS0_4arch9wavefront6targetE0EEEvT1_ ; -- Begin function _ZN7rocprim17ROCPRIM_400000_NS6detail17trampoline_kernelINS0_14default_configENS1_27scan_by_key_config_selectorIifEEZZNS1_16scan_by_key_implILNS1_25lookback_scan_determinismE0ELb1ES3_N6thrust23THRUST_200600_302600_NS6detail15normal_iteratorINS9_10device_ptrIiEEEENSB_INSC_IjEEEENSB_INSC_IfEEEEfNS9_4plusIvEENS9_8equal_toIvEEfEE10hipError_tPvRmT2_T3_T4_T5_mT6_T7_P12ihipStream_tbENKUlT_T0_E_clISt17integral_constantIbLb1EES12_IbLb0EEEEDaSY_SZ_EUlSY_E_NS1_11comp_targetILNS1_3genE3ELNS1_11target_archE908ELNS1_3gpuE7ELNS1_3repE0EEENS1_30default_config_static_selectorELNS0_4arch9wavefront6targetE0EEEvT1_
	.globl	_ZN7rocprim17ROCPRIM_400000_NS6detail17trampoline_kernelINS0_14default_configENS1_27scan_by_key_config_selectorIifEEZZNS1_16scan_by_key_implILNS1_25lookback_scan_determinismE0ELb1ES3_N6thrust23THRUST_200600_302600_NS6detail15normal_iteratorINS9_10device_ptrIiEEEENSB_INSC_IjEEEENSB_INSC_IfEEEEfNS9_4plusIvEENS9_8equal_toIvEEfEE10hipError_tPvRmT2_T3_T4_T5_mT6_T7_P12ihipStream_tbENKUlT_T0_E_clISt17integral_constantIbLb1EES12_IbLb0EEEEDaSY_SZ_EUlSY_E_NS1_11comp_targetILNS1_3genE3ELNS1_11target_archE908ELNS1_3gpuE7ELNS1_3repE0EEENS1_30default_config_static_selectorELNS0_4arch9wavefront6targetE0EEEvT1_
	.p2align	8
	.type	_ZN7rocprim17ROCPRIM_400000_NS6detail17trampoline_kernelINS0_14default_configENS1_27scan_by_key_config_selectorIifEEZZNS1_16scan_by_key_implILNS1_25lookback_scan_determinismE0ELb1ES3_N6thrust23THRUST_200600_302600_NS6detail15normal_iteratorINS9_10device_ptrIiEEEENSB_INSC_IjEEEENSB_INSC_IfEEEEfNS9_4plusIvEENS9_8equal_toIvEEfEE10hipError_tPvRmT2_T3_T4_T5_mT6_T7_P12ihipStream_tbENKUlT_T0_E_clISt17integral_constantIbLb1EES12_IbLb0EEEEDaSY_SZ_EUlSY_E_NS1_11comp_targetILNS1_3genE3ELNS1_11target_archE908ELNS1_3gpuE7ELNS1_3repE0EEENS1_30default_config_static_selectorELNS0_4arch9wavefront6targetE0EEEvT1_,@function
_ZN7rocprim17ROCPRIM_400000_NS6detail17trampoline_kernelINS0_14default_configENS1_27scan_by_key_config_selectorIifEEZZNS1_16scan_by_key_implILNS1_25lookback_scan_determinismE0ELb1ES3_N6thrust23THRUST_200600_302600_NS6detail15normal_iteratorINS9_10device_ptrIiEEEENSB_INSC_IjEEEENSB_INSC_IfEEEEfNS9_4plusIvEENS9_8equal_toIvEEfEE10hipError_tPvRmT2_T3_T4_T5_mT6_T7_P12ihipStream_tbENKUlT_T0_E_clISt17integral_constantIbLb1EES12_IbLb0EEEEDaSY_SZ_EUlSY_E_NS1_11comp_targetILNS1_3genE3ELNS1_11target_archE908ELNS1_3gpuE7ELNS1_3repE0EEENS1_30default_config_static_selectorELNS0_4arch9wavefront6targetE0EEEvT1_: ; @_ZN7rocprim17ROCPRIM_400000_NS6detail17trampoline_kernelINS0_14default_configENS1_27scan_by_key_config_selectorIifEEZZNS1_16scan_by_key_implILNS1_25lookback_scan_determinismE0ELb1ES3_N6thrust23THRUST_200600_302600_NS6detail15normal_iteratorINS9_10device_ptrIiEEEENSB_INSC_IjEEEENSB_INSC_IfEEEEfNS9_4plusIvEENS9_8equal_toIvEEfEE10hipError_tPvRmT2_T3_T4_T5_mT6_T7_P12ihipStream_tbENKUlT_T0_E_clISt17integral_constantIbLb1EES12_IbLb0EEEEDaSY_SZ_EUlSY_E_NS1_11comp_targetILNS1_3genE3ELNS1_11target_archE908ELNS1_3gpuE7ELNS1_3repE0EEENS1_30default_config_static_selectorELNS0_4arch9wavefront6targetE0EEEvT1_
; %bb.0:
	.section	.rodata,"a",@progbits
	.p2align	6, 0x0
	.amdhsa_kernel _ZN7rocprim17ROCPRIM_400000_NS6detail17trampoline_kernelINS0_14default_configENS1_27scan_by_key_config_selectorIifEEZZNS1_16scan_by_key_implILNS1_25lookback_scan_determinismE0ELb1ES3_N6thrust23THRUST_200600_302600_NS6detail15normal_iteratorINS9_10device_ptrIiEEEENSB_INSC_IjEEEENSB_INSC_IfEEEEfNS9_4plusIvEENS9_8equal_toIvEEfEE10hipError_tPvRmT2_T3_T4_T5_mT6_T7_P12ihipStream_tbENKUlT_T0_E_clISt17integral_constantIbLb1EES12_IbLb0EEEEDaSY_SZ_EUlSY_E_NS1_11comp_targetILNS1_3genE3ELNS1_11target_archE908ELNS1_3gpuE7ELNS1_3repE0EEENS1_30default_config_static_selectorELNS0_4arch9wavefront6targetE0EEEvT1_
		.amdhsa_group_segment_fixed_size 0
		.amdhsa_private_segment_fixed_size 0
		.amdhsa_kernarg_size 112
		.amdhsa_user_sgpr_count 2
		.amdhsa_user_sgpr_dispatch_ptr 0
		.amdhsa_user_sgpr_queue_ptr 0
		.amdhsa_user_sgpr_kernarg_segment_ptr 1
		.amdhsa_user_sgpr_dispatch_id 0
		.amdhsa_user_sgpr_kernarg_preload_length 0
		.amdhsa_user_sgpr_kernarg_preload_offset 0
		.amdhsa_user_sgpr_private_segment_size 0
		.amdhsa_wavefront_size32 1
		.amdhsa_uses_dynamic_stack 0
		.amdhsa_enable_private_segment 0
		.amdhsa_system_sgpr_workgroup_id_x 1
		.amdhsa_system_sgpr_workgroup_id_y 0
		.amdhsa_system_sgpr_workgroup_id_z 0
		.amdhsa_system_sgpr_workgroup_info 0
		.amdhsa_system_vgpr_workitem_id 0
		.amdhsa_next_free_vgpr 1
		.amdhsa_next_free_sgpr 1
		.amdhsa_named_barrier_count 0
		.amdhsa_reserve_vcc 0
		.amdhsa_float_round_mode_32 0
		.amdhsa_float_round_mode_16_64 0
		.amdhsa_float_denorm_mode_32 3
		.amdhsa_float_denorm_mode_16_64 3
		.amdhsa_fp16_overflow 0
		.amdhsa_memory_ordered 1
		.amdhsa_forward_progress 1
		.amdhsa_inst_pref_size 0
		.amdhsa_round_robin_scheduling 0
		.amdhsa_exception_fp_ieee_invalid_op 0
		.amdhsa_exception_fp_denorm_src 0
		.amdhsa_exception_fp_ieee_div_zero 0
		.amdhsa_exception_fp_ieee_overflow 0
		.amdhsa_exception_fp_ieee_underflow 0
		.amdhsa_exception_fp_ieee_inexact 0
		.amdhsa_exception_int_div_zero 0
	.end_amdhsa_kernel
	.section	.text._ZN7rocprim17ROCPRIM_400000_NS6detail17trampoline_kernelINS0_14default_configENS1_27scan_by_key_config_selectorIifEEZZNS1_16scan_by_key_implILNS1_25lookback_scan_determinismE0ELb1ES3_N6thrust23THRUST_200600_302600_NS6detail15normal_iteratorINS9_10device_ptrIiEEEENSB_INSC_IjEEEENSB_INSC_IfEEEEfNS9_4plusIvEENS9_8equal_toIvEEfEE10hipError_tPvRmT2_T3_T4_T5_mT6_T7_P12ihipStream_tbENKUlT_T0_E_clISt17integral_constantIbLb1EES12_IbLb0EEEEDaSY_SZ_EUlSY_E_NS1_11comp_targetILNS1_3genE3ELNS1_11target_archE908ELNS1_3gpuE7ELNS1_3repE0EEENS1_30default_config_static_selectorELNS0_4arch9wavefront6targetE0EEEvT1_,"axG",@progbits,_ZN7rocprim17ROCPRIM_400000_NS6detail17trampoline_kernelINS0_14default_configENS1_27scan_by_key_config_selectorIifEEZZNS1_16scan_by_key_implILNS1_25lookback_scan_determinismE0ELb1ES3_N6thrust23THRUST_200600_302600_NS6detail15normal_iteratorINS9_10device_ptrIiEEEENSB_INSC_IjEEEENSB_INSC_IfEEEEfNS9_4plusIvEENS9_8equal_toIvEEfEE10hipError_tPvRmT2_T3_T4_T5_mT6_T7_P12ihipStream_tbENKUlT_T0_E_clISt17integral_constantIbLb1EES12_IbLb0EEEEDaSY_SZ_EUlSY_E_NS1_11comp_targetILNS1_3genE3ELNS1_11target_archE908ELNS1_3gpuE7ELNS1_3repE0EEENS1_30default_config_static_selectorELNS0_4arch9wavefront6targetE0EEEvT1_,comdat
.Lfunc_end1702:
	.size	_ZN7rocprim17ROCPRIM_400000_NS6detail17trampoline_kernelINS0_14default_configENS1_27scan_by_key_config_selectorIifEEZZNS1_16scan_by_key_implILNS1_25lookback_scan_determinismE0ELb1ES3_N6thrust23THRUST_200600_302600_NS6detail15normal_iteratorINS9_10device_ptrIiEEEENSB_INSC_IjEEEENSB_INSC_IfEEEEfNS9_4plusIvEENS9_8equal_toIvEEfEE10hipError_tPvRmT2_T3_T4_T5_mT6_T7_P12ihipStream_tbENKUlT_T0_E_clISt17integral_constantIbLb1EES12_IbLb0EEEEDaSY_SZ_EUlSY_E_NS1_11comp_targetILNS1_3genE3ELNS1_11target_archE908ELNS1_3gpuE7ELNS1_3repE0EEENS1_30default_config_static_selectorELNS0_4arch9wavefront6targetE0EEEvT1_, .Lfunc_end1702-_ZN7rocprim17ROCPRIM_400000_NS6detail17trampoline_kernelINS0_14default_configENS1_27scan_by_key_config_selectorIifEEZZNS1_16scan_by_key_implILNS1_25lookback_scan_determinismE0ELb1ES3_N6thrust23THRUST_200600_302600_NS6detail15normal_iteratorINS9_10device_ptrIiEEEENSB_INSC_IjEEEENSB_INSC_IfEEEEfNS9_4plusIvEENS9_8equal_toIvEEfEE10hipError_tPvRmT2_T3_T4_T5_mT6_T7_P12ihipStream_tbENKUlT_T0_E_clISt17integral_constantIbLb1EES12_IbLb0EEEEDaSY_SZ_EUlSY_E_NS1_11comp_targetILNS1_3genE3ELNS1_11target_archE908ELNS1_3gpuE7ELNS1_3repE0EEENS1_30default_config_static_selectorELNS0_4arch9wavefront6targetE0EEEvT1_
                                        ; -- End function
	.set _ZN7rocprim17ROCPRIM_400000_NS6detail17trampoline_kernelINS0_14default_configENS1_27scan_by_key_config_selectorIifEEZZNS1_16scan_by_key_implILNS1_25lookback_scan_determinismE0ELb1ES3_N6thrust23THRUST_200600_302600_NS6detail15normal_iteratorINS9_10device_ptrIiEEEENSB_INSC_IjEEEENSB_INSC_IfEEEEfNS9_4plusIvEENS9_8equal_toIvEEfEE10hipError_tPvRmT2_T3_T4_T5_mT6_T7_P12ihipStream_tbENKUlT_T0_E_clISt17integral_constantIbLb1EES12_IbLb0EEEEDaSY_SZ_EUlSY_E_NS1_11comp_targetILNS1_3genE3ELNS1_11target_archE908ELNS1_3gpuE7ELNS1_3repE0EEENS1_30default_config_static_selectorELNS0_4arch9wavefront6targetE0EEEvT1_.num_vgpr, 0
	.set _ZN7rocprim17ROCPRIM_400000_NS6detail17trampoline_kernelINS0_14default_configENS1_27scan_by_key_config_selectorIifEEZZNS1_16scan_by_key_implILNS1_25lookback_scan_determinismE0ELb1ES3_N6thrust23THRUST_200600_302600_NS6detail15normal_iteratorINS9_10device_ptrIiEEEENSB_INSC_IjEEEENSB_INSC_IfEEEEfNS9_4plusIvEENS9_8equal_toIvEEfEE10hipError_tPvRmT2_T3_T4_T5_mT6_T7_P12ihipStream_tbENKUlT_T0_E_clISt17integral_constantIbLb1EES12_IbLb0EEEEDaSY_SZ_EUlSY_E_NS1_11comp_targetILNS1_3genE3ELNS1_11target_archE908ELNS1_3gpuE7ELNS1_3repE0EEENS1_30default_config_static_selectorELNS0_4arch9wavefront6targetE0EEEvT1_.num_agpr, 0
	.set _ZN7rocprim17ROCPRIM_400000_NS6detail17trampoline_kernelINS0_14default_configENS1_27scan_by_key_config_selectorIifEEZZNS1_16scan_by_key_implILNS1_25lookback_scan_determinismE0ELb1ES3_N6thrust23THRUST_200600_302600_NS6detail15normal_iteratorINS9_10device_ptrIiEEEENSB_INSC_IjEEEENSB_INSC_IfEEEEfNS9_4plusIvEENS9_8equal_toIvEEfEE10hipError_tPvRmT2_T3_T4_T5_mT6_T7_P12ihipStream_tbENKUlT_T0_E_clISt17integral_constantIbLb1EES12_IbLb0EEEEDaSY_SZ_EUlSY_E_NS1_11comp_targetILNS1_3genE3ELNS1_11target_archE908ELNS1_3gpuE7ELNS1_3repE0EEENS1_30default_config_static_selectorELNS0_4arch9wavefront6targetE0EEEvT1_.numbered_sgpr, 0
	.set _ZN7rocprim17ROCPRIM_400000_NS6detail17trampoline_kernelINS0_14default_configENS1_27scan_by_key_config_selectorIifEEZZNS1_16scan_by_key_implILNS1_25lookback_scan_determinismE0ELb1ES3_N6thrust23THRUST_200600_302600_NS6detail15normal_iteratorINS9_10device_ptrIiEEEENSB_INSC_IjEEEENSB_INSC_IfEEEEfNS9_4plusIvEENS9_8equal_toIvEEfEE10hipError_tPvRmT2_T3_T4_T5_mT6_T7_P12ihipStream_tbENKUlT_T0_E_clISt17integral_constantIbLb1EES12_IbLb0EEEEDaSY_SZ_EUlSY_E_NS1_11comp_targetILNS1_3genE3ELNS1_11target_archE908ELNS1_3gpuE7ELNS1_3repE0EEENS1_30default_config_static_selectorELNS0_4arch9wavefront6targetE0EEEvT1_.num_named_barrier, 0
	.set _ZN7rocprim17ROCPRIM_400000_NS6detail17trampoline_kernelINS0_14default_configENS1_27scan_by_key_config_selectorIifEEZZNS1_16scan_by_key_implILNS1_25lookback_scan_determinismE0ELb1ES3_N6thrust23THRUST_200600_302600_NS6detail15normal_iteratorINS9_10device_ptrIiEEEENSB_INSC_IjEEEENSB_INSC_IfEEEEfNS9_4plusIvEENS9_8equal_toIvEEfEE10hipError_tPvRmT2_T3_T4_T5_mT6_T7_P12ihipStream_tbENKUlT_T0_E_clISt17integral_constantIbLb1EES12_IbLb0EEEEDaSY_SZ_EUlSY_E_NS1_11comp_targetILNS1_3genE3ELNS1_11target_archE908ELNS1_3gpuE7ELNS1_3repE0EEENS1_30default_config_static_selectorELNS0_4arch9wavefront6targetE0EEEvT1_.private_seg_size, 0
	.set _ZN7rocprim17ROCPRIM_400000_NS6detail17trampoline_kernelINS0_14default_configENS1_27scan_by_key_config_selectorIifEEZZNS1_16scan_by_key_implILNS1_25lookback_scan_determinismE0ELb1ES3_N6thrust23THRUST_200600_302600_NS6detail15normal_iteratorINS9_10device_ptrIiEEEENSB_INSC_IjEEEENSB_INSC_IfEEEEfNS9_4plusIvEENS9_8equal_toIvEEfEE10hipError_tPvRmT2_T3_T4_T5_mT6_T7_P12ihipStream_tbENKUlT_T0_E_clISt17integral_constantIbLb1EES12_IbLb0EEEEDaSY_SZ_EUlSY_E_NS1_11comp_targetILNS1_3genE3ELNS1_11target_archE908ELNS1_3gpuE7ELNS1_3repE0EEENS1_30default_config_static_selectorELNS0_4arch9wavefront6targetE0EEEvT1_.uses_vcc, 0
	.set _ZN7rocprim17ROCPRIM_400000_NS6detail17trampoline_kernelINS0_14default_configENS1_27scan_by_key_config_selectorIifEEZZNS1_16scan_by_key_implILNS1_25lookback_scan_determinismE0ELb1ES3_N6thrust23THRUST_200600_302600_NS6detail15normal_iteratorINS9_10device_ptrIiEEEENSB_INSC_IjEEEENSB_INSC_IfEEEEfNS9_4plusIvEENS9_8equal_toIvEEfEE10hipError_tPvRmT2_T3_T4_T5_mT6_T7_P12ihipStream_tbENKUlT_T0_E_clISt17integral_constantIbLb1EES12_IbLb0EEEEDaSY_SZ_EUlSY_E_NS1_11comp_targetILNS1_3genE3ELNS1_11target_archE908ELNS1_3gpuE7ELNS1_3repE0EEENS1_30default_config_static_selectorELNS0_4arch9wavefront6targetE0EEEvT1_.uses_flat_scratch, 0
	.set _ZN7rocprim17ROCPRIM_400000_NS6detail17trampoline_kernelINS0_14default_configENS1_27scan_by_key_config_selectorIifEEZZNS1_16scan_by_key_implILNS1_25lookback_scan_determinismE0ELb1ES3_N6thrust23THRUST_200600_302600_NS6detail15normal_iteratorINS9_10device_ptrIiEEEENSB_INSC_IjEEEENSB_INSC_IfEEEEfNS9_4plusIvEENS9_8equal_toIvEEfEE10hipError_tPvRmT2_T3_T4_T5_mT6_T7_P12ihipStream_tbENKUlT_T0_E_clISt17integral_constantIbLb1EES12_IbLb0EEEEDaSY_SZ_EUlSY_E_NS1_11comp_targetILNS1_3genE3ELNS1_11target_archE908ELNS1_3gpuE7ELNS1_3repE0EEENS1_30default_config_static_selectorELNS0_4arch9wavefront6targetE0EEEvT1_.has_dyn_sized_stack, 0
	.set _ZN7rocprim17ROCPRIM_400000_NS6detail17trampoline_kernelINS0_14default_configENS1_27scan_by_key_config_selectorIifEEZZNS1_16scan_by_key_implILNS1_25lookback_scan_determinismE0ELb1ES3_N6thrust23THRUST_200600_302600_NS6detail15normal_iteratorINS9_10device_ptrIiEEEENSB_INSC_IjEEEENSB_INSC_IfEEEEfNS9_4plusIvEENS9_8equal_toIvEEfEE10hipError_tPvRmT2_T3_T4_T5_mT6_T7_P12ihipStream_tbENKUlT_T0_E_clISt17integral_constantIbLb1EES12_IbLb0EEEEDaSY_SZ_EUlSY_E_NS1_11comp_targetILNS1_3genE3ELNS1_11target_archE908ELNS1_3gpuE7ELNS1_3repE0EEENS1_30default_config_static_selectorELNS0_4arch9wavefront6targetE0EEEvT1_.has_recursion, 0
	.set _ZN7rocprim17ROCPRIM_400000_NS6detail17trampoline_kernelINS0_14default_configENS1_27scan_by_key_config_selectorIifEEZZNS1_16scan_by_key_implILNS1_25lookback_scan_determinismE0ELb1ES3_N6thrust23THRUST_200600_302600_NS6detail15normal_iteratorINS9_10device_ptrIiEEEENSB_INSC_IjEEEENSB_INSC_IfEEEEfNS9_4plusIvEENS9_8equal_toIvEEfEE10hipError_tPvRmT2_T3_T4_T5_mT6_T7_P12ihipStream_tbENKUlT_T0_E_clISt17integral_constantIbLb1EES12_IbLb0EEEEDaSY_SZ_EUlSY_E_NS1_11comp_targetILNS1_3genE3ELNS1_11target_archE908ELNS1_3gpuE7ELNS1_3repE0EEENS1_30default_config_static_selectorELNS0_4arch9wavefront6targetE0EEEvT1_.has_indirect_call, 0
	.section	.AMDGPU.csdata,"",@progbits
; Kernel info:
; codeLenInByte = 0
; TotalNumSgprs: 0
; NumVgprs: 0
; ScratchSize: 0
; MemoryBound: 0
; FloatMode: 240
; IeeeMode: 1
; LDSByteSize: 0 bytes/workgroup (compile time only)
; SGPRBlocks: 0
; VGPRBlocks: 0
; NumSGPRsForWavesPerEU: 1
; NumVGPRsForWavesPerEU: 1
; NamedBarCnt: 0
; Occupancy: 16
; WaveLimiterHint : 0
; COMPUTE_PGM_RSRC2:SCRATCH_EN: 0
; COMPUTE_PGM_RSRC2:USER_SGPR: 2
; COMPUTE_PGM_RSRC2:TRAP_HANDLER: 0
; COMPUTE_PGM_RSRC2:TGID_X_EN: 1
; COMPUTE_PGM_RSRC2:TGID_Y_EN: 0
; COMPUTE_PGM_RSRC2:TGID_Z_EN: 0
; COMPUTE_PGM_RSRC2:TIDIG_COMP_CNT: 0
	.section	.text._ZN7rocprim17ROCPRIM_400000_NS6detail17trampoline_kernelINS0_14default_configENS1_27scan_by_key_config_selectorIifEEZZNS1_16scan_by_key_implILNS1_25lookback_scan_determinismE0ELb1ES3_N6thrust23THRUST_200600_302600_NS6detail15normal_iteratorINS9_10device_ptrIiEEEENSB_INSC_IjEEEENSB_INSC_IfEEEEfNS9_4plusIvEENS9_8equal_toIvEEfEE10hipError_tPvRmT2_T3_T4_T5_mT6_T7_P12ihipStream_tbENKUlT_T0_E_clISt17integral_constantIbLb1EES12_IbLb0EEEEDaSY_SZ_EUlSY_E_NS1_11comp_targetILNS1_3genE2ELNS1_11target_archE906ELNS1_3gpuE6ELNS1_3repE0EEENS1_30default_config_static_selectorELNS0_4arch9wavefront6targetE0EEEvT1_,"axG",@progbits,_ZN7rocprim17ROCPRIM_400000_NS6detail17trampoline_kernelINS0_14default_configENS1_27scan_by_key_config_selectorIifEEZZNS1_16scan_by_key_implILNS1_25lookback_scan_determinismE0ELb1ES3_N6thrust23THRUST_200600_302600_NS6detail15normal_iteratorINS9_10device_ptrIiEEEENSB_INSC_IjEEEENSB_INSC_IfEEEEfNS9_4plusIvEENS9_8equal_toIvEEfEE10hipError_tPvRmT2_T3_T4_T5_mT6_T7_P12ihipStream_tbENKUlT_T0_E_clISt17integral_constantIbLb1EES12_IbLb0EEEEDaSY_SZ_EUlSY_E_NS1_11comp_targetILNS1_3genE2ELNS1_11target_archE906ELNS1_3gpuE6ELNS1_3repE0EEENS1_30default_config_static_selectorELNS0_4arch9wavefront6targetE0EEEvT1_,comdat
	.protected	_ZN7rocprim17ROCPRIM_400000_NS6detail17trampoline_kernelINS0_14default_configENS1_27scan_by_key_config_selectorIifEEZZNS1_16scan_by_key_implILNS1_25lookback_scan_determinismE0ELb1ES3_N6thrust23THRUST_200600_302600_NS6detail15normal_iteratorINS9_10device_ptrIiEEEENSB_INSC_IjEEEENSB_INSC_IfEEEEfNS9_4plusIvEENS9_8equal_toIvEEfEE10hipError_tPvRmT2_T3_T4_T5_mT6_T7_P12ihipStream_tbENKUlT_T0_E_clISt17integral_constantIbLb1EES12_IbLb0EEEEDaSY_SZ_EUlSY_E_NS1_11comp_targetILNS1_3genE2ELNS1_11target_archE906ELNS1_3gpuE6ELNS1_3repE0EEENS1_30default_config_static_selectorELNS0_4arch9wavefront6targetE0EEEvT1_ ; -- Begin function _ZN7rocprim17ROCPRIM_400000_NS6detail17trampoline_kernelINS0_14default_configENS1_27scan_by_key_config_selectorIifEEZZNS1_16scan_by_key_implILNS1_25lookback_scan_determinismE0ELb1ES3_N6thrust23THRUST_200600_302600_NS6detail15normal_iteratorINS9_10device_ptrIiEEEENSB_INSC_IjEEEENSB_INSC_IfEEEEfNS9_4plusIvEENS9_8equal_toIvEEfEE10hipError_tPvRmT2_T3_T4_T5_mT6_T7_P12ihipStream_tbENKUlT_T0_E_clISt17integral_constantIbLb1EES12_IbLb0EEEEDaSY_SZ_EUlSY_E_NS1_11comp_targetILNS1_3genE2ELNS1_11target_archE906ELNS1_3gpuE6ELNS1_3repE0EEENS1_30default_config_static_selectorELNS0_4arch9wavefront6targetE0EEEvT1_
	.globl	_ZN7rocprim17ROCPRIM_400000_NS6detail17trampoline_kernelINS0_14default_configENS1_27scan_by_key_config_selectorIifEEZZNS1_16scan_by_key_implILNS1_25lookback_scan_determinismE0ELb1ES3_N6thrust23THRUST_200600_302600_NS6detail15normal_iteratorINS9_10device_ptrIiEEEENSB_INSC_IjEEEENSB_INSC_IfEEEEfNS9_4plusIvEENS9_8equal_toIvEEfEE10hipError_tPvRmT2_T3_T4_T5_mT6_T7_P12ihipStream_tbENKUlT_T0_E_clISt17integral_constantIbLb1EES12_IbLb0EEEEDaSY_SZ_EUlSY_E_NS1_11comp_targetILNS1_3genE2ELNS1_11target_archE906ELNS1_3gpuE6ELNS1_3repE0EEENS1_30default_config_static_selectorELNS0_4arch9wavefront6targetE0EEEvT1_
	.p2align	8
	.type	_ZN7rocprim17ROCPRIM_400000_NS6detail17trampoline_kernelINS0_14default_configENS1_27scan_by_key_config_selectorIifEEZZNS1_16scan_by_key_implILNS1_25lookback_scan_determinismE0ELb1ES3_N6thrust23THRUST_200600_302600_NS6detail15normal_iteratorINS9_10device_ptrIiEEEENSB_INSC_IjEEEENSB_INSC_IfEEEEfNS9_4plusIvEENS9_8equal_toIvEEfEE10hipError_tPvRmT2_T3_T4_T5_mT6_T7_P12ihipStream_tbENKUlT_T0_E_clISt17integral_constantIbLb1EES12_IbLb0EEEEDaSY_SZ_EUlSY_E_NS1_11comp_targetILNS1_3genE2ELNS1_11target_archE906ELNS1_3gpuE6ELNS1_3repE0EEENS1_30default_config_static_selectorELNS0_4arch9wavefront6targetE0EEEvT1_,@function
_ZN7rocprim17ROCPRIM_400000_NS6detail17trampoline_kernelINS0_14default_configENS1_27scan_by_key_config_selectorIifEEZZNS1_16scan_by_key_implILNS1_25lookback_scan_determinismE0ELb1ES3_N6thrust23THRUST_200600_302600_NS6detail15normal_iteratorINS9_10device_ptrIiEEEENSB_INSC_IjEEEENSB_INSC_IfEEEEfNS9_4plusIvEENS9_8equal_toIvEEfEE10hipError_tPvRmT2_T3_T4_T5_mT6_T7_P12ihipStream_tbENKUlT_T0_E_clISt17integral_constantIbLb1EES12_IbLb0EEEEDaSY_SZ_EUlSY_E_NS1_11comp_targetILNS1_3genE2ELNS1_11target_archE906ELNS1_3gpuE6ELNS1_3repE0EEENS1_30default_config_static_selectorELNS0_4arch9wavefront6targetE0EEEvT1_: ; @_ZN7rocprim17ROCPRIM_400000_NS6detail17trampoline_kernelINS0_14default_configENS1_27scan_by_key_config_selectorIifEEZZNS1_16scan_by_key_implILNS1_25lookback_scan_determinismE0ELb1ES3_N6thrust23THRUST_200600_302600_NS6detail15normal_iteratorINS9_10device_ptrIiEEEENSB_INSC_IjEEEENSB_INSC_IfEEEEfNS9_4plusIvEENS9_8equal_toIvEEfEE10hipError_tPvRmT2_T3_T4_T5_mT6_T7_P12ihipStream_tbENKUlT_T0_E_clISt17integral_constantIbLb1EES12_IbLb0EEEEDaSY_SZ_EUlSY_E_NS1_11comp_targetILNS1_3genE2ELNS1_11target_archE906ELNS1_3gpuE6ELNS1_3repE0EEENS1_30default_config_static_selectorELNS0_4arch9wavefront6targetE0EEEvT1_
; %bb.0:
	.section	.rodata,"a",@progbits
	.p2align	6, 0x0
	.amdhsa_kernel _ZN7rocprim17ROCPRIM_400000_NS6detail17trampoline_kernelINS0_14default_configENS1_27scan_by_key_config_selectorIifEEZZNS1_16scan_by_key_implILNS1_25lookback_scan_determinismE0ELb1ES3_N6thrust23THRUST_200600_302600_NS6detail15normal_iteratorINS9_10device_ptrIiEEEENSB_INSC_IjEEEENSB_INSC_IfEEEEfNS9_4plusIvEENS9_8equal_toIvEEfEE10hipError_tPvRmT2_T3_T4_T5_mT6_T7_P12ihipStream_tbENKUlT_T0_E_clISt17integral_constantIbLb1EES12_IbLb0EEEEDaSY_SZ_EUlSY_E_NS1_11comp_targetILNS1_3genE2ELNS1_11target_archE906ELNS1_3gpuE6ELNS1_3repE0EEENS1_30default_config_static_selectorELNS0_4arch9wavefront6targetE0EEEvT1_
		.amdhsa_group_segment_fixed_size 0
		.amdhsa_private_segment_fixed_size 0
		.amdhsa_kernarg_size 112
		.amdhsa_user_sgpr_count 2
		.amdhsa_user_sgpr_dispatch_ptr 0
		.amdhsa_user_sgpr_queue_ptr 0
		.amdhsa_user_sgpr_kernarg_segment_ptr 1
		.amdhsa_user_sgpr_dispatch_id 0
		.amdhsa_user_sgpr_kernarg_preload_length 0
		.amdhsa_user_sgpr_kernarg_preload_offset 0
		.amdhsa_user_sgpr_private_segment_size 0
		.amdhsa_wavefront_size32 1
		.amdhsa_uses_dynamic_stack 0
		.amdhsa_enable_private_segment 0
		.amdhsa_system_sgpr_workgroup_id_x 1
		.amdhsa_system_sgpr_workgroup_id_y 0
		.amdhsa_system_sgpr_workgroup_id_z 0
		.amdhsa_system_sgpr_workgroup_info 0
		.amdhsa_system_vgpr_workitem_id 0
		.amdhsa_next_free_vgpr 1
		.amdhsa_next_free_sgpr 1
		.amdhsa_named_barrier_count 0
		.amdhsa_reserve_vcc 0
		.amdhsa_float_round_mode_32 0
		.amdhsa_float_round_mode_16_64 0
		.amdhsa_float_denorm_mode_32 3
		.amdhsa_float_denorm_mode_16_64 3
		.amdhsa_fp16_overflow 0
		.amdhsa_memory_ordered 1
		.amdhsa_forward_progress 1
		.amdhsa_inst_pref_size 0
		.amdhsa_round_robin_scheduling 0
		.amdhsa_exception_fp_ieee_invalid_op 0
		.amdhsa_exception_fp_denorm_src 0
		.amdhsa_exception_fp_ieee_div_zero 0
		.amdhsa_exception_fp_ieee_overflow 0
		.amdhsa_exception_fp_ieee_underflow 0
		.amdhsa_exception_fp_ieee_inexact 0
		.amdhsa_exception_int_div_zero 0
	.end_amdhsa_kernel
	.section	.text._ZN7rocprim17ROCPRIM_400000_NS6detail17trampoline_kernelINS0_14default_configENS1_27scan_by_key_config_selectorIifEEZZNS1_16scan_by_key_implILNS1_25lookback_scan_determinismE0ELb1ES3_N6thrust23THRUST_200600_302600_NS6detail15normal_iteratorINS9_10device_ptrIiEEEENSB_INSC_IjEEEENSB_INSC_IfEEEEfNS9_4plusIvEENS9_8equal_toIvEEfEE10hipError_tPvRmT2_T3_T4_T5_mT6_T7_P12ihipStream_tbENKUlT_T0_E_clISt17integral_constantIbLb1EES12_IbLb0EEEEDaSY_SZ_EUlSY_E_NS1_11comp_targetILNS1_3genE2ELNS1_11target_archE906ELNS1_3gpuE6ELNS1_3repE0EEENS1_30default_config_static_selectorELNS0_4arch9wavefront6targetE0EEEvT1_,"axG",@progbits,_ZN7rocprim17ROCPRIM_400000_NS6detail17trampoline_kernelINS0_14default_configENS1_27scan_by_key_config_selectorIifEEZZNS1_16scan_by_key_implILNS1_25lookback_scan_determinismE0ELb1ES3_N6thrust23THRUST_200600_302600_NS6detail15normal_iteratorINS9_10device_ptrIiEEEENSB_INSC_IjEEEENSB_INSC_IfEEEEfNS9_4plusIvEENS9_8equal_toIvEEfEE10hipError_tPvRmT2_T3_T4_T5_mT6_T7_P12ihipStream_tbENKUlT_T0_E_clISt17integral_constantIbLb1EES12_IbLb0EEEEDaSY_SZ_EUlSY_E_NS1_11comp_targetILNS1_3genE2ELNS1_11target_archE906ELNS1_3gpuE6ELNS1_3repE0EEENS1_30default_config_static_selectorELNS0_4arch9wavefront6targetE0EEEvT1_,comdat
.Lfunc_end1703:
	.size	_ZN7rocprim17ROCPRIM_400000_NS6detail17trampoline_kernelINS0_14default_configENS1_27scan_by_key_config_selectorIifEEZZNS1_16scan_by_key_implILNS1_25lookback_scan_determinismE0ELb1ES3_N6thrust23THRUST_200600_302600_NS6detail15normal_iteratorINS9_10device_ptrIiEEEENSB_INSC_IjEEEENSB_INSC_IfEEEEfNS9_4plusIvEENS9_8equal_toIvEEfEE10hipError_tPvRmT2_T3_T4_T5_mT6_T7_P12ihipStream_tbENKUlT_T0_E_clISt17integral_constantIbLb1EES12_IbLb0EEEEDaSY_SZ_EUlSY_E_NS1_11comp_targetILNS1_3genE2ELNS1_11target_archE906ELNS1_3gpuE6ELNS1_3repE0EEENS1_30default_config_static_selectorELNS0_4arch9wavefront6targetE0EEEvT1_, .Lfunc_end1703-_ZN7rocprim17ROCPRIM_400000_NS6detail17trampoline_kernelINS0_14default_configENS1_27scan_by_key_config_selectorIifEEZZNS1_16scan_by_key_implILNS1_25lookback_scan_determinismE0ELb1ES3_N6thrust23THRUST_200600_302600_NS6detail15normal_iteratorINS9_10device_ptrIiEEEENSB_INSC_IjEEEENSB_INSC_IfEEEEfNS9_4plusIvEENS9_8equal_toIvEEfEE10hipError_tPvRmT2_T3_T4_T5_mT6_T7_P12ihipStream_tbENKUlT_T0_E_clISt17integral_constantIbLb1EES12_IbLb0EEEEDaSY_SZ_EUlSY_E_NS1_11comp_targetILNS1_3genE2ELNS1_11target_archE906ELNS1_3gpuE6ELNS1_3repE0EEENS1_30default_config_static_selectorELNS0_4arch9wavefront6targetE0EEEvT1_
                                        ; -- End function
	.set _ZN7rocprim17ROCPRIM_400000_NS6detail17trampoline_kernelINS0_14default_configENS1_27scan_by_key_config_selectorIifEEZZNS1_16scan_by_key_implILNS1_25lookback_scan_determinismE0ELb1ES3_N6thrust23THRUST_200600_302600_NS6detail15normal_iteratorINS9_10device_ptrIiEEEENSB_INSC_IjEEEENSB_INSC_IfEEEEfNS9_4plusIvEENS9_8equal_toIvEEfEE10hipError_tPvRmT2_T3_T4_T5_mT6_T7_P12ihipStream_tbENKUlT_T0_E_clISt17integral_constantIbLb1EES12_IbLb0EEEEDaSY_SZ_EUlSY_E_NS1_11comp_targetILNS1_3genE2ELNS1_11target_archE906ELNS1_3gpuE6ELNS1_3repE0EEENS1_30default_config_static_selectorELNS0_4arch9wavefront6targetE0EEEvT1_.num_vgpr, 0
	.set _ZN7rocprim17ROCPRIM_400000_NS6detail17trampoline_kernelINS0_14default_configENS1_27scan_by_key_config_selectorIifEEZZNS1_16scan_by_key_implILNS1_25lookback_scan_determinismE0ELb1ES3_N6thrust23THRUST_200600_302600_NS6detail15normal_iteratorINS9_10device_ptrIiEEEENSB_INSC_IjEEEENSB_INSC_IfEEEEfNS9_4plusIvEENS9_8equal_toIvEEfEE10hipError_tPvRmT2_T3_T4_T5_mT6_T7_P12ihipStream_tbENKUlT_T0_E_clISt17integral_constantIbLb1EES12_IbLb0EEEEDaSY_SZ_EUlSY_E_NS1_11comp_targetILNS1_3genE2ELNS1_11target_archE906ELNS1_3gpuE6ELNS1_3repE0EEENS1_30default_config_static_selectorELNS0_4arch9wavefront6targetE0EEEvT1_.num_agpr, 0
	.set _ZN7rocprim17ROCPRIM_400000_NS6detail17trampoline_kernelINS0_14default_configENS1_27scan_by_key_config_selectorIifEEZZNS1_16scan_by_key_implILNS1_25lookback_scan_determinismE0ELb1ES3_N6thrust23THRUST_200600_302600_NS6detail15normal_iteratorINS9_10device_ptrIiEEEENSB_INSC_IjEEEENSB_INSC_IfEEEEfNS9_4plusIvEENS9_8equal_toIvEEfEE10hipError_tPvRmT2_T3_T4_T5_mT6_T7_P12ihipStream_tbENKUlT_T0_E_clISt17integral_constantIbLb1EES12_IbLb0EEEEDaSY_SZ_EUlSY_E_NS1_11comp_targetILNS1_3genE2ELNS1_11target_archE906ELNS1_3gpuE6ELNS1_3repE0EEENS1_30default_config_static_selectorELNS0_4arch9wavefront6targetE0EEEvT1_.numbered_sgpr, 0
	.set _ZN7rocprim17ROCPRIM_400000_NS6detail17trampoline_kernelINS0_14default_configENS1_27scan_by_key_config_selectorIifEEZZNS1_16scan_by_key_implILNS1_25lookback_scan_determinismE0ELb1ES3_N6thrust23THRUST_200600_302600_NS6detail15normal_iteratorINS9_10device_ptrIiEEEENSB_INSC_IjEEEENSB_INSC_IfEEEEfNS9_4plusIvEENS9_8equal_toIvEEfEE10hipError_tPvRmT2_T3_T4_T5_mT6_T7_P12ihipStream_tbENKUlT_T0_E_clISt17integral_constantIbLb1EES12_IbLb0EEEEDaSY_SZ_EUlSY_E_NS1_11comp_targetILNS1_3genE2ELNS1_11target_archE906ELNS1_3gpuE6ELNS1_3repE0EEENS1_30default_config_static_selectorELNS0_4arch9wavefront6targetE0EEEvT1_.num_named_barrier, 0
	.set _ZN7rocprim17ROCPRIM_400000_NS6detail17trampoline_kernelINS0_14default_configENS1_27scan_by_key_config_selectorIifEEZZNS1_16scan_by_key_implILNS1_25lookback_scan_determinismE0ELb1ES3_N6thrust23THRUST_200600_302600_NS6detail15normal_iteratorINS9_10device_ptrIiEEEENSB_INSC_IjEEEENSB_INSC_IfEEEEfNS9_4plusIvEENS9_8equal_toIvEEfEE10hipError_tPvRmT2_T3_T4_T5_mT6_T7_P12ihipStream_tbENKUlT_T0_E_clISt17integral_constantIbLb1EES12_IbLb0EEEEDaSY_SZ_EUlSY_E_NS1_11comp_targetILNS1_3genE2ELNS1_11target_archE906ELNS1_3gpuE6ELNS1_3repE0EEENS1_30default_config_static_selectorELNS0_4arch9wavefront6targetE0EEEvT1_.private_seg_size, 0
	.set _ZN7rocprim17ROCPRIM_400000_NS6detail17trampoline_kernelINS0_14default_configENS1_27scan_by_key_config_selectorIifEEZZNS1_16scan_by_key_implILNS1_25lookback_scan_determinismE0ELb1ES3_N6thrust23THRUST_200600_302600_NS6detail15normal_iteratorINS9_10device_ptrIiEEEENSB_INSC_IjEEEENSB_INSC_IfEEEEfNS9_4plusIvEENS9_8equal_toIvEEfEE10hipError_tPvRmT2_T3_T4_T5_mT6_T7_P12ihipStream_tbENKUlT_T0_E_clISt17integral_constantIbLb1EES12_IbLb0EEEEDaSY_SZ_EUlSY_E_NS1_11comp_targetILNS1_3genE2ELNS1_11target_archE906ELNS1_3gpuE6ELNS1_3repE0EEENS1_30default_config_static_selectorELNS0_4arch9wavefront6targetE0EEEvT1_.uses_vcc, 0
	.set _ZN7rocprim17ROCPRIM_400000_NS6detail17trampoline_kernelINS0_14default_configENS1_27scan_by_key_config_selectorIifEEZZNS1_16scan_by_key_implILNS1_25lookback_scan_determinismE0ELb1ES3_N6thrust23THRUST_200600_302600_NS6detail15normal_iteratorINS9_10device_ptrIiEEEENSB_INSC_IjEEEENSB_INSC_IfEEEEfNS9_4plusIvEENS9_8equal_toIvEEfEE10hipError_tPvRmT2_T3_T4_T5_mT6_T7_P12ihipStream_tbENKUlT_T0_E_clISt17integral_constantIbLb1EES12_IbLb0EEEEDaSY_SZ_EUlSY_E_NS1_11comp_targetILNS1_3genE2ELNS1_11target_archE906ELNS1_3gpuE6ELNS1_3repE0EEENS1_30default_config_static_selectorELNS0_4arch9wavefront6targetE0EEEvT1_.uses_flat_scratch, 0
	.set _ZN7rocprim17ROCPRIM_400000_NS6detail17trampoline_kernelINS0_14default_configENS1_27scan_by_key_config_selectorIifEEZZNS1_16scan_by_key_implILNS1_25lookback_scan_determinismE0ELb1ES3_N6thrust23THRUST_200600_302600_NS6detail15normal_iteratorINS9_10device_ptrIiEEEENSB_INSC_IjEEEENSB_INSC_IfEEEEfNS9_4plusIvEENS9_8equal_toIvEEfEE10hipError_tPvRmT2_T3_T4_T5_mT6_T7_P12ihipStream_tbENKUlT_T0_E_clISt17integral_constantIbLb1EES12_IbLb0EEEEDaSY_SZ_EUlSY_E_NS1_11comp_targetILNS1_3genE2ELNS1_11target_archE906ELNS1_3gpuE6ELNS1_3repE0EEENS1_30default_config_static_selectorELNS0_4arch9wavefront6targetE0EEEvT1_.has_dyn_sized_stack, 0
	.set _ZN7rocprim17ROCPRIM_400000_NS6detail17trampoline_kernelINS0_14default_configENS1_27scan_by_key_config_selectorIifEEZZNS1_16scan_by_key_implILNS1_25lookback_scan_determinismE0ELb1ES3_N6thrust23THRUST_200600_302600_NS6detail15normal_iteratorINS9_10device_ptrIiEEEENSB_INSC_IjEEEENSB_INSC_IfEEEEfNS9_4plusIvEENS9_8equal_toIvEEfEE10hipError_tPvRmT2_T3_T4_T5_mT6_T7_P12ihipStream_tbENKUlT_T0_E_clISt17integral_constantIbLb1EES12_IbLb0EEEEDaSY_SZ_EUlSY_E_NS1_11comp_targetILNS1_3genE2ELNS1_11target_archE906ELNS1_3gpuE6ELNS1_3repE0EEENS1_30default_config_static_selectorELNS0_4arch9wavefront6targetE0EEEvT1_.has_recursion, 0
	.set _ZN7rocprim17ROCPRIM_400000_NS6detail17trampoline_kernelINS0_14default_configENS1_27scan_by_key_config_selectorIifEEZZNS1_16scan_by_key_implILNS1_25lookback_scan_determinismE0ELb1ES3_N6thrust23THRUST_200600_302600_NS6detail15normal_iteratorINS9_10device_ptrIiEEEENSB_INSC_IjEEEENSB_INSC_IfEEEEfNS9_4plusIvEENS9_8equal_toIvEEfEE10hipError_tPvRmT2_T3_T4_T5_mT6_T7_P12ihipStream_tbENKUlT_T0_E_clISt17integral_constantIbLb1EES12_IbLb0EEEEDaSY_SZ_EUlSY_E_NS1_11comp_targetILNS1_3genE2ELNS1_11target_archE906ELNS1_3gpuE6ELNS1_3repE0EEENS1_30default_config_static_selectorELNS0_4arch9wavefront6targetE0EEEvT1_.has_indirect_call, 0
	.section	.AMDGPU.csdata,"",@progbits
; Kernel info:
; codeLenInByte = 0
; TotalNumSgprs: 0
; NumVgprs: 0
; ScratchSize: 0
; MemoryBound: 0
; FloatMode: 240
; IeeeMode: 1
; LDSByteSize: 0 bytes/workgroup (compile time only)
; SGPRBlocks: 0
; VGPRBlocks: 0
; NumSGPRsForWavesPerEU: 1
; NumVGPRsForWavesPerEU: 1
; NamedBarCnt: 0
; Occupancy: 16
; WaveLimiterHint : 0
; COMPUTE_PGM_RSRC2:SCRATCH_EN: 0
; COMPUTE_PGM_RSRC2:USER_SGPR: 2
; COMPUTE_PGM_RSRC2:TRAP_HANDLER: 0
; COMPUTE_PGM_RSRC2:TGID_X_EN: 1
; COMPUTE_PGM_RSRC2:TGID_Y_EN: 0
; COMPUTE_PGM_RSRC2:TGID_Z_EN: 0
; COMPUTE_PGM_RSRC2:TIDIG_COMP_CNT: 0
	.section	.text._ZN7rocprim17ROCPRIM_400000_NS6detail17trampoline_kernelINS0_14default_configENS1_27scan_by_key_config_selectorIifEEZZNS1_16scan_by_key_implILNS1_25lookback_scan_determinismE0ELb1ES3_N6thrust23THRUST_200600_302600_NS6detail15normal_iteratorINS9_10device_ptrIiEEEENSB_INSC_IjEEEENSB_INSC_IfEEEEfNS9_4plusIvEENS9_8equal_toIvEEfEE10hipError_tPvRmT2_T3_T4_T5_mT6_T7_P12ihipStream_tbENKUlT_T0_E_clISt17integral_constantIbLb1EES12_IbLb0EEEEDaSY_SZ_EUlSY_E_NS1_11comp_targetILNS1_3genE10ELNS1_11target_archE1200ELNS1_3gpuE4ELNS1_3repE0EEENS1_30default_config_static_selectorELNS0_4arch9wavefront6targetE0EEEvT1_,"axG",@progbits,_ZN7rocprim17ROCPRIM_400000_NS6detail17trampoline_kernelINS0_14default_configENS1_27scan_by_key_config_selectorIifEEZZNS1_16scan_by_key_implILNS1_25lookback_scan_determinismE0ELb1ES3_N6thrust23THRUST_200600_302600_NS6detail15normal_iteratorINS9_10device_ptrIiEEEENSB_INSC_IjEEEENSB_INSC_IfEEEEfNS9_4plusIvEENS9_8equal_toIvEEfEE10hipError_tPvRmT2_T3_T4_T5_mT6_T7_P12ihipStream_tbENKUlT_T0_E_clISt17integral_constantIbLb1EES12_IbLb0EEEEDaSY_SZ_EUlSY_E_NS1_11comp_targetILNS1_3genE10ELNS1_11target_archE1200ELNS1_3gpuE4ELNS1_3repE0EEENS1_30default_config_static_selectorELNS0_4arch9wavefront6targetE0EEEvT1_,comdat
	.protected	_ZN7rocprim17ROCPRIM_400000_NS6detail17trampoline_kernelINS0_14default_configENS1_27scan_by_key_config_selectorIifEEZZNS1_16scan_by_key_implILNS1_25lookback_scan_determinismE0ELb1ES3_N6thrust23THRUST_200600_302600_NS6detail15normal_iteratorINS9_10device_ptrIiEEEENSB_INSC_IjEEEENSB_INSC_IfEEEEfNS9_4plusIvEENS9_8equal_toIvEEfEE10hipError_tPvRmT2_T3_T4_T5_mT6_T7_P12ihipStream_tbENKUlT_T0_E_clISt17integral_constantIbLb1EES12_IbLb0EEEEDaSY_SZ_EUlSY_E_NS1_11comp_targetILNS1_3genE10ELNS1_11target_archE1200ELNS1_3gpuE4ELNS1_3repE0EEENS1_30default_config_static_selectorELNS0_4arch9wavefront6targetE0EEEvT1_ ; -- Begin function _ZN7rocprim17ROCPRIM_400000_NS6detail17trampoline_kernelINS0_14default_configENS1_27scan_by_key_config_selectorIifEEZZNS1_16scan_by_key_implILNS1_25lookback_scan_determinismE0ELb1ES3_N6thrust23THRUST_200600_302600_NS6detail15normal_iteratorINS9_10device_ptrIiEEEENSB_INSC_IjEEEENSB_INSC_IfEEEEfNS9_4plusIvEENS9_8equal_toIvEEfEE10hipError_tPvRmT2_T3_T4_T5_mT6_T7_P12ihipStream_tbENKUlT_T0_E_clISt17integral_constantIbLb1EES12_IbLb0EEEEDaSY_SZ_EUlSY_E_NS1_11comp_targetILNS1_3genE10ELNS1_11target_archE1200ELNS1_3gpuE4ELNS1_3repE0EEENS1_30default_config_static_selectorELNS0_4arch9wavefront6targetE0EEEvT1_
	.globl	_ZN7rocprim17ROCPRIM_400000_NS6detail17trampoline_kernelINS0_14default_configENS1_27scan_by_key_config_selectorIifEEZZNS1_16scan_by_key_implILNS1_25lookback_scan_determinismE0ELb1ES3_N6thrust23THRUST_200600_302600_NS6detail15normal_iteratorINS9_10device_ptrIiEEEENSB_INSC_IjEEEENSB_INSC_IfEEEEfNS9_4plusIvEENS9_8equal_toIvEEfEE10hipError_tPvRmT2_T3_T4_T5_mT6_T7_P12ihipStream_tbENKUlT_T0_E_clISt17integral_constantIbLb1EES12_IbLb0EEEEDaSY_SZ_EUlSY_E_NS1_11comp_targetILNS1_3genE10ELNS1_11target_archE1200ELNS1_3gpuE4ELNS1_3repE0EEENS1_30default_config_static_selectorELNS0_4arch9wavefront6targetE0EEEvT1_
	.p2align	8
	.type	_ZN7rocprim17ROCPRIM_400000_NS6detail17trampoline_kernelINS0_14default_configENS1_27scan_by_key_config_selectorIifEEZZNS1_16scan_by_key_implILNS1_25lookback_scan_determinismE0ELb1ES3_N6thrust23THRUST_200600_302600_NS6detail15normal_iteratorINS9_10device_ptrIiEEEENSB_INSC_IjEEEENSB_INSC_IfEEEEfNS9_4plusIvEENS9_8equal_toIvEEfEE10hipError_tPvRmT2_T3_T4_T5_mT6_T7_P12ihipStream_tbENKUlT_T0_E_clISt17integral_constantIbLb1EES12_IbLb0EEEEDaSY_SZ_EUlSY_E_NS1_11comp_targetILNS1_3genE10ELNS1_11target_archE1200ELNS1_3gpuE4ELNS1_3repE0EEENS1_30default_config_static_selectorELNS0_4arch9wavefront6targetE0EEEvT1_,@function
_ZN7rocprim17ROCPRIM_400000_NS6detail17trampoline_kernelINS0_14default_configENS1_27scan_by_key_config_selectorIifEEZZNS1_16scan_by_key_implILNS1_25lookback_scan_determinismE0ELb1ES3_N6thrust23THRUST_200600_302600_NS6detail15normal_iteratorINS9_10device_ptrIiEEEENSB_INSC_IjEEEENSB_INSC_IfEEEEfNS9_4plusIvEENS9_8equal_toIvEEfEE10hipError_tPvRmT2_T3_T4_T5_mT6_T7_P12ihipStream_tbENKUlT_T0_E_clISt17integral_constantIbLb1EES12_IbLb0EEEEDaSY_SZ_EUlSY_E_NS1_11comp_targetILNS1_3genE10ELNS1_11target_archE1200ELNS1_3gpuE4ELNS1_3repE0EEENS1_30default_config_static_selectorELNS0_4arch9wavefront6targetE0EEEvT1_: ; @_ZN7rocprim17ROCPRIM_400000_NS6detail17trampoline_kernelINS0_14default_configENS1_27scan_by_key_config_selectorIifEEZZNS1_16scan_by_key_implILNS1_25lookback_scan_determinismE0ELb1ES3_N6thrust23THRUST_200600_302600_NS6detail15normal_iteratorINS9_10device_ptrIiEEEENSB_INSC_IjEEEENSB_INSC_IfEEEEfNS9_4plusIvEENS9_8equal_toIvEEfEE10hipError_tPvRmT2_T3_T4_T5_mT6_T7_P12ihipStream_tbENKUlT_T0_E_clISt17integral_constantIbLb1EES12_IbLb0EEEEDaSY_SZ_EUlSY_E_NS1_11comp_targetILNS1_3genE10ELNS1_11target_archE1200ELNS1_3gpuE4ELNS1_3repE0EEENS1_30default_config_static_selectorELNS0_4arch9wavefront6targetE0EEEvT1_
; %bb.0:
	.section	.rodata,"a",@progbits
	.p2align	6, 0x0
	.amdhsa_kernel _ZN7rocprim17ROCPRIM_400000_NS6detail17trampoline_kernelINS0_14default_configENS1_27scan_by_key_config_selectorIifEEZZNS1_16scan_by_key_implILNS1_25lookback_scan_determinismE0ELb1ES3_N6thrust23THRUST_200600_302600_NS6detail15normal_iteratorINS9_10device_ptrIiEEEENSB_INSC_IjEEEENSB_INSC_IfEEEEfNS9_4plusIvEENS9_8equal_toIvEEfEE10hipError_tPvRmT2_T3_T4_T5_mT6_T7_P12ihipStream_tbENKUlT_T0_E_clISt17integral_constantIbLb1EES12_IbLb0EEEEDaSY_SZ_EUlSY_E_NS1_11comp_targetILNS1_3genE10ELNS1_11target_archE1200ELNS1_3gpuE4ELNS1_3repE0EEENS1_30default_config_static_selectorELNS0_4arch9wavefront6targetE0EEEvT1_
		.amdhsa_group_segment_fixed_size 0
		.amdhsa_private_segment_fixed_size 0
		.amdhsa_kernarg_size 112
		.amdhsa_user_sgpr_count 2
		.amdhsa_user_sgpr_dispatch_ptr 0
		.amdhsa_user_sgpr_queue_ptr 0
		.amdhsa_user_sgpr_kernarg_segment_ptr 1
		.amdhsa_user_sgpr_dispatch_id 0
		.amdhsa_user_sgpr_kernarg_preload_length 0
		.amdhsa_user_sgpr_kernarg_preload_offset 0
		.amdhsa_user_sgpr_private_segment_size 0
		.amdhsa_wavefront_size32 1
		.amdhsa_uses_dynamic_stack 0
		.amdhsa_enable_private_segment 0
		.amdhsa_system_sgpr_workgroup_id_x 1
		.amdhsa_system_sgpr_workgroup_id_y 0
		.amdhsa_system_sgpr_workgroup_id_z 0
		.amdhsa_system_sgpr_workgroup_info 0
		.amdhsa_system_vgpr_workitem_id 0
		.amdhsa_next_free_vgpr 1
		.amdhsa_next_free_sgpr 1
		.amdhsa_named_barrier_count 0
		.amdhsa_reserve_vcc 0
		.amdhsa_float_round_mode_32 0
		.amdhsa_float_round_mode_16_64 0
		.amdhsa_float_denorm_mode_32 3
		.amdhsa_float_denorm_mode_16_64 3
		.amdhsa_fp16_overflow 0
		.amdhsa_memory_ordered 1
		.amdhsa_forward_progress 1
		.amdhsa_inst_pref_size 0
		.amdhsa_round_robin_scheduling 0
		.amdhsa_exception_fp_ieee_invalid_op 0
		.amdhsa_exception_fp_denorm_src 0
		.amdhsa_exception_fp_ieee_div_zero 0
		.amdhsa_exception_fp_ieee_overflow 0
		.amdhsa_exception_fp_ieee_underflow 0
		.amdhsa_exception_fp_ieee_inexact 0
		.amdhsa_exception_int_div_zero 0
	.end_amdhsa_kernel
	.section	.text._ZN7rocprim17ROCPRIM_400000_NS6detail17trampoline_kernelINS0_14default_configENS1_27scan_by_key_config_selectorIifEEZZNS1_16scan_by_key_implILNS1_25lookback_scan_determinismE0ELb1ES3_N6thrust23THRUST_200600_302600_NS6detail15normal_iteratorINS9_10device_ptrIiEEEENSB_INSC_IjEEEENSB_INSC_IfEEEEfNS9_4plusIvEENS9_8equal_toIvEEfEE10hipError_tPvRmT2_T3_T4_T5_mT6_T7_P12ihipStream_tbENKUlT_T0_E_clISt17integral_constantIbLb1EES12_IbLb0EEEEDaSY_SZ_EUlSY_E_NS1_11comp_targetILNS1_3genE10ELNS1_11target_archE1200ELNS1_3gpuE4ELNS1_3repE0EEENS1_30default_config_static_selectorELNS0_4arch9wavefront6targetE0EEEvT1_,"axG",@progbits,_ZN7rocprim17ROCPRIM_400000_NS6detail17trampoline_kernelINS0_14default_configENS1_27scan_by_key_config_selectorIifEEZZNS1_16scan_by_key_implILNS1_25lookback_scan_determinismE0ELb1ES3_N6thrust23THRUST_200600_302600_NS6detail15normal_iteratorINS9_10device_ptrIiEEEENSB_INSC_IjEEEENSB_INSC_IfEEEEfNS9_4plusIvEENS9_8equal_toIvEEfEE10hipError_tPvRmT2_T3_T4_T5_mT6_T7_P12ihipStream_tbENKUlT_T0_E_clISt17integral_constantIbLb1EES12_IbLb0EEEEDaSY_SZ_EUlSY_E_NS1_11comp_targetILNS1_3genE10ELNS1_11target_archE1200ELNS1_3gpuE4ELNS1_3repE0EEENS1_30default_config_static_selectorELNS0_4arch9wavefront6targetE0EEEvT1_,comdat
.Lfunc_end1704:
	.size	_ZN7rocprim17ROCPRIM_400000_NS6detail17trampoline_kernelINS0_14default_configENS1_27scan_by_key_config_selectorIifEEZZNS1_16scan_by_key_implILNS1_25lookback_scan_determinismE0ELb1ES3_N6thrust23THRUST_200600_302600_NS6detail15normal_iteratorINS9_10device_ptrIiEEEENSB_INSC_IjEEEENSB_INSC_IfEEEEfNS9_4plusIvEENS9_8equal_toIvEEfEE10hipError_tPvRmT2_T3_T4_T5_mT6_T7_P12ihipStream_tbENKUlT_T0_E_clISt17integral_constantIbLb1EES12_IbLb0EEEEDaSY_SZ_EUlSY_E_NS1_11comp_targetILNS1_3genE10ELNS1_11target_archE1200ELNS1_3gpuE4ELNS1_3repE0EEENS1_30default_config_static_selectorELNS0_4arch9wavefront6targetE0EEEvT1_, .Lfunc_end1704-_ZN7rocprim17ROCPRIM_400000_NS6detail17trampoline_kernelINS0_14default_configENS1_27scan_by_key_config_selectorIifEEZZNS1_16scan_by_key_implILNS1_25lookback_scan_determinismE0ELb1ES3_N6thrust23THRUST_200600_302600_NS6detail15normal_iteratorINS9_10device_ptrIiEEEENSB_INSC_IjEEEENSB_INSC_IfEEEEfNS9_4plusIvEENS9_8equal_toIvEEfEE10hipError_tPvRmT2_T3_T4_T5_mT6_T7_P12ihipStream_tbENKUlT_T0_E_clISt17integral_constantIbLb1EES12_IbLb0EEEEDaSY_SZ_EUlSY_E_NS1_11comp_targetILNS1_3genE10ELNS1_11target_archE1200ELNS1_3gpuE4ELNS1_3repE0EEENS1_30default_config_static_selectorELNS0_4arch9wavefront6targetE0EEEvT1_
                                        ; -- End function
	.set _ZN7rocprim17ROCPRIM_400000_NS6detail17trampoline_kernelINS0_14default_configENS1_27scan_by_key_config_selectorIifEEZZNS1_16scan_by_key_implILNS1_25lookback_scan_determinismE0ELb1ES3_N6thrust23THRUST_200600_302600_NS6detail15normal_iteratorINS9_10device_ptrIiEEEENSB_INSC_IjEEEENSB_INSC_IfEEEEfNS9_4plusIvEENS9_8equal_toIvEEfEE10hipError_tPvRmT2_T3_T4_T5_mT6_T7_P12ihipStream_tbENKUlT_T0_E_clISt17integral_constantIbLb1EES12_IbLb0EEEEDaSY_SZ_EUlSY_E_NS1_11comp_targetILNS1_3genE10ELNS1_11target_archE1200ELNS1_3gpuE4ELNS1_3repE0EEENS1_30default_config_static_selectorELNS0_4arch9wavefront6targetE0EEEvT1_.num_vgpr, 0
	.set _ZN7rocprim17ROCPRIM_400000_NS6detail17trampoline_kernelINS0_14default_configENS1_27scan_by_key_config_selectorIifEEZZNS1_16scan_by_key_implILNS1_25lookback_scan_determinismE0ELb1ES3_N6thrust23THRUST_200600_302600_NS6detail15normal_iteratorINS9_10device_ptrIiEEEENSB_INSC_IjEEEENSB_INSC_IfEEEEfNS9_4plusIvEENS9_8equal_toIvEEfEE10hipError_tPvRmT2_T3_T4_T5_mT6_T7_P12ihipStream_tbENKUlT_T0_E_clISt17integral_constantIbLb1EES12_IbLb0EEEEDaSY_SZ_EUlSY_E_NS1_11comp_targetILNS1_3genE10ELNS1_11target_archE1200ELNS1_3gpuE4ELNS1_3repE0EEENS1_30default_config_static_selectorELNS0_4arch9wavefront6targetE0EEEvT1_.num_agpr, 0
	.set _ZN7rocprim17ROCPRIM_400000_NS6detail17trampoline_kernelINS0_14default_configENS1_27scan_by_key_config_selectorIifEEZZNS1_16scan_by_key_implILNS1_25lookback_scan_determinismE0ELb1ES3_N6thrust23THRUST_200600_302600_NS6detail15normal_iteratorINS9_10device_ptrIiEEEENSB_INSC_IjEEEENSB_INSC_IfEEEEfNS9_4plusIvEENS9_8equal_toIvEEfEE10hipError_tPvRmT2_T3_T4_T5_mT6_T7_P12ihipStream_tbENKUlT_T0_E_clISt17integral_constantIbLb1EES12_IbLb0EEEEDaSY_SZ_EUlSY_E_NS1_11comp_targetILNS1_3genE10ELNS1_11target_archE1200ELNS1_3gpuE4ELNS1_3repE0EEENS1_30default_config_static_selectorELNS0_4arch9wavefront6targetE0EEEvT1_.numbered_sgpr, 0
	.set _ZN7rocprim17ROCPRIM_400000_NS6detail17trampoline_kernelINS0_14default_configENS1_27scan_by_key_config_selectorIifEEZZNS1_16scan_by_key_implILNS1_25lookback_scan_determinismE0ELb1ES3_N6thrust23THRUST_200600_302600_NS6detail15normal_iteratorINS9_10device_ptrIiEEEENSB_INSC_IjEEEENSB_INSC_IfEEEEfNS9_4plusIvEENS9_8equal_toIvEEfEE10hipError_tPvRmT2_T3_T4_T5_mT6_T7_P12ihipStream_tbENKUlT_T0_E_clISt17integral_constantIbLb1EES12_IbLb0EEEEDaSY_SZ_EUlSY_E_NS1_11comp_targetILNS1_3genE10ELNS1_11target_archE1200ELNS1_3gpuE4ELNS1_3repE0EEENS1_30default_config_static_selectorELNS0_4arch9wavefront6targetE0EEEvT1_.num_named_barrier, 0
	.set _ZN7rocprim17ROCPRIM_400000_NS6detail17trampoline_kernelINS0_14default_configENS1_27scan_by_key_config_selectorIifEEZZNS1_16scan_by_key_implILNS1_25lookback_scan_determinismE0ELb1ES3_N6thrust23THRUST_200600_302600_NS6detail15normal_iteratorINS9_10device_ptrIiEEEENSB_INSC_IjEEEENSB_INSC_IfEEEEfNS9_4plusIvEENS9_8equal_toIvEEfEE10hipError_tPvRmT2_T3_T4_T5_mT6_T7_P12ihipStream_tbENKUlT_T0_E_clISt17integral_constantIbLb1EES12_IbLb0EEEEDaSY_SZ_EUlSY_E_NS1_11comp_targetILNS1_3genE10ELNS1_11target_archE1200ELNS1_3gpuE4ELNS1_3repE0EEENS1_30default_config_static_selectorELNS0_4arch9wavefront6targetE0EEEvT1_.private_seg_size, 0
	.set _ZN7rocprim17ROCPRIM_400000_NS6detail17trampoline_kernelINS0_14default_configENS1_27scan_by_key_config_selectorIifEEZZNS1_16scan_by_key_implILNS1_25lookback_scan_determinismE0ELb1ES3_N6thrust23THRUST_200600_302600_NS6detail15normal_iteratorINS9_10device_ptrIiEEEENSB_INSC_IjEEEENSB_INSC_IfEEEEfNS9_4plusIvEENS9_8equal_toIvEEfEE10hipError_tPvRmT2_T3_T4_T5_mT6_T7_P12ihipStream_tbENKUlT_T0_E_clISt17integral_constantIbLb1EES12_IbLb0EEEEDaSY_SZ_EUlSY_E_NS1_11comp_targetILNS1_3genE10ELNS1_11target_archE1200ELNS1_3gpuE4ELNS1_3repE0EEENS1_30default_config_static_selectorELNS0_4arch9wavefront6targetE0EEEvT1_.uses_vcc, 0
	.set _ZN7rocprim17ROCPRIM_400000_NS6detail17trampoline_kernelINS0_14default_configENS1_27scan_by_key_config_selectorIifEEZZNS1_16scan_by_key_implILNS1_25lookback_scan_determinismE0ELb1ES3_N6thrust23THRUST_200600_302600_NS6detail15normal_iteratorINS9_10device_ptrIiEEEENSB_INSC_IjEEEENSB_INSC_IfEEEEfNS9_4plusIvEENS9_8equal_toIvEEfEE10hipError_tPvRmT2_T3_T4_T5_mT6_T7_P12ihipStream_tbENKUlT_T0_E_clISt17integral_constantIbLb1EES12_IbLb0EEEEDaSY_SZ_EUlSY_E_NS1_11comp_targetILNS1_3genE10ELNS1_11target_archE1200ELNS1_3gpuE4ELNS1_3repE0EEENS1_30default_config_static_selectorELNS0_4arch9wavefront6targetE0EEEvT1_.uses_flat_scratch, 0
	.set _ZN7rocprim17ROCPRIM_400000_NS6detail17trampoline_kernelINS0_14default_configENS1_27scan_by_key_config_selectorIifEEZZNS1_16scan_by_key_implILNS1_25lookback_scan_determinismE0ELb1ES3_N6thrust23THRUST_200600_302600_NS6detail15normal_iteratorINS9_10device_ptrIiEEEENSB_INSC_IjEEEENSB_INSC_IfEEEEfNS9_4plusIvEENS9_8equal_toIvEEfEE10hipError_tPvRmT2_T3_T4_T5_mT6_T7_P12ihipStream_tbENKUlT_T0_E_clISt17integral_constantIbLb1EES12_IbLb0EEEEDaSY_SZ_EUlSY_E_NS1_11comp_targetILNS1_3genE10ELNS1_11target_archE1200ELNS1_3gpuE4ELNS1_3repE0EEENS1_30default_config_static_selectorELNS0_4arch9wavefront6targetE0EEEvT1_.has_dyn_sized_stack, 0
	.set _ZN7rocprim17ROCPRIM_400000_NS6detail17trampoline_kernelINS0_14default_configENS1_27scan_by_key_config_selectorIifEEZZNS1_16scan_by_key_implILNS1_25lookback_scan_determinismE0ELb1ES3_N6thrust23THRUST_200600_302600_NS6detail15normal_iteratorINS9_10device_ptrIiEEEENSB_INSC_IjEEEENSB_INSC_IfEEEEfNS9_4plusIvEENS9_8equal_toIvEEfEE10hipError_tPvRmT2_T3_T4_T5_mT6_T7_P12ihipStream_tbENKUlT_T0_E_clISt17integral_constantIbLb1EES12_IbLb0EEEEDaSY_SZ_EUlSY_E_NS1_11comp_targetILNS1_3genE10ELNS1_11target_archE1200ELNS1_3gpuE4ELNS1_3repE0EEENS1_30default_config_static_selectorELNS0_4arch9wavefront6targetE0EEEvT1_.has_recursion, 0
	.set _ZN7rocprim17ROCPRIM_400000_NS6detail17trampoline_kernelINS0_14default_configENS1_27scan_by_key_config_selectorIifEEZZNS1_16scan_by_key_implILNS1_25lookback_scan_determinismE0ELb1ES3_N6thrust23THRUST_200600_302600_NS6detail15normal_iteratorINS9_10device_ptrIiEEEENSB_INSC_IjEEEENSB_INSC_IfEEEEfNS9_4plusIvEENS9_8equal_toIvEEfEE10hipError_tPvRmT2_T3_T4_T5_mT6_T7_P12ihipStream_tbENKUlT_T0_E_clISt17integral_constantIbLb1EES12_IbLb0EEEEDaSY_SZ_EUlSY_E_NS1_11comp_targetILNS1_3genE10ELNS1_11target_archE1200ELNS1_3gpuE4ELNS1_3repE0EEENS1_30default_config_static_selectorELNS0_4arch9wavefront6targetE0EEEvT1_.has_indirect_call, 0
	.section	.AMDGPU.csdata,"",@progbits
; Kernel info:
; codeLenInByte = 0
; TotalNumSgprs: 0
; NumVgprs: 0
; ScratchSize: 0
; MemoryBound: 0
; FloatMode: 240
; IeeeMode: 1
; LDSByteSize: 0 bytes/workgroup (compile time only)
; SGPRBlocks: 0
; VGPRBlocks: 0
; NumSGPRsForWavesPerEU: 1
; NumVGPRsForWavesPerEU: 1
; NamedBarCnt: 0
; Occupancy: 16
; WaveLimiterHint : 0
; COMPUTE_PGM_RSRC2:SCRATCH_EN: 0
; COMPUTE_PGM_RSRC2:USER_SGPR: 2
; COMPUTE_PGM_RSRC2:TRAP_HANDLER: 0
; COMPUTE_PGM_RSRC2:TGID_X_EN: 1
; COMPUTE_PGM_RSRC2:TGID_Y_EN: 0
; COMPUTE_PGM_RSRC2:TGID_Z_EN: 0
; COMPUTE_PGM_RSRC2:TIDIG_COMP_CNT: 0
	.section	.text._ZN7rocprim17ROCPRIM_400000_NS6detail17trampoline_kernelINS0_14default_configENS1_27scan_by_key_config_selectorIifEEZZNS1_16scan_by_key_implILNS1_25lookback_scan_determinismE0ELb1ES3_N6thrust23THRUST_200600_302600_NS6detail15normal_iteratorINS9_10device_ptrIiEEEENSB_INSC_IjEEEENSB_INSC_IfEEEEfNS9_4plusIvEENS9_8equal_toIvEEfEE10hipError_tPvRmT2_T3_T4_T5_mT6_T7_P12ihipStream_tbENKUlT_T0_E_clISt17integral_constantIbLb1EES12_IbLb0EEEEDaSY_SZ_EUlSY_E_NS1_11comp_targetILNS1_3genE9ELNS1_11target_archE1100ELNS1_3gpuE3ELNS1_3repE0EEENS1_30default_config_static_selectorELNS0_4arch9wavefront6targetE0EEEvT1_,"axG",@progbits,_ZN7rocprim17ROCPRIM_400000_NS6detail17trampoline_kernelINS0_14default_configENS1_27scan_by_key_config_selectorIifEEZZNS1_16scan_by_key_implILNS1_25lookback_scan_determinismE0ELb1ES3_N6thrust23THRUST_200600_302600_NS6detail15normal_iteratorINS9_10device_ptrIiEEEENSB_INSC_IjEEEENSB_INSC_IfEEEEfNS9_4plusIvEENS9_8equal_toIvEEfEE10hipError_tPvRmT2_T3_T4_T5_mT6_T7_P12ihipStream_tbENKUlT_T0_E_clISt17integral_constantIbLb1EES12_IbLb0EEEEDaSY_SZ_EUlSY_E_NS1_11comp_targetILNS1_3genE9ELNS1_11target_archE1100ELNS1_3gpuE3ELNS1_3repE0EEENS1_30default_config_static_selectorELNS0_4arch9wavefront6targetE0EEEvT1_,comdat
	.protected	_ZN7rocprim17ROCPRIM_400000_NS6detail17trampoline_kernelINS0_14default_configENS1_27scan_by_key_config_selectorIifEEZZNS1_16scan_by_key_implILNS1_25lookback_scan_determinismE0ELb1ES3_N6thrust23THRUST_200600_302600_NS6detail15normal_iteratorINS9_10device_ptrIiEEEENSB_INSC_IjEEEENSB_INSC_IfEEEEfNS9_4plusIvEENS9_8equal_toIvEEfEE10hipError_tPvRmT2_T3_T4_T5_mT6_T7_P12ihipStream_tbENKUlT_T0_E_clISt17integral_constantIbLb1EES12_IbLb0EEEEDaSY_SZ_EUlSY_E_NS1_11comp_targetILNS1_3genE9ELNS1_11target_archE1100ELNS1_3gpuE3ELNS1_3repE0EEENS1_30default_config_static_selectorELNS0_4arch9wavefront6targetE0EEEvT1_ ; -- Begin function _ZN7rocprim17ROCPRIM_400000_NS6detail17trampoline_kernelINS0_14default_configENS1_27scan_by_key_config_selectorIifEEZZNS1_16scan_by_key_implILNS1_25lookback_scan_determinismE0ELb1ES3_N6thrust23THRUST_200600_302600_NS6detail15normal_iteratorINS9_10device_ptrIiEEEENSB_INSC_IjEEEENSB_INSC_IfEEEEfNS9_4plusIvEENS9_8equal_toIvEEfEE10hipError_tPvRmT2_T3_T4_T5_mT6_T7_P12ihipStream_tbENKUlT_T0_E_clISt17integral_constantIbLb1EES12_IbLb0EEEEDaSY_SZ_EUlSY_E_NS1_11comp_targetILNS1_3genE9ELNS1_11target_archE1100ELNS1_3gpuE3ELNS1_3repE0EEENS1_30default_config_static_selectorELNS0_4arch9wavefront6targetE0EEEvT1_
	.globl	_ZN7rocprim17ROCPRIM_400000_NS6detail17trampoline_kernelINS0_14default_configENS1_27scan_by_key_config_selectorIifEEZZNS1_16scan_by_key_implILNS1_25lookback_scan_determinismE0ELb1ES3_N6thrust23THRUST_200600_302600_NS6detail15normal_iteratorINS9_10device_ptrIiEEEENSB_INSC_IjEEEENSB_INSC_IfEEEEfNS9_4plusIvEENS9_8equal_toIvEEfEE10hipError_tPvRmT2_T3_T4_T5_mT6_T7_P12ihipStream_tbENKUlT_T0_E_clISt17integral_constantIbLb1EES12_IbLb0EEEEDaSY_SZ_EUlSY_E_NS1_11comp_targetILNS1_3genE9ELNS1_11target_archE1100ELNS1_3gpuE3ELNS1_3repE0EEENS1_30default_config_static_selectorELNS0_4arch9wavefront6targetE0EEEvT1_
	.p2align	8
	.type	_ZN7rocprim17ROCPRIM_400000_NS6detail17trampoline_kernelINS0_14default_configENS1_27scan_by_key_config_selectorIifEEZZNS1_16scan_by_key_implILNS1_25lookback_scan_determinismE0ELb1ES3_N6thrust23THRUST_200600_302600_NS6detail15normal_iteratorINS9_10device_ptrIiEEEENSB_INSC_IjEEEENSB_INSC_IfEEEEfNS9_4plusIvEENS9_8equal_toIvEEfEE10hipError_tPvRmT2_T3_T4_T5_mT6_T7_P12ihipStream_tbENKUlT_T0_E_clISt17integral_constantIbLb1EES12_IbLb0EEEEDaSY_SZ_EUlSY_E_NS1_11comp_targetILNS1_3genE9ELNS1_11target_archE1100ELNS1_3gpuE3ELNS1_3repE0EEENS1_30default_config_static_selectorELNS0_4arch9wavefront6targetE0EEEvT1_,@function
_ZN7rocprim17ROCPRIM_400000_NS6detail17trampoline_kernelINS0_14default_configENS1_27scan_by_key_config_selectorIifEEZZNS1_16scan_by_key_implILNS1_25lookback_scan_determinismE0ELb1ES3_N6thrust23THRUST_200600_302600_NS6detail15normal_iteratorINS9_10device_ptrIiEEEENSB_INSC_IjEEEENSB_INSC_IfEEEEfNS9_4plusIvEENS9_8equal_toIvEEfEE10hipError_tPvRmT2_T3_T4_T5_mT6_T7_P12ihipStream_tbENKUlT_T0_E_clISt17integral_constantIbLb1EES12_IbLb0EEEEDaSY_SZ_EUlSY_E_NS1_11comp_targetILNS1_3genE9ELNS1_11target_archE1100ELNS1_3gpuE3ELNS1_3repE0EEENS1_30default_config_static_selectorELNS0_4arch9wavefront6targetE0EEEvT1_: ; @_ZN7rocprim17ROCPRIM_400000_NS6detail17trampoline_kernelINS0_14default_configENS1_27scan_by_key_config_selectorIifEEZZNS1_16scan_by_key_implILNS1_25lookback_scan_determinismE0ELb1ES3_N6thrust23THRUST_200600_302600_NS6detail15normal_iteratorINS9_10device_ptrIiEEEENSB_INSC_IjEEEENSB_INSC_IfEEEEfNS9_4plusIvEENS9_8equal_toIvEEfEE10hipError_tPvRmT2_T3_T4_T5_mT6_T7_P12ihipStream_tbENKUlT_T0_E_clISt17integral_constantIbLb1EES12_IbLb0EEEEDaSY_SZ_EUlSY_E_NS1_11comp_targetILNS1_3genE9ELNS1_11target_archE1100ELNS1_3gpuE3ELNS1_3repE0EEENS1_30default_config_static_selectorELNS0_4arch9wavefront6targetE0EEEvT1_
; %bb.0:
	.section	.rodata,"a",@progbits
	.p2align	6, 0x0
	.amdhsa_kernel _ZN7rocprim17ROCPRIM_400000_NS6detail17trampoline_kernelINS0_14default_configENS1_27scan_by_key_config_selectorIifEEZZNS1_16scan_by_key_implILNS1_25lookback_scan_determinismE0ELb1ES3_N6thrust23THRUST_200600_302600_NS6detail15normal_iteratorINS9_10device_ptrIiEEEENSB_INSC_IjEEEENSB_INSC_IfEEEEfNS9_4plusIvEENS9_8equal_toIvEEfEE10hipError_tPvRmT2_T3_T4_T5_mT6_T7_P12ihipStream_tbENKUlT_T0_E_clISt17integral_constantIbLb1EES12_IbLb0EEEEDaSY_SZ_EUlSY_E_NS1_11comp_targetILNS1_3genE9ELNS1_11target_archE1100ELNS1_3gpuE3ELNS1_3repE0EEENS1_30default_config_static_selectorELNS0_4arch9wavefront6targetE0EEEvT1_
		.amdhsa_group_segment_fixed_size 0
		.amdhsa_private_segment_fixed_size 0
		.amdhsa_kernarg_size 112
		.amdhsa_user_sgpr_count 2
		.amdhsa_user_sgpr_dispatch_ptr 0
		.amdhsa_user_sgpr_queue_ptr 0
		.amdhsa_user_sgpr_kernarg_segment_ptr 1
		.amdhsa_user_sgpr_dispatch_id 0
		.amdhsa_user_sgpr_kernarg_preload_length 0
		.amdhsa_user_sgpr_kernarg_preload_offset 0
		.amdhsa_user_sgpr_private_segment_size 0
		.amdhsa_wavefront_size32 1
		.amdhsa_uses_dynamic_stack 0
		.amdhsa_enable_private_segment 0
		.amdhsa_system_sgpr_workgroup_id_x 1
		.amdhsa_system_sgpr_workgroup_id_y 0
		.amdhsa_system_sgpr_workgroup_id_z 0
		.amdhsa_system_sgpr_workgroup_info 0
		.amdhsa_system_vgpr_workitem_id 0
		.amdhsa_next_free_vgpr 1
		.amdhsa_next_free_sgpr 1
		.amdhsa_named_barrier_count 0
		.amdhsa_reserve_vcc 0
		.amdhsa_float_round_mode_32 0
		.amdhsa_float_round_mode_16_64 0
		.amdhsa_float_denorm_mode_32 3
		.amdhsa_float_denorm_mode_16_64 3
		.amdhsa_fp16_overflow 0
		.amdhsa_memory_ordered 1
		.amdhsa_forward_progress 1
		.amdhsa_inst_pref_size 0
		.amdhsa_round_robin_scheduling 0
		.amdhsa_exception_fp_ieee_invalid_op 0
		.amdhsa_exception_fp_denorm_src 0
		.amdhsa_exception_fp_ieee_div_zero 0
		.amdhsa_exception_fp_ieee_overflow 0
		.amdhsa_exception_fp_ieee_underflow 0
		.amdhsa_exception_fp_ieee_inexact 0
		.amdhsa_exception_int_div_zero 0
	.end_amdhsa_kernel
	.section	.text._ZN7rocprim17ROCPRIM_400000_NS6detail17trampoline_kernelINS0_14default_configENS1_27scan_by_key_config_selectorIifEEZZNS1_16scan_by_key_implILNS1_25lookback_scan_determinismE0ELb1ES3_N6thrust23THRUST_200600_302600_NS6detail15normal_iteratorINS9_10device_ptrIiEEEENSB_INSC_IjEEEENSB_INSC_IfEEEEfNS9_4plusIvEENS9_8equal_toIvEEfEE10hipError_tPvRmT2_T3_T4_T5_mT6_T7_P12ihipStream_tbENKUlT_T0_E_clISt17integral_constantIbLb1EES12_IbLb0EEEEDaSY_SZ_EUlSY_E_NS1_11comp_targetILNS1_3genE9ELNS1_11target_archE1100ELNS1_3gpuE3ELNS1_3repE0EEENS1_30default_config_static_selectorELNS0_4arch9wavefront6targetE0EEEvT1_,"axG",@progbits,_ZN7rocprim17ROCPRIM_400000_NS6detail17trampoline_kernelINS0_14default_configENS1_27scan_by_key_config_selectorIifEEZZNS1_16scan_by_key_implILNS1_25lookback_scan_determinismE0ELb1ES3_N6thrust23THRUST_200600_302600_NS6detail15normal_iteratorINS9_10device_ptrIiEEEENSB_INSC_IjEEEENSB_INSC_IfEEEEfNS9_4plusIvEENS9_8equal_toIvEEfEE10hipError_tPvRmT2_T3_T4_T5_mT6_T7_P12ihipStream_tbENKUlT_T0_E_clISt17integral_constantIbLb1EES12_IbLb0EEEEDaSY_SZ_EUlSY_E_NS1_11comp_targetILNS1_3genE9ELNS1_11target_archE1100ELNS1_3gpuE3ELNS1_3repE0EEENS1_30default_config_static_selectorELNS0_4arch9wavefront6targetE0EEEvT1_,comdat
.Lfunc_end1705:
	.size	_ZN7rocprim17ROCPRIM_400000_NS6detail17trampoline_kernelINS0_14default_configENS1_27scan_by_key_config_selectorIifEEZZNS1_16scan_by_key_implILNS1_25lookback_scan_determinismE0ELb1ES3_N6thrust23THRUST_200600_302600_NS6detail15normal_iteratorINS9_10device_ptrIiEEEENSB_INSC_IjEEEENSB_INSC_IfEEEEfNS9_4plusIvEENS9_8equal_toIvEEfEE10hipError_tPvRmT2_T3_T4_T5_mT6_T7_P12ihipStream_tbENKUlT_T0_E_clISt17integral_constantIbLb1EES12_IbLb0EEEEDaSY_SZ_EUlSY_E_NS1_11comp_targetILNS1_3genE9ELNS1_11target_archE1100ELNS1_3gpuE3ELNS1_3repE0EEENS1_30default_config_static_selectorELNS0_4arch9wavefront6targetE0EEEvT1_, .Lfunc_end1705-_ZN7rocprim17ROCPRIM_400000_NS6detail17trampoline_kernelINS0_14default_configENS1_27scan_by_key_config_selectorIifEEZZNS1_16scan_by_key_implILNS1_25lookback_scan_determinismE0ELb1ES3_N6thrust23THRUST_200600_302600_NS6detail15normal_iteratorINS9_10device_ptrIiEEEENSB_INSC_IjEEEENSB_INSC_IfEEEEfNS9_4plusIvEENS9_8equal_toIvEEfEE10hipError_tPvRmT2_T3_T4_T5_mT6_T7_P12ihipStream_tbENKUlT_T0_E_clISt17integral_constantIbLb1EES12_IbLb0EEEEDaSY_SZ_EUlSY_E_NS1_11comp_targetILNS1_3genE9ELNS1_11target_archE1100ELNS1_3gpuE3ELNS1_3repE0EEENS1_30default_config_static_selectorELNS0_4arch9wavefront6targetE0EEEvT1_
                                        ; -- End function
	.set _ZN7rocprim17ROCPRIM_400000_NS6detail17trampoline_kernelINS0_14default_configENS1_27scan_by_key_config_selectorIifEEZZNS1_16scan_by_key_implILNS1_25lookback_scan_determinismE0ELb1ES3_N6thrust23THRUST_200600_302600_NS6detail15normal_iteratorINS9_10device_ptrIiEEEENSB_INSC_IjEEEENSB_INSC_IfEEEEfNS9_4plusIvEENS9_8equal_toIvEEfEE10hipError_tPvRmT2_T3_T4_T5_mT6_T7_P12ihipStream_tbENKUlT_T0_E_clISt17integral_constantIbLb1EES12_IbLb0EEEEDaSY_SZ_EUlSY_E_NS1_11comp_targetILNS1_3genE9ELNS1_11target_archE1100ELNS1_3gpuE3ELNS1_3repE0EEENS1_30default_config_static_selectorELNS0_4arch9wavefront6targetE0EEEvT1_.num_vgpr, 0
	.set _ZN7rocprim17ROCPRIM_400000_NS6detail17trampoline_kernelINS0_14default_configENS1_27scan_by_key_config_selectorIifEEZZNS1_16scan_by_key_implILNS1_25lookback_scan_determinismE0ELb1ES3_N6thrust23THRUST_200600_302600_NS6detail15normal_iteratorINS9_10device_ptrIiEEEENSB_INSC_IjEEEENSB_INSC_IfEEEEfNS9_4plusIvEENS9_8equal_toIvEEfEE10hipError_tPvRmT2_T3_T4_T5_mT6_T7_P12ihipStream_tbENKUlT_T0_E_clISt17integral_constantIbLb1EES12_IbLb0EEEEDaSY_SZ_EUlSY_E_NS1_11comp_targetILNS1_3genE9ELNS1_11target_archE1100ELNS1_3gpuE3ELNS1_3repE0EEENS1_30default_config_static_selectorELNS0_4arch9wavefront6targetE0EEEvT1_.num_agpr, 0
	.set _ZN7rocprim17ROCPRIM_400000_NS6detail17trampoline_kernelINS0_14default_configENS1_27scan_by_key_config_selectorIifEEZZNS1_16scan_by_key_implILNS1_25lookback_scan_determinismE0ELb1ES3_N6thrust23THRUST_200600_302600_NS6detail15normal_iteratorINS9_10device_ptrIiEEEENSB_INSC_IjEEEENSB_INSC_IfEEEEfNS9_4plusIvEENS9_8equal_toIvEEfEE10hipError_tPvRmT2_T3_T4_T5_mT6_T7_P12ihipStream_tbENKUlT_T0_E_clISt17integral_constantIbLb1EES12_IbLb0EEEEDaSY_SZ_EUlSY_E_NS1_11comp_targetILNS1_3genE9ELNS1_11target_archE1100ELNS1_3gpuE3ELNS1_3repE0EEENS1_30default_config_static_selectorELNS0_4arch9wavefront6targetE0EEEvT1_.numbered_sgpr, 0
	.set _ZN7rocprim17ROCPRIM_400000_NS6detail17trampoline_kernelINS0_14default_configENS1_27scan_by_key_config_selectorIifEEZZNS1_16scan_by_key_implILNS1_25lookback_scan_determinismE0ELb1ES3_N6thrust23THRUST_200600_302600_NS6detail15normal_iteratorINS9_10device_ptrIiEEEENSB_INSC_IjEEEENSB_INSC_IfEEEEfNS9_4plusIvEENS9_8equal_toIvEEfEE10hipError_tPvRmT2_T3_T4_T5_mT6_T7_P12ihipStream_tbENKUlT_T0_E_clISt17integral_constantIbLb1EES12_IbLb0EEEEDaSY_SZ_EUlSY_E_NS1_11comp_targetILNS1_3genE9ELNS1_11target_archE1100ELNS1_3gpuE3ELNS1_3repE0EEENS1_30default_config_static_selectorELNS0_4arch9wavefront6targetE0EEEvT1_.num_named_barrier, 0
	.set _ZN7rocprim17ROCPRIM_400000_NS6detail17trampoline_kernelINS0_14default_configENS1_27scan_by_key_config_selectorIifEEZZNS1_16scan_by_key_implILNS1_25lookback_scan_determinismE0ELb1ES3_N6thrust23THRUST_200600_302600_NS6detail15normal_iteratorINS9_10device_ptrIiEEEENSB_INSC_IjEEEENSB_INSC_IfEEEEfNS9_4plusIvEENS9_8equal_toIvEEfEE10hipError_tPvRmT2_T3_T4_T5_mT6_T7_P12ihipStream_tbENKUlT_T0_E_clISt17integral_constantIbLb1EES12_IbLb0EEEEDaSY_SZ_EUlSY_E_NS1_11comp_targetILNS1_3genE9ELNS1_11target_archE1100ELNS1_3gpuE3ELNS1_3repE0EEENS1_30default_config_static_selectorELNS0_4arch9wavefront6targetE0EEEvT1_.private_seg_size, 0
	.set _ZN7rocprim17ROCPRIM_400000_NS6detail17trampoline_kernelINS0_14default_configENS1_27scan_by_key_config_selectorIifEEZZNS1_16scan_by_key_implILNS1_25lookback_scan_determinismE0ELb1ES3_N6thrust23THRUST_200600_302600_NS6detail15normal_iteratorINS9_10device_ptrIiEEEENSB_INSC_IjEEEENSB_INSC_IfEEEEfNS9_4plusIvEENS9_8equal_toIvEEfEE10hipError_tPvRmT2_T3_T4_T5_mT6_T7_P12ihipStream_tbENKUlT_T0_E_clISt17integral_constantIbLb1EES12_IbLb0EEEEDaSY_SZ_EUlSY_E_NS1_11comp_targetILNS1_3genE9ELNS1_11target_archE1100ELNS1_3gpuE3ELNS1_3repE0EEENS1_30default_config_static_selectorELNS0_4arch9wavefront6targetE0EEEvT1_.uses_vcc, 0
	.set _ZN7rocprim17ROCPRIM_400000_NS6detail17trampoline_kernelINS0_14default_configENS1_27scan_by_key_config_selectorIifEEZZNS1_16scan_by_key_implILNS1_25lookback_scan_determinismE0ELb1ES3_N6thrust23THRUST_200600_302600_NS6detail15normal_iteratorINS9_10device_ptrIiEEEENSB_INSC_IjEEEENSB_INSC_IfEEEEfNS9_4plusIvEENS9_8equal_toIvEEfEE10hipError_tPvRmT2_T3_T4_T5_mT6_T7_P12ihipStream_tbENKUlT_T0_E_clISt17integral_constantIbLb1EES12_IbLb0EEEEDaSY_SZ_EUlSY_E_NS1_11comp_targetILNS1_3genE9ELNS1_11target_archE1100ELNS1_3gpuE3ELNS1_3repE0EEENS1_30default_config_static_selectorELNS0_4arch9wavefront6targetE0EEEvT1_.uses_flat_scratch, 0
	.set _ZN7rocprim17ROCPRIM_400000_NS6detail17trampoline_kernelINS0_14default_configENS1_27scan_by_key_config_selectorIifEEZZNS1_16scan_by_key_implILNS1_25lookback_scan_determinismE0ELb1ES3_N6thrust23THRUST_200600_302600_NS6detail15normal_iteratorINS9_10device_ptrIiEEEENSB_INSC_IjEEEENSB_INSC_IfEEEEfNS9_4plusIvEENS9_8equal_toIvEEfEE10hipError_tPvRmT2_T3_T4_T5_mT6_T7_P12ihipStream_tbENKUlT_T0_E_clISt17integral_constantIbLb1EES12_IbLb0EEEEDaSY_SZ_EUlSY_E_NS1_11comp_targetILNS1_3genE9ELNS1_11target_archE1100ELNS1_3gpuE3ELNS1_3repE0EEENS1_30default_config_static_selectorELNS0_4arch9wavefront6targetE0EEEvT1_.has_dyn_sized_stack, 0
	.set _ZN7rocprim17ROCPRIM_400000_NS6detail17trampoline_kernelINS0_14default_configENS1_27scan_by_key_config_selectorIifEEZZNS1_16scan_by_key_implILNS1_25lookback_scan_determinismE0ELb1ES3_N6thrust23THRUST_200600_302600_NS6detail15normal_iteratorINS9_10device_ptrIiEEEENSB_INSC_IjEEEENSB_INSC_IfEEEEfNS9_4plusIvEENS9_8equal_toIvEEfEE10hipError_tPvRmT2_T3_T4_T5_mT6_T7_P12ihipStream_tbENKUlT_T0_E_clISt17integral_constantIbLb1EES12_IbLb0EEEEDaSY_SZ_EUlSY_E_NS1_11comp_targetILNS1_3genE9ELNS1_11target_archE1100ELNS1_3gpuE3ELNS1_3repE0EEENS1_30default_config_static_selectorELNS0_4arch9wavefront6targetE0EEEvT1_.has_recursion, 0
	.set _ZN7rocprim17ROCPRIM_400000_NS6detail17trampoline_kernelINS0_14default_configENS1_27scan_by_key_config_selectorIifEEZZNS1_16scan_by_key_implILNS1_25lookback_scan_determinismE0ELb1ES3_N6thrust23THRUST_200600_302600_NS6detail15normal_iteratorINS9_10device_ptrIiEEEENSB_INSC_IjEEEENSB_INSC_IfEEEEfNS9_4plusIvEENS9_8equal_toIvEEfEE10hipError_tPvRmT2_T3_T4_T5_mT6_T7_P12ihipStream_tbENKUlT_T0_E_clISt17integral_constantIbLb1EES12_IbLb0EEEEDaSY_SZ_EUlSY_E_NS1_11comp_targetILNS1_3genE9ELNS1_11target_archE1100ELNS1_3gpuE3ELNS1_3repE0EEENS1_30default_config_static_selectorELNS0_4arch9wavefront6targetE0EEEvT1_.has_indirect_call, 0
	.section	.AMDGPU.csdata,"",@progbits
; Kernel info:
; codeLenInByte = 0
; TotalNumSgprs: 0
; NumVgprs: 0
; ScratchSize: 0
; MemoryBound: 0
; FloatMode: 240
; IeeeMode: 1
; LDSByteSize: 0 bytes/workgroup (compile time only)
; SGPRBlocks: 0
; VGPRBlocks: 0
; NumSGPRsForWavesPerEU: 1
; NumVGPRsForWavesPerEU: 1
; NamedBarCnt: 0
; Occupancy: 16
; WaveLimiterHint : 0
; COMPUTE_PGM_RSRC2:SCRATCH_EN: 0
; COMPUTE_PGM_RSRC2:USER_SGPR: 2
; COMPUTE_PGM_RSRC2:TRAP_HANDLER: 0
; COMPUTE_PGM_RSRC2:TGID_X_EN: 1
; COMPUTE_PGM_RSRC2:TGID_Y_EN: 0
; COMPUTE_PGM_RSRC2:TGID_Z_EN: 0
; COMPUTE_PGM_RSRC2:TIDIG_COMP_CNT: 0
	.section	.text._ZN7rocprim17ROCPRIM_400000_NS6detail17trampoline_kernelINS0_14default_configENS1_27scan_by_key_config_selectorIifEEZZNS1_16scan_by_key_implILNS1_25lookback_scan_determinismE0ELb1ES3_N6thrust23THRUST_200600_302600_NS6detail15normal_iteratorINS9_10device_ptrIiEEEENSB_INSC_IjEEEENSB_INSC_IfEEEEfNS9_4plusIvEENS9_8equal_toIvEEfEE10hipError_tPvRmT2_T3_T4_T5_mT6_T7_P12ihipStream_tbENKUlT_T0_E_clISt17integral_constantIbLb1EES12_IbLb0EEEEDaSY_SZ_EUlSY_E_NS1_11comp_targetILNS1_3genE8ELNS1_11target_archE1030ELNS1_3gpuE2ELNS1_3repE0EEENS1_30default_config_static_selectorELNS0_4arch9wavefront6targetE0EEEvT1_,"axG",@progbits,_ZN7rocprim17ROCPRIM_400000_NS6detail17trampoline_kernelINS0_14default_configENS1_27scan_by_key_config_selectorIifEEZZNS1_16scan_by_key_implILNS1_25lookback_scan_determinismE0ELb1ES3_N6thrust23THRUST_200600_302600_NS6detail15normal_iteratorINS9_10device_ptrIiEEEENSB_INSC_IjEEEENSB_INSC_IfEEEEfNS9_4plusIvEENS9_8equal_toIvEEfEE10hipError_tPvRmT2_T3_T4_T5_mT6_T7_P12ihipStream_tbENKUlT_T0_E_clISt17integral_constantIbLb1EES12_IbLb0EEEEDaSY_SZ_EUlSY_E_NS1_11comp_targetILNS1_3genE8ELNS1_11target_archE1030ELNS1_3gpuE2ELNS1_3repE0EEENS1_30default_config_static_selectorELNS0_4arch9wavefront6targetE0EEEvT1_,comdat
	.protected	_ZN7rocprim17ROCPRIM_400000_NS6detail17trampoline_kernelINS0_14default_configENS1_27scan_by_key_config_selectorIifEEZZNS1_16scan_by_key_implILNS1_25lookback_scan_determinismE0ELb1ES3_N6thrust23THRUST_200600_302600_NS6detail15normal_iteratorINS9_10device_ptrIiEEEENSB_INSC_IjEEEENSB_INSC_IfEEEEfNS9_4plusIvEENS9_8equal_toIvEEfEE10hipError_tPvRmT2_T3_T4_T5_mT6_T7_P12ihipStream_tbENKUlT_T0_E_clISt17integral_constantIbLb1EES12_IbLb0EEEEDaSY_SZ_EUlSY_E_NS1_11comp_targetILNS1_3genE8ELNS1_11target_archE1030ELNS1_3gpuE2ELNS1_3repE0EEENS1_30default_config_static_selectorELNS0_4arch9wavefront6targetE0EEEvT1_ ; -- Begin function _ZN7rocprim17ROCPRIM_400000_NS6detail17trampoline_kernelINS0_14default_configENS1_27scan_by_key_config_selectorIifEEZZNS1_16scan_by_key_implILNS1_25lookback_scan_determinismE0ELb1ES3_N6thrust23THRUST_200600_302600_NS6detail15normal_iteratorINS9_10device_ptrIiEEEENSB_INSC_IjEEEENSB_INSC_IfEEEEfNS9_4plusIvEENS9_8equal_toIvEEfEE10hipError_tPvRmT2_T3_T4_T5_mT6_T7_P12ihipStream_tbENKUlT_T0_E_clISt17integral_constantIbLb1EES12_IbLb0EEEEDaSY_SZ_EUlSY_E_NS1_11comp_targetILNS1_3genE8ELNS1_11target_archE1030ELNS1_3gpuE2ELNS1_3repE0EEENS1_30default_config_static_selectorELNS0_4arch9wavefront6targetE0EEEvT1_
	.globl	_ZN7rocprim17ROCPRIM_400000_NS6detail17trampoline_kernelINS0_14default_configENS1_27scan_by_key_config_selectorIifEEZZNS1_16scan_by_key_implILNS1_25lookback_scan_determinismE0ELb1ES3_N6thrust23THRUST_200600_302600_NS6detail15normal_iteratorINS9_10device_ptrIiEEEENSB_INSC_IjEEEENSB_INSC_IfEEEEfNS9_4plusIvEENS9_8equal_toIvEEfEE10hipError_tPvRmT2_T3_T4_T5_mT6_T7_P12ihipStream_tbENKUlT_T0_E_clISt17integral_constantIbLb1EES12_IbLb0EEEEDaSY_SZ_EUlSY_E_NS1_11comp_targetILNS1_3genE8ELNS1_11target_archE1030ELNS1_3gpuE2ELNS1_3repE0EEENS1_30default_config_static_selectorELNS0_4arch9wavefront6targetE0EEEvT1_
	.p2align	8
	.type	_ZN7rocprim17ROCPRIM_400000_NS6detail17trampoline_kernelINS0_14default_configENS1_27scan_by_key_config_selectorIifEEZZNS1_16scan_by_key_implILNS1_25lookback_scan_determinismE0ELb1ES3_N6thrust23THRUST_200600_302600_NS6detail15normal_iteratorINS9_10device_ptrIiEEEENSB_INSC_IjEEEENSB_INSC_IfEEEEfNS9_4plusIvEENS9_8equal_toIvEEfEE10hipError_tPvRmT2_T3_T4_T5_mT6_T7_P12ihipStream_tbENKUlT_T0_E_clISt17integral_constantIbLb1EES12_IbLb0EEEEDaSY_SZ_EUlSY_E_NS1_11comp_targetILNS1_3genE8ELNS1_11target_archE1030ELNS1_3gpuE2ELNS1_3repE0EEENS1_30default_config_static_selectorELNS0_4arch9wavefront6targetE0EEEvT1_,@function
_ZN7rocprim17ROCPRIM_400000_NS6detail17trampoline_kernelINS0_14default_configENS1_27scan_by_key_config_selectorIifEEZZNS1_16scan_by_key_implILNS1_25lookback_scan_determinismE0ELb1ES3_N6thrust23THRUST_200600_302600_NS6detail15normal_iteratorINS9_10device_ptrIiEEEENSB_INSC_IjEEEENSB_INSC_IfEEEEfNS9_4plusIvEENS9_8equal_toIvEEfEE10hipError_tPvRmT2_T3_T4_T5_mT6_T7_P12ihipStream_tbENKUlT_T0_E_clISt17integral_constantIbLb1EES12_IbLb0EEEEDaSY_SZ_EUlSY_E_NS1_11comp_targetILNS1_3genE8ELNS1_11target_archE1030ELNS1_3gpuE2ELNS1_3repE0EEENS1_30default_config_static_selectorELNS0_4arch9wavefront6targetE0EEEvT1_: ; @_ZN7rocprim17ROCPRIM_400000_NS6detail17trampoline_kernelINS0_14default_configENS1_27scan_by_key_config_selectorIifEEZZNS1_16scan_by_key_implILNS1_25lookback_scan_determinismE0ELb1ES3_N6thrust23THRUST_200600_302600_NS6detail15normal_iteratorINS9_10device_ptrIiEEEENSB_INSC_IjEEEENSB_INSC_IfEEEEfNS9_4plusIvEENS9_8equal_toIvEEfEE10hipError_tPvRmT2_T3_T4_T5_mT6_T7_P12ihipStream_tbENKUlT_T0_E_clISt17integral_constantIbLb1EES12_IbLb0EEEEDaSY_SZ_EUlSY_E_NS1_11comp_targetILNS1_3genE8ELNS1_11target_archE1030ELNS1_3gpuE2ELNS1_3repE0EEENS1_30default_config_static_selectorELNS0_4arch9wavefront6targetE0EEEvT1_
; %bb.0:
	.section	.rodata,"a",@progbits
	.p2align	6, 0x0
	.amdhsa_kernel _ZN7rocprim17ROCPRIM_400000_NS6detail17trampoline_kernelINS0_14default_configENS1_27scan_by_key_config_selectorIifEEZZNS1_16scan_by_key_implILNS1_25lookback_scan_determinismE0ELb1ES3_N6thrust23THRUST_200600_302600_NS6detail15normal_iteratorINS9_10device_ptrIiEEEENSB_INSC_IjEEEENSB_INSC_IfEEEEfNS9_4plusIvEENS9_8equal_toIvEEfEE10hipError_tPvRmT2_T3_T4_T5_mT6_T7_P12ihipStream_tbENKUlT_T0_E_clISt17integral_constantIbLb1EES12_IbLb0EEEEDaSY_SZ_EUlSY_E_NS1_11comp_targetILNS1_3genE8ELNS1_11target_archE1030ELNS1_3gpuE2ELNS1_3repE0EEENS1_30default_config_static_selectorELNS0_4arch9wavefront6targetE0EEEvT1_
		.amdhsa_group_segment_fixed_size 0
		.amdhsa_private_segment_fixed_size 0
		.amdhsa_kernarg_size 112
		.amdhsa_user_sgpr_count 2
		.amdhsa_user_sgpr_dispatch_ptr 0
		.amdhsa_user_sgpr_queue_ptr 0
		.amdhsa_user_sgpr_kernarg_segment_ptr 1
		.amdhsa_user_sgpr_dispatch_id 0
		.amdhsa_user_sgpr_kernarg_preload_length 0
		.amdhsa_user_sgpr_kernarg_preload_offset 0
		.amdhsa_user_sgpr_private_segment_size 0
		.amdhsa_wavefront_size32 1
		.amdhsa_uses_dynamic_stack 0
		.amdhsa_enable_private_segment 0
		.amdhsa_system_sgpr_workgroup_id_x 1
		.amdhsa_system_sgpr_workgroup_id_y 0
		.amdhsa_system_sgpr_workgroup_id_z 0
		.amdhsa_system_sgpr_workgroup_info 0
		.amdhsa_system_vgpr_workitem_id 0
		.amdhsa_next_free_vgpr 1
		.amdhsa_next_free_sgpr 1
		.amdhsa_named_barrier_count 0
		.amdhsa_reserve_vcc 0
		.amdhsa_float_round_mode_32 0
		.amdhsa_float_round_mode_16_64 0
		.amdhsa_float_denorm_mode_32 3
		.amdhsa_float_denorm_mode_16_64 3
		.amdhsa_fp16_overflow 0
		.amdhsa_memory_ordered 1
		.amdhsa_forward_progress 1
		.amdhsa_inst_pref_size 0
		.amdhsa_round_robin_scheduling 0
		.amdhsa_exception_fp_ieee_invalid_op 0
		.amdhsa_exception_fp_denorm_src 0
		.amdhsa_exception_fp_ieee_div_zero 0
		.amdhsa_exception_fp_ieee_overflow 0
		.amdhsa_exception_fp_ieee_underflow 0
		.amdhsa_exception_fp_ieee_inexact 0
		.amdhsa_exception_int_div_zero 0
	.end_amdhsa_kernel
	.section	.text._ZN7rocprim17ROCPRIM_400000_NS6detail17trampoline_kernelINS0_14default_configENS1_27scan_by_key_config_selectorIifEEZZNS1_16scan_by_key_implILNS1_25lookback_scan_determinismE0ELb1ES3_N6thrust23THRUST_200600_302600_NS6detail15normal_iteratorINS9_10device_ptrIiEEEENSB_INSC_IjEEEENSB_INSC_IfEEEEfNS9_4plusIvEENS9_8equal_toIvEEfEE10hipError_tPvRmT2_T3_T4_T5_mT6_T7_P12ihipStream_tbENKUlT_T0_E_clISt17integral_constantIbLb1EES12_IbLb0EEEEDaSY_SZ_EUlSY_E_NS1_11comp_targetILNS1_3genE8ELNS1_11target_archE1030ELNS1_3gpuE2ELNS1_3repE0EEENS1_30default_config_static_selectorELNS0_4arch9wavefront6targetE0EEEvT1_,"axG",@progbits,_ZN7rocprim17ROCPRIM_400000_NS6detail17trampoline_kernelINS0_14default_configENS1_27scan_by_key_config_selectorIifEEZZNS1_16scan_by_key_implILNS1_25lookback_scan_determinismE0ELb1ES3_N6thrust23THRUST_200600_302600_NS6detail15normal_iteratorINS9_10device_ptrIiEEEENSB_INSC_IjEEEENSB_INSC_IfEEEEfNS9_4plusIvEENS9_8equal_toIvEEfEE10hipError_tPvRmT2_T3_T4_T5_mT6_T7_P12ihipStream_tbENKUlT_T0_E_clISt17integral_constantIbLb1EES12_IbLb0EEEEDaSY_SZ_EUlSY_E_NS1_11comp_targetILNS1_3genE8ELNS1_11target_archE1030ELNS1_3gpuE2ELNS1_3repE0EEENS1_30default_config_static_selectorELNS0_4arch9wavefront6targetE0EEEvT1_,comdat
.Lfunc_end1706:
	.size	_ZN7rocprim17ROCPRIM_400000_NS6detail17trampoline_kernelINS0_14default_configENS1_27scan_by_key_config_selectorIifEEZZNS1_16scan_by_key_implILNS1_25lookback_scan_determinismE0ELb1ES3_N6thrust23THRUST_200600_302600_NS6detail15normal_iteratorINS9_10device_ptrIiEEEENSB_INSC_IjEEEENSB_INSC_IfEEEEfNS9_4plusIvEENS9_8equal_toIvEEfEE10hipError_tPvRmT2_T3_T4_T5_mT6_T7_P12ihipStream_tbENKUlT_T0_E_clISt17integral_constantIbLb1EES12_IbLb0EEEEDaSY_SZ_EUlSY_E_NS1_11comp_targetILNS1_3genE8ELNS1_11target_archE1030ELNS1_3gpuE2ELNS1_3repE0EEENS1_30default_config_static_selectorELNS0_4arch9wavefront6targetE0EEEvT1_, .Lfunc_end1706-_ZN7rocprim17ROCPRIM_400000_NS6detail17trampoline_kernelINS0_14default_configENS1_27scan_by_key_config_selectorIifEEZZNS1_16scan_by_key_implILNS1_25lookback_scan_determinismE0ELb1ES3_N6thrust23THRUST_200600_302600_NS6detail15normal_iteratorINS9_10device_ptrIiEEEENSB_INSC_IjEEEENSB_INSC_IfEEEEfNS9_4plusIvEENS9_8equal_toIvEEfEE10hipError_tPvRmT2_T3_T4_T5_mT6_T7_P12ihipStream_tbENKUlT_T0_E_clISt17integral_constantIbLb1EES12_IbLb0EEEEDaSY_SZ_EUlSY_E_NS1_11comp_targetILNS1_3genE8ELNS1_11target_archE1030ELNS1_3gpuE2ELNS1_3repE0EEENS1_30default_config_static_selectorELNS0_4arch9wavefront6targetE0EEEvT1_
                                        ; -- End function
	.set _ZN7rocprim17ROCPRIM_400000_NS6detail17trampoline_kernelINS0_14default_configENS1_27scan_by_key_config_selectorIifEEZZNS1_16scan_by_key_implILNS1_25lookback_scan_determinismE0ELb1ES3_N6thrust23THRUST_200600_302600_NS6detail15normal_iteratorINS9_10device_ptrIiEEEENSB_INSC_IjEEEENSB_INSC_IfEEEEfNS9_4plusIvEENS9_8equal_toIvEEfEE10hipError_tPvRmT2_T3_T4_T5_mT6_T7_P12ihipStream_tbENKUlT_T0_E_clISt17integral_constantIbLb1EES12_IbLb0EEEEDaSY_SZ_EUlSY_E_NS1_11comp_targetILNS1_3genE8ELNS1_11target_archE1030ELNS1_3gpuE2ELNS1_3repE0EEENS1_30default_config_static_selectorELNS0_4arch9wavefront6targetE0EEEvT1_.num_vgpr, 0
	.set _ZN7rocprim17ROCPRIM_400000_NS6detail17trampoline_kernelINS0_14default_configENS1_27scan_by_key_config_selectorIifEEZZNS1_16scan_by_key_implILNS1_25lookback_scan_determinismE0ELb1ES3_N6thrust23THRUST_200600_302600_NS6detail15normal_iteratorINS9_10device_ptrIiEEEENSB_INSC_IjEEEENSB_INSC_IfEEEEfNS9_4plusIvEENS9_8equal_toIvEEfEE10hipError_tPvRmT2_T3_T4_T5_mT6_T7_P12ihipStream_tbENKUlT_T0_E_clISt17integral_constantIbLb1EES12_IbLb0EEEEDaSY_SZ_EUlSY_E_NS1_11comp_targetILNS1_3genE8ELNS1_11target_archE1030ELNS1_3gpuE2ELNS1_3repE0EEENS1_30default_config_static_selectorELNS0_4arch9wavefront6targetE0EEEvT1_.num_agpr, 0
	.set _ZN7rocprim17ROCPRIM_400000_NS6detail17trampoline_kernelINS0_14default_configENS1_27scan_by_key_config_selectorIifEEZZNS1_16scan_by_key_implILNS1_25lookback_scan_determinismE0ELb1ES3_N6thrust23THRUST_200600_302600_NS6detail15normal_iteratorINS9_10device_ptrIiEEEENSB_INSC_IjEEEENSB_INSC_IfEEEEfNS9_4plusIvEENS9_8equal_toIvEEfEE10hipError_tPvRmT2_T3_T4_T5_mT6_T7_P12ihipStream_tbENKUlT_T0_E_clISt17integral_constantIbLb1EES12_IbLb0EEEEDaSY_SZ_EUlSY_E_NS1_11comp_targetILNS1_3genE8ELNS1_11target_archE1030ELNS1_3gpuE2ELNS1_3repE0EEENS1_30default_config_static_selectorELNS0_4arch9wavefront6targetE0EEEvT1_.numbered_sgpr, 0
	.set _ZN7rocprim17ROCPRIM_400000_NS6detail17trampoline_kernelINS0_14default_configENS1_27scan_by_key_config_selectorIifEEZZNS1_16scan_by_key_implILNS1_25lookback_scan_determinismE0ELb1ES3_N6thrust23THRUST_200600_302600_NS6detail15normal_iteratorINS9_10device_ptrIiEEEENSB_INSC_IjEEEENSB_INSC_IfEEEEfNS9_4plusIvEENS9_8equal_toIvEEfEE10hipError_tPvRmT2_T3_T4_T5_mT6_T7_P12ihipStream_tbENKUlT_T0_E_clISt17integral_constantIbLb1EES12_IbLb0EEEEDaSY_SZ_EUlSY_E_NS1_11comp_targetILNS1_3genE8ELNS1_11target_archE1030ELNS1_3gpuE2ELNS1_3repE0EEENS1_30default_config_static_selectorELNS0_4arch9wavefront6targetE0EEEvT1_.num_named_barrier, 0
	.set _ZN7rocprim17ROCPRIM_400000_NS6detail17trampoline_kernelINS0_14default_configENS1_27scan_by_key_config_selectorIifEEZZNS1_16scan_by_key_implILNS1_25lookback_scan_determinismE0ELb1ES3_N6thrust23THRUST_200600_302600_NS6detail15normal_iteratorINS9_10device_ptrIiEEEENSB_INSC_IjEEEENSB_INSC_IfEEEEfNS9_4plusIvEENS9_8equal_toIvEEfEE10hipError_tPvRmT2_T3_T4_T5_mT6_T7_P12ihipStream_tbENKUlT_T0_E_clISt17integral_constantIbLb1EES12_IbLb0EEEEDaSY_SZ_EUlSY_E_NS1_11comp_targetILNS1_3genE8ELNS1_11target_archE1030ELNS1_3gpuE2ELNS1_3repE0EEENS1_30default_config_static_selectorELNS0_4arch9wavefront6targetE0EEEvT1_.private_seg_size, 0
	.set _ZN7rocprim17ROCPRIM_400000_NS6detail17trampoline_kernelINS0_14default_configENS1_27scan_by_key_config_selectorIifEEZZNS1_16scan_by_key_implILNS1_25lookback_scan_determinismE0ELb1ES3_N6thrust23THRUST_200600_302600_NS6detail15normal_iteratorINS9_10device_ptrIiEEEENSB_INSC_IjEEEENSB_INSC_IfEEEEfNS9_4plusIvEENS9_8equal_toIvEEfEE10hipError_tPvRmT2_T3_T4_T5_mT6_T7_P12ihipStream_tbENKUlT_T0_E_clISt17integral_constantIbLb1EES12_IbLb0EEEEDaSY_SZ_EUlSY_E_NS1_11comp_targetILNS1_3genE8ELNS1_11target_archE1030ELNS1_3gpuE2ELNS1_3repE0EEENS1_30default_config_static_selectorELNS0_4arch9wavefront6targetE0EEEvT1_.uses_vcc, 0
	.set _ZN7rocprim17ROCPRIM_400000_NS6detail17trampoline_kernelINS0_14default_configENS1_27scan_by_key_config_selectorIifEEZZNS1_16scan_by_key_implILNS1_25lookback_scan_determinismE0ELb1ES3_N6thrust23THRUST_200600_302600_NS6detail15normal_iteratorINS9_10device_ptrIiEEEENSB_INSC_IjEEEENSB_INSC_IfEEEEfNS9_4plusIvEENS9_8equal_toIvEEfEE10hipError_tPvRmT2_T3_T4_T5_mT6_T7_P12ihipStream_tbENKUlT_T0_E_clISt17integral_constantIbLb1EES12_IbLb0EEEEDaSY_SZ_EUlSY_E_NS1_11comp_targetILNS1_3genE8ELNS1_11target_archE1030ELNS1_3gpuE2ELNS1_3repE0EEENS1_30default_config_static_selectorELNS0_4arch9wavefront6targetE0EEEvT1_.uses_flat_scratch, 0
	.set _ZN7rocprim17ROCPRIM_400000_NS6detail17trampoline_kernelINS0_14default_configENS1_27scan_by_key_config_selectorIifEEZZNS1_16scan_by_key_implILNS1_25lookback_scan_determinismE0ELb1ES3_N6thrust23THRUST_200600_302600_NS6detail15normal_iteratorINS9_10device_ptrIiEEEENSB_INSC_IjEEEENSB_INSC_IfEEEEfNS9_4plusIvEENS9_8equal_toIvEEfEE10hipError_tPvRmT2_T3_T4_T5_mT6_T7_P12ihipStream_tbENKUlT_T0_E_clISt17integral_constantIbLb1EES12_IbLb0EEEEDaSY_SZ_EUlSY_E_NS1_11comp_targetILNS1_3genE8ELNS1_11target_archE1030ELNS1_3gpuE2ELNS1_3repE0EEENS1_30default_config_static_selectorELNS0_4arch9wavefront6targetE0EEEvT1_.has_dyn_sized_stack, 0
	.set _ZN7rocprim17ROCPRIM_400000_NS6detail17trampoline_kernelINS0_14default_configENS1_27scan_by_key_config_selectorIifEEZZNS1_16scan_by_key_implILNS1_25lookback_scan_determinismE0ELb1ES3_N6thrust23THRUST_200600_302600_NS6detail15normal_iteratorINS9_10device_ptrIiEEEENSB_INSC_IjEEEENSB_INSC_IfEEEEfNS9_4plusIvEENS9_8equal_toIvEEfEE10hipError_tPvRmT2_T3_T4_T5_mT6_T7_P12ihipStream_tbENKUlT_T0_E_clISt17integral_constantIbLb1EES12_IbLb0EEEEDaSY_SZ_EUlSY_E_NS1_11comp_targetILNS1_3genE8ELNS1_11target_archE1030ELNS1_3gpuE2ELNS1_3repE0EEENS1_30default_config_static_selectorELNS0_4arch9wavefront6targetE0EEEvT1_.has_recursion, 0
	.set _ZN7rocprim17ROCPRIM_400000_NS6detail17trampoline_kernelINS0_14default_configENS1_27scan_by_key_config_selectorIifEEZZNS1_16scan_by_key_implILNS1_25lookback_scan_determinismE0ELb1ES3_N6thrust23THRUST_200600_302600_NS6detail15normal_iteratorINS9_10device_ptrIiEEEENSB_INSC_IjEEEENSB_INSC_IfEEEEfNS9_4plusIvEENS9_8equal_toIvEEfEE10hipError_tPvRmT2_T3_T4_T5_mT6_T7_P12ihipStream_tbENKUlT_T0_E_clISt17integral_constantIbLb1EES12_IbLb0EEEEDaSY_SZ_EUlSY_E_NS1_11comp_targetILNS1_3genE8ELNS1_11target_archE1030ELNS1_3gpuE2ELNS1_3repE0EEENS1_30default_config_static_selectorELNS0_4arch9wavefront6targetE0EEEvT1_.has_indirect_call, 0
	.section	.AMDGPU.csdata,"",@progbits
; Kernel info:
; codeLenInByte = 0
; TotalNumSgprs: 0
; NumVgprs: 0
; ScratchSize: 0
; MemoryBound: 0
; FloatMode: 240
; IeeeMode: 1
; LDSByteSize: 0 bytes/workgroup (compile time only)
; SGPRBlocks: 0
; VGPRBlocks: 0
; NumSGPRsForWavesPerEU: 1
; NumVGPRsForWavesPerEU: 1
; NamedBarCnt: 0
; Occupancy: 16
; WaveLimiterHint : 0
; COMPUTE_PGM_RSRC2:SCRATCH_EN: 0
; COMPUTE_PGM_RSRC2:USER_SGPR: 2
; COMPUTE_PGM_RSRC2:TRAP_HANDLER: 0
; COMPUTE_PGM_RSRC2:TGID_X_EN: 1
; COMPUTE_PGM_RSRC2:TGID_Y_EN: 0
; COMPUTE_PGM_RSRC2:TGID_Z_EN: 0
; COMPUTE_PGM_RSRC2:TIDIG_COMP_CNT: 0
	.section	.text._ZN7rocprim17ROCPRIM_400000_NS6detail17trampoline_kernelINS0_14default_configENS1_27scan_by_key_config_selectorIifEEZZNS1_16scan_by_key_implILNS1_25lookback_scan_determinismE0ELb1ES3_N6thrust23THRUST_200600_302600_NS6detail15normal_iteratorINS9_10device_ptrIiEEEENSB_INSC_IjEEEENSB_INSC_IfEEEEfNS9_4plusIvEENS9_8equal_toIvEEfEE10hipError_tPvRmT2_T3_T4_T5_mT6_T7_P12ihipStream_tbENKUlT_T0_E_clISt17integral_constantIbLb0EES12_IbLb1EEEEDaSY_SZ_EUlSY_E_NS1_11comp_targetILNS1_3genE0ELNS1_11target_archE4294967295ELNS1_3gpuE0ELNS1_3repE0EEENS1_30default_config_static_selectorELNS0_4arch9wavefront6targetE0EEEvT1_,"axG",@progbits,_ZN7rocprim17ROCPRIM_400000_NS6detail17trampoline_kernelINS0_14default_configENS1_27scan_by_key_config_selectorIifEEZZNS1_16scan_by_key_implILNS1_25lookback_scan_determinismE0ELb1ES3_N6thrust23THRUST_200600_302600_NS6detail15normal_iteratorINS9_10device_ptrIiEEEENSB_INSC_IjEEEENSB_INSC_IfEEEEfNS9_4plusIvEENS9_8equal_toIvEEfEE10hipError_tPvRmT2_T3_T4_T5_mT6_T7_P12ihipStream_tbENKUlT_T0_E_clISt17integral_constantIbLb0EES12_IbLb1EEEEDaSY_SZ_EUlSY_E_NS1_11comp_targetILNS1_3genE0ELNS1_11target_archE4294967295ELNS1_3gpuE0ELNS1_3repE0EEENS1_30default_config_static_selectorELNS0_4arch9wavefront6targetE0EEEvT1_,comdat
	.protected	_ZN7rocprim17ROCPRIM_400000_NS6detail17trampoline_kernelINS0_14default_configENS1_27scan_by_key_config_selectorIifEEZZNS1_16scan_by_key_implILNS1_25lookback_scan_determinismE0ELb1ES3_N6thrust23THRUST_200600_302600_NS6detail15normal_iteratorINS9_10device_ptrIiEEEENSB_INSC_IjEEEENSB_INSC_IfEEEEfNS9_4plusIvEENS9_8equal_toIvEEfEE10hipError_tPvRmT2_T3_T4_T5_mT6_T7_P12ihipStream_tbENKUlT_T0_E_clISt17integral_constantIbLb0EES12_IbLb1EEEEDaSY_SZ_EUlSY_E_NS1_11comp_targetILNS1_3genE0ELNS1_11target_archE4294967295ELNS1_3gpuE0ELNS1_3repE0EEENS1_30default_config_static_selectorELNS0_4arch9wavefront6targetE0EEEvT1_ ; -- Begin function _ZN7rocprim17ROCPRIM_400000_NS6detail17trampoline_kernelINS0_14default_configENS1_27scan_by_key_config_selectorIifEEZZNS1_16scan_by_key_implILNS1_25lookback_scan_determinismE0ELb1ES3_N6thrust23THRUST_200600_302600_NS6detail15normal_iteratorINS9_10device_ptrIiEEEENSB_INSC_IjEEEENSB_INSC_IfEEEEfNS9_4plusIvEENS9_8equal_toIvEEfEE10hipError_tPvRmT2_T3_T4_T5_mT6_T7_P12ihipStream_tbENKUlT_T0_E_clISt17integral_constantIbLb0EES12_IbLb1EEEEDaSY_SZ_EUlSY_E_NS1_11comp_targetILNS1_3genE0ELNS1_11target_archE4294967295ELNS1_3gpuE0ELNS1_3repE0EEENS1_30default_config_static_selectorELNS0_4arch9wavefront6targetE0EEEvT1_
	.globl	_ZN7rocprim17ROCPRIM_400000_NS6detail17trampoline_kernelINS0_14default_configENS1_27scan_by_key_config_selectorIifEEZZNS1_16scan_by_key_implILNS1_25lookback_scan_determinismE0ELb1ES3_N6thrust23THRUST_200600_302600_NS6detail15normal_iteratorINS9_10device_ptrIiEEEENSB_INSC_IjEEEENSB_INSC_IfEEEEfNS9_4plusIvEENS9_8equal_toIvEEfEE10hipError_tPvRmT2_T3_T4_T5_mT6_T7_P12ihipStream_tbENKUlT_T0_E_clISt17integral_constantIbLb0EES12_IbLb1EEEEDaSY_SZ_EUlSY_E_NS1_11comp_targetILNS1_3genE0ELNS1_11target_archE4294967295ELNS1_3gpuE0ELNS1_3repE0EEENS1_30default_config_static_selectorELNS0_4arch9wavefront6targetE0EEEvT1_
	.p2align	8
	.type	_ZN7rocprim17ROCPRIM_400000_NS6detail17trampoline_kernelINS0_14default_configENS1_27scan_by_key_config_selectorIifEEZZNS1_16scan_by_key_implILNS1_25lookback_scan_determinismE0ELb1ES3_N6thrust23THRUST_200600_302600_NS6detail15normal_iteratorINS9_10device_ptrIiEEEENSB_INSC_IjEEEENSB_INSC_IfEEEEfNS9_4plusIvEENS9_8equal_toIvEEfEE10hipError_tPvRmT2_T3_T4_T5_mT6_T7_P12ihipStream_tbENKUlT_T0_E_clISt17integral_constantIbLb0EES12_IbLb1EEEEDaSY_SZ_EUlSY_E_NS1_11comp_targetILNS1_3genE0ELNS1_11target_archE4294967295ELNS1_3gpuE0ELNS1_3repE0EEENS1_30default_config_static_selectorELNS0_4arch9wavefront6targetE0EEEvT1_,@function
_ZN7rocprim17ROCPRIM_400000_NS6detail17trampoline_kernelINS0_14default_configENS1_27scan_by_key_config_selectorIifEEZZNS1_16scan_by_key_implILNS1_25lookback_scan_determinismE0ELb1ES3_N6thrust23THRUST_200600_302600_NS6detail15normal_iteratorINS9_10device_ptrIiEEEENSB_INSC_IjEEEENSB_INSC_IfEEEEfNS9_4plusIvEENS9_8equal_toIvEEfEE10hipError_tPvRmT2_T3_T4_T5_mT6_T7_P12ihipStream_tbENKUlT_T0_E_clISt17integral_constantIbLb0EES12_IbLb1EEEEDaSY_SZ_EUlSY_E_NS1_11comp_targetILNS1_3genE0ELNS1_11target_archE4294967295ELNS1_3gpuE0ELNS1_3repE0EEENS1_30default_config_static_selectorELNS0_4arch9wavefront6targetE0EEEvT1_: ; @_ZN7rocprim17ROCPRIM_400000_NS6detail17trampoline_kernelINS0_14default_configENS1_27scan_by_key_config_selectorIifEEZZNS1_16scan_by_key_implILNS1_25lookback_scan_determinismE0ELb1ES3_N6thrust23THRUST_200600_302600_NS6detail15normal_iteratorINS9_10device_ptrIiEEEENSB_INSC_IjEEEENSB_INSC_IfEEEEfNS9_4plusIvEENS9_8equal_toIvEEfEE10hipError_tPvRmT2_T3_T4_T5_mT6_T7_P12ihipStream_tbENKUlT_T0_E_clISt17integral_constantIbLb0EES12_IbLb1EEEEDaSY_SZ_EUlSY_E_NS1_11comp_targetILNS1_3genE0ELNS1_11target_archE4294967295ELNS1_3gpuE0ELNS1_3repE0EEENS1_30default_config_static_selectorELNS0_4arch9wavefront6targetE0EEEvT1_
; %bb.0:
	s_clause 0x2
	s_load_b32 s33, s[0:1], 0x20
	s_load_b128 s[20:23], s[0:1], 0x28
	s_load_b64 s[30:31], s[0:1], 0x38
	v_cmp_ne_u32_e64 s3, 0, v0
	v_cmp_eq_u32_e64 s2, 0, v0
	s_and_saveexec_b32 s4, s2
	s_cbranch_execz .LBB1707_4
; %bb.1:
	s_mov_b32 s6, exec_lo
	s_mov_b32 s5, exec_lo
	v_mbcnt_lo_u32_b32 v1, s6, 0
                                        ; implicit-def: $vgpr2
	s_delay_alu instid0(VALU_DEP_1)
	v_cmpx_eq_u32_e32 0, v1
	s_cbranch_execz .LBB1707_3
; %bb.2:
	s_load_b64 s[8:9], s[0:1], 0x68
	s_bcnt1_i32_b32 s6, s6
	s_delay_alu instid0(SALU_CYCLE_1)
	v_dual_mov_b32 v2, 0 :: v_dual_mov_b32 v3, s6
	s_wait_xcnt 0x0
	s_wait_kmcnt 0x0
	global_atomic_add_u32 v2, v2, v3, s[8:9] th:TH_ATOMIC_RETURN scope:SCOPE_DEV
.LBB1707_3:
	s_wait_xcnt 0x0
	s_or_b32 exec_lo, exec_lo, s5
	s_wait_loadcnt 0x0
	v_readfirstlane_b32 s5, v2
	s_delay_alu instid0(VALU_DEP_1)
	v_dual_mov_b32 v2, 0 :: v_dual_add_nc_u32 v1, s5, v1
	ds_store_b32 v2, v1
.LBB1707_4:
	s_or_b32 exec_lo, exec_lo, s4
	v_mov_b32_e32 v3, 0
	s_clause 0x2
	s_load_b256 s[12:19], s[0:1], 0x0
	s_load_b32 s4, s[0:1], 0x40
	s_load_b128 s[24:27], s[0:1], 0x48
	s_wait_dscnt 0x0
	s_barrier_signal -1
	s_barrier_wait -1
	ds_load_b32 v2, v3
	s_mov_b32 s5, 0
	s_wait_dscnt 0x0
	s_barrier_signal -1
	s_barrier_wait -1
	s_barrier_signal -1
	s_barrier_wait -1
	s_wait_kmcnt 0x0
	s_lshl_b64 s[28:29], s[14:15], 2
	s_mul_u64 s[0:1], s[30:31], s[4:5]
	s_add_nc_u64 s[10:11], s[24:25], -1
	s_add_nc_u64 s[6:7], s[12:13], s[28:29]
	s_add_nc_u64 s[8:9], s[16:17], s[28:29]
	s_mul_i32 s23, s10, 0xfffff400
	v_add_nc_u64_e32 v[4:5], s[0:1], v[2:3]
	v_readfirstlane_b32 s36, v2
	s_mul_i32 s4, s36, 0xc00
	v_cmp_le_u64_e64 s0, s[10:11], v[4:5]
	s_lshl_b64 s[16:17], s[4:5], 2
	s_delay_alu instid0(SALU_CYCLE_1)
	s_add_nc_u64 s[34:35], s[6:7], s[16:17]
	s_add_nc_u64 s[24:25], s[8:9], s[16:17]
	s_and_b32 vcc_lo, exec_lo, s0
	s_cbranch_vccz .LBB1707_70
; %bb.5:
	flat_load_b32 v2, v3, s[34:35]
	s_add_co_i32 s39, s23, s22
	s_delay_alu instid0(SALU_CYCLE_1)
	v_cmp_gt_u32_e32 vcc_lo, s39, v0
	s_wait_loadcnt_dscnt 0x0
	v_mov_b32_e32 v3, v2
	s_and_saveexec_b32 s1, vcc_lo
	s_cbranch_execz .LBB1707_7
; %bb.6:
	flat_load_b32 v3, v0, s[34:35] scale_offset
.LBB1707_7:
	s_wait_xcnt 0x0
	s_or_b32 exec_lo, exec_lo, s1
	v_or_b32_e32 v1, 0x100, v0
	v_mov_b32_e32 v4, v2
	s_delay_alu instid0(VALU_DEP_2)
	v_cmp_gt_u32_e64 s1, s39, v1
	s_and_saveexec_b32 s4, s1
	s_cbranch_execz .LBB1707_9
; %bb.8:
	flat_load_b32 v4, v0, s[34:35] offset:1024 scale_offset
.LBB1707_9:
	s_wait_xcnt 0x0
	s_or_b32 exec_lo, exec_lo, s4
	v_or_b32_e32 v1, 0x200, v0
	v_mov_b32_e32 v5, v2
	s_delay_alu instid0(VALU_DEP_2)
	v_cmp_gt_u32_e64 s4, s39, v1
	s_and_saveexec_b32 s5, s4
	s_cbranch_execz .LBB1707_11
; %bb.10:
	flat_load_b32 v5, v0, s[34:35] offset:2048 scale_offset
.LBB1707_11:
	;; [unrolled: 11-line block ×10, first 2 shown]
	s_wait_xcnt 0x0
	s_or_b32 exec_lo, exec_lo, s13
	v_or_b32_e32 v1, 0xb00, v0
	s_delay_alu instid0(VALU_DEP_1) | instskip(SKIP_2) | instid1(SALU_CYCLE_1)
	v_cmp_gt_u32_e64 s13, s39, v1
	v_cmp_le_u32_e64 s14, s39, v1
	s_and_saveexec_b32 s15, s14
	s_xor_b32 s14, exec_lo, s15
	s_delay_alu instid0(SALU_CYCLE_1)
	s_and_not1_saveexec_b32 s14, s14
	s_cbranch_execz .LBB1707_29
; %bb.28:
	flat_load_b32 v2, v0, s[34:35] offset:11264 scale_offset
.LBB1707_29:
	s_wait_xcnt 0x0
	s_or_b32 exec_lo, exec_lo, s14
	v_lshlrev_b32_e32 v1, 2, v0
	s_mov_b32 s15, exec_lo
	s_wait_loadcnt_dscnt 0x0
	ds_store_2addr_stride64_b32 v1, v3, v4 offset1:4
	ds_store_2addr_stride64_b32 v1, v5, v6 offset0:8 offset1:12
	ds_store_2addr_stride64_b32 v1, v7, v8 offset0:16 offset1:20
	;; [unrolled: 1-line block ×5, first 2 shown]
	v_mov_b32_e32 v2, 0
	s_wait_dscnt 0x0
	s_barrier_signal -1
	s_barrier_wait -1
	flat_load_b32 v54, v2, s[34:35]
	v_mad_u32_u24 v31, v0, 44, v1
	ds_load_b128 v[10:13], v31
	ds_load_b128 v[6:9], v31 offset:16
	s_wait_xcnt 0x0
	ds_load_b128 v[2:5], v31 offset:32
	v_mad_i32_i24 v14, 0xffffffd4, v0, v31
	s_wait_dscnt 0x2
	ds_store_b32 v14, v10 offset:13312
	s_wait_loadcnt_dscnt 0x0
	s_barrier_signal -1
	s_barrier_wait -1
	v_cmpx_ne_u32_e32 0xff, v0
; %bb.30:
	v_mul_i32_i24_e32 v14, 0xffffffd4, v0
	s_delay_alu instid0(VALU_DEP_1)
	v_add_nc_u32_e32 v14, v31, v14
	ds_load_b32 v54, v14 offset:13316
; %bb.31:
	s_or_b32 exec_lo, exec_lo, s15
	s_wait_dscnt 0x0
	s_barrier_signal -1
	s_barrier_wait -1
                                        ; implicit-def: $vgpr14
	s_and_saveexec_b32 s14, vcc_lo
	s_cbranch_execz .LBB1707_126
; %bb.32:
	flat_load_b32 v14, v0, s[24:25] scale_offset
	s_wait_loadcnt_dscnt 0x0
	v_cvt_f32_u32_e32 v14, v14
	s_or_b32 exec_lo, exec_lo, s14
                                        ; implicit-def: $vgpr15
	s_and_saveexec_b32 s14, s1
	s_cbranch_execnz .LBB1707_127
.LBB1707_33:
	s_or_b32 exec_lo, exec_lo, s14
                                        ; implicit-def: $vgpr16
	s_and_saveexec_b32 s1, s4
	s_cbranch_execz .LBB1707_128
.LBB1707_34:
	flat_load_b32 v16, v0, s[24:25] offset:2048 scale_offset
	s_wait_loadcnt_dscnt 0x0
	v_cvt_f32_u32_e32 v16, v16
	s_or_b32 exec_lo, exec_lo, s1
                                        ; implicit-def: $vgpr17
	s_and_saveexec_b32 s1, s5
	s_cbranch_execnz .LBB1707_129
.LBB1707_35:
	s_or_b32 exec_lo, exec_lo, s1
                                        ; implicit-def: $vgpr18
	s_and_saveexec_b32 s1, s6
	s_cbranch_execz .LBB1707_130
.LBB1707_36:
	flat_load_b32 v18, v0, s[24:25] offset:4096 scale_offset
	s_wait_loadcnt_dscnt 0x0
	v_cvt_f32_u32_e32 v18, v18
	s_or_b32 exec_lo, exec_lo, s1
                                        ; implicit-def: $vgpr19
	s_and_saveexec_b32 s1, s7
	s_cbranch_execnz .LBB1707_131
.LBB1707_37:
	s_or_b32 exec_lo, exec_lo, s1
                                        ; implicit-def: $vgpr20
	s_and_saveexec_b32 s1, s8
	s_cbranch_execz .LBB1707_132
.LBB1707_38:
	flat_load_b32 v20, v0, s[24:25] offset:6144 scale_offset
	s_wait_loadcnt_dscnt 0x0
	v_cvt_f32_u32_e32 v20, v20
	s_or_b32 exec_lo, exec_lo, s1
                                        ; implicit-def: $vgpr21
	s_and_saveexec_b32 s1, s9
	s_cbranch_execnz .LBB1707_133
.LBB1707_39:
	s_or_b32 exec_lo, exec_lo, s1
                                        ; implicit-def: $vgpr22
	s_and_saveexec_b32 s1, s10
	s_cbranch_execz .LBB1707_134
.LBB1707_40:
	flat_load_b32 v22, v0, s[24:25] offset:8192 scale_offset
	s_wait_loadcnt_dscnt 0x0
	v_cvt_f32_u32_e32 v22, v22
	s_or_b32 exec_lo, exec_lo, s1
                                        ; implicit-def: $vgpr23
	s_and_saveexec_b32 s1, s11
	s_cbranch_execnz .LBB1707_135
.LBB1707_41:
	s_or_b32 exec_lo, exec_lo, s1
                                        ; implicit-def: $vgpr24
	s_and_saveexec_b32 s1, s12
	s_cbranch_execz .LBB1707_43
.LBB1707_42:
	flat_load_b32 v24, v0, s[24:25] offset:10240 scale_offset
	s_wait_loadcnt_dscnt 0x0
	v_cvt_f32_u32_e32 v24, v24
.LBB1707_43:
	s_or_b32 exec_lo, exec_lo, s1
	v_mul_u32_u24_e32 v60, 12, v0
                                        ; implicit-def: $vgpr25
	s_and_saveexec_b32 s1, s13
	s_cbranch_execz .LBB1707_45
; %bb.44:
	flat_load_b32 v25, v0, s[24:25] offset:11264 scale_offset
	s_wait_loadcnt_dscnt 0x0
	v_cvt_f32_u32_e32 v25, v25
.LBB1707_45:
	s_or_b32 exec_lo, exec_lo, s1
	ds_store_2addr_stride64_b32 v1, v14, v15 offset1:4
	ds_store_2addr_stride64_b32 v1, v16, v17 offset0:8 offset1:12
	ds_store_2addr_stride64_b32 v1, v18, v19 offset0:16 offset1:20
	ds_store_2addr_stride64_b32 v1, v20, v21 offset0:24 offset1:28
	ds_store_2addr_stride64_b32 v1, v22, v23 offset0:32 offset1:36
	ds_store_2addr_stride64_b32 v1, v24, v25 offset0:40 offset1:44
	v_cmp_gt_u32_e32 vcc_lo, s39, v60
	v_dual_mov_b32 v32, 0 :: v_dual_mov_b32 v58, 0
	v_dual_mov_b32 v30, 0 :: v_dual_mov_b32 v59, 0
	;; [unrolled: 1-line block ×22, first 2 shown]
	s_mov_b32 s14, 0
	s_mov_b32 s5, 0
	s_wait_dscnt 0x0
	s_barrier_signal -1
	s_barrier_wait -1
                                        ; implicit-def: $sgpr15
	s_and_saveexec_b32 s37, vcc_lo
	s_cbranch_execz .LBB1707_69
; %bb.46:
	ds_load_b32 v27, v31
	v_dual_mov_b32 v30, 0 :: v_dual_bitop2_b32 v1, 1, v60 bitop3:0x54
	v_dual_mov_b32 v32, 0 :: v_dual_mov_b32 v33, 0
	v_dual_mov_b32 v34, 0 :: v_dual_mov_b32 v56, 0
	s_delay_alu instid0(VALU_DEP_3)
	v_cmp_gt_u32_e64 s1, s39, v1
	v_dual_mov_b32 v36, 0 :: v_dual_mov_b32 v35, 0
	v_dual_mov_b32 v57, 0 :: v_dual_mov_b32 v38, 0
	;; [unrolled: 1-line block ×18, first 2 shown]
	s_mov_b32 s4, 0
	v_cmp_ne_u32_e32 vcc_lo, v10, v11
                                        ; implicit-def: $sgpr15
	s_and_saveexec_b32 s38, s1
	s_cbranch_execz .LBB1707_68
; %bb.47:
	ds_load_2addr_b32 v[14:15], v31 offset0:1 offset1:2
	v_dual_mov_b32 v30, 0 :: v_dual_bitop2_b32 v1, 2, v60 bitop3:0x54
	v_cmp_ne_u32_e64 s1, v11, v12
	v_dual_mov_b32 v32, 0 :: v_dual_mov_b32 v33, 0
	s_delay_alu instid0(VALU_DEP_3)
	v_cmp_gt_u32_e64 s4, s39, v1
	v_dual_mov_b32 v34, 0 :: v_dual_mov_b32 v36, 0
	v_dual_mov_b32 v35, 0 :: v_dual_mov_b32 v38, 0
	;; [unrolled: 1-line block ×17, first 2 shown]
                                        ; implicit-def: $sgpr15
	s_and_saveexec_b32 s40, s4
	s_cbranch_execz .LBB1707_67
; %bb.48:
	v_dual_mov_b32 v30, 0 :: v_dual_bitop2_b32 v1, 3, v60 bitop3:0x54
	v_cmp_ne_u32_e64 s4, v12, v13
	v_dual_mov_b32 v32, 0 :: v_dual_mov_b32 v33, 0
	s_delay_alu instid0(VALU_DEP_3)
	v_cmp_gt_u32_e64 s5, s39, v1
	v_dual_mov_b32 v34, 0 :: v_dual_mov_b32 v36, 0
	v_dual_mov_b32 v35, 0 :: v_dual_mov_b32 v38, 0
	v_dual_mov_b32 v37, 0 :: v_dual_mov_b32 v40, 0
	v_dual_mov_b32 v39, 0 :: v_dual_mov_b32 v42, 0
	v_dual_mov_b32 v41, 0 :: v_dual_mov_b32 v45, 0
	v_dual_mov_b32 v44, 0 :: v_dual_mov_b32 v43, 0
	v_dual_mov_b32 v46, 0 :: v_dual_mov_b32 v21, 0
	v_dual_mov_b32 v16, 0 :: v_dual_mov_b32 v48, 0
	v_dual_mov_b32 v1, 0 :: v_dual_mov_b32 v47, 0
	v_dual_mov_b32 v17, 0 :: v_dual_mov_b32 v24, 0
	v_dual_mov_b32 v18, 0 :: v_dual_mov_b32 v26, 0
	v_dual_mov_b32 v19, 0 :: v_dual_mov_b32 v49, 0
	v_dual_mov_b32 v20, 0 :: v_dual_mov_b32 v50, 0
	v_dual_mov_b32 v55, 0 :: v_dual_mov_b32 v22, 0
	v_dual_mov_b32 v52, 0 :: v_dual_mov_b32 v23, 0
	s_mov_b32 s6, 0
                                        ; implicit-def: $sgpr15
	s_and_saveexec_b32 s41, s5
	s_cbranch_execz .LBB1707_66
; %bb.49:
	ds_load_2addr_b32 v[10:11], v31 offset0:3 offset1:4
	v_dual_mov_b32 v30, 0 :: v_dual_add_nc_u32 v1, 4, v60
	v_cmp_ne_u32_e64 s5, v13, v6
	v_dual_mov_b32 v32, 0 :: v_dual_mov_b32 v33, 0
	s_delay_alu instid0(VALU_DEP_3)
	v_cmp_gt_u32_e64 s6, s39, v1
	v_dual_mov_b32 v34, 0 :: v_dual_mov_b32 v36, 0
	v_dual_mov_b32 v35, 0 :: v_dual_mov_b32 v38, 0
	;; [unrolled: 1-line block ×13, first 2 shown]
	s_mov_b32 s7, 0
                                        ; implicit-def: $sgpr15
	s_and_saveexec_b32 s42, s6
	s_cbranch_execz .LBB1707_65
; %bb.50:
	v_dual_mov_b32 v30, 0 :: v_dual_add_nc_u32 v1, 5, v60
	v_cmp_ne_u32_e64 s6, v6, v7
	v_dual_mov_b32 v32, 0 :: v_dual_mov_b32 v33, 0
	s_delay_alu instid0(VALU_DEP_3)
	v_cmp_gt_u32_e64 s7, s39, v1
	v_dual_mov_b32 v34, 0 :: v_dual_mov_b32 v36, 0
	v_dual_mov_b32 v35, 0 :: v_dual_mov_b32 v38, 0
	;; [unrolled: 1-line block ×11, first 2 shown]
	s_mov_b32 s8, 0
                                        ; implicit-def: $sgpr15
	s_and_saveexec_b32 s43, s7
	s_cbranch_execz .LBB1707_64
; %bb.51:
	ds_load_2addr_b32 v[12:13], v31 offset0:5 offset1:6
	v_dual_mov_b32 v30, 0 :: v_dual_add_nc_u32 v1, 6, v60
	v_cmp_ne_u32_e64 s7, v7, v8
	v_dual_mov_b32 v32, 0 :: v_dual_mov_b32 v33, 0
	s_delay_alu instid0(VALU_DEP_3)
	v_cmp_gt_u32_e64 s8, s39, v1
	v_dual_mov_b32 v34, 0 :: v_dual_mov_b32 v36, 0
	v_dual_mov_b32 v35, 0 :: v_dual_mov_b32 v38, 0
	;; [unrolled: 1-line block ×9, first 2 shown]
	s_mov_b32 s9, 0
                                        ; implicit-def: $sgpr15
	s_and_saveexec_b32 s44, s8
	s_cbranch_execz .LBB1707_63
; %bb.52:
	v_dual_mov_b32 v30, 0 :: v_dual_add_nc_u32 v1, 7, v60
	v_cmp_ne_u32_e64 s8, v8, v9
	v_dual_mov_b32 v32, 0 :: v_dual_mov_b32 v33, 0
	s_delay_alu instid0(VALU_DEP_3)
	v_cmp_gt_u32_e64 s9, s39, v1
	v_dual_mov_b32 v34, 0 :: v_dual_mov_b32 v36, 0
	v_dual_mov_b32 v35, 0 :: v_dual_mov_b32 v38, 0
	;; [unrolled: 1-line block ×7, first 2 shown]
	s_mov_b32 s10, 0
                                        ; implicit-def: $sgpr15
	s_and_saveexec_b32 s45, s9
	s_cbranch_execz .LBB1707_62
; %bb.53:
	ds_load_2addr_b32 v[6:7], v31 offset0:7 offset1:8
	v_dual_mov_b32 v30, 0 :: v_dual_add_nc_u32 v1, 8, v60
	v_cmp_ne_u32_e64 s9, v9, v2
	v_dual_mov_b32 v32, 0 :: v_dual_mov_b32 v33, 0
	s_delay_alu instid0(VALU_DEP_3)
	v_cmp_gt_u32_e64 s10, s39, v1
	v_dual_mov_b32 v34, 0 :: v_dual_mov_b32 v36, 0
	v_dual_mov_b32 v35, 0 :: v_dual_mov_b32 v21, 0
	;; [unrolled: 1-line block ×5, first 2 shown]
	s_mov_b32 s11, 0
                                        ; implicit-def: $sgpr15
	s_and_saveexec_b32 s46, s10
	s_cbranch_execz .LBB1707_61
; %bb.54:
	v_dual_mov_b32 v30, 0 :: v_dual_add_nc_u32 v1, 9, v60
	v_cmp_ne_u32_e64 s10, v2, v3
	v_dual_mov_b32 v32, 0 :: v_dual_mov_b32 v33, 0
	s_delay_alu instid0(VALU_DEP_3)
	v_cmp_gt_u32_e64 s11, s39, v1
	v_dual_mov_b32 v34, 0 :: v_dual_mov_b32 v21, 0
	v_dual_mov_b32 v1, 0 :: v_dual_mov_b32 v47, 0
	s_mov_b32 s12, 0
                                        ; implicit-def: $sgpr15
	s_and_saveexec_b32 s47, s11
	s_cbranch_execz .LBB1707_60
; %bb.55:
	ds_load_2addr_b32 v[8:9], v31 offset0:9 offset1:10
	v_dual_mov_b32 v30, 0 :: v_dual_add_nc_u32 v1, 10, v60
	v_cmp_ne_u32_e64 s11, v3, v4
	v_dual_mov_b32 v32, 0 :: v_dual_mov_b32 v21, 0
	s_mov_b32 s13, 0
	s_mov_b32 s48, exec_lo
                                        ; implicit-def: $sgpr15
	v_cmpx_gt_u32_e64 s39, v1
	s_cbranch_execz .LBB1707_59
; %bb.56:
	v_dual_add_nc_u32 v1, 11, v60 :: v_dual_mov_b32 v21, 0
	v_cmp_ne_u32_e64 s12, v4, v5
                                        ; implicit-def: $sgpr15
	s_delay_alu instid0(VALU_DEP_2) | instskip(SKIP_2) | instid1(SALU_CYCLE_1)
	v_cmp_gt_u32_e64 s13, s39, v1
	s_mov_b32 s39, 0
	s_and_saveexec_b32 s49, s13
	s_xor_b32 s13, exec_lo, s49
	s_cbranch_execz .LBB1707_58
; %bb.57:
	ds_load_b32 v1, v31 offset:44
	v_cmp_ne_u32_e64 s15, v5, v54
	s_mov_b32 s39, exec_lo
	s_wait_dscnt 0x0
	v_cndmask_b32_e64 v21, v1, s33, s15
.LBB1707_58:
	s_or_b32 exec_lo, exec_lo, s13
	v_cndmask_b32_e64 v30, 0, 1, s12
	s_wait_dscnt 0x0
	v_cndmask_b32_e64 v32, v9, s33, s12
	s_and_b32 s13, s39, exec_lo
.LBB1707_59:
	s_or_b32 exec_lo, exec_lo, s48
	s_wait_dscnt 0x0
	v_cndmask_b32_e64 v33, v8, s33, s11
	v_cndmask_b32_e64 v34, 0, 1, s11
	s_and_b32 s12, s13, exec_lo
	s_delay_alu instid0(VALU_DEP_1)
	v_dual_mov_b32 v1, v33 :: v_dual_mov_b32 v47, v34
.LBB1707_60:
	s_or_b32 exec_lo, exec_lo, s47
	s_wait_dscnt 0x0
	v_cndmask_b32_e64 v36, v7, s33, s10
	v_cndmask_b32_e64 v35, 0, 1, s10
	v_dual_mov_b32 v16, v32 :: v_dual_mov_b32 v48, v30
	s_and_b32 s11, s12, exec_lo
	s_delay_alu instid0(VALU_DEP_2)
	v_dual_mov_b32 v17, v36 :: v_dual_mov_b32 v24, v35
.LBB1707_61:
	s_or_b32 exec_lo, exec_lo, s46
	s_wait_dscnt 0x0
	v_cndmask_b32_e64 v38, v6, s33, s9
	v_cndmask_b32_e64 v37, 0, 1, s9
	s_and_b32 s10, s11, exec_lo
	s_delay_alu instid0(VALU_DEP_1)
	v_dual_mov_b32 v18, v38 :: v_dual_mov_b32 v26, v37
.LBB1707_62:
	s_or_b32 exec_lo, exec_lo, s45
	s_wait_dscnt 0x0
	v_cndmask_b32_e64 v40, v13, s33, s8
	v_cndmask_b32_e64 v39, 0, 1, s8
	s_and_b32 s9, s10, exec_lo
	s_delay_alu instid0(VALU_DEP_1)
	v_dual_mov_b32 v19, v40 :: v_dual_mov_b32 v49, v39
.LBB1707_63:
	s_or_b32 exec_lo, exec_lo, s44
	s_wait_dscnt 0x0
	v_cndmask_b32_e64 v42, v12, s33, s7
	v_cndmask_b32_e64 v41, 0, 1, s7
	s_and_b32 s8, s9, exec_lo
	s_delay_alu instid0(VALU_DEP_1)
	v_dual_mov_b32 v20, v42 :: v_dual_mov_b32 v50, v41
.LBB1707_64:
	s_or_b32 exec_lo, exec_lo, s43
	s_wait_dscnt 0x0
	v_cndmask_b32_e64 v44, v11, s33, s6
	v_cndmask_b32_e64 v43, 0, 1, s6
	s_and_b32 s7, s8, exec_lo
	s_delay_alu instid0(VALU_DEP_1)
	v_dual_mov_b32 v22, v44 :: v_dual_mov_b32 v52, v43
.LBB1707_65:
	s_or_b32 exec_lo, exec_lo, s42
	v_cndmask_b32_e64 v45, 0, 1, s5
	s_wait_dscnt 0x0
	v_cndmask_b32_e64 v46, v10, s33, s5
	s_and_b32 s6, s7, exec_lo
	s_delay_alu instid0(VALU_DEP_1)
	v_dual_mov_b32 v55, v45 :: v_dual_mov_b32 v23, v46
.LBB1707_66:
	s_or_b32 exec_lo, exec_lo, s41
	v_cndmask_b32_e64 v51, 0, 1, s4
	s_wait_dscnt 0x0
	v_cndmask_b32_e64 v53, v15, s33, s4
	s_and_b32 s5, s6, exec_lo
	s_delay_alu instid0(VALU_DEP_1)
	v_dual_mov_b32 v28, v51 :: v_dual_mov_b32 v25, v53
.LBB1707_67:
	s_or_b32 exec_lo, exec_lo, s40
	v_cndmask_b32_e64 v56, 0, 1, s1
	s_wait_dscnt 0x0
	v_cndmask_b32_e64 v57, v14, s33, s1
	s_and_b32 s4, s5, exec_lo
	s_delay_alu instid0(VALU_DEP_1)
	v_dual_mov_b32 v29, v56 :: v_dual_mov_b32 v15, v57
.LBB1707_68:
	s_or_b32 exec_lo, exec_lo, s38
	s_wait_dscnt 0x0
	v_cndmask_b32_e64 v59, v27, s33, vcc_lo
	v_cndmask_b32_e64 v58, 0, 1, vcc_lo
	s_and_b32 s5, s4, exec_lo
	s_delay_alu instid0(VALU_DEP_2)
	v_mov_b32_e32 v27, v59
.LBB1707_69:
	s_or_b32 exec_lo, exec_lo, s37
	v_lshlrev_b32_e32 v14, 2, v0
	s_and_b32 vcc_lo, exec_lo, s14
	s_cbranch_vccnz .LBB1707_71
	s_branch .LBB1707_76
.LBB1707_70:
                                        ; implicit-def: $sgpr15
                                        ; implicit-def: $vgpr58
                                        ; implicit-def: $vgpr32
                                        ; implicit-def: $vgpr30
                                        ; implicit-def: $vgpr59
                                        ; implicit-def: $vgpr33
                                        ; implicit-def: $vgpr34
                                        ; implicit-def: $vgpr56
                                        ; implicit-def: $vgpr36
                                        ; implicit-def: $vgpr35
                                        ; implicit-def: $vgpr57
                                        ; implicit-def: $vgpr38
                                        ; implicit-def: $vgpr37
                                        ; implicit-def: $vgpr51
                                        ; implicit-def: $vgpr40
                                        ; implicit-def: $vgpr39
                                        ; implicit-def: $vgpr53
                                        ; implicit-def: $vgpr42
                                        ; implicit-def: $vgpr41
                                        ; implicit-def: $vgpr45
                                        ; implicit-def: $vgpr44
                                        ; implicit-def: $vgpr43
                                        ; implicit-def: $vgpr46
                                        ; implicit-def: $vgpr21
                                        ; implicit-def: $vgpr16
                                        ; implicit-def: $vgpr48
                                        ; implicit-def: $vgpr27
                                        ; implicit-def: $vgpr1
                                        ; implicit-def: $vgpr47
                                        ; implicit-def: $vgpr29
                                        ; implicit-def: $vgpr17
                                        ; implicit-def: $vgpr24
                                        ; implicit-def: $vgpr15
                                        ; implicit-def: $vgpr18
                                        ; implicit-def: $vgpr26
                                        ; implicit-def: $vgpr28
                                        ; implicit-def: $vgpr19
                                        ; implicit-def: $vgpr49
                                        ; implicit-def: $vgpr25
                                        ; implicit-def: $vgpr20
                                        ; implicit-def: $vgpr50
                                        ; implicit-def: $vgpr55
                                        ; implicit-def: $vgpr22
                                        ; implicit-def: $vgpr52
                                        ; implicit-def: $vgpr23
	v_lshlrev_b32_e32 v14, 2, v0
	s_cbranch_execz .LBB1707_76
.LBB1707_71:
	s_clause 0xb
	flat_load_b32 v1, v0, s[34:35] scale_offset
	flat_load_b32 v2, v0, s[34:35] offset:1024 scale_offset
	flat_load_b32 v3, v0, s[34:35] offset:2048 scale_offset
	;; [unrolled: 1-line block ×11, first 2 shown]
	v_mov_b32_e32 v13, 0
	v_mad_u32_u24 v15, v0, 44, v14
	s_mov_b32 s1, exec_lo
	s_wait_loadcnt_dscnt 0xa0a
	ds_store_2addr_stride64_b32 v14, v1, v2 offset1:4
	s_wait_loadcnt_dscnt 0x809
	ds_store_2addr_stride64_b32 v14, v3, v4 offset0:8 offset1:12
	s_wait_loadcnt_dscnt 0x608
	ds_store_2addr_stride64_b32 v14, v5, v6 offset0:16 offset1:20
	;; [unrolled: 2-line block ×5, first 2 shown]
	s_wait_dscnt 0x0
	s_barrier_signal -1
	s_barrier_wait -1
	flat_load_b32 v1, v13, s[34:35] offset:12288
	s_wait_xcnt 0x0
	ds_load_b128 v[10:13], v15
	ds_load_b128 v[6:9], v15 offset:16
	ds_load_b128 v[2:5], v15 offset:32
	v_mad_i32_i24 v16, 0xffffffd4, v0, v15
	s_wait_dscnt 0x2
	ds_store_b32 v16, v10 offset:13312
	s_wait_loadcnt_dscnt 0x0
	s_barrier_signal -1
	s_barrier_wait -1
	v_cmpx_ne_u32_e32 0xff, v0
; %bb.72:
	v_mul_i32_i24_e32 v1, 0xffffffd4, v0
	s_delay_alu instid0(VALU_DEP_1)
	v_add_nc_u32_e32 v1, v15, v1
	ds_load_b32 v1, v1 offset:13316
; %bb.73:
	s_or_b32 exec_lo, exec_lo, s1
	s_wait_dscnt 0x0
	s_barrier_signal -1
	s_barrier_wait -1
	s_clause 0xb
	flat_load_b32 v16, v0, s[24:25] scale_offset
	flat_load_b32 v17, v0, s[24:25] offset:1024 scale_offset
	flat_load_b32 v18, v0, s[24:25] offset:2048 scale_offset
	flat_load_b32 v19, v0, s[24:25] offset:3072 scale_offset
	flat_load_b32 v20, v0, s[24:25] offset:4096 scale_offset
	flat_load_b32 v21, v0, s[24:25] offset:5120 scale_offset
	flat_load_b32 v22, v0, s[24:25] offset:6144 scale_offset
	flat_load_b32 v23, v0, s[24:25] offset:7168 scale_offset
	flat_load_b32 v24, v0, s[24:25] offset:8192 scale_offset
	flat_load_b32 v25, v0, s[24:25] offset:9216 scale_offset
	flat_load_b32 v26, v0, s[24:25] offset:10240 scale_offset
	flat_load_b32 v27, v0, s[24:25] offset:11264 scale_offset
	v_mov_b32_e32 v59, s33
	s_mov_b32 s4, exec_lo
	v_cmp_ne_u32_e32 vcc_lo, v10, v11
	s_wait_loadcnt_dscnt 0xb0b
	v_cvt_f32_u32_e32 v16, v16
	s_wait_loadcnt_dscnt 0xa0a
	v_cvt_f32_u32_e32 v17, v17
	;; [unrolled: 2-line block ×12, first 2 shown]
	ds_store_2addr_stride64_b32 v14, v16, v17 offset1:4
	ds_store_2addr_stride64_b32 v14, v18, v19 offset0:8 offset1:12
	ds_store_2addr_stride64_b32 v14, v20, v21 offset0:16 offset1:20
	;; [unrolled: 1-line block ×5, first 2 shown]
	s_wait_dscnt 0x0
	s_barrier_signal -1
	s_barrier_wait -1
	ds_load_2addr_b32 v[24:25], v15 offset0:1 offset1:2
	ds_load_2addr_b32 v[22:23], v15 offset0:3 offset1:4
	;; [unrolled: 1-line block ×5, first 2 shown]
	ds_load_b32 v26, v15 offset:44
	v_cmpx_eq_u32_e64 v10, v11
; %bb.74:
	ds_load_b32 v59, v15
; %bb.75:
	s_or_b32 exec_lo, exec_lo, s4
	v_cndmask_b32_e64 v58, 0, 1, vcc_lo
	v_cmp_ne_u32_e32 vcc_lo, v11, v12
	v_cmp_ne_u32_e64 s1, v12, v13
	v_cmp_ne_u32_e64 s4, v13, v6
	;; [unrolled: 1-line block ×9, first 2 shown]
	v_cndmask_b32_e64 v56, 0, 1, vcc_lo
	v_cndmask_b32_e64 v51, 0, 1, s1
	v_cndmask_b32_e64 v45, 0, 1, s4
	;; [unrolled: 1-line block ×9, first 2 shown]
	s_wait_dscnt 0x5
	v_cndmask_b32_e64 v57, v24, s33, vcc_lo
	v_cndmask_b32_e64 v53, v25, s33, s1
	s_wait_dscnt 0x4
	v_cndmask_b32_e64 v46, v22, s33, s4
	v_cndmask_b32_e64 v44, v23, s33, s5
	s_wait_dscnt 0x3
	v_cndmask_b32_e64 v42, v20, s33, s6
	;; [unrolled: 3-line block ×3, first 2 shown]
	s_wait_dscnt 0x1
	v_cndmask_b32_e64 v32, v19, s33, s11
	v_cndmask_b32_e64 v36, v17, s33, s9
	;; [unrolled: 1-line block ×3, first 2 shown]
	v_cmp_ne_u32_e64 s15, v5, v1
	s_delay_alu instid0(VALU_DEP_4) | instskip(SKIP_1) | instid1(VALU_DEP_3)
	v_dual_mov_b32 v48, v30 :: v_dual_mov_b32 v16, v32
	s_wait_dscnt 0x0
	v_dual_mov_b32 v27, v59 :: v_dual_mov_b32 v1, v33
	s_delay_alu instid0(VALU_DEP_3)
	v_cndmask_b32_e64 v21, v26, s33, s15
	v_dual_mov_b32 v47, v34 :: v_dual_mov_b32 v29, v56
	v_dual_mov_b32 v17, v36 :: v_dual_mov_b32 v24, v35
	;; [unrolled: 1-line block ×8, first 2 shown]
	v_mov_b32_e32 v23, v46
	s_mov_b32 s5, -1
.LBB1707_76:
	v_mov_b32_e32 v31, 0
	s_and_saveexec_b32 s1, s5
	s_cbranch_execz .LBB1707_78
; %bb.77:
	v_cndmask_b32_e64 v31, 0, 1, s15
	v_dual_mov_b32 v23, v46 :: v_dual_mov_b32 v52, v43
	v_dual_mov_b32 v22, v44 :: v_dual_mov_b32 v55, v45
	;; [unrolled: 1-line block ×10, first 2 shown]
	v_mov_b32_e32 v16, v32
.LBB1707_78:
	s_or_b32 exec_lo, exec_lo, s1
	v_or_b32_e32 v2, v55, v52
	v_and_b32_e32 v32, 1, v31
	v_dual_add_f32 v43, v15, v27 :: v_dual_lshrrev_b32 v34, 2, v0
	v_or_b32_e32 v33, v48, v47
	v_and_b32_e32 v30, 0xff, v58
	v_and_b32_e32 v46, 0xff, v29
	;; [unrolled: 1-line block ×9, first 2 shown]
	v_bitop3_b16 v36, v2, v49, v50 bitop3:0xfe
	v_and_b32_e32 v37, 0xff, v47
	v_and_b32_e32 v35, 0xff, v48
	v_cmp_eq_u16_e64 s13, 0, v31
	v_cmp_eq_u32_e64 s14, 1, v32
	s_cmp_lg_u32 s36, 0
	v_cmp_gt_u32_e32 vcc_lo, 32, v0
	s_barrier_signal -1
	s_barrier_wait -1
	s_cbranch_scc0 .LBB1707_136
; %bb.79:
	v_cmp_eq_u16_e64 s1, 0, v46
	v_cmp_eq_u16_e64 s4, 0, v45
	;; [unrolled: 1-line block ×5, first 2 shown]
	v_dual_cndmask_b32 v2, v15, v43, s1 :: v_dual_bitop2_b32 v4, 56, v34 bitop3:0x40
	v_cmp_eq_u16_e64 s8, 0, v40
	v_cmp_eq_u16_e64 s9, 0, v39
	;; [unrolled: 1-line block ×3, first 2 shown]
	s_delay_alu instid0(VALU_DEP_4)
	v_add_f32_e32 v2, v25, v2
	v_cmp_eq_u16_e64 s11, 0, v37
	v_bitop3_b16 v3, v36, v26, v28 bitop3:0xfe
	v_cmp_eq_u16_e64 s12, 0, v35
	v_lshl_add_u32 v4, v0, 3, v4
	v_cndmask_b32_e64 v2, v25, v2, s4
	s_delay_alu instid0(VALU_DEP_4) | instskip(NEXT) | instid1(VALU_DEP_2)
	v_bitop3_b16 v3, v3, v29, v24 bitop3:0xfe
	v_add_f32_e32 v2, v23, v2
	s_delay_alu instid0(VALU_DEP_2) | instskip(NEXT) | instid1(VALU_DEP_2)
	v_bitop3_b16 v3, v33, 0xff, v3 bitop3:0xc8
	v_cndmask_b32_e64 v2, v23, v2, s5
	s_delay_alu instid0(VALU_DEP_2) | instskip(NEXT) | instid1(VALU_DEP_2)
	v_cmp_eq_u16_e64 s15, 0, v3
	v_add_f32_e32 v2, v22, v2
	s_delay_alu instid0(VALU_DEP_2) | instskip(NEXT) | instid1(VALU_DEP_2)
	v_cndmask_b32_e64 v3, 1, v30, s15
	v_cndmask_b32_e64 v2, v22, v2, s6
	s_delay_alu instid0(VALU_DEP_2) | instskip(NEXT) | instid1(VALU_DEP_2)
	v_cndmask_b32_e64 v13, v3, 1, s14
	v_add_f32_e32 v2, v20, v2
	s_delay_alu instid0(VALU_DEP_1) | instskip(NEXT) | instid1(VALU_DEP_1)
	v_cndmask_b32_e64 v2, v20, v2, s7
	v_add_f32_e32 v2, v19, v2
	s_delay_alu instid0(VALU_DEP_1) | instskip(NEXT) | instid1(VALU_DEP_1)
	;; [unrolled: 3-line block ×6, first 2 shown]
	v_cndmask_b32_e64 v2, v16, v2, s12
	v_add_f32_e32 v2, v21, v2
	s_delay_alu instid0(VALU_DEP_1)
	v_cndmask_b32_e64 v12, v21, v2, s13
	ds_store_b32 v4, v12
	ds_store_b8 v4, v13 offset:4
	s_wait_dscnt 0x0
	s_barrier_signal -1
	s_barrier_wait -1
	s_and_saveexec_b32 s15, vcc_lo
	s_cbranch_execz .LBB1707_91
; %bb.80:
	v_dual_lshlrev_b32 v2, 1, v0 :: v_dual_lshlrev_b32 v3, 6, v0
	s_mov_b32 s24, exec_lo
	s_delay_alu instid0(VALU_DEP_1) | instskip(NEXT) | instid1(VALU_DEP_1)
	v_and_b32_e32 v2, 0x1f8, v2
	v_add_nc_u32_e32 v4, v2, v3
	ds_load_2addr_b32 v[6:7], v4 offset0:2 offset1:4
	ds_load_b64 v[2:3], v4
	ds_load_u8 v5, v4 offset:12
	ds_load_2addr_b32 v[8:9], v4 offset0:6 offset1:8
	ds_load_u8 v10, v4 offset:20
	ds_load_u8 v11, v4 offset:28
	;; [unrolled: 1-line block ×5, first 2 shown]
	ds_load_b32 v50, v4 offset:56
	s_wait_dscnt 0x8
	v_add_f32_e32 v51, v2, v6
	s_wait_dscnt 0x7
	v_cmp_eq_u16_e64 s13, 0, v5
	s_wait_dscnt 0x5
	v_or_b32_e32 v5, v10, v5
	s_delay_alu instid0(VALU_DEP_2) | instskip(SKIP_2) | instid1(VALU_DEP_3)
	v_cndmask_b32_e64 v6, v6, v51, s13
	v_cmp_eq_u16_e64 s13, 0, v10
	s_wait_dscnt 0x3
	v_bitop3_b16 v5, v5, v47, v11 bitop3:0xfe
	s_delay_alu instid0(VALU_DEP_3) | instskip(NEXT) | instid1(VALU_DEP_1)
	v_add_f32_e32 v6, v7, v6
	v_cndmask_b32_e64 v51, v7, v6, s13
	ds_load_2addr_b32 v[6:7], v4 offset0:10 offset1:12
	v_cmp_eq_u16_e64 s13, 0, v11
	v_and_b32_e32 v11, 0xffffff00, v3
	v_add_f32_e32 v51, v8, v51
	s_delay_alu instid0(VALU_DEP_1) | instskip(SKIP_3) | instid1(VALU_DEP_1)
	v_cndmask_b32_e64 v8, v8, v51, s13
	v_cmp_eq_u16_e64 s13, 0, v47
	ds_load_u8 v51, v4 offset:60
	v_add_f32_e32 v8, v9, v8
	v_cndmask_b32_e64 v8, v9, v8, s13
	s_wait_dscnt 0x4
	v_cmp_eq_u16_e64 s13, 0, v48
	s_wait_dscnt 0x1
	s_delay_alu instid0(VALU_DEP_2) | instskip(NEXT) | instid1(VALU_DEP_1)
	v_add_f32_e32 v8, v6, v8
	v_cndmask_b32_e64 v6, v6, v8, s13
	v_bitop3_b16 v8, v5, v49, v48 bitop3:0xfe
	v_and_b32_e32 v5, 1, v3
	s_wait_dscnt 0x0
	v_and_b32_e32 v9, 1, v51
	s_delay_alu instid0(VALU_DEP_3) | instskip(NEXT) | instid1(VALU_DEP_1)
	v_cmp_eq_u16_e64 s13, 0, v8
	v_dual_add_f32 v6, v7, v6 :: v_dual_cndmask_b32 v8, 1, v5, s13
	v_cmp_eq_u16_e64 s13, 0, v49
	s_delay_alu instid0(VALU_DEP_1) | instskip(SKIP_1) | instid1(VALU_DEP_1)
	v_cndmask_b32_e64 v6, v7, v6, s13
	v_cmp_eq_u32_e64 s13, 1, v9
	v_cndmask_b32_e64 v9, v8, 1, s13
	v_cmp_eq_u16_e64 s13, 0, v51
	s_delay_alu instid0(VALU_DEP_2) | instskip(SKIP_1) | instid1(VALU_DEP_2)
	v_dual_add_f32 v7, v50, v6 :: v_dual_bitop2_b32 v8, v9, v11 bitop3:0x54
	v_mbcnt_lo_u32_b32 v6, -1, 0
	v_mov_b32_dpp v48, v8 row_shr:1 row_mask:0xf bank_mask:0xf
	s_delay_alu instid0(VALU_DEP_2) | instskip(NEXT) | instid1(VALU_DEP_1)
	v_dual_cndmask_b32 v7, v50, v7, s13 :: v_dual_bitop2_b32 v10, 15, v6 bitop3:0x40
	v_mov_b32_dpp v47, v7 row_shr:1 row_mask:0xf bank_mask:0xf
	s_delay_alu instid0(VALU_DEP_2)
	v_cmpx_ne_u32_e32 0, v10
	s_cbranch_execz .LBB1707_82
; %bb.81:
	s_delay_alu instid0(VALU_DEP_2) | instskip(SKIP_2) | instid1(VALU_DEP_3)
	v_dual_add_f32 v47, v7, v47 :: v_dual_bitop2_b32 v8, 1, v9 bitop3:0x40
	v_cmp_eq_u32_e64 s13, 0, v9
	v_and_b32_e32 v48, 1, v48
	v_cmp_eq_u32_e64 s14, 1, v8
	s_delay_alu instid0(VALU_DEP_3) | instskip(NEXT) | instid1(VALU_DEP_2)
	v_cndmask_b32_e64 v7, v7, v47, s13
	v_cndmask_b32_e64 v9, v48, 1, s14
	s_delay_alu instid0(VALU_DEP_1)
	v_or_b32_e32 v8, v9, v11
.LBB1707_82:
	s_or_b32 exec_lo, exec_lo, s24
	s_delay_alu instid0(VALU_DEP_3) | instskip(NEXT) | instid1(VALU_DEP_2)
	v_mov_b32_dpp v11, v7 row_shr:2 row_mask:0xf bank_mask:0xf
	v_mov_b32_dpp v47, v8 row_shr:2 row_mask:0xf bank_mask:0xf
	s_mov_b32 s24, exec_lo
	v_cmpx_lt_u32_e32 1, v10
	s_cbranch_execz .LBB1707_84
; %bb.83:
	v_dual_add_f32 v11, v7, v11 :: v_dual_bitop2_b32 v48, 1, v9 bitop3:0x40
	v_and_b32_e32 v47, 1, v47
	v_cmp_eq_u32_e64 s13, 0, v9
	s_delay_alu instid0(VALU_DEP_3) | instskip(NEXT) | instid1(VALU_DEP_2)
	v_cmp_eq_u32_e64 s14, 1, v48
	v_cndmask_b32_e64 v7, v7, v11, s13
	s_delay_alu instid0(VALU_DEP_2) | instskip(NEXT) | instid1(VALU_DEP_1)
	v_cndmask_b32_e64 v9, v47, 1, s14
	v_and_or_b32 v8, 0xffffff00, v8, v9
.LBB1707_84:
	s_or_b32 exec_lo, exec_lo, s24
	s_delay_alu instid0(VALU_DEP_3) | instskip(NEXT) | instid1(VALU_DEP_2)
	v_mov_b32_dpp v11, v7 row_shr:4 row_mask:0xf bank_mask:0xf
	v_mov_b32_dpp v47, v8 row_shr:4 row_mask:0xf bank_mask:0xf
	s_mov_b32 s24, exec_lo
	v_cmpx_lt_u32_e32 3, v10
	s_cbranch_execz .LBB1707_86
; %bb.85:
	v_dual_add_f32 v11, v7, v11 :: v_dual_bitop2_b32 v48, 1, v9 bitop3:0x40
	v_and_b32_e32 v47, 1, v47
	v_cmp_eq_u32_e64 s13, 0, v9
	s_delay_alu instid0(VALU_DEP_3) | instskip(NEXT) | instid1(VALU_DEP_2)
	v_cmp_eq_u32_e64 s14, 1, v48
	v_cndmask_b32_e64 v7, v7, v11, s13
	s_delay_alu instid0(VALU_DEP_2) | instskip(NEXT) | instid1(VALU_DEP_1)
	v_cndmask_b32_e64 v9, v47, 1, s14
	v_and_or_b32 v8, 0xffffff00, v8, v9
.LBB1707_86:
	;; [unrolled: 18-line block ×3, first 2 shown]
	s_or_b32 exec_lo, exec_lo, s24
	ds_swizzle_b32 v10, v7 offset:swizzle(BROADCAST,32,15)
	ds_swizzle_b32 v11, v8 offset:swizzle(BROADCAST,32,15)
	v_and_b32_e32 v47, 16, v6
	s_mov_b32 s14, exec_lo
	s_delay_alu instid0(VALU_DEP_1)
	v_cmpx_ne_u32_e32 0, v47
	s_cbranch_execz .LBB1707_90
; %bb.89:
	s_wait_dscnt 0x1
	v_dual_add_f32 v10, v7, v10 :: v_dual_bitop2_b32 v47, 1, v9 bitop3:0x40
	s_wait_dscnt 0x0
	v_and_b32_e32 v11, 1, v11
	s_delay_alu instid0(VALU_DEP_2) | instskip(NEXT) | instid1(VALU_DEP_1)
	v_cmp_eq_u32_e64 s13, 1, v47
	v_cndmask_b32_e64 v11, v11, 1, s13
	v_cmp_eq_u32_e64 s13, 0, v9
	s_delay_alu instid0(VALU_DEP_2) | instskip(NEXT) | instid1(VALU_DEP_2)
	v_and_or_b32 v8, 0xffffff00, v8, v11
	v_cndmask_b32_e64 v7, v7, v10, s13
.LBB1707_90:
	s_or_b32 exec_lo, exec_lo, s14
	v_add_nc_u32_e32 v9, -1, v6
	v_and_b32_e32 v3, 0xff, v3
	; wave barrier
	s_delay_alu instid0(VALU_DEP_2) | instskip(NEXT) | instid1(VALU_DEP_1)
	v_cmp_gt_i32_e64 s13, 0, v9
	v_cndmask_b32_e64 v6, v9, v6, s13
	s_delay_alu instid0(VALU_DEP_3) | instskip(NEXT) | instid1(VALU_DEP_2)
	v_cmp_eq_u32_e64 s13, 0, v3
	v_lshlrev_b32_e32 v6, 2, v6
	ds_bpermute_b32 v7, v6, v7
	ds_bpermute_b32 v6, v6, v8
	s_wait_dscnt 0x0
	v_dual_add_f32 v7, v2, v7 :: v_dual_bitop2_b32 v6, 1, v6 bitop3:0x40
	s_delay_alu instid0(VALU_DEP_1) | instskip(SKIP_1) | instid1(VALU_DEP_1)
	v_cndmask_b32_e64 v2, v2, v7, s13
	v_cmp_eq_u32_e64 s13, 1, v5
	v_cndmask_b32_e64 v3, v6, 1, s13
	s_delay_alu instid0(VALU_DEP_1)
	v_dual_cndmask_b32 v5, v2, v12, s2 :: v_dual_cndmask_b32 v8, v3, v13, s2
	ds_store_b32 v4, v5
	ds_store_b8 v4, v8 offset:4
	; wave barrier
	ds_load_2addr_b32 v[2:3], v4 offset0:2 offset1:4
	ds_load_u8 v9, v4 offset:12
	ds_load_u8 v10, v4 offset:20
	ds_load_2addr_b32 v[6:7], v4 offset0:6 offset1:8
	ds_load_u8 v11, v4 offset:28
	ds_load_u8 v47, v4 offset:36
	;; [unrolled: 1-line block ×4, first 2 shown]
	ds_load_b32 v50, v4 offset:56
	ds_load_u8 v51, v4 offset:60
	s_wait_dscnt 0x9
	v_add_f32_e32 v5, v5, v2
	s_wait_dscnt 0x8
	v_cmp_eq_u16_e64 s13, 0, v9
	s_delay_alu instid0(VALU_DEP_1) | instskip(SKIP_2) | instid1(VALU_DEP_2)
	v_cndmask_b32_e64 v5, v2, v5, s13
	s_wait_dscnt 0x7
	v_cmp_eq_u16_e64 s13, 0, v10
	v_add_f32_e32 v2, v5, v3
	s_delay_alu instid0(VALU_DEP_1)
	v_cndmask_b32_e64 v52, v3, v2, s13
	s_wait_dscnt 0x5
	v_cmp_eq_u16_e64 s13, 0, v11
	ds_load_2addr_b32 v[2:3], v4 offset0:10 offset1:12
	v_add_f32_e32 v53, v52, v6
	ds_store_2addr_b32 v4, v5, v52 offset0:2 offset1:4
	v_cndmask_b32_e64 v6, v6, v53, s13
	s_delay_alu instid0(VALU_DEP_1) | instskip(NEXT) | instid1(VALU_DEP_1)
	v_dual_add_f32 v53, v6, v7 :: v_dual_bitop2_b32 v9, 1, v9 bitop3:0x40
	v_cmp_eq_u32_e64 s13, 1, v9
	s_delay_alu instid0(VALU_DEP_1) | instskip(SKIP_2) | instid1(VALU_DEP_1)
	v_cndmask_b32_e64 v8, v8, 1, s13
	s_wait_dscnt 0x6
	v_cmp_eq_u16_e64 s13, 0, v47
	v_dual_cndmask_b32 v7, v7, v53, s13 :: v_dual_bitop2_b32 v10, 1, v10 bitop3:0x40
	v_and_b32_e32 v9, 1, v11
	s_delay_alu instid0(VALU_DEP_2) | instskip(SKIP_1) | instid1(VALU_DEP_3)
	v_cmp_eq_u32_e64 s13, 1, v10
	s_wait_dscnt 0x1
	v_dual_add_f32 v47, v7, v2 :: v_dual_bitop2_b32 v11, 1, v47 bitop3:0x40
	s_delay_alu instid0(VALU_DEP_2) | instskip(SKIP_1) | instid1(VALU_DEP_1)
	v_cndmask_b32_e64 v10, v8, 1, s13
	v_cmp_eq_u32_e64 s13, 1, v9
	v_cndmask_b32_e64 v9, v10, 1, s13
	v_cmp_eq_u16_e64 s13, 0, v48
	s_delay_alu instid0(VALU_DEP_1) | instskip(SKIP_1) | instid1(VALU_DEP_2)
	v_dual_cndmask_b32 v2, v2, v47, s13 :: v_dual_bitop2_b32 v53, 1, v48 bitop3:0x40
	v_cmp_eq_u32_e64 s13, 1, v11
	v_add_f32_e32 v48, v2, v3
	s_delay_alu instid0(VALU_DEP_2) | instskip(NEXT) | instid1(VALU_DEP_4)
	v_cndmask_b32_e64 v11, v9, 1, s13
	v_cmp_eq_u32_e64 s13, 1, v53
	s_delay_alu instid0(VALU_DEP_1) | instskip(SKIP_1) | instid1(VALU_DEP_1)
	v_cndmask_b32_e64 v53, v11, 1, s13
	v_cmp_eq_u16_e64 s13, 0, v49
	v_dual_cndmask_b32 v3, v3, v48, s13 :: v_dual_bitop2_b32 v47, 1, v49 bitop3:0x40
	v_and_b32_e32 v54, 1, v51
	s_delay_alu instid0(VALU_DEP_2)
	v_cmp_eq_u32_e64 s13, 1, v47
	ds_store_2addr_b32 v4, v6, v7 offset0:6 offset1:8
	ds_store_2addr_b32 v4, v2, v3 offset0:10 offset1:12
	v_add_f32_e32 v5, v3, v50
	v_cndmask_b32_e64 v47, v53, 1, s13
	v_cmp_eq_u32_e64 s13, 1, v54
	s_delay_alu instid0(VALU_DEP_1) | instskip(SKIP_1) | instid1(VALU_DEP_1)
	v_cndmask_b32_e64 v48, v47, 1, s13
	v_cmp_eq_u16_e64 s13, 0, v51
	v_cndmask_b32_e64 v2, v50, v5, s13
	ds_store_b8 v4, v8 offset:12
	ds_store_b8 v4, v10 offset:20
	;; [unrolled: 1-line block ×6, first 2 shown]
	ds_store_b32 v4, v2 offset:56
	ds_store_b8 v4, v48 offset:60
.LBB1707_91:
	s_or_b32 exec_lo, exec_lo, s15
	s_wait_dscnt 0x0
	s_barrier_signal -1
	s_barrier_wait -1
	s_and_saveexec_b32 s13, s3
	s_cbranch_execz .LBB1707_93
; %bb.92:
	v_add_nc_u32_e32 v2, -1, v0
	s_delay_alu instid0(VALU_DEP_1) | instskip(NEXT) | instid1(VALU_DEP_1)
	v_lshrrev_b32_e32 v3, 2, v2
	v_and_b32_e32 v3, 0x3ffffff8, v3
	s_delay_alu instid0(VALU_DEP_1)
	v_lshl_add_u32 v2, v2, 3, v3
	ds_load_b32 v12, v2
	ds_load_u8 v13, v2 offset:4
.LBB1707_93:
	s_or_b32 exec_lo, exec_lo, s13
	s_and_saveexec_b32 s24, vcc_lo
	s_cbranch_execz .LBB1707_181
; %bb.94:
	v_mov_b32_e32 v5, 0
	v_mbcnt_lo_u32_b32 v47, -1, 0
	s_mov_b32 s15, 0
	ds_load_b64 v[2:3], v5 offset:2096
	v_cmp_eq_u32_e64 s13, 0, v47
	s_and_saveexec_b32 s25, s13
	s_cbranch_execz .LBB1707_96
; %bb.95:
	s_add_co_i32 s14, s36, 32
	v_mov_b32_e32 v4, 1
	s_lshl_b64 s[14:15], s[14:15], 4
	s_delay_alu instid0(SALU_CYCLE_1) | instskip(NEXT) | instid1(SALU_CYCLE_1)
	s_add_nc_u64 s[14:15], s[20:21], s[14:15]
	v_mov_b64_e32 v[6:7], s[14:15]
	s_wait_dscnt 0x0
	;;#ASMSTART
	global_store_b128 v[6:7], v[2:5] off scope:SCOPE_DEV	
s_wait_storecnt 0x0
	;;#ASMEND
.LBB1707_96:
	s_or_b32 exec_lo, exec_lo, s25
	v_xad_u32 v8, v47, -1, s36
	s_mov_b32 s14, exec_lo
	s_delay_alu instid0(VALU_DEP_1) | instskip(NEXT) | instid1(VALU_DEP_1)
	v_add_nc_u32_e32 v4, 32, v8
	v_lshl_add_u64 v[10:11], v[4:5], 4, s[20:21]
	;;#ASMSTART
	global_load_b128 v[4:7], v[10:11] off scope:SCOPE_DEV	
s_wait_loadcnt 0x0
	;;#ASMEND
	v_and_b32_e32 v7, 0xff, v6
	s_delay_alu instid0(VALU_DEP_1)
	v_cmpx_eq_u16_e32 0, v7
	s_cbranch_execz .LBB1707_100
; %bb.97:
	s_mov_b32 s15, 0
.LBB1707_98:                            ; =>This Inner Loop Header: Depth=1
	;;#ASMSTART
	global_load_b128 v[4:7], v[10:11] off scope:SCOPE_DEV	
s_wait_loadcnt 0x0
	;;#ASMEND
	v_and_b32_e32 v7, 0xff, v6
	s_delay_alu instid0(VALU_DEP_1) | instskip(SKIP_1) | instid1(SALU_CYCLE_1)
	v_cmp_ne_u16_e32 vcc_lo, 0, v7
	s_or_b32 s15, vcc_lo, s15
	s_and_not1_b32 exec_lo, exec_lo, s15
	s_cbranch_execnz .LBB1707_98
; %bb.99:
	s_or_b32 exec_lo, exec_lo, s15
.LBB1707_100:
	s_delay_alu instid0(SALU_CYCLE_1)
	s_or_b32 exec_lo, exec_lo, s14
	v_cmp_ne_u32_e32 vcc_lo, 31, v47
	v_and_b32_e32 v10, 0xff, v6
	v_and_b32_e32 v9, 0xff, v5
	v_lshlrev_b32_e64 v49, v47, -1
	s_mov_b32 s14, exec_lo
	v_add_co_ci_u32_e64 v7, null, 0, v47, vcc_lo
	v_cmp_eq_u16_e32 vcc_lo, 2, v10
	s_delay_alu instid0(VALU_DEP_2) | instskip(SKIP_4) | instid1(VALU_DEP_1)
	v_lshlrev_b32_e32 v48, 2, v7
	v_and_or_b32 v7, vcc_lo, v49, 0x80000000
	ds_bpermute_b32 v10, v48, v4
	ds_bpermute_b32 v11, v48, v9
	v_ctz_i32_b32_e32 v7, v7
	v_cmpx_lt_u32_e64 v47, v7
	s_cbranch_execz .LBB1707_102
; %bb.101:
	s_wait_dscnt 0x1
	v_dual_add_f32 v10, v4, v10 :: v_dual_bitop2_b32 v9, 1, v5 bitop3:0x40
	s_wait_dscnt 0x0
	v_and_b32_e32 v11, 1, v11
	v_and_b32_e32 v50, 0xff, v5
	s_delay_alu instid0(VALU_DEP_3) | instskip(NEXT) | instid1(VALU_DEP_3)
	v_cmp_eq_u32_e32 vcc_lo, 1, v9
	v_cndmask_b32_e64 v5, v11, 1, vcc_lo
	s_delay_alu instid0(VALU_DEP_3) | instskip(NEXT) | instid1(VALU_DEP_2)
	v_cmp_eq_u16_e32 vcc_lo, 0, v50
	v_and_b32_e32 v9, 0xffff, v5
	v_cndmask_b32_e32 v4, v4, v10, vcc_lo
.LBB1707_102:
	s_or_b32 exec_lo, exec_lo, s14
	v_cmp_gt_u32_e32 vcc_lo, 30, v47
	v_add_nc_u32_e32 v51, 2, v47
	s_mov_b32 s14, exec_lo
	s_wait_dscnt 0x1
	v_cndmask_b32_e64 v10, 0, 2, vcc_lo
	s_delay_alu instid0(VALU_DEP_1)
	v_add_lshl_u32 v50, v10, v47, 2
	ds_bpermute_b32 v10, v50, v4
	s_wait_dscnt 0x1
	ds_bpermute_b32 v11, v50, v9
	v_cmpx_le_u32_e64 v51, v7
	s_cbranch_execz .LBB1707_104
; %bb.103:
	s_wait_dscnt 0x1
	v_dual_add_f32 v10, v4, v10 :: v_dual_bitop2_b32 v9, 1, v5 bitop3:0x40
	s_wait_dscnt 0x0
	v_and_b32_e32 v11, 1, v11
	v_and_b32_e32 v52, 0xff, v5
	s_delay_alu instid0(VALU_DEP_3) | instskip(NEXT) | instid1(VALU_DEP_3)
	v_cmp_eq_u32_e32 vcc_lo, 1, v9
	v_cndmask_b32_e64 v5, v11, 1, vcc_lo
	s_delay_alu instid0(VALU_DEP_3) | instskip(NEXT) | instid1(VALU_DEP_2)
	v_cmp_eq_u16_e32 vcc_lo, 0, v52
	v_and_b32_e32 v9, 0xffff, v5
	v_cndmask_b32_e32 v4, v4, v10, vcc_lo
.LBB1707_104:
	s_or_b32 exec_lo, exec_lo, s14
	v_cmp_gt_u32_e32 vcc_lo, 28, v47
	v_add_nc_u32_e32 v53, 4, v47
	s_mov_b32 s14, exec_lo
	s_wait_dscnt 0x1
	v_cndmask_b32_e64 v10, 0, 4, vcc_lo
	s_delay_alu instid0(VALU_DEP_1)
	v_add_lshl_u32 v52, v10, v47, 2
	ds_bpermute_b32 v10, v52, v4
	s_wait_dscnt 0x1
	ds_bpermute_b32 v11, v52, v9
	v_cmpx_le_u32_e64 v53, v7
	;; [unrolled: 27-line block ×3, first 2 shown]
	s_cbranch_execz .LBB1707_108
; %bb.107:
	s_wait_dscnt 0x1
	v_dual_add_f32 v10, v4, v10 :: v_dual_bitop2_b32 v9, 1, v5 bitop3:0x40
	s_wait_dscnt 0x0
	v_and_b32_e32 v11, 1, v11
	v_and_b32_e32 v56, 0xff, v5
	s_delay_alu instid0(VALU_DEP_3) | instskip(NEXT) | instid1(VALU_DEP_3)
	v_cmp_eq_u32_e32 vcc_lo, 1, v9
	v_cndmask_b32_e64 v5, v11, 1, vcc_lo
	s_delay_alu instid0(VALU_DEP_3) | instskip(NEXT) | instid1(VALU_DEP_2)
	v_cmp_eq_u16_e32 vcc_lo, 0, v56
	v_and_b32_e32 v9, 0xffff, v5
	v_cndmask_b32_e32 v4, v4, v10, vcc_lo
.LBB1707_108:
	s_or_b32 exec_lo, exec_lo, s14
	v_lshl_or_b32 v58, v47, 2, 64
	v_add_nc_u32_e32 v59, 16, v47
	s_mov_b32 s14, exec_lo
	s_wait_dscnt 0x1
	ds_bpermute_b32 v10, v58, v4
	ds_bpermute_b32 v9, v58, v9
	v_cmpx_le_u32_e64 v59, v7
	s_cbranch_execz .LBB1707_110
; %bb.109:
	v_and_b32_e32 v7, 0xff, v5
	s_wait_dscnt 0x1
	v_dual_add_f32 v10, v4, v10 :: v_dual_bitop2_b32 v5, 1, v5 bitop3:0x40
	s_delay_alu instid0(VALU_DEP_2) | instskip(SKIP_1) | instid1(VALU_DEP_2)
	v_cmp_eq_u16_e32 vcc_lo, 0, v7
	s_wait_dscnt 0x0
	v_dual_cndmask_b32 v4, v4, v10, vcc_lo :: v_dual_bitop2_b32 v9, 1, v9 bitop3:0x40
	s_delay_alu instid0(VALU_DEP_3) | instskip(NEXT) | instid1(VALU_DEP_2)
	v_cmp_eq_u32_e32 vcc_lo, 1, v5
	v_cndmask_b32_e64 v5, v9, 1, vcc_lo
.LBB1707_110:
	s_or_b32 exec_lo, exec_lo, s14
	s_wait_dscnt 0x0
	v_mov_b32_e32 v9, 0
	s_branch .LBB1707_113
.LBB1707_111:                           ;   in Loop: Header=BB1707_113 Depth=1
	s_or_b32 exec_lo, exec_lo, s14
	s_wait_dscnt 0x1
	ds_bpermute_b32 v11, v58, v4
	ds_bpermute_b32 v10, v58, v10
	s_wait_dscnt 0x2
	v_and_b32_e32 v60, 1, v5
	v_and_b32_e32 v61, 0xff, v5
	v_subrev_nc_u32_e32 v8, 32, v8
	s_mov_b32 s14, 0
	s_wait_dscnt 0x1
	v_add_f32_e32 v11, v4, v11
	v_cmp_eq_u32_e32 vcc_lo, 1, v60
	s_wait_dscnt 0x0
	v_cndmask_b32_e64 v10, v10, 1, vcc_lo
	v_cmp_eq_u16_e32 vcc_lo, 0, v61
	v_cndmask_b32_e32 v11, v4, v11, vcc_lo
	v_cmp_gt_u32_e32 vcc_lo, v59, v7
	v_and_b32_e32 v7, 0xff, v56
	s_delay_alu instid0(VALU_DEP_3) | instskip(SKIP_1) | instid1(VALU_DEP_3)
	v_dual_cndmask_b32 v5, v10, v5 :: v_dual_cndmask_b32 v4, v11, v4
	v_and_b32_e32 v10, 1, v56
	v_cmp_eq_u16_e32 vcc_lo, 0, v7
	s_delay_alu instid0(VALU_DEP_3) | instskip(NEXT) | instid1(VALU_DEP_1)
	v_dual_add_f32 v4, v57, v4 :: v_dual_bitop2_b32 v5, 1, v5 bitop3:0x40
	v_cndmask_b32_e32 v4, v57, v4, vcc_lo
	s_delay_alu instid0(VALU_DEP_4) | instskip(NEXT) | instid1(VALU_DEP_3)
	v_cmp_eq_u32_e32 vcc_lo, 1, v10
	v_cndmask_b32_e64 v5, v5, 1, vcc_lo
.LBB1707_112:                           ;   in Loop: Header=BB1707_113 Depth=1
	s_and_b32 vcc_lo, exec_lo, s14
	s_cbranch_vccnz .LBB1707_177
.LBB1707_113:                           ; =>This Loop Header: Depth=1
                                        ;     Child Loop BB1707_116 Depth 2
	v_and_b32_e32 v6, 0xff, v6
	s_delay_alu instid0(VALU_DEP_2) | instskip(SKIP_1) | instid1(VALU_DEP_2)
	v_dual_mov_b32 v56, v5 :: v_dual_mov_b32 v57, v4
	s_mov_b32 s14, -1
	v_cmp_ne_u16_e32 vcc_lo, 2, v6
                                        ; implicit-def: $vgpr5
	s_cmp_lg_u32 vcc_lo, exec_lo
	s_cbranch_scc1 .LBB1707_112
; %bb.114:                              ;   in Loop: Header=BB1707_113 Depth=1
	v_lshl_add_u64 v[10:11], v[8:9], 4, s[20:21]
	;;#ASMSTART
	global_load_b128 v[4:7], v[10:11] off scope:SCOPE_DEV	
s_wait_loadcnt 0x0
	;;#ASMEND
	v_and_b32_e32 v7, 0xff, v6
	s_mov_b32 s14, exec_lo
	s_delay_alu instid0(VALU_DEP_1)
	v_cmpx_eq_u16_e32 0, v7
	s_cbranch_execz .LBB1707_118
; %bb.115:                              ;   in Loop: Header=BB1707_113 Depth=1
	s_mov_b32 s15, 0
.LBB1707_116:                           ;   Parent Loop BB1707_113 Depth=1
                                        ; =>  This Inner Loop Header: Depth=2
	;;#ASMSTART
	global_load_b128 v[4:7], v[10:11] off scope:SCOPE_DEV	
s_wait_loadcnt 0x0
	;;#ASMEND
	v_and_b32_e32 v7, 0xff, v6
	s_delay_alu instid0(VALU_DEP_1) | instskip(SKIP_1) | instid1(SALU_CYCLE_1)
	v_cmp_ne_u16_e32 vcc_lo, 0, v7
	s_or_b32 s15, vcc_lo, s15
	s_and_not1_b32 exec_lo, exec_lo, s15
	s_cbranch_execnz .LBB1707_116
; %bb.117:                              ;   in Loop: Header=BB1707_113 Depth=1
	s_or_b32 exec_lo, exec_lo, s15
.LBB1707_118:                           ;   in Loop: Header=BB1707_113 Depth=1
	s_delay_alu instid0(SALU_CYCLE_1)
	s_or_b32 exec_lo, exec_lo, s14
	v_and_b32_e32 v10, 0xff, v5
	v_and_b32_e32 v7, 0xff, v6
	ds_bpermute_b32 v11, v48, v4
	s_mov_b32 s14, exec_lo
	ds_bpermute_b32 v60, v48, v10
	v_cmp_eq_u16_e32 vcc_lo, 2, v7
	v_and_or_b32 v7, vcc_lo, v49, 0x80000000
	s_delay_alu instid0(VALU_DEP_1) | instskip(NEXT) | instid1(VALU_DEP_1)
	v_ctz_i32_b32_e32 v7, v7
	v_cmpx_lt_u32_e64 v47, v7
	s_cbranch_execz .LBB1707_120
; %bb.119:                              ;   in Loop: Header=BB1707_113 Depth=1
	s_wait_dscnt 0x1
	v_dual_add_f32 v11, v4, v11 :: v_dual_bitop2_b32 v10, 1, v5 bitop3:0x40
	s_wait_dscnt 0x0
	v_and_b32_e32 v60, 1, v60
	v_and_b32_e32 v61, 0xff, v5
	s_delay_alu instid0(VALU_DEP_3) | instskip(NEXT) | instid1(VALU_DEP_3)
	v_cmp_eq_u32_e32 vcc_lo, 1, v10
	v_cndmask_b32_e64 v5, v60, 1, vcc_lo
	s_delay_alu instid0(VALU_DEP_3) | instskip(NEXT) | instid1(VALU_DEP_2)
	v_cmp_eq_u16_e32 vcc_lo, 0, v61
	v_and_b32_e32 v10, 0xffff, v5
	v_cndmask_b32_e32 v4, v4, v11, vcc_lo
.LBB1707_120:                           ;   in Loop: Header=BB1707_113 Depth=1
	s_or_b32 exec_lo, exec_lo, s14
	s_wait_dscnt 0x1
	ds_bpermute_b32 v11, v50, v4
	s_wait_dscnt 0x1
	ds_bpermute_b32 v60, v50, v10
	s_mov_b32 s14, exec_lo
	v_cmpx_le_u32_e64 v51, v7
	s_cbranch_execz .LBB1707_122
; %bb.121:                              ;   in Loop: Header=BB1707_113 Depth=1
	s_wait_dscnt 0x1
	v_dual_add_f32 v11, v4, v11 :: v_dual_bitop2_b32 v10, 1, v5 bitop3:0x40
	s_wait_dscnt 0x0
	v_and_b32_e32 v60, 1, v60
	v_and_b32_e32 v61, 0xff, v5
	s_delay_alu instid0(VALU_DEP_3) | instskip(NEXT) | instid1(VALU_DEP_3)
	v_cmp_eq_u32_e32 vcc_lo, 1, v10
	v_cndmask_b32_e64 v5, v60, 1, vcc_lo
	s_delay_alu instid0(VALU_DEP_3) | instskip(NEXT) | instid1(VALU_DEP_2)
	v_cmp_eq_u16_e32 vcc_lo, 0, v61
	v_and_b32_e32 v10, 0xffff, v5
	v_cndmask_b32_e32 v4, v4, v11, vcc_lo
.LBB1707_122:                           ;   in Loop: Header=BB1707_113 Depth=1
	s_or_b32 exec_lo, exec_lo, s14
	s_wait_dscnt 0x1
	ds_bpermute_b32 v11, v52, v4
	s_wait_dscnt 0x1
	ds_bpermute_b32 v60, v52, v10
	s_mov_b32 s14, exec_lo
	v_cmpx_le_u32_e64 v53, v7
	;; [unrolled: 22-line block ×3, first 2 shown]
	s_cbranch_execz .LBB1707_111
; %bb.125:                              ;   in Loop: Header=BB1707_113 Depth=1
	s_wait_dscnt 0x1
	v_dual_add_f32 v11, v4, v11 :: v_dual_bitop2_b32 v10, 1, v5 bitop3:0x40
	s_wait_dscnt 0x0
	v_and_b32_e32 v60, 1, v60
	v_and_b32_e32 v61, 0xff, v5
	s_delay_alu instid0(VALU_DEP_3) | instskip(NEXT) | instid1(VALU_DEP_3)
	v_cmp_eq_u32_e32 vcc_lo, 1, v10
	v_cndmask_b32_e64 v5, v60, 1, vcc_lo
	s_delay_alu instid0(VALU_DEP_3) | instskip(NEXT) | instid1(VALU_DEP_2)
	v_cmp_eq_u16_e32 vcc_lo, 0, v61
	v_and_b32_e32 v10, 0xffff, v5
	v_cndmask_b32_e32 v4, v4, v11, vcc_lo
	s_branch .LBB1707_111
.LBB1707_126:
	s_or_b32 exec_lo, exec_lo, s14
                                        ; implicit-def: $vgpr15
	s_and_saveexec_b32 s14, s1
	s_cbranch_execz .LBB1707_33
.LBB1707_127:
	flat_load_b32 v15, v0, s[24:25] offset:1024 scale_offset
	s_wait_loadcnt_dscnt 0x0
	v_cvt_f32_u32_e32 v15, v15
	s_or_b32 exec_lo, exec_lo, s14
                                        ; implicit-def: $vgpr16
	s_and_saveexec_b32 s1, s4
	s_cbranch_execnz .LBB1707_34
.LBB1707_128:
	s_or_b32 exec_lo, exec_lo, s1
                                        ; implicit-def: $vgpr17
	s_and_saveexec_b32 s1, s5
	s_cbranch_execz .LBB1707_35
.LBB1707_129:
	flat_load_b32 v17, v0, s[24:25] offset:3072 scale_offset
	s_wait_loadcnt_dscnt 0x0
	v_cvt_f32_u32_e32 v17, v17
	s_or_b32 exec_lo, exec_lo, s1
                                        ; implicit-def: $vgpr18
	s_and_saveexec_b32 s1, s6
	s_cbranch_execnz .LBB1707_36
.LBB1707_130:
	s_or_b32 exec_lo, exec_lo, s1
                                        ; implicit-def: $vgpr19
	s_and_saveexec_b32 s1, s7
	s_cbranch_execz .LBB1707_37
.LBB1707_131:
	flat_load_b32 v19, v0, s[24:25] offset:5120 scale_offset
	s_wait_loadcnt_dscnt 0x0
	v_cvt_f32_u32_e32 v19, v19
	s_or_b32 exec_lo, exec_lo, s1
                                        ; implicit-def: $vgpr20
	s_and_saveexec_b32 s1, s8
	s_cbranch_execnz .LBB1707_38
.LBB1707_132:
	s_or_b32 exec_lo, exec_lo, s1
                                        ; implicit-def: $vgpr21
	s_and_saveexec_b32 s1, s9
	s_cbranch_execz .LBB1707_39
.LBB1707_133:
	flat_load_b32 v21, v0, s[24:25] offset:7168 scale_offset
	s_wait_loadcnt_dscnt 0x0
	v_cvt_f32_u32_e32 v21, v21
	s_or_b32 exec_lo, exec_lo, s1
                                        ; implicit-def: $vgpr22
	s_and_saveexec_b32 s1, s10
	s_cbranch_execnz .LBB1707_40
.LBB1707_134:
	s_or_b32 exec_lo, exec_lo, s1
                                        ; implicit-def: $vgpr23
	s_and_saveexec_b32 s1, s11
	s_cbranch_execz .LBB1707_41
.LBB1707_135:
	flat_load_b32 v23, v0, s[24:25] offset:9216 scale_offset
	s_wait_loadcnt_dscnt 0x0
	v_cvt_f32_u32_e32 v23, v23
	s_or_b32 exec_lo, exec_lo, s1
                                        ; implicit-def: $vgpr24
	s_and_saveexec_b32 s1, s12
	s_cbranch_execz .LBB1707_43
	s_branch .LBB1707_42
.LBB1707_136:
                                        ; implicit-def: $vgpr13
                                        ; implicit-def: $vgpr9
                                        ; implicit-def: $vgpr5
	s_cbranch_execnz .LBB1707_182
.LBB1707_137:
	s_add_nc_u64 s[2:3], s[18:19], s[28:29]
	s_and_b32 vcc_lo, exec_lo, s0
	s_add_nc_u64 s[0:1], s[2:3], s[16:17]
	s_cbranch_vccz .LBB1707_201
.LBB1707_138:
	v_mul_u32_u24_e32 v1, 12, v0
	s_add_co_i32 s23, s23, s22
	s_mov_b32 s2, exec_lo
	s_delay_alu instid0(VALU_DEP_1)
	v_cmpx_gt_u32_e64 s23, v1
	s_cbranch_execz .LBB1707_154
; %bb.139:
	v_or_b32_e32 v15, 1, v1
	s_mov_b32 s3, exec_lo
	s_delay_alu instid0(VALU_DEP_1)
	v_cmpx_gt_u32_e64 s23, v15
	s_cbranch_execz .LBB1707_153
; %bb.140:
	v_or_b32_e32 v15, 2, v1
	;; [unrolled: 6-line block ×3, first 2 shown]
	s_mov_b32 s5, exec_lo
	s_delay_alu instid0(VALU_DEP_1)
	v_cmpx_gt_u32_e64 s23, v15
	s_cbranch_execz .LBB1707_151
; %bb.142:
	v_add_nc_u32_e32 v15, 4, v1
	s_mov_b32 s6, exec_lo
	s_delay_alu instid0(VALU_DEP_1)
	v_cmpx_gt_u32_e64 s23, v15
	s_cbranch_execz .LBB1707_150
; %bb.143:
	v_add_nc_u32_e32 v15, 5, v1
	;; [unrolled: 6-line block ×4, first 2 shown]
	s_mov_b32 s9, exec_lo
	s_delay_alu instid0(VALU_DEP_1)
	v_cmpx_gt_u32_e64 s23, v15
; %bb.146:
	v_add_nc_u32_e32 v15, 8, v1
	s_mov_b32 s10, exec_lo
	s_delay_alu instid0(VALU_DEP_1)
	v_cmpx_gt_u32_e64 s23, v15
	s_or_b32 exec_lo, exec_lo, s10
; %bb.147:
	s_delay_alu instid0(SALU_CYCLE_1)
	s_or_b32 exec_lo, exec_lo, s9
.LBB1707_148:
	s_delay_alu instid0(SALU_CYCLE_1)
	s_or_b32 exec_lo, exec_lo, s8
.LBB1707_149:
	s_delay_alu instid0(SALU_CYCLE_1)
	s_or_b32 exec_lo, exec_lo, s7
.LBB1707_150:
	s_delay_alu instid0(SALU_CYCLE_1)
	s_or_b32 exec_lo, exec_lo, s6
.LBB1707_151:
	s_delay_alu instid0(SALU_CYCLE_1)
	s_or_b32 exec_lo, exec_lo, s5
.LBB1707_152:
	s_delay_alu instid0(SALU_CYCLE_1)
	s_or_b32 exec_lo, exec_lo, s4
.LBB1707_153:
	s_delay_alu instid0(SALU_CYCLE_1)
	s_or_b32 exec_lo, exec_lo, s3
.LBB1707_154:
	s_delay_alu instid0(SALU_CYCLE_1) | instskip(SKIP_3) | instid1(VALU_DEP_1)
	s_or_b32 exec_lo, exec_lo, s2
	v_lshlrev_b32_e32 v1, 2, v1
	s_barrier_signal -1
	s_barrier_wait -1
	v_mad_i32_i24 v15, 0xffffffd4, v0, v1
	ds_store_b128 v1, v[2:5]
	ds_store_b128 v1, v[6:9] offset:16
	ds_store_b128 v1, v[10:13] offset:32
	s_wait_dscnt 0x0
	s_barrier_signal -1
	s_barrier_wait -1
	ds_load_2addr_stride64_b32 v[26:27], v15 offset0:4 offset1:8
	ds_load_2addr_stride64_b32 v[24:25], v15 offset0:12 offset1:16
	;; [unrolled: 1-line block ×5, first 2 shown]
	ds_load_b32 v17, v15 offset:11264
	v_mov_b32_e32 v15, 0
	s_mov_b32 s2, exec_lo
	s_delay_alu instid0(VALU_DEP_1)
	v_add_nc_u64_e32 v[14:15], s[0:1], v[14:15]
	v_cmpx_gt_u32_e64 s23, v0
	s_cbranch_execz .LBB1707_156
; %bb.155:
	v_mul_i32_i24_e32 v16, 0xffffffd4, v0
	s_delay_alu instid0(VALU_DEP_1)
	v_add_nc_u32_e32 v1, v1, v16
	ds_load_b32 v1, v1
	s_wait_dscnt 0x0
	flat_store_b32 v[14:15], v1
.LBB1707_156:
	s_wait_xcnt 0x0
	s_or_b32 exec_lo, exec_lo, s2
	v_or_b32_e32 v1, 0x100, v0
	s_mov_b32 s2, exec_lo
	s_delay_alu instid0(VALU_DEP_1)
	v_cmpx_gt_u32_e64 s23, v1
	s_cbranch_execz .LBB1707_158
; %bb.157:
	s_wait_dscnt 0x5
	flat_store_b32 v[14:15], v26 offset:1024
.LBB1707_158:
	s_wait_xcnt 0x0
	s_or_b32 exec_lo, exec_lo, s2
	v_or_b32_e32 v1, 0x200, v0
	s_mov_b32 s2, exec_lo
	s_delay_alu instid0(VALU_DEP_1)
	v_cmpx_gt_u32_e64 s23, v1
	s_cbranch_execz .LBB1707_160
; %bb.159:
	s_wait_dscnt 0x5
	flat_store_b32 v[14:15], v27 offset:2048
.LBB1707_160:
	;; [unrolled: 11-line block ×10, first 2 shown]
	s_wait_xcnt 0x0
	s_or_b32 exec_lo, exec_lo, s2
	v_or_b32_e32 v1, 0xb00, v0
	s_delay_alu instid0(VALU_DEP_1)
	v_cmp_gt_u32_e64 s2, s23, v1
	s_branch .LBB1707_203
.LBB1707_177:
	s_and_saveexec_b32 s14, s13
	s_cbranch_execz .LBB1707_179
; %bb.178:
	v_and_b32_e32 v4, 0xff, v3
	v_dual_add_f32 v5, v57, v2 :: v_dual_bitop2_b32 v3, 1, v3 bitop3:0x40
	s_mov_b32 s35, 0
	s_add_co_i32 s34, s36, 32
	s_delay_alu instid0(VALU_DEP_2)
	v_cmp_eq_u32_e32 vcc_lo, 0, v4
	v_and_b32_e32 v6, 1, v56
	s_lshl_b64 s[34:35], s[34:35], 4
	v_mov_b32_e32 v4, 2
	s_add_nc_u64 s[34:35], s[20:21], s[34:35]
	v_cndmask_b32_e32 v2, v2, v5, vcc_lo
	v_cmp_eq_u32_e32 vcc_lo, 1, v3
	v_mov_b32_e32 v5, 0
	v_cndmask_b32_e64 v3, v6, 1, vcc_lo
	v_mov_b64_e32 v[6:7], s[34:35]
	;;#ASMSTART
	global_store_b128 v[6:7], v[2:5] off scope:SCOPE_DEV	
s_wait_storecnt 0x0
	;;#ASMEND
.LBB1707_179:
	s_or_b32 exec_lo, exec_lo, s14
	s_delay_alu instid0(SALU_CYCLE_1)
	s_and_b32 exec_lo, exec_lo, s2
	s_cbranch_execz .LBB1707_181
; %bb.180:
	v_mov_b32_e32 v2, 0
	ds_store_b32 v2, v57
	ds_store_b8 v2, v56 offset:4
.LBB1707_181:
	s_or_b32 exec_lo, exec_lo, s24
	s_wait_dscnt 0x0
	v_cmp_eq_u32_e32 vcc_lo, 0, v13
	v_mov_b32_e32 v2, 0
	s_barrier_signal -1
	s_barrier_wait -1
	ds_load_b32 v2, v2
	s_wait_dscnt 0x0
	v_add_f32_e32 v3, v12, v2
	s_delay_alu instid0(VALU_DEP_1) | instskip(SKIP_1) | instid1(VALU_DEP_2)
	v_cndmask_b32_e32 v3, v12, v3, vcc_lo
	v_cmp_eq_u16_e32 vcc_lo, 0, v30
	v_cndmask_b32_e64 v2, v3, v2, s2
	s_delay_alu instid0(VALU_DEP_1) | instskip(NEXT) | instid1(VALU_DEP_1)
	v_add_f32_e32 v3, v27, v2
	v_cndmask_b32_e32 v3, v27, v3, vcc_lo
	s_delay_alu instid0(VALU_DEP_1) | instskip(NEXT) | instid1(VALU_DEP_1)
	v_add_f32_e32 v4, v15, v3
	v_cndmask_b32_e64 v4, v15, v4, s1
	s_delay_alu instid0(VALU_DEP_1) | instskip(NEXT) | instid1(VALU_DEP_1)
	v_add_f32_e32 v5, v25, v4
	v_cndmask_b32_e64 v5, v25, v5, s4
	s_delay_alu instid0(VALU_DEP_1) | instskip(NEXT) | instid1(VALU_DEP_1)
	v_add_f32_e32 v6, v23, v5
	v_cndmask_b32_e64 v6, v23, v6, s5
	s_delay_alu instid0(VALU_DEP_1) | instskip(NEXT) | instid1(VALU_DEP_1)
	v_add_f32_e32 v7, v22, v6
	v_cndmask_b32_e64 v7, v22, v7, s6
	s_delay_alu instid0(VALU_DEP_1) | instskip(NEXT) | instid1(VALU_DEP_1)
	v_add_f32_e32 v8, v20, v7
	v_cndmask_b32_e64 v8, v20, v8, s7
	s_delay_alu instid0(VALU_DEP_1) | instskip(NEXT) | instid1(VALU_DEP_1)
	v_add_f32_e32 v9, v19, v8
	v_cndmask_b32_e64 v9, v19, v9, s8
	s_delay_alu instid0(VALU_DEP_1) | instskip(NEXT) | instid1(VALU_DEP_1)
	v_add_f32_e32 v10, v18, v9
	v_cndmask_b32_e64 v10, v18, v10, s9
	s_delay_alu instid0(VALU_DEP_1) | instskip(NEXT) | instid1(VALU_DEP_1)
	v_add_f32_e32 v11, v17, v10
	v_cndmask_b32_e64 v11, v17, v11, s10
	s_delay_alu instid0(VALU_DEP_1) | instskip(NEXT) | instid1(VALU_DEP_1)
	v_add_f32_e32 v12, v1, v11
	v_cndmask_b32_e64 v12, v1, v12, s11
	s_delay_alu instid0(VALU_DEP_1) | instskip(NEXT) | instid1(VALU_DEP_1)
	v_add_f32_e32 v13, v16, v12
	v_cndmask_b32_e64 v13, v16, v13, s12
	s_branch .LBB1707_137
.LBB1707_182:
	s_cmp_eq_u64 s[30:31], 0
	v_mov_b32_e32 v47, s33
	s_cselect_b32 s1, -1, 0
	s_cmp_eq_u64 s[26:27], 0
	s_cselect_b32 s4, -1, 0
	s_delay_alu instid0(SALU_CYCLE_1) | instskip(NEXT) | instid1(SALU_CYCLE_1)
	s_or_b32 s1, s1, s4
	s_and_b32 vcc_lo, exec_lo, s1
	s_cbranch_vccnz .LBB1707_184
; %bb.183:
	v_mov_b32_e32 v2, 0
	global_load_b32 v47, v2, s[26:27]
.LBB1707_184:
	v_cmp_eq_u16_e32 vcc_lo, 0, v46
	v_cmp_eq_u16_e64 s1, 0, v45
	v_cmp_eq_u16_e64 s4, 0, v44
	;; [unrolled: 1-line block ×4, first 2 shown]
	s_wait_xcnt 0x0
	v_dual_cndmask_b32 v2, v15, v43, vcc_lo :: v_dual_bitop2_b32 v4, 56, v34 bitop3:0x40
	v_cmp_eq_u16_e64 s7, 0, v40
	v_cmp_eq_u16_e64 s8, 0, v39
	;; [unrolled: 1-line block ×3, first 2 shown]
	s_delay_alu instid0(VALU_DEP_4)
	v_add_f32_e32 v2, v25, v2
	v_cmp_eq_u16_e64 s10, 0, v37
	v_bitop3_b16 v3, v36, v26, v28 bitop3:0xfe
	v_cmp_eq_u16_e64 s11, 0, v35
	v_lshl_add_u32 v4, v0, 3, v4
	v_cndmask_b32_e64 v2, v25, v2, s1
	s_mov_b32 s14, exec_lo
	v_bitop3_b16 v3, v3, v29, v24 bitop3:0xfe
	s_delay_alu instid0(VALU_DEP_2) | instskip(NEXT) | instid1(VALU_DEP_2)
	v_add_f32_e32 v2, v23, v2
	v_bitop3_b16 v3, v33, 0xff, v3 bitop3:0xc8
	s_delay_alu instid0(VALU_DEP_2) | instskip(NEXT) | instid1(VALU_DEP_2)
	v_cndmask_b32_e64 v2, v23, v2, s4
	v_cmp_eq_u16_e64 s12, 0, v3
	s_delay_alu instid0(VALU_DEP_2) | instskip(NEXT) | instid1(VALU_DEP_2)
	v_add_f32_e32 v2, v22, v2
	v_cndmask_b32_e64 v3, 1, v30, s12
	v_cmp_eq_u16_e64 s12, 0, v31
	s_delay_alu instid0(VALU_DEP_3) | instskip(NEXT) | instid1(VALU_DEP_1)
	v_cndmask_b32_e64 v2, v22, v2, s5
	v_add_f32_e32 v2, v20, v2
	s_delay_alu instid0(VALU_DEP_1) | instskip(NEXT) | instid1(VALU_DEP_1)
	v_cndmask_b32_e64 v2, v20, v2, s6
	v_add_f32_e32 v2, v19, v2
	s_delay_alu instid0(VALU_DEP_1) | instskip(NEXT) | instid1(VALU_DEP_1)
	;; [unrolled: 3-line block ×6, first 2 shown]
	v_cndmask_b32_e64 v2, v16, v2, s11
	v_add_f32_e32 v2, v21, v2
	s_delay_alu instid0(VALU_DEP_1) | instskip(SKIP_1) | instid1(VALU_DEP_1)
	v_cndmask_b32_e64 v5, v21, v2, s12
	v_cmp_eq_u32_e64 s12, 1, v32
	v_cndmask_b32_e64 v6, v3, 1, s12
	ds_store_b32 v4, v5
	ds_store_b8 v4, v6 offset:4
	s_wait_loadcnt_dscnt 0x0
	s_barrier_signal -1
	s_barrier_wait -1
	v_cmpx_gt_u32_e32 32, v0
	s_cbranch_execz .LBB1707_196
; %bb.185:
	v_dual_lshlrev_b32 v2, 1, v0 :: v_dual_lshlrev_b32 v3, 6, v0
	s_mov_b32 s15, exec_lo
	s_delay_alu instid0(VALU_DEP_1) | instskip(NEXT) | instid1(VALU_DEP_1)
	v_and_b32_e32 v2, 0x1f8, v2
	v_add_nc_u32_e32 v4, v2, v3
	ds_load_2addr_b32 v[8:9], v4 offset0:2 offset1:4
	ds_load_b64 v[2:3], v4
	ds_load_u8 v7, v4 offset:12
	ds_load_2addr_b32 v[10:11], v4 offset0:6 offset1:8
	ds_load_u8 v12, v4 offset:20
	ds_load_u8 v13, v4 offset:28
	;; [unrolled: 1-line block ×5, first 2 shown]
	ds_load_b32 v28, v4 offset:56
	s_wait_dscnt 0x8
	v_add_f32_e32 v29, v2, v8
	s_wait_dscnt 0x7
	v_cmp_eq_u16_e64 s12, 0, v7
	s_wait_dscnt 0x5
	v_or_b32_e32 v7, v12, v7
	s_delay_alu instid0(VALU_DEP_2) | instskip(SKIP_2) | instid1(VALU_DEP_3)
	v_cndmask_b32_e64 v8, v8, v29, s12
	v_cmp_eq_u16_e64 s12, 0, v12
	s_wait_dscnt 0x3
	v_bitop3_b16 v7, v7, v21, v13 bitop3:0xfe
	s_delay_alu instid0(VALU_DEP_3) | instskip(NEXT) | instid1(VALU_DEP_1)
	v_add_f32_e32 v8, v9, v8
	v_cndmask_b32_e64 v29, v9, v8, s12
	ds_load_2addr_b32 v[8:9], v4 offset0:10 offset1:12
	v_cmp_eq_u16_e64 s12, 0, v13
	v_and_b32_e32 v13, 0xffffff00, v3
	v_add_f32_e32 v29, v10, v29
	s_delay_alu instid0(VALU_DEP_1) | instskip(SKIP_3) | instid1(VALU_DEP_1)
	v_cndmask_b32_e64 v10, v10, v29, s12
	v_cmp_eq_u16_e64 s12, 0, v21
	ds_load_u8 v29, v4 offset:60
	v_add_f32_e32 v10, v11, v10
	v_cndmask_b32_e64 v10, v11, v10, s12
	s_wait_dscnt 0x4
	v_cmp_eq_u16_e64 s12, 0, v24
	s_wait_dscnt 0x1
	s_delay_alu instid0(VALU_DEP_2) | instskip(NEXT) | instid1(VALU_DEP_1)
	v_add_f32_e32 v10, v8, v10
	v_cndmask_b32_e64 v8, v8, v10, s12
	v_bitop3_b16 v10, v7, v26, v24 bitop3:0xfe
	v_and_b32_e32 v7, 1, v3
	s_wait_dscnt 0x0
	v_and_b32_e32 v11, 1, v29
	s_delay_alu instid0(VALU_DEP_3) | instskip(NEXT) | instid1(VALU_DEP_1)
	v_cmp_eq_u16_e64 s12, 0, v10
	v_dual_add_f32 v8, v9, v8 :: v_dual_cndmask_b32 v10, 1, v7, s12
	v_cmp_eq_u16_e64 s12, 0, v26
	s_delay_alu instid0(VALU_DEP_1) | instskip(SKIP_1) | instid1(VALU_DEP_1)
	v_cndmask_b32_e64 v8, v9, v8, s12
	v_cmp_eq_u32_e64 s12, 1, v11
	v_cndmask_b32_e64 v11, v10, 1, s12
	v_cmp_eq_u16_e64 s12, 0, v29
	s_delay_alu instid0(VALU_DEP_2) | instskip(SKIP_1) | instid1(VALU_DEP_2)
	v_dual_add_f32 v9, v28, v8 :: v_dual_bitop2_b32 v10, v11, v13 bitop3:0x54
	v_mbcnt_lo_u32_b32 v8, -1, 0
	v_mov_b32_dpp v24, v10 row_shr:1 row_mask:0xf bank_mask:0xf
	s_delay_alu instid0(VALU_DEP_2) | instskip(NEXT) | instid1(VALU_DEP_1)
	v_dual_cndmask_b32 v9, v28, v9, s12 :: v_dual_bitop2_b32 v12, 15, v8 bitop3:0x40
	v_mov_b32_dpp v21, v9 row_shr:1 row_mask:0xf bank_mask:0xf
	s_delay_alu instid0(VALU_DEP_2)
	v_cmpx_ne_u32_e32 0, v12
	s_cbranch_execz .LBB1707_187
; %bb.186:
	s_delay_alu instid0(VALU_DEP_2) | instskip(SKIP_2) | instid1(VALU_DEP_3)
	v_dual_add_f32 v21, v9, v21 :: v_dual_bitop2_b32 v10, 1, v11 bitop3:0x40
	v_cmp_eq_u32_e64 s12, 0, v11
	v_and_b32_e32 v24, 1, v24
	v_cmp_eq_u32_e64 s13, 1, v10
	s_delay_alu instid0(VALU_DEP_3) | instskip(NEXT) | instid1(VALU_DEP_2)
	v_cndmask_b32_e64 v9, v9, v21, s12
	v_cndmask_b32_e64 v11, v24, 1, s13
	s_delay_alu instid0(VALU_DEP_1)
	v_or_b32_e32 v10, v11, v13
.LBB1707_187:
	s_or_b32 exec_lo, exec_lo, s15
	s_delay_alu instid0(VALU_DEP_3) | instskip(NEXT) | instid1(VALU_DEP_2)
	v_mov_b32_dpp v13, v9 row_shr:2 row_mask:0xf bank_mask:0xf
	v_mov_b32_dpp v21, v10 row_shr:2 row_mask:0xf bank_mask:0xf
	s_mov_b32 s15, exec_lo
	v_cmpx_lt_u32_e32 1, v12
	s_cbranch_execz .LBB1707_189
; %bb.188:
	v_dual_add_f32 v13, v9, v13 :: v_dual_bitop2_b32 v24, 1, v11 bitop3:0x40
	v_and_b32_e32 v21, 1, v21
	v_cmp_eq_u32_e64 s12, 0, v11
	s_delay_alu instid0(VALU_DEP_3) | instskip(NEXT) | instid1(VALU_DEP_2)
	v_cmp_eq_u32_e64 s13, 1, v24
	v_cndmask_b32_e64 v9, v9, v13, s12
	s_delay_alu instid0(VALU_DEP_2) | instskip(NEXT) | instid1(VALU_DEP_1)
	v_cndmask_b32_e64 v11, v21, 1, s13
	v_and_or_b32 v10, 0xffffff00, v10, v11
.LBB1707_189:
	s_or_b32 exec_lo, exec_lo, s15
	s_delay_alu instid0(VALU_DEP_3) | instskip(NEXT) | instid1(VALU_DEP_2)
	v_mov_b32_dpp v13, v9 row_shr:4 row_mask:0xf bank_mask:0xf
	v_mov_b32_dpp v21, v10 row_shr:4 row_mask:0xf bank_mask:0xf
	s_mov_b32 s15, exec_lo
	v_cmpx_lt_u32_e32 3, v12
	s_cbranch_execz .LBB1707_191
; %bb.190:
	v_dual_add_f32 v13, v9, v13 :: v_dual_bitop2_b32 v24, 1, v11 bitop3:0x40
	v_and_b32_e32 v21, 1, v21
	v_cmp_eq_u32_e64 s12, 0, v11
	s_delay_alu instid0(VALU_DEP_3) | instskip(NEXT) | instid1(VALU_DEP_2)
	v_cmp_eq_u32_e64 s13, 1, v24
	v_cndmask_b32_e64 v9, v9, v13, s12
	s_delay_alu instid0(VALU_DEP_2) | instskip(NEXT) | instid1(VALU_DEP_1)
	v_cndmask_b32_e64 v11, v21, 1, s13
	v_and_or_b32 v10, 0xffffff00, v10, v11
.LBB1707_191:
	s_or_b32 exec_lo, exec_lo, s15
	s_delay_alu instid0(VALU_DEP_3) | instskip(NEXT) | instid1(VALU_DEP_2)
	v_mov_b32_dpp v13, v9 row_shr:8 row_mask:0xf bank_mask:0xf
	v_mov_b32_dpp v21, v10 row_shr:8 row_mask:0xf bank_mask:0xf
	s_mov_b32 s15, exec_lo
	v_cmpx_lt_u32_e32 7, v12
	s_cbranch_execz .LBB1707_193
; %bb.192:
	v_dual_add_f32 v13, v9, v13 :: v_dual_bitop2_b32 v12, 1, v11 bitop3:0x40
	v_and_b32_e32 v21, 1, v21
	v_cmp_eq_u32_e64 s12, 0, v11
	s_delay_alu instid0(VALU_DEP_3) | instskip(NEXT) | instid1(VALU_DEP_2)
	v_cmp_eq_u32_e64 s13, 1, v12
	v_cndmask_b32_e64 v9, v9, v13, s12
	s_delay_alu instid0(VALU_DEP_2) | instskip(NEXT) | instid1(VALU_DEP_1)
	v_cndmask_b32_e64 v11, v21, 1, s13
	v_and_or_b32 v10, 0xffffff00, v10, v11
.LBB1707_193:
	s_or_b32 exec_lo, exec_lo, s15
	ds_swizzle_b32 v12, v9 offset:swizzle(BROADCAST,32,15)
	ds_swizzle_b32 v13, v10 offset:swizzle(BROADCAST,32,15)
	v_and_b32_e32 v21, 16, v8
	s_mov_b32 s13, exec_lo
	s_delay_alu instid0(VALU_DEP_1)
	v_cmpx_ne_u32_e32 0, v21
	s_cbranch_execz .LBB1707_195
; %bb.194:
	s_wait_dscnt 0x1
	v_dual_add_f32 v12, v9, v12 :: v_dual_bitop2_b32 v21, 1, v11 bitop3:0x40
	s_wait_dscnt 0x0
	v_and_b32_e32 v13, 1, v13
	s_delay_alu instid0(VALU_DEP_2) | instskip(NEXT) | instid1(VALU_DEP_1)
	v_cmp_eq_u32_e64 s12, 1, v21
	v_cndmask_b32_e64 v13, v13, 1, s12
	v_cmp_eq_u32_e64 s12, 0, v11
	s_delay_alu instid0(VALU_DEP_2) | instskip(NEXT) | instid1(VALU_DEP_2)
	v_and_or_b32 v10, 0xffffff00, v10, v13
	v_cndmask_b32_e64 v9, v9, v12, s12
.LBB1707_195:
	s_or_b32 exec_lo, exec_lo, s13
	v_add_nc_u32_e32 v11, -1, v8
	v_and_b32_e32 v3, 0xff, v3
	; wave barrier
	s_delay_alu instid0(VALU_DEP_2) | instskip(NEXT) | instid1(VALU_DEP_1)
	v_cmp_gt_i32_e64 s12, 0, v11
	v_cndmask_b32_e64 v8, v11, v8, s12
	s_delay_alu instid0(VALU_DEP_3) | instskip(NEXT) | instid1(VALU_DEP_2)
	v_cmp_eq_u32_e64 s12, 0, v3
	v_lshlrev_b32_e32 v8, 2, v8
	ds_bpermute_b32 v9, v8, v9
	ds_bpermute_b32 v8, v8, v10
	s_wait_dscnt 0x0
	v_dual_add_f32 v9, v2, v9 :: v_dual_bitop2_b32 v8, 1, v8 bitop3:0x40
	s_delay_alu instid0(VALU_DEP_1) | instskip(SKIP_1) | instid1(VALU_DEP_1)
	v_cndmask_b32_e64 v2, v2, v9, s12
	v_cmp_eq_u32_e64 s12, 1, v7
	v_cndmask_b32_e64 v3, v8, 1, s12
	s_delay_alu instid0(VALU_DEP_1)
	v_dual_cndmask_b32 v5, v2, v5, s2 :: v_dual_cndmask_b32 v8, v3, v6, s2
	ds_store_b32 v4, v5
	ds_store_b8 v4, v8 offset:4
	; wave barrier
	ds_load_2addr_b32 v[2:3], v4 offset0:2 offset1:4
	ds_load_u8 v9, v4 offset:12
	ds_load_u8 v10, v4 offset:20
	ds_load_2addr_b32 v[6:7], v4 offset0:6 offset1:8
	ds_load_u8 v11, v4 offset:28
	ds_load_u8 v12, v4 offset:36
	;; [unrolled: 1-line block ×4, first 2 shown]
	ds_load_b32 v24, v4 offset:56
	ds_load_u8 v26, v4 offset:60
	s_wait_dscnt 0x9
	v_add_f32_e32 v5, v5, v2
	s_wait_dscnt 0x8
	v_cmp_eq_u16_e64 s12, 0, v9
	s_delay_alu instid0(VALU_DEP_1) | instskip(SKIP_2) | instid1(VALU_DEP_2)
	v_cndmask_b32_e64 v5, v2, v5, s12
	s_wait_dscnt 0x7
	v_cmp_eq_u16_e64 s12, 0, v10
	v_add_f32_e32 v2, v5, v3
	s_delay_alu instid0(VALU_DEP_1)
	v_cndmask_b32_e64 v28, v3, v2, s12
	s_wait_dscnt 0x5
	v_cmp_eq_u16_e64 s12, 0, v11
	ds_load_2addr_b32 v[2:3], v4 offset0:10 offset1:12
	v_add_f32_e32 v29, v28, v6
	ds_store_2addr_b32 v4, v5, v28 offset0:2 offset1:4
	v_cndmask_b32_e64 v6, v6, v29, s12
	s_delay_alu instid0(VALU_DEP_1) | instskip(NEXT) | instid1(VALU_DEP_1)
	v_dual_add_f32 v29, v6, v7 :: v_dual_bitop2_b32 v9, 1, v9 bitop3:0x40
	v_cmp_eq_u32_e64 s12, 1, v9
	s_delay_alu instid0(VALU_DEP_1) | instskip(SKIP_2) | instid1(VALU_DEP_1)
	v_cndmask_b32_e64 v8, v8, 1, s12
	s_wait_dscnt 0x6
	v_cmp_eq_u16_e64 s12, 0, v12
	v_dual_cndmask_b32 v7, v7, v29, s12 :: v_dual_bitop2_b32 v10, 1, v10 bitop3:0x40
	v_and_b32_e32 v9, 1, v11
	s_delay_alu instid0(VALU_DEP_2) | instskip(SKIP_1) | instid1(VALU_DEP_3)
	v_cmp_eq_u32_e64 s12, 1, v10
	s_wait_dscnt 0x1
	v_dual_add_f32 v12, v7, v2 :: v_dual_bitop2_b32 v11, 1, v12 bitop3:0x40
	s_delay_alu instid0(VALU_DEP_2) | instskip(SKIP_1) | instid1(VALU_DEP_1)
	v_cndmask_b32_e64 v10, v8, 1, s12
	v_cmp_eq_u32_e64 s12, 1, v9
	v_cndmask_b32_e64 v9, v10, 1, s12
	v_cmp_eq_u16_e64 s12, 0, v13
	s_delay_alu instid0(VALU_DEP_1) | instskip(SKIP_1) | instid1(VALU_DEP_2)
	v_dual_cndmask_b32 v2, v2, v12, s12 :: v_dual_bitop2_b32 v29, 1, v13 bitop3:0x40
	v_cmp_eq_u32_e64 s12, 1, v11
	v_add_f32_e32 v13, v2, v3
	s_delay_alu instid0(VALU_DEP_2) | instskip(NEXT) | instid1(VALU_DEP_4)
	v_cndmask_b32_e64 v11, v9, 1, s12
	v_cmp_eq_u32_e64 s12, 1, v29
	s_delay_alu instid0(VALU_DEP_1) | instskip(SKIP_1) | instid1(VALU_DEP_1)
	v_cndmask_b32_e64 v29, v11, 1, s12
	v_cmp_eq_u16_e64 s12, 0, v21
	v_dual_cndmask_b32 v3, v3, v13, s12 :: v_dual_bitop2_b32 v31, 1, v26 bitop3:0x40
	v_and_b32_e32 v12, 1, v21
	ds_store_2addr_b32 v4, v6, v7 offset0:6 offset1:8
	ds_store_2addr_b32 v4, v2, v3 offset0:10 offset1:12
	v_add_f32_e32 v5, v3, v24
	v_cmp_eq_u32_e64 s12, 1, v12
	s_delay_alu instid0(VALU_DEP_1) | instskip(SKIP_1) | instid1(VALU_DEP_1)
	v_cndmask_b32_e64 v12, v29, 1, s12
	v_cmp_eq_u32_e64 s12, 1, v31
	v_cndmask_b32_e64 v13, v12, 1, s12
	v_cmp_eq_u16_e64 s12, 0, v26
	s_delay_alu instid0(VALU_DEP_1)
	v_cndmask_b32_e64 v2, v24, v5, s12
	ds_store_b8 v4, v8 offset:12
	ds_store_b8 v4, v10 offset:20
	;; [unrolled: 1-line block ×6, first 2 shown]
	ds_store_b32 v4, v2 offset:56
	ds_store_b8 v4, v13 offset:60
.LBB1707_196:
	s_or_b32 exec_lo, exec_lo, s14
	v_mov_b32_e32 v2, v47
	s_wait_dscnt 0x0
	s_barrier_signal -1
	s_barrier_wait -1
	s_and_saveexec_b32 s12, s3
	s_cbranch_execz .LBB1707_198
; %bb.197:
	v_add_nc_u32_e32 v2, -1, v0
	s_delay_alu instid0(VALU_DEP_1) | instskip(NEXT) | instid1(VALU_DEP_1)
	v_lshrrev_b32_e32 v3, 2, v2
	v_and_b32_e32 v3, 0x3ffffff8, v3
	s_delay_alu instid0(VALU_DEP_1)
	v_lshl_add_u32 v2, v2, 3, v3
	ds_load_b32 v3, v2
	ds_load_u8 v2, v2 offset:4
	s_wait_dscnt 0x1
	v_add_f32_e32 v4, v47, v3
	s_wait_dscnt 0x0
	v_cmp_eq_u16_e64 s3, 0, v2
	s_delay_alu instid0(VALU_DEP_1)
	v_cndmask_b32_e64 v2, v3, v4, s3
.LBB1707_198:
	s_or_b32 exec_lo, exec_lo, s12
	s_delay_alu instid0(VALU_DEP_1) | instskip(SKIP_1) | instid1(VALU_DEP_1)
	v_add_f32_e32 v3, v27, v2
	v_cmp_eq_u16_e64 s3, 0, v30
	v_cndmask_b32_e64 v3, v27, v3, s3
	s_delay_alu instid0(VALU_DEP_1) | instskip(NEXT) | instid1(VALU_DEP_1)
	v_add_f32_e32 v4, v15, v3
	v_cndmask_b32_e32 v4, v15, v4, vcc_lo
	s_delay_alu instid0(VALU_DEP_1) | instskip(NEXT) | instid1(VALU_DEP_1)
	v_add_f32_e32 v5, v25, v4
	v_cndmask_b32_e64 v5, v25, v5, s1
	s_delay_alu instid0(VALU_DEP_1) | instskip(NEXT) | instid1(VALU_DEP_1)
	v_add_f32_e32 v6, v23, v5
	v_cndmask_b32_e64 v6, v23, v6, s4
	;; [unrolled: 3-line block ×9, first 2 shown]
	s_and_saveexec_b32 s1, s2
	s_cbranch_execz .LBB1707_200
; %bb.199:
	v_mov_b32_e32 v21, 0
	s_add_nc_u64 s[2:3], s[20:21], 0x200
	ds_load_u8 v1, v21 offset:2100
	ds_load_b32 v15, v21 offset:2096
	s_wait_dscnt 0x1
	v_and_b32_e32 v20, 0xffff, v1
	s_wait_dscnt 0x0
	v_dual_add_f32 v1, v47, v15 :: v_dual_mov_b32 v18, 2
	v_mov_b32_e32 v19, v21
	s_delay_alu instid0(VALU_DEP_3)
	v_cmp_eq_u64_e32 vcc_lo, 0, v[20:21]
	v_mov_b32_e32 v17, v20
	v_mov_b64_e32 v[20:21], s[2:3]
	v_cndmask_b32_e32 v16, v15, v1, vcc_lo
	;;#ASMSTART
	global_store_b128 v[20:21], v[16:19] off scope:SCOPE_DEV	
s_wait_storecnt 0x0
	;;#ASMEND
.LBB1707_200:
	s_or_b32 exec_lo, exec_lo, s1
	s_add_nc_u64 s[2:3], s[18:19], s[28:29]
	s_and_b32 vcc_lo, exec_lo, s0
	s_add_nc_u64 s[0:1], s[2:3], s[16:17]
	s_cbranch_vccnz .LBB1707_138
.LBB1707_201:
	s_mov_b32 s2, 0
                                        ; implicit-def: $vgpr17
	s_cbranch_execz .LBB1707_203
; %bb.202:
	v_mul_u32_u24_e32 v1, 48, v0
	v_mul_i32_i24_e32 v14, 0xffffffd4, v0
	s_wait_storecnt_dscnt 0x0
	s_barrier_signal -1
	s_barrier_wait -1
	ds_store_b128 v1, v[2:5]
	ds_store_b128 v1, v[6:9] offset:16
	ds_store_b128 v1, v[10:13] offset:32
	v_mad_u32_u24 v1, v0, 48, v14
	s_wait_dscnt 0x0
	s_barrier_signal -1
	s_barrier_wait -1
	ds_load_2addr_stride64_b32 v[2:3], v1 offset1:4
	ds_load_2addr_stride64_b32 v[4:5], v1 offset0:8 offset1:12
	ds_load_2addr_stride64_b32 v[6:7], v1 offset0:16 offset1:20
	;; [unrolled: 1-line block ×5, first 2 shown]
	s_or_b32 s2, s2, exec_lo
	s_wait_dscnt 0x5
	s_clause 0x1
	flat_store_b32 v0, v2, s[0:1] scale_offset
	flat_store_b32 v0, v3, s[0:1] offset:1024 scale_offset
	s_wait_dscnt 0x6
	s_clause 0x1
	flat_store_b32 v0, v4, s[0:1] offset:2048 scale_offset
	flat_store_b32 v0, v5, s[0:1] offset:3072 scale_offset
	s_wait_dscnt 0x7
	s_clause 0x1
	flat_store_b32 v0, v6, s[0:1] offset:4096 scale_offset
	;; [unrolled: 4-line block ×4, first 2 shown]
	flat_store_b32 v0, v11, s[0:1] offset:9216 scale_offset
	s_wait_dscnt 0xa
	flat_store_b32 v0, v16, s[0:1] offset:10240 scale_offset
.LBB1707_203:
	s_wait_xcnt 0x0
	s_delay_alu instid0(VALU_DEP_1)
	s_and_saveexec_b32 s3, s2
	s_cbranch_execz .LBB1707_205
; %bb.204:
	s_wait_dscnt 0x0
	flat_store_b32 v0, v17, s[0:1] offset:11264 scale_offset
	s_endpgm
.LBB1707_205:
	s_endpgm
	.section	.rodata,"a",@progbits
	.p2align	6, 0x0
	.amdhsa_kernel _ZN7rocprim17ROCPRIM_400000_NS6detail17trampoline_kernelINS0_14default_configENS1_27scan_by_key_config_selectorIifEEZZNS1_16scan_by_key_implILNS1_25lookback_scan_determinismE0ELb1ES3_N6thrust23THRUST_200600_302600_NS6detail15normal_iteratorINS9_10device_ptrIiEEEENSB_INSC_IjEEEENSB_INSC_IfEEEEfNS9_4plusIvEENS9_8equal_toIvEEfEE10hipError_tPvRmT2_T3_T4_T5_mT6_T7_P12ihipStream_tbENKUlT_T0_E_clISt17integral_constantIbLb0EES12_IbLb1EEEEDaSY_SZ_EUlSY_E_NS1_11comp_targetILNS1_3genE0ELNS1_11target_archE4294967295ELNS1_3gpuE0ELNS1_3repE0EEENS1_30default_config_static_selectorELNS0_4arch9wavefront6targetE0EEEvT1_
		.amdhsa_group_segment_fixed_size 14336
		.amdhsa_private_segment_fixed_size 0
		.amdhsa_kernarg_size 112
		.amdhsa_user_sgpr_count 2
		.amdhsa_user_sgpr_dispatch_ptr 0
		.amdhsa_user_sgpr_queue_ptr 0
		.amdhsa_user_sgpr_kernarg_segment_ptr 1
		.amdhsa_user_sgpr_dispatch_id 0
		.amdhsa_user_sgpr_kernarg_preload_length 0
		.amdhsa_user_sgpr_kernarg_preload_offset 0
		.amdhsa_user_sgpr_private_segment_size 0
		.amdhsa_wavefront_size32 1
		.amdhsa_uses_dynamic_stack 0
		.amdhsa_enable_private_segment 0
		.amdhsa_system_sgpr_workgroup_id_x 1
		.amdhsa_system_sgpr_workgroup_id_y 0
		.amdhsa_system_sgpr_workgroup_id_z 0
		.amdhsa_system_sgpr_workgroup_info 0
		.amdhsa_system_vgpr_workitem_id 0
		.amdhsa_next_free_vgpr 62
		.amdhsa_next_free_sgpr 50
		.amdhsa_named_barrier_count 0
		.amdhsa_reserve_vcc 1
		.amdhsa_float_round_mode_32 0
		.amdhsa_float_round_mode_16_64 0
		.amdhsa_float_denorm_mode_32 3
		.amdhsa_float_denorm_mode_16_64 3
		.amdhsa_fp16_overflow 0
		.amdhsa_memory_ordered 1
		.amdhsa_forward_progress 1
		.amdhsa_inst_pref_size 105
		.amdhsa_round_robin_scheduling 0
		.amdhsa_exception_fp_ieee_invalid_op 0
		.amdhsa_exception_fp_denorm_src 0
		.amdhsa_exception_fp_ieee_div_zero 0
		.amdhsa_exception_fp_ieee_overflow 0
		.amdhsa_exception_fp_ieee_underflow 0
		.amdhsa_exception_fp_ieee_inexact 0
		.amdhsa_exception_int_div_zero 0
	.end_amdhsa_kernel
	.section	.text._ZN7rocprim17ROCPRIM_400000_NS6detail17trampoline_kernelINS0_14default_configENS1_27scan_by_key_config_selectorIifEEZZNS1_16scan_by_key_implILNS1_25lookback_scan_determinismE0ELb1ES3_N6thrust23THRUST_200600_302600_NS6detail15normal_iteratorINS9_10device_ptrIiEEEENSB_INSC_IjEEEENSB_INSC_IfEEEEfNS9_4plusIvEENS9_8equal_toIvEEfEE10hipError_tPvRmT2_T3_T4_T5_mT6_T7_P12ihipStream_tbENKUlT_T0_E_clISt17integral_constantIbLb0EES12_IbLb1EEEEDaSY_SZ_EUlSY_E_NS1_11comp_targetILNS1_3genE0ELNS1_11target_archE4294967295ELNS1_3gpuE0ELNS1_3repE0EEENS1_30default_config_static_selectorELNS0_4arch9wavefront6targetE0EEEvT1_,"axG",@progbits,_ZN7rocprim17ROCPRIM_400000_NS6detail17trampoline_kernelINS0_14default_configENS1_27scan_by_key_config_selectorIifEEZZNS1_16scan_by_key_implILNS1_25lookback_scan_determinismE0ELb1ES3_N6thrust23THRUST_200600_302600_NS6detail15normal_iteratorINS9_10device_ptrIiEEEENSB_INSC_IjEEEENSB_INSC_IfEEEEfNS9_4plusIvEENS9_8equal_toIvEEfEE10hipError_tPvRmT2_T3_T4_T5_mT6_T7_P12ihipStream_tbENKUlT_T0_E_clISt17integral_constantIbLb0EES12_IbLb1EEEEDaSY_SZ_EUlSY_E_NS1_11comp_targetILNS1_3genE0ELNS1_11target_archE4294967295ELNS1_3gpuE0ELNS1_3repE0EEENS1_30default_config_static_selectorELNS0_4arch9wavefront6targetE0EEEvT1_,comdat
.Lfunc_end1707:
	.size	_ZN7rocprim17ROCPRIM_400000_NS6detail17trampoline_kernelINS0_14default_configENS1_27scan_by_key_config_selectorIifEEZZNS1_16scan_by_key_implILNS1_25lookback_scan_determinismE0ELb1ES3_N6thrust23THRUST_200600_302600_NS6detail15normal_iteratorINS9_10device_ptrIiEEEENSB_INSC_IjEEEENSB_INSC_IfEEEEfNS9_4plusIvEENS9_8equal_toIvEEfEE10hipError_tPvRmT2_T3_T4_T5_mT6_T7_P12ihipStream_tbENKUlT_T0_E_clISt17integral_constantIbLb0EES12_IbLb1EEEEDaSY_SZ_EUlSY_E_NS1_11comp_targetILNS1_3genE0ELNS1_11target_archE4294967295ELNS1_3gpuE0ELNS1_3repE0EEENS1_30default_config_static_selectorELNS0_4arch9wavefront6targetE0EEEvT1_, .Lfunc_end1707-_ZN7rocprim17ROCPRIM_400000_NS6detail17trampoline_kernelINS0_14default_configENS1_27scan_by_key_config_selectorIifEEZZNS1_16scan_by_key_implILNS1_25lookback_scan_determinismE0ELb1ES3_N6thrust23THRUST_200600_302600_NS6detail15normal_iteratorINS9_10device_ptrIiEEEENSB_INSC_IjEEEENSB_INSC_IfEEEEfNS9_4plusIvEENS9_8equal_toIvEEfEE10hipError_tPvRmT2_T3_T4_T5_mT6_T7_P12ihipStream_tbENKUlT_T0_E_clISt17integral_constantIbLb0EES12_IbLb1EEEEDaSY_SZ_EUlSY_E_NS1_11comp_targetILNS1_3genE0ELNS1_11target_archE4294967295ELNS1_3gpuE0ELNS1_3repE0EEENS1_30default_config_static_selectorELNS0_4arch9wavefront6targetE0EEEvT1_
                                        ; -- End function
	.set _ZN7rocprim17ROCPRIM_400000_NS6detail17trampoline_kernelINS0_14default_configENS1_27scan_by_key_config_selectorIifEEZZNS1_16scan_by_key_implILNS1_25lookback_scan_determinismE0ELb1ES3_N6thrust23THRUST_200600_302600_NS6detail15normal_iteratorINS9_10device_ptrIiEEEENSB_INSC_IjEEEENSB_INSC_IfEEEEfNS9_4plusIvEENS9_8equal_toIvEEfEE10hipError_tPvRmT2_T3_T4_T5_mT6_T7_P12ihipStream_tbENKUlT_T0_E_clISt17integral_constantIbLb0EES12_IbLb1EEEEDaSY_SZ_EUlSY_E_NS1_11comp_targetILNS1_3genE0ELNS1_11target_archE4294967295ELNS1_3gpuE0ELNS1_3repE0EEENS1_30default_config_static_selectorELNS0_4arch9wavefront6targetE0EEEvT1_.num_vgpr, 62
	.set _ZN7rocprim17ROCPRIM_400000_NS6detail17trampoline_kernelINS0_14default_configENS1_27scan_by_key_config_selectorIifEEZZNS1_16scan_by_key_implILNS1_25lookback_scan_determinismE0ELb1ES3_N6thrust23THRUST_200600_302600_NS6detail15normal_iteratorINS9_10device_ptrIiEEEENSB_INSC_IjEEEENSB_INSC_IfEEEEfNS9_4plusIvEENS9_8equal_toIvEEfEE10hipError_tPvRmT2_T3_T4_T5_mT6_T7_P12ihipStream_tbENKUlT_T0_E_clISt17integral_constantIbLb0EES12_IbLb1EEEEDaSY_SZ_EUlSY_E_NS1_11comp_targetILNS1_3genE0ELNS1_11target_archE4294967295ELNS1_3gpuE0ELNS1_3repE0EEENS1_30default_config_static_selectorELNS0_4arch9wavefront6targetE0EEEvT1_.num_agpr, 0
	.set _ZN7rocprim17ROCPRIM_400000_NS6detail17trampoline_kernelINS0_14default_configENS1_27scan_by_key_config_selectorIifEEZZNS1_16scan_by_key_implILNS1_25lookback_scan_determinismE0ELb1ES3_N6thrust23THRUST_200600_302600_NS6detail15normal_iteratorINS9_10device_ptrIiEEEENSB_INSC_IjEEEENSB_INSC_IfEEEEfNS9_4plusIvEENS9_8equal_toIvEEfEE10hipError_tPvRmT2_T3_T4_T5_mT6_T7_P12ihipStream_tbENKUlT_T0_E_clISt17integral_constantIbLb0EES12_IbLb1EEEEDaSY_SZ_EUlSY_E_NS1_11comp_targetILNS1_3genE0ELNS1_11target_archE4294967295ELNS1_3gpuE0ELNS1_3repE0EEENS1_30default_config_static_selectorELNS0_4arch9wavefront6targetE0EEEvT1_.numbered_sgpr, 50
	.set _ZN7rocprim17ROCPRIM_400000_NS6detail17trampoline_kernelINS0_14default_configENS1_27scan_by_key_config_selectorIifEEZZNS1_16scan_by_key_implILNS1_25lookback_scan_determinismE0ELb1ES3_N6thrust23THRUST_200600_302600_NS6detail15normal_iteratorINS9_10device_ptrIiEEEENSB_INSC_IjEEEENSB_INSC_IfEEEEfNS9_4plusIvEENS9_8equal_toIvEEfEE10hipError_tPvRmT2_T3_T4_T5_mT6_T7_P12ihipStream_tbENKUlT_T0_E_clISt17integral_constantIbLb0EES12_IbLb1EEEEDaSY_SZ_EUlSY_E_NS1_11comp_targetILNS1_3genE0ELNS1_11target_archE4294967295ELNS1_3gpuE0ELNS1_3repE0EEENS1_30default_config_static_selectorELNS0_4arch9wavefront6targetE0EEEvT1_.num_named_barrier, 0
	.set _ZN7rocprim17ROCPRIM_400000_NS6detail17trampoline_kernelINS0_14default_configENS1_27scan_by_key_config_selectorIifEEZZNS1_16scan_by_key_implILNS1_25lookback_scan_determinismE0ELb1ES3_N6thrust23THRUST_200600_302600_NS6detail15normal_iteratorINS9_10device_ptrIiEEEENSB_INSC_IjEEEENSB_INSC_IfEEEEfNS9_4plusIvEENS9_8equal_toIvEEfEE10hipError_tPvRmT2_T3_T4_T5_mT6_T7_P12ihipStream_tbENKUlT_T0_E_clISt17integral_constantIbLb0EES12_IbLb1EEEEDaSY_SZ_EUlSY_E_NS1_11comp_targetILNS1_3genE0ELNS1_11target_archE4294967295ELNS1_3gpuE0ELNS1_3repE0EEENS1_30default_config_static_selectorELNS0_4arch9wavefront6targetE0EEEvT1_.private_seg_size, 0
	.set _ZN7rocprim17ROCPRIM_400000_NS6detail17trampoline_kernelINS0_14default_configENS1_27scan_by_key_config_selectorIifEEZZNS1_16scan_by_key_implILNS1_25lookback_scan_determinismE0ELb1ES3_N6thrust23THRUST_200600_302600_NS6detail15normal_iteratorINS9_10device_ptrIiEEEENSB_INSC_IjEEEENSB_INSC_IfEEEEfNS9_4plusIvEENS9_8equal_toIvEEfEE10hipError_tPvRmT2_T3_T4_T5_mT6_T7_P12ihipStream_tbENKUlT_T0_E_clISt17integral_constantIbLb0EES12_IbLb1EEEEDaSY_SZ_EUlSY_E_NS1_11comp_targetILNS1_3genE0ELNS1_11target_archE4294967295ELNS1_3gpuE0ELNS1_3repE0EEENS1_30default_config_static_selectorELNS0_4arch9wavefront6targetE0EEEvT1_.uses_vcc, 1
	.set _ZN7rocprim17ROCPRIM_400000_NS6detail17trampoline_kernelINS0_14default_configENS1_27scan_by_key_config_selectorIifEEZZNS1_16scan_by_key_implILNS1_25lookback_scan_determinismE0ELb1ES3_N6thrust23THRUST_200600_302600_NS6detail15normal_iteratorINS9_10device_ptrIiEEEENSB_INSC_IjEEEENSB_INSC_IfEEEEfNS9_4plusIvEENS9_8equal_toIvEEfEE10hipError_tPvRmT2_T3_T4_T5_mT6_T7_P12ihipStream_tbENKUlT_T0_E_clISt17integral_constantIbLb0EES12_IbLb1EEEEDaSY_SZ_EUlSY_E_NS1_11comp_targetILNS1_3genE0ELNS1_11target_archE4294967295ELNS1_3gpuE0ELNS1_3repE0EEENS1_30default_config_static_selectorELNS0_4arch9wavefront6targetE0EEEvT1_.uses_flat_scratch, 1
	.set _ZN7rocprim17ROCPRIM_400000_NS6detail17trampoline_kernelINS0_14default_configENS1_27scan_by_key_config_selectorIifEEZZNS1_16scan_by_key_implILNS1_25lookback_scan_determinismE0ELb1ES3_N6thrust23THRUST_200600_302600_NS6detail15normal_iteratorINS9_10device_ptrIiEEEENSB_INSC_IjEEEENSB_INSC_IfEEEEfNS9_4plusIvEENS9_8equal_toIvEEfEE10hipError_tPvRmT2_T3_T4_T5_mT6_T7_P12ihipStream_tbENKUlT_T0_E_clISt17integral_constantIbLb0EES12_IbLb1EEEEDaSY_SZ_EUlSY_E_NS1_11comp_targetILNS1_3genE0ELNS1_11target_archE4294967295ELNS1_3gpuE0ELNS1_3repE0EEENS1_30default_config_static_selectorELNS0_4arch9wavefront6targetE0EEEvT1_.has_dyn_sized_stack, 0
	.set _ZN7rocprim17ROCPRIM_400000_NS6detail17trampoline_kernelINS0_14default_configENS1_27scan_by_key_config_selectorIifEEZZNS1_16scan_by_key_implILNS1_25lookback_scan_determinismE0ELb1ES3_N6thrust23THRUST_200600_302600_NS6detail15normal_iteratorINS9_10device_ptrIiEEEENSB_INSC_IjEEEENSB_INSC_IfEEEEfNS9_4plusIvEENS9_8equal_toIvEEfEE10hipError_tPvRmT2_T3_T4_T5_mT6_T7_P12ihipStream_tbENKUlT_T0_E_clISt17integral_constantIbLb0EES12_IbLb1EEEEDaSY_SZ_EUlSY_E_NS1_11comp_targetILNS1_3genE0ELNS1_11target_archE4294967295ELNS1_3gpuE0ELNS1_3repE0EEENS1_30default_config_static_selectorELNS0_4arch9wavefront6targetE0EEEvT1_.has_recursion, 0
	.set _ZN7rocprim17ROCPRIM_400000_NS6detail17trampoline_kernelINS0_14default_configENS1_27scan_by_key_config_selectorIifEEZZNS1_16scan_by_key_implILNS1_25lookback_scan_determinismE0ELb1ES3_N6thrust23THRUST_200600_302600_NS6detail15normal_iteratorINS9_10device_ptrIiEEEENSB_INSC_IjEEEENSB_INSC_IfEEEEfNS9_4plusIvEENS9_8equal_toIvEEfEE10hipError_tPvRmT2_T3_T4_T5_mT6_T7_P12ihipStream_tbENKUlT_T0_E_clISt17integral_constantIbLb0EES12_IbLb1EEEEDaSY_SZ_EUlSY_E_NS1_11comp_targetILNS1_3genE0ELNS1_11target_archE4294967295ELNS1_3gpuE0ELNS1_3repE0EEENS1_30default_config_static_selectorELNS0_4arch9wavefront6targetE0EEEvT1_.has_indirect_call, 0
	.section	.AMDGPU.csdata,"",@progbits
; Kernel info:
; codeLenInByte = 13372
; TotalNumSgprs: 52
; NumVgprs: 62
; ScratchSize: 0
; MemoryBound: 0
; FloatMode: 240
; IeeeMode: 1
; LDSByteSize: 14336 bytes/workgroup (compile time only)
; SGPRBlocks: 0
; VGPRBlocks: 3
; NumSGPRsForWavesPerEU: 52
; NumVGPRsForWavesPerEU: 62
; NamedBarCnt: 0
; Occupancy: 16
; WaveLimiterHint : 1
; COMPUTE_PGM_RSRC2:SCRATCH_EN: 0
; COMPUTE_PGM_RSRC2:USER_SGPR: 2
; COMPUTE_PGM_RSRC2:TRAP_HANDLER: 0
; COMPUTE_PGM_RSRC2:TGID_X_EN: 1
; COMPUTE_PGM_RSRC2:TGID_Y_EN: 0
; COMPUTE_PGM_RSRC2:TGID_Z_EN: 0
; COMPUTE_PGM_RSRC2:TIDIG_COMP_CNT: 0
	.section	.text._ZN7rocprim17ROCPRIM_400000_NS6detail17trampoline_kernelINS0_14default_configENS1_27scan_by_key_config_selectorIifEEZZNS1_16scan_by_key_implILNS1_25lookback_scan_determinismE0ELb1ES3_N6thrust23THRUST_200600_302600_NS6detail15normal_iteratorINS9_10device_ptrIiEEEENSB_INSC_IjEEEENSB_INSC_IfEEEEfNS9_4plusIvEENS9_8equal_toIvEEfEE10hipError_tPvRmT2_T3_T4_T5_mT6_T7_P12ihipStream_tbENKUlT_T0_E_clISt17integral_constantIbLb0EES12_IbLb1EEEEDaSY_SZ_EUlSY_E_NS1_11comp_targetILNS1_3genE10ELNS1_11target_archE1201ELNS1_3gpuE5ELNS1_3repE0EEENS1_30default_config_static_selectorELNS0_4arch9wavefront6targetE0EEEvT1_,"axG",@progbits,_ZN7rocprim17ROCPRIM_400000_NS6detail17trampoline_kernelINS0_14default_configENS1_27scan_by_key_config_selectorIifEEZZNS1_16scan_by_key_implILNS1_25lookback_scan_determinismE0ELb1ES3_N6thrust23THRUST_200600_302600_NS6detail15normal_iteratorINS9_10device_ptrIiEEEENSB_INSC_IjEEEENSB_INSC_IfEEEEfNS9_4plusIvEENS9_8equal_toIvEEfEE10hipError_tPvRmT2_T3_T4_T5_mT6_T7_P12ihipStream_tbENKUlT_T0_E_clISt17integral_constantIbLb0EES12_IbLb1EEEEDaSY_SZ_EUlSY_E_NS1_11comp_targetILNS1_3genE10ELNS1_11target_archE1201ELNS1_3gpuE5ELNS1_3repE0EEENS1_30default_config_static_selectorELNS0_4arch9wavefront6targetE0EEEvT1_,comdat
	.protected	_ZN7rocprim17ROCPRIM_400000_NS6detail17trampoline_kernelINS0_14default_configENS1_27scan_by_key_config_selectorIifEEZZNS1_16scan_by_key_implILNS1_25lookback_scan_determinismE0ELb1ES3_N6thrust23THRUST_200600_302600_NS6detail15normal_iteratorINS9_10device_ptrIiEEEENSB_INSC_IjEEEENSB_INSC_IfEEEEfNS9_4plusIvEENS9_8equal_toIvEEfEE10hipError_tPvRmT2_T3_T4_T5_mT6_T7_P12ihipStream_tbENKUlT_T0_E_clISt17integral_constantIbLb0EES12_IbLb1EEEEDaSY_SZ_EUlSY_E_NS1_11comp_targetILNS1_3genE10ELNS1_11target_archE1201ELNS1_3gpuE5ELNS1_3repE0EEENS1_30default_config_static_selectorELNS0_4arch9wavefront6targetE0EEEvT1_ ; -- Begin function _ZN7rocprim17ROCPRIM_400000_NS6detail17trampoline_kernelINS0_14default_configENS1_27scan_by_key_config_selectorIifEEZZNS1_16scan_by_key_implILNS1_25lookback_scan_determinismE0ELb1ES3_N6thrust23THRUST_200600_302600_NS6detail15normal_iteratorINS9_10device_ptrIiEEEENSB_INSC_IjEEEENSB_INSC_IfEEEEfNS9_4plusIvEENS9_8equal_toIvEEfEE10hipError_tPvRmT2_T3_T4_T5_mT6_T7_P12ihipStream_tbENKUlT_T0_E_clISt17integral_constantIbLb0EES12_IbLb1EEEEDaSY_SZ_EUlSY_E_NS1_11comp_targetILNS1_3genE10ELNS1_11target_archE1201ELNS1_3gpuE5ELNS1_3repE0EEENS1_30default_config_static_selectorELNS0_4arch9wavefront6targetE0EEEvT1_
	.globl	_ZN7rocprim17ROCPRIM_400000_NS6detail17trampoline_kernelINS0_14default_configENS1_27scan_by_key_config_selectorIifEEZZNS1_16scan_by_key_implILNS1_25lookback_scan_determinismE0ELb1ES3_N6thrust23THRUST_200600_302600_NS6detail15normal_iteratorINS9_10device_ptrIiEEEENSB_INSC_IjEEEENSB_INSC_IfEEEEfNS9_4plusIvEENS9_8equal_toIvEEfEE10hipError_tPvRmT2_T3_T4_T5_mT6_T7_P12ihipStream_tbENKUlT_T0_E_clISt17integral_constantIbLb0EES12_IbLb1EEEEDaSY_SZ_EUlSY_E_NS1_11comp_targetILNS1_3genE10ELNS1_11target_archE1201ELNS1_3gpuE5ELNS1_3repE0EEENS1_30default_config_static_selectorELNS0_4arch9wavefront6targetE0EEEvT1_
	.p2align	8
	.type	_ZN7rocprim17ROCPRIM_400000_NS6detail17trampoline_kernelINS0_14default_configENS1_27scan_by_key_config_selectorIifEEZZNS1_16scan_by_key_implILNS1_25lookback_scan_determinismE0ELb1ES3_N6thrust23THRUST_200600_302600_NS6detail15normal_iteratorINS9_10device_ptrIiEEEENSB_INSC_IjEEEENSB_INSC_IfEEEEfNS9_4plusIvEENS9_8equal_toIvEEfEE10hipError_tPvRmT2_T3_T4_T5_mT6_T7_P12ihipStream_tbENKUlT_T0_E_clISt17integral_constantIbLb0EES12_IbLb1EEEEDaSY_SZ_EUlSY_E_NS1_11comp_targetILNS1_3genE10ELNS1_11target_archE1201ELNS1_3gpuE5ELNS1_3repE0EEENS1_30default_config_static_selectorELNS0_4arch9wavefront6targetE0EEEvT1_,@function
_ZN7rocprim17ROCPRIM_400000_NS6detail17trampoline_kernelINS0_14default_configENS1_27scan_by_key_config_selectorIifEEZZNS1_16scan_by_key_implILNS1_25lookback_scan_determinismE0ELb1ES3_N6thrust23THRUST_200600_302600_NS6detail15normal_iteratorINS9_10device_ptrIiEEEENSB_INSC_IjEEEENSB_INSC_IfEEEEfNS9_4plusIvEENS9_8equal_toIvEEfEE10hipError_tPvRmT2_T3_T4_T5_mT6_T7_P12ihipStream_tbENKUlT_T0_E_clISt17integral_constantIbLb0EES12_IbLb1EEEEDaSY_SZ_EUlSY_E_NS1_11comp_targetILNS1_3genE10ELNS1_11target_archE1201ELNS1_3gpuE5ELNS1_3repE0EEENS1_30default_config_static_selectorELNS0_4arch9wavefront6targetE0EEEvT1_: ; @_ZN7rocprim17ROCPRIM_400000_NS6detail17trampoline_kernelINS0_14default_configENS1_27scan_by_key_config_selectorIifEEZZNS1_16scan_by_key_implILNS1_25lookback_scan_determinismE0ELb1ES3_N6thrust23THRUST_200600_302600_NS6detail15normal_iteratorINS9_10device_ptrIiEEEENSB_INSC_IjEEEENSB_INSC_IfEEEEfNS9_4plusIvEENS9_8equal_toIvEEfEE10hipError_tPvRmT2_T3_T4_T5_mT6_T7_P12ihipStream_tbENKUlT_T0_E_clISt17integral_constantIbLb0EES12_IbLb1EEEEDaSY_SZ_EUlSY_E_NS1_11comp_targetILNS1_3genE10ELNS1_11target_archE1201ELNS1_3gpuE5ELNS1_3repE0EEENS1_30default_config_static_selectorELNS0_4arch9wavefront6targetE0EEEvT1_
; %bb.0:
	.section	.rodata,"a",@progbits
	.p2align	6, 0x0
	.amdhsa_kernel _ZN7rocprim17ROCPRIM_400000_NS6detail17trampoline_kernelINS0_14default_configENS1_27scan_by_key_config_selectorIifEEZZNS1_16scan_by_key_implILNS1_25lookback_scan_determinismE0ELb1ES3_N6thrust23THRUST_200600_302600_NS6detail15normal_iteratorINS9_10device_ptrIiEEEENSB_INSC_IjEEEENSB_INSC_IfEEEEfNS9_4plusIvEENS9_8equal_toIvEEfEE10hipError_tPvRmT2_T3_T4_T5_mT6_T7_P12ihipStream_tbENKUlT_T0_E_clISt17integral_constantIbLb0EES12_IbLb1EEEEDaSY_SZ_EUlSY_E_NS1_11comp_targetILNS1_3genE10ELNS1_11target_archE1201ELNS1_3gpuE5ELNS1_3repE0EEENS1_30default_config_static_selectorELNS0_4arch9wavefront6targetE0EEEvT1_
		.amdhsa_group_segment_fixed_size 0
		.amdhsa_private_segment_fixed_size 0
		.amdhsa_kernarg_size 112
		.amdhsa_user_sgpr_count 2
		.amdhsa_user_sgpr_dispatch_ptr 0
		.amdhsa_user_sgpr_queue_ptr 0
		.amdhsa_user_sgpr_kernarg_segment_ptr 1
		.amdhsa_user_sgpr_dispatch_id 0
		.amdhsa_user_sgpr_kernarg_preload_length 0
		.amdhsa_user_sgpr_kernarg_preload_offset 0
		.amdhsa_user_sgpr_private_segment_size 0
		.amdhsa_wavefront_size32 1
		.amdhsa_uses_dynamic_stack 0
		.amdhsa_enable_private_segment 0
		.amdhsa_system_sgpr_workgroup_id_x 1
		.amdhsa_system_sgpr_workgroup_id_y 0
		.amdhsa_system_sgpr_workgroup_id_z 0
		.amdhsa_system_sgpr_workgroup_info 0
		.amdhsa_system_vgpr_workitem_id 0
		.amdhsa_next_free_vgpr 1
		.amdhsa_next_free_sgpr 1
		.amdhsa_named_barrier_count 0
		.amdhsa_reserve_vcc 0
		.amdhsa_float_round_mode_32 0
		.amdhsa_float_round_mode_16_64 0
		.amdhsa_float_denorm_mode_32 3
		.amdhsa_float_denorm_mode_16_64 3
		.amdhsa_fp16_overflow 0
		.amdhsa_memory_ordered 1
		.amdhsa_forward_progress 1
		.amdhsa_inst_pref_size 0
		.amdhsa_round_robin_scheduling 0
		.amdhsa_exception_fp_ieee_invalid_op 0
		.amdhsa_exception_fp_denorm_src 0
		.amdhsa_exception_fp_ieee_div_zero 0
		.amdhsa_exception_fp_ieee_overflow 0
		.amdhsa_exception_fp_ieee_underflow 0
		.amdhsa_exception_fp_ieee_inexact 0
		.amdhsa_exception_int_div_zero 0
	.end_amdhsa_kernel
	.section	.text._ZN7rocprim17ROCPRIM_400000_NS6detail17trampoline_kernelINS0_14default_configENS1_27scan_by_key_config_selectorIifEEZZNS1_16scan_by_key_implILNS1_25lookback_scan_determinismE0ELb1ES3_N6thrust23THRUST_200600_302600_NS6detail15normal_iteratorINS9_10device_ptrIiEEEENSB_INSC_IjEEEENSB_INSC_IfEEEEfNS9_4plusIvEENS9_8equal_toIvEEfEE10hipError_tPvRmT2_T3_T4_T5_mT6_T7_P12ihipStream_tbENKUlT_T0_E_clISt17integral_constantIbLb0EES12_IbLb1EEEEDaSY_SZ_EUlSY_E_NS1_11comp_targetILNS1_3genE10ELNS1_11target_archE1201ELNS1_3gpuE5ELNS1_3repE0EEENS1_30default_config_static_selectorELNS0_4arch9wavefront6targetE0EEEvT1_,"axG",@progbits,_ZN7rocprim17ROCPRIM_400000_NS6detail17trampoline_kernelINS0_14default_configENS1_27scan_by_key_config_selectorIifEEZZNS1_16scan_by_key_implILNS1_25lookback_scan_determinismE0ELb1ES3_N6thrust23THRUST_200600_302600_NS6detail15normal_iteratorINS9_10device_ptrIiEEEENSB_INSC_IjEEEENSB_INSC_IfEEEEfNS9_4plusIvEENS9_8equal_toIvEEfEE10hipError_tPvRmT2_T3_T4_T5_mT6_T7_P12ihipStream_tbENKUlT_T0_E_clISt17integral_constantIbLb0EES12_IbLb1EEEEDaSY_SZ_EUlSY_E_NS1_11comp_targetILNS1_3genE10ELNS1_11target_archE1201ELNS1_3gpuE5ELNS1_3repE0EEENS1_30default_config_static_selectorELNS0_4arch9wavefront6targetE0EEEvT1_,comdat
.Lfunc_end1708:
	.size	_ZN7rocprim17ROCPRIM_400000_NS6detail17trampoline_kernelINS0_14default_configENS1_27scan_by_key_config_selectorIifEEZZNS1_16scan_by_key_implILNS1_25lookback_scan_determinismE0ELb1ES3_N6thrust23THRUST_200600_302600_NS6detail15normal_iteratorINS9_10device_ptrIiEEEENSB_INSC_IjEEEENSB_INSC_IfEEEEfNS9_4plusIvEENS9_8equal_toIvEEfEE10hipError_tPvRmT2_T3_T4_T5_mT6_T7_P12ihipStream_tbENKUlT_T0_E_clISt17integral_constantIbLb0EES12_IbLb1EEEEDaSY_SZ_EUlSY_E_NS1_11comp_targetILNS1_3genE10ELNS1_11target_archE1201ELNS1_3gpuE5ELNS1_3repE0EEENS1_30default_config_static_selectorELNS0_4arch9wavefront6targetE0EEEvT1_, .Lfunc_end1708-_ZN7rocprim17ROCPRIM_400000_NS6detail17trampoline_kernelINS0_14default_configENS1_27scan_by_key_config_selectorIifEEZZNS1_16scan_by_key_implILNS1_25lookback_scan_determinismE0ELb1ES3_N6thrust23THRUST_200600_302600_NS6detail15normal_iteratorINS9_10device_ptrIiEEEENSB_INSC_IjEEEENSB_INSC_IfEEEEfNS9_4plusIvEENS9_8equal_toIvEEfEE10hipError_tPvRmT2_T3_T4_T5_mT6_T7_P12ihipStream_tbENKUlT_T0_E_clISt17integral_constantIbLb0EES12_IbLb1EEEEDaSY_SZ_EUlSY_E_NS1_11comp_targetILNS1_3genE10ELNS1_11target_archE1201ELNS1_3gpuE5ELNS1_3repE0EEENS1_30default_config_static_selectorELNS0_4arch9wavefront6targetE0EEEvT1_
                                        ; -- End function
	.set _ZN7rocprim17ROCPRIM_400000_NS6detail17trampoline_kernelINS0_14default_configENS1_27scan_by_key_config_selectorIifEEZZNS1_16scan_by_key_implILNS1_25lookback_scan_determinismE0ELb1ES3_N6thrust23THRUST_200600_302600_NS6detail15normal_iteratorINS9_10device_ptrIiEEEENSB_INSC_IjEEEENSB_INSC_IfEEEEfNS9_4plusIvEENS9_8equal_toIvEEfEE10hipError_tPvRmT2_T3_T4_T5_mT6_T7_P12ihipStream_tbENKUlT_T0_E_clISt17integral_constantIbLb0EES12_IbLb1EEEEDaSY_SZ_EUlSY_E_NS1_11comp_targetILNS1_3genE10ELNS1_11target_archE1201ELNS1_3gpuE5ELNS1_3repE0EEENS1_30default_config_static_selectorELNS0_4arch9wavefront6targetE0EEEvT1_.num_vgpr, 0
	.set _ZN7rocprim17ROCPRIM_400000_NS6detail17trampoline_kernelINS0_14default_configENS1_27scan_by_key_config_selectorIifEEZZNS1_16scan_by_key_implILNS1_25lookback_scan_determinismE0ELb1ES3_N6thrust23THRUST_200600_302600_NS6detail15normal_iteratorINS9_10device_ptrIiEEEENSB_INSC_IjEEEENSB_INSC_IfEEEEfNS9_4plusIvEENS9_8equal_toIvEEfEE10hipError_tPvRmT2_T3_T4_T5_mT6_T7_P12ihipStream_tbENKUlT_T0_E_clISt17integral_constantIbLb0EES12_IbLb1EEEEDaSY_SZ_EUlSY_E_NS1_11comp_targetILNS1_3genE10ELNS1_11target_archE1201ELNS1_3gpuE5ELNS1_3repE0EEENS1_30default_config_static_selectorELNS0_4arch9wavefront6targetE0EEEvT1_.num_agpr, 0
	.set _ZN7rocprim17ROCPRIM_400000_NS6detail17trampoline_kernelINS0_14default_configENS1_27scan_by_key_config_selectorIifEEZZNS1_16scan_by_key_implILNS1_25lookback_scan_determinismE0ELb1ES3_N6thrust23THRUST_200600_302600_NS6detail15normal_iteratorINS9_10device_ptrIiEEEENSB_INSC_IjEEEENSB_INSC_IfEEEEfNS9_4plusIvEENS9_8equal_toIvEEfEE10hipError_tPvRmT2_T3_T4_T5_mT6_T7_P12ihipStream_tbENKUlT_T0_E_clISt17integral_constantIbLb0EES12_IbLb1EEEEDaSY_SZ_EUlSY_E_NS1_11comp_targetILNS1_3genE10ELNS1_11target_archE1201ELNS1_3gpuE5ELNS1_3repE0EEENS1_30default_config_static_selectorELNS0_4arch9wavefront6targetE0EEEvT1_.numbered_sgpr, 0
	.set _ZN7rocprim17ROCPRIM_400000_NS6detail17trampoline_kernelINS0_14default_configENS1_27scan_by_key_config_selectorIifEEZZNS1_16scan_by_key_implILNS1_25lookback_scan_determinismE0ELb1ES3_N6thrust23THRUST_200600_302600_NS6detail15normal_iteratorINS9_10device_ptrIiEEEENSB_INSC_IjEEEENSB_INSC_IfEEEEfNS9_4plusIvEENS9_8equal_toIvEEfEE10hipError_tPvRmT2_T3_T4_T5_mT6_T7_P12ihipStream_tbENKUlT_T0_E_clISt17integral_constantIbLb0EES12_IbLb1EEEEDaSY_SZ_EUlSY_E_NS1_11comp_targetILNS1_3genE10ELNS1_11target_archE1201ELNS1_3gpuE5ELNS1_3repE0EEENS1_30default_config_static_selectorELNS0_4arch9wavefront6targetE0EEEvT1_.num_named_barrier, 0
	.set _ZN7rocprim17ROCPRIM_400000_NS6detail17trampoline_kernelINS0_14default_configENS1_27scan_by_key_config_selectorIifEEZZNS1_16scan_by_key_implILNS1_25lookback_scan_determinismE0ELb1ES3_N6thrust23THRUST_200600_302600_NS6detail15normal_iteratorINS9_10device_ptrIiEEEENSB_INSC_IjEEEENSB_INSC_IfEEEEfNS9_4plusIvEENS9_8equal_toIvEEfEE10hipError_tPvRmT2_T3_T4_T5_mT6_T7_P12ihipStream_tbENKUlT_T0_E_clISt17integral_constantIbLb0EES12_IbLb1EEEEDaSY_SZ_EUlSY_E_NS1_11comp_targetILNS1_3genE10ELNS1_11target_archE1201ELNS1_3gpuE5ELNS1_3repE0EEENS1_30default_config_static_selectorELNS0_4arch9wavefront6targetE0EEEvT1_.private_seg_size, 0
	.set _ZN7rocprim17ROCPRIM_400000_NS6detail17trampoline_kernelINS0_14default_configENS1_27scan_by_key_config_selectorIifEEZZNS1_16scan_by_key_implILNS1_25lookback_scan_determinismE0ELb1ES3_N6thrust23THRUST_200600_302600_NS6detail15normal_iteratorINS9_10device_ptrIiEEEENSB_INSC_IjEEEENSB_INSC_IfEEEEfNS9_4plusIvEENS9_8equal_toIvEEfEE10hipError_tPvRmT2_T3_T4_T5_mT6_T7_P12ihipStream_tbENKUlT_T0_E_clISt17integral_constantIbLb0EES12_IbLb1EEEEDaSY_SZ_EUlSY_E_NS1_11comp_targetILNS1_3genE10ELNS1_11target_archE1201ELNS1_3gpuE5ELNS1_3repE0EEENS1_30default_config_static_selectorELNS0_4arch9wavefront6targetE0EEEvT1_.uses_vcc, 0
	.set _ZN7rocprim17ROCPRIM_400000_NS6detail17trampoline_kernelINS0_14default_configENS1_27scan_by_key_config_selectorIifEEZZNS1_16scan_by_key_implILNS1_25lookback_scan_determinismE0ELb1ES3_N6thrust23THRUST_200600_302600_NS6detail15normal_iteratorINS9_10device_ptrIiEEEENSB_INSC_IjEEEENSB_INSC_IfEEEEfNS9_4plusIvEENS9_8equal_toIvEEfEE10hipError_tPvRmT2_T3_T4_T5_mT6_T7_P12ihipStream_tbENKUlT_T0_E_clISt17integral_constantIbLb0EES12_IbLb1EEEEDaSY_SZ_EUlSY_E_NS1_11comp_targetILNS1_3genE10ELNS1_11target_archE1201ELNS1_3gpuE5ELNS1_3repE0EEENS1_30default_config_static_selectorELNS0_4arch9wavefront6targetE0EEEvT1_.uses_flat_scratch, 0
	.set _ZN7rocprim17ROCPRIM_400000_NS6detail17trampoline_kernelINS0_14default_configENS1_27scan_by_key_config_selectorIifEEZZNS1_16scan_by_key_implILNS1_25lookback_scan_determinismE0ELb1ES3_N6thrust23THRUST_200600_302600_NS6detail15normal_iteratorINS9_10device_ptrIiEEEENSB_INSC_IjEEEENSB_INSC_IfEEEEfNS9_4plusIvEENS9_8equal_toIvEEfEE10hipError_tPvRmT2_T3_T4_T5_mT6_T7_P12ihipStream_tbENKUlT_T0_E_clISt17integral_constantIbLb0EES12_IbLb1EEEEDaSY_SZ_EUlSY_E_NS1_11comp_targetILNS1_3genE10ELNS1_11target_archE1201ELNS1_3gpuE5ELNS1_3repE0EEENS1_30default_config_static_selectorELNS0_4arch9wavefront6targetE0EEEvT1_.has_dyn_sized_stack, 0
	.set _ZN7rocprim17ROCPRIM_400000_NS6detail17trampoline_kernelINS0_14default_configENS1_27scan_by_key_config_selectorIifEEZZNS1_16scan_by_key_implILNS1_25lookback_scan_determinismE0ELb1ES3_N6thrust23THRUST_200600_302600_NS6detail15normal_iteratorINS9_10device_ptrIiEEEENSB_INSC_IjEEEENSB_INSC_IfEEEEfNS9_4plusIvEENS9_8equal_toIvEEfEE10hipError_tPvRmT2_T3_T4_T5_mT6_T7_P12ihipStream_tbENKUlT_T0_E_clISt17integral_constantIbLb0EES12_IbLb1EEEEDaSY_SZ_EUlSY_E_NS1_11comp_targetILNS1_3genE10ELNS1_11target_archE1201ELNS1_3gpuE5ELNS1_3repE0EEENS1_30default_config_static_selectorELNS0_4arch9wavefront6targetE0EEEvT1_.has_recursion, 0
	.set _ZN7rocprim17ROCPRIM_400000_NS6detail17trampoline_kernelINS0_14default_configENS1_27scan_by_key_config_selectorIifEEZZNS1_16scan_by_key_implILNS1_25lookback_scan_determinismE0ELb1ES3_N6thrust23THRUST_200600_302600_NS6detail15normal_iteratorINS9_10device_ptrIiEEEENSB_INSC_IjEEEENSB_INSC_IfEEEEfNS9_4plusIvEENS9_8equal_toIvEEfEE10hipError_tPvRmT2_T3_T4_T5_mT6_T7_P12ihipStream_tbENKUlT_T0_E_clISt17integral_constantIbLb0EES12_IbLb1EEEEDaSY_SZ_EUlSY_E_NS1_11comp_targetILNS1_3genE10ELNS1_11target_archE1201ELNS1_3gpuE5ELNS1_3repE0EEENS1_30default_config_static_selectorELNS0_4arch9wavefront6targetE0EEEvT1_.has_indirect_call, 0
	.section	.AMDGPU.csdata,"",@progbits
; Kernel info:
; codeLenInByte = 0
; TotalNumSgprs: 0
; NumVgprs: 0
; ScratchSize: 0
; MemoryBound: 0
; FloatMode: 240
; IeeeMode: 1
; LDSByteSize: 0 bytes/workgroup (compile time only)
; SGPRBlocks: 0
; VGPRBlocks: 0
; NumSGPRsForWavesPerEU: 1
; NumVGPRsForWavesPerEU: 1
; NamedBarCnt: 0
; Occupancy: 16
; WaveLimiterHint : 0
; COMPUTE_PGM_RSRC2:SCRATCH_EN: 0
; COMPUTE_PGM_RSRC2:USER_SGPR: 2
; COMPUTE_PGM_RSRC2:TRAP_HANDLER: 0
; COMPUTE_PGM_RSRC2:TGID_X_EN: 1
; COMPUTE_PGM_RSRC2:TGID_Y_EN: 0
; COMPUTE_PGM_RSRC2:TGID_Z_EN: 0
; COMPUTE_PGM_RSRC2:TIDIG_COMP_CNT: 0
	.section	.text._ZN7rocprim17ROCPRIM_400000_NS6detail17trampoline_kernelINS0_14default_configENS1_27scan_by_key_config_selectorIifEEZZNS1_16scan_by_key_implILNS1_25lookback_scan_determinismE0ELb1ES3_N6thrust23THRUST_200600_302600_NS6detail15normal_iteratorINS9_10device_ptrIiEEEENSB_INSC_IjEEEENSB_INSC_IfEEEEfNS9_4plusIvEENS9_8equal_toIvEEfEE10hipError_tPvRmT2_T3_T4_T5_mT6_T7_P12ihipStream_tbENKUlT_T0_E_clISt17integral_constantIbLb0EES12_IbLb1EEEEDaSY_SZ_EUlSY_E_NS1_11comp_targetILNS1_3genE5ELNS1_11target_archE942ELNS1_3gpuE9ELNS1_3repE0EEENS1_30default_config_static_selectorELNS0_4arch9wavefront6targetE0EEEvT1_,"axG",@progbits,_ZN7rocprim17ROCPRIM_400000_NS6detail17trampoline_kernelINS0_14default_configENS1_27scan_by_key_config_selectorIifEEZZNS1_16scan_by_key_implILNS1_25lookback_scan_determinismE0ELb1ES3_N6thrust23THRUST_200600_302600_NS6detail15normal_iteratorINS9_10device_ptrIiEEEENSB_INSC_IjEEEENSB_INSC_IfEEEEfNS9_4plusIvEENS9_8equal_toIvEEfEE10hipError_tPvRmT2_T3_T4_T5_mT6_T7_P12ihipStream_tbENKUlT_T0_E_clISt17integral_constantIbLb0EES12_IbLb1EEEEDaSY_SZ_EUlSY_E_NS1_11comp_targetILNS1_3genE5ELNS1_11target_archE942ELNS1_3gpuE9ELNS1_3repE0EEENS1_30default_config_static_selectorELNS0_4arch9wavefront6targetE0EEEvT1_,comdat
	.protected	_ZN7rocprim17ROCPRIM_400000_NS6detail17trampoline_kernelINS0_14default_configENS1_27scan_by_key_config_selectorIifEEZZNS1_16scan_by_key_implILNS1_25lookback_scan_determinismE0ELb1ES3_N6thrust23THRUST_200600_302600_NS6detail15normal_iteratorINS9_10device_ptrIiEEEENSB_INSC_IjEEEENSB_INSC_IfEEEEfNS9_4plusIvEENS9_8equal_toIvEEfEE10hipError_tPvRmT2_T3_T4_T5_mT6_T7_P12ihipStream_tbENKUlT_T0_E_clISt17integral_constantIbLb0EES12_IbLb1EEEEDaSY_SZ_EUlSY_E_NS1_11comp_targetILNS1_3genE5ELNS1_11target_archE942ELNS1_3gpuE9ELNS1_3repE0EEENS1_30default_config_static_selectorELNS0_4arch9wavefront6targetE0EEEvT1_ ; -- Begin function _ZN7rocprim17ROCPRIM_400000_NS6detail17trampoline_kernelINS0_14default_configENS1_27scan_by_key_config_selectorIifEEZZNS1_16scan_by_key_implILNS1_25lookback_scan_determinismE0ELb1ES3_N6thrust23THRUST_200600_302600_NS6detail15normal_iteratorINS9_10device_ptrIiEEEENSB_INSC_IjEEEENSB_INSC_IfEEEEfNS9_4plusIvEENS9_8equal_toIvEEfEE10hipError_tPvRmT2_T3_T4_T5_mT6_T7_P12ihipStream_tbENKUlT_T0_E_clISt17integral_constantIbLb0EES12_IbLb1EEEEDaSY_SZ_EUlSY_E_NS1_11comp_targetILNS1_3genE5ELNS1_11target_archE942ELNS1_3gpuE9ELNS1_3repE0EEENS1_30default_config_static_selectorELNS0_4arch9wavefront6targetE0EEEvT1_
	.globl	_ZN7rocprim17ROCPRIM_400000_NS6detail17trampoline_kernelINS0_14default_configENS1_27scan_by_key_config_selectorIifEEZZNS1_16scan_by_key_implILNS1_25lookback_scan_determinismE0ELb1ES3_N6thrust23THRUST_200600_302600_NS6detail15normal_iteratorINS9_10device_ptrIiEEEENSB_INSC_IjEEEENSB_INSC_IfEEEEfNS9_4plusIvEENS9_8equal_toIvEEfEE10hipError_tPvRmT2_T3_T4_T5_mT6_T7_P12ihipStream_tbENKUlT_T0_E_clISt17integral_constantIbLb0EES12_IbLb1EEEEDaSY_SZ_EUlSY_E_NS1_11comp_targetILNS1_3genE5ELNS1_11target_archE942ELNS1_3gpuE9ELNS1_3repE0EEENS1_30default_config_static_selectorELNS0_4arch9wavefront6targetE0EEEvT1_
	.p2align	8
	.type	_ZN7rocprim17ROCPRIM_400000_NS6detail17trampoline_kernelINS0_14default_configENS1_27scan_by_key_config_selectorIifEEZZNS1_16scan_by_key_implILNS1_25lookback_scan_determinismE0ELb1ES3_N6thrust23THRUST_200600_302600_NS6detail15normal_iteratorINS9_10device_ptrIiEEEENSB_INSC_IjEEEENSB_INSC_IfEEEEfNS9_4plusIvEENS9_8equal_toIvEEfEE10hipError_tPvRmT2_T3_T4_T5_mT6_T7_P12ihipStream_tbENKUlT_T0_E_clISt17integral_constantIbLb0EES12_IbLb1EEEEDaSY_SZ_EUlSY_E_NS1_11comp_targetILNS1_3genE5ELNS1_11target_archE942ELNS1_3gpuE9ELNS1_3repE0EEENS1_30default_config_static_selectorELNS0_4arch9wavefront6targetE0EEEvT1_,@function
_ZN7rocprim17ROCPRIM_400000_NS6detail17trampoline_kernelINS0_14default_configENS1_27scan_by_key_config_selectorIifEEZZNS1_16scan_by_key_implILNS1_25lookback_scan_determinismE0ELb1ES3_N6thrust23THRUST_200600_302600_NS6detail15normal_iteratorINS9_10device_ptrIiEEEENSB_INSC_IjEEEENSB_INSC_IfEEEEfNS9_4plusIvEENS9_8equal_toIvEEfEE10hipError_tPvRmT2_T3_T4_T5_mT6_T7_P12ihipStream_tbENKUlT_T0_E_clISt17integral_constantIbLb0EES12_IbLb1EEEEDaSY_SZ_EUlSY_E_NS1_11comp_targetILNS1_3genE5ELNS1_11target_archE942ELNS1_3gpuE9ELNS1_3repE0EEENS1_30default_config_static_selectorELNS0_4arch9wavefront6targetE0EEEvT1_: ; @_ZN7rocprim17ROCPRIM_400000_NS6detail17trampoline_kernelINS0_14default_configENS1_27scan_by_key_config_selectorIifEEZZNS1_16scan_by_key_implILNS1_25lookback_scan_determinismE0ELb1ES3_N6thrust23THRUST_200600_302600_NS6detail15normal_iteratorINS9_10device_ptrIiEEEENSB_INSC_IjEEEENSB_INSC_IfEEEEfNS9_4plusIvEENS9_8equal_toIvEEfEE10hipError_tPvRmT2_T3_T4_T5_mT6_T7_P12ihipStream_tbENKUlT_T0_E_clISt17integral_constantIbLb0EES12_IbLb1EEEEDaSY_SZ_EUlSY_E_NS1_11comp_targetILNS1_3genE5ELNS1_11target_archE942ELNS1_3gpuE9ELNS1_3repE0EEENS1_30default_config_static_selectorELNS0_4arch9wavefront6targetE0EEEvT1_
; %bb.0:
	.section	.rodata,"a",@progbits
	.p2align	6, 0x0
	.amdhsa_kernel _ZN7rocprim17ROCPRIM_400000_NS6detail17trampoline_kernelINS0_14default_configENS1_27scan_by_key_config_selectorIifEEZZNS1_16scan_by_key_implILNS1_25lookback_scan_determinismE0ELb1ES3_N6thrust23THRUST_200600_302600_NS6detail15normal_iteratorINS9_10device_ptrIiEEEENSB_INSC_IjEEEENSB_INSC_IfEEEEfNS9_4plusIvEENS9_8equal_toIvEEfEE10hipError_tPvRmT2_T3_T4_T5_mT6_T7_P12ihipStream_tbENKUlT_T0_E_clISt17integral_constantIbLb0EES12_IbLb1EEEEDaSY_SZ_EUlSY_E_NS1_11comp_targetILNS1_3genE5ELNS1_11target_archE942ELNS1_3gpuE9ELNS1_3repE0EEENS1_30default_config_static_selectorELNS0_4arch9wavefront6targetE0EEEvT1_
		.amdhsa_group_segment_fixed_size 0
		.amdhsa_private_segment_fixed_size 0
		.amdhsa_kernarg_size 112
		.amdhsa_user_sgpr_count 2
		.amdhsa_user_sgpr_dispatch_ptr 0
		.amdhsa_user_sgpr_queue_ptr 0
		.amdhsa_user_sgpr_kernarg_segment_ptr 1
		.amdhsa_user_sgpr_dispatch_id 0
		.amdhsa_user_sgpr_kernarg_preload_length 0
		.amdhsa_user_sgpr_kernarg_preload_offset 0
		.amdhsa_user_sgpr_private_segment_size 0
		.amdhsa_wavefront_size32 1
		.amdhsa_uses_dynamic_stack 0
		.amdhsa_enable_private_segment 0
		.amdhsa_system_sgpr_workgroup_id_x 1
		.amdhsa_system_sgpr_workgroup_id_y 0
		.amdhsa_system_sgpr_workgroup_id_z 0
		.amdhsa_system_sgpr_workgroup_info 0
		.amdhsa_system_vgpr_workitem_id 0
		.amdhsa_next_free_vgpr 1
		.amdhsa_next_free_sgpr 1
		.amdhsa_named_barrier_count 0
		.amdhsa_reserve_vcc 0
		.amdhsa_float_round_mode_32 0
		.amdhsa_float_round_mode_16_64 0
		.amdhsa_float_denorm_mode_32 3
		.amdhsa_float_denorm_mode_16_64 3
		.amdhsa_fp16_overflow 0
		.amdhsa_memory_ordered 1
		.amdhsa_forward_progress 1
		.amdhsa_inst_pref_size 0
		.amdhsa_round_robin_scheduling 0
		.amdhsa_exception_fp_ieee_invalid_op 0
		.amdhsa_exception_fp_denorm_src 0
		.amdhsa_exception_fp_ieee_div_zero 0
		.amdhsa_exception_fp_ieee_overflow 0
		.amdhsa_exception_fp_ieee_underflow 0
		.amdhsa_exception_fp_ieee_inexact 0
		.amdhsa_exception_int_div_zero 0
	.end_amdhsa_kernel
	.section	.text._ZN7rocprim17ROCPRIM_400000_NS6detail17trampoline_kernelINS0_14default_configENS1_27scan_by_key_config_selectorIifEEZZNS1_16scan_by_key_implILNS1_25lookback_scan_determinismE0ELb1ES3_N6thrust23THRUST_200600_302600_NS6detail15normal_iteratorINS9_10device_ptrIiEEEENSB_INSC_IjEEEENSB_INSC_IfEEEEfNS9_4plusIvEENS9_8equal_toIvEEfEE10hipError_tPvRmT2_T3_T4_T5_mT6_T7_P12ihipStream_tbENKUlT_T0_E_clISt17integral_constantIbLb0EES12_IbLb1EEEEDaSY_SZ_EUlSY_E_NS1_11comp_targetILNS1_3genE5ELNS1_11target_archE942ELNS1_3gpuE9ELNS1_3repE0EEENS1_30default_config_static_selectorELNS0_4arch9wavefront6targetE0EEEvT1_,"axG",@progbits,_ZN7rocprim17ROCPRIM_400000_NS6detail17trampoline_kernelINS0_14default_configENS1_27scan_by_key_config_selectorIifEEZZNS1_16scan_by_key_implILNS1_25lookback_scan_determinismE0ELb1ES3_N6thrust23THRUST_200600_302600_NS6detail15normal_iteratorINS9_10device_ptrIiEEEENSB_INSC_IjEEEENSB_INSC_IfEEEEfNS9_4plusIvEENS9_8equal_toIvEEfEE10hipError_tPvRmT2_T3_T4_T5_mT6_T7_P12ihipStream_tbENKUlT_T0_E_clISt17integral_constantIbLb0EES12_IbLb1EEEEDaSY_SZ_EUlSY_E_NS1_11comp_targetILNS1_3genE5ELNS1_11target_archE942ELNS1_3gpuE9ELNS1_3repE0EEENS1_30default_config_static_selectorELNS0_4arch9wavefront6targetE0EEEvT1_,comdat
.Lfunc_end1709:
	.size	_ZN7rocprim17ROCPRIM_400000_NS6detail17trampoline_kernelINS0_14default_configENS1_27scan_by_key_config_selectorIifEEZZNS1_16scan_by_key_implILNS1_25lookback_scan_determinismE0ELb1ES3_N6thrust23THRUST_200600_302600_NS6detail15normal_iteratorINS9_10device_ptrIiEEEENSB_INSC_IjEEEENSB_INSC_IfEEEEfNS9_4plusIvEENS9_8equal_toIvEEfEE10hipError_tPvRmT2_T3_T4_T5_mT6_T7_P12ihipStream_tbENKUlT_T0_E_clISt17integral_constantIbLb0EES12_IbLb1EEEEDaSY_SZ_EUlSY_E_NS1_11comp_targetILNS1_3genE5ELNS1_11target_archE942ELNS1_3gpuE9ELNS1_3repE0EEENS1_30default_config_static_selectorELNS0_4arch9wavefront6targetE0EEEvT1_, .Lfunc_end1709-_ZN7rocprim17ROCPRIM_400000_NS6detail17trampoline_kernelINS0_14default_configENS1_27scan_by_key_config_selectorIifEEZZNS1_16scan_by_key_implILNS1_25lookback_scan_determinismE0ELb1ES3_N6thrust23THRUST_200600_302600_NS6detail15normal_iteratorINS9_10device_ptrIiEEEENSB_INSC_IjEEEENSB_INSC_IfEEEEfNS9_4plusIvEENS9_8equal_toIvEEfEE10hipError_tPvRmT2_T3_T4_T5_mT6_T7_P12ihipStream_tbENKUlT_T0_E_clISt17integral_constantIbLb0EES12_IbLb1EEEEDaSY_SZ_EUlSY_E_NS1_11comp_targetILNS1_3genE5ELNS1_11target_archE942ELNS1_3gpuE9ELNS1_3repE0EEENS1_30default_config_static_selectorELNS0_4arch9wavefront6targetE0EEEvT1_
                                        ; -- End function
	.set _ZN7rocprim17ROCPRIM_400000_NS6detail17trampoline_kernelINS0_14default_configENS1_27scan_by_key_config_selectorIifEEZZNS1_16scan_by_key_implILNS1_25lookback_scan_determinismE0ELb1ES3_N6thrust23THRUST_200600_302600_NS6detail15normal_iteratorINS9_10device_ptrIiEEEENSB_INSC_IjEEEENSB_INSC_IfEEEEfNS9_4plusIvEENS9_8equal_toIvEEfEE10hipError_tPvRmT2_T3_T4_T5_mT6_T7_P12ihipStream_tbENKUlT_T0_E_clISt17integral_constantIbLb0EES12_IbLb1EEEEDaSY_SZ_EUlSY_E_NS1_11comp_targetILNS1_3genE5ELNS1_11target_archE942ELNS1_3gpuE9ELNS1_3repE0EEENS1_30default_config_static_selectorELNS0_4arch9wavefront6targetE0EEEvT1_.num_vgpr, 0
	.set _ZN7rocprim17ROCPRIM_400000_NS6detail17trampoline_kernelINS0_14default_configENS1_27scan_by_key_config_selectorIifEEZZNS1_16scan_by_key_implILNS1_25lookback_scan_determinismE0ELb1ES3_N6thrust23THRUST_200600_302600_NS6detail15normal_iteratorINS9_10device_ptrIiEEEENSB_INSC_IjEEEENSB_INSC_IfEEEEfNS9_4plusIvEENS9_8equal_toIvEEfEE10hipError_tPvRmT2_T3_T4_T5_mT6_T7_P12ihipStream_tbENKUlT_T0_E_clISt17integral_constantIbLb0EES12_IbLb1EEEEDaSY_SZ_EUlSY_E_NS1_11comp_targetILNS1_3genE5ELNS1_11target_archE942ELNS1_3gpuE9ELNS1_3repE0EEENS1_30default_config_static_selectorELNS0_4arch9wavefront6targetE0EEEvT1_.num_agpr, 0
	.set _ZN7rocprim17ROCPRIM_400000_NS6detail17trampoline_kernelINS0_14default_configENS1_27scan_by_key_config_selectorIifEEZZNS1_16scan_by_key_implILNS1_25lookback_scan_determinismE0ELb1ES3_N6thrust23THRUST_200600_302600_NS6detail15normal_iteratorINS9_10device_ptrIiEEEENSB_INSC_IjEEEENSB_INSC_IfEEEEfNS9_4plusIvEENS9_8equal_toIvEEfEE10hipError_tPvRmT2_T3_T4_T5_mT6_T7_P12ihipStream_tbENKUlT_T0_E_clISt17integral_constantIbLb0EES12_IbLb1EEEEDaSY_SZ_EUlSY_E_NS1_11comp_targetILNS1_3genE5ELNS1_11target_archE942ELNS1_3gpuE9ELNS1_3repE0EEENS1_30default_config_static_selectorELNS0_4arch9wavefront6targetE0EEEvT1_.numbered_sgpr, 0
	.set _ZN7rocprim17ROCPRIM_400000_NS6detail17trampoline_kernelINS0_14default_configENS1_27scan_by_key_config_selectorIifEEZZNS1_16scan_by_key_implILNS1_25lookback_scan_determinismE0ELb1ES3_N6thrust23THRUST_200600_302600_NS6detail15normal_iteratorINS9_10device_ptrIiEEEENSB_INSC_IjEEEENSB_INSC_IfEEEEfNS9_4plusIvEENS9_8equal_toIvEEfEE10hipError_tPvRmT2_T3_T4_T5_mT6_T7_P12ihipStream_tbENKUlT_T0_E_clISt17integral_constantIbLb0EES12_IbLb1EEEEDaSY_SZ_EUlSY_E_NS1_11comp_targetILNS1_3genE5ELNS1_11target_archE942ELNS1_3gpuE9ELNS1_3repE0EEENS1_30default_config_static_selectorELNS0_4arch9wavefront6targetE0EEEvT1_.num_named_barrier, 0
	.set _ZN7rocprim17ROCPRIM_400000_NS6detail17trampoline_kernelINS0_14default_configENS1_27scan_by_key_config_selectorIifEEZZNS1_16scan_by_key_implILNS1_25lookback_scan_determinismE0ELb1ES3_N6thrust23THRUST_200600_302600_NS6detail15normal_iteratorINS9_10device_ptrIiEEEENSB_INSC_IjEEEENSB_INSC_IfEEEEfNS9_4plusIvEENS9_8equal_toIvEEfEE10hipError_tPvRmT2_T3_T4_T5_mT6_T7_P12ihipStream_tbENKUlT_T0_E_clISt17integral_constantIbLb0EES12_IbLb1EEEEDaSY_SZ_EUlSY_E_NS1_11comp_targetILNS1_3genE5ELNS1_11target_archE942ELNS1_3gpuE9ELNS1_3repE0EEENS1_30default_config_static_selectorELNS0_4arch9wavefront6targetE0EEEvT1_.private_seg_size, 0
	.set _ZN7rocprim17ROCPRIM_400000_NS6detail17trampoline_kernelINS0_14default_configENS1_27scan_by_key_config_selectorIifEEZZNS1_16scan_by_key_implILNS1_25lookback_scan_determinismE0ELb1ES3_N6thrust23THRUST_200600_302600_NS6detail15normal_iteratorINS9_10device_ptrIiEEEENSB_INSC_IjEEEENSB_INSC_IfEEEEfNS9_4plusIvEENS9_8equal_toIvEEfEE10hipError_tPvRmT2_T3_T4_T5_mT6_T7_P12ihipStream_tbENKUlT_T0_E_clISt17integral_constantIbLb0EES12_IbLb1EEEEDaSY_SZ_EUlSY_E_NS1_11comp_targetILNS1_3genE5ELNS1_11target_archE942ELNS1_3gpuE9ELNS1_3repE0EEENS1_30default_config_static_selectorELNS0_4arch9wavefront6targetE0EEEvT1_.uses_vcc, 0
	.set _ZN7rocprim17ROCPRIM_400000_NS6detail17trampoline_kernelINS0_14default_configENS1_27scan_by_key_config_selectorIifEEZZNS1_16scan_by_key_implILNS1_25lookback_scan_determinismE0ELb1ES3_N6thrust23THRUST_200600_302600_NS6detail15normal_iteratorINS9_10device_ptrIiEEEENSB_INSC_IjEEEENSB_INSC_IfEEEEfNS9_4plusIvEENS9_8equal_toIvEEfEE10hipError_tPvRmT2_T3_T4_T5_mT6_T7_P12ihipStream_tbENKUlT_T0_E_clISt17integral_constantIbLb0EES12_IbLb1EEEEDaSY_SZ_EUlSY_E_NS1_11comp_targetILNS1_3genE5ELNS1_11target_archE942ELNS1_3gpuE9ELNS1_3repE0EEENS1_30default_config_static_selectorELNS0_4arch9wavefront6targetE0EEEvT1_.uses_flat_scratch, 0
	.set _ZN7rocprim17ROCPRIM_400000_NS6detail17trampoline_kernelINS0_14default_configENS1_27scan_by_key_config_selectorIifEEZZNS1_16scan_by_key_implILNS1_25lookback_scan_determinismE0ELb1ES3_N6thrust23THRUST_200600_302600_NS6detail15normal_iteratorINS9_10device_ptrIiEEEENSB_INSC_IjEEEENSB_INSC_IfEEEEfNS9_4plusIvEENS9_8equal_toIvEEfEE10hipError_tPvRmT2_T3_T4_T5_mT6_T7_P12ihipStream_tbENKUlT_T0_E_clISt17integral_constantIbLb0EES12_IbLb1EEEEDaSY_SZ_EUlSY_E_NS1_11comp_targetILNS1_3genE5ELNS1_11target_archE942ELNS1_3gpuE9ELNS1_3repE0EEENS1_30default_config_static_selectorELNS0_4arch9wavefront6targetE0EEEvT1_.has_dyn_sized_stack, 0
	.set _ZN7rocprim17ROCPRIM_400000_NS6detail17trampoline_kernelINS0_14default_configENS1_27scan_by_key_config_selectorIifEEZZNS1_16scan_by_key_implILNS1_25lookback_scan_determinismE0ELb1ES3_N6thrust23THRUST_200600_302600_NS6detail15normal_iteratorINS9_10device_ptrIiEEEENSB_INSC_IjEEEENSB_INSC_IfEEEEfNS9_4plusIvEENS9_8equal_toIvEEfEE10hipError_tPvRmT2_T3_T4_T5_mT6_T7_P12ihipStream_tbENKUlT_T0_E_clISt17integral_constantIbLb0EES12_IbLb1EEEEDaSY_SZ_EUlSY_E_NS1_11comp_targetILNS1_3genE5ELNS1_11target_archE942ELNS1_3gpuE9ELNS1_3repE0EEENS1_30default_config_static_selectorELNS0_4arch9wavefront6targetE0EEEvT1_.has_recursion, 0
	.set _ZN7rocprim17ROCPRIM_400000_NS6detail17trampoline_kernelINS0_14default_configENS1_27scan_by_key_config_selectorIifEEZZNS1_16scan_by_key_implILNS1_25lookback_scan_determinismE0ELb1ES3_N6thrust23THRUST_200600_302600_NS6detail15normal_iteratorINS9_10device_ptrIiEEEENSB_INSC_IjEEEENSB_INSC_IfEEEEfNS9_4plusIvEENS9_8equal_toIvEEfEE10hipError_tPvRmT2_T3_T4_T5_mT6_T7_P12ihipStream_tbENKUlT_T0_E_clISt17integral_constantIbLb0EES12_IbLb1EEEEDaSY_SZ_EUlSY_E_NS1_11comp_targetILNS1_3genE5ELNS1_11target_archE942ELNS1_3gpuE9ELNS1_3repE0EEENS1_30default_config_static_selectorELNS0_4arch9wavefront6targetE0EEEvT1_.has_indirect_call, 0
	.section	.AMDGPU.csdata,"",@progbits
; Kernel info:
; codeLenInByte = 0
; TotalNumSgprs: 0
; NumVgprs: 0
; ScratchSize: 0
; MemoryBound: 0
; FloatMode: 240
; IeeeMode: 1
; LDSByteSize: 0 bytes/workgroup (compile time only)
; SGPRBlocks: 0
; VGPRBlocks: 0
; NumSGPRsForWavesPerEU: 1
; NumVGPRsForWavesPerEU: 1
; NamedBarCnt: 0
; Occupancy: 16
; WaveLimiterHint : 0
; COMPUTE_PGM_RSRC2:SCRATCH_EN: 0
; COMPUTE_PGM_RSRC2:USER_SGPR: 2
; COMPUTE_PGM_RSRC2:TRAP_HANDLER: 0
; COMPUTE_PGM_RSRC2:TGID_X_EN: 1
; COMPUTE_PGM_RSRC2:TGID_Y_EN: 0
; COMPUTE_PGM_RSRC2:TGID_Z_EN: 0
; COMPUTE_PGM_RSRC2:TIDIG_COMP_CNT: 0
	.section	.text._ZN7rocprim17ROCPRIM_400000_NS6detail17trampoline_kernelINS0_14default_configENS1_27scan_by_key_config_selectorIifEEZZNS1_16scan_by_key_implILNS1_25lookback_scan_determinismE0ELb1ES3_N6thrust23THRUST_200600_302600_NS6detail15normal_iteratorINS9_10device_ptrIiEEEENSB_INSC_IjEEEENSB_INSC_IfEEEEfNS9_4plusIvEENS9_8equal_toIvEEfEE10hipError_tPvRmT2_T3_T4_T5_mT6_T7_P12ihipStream_tbENKUlT_T0_E_clISt17integral_constantIbLb0EES12_IbLb1EEEEDaSY_SZ_EUlSY_E_NS1_11comp_targetILNS1_3genE4ELNS1_11target_archE910ELNS1_3gpuE8ELNS1_3repE0EEENS1_30default_config_static_selectorELNS0_4arch9wavefront6targetE0EEEvT1_,"axG",@progbits,_ZN7rocprim17ROCPRIM_400000_NS6detail17trampoline_kernelINS0_14default_configENS1_27scan_by_key_config_selectorIifEEZZNS1_16scan_by_key_implILNS1_25lookback_scan_determinismE0ELb1ES3_N6thrust23THRUST_200600_302600_NS6detail15normal_iteratorINS9_10device_ptrIiEEEENSB_INSC_IjEEEENSB_INSC_IfEEEEfNS9_4plusIvEENS9_8equal_toIvEEfEE10hipError_tPvRmT2_T3_T4_T5_mT6_T7_P12ihipStream_tbENKUlT_T0_E_clISt17integral_constantIbLb0EES12_IbLb1EEEEDaSY_SZ_EUlSY_E_NS1_11comp_targetILNS1_3genE4ELNS1_11target_archE910ELNS1_3gpuE8ELNS1_3repE0EEENS1_30default_config_static_selectorELNS0_4arch9wavefront6targetE0EEEvT1_,comdat
	.protected	_ZN7rocprim17ROCPRIM_400000_NS6detail17trampoline_kernelINS0_14default_configENS1_27scan_by_key_config_selectorIifEEZZNS1_16scan_by_key_implILNS1_25lookback_scan_determinismE0ELb1ES3_N6thrust23THRUST_200600_302600_NS6detail15normal_iteratorINS9_10device_ptrIiEEEENSB_INSC_IjEEEENSB_INSC_IfEEEEfNS9_4plusIvEENS9_8equal_toIvEEfEE10hipError_tPvRmT2_T3_T4_T5_mT6_T7_P12ihipStream_tbENKUlT_T0_E_clISt17integral_constantIbLb0EES12_IbLb1EEEEDaSY_SZ_EUlSY_E_NS1_11comp_targetILNS1_3genE4ELNS1_11target_archE910ELNS1_3gpuE8ELNS1_3repE0EEENS1_30default_config_static_selectorELNS0_4arch9wavefront6targetE0EEEvT1_ ; -- Begin function _ZN7rocprim17ROCPRIM_400000_NS6detail17trampoline_kernelINS0_14default_configENS1_27scan_by_key_config_selectorIifEEZZNS1_16scan_by_key_implILNS1_25lookback_scan_determinismE0ELb1ES3_N6thrust23THRUST_200600_302600_NS6detail15normal_iteratorINS9_10device_ptrIiEEEENSB_INSC_IjEEEENSB_INSC_IfEEEEfNS9_4plusIvEENS9_8equal_toIvEEfEE10hipError_tPvRmT2_T3_T4_T5_mT6_T7_P12ihipStream_tbENKUlT_T0_E_clISt17integral_constantIbLb0EES12_IbLb1EEEEDaSY_SZ_EUlSY_E_NS1_11comp_targetILNS1_3genE4ELNS1_11target_archE910ELNS1_3gpuE8ELNS1_3repE0EEENS1_30default_config_static_selectorELNS0_4arch9wavefront6targetE0EEEvT1_
	.globl	_ZN7rocprim17ROCPRIM_400000_NS6detail17trampoline_kernelINS0_14default_configENS1_27scan_by_key_config_selectorIifEEZZNS1_16scan_by_key_implILNS1_25lookback_scan_determinismE0ELb1ES3_N6thrust23THRUST_200600_302600_NS6detail15normal_iteratorINS9_10device_ptrIiEEEENSB_INSC_IjEEEENSB_INSC_IfEEEEfNS9_4plusIvEENS9_8equal_toIvEEfEE10hipError_tPvRmT2_T3_T4_T5_mT6_T7_P12ihipStream_tbENKUlT_T0_E_clISt17integral_constantIbLb0EES12_IbLb1EEEEDaSY_SZ_EUlSY_E_NS1_11comp_targetILNS1_3genE4ELNS1_11target_archE910ELNS1_3gpuE8ELNS1_3repE0EEENS1_30default_config_static_selectorELNS0_4arch9wavefront6targetE0EEEvT1_
	.p2align	8
	.type	_ZN7rocprim17ROCPRIM_400000_NS6detail17trampoline_kernelINS0_14default_configENS1_27scan_by_key_config_selectorIifEEZZNS1_16scan_by_key_implILNS1_25lookback_scan_determinismE0ELb1ES3_N6thrust23THRUST_200600_302600_NS6detail15normal_iteratorINS9_10device_ptrIiEEEENSB_INSC_IjEEEENSB_INSC_IfEEEEfNS9_4plusIvEENS9_8equal_toIvEEfEE10hipError_tPvRmT2_T3_T4_T5_mT6_T7_P12ihipStream_tbENKUlT_T0_E_clISt17integral_constantIbLb0EES12_IbLb1EEEEDaSY_SZ_EUlSY_E_NS1_11comp_targetILNS1_3genE4ELNS1_11target_archE910ELNS1_3gpuE8ELNS1_3repE0EEENS1_30default_config_static_selectorELNS0_4arch9wavefront6targetE0EEEvT1_,@function
_ZN7rocprim17ROCPRIM_400000_NS6detail17trampoline_kernelINS0_14default_configENS1_27scan_by_key_config_selectorIifEEZZNS1_16scan_by_key_implILNS1_25lookback_scan_determinismE0ELb1ES3_N6thrust23THRUST_200600_302600_NS6detail15normal_iteratorINS9_10device_ptrIiEEEENSB_INSC_IjEEEENSB_INSC_IfEEEEfNS9_4plusIvEENS9_8equal_toIvEEfEE10hipError_tPvRmT2_T3_T4_T5_mT6_T7_P12ihipStream_tbENKUlT_T0_E_clISt17integral_constantIbLb0EES12_IbLb1EEEEDaSY_SZ_EUlSY_E_NS1_11comp_targetILNS1_3genE4ELNS1_11target_archE910ELNS1_3gpuE8ELNS1_3repE0EEENS1_30default_config_static_selectorELNS0_4arch9wavefront6targetE0EEEvT1_: ; @_ZN7rocprim17ROCPRIM_400000_NS6detail17trampoline_kernelINS0_14default_configENS1_27scan_by_key_config_selectorIifEEZZNS1_16scan_by_key_implILNS1_25lookback_scan_determinismE0ELb1ES3_N6thrust23THRUST_200600_302600_NS6detail15normal_iteratorINS9_10device_ptrIiEEEENSB_INSC_IjEEEENSB_INSC_IfEEEEfNS9_4plusIvEENS9_8equal_toIvEEfEE10hipError_tPvRmT2_T3_T4_T5_mT6_T7_P12ihipStream_tbENKUlT_T0_E_clISt17integral_constantIbLb0EES12_IbLb1EEEEDaSY_SZ_EUlSY_E_NS1_11comp_targetILNS1_3genE4ELNS1_11target_archE910ELNS1_3gpuE8ELNS1_3repE0EEENS1_30default_config_static_selectorELNS0_4arch9wavefront6targetE0EEEvT1_
; %bb.0:
	.section	.rodata,"a",@progbits
	.p2align	6, 0x0
	.amdhsa_kernel _ZN7rocprim17ROCPRIM_400000_NS6detail17trampoline_kernelINS0_14default_configENS1_27scan_by_key_config_selectorIifEEZZNS1_16scan_by_key_implILNS1_25lookback_scan_determinismE0ELb1ES3_N6thrust23THRUST_200600_302600_NS6detail15normal_iteratorINS9_10device_ptrIiEEEENSB_INSC_IjEEEENSB_INSC_IfEEEEfNS9_4plusIvEENS9_8equal_toIvEEfEE10hipError_tPvRmT2_T3_T4_T5_mT6_T7_P12ihipStream_tbENKUlT_T0_E_clISt17integral_constantIbLb0EES12_IbLb1EEEEDaSY_SZ_EUlSY_E_NS1_11comp_targetILNS1_3genE4ELNS1_11target_archE910ELNS1_3gpuE8ELNS1_3repE0EEENS1_30default_config_static_selectorELNS0_4arch9wavefront6targetE0EEEvT1_
		.amdhsa_group_segment_fixed_size 0
		.amdhsa_private_segment_fixed_size 0
		.amdhsa_kernarg_size 112
		.amdhsa_user_sgpr_count 2
		.amdhsa_user_sgpr_dispatch_ptr 0
		.amdhsa_user_sgpr_queue_ptr 0
		.amdhsa_user_sgpr_kernarg_segment_ptr 1
		.amdhsa_user_sgpr_dispatch_id 0
		.amdhsa_user_sgpr_kernarg_preload_length 0
		.amdhsa_user_sgpr_kernarg_preload_offset 0
		.amdhsa_user_sgpr_private_segment_size 0
		.amdhsa_wavefront_size32 1
		.amdhsa_uses_dynamic_stack 0
		.amdhsa_enable_private_segment 0
		.amdhsa_system_sgpr_workgroup_id_x 1
		.amdhsa_system_sgpr_workgroup_id_y 0
		.amdhsa_system_sgpr_workgroup_id_z 0
		.amdhsa_system_sgpr_workgroup_info 0
		.amdhsa_system_vgpr_workitem_id 0
		.amdhsa_next_free_vgpr 1
		.amdhsa_next_free_sgpr 1
		.amdhsa_named_barrier_count 0
		.amdhsa_reserve_vcc 0
		.amdhsa_float_round_mode_32 0
		.amdhsa_float_round_mode_16_64 0
		.amdhsa_float_denorm_mode_32 3
		.amdhsa_float_denorm_mode_16_64 3
		.amdhsa_fp16_overflow 0
		.amdhsa_memory_ordered 1
		.amdhsa_forward_progress 1
		.amdhsa_inst_pref_size 0
		.amdhsa_round_robin_scheduling 0
		.amdhsa_exception_fp_ieee_invalid_op 0
		.amdhsa_exception_fp_denorm_src 0
		.amdhsa_exception_fp_ieee_div_zero 0
		.amdhsa_exception_fp_ieee_overflow 0
		.amdhsa_exception_fp_ieee_underflow 0
		.amdhsa_exception_fp_ieee_inexact 0
		.amdhsa_exception_int_div_zero 0
	.end_amdhsa_kernel
	.section	.text._ZN7rocprim17ROCPRIM_400000_NS6detail17trampoline_kernelINS0_14default_configENS1_27scan_by_key_config_selectorIifEEZZNS1_16scan_by_key_implILNS1_25lookback_scan_determinismE0ELb1ES3_N6thrust23THRUST_200600_302600_NS6detail15normal_iteratorINS9_10device_ptrIiEEEENSB_INSC_IjEEEENSB_INSC_IfEEEEfNS9_4plusIvEENS9_8equal_toIvEEfEE10hipError_tPvRmT2_T3_T4_T5_mT6_T7_P12ihipStream_tbENKUlT_T0_E_clISt17integral_constantIbLb0EES12_IbLb1EEEEDaSY_SZ_EUlSY_E_NS1_11comp_targetILNS1_3genE4ELNS1_11target_archE910ELNS1_3gpuE8ELNS1_3repE0EEENS1_30default_config_static_selectorELNS0_4arch9wavefront6targetE0EEEvT1_,"axG",@progbits,_ZN7rocprim17ROCPRIM_400000_NS6detail17trampoline_kernelINS0_14default_configENS1_27scan_by_key_config_selectorIifEEZZNS1_16scan_by_key_implILNS1_25lookback_scan_determinismE0ELb1ES3_N6thrust23THRUST_200600_302600_NS6detail15normal_iteratorINS9_10device_ptrIiEEEENSB_INSC_IjEEEENSB_INSC_IfEEEEfNS9_4plusIvEENS9_8equal_toIvEEfEE10hipError_tPvRmT2_T3_T4_T5_mT6_T7_P12ihipStream_tbENKUlT_T0_E_clISt17integral_constantIbLb0EES12_IbLb1EEEEDaSY_SZ_EUlSY_E_NS1_11comp_targetILNS1_3genE4ELNS1_11target_archE910ELNS1_3gpuE8ELNS1_3repE0EEENS1_30default_config_static_selectorELNS0_4arch9wavefront6targetE0EEEvT1_,comdat
.Lfunc_end1710:
	.size	_ZN7rocprim17ROCPRIM_400000_NS6detail17trampoline_kernelINS0_14default_configENS1_27scan_by_key_config_selectorIifEEZZNS1_16scan_by_key_implILNS1_25lookback_scan_determinismE0ELb1ES3_N6thrust23THRUST_200600_302600_NS6detail15normal_iteratorINS9_10device_ptrIiEEEENSB_INSC_IjEEEENSB_INSC_IfEEEEfNS9_4plusIvEENS9_8equal_toIvEEfEE10hipError_tPvRmT2_T3_T4_T5_mT6_T7_P12ihipStream_tbENKUlT_T0_E_clISt17integral_constantIbLb0EES12_IbLb1EEEEDaSY_SZ_EUlSY_E_NS1_11comp_targetILNS1_3genE4ELNS1_11target_archE910ELNS1_3gpuE8ELNS1_3repE0EEENS1_30default_config_static_selectorELNS0_4arch9wavefront6targetE0EEEvT1_, .Lfunc_end1710-_ZN7rocprim17ROCPRIM_400000_NS6detail17trampoline_kernelINS0_14default_configENS1_27scan_by_key_config_selectorIifEEZZNS1_16scan_by_key_implILNS1_25lookback_scan_determinismE0ELb1ES3_N6thrust23THRUST_200600_302600_NS6detail15normal_iteratorINS9_10device_ptrIiEEEENSB_INSC_IjEEEENSB_INSC_IfEEEEfNS9_4plusIvEENS9_8equal_toIvEEfEE10hipError_tPvRmT2_T3_T4_T5_mT6_T7_P12ihipStream_tbENKUlT_T0_E_clISt17integral_constantIbLb0EES12_IbLb1EEEEDaSY_SZ_EUlSY_E_NS1_11comp_targetILNS1_3genE4ELNS1_11target_archE910ELNS1_3gpuE8ELNS1_3repE0EEENS1_30default_config_static_selectorELNS0_4arch9wavefront6targetE0EEEvT1_
                                        ; -- End function
	.set _ZN7rocprim17ROCPRIM_400000_NS6detail17trampoline_kernelINS0_14default_configENS1_27scan_by_key_config_selectorIifEEZZNS1_16scan_by_key_implILNS1_25lookback_scan_determinismE0ELb1ES3_N6thrust23THRUST_200600_302600_NS6detail15normal_iteratorINS9_10device_ptrIiEEEENSB_INSC_IjEEEENSB_INSC_IfEEEEfNS9_4plusIvEENS9_8equal_toIvEEfEE10hipError_tPvRmT2_T3_T4_T5_mT6_T7_P12ihipStream_tbENKUlT_T0_E_clISt17integral_constantIbLb0EES12_IbLb1EEEEDaSY_SZ_EUlSY_E_NS1_11comp_targetILNS1_3genE4ELNS1_11target_archE910ELNS1_3gpuE8ELNS1_3repE0EEENS1_30default_config_static_selectorELNS0_4arch9wavefront6targetE0EEEvT1_.num_vgpr, 0
	.set _ZN7rocprim17ROCPRIM_400000_NS6detail17trampoline_kernelINS0_14default_configENS1_27scan_by_key_config_selectorIifEEZZNS1_16scan_by_key_implILNS1_25lookback_scan_determinismE0ELb1ES3_N6thrust23THRUST_200600_302600_NS6detail15normal_iteratorINS9_10device_ptrIiEEEENSB_INSC_IjEEEENSB_INSC_IfEEEEfNS9_4plusIvEENS9_8equal_toIvEEfEE10hipError_tPvRmT2_T3_T4_T5_mT6_T7_P12ihipStream_tbENKUlT_T0_E_clISt17integral_constantIbLb0EES12_IbLb1EEEEDaSY_SZ_EUlSY_E_NS1_11comp_targetILNS1_3genE4ELNS1_11target_archE910ELNS1_3gpuE8ELNS1_3repE0EEENS1_30default_config_static_selectorELNS0_4arch9wavefront6targetE0EEEvT1_.num_agpr, 0
	.set _ZN7rocprim17ROCPRIM_400000_NS6detail17trampoline_kernelINS0_14default_configENS1_27scan_by_key_config_selectorIifEEZZNS1_16scan_by_key_implILNS1_25lookback_scan_determinismE0ELb1ES3_N6thrust23THRUST_200600_302600_NS6detail15normal_iteratorINS9_10device_ptrIiEEEENSB_INSC_IjEEEENSB_INSC_IfEEEEfNS9_4plusIvEENS9_8equal_toIvEEfEE10hipError_tPvRmT2_T3_T4_T5_mT6_T7_P12ihipStream_tbENKUlT_T0_E_clISt17integral_constantIbLb0EES12_IbLb1EEEEDaSY_SZ_EUlSY_E_NS1_11comp_targetILNS1_3genE4ELNS1_11target_archE910ELNS1_3gpuE8ELNS1_3repE0EEENS1_30default_config_static_selectorELNS0_4arch9wavefront6targetE0EEEvT1_.numbered_sgpr, 0
	.set _ZN7rocprim17ROCPRIM_400000_NS6detail17trampoline_kernelINS0_14default_configENS1_27scan_by_key_config_selectorIifEEZZNS1_16scan_by_key_implILNS1_25lookback_scan_determinismE0ELb1ES3_N6thrust23THRUST_200600_302600_NS6detail15normal_iteratorINS9_10device_ptrIiEEEENSB_INSC_IjEEEENSB_INSC_IfEEEEfNS9_4plusIvEENS9_8equal_toIvEEfEE10hipError_tPvRmT2_T3_T4_T5_mT6_T7_P12ihipStream_tbENKUlT_T0_E_clISt17integral_constantIbLb0EES12_IbLb1EEEEDaSY_SZ_EUlSY_E_NS1_11comp_targetILNS1_3genE4ELNS1_11target_archE910ELNS1_3gpuE8ELNS1_3repE0EEENS1_30default_config_static_selectorELNS0_4arch9wavefront6targetE0EEEvT1_.num_named_barrier, 0
	.set _ZN7rocprim17ROCPRIM_400000_NS6detail17trampoline_kernelINS0_14default_configENS1_27scan_by_key_config_selectorIifEEZZNS1_16scan_by_key_implILNS1_25lookback_scan_determinismE0ELb1ES3_N6thrust23THRUST_200600_302600_NS6detail15normal_iteratorINS9_10device_ptrIiEEEENSB_INSC_IjEEEENSB_INSC_IfEEEEfNS9_4plusIvEENS9_8equal_toIvEEfEE10hipError_tPvRmT2_T3_T4_T5_mT6_T7_P12ihipStream_tbENKUlT_T0_E_clISt17integral_constantIbLb0EES12_IbLb1EEEEDaSY_SZ_EUlSY_E_NS1_11comp_targetILNS1_3genE4ELNS1_11target_archE910ELNS1_3gpuE8ELNS1_3repE0EEENS1_30default_config_static_selectorELNS0_4arch9wavefront6targetE0EEEvT1_.private_seg_size, 0
	.set _ZN7rocprim17ROCPRIM_400000_NS6detail17trampoline_kernelINS0_14default_configENS1_27scan_by_key_config_selectorIifEEZZNS1_16scan_by_key_implILNS1_25lookback_scan_determinismE0ELb1ES3_N6thrust23THRUST_200600_302600_NS6detail15normal_iteratorINS9_10device_ptrIiEEEENSB_INSC_IjEEEENSB_INSC_IfEEEEfNS9_4plusIvEENS9_8equal_toIvEEfEE10hipError_tPvRmT2_T3_T4_T5_mT6_T7_P12ihipStream_tbENKUlT_T0_E_clISt17integral_constantIbLb0EES12_IbLb1EEEEDaSY_SZ_EUlSY_E_NS1_11comp_targetILNS1_3genE4ELNS1_11target_archE910ELNS1_3gpuE8ELNS1_3repE0EEENS1_30default_config_static_selectorELNS0_4arch9wavefront6targetE0EEEvT1_.uses_vcc, 0
	.set _ZN7rocprim17ROCPRIM_400000_NS6detail17trampoline_kernelINS0_14default_configENS1_27scan_by_key_config_selectorIifEEZZNS1_16scan_by_key_implILNS1_25lookback_scan_determinismE0ELb1ES3_N6thrust23THRUST_200600_302600_NS6detail15normal_iteratorINS9_10device_ptrIiEEEENSB_INSC_IjEEEENSB_INSC_IfEEEEfNS9_4plusIvEENS9_8equal_toIvEEfEE10hipError_tPvRmT2_T3_T4_T5_mT6_T7_P12ihipStream_tbENKUlT_T0_E_clISt17integral_constantIbLb0EES12_IbLb1EEEEDaSY_SZ_EUlSY_E_NS1_11comp_targetILNS1_3genE4ELNS1_11target_archE910ELNS1_3gpuE8ELNS1_3repE0EEENS1_30default_config_static_selectorELNS0_4arch9wavefront6targetE0EEEvT1_.uses_flat_scratch, 0
	.set _ZN7rocprim17ROCPRIM_400000_NS6detail17trampoline_kernelINS0_14default_configENS1_27scan_by_key_config_selectorIifEEZZNS1_16scan_by_key_implILNS1_25lookback_scan_determinismE0ELb1ES3_N6thrust23THRUST_200600_302600_NS6detail15normal_iteratorINS9_10device_ptrIiEEEENSB_INSC_IjEEEENSB_INSC_IfEEEEfNS9_4plusIvEENS9_8equal_toIvEEfEE10hipError_tPvRmT2_T3_T4_T5_mT6_T7_P12ihipStream_tbENKUlT_T0_E_clISt17integral_constantIbLb0EES12_IbLb1EEEEDaSY_SZ_EUlSY_E_NS1_11comp_targetILNS1_3genE4ELNS1_11target_archE910ELNS1_3gpuE8ELNS1_3repE0EEENS1_30default_config_static_selectorELNS0_4arch9wavefront6targetE0EEEvT1_.has_dyn_sized_stack, 0
	.set _ZN7rocprim17ROCPRIM_400000_NS6detail17trampoline_kernelINS0_14default_configENS1_27scan_by_key_config_selectorIifEEZZNS1_16scan_by_key_implILNS1_25lookback_scan_determinismE0ELb1ES3_N6thrust23THRUST_200600_302600_NS6detail15normal_iteratorINS9_10device_ptrIiEEEENSB_INSC_IjEEEENSB_INSC_IfEEEEfNS9_4plusIvEENS9_8equal_toIvEEfEE10hipError_tPvRmT2_T3_T4_T5_mT6_T7_P12ihipStream_tbENKUlT_T0_E_clISt17integral_constantIbLb0EES12_IbLb1EEEEDaSY_SZ_EUlSY_E_NS1_11comp_targetILNS1_3genE4ELNS1_11target_archE910ELNS1_3gpuE8ELNS1_3repE0EEENS1_30default_config_static_selectorELNS0_4arch9wavefront6targetE0EEEvT1_.has_recursion, 0
	.set _ZN7rocprim17ROCPRIM_400000_NS6detail17trampoline_kernelINS0_14default_configENS1_27scan_by_key_config_selectorIifEEZZNS1_16scan_by_key_implILNS1_25lookback_scan_determinismE0ELb1ES3_N6thrust23THRUST_200600_302600_NS6detail15normal_iteratorINS9_10device_ptrIiEEEENSB_INSC_IjEEEENSB_INSC_IfEEEEfNS9_4plusIvEENS9_8equal_toIvEEfEE10hipError_tPvRmT2_T3_T4_T5_mT6_T7_P12ihipStream_tbENKUlT_T0_E_clISt17integral_constantIbLb0EES12_IbLb1EEEEDaSY_SZ_EUlSY_E_NS1_11comp_targetILNS1_3genE4ELNS1_11target_archE910ELNS1_3gpuE8ELNS1_3repE0EEENS1_30default_config_static_selectorELNS0_4arch9wavefront6targetE0EEEvT1_.has_indirect_call, 0
	.section	.AMDGPU.csdata,"",@progbits
; Kernel info:
; codeLenInByte = 0
; TotalNumSgprs: 0
; NumVgprs: 0
; ScratchSize: 0
; MemoryBound: 0
; FloatMode: 240
; IeeeMode: 1
; LDSByteSize: 0 bytes/workgroup (compile time only)
; SGPRBlocks: 0
; VGPRBlocks: 0
; NumSGPRsForWavesPerEU: 1
; NumVGPRsForWavesPerEU: 1
; NamedBarCnt: 0
; Occupancy: 16
; WaveLimiterHint : 0
; COMPUTE_PGM_RSRC2:SCRATCH_EN: 0
; COMPUTE_PGM_RSRC2:USER_SGPR: 2
; COMPUTE_PGM_RSRC2:TRAP_HANDLER: 0
; COMPUTE_PGM_RSRC2:TGID_X_EN: 1
; COMPUTE_PGM_RSRC2:TGID_Y_EN: 0
; COMPUTE_PGM_RSRC2:TGID_Z_EN: 0
; COMPUTE_PGM_RSRC2:TIDIG_COMP_CNT: 0
	.section	.text._ZN7rocprim17ROCPRIM_400000_NS6detail17trampoline_kernelINS0_14default_configENS1_27scan_by_key_config_selectorIifEEZZNS1_16scan_by_key_implILNS1_25lookback_scan_determinismE0ELb1ES3_N6thrust23THRUST_200600_302600_NS6detail15normal_iteratorINS9_10device_ptrIiEEEENSB_INSC_IjEEEENSB_INSC_IfEEEEfNS9_4plusIvEENS9_8equal_toIvEEfEE10hipError_tPvRmT2_T3_T4_T5_mT6_T7_P12ihipStream_tbENKUlT_T0_E_clISt17integral_constantIbLb0EES12_IbLb1EEEEDaSY_SZ_EUlSY_E_NS1_11comp_targetILNS1_3genE3ELNS1_11target_archE908ELNS1_3gpuE7ELNS1_3repE0EEENS1_30default_config_static_selectorELNS0_4arch9wavefront6targetE0EEEvT1_,"axG",@progbits,_ZN7rocprim17ROCPRIM_400000_NS6detail17trampoline_kernelINS0_14default_configENS1_27scan_by_key_config_selectorIifEEZZNS1_16scan_by_key_implILNS1_25lookback_scan_determinismE0ELb1ES3_N6thrust23THRUST_200600_302600_NS6detail15normal_iteratorINS9_10device_ptrIiEEEENSB_INSC_IjEEEENSB_INSC_IfEEEEfNS9_4plusIvEENS9_8equal_toIvEEfEE10hipError_tPvRmT2_T3_T4_T5_mT6_T7_P12ihipStream_tbENKUlT_T0_E_clISt17integral_constantIbLb0EES12_IbLb1EEEEDaSY_SZ_EUlSY_E_NS1_11comp_targetILNS1_3genE3ELNS1_11target_archE908ELNS1_3gpuE7ELNS1_3repE0EEENS1_30default_config_static_selectorELNS0_4arch9wavefront6targetE0EEEvT1_,comdat
	.protected	_ZN7rocprim17ROCPRIM_400000_NS6detail17trampoline_kernelINS0_14default_configENS1_27scan_by_key_config_selectorIifEEZZNS1_16scan_by_key_implILNS1_25lookback_scan_determinismE0ELb1ES3_N6thrust23THRUST_200600_302600_NS6detail15normal_iteratorINS9_10device_ptrIiEEEENSB_INSC_IjEEEENSB_INSC_IfEEEEfNS9_4plusIvEENS9_8equal_toIvEEfEE10hipError_tPvRmT2_T3_T4_T5_mT6_T7_P12ihipStream_tbENKUlT_T0_E_clISt17integral_constantIbLb0EES12_IbLb1EEEEDaSY_SZ_EUlSY_E_NS1_11comp_targetILNS1_3genE3ELNS1_11target_archE908ELNS1_3gpuE7ELNS1_3repE0EEENS1_30default_config_static_selectorELNS0_4arch9wavefront6targetE0EEEvT1_ ; -- Begin function _ZN7rocprim17ROCPRIM_400000_NS6detail17trampoline_kernelINS0_14default_configENS1_27scan_by_key_config_selectorIifEEZZNS1_16scan_by_key_implILNS1_25lookback_scan_determinismE0ELb1ES3_N6thrust23THRUST_200600_302600_NS6detail15normal_iteratorINS9_10device_ptrIiEEEENSB_INSC_IjEEEENSB_INSC_IfEEEEfNS9_4plusIvEENS9_8equal_toIvEEfEE10hipError_tPvRmT2_T3_T4_T5_mT6_T7_P12ihipStream_tbENKUlT_T0_E_clISt17integral_constantIbLb0EES12_IbLb1EEEEDaSY_SZ_EUlSY_E_NS1_11comp_targetILNS1_3genE3ELNS1_11target_archE908ELNS1_3gpuE7ELNS1_3repE0EEENS1_30default_config_static_selectorELNS0_4arch9wavefront6targetE0EEEvT1_
	.globl	_ZN7rocprim17ROCPRIM_400000_NS6detail17trampoline_kernelINS0_14default_configENS1_27scan_by_key_config_selectorIifEEZZNS1_16scan_by_key_implILNS1_25lookback_scan_determinismE0ELb1ES3_N6thrust23THRUST_200600_302600_NS6detail15normal_iteratorINS9_10device_ptrIiEEEENSB_INSC_IjEEEENSB_INSC_IfEEEEfNS9_4plusIvEENS9_8equal_toIvEEfEE10hipError_tPvRmT2_T3_T4_T5_mT6_T7_P12ihipStream_tbENKUlT_T0_E_clISt17integral_constantIbLb0EES12_IbLb1EEEEDaSY_SZ_EUlSY_E_NS1_11comp_targetILNS1_3genE3ELNS1_11target_archE908ELNS1_3gpuE7ELNS1_3repE0EEENS1_30default_config_static_selectorELNS0_4arch9wavefront6targetE0EEEvT1_
	.p2align	8
	.type	_ZN7rocprim17ROCPRIM_400000_NS6detail17trampoline_kernelINS0_14default_configENS1_27scan_by_key_config_selectorIifEEZZNS1_16scan_by_key_implILNS1_25lookback_scan_determinismE0ELb1ES3_N6thrust23THRUST_200600_302600_NS6detail15normal_iteratorINS9_10device_ptrIiEEEENSB_INSC_IjEEEENSB_INSC_IfEEEEfNS9_4plusIvEENS9_8equal_toIvEEfEE10hipError_tPvRmT2_T3_T4_T5_mT6_T7_P12ihipStream_tbENKUlT_T0_E_clISt17integral_constantIbLb0EES12_IbLb1EEEEDaSY_SZ_EUlSY_E_NS1_11comp_targetILNS1_3genE3ELNS1_11target_archE908ELNS1_3gpuE7ELNS1_3repE0EEENS1_30default_config_static_selectorELNS0_4arch9wavefront6targetE0EEEvT1_,@function
_ZN7rocprim17ROCPRIM_400000_NS6detail17trampoline_kernelINS0_14default_configENS1_27scan_by_key_config_selectorIifEEZZNS1_16scan_by_key_implILNS1_25lookback_scan_determinismE0ELb1ES3_N6thrust23THRUST_200600_302600_NS6detail15normal_iteratorINS9_10device_ptrIiEEEENSB_INSC_IjEEEENSB_INSC_IfEEEEfNS9_4plusIvEENS9_8equal_toIvEEfEE10hipError_tPvRmT2_T3_T4_T5_mT6_T7_P12ihipStream_tbENKUlT_T0_E_clISt17integral_constantIbLb0EES12_IbLb1EEEEDaSY_SZ_EUlSY_E_NS1_11comp_targetILNS1_3genE3ELNS1_11target_archE908ELNS1_3gpuE7ELNS1_3repE0EEENS1_30default_config_static_selectorELNS0_4arch9wavefront6targetE0EEEvT1_: ; @_ZN7rocprim17ROCPRIM_400000_NS6detail17trampoline_kernelINS0_14default_configENS1_27scan_by_key_config_selectorIifEEZZNS1_16scan_by_key_implILNS1_25lookback_scan_determinismE0ELb1ES3_N6thrust23THRUST_200600_302600_NS6detail15normal_iteratorINS9_10device_ptrIiEEEENSB_INSC_IjEEEENSB_INSC_IfEEEEfNS9_4plusIvEENS9_8equal_toIvEEfEE10hipError_tPvRmT2_T3_T4_T5_mT6_T7_P12ihipStream_tbENKUlT_T0_E_clISt17integral_constantIbLb0EES12_IbLb1EEEEDaSY_SZ_EUlSY_E_NS1_11comp_targetILNS1_3genE3ELNS1_11target_archE908ELNS1_3gpuE7ELNS1_3repE0EEENS1_30default_config_static_selectorELNS0_4arch9wavefront6targetE0EEEvT1_
; %bb.0:
	.section	.rodata,"a",@progbits
	.p2align	6, 0x0
	.amdhsa_kernel _ZN7rocprim17ROCPRIM_400000_NS6detail17trampoline_kernelINS0_14default_configENS1_27scan_by_key_config_selectorIifEEZZNS1_16scan_by_key_implILNS1_25lookback_scan_determinismE0ELb1ES3_N6thrust23THRUST_200600_302600_NS6detail15normal_iteratorINS9_10device_ptrIiEEEENSB_INSC_IjEEEENSB_INSC_IfEEEEfNS9_4plusIvEENS9_8equal_toIvEEfEE10hipError_tPvRmT2_T3_T4_T5_mT6_T7_P12ihipStream_tbENKUlT_T0_E_clISt17integral_constantIbLb0EES12_IbLb1EEEEDaSY_SZ_EUlSY_E_NS1_11comp_targetILNS1_3genE3ELNS1_11target_archE908ELNS1_3gpuE7ELNS1_3repE0EEENS1_30default_config_static_selectorELNS0_4arch9wavefront6targetE0EEEvT1_
		.amdhsa_group_segment_fixed_size 0
		.amdhsa_private_segment_fixed_size 0
		.amdhsa_kernarg_size 112
		.amdhsa_user_sgpr_count 2
		.amdhsa_user_sgpr_dispatch_ptr 0
		.amdhsa_user_sgpr_queue_ptr 0
		.amdhsa_user_sgpr_kernarg_segment_ptr 1
		.amdhsa_user_sgpr_dispatch_id 0
		.amdhsa_user_sgpr_kernarg_preload_length 0
		.amdhsa_user_sgpr_kernarg_preload_offset 0
		.amdhsa_user_sgpr_private_segment_size 0
		.amdhsa_wavefront_size32 1
		.amdhsa_uses_dynamic_stack 0
		.amdhsa_enable_private_segment 0
		.amdhsa_system_sgpr_workgroup_id_x 1
		.amdhsa_system_sgpr_workgroup_id_y 0
		.amdhsa_system_sgpr_workgroup_id_z 0
		.amdhsa_system_sgpr_workgroup_info 0
		.amdhsa_system_vgpr_workitem_id 0
		.amdhsa_next_free_vgpr 1
		.amdhsa_next_free_sgpr 1
		.amdhsa_named_barrier_count 0
		.amdhsa_reserve_vcc 0
		.amdhsa_float_round_mode_32 0
		.amdhsa_float_round_mode_16_64 0
		.amdhsa_float_denorm_mode_32 3
		.amdhsa_float_denorm_mode_16_64 3
		.amdhsa_fp16_overflow 0
		.amdhsa_memory_ordered 1
		.amdhsa_forward_progress 1
		.amdhsa_inst_pref_size 0
		.amdhsa_round_robin_scheduling 0
		.amdhsa_exception_fp_ieee_invalid_op 0
		.amdhsa_exception_fp_denorm_src 0
		.amdhsa_exception_fp_ieee_div_zero 0
		.amdhsa_exception_fp_ieee_overflow 0
		.amdhsa_exception_fp_ieee_underflow 0
		.amdhsa_exception_fp_ieee_inexact 0
		.amdhsa_exception_int_div_zero 0
	.end_amdhsa_kernel
	.section	.text._ZN7rocprim17ROCPRIM_400000_NS6detail17trampoline_kernelINS0_14default_configENS1_27scan_by_key_config_selectorIifEEZZNS1_16scan_by_key_implILNS1_25lookback_scan_determinismE0ELb1ES3_N6thrust23THRUST_200600_302600_NS6detail15normal_iteratorINS9_10device_ptrIiEEEENSB_INSC_IjEEEENSB_INSC_IfEEEEfNS9_4plusIvEENS9_8equal_toIvEEfEE10hipError_tPvRmT2_T3_T4_T5_mT6_T7_P12ihipStream_tbENKUlT_T0_E_clISt17integral_constantIbLb0EES12_IbLb1EEEEDaSY_SZ_EUlSY_E_NS1_11comp_targetILNS1_3genE3ELNS1_11target_archE908ELNS1_3gpuE7ELNS1_3repE0EEENS1_30default_config_static_selectorELNS0_4arch9wavefront6targetE0EEEvT1_,"axG",@progbits,_ZN7rocprim17ROCPRIM_400000_NS6detail17trampoline_kernelINS0_14default_configENS1_27scan_by_key_config_selectorIifEEZZNS1_16scan_by_key_implILNS1_25lookback_scan_determinismE0ELb1ES3_N6thrust23THRUST_200600_302600_NS6detail15normal_iteratorINS9_10device_ptrIiEEEENSB_INSC_IjEEEENSB_INSC_IfEEEEfNS9_4plusIvEENS9_8equal_toIvEEfEE10hipError_tPvRmT2_T3_T4_T5_mT6_T7_P12ihipStream_tbENKUlT_T0_E_clISt17integral_constantIbLb0EES12_IbLb1EEEEDaSY_SZ_EUlSY_E_NS1_11comp_targetILNS1_3genE3ELNS1_11target_archE908ELNS1_3gpuE7ELNS1_3repE0EEENS1_30default_config_static_selectorELNS0_4arch9wavefront6targetE0EEEvT1_,comdat
.Lfunc_end1711:
	.size	_ZN7rocprim17ROCPRIM_400000_NS6detail17trampoline_kernelINS0_14default_configENS1_27scan_by_key_config_selectorIifEEZZNS1_16scan_by_key_implILNS1_25lookback_scan_determinismE0ELb1ES3_N6thrust23THRUST_200600_302600_NS6detail15normal_iteratorINS9_10device_ptrIiEEEENSB_INSC_IjEEEENSB_INSC_IfEEEEfNS9_4plusIvEENS9_8equal_toIvEEfEE10hipError_tPvRmT2_T3_T4_T5_mT6_T7_P12ihipStream_tbENKUlT_T0_E_clISt17integral_constantIbLb0EES12_IbLb1EEEEDaSY_SZ_EUlSY_E_NS1_11comp_targetILNS1_3genE3ELNS1_11target_archE908ELNS1_3gpuE7ELNS1_3repE0EEENS1_30default_config_static_selectorELNS0_4arch9wavefront6targetE0EEEvT1_, .Lfunc_end1711-_ZN7rocprim17ROCPRIM_400000_NS6detail17trampoline_kernelINS0_14default_configENS1_27scan_by_key_config_selectorIifEEZZNS1_16scan_by_key_implILNS1_25lookback_scan_determinismE0ELb1ES3_N6thrust23THRUST_200600_302600_NS6detail15normal_iteratorINS9_10device_ptrIiEEEENSB_INSC_IjEEEENSB_INSC_IfEEEEfNS9_4plusIvEENS9_8equal_toIvEEfEE10hipError_tPvRmT2_T3_T4_T5_mT6_T7_P12ihipStream_tbENKUlT_T0_E_clISt17integral_constantIbLb0EES12_IbLb1EEEEDaSY_SZ_EUlSY_E_NS1_11comp_targetILNS1_3genE3ELNS1_11target_archE908ELNS1_3gpuE7ELNS1_3repE0EEENS1_30default_config_static_selectorELNS0_4arch9wavefront6targetE0EEEvT1_
                                        ; -- End function
	.set _ZN7rocprim17ROCPRIM_400000_NS6detail17trampoline_kernelINS0_14default_configENS1_27scan_by_key_config_selectorIifEEZZNS1_16scan_by_key_implILNS1_25lookback_scan_determinismE0ELb1ES3_N6thrust23THRUST_200600_302600_NS6detail15normal_iteratorINS9_10device_ptrIiEEEENSB_INSC_IjEEEENSB_INSC_IfEEEEfNS9_4plusIvEENS9_8equal_toIvEEfEE10hipError_tPvRmT2_T3_T4_T5_mT6_T7_P12ihipStream_tbENKUlT_T0_E_clISt17integral_constantIbLb0EES12_IbLb1EEEEDaSY_SZ_EUlSY_E_NS1_11comp_targetILNS1_3genE3ELNS1_11target_archE908ELNS1_3gpuE7ELNS1_3repE0EEENS1_30default_config_static_selectorELNS0_4arch9wavefront6targetE0EEEvT1_.num_vgpr, 0
	.set _ZN7rocprim17ROCPRIM_400000_NS6detail17trampoline_kernelINS0_14default_configENS1_27scan_by_key_config_selectorIifEEZZNS1_16scan_by_key_implILNS1_25lookback_scan_determinismE0ELb1ES3_N6thrust23THRUST_200600_302600_NS6detail15normal_iteratorINS9_10device_ptrIiEEEENSB_INSC_IjEEEENSB_INSC_IfEEEEfNS9_4plusIvEENS9_8equal_toIvEEfEE10hipError_tPvRmT2_T3_T4_T5_mT6_T7_P12ihipStream_tbENKUlT_T0_E_clISt17integral_constantIbLb0EES12_IbLb1EEEEDaSY_SZ_EUlSY_E_NS1_11comp_targetILNS1_3genE3ELNS1_11target_archE908ELNS1_3gpuE7ELNS1_3repE0EEENS1_30default_config_static_selectorELNS0_4arch9wavefront6targetE0EEEvT1_.num_agpr, 0
	.set _ZN7rocprim17ROCPRIM_400000_NS6detail17trampoline_kernelINS0_14default_configENS1_27scan_by_key_config_selectorIifEEZZNS1_16scan_by_key_implILNS1_25lookback_scan_determinismE0ELb1ES3_N6thrust23THRUST_200600_302600_NS6detail15normal_iteratorINS9_10device_ptrIiEEEENSB_INSC_IjEEEENSB_INSC_IfEEEEfNS9_4plusIvEENS9_8equal_toIvEEfEE10hipError_tPvRmT2_T3_T4_T5_mT6_T7_P12ihipStream_tbENKUlT_T0_E_clISt17integral_constantIbLb0EES12_IbLb1EEEEDaSY_SZ_EUlSY_E_NS1_11comp_targetILNS1_3genE3ELNS1_11target_archE908ELNS1_3gpuE7ELNS1_3repE0EEENS1_30default_config_static_selectorELNS0_4arch9wavefront6targetE0EEEvT1_.numbered_sgpr, 0
	.set _ZN7rocprim17ROCPRIM_400000_NS6detail17trampoline_kernelINS0_14default_configENS1_27scan_by_key_config_selectorIifEEZZNS1_16scan_by_key_implILNS1_25lookback_scan_determinismE0ELb1ES3_N6thrust23THRUST_200600_302600_NS6detail15normal_iteratorINS9_10device_ptrIiEEEENSB_INSC_IjEEEENSB_INSC_IfEEEEfNS9_4plusIvEENS9_8equal_toIvEEfEE10hipError_tPvRmT2_T3_T4_T5_mT6_T7_P12ihipStream_tbENKUlT_T0_E_clISt17integral_constantIbLb0EES12_IbLb1EEEEDaSY_SZ_EUlSY_E_NS1_11comp_targetILNS1_3genE3ELNS1_11target_archE908ELNS1_3gpuE7ELNS1_3repE0EEENS1_30default_config_static_selectorELNS0_4arch9wavefront6targetE0EEEvT1_.num_named_barrier, 0
	.set _ZN7rocprim17ROCPRIM_400000_NS6detail17trampoline_kernelINS0_14default_configENS1_27scan_by_key_config_selectorIifEEZZNS1_16scan_by_key_implILNS1_25lookback_scan_determinismE0ELb1ES3_N6thrust23THRUST_200600_302600_NS6detail15normal_iteratorINS9_10device_ptrIiEEEENSB_INSC_IjEEEENSB_INSC_IfEEEEfNS9_4plusIvEENS9_8equal_toIvEEfEE10hipError_tPvRmT2_T3_T4_T5_mT6_T7_P12ihipStream_tbENKUlT_T0_E_clISt17integral_constantIbLb0EES12_IbLb1EEEEDaSY_SZ_EUlSY_E_NS1_11comp_targetILNS1_3genE3ELNS1_11target_archE908ELNS1_3gpuE7ELNS1_3repE0EEENS1_30default_config_static_selectorELNS0_4arch9wavefront6targetE0EEEvT1_.private_seg_size, 0
	.set _ZN7rocprim17ROCPRIM_400000_NS6detail17trampoline_kernelINS0_14default_configENS1_27scan_by_key_config_selectorIifEEZZNS1_16scan_by_key_implILNS1_25lookback_scan_determinismE0ELb1ES3_N6thrust23THRUST_200600_302600_NS6detail15normal_iteratorINS9_10device_ptrIiEEEENSB_INSC_IjEEEENSB_INSC_IfEEEEfNS9_4plusIvEENS9_8equal_toIvEEfEE10hipError_tPvRmT2_T3_T4_T5_mT6_T7_P12ihipStream_tbENKUlT_T0_E_clISt17integral_constantIbLb0EES12_IbLb1EEEEDaSY_SZ_EUlSY_E_NS1_11comp_targetILNS1_3genE3ELNS1_11target_archE908ELNS1_3gpuE7ELNS1_3repE0EEENS1_30default_config_static_selectorELNS0_4arch9wavefront6targetE0EEEvT1_.uses_vcc, 0
	.set _ZN7rocprim17ROCPRIM_400000_NS6detail17trampoline_kernelINS0_14default_configENS1_27scan_by_key_config_selectorIifEEZZNS1_16scan_by_key_implILNS1_25lookback_scan_determinismE0ELb1ES3_N6thrust23THRUST_200600_302600_NS6detail15normal_iteratorINS9_10device_ptrIiEEEENSB_INSC_IjEEEENSB_INSC_IfEEEEfNS9_4plusIvEENS9_8equal_toIvEEfEE10hipError_tPvRmT2_T3_T4_T5_mT6_T7_P12ihipStream_tbENKUlT_T0_E_clISt17integral_constantIbLb0EES12_IbLb1EEEEDaSY_SZ_EUlSY_E_NS1_11comp_targetILNS1_3genE3ELNS1_11target_archE908ELNS1_3gpuE7ELNS1_3repE0EEENS1_30default_config_static_selectorELNS0_4arch9wavefront6targetE0EEEvT1_.uses_flat_scratch, 0
	.set _ZN7rocprim17ROCPRIM_400000_NS6detail17trampoline_kernelINS0_14default_configENS1_27scan_by_key_config_selectorIifEEZZNS1_16scan_by_key_implILNS1_25lookback_scan_determinismE0ELb1ES3_N6thrust23THRUST_200600_302600_NS6detail15normal_iteratorINS9_10device_ptrIiEEEENSB_INSC_IjEEEENSB_INSC_IfEEEEfNS9_4plusIvEENS9_8equal_toIvEEfEE10hipError_tPvRmT2_T3_T4_T5_mT6_T7_P12ihipStream_tbENKUlT_T0_E_clISt17integral_constantIbLb0EES12_IbLb1EEEEDaSY_SZ_EUlSY_E_NS1_11comp_targetILNS1_3genE3ELNS1_11target_archE908ELNS1_3gpuE7ELNS1_3repE0EEENS1_30default_config_static_selectorELNS0_4arch9wavefront6targetE0EEEvT1_.has_dyn_sized_stack, 0
	.set _ZN7rocprim17ROCPRIM_400000_NS6detail17trampoline_kernelINS0_14default_configENS1_27scan_by_key_config_selectorIifEEZZNS1_16scan_by_key_implILNS1_25lookback_scan_determinismE0ELb1ES3_N6thrust23THRUST_200600_302600_NS6detail15normal_iteratorINS9_10device_ptrIiEEEENSB_INSC_IjEEEENSB_INSC_IfEEEEfNS9_4plusIvEENS9_8equal_toIvEEfEE10hipError_tPvRmT2_T3_T4_T5_mT6_T7_P12ihipStream_tbENKUlT_T0_E_clISt17integral_constantIbLb0EES12_IbLb1EEEEDaSY_SZ_EUlSY_E_NS1_11comp_targetILNS1_3genE3ELNS1_11target_archE908ELNS1_3gpuE7ELNS1_3repE0EEENS1_30default_config_static_selectorELNS0_4arch9wavefront6targetE0EEEvT1_.has_recursion, 0
	.set _ZN7rocprim17ROCPRIM_400000_NS6detail17trampoline_kernelINS0_14default_configENS1_27scan_by_key_config_selectorIifEEZZNS1_16scan_by_key_implILNS1_25lookback_scan_determinismE0ELb1ES3_N6thrust23THRUST_200600_302600_NS6detail15normal_iteratorINS9_10device_ptrIiEEEENSB_INSC_IjEEEENSB_INSC_IfEEEEfNS9_4plusIvEENS9_8equal_toIvEEfEE10hipError_tPvRmT2_T3_T4_T5_mT6_T7_P12ihipStream_tbENKUlT_T0_E_clISt17integral_constantIbLb0EES12_IbLb1EEEEDaSY_SZ_EUlSY_E_NS1_11comp_targetILNS1_3genE3ELNS1_11target_archE908ELNS1_3gpuE7ELNS1_3repE0EEENS1_30default_config_static_selectorELNS0_4arch9wavefront6targetE0EEEvT1_.has_indirect_call, 0
	.section	.AMDGPU.csdata,"",@progbits
; Kernel info:
; codeLenInByte = 0
; TotalNumSgprs: 0
; NumVgprs: 0
; ScratchSize: 0
; MemoryBound: 0
; FloatMode: 240
; IeeeMode: 1
; LDSByteSize: 0 bytes/workgroup (compile time only)
; SGPRBlocks: 0
; VGPRBlocks: 0
; NumSGPRsForWavesPerEU: 1
; NumVGPRsForWavesPerEU: 1
; NamedBarCnt: 0
; Occupancy: 16
; WaveLimiterHint : 0
; COMPUTE_PGM_RSRC2:SCRATCH_EN: 0
; COMPUTE_PGM_RSRC2:USER_SGPR: 2
; COMPUTE_PGM_RSRC2:TRAP_HANDLER: 0
; COMPUTE_PGM_RSRC2:TGID_X_EN: 1
; COMPUTE_PGM_RSRC2:TGID_Y_EN: 0
; COMPUTE_PGM_RSRC2:TGID_Z_EN: 0
; COMPUTE_PGM_RSRC2:TIDIG_COMP_CNT: 0
	.section	.text._ZN7rocprim17ROCPRIM_400000_NS6detail17trampoline_kernelINS0_14default_configENS1_27scan_by_key_config_selectorIifEEZZNS1_16scan_by_key_implILNS1_25lookback_scan_determinismE0ELb1ES3_N6thrust23THRUST_200600_302600_NS6detail15normal_iteratorINS9_10device_ptrIiEEEENSB_INSC_IjEEEENSB_INSC_IfEEEEfNS9_4plusIvEENS9_8equal_toIvEEfEE10hipError_tPvRmT2_T3_T4_T5_mT6_T7_P12ihipStream_tbENKUlT_T0_E_clISt17integral_constantIbLb0EES12_IbLb1EEEEDaSY_SZ_EUlSY_E_NS1_11comp_targetILNS1_3genE2ELNS1_11target_archE906ELNS1_3gpuE6ELNS1_3repE0EEENS1_30default_config_static_selectorELNS0_4arch9wavefront6targetE0EEEvT1_,"axG",@progbits,_ZN7rocprim17ROCPRIM_400000_NS6detail17trampoline_kernelINS0_14default_configENS1_27scan_by_key_config_selectorIifEEZZNS1_16scan_by_key_implILNS1_25lookback_scan_determinismE0ELb1ES3_N6thrust23THRUST_200600_302600_NS6detail15normal_iteratorINS9_10device_ptrIiEEEENSB_INSC_IjEEEENSB_INSC_IfEEEEfNS9_4plusIvEENS9_8equal_toIvEEfEE10hipError_tPvRmT2_T3_T4_T5_mT6_T7_P12ihipStream_tbENKUlT_T0_E_clISt17integral_constantIbLb0EES12_IbLb1EEEEDaSY_SZ_EUlSY_E_NS1_11comp_targetILNS1_3genE2ELNS1_11target_archE906ELNS1_3gpuE6ELNS1_3repE0EEENS1_30default_config_static_selectorELNS0_4arch9wavefront6targetE0EEEvT1_,comdat
	.protected	_ZN7rocprim17ROCPRIM_400000_NS6detail17trampoline_kernelINS0_14default_configENS1_27scan_by_key_config_selectorIifEEZZNS1_16scan_by_key_implILNS1_25lookback_scan_determinismE0ELb1ES3_N6thrust23THRUST_200600_302600_NS6detail15normal_iteratorINS9_10device_ptrIiEEEENSB_INSC_IjEEEENSB_INSC_IfEEEEfNS9_4plusIvEENS9_8equal_toIvEEfEE10hipError_tPvRmT2_T3_T4_T5_mT6_T7_P12ihipStream_tbENKUlT_T0_E_clISt17integral_constantIbLb0EES12_IbLb1EEEEDaSY_SZ_EUlSY_E_NS1_11comp_targetILNS1_3genE2ELNS1_11target_archE906ELNS1_3gpuE6ELNS1_3repE0EEENS1_30default_config_static_selectorELNS0_4arch9wavefront6targetE0EEEvT1_ ; -- Begin function _ZN7rocprim17ROCPRIM_400000_NS6detail17trampoline_kernelINS0_14default_configENS1_27scan_by_key_config_selectorIifEEZZNS1_16scan_by_key_implILNS1_25lookback_scan_determinismE0ELb1ES3_N6thrust23THRUST_200600_302600_NS6detail15normal_iteratorINS9_10device_ptrIiEEEENSB_INSC_IjEEEENSB_INSC_IfEEEEfNS9_4plusIvEENS9_8equal_toIvEEfEE10hipError_tPvRmT2_T3_T4_T5_mT6_T7_P12ihipStream_tbENKUlT_T0_E_clISt17integral_constantIbLb0EES12_IbLb1EEEEDaSY_SZ_EUlSY_E_NS1_11comp_targetILNS1_3genE2ELNS1_11target_archE906ELNS1_3gpuE6ELNS1_3repE0EEENS1_30default_config_static_selectorELNS0_4arch9wavefront6targetE0EEEvT1_
	.globl	_ZN7rocprim17ROCPRIM_400000_NS6detail17trampoline_kernelINS0_14default_configENS1_27scan_by_key_config_selectorIifEEZZNS1_16scan_by_key_implILNS1_25lookback_scan_determinismE0ELb1ES3_N6thrust23THRUST_200600_302600_NS6detail15normal_iteratorINS9_10device_ptrIiEEEENSB_INSC_IjEEEENSB_INSC_IfEEEEfNS9_4plusIvEENS9_8equal_toIvEEfEE10hipError_tPvRmT2_T3_T4_T5_mT6_T7_P12ihipStream_tbENKUlT_T0_E_clISt17integral_constantIbLb0EES12_IbLb1EEEEDaSY_SZ_EUlSY_E_NS1_11comp_targetILNS1_3genE2ELNS1_11target_archE906ELNS1_3gpuE6ELNS1_3repE0EEENS1_30default_config_static_selectorELNS0_4arch9wavefront6targetE0EEEvT1_
	.p2align	8
	.type	_ZN7rocprim17ROCPRIM_400000_NS6detail17trampoline_kernelINS0_14default_configENS1_27scan_by_key_config_selectorIifEEZZNS1_16scan_by_key_implILNS1_25lookback_scan_determinismE0ELb1ES3_N6thrust23THRUST_200600_302600_NS6detail15normal_iteratorINS9_10device_ptrIiEEEENSB_INSC_IjEEEENSB_INSC_IfEEEEfNS9_4plusIvEENS9_8equal_toIvEEfEE10hipError_tPvRmT2_T3_T4_T5_mT6_T7_P12ihipStream_tbENKUlT_T0_E_clISt17integral_constantIbLb0EES12_IbLb1EEEEDaSY_SZ_EUlSY_E_NS1_11comp_targetILNS1_3genE2ELNS1_11target_archE906ELNS1_3gpuE6ELNS1_3repE0EEENS1_30default_config_static_selectorELNS0_4arch9wavefront6targetE0EEEvT1_,@function
_ZN7rocprim17ROCPRIM_400000_NS6detail17trampoline_kernelINS0_14default_configENS1_27scan_by_key_config_selectorIifEEZZNS1_16scan_by_key_implILNS1_25lookback_scan_determinismE0ELb1ES3_N6thrust23THRUST_200600_302600_NS6detail15normal_iteratorINS9_10device_ptrIiEEEENSB_INSC_IjEEEENSB_INSC_IfEEEEfNS9_4plusIvEENS9_8equal_toIvEEfEE10hipError_tPvRmT2_T3_T4_T5_mT6_T7_P12ihipStream_tbENKUlT_T0_E_clISt17integral_constantIbLb0EES12_IbLb1EEEEDaSY_SZ_EUlSY_E_NS1_11comp_targetILNS1_3genE2ELNS1_11target_archE906ELNS1_3gpuE6ELNS1_3repE0EEENS1_30default_config_static_selectorELNS0_4arch9wavefront6targetE0EEEvT1_: ; @_ZN7rocprim17ROCPRIM_400000_NS6detail17trampoline_kernelINS0_14default_configENS1_27scan_by_key_config_selectorIifEEZZNS1_16scan_by_key_implILNS1_25lookback_scan_determinismE0ELb1ES3_N6thrust23THRUST_200600_302600_NS6detail15normal_iteratorINS9_10device_ptrIiEEEENSB_INSC_IjEEEENSB_INSC_IfEEEEfNS9_4plusIvEENS9_8equal_toIvEEfEE10hipError_tPvRmT2_T3_T4_T5_mT6_T7_P12ihipStream_tbENKUlT_T0_E_clISt17integral_constantIbLb0EES12_IbLb1EEEEDaSY_SZ_EUlSY_E_NS1_11comp_targetILNS1_3genE2ELNS1_11target_archE906ELNS1_3gpuE6ELNS1_3repE0EEENS1_30default_config_static_selectorELNS0_4arch9wavefront6targetE0EEEvT1_
; %bb.0:
	.section	.rodata,"a",@progbits
	.p2align	6, 0x0
	.amdhsa_kernel _ZN7rocprim17ROCPRIM_400000_NS6detail17trampoline_kernelINS0_14default_configENS1_27scan_by_key_config_selectorIifEEZZNS1_16scan_by_key_implILNS1_25lookback_scan_determinismE0ELb1ES3_N6thrust23THRUST_200600_302600_NS6detail15normal_iteratorINS9_10device_ptrIiEEEENSB_INSC_IjEEEENSB_INSC_IfEEEEfNS9_4plusIvEENS9_8equal_toIvEEfEE10hipError_tPvRmT2_T3_T4_T5_mT6_T7_P12ihipStream_tbENKUlT_T0_E_clISt17integral_constantIbLb0EES12_IbLb1EEEEDaSY_SZ_EUlSY_E_NS1_11comp_targetILNS1_3genE2ELNS1_11target_archE906ELNS1_3gpuE6ELNS1_3repE0EEENS1_30default_config_static_selectorELNS0_4arch9wavefront6targetE0EEEvT1_
		.amdhsa_group_segment_fixed_size 0
		.amdhsa_private_segment_fixed_size 0
		.amdhsa_kernarg_size 112
		.amdhsa_user_sgpr_count 2
		.amdhsa_user_sgpr_dispatch_ptr 0
		.amdhsa_user_sgpr_queue_ptr 0
		.amdhsa_user_sgpr_kernarg_segment_ptr 1
		.amdhsa_user_sgpr_dispatch_id 0
		.amdhsa_user_sgpr_kernarg_preload_length 0
		.amdhsa_user_sgpr_kernarg_preload_offset 0
		.amdhsa_user_sgpr_private_segment_size 0
		.amdhsa_wavefront_size32 1
		.amdhsa_uses_dynamic_stack 0
		.amdhsa_enable_private_segment 0
		.amdhsa_system_sgpr_workgroup_id_x 1
		.amdhsa_system_sgpr_workgroup_id_y 0
		.amdhsa_system_sgpr_workgroup_id_z 0
		.amdhsa_system_sgpr_workgroup_info 0
		.amdhsa_system_vgpr_workitem_id 0
		.amdhsa_next_free_vgpr 1
		.amdhsa_next_free_sgpr 1
		.amdhsa_named_barrier_count 0
		.amdhsa_reserve_vcc 0
		.amdhsa_float_round_mode_32 0
		.amdhsa_float_round_mode_16_64 0
		.amdhsa_float_denorm_mode_32 3
		.amdhsa_float_denorm_mode_16_64 3
		.amdhsa_fp16_overflow 0
		.amdhsa_memory_ordered 1
		.amdhsa_forward_progress 1
		.amdhsa_inst_pref_size 0
		.amdhsa_round_robin_scheduling 0
		.amdhsa_exception_fp_ieee_invalid_op 0
		.amdhsa_exception_fp_denorm_src 0
		.amdhsa_exception_fp_ieee_div_zero 0
		.amdhsa_exception_fp_ieee_overflow 0
		.amdhsa_exception_fp_ieee_underflow 0
		.amdhsa_exception_fp_ieee_inexact 0
		.amdhsa_exception_int_div_zero 0
	.end_amdhsa_kernel
	.section	.text._ZN7rocprim17ROCPRIM_400000_NS6detail17trampoline_kernelINS0_14default_configENS1_27scan_by_key_config_selectorIifEEZZNS1_16scan_by_key_implILNS1_25lookback_scan_determinismE0ELb1ES3_N6thrust23THRUST_200600_302600_NS6detail15normal_iteratorINS9_10device_ptrIiEEEENSB_INSC_IjEEEENSB_INSC_IfEEEEfNS9_4plusIvEENS9_8equal_toIvEEfEE10hipError_tPvRmT2_T3_T4_T5_mT6_T7_P12ihipStream_tbENKUlT_T0_E_clISt17integral_constantIbLb0EES12_IbLb1EEEEDaSY_SZ_EUlSY_E_NS1_11comp_targetILNS1_3genE2ELNS1_11target_archE906ELNS1_3gpuE6ELNS1_3repE0EEENS1_30default_config_static_selectorELNS0_4arch9wavefront6targetE0EEEvT1_,"axG",@progbits,_ZN7rocprim17ROCPRIM_400000_NS6detail17trampoline_kernelINS0_14default_configENS1_27scan_by_key_config_selectorIifEEZZNS1_16scan_by_key_implILNS1_25lookback_scan_determinismE0ELb1ES3_N6thrust23THRUST_200600_302600_NS6detail15normal_iteratorINS9_10device_ptrIiEEEENSB_INSC_IjEEEENSB_INSC_IfEEEEfNS9_4plusIvEENS9_8equal_toIvEEfEE10hipError_tPvRmT2_T3_T4_T5_mT6_T7_P12ihipStream_tbENKUlT_T0_E_clISt17integral_constantIbLb0EES12_IbLb1EEEEDaSY_SZ_EUlSY_E_NS1_11comp_targetILNS1_3genE2ELNS1_11target_archE906ELNS1_3gpuE6ELNS1_3repE0EEENS1_30default_config_static_selectorELNS0_4arch9wavefront6targetE0EEEvT1_,comdat
.Lfunc_end1712:
	.size	_ZN7rocprim17ROCPRIM_400000_NS6detail17trampoline_kernelINS0_14default_configENS1_27scan_by_key_config_selectorIifEEZZNS1_16scan_by_key_implILNS1_25lookback_scan_determinismE0ELb1ES3_N6thrust23THRUST_200600_302600_NS6detail15normal_iteratorINS9_10device_ptrIiEEEENSB_INSC_IjEEEENSB_INSC_IfEEEEfNS9_4plusIvEENS9_8equal_toIvEEfEE10hipError_tPvRmT2_T3_T4_T5_mT6_T7_P12ihipStream_tbENKUlT_T0_E_clISt17integral_constantIbLb0EES12_IbLb1EEEEDaSY_SZ_EUlSY_E_NS1_11comp_targetILNS1_3genE2ELNS1_11target_archE906ELNS1_3gpuE6ELNS1_3repE0EEENS1_30default_config_static_selectorELNS0_4arch9wavefront6targetE0EEEvT1_, .Lfunc_end1712-_ZN7rocprim17ROCPRIM_400000_NS6detail17trampoline_kernelINS0_14default_configENS1_27scan_by_key_config_selectorIifEEZZNS1_16scan_by_key_implILNS1_25lookback_scan_determinismE0ELb1ES3_N6thrust23THRUST_200600_302600_NS6detail15normal_iteratorINS9_10device_ptrIiEEEENSB_INSC_IjEEEENSB_INSC_IfEEEEfNS9_4plusIvEENS9_8equal_toIvEEfEE10hipError_tPvRmT2_T3_T4_T5_mT6_T7_P12ihipStream_tbENKUlT_T0_E_clISt17integral_constantIbLb0EES12_IbLb1EEEEDaSY_SZ_EUlSY_E_NS1_11comp_targetILNS1_3genE2ELNS1_11target_archE906ELNS1_3gpuE6ELNS1_3repE0EEENS1_30default_config_static_selectorELNS0_4arch9wavefront6targetE0EEEvT1_
                                        ; -- End function
	.set _ZN7rocprim17ROCPRIM_400000_NS6detail17trampoline_kernelINS0_14default_configENS1_27scan_by_key_config_selectorIifEEZZNS1_16scan_by_key_implILNS1_25lookback_scan_determinismE0ELb1ES3_N6thrust23THRUST_200600_302600_NS6detail15normal_iteratorINS9_10device_ptrIiEEEENSB_INSC_IjEEEENSB_INSC_IfEEEEfNS9_4plusIvEENS9_8equal_toIvEEfEE10hipError_tPvRmT2_T3_T4_T5_mT6_T7_P12ihipStream_tbENKUlT_T0_E_clISt17integral_constantIbLb0EES12_IbLb1EEEEDaSY_SZ_EUlSY_E_NS1_11comp_targetILNS1_3genE2ELNS1_11target_archE906ELNS1_3gpuE6ELNS1_3repE0EEENS1_30default_config_static_selectorELNS0_4arch9wavefront6targetE0EEEvT1_.num_vgpr, 0
	.set _ZN7rocprim17ROCPRIM_400000_NS6detail17trampoline_kernelINS0_14default_configENS1_27scan_by_key_config_selectorIifEEZZNS1_16scan_by_key_implILNS1_25lookback_scan_determinismE0ELb1ES3_N6thrust23THRUST_200600_302600_NS6detail15normal_iteratorINS9_10device_ptrIiEEEENSB_INSC_IjEEEENSB_INSC_IfEEEEfNS9_4plusIvEENS9_8equal_toIvEEfEE10hipError_tPvRmT2_T3_T4_T5_mT6_T7_P12ihipStream_tbENKUlT_T0_E_clISt17integral_constantIbLb0EES12_IbLb1EEEEDaSY_SZ_EUlSY_E_NS1_11comp_targetILNS1_3genE2ELNS1_11target_archE906ELNS1_3gpuE6ELNS1_3repE0EEENS1_30default_config_static_selectorELNS0_4arch9wavefront6targetE0EEEvT1_.num_agpr, 0
	.set _ZN7rocprim17ROCPRIM_400000_NS6detail17trampoline_kernelINS0_14default_configENS1_27scan_by_key_config_selectorIifEEZZNS1_16scan_by_key_implILNS1_25lookback_scan_determinismE0ELb1ES3_N6thrust23THRUST_200600_302600_NS6detail15normal_iteratorINS9_10device_ptrIiEEEENSB_INSC_IjEEEENSB_INSC_IfEEEEfNS9_4plusIvEENS9_8equal_toIvEEfEE10hipError_tPvRmT2_T3_T4_T5_mT6_T7_P12ihipStream_tbENKUlT_T0_E_clISt17integral_constantIbLb0EES12_IbLb1EEEEDaSY_SZ_EUlSY_E_NS1_11comp_targetILNS1_3genE2ELNS1_11target_archE906ELNS1_3gpuE6ELNS1_3repE0EEENS1_30default_config_static_selectorELNS0_4arch9wavefront6targetE0EEEvT1_.numbered_sgpr, 0
	.set _ZN7rocprim17ROCPRIM_400000_NS6detail17trampoline_kernelINS0_14default_configENS1_27scan_by_key_config_selectorIifEEZZNS1_16scan_by_key_implILNS1_25lookback_scan_determinismE0ELb1ES3_N6thrust23THRUST_200600_302600_NS6detail15normal_iteratorINS9_10device_ptrIiEEEENSB_INSC_IjEEEENSB_INSC_IfEEEEfNS9_4plusIvEENS9_8equal_toIvEEfEE10hipError_tPvRmT2_T3_T4_T5_mT6_T7_P12ihipStream_tbENKUlT_T0_E_clISt17integral_constantIbLb0EES12_IbLb1EEEEDaSY_SZ_EUlSY_E_NS1_11comp_targetILNS1_3genE2ELNS1_11target_archE906ELNS1_3gpuE6ELNS1_3repE0EEENS1_30default_config_static_selectorELNS0_4arch9wavefront6targetE0EEEvT1_.num_named_barrier, 0
	.set _ZN7rocprim17ROCPRIM_400000_NS6detail17trampoline_kernelINS0_14default_configENS1_27scan_by_key_config_selectorIifEEZZNS1_16scan_by_key_implILNS1_25lookback_scan_determinismE0ELb1ES3_N6thrust23THRUST_200600_302600_NS6detail15normal_iteratorINS9_10device_ptrIiEEEENSB_INSC_IjEEEENSB_INSC_IfEEEEfNS9_4plusIvEENS9_8equal_toIvEEfEE10hipError_tPvRmT2_T3_T4_T5_mT6_T7_P12ihipStream_tbENKUlT_T0_E_clISt17integral_constantIbLb0EES12_IbLb1EEEEDaSY_SZ_EUlSY_E_NS1_11comp_targetILNS1_3genE2ELNS1_11target_archE906ELNS1_3gpuE6ELNS1_3repE0EEENS1_30default_config_static_selectorELNS0_4arch9wavefront6targetE0EEEvT1_.private_seg_size, 0
	.set _ZN7rocprim17ROCPRIM_400000_NS6detail17trampoline_kernelINS0_14default_configENS1_27scan_by_key_config_selectorIifEEZZNS1_16scan_by_key_implILNS1_25lookback_scan_determinismE0ELb1ES3_N6thrust23THRUST_200600_302600_NS6detail15normal_iteratorINS9_10device_ptrIiEEEENSB_INSC_IjEEEENSB_INSC_IfEEEEfNS9_4plusIvEENS9_8equal_toIvEEfEE10hipError_tPvRmT2_T3_T4_T5_mT6_T7_P12ihipStream_tbENKUlT_T0_E_clISt17integral_constantIbLb0EES12_IbLb1EEEEDaSY_SZ_EUlSY_E_NS1_11comp_targetILNS1_3genE2ELNS1_11target_archE906ELNS1_3gpuE6ELNS1_3repE0EEENS1_30default_config_static_selectorELNS0_4arch9wavefront6targetE0EEEvT1_.uses_vcc, 0
	.set _ZN7rocprim17ROCPRIM_400000_NS6detail17trampoline_kernelINS0_14default_configENS1_27scan_by_key_config_selectorIifEEZZNS1_16scan_by_key_implILNS1_25lookback_scan_determinismE0ELb1ES3_N6thrust23THRUST_200600_302600_NS6detail15normal_iteratorINS9_10device_ptrIiEEEENSB_INSC_IjEEEENSB_INSC_IfEEEEfNS9_4plusIvEENS9_8equal_toIvEEfEE10hipError_tPvRmT2_T3_T4_T5_mT6_T7_P12ihipStream_tbENKUlT_T0_E_clISt17integral_constantIbLb0EES12_IbLb1EEEEDaSY_SZ_EUlSY_E_NS1_11comp_targetILNS1_3genE2ELNS1_11target_archE906ELNS1_3gpuE6ELNS1_3repE0EEENS1_30default_config_static_selectorELNS0_4arch9wavefront6targetE0EEEvT1_.uses_flat_scratch, 0
	.set _ZN7rocprim17ROCPRIM_400000_NS6detail17trampoline_kernelINS0_14default_configENS1_27scan_by_key_config_selectorIifEEZZNS1_16scan_by_key_implILNS1_25lookback_scan_determinismE0ELb1ES3_N6thrust23THRUST_200600_302600_NS6detail15normal_iteratorINS9_10device_ptrIiEEEENSB_INSC_IjEEEENSB_INSC_IfEEEEfNS9_4plusIvEENS9_8equal_toIvEEfEE10hipError_tPvRmT2_T3_T4_T5_mT6_T7_P12ihipStream_tbENKUlT_T0_E_clISt17integral_constantIbLb0EES12_IbLb1EEEEDaSY_SZ_EUlSY_E_NS1_11comp_targetILNS1_3genE2ELNS1_11target_archE906ELNS1_3gpuE6ELNS1_3repE0EEENS1_30default_config_static_selectorELNS0_4arch9wavefront6targetE0EEEvT1_.has_dyn_sized_stack, 0
	.set _ZN7rocprim17ROCPRIM_400000_NS6detail17trampoline_kernelINS0_14default_configENS1_27scan_by_key_config_selectorIifEEZZNS1_16scan_by_key_implILNS1_25lookback_scan_determinismE0ELb1ES3_N6thrust23THRUST_200600_302600_NS6detail15normal_iteratorINS9_10device_ptrIiEEEENSB_INSC_IjEEEENSB_INSC_IfEEEEfNS9_4plusIvEENS9_8equal_toIvEEfEE10hipError_tPvRmT2_T3_T4_T5_mT6_T7_P12ihipStream_tbENKUlT_T0_E_clISt17integral_constantIbLb0EES12_IbLb1EEEEDaSY_SZ_EUlSY_E_NS1_11comp_targetILNS1_3genE2ELNS1_11target_archE906ELNS1_3gpuE6ELNS1_3repE0EEENS1_30default_config_static_selectorELNS0_4arch9wavefront6targetE0EEEvT1_.has_recursion, 0
	.set _ZN7rocprim17ROCPRIM_400000_NS6detail17trampoline_kernelINS0_14default_configENS1_27scan_by_key_config_selectorIifEEZZNS1_16scan_by_key_implILNS1_25lookback_scan_determinismE0ELb1ES3_N6thrust23THRUST_200600_302600_NS6detail15normal_iteratorINS9_10device_ptrIiEEEENSB_INSC_IjEEEENSB_INSC_IfEEEEfNS9_4plusIvEENS9_8equal_toIvEEfEE10hipError_tPvRmT2_T3_T4_T5_mT6_T7_P12ihipStream_tbENKUlT_T0_E_clISt17integral_constantIbLb0EES12_IbLb1EEEEDaSY_SZ_EUlSY_E_NS1_11comp_targetILNS1_3genE2ELNS1_11target_archE906ELNS1_3gpuE6ELNS1_3repE0EEENS1_30default_config_static_selectorELNS0_4arch9wavefront6targetE0EEEvT1_.has_indirect_call, 0
	.section	.AMDGPU.csdata,"",@progbits
; Kernel info:
; codeLenInByte = 0
; TotalNumSgprs: 0
; NumVgprs: 0
; ScratchSize: 0
; MemoryBound: 0
; FloatMode: 240
; IeeeMode: 1
; LDSByteSize: 0 bytes/workgroup (compile time only)
; SGPRBlocks: 0
; VGPRBlocks: 0
; NumSGPRsForWavesPerEU: 1
; NumVGPRsForWavesPerEU: 1
; NamedBarCnt: 0
; Occupancy: 16
; WaveLimiterHint : 0
; COMPUTE_PGM_RSRC2:SCRATCH_EN: 0
; COMPUTE_PGM_RSRC2:USER_SGPR: 2
; COMPUTE_PGM_RSRC2:TRAP_HANDLER: 0
; COMPUTE_PGM_RSRC2:TGID_X_EN: 1
; COMPUTE_PGM_RSRC2:TGID_Y_EN: 0
; COMPUTE_PGM_RSRC2:TGID_Z_EN: 0
; COMPUTE_PGM_RSRC2:TIDIG_COMP_CNT: 0
	.section	.text._ZN7rocprim17ROCPRIM_400000_NS6detail17trampoline_kernelINS0_14default_configENS1_27scan_by_key_config_selectorIifEEZZNS1_16scan_by_key_implILNS1_25lookback_scan_determinismE0ELb1ES3_N6thrust23THRUST_200600_302600_NS6detail15normal_iteratorINS9_10device_ptrIiEEEENSB_INSC_IjEEEENSB_INSC_IfEEEEfNS9_4plusIvEENS9_8equal_toIvEEfEE10hipError_tPvRmT2_T3_T4_T5_mT6_T7_P12ihipStream_tbENKUlT_T0_E_clISt17integral_constantIbLb0EES12_IbLb1EEEEDaSY_SZ_EUlSY_E_NS1_11comp_targetILNS1_3genE10ELNS1_11target_archE1200ELNS1_3gpuE4ELNS1_3repE0EEENS1_30default_config_static_selectorELNS0_4arch9wavefront6targetE0EEEvT1_,"axG",@progbits,_ZN7rocprim17ROCPRIM_400000_NS6detail17trampoline_kernelINS0_14default_configENS1_27scan_by_key_config_selectorIifEEZZNS1_16scan_by_key_implILNS1_25lookback_scan_determinismE0ELb1ES3_N6thrust23THRUST_200600_302600_NS6detail15normal_iteratorINS9_10device_ptrIiEEEENSB_INSC_IjEEEENSB_INSC_IfEEEEfNS9_4plusIvEENS9_8equal_toIvEEfEE10hipError_tPvRmT2_T3_T4_T5_mT6_T7_P12ihipStream_tbENKUlT_T0_E_clISt17integral_constantIbLb0EES12_IbLb1EEEEDaSY_SZ_EUlSY_E_NS1_11comp_targetILNS1_3genE10ELNS1_11target_archE1200ELNS1_3gpuE4ELNS1_3repE0EEENS1_30default_config_static_selectorELNS0_4arch9wavefront6targetE0EEEvT1_,comdat
	.protected	_ZN7rocprim17ROCPRIM_400000_NS6detail17trampoline_kernelINS0_14default_configENS1_27scan_by_key_config_selectorIifEEZZNS1_16scan_by_key_implILNS1_25lookback_scan_determinismE0ELb1ES3_N6thrust23THRUST_200600_302600_NS6detail15normal_iteratorINS9_10device_ptrIiEEEENSB_INSC_IjEEEENSB_INSC_IfEEEEfNS9_4plusIvEENS9_8equal_toIvEEfEE10hipError_tPvRmT2_T3_T4_T5_mT6_T7_P12ihipStream_tbENKUlT_T0_E_clISt17integral_constantIbLb0EES12_IbLb1EEEEDaSY_SZ_EUlSY_E_NS1_11comp_targetILNS1_3genE10ELNS1_11target_archE1200ELNS1_3gpuE4ELNS1_3repE0EEENS1_30default_config_static_selectorELNS0_4arch9wavefront6targetE0EEEvT1_ ; -- Begin function _ZN7rocprim17ROCPRIM_400000_NS6detail17trampoline_kernelINS0_14default_configENS1_27scan_by_key_config_selectorIifEEZZNS1_16scan_by_key_implILNS1_25lookback_scan_determinismE0ELb1ES3_N6thrust23THRUST_200600_302600_NS6detail15normal_iteratorINS9_10device_ptrIiEEEENSB_INSC_IjEEEENSB_INSC_IfEEEEfNS9_4plusIvEENS9_8equal_toIvEEfEE10hipError_tPvRmT2_T3_T4_T5_mT6_T7_P12ihipStream_tbENKUlT_T0_E_clISt17integral_constantIbLb0EES12_IbLb1EEEEDaSY_SZ_EUlSY_E_NS1_11comp_targetILNS1_3genE10ELNS1_11target_archE1200ELNS1_3gpuE4ELNS1_3repE0EEENS1_30default_config_static_selectorELNS0_4arch9wavefront6targetE0EEEvT1_
	.globl	_ZN7rocprim17ROCPRIM_400000_NS6detail17trampoline_kernelINS0_14default_configENS1_27scan_by_key_config_selectorIifEEZZNS1_16scan_by_key_implILNS1_25lookback_scan_determinismE0ELb1ES3_N6thrust23THRUST_200600_302600_NS6detail15normal_iteratorINS9_10device_ptrIiEEEENSB_INSC_IjEEEENSB_INSC_IfEEEEfNS9_4plusIvEENS9_8equal_toIvEEfEE10hipError_tPvRmT2_T3_T4_T5_mT6_T7_P12ihipStream_tbENKUlT_T0_E_clISt17integral_constantIbLb0EES12_IbLb1EEEEDaSY_SZ_EUlSY_E_NS1_11comp_targetILNS1_3genE10ELNS1_11target_archE1200ELNS1_3gpuE4ELNS1_3repE0EEENS1_30default_config_static_selectorELNS0_4arch9wavefront6targetE0EEEvT1_
	.p2align	8
	.type	_ZN7rocprim17ROCPRIM_400000_NS6detail17trampoline_kernelINS0_14default_configENS1_27scan_by_key_config_selectorIifEEZZNS1_16scan_by_key_implILNS1_25lookback_scan_determinismE0ELb1ES3_N6thrust23THRUST_200600_302600_NS6detail15normal_iteratorINS9_10device_ptrIiEEEENSB_INSC_IjEEEENSB_INSC_IfEEEEfNS9_4plusIvEENS9_8equal_toIvEEfEE10hipError_tPvRmT2_T3_T4_T5_mT6_T7_P12ihipStream_tbENKUlT_T0_E_clISt17integral_constantIbLb0EES12_IbLb1EEEEDaSY_SZ_EUlSY_E_NS1_11comp_targetILNS1_3genE10ELNS1_11target_archE1200ELNS1_3gpuE4ELNS1_3repE0EEENS1_30default_config_static_selectorELNS0_4arch9wavefront6targetE0EEEvT1_,@function
_ZN7rocprim17ROCPRIM_400000_NS6detail17trampoline_kernelINS0_14default_configENS1_27scan_by_key_config_selectorIifEEZZNS1_16scan_by_key_implILNS1_25lookback_scan_determinismE0ELb1ES3_N6thrust23THRUST_200600_302600_NS6detail15normal_iteratorINS9_10device_ptrIiEEEENSB_INSC_IjEEEENSB_INSC_IfEEEEfNS9_4plusIvEENS9_8equal_toIvEEfEE10hipError_tPvRmT2_T3_T4_T5_mT6_T7_P12ihipStream_tbENKUlT_T0_E_clISt17integral_constantIbLb0EES12_IbLb1EEEEDaSY_SZ_EUlSY_E_NS1_11comp_targetILNS1_3genE10ELNS1_11target_archE1200ELNS1_3gpuE4ELNS1_3repE0EEENS1_30default_config_static_selectorELNS0_4arch9wavefront6targetE0EEEvT1_: ; @_ZN7rocprim17ROCPRIM_400000_NS6detail17trampoline_kernelINS0_14default_configENS1_27scan_by_key_config_selectorIifEEZZNS1_16scan_by_key_implILNS1_25lookback_scan_determinismE0ELb1ES3_N6thrust23THRUST_200600_302600_NS6detail15normal_iteratorINS9_10device_ptrIiEEEENSB_INSC_IjEEEENSB_INSC_IfEEEEfNS9_4plusIvEENS9_8equal_toIvEEfEE10hipError_tPvRmT2_T3_T4_T5_mT6_T7_P12ihipStream_tbENKUlT_T0_E_clISt17integral_constantIbLb0EES12_IbLb1EEEEDaSY_SZ_EUlSY_E_NS1_11comp_targetILNS1_3genE10ELNS1_11target_archE1200ELNS1_3gpuE4ELNS1_3repE0EEENS1_30default_config_static_selectorELNS0_4arch9wavefront6targetE0EEEvT1_
; %bb.0:
	.section	.rodata,"a",@progbits
	.p2align	6, 0x0
	.amdhsa_kernel _ZN7rocprim17ROCPRIM_400000_NS6detail17trampoline_kernelINS0_14default_configENS1_27scan_by_key_config_selectorIifEEZZNS1_16scan_by_key_implILNS1_25lookback_scan_determinismE0ELb1ES3_N6thrust23THRUST_200600_302600_NS6detail15normal_iteratorINS9_10device_ptrIiEEEENSB_INSC_IjEEEENSB_INSC_IfEEEEfNS9_4plusIvEENS9_8equal_toIvEEfEE10hipError_tPvRmT2_T3_T4_T5_mT6_T7_P12ihipStream_tbENKUlT_T0_E_clISt17integral_constantIbLb0EES12_IbLb1EEEEDaSY_SZ_EUlSY_E_NS1_11comp_targetILNS1_3genE10ELNS1_11target_archE1200ELNS1_3gpuE4ELNS1_3repE0EEENS1_30default_config_static_selectorELNS0_4arch9wavefront6targetE0EEEvT1_
		.amdhsa_group_segment_fixed_size 0
		.amdhsa_private_segment_fixed_size 0
		.amdhsa_kernarg_size 112
		.amdhsa_user_sgpr_count 2
		.amdhsa_user_sgpr_dispatch_ptr 0
		.amdhsa_user_sgpr_queue_ptr 0
		.amdhsa_user_sgpr_kernarg_segment_ptr 1
		.amdhsa_user_sgpr_dispatch_id 0
		.amdhsa_user_sgpr_kernarg_preload_length 0
		.amdhsa_user_sgpr_kernarg_preload_offset 0
		.amdhsa_user_sgpr_private_segment_size 0
		.amdhsa_wavefront_size32 1
		.amdhsa_uses_dynamic_stack 0
		.amdhsa_enable_private_segment 0
		.amdhsa_system_sgpr_workgroup_id_x 1
		.amdhsa_system_sgpr_workgroup_id_y 0
		.amdhsa_system_sgpr_workgroup_id_z 0
		.amdhsa_system_sgpr_workgroup_info 0
		.amdhsa_system_vgpr_workitem_id 0
		.amdhsa_next_free_vgpr 1
		.amdhsa_next_free_sgpr 1
		.amdhsa_named_barrier_count 0
		.amdhsa_reserve_vcc 0
		.amdhsa_float_round_mode_32 0
		.amdhsa_float_round_mode_16_64 0
		.amdhsa_float_denorm_mode_32 3
		.amdhsa_float_denorm_mode_16_64 3
		.amdhsa_fp16_overflow 0
		.amdhsa_memory_ordered 1
		.amdhsa_forward_progress 1
		.amdhsa_inst_pref_size 0
		.amdhsa_round_robin_scheduling 0
		.amdhsa_exception_fp_ieee_invalid_op 0
		.amdhsa_exception_fp_denorm_src 0
		.amdhsa_exception_fp_ieee_div_zero 0
		.amdhsa_exception_fp_ieee_overflow 0
		.amdhsa_exception_fp_ieee_underflow 0
		.amdhsa_exception_fp_ieee_inexact 0
		.amdhsa_exception_int_div_zero 0
	.end_amdhsa_kernel
	.section	.text._ZN7rocprim17ROCPRIM_400000_NS6detail17trampoline_kernelINS0_14default_configENS1_27scan_by_key_config_selectorIifEEZZNS1_16scan_by_key_implILNS1_25lookback_scan_determinismE0ELb1ES3_N6thrust23THRUST_200600_302600_NS6detail15normal_iteratorINS9_10device_ptrIiEEEENSB_INSC_IjEEEENSB_INSC_IfEEEEfNS9_4plusIvEENS9_8equal_toIvEEfEE10hipError_tPvRmT2_T3_T4_T5_mT6_T7_P12ihipStream_tbENKUlT_T0_E_clISt17integral_constantIbLb0EES12_IbLb1EEEEDaSY_SZ_EUlSY_E_NS1_11comp_targetILNS1_3genE10ELNS1_11target_archE1200ELNS1_3gpuE4ELNS1_3repE0EEENS1_30default_config_static_selectorELNS0_4arch9wavefront6targetE0EEEvT1_,"axG",@progbits,_ZN7rocprim17ROCPRIM_400000_NS6detail17trampoline_kernelINS0_14default_configENS1_27scan_by_key_config_selectorIifEEZZNS1_16scan_by_key_implILNS1_25lookback_scan_determinismE0ELb1ES3_N6thrust23THRUST_200600_302600_NS6detail15normal_iteratorINS9_10device_ptrIiEEEENSB_INSC_IjEEEENSB_INSC_IfEEEEfNS9_4plusIvEENS9_8equal_toIvEEfEE10hipError_tPvRmT2_T3_T4_T5_mT6_T7_P12ihipStream_tbENKUlT_T0_E_clISt17integral_constantIbLb0EES12_IbLb1EEEEDaSY_SZ_EUlSY_E_NS1_11comp_targetILNS1_3genE10ELNS1_11target_archE1200ELNS1_3gpuE4ELNS1_3repE0EEENS1_30default_config_static_selectorELNS0_4arch9wavefront6targetE0EEEvT1_,comdat
.Lfunc_end1713:
	.size	_ZN7rocprim17ROCPRIM_400000_NS6detail17trampoline_kernelINS0_14default_configENS1_27scan_by_key_config_selectorIifEEZZNS1_16scan_by_key_implILNS1_25lookback_scan_determinismE0ELb1ES3_N6thrust23THRUST_200600_302600_NS6detail15normal_iteratorINS9_10device_ptrIiEEEENSB_INSC_IjEEEENSB_INSC_IfEEEEfNS9_4plusIvEENS9_8equal_toIvEEfEE10hipError_tPvRmT2_T3_T4_T5_mT6_T7_P12ihipStream_tbENKUlT_T0_E_clISt17integral_constantIbLb0EES12_IbLb1EEEEDaSY_SZ_EUlSY_E_NS1_11comp_targetILNS1_3genE10ELNS1_11target_archE1200ELNS1_3gpuE4ELNS1_3repE0EEENS1_30default_config_static_selectorELNS0_4arch9wavefront6targetE0EEEvT1_, .Lfunc_end1713-_ZN7rocprim17ROCPRIM_400000_NS6detail17trampoline_kernelINS0_14default_configENS1_27scan_by_key_config_selectorIifEEZZNS1_16scan_by_key_implILNS1_25lookback_scan_determinismE0ELb1ES3_N6thrust23THRUST_200600_302600_NS6detail15normal_iteratorINS9_10device_ptrIiEEEENSB_INSC_IjEEEENSB_INSC_IfEEEEfNS9_4plusIvEENS9_8equal_toIvEEfEE10hipError_tPvRmT2_T3_T4_T5_mT6_T7_P12ihipStream_tbENKUlT_T0_E_clISt17integral_constantIbLb0EES12_IbLb1EEEEDaSY_SZ_EUlSY_E_NS1_11comp_targetILNS1_3genE10ELNS1_11target_archE1200ELNS1_3gpuE4ELNS1_3repE0EEENS1_30default_config_static_selectorELNS0_4arch9wavefront6targetE0EEEvT1_
                                        ; -- End function
	.set _ZN7rocprim17ROCPRIM_400000_NS6detail17trampoline_kernelINS0_14default_configENS1_27scan_by_key_config_selectorIifEEZZNS1_16scan_by_key_implILNS1_25lookback_scan_determinismE0ELb1ES3_N6thrust23THRUST_200600_302600_NS6detail15normal_iteratorINS9_10device_ptrIiEEEENSB_INSC_IjEEEENSB_INSC_IfEEEEfNS9_4plusIvEENS9_8equal_toIvEEfEE10hipError_tPvRmT2_T3_T4_T5_mT6_T7_P12ihipStream_tbENKUlT_T0_E_clISt17integral_constantIbLb0EES12_IbLb1EEEEDaSY_SZ_EUlSY_E_NS1_11comp_targetILNS1_3genE10ELNS1_11target_archE1200ELNS1_3gpuE4ELNS1_3repE0EEENS1_30default_config_static_selectorELNS0_4arch9wavefront6targetE0EEEvT1_.num_vgpr, 0
	.set _ZN7rocprim17ROCPRIM_400000_NS6detail17trampoline_kernelINS0_14default_configENS1_27scan_by_key_config_selectorIifEEZZNS1_16scan_by_key_implILNS1_25lookback_scan_determinismE0ELb1ES3_N6thrust23THRUST_200600_302600_NS6detail15normal_iteratorINS9_10device_ptrIiEEEENSB_INSC_IjEEEENSB_INSC_IfEEEEfNS9_4plusIvEENS9_8equal_toIvEEfEE10hipError_tPvRmT2_T3_T4_T5_mT6_T7_P12ihipStream_tbENKUlT_T0_E_clISt17integral_constantIbLb0EES12_IbLb1EEEEDaSY_SZ_EUlSY_E_NS1_11comp_targetILNS1_3genE10ELNS1_11target_archE1200ELNS1_3gpuE4ELNS1_3repE0EEENS1_30default_config_static_selectorELNS0_4arch9wavefront6targetE0EEEvT1_.num_agpr, 0
	.set _ZN7rocprim17ROCPRIM_400000_NS6detail17trampoline_kernelINS0_14default_configENS1_27scan_by_key_config_selectorIifEEZZNS1_16scan_by_key_implILNS1_25lookback_scan_determinismE0ELb1ES3_N6thrust23THRUST_200600_302600_NS6detail15normal_iteratorINS9_10device_ptrIiEEEENSB_INSC_IjEEEENSB_INSC_IfEEEEfNS9_4plusIvEENS9_8equal_toIvEEfEE10hipError_tPvRmT2_T3_T4_T5_mT6_T7_P12ihipStream_tbENKUlT_T0_E_clISt17integral_constantIbLb0EES12_IbLb1EEEEDaSY_SZ_EUlSY_E_NS1_11comp_targetILNS1_3genE10ELNS1_11target_archE1200ELNS1_3gpuE4ELNS1_3repE0EEENS1_30default_config_static_selectorELNS0_4arch9wavefront6targetE0EEEvT1_.numbered_sgpr, 0
	.set _ZN7rocprim17ROCPRIM_400000_NS6detail17trampoline_kernelINS0_14default_configENS1_27scan_by_key_config_selectorIifEEZZNS1_16scan_by_key_implILNS1_25lookback_scan_determinismE0ELb1ES3_N6thrust23THRUST_200600_302600_NS6detail15normal_iteratorINS9_10device_ptrIiEEEENSB_INSC_IjEEEENSB_INSC_IfEEEEfNS9_4plusIvEENS9_8equal_toIvEEfEE10hipError_tPvRmT2_T3_T4_T5_mT6_T7_P12ihipStream_tbENKUlT_T0_E_clISt17integral_constantIbLb0EES12_IbLb1EEEEDaSY_SZ_EUlSY_E_NS1_11comp_targetILNS1_3genE10ELNS1_11target_archE1200ELNS1_3gpuE4ELNS1_3repE0EEENS1_30default_config_static_selectorELNS0_4arch9wavefront6targetE0EEEvT1_.num_named_barrier, 0
	.set _ZN7rocprim17ROCPRIM_400000_NS6detail17trampoline_kernelINS0_14default_configENS1_27scan_by_key_config_selectorIifEEZZNS1_16scan_by_key_implILNS1_25lookback_scan_determinismE0ELb1ES3_N6thrust23THRUST_200600_302600_NS6detail15normal_iteratorINS9_10device_ptrIiEEEENSB_INSC_IjEEEENSB_INSC_IfEEEEfNS9_4plusIvEENS9_8equal_toIvEEfEE10hipError_tPvRmT2_T3_T4_T5_mT6_T7_P12ihipStream_tbENKUlT_T0_E_clISt17integral_constantIbLb0EES12_IbLb1EEEEDaSY_SZ_EUlSY_E_NS1_11comp_targetILNS1_3genE10ELNS1_11target_archE1200ELNS1_3gpuE4ELNS1_3repE0EEENS1_30default_config_static_selectorELNS0_4arch9wavefront6targetE0EEEvT1_.private_seg_size, 0
	.set _ZN7rocprim17ROCPRIM_400000_NS6detail17trampoline_kernelINS0_14default_configENS1_27scan_by_key_config_selectorIifEEZZNS1_16scan_by_key_implILNS1_25lookback_scan_determinismE0ELb1ES3_N6thrust23THRUST_200600_302600_NS6detail15normal_iteratorINS9_10device_ptrIiEEEENSB_INSC_IjEEEENSB_INSC_IfEEEEfNS9_4plusIvEENS9_8equal_toIvEEfEE10hipError_tPvRmT2_T3_T4_T5_mT6_T7_P12ihipStream_tbENKUlT_T0_E_clISt17integral_constantIbLb0EES12_IbLb1EEEEDaSY_SZ_EUlSY_E_NS1_11comp_targetILNS1_3genE10ELNS1_11target_archE1200ELNS1_3gpuE4ELNS1_3repE0EEENS1_30default_config_static_selectorELNS0_4arch9wavefront6targetE0EEEvT1_.uses_vcc, 0
	.set _ZN7rocprim17ROCPRIM_400000_NS6detail17trampoline_kernelINS0_14default_configENS1_27scan_by_key_config_selectorIifEEZZNS1_16scan_by_key_implILNS1_25lookback_scan_determinismE0ELb1ES3_N6thrust23THRUST_200600_302600_NS6detail15normal_iteratorINS9_10device_ptrIiEEEENSB_INSC_IjEEEENSB_INSC_IfEEEEfNS9_4plusIvEENS9_8equal_toIvEEfEE10hipError_tPvRmT2_T3_T4_T5_mT6_T7_P12ihipStream_tbENKUlT_T0_E_clISt17integral_constantIbLb0EES12_IbLb1EEEEDaSY_SZ_EUlSY_E_NS1_11comp_targetILNS1_3genE10ELNS1_11target_archE1200ELNS1_3gpuE4ELNS1_3repE0EEENS1_30default_config_static_selectorELNS0_4arch9wavefront6targetE0EEEvT1_.uses_flat_scratch, 0
	.set _ZN7rocprim17ROCPRIM_400000_NS6detail17trampoline_kernelINS0_14default_configENS1_27scan_by_key_config_selectorIifEEZZNS1_16scan_by_key_implILNS1_25lookback_scan_determinismE0ELb1ES3_N6thrust23THRUST_200600_302600_NS6detail15normal_iteratorINS9_10device_ptrIiEEEENSB_INSC_IjEEEENSB_INSC_IfEEEEfNS9_4plusIvEENS9_8equal_toIvEEfEE10hipError_tPvRmT2_T3_T4_T5_mT6_T7_P12ihipStream_tbENKUlT_T0_E_clISt17integral_constantIbLb0EES12_IbLb1EEEEDaSY_SZ_EUlSY_E_NS1_11comp_targetILNS1_3genE10ELNS1_11target_archE1200ELNS1_3gpuE4ELNS1_3repE0EEENS1_30default_config_static_selectorELNS0_4arch9wavefront6targetE0EEEvT1_.has_dyn_sized_stack, 0
	.set _ZN7rocprim17ROCPRIM_400000_NS6detail17trampoline_kernelINS0_14default_configENS1_27scan_by_key_config_selectorIifEEZZNS1_16scan_by_key_implILNS1_25lookback_scan_determinismE0ELb1ES3_N6thrust23THRUST_200600_302600_NS6detail15normal_iteratorINS9_10device_ptrIiEEEENSB_INSC_IjEEEENSB_INSC_IfEEEEfNS9_4plusIvEENS9_8equal_toIvEEfEE10hipError_tPvRmT2_T3_T4_T5_mT6_T7_P12ihipStream_tbENKUlT_T0_E_clISt17integral_constantIbLb0EES12_IbLb1EEEEDaSY_SZ_EUlSY_E_NS1_11comp_targetILNS1_3genE10ELNS1_11target_archE1200ELNS1_3gpuE4ELNS1_3repE0EEENS1_30default_config_static_selectorELNS0_4arch9wavefront6targetE0EEEvT1_.has_recursion, 0
	.set _ZN7rocprim17ROCPRIM_400000_NS6detail17trampoline_kernelINS0_14default_configENS1_27scan_by_key_config_selectorIifEEZZNS1_16scan_by_key_implILNS1_25lookback_scan_determinismE0ELb1ES3_N6thrust23THRUST_200600_302600_NS6detail15normal_iteratorINS9_10device_ptrIiEEEENSB_INSC_IjEEEENSB_INSC_IfEEEEfNS9_4plusIvEENS9_8equal_toIvEEfEE10hipError_tPvRmT2_T3_T4_T5_mT6_T7_P12ihipStream_tbENKUlT_T0_E_clISt17integral_constantIbLb0EES12_IbLb1EEEEDaSY_SZ_EUlSY_E_NS1_11comp_targetILNS1_3genE10ELNS1_11target_archE1200ELNS1_3gpuE4ELNS1_3repE0EEENS1_30default_config_static_selectorELNS0_4arch9wavefront6targetE0EEEvT1_.has_indirect_call, 0
	.section	.AMDGPU.csdata,"",@progbits
; Kernel info:
; codeLenInByte = 0
; TotalNumSgprs: 0
; NumVgprs: 0
; ScratchSize: 0
; MemoryBound: 0
; FloatMode: 240
; IeeeMode: 1
; LDSByteSize: 0 bytes/workgroup (compile time only)
; SGPRBlocks: 0
; VGPRBlocks: 0
; NumSGPRsForWavesPerEU: 1
; NumVGPRsForWavesPerEU: 1
; NamedBarCnt: 0
; Occupancy: 16
; WaveLimiterHint : 0
; COMPUTE_PGM_RSRC2:SCRATCH_EN: 0
; COMPUTE_PGM_RSRC2:USER_SGPR: 2
; COMPUTE_PGM_RSRC2:TRAP_HANDLER: 0
; COMPUTE_PGM_RSRC2:TGID_X_EN: 1
; COMPUTE_PGM_RSRC2:TGID_Y_EN: 0
; COMPUTE_PGM_RSRC2:TGID_Z_EN: 0
; COMPUTE_PGM_RSRC2:TIDIG_COMP_CNT: 0
	.section	.text._ZN7rocprim17ROCPRIM_400000_NS6detail17trampoline_kernelINS0_14default_configENS1_27scan_by_key_config_selectorIifEEZZNS1_16scan_by_key_implILNS1_25lookback_scan_determinismE0ELb1ES3_N6thrust23THRUST_200600_302600_NS6detail15normal_iteratorINS9_10device_ptrIiEEEENSB_INSC_IjEEEENSB_INSC_IfEEEEfNS9_4plusIvEENS9_8equal_toIvEEfEE10hipError_tPvRmT2_T3_T4_T5_mT6_T7_P12ihipStream_tbENKUlT_T0_E_clISt17integral_constantIbLb0EES12_IbLb1EEEEDaSY_SZ_EUlSY_E_NS1_11comp_targetILNS1_3genE9ELNS1_11target_archE1100ELNS1_3gpuE3ELNS1_3repE0EEENS1_30default_config_static_selectorELNS0_4arch9wavefront6targetE0EEEvT1_,"axG",@progbits,_ZN7rocprim17ROCPRIM_400000_NS6detail17trampoline_kernelINS0_14default_configENS1_27scan_by_key_config_selectorIifEEZZNS1_16scan_by_key_implILNS1_25lookback_scan_determinismE0ELb1ES3_N6thrust23THRUST_200600_302600_NS6detail15normal_iteratorINS9_10device_ptrIiEEEENSB_INSC_IjEEEENSB_INSC_IfEEEEfNS9_4plusIvEENS9_8equal_toIvEEfEE10hipError_tPvRmT2_T3_T4_T5_mT6_T7_P12ihipStream_tbENKUlT_T0_E_clISt17integral_constantIbLb0EES12_IbLb1EEEEDaSY_SZ_EUlSY_E_NS1_11comp_targetILNS1_3genE9ELNS1_11target_archE1100ELNS1_3gpuE3ELNS1_3repE0EEENS1_30default_config_static_selectorELNS0_4arch9wavefront6targetE0EEEvT1_,comdat
	.protected	_ZN7rocprim17ROCPRIM_400000_NS6detail17trampoline_kernelINS0_14default_configENS1_27scan_by_key_config_selectorIifEEZZNS1_16scan_by_key_implILNS1_25lookback_scan_determinismE0ELb1ES3_N6thrust23THRUST_200600_302600_NS6detail15normal_iteratorINS9_10device_ptrIiEEEENSB_INSC_IjEEEENSB_INSC_IfEEEEfNS9_4plusIvEENS9_8equal_toIvEEfEE10hipError_tPvRmT2_T3_T4_T5_mT6_T7_P12ihipStream_tbENKUlT_T0_E_clISt17integral_constantIbLb0EES12_IbLb1EEEEDaSY_SZ_EUlSY_E_NS1_11comp_targetILNS1_3genE9ELNS1_11target_archE1100ELNS1_3gpuE3ELNS1_3repE0EEENS1_30default_config_static_selectorELNS0_4arch9wavefront6targetE0EEEvT1_ ; -- Begin function _ZN7rocprim17ROCPRIM_400000_NS6detail17trampoline_kernelINS0_14default_configENS1_27scan_by_key_config_selectorIifEEZZNS1_16scan_by_key_implILNS1_25lookback_scan_determinismE0ELb1ES3_N6thrust23THRUST_200600_302600_NS6detail15normal_iteratorINS9_10device_ptrIiEEEENSB_INSC_IjEEEENSB_INSC_IfEEEEfNS9_4plusIvEENS9_8equal_toIvEEfEE10hipError_tPvRmT2_T3_T4_T5_mT6_T7_P12ihipStream_tbENKUlT_T0_E_clISt17integral_constantIbLb0EES12_IbLb1EEEEDaSY_SZ_EUlSY_E_NS1_11comp_targetILNS1_3genE9ELNS1_11target_archE1100ELNS1_3gpuE3ELNS1_3repE0EEENS1_30default_config_static_selectorELNS0_4arch9wavefront6targetE0EEEvT1_
	.globl	_ZN7rocprim17ROCPRIM_400000_NS6detail17trampoline_kernelINS0_14default_configENS1_27scan_by_key_config_selectorIifEEZZNS1_16scan_by_key_implILNS1_25lookback_scan_determinismE0ELb1ES3_N6thrust23THRUST_200600_302600_NS6detail15normal_iteratorINS9_10device_ptrIiEEEENSB_INSC_IjEEEENSB_INSC_IfEEEEfNS9_4plusIvEENS9_8equal_toIvEEfEE10hipError_tPvRmT2_T3_T4_T5_mT6_T7_P12ihipStream_tbENKUlT_T0_E_clISt17integral_constantIbLb0EES12_IbLb1EEEEDaSY_SZ_EUlSY_E_NS1_11comp_targetILNS1_3genE9ELNS1_11target_archE1100ELNS1_3gpuE3ELNS1_3repE0EEENS1_30default_config_static_selectorELNS0_4arch9wavefront6targetE0EEEvT1_
	.p2align	8
	.type	_ZN7rocprim17ROCPRIM_400000_NS6detail17trampoline_kernelINS0_14default_configENS1_27scan_by_key_config_selectorIifEEZZNS1_16scan_by_key_implILNS1_25lookback_scan_determinismE0ELb1ES3_N6thrust23THRUST_200600_302600_NS6detail15normal_iteratorINS9_10device_ptrIiEEEENSB_INSC_IjEEEENSB_INSC_IfEEEEfNS9_4plusIvEENS9_8equal_toIvEEfEE10hipError_tPvRmT2_T3_T4_T5_mT6_T7_P12ihipStream_tbENKUlT_T0_E_clISt17integral_constantIbLb0EES12_IbLb1EEEEDaSY_SZ_EUlSY_E_NS1_11comp_targetILNS1_3genE9ELNS1_11target_archE1100ELNS1_3gpuE3ELNS1_3repE0EEENS1_30default_config_static_selectorELNS0_4arch9wavefront6targetE0EEEvT1_,@function
_ZN7rocprim17ROCPRIM_400000_NS6detail17trampoline_kernelINS0_14default_configENS1_27scan_by_key_config_selectorIifEEZZNS1_16scan_by_key_implILNS1_25lookback_scan_determinismE0ELb1ES3_N6thrust23THRUST_200600_302600_NS6detail15normal_iteratorINS9_10device_ptrIiEEEENSB_INSC_IjEEEENSB_INSC_IfEEEEfNS9_4plusIvEENS9_8equal_toIvEEfEE10hipError_tPvRmT2_T3_T4_T5_mT6_T7_P12ihipStream_tbENKUlT_T0_E_clISt17integral_constantIbLb0EES12_IbLb1EEEEDaSY_SZ_EUlSY_E_NS1_11comp_targetILNS1_3genE9ELNS1_11target_archE1100ELNS1_3gpuE3ELNS1_3repE0EEENS1_30default_config_static_selectorELNS0_4arch9wavefront6targetE0EEEvT1_: ; @_ZN7rocprim17ROCPRIM_400000_NS6detail17trampoline_kernelINS0_14default_configENS1_27scan_by_key_config_selectorIifEEZZNS1_16scan_by_key_implILNS1_25lookback_scan_determinismE0ELb1ES3_N6thrust23THRUST_200600_302600_NS6detail15normal_iteratorINS9_10device_ptrIiEEEENSB_INSC_IjEEEENSB_INSC_IfEEEEfNS9_4plusIvEENS9_8equal_toIvEEfEE10hipError_tPvRmT2_T3_T4_T5_mT6_T7_P12ihipStream_tbENKUlT_T0_E_clISt17integral_constantIbLb0EES12_IbLb1EEEEDaSY_SZ_EUlSY_E_NS1_11comp_targetILNS1_3genE9ELNS1_11target_archE1100ELNS1_3gpuE3ELNS1_3repE0EEENS1_30default_config_static_selectorELNS0_4arch9wavefront6targetE0EEEvT1_
; %bb.0:
	.section	.rodata,"a",@progbits
	.p2align	6, 0x0
	.amdhsa_kernel _ZN7rocprim17ROCPRIM_400000_NS6detail17trampoline_kernelINS0_14default_configENS1_27scan_by_key_config_selectorIifEEZZNS1_16scan_by_key_implILNS1_25lookback_scan_determinismE0ELb1ES3_N6thrust23THRUST_200600_302600_NS6detail15normal_iteratorINS9_10device_ptrIiEEEENSB_INSC_IjEEEENSB_INSC_IfEEEEfNS9_4plusIvEENS9_8equal_toIvEEfEE10hipError_tPvRmT2_T3_T4_T5_mT6_T7_P12ihipStream_tbENKUlT_T0_E_clISt17integral_constantIbLb0EES12_IbLb1EEEEDaSY_SZ_EUlSY_E_NS1_11comp_targetILNS1_3genE9ELNS1_11target_archE1100ELNS1_3gpuE3ELNS1_3repE0EEENS1_30default_config_static_selectorELNS0_4arch9wavefront6targetE0EEEvT1_
		.amdhsa_group_segment_fixed_size 0
		.amdhsa_private_segment_fixed_size 0
		.amdhsa_kernarg_size 112
		.amdhsa_user_sgpr_count 2
		.amdhsa_user_sgpr_dispatch_ptr 0
		.amdhsa_user_sgpr_queue_ptr 0
		.amdhsa_user_sgpr_kernarg_segment_ptr 1
		.amdhsa_user_sgpr_dispatch_id 0
		.amdhsa_user_sgpr_kernarg_preload_length 0
		.amdhsa_user_sgpr_kernarg_preload_offset 0
		.amdhsa_user_sgpr_private_segment_size 0
		.amdhsa_wavefront_size32 1
		.amdhsa_uses_dynamic_stack 0
		.amdhsa_enable_private_segment 0
		.amdhsa_system_sgpr_workgroup_id_x 1
		.amdhsa_system_sgpr_workgroup_id_y 0
		.amdhsa_system_sgpr_workgroup_id_z 0
		.amdhsa_system_sgpr_workgroup_info 0
		.amdhsa_system_vgpr_workitem_id 0
		.amdhsa_next_free_vgpr 1
		.amdhsa_next_free_sgpr 1
		.amdhsa_named_barrier_count 0
		.amdhsa_reserve_vcc 0
		.amdhsa_float_round_mode_32 0
		.amdhsa_float_round_mode_16_64 0
		.amdhsa_float_denorm_mode_32 3
		.amdhsa_float_denorm_mode_16_64 3
		.amdhsa_fp16_overflow 0
		.amdhsa_memory_ordered 1
		.amdhsa_forward_progress 1
		.amdhsa_inst_pref_size 0
		.amdhsa_round_robin_scheduling 0
		.amdhsa_exception_fp_ieee_invalid_op 0
		.amdhsa_exception_fp_denorm_src 0
		.amdhsa_exception_fp_ieee_div_zero 0
		.amdhsa_exception_fp_ieee_overflow 0
		.amdhsa_exception_fp_ieee_underflow 0
		.amdhsa_exception_fp_ieee_inexact 0
		.amdhsa_exception_int_div_zero 0
	.end_amdhsa_kernel
	.section	.text._ZN7rocprim17ROCPRIM_400000_NS6detail17trampoline_kernelINS0_14default_configENS1_27scan_by_key_config_selectorIifEEZZNS1_16scan_by_key_implILNS1_25lookback_scan_determinismE0ELb1ES3_N6thrust23THRUST_200600_302600_NS6detail15normal_iteratorINS9_10device_ptrIiEEEENSB_INSC_IjEEEENSB_INSC_IfEEEEfNS9_4plusIvEENS9_8equal_toIvEEfEE10hipError_tPvRmT2_T3_T4_T5_mT6_T7_P12ihipStream_tbENKUlT_T0_E_clISt17integral_constantIbLb0EES12_IbLb1EEEEDaSY_SZ_EUlSY_E_NS1_11comp_targetILNS1_3genE9ELNS1_11target_archE1100ELNS1_3gpuE3ELNS1_3repE0EEENS1_30default_config_static_selectorELNS0_4arch9wavefront6targetE0EEEvT1_,"axG",@progbits,_ZN7rocprim17ROCPRIM_400000_NS6detail17trampoline_kernelINS0_14default_configENS1_27scan_by_key_config_selectorIifEEZZNS1_16scan_by_key_implILNS1_25lookback_scan_determinismE0ELb1ES3_N6thrust23THRUST_200600_302600_NS6detail15normal_iteratorINS9_10device_ptrIiEEEENSB_INSC_IjEEEENSB_INSC_IfEEEEfNS9_4plusIvEENS9_8equal_toIvEEfEE10hipError_tPvRmT2_T3_T4_T5_mT6_T7_P12ihipStream_tbENKUlT_T0_E_clISt17integral_constantIbLb0EES12_IbLb1EEEEDaSY_SZ_EUlSY_E_NS1_11comp_targetILNS1_3genE9ELNS1_11target_archE1100ELNS1_3gpuE3ELNS1_3repE0EEENS1_30default_config_static_selectorELNS0_4arch9wavefront6targetE0EEEvT1_,comdat
.Lfunc_end1714:
	.size	_ZN7rocprim17ROCPRIM_400000_NS6detail17trampoline_kernelINS0_14default_configENS1_27scan_by_key_config_selectorIifEEZZNS1_16scan_by_key_implILNS1_25lookback_scan_determinismE0ELb1ES3_N6thrust23THRUST_200600_302600_NS6detail15normal_iteratorINS9_10device_ptrIiEEEENSB_INSC_IjEEEENSB_INSC_IfEEEEfNS9_4plusIvEENS9_8equal_toIvEEfEE10hipError_tPvRmT2_T3_T4_T5_mT6_T7_P12ihipStream_tbENKUlT_T0_E_clISt17integral_constantIbLb0EES12_IbLb1EEEEDaSY_SZ_EUlSY_E_NS1_11comp_targetILNS1_3genE9ELNS1_11target_archE1100ELNS1_3gpuE3ELNS1_3repE0EEENS1_30default_config_static_selectorELNS0_4arch9wavefront6targetE0EEEvT1_, .Lfunc_end1714-_ZN7rocprim17ROCPRIM_400000_NS6detail17trampoline_kernelINS0_14default_configENS1_27scan_by_key_config_selectorIifEEZZNS1_16scan_by_key_implILNS1_25lookback_scan_determinismE0ELb1ES3_N6thrust23THRUST_200600_302600_NS6detail15normal_iteratorINS9_10device_ptrIiEEEENSB_INSC_IjEEEENSB_INSC_IfEEEEfNS9_4plusIvEENS9_8equal_toIvEEfEE10hipError_tPvRmT2_T3_T4_T5_mT6_T7_P12ihipStream_tbENKUlT_T0_E_clISt17integral_constantIbLb0EES12_IbLb1EEEEDaSY_SZ_EUlSY_E_NS1_11comp_targetILNS1_3genE9ELNS1_11target_archE1100ELNS1_3gpuE3ELNS1_3repE0EEENS1_30default_config_static_selectorELNS0_4arch9wavefront6targetE0EEEvT1_
                                        ; -- End function
	.set _ZN7rocprim17ROCPRIM_400000_NS6detail17trampoline_kernelINS0_14default_configENS1_27scan_by_key_config_selectorIifEEZZNS1_16scan_by_key_implILNS1_25lookback_scan_determinismE0ELb1ES3_N6thrust23THRUST_200600_302600_NS6detail15normal_iteratorINS9_10device_ptrIiEEEENSB_INSC_IjEEEENSB_INSC_IfEEEEfNS9_4plusIvEENS9_8equal_toIvEEfEE10hipError_tPvRmT2_T3_T4_T5_mT6_T7_P12ihipStream_tbENKUlT_T0_E_clISt17integral_constantIbLb0EES12_IbLb1EEEEDaSY_SZ_EUlSY_E_NS1_11comp_targetILNS1_3genE9ELNS1_11target_archE1100ELNS1_3gpuE3ELNS1_3repE0EEENS1_30default_config_static_selectorELNS0_4arch9wavefront6targetE0EEEvT1_.num_vgpr, 0
	.set _ZN7rocprim17ROCPRIM_400000_NS6detail17trampoline_kernelINS0_14default_configENS1_27scan_by_key_config_selectorIifEEZZNS1_16scan_by_key_implILNS1_25lookback_scan_determinismE0ELb1ES3_N6thrust23THRUST_200600_302600_NS6detail15normal_iteratorINS9_10device_ptrIiEEEENSB_INSC_IjEEEENSB_INSC_IfEEEEfNS9_4plusIvEENS9_8equal_toIvEEfEE10hipError_tPvRmT2_T3_T4_T5_mT6_T7_P12ihipStream_tbENKUlT_T0_E_clISt17integral_constantIbLb0EES12_IbLb1EEEEDaSY_SZ_EUlSY_E_NS1_11comp_targetILNS1_3genE9ELNS1_11target_archE1100ELNS1_3gpuE3ELNS1_3repE0EEENS1_30default_config_static_selectorELNS0_4arch9wavefront6targetE0EEEvT1_.num_agpr, 0
	.set _ZN7rocprim17ROCPRIM_400000_NS6detail17trampoline_kernelINS0_14default_configENS1_27scan_by_key_config_selectorIifEEZZNS1_16scan_by_key_implILNS1_25lookback_scan_determinismE0ELb1ES3_N6thrust23THRUST_200600_302600_NS6detail15normal_iteratorINS9_10device_ptrIiEEEENSB_INSC_IjEEEENSB_INSC_IfEEEEfNS9_4plusIvEENS9_8equal_toIvEEfEE10hipError_tPvRmT2_T3_T4_T5_mT6_T7_P12ihipStream_tbENKUlT_T0_E_clISt17integral_constantIbLb0EES12_IbLb1EEEEDaSY_SZ_EUlSY_E_NS1_11comp_targetILNS1_3genE9ELNS1_11target_archE1100ELNS1_3gpuE3ELNS1_3repE0EEENS1_30default_config_static_selectorELNS0_4arch9wavefront6targetE0EEEvT1_.numbered_sgpr, 0
	.set _ZN7rocprim17ROCPRIM_400000_NS6detail17trampoline_kernelINS0_14default_configENS1_27scan_by_key_config_selectorIifEEZZNS1_16scan_by_key_implILNS1_25lookback_scan_determinismE0ELb1ES3_N6thrust23THRUST_200600_302600_NS6detail15normal_iteratorINS9_10device_ptrIiEEEENSB_INSC_IjEEEENSB_INSC_IfEEEEfNS9_4plusIvEENS9_8equal_toIvEEfEE10hipError_tPvRmT2_T3_T4_T5_mT6_T7_P12ihipStream_tbENKUlT_T0_E_clISt17integral_constantIbLb0EES12_IbLb1EEEEDaSY_SZ_EUlSY_E_NS1_11comp_targetILNS1_3genE9ELNS1_11target_archE1100ELNS1_3gpuE3ELNS1_3repE0EEENS1_30default_config_static_selectorELNS0_4arch9wavefront6targetE0EEEvT1_.num_named_barrier, 0
	.set _ZN7rocprim17ROCPRIM_400000_NS6detail17trampoline_kernelINS0_14default_configENS1_27scan_by_key_config_selectorIifEEZZNS1_16scan_by_key_implILNS1_25lookback_scan_determinismE0ELb1ES3_N6thrust23THRUST_200600_302600_NS6detail15normal_iteratorINS9_10device_ptrIiEEEENSB_INSC_IjEEEENSB_INSC_IfEEEEfNS9_4plusIvEENS9_8equal_toIvEEfEE10hipError_tPvRmT2_T3_T4_T5_mT6_T7_P12ihipStream_tbENKUlT_T0_E_clISt17integral_constantIbLb0EES12_IbLb1EEEEDaSY_SZ_EUlSY_E_NS1_11comp_targetILNS1_3genE9ELNS1_11target_archE1100ELNS1_3gpuE3ELNS1_3repE0EEENS1_30default_config_static_selectorELNS0_4arch9wavefront6targetE0EEEvT1_.private_seg_size, 0
	.set _ZN7rocprim17ROCPRIM_400000_NS6detail17trampoline_kernelINS0_14default_configENS1_27scan_by_key_config_selectorIifEEZZNS1_16scan_by_key_implILNS1_25lookback_scan_determinismE0ELb1ES3_N6thrust23THRUST_200600_302600_NS6detail15normal_iteratorINS9_10device_ptrIiEEEENSB_INSC_IjEEEENSB_INSC_IfEEEEfNS9_4plusIvEENS9_8equal_toIvEEfEE10hipError_tPvRmT2_T3_T4_T5_mT6_T7_P12ihipStream_tbENKUlT_T0_E_clISt17integral_constantIbLb0EES12_IbLb1EEEEDaSY_SZ_EUlSY_E_NS1_11comp_targetILNS1_3genE9ELNS1_11target_archE1100ELNS1_3gpuE3ELNS1_3repE0EEENS1_30default_config_static_selectorELNS0_4arch9wavefront6targetE0EEEvT1_.uses_vcc, 0
	.set _ZN7rocprim17ROCPRIM_400000_NS6detail17trampoline_kernelINS0_14default_configENS1_27scan_by_key_config_selectorIifEEZZNS1_16scan_by_key_implILNS1_25lookback_scan_determinismE0ELb1ES3_N6thrust23THRUST_200600_302600_NS6detail15normal_iteratorINS9_10device_ptrIiEEEENSB_INSC_IjEEEENSB_INSC_IfEEEEfNS9_4plusIvEENS9_8equal_toIvEEfEE10hipError_tPvRmT2_T3_T4_T5_mT6_T7_P12ihipStream_tbENKUlT_T0_E_clISt17integral_constantIbLb0EES12_IbLb1EEEEDaSY_SZ_EUlSY_E_NS1_11comp_targetILNS1_3genE9ELNS1_11target_archE1100ELNS1_3gpuE3ELNS1_3repE0EEENS1_30default_config_static_selectorELNS0_4arch9wavefront6targetE0EEEvT1_.uses_flat_scratch, 0
	.set _ZN7rocprim17ROCPRIM_400000_NS6detail17trampoline_kernelINS0_14default_configENS1_27scan_by_key_config_selectorIifEEZZNS1_16scan_by_key_implILNS1_25lookback_scan_determinismE0ELb1ES3_N6thrust23THRUST_200600_302600_NS6detail15normal_iteratorINS9_10device_ptrIiEEEENSB_INSC_IjEEEENSB_INSC_IfEEEEfNS9_4plusIvEENS9_8equal_toIvEEfEE10hipError_tPvRmT2_T3_T4_T5_mT6_T7_P12ihipStream_tbENKUlT_T0_E_clISt17integral_constantIbLb0EES12_IbLb1EEEEDaSY_SZ_EUlSY_E_NS1_11comp_targetILNS1_3genE9ELNS1_11target_archE1100ELNS1_3gpuE3ELNS1_3repE0EEENS1_30default_config_static_selectorELNS0_4arch9wavefront6targetE0EEEvT1_.has_dyn_sized_stack, 0
	.set _ZN7rocprim17ROCPRIM_400000_NS6detail17trampoline_kernelINS0_14default_configENS1_27scan_by_key_config_selectorIifEEZZNS1_16scan_by_key_implILNS1_25lookback_scan_determinismE0ELb1ES3_N6thrust23THRUST_200600_302600_NS6detail15normal_iteratorINS9_10device_ptrIiEEEENSB_INSC_IjEEEENSB_INSC_IfEEEEfNS9_4plusIvEENS9_8equal_toIvEEfEE10hipError_tPvRmT2_T3_T4_T5_mT6_T7_P12ihipStream_tbENKUlT_T0_E_clISt17integral_constantIbLb0EES12_IbLb1EEEEDaSY_SZ_EUlSY_E_NS1_11comp_targetILNS1_3genE9ELNS1_11target_archE1100ELNS1_3gpuE3ELNS1_3repE0EEENS1_30default_config_static_selectorELNS0_4arch9wavefront6targetE0EEEvT1_.has_recursion, 0
	.set _ZN7rocprim17ROCPRIM_400000_NS6detail17trampoline_kernelINS0_14default_configENS1_27scan_by_key_config_selectorIifEEZZNS1_16scan_by_key_implILNS1_25lookback_scan_determinismE0ELb1ES3_N6thrust23THRUST_200600_302600_NS6detail15normal_iteratorINS9_10device_ptrIiEEEENSB_INSC_IjEEEENSB_INSC_IfEEEEfNS9_4plusIvEENS9_8equal_toIvEEfEE10hipError_tPvRmT2_T3_T4_T5_mT6_T7_P12ihipStream_tbENKUlT_T0_E_clISt17integral_constantIbLb0EES12_IbLb1EEEEDaSY_SZ_EUlSY_E_NS1_11comp_targetILNS1_3genE9ELNS1_11target_archE1100ELNS1_3gpuE3ELNS1_3repE0EEENS1_30default_config_static_selectorELNS0_4arch9wavefront6targetE0EEEvT1_.has_indirect_call, 0
	.section	.AMDGPU.csdata,"",@progbits
; Kernel info:
; codeLenInByte = 0
; TotalNumSgprs: 0
; NumVgprs: 0
; ScratchSize: 0
; MemoryBound: 0
; FloatMode: 240
; IeeeMode: 1
; LDSByteSize: 0 bytes/workgroup (compile time only)
; SGPRBlocks: 0
; VGPRBlocks: 0
; NumSGPRsForWavesPerEU: 1
; NumVGPRsForWavesPerEU: 1
; NamedBarCnt: 0
; Occupancy: 16
; WaveLimiterHint : 0
; COMPUTE_PGM_RSRC2:SCRATCH_EN: 0
; COMPUTE_PGM_RSRC2:USER_SGPR: 2
; COMPUTE_PGM_RSRC2:TRAP_HANDLER: 0
; COMPUTE_PGM_RSRC2:TGID_X_EN: 1
; COMPUTE_PGM_RSRC2:TGID_Y_EN: 0
; COMPUTE_PGM_RSRC2:TGID_Z_EN: 0
; COMPUTE_PGM_RSRC2:TIDIG_COMP_CNT: 0
	.section	.text._ZN7rocprim17ROCPRIM_400000_NS6detail17trampoline_kernelINS0_14default_configENS1_27scan_by_key_config_selectorIifEEZZNS1_16scan_by_key_implILNS1_25lookback_scan_determinismE0ELb1ES3_N6thrust23THRUST_200600_302600_NS6detail15normal_iteratorINS9_10device_ptrIiEEEENSB_INSC_IjEEEENSB_INSC_IfEEEEfNS9_4plusIvEENS9_8equal_toIvEEfEE10hipError_tPvRmT2_T3_T4_T5_mT6_T7_P12ihipStream_tbENKUlT_T0_E_clISt17integral_constantIbLb0EES12_IbLb1EEEEDaSY_SZ_EUlSY_E_NS1_11comp_targetILNS1_3genE8ELNS1_11target_archE1030ELNS1_3gpuE2ELNS1_3repE0EEENS1_30default_config_static_selectorELNS0_4arch9wavefront6targetE0EEEvT1_,"axG",@progbits,_ZN7rocprim17ROCPRIM_400000_NS6detail17trampoline_kernelINS0_14default_configENS1_27scan_by_key_config_selectorIifEEZZNS1_16scan_by_key_implILNS1_25lookback_scan_determinismE0ELb1ES3_N6thrust23THRUST_200600_302600_NS6detail15normal_iteratorINS9_10device_ptrIiEEEENSB_INSC_IjEEEENSB_INSC_IfEEEEfNS9_4plusIvEENS9_8equal_toIvEEfEE10hipError_tPvRmT2_T3_T4_T5_mT6_T7_P12ihipStream_tbENKUlT_T0_E_clISt17integral_constantIbLb0EES12_IbLb1EEEEDaSY_SZ_EUlSY_E_NS1_11comp_targetILNS1_3genE8ELNS1_11target_archE1030ELNS1_3gpuE2ELNS1_3repE0EEENS1_30default_config_static_selectorELNS0_4arch9wavefront6targetE0EEEvT1_,comdat
	.protected	_ZN7rocprim17ROCPRIM_400000_NS6detail17trampoline_kernelINS0_14default_configENS1_27scan_by_key_config_selectorIifEEZZNS1_16scan_by_key_implILNS1_25lookback_scan_determinismE0ELb1ES3_N6thrust23THRUST_200600_302600_NS6detail15normal_iteratorINS9_10device_ptrIiEEEENSB_INSC_IjEEEENSB_INSC_IfEEEEfNS9_4plusIvEENS9_8equal_toIvEEfEE10hipError_tPvRmT2_T3_T4_T5_mT6_T7_P12ihipStream_tbENKUlT_T0_E_clISt17integral_constantIbLb0EES12_IbLb1EEEEDaSY_SZ_EUlSY_E_NS1_11comp_targetILNS1_3genE8ELNS1_11target_archE1030ELNS1_3gpuE2ELNS1_3repE0EEENS1_30default_config_static_selectorELNS0_4arch9wavefront6targetE0EEEvT1_ ; -- Begin function _ZN7rocprim17ROCPRIM_400000_NS6detail17trampoline_kernelINS0_14default_configENS1_27scan_by_key_config_selectorIifEEZZNS1_16scan_by_key_implILNS1_25lookback_scan_determinismE0ELb1ES3_N6thrust23THRUST_200600_302600_NS6detail15normal_iteratorINS9_10device_ptrIiEEEENSB_INSC_IjEEEENSB_INSC_IfEEEEfNS9_4plusIvEENS9_8equal_toIvEEfEE10hipError_tPvRmT2_T3_T4_T5_mT6_T7_P12ihipStream_tbENKUlT_T0_E_clISt17integral_constantIbLb0EES12_IbLb1EEEEDaSY_SZ_EUlSY_E_NS1_11comp_targetILNS1_3genE8ELNS1_11target_archE1030ELNS1_3gpuE2ELNS1_3repE0EEENS1_30default_config_static_selectorELNS0_4arch9wavefront6targetE0EEEvT1_
	.globl	_ZN7rocprim17ROCPRIM_400000_NS6detail17trampoline_kernelINS0_14default_configENS1_27scan_by_key_config_selectorIifEEZZNS1_16scan_by_key_implILNS1_25lookback_scan_determinismE0ELb1ES3_N6thrust23THRUST_200600_302600_NS6detail15normal_iteratorINS9_10device_ptrIiEEEENSB_INSC_IjEEEENSB_INSC_IfEEEEfNS9_4plusIvEENS9_8equal_toIvEEfEE10hipError_tPvRmT2_T3_T4_T5_mT6_T7_P12ihipStream_tbENKUlT_T0_E_clISt17integral_constantIbLb0EES12_IbLb1EEEEDaSY_SZ_EUlSY_E_NS1_11comp_targetILNS1_3genE8ELNS1_11target_archE1030ELNS1_3gpuE2ELNS1_3repE0EEENS1_30default_config_static_selectorELNS0_4arch9wavefront6targetE0EEEvT1_
	.p2align	8
	.type	_ZN7rocprim17ROCPRIM_400000_NS6detail17trampoline_kernelINS0_14default_configENS1_27scan_by_key_config_selectorIifEEZZNS1_16scan_by_key_implILNS1_25lookback_scan_determinismE0ELb1ES3_N6thrust23THRUST_200600_302600_NS6detail15normal_iteratorINS9_10device_ptrIiEEEENSB_INSC_IjEEEENSB_INSC_IfEEEEfNS9_4plusIvEENS9_8equal_toIvEEfEE10hipError_tPvRmT2_T3_T4_T5_mT6_T7_P12ihipStream_tbENKUlT_T0_E_clISt17integral_constantIbLb0EES12_IbLb1EEEEDaSY_SZ_EUlSY_E_NS1_11comp_targetILNS1_3genE8ELNS1_11target_archE1030ELNS1_3gpuE2ELNS1_3repE0EEENS1_30default_config_static_selectorELNS0_4arch9wavefront6targetE0EEEvT1_,@function
_ZN7rocprim17ROCPRIM_400000_NS6detail17trampoline_kernelINS0_14default_configENS1_27scan_by_key_config_selectorIifEEZZNS1_16scan_by_key_implILNS1_25lookback_scan_determinismE0ELb1ES3_N6thrust23THRUST_200600_302600_NS6detail15normal_iteratorINS9_10device_ptrIiEEEENSB_INSC_IjEEEENSB_INSC_IfEEEEfNS9_4plusIvEENS9_8equal_toIvEEfEE10hipError_tPvRmT2_T3_T4_T5_mT6_T7_P12ihipStream_tbENKUlT_T0_E_clISt17integral_constantIbLb0EES12_IbLb1EEEEDaSY_SZ_EUlSY_E_NS1_11comp_targetILNS1_3genE8ELNS1_11target_archE1030ELNS1_3gpuE2ELNS1_3repE0EEENS1_30default_config_static_selectorELNS0_4arch9wavefront6targetE0EEEvT1_: ; @_ZN7rocprim17ROCPRIM_400000_NS6detail17trampoline_kernelINS0_14default_configENS1_27scan_by_key_config_selectorIifEEZZNS1_16scan_by_key_implILNS1_25lookback_scan_determinismE0ELb1ES3_N6thrust23THRUST_200600_302600_NS6detail15normal_iteratorINS9_10device_ptrIiEEEENSB_INSC_IjEEEENSB_INSC_IfEEEEfNS9_4plusIvEENS9_8equal_toIvEEfEE10hipError_tPvRmT2_T3_T4_T5_mT6_T7_P12ihipStream_tbENKUlT_T0_E_clISt17integral_constantIbLb0EES12_IbLb1EEEEDaSY_SZ_EUlSY_E_NS1_11comp_targetILNS1_3genE8ELNS1_11target_archE1030ELNS1_3gpuE2ELNS1_3repE0EEENS1_30default_config_static_selectorELNS0_4arch9wavefront6targetE0EEEvT1_
; %bb.0:
	.section	.rodata,"a",@progbits
	.p2align	6, 0x0
	.amdhsa_kernel _ZN7rocprim17ROCPRIM_400000_NS6detail17trampoline_kernelINS0_14default_configENS1_27scan_by_key_config_selectorIifEEZZNS1_16scan_by_key_implILNS1_25lookback_scan_determinismE0ELb1ES3_N6thrust23THRUST_200600_302600_NS6detail15normal_iteratorINS9_10device_ptrIiEEEENSB_INSC_IjEEEENSB_INSC_IfEEEEfNS9_4plusIvEENS9_8equal_toIvEEfEE10hipError_tPvRmT2_T3_T4_T5_mT6_T7_P12ihipStream_tbENKUlT_T0_E_clISt17integral_constantIbLb0EES12_IbLb1EEEEDaSY_SZ_EUlSY_E_NS1_11comp_targetILNS1_3genE8ELNS1_11target_archE1030ELNS1_3gpuE2ELNS1_3repE0EEENS1_30default_config_static_selectorELNS0_4arch9wavefront6targetE0EEEvT1_
		.amdhsa_group_segment_fixed_size 0
		.amdhsa_private_segment_fixed_size 0
		.amdhsa_kernarg_size 112
		.amdhsa_user_sgpr_count 2
		.amdhsa_user_sgpr_dispatch_ptr 0
		.amdhsa_user_sgpr_queue_ptr 0
		.amdhsa_user_sgpr_kernarg_segment_ptr 1
		.amdhsa_user_sgpr_dispatch_id 0
		.amdhsa_user_sgpr_kernarg_preload_length 0
		.amdhsa_user_sgpr_kernarg_preload_offset 0
		.amdhsa_user_sgpr_private_segment_size 0
		.amdhsa_wavefront_size32 1
		.amdhsa_uses_dynamic_stack 0
		.amdhsa_enable_private_segment 0
		.amdhsa_system_sgpr_workgroup_id_x 1
		.amdhsa_system_sgpr_workgroup_id_y 0
		.amdhsa_system_sgpr_workgroup_id_z 0
		.amdhsa_system_sgpr_workgroup_info 0
		.amdhsa_system_vgpr_workitem_id 0
		.amdhsa_next_free_vgpr 1
		.amdhsa_next_free_sgpr 1
		.amdhsa_named_barrier_count 0
		.amdhsa_reserve_vcc 0
		.amdhsa_float_round_mode_32 0
		.amdhsa_float_round_mode_16_64 0
		.amdhsa_float_denorm_mode_32 3
		.amdhsa_float_denorm_mode_16_64 3
		.amdhsa_fp16_overflow 0
		.amdhsa_memory_ordered 1
		.amdhsa_forward_progress 1
		.amdhsa_inst_pref_size 0
		.amdhsa_round_robin_scheduling 0
		.amdhsa_exception_fp_ieee_invalid_op 0
		.amdhsa_exception_fp_denorm_src 0
		.amdhsa_exception_fp_ieee_div_zero 0
		.amdhsa_exception_fp_ieee_overflow 0
		.amdhsa_exception_fp_ieee_underflow 0
		.amdhsa_exception_fp_ieee_inexact 0
		.amdhsa_exception_int_div_zero 0
	.end_amdhsa_kernel
	.section	.text._ZN7rocprim17ROCPRIM_400000_NS6detail17trampoline_kernelINS0_14default_configENS1_27scan_by_key_config_selectorIifEEZZNS1_16scan_by_key_implILNS1_25lookback_scan_determinismE0ELb1ES3_N6thrust23THRUST_200600_302600_NS6detail15normal_iteratorINS9_10device_ptrIiEEEENSB_INSC_IjEEEENSB_INSC_IfEEEEfNS9_4plusIvEENS9_8equal_toIvEEfEE10hipError_tPvRmT2_T3_T4_T5_mT6_T7_P12ihipStream_tbENKUlT_T0_E_clISt17integral_constantIbLb0EES12_IbLb1EEEEDaSY_SZ_EUlSY_E_NS1_11comp_targetILNS1_3genE8ELNS1_11target_archE1030ELNS1_3gpuE2ELNS1_3repE0EEENS1_30default_config_static_selectorELNS0_4arch9wavefront6targetE0EEEvT1_,"axG",@progbits,_ZN7rocprim17ROCPRIM_400000_NS6detail17trampoline_kernelINS0_14default_configENS1_27scan_by_key_config_selectorIifEEZZNS1_16scan_by_key_implILNS1_25lookback_scan_determinismE0ELb1ES3_N6thrust23THRUST_200600_302600_NS6detail15normal_iteratorINS9_10device_ptrIiEEEENSB_INSC_IjEEEENSB_INSC_IfEEEEfNS9_4plusIvEENS9_8equal_toIvEEfEE10hipError_tPvRmT2_T3_T4_T5_mT6_T7_P12ihipStream_tbENKUlT_T0_E_clISt17integral_constantIbLb0EES12_IbLb1EEEEDaSY_SZ_EUlSY_E_NS1_11comp_targetILNS1_3genE8ELNS1_11target_archE1030ELNS1_3gpuE2ELNS1_3repE0EEENS1_30default_config_static_selectorELNS0_4arch9wavefront6targetE0EEEvT1_,comdat
.Lfunc_end1715:
	.size	_ZN7rocprim17ROCPRIM_400000_NS6detail17trampoline_kernelINS0_14default_configENS1_27scan_by_key_config_selectorIifEEZZNS1_16scan_by_key_implILNS1_25lookback_scan_determinismE0ELb1ES3_N6thrust23THRUST_200600_302600_NS6detail15normal_iteratorINS9_10device_ptrIiEEEENSB_INSC_IjEEEENSB_INSC_IfEEEEfNS9_4plusIvEENS9_8equal_toIvEEfEE10hipError_tPvRmT2_T3_T4_T5_mT6_T7_P12ihipStream_tbENKUlT_T0_E_clISt17integral_constantIbLb0EES12_IbLb1EEEEDaSY_SZ_EUlSY_E_NS1_11comp_targetILNS1_3genE8ELNS1_11target_archE1030ELNS1_3gpuE2ELNS1_3repE0EEENS1_30default_config_static_selectorELNS0_4arch9wavefront6targetE0EEEvT1_, .Lfunc_end1715-_ZN7rocprim17ROCPRIM_400000_NS6detail17trampoline_kernelINS0_14default_configENS1_27scan_by_key_config_selectorIifEEZZNS1_16scan_by_key_implILNS1_25lookback_scan_determinismE0ELb1ES3_N6thrust23THRUST_200600_302600_NS6detail15normal_iteratorINS9_10device_ptrIiEEEENSB_INSC_IjEEEENSB_INSC_IfEEEEfNS9_4plusIvEENS9_8equal_toIvEEfEE10hipError_tPvRmT2_T3_T4_T5_mT6_T7_P12ihipStream_tbENKUlT_T0_E_clISt17integral_constantIbLb0EES12_IbLb1EEEEDaSY_SZ_EUlSY_E_NS1_11comp_targetILNS1_3genE8ELNS1_11target_archE1030ELNS1_3gpuE2ELNS1_3repE0EEENS1_30default_config_static_selectorELNS0_4arch9wavefront6targetE0EEEvT1_
                                        ; -- End function
	.set _ZN7rocprim17ROCPRIM_400000_NS6detail17trampoline_kernelINS0_14default_configENS1_27scan_by_key_config_selectorIifEEZZNS1_16scan_by_key_implILNS1_25lookback_scan_determinismE0ELb1ES3_N6thrust23THRUST_200600_302600_NS6detail15normal_iteratorINS9_10device_ptrIiEEEENSB_INSC_IjEEEENSB_INSC_IfEEEEfNS9_4plusIvEENS9_8equal_toIvEEfEE10hipError_tPvRmT2_T3_T4_T5_mT6_T7_P12ihipStream_tbENKUlT_T0_E_clISt17integral_constantIbLb0EES12_IbLb1EEEEDaSY_SZ_EUlSY_E_NS1_11comp_targetILNS1_3genE8ELNS1_11target_archE1030ELNS1_3gpuE2ELNS1_3repE0EEENS1_30default_config_static_selectorELNS0_4arch9wavefront6targetE0EEEvT1_.num_vgpr, 0
	.set _ZN7rocprim17ROCPRIM_400000_NS6detail17trampoline_kernelINS0_14default_configENS1_27scan_by_key_config_selectorIifEEZZNS1_16scan_by_key_implILNS1_25lookback_scan_determinismE0ELb1ES3_N6thrust23THRUST_200600_302600_NS6detail15normal_iteratorINS9_10device_ptrIiEEEENSB_INSC_IjEEEENSB_INSC_IfEEEEfNS9_4plusIvEENS9_8equal_toIvEEfEE10hipError_tPvRmT2_T3_T4_T5_mT6_T7_P12ihipStream_tbENKUlT_T0_E_clISt17integral_constantIbLb0EES12_IbLb1EEEEDaSY_SZ_EUlSY_E_NS1_11comp_targetILNS1_3genE8ELNS1_11target_archE1030ELNS1_3gpuE2ELNS1_3repE0EEENS1_30default_config_static_selectorELNS0_4arch9wavefront6targetE0EEEvT1_.num_agpr, 0
	.set _ZN7rocprim17ROCPRIM_400000_NS6detail17trampoline_kernelINS0_14default_configENS1_27scan_by_key_config_selectorIifEEZZNS1_16scan_by_key_implILNS1_25lookback_scan_determinismE0ELb1ES3_N6thrust23THRUST_200600_302600_NS6detail15normal_iteratorINS9_10device_ptrIiEEEENSB_INSC_IjEEEENSB_INSC_IfEEEEfNS9_4plusIvEENS9_8equal_toIvEEfEE10hipError_tPvRmT2_T3_T4_T5_mT6_T7_P12ihipStream_tbENKUlT_T0_E_clISt17integral_constantIbLb0EES12_IbLb1EEEEDaSY_SZ_EUlSY_E_NS1_11comp_targetILNS1_3genE8ELNS1_11target_archE1030ELNS1_3gpuE2ELNS1_3repE0EEENS1_30default_config_static_selectorELNS0_4arch9wavefront6targetE0EEEvT1_.numbered_sgpr, 0
	.set _ZN7rocprim17ROCPRIM_400000_NS6detail17trampoline_kernelINS0_14default_configENS1_27scan_by_key_config_selectorIifEEZZNS1_16scan_by_key_implILNS1_25lookback_scan_determinismE0ELb1ES3_N6thrust23THRUST_200600_302600_NS6detail15normal_iteratorINS9_10device_ptrIiEEEENSB_INSC_IjEEEENSB_INSC_IfEEEEfNS9_4plusIvEENS9_8equal_toIvEEfEE10hipError_tPvRmT2_T3_T4_T5_mT6_T7_P12ihipStream_tbENKUlT_T0_E_clISt17integral_constantIbLb0EES12_IbLb1EEEEDaSY_SZ_EUlSY_E_NS1_11comp_targetILNS1_3genE8ELNS1_11target_archE1030ELNS1_3gpuE2ELNS1_3repE0EEENS1_30default_config_static_selectorELNS0_4arch9wavefront6targetE0EEEvT1_.num_named_barrier, 0
	.set _ZN7rocprim17ROCPRIM_400000_NS6detail17trampoline_kernelINS0_14default_configENS1_27scan_by_key_config_selectorIifEEZZNS1_16scan_by_key_implILNS1_25lookback_scan_determinismE0ELb1ES3_N6thrust23THRUST_200600_302600_NS6detail15normal_iteratorINS9_10device_ptrIiEEEENSB_INSC_IjEEEENSB_INSC_IfEEEEfNS9_4plusIvEENS9_8equal_toIvEEfEE10hipError_tPvRmT2_T3_T4_T5_mT6_T7_P12ihipStream_tbENKUlT_T0_E_clISt17integral_constantIbLb0EES12_IbLb1EEEEDaSY_SZ_EUlSY_E_NS1_11comp_targetILNS1_3genE8ELNS1_11target_archE1030ELNS1_3gpuE2ELNS1_3repE0EEENS1_30default_config_static_selectorELNS0_4arch9wavefront6targetE0EEEvT1_.private_seg_size, 0
	.set _ZN7rocprim17ROCPRIM_400000_NS6detail17trampoline_kernelINS0_14default_configENS1_27scan_by_key_config_selectorIifEEZZNS1_16scan_by_key_implILNS1_25lookback_scan_determinismE0ELb1ES3_N6thrust23THRUST_200600_302600_NS6detail15normal_iteratorINS9_10device_ptrIiEEEENSB_INSC_IjEEEENSB_INSC_IfEEEEfNS9_4plusIvEENS9_8equal_toIvEEfEE10hipError_tPvRmT2_T3_T4_T5_mT6_T7_P12ihipStream_tbENKUlT_T0_E_clISt17integral_constantIbLb0EES12_IbLb1EEEEDaSY_SZ_EUlSY_E_NS1_11comp_targetILNS1_3genE8ELNS1_11target_archE1030ELNS1_3gpuE2ELNS1_3repE0EEENS1_30default_config_static_selectorELNS0_4arch9wavefront6targetE0EEEvT1_.uses_vcc, 0
	.set _ZN7rocprim17ROCPRIM_400000_NS6detail17trampoline_kernelINS0_14default_configENS1_27scan_by_key_config_selectorIifEEZZNS1_16scan_by_key_implILNS1_25lookback_scan_determinismE0ELb1ES3_N6thrust23THRUST_200600_302600_NS6detail15normal_iteratorINS9_10device_ptrIiEEEENSB_INSC_IjEEEENSB_INSC_IfEEEEfNS9_4plusIvEENS9_8equal_toIvEEfEE10hipError_tPvRmT2_T3_T4_T5_mT6_T7_P12ihipStream_tbENKUlT_T0_E_clISt17integral_constantIbLb0EES12_IbLb1EEEEDaSY_SZ_EUlSY_E_NS1_11comp_targetILNS1_3genE8ELNS1_11target_archE1030ELNS1_3gpuE2ELNS1_3repE0EEENS1_30default_config_static_selectorELNS0_4arch9wavefront6targetE0EEEvT1_.uses_flat_scratch, 0
	.set _ZN7rocprim17ROCPRIM_400000_NS6detail17trampoline_kernelINS0_14default_configENS1_27scan_by_key_config_selectorIifEEZZNS1_16scan_by_key_implILNS1_25lookback_scan_determinismE0ELb1ES3_N6thrust23THRUST_200600_302600_NS6detail15normal_iteratorINS9_10device_ptrIiEEEENSB_INSC_IjEEEENSB_INSC_IfEEEEfNS9_4plusIvEENS9_8equal_toIvEEfEE10hipError_tPvRmT2_T3_T4_T5_mT6_T7_P12ihipStream_tbENKUlT_T0_E_clISt17integral_constantIbLb0EES12_IbLb1EEEEDaSY_SZ_EUlSY_E_NS1_11comp_targetILNS1_3genE8ELNS1_11target_archE1030ELNS1_3gpuE2ELNS1_3repE0EEENS1_30default_config_static_selectorELNS0_4arch9wavefront6targetE0EEEvT1_.has_dyn_sized_stack, 0
	.set _ZN7rocprim17ROCPRIM_400000_NS6detail17trampoline_kernelINS0_14default_configENS1_27scan_by_key_config_selectorIifEEZZNS1_16scan_by_key_implILNS1_25lookback_scan_determinismE0ELb1ES3_N6thrust23THRUST_200600_302600_NS6detail15normal_iteratorINS9_10device_ptrIiEEEENSB_INSC_IjEEEENSB_INSC_IfEEEEfNS9_4plusIvEENS9_8equal_toIvEEfEE10hipError_tPvRmT2_T3_T4_T5_mT6_T7_P12ihipStream_tbENKUlT_T0_E_clISt17integral_constantIbLb0EES12_IbLb1EEEEDaSY_SZ_EUlSY_E_NS1_11comp_targetILNS1_3genE8ELNS1_11target_archE1030ELNS1_3gpuE2ELNS1_3repE0EEENS1_30default_config_static_selectorELNS0_4arch9wavefront6targetE0EEEvT1_.has_recursion, 0
	.set _ZN7rocprim17ROCPRIM_400000_NS6detail17trampoline_kernelINS0_14default_configENS1_27scan_by_key_config_selectorIifEEZZNS1_16scan_by_key_implILNS1_25lookback_scan_determinismE0ELb1ES3_N6thrust23THRUST_200600_302600_NS6detail15normal_iteratorINS9_10device_ptrIiEEEENSB_INSC_IjEEEENSB_INSC_IfEEEEfNS9_4plusIvEENS9_8equal_toIvEEfEE10hipError_tPvRmT2_T3_T4_T5_mT6_T7_P12ihipStream_tbENKUlT_T0_E_clISt17integral_constantIbLb0EES12_IbLb1EEEEDaSY_SZ_EUlSY_E_NS1_11comp_targetILNS1_3genE8ELNS1_11target_archE1030ELNS1_3gpuE2ELNS1_3repE0EEENS1_30default_config_static_selectorELNS0_4arch9wavefront6targetE0EEEvT1_.has_indirect_call, 0
	.section	.AMDGPU.csdata,"",@progbits
; Kernel info:
; codeLenInByte = 0
; TotalNumSgprs: 0
; NumVgprs: 0
; ScratchSize: 0
; MemoryBound: 0
; FloatMode: 240
; IeeeMode: 1
; LDSByteSize: 0 bytes/workgroup (compile time only)
; SGPRBlocks: 0
; VGPRBlocks: 0
; NumSGPRsForWavesPerEU: 1
; NumVGPRsForWavesPerEU: 1
; NamedBarCnt: 0
; Occupancy: 16
; WaveLimiterHint : 0
; COMPUTE_PGM_RSRC2:SCRATCH_EN: 0
; COMPUTE_PGM_RSRC2:USER_SGPR: 2
; COMPUTE_PGM_RSRC2:TRAP_HANDLER: 0
; COMPUTE_PGM_RSRC2:TGID_X_EN: 1
; COMPUTE_PGM_RSRC2:TGID_Y_EN: 0
; COMPUTE_PGM_RSRC2:TGID_Z_EN: 0
; COMPUTE_PGM_RSRC2:TIDIG_COMP_CNT: 0
	.section	.text._ZN7rocprim17ROCPRIM_400000_NS6detail17trampoline_kernelINS0_14default_configENS1_27scan_by_key_config_selectorIiiEEZZNS1_16scan_by_key_implILNS1_25lookback_scan_determinismE0ELb1ES3_N6thrust23THRUST_200600_302600_NS6detail15normal_iteratorINS9_10device_ptrIiEEEENSB_INSC_IjEEEENSB_INSC_IfEEEEiNS9_4plusIvEENS9_8equal_toIvEEiEE10hipError_tPvRmT2_T3_T4_T5_mT6_T7_P12ihipStream_tbENKUlT_T0_E_clISt17integral_constantIbLb0EES13_EEDaSY_SZ_EUlSY_E_NS1_11comp_targetILNS1_3genE0ELNS1_11target_archE4294967295ELNS1_3gpuE0ELNS1_3repE0EEENS1_30default_config_static_selectorELNS0_4arch9wavefront6targetE0EEEvT1_,"axG",@progbits,_ZN7rocprim17ROCPRIM_400000_NS6detail17trampoline_kernelINS0_14default_configENS1_27scan_by_key_config_selectorIiiEEZZNS1_16scan_by_key_implILNS1_25lookback_scan_determinismE0ELb1ES3_N6thrust23THRUST_200600_302600_NS6detail15normal_iteratorINS9_10device_ptrIiEEEENSB_INSC_IjEEEENSB_INSC_IfEEEEiNS9_4plusIvEENS9_8equal_toIvEEiEE10hipError_tPvRmT2_T3_T4_T5_mT6_T7_P12ihipStream_tbENKUlT_T0_E_clISt17integral_constantIbLb0EES13_EEDaSY_SZ_EUlSY_E_NS1_11comp_targetILNS1_3genE0ELNS1_11target_archE4294967295ELNS1_3gpuE0ELNS1_3repE0EEENS1_30default_config_static_selectorELNS0_4arch9wavefront6targetE0EEEvT1_,comdat
	.protected	_ZN7rocprim17ROCPRIM_400000_NS6detail17trampoline_kernelINS0_14default_configENS1_27scan_by_key_config_selectorIiiEEZZNS1_16scan_by_key_implILNS1_25lookback_scan_determinismE0ELb1ES3_N6thrust23THRUST_200600_302600_NS6detail15normal_iteratorINS9_10device_ptrIiEEEENSB_INSC_IjEEEENSB_INSC_IfEEEEiNS9_4plusIvEENS9_8equal_toIvEEiEE10hipError_tPvRmT2_T3_T4_T5_mT6_T7_P12ihipStream_tbENKUlT_T0_E_clISt17integral_constantIbLb0EES13_EEDaSY_SZ_EUlSY_E_NS1_11comp_targetILNS1_3genE0ELNS1_11target_archE4294967295ELNS1_3gpuE0ELNS1_3repE0EEENS1_30default_config_static_selectorELNS0_4arch9wavefront6targetE0EEEvT1_ ; -- Begin function _ZN7rocprim17ROCPRIM_400000_NS6detail17trampoline_kernelINS0_14default_configENS1_27scan_by_key_config_selectorIiiEEZZNS1_16scan_by_key_implILNS1_25lookback_scan_determinismE0ELb1ES3_N6thrust23THRUST_200600_302600_NS6detail15normal_iteratorINS9_10device_ptrIiEEEENSB_INSC_IjEEEENSB_INSC_IfEEEEiNS9_4plusIvEENS9_8equal_toIvEEiEE10hipError_tPvRmT2_T3_T4_T5_mT6_T7_P12ihipStream_tbENKUlT_T0_E_clISt17integral_constantIbLb0EES13_EEDaSY_SZ_EUlSY_E_NS1_11comp_targetILNS1_3genE0ELNS1_11target_archE4294967295ELNS1_3gpuE0ELNS1_3repE0EEENS1_30default_config_static_selectorELNS0_4arch9wavefront6targetE0EEEvT1_
	.globl	_ZN7rocprim17ROCPRIM_400000_NS6detail17trampoline_kernelINS0_14default_configENS1_27scan_by_key_config_selectorIiiEEZZNS1_16scan_by_key_implILNS1_25lookback_scan_determinismE0ELb1ES3_N6thrust23THRUST_200600_302600_NS6detail15normal_iteratorINS9_10device_ptrIiEEEENSB_INSC_IjEEEENSB_INSC_IfEEEEiNS9_4plusIvEENS9_8equal_toIvEEiEE10hipError_tPvRmT2_T3_T4_T5_mT6_T7_P12ihipStream_tbENKUlT_T0_E_clISt17integral_constantIbLb0EES13_EEDaSY_SZ_EUlSY_E_NS1_11comp_targetILNS1_3genE0ELNS1_11target_archE4294967295ELNS1_3gpuE0ELNS1_3repE0EEENS1_30default_config_static_selectorELNS0_4arch9wavefront6targetE0EEEvT1_
	.p2align	8
	.type	_ZN7rocprim17ROCPRIM_400000_NS6detail17trampoline_kernelINS0_14default_configENS1_27scan_by_key_config_selectorIiiEEZZNS1_16scan_by_key_implILNS1_25lookback_scan_determinismE0ELb1ES3_N6thrust23THRUST_200600_302600_NS6detail15normal_iteratorINS9_10device_ptrIiEEEENSB_INSC_IjEEEENSB_INSC_IfEEEEiNS9_4plusIvEENS9_8equal_toIvEEiEE10hipError_tPvRmT2_T3_T4_T5_mT6_T7_P12ihipStream_tbENKUlT_T0_E_clISt17integral_constantIbLb0EES13_EEDaSY_SZ_EUlSY_E_NS1_11comp_targetILNS1_3genE0ELNS1_11target_archE4294967295ELNS1_3gpuE0ELNS1_3repE0EEENS1_30default_config_static_selectorELNS0_4arch9wavefront6targetE0EEEvT1_,@function
_ZN7rocprim17ROCPRIM_400000_NS6detail17trampoline_kernelINS0_14default_configENS1_27scan_by_key_config_selectorIiiEEZZNS1_16scan_by_key_implILNS1_25lookback_scan_determinismE0ELb1ES3_N6thrust23THRUST_200600_302600_NS6detail15normal_iteratorINS9_10device_ptrIiEEEENSB_INSC_IjEEEENSB_INSC_IfEEEEiNS9_4plusIvEENS9_8equal_toIvEEiEE10hipError_tPvRmT2_T3_T4_T5_mT6_T7_P12ihipStream_tbENKUlT_T0_E_clISt17integral_constantIbLb0EES13_EEDaSY_SZ_EUlSY_E_NS1_11comp_targetILNS1_3genE0ELNS1_11target_archE4294967295ELNS1_3gpuE0ELNS1_3repE0EEENS1_30default_config_static_selectorELNS0_4arch9wavefront6targetE0EEEvT1_: ; @_ZN7rocprim17ROCPRIM_400000_NS6detail17trampoline_kernelINS0_14default_configENS1_27scan_by_key_config_selectorIiiEEZZNS1_16scan_by_key_implILNS1_25lookback_scan_determinismE0ELb1ES3_N6thrust23THRUST_200600_302600_NS6detail15normal_iteratorINS9_10device_ptrIiEEEENSB_INSC_IjEEEENSB_INSC_IfEEEEiNS9_4plusIvEENS9_8equal_toIvEEiEE10hipError_tPvRmT2_T3_T4_T5_mT6_T7_P12ihipStream_tbENKUlT_T0_E_clISt17integral_constantIbLb0EES13_EEDaSY_SZ_EUlSY_E_NS1_11comp_targetILNS1_3genE0ELNS1_11target_archE4294967295ELNS1_3gpuE0ELNS1_3repE0EEENS1_30default_config_static_selectorELNS0_4arch9wavefront6targetE0EEEvT1_
; %bb.0:
	s_clause 0x2
	s_load_b96 s[24:26], s[0:1], 0x38
	s_load_b256 s[8:15], s[0:1], 0x0
	s_load_b128 s[20:23], s[0:1], 0x48
	s_bfe_u32 s4, ttmp6, 0x4000c
	s_delay_alu instid0(SALU_CYCLE_1)
	s_add_co_i32 s4, s4, 1
	s_clause 0x1
	s_load_b32 s33, s[0:1], 0x20
	s_load_b128 s[16:19], s[0:1], 0x28
	s_and_b32 s2, ttmp6, 15
	s_wait_xcnt 0x0
	s_mul_i32 s0, ttmp9, s4
	s_getreg_b32 s5, hwreg(HW_REG_IB_STS2, 6, 4)
	s_add_co_i32 s6, s2, s0
	s_mov_b32 s3, 0
	s_barrier_signal -1
	s_mov_b32 s29, s3
	s_barrier_wait -1
	s_wait_kmcnt 0x0
	s_mov_b32 s2, s26
	s_lshl_b64 s[26:27], s[10:11], 2
	s_cmp_eq_u32 s5, 0
	s_mul_u64 s[4:5], s[24:25], s[2:3]
	s_cselect_b32 s28, ttmp9, s6
	s_add_nc_u64 s[0:1], s[8:9], s[26:27]
	s_add_nc_u64 s[4:5], s[4:5], s[28:29]
	s_add_nc_u64 s[8:9], s[20:21], -1
	s_mul_i32 s2, s28, 0xc00
	v_cmp_ge_u64_e64 s19, s[4:5], s[8:9]
	s_add_nc_u64 s[6:7], s[12:13], s[26:27]
	s_lshl_b64 s[20:21], s[2:3], 2
	s_mul_i32 s29, s8, 0xfffff400
	s_add_nc_u64 s[30:31], s[0:1], s[20:21]
	s_add_nc_u64 s[12:13], s[6:7], s[20:21]
	s_and_b32 vcc_lo, exec_lo, s19
	s_cbranch_vccz .LBB1716_66
; %bb.1:
	v_mov_b32_e32 v1, 0
	s_add_co_i32 s34, s29, s18
	s_delay_alu instid0(SALU_CYCLE_1)
	v_cmp_gt_u32_e32 vcc_lo, s34, v0
	flat_load_b32 v1, v1, s[30:31]
	s_wait_loadcnt_dscnt 0x0
	v_mov_b32_e32 v2, v1
	s_and_saveexec_b32 s0, vcc_lo
	s_cbranch_execz .LBB1716_3
; %bb.2:
	flat_load_b32 v2, v0, s[30:31] scale_offset
.LBB1716_3:
	s_wait_xcnt 0x0
	s_or_b32 exec_lo, exec_lo, s0
	v_or_b32_e32 v3, 0x100, v0
	s_delay_alu instid0(VALU_DEP_1)
	v_cmp_gt_u32_e64 s0, s34, v3
	v_mov_b32_e32 v3, v1
	s_and_saveexec_b32 s1, s0
	s_cbranch_execz .LBB1716_5
; %bb.4:
	flat_load_b32 v3, v0, s[30:31] offset:1024 scale_offset
.LBB1716_5:
	s_wait_xcnt 0x0
	s_or_b32 exec_lo, exec_lo, s1
	v_or_b32_e32 v4, 0x200, v0
	s_delay_alu instid0(VALU_DEP_1)
	v_cmp_gt_u32_e64 s1, s34, v4
	v_mov_b32_e32 v4, v1
	s_and_saveexec_b32 s2, s1
	s_cbranch_execz .LBB1716_7
; %bb.6:
	flat_load_b32 v4, v0, s[30:31] offset:2048 scale_offset
.LBB1716_7:
	;; [unrolled: 11-line block ×10, first 2 shown]
	s_wait_xcnt 0x0
	s_or_b32 exec_lo, exec_lo, s10
	v_or_b32_e32 v13, 0xb00, v0
	s_delay_alu instid0(VALU_DEP_1) | instskip(SKIP_2) | instid1(SALU_CYCLE_1)
	v_cmp_gt_u32_e64 s10, s34, v13
	v_cmp_le_u32_e64 s11, s34, v13
	s_and_saveexec_b32 s35, s11
	s_xor_b32 s11, exec_lo, s35
	s_delay_alu instid0(SALU_CYCLE_1)
	s_and_not1_saveexec_b32 s11, s11
	s_cbranch_execz .LBB1716_25
; %bb.24:
	flat_load_b32 v1, v0, s[30:31] offset:11264 scale_offset
.LBB1716_25:
	s_wait_xcnt 0x0
	s_or_b32 exec_lo, exec_lo, s11
	v_lshlrev_b32_e32 v14, 2, v0
	s_mov_b32 s35, exec_lo
	s_wait_loadcnt_dscnt 0x0
	ds_store_2addr_stride64_b32 v14, v2, v3 offset1:4
	ds_store_2addr_stride64_b32 v14, v4, v5 offset0:8 offset1:12
	ds_store_2addr_stride64_b32 v14, v6, v7 offset0:16 offset1:20
	;; [unrolled: 1-line block ×5, first 2 shown]
	v_mov_b32_e32 v1, 0
	s_wait_dscnt 0x0
	s_barrier_signal -1
	s_barrier_wait -1
	flat_load_b32 v38, v1, s[30:31]
	s_wait_xcnt 0x0
	v_mad_u32_u24 v1, v0, 44, v14
	ds_load_b128 v[10:13], v1
	ds_load_b128 v[6:9], v1 offset:16
	ds_load_b128 v[2:5], v1 offset:32
	v_mad_i32_i24 v15, 0xffffffd4, v0, v1
	s_wait_dscnt 0x2
	ds_store_b32 v15, v10 offset:13312
	s_wait_loadcnt_dscnt 0x0
	s_barrier_signal -1
	s_barrier_wait -1
	v_cmpx_ne_u32_e32 0xff, v0
; %bb.26:
	v_mul_i32_i24_e32 v15, 0xffffffd4, v0
	s_delay_alu instid0(VALU_DEP_1)
	v_add_nc_u32_e32 v15, v1, v15
	ds_load_b32 v38, v15 offset:13316
; %bb.27:
	s_or_b32 exec_lo, exec_lo, s35
	s_wait_dscnt 0x0
	s_barrier_signal -1
	s_barrier_wait -1
                                        ; implicit-def: $vgpr15
	s_and_saveexec_b32 s11, vcc_lo
	s_cbranch_execz .LBB1716_102
; %bb.28:
	flat_load_b32 v15, v0, s[12:13] scale_offset
	s_wait_xcnt 0x0
	s_or_b32 exec_lo, exec_lo, s11
                                        ; implicit-def: $vgpr16
	s_and_saveexec_b32 s11, s0
	s_cbranch_execnz .LBB1716_103
.LBB1716_29:
	s_or_b32 exec_lo, exec_lo, s11
                                        ; implicit-def: $vgpr17
	s_and_saveexec_b32 s0, s1
	s_cbranch_execz .LBB1716_104
.LBB1716_30:
	flat_load_b32 v17, v0, s[12:13] offset:2048 scale_offset
	s_wait_xcnt 0x0
	s_or_b32 exec_lo, exec_lo, s0
                                        ; implicit-def: $vgpr18
	s_and_saveexec_b32 s0, s2
	s_cbranch_execnz .LBB1716_105
.LBB1716_31:
	s_or_b32 exec_lo, exec_lo, s0
                                        ; implicit-def: $vgpr19
	s_and_saveexec_b32 s0, s3
	s_cbranch_execz .LBB1716_106
.LBB1716_32:
	flat_load_b32 v19, v0, s[12:13] offset:4096 scale_offset
	s_wait_xcnt 0x0
	s_or_b32 exec_lo, exec_lo, s0
                                        ; implicit-def: $vgpr20
	s_and_saveexec_b32 s0, s4
	s_cbranch_execnz .LBB1716_107
.LBB1716_33:
	s_or_b32 exec_lo, exec_lo, s0
                                        ; implicit-def: $vgpr21
	s_and_saveexec_b32 s0, s5
	s_cbranch_execz .LBB1716_108
.LBB1716_34:
	flat_load_b32 v21, v0, s[12:13] offset:6144 scale_offset
	s_wait_xcnt 0x0
	s_or_b32 exec_lo, exec_lo, s0
                                        ; implicit-def: $vgpr22
	s_and_saveexec_b32 s0, s6
	s_cbranch_execnz .LBB1716_109
.LBB1716_35:
	s_or_b32 exec_lo, exec_lo, s0
                                        ; implicit-def: $vgpr23
	s_and_saveexec_b32 s0, s7
	s_cbranch_execz .LBB1716_110
.LBB1716_36:
	flat_load_b32 v23, v0, s[12:13] offset:8192 scale_offset
	s_wait_xcnt 0x0
	s_or_b32 exec_lo, exec_lo, s0
                                        ; implicit-def: $vgpr24
	s_and_saveexec_b32 s0, s8
	s_cbranch_execnz .LBB1716_111
.LBB1716_37:
	s_or_b32 exec_lo, exec_lo, s0
                                        ; implicit-def: $vgpr25
	s_and_saveexec_b32 s0, s9
	s_cbranch_execz .LBB1716_39
.LBB1716_38:
	flat_load_b32 v25, v0, s[12:13] offset:10240 scale_offset
.LBB1716_39:
	s_wait_xcnt 0x0
	s_or_b32 exec_lo, exec_lo, s0
	v_mul_u32_u24_e32 v39, 12, v0
                                        ; implicit-def: $vgpr26
	s_and_saveexec_b32 s0, s10
	s_cbranch_execz .LBB1716_41
; %bb.40:
	flat_load_b32 v26, v0, s[12:13] offset:11264 scale_offset
.LBB1716_41:
	s_wait_xcnt 0x0
	s_or_b32 exec_lo, exec_lo, s0
	s_wait_loadcnt_dscnt 0x0
	ds_store_2addr_stride64_b32 v14, v15, v16 offset1:4
	ds_store_2addr_stride64_b32 v14, v17, v18 offset0:8 offset1:12
	ds_store_2addr_stride64_b32 v14, v19, v20 offset0:16 offset1:20
	;; [unrolled: 1-line block ×5, first 2 shown]
	v_mov_b64_e32 v[14:15], 0
	v_mov_b64_e32 v[42:43], 0
	;; [unrolled: 1-line block ×21, first 2 shown]
	s_mov_b32 s0, 0
	s_mov_b32 s3, 0
	s_mov_b32 s1, exec_lo
	s_wait_dscnt 0x0
	s_barrier_signal -1
	s_barrier_wait -1
                                        ; implicit-def: $sgpr2
                                        ; implicit-def: $vgpr60
	v_cmpx_gt_u32_e64 s34, v39
	s_cbranch_execz .LBB1716_65
; %bb.42:
	ds_load_b32 v14, v1
	v_cmp_eq_u32_e32 vcc_lo, v10, v11
	v_or_b32_e32 v16, 1, v39
	v_mov_b64_e32 v[42:43], 0
	v_mov_b64_e32 v[40:41], 0
	;; [unrolled: 1-line block ×17, first 2 shown]
	s_wait_dscnt 0x0
	v_cndmask_b32_e32 v14, s33, v14, vcc_lo
	v_cmp_ne_u32_e32 vcc_lo, v10, v11
	v_mov_b64_e32 v[20:21], 0
	v_mov_b64_e32 v[18:19], 0
	s_mov_b32 s4, 0
	s_mov_b32 s3, exec_lo
	v_cndmask_b32_e64 v15, 0, 1, vcc_lo
                                        ; implicit-def: $sgpr2
                                        ; implicit-def: $vgpr60
	v_cmpx_gt_u32_e64 s34, v16
	s_cbranch_execz .LBB1716_64
; %bb.43:
	ds_load_2addr_b32 v[16:17], v1 offset0:1 offset1:2
	v_cmp_eq_u32_e32 vcc_lo, v11, v12
	v_or_b32_e32 v10, 2, v39
	v_mov_b64_e32 v[40:41], 0
	v_mov_b64_e32 v[44:45], 0
	;; [unrolled: 1-line block ×17, first 2 shown]
	s_wait_dscnt 0x0
	v_cndmask_b32_e32 v42, s33, v16, vcc_lo
	v_cmp_ne_u32_e32 vcc_lo, v11, v12
	s_mov_b32 s5, 0
	s_mov_b32 s4, exec_lo
                                        ; implicit-def: $sgpr2
                                        ; implicit-def: $vgpr60
	v_cndmask_b32_e64 v43, 0, 1, vcc_lo
	v_cmpx_gt_u32_e64 s34, v10
	s_cbranch_execz .LBB1716_63
; %bb.44:
	v_cmp_eq_u32_e32 vcc_lo, v12, v13
	v_mov_b64_e32 v[44:45], 0
	v_mov_b64_e32 v[46:47], 0
	;; [unrolled: 1-line block ×4, first 2 shown]
	v_dual_cndmask_b32 v40, s33, v17, vcc_lo :: v_dual_bitop2_b32 v10, 3, v39 bitop3:0x54
	v_cmp_ne_u32_e32 vcc_lo, v12, v13
	v_mov_b64_e32 v[52:53], 0
	v_mov_b64_e32 v[54:55], 0
	;; [unrolled: 1-line block ×11, first 2 shown]
	v_cndmask_b32_e64 v41, 0, 1, vcc_lo
	s_mov_b32 s6, 0
	s_mov_b32 s5, exec_lo
                                        ; implicit-def: $sgpr2
                                        ; implicit-def: $vgpr60
	v_cmpx_gt_u32_e64 s34, v10
	s_cbranch_execz .LBB1716_62
; %bb.45:
	ds_load_2addr_b32 v[10:11], v1 offset0:3 offset1:4
	v_cmp_ne_u32_e32 vcc_lo, v13, v6
	v_mov_b64_e32 v[46:47], 0
	v_mov_b64_e32 v[48:49], 0
	;; [unrolled: 1-line block ×4, first 2 shown]
	v_cndmask_b32_e64 v45, 0, 1, vcc_lo
	v_cmp_eq_u32_e32 vcc_lo, v13, v6
	v_mov_b64_e32 v[54:55], 0
	v_mov_b64_e32 v[56:57], 0
	;; [unrolled: 1-line block ×9, first 2 shown]
	v_add_nc_u32_e32 v12, 4, v39
	s_mov_b32 s7, 0
	s_mov_b32 s6, exec_lo
	s_wait_dscnt 0x0
	v_cndmask_b32_e32 v44, s33, v10, vcc_lo
                                        ; implicit-def: $sgpr2
                                        ; implicit-def: $vgpr60
	v_cmpx_gt_u32_e64 s34, v12
	s_cbranch_execz .LBB1716_61
; %bb.46:
	v_cmp_eq_u32_e32 vcc_lo, v6, v7
	v_mov_b64_e32 v[48:49], 0
	v_mov_b64_e32 v[50:51], 0
	v_mov_b64_e32 v[52:53], 0
	v_mov_b64_e32 v[54:55], 0
	v_cndmask_b32_e32 v46, s33, v11, vcc_lo
	v_cmp_ne_u32_e32 vcc_lo, v6, v7
	v_mov_b64_e32 v[56:57], 0
	v_mov_b64_e32 v[58:59], 0
	;; [unrolled: 1-line block ×7, first 2 shown]
	v_add_nc_u32_e32 v10, 5, v39
	v_cndmask_b32_e64 v47, 0, 1, vcc_lo
	s_mov_b32 s8, 0
	s_mov_b32 s7, exec_lo
                                        ; implicit-def: $sgpr2
                                        ; implicit-def: $vgpr60
	s_delay_alu instid0(VALU_DEP_2)
	v_cmpx_gt_u32_e64 s34, v10
	s_cbranch_execz .LBB1716_60
; %bb.47:
	ds_load_2addr_b32 v[10:11], v1 offset0:5 offset1:6
	v_cmp_ne_u32_e32 vcc_lo, v7, v8
	v_mov_b64_e32 v[50:51], 0
	v_mov_b64_e32 v[52:53], 0
	v_mov_b64_e32 v[54:55], 0
	v_mov_b64_e32 v[56:57], 0
	v_cndmask_b32_e64 v49, 0, 1, vcc_lo
	v_cmp_eq_u32_e32 vcc_lo, v7, v8
	v_mov_b64_e32 v[58:59], 0
	v_mov_b64_e32 v[24:25], 0
	;; [unrolled: 1-line block ×5, first 2 shown]
	v_add_nc_u32_e32 v6, 6, v39
	s_mov_b32 s9, 0
	s_mov_b32 s8, exec_lo
                                        ; implicit-def: $sgpr2
                                        ; implicit-def: $vgpr60
	s_wait_dscnt 0x0
	v_cndmask_b32_e32 v48, s33, v10, vcc_lo
	v_cmpx_gt_u32_e64 s34, v6
	s_cbranch_execz .LBB1716_59
; %bb.48:
	v_cmp_eq_u32_e32 vcc_lo, v8, v9
	v_mov_b64_e32 v[52:53], 0
	v_mov_b64_e32 v[54:55], 0
	;; [unrolled: 1-line block ×4, first 2 shown]
	v_cndmask_b32_e32 v50, s33, v11, vcc_lo
	v_cmp_ne_u32_e32 vcc_lo, v8, v9
	v_mov_b64_e32 v[22:23], 0
	v_mov_b64_e32 v[20:21], 0
	;; [unrolled: 1-line block ×3, first 2 shown]
	v_add_nc_u32_e32 v6, 7, v39
	v_cndmask_b32_e64 v51, 0, 1, vcc_lo
	s_mov_b32 s10, 0
	s_mov_b32 s9, exec_lo
                                        ; implicit-def: $sgpr2
                                        ; implicit-def: $vgpr60
	s_delay_alu instid0(VALU_DEP_2)
	v_cmpx_gt_u32_e64 s34, v6
	s_cbranch_execz .LBB1716_58
; %bb.49:
	ds_load_2addr_b32 v[6:7], v1 offset0:7 offset1:8
	v_cmp_ne_u32_e32 vcc_lo, v9, v2
	v_mov_b64_e32 v[54:55], 0
	v_mov_b64_e32 v[56:57], 0
	;; [unrolled: 1-line block ×4, first 2 shown]
	v_cndmask_b32_e64 v53, 0, 1, vcc_lo
	v_cmp_eq_u32_e32 vcc_lo, v9, v2
	v_mov_b64_e32 v[18:19], 0
	v_add_nc_u32_e32 v8, 8, v39
	s_mov_b32 s11, 0
	s_mov_b32 s10, exec_lo
                                        ; implicit-def: $sgpr2
                                        ; implicit-def: $vgpr60
	s_wait_dscnt 0x0
	v_cndmask_b32_e32 v52, s33, v6, vcc_lo
	v_cmpx_gt_u32_e64 s34, v8
	s_cbranch_execz .LBB1716_57
; %bb.50:
	v_cmp_eq_u32_e32 vcc_lo, v2, v3
	v_mov_b64_e32 v[56:57], 0
	v_mov_b64_e32 v[58:59], 0
	;; [unrolled: 1-line block ×3, first 2 shown]
	v_add_nc_u32_e32 v6, 9, v39
	v_cndmask_b32_e32 v54, s33, v7, vcc_lo
	v_cmp_ne_u32_e32 vcc_lo, v2, v3
	s_mov_b32 s35, 0
	s_mov_b32 s11, exec_lo
                                        ; implicit-def: $sgpr2
                                        ; implicit-def: $vgpr60
	v_cndmask_b32_e64 v55, 0, 1, vcc_lo
	v_cmpx_gt_u32_e64 s34, v6
	s_cbranch_execz .LBB1716_56
; %bb.51:
	ds_load_2addr_b32 v[6:7], v1 offset0:9 offset1:10
	v_cmp_ne_u32_e32 vcc_lo, v3, v4
	v_mov_b64_e32 v[58:59], 0
	s_mov_b32 s36, 0
	s_mov_b32 s35, exec_lo
                                        ; implicit-def: $sgpr2
                                        ; implicit-def: $vgpr60
	v_cndmask_b32_e64 v57, 0, 1, vcc_lo
	v_cmp_eq_u32_e32 vcc_lo, v3, v4
	s_wait_dscnt 0x0
	v_dual_add_nc_u32 v2, 10, v39 :: v_dual_cndmask_b32 v56, s33, v6, vcc_lo
	s_delay_alu instid0(VALU_DEP_1)
	v_cmpx_gt_u32_e64 s34, v2
	s_cbranch_execz .LBB1716_55
; %bb.52:
	v_cmp_eq_u32_e32 vcc_lo, v4, v5
	v_add_nc_u32_e32 v2, 11, v39
                                        ; implicit-def: $sgpr2
                                        ; implicit-def: $vgpr60
	v_cndmask_b32_e32 v58, s33, v7, vcc_lo
	v_cmp_ne_u32_e32 vcc_lo, v4, v5
	v_cndmask_b32_e64 v59, 0, 1, vcc_lo
	s_delay_alu instid0(VALU_DEP_4) | instskip(SKIP_2) | instid1(SALU_CYCLE_1)
	v_cmp_gt_u32_e32 vcc_lo, s34, v2
	s_mov_b32 s34, 0
	s_and_saveexec_b32 s36, vcc_lo
	s_xor_b32 s36, exec_lo, s36
	s_cbranch_execz .LBB1716_54
; %bb.53:
	ds_load_b32 v1, v1 offset:44
	v_cmp_ne_u32_e64 s2, v5, v38
	s_mov_b32 s34, exec_lo
	s_wait_dscnt 0x0
	v_cndmask_b32_e64 v60, v1, s33, s2
.LBB1716_54:
	s_or_b32 exec_lo, exec_lo, s36
	s_delay_alu instid0(SALU_CYCLE_1)
	s_and_b32 s36, s34, exec_lo
.LBB1716_55:
	s_or_b32 exec_lo, exec_lo, s35
	v_mov_b64_e32 v[18:19], v[58:59]
	s_and_b32 s35, s36, exec_lo
.LBB1716_56:
	s_or_b32 exec_lo, exec_lo, s11
	v_mov_b64_e32 v[20:21], v[56:57]
	s_and_b32 s11, s35, exec_lo
.LBB1716_57:
	s_or_b32 exec_lo, exec_lo, s10
	v_mov_b64_e32 v[22:23], v[54:55]
	s_and_b32 s10, s11, exec_lo
.LBB1716_58:
	s_or_b32 exec_lo, exec_lo, s9
	v_mov_b64_e32 v[24:25], v[52:53]
	s_and_b32 s9, s10, exec_lo
.LBB1716_59:
	s_or_b32 exec_lo, exec_lo, s8
	v_mov_b64_e32 v[26:27], v[50:51]
	s_and_b32 s8, s9, exec_lo
.LBB1716_60:
	s_or_b32 exec_lo, exec_lo, s7
	v_mov_b64_e32 v[28:29], v[48:49]
	s_and_b32 s7, s8, exec_lo
.LBB1716_61:
	s_or_b32 exec_lo, exec_lo, s6
	v_mov_b64_e32 v[30:31], v[46:47]
	s_and_b32 s6, s7, exec_lo
.LBB1716_62:
	s_or_b32 exec_lo, exec_lo, s5
	v_mov_b64_e32 v[32:33], v[44:45]
	s_and_b32 s5, s6, exec_lo
.LBB1716_63:
	s_or_b32 exec_lo, exec_lo, s4
	v_mov_b64_e32 v[34:35], v[40:41]
	s_and_b32 s4, s5, exec_lo
.LBB1716_64:
	s_or_b32 exec_lo, exec_lo, s3
	v_mov_b64_e32 v[36:37], v[42:43]
	s_and_b32 s3, s4, exec_lo
.LBB1716_65:
	s_or_b32 exec_lo, exec_lo, s1
	v_lshlrev_b32_e32 v16, 2, v0
	s_and_b32 vcc_lo, exec_lo, s0
	s_cbranch_vccnz .LBB1716_67
	s_branch .LBB1716_72
.LBB1716_66:
                                        ; implicit-def: $sgpr2
                                        ; implicit-def: $vgpr60
                                        ; implicit-def: $vgpr14_vgpr15
                                        ; implicit-def: $vgpr42_vgpr43
                                        ; implicit-def: $vgpr40_vgpr41
                                        ; implicit-def: $vgpr44_vgpr45
                                        ; implicit-def: $vgpr46_vgpr47
                                        ; implicit-def: $vgpr48_vgpr49
                                        ; implicit-def: $vgpr50_vgpr51
                                        ; implicit-def: $vgpr52_vgpr53
                                        ; implicit-def: $vgpr54_vgpr55
                                        ; implicit-def: $vgpr56_vgpr57
                                        ; implicit-def: $vgpr58_vgpr59
                                        ; implicit-def: $vgpr36_vgpr37
                                        ; implicit-def: $vgpr34_vgpr35
                                        ; implicit-def: $vgpr32_vgpr33
                                        ; implicit-def: $vgpr30_vgpr31
                                        ; implicit-def: $vgpr28_vgpr29
                                        ; implicit-def: $vgpr26_vgpr27
                                        ; implicit-def: $vgpr24_vgpr25
                                        ; implicit-def: $vgpr22_vgpr23
                                        ; implicit-def: $vgpr20_vgpr21
                                        ; implicit-def: $vgpr18_vgpr19
	v_lshlrev_b32_e32 v16, 2, v0
	s_cbranch_execz .LBB1716_72
.LBB1716_67:
	s_clause 0xb
	flat_load_b32 v1, v0, s[30:31] scale_offset
	flat_load_b32 v2, v0, s[30:31] offset:1024 scale_offset
	flat_load_b32 v3, v0, s[30:31] offset:2048 scale_offset
	;; [unrolled: 1-line block ×11, first 2 shown]
	v_mov_b32_e32 v13, 0
	v_mad_u32_u24 v28, v0, 44, v16
	s_mov_b32 s0, exec_lo
	s_wait_loadcnt_dscnt 0xa0a
	ds_store_2addr_stride64_b32 v16, v1, v2 offset1:4
	s_wait_loadcnt_dscnt 0x809
	ds_store_2addr_stride64_b32 v16, v3, v4 offset0:8 offset1:12
	s_wait_loadcnt_dscnt 0x608
	ds_store_2addr_stride64_b32 v16, v5, v6 offset0:16 offset1:20
	;; [unrolled: 2-line block ×5, first 2 shown]
	s_wait_dscnt 0x0
	s_barrier_signal -1
	s_barrier_wait -1
	flat_load_b32 v1, v13, s[30:31] offset:12288
	s_wait_xcnt 0x0
	ds_load_b128 v[10:13], v28
	ds_load_b128 v[6:9], v28 offset:16
	ds_load_b128 v[2:5], v28 offset:32
	v_mad_i32_i24 v14, 0xffffffd4, v0, v28
	s_wait_dscnt 0x2
	ds_store_b32 v14, v10 offset:13312
	s_wait_loadcnt_dscnt 0x0
	s_barrier_signal -1
	s_barrier_wait -1
	v_cmpx_ne_u32_e32 0xff, v0
; %bb.68:
	v_mul_i32_i24_e32 v1, 0xffffffd4, v0
	s_delay_alu instid0(VALU_DEP_1)
	v_add_nc_u32_e32 v1, v28, v1
	ds_load_b32 v1, v1 offset:13316
; %bb.69:
	s_or_b32 exec_lo, exec_lo, s0
	s_wait_dscnt 0x0
	s_barrier_signal -1
	s_barrier_wait -1
	s_clause 0xb
	flat_load_b32 v14, v0, s[12:13] scale_offset
	flat_load_b32 v15, v0, s[12:13] offset:1024 scale_offset
	flat_load_b32 v17, v0, s[12:13] offset:2048 scale_offset
	;; [unrolled: 1-line block ×11, first 2 shown]
	v_cmp_eq_u32_e32 vcc_lo, v10, v11
	v_mov_b32_e32 v10, s33
	s_wait_loadcnt_dscnt 0xa0a
	ds_store_2addr_stride64_b32 v16, v14, v15 offset1:4
	s_wait_loadcnt_dscnt 0x809
	ds_store_2addr_stride64_b32 v16, v17, v18 offset0:8 offset1:12
	s_wait_loadcnt_dscnt 0x608
	ds_store_2addr_stride64_b32 v16, v19, v20 offset0:16 offset1:20
	;; [unrolled: 2-line block ×5, first 2 shown]
	s_wait_dscnt 0x0
	s_barrier_signal -1
	s_barrier_wait -1
	ds_load_2addr_b32 v[26:27], v28 offset0:1 offset1:2
	ds_load_2addr_b32 v[24:25], v28 offset0:3 offset1:4
	;; [unrolled: 1-line block ×5, first 2 shown]
	ds_load_b32 v17, v28 offset:44
	v_mov_b64_e32 v[14:15], 0x100000000
	s_and_saveexec_b32 s0, vcc_lo
; %bb.70:
	ds_load_b32 v10, v28
	v_mov_b64_e32 v[14:15], 0
; %bb.71:
	s_or_b32 exec_lo, exec_lo, s0
	v_cmp_eq_u32_e32 vcc_lo, v11, v12
	v_cmp_ne_u32_e64 s2, v5, v1
	s_mov_b32 s3, -1
	s_wait_dscnt 0x5
	v_cndmask_b32_e32 v42, s33, v26, vcc_lo
	v_cmp_ne_u32_e32 vcc_lo, v11, v12
	s_wait_dscnt 0x0
	v_cndmask_b32_e64 v60, v17, s33, s2
	v_cndmask_b32_e64 v43, 0, 1, vcc_lo
	v_cmp_eq_u32_e32 vcc_lo, v12, v13
	v_or_b32_e32 v14, v14, v10
	s_delay_alu instid0(VALU_DEP_3) | instskip(SKIP_4) | instid1(VALU_DEP_2)
	v_mov_b64_e32 v[36:37], v[42:43]
	v_cndmask_b32_e32 v40, s33, v27, vcc_lo
	v_cmp_ne_u32_e32 vcc_lo, v12, v13
	v_cndmask_b32_e64 v41, 0, 1, vcc_lo
	v_cmp_eq_u32_e32 vcc_lo, v13, v6
	v_mov_b64_e32 v[34:35], v[40:41]
	v_cndmask_b32_e32 v44, s33, v24, vcc_lo
	v_cmp_ne_u32_e32 vcc_lo, v13, v6
	v_cndmask_b32_e64 v45, 0, 1, vcc_lo
	v_cmp_eq_u32_e32 vcc_lo, v6, v7
	s_delay_alu instid0(VALU_DEP_2) | instskip(SKIP_4) | instid1(VALU_DEP_2)
	v_mov_b64_e32 v[32:33], v[44:45]
	v_cndmask_b32_e32 v46, s33, v25, vcc_lo
	v_cmp_ne_u32_e32 vcc_lo, v6, v7
	v_cndmask_b32_e64 v47, 0, 1, vcc_lo
	v_cmp_eq_u32_e32 vcc_lo, v7, v8
	v_mov_b64_e32 v[30:31], v[46:47]
	v_cndmask_b32_e32 v48, s33, v22, vcc_lo
	v_cmp_ne_u32_e32 vcc_lo, v7, v8
	v_cndmask_b32_e64 v49, 0, 1, vcc_lo
	v_cmp_eq_u32_e32 vcc_lo, v8, v9
	s_delay_alu instid0(VALU_DEP_2) | instskip(SKIP_4) | instid1(VALU_DEP_2)
	;; [unrolled: 11-line block ×3, first 2 shown]
	v_mov_b64_e32 v[24:25], v[52:53]
	v_cndmask_b32_e32 v54, s33, v21, vcc_lo
	v_cmp_ne_u32_e32 vcc_lo, v2, v3
	v_cndmask_b32_e64 v55, 0, 1, vcc_lo
	v_cmp_eq_u32_e32 vcc_lo, v3, v4
	v_mov_b64_e32 v[22:23], v[54:55]
	v_cndmask_b32_e32 v56, s33, v18, vcc_lo
	v_cmp_ne_u32_e32 vcc_lo, v3, v4
	v_cndmask_b32_e64 v57, 0, 1, vcc_lo
	v_cmp_eq_u32_e32 vcc_lo, v4, v5
	s_delay_alu instid0(VALU_DEP_2) | instskip(SKIP_3) | instid1(VALU_DEP_1)
	v_mov_b64_e32 v[20:21], v[56:57]
	v_cndmask_b32_e32 v58, s33, v19, vcc_lo
	v_cmp_ne_u32_e32 vcc_lo, v4, v5
	v_cndmask_b32_e64 v59, 0, 1, vcc_lo
	v_mov_b64_e32 v[18:19], v[58:59]
.LBB1716_72:
	v_mov_b64_e32 v[38:39], 0
	s_and_saveexec_b32 s0, s3
	s_cbranch_execz .LBB1716_74
; %bb.73:
	v_cndmask_b32_e64 v61, 0, 1, s2
	v_mov_b64_e32 v[18:19], v[58:59]
	v_mov_b64_e32 v[20:21], v[56:57]
	;; [unrolled: 1-line block ×11, first 2 shown]
.LBB1716_74:
	s_or_b32 exec_lo, exec_lo, s0
	v_dual_lshrrev_b32 v1, 2, v0 :: v_dual_bitop2_b32 v40, v25, v23 bitop3:0x54
	s_delay_alu instid0(VALU_DEP_3)
	v_or_b32_e32 v17, v21, v19
	s_cmp_lg_u32 s28, 0
	v_cmp_gt_u32_e32 vcc_lo, 32, v0
	s_barrier_signal -1
	s_barrier_wait -1
	s_cbranch_scc0 .LBB1716_112
; %bb.75:
	s_mov_b64 s[10:11], 0x100000000
	v_or3_b32 v3, v40, v27, v29
	v_cmp_gt_u64_e64 s0, s[10:11], v[36:37]
	v_cmp_gt_u64_e64 s1, s[10:11], v[34:35]
	v_cmp_gt_u64_e64 s2, s[10:11], v[32:33]
	v_cmp_gt_u64_e64 s3, s[10:11], v[30:31]
	v_cmp_gt_u64_e64 s4, s[10:11], v[28:29]
	v_cmp_gt_u64_e64 s5, s[10:11], v[26:27]
	v_cmp_gt_u64_e64 s6, s[10:11], v[24:25]
	v_dual_cndmask_b32 v2, 0, v14, s0 :: v_dual_bitop2_b32 v5, 56, v1 bitop3:0x40
	v_cmp_gt_u64_e64 s7, s[10:11], v[22:23]
	v_cmp_gt_u64_e64 s8, s[10:11], v[20:21]
	v_cmp_gt_u64_e64 s9, s[10:11], v[18:19]
	s_delay_alu instid0(VALU_DEP_4) | instskip(SKIP_3) | instid1(VALU_DEP_4)
	v_add_nc_u32_e32 v2, v2, v36
	v_cmp_gt_u64_e64 s10, s[10:11], v[38:39]
	v_or3_b32 v3, v3, v31, v33
	v_lshl_add_u32 v5, v0, 3, v5
	v_cndmask_b32_e64 v2, 0, v2, s1
	s_delay_alu instid0(VALU_DEP_3) | instskip(NEXT) | instid1(VALU_DEP_2)
	v_or3_b32 v3, v3, v35, v37
	v_add_nc_u32_e32 v2, v2, v34
	s_delay_alu instid0(VALU_DEP_2) | instskip(NEXT) | instid1(VALU_DEP_2)
	v_or3_b32 v3, v39, v17, v3
	v_cndmask_b32_e64 v2, 0, v2, s2
	s_delay_alu instid0(VALU_DEP_2) | instskip(NEXT) | instid1(VALU_DEP_2)
	v_and_b32_e32 v3, 0xff, v3
	v_add_nc_u32_e32 v2, v2, v32
	s_delay_alu instid0(VALU_DEP_1) | instskip(NEXT) | instid1(VALU_DEP_1)
	v_cndmask_b32_e64 v2, 0, v2, s3
	v_add_nc_u32_e32 v2, v2, v30
	s_delay_alu instid0(VALU_DEP_1) | instskip(NEXT) | instid1(VALU_DEP_1)
	v_cndmask_b32_e64 v2, 0, v2, s4
	;; [unrolled: 3-line block ×7, first 2 shown]
	v_dual_add_nc_u32 v4, v2, v18 :: v_dual_mov_b32 v2, 0
	s_delay_alu instid0(VALU_DEP_1) | instskip(NEXT) | instid1(VALU_DEP_2)
	v_cndmask_b32_e64 v4, 0, v4, s10
	v_cmp_eq_u64_e64 s10, 0, v[2:3]
	s_delay_alu instid0(VALU_DEP_1)
	v_dual_add_nc_u32 v12, v4, v38 :: v_dual_cndmask_b32 v13, 1, v15, s10
	ds_store_b32 v5, v12
	ds_store_b8 v5, v13 offset:4
	s_wait_dscnt 0x0
	s_barrier_signal -1
	s_barrier_wait -1
	s_and_saveexec_b32 s11, vcc_lo
	s_cbranch_execz .LBB1716_85
; %bb.76:
	v_dual_lshlrev_b32 v2, 1, v0 :: v_dual_lshlrev_b32 v3, 6, v0
	s_mov_b32 s12, exec_lo
	s_delay_alu instid0(VALU_DEP_1) | instskip(NEXT) | instid1(VALU_DEP_1)
	v_and_b32_e32 v2, 0x1f8, v2
	v_add_nc_u32_e32 v4, v2, v3
	ds_load_u8 v5, v4 offset:12
	ds_load_b64 v[2:3], v4
	ds_load_2addr_b32 v[6:7], v4 offset0:2 offset1:4
	ds_load_u8 v10, v4 offset:20
	ds_load_u8 v11, v4 offset:28
	;; [unrolled: 1-line block ×5, first 2 shown]
	ds_load_b32 v44, v4 offset:56
	s_wait_dscnt 0x8
	v_cmp_eq_u16_e64 s10, 0, v5
	s_wait_dscnt 0x5
	s_delay_alu instid0(VALU_DEP_1)
	v_dual_cndmask_b32 v45, 0, v2, s10 :: v_dual_bitop2_b32 v5, v10, v5 bitop3:0x54
	ds_load_2addr_b32 v[8:9], v4 offset0:6 offset1:8
	v_cmp_eq_u16_e64 s10, 0, v10
	s_wait_dscnt 0x4
	v_bitop3_b16 v5, v5, v41, v11 bitop3:0xfe
	v_add_nc_u32_e32 v6, v45, v6
	s_delay_alu instid0(VALU_DEP_1) | instskip(SKIP_1) | instid1(VALU_DEP_2)
	v_cndmask_b32_e64 v6, 0, v6, s10
	v_cmp_eq_u16_e64 s10, 0, v11
	v_add_nc_u32_e32 v6, v6, v7
	s_delay_alu instid0(VALU_DEP_1)
	v_cndmask_b32_e64 v45, 0, v6, s10
	ds_load_2addr_b32 v[6:7], v4 offset0:10 offset1:12
	v_cmp_eq_u16_e64 s10, 0, v41
	s_wait_dscnt 0x1
	v_add_nc_u32_e32 v8, v45, v8
	ds_load_u8 v45, v4 offset:60
	v_cndmask_b32_e64 v8, 0, v8, s10
	v_cmp_eq_u16_e64 s10, 0, v42
	s_delay_alu instid0(VALU_DEP_2) | instskip(SKIP_1) | instid1(VALU_DEP_2)
	v_add_nc_u32_e32 v8, v8, v9
	v_bitop3_b16 v9, v5, v43, v42 bitop3:0xfe
	v_dual_cndmask_b32 v8, 0, v8, s10 :: v_dual_bitop2_b32 v5, 1, v3 bitop3:0x40
	s_delay_alu instid0(VALU_DEP_2) | instskip(SKIP_1) | instid1(VALU_DEP_2)
	v_cmp_eq_u16_e64 s10, 0, v9
	s_wait_dscnt 0x0
	v_dual_add_nc_u32 v6, v8, v6 :: v_dual_bitop2_b32 v8, 1, v45 bitop3:0x40
	s_delay_alu instid0(VALU_DEP_2) | instskip(SKIP_1) | instid1(VALU_DEP_1)
	v_cndmask_b32_e64 v9, 1, v5, s10
	v_cmp_eq_u16_e64 s10, 0, v43
	v_cndmask_b32_e64 v6, 0, v6, s10
	s_delay_alu instid0(VALU_DEP_4) | instskip(SKIP_1) | instid1(VALU_DEP_2)
	v_cmp_eq_u32_e64 s10, 1, v8
	v_mbcnt_lo_u32_b32 v8, -1, 0
	v_cndmask_b32_e64 v9, v9, 1, s10
	v_cmp_eq_u16_e64 s10, 0, v45
	s_delay_alu instid0(VALU_DEP_2) | instskip(SKIP_2) | instid1(VALU_DEP_1)
	v_and_b32_e32 v10, 0xffff, v9
	v_add_nc_u32_e32 v7, v6, v7
	v_and_b32_e32 v6, 0xffffff00, v3
	v_dual_cndmask_b32 v7, 0, v7, s10 :: v_dual_bitop2_b32 v11, v6, v10 bitop3:0x54
	v_and_b32_e32 v10, 15, v8
	s_delay_alu instid0(VALU_DEP_2) | instskip(NEXT) | instid1(VALU_DEP_3)
	v_mov_b32_dpp v42, v11 row_shr:1 row_mask:0xf bank_mask:0xf
	v_add_nc_u32_e32 v7, v7, v44
	s_delay_alu instid0(VALU_DEP_1) | instskip(NEXT) | instid1(VALU_DEP_4)
	v_mov_b32_dpp v41, v7 row_shr:1 row_mask:0xf bank_mask:0xf
	v_cmpx_ne_u32_e32 0, v10
	s_cbranch_execz .LBB1716_78
; %bb.77:
	v_and_b32_e32 v11, 1, v9
	v_and_b32_e32 v42, 1, v42
	s_delay_alu instid0(VALU_DEP_2) | instskip(NEXT) | instid1(VALU_DEP_1)
	v_cmp_eq_u32_e64 s10, 1, v11
	v_cndmask_b32_e64 v42, v42, 1, s10
	v_cmp_eq_u16_e64 s10, 0, v9
	s_delay_alu instid0(VALU_DEP_2) | instskip(NEXT) | instid1(VALU_DEP_1)
	v_and_b32_e32 v11, 0xffff, v42
	v_dual_cndmask_b32 v9, 0, v41, s10 :: v_dual_bitop2_b32 v11, v6, v11 bitop3:0x54
	s_delay_alu instid0(VALU_DEP_1)
	v_dual_add_nc_u32 v7, v9, v7 :: v_dual_mov_b32 v9, v42
.LBB1716_78:
	s_or_b32 exec_lo, exec_lo, s12
	s_delay_alu instid0(VALU_DEP_1) | instskip(NEXT) | instid1(VALU_DEP_3)
	v_mov_b32_dpp v41, v7 row_shr:2 row_mask:0xf bank_mask:0xf
	v_mov_b32_dpp v42, v11 row_shr:2 row_mask:0xf bank_mask:0xf
	s_mov_b32 s12, exec_lo
	v_cmpx_lt_u32_e32 1, v10
	s_cbranch_execz .LBB1716_80
; %bb.79:
	v_and_b32_e32 v11, 1, v9
	v_and_b32_e32 v42, 1, v42
	s_delay_alu instid0(VALU_DEP_2) | instskip(NEXT) | instid1(VALU_DEP_1)
	v_cmp_eq_u32_e64 s10, 1, v11
	v_cndmask_b32_e64 v42, v42, 1, s10
	v_cmp_eq_u16_e64 s10, 0, v9
	s_delay_alu instid0(VALU_DEP_2) | instskip(NEXT) | instid1(VALU_DEP_1)
	v_and_b32_e32 v11, 0xffff, v42
	v_dual_cndmask_b32 v9, 0, v41, s10 :: v_dual_bitop2_b32 v11, v6, v11 bitop3:0x54
	s_delay_alu instid0(VALU_DEP_1)
	v_dual_add_nc_u32 v7, v9, v7 :: v_dual_mov_b32 v9, v42
.LBB1716_80:
	s_or_b32 exec_lo, exec_lo, s12
	s_delay_alu instid0(VALU_DEP_1) | instskip(NEXT) | instid1(VALU_DEP_3)
	v_mov_b32_dpp v41, v7 row_shr:4 row_mask:0xf bank_mask:0xf
	v_mov_b32_dpp v42, v11 row_shr:4 row_mask:0xf bank_mask:0xf
	s_mov_b32 s12, exec_lo
	v_cmpx_lt_u32_e32 3, v10
	;; [unrolled: 20-line block ×3, first 2 shown]
	s_cbranch_execz .LBB1716_84
; %bb.83:
	v_and_b32_e32 v10, 1, v9
	v_and_b32_e32 v11, 1, v42
	s_delay_alu instid0(VALU_DEP_2) | instskip(NEXT) | instid1(VALU_DEP_1)
	v_cmp_eq_u32_e64 s10, 1, v10
	v_cndmask_b32_e64 v10, v11, 1, s10
	v_cmp_eq_u16_e64 s10, 0, v9
	s_delay_alu instid0(VALU_DEP_2) | instskip(NEXT) | instid1(VALU_DEP_1)
	v_and_b32_e32 v11, 0xffff, v10
	v_dual_cndmask_b32 v9, 0, v41, s10 :: v_dual_bitop2_b32 v11, v6, v11 bitop3:0x54
	s_delay_alu instid0(VALU_DEP_1)
	v_dual_add_nc_u32 v7, v9, v7 :: v_dual_mov_b32 v9, v10
.LBB1716_84:
	s_or_b32 exec_lo, exec_lo, s12
	ds_swizzle_b32 v10, v11 offset:swizzle(BROADCAST,32,15)
	ds_swizzle_b32 v11, v7 offset:swizzle(BROADCAST,32,15)
	v_and_b32_e32 v41, 1, v9
	v_bfe_i32 v43, v8, 4, 1
	v_and_b32_e32 v3, 0xff, v3
	; wave barrier
	s_delay_alu instid0(VALU_DEP_3) | instskip(SKIP_2) | instid1(VALU_DEP_1)
	v_cmp_eq_u32_e64 s10, 1, v41
	s_wait_dscnt 0x1
	v_dual_add_nc_u32 v41, -1, v8 :: v_dual_bitop2_b32 v10, 1, v10 bitop3:0x40
	v_cndmask_b32_e64 v10, v10, 1, s10
	v_and_b32_e32 v42, 16, v8
	v_cmp_eq_u16_e64 s10, 0, v9
	s_wait_dscnt 0x0
	s_delay_alu instid0(VALU_DEP_1) | instskip(NEXT) | instid1(VALU_DEP_3)
	v_cndmask_b32_e64 v11, 0, v11, s10
	v_cmp_eq_u32_e64 s10, 0, v42
	s_delay_alu instid0(VALU_DEP_1) | instskip(SKIP_1) | instid1(VALU_DEP_4)
	v_cndmask_b32_e64 v9, v10, v9, s10
	v_cmp_gt_i32_e64 s10, 0, v41
	v_and_b32_e32 v10, v43, v11
	s_delay_alu instid0(VALU_DEP_3) | instskip(NEXT) | instid1(VALU_DEP_2)
	v_and_b32_e32 v9, 0xffff, v9
	v_dual_cndmask_b32 v8, v41, v8, s10 :: v_dual_add_nc_u32 v7, v10, v7
	v_cmp_eq_u16_e64 s10, 0, v3
	s_delay_alu instid0(VALU_DEP_2)
	v_lshlrev_b32_e32 v8, 2, v8
	ds_bpermute_b32 v7, v8, v7
	s_wait_dscnt 0x0
	v_dual_cndmask_b32 v3, 0, v7, s10 :: v_dual_bitop2_b32 v6, v6, v9 bitop3:0x54
	ds_bpermute_b32 v6, v8, v6
	v_cmp_eq_u32_e64 s10, 1, v5
	v_add_nc_u32_e32 v2, v3, v2
	s_wait_dscnt 0x0
	v_and_b32_e32 v6, 1, v6
	s_delay_alu instid0(VALU_DEP_1) | instskip(SKIP_1) | instid1(VALU_DEP_1)
	v_cndmask_b32_e64 v3, v6, 1, s10
	v_cmp_eq_u32_e64 s10, 0, v0
	v_dual_cndmask_b32 v8, v3, v13, s10 :: v_dual_cndmask_b32 v5, v2, v12, s10
	ds_store_b32 v4, v5
	ds_store_b8 v4, v8 offset:4
	; wave barrier
	ds_load_u8 v9, v4 offset:12
	ds_load_2addr_b32 v[2:3], v4 offset0:2 offset1:4
	ds_load_u8 v10, v4 offset:20
	ds_load_u8 v11, v4 offset:28
	;; [unrolled: 1-line block ×5, first 2 shown]
	ds_load_b32 v44, v4 offset:56
	ds_load_u8 v45, v4 offset:60
	ds_load_2addr_b32 v[6:7], v4 offset0:6 offset1:8
	s_wait_dscnt 0x9
	v_cmp_eq_u16_e64 s10, 0, v9
	v_and_b32_e32 v9, 1, v9
	s_delay_alu instid0(VALU_DEP_2) | instskip(SKIP_2) | instid1(VALU_DEP_2)
	v_cndmask_b32_e64 v5, 0, v5, s10
	s_wait_dscnt 0x7
	v_cmp_eq_u16_e64 s10, 0, v10
	v_add_nc_u32_e32 v5, v5, v2
	s_delay_alu instid0(VALU_DEP_1) | instskip(SKIP_2) | instid1(VALU_DEP_2)
	v_cndmask_b32_e64 v2, 0, v5, s10
	s_wait_dscnt 0x6
	v_cmp_eq_u16_e64 s10, 0, v11
	v_add_nc_u32_e32 v46, v2, v3
	ds_load_2addr_b32 v[2:3], v4 offset0:10 offset1:12
	v_cndmask_b32_e64 v47, 0, v46, s10
	s_wait_dscnt 0x6
	v_cmp_eq_u16_e64 s10, 0, v41
	ds_store_2addr_b32 v4, v5, v46 offset0:2 offset1:4
	s_wait_dscnt 0x2
	v_add_nc_u32_e32 v6, v47, v6
	s_delay_alu instid0(VALU_DEP_1) | instskip(SKIP_3) | instid1(VALU_DEP_4)
	v_cndmask_b32_e64 v47, 0, v6, s10
	v_cmp_eq_u32_e64 s10, 1, v9
	v_and_b32_e32 v9, 1, v11
	v_and_b32_e32 v11, 1, v41
	v_dual_add_nc_u32 v7, v47, v7 :: v_dual_bitop2_b32 v10, 1, v10 bitop3:0x40
	s_delay_alu instid0(VALU_DEP_4) | instskip(SKIP_1) | instid1(VALU_DEP_3)
	v_cndmask_b32_e64 v8, v8, 1, s10
	v_and_b32_e32 v47, 1, v45
	v_cmp_eq_u32_e64 s10, 1, v10
	s_delay_alu instid0(VALU_DEP_1) | instskip(SKIP_1) | instid1(VALU_DEP_1)
	v_cndmask_b32_e64 v10, v8, 1, s10
	v_cmp_eq_u16_e64 s10, 0, v42
	v_dual_cndmask_b32 v41, 0, v7, s10 :: v_dual_bitop2_b32 v42, 1, v42 bitop3:0x40
	v_cmp_eq_u32_e64 s10, 1, v9
	s_wait_dscnt 0x1
	s_delay_alu instid0(VALU_DEP_2) | instskip(NEXT) | instid1(VALU_DEP_2)
	v_dual_add_nc_u32 v2, v41, v2 :: v_dual_bitop2_b32 v41, 1, v43 bitop3:0x40
	v_cndmask_b32_e64 v9, v10, 1, s10
	v_cmp_eq_u32_e64 s10, 1, v11
	s_delay_alu instid0(VALU_DEP_1) | instskip(SKIP_1) | instid1(VALU_DEP_1)
	v_cndmask_b32_e64 v11, v9, 1, s10
	v_cmp_eq_u16_e64 s10, 0, v43
	v_cndmask_b32_e64 v43, 0, v2, s10
	v_cmp_eq_u32_e64 s10, 1, v42
	s_delay_alu instid0(VALU_DEP_2) | instskip(NEXT) | instid1(VALU_DEP_2)
	v_add_nc_u32_e32 v3, v43, v3
	v_cndmask_b32_e64 v42, v11, 1, s10
	v_cmp_eq_u32_e64 s10, 1, v41
	ds_store_2addr_b32 v4, v6, v7 offset0:6 offset1:8
	ds_store_2addr_b32 v4, v2, v3 offset0:10 offset1:12
	v_cndmask_b32_e64 v41, v42, 1, s10
	v_cmp_eq_u16_e64 s10, 0, v45
	s_delay_alu instid0(VALU_DEP_1) | instskip(SKIP_1) | instid1(VALU_DEP_2)
	v_cndmask_b32_e64 v5, 0, v3, s10
	v_cmp_eq_u32_e64 s10, 1, v47
	v_add_nc_u32_e32 v2, v5, v44
	s_delay_alu instid0(VALU_DEP_2)
	v_cndmask_b32_e64 v43, v41, 1, s10
	ds_store_b8 v4, v8 offset:12
	ds_store_b8 v4, v10 offset:20
	;; [unrolled: 1-line block ×6, first 2 shown]
	ds_store_b32 v4, v2 offset:56
	ds_store_b8 v4, v43 offset:60
.LBB1716_85:
	s_or_b32 exec_lo, exec_lo, s11
	v_cmp_eq_u32_e64 s10, 0, v0
	s_mov_b32 s12, exec_lo
	s_wait_dscnt 0x0
	s_barrier_signal -1
	s_barrier_wait -1
	v_cmpx_ne_u32_e32 0, v0
	s_cbranch_execz .LBB1716_87
; %bb.86:
	v_add_nc_u32_e32 v2, -1, v0
	s_delay_alu instid0(VALU_DEP_1) | instskip(NEXT) | instid1(VALU_DEP_1)
	v_lshrrev_b32_e32 v3, 2, v2
	v_and_b32_e32 v3, 0x3ffffff8, v3
	s_delay_alu instid0(VALU_DEP_1)
	v_lshl_add_u32 v2, v2, 3, v3
	ds_load_b32 v12, v2
	ds_load_u8 v13, v2 offset:4
.LBB1716_87:
	s_or_b32 exec_lo, exec_lo, s12
	s_and_saveexec_b32 s34, vcc_lo
	s_cbranch_execz .LBB1716_157
; %bb.88:
	v_mov_b32_e32 v5, 0
	v_mbcnt_lo_u32_b32 v41, -1, 0
	s_mov_b32 s13, 0
	ds_load_b64 v[2:3], v5 offset:2096
	v_cmp_eq_u32_e64 s11, 0, v41
	s_and_saveexec_b32 s30, s11
	s_cbranch_execz .LBB1716_90
; %bb.89:
	s_add_co_i32 s12, s28, 32
	v_mov_b32_e32 v4, 1
	s_lshl_b64 s[12:13], s[12:13], 4
	s_delay_alu instid0(SALU_CYCLE_1) | instskip(NEXT) | instid1(SALU_CYCLE_1)
	s_add_nc_u64 s[12:13], s[16:17], s[12:13]
	v_mov_b64_e32 v[6:7], s[12:13]
	s_wait_dscnt 0x0
	;;#ASMSTART
	global_store_b128 v[6:7], v[2:5] off scope:SCOPE_DEV	
s_wait_storecnt 0x0
	;;#ASMEND
.LBB1716_90:
	s_or_b32 exec_lo, exec_lo, s30
	v_xad_u32 v8, v41, -1, s28
	s_mov_b32 s12, exec_lo
	s_delay_alu instid0(VALU_DEP_1) | instskip(NEXT) | instid1(VALU_DEP_1)
	v_add_nc_u32_e32 v4, 32, v8
	v_lshl_add_u64 v[10:11], v[4:5], 4, s[16:17]
	;;#ASMSTART
	global_load_b128 v[4:7], v[10:11] off scope:SCOPE_DEV	
s_wait_loadcnt 0x0
	;;#ASMEND
	v_and_b32_e32 v7, 0xff, v6
	v_and_b32_e32 v5, 0xff, v5
	s_delay_alu instid0(VALU_DEP_2)
	v_cmpx_eq_u16_e32 0, v7
	s_cbranch_execz .LBB1716_94
; %bb.91:
	s_mov_b32 s13, 0
.LBB1716_92:                            ; =>This Inner Loop Header: Depth=1
	;;#ASMSTART
	global_load_b128 v[4:7], v[10:11] off scope:SCOPE_DEV	
s_wait_loadcnt 0x0
	;;#ASMEND
	v_and_b32_e32 v7, 0xff, v6
	s_delay_alu instid0(VALU_DEP_1) | instskip(SKIP_1) | instid1(SALU_CYCLE_1)
	v_cmp_ne_u16_e32 vcc_lo, 0, v7
	s_or_b32 s13, vcc_lo, s13
	s_and_not1_b32 exec_lo, exec_lo, s13
	s_cbranch_execnz .LBB1716_92
; %bb.93:
	s_or_b32 exec_lo, exec_lo, s13
	v_and_b32_e32 v5, 0xff, v5
.LBB1716_94:
	s_or_b32 exec_lo, exec_lo, s12
	v_cmp_ne_u32_e32 vcc_lo, 31, v41
	v_and_b32_e32 v9, 0xff, v6
	v_lshlrev_b32_e64 v43, v41, -1
	s_mov_b64 s[30:31], 0x100000000
	v_lshl_or_b32 v52, v41, 2, 64
	v_add_co_ci_u32_e64 v7, null, 0, v41, vcc_lo
	v_cmp_eq_u16_e32 vcc_lo, 2, v9
	v_cmp_gt_u64_e64 s12, s[30:31], v[4:5]
	s_delay_alu instid0(VALU_DEP_3) | instskip(SKIP_1) | instid1(VALU_DEP_2)
	v_dual_lshlrev_b32 v42, 2, v7 :: v_dual_bitop2_b32 v10, 1, v5 bitop3:0x40
	v_and_or_b32 v9, vcc_lo, v43, 0x80000000
	v_cmp_eq_u32_e32 vcc_lo, 1, v10
	ds_bpermute_b32 v7, v42, v5
	ds_bpermute_b32 v10, v42, v4
	v_ctz_i32_b32_e32 v9, v9
	s_wait_dscnt 0x1
	v_and_b32_e32 v7, 1, v7
	s_delay_alu instid0(VALU_DEP_1) | instskip(SKIP_1) | instid1(VALU_DEP_2)
	v_cndmask_b32_e64 v7, v7, 1, vcc_lo
	v_cmp_gt_u32_e32 vcc_lo, 30, v41
	v_and_b32_e32 v45, 0xffff, v7
	v_cndmask_b32_e64 v11, 0, 2, vcc_lo
	v_cmp_lt_u32_e32 vcc_lo, v41, v9
	s_delay_alu instid0(VALU_DEP_2) | instskip(NEXT) | instid1(VALU_DEP_4)
	v_add_lshl_u32 v44, v11, v41, 2
	v_dual_cndmask_b32 v11, v5, v45, vcc_lo :: v_dual_cndmask_b32 v7, v5, v7, vcc_lo
	s_and_b32 vcc_lo, vcc_lo, s12
	s_wait_dscnt 0x0
	v_cndmask_b32_e32 v10, 0, v10, vcc_lo
	ds_bpermute_b32 v5, v44, v11
	v_and_b32_e32 v46, 1, v7
	v_and_b32_e32 v48, 0xff, v7
	v_add_nc_u32_e32 v4, v10, v4
	s_delay_alu instid0(VALU_DEP_3) | instskip(NEXT) | instid1(VALU_DEP_3)
	v_cmp_eq_u32_e32 vcc_lo, 1, v46
	v_cmp_eq_u16_e64 s12, 0, v48
	ds_bpermute_b32 v10, v44, v4
	s_wait_dscnt 0x1
	v_and_b32_e32 v5, 1, v5
	s_delay_alu instid0(VALU_DEP_1) | instskip(SKIP_2) | instid1(VALU_DEP_3)
	v_cndmask_b32_e64 v5, v5, 1, vcc_lo
	v_add_nc_u32_e32 v45, 2, v41
	v_cmp_gt_u32_e32 vcc_lo, 28, v41
	v_and_b32_e32 v47, 0xffff, v5
	v_cndmask_b32_e64 v46, 0, 4, vcc_lo
	s_delay_alu instid0(VALU_DEP_4) | instskip(NEXT) | instid1(VALU_DEP_2)
	v_cmp_gt_u32_e32 vcc_lo, v45, v9
	v_add_lshl_u32 v46, v46, v41, 2
	v_cndmask_b32_e32 v5, v5, v7, vcc_lo
	s_wait_dscnt 0x0
	v_dual_cndmask_b32 v7, v47, v11, vcc_lo :: v_dual_cndmask_b32 v10, 0, v10, s12
	s_delay_alu instid0(VALU_DEP_2) | instskip(SKIP_4) | instid1(VALU_DEP_3)
	v_and_b32_e32 v48, 1, v5
	ds_bpermute_b32 v11, v46, v7
	v_cndmask_b32_e64 v10, v10, 0, vcc_lo
	v_cmp_eq_u32_e32 vcc_lo, 1, v48
	v_and_b32_e32 v48, 0xff, v5
	v_add_nc_u32_e32 v4, v10, v4
	s_delay_alu instid0(VALU_DEP_2)
	v_cmp_eq_u16_e64 s12, 0, v48
	s_wait_dscnt 0x0
	v_and_b32_e32 v11, 1, v11
	ds_bpermute_b32 v10, v46, v4
	v_add_nc_u32_e32 v47, 4, v41
	v_cndmask_b32_e64 v11, v11, 1, vcc_lo
	v_cmp_gt_u32_e32 vcc_lo, 24, v41
	s_delay_alu instid0(VALU_DEP_2) | instskip(SKIP_1) | instid1(VALU_DEP_1)
	v_and_b32_e32 v50, 0xffff, v11
	v_cndmask_b32_e64 v49, 0, 8, vcc_lo
	v_add_lshl_u32 v48, v49, v41, 2
	s_wait_dscnt 0x0
	v_dual_add_nc_u32 v49, 8, v41 :: v_dual_cndmask_b32 v10, 0, v10, s12
	v_cmp_gt_u32_e32 vcc_lo, v47, v9
	v_dual_cndmask_b32 v5, v11, v5, vcc_lo :: v_dual_cndmask_b32 v7, v50, v7, vcc_lo
	s_delay_alu instid0(VALU_DEP_3) | instskip(NEXT) | instid1(VALU_DEP_2)
	v_cndmask_b32_e64 v10, v10, 0, vcc_lo
	v_and_b32_e32 v50, 1, v5
	ds_bpermute_b32 v11, v48, v7
	v_add_nc_u32_e32 v4, v10, v4
	v_and_b32_e32 v51, 0xff, v5
	v_cmp_eq_u32_e32 vcc_lo, 1, v50
	ds_bpermute_b32 v10, v48, v4
	s_wait_dscnt 0x1
	v_and_b32_e32 v11, 1, v11
	s_delay_alu instid0(VALU_DEP_1) | instskip(SKIP_1) | instid1(VALU_DEP_2)
	v_cndmask_b32_e64 v11, v11, 1, vcc_lo
	v_cmp_eq_u16_e32 vcc_lo, 0, v51
	v_and_b32_e32 v50, 0xffff, v11
	s_wait_dscnt 0x0
	v_cndmask_b32_e32 v10, 0, v10, vcc_lo
	v_cmp_gt_u32_e32 vcc_lo, v49, v9
	s_delay_alu instid0(VALU_DEP_3) | instskip(NEXT) | instid1(VALU_DEP_3)
	v_dual_cndmask_b32 v5, v11, v5, vcc_lo :: v_dual_cndmask_b32 v7, v50, v7, vcc_lo
	v_cndmask_b32_e64 v10, v10, 0, vcc_lo
	s_delay_alu instid0(VALU_DEP_2) | instskip(SKIP_3) | instid1(VALU_DEP_1)
	v_and_b32_e32 v50, 1, v5
	ds_bpermute_b32 v7, v52, v7
	v_add_nc_u32_e32 v4, v10, v4
	v_and_b32_e32 v11, 0xff, v5
	v_cmp_eq_u16_e32 vcc_lo, 0, v11
	s_wait_dscnt 0x0
	v_and_b32_e32 v7, 1, v7
	ds_bpermute_b32 v10, v52, v4
	s_wait_dscnt 0x0
	v_dual_cndmask_b32 v10, 0, v10 :: v_dual_add_nc_u32 v53, 16, v41
	v_cmp_eq_u32_e32 vcc_lo, 1, v50
	v_cndmask_b32_e64 v7, v7, 1, vcc_lo
	s_delay_alu instid0(VALU_DEP_3) | instskip(NEXT) | instid1(VALU_DEP_2)
	v_cmp_gt_u32_e32 vcc_lo, v53, v9
	v_dual_mov_b32 v9, 0 :: v_dual_cndmask_b32 v5, v7, v5, vcc_lo
	v_cndmask_b32_e64 v7, v10, 0, vcc_lo
	s_delay_alu instid0(VALU_DEP_1)
	v_add_nc_u32_e32 v4, v7, v4
	s_branch .LBB1716_98
.LBB1716_95:                            ;   in Loop: Header=BB1716_98 Depth=1
	s_or_b32 exec_lo, exec_lo, s13
	v_and_b32_e32 v5, 0xff, v5
.LBB1716_96:                            ;   in Loop: Header=BB1716_98 Depth=1
	s_or_b32 exec_lo, exec_lo, s12
	ds_bpermute_b32 v7, v42, v5
	v_and_b32_e32 v10, 0xff, v6
	v_cmp_gt_u64_e64 s12, s[30:31], v[4:5]
	v_subrev_nc_u32_e32 v8, 32, v8
	s_delay_alu instid0(VALU_DEP_3) | instskip(SKIP_2) | instid1(VALU_DEP_2)
	v_cmp_eq_u16_e32 vcc_lo, 2, v10
	v_and_b32_e32 v10, 1, v5
	v_and_or_b32 v11, vcc_lo, v43, 0x80000000
	v_cmp_eq_u32_e32 vcc_lo, 1, v10
	s_delay_alu instid0(VALU_DEP_2) | instskip(SKIP_3) | instid1(VALU_DEP_1)
	v_ctz_i32_b32_e32 v10, v11
	ds_bpermute_b32 v11, v42, v4
	s_wait_dscnt 0x1
	v_and_b32_e32 v7, 1, v7
	v_cndmask_b32_e64 v7, v7, 1, vcc_lo
	v_cmp_lt_u32_e32 vcc_lo, v41, v10
	s_delay_alu instid0(VALU_DEP_2) | instskip(NEXT) | instid1(VALU_DEP_1)
	v_and_b32_e32 v54, 0xffff, v7
	v_dual_cndmask_b32 v7, v5, v7 :: v_dual_cndmask_b32 v54, v5, v54
	s_and_b32 vcc_lo, vcc_lo, s12
	s_delay_alu instid0(VALU_DEP_1)
	v_and_b32_e32 v56, 0xff, v7
	v_and_b32_e32 v55, 1, v7
	ds_bpermute_b32 v5, v44, v54
	s_wait_dscnt 0x1
	v_cndmask_b32_e32 v11, 0, v11, vcc_lo
	v_cmp_eq_u16_e64 s12, 0, v56
	v_cmp_eq_u32_e32 vcc_lo, 1, v55
	s_wait_dscnt 0x0
	s_delay_alu instid0(VALU_DEP_3) | instskip(NEXT) | instid1(VALU_DEP_1)
	v_dual_add_nc_u32 v4, v11, v4 :: v_dual_bitop2_b32 v5, 1, v5 bitop3:0x40
	v_cndmask_b32_e64 v5, v5, 1, vcc_lo
	ds_bpermute_b32 v11, v44, v4
	v_cmp_gt_u32_e32 vcc_lo, v45, v10
	v_and_b32_e32 v55, 0xffff, v5
	s_delay_alu instid0(VALU_DEP_1) | instskip(NEXT) | instid1(VALU_DEP_1)
	v_dual_cndmask_b32 v5, v5, v7, vcc_lo :: v_dual_cndmask_b32 v7, v55, v54, vcc_lo
	v_and_b32_e32 v55, 1, v5
	ds_bpermute_b32 v54, v46, v7
	s_wait_dscnt 0x1
	v_cndmask_b32_e64 v11, 0, v11, s12
	s_delay_alu instid0(VALU_DEP_1) | instskip(SKIP_2) | instid1(VALU_DEP_3)
	v_cndmask_b32_e64 v11, v11, 0, vcc_lo
	v_cmp_eq_u32_e32 vcc_lo, 1, v55
	v_and_b32_e32 v55, 0xff, v5
	v_add_nc_u32_e32 v4, v11, v4
	s_delay_alu instid0(VALU_DEP_2)
	v_cmp_eq_u16_e64 s12, 0, v55
	s_wait_dscnt 0x0
	v_and_b32_e32 v54, 1, v54
	ds_bpermute_b32 v11, v46, v4
	v_cndmask_b32_e64 v54, v54, 1, vcc_lo
	v_cmp_gt_u32_e32 vcc_lo, v47, v10
	s_delay_alu instid0(VALU_DEP_2) | instskip(SKIP_3) | instid1(VALU_DEP_1)
	v_and_b32_e32 v56, 0xffff, v54
	s_wait_dscnt 0x0
	v_dual_cndmask_b32 v5, v54, v5, vcc_lo :: v_dual_cndmask_b32 v11, 0, v11, s12
	s_mov_b32 s12, 0
	v_cndmask_b32_e64 v11, v11, 0, vcc_lo
	v_cndmask_b32_e32 v7, v56, v7, vcc_lo
	s_delay_alu instid0(VALU_DEP_3) | instskip(NEXT) | instid1(VALU_DEP_3)
	v_and_b32_e32 v56, 0xff, v5
	v_add_nc_u32_e32 v4, v11, v4
	ds_bpermute_b32 v54, v48, v7
	ds_bpermute_b32 v11, v48, v4
	v_and_b32_e32 v55, 1, v5
	s_delay_alu instid0(VALU_DEP_1) | instskip(SKIP_2) | instid1(VALU_DEP_1)
	v_cmp_eq_u32_e32 vcc_lo, 1, v55
	s_wait_dscnt 0x1
	v_and_b32_e32 v54, 1, v54
	v_cndmask_b32_e64 v54, v54, 1, vcc_lo
	v_cmp_eq_u16_e32 vcc_lo, 0, v56
	s_delay_alu instid0(VALU_DEP_2) | instskip(SKIP_3) | instid1(VALU_DEP_2)
	v_and_b32_e32 v55, 0xffff, v54
	s_wait_dscnt 0x0
	v_cndmask_b32_e32 v11, 0, v11, vcc_lo
	v_cmp_gt_u32_e32 vcc_lo, v49, v10
	v_cndmask_b32_e64 v11, v11, 0, vcc_lo
	v_dual_cndmask_b32 v7, v55, v7, vcc_lo :: v_dual_cndmask_b32 v5, v54, v5, vcc_lo
	s_delay_alu instid0(VALU_DEP_2) | instskip(SKIP_4) | instid1(VALU_DEP_1)
	v_add_nc_u32_e32 v4, v11, v4
	ds_bpermute_b32 v7, v52, v7
	v_and_b32_e32 v55, 0xff, v5
	ds_bpermute_b32 v11, v52, v4
	v_and_b32_e32 v54, 1, v5
	v_cmp_eq_u32_e32 vcc_lo, 1, v54
	s_wait_dscnt 0x1
	v_cndmask_b32_e64 v7, v7, 1, vcc_lo
	v_cmp_eq_u16_e32 vcc_lo, 0, v55
	s_wait_dscnt 0x0
	v_cndmask_b32_e32 v11, 0, v11, vcc_lo
	v_cmp_gt_u32_e32 vcc_lo, v53, v10
	v_and_b32_e32 v10, 0xff, v50
	v_cndmask_b32_e32 v5, v7, v5, vcc_lo
	s_delay_alu instid0(VALU_DEP_4) | instskip(NEXT) | instid1(VALU_DEP_3)
	v_cndmask_b32_e64 v7, v11, 0, vcc_lo
	v_cmp_eq_u16_e32 vcc_lo, 0, v10
	s_delay_alu instid0(VALU_DEP_2) | instskip(NEXT) | instid1(VALU_DEP_1)
	v_dual_add_nc_u32 v4, v7, v4 :: v_dual_bitop2_b32 v7, 1, v50 bitop3:0x40
	v_dual_cndmask_b32 v4, 0, v4, vcc_lo :: v_dual_bitop2_b32 v5, 1, v5 bitop3:0x40
	s_delay_alu instid0(VALU_DEP_2) | instskip(NEXT) | instid1(VALU_DEP_2)
	v_cmp_eq_u32_e32 vcc_lo, 1, v7
	v_add_nc_u32_e32 v4, v4, v51
	s_delay_alu instid0(VALU_DEP_3)
	v_cndmask_b32_e64 v5, v5, 1, vcc_lo
.LBB1716_97:                            ;   in Loop: Header=BB1716_98 Depth=1
	s_and_b32 vcc_lo, exec_lo, s12
	s_cbranch_vccnz .LBB1716_153
.LBB1716_98:                            ; =>This Loop Header: Depth=1
                                        ;     Child Loop BB1716_101 Depth 2
	v_and_b32_e32 v6, 0xff, v6
	s_delay_alu instid0(VALU_DEP_2) | instskip(SKIP_1) | instid1(VALU_DEP_2)
	v_dual_mov_b32 v50, v5 :: v_dual_mov_b32 v51, v4
	s_mov_b32 s12, -1
                                        ; implicit-def: $vgpr5
                                        ; implicit-def: $vgpr4
	v_cmp_ne_u16_e32 vcc_lo, 2, v6
                                        ; implicit-def: $vgpr6
	s_cmp_lg_u32 vcc_lo, exec_lo
	s_cbranch_scc1 .LBB1716_97
; %bb.99:                               ;   in Loop: Header=BB1716_98 Depth=1
	v_lshl_add_u64 v[10:11], v[8:9], 4, s[16:17]
	;;#ASMSTART
	global_load_b128 v[4:7], v[10:11] off scope:SCOPE_DEV	
s_wait_loadcnt 0x0
	;;#ASMEND
	v_and_b32_e32 v7, 0xff, v6
	v_and_b32_e32 v5, 0xff, v5
	s_mov_b32 s12, exec_lo
	s_delay_alu instid0(VALU_DEP_2)
	v_cmpx_eq_u16_e32 0, v7
	s_cbranch_execz .LBB1716_96
; %bb.100:                              ;   in Loop: Header=BB1716_98 Depth=1
	s_mov_b32 s13, 0
.LBB1716_101:                           ;   Parent Loop BB1716_98 Depth=1
                                        ; =>  This Inner Loop Header: Depth=2
	;;#ASMSTART
	global_load_b128 v[4:7], v[10:11] off scope:SCOPE_DEV	
s_wait_loadcnt 0x0
	;;#ASMEND
	v_and_b32_e32 v7, 0xff, v6
	s_delay_alu instid0(VALU_DEP_1) | instskip(SKIP_1) | instid1(SALU_CYCLE_1)
	v_cmp_ne_u16_e32 vcc_lo, 0, v7
	s_or_b32 s13, vcc_lo, s13
	s_and_not1_b32 exec_lo, exec_lo, s13
	s_cbranch_execnz .LBB1716_101
	s_branch .LBB1716_95
.LBB1716_102:
	s_or_b32 exec_lo, exec_lo, s11
                                        ; implicit-def: $vgpr16
	s_and_saveexec_b32 s11, s0
	s_cbranch_execz .LBB1716_29
.LBB1716_103:
	flat_load_b32 v16, v0, s[12:13] offset:1024 scale_offset
	s_wait_xcnt 0x0
	s_or_b32 exec_lo, exec_lo, s11
                                        ; implicit-def: $vgpr17
	s_and_saveexec_b32 s0, s1
	s_cbranch_execnz .LBB1716_30
.LBB1716_104:
	s_or_b32 exec_lo, exec_lo, s0
                                        ; implicit-def: $vgpr18
	s_and_saveexec_b32 s0, s2
	s_cbranch_execz .LBB1716_31
.LBB1716_105:
	flat_load_b32 v18, v0, s[12:13] offset:3072 scale_offset
	s_wait_xcnt 0x0
	s_or_b32 exec_lo, exec_lo, s0
                                        ; implicit-def: $vgpr19
	s_and_saveexec_b32 s0, s3
	s_cbranch_execnz .LBB1716_32
.LBB1716_106:
	s_or_b32 exec_lo, exec_lo, s0
                                        ; implicit-def: $vgpr20
	s_and_saveexec_b32 s0, s4
	s_cbranch_execz .LBB1716_33
.LBB1716_107:
	flat_load_b32 v20, v0, s[12:13] offset:5120 scale_offset
	s_wait_xcnt 0x0
	s_or_b32 exec_lo, exec_lo, s0
                                        ; implicit-def: $vgpr21
	s_and_saveexec_b32 s0, s5
	s_cbranch_execnz .LBB1716_34
.LBB1716_108:
	s_or_b32 exec_lo, exec_lo, s0
                                        ; implicit-def: $vgpr22
	s_and_saveexec_b32 s0, s6
	s_cbranch_execz .LBB1716_35
.LBB1716_109:
	flat_load_b32 v22, v0, s[12:13] offset:7168 scale_offset
	s_wait_xcnt 0x0
	s_or_b32 exec_lo, exec_lo, s0
                                        ; implicit-def: $vgpr23
	s_and_saveexec_b32 s0, s7
	s_cbranch_execnz .LBB1716_36
.LBB1716_110:
	s_or_b32 exec_lo, exec_lo, s0
                                        ; implicit-def: $vgpr24
	s_and_saveexec_b32 s0, s8
	s_cbranch_execz .LBB1716_37
.LBB1716_111:
	flat_load_b32 v24, v0, s[12:13] offset:9216 scale_offset
	s_wait_xcnt 0x0
	s_or_b32 exec_lo, exec_lo, s0
                                        ; implicit-def: $vgpr25
	s_and_saveexec_b32 s0, s9
	s_cbranch_execz .LBB1716_39
	s_branch .LBB1716_38
.LBB1716_112:
                                        ; implicit-def: $vgpr13
                                        ; implicit-def: $vgpr9
                                        ; implicit-def: $vgpr5
	s_cbranch_execnz .LBB1716_158
.LBB1716_113:
	s_add_nc_u64 s[0:1], s[14:15], s[26:27]
	s_and_b32 vcc_lo, exec_lo, s19
	s_add_nc_u64 s[0:1], s[0:1], s[20:21]
	s_cbranch_vccz .LBB1716_175
.LBB1716_114:
	v_mul_u32_u24_e32 v1, 12, v0
	s_add_co_i32 s29, s29, s18
	s_mov_b32 s2, exec_lo
	s_delay_alu instid0(VALU_DEP_1)
	v_cmpx_gt_u32_e64 s29, v1
	s_cbranch_execz .LBB1716_130
; %bb.115:
	v_or_b32_e32 v14, 1, v1
	s_mov_b32 s3, exec_lo
	s_delay_alu instid0(VALU_DEP_1)
	v_cmpx_gt_u32_e64 s29, v14
	s_cbranch_execz .LBB1716_129
; %bb.116:
	v_or_b32_e32 v14, 2, v1
	;; [unrolled: 6-line block ×3, first 2 shown]
	s_mov_b32 s5, exec_lo
	s_delay_alu instid0(VALU_DEP_1)
	v_cmpx_gt_u32_e64 s29, v14
	s_cbranch_execz .LBB1716_127
; %bb.118:
	v_add_nc_u32_e32 v14, 4, v1
	s_mov_b32 s6, exec_lo
	s_delay_alu instid0(VALU_DEP_1)
	v_cmpx_gt_u32_e64 s29, v14
	s_cbranch_execz .LBB1716_126
; %bb.119:
	v_add_nc_u32_e32 v14, 5, v1
	;; [unrolled: 6-line block ×4, first 2 shown]
	s_mov_b32 s9, exec_lo
	s_delay_alu instid0(VALU_DEP_1)
	v_cmpx_gt_u32_e64 s29, v14
; %bb.122:
	v_add_nc_u32_e32 v14, 8, v1
	s_mov_b32 s10, exec_lo
	s_delay_alu instid0(VALU_DEP_1)
	v_cmpx_gt_u32_e64 s29, v14
	s_or_b32 exec_lo, exec_lo, s10
; %bb.123:
	s_delay_alu instid0(SALU_CYCLE_1)
	s_or_b32 exec_lo, exec_lo, s9
.LBB1716_124:
	s_delay_alu instid0(SALU_CYCLE_1)
	s_or_b32 exec_lo, exec_lo, s8
.LBB1716_125:
	s_delay_alu instid0(SALU_CYCLE_1)
	s_or_b32 exec_lo, exec_lo, s7
.LBB1716_126:
	s_delay_alu instid0(SALU_CYCLE_1)
	s_or_b32 exec_lo, exec_lo, s6
.LBB1716_127:
	s_delay_alu instid0(SALU_CYCLE_1)
	s_or_b32 exec_lo, exec_lo, s5
.LBB1716_128:
	s_delay_alu instid0(SALU_CYCLE_1)
	s_or_b32 exec_lo, exec_lo, s4
.LBB1716_129:
	s_delay_alu instid0(SALU_CYCLE_1)
	s_or_b32 exec_lo, exec_lo, s3
.LBB1716_130:
	s_delay_alu instid0(SALU_CYCLE_1) | instskip(SKIP_3) | instid1(VALU_DEP_1)
	s_or_b32 exec_lo, exec_lo, s2
	v_dual_lshlrev_b32 v1, 2, v1 :: v_dual_mov_b32 v17, 0
	s_barrier_signal -1
	s_barrier_wait -1
	v_mad_i32_i24 v14, 0xffffffd4, v0, v1
	ds_store_b128 v1, v[2:5]
	ds_store_b128 v1, v[6:9] offset:16
	ds_store_b128 v1, v[10:13] offset:32
	s_wait_dscnt 0x0
	s_barrier_signal -1
	s_barrier_wait -1
	ds_load_2addr_stride64_b32 v[26:27], v14 offset0:4 offset1:8
	ds_load_2addr_stride64_b32 v[24:25], v14 offset0:12 offset1:16
	;; [unrolled: 1-line block ×5, first 2 shown]
	ds_load_b32 v15, v14 offset:11264
	v_add_nc_u64_e32 v[16:17], s[0:1], v[16:17]
	s_mov_b32 s2, exec_lo
	v_cmpx_gt_u32_e64 s29, v0
	s_cbranch_execz .LBB1716_132
; %bb.131:
	v_mul_i32_i24_e32 v14, 0xffffffd4, v0
	s_delay_alu instid0(VALU_DEP_1)
	v_add_nc_u32_e32 v1, v1, v14
	ds_load_b32 v1, v1
	s_wait_dscnt 0x0
	v_cvt_f32_i32_e32 v1, v1
	flat_store_b32 v[16:17], v1
.LBB1716_132:
	s_wait_xcnt 0x0
	s_or_b32 exec_lo, exec_lo, s2
	v_or_b32_e32 v1, 0x100, v0
	s_mov_b32 s2, exec_lo
	s_delay_alu instid0(VALU_DEP_1)
	v_cmpx_gt_u32_e64 s29, v1
	s_cbranch_execz .LBB1716_134
; %bb.133:
	s_wait_dscnt 0x5
	v_cvt_f32_i32_e32 v1, v26
	flat_store_b32 v[16:17], v1 offset:1024
.LBB1716_134:
	s_wait_xcnt 0x0
	s_or_b32 exec_lo, exec_lo, s2
	v_or_b32_e32 v1, 0x200, v0
	s_mov_b32 s2, exec_lo
	s_delay_alu instid0(VALU_DEP_1)
	v_cmpx_gt_u32_e64 s29, v1
	s_cbranch_execz .LBB1716_136
; %bb.135:
	s_wait_dscnt 0x5
	v_cvt_f32_i32_e32 v1, v27
	flat_store_b32 v[16:17], v1 offset:2048
.LBB1716_136:
	;; [unrolled: 12-line block ×10, first 2 shown]
	s_wait_xcnt 0x0
	s_or_b32 exec_lo, exec_lo, s2
	v_or_b32_e32 v1, 0xb00, v0
	s_delay_alu instid0(VALU_DEP_1)
	v_cmp_gt_u32_e64 s2, s29, v1
	s_branch .LBB1716_177
.LBB1716_153:
	s_and_saveexec_b32 s12, s11
	s_cbranch_execz .LBB1716_155
; %bb.154:
	v_and_b32_e32 v4, 0xff, v3
	s_mov_b32 s31, 0
	s_add_co_i32 s30, s28, 32
	v_and_b32_e32 v5, 1, v50
	s_lshl_b64 s[30:31], s[30:31], 4
	v_cmp_eq_u32_e32 vcc_lo, 0, v4
	s_add_nc_u64 s[30:31], s[16:17], s[30:31]
	s_delay_alu instid0(SALU_CYCLE_1) | instskip(SKIP_1) | instid1(VALU_DEP_1)
	v_mov_b64_e32 v[6:7], s[30:31]
	v_cndmask_b32_e32 v4, 0, v51, vcc_lo
	v_dual_add_nc_u32 v2, v4, v2 :: v_dual_bitop2_b32 v3, 1, v3 bitop3:0x40
	s_delay_alu instid0(VALU_DEP_1)
	v_cmp_eq_u32_e32 vcc_lo, 1, v3
	v_mov_b32_e32 v4, 2
	v_cndmask_b32_e64 v3, v5, 1, vcc_lo
	v_mov_b32_e32 v5, 0
	;;#ASMSTART
	global_store_b128 v[6:7], v[2:5] off scope:SCOPE_DEV	
s_wait_storecnt 0x0
	;;#ASMEND
.LBB1716_155:
	s_or_b32 exec_lo, exec_lo, s12
	s_delay_alu instid0(SALU_CYCLE_1)
	s_and_b32 exec_lo, exec_lo, s10
	s_cbranch_execz .LBB1716_157
; %bb.156:
	v_mov_b32_e32 v2, 0
	ds_store_b32 v2, v51
	ds_store_b8 v2, v50 offset:4
.LBB1716_157:
	s_or_b32 exec_lo, exec_lo, s34
	s_wait_dscnt 0x0
	v_and_b32_e32 v3, 0xff, v13
	s_barrier_signal -1
	s_barrier_wait -1
	s_delay_alu instid0(VALU_DEP_1)
	v_cmp_eq_u16_e32 vcc_lo, 0, v3
	v_mov_b32_e32 v4, 0
	v_and_b32_e32 v5, 0xff, v15
	ds_load_b32 v2, v4
	s_wait_dscnt 0x0
	v_cndmask_b32_e32 v3, 0, v2, vcc_lo
	v_cmp_eq_u64_e32 vcc_lo, 0, v[4:5]
	s_delay_alu instid0(VALU_DEP_2) | instskip(NEXT) | instid1(VALU_DEP_1)
	v_add_nc_u32_e32 v3, v3, v12
	v_cndmask_b32_e64 v2, v3, v2, s10
	s_delay_alu instid0(VALU_DEP_1) | instskip(NEXT) | instid1(VALU_DEP_1)
	v_cndmask_b32_e32 v3, 0, v2, vcc_lo
	v_add_nc_u32_e32 v3, v3, v14
	s_delay_alu instid0(VALU_DEP_1) | instskip(NEXT) | instid1(VALU_DEP_1)
	v_cndmask_b32_e64 v4, 0, v3, s0
	v_add_nc_u32_e32 v4, v4, v36
	s_delay_alu instid0(VALU_DEP_1) | instskip(NEXT) | instid1(VALU_DEP_1)
	v_cndmask_b32_e64 v5, 0, v4, s1
	;; [unrolled: 3-line block ×10, first 2 shown]
	v_add_nc_u32_e32 v13, v13, v18
	s_branch .LBB1716_113
.LBB1716_158:
	s_cmp_eq_u64 s[24:25], 0
	v_mov_b32_e32 v41, s33
	s_cselect_b32 s0, -1, 0
	s_cmp_eq_u64 s[22:23], 0
	s_cselect_b32 s1, -1, 0
	s_delay_alu instid0(SALU_CYCLE_1) | instskip(NEXT) | instid1(SALU_CYCLE_1)
	s_or_b32 s0, s0, s1
	s_and_b32 vcc_lo, exec_lo, s0
	s_cbranch_vccnz .LBB1716_160
; %bb.159:
	v_mov_b32_e32 v2, 0
	global_load_b32 v41, v2, s[22:23]
.LBB1716_160:
	s_mov_b64 s[10:11], 0x100000000
	v_or3_b32 v3, v40, v27, v29
	v_cmp_gt_u64_e32 vcc_lo, s[10:11], v[36:37]
	v_cmp_gt_u64_e64 s0, s[10:11], v[34:35]
	v_cmp_gt_u64_e64 s9, s[10:11], v[38:39]
	;; [unrolled: 1-line block ×6, first 2 shown]
	s_wait_xcnt 0x0
	v_dual_cndmask_b32 v2, 0, v14, vcc_lo :: v_dual_bitop2_b32 v1, 56, v1 bitop3:0x40
	v_cmp_gt_u64_e64 s5, s[10:11], v[24:25]
	v_cmp_gt_u64_e64 s6, s[10:11], v[22:23]
	;; [unrolled: 1-line block ×3, first 2 shown]
	s_delay_alu instid0(VALU_DEP_4)
	v_add_nc_u32_e32 v2, v2, v36
	v_or3_b32 v3, v3, v31, v33
	v_cmp_gt_u64_e64 s8, s[10:11], v[18:19]
	v_lshl_add_u32 v1, v0, 3, v1
	s_mov_b32 s10, exec_lo
	v_cndmask_b32_e64 v2, 0, v2, s0
	v_or3_b32 v3, v3, v35, v37
	s_delay_alu instid0(VALU_DEP_2) | instskip(NEXT) | instid1(VALU_DEP_2)
	v_add_nc_u32_e32 v2, v2, v34
	v_or3_b32 v3, v39, v17, v3
	s_delay_alu instid0(VALU_DEP_2) | instskip(NEXT) | instid1(VALU_DEP_2)
	v_cndmask_b32_e64 v2, 0, v2, s1
	v_and_b32_e32 v3, 0xff, v3
	s_delay_alu instid0(VALU_DEP_2) | instskip(NEXT) | instid1(VALU_DEP_1)
	v_add_nc_u32_e32 v2, v2, v32
	v_cndmask_b32_e64 v2, 0, v2, s2
	s_delay_alu instid0(VALU_DEP_1) | instskip(NEXT) | instid1(VALU_DEP_1)
	v_add_nc_u32_e32 v2, v2, v30
	v_cndmask_b32_e64 v2, 0, v2, s3
	s_delay_alu instid0(VALU_DEP_1) | instskip(NEXT) | instid1(VALU_DEP_1)
	;; [unrolled: 3-line block ×7, first 2 shown]
	v_dual_add_nc_u32 v4, v2, v18 :: v_dual_mov_b32 v2, 0
	v_cndmask_b32_e64 v4, 0, v4, s9
	s_delay_alu instid0(VALU_DEP_2) | instskip(NEXT) | instid1(VALU_DEP_1)
	v_cmp_eq_u64_e64 s9, 0, v[2:3]
	v_dual_add_nc_u32 v4, v4, v38 :: v_dual_cndmask_b32 v5, 1, v15, s9
	ds_store_b32 v1, v4
	ds_store_b8 v1, v5 offset:4
	s_wait_loadcnt_dscnt 0x0
	s_barrier_signal -1
	s_barrier_wait -1
	v_cmpx_gt_u32_e32 32, v0
	s_cbranch_execz .LBB1716_170
; %bb.161:
	v_dual_lshlrev_b32 v1, 1, v0 :: v_dual_lshlrev_b32 v2, 6, v0
	s_mov_b32 s11, exec_lo
	s_delay_alu instid0(VALU_DEP_1) | instskip(NEXT) | instid1(VALU_DEP_1)
	v_and_b32_e32 v1, 0x1f8, v1
	v_add_nc_u32_e32 v1, v1, v2
	ds_load_u8 v12, v1 offset:12
	ds_load_b64 v[2:3], v1
	ds_load_2addr_b32 v[6:7], v1 offset0:2 offset1:4
	ds_load_u8 v13, v1 offset:20
	ds_load_u8 v17, v1 offset:28
	;; [unrolled: 1-line block ×5, first 2 shown]
	ds_load_b32 v25, v1 offset:56
	s_wait_dscnt 0x8
	v_cmp_eq_u16_e64 s9, 0, v12
	s_wait_dscnt 0x7
	s_delay_alu instid0(VALU_DEP_1)
	v_cndmask_b32_e64 v10, 0, v2, s9
	ds_load_2addr_b32 v[8:9], v1 offset0:6 offset1:8
	s_wait_dscnt 0x6
	v_cmp_eq_u16_e64 s9, 0, v13
	v_add_nc_u32_e32 v6, v10, v6
	ds_load_2addr_b32 v[10:11], v1 offset0:10 offset1:12
	v_cndmask_b32_e64 v6, 0, v6, s9
	s_wait_dscnt 0x6
	v_cmp_eq_u16_e64 s9, 0, v17
	s_delay_alu instid0(VALU_DEP_2) | instskip(NEXT) | instid1(VALU_DEP_1)
	v_dual_add_nc_u32 v6, v6, v7 :: v_dual_bitop2_b32 v7, v13, v12 bitop3:0x54
	v_cndmask_b32_e64 v6, 0, v6, s9
	s_wait_dscnt 0x5
	v_cmp_eq_u16_e64 s9, 0, v19
	s_delay_alu instid0(VALU_DEP_3)
	v_bitop3_b16 v7, v7, v19, v17 bitop3:0xfe
	s_wait_dscnt 0x1
	v_add_nc_u32_e32 v6, v6, v8
	ds_load_u8 v8, v1 offset:60
	v_bitop3_b16 v7, v7, v23, v21 bitop3:0xfe
	v_cndmask_b32_e64 v6, 0, v6, s9
	v_cmp_eq_u16_e64 s9, 0, v21
	s_delay_alu instid0(VALU_DEP_2) | instskip(NEXT) | instid1(VALU_DEP_1)
	v_add_nc_u32_e32 v6, v6, v9
	v_dual_cndmask_b32 v9, 0, v6, s9 :: v_dual_bitop2_b32 v6, 1, v3 bitop3:0x40
	v_cmp_eq_u16_e64 s9, 0, v7
	s_wait_dscnt 0x0
	s_delay_alu instid0(VALU_DEP_2) | instskip(NEXT) | instid1(VALU_DEP_2)
	v_dual_add_nc_u32 v9, v9, v10 :: v_dual_bitop2_b32 v10, 1, v8 bitop3:0x40
	v_cndmask_b32_e64 v7, 1, v6, s9
	v_cmp_eq_u16_e64 s9, 0, v23
	s_delay_alu instid0(VALU_DEP_1) | instskip(NEXT) | instid1(VALU_DEP_4)
	v_cndmask_b32_e64 v9, 0, v9, s9
	v_cmp_eq_u32_e64 s9, 1, v10
	s_delay_alu instid0(VALU_DEP_2) | instskip(NEXT) | instid1(VALU_DEP_2)
	v_add_nc_u32_e32 v9, v9, v11
	v_cndmask_b32_e64 v10, v7, 1, s9
	v_cmp_eq_u16_e64 s9, 0, v8
	v_and_b32_e32 v7, 0xffffff00, v3
	s_delay_alu instid0(VALU_DEP_3) | instskip(NEXT) | instid1(VALU_DEP_3)
	v_and_b32_e32 v11, 0xffff, v10
	v_cndmask_b32_e64 v8, 0, v9, s9
	v_mbcnt_lo_u32_b32 v9, -1, 0
	s_delay_alu instid0(VALU_DEP_2) | instskip(NEXT) | instid1(VALU_DEP_2)
	v_dual_add_nc_u32 v8, v8, v25 :: v_dual_bitop2_b32 v12, v7, v11 bitop3:0x54
	v_and_b32_e32 v11, 15, v9
	s_delay_alu instid0(VALU_DEP_2) | instskip(NEXT) | instid1(VALU_DEP_3)
	v_mov_b32_dpp v17, v12 row_shr:1 row_mask:0xf bank_mask:0xf
	v_mov_b32_dpp v13, v8 row_shr:1 row_mask:0xf bank_mask:0xf
	s_delay_alu instid0(VALU_DEP_3)
	v_cmpx_ne_u32_e32 0, v11
	s_cbranch_execz .LBB1716_163
; %bb.162:
	v_and_b32_e32 v12, 1, v10
	v_and_b32_e32 v17, 1, v17
	s_delay_alu instid0(VALU_DEP_2) | instskip(NEXT) | instid1(VALU_DEP_1)
	v_cmp_eq_u32_e64 s9, 1, v12
	v_cndmask_b32_e64 v17, v17, 1, s9
	v_cmp_eq_u16_e64 s9, 0, v10
	s_delay_alu instid0(VALU_DEP_2) | instskip(NEXT) | instid1(VALU_DEP_1)
	v_and_b32_e32 v12, 0xffff, v17
	v_dual_cndmask_b32 v10, 0, v13, s9 :: v_dual_bitop2_b32 v12, v7, v12 bitop3:0x54
	s_delay_alu instid0(VALU_DEP_1)
	v_dual_add_nc_u32 v8, v10, v8 :: v_dual_mov_b32 v10, v17
.LBB1716_163:
	s_or_b32 exec_lo, exec_lo, s11
	s_delay_alu instid0(VALU_DEP_1) | instskip(NEXT) | instid1(VALU_DEP_3)
	v_mov_b32_dpp v13, v8 row_shr:2 row_mask:0xf bank_mask:0xf
	v_mov_b32_dpp v17, v12 row_shr:2 row_mask:0xf bank_mask:0xf
	s_mov_b32 s11, exec_lo
	v_cmpx_lt_u32_e32 1, v11
	s_cbranch_execz .LBB1716_165
; %bb.164:
	v_and_b32_e32 v12, 1, v10
	v_and_b32_e32 v17, 1, v17
	s_delay_alu instid0(VALU_DEP_2) | instskip(NEXT) | instid1(VALU_DEP_1)
	v_cmp_eq_u32_e64 s9, 1, v12
	v_cndmask_b32_e64 v17, v17, 1, s9
	v_cmp_eq_u16_e64 s9, 0, v10
	s_delay_alu instid0(VALU_DEP_2) | instskip(NEXT) | instid1(VALU_DEP_1)
	v_and_b32_e32 v12, 0xffff, v17
	v_dual_cndmask_b32 v10, 0, v13, s9 :: v_dual_bitop2_b32 v12, v7, v12 bitop3:0x54
	s_delay_alu instid0(VALU_DEP_1)
	v_dual_add_nc_u32 v8, v10, v8 :: v_dual_mov_b32 v10, v17
.LBB1716_165:
	s_or_b32 exec_lo, exec_lo, s11
	s_delay_alu instid0(VALU_DEP_1) | instskip(NEXT) | instid1(VALU_DEP_3)
	v_mov_b32_dpp v13, v8 row_shr:4 row_mask:0xf bank_mask:0xf
	v_mov_b32_dpp v17, v12 row_shr:4 row_mask:0xf bank_mask:0xf
	s_mov_b32 s11, exec_lo
	v_cmpx_lt_u32_e32 3, v11
	;; [unrolled: 20-line block ×3, first 2 shown]
	s_cbranch_execz .LBB1716_169
; %bb.168:
	v_and_b32_e32 v11, 1, v10
	v_and_b32_e32 v12, 1, v17
	s_delay_alu instid0(VALU_DEP_2) | instskip(NEXT) | instid1(VALU_DEP_1)
	v_cmp_eq_u32_e64 s9, 1, v11
	v_cndmask_b32_e64 v11, v12, 1, s9
	v_cmp_eq_u16_e64 s9, 0, v10
	s_delay_alu instid0(VALU_DEP_2) | instskip(NEXT) | instid1(VALU_DEP_1)
	v_and_b32_e32 v12, 0xffff, v11
	v_dual_cndmask_b32 v10, 0, v13, s9 :: v_dual_bitop2_b32 v12, v7, v12 bitop3:0x54
	s_delay_alu instid0(VALU_DEP_1)
	v_dual_add_nc_u32 v8, v10, v8 :: v_dual_mov_b32 v10, v11
.LBB1716_169:
	s_or_b32 exec_lo, exec_lo, s11
	ds_swizzle_b32 v11, v12 offset:swizzle(BROADCAST,32,15)
	ds_swizzle_b32 v12, v8 offset:swizzle(BROADCAST,32,15)
	v_and_b32_e32 v13, 1, v10
	v_bfe_i32 v19, v9, 4, 1
	v_and_b32_e32 v3, 0xff, v3
	; wave barrier
	s_delay_alu instid0(VALU_DEP_3) | instskip(SKIP_2) | instid1(VALU_DEP_1)
	v_cmp_eq_u32_e64 s9, 1, v13
	s_wait_dscnt 0x1
	v_dual_add_nc_u32 v13, -1, v9 :: v_dual_bitop2_b32 v11, 1, v11 bitop3:0x40
	v_cndmask_b32_e64 v11, v11, 1, s9
	v_and_b32_e32 v17, 16, v9
	v_cmp_eq_u16_e64 s9, 0, v10
	s_wait_dscnt 0x0
	s_delay_alu instid0(VALU_DEP_1) | instskip(NEXT) | instid1(VALU_DEP_3)
	v_cndmask_b32_e64 v12, 0, v12, s9
	v_cmp_eq_u32_e64 s9, 0, v17
	s_delay_alu instid0(VALU_DEP_1) | instskip(SKIP_1) | instid1(VALU_DEP_4)
	v_cndmask_b32_e64 v10, v11, v10, s9
	v_cmp_gt_i32_e64 s9, 0, v13
	v_and_b32_e32 v11, v19, v12
	s_delay_alu instid0(VALU_DEP_3) | instskip(NEXT) | instid1(VALU_DEP_2)
	v_and_b32_e32 v10, 0xffff, v10
	v_dual_cndmask_b32 v9, v13, v9, s9 :: v_dual_add_nc_u32 v8, v11, v8
	v_cmp_eq_u16_e64 s9, 0, v3
	s_delay_alu instid0(VALU_DEP_2)
	v_lshlrev_b32_e32 v9, 2, v9
	ds_bpermute_b32 v8, v9, v8
	s_wait_dscnt 0x0
	v_dual_cndmask_b32 v3, 0, v8, s9 :: v_dual_bitop2_b32 v7, v7, v10 bitop3:0x54
	ds_bpermute_b32 v7, v9, v7
	v_cmp_eq_u32_e64 s9, 1, v6
	s_wait_dscnt 0x0
	v_dual_add_nc_u32 v2, v3, v2 :: v_dual_bitop2_b32 v7, 1, v7 bitop3:0x40
	s_delay_alu instid0(VALU_DEP_1) | instskip(SKIP_1) | instid1(VALU_DEP_1)
	v_cndmask_b32_e64 v3, v7, 1, s9
	v_cmp_eq_u32_e64 s9, 0, v0
	v_dual_cndmask_b32 v4, v2, v4, s9 :: v_dual_cndmask_b32 v6, v3, v5, s9
	ds_store_b32 v1, v4
	ds_store_b8 v1, v6 offset:4
	; wave barrier
	ds_load_u8 v7, v1 offset:12
	ds_load_2addr_b32 v[2:3], v1 offset0:2 offset1:4
	ds_load_u8 v8, v1 offset:20
	ds_load_u8 v9, v1 offset:28
	;; [unrolled: 1-line block ×5, first 2 shown]
	ds_load_b32 v13, v1 offset:56
	ds_load_u8 v17, v1 offset:60
	s_wait_dscnt 0x8
	v_cmp_eq_u16_e64 s9, 0, v7
	s_delay_alu instid0(VALU_DEP_1) | instskip(SKIP_4) | instid1(VALU_DEP_1)
	v_cndmask_b32_e64 v19, 0, v4, s9
	ds_load_2addr_b32 v[4:5], v1 offset0:6 offset1:8
	s_wait_dscnt 0x7
	v_cmp_eq_u16_e64 s9, 0, v8
	v_add_nc_u32_e32 v19, v19, v2
	v_cndmask_b32_e64 v2, 0, v19, s9
	s_wait_dscnt 0x6
	v_cmp_eq_u16_e64 s9, 0, v9
	s_delay_alu instid0(VALU_DEP_2)
	v_add_nc_u32_e32 v21, v2, v3
	ds_load_2addr_b32 v[2:3], v1 offset0:10 offset1:12
	v_cndmask_b32_e64 v23, 0, v21, s9
	s_wait_dscnt 0x6
	v_cmp_eq_u16_e64 s9, 0, v10
	ds_store_2addr_b32 v1, v19, v21 offset0:2 offset1:4
	s_wait_dscnt 0x2
	v_dual_add_nc_u32 v4, v23, v4 :: v_dual_bitop2_b32 v7, 1, v7 bitop3:0x40
	s_delay_alu instid0(VALU_DEP_1) | instskip(SKIP_1) | instid1(VALU_DEP_3)
	v_cndmask_b32_e64 v23, 0, v4, s9
	v_and_b32_e32 v8, 1, v8
	v_cmp_eq_u32_e64 s9, 1, v7
	v_and_b32_e32 v7, 1, v9
	s_delay_alu instid0(VALU_DEP_4) | instskip(NEXT) | instid1(VALU_DEP_3)
	v_add_nc_u32_e32 v5, v23, v5
	v_cndmask_b32_e64 v6, v6, 1, s9
	v_cmp_eq_u32_e64 s9, 1, v8
	s_delay_alu instid0(VALU_DEP_1) | instskip(SKIP_1) | instid1(VALU_DEP_1)
	v_cndmask_b32_e64 v8, v6, 1, s9
	v_cmp_eq_u16_e64 s9, 0, v11
	v_dual_cndmask_b32 v10, 0, v5, s9 :: v_dual_bitop2_b32 v9, 1, v10 bitop3:0x40
	s_wait_dscnt 0x1
	s_delay_alu instid0(VALU_DEP_1) | instskip(SKIP_2) | instid1(VALU_DEP_2)
	v_add_nc_u32_e32 v2, v10, v2
	v_cmp_eq_u32_e64 s9, 1, v7
	v_and_b32_e32 v10, 1, v12
	v_cndmask_b32_e64 v7, v8, 1, s9
	v_cmp_eq_u32_e64 s9, 1, v9
	s_delay_alu instid0(VALU_DEP_1) | instskip(SKIP_1) | instid1(VALU_DEP_1)
	v_cndmask_b32_e64 v9, v7, 1, s9
	v_cmp_eq_u16_e64 s9, 0, v12
	v_dual_cndmask_b32 v12, 0, v2, s9 :: v_dual_bitop2_b32 v11, 1, v11 bitop3:0x40
	s_delay_alu instid0(VALU_DEP_1) | instskip(NEXT) | instid1(VALU_DEP_2)
	v_cmp_eq_u32_e64 s9, 1, v11
	v_add_nc_u32_e32 v3, v12, v3
	s_delay_alu instid0(VALU_DEP_2)
	v_cndmask_b32_e64 v11, v9, 1, s9
	v_cmp_eq_u32_e64 s9, 1, v10
	ds_store_2addr_b32 v1, v4, v5 offset0:6 offset1:8
	ds_store_2addr_b32 v1, v2, v3 offset0:10 offset1:12
	v_cndmask_b32_e64 v10, v11, 1, s9
	v_cmp_eq_u16_e64 s9, 0, v17
	s_delay_alu instid0(VALU_DEP_1) | instskip(NEXT) | instid1(VALU_DEP_1)
	v_dual_cndmask_b32 v12, 0, v3, s9 :: v_dual_bitop2_b32 v23, 1, v17 bitop3:0x40
	v_cmp_eq_u32_e64 s9, 1, v23
	s_delay_alu instid0(VALU_DEP_2) | instskip(NEXT) | instid1(VALU_DEP_2)
	v_add_nc_u32_e32 v2, v12, v13
	v_cndmask_b32_e64 v17, v10, 1, s9
	ds_store_b8 v1, v6 offset:12
	ds_store_b8 v1, v8 offset:20
	;; [unrolled: 1-line block ×6, first 2 shown]
	ds_store_b32 v1, v2 offset:56
	ds_store_b8 v1, v17 offset:60
.LBB1716_170:
	s_or_b32 exec_lo, exec_lo, s10
	v_cmp_eq_u32_e64 s9, 0, v0
	v_mov_b32_e32 v2, v41
	s_mov_b32 s11, exec_lo
	s_wait_dscnt 0x0
	s_barrier_signal -1
	s_barrier_wait -1
	v_cmpx_ne_u32_e32 0, v0
	s_cbranch_execz .LBB1716_172
; %bb.171:
	v_add_nc_u32_e32 v1, -1, v0
	s_delay_alu instid0(VALU_DEP_1) | instskip(NEXT) | instid1(VALU_DEP_1)
	v_lshrrev_b32_e32 v2, 2, v1
	v_and_b32_e32 v2, 0x3ffffff8, v2
	s_delay_alu instid0(VALU_DEP_1) | instskip(SKIP_4) | instid1(VALU_DEP_1)
	v_lshl_add_u32 v1, v1, 3, v2
	ds_load_u8 v2, v1 offset:4
	ds_load_b32 v1, v1
	s_wait_dscnt 0x1
	v_cmp_eq_u16_e64 s10, 0, v2
	v_cndmask_b32_e64 v2, 0, v41, s10
	s_wait_dscnt 0x0
	s_delay_alu instid0(VALU_DEP_1)
	v_add_nc_u32_e32 v2, v2, v1
.LBB1716_172:
	s_or_b32 exec_lo, exec_lo, s11
	v_and_b32_e32 v39, 0xff, v15
	v_mov_b32_e32 v38, 0
	s_delay_alu instid0(VALU_DEP_1) | instskip(NEXT) | instid1(VALU_DEP_1)
	v_cmp_eq_u64_e64 s10, 0, v[38:39]
	v_cndmask_b32_e64 v1, 0, v2, s10
	s_delay_alu instid0(VALU_DEP_1) | instskip(NEXT) | instid1(VALU_DEP_1)
	v_add_nc_u32_e32 v3, v1, v14
	v_cndmask_b32_e32 v1, 0, v3, vcc_lo
	s_delay_alu instid0(VALU_DEP_1) | instskip(NEXT) | instid1(VALU_DEP_1)
	v_add_nc_u32_e32 v4, v1, v36
	v_cndmask_b32_e64 v1, 0, v4, s0
	s_delay_alu instid0(VALU_DEP_1) | instskip(NEXT) | instid1(VALU_DEP_1)
	v_add_nc_u32_e32 v5, v1, v34
	v_cndmask_b32_e64 v1, 0, v5, s1
	;; [unrolled: 3-line block ×9, first 2 shown]
	s_delay_alu instid0(VALU_DEP_1)
	v_add_nc_u32_e32 v13, v1, v18
	s_and_saveexec_b32 s0, s9
	s_cbranch_execz .LBB1716_174
; %bb.173:
	ds_load_u8 v1, v38 offset:2100
	ds_load_b32 v17, v38 offset:2096
	v_mov_b32_e32 v15, v38
	s_add_nc_u64 s[2:3], s[16:17], 0x200
	v_dual_mov_b32 v20, 2 :: v_dual_mov_b32 v21, v38
	s_wait_dscnt 0x1
	v_and_b32_e32 v14, 0xffff, v1
	s_delay_alu instid0(VALU_DEP_1) | instskip(SKIP_3) | instid1(VALU_DEP_2)
	v_cmp_eq_u64_e32 vcc_lo, 0, v[14:15]
	v_dual_cndmask_b32 v1, 0, v41, vcc_lo :: v_dual_mov_b32 v19, v14
	v_mov_b64_e32 v[14:15], s[2:3]
	s_wait_dscnt 0x0
	v_add_nc_u32_e32 v18, v1, v17
	;;#ASMSTART
	global_store_b128 v[14:15], v[18:21] off scope:SCOPE_DEV	
s_wait_storecnt 0x0
	;;#ASMEND
.LBB1716_174:
	s_or_b32 exec_lo, exec_lo, s0
	s_add_nc_u64 s[0:1], s[14:15], s[26:27]
	s_and_b32 vcc_lo, exec_lo, s19
	s_add_nc_u64 s[0:1], s[0:1], s[20:21]
	s_cbranch_vccnz .LBB1716_114
.LBB1716_175:
	s_mov_b32 s2, 0
                                        ; implicit-def: $vgpr15
	s_cbranch_execz .LBB1716_177
; %bb.176:
	v_mul_u32_u24_e32 v1, 48, v0
	v_mul_i32_i24_e32 v14, 0xffffffd4, v0
	s_wait_storecnt_dscnt 0x0
	s_barrier_signal -1
	s_barrier_wait -1
	ds_store_b128 v1, v[2:5]
	ds_store_b128 v1, v[6:9] offset:16
	ds_store_b128 v1, v[10:13] offset:32
	v_mad_u32_u24 v1, v0, 48, v14
	s_wait_dscnt 0x0
	s_barrier_signal -1
	s_barrier_wait -1
	ds_load_2addr_stride64_b32 v[2:3], v1 offset1:4
	ds_load_2addr_stride64_b32 v[4:5], v1 offset0:8 offset1:12
	ds_load_2addr_stride64_b32 v[6:7], v1 offset0:16 offset1:20
	;; [unrolled: 1-line block ×5, first 2 shown]
	s_or_b32 s2, s2, exec_lo
	s_wait_dscnt 0x5
	v_cvt_f32_i32_e32 v1, v2
	v_cvt_f32_i32_e32 v2, v3
	s_wait_dscnt 0x4
	v_cvt_f32_i32_e32 v3, v4
	v_cvt_f32_i32_e32 v4, v5
	;; [unrolled: 3-line block ×5, first 2 shown]
	s_wait_dscnt 0x0
	v_cvt_f32_i32_e32 v11, v14
	s_clause 0xa
	flat_store_b32 v0, v1, s[0:1] scale_offset
	flat_store_b32 v0, v2, s[0:1] offset:1024 scale_offset
	flat_store_b32 v0, v3, s[0:1] offset:2048 scale_offset
	;; [unrolled: 1-line block ×10, first 2 shown]
.LBB1716_177:
	s_wait_xcnt 0x0
	s_delay_alu instid0(VALU_DEP_1)
	s_and_saveexec_b32 s3, s2
	s_cbranch_execz .LBB1716_179
; %bb.178:
	s_wait_dscnt 0x0
	v_cvt_f32_i32_e32 v1, v15
	flat_store_b32 v0, v1, s[0:1] offset:11264 scale_offset
	s_endpgm
.LBB1716_179:
	s_endpgm
	.section	.rodata,"a",@progbits
	.p2align	6, 0x0
	.amdhsa_kernel _ZN7rocprim17ROCPRIM_400000_NS6detail17trampoline_kernelINS0_14default_configENS1_27scan_by_key_config_selectorIiiEEZZNS1_16scan_by_key_implILNS1_25lookback_scan_determinismE0ELb1ES3_N6thrust23THRUST_200600_302600_NS6detail15normal_iteratorINS9_10device_ptrIiEEEENSB_INSC_IjEEEENSB_INSC_IfEEEEiNS9_4plusIvEENS9_8equal_toIvEEiEE10hipError_tPvRmT2_T3_T4_T5_mT6_T7_P12ihipStream_tbENKUlT_T0_E_clISt17integral_constantIbLb0EES13_EEDaSY_SZ_EUlSY_E_NS1_11comp_targetILNS1_3genE0ELNS1_11target_archE4294967295ELNS1_3gpuE0ELNS1_3repE0EEENS1_30default_config_static_selectorELNS0_4arch9wavefront6targetE0EEEvT1_
		.amdhsa_group_segment_fixed_size 14336
		.amdhsa_private_segment_fixed_size 0
		.amdhsa_kernarg_size 112
		.amdhsa_user_sgpr_count 2
		.amdhsa_user_sgpr_dispatch_ptr 0
		.amdhsa_user_sgpr_queue_ptr 0
		.amdhsa_user_sgpr_kernarg_segment_ptr 1
		.amdhsa_user_sgpr_dispatch_id 0
		.amdhsa_user_sgpr_kernarg_preload_length 0
		.amdhsa_user_sgpr_kernarg_preload_offset 0
		.amdhsa_user_sgpr_private_segment_size 0
		.amdhsa_wavefront_size32 1
		.amdhsa_uses_dynamic_stack 0
		.amdhsa_enable_private_segment 0
		.amdhsa_system_sgpr_workgroup_id_x 1
		.amdhsa_system_sgpr_workgroup_id_y 0
		.amdhsa_system_sgpr_workgroup_id_z 0
		.amdhsa_system_sgpr_workgroup_info 0
		.amdhsa_system_vgpr_workitem_id 0
		.amdhsa_next_free_vgpr 62
		.amdhsa_next_free_sgpr 37
		.amdhsa_named_barrier_count 0
		.amdhsa_reserve_vcc 1
		.amdhsa_float_round_mode_32 0
		.amdhsa_float_round_mode_16_64 0
		.amdhsa_float_denorm_mode_32 3
		.amdhsa_float_denorm_mode_16_64 3
		.amdhsa_fp16_overflow 0
		.amdhsa_memory_ordered 1
		.amdhsa_forward_progress 1
		.amdhsa_inst_pref_size 95
		.amdhsa_round_robin_scheduling 0
		.amdhsa_exception_fp_ieee_invalid_op 0
		.amdhsa_exception_fp_denorm_src 0
		.amdhsa_exception_fp_ieee_div_zero 0
		.amdhsa_exception_fp_ieee_overflow 0
		.amdhsa_exception_fp_ieee_underflow 0
		.amdhsa_exception_fp_ieee_inexact 0
		.amdhsa_exception_int_div_zero 0
	.end_amdhsa_kernel
	.section	.text._ZN7rocprim17ROCPRIM_400000_NS6detail17trampoline_kernelINS0_14default_configENS1_27scan_by_key_config_selectorIiiEEZZNS1_16scan_by_key_implILNS1_25lookback_scan_determinismE0ELb1ES3_N6thrust23THRUST_200600_302600_NS6detail15normal_iteratorINS9_10device_ptrIiEEEENSB_INSC_IjEEEENSB_INSC_IfEEEEiNS9_4plusIvEENS9_8equal_toIvEEiEE10hipError_tPvRmT2_T3_T4_T5_mT6_T7_P12ihipStream_tbENKUlT_T0_E_clISt17integral_constantIbLb0EES13_EEDaSY_SZ_EUlSY_E_NS1_11comp_targetILNS1_3genE0ELNS1_11target_archE4294967295ELNS1_3gpuE0ELNS1_3repE0EEENS1_30default_config_static_selectorELNS0_4arch9wavefront6targetE0EEEvT1_,"axG",@progbits,_ZN7rocprim17ROCPRIM_400000_NS6detail17trampoline_kernelINS0_14default_configENS1_27scan_by_key_config_selectorIiiEEZZNS1_16scan_by_key_implILNS1_25lookback_scan_determinismE0ELb1ES3_N6thrust23THRUST_200600_302600_NS6detail15normal_iteratorINS9_10device_ptrIiEEEENSB_INSC_IjEEEENSB_INSC_IfEEEEiNS9_4plusIvEENS9_8equal_toIvEEiEE10hipError_tPvRmT2_T3_T4_T5_mT6_T7_P12ihipStream_tbENKUlT_T0_E_clISt17integral_constantIbLb0EES13_EEDaSY_SZ_EUlSY_E_NS1_11comp_targetILNS1_3genE0ELNS1_11target_archE4294967295ELNS1_3gpuE0ELNS1_3repE0EEENS1_30default_config_static_selectorELNS0_4arch9wavefront6targetE0EEEvT1_,comdat
.Lfunc_end1716:
	.size	_ZN7rocprim17ROCPRIM_400000_NS6detail17trampoline_kernelINS0_14default_configENS1_27scan_by_key_config_selectorIiiEEZZNS1_16scan_by_key_implILNS1_25lookback_scan_determinismE0ELb1ES3_N6thrust23THRUST_200600_302600_NS6detail15normal_iteratorINS9_10device_ptrIiEEEENSB_INSC_IjEEEENSB_INSC_IfEEEEiNS9_4plusIvEENS9_8equal_toIvEEiEE10hipError_tPvRmT2_T3_T4_T5_mT6_T7_P12ihipStream_tbENKUlT_T0_E_clISt17integral_constantIbLb0EES13_EEDaSY_SZ_EUlSY_E_NS1_11comp_targetILNS1_3genE0ELNS1_11target_archE4294967295ELNS1_3gpuE0ELNS1_3repE0EEENS1_30default_config_static_selectorELNS0_4arch9wavefront6targetE0EEEvT1_, .Lfunc_end1716-_ZN7rocprim17ROCPRIM_400000_NS6detail17trampoline_kernelINS0_14default_configENS1_27scan_by_key_config_selectorIiiEEZZNS1_16scan_by_key_implILNS1_25lookback_scan_determinismE0ELb1ES3_N6thrust23THRUST_200600_302600_NS6detail15normal_iteratorINS9_10device_ptrIiEEEENSB_INSC_IjEEEENSB_INSC_IfEEEEiNS9_4plusIvEENS9_8equal_toIvEEiEE10hipError_tPvRmT2_T3_T4_T5_mT6_T7_P12ihipStream_tbENKUlT_T0_E_clISt17integral_constantIbLb0EES13_EEDaSY_SZ_EUlSY_E_NS1_11comp_targetILNS1_3genE0ELNS1_11target_archE4294967295ELNS1_3gpuE0ELNS1_3repE0EEENS1_30default_config_static_selectorELNS0_4arch9wavefront6targetE0EEEvT1_
                                        ; -- End function
	.set _ZN7rocprim17ROCPRIM_400000_NS6detail17trampoline_kernelINS0_14default_configENS1_27scan_by_key_config_selectorIiiEEZZNS1_16scan_by_key_implILNS1_25lookback_scan_determinismE0ELb1ES3_N6thrust23THRUST_200600_302600_NS6detail15normal_iteratorINS9_10device_ptrIiEEEENSB_INSC_IjEEEENSB_INSC_IfEEEEiNS9_4plusIvEENS9_8equal_toIvEEiEE10hipError_tPvRmT2_T3_T4_T5_mT6_T7_P12ihipStream_tbENKUlT_T0_E_clISt17integral_constantIbLb0EES13_EEDaSY_SZ_EUlSY_E_NS1_11comp_targetILNS1_3genE0ELNS1_11target_archE4294967295ELNS1_3gpuE0ELNS1_3repE0EEENS1_30default_config_static_selectorELNS0_4arch9wavefront6targetE0EEEvT1_.num_vgpr, 62
	.set _ZN7rocprim17ROCPRIM_400000_NS6detail17trampoline_kernelINS0_14default_configENS1_27scan_by_key_config_selectorIiiEEZZNS1_16scan_by_key_implILNS1_25lookback_scan_determinismE0ELb1ES3_N6thrust23THRUST_200600_302600_NS6detail15normal_iteratorINS9_10device_ptrIiEEEENSB_INSC_IjEEEENSB_INSC_IfEEEEiNS9_4plusIvEENS9_8equal_toIvEEiEE10hipError_tPvRmT2_T3_T4_T5_mT6_T7_P12ihipStream_tbENKUlT_T0_E_clISt17integral_constantIbLb0EES13_EEDaSY_SZ_EUlSY_E_NS1_11comp_targetILNS1_3genE0ELNS1_11target_archE4294967295ELNS1_3gpuE0ELNS1_3repE0EEENS1_30default_config_static_selectorELNS0_4arch9wavefront6targetE0EEEvT1_.num_agpr, 0
	.set _ZN7rocprim17ROCPRIM_400000_NS6detail17trampoline_kernelINS0_14default_configENS1_27scan_by_key_config_selectorIiiEEZZNS1_16scan_by_key_implILNS1_25lookback_scan_determinismE0ELb1ES3_N6thrust23THRUST_200600_302600_NS6detail15normal_iteratorINS9_10device_ptrIiEEEENSB_INSC_IjEEEENSB_INSC_IfEEEEiNS9_4plusIvEENS9_8equal_toIvEEiEE10hipError_tPvRmT2_T3_T4_T5_mT6_T7_P12ihipStream_tbENKUlT_T0_E_clISt17integral_constantIbLb0EES13_EEDaSY_SZ_EUlSY_E_NS1_11comp_targetILNS1_3genE0ELNS1_11target_archE4294967295ELNS1_3gpuE0ELNS1_3repE0EEENS1_30default_config_static_selectorELNS0_4arch9wavefront6targetE0EEEvT1_.numbered_sgpr, 37
	.set _ZN7rocprim17ROCPRIM_400000_NS6detail17trampoline_kernelINS0_14default_configENS1_27scan_by_key_config_selectorIiiEEZZNS1_16scan_by_key_implILNS1_25lookback_scan_determinismE0ELb1ES3_N6thrust23THRUST_200600_302600_NS6detail15normal_iteratorINS9_10device_ptrIiEEEENSB_INSC_IjEEEENSB_INSC_IfEEEEiNS9_4plusIvEENS9_8equal_toIvEEiEE10hipError_tPvRmT2_T3_T4_T5_mT6_T7_P12ihipStream_tbENKUlT_T0_E_clISt17integral_constantIbLb0EES13_EEDaSY_SZ_EUlSY_E_NS1_11comp_targetILNS1_3genE0ELNS1_11target_archE4294967295ELNS1_3gpuE0ELNS1_3repE0EEENS1_30default_config_static_selectorELNS0_4arch9wavefront6targetE0EEEvT1_.num_named_barrier, 0
	.set _ZN7rocprim17ROCPRIM_400000_NS6detail17trampoline_kernelINS0_14default_configENS1_27scan_by_key_config_selectorIiiEEZZNS1_16scan_by_key_implILNS1_25lookback_scan_determinismE0ELb1ES3_N6thrust23THRUST_200600_302600_NS6detail15normal_iteratorINS9_10device_ptrIiEEEENSB_INSC_IjEEEENSB_INSC_IfEEEEiNS9_4plusIvEENS9_8equal_toIvEEiEE10hipError_tPvRmT2_T3_T4_T5_mT6_T7_P12ihipStream_tbENKUlT_T0_E_clISt17integral_constantIbLb0EES13_EEDaSY_SZ_EUlSY_E_NS1_11comp_targetILNS1_3genE0ELNS1_11target_archE4294967295ELNS1_3gpuE0ELNS1_3repE0EEENS1_30default_config_static_selectorELNS0_4arch9wavefront6targetE0EEEvT1_.private_seg_size, 0
	.set _ZN7rocprim17ROCPRIM_400000_NS6detail17trampoline_kernelINS0_14default_configENS1_27scan_by_key_config_selectorIiiEEZZNS1_16scan_by_key_implILNS1_25lookback_scan_determinismE0ELb1ES3_N6thrust23THRUST_200600_302600_NS6detail15normal_iteratorINS9_10device_ptrIiEEEENSB_INSC_IjEEEENSB_INSC_IfEEEEiNS9_4plusIvEENS9_8equal_toIvEEiEE10hipError_tPvRmT2_T3_T4_T5_mT6_T7_P12ihipStream_tbENKUlT_T0_E_clISt17integral_constantIbLb0EES13_EEDaSY_SZ_EUlSY_E_NS1_11comp_targetILNS1_3genE0ELNS1_11target_archE4294967295ELNS1_3gpuE0ELNS1_3repE0EEENS1_30default_config_static_selectorELNS0_4arch9wavefront6targetE0EEEvT1_.uses_vcc, 1
	.set _ZN7rocprim17ROCPRIM_400000_NS6detail17trampoline_kernelINS0_14default_configENS1_27scan_by_key_config_selectorIiiEEZZNS1_16scan_by_key_implILNS1_25lookback_scan_determinismE0ELb1ES3_N6thrust23THRUST_200600_302600_NS6detail15normal_iteratorINS9_10device_ptrIiEEEENSB_INSC_IjEEEENSB_INSC_IfEEEEiNS9_4plusIvEENS9_8equal_toIvEEiEE10hipError_tPvRmT2_T3_T4_T5_mT6_T7_P12ihipStream_tbENKUlT_T0_E_clISt17integral_constantIbLb0EES13_EEDaSY_SZ_EUlSY_E_NS1_11comp_targetILNS1_3genE0ELNS1_11target_archE4294967295ELNS1_3gpuE0ELNS1_3repE0EEENS1_30default_config_static_selectorELNS0_4arch9wavefront6targetE0EEEvT1_.uses_flat_scratch, 1
	.set _ZN7rocprim17ROCPRIM_400000_NS6detail17trampoline_kernelINS0_14default_configENS1_27scan_by_key_config_selectorIiiEEZZNS1_16scan_by_key_implILNS1_25lookback_scan_determinismE0ELb1ES3_N6thrust23THRUST_200600_302600_NS6detail15normal_iteratorINS9_10device_ptrIiEEEENSB_INSC_IjEEEENSB_INSC_IfEEEEiNS9_4plusIvEENS9_8equal_toIvEEiEE10hipError_tPvRmT2_T3_T4_T5_mT6_T7_P12ihipStream_tbENKUlT_T0_E_clISt17integral_constantIbLb0EES13_EEDaSY_SZ_EUlSY_E_NS1_11comp_targetILNS1_3genE0ELNS1_11target_archE4294967295ELNS1_3gpuE0ELNS1_3repE0EEENS1_30default_config_static_selectorELNS0_4arch9wavefront6targetE0EEEvT1_.has_dyn_sized_stack, 0
	.set _ZN7rocprim17ROCPRIM_400000_NS6detail17trampoline_kernelINS0_14default_configENS1_27scan_by_key_config_selectorIiiEEZZNS1_16scan_by_key_implILNS1_25lookback_scan_determinismE0ELb1ES3_N6thrust23THRUST_200600_302600_NS6detail15normal_iteratorINS9_10device_ptrIiEEEENSB_INSC_IjEEEENSB_INSC_IfEEEEiNS9_4plusIvEENS9_8equal_toIvEEiEE10hipError_tPvRmT2_T3_T4_T5_mT6_T7_P12ihipStream_tbENKUlT_T0_E_clISt17integral_constantIbLb0EES13_EEDaSY_SZ_EUlSY_E_NS1_11comp_targetILNS1_3genE0ELNS1_11target_archE4294967295ELNS1_3gpuE0ELNS1_3repE0EEENS1_30default_config_static_selectorELNS0_4arch9wavefront6targetE0EEEvT1_.has_recursion, 0
	.set _ZN7rocprim17ROCPRIM_400000_NS6detail17trampoline_kernelINS0_14default_configENS1_27scan_by_key_config_selectorIiiEEZZNS1_16scan_by_key_implILNS1_25lookback_scan_determinismE0ELb1ES3_N6thrust23THRUST_200600_302600_NS6detail15normal_iteratorINS9_10device_ptrIiEEEENSB_INSC_IjEEEENSB_INSC_IfEEEEiNS9_4plusIvEENS9_8equal_toIvEEiEE10hipError_tPvRmT2_T3_T4_T5_mT6_T7_P12ihipStream_tbENKUlT_T0_E_clISt17integral_constantIbLb0EES13_EEDaSY_SZ_EUlSY_E_NS1_11comp_targetILNS1_3genE0ELNS1_11target_archE4294967295ELNS1_3gpuE0ELNS1_3repE0EEENS1_30default_config_static_selectorELNS0_4arch9wavefront6targetE0EEEvT1_.has_indirect_call, 0
	.section	.AMDGPU.csdata,"",@progbits
; Kernel info:
; codeLenInByte = 12112
; TotalNumSgprs: 39
; NumVgprs: 62
; ScratchSize: 0
; MemoryBound: 0
; FloatMode: 240
; IeeeMode: 1
; LDSByteSize: 14336 bytes/workgroup (compile time only)
; SGPRBlocks: 0
; VGPRBlocks: 3
; NumSGPRsForWavesPerEU: 39
; NumVGPRsForWavesPerEU: 62
; NamedBarCnt: 0
; Occupancy: 16
; WaveLimiterHint : 1
; COMPUTE_PGM_RSRC2:SCRATCH_EN: 0
; COMPUTE_PGM_RSRC2:USER_SGPR: 2
; COMPUTE_PGM_RSRC2:TRAP_HANDLER: 0
; COMPUTE_PGM_RSRC2:TGID_X_EN: 1
; COMPUTE_PGM_RSRC2:TGID_Y_EN: 0
; COMPUTE_PGM_RSRC2:TGID_Z_EN: 0
; COMPUTE_PGM_RSRC2:TIDIG_COMP_CNT: 0
	.section	.text._ZN7rocprim17ROCPRIM_400000_NS6detail17trampoline_kernelINS0_14default_configENS1_27scan_by_key_config_selectorIiiEEZZNS1_16scan_by_key_implILNS1_25lookback_scan_determinismE0ELb1ES3_N6thrust23THRUST_200600_302600_NS6detail15normal_iteratorINS9_10device_ptrIiEEEENSB_INSC_IjEEEENSB_INSC_IfEEEEiNS9_4plusIvEENS9_8equal_toIvEEiEE10hipError_tPvRmT2_T3_T4_T5_mT6_T7_P12ihipStream_tbENKUlT_T0_E_clISt17integral_constantIbLb0EES13_EEDaSY_SZ_EUlSY_E_NS1_11comp_targetILNS1_3genE10ELNS1_11target_archE1201ELNS1_3gpuE5ELNS1_3repE0EEENS1_30default_config_static_selectorELNS0_4arch9wavefront6targetE0EEEvT1_,"axG",@progbits,_ZN7rocprim17ROCPRIM_400000_NS6detail17trampoline_kernelINS0_14default_configENS1_27scan_by_key_config_selectorIiiEEZZNS1_16scan_by_key_implILNS1_25lookback_scan_determinismE0ELb1ES3_N6thrust23THRUST_200600_302600_NS6detail15normal_iteratorINS9_10device_ptrIiEEEENSB_INSC_IjEEEENSB_INSC_IfEEEEiNS9_4plusIvEENS9_8equal_toIvEEiEE10hipError_tPvRmT2_T3_T4_T5_mT6_T7_P12ihipStream_tbENKUlT_T0_E_clISt17integral_constantIbLb0EES13_EEDaSY_SZ_EUlSY_E_NS1_11comp_targetILNS1_3genE10ELNS1_11target_archE1201ELNS1_3gpuE5ELNS1_3repE0EEENS1_30default_config_static_selectorELNS0_4arch9wavefront6targetE0EEEvT1_,comdat
	.protected	_ZN7rocprim17ROCPRIM_400000_NS6detail17trampoline_kernelINS0_14default_configENS1_27scan_by_key_config_selectorIiiEEZZNS1_16scan_by_key_implILNS1_25lookback_scan_determinismE0ELb1ES3_N6thrust23THRUST_200600_302600_NS6detail15normal_iteratorINS9_10device_ptrIiEEEENSB_INSC_IjEEEENSB_INSC_IfEEEEiNS9_4plusIvEENS9_8equal_toIvEEiEE10hipError_tPvRmT2_T3_T4_T5_mT6_T7_P12ihipStream_tbENKUlT_T0_E_clISt17integral_constantIbLb0EES13_EEDaSY_SZ_EUlSY_E_NS1_11comp_targetILNS1_3genE10ELNS1_11target_archE1201ELNS1_3gpuE5ELNS1_3repE0EEENS1_30default_config_static_selectorELNS0_4arch9wavefront6targetE0EEEvT1_ ; -- Begin function _ZN7rocprim17ROCPRIM_400000_NS6detail17trampoline_kernelINS0_14default_configENS1_27scan_by_key_config_selectorIiiEEZZNS1_16scan_by_key_implILNS1_25lookback_scan_determinismE0ELb1ES3_N6thrust23THRUST_200600_302600_NS6detail15normal_iteratorINS9_10device_ptrIiEEEENSB_INSC_IjEEEENSB_INSC_IfEEEEiNS9_4plusIvEENS9_8equal_toIvEEiEE10hipError_tPvRmT2_T3_T4_T5_mT6_T7_P12ihipStream_tbENKUlT_T0_E_clISt17integral_constantIbLb0EES13_EEDaSY_SZ_EUlSY_E_NS1_11comp_targetILNS1_3genE10ELNS1_11target_archE1201ELNS1_3gpuE5ELNS1_3repE0EEENS1_30default_config_static_selectorELNS0_4arch9wavefront6targetE0EEEvT1_
	.globl	_ZN7rocprim17ROCPRIM_400000_NS6detail17trampoline_kernelINS0_14default_configENS1_27scan_by_key_config_selectorIiiEEZZNS1_16scan_by_key_implILNS1_25lookback_scan_determinismE0ELb1ES3_N6thrust23THRUST_200600_302600_NS6detail15normal_iteratorINS9_10device_ptrIiEEEENSB_INSC_IjEEEENSB_INSC_IfEEEEiNS9_4plusIvEENS9_8equal_toIvEEiEE10hipError_tPvRmT2_T3_T4_T5_mT6_T7_P12ihipStream_tbENKUlT_T0_E_clISt17integral_constantIbLb0EES13_EEDaSY_SZ_EUlSY_E_NS1_11comp_targetILNS1_3genE10ELNS1_11target_archE1201ELNS1_3gpuE5ELNS1_3repE0EEENS1_30default_config_static_selectorELNS0_4arch9wavefront6targetE0EEEvT1_
	.p2align	8
	.type	_ZN7rocprim17ROCPRIM_400000_NS6detail17trampoline_kernelINS0_14default_configENS1_27scan_by_key_config_selectorIiiEEZZNS1_16scan_by_key_implILNS1_25lookback_scan_determinismE0ELb1ES3_N6thrust23THRUST_200600_302600_NS6detail15normal_iteratorINS9_10device_ptrIiEEEENSB_INSC_IjEEEENSB_INSC_IfEEEEiNS9_4plusIvEENS9_8equal_toIvEEiEE10hipError_tPvRmT2_T3_T4_T5_mT6_T7_P12ihipStream_tbENKUlT_T0_E_clISt17integral_constantIbLb0EES13_EEDaSY_SZ_EUlSY_E_NS1_11comp_targetILNS1_3genE10ELNS1_11target_archE1201ELNS1_3gpuE5ELNS1_3repE0EEENS1_30default_config_static_selectorELNS0_4arch9wavefront6targetE0EEEvT1_,@function
_ZN7rocprim17ROCPRIM_400000_NS6detail17trampoline_kernelINS0_14default_configENS1_27scan_by_key_config_selectorIiiEEZZNS1_16scan_by_key_implILNS1_25lookback_scan_determinismE0ELb1ES3_N6thrust23THRUST_200600_302600_NS6detail15normal_iteratorINS9_10device_ptrIiEEEENSB_INSC_IjEEEENSB_INSC_IfEEEEiNS9_4plusIvEENS9_8equal_toIvEEiEE10hipError_tPvRmT2_T3_T4_T5_mT6_T7_P12ihipStream_tbENKUlT_T0_E_clISt17integral_constantIbLb0EES13_EEDaSY_SZ_EUlSY_E_NS1_11comp_targetILNS1_3genE10ELNS1_11target_archE1201ELNS1_3gpuE5ELNS1_3repE0EEENS1_30default_config_static_selectorELNS0_4arch9wavefront6targetE0EEEvT1_: ; @_ZN7rocprim17ROCPRIM_400000_NS6detail17trampoline_kernelINS0_14default_configENS1_27scan_by_key_config_selectorIiiEEZZNS1_16scan_by_key_implILNS1_25lookback_scan_determinismE0ELb1ES3_N6thrust23THRUST_200600_302600_NS6detail15normal_iteratorINS9_10device_ptrIiEEEENSB_INSC_IjEEEENSB_INSC_IfEEEEiNS9_4plusIvEENS9_8equal_toIvEEiEE10hipError_tPvRmT2_T3_T4_T5_mT6_T7_P12ihipStream_tbENKUlT_T0_E_clISt17integral_constantIbLb0EES13_EEDaSY_SZ_EUlSY_E_NS1_11comp_targetILNS1_3genE10ELNS1_11target_archE1201ELNS1_3gpuE5ELNS1_3repE0EEENS1_30default_config_static_selectorELNS0_4arch9wavefront6targetE0EEEvT1_
; %bb.0:
	.section	.rodata,"a",@progbits
	.p2align	6, 0x0
	.amdhsa_kernel _ZN7rocprim17ROCPRIM_400000_NS6detail17trampoline_kernelINS0_14default_configENS1_27scan_by_key_config_selectorIiiEEZZNS1_16scan_by_key_implILNS1_25lookback_scan_determinismE0ELb1ES3_N6thrust23THRUST_200600_302600_NS6detail15normal_iteratorINS9_10device_ptrIiEEEENSB_INSC_IjEEEENSB_INSC_IfEEEEiNS9_4plusIvEENS9_8equal_toIvEEiEE10hipError_tPvRmT2_T3_T4_T5_mT6_T7_P12ihipStream_tbENKUlT_T0_E_clISt17integral_constantIbLb0EES13_EEDaSY_SZ_EUlSY_E_NS1_11comp_targetILNS1_3genE10ELNS1_11target_archE1201ELNS1_3gpuE5ELNS1_3repE0EEENS1_30default_config_static_selectorELNS0_4arch9wavefront6targetE0EEEvT1_
		.amdhsa_group_segment_fixed_size 0
		.amdhsa_private_segment_fixed_size 0
		.amdhsa_kernarg_size 112
		.amdhsa_user_sgpr_count 2
		.amdhsa_user_sgpr_dispatch_ptr 0
		.amdhsa_user_sgpr_queue_ptr 0
		.amdhsa_user_sgpr_kernarg_segment_ptr 1
		.amdhsa_user_sgpr_dispatch_id 0
		.amdhsa_user_sgpr_kernarg_preload_length 0
		.amdhsa_user_sgpr_kernarg_preload_offset 0
		.amdhsa_user_sgpr_private_segment_size 0
		.amdhsa_wavefront_size32 1
		.amdhsa_uses_dynamic_stack 0
		.amdhsa_enable_private_segment 0
		.amdhsa_system_sgpr_workgroup_id_x 1
		.amdhsa_system_sgpr_workgroup_id_y 0
		.amdhsa_system_sgpr_workgroup_id_z 0
		.amdhsa_system_sgpr_workgroup_info 0
		.amdhsa_system_vgpr_workitem_id 0
		.amdhsa_next_free_vgpr 1
		.amdhsa_next_free_sgpr 1
		.amdhsa_named_barrier_count 0
		.amdhsa_reserve_vcc 0
		.amdhsa_float_round_mode_32 0
		.amdhsa_float_round_mode_16_64 0
		.amdhsa_float_denorm_mode_32 3
		.amdhsa_float_denorm_mode_16_64 3
		.amdhsa_fp16_overflow 0
		.amdhsa_memory_ordered 1
		.amdhsa_forward_progress 1
		.amdhsa_inst_pref_size 0
		.amdhsa_round_robin_scheduling 0
		.amdhsa_exception_fp_ieee_invalid_op 0
		.amdhsa_exception_fp_denorm_src 0
		.amdhsa_exception_fp_ieee_div_zero 0
		.amdhsa_exception_fp_ieee_overflow 0
		.amdhsa_exception_fp_ieee_underflow 0
		.amdhsa_exception_fp_ieee_inexact 0
		.amdhsa_exception_int_div_zero 0
	.end_amdhsa_kernel
	.section	.text._ZN7rocprim17ROCPRIM_400000_NS6detail17trampoline_kernelINS0_14default_configENS1_27scan_by_key_config_selectorIiiEEZZNS1_16scan_by_key_implILNS1_25lookback_scan_determinismE0ELb1ES3_N6thrust23THRUST_200600_302600_NS6detail15normal_iteratorINS9_10device_ptrIiEEEENSB_INSC_IjEEEENSB_INSC_IfEEEEiNS9_4plusIvEENS9_8equal_toIvEEiEE10hipError_tPvRmT2_T3_T4_T5_mT6_T7_P12ihipStream_tbENKUlT_T0_E_clISt17integral_constantIbLb0EES13_EEDaSY_SZ_EUlSY_E_NS1_11comp_targetILNS1_3genE10ELNS1_11target_archE1201ELNS1_3gpuE5ELNS1_3repE0EEENS1_30default_config_static_selectorELNS0_4arch9wavefront6targetE0EEEvT1_,"axG",@progbits,_ZN7rocprim17ROCPRIM_400000_NS6detail17trampoline_kernelINS0_14default_configENS1_27scan_by_key_config_selectorIiiEEZZNS1_16scan_by_key_implILNS1_25lookback_scan_determinismE0ELb1ES3_N6thrust23THRUST_200600_302600_NS6detail15normal_iteratorINS9_10device_ptrIiEEEENSB_INSC_IjEEEENSB_INSC_IfEEEEiNS9_4plusIvEENS9_8equal_toIvEEiEE10hipError_tPvRmT2_T3_T4_T5_mT6_T7_P12ihipStream_tbENKUlT_T0_E_clISt17integral_constantIbLb0EES13_EEDaSY_SZ_EUlSY_E_NS1_11comp_targetILNS1_3genE10ELNS1_11target_archE1201ELNS1_3gpuE5ELNS1_3repE0EEENS1_30default_config_static_selectorELNS0_4arch9wavefront6targetE0EEEvT1_,comdat
.Lfunc_end1717:
	.size	_ZN7rocprim17ROCPRIM_400000_NS6detail17trampoline_kernelINS0_14default_configENS1_27scan_by_key_config_selectorIiiEEZZNS1_16scan_by_key_implILNS1_25lookback_scan_determinismE0ELb1ES3_N6thrust23THRUST_200600_302600_NS6detail15normal_iteratorINS9_10device_ptrIiEEEENSB_INSC_IjEEEENSB_INSC_IfEEEEiNS9_4plusIvEENS9_8equal_toIvEEiEE10hipError_tPvRmT2_T3_T4_T5_mT6_T7_P12ihipStream_tbENKUlT_T0_E_clISt17integral_constantIbLb0EES13_EEDaSY_SZ_EUlSY_E_NS1_11comp_targetILNS1_3genE10ELNS1_11target_archE1201ELNS1_3gpuE5ELNS1_3repE0EEENS1_30default_config_static_selectorELNS0_4arch9wavefront6targetE0EEEvT1_, .Lfunc_end1717-_ZN7rocprim17ROCPRIM_400000_NS6detail17trampoline_kernelINS0_14default_configENS1_27scan_by_key_config_selectorIiiEEZZNS1_16scan_by_key_implILNS1_25lookback_scan_determinismE0ELb1ES3_N6thrust23THRUST_200600_302600_NS6detail15normal_iteratorINS9_10device_ptrIiEEEENSB_INSC_IjEEEENSB_INSC_IfEEEEiNS9_4plusIvEENS9_8equal_toIvEEiEE10hipError_tPvRmT2_T3_T4_T5_mT6_T7_P12ihipStream_tbENKUlT_T0_E_clISt17integral_constantIbLb0EES13_EEDaSY_SZ_EUlSY_E_NS1_11comp_targetILNS1_3genE10ELNS1_11target_archE1201ELNS1_3gpuE5ELNS1_3repE0EEENS1_30default_config_static_selectorELNS0_4arch9wavefront6targetE0EEEvT1_
                                        ; -- End function
	.set _ZN7rocprim17ROCPRIM_400000_NS6detail17trampoline_kernelINS0_14default_configENS1_27scan_by_key_config_selectorIiiEEZZNS1_16scan_by_key_implILNS1_25lookback_scan_determinismE0ELb1ES3_N6thrust23THRUST_200600_302600_NS6detail15normal_iteratorINS9_10device_ptrIiEEEENSB_INSC_IjEEEENSB_INSC_IfEEEEiNS9_4plusIvEENS9_8equal_toIvEEiEE10hipError_tPvRmT2_T3_T4_T5_mT6_T7_P12ihipStream_tbENKUlT_T0_E_clISt17integral_constantIbLb0EES13_EEDaSY_SZ_EUlSY_E_NS1_11comp_targetILNS1_3genE10ELNS1_11target_archE1201ELNS1_3gpuE5ELNS1_3repE0EEENS1_30default_config_static_selectorELNS0_4arch9wavefront6targetE0EEEvT1_.num_vgpr, 0
	.set _ZN7rocprim17ROCPRIM_400000_NS6detail17trampoline_kernelINS0_14default_configENS1_27scan_by_key_config_selectorIiiEEZZNS1_16scan_by_key_implILNS1_25lookback_scan_determinismE0ELb1ES3_N6thrust23THRUST_200600_302600_NS6detail15normal_iteratorINS9_10device_ptrIiEEEENSB_INSC_IjEEEENSB_INSC_IfEEEEiNS9_4plusIvEENS9_8equal_toIvEEiEE10hipError_tPvRmT2_T3_T4_T5_mT6_T7_P12ihipStream_tbENKUlT_T0_E_clISt17integral_constantIbLb0EES13_EEDaSY_SZ_EUlSY_E_NS1_11comp_targetILNS1_3genE10ELNS1_11target_archE1201ELNS1_3gpuE5ELNS1_3repE0EEENS1_30default_config_static_selectorELNS0_4arch9wavefront6targetE0EEEvT1_.num_agpr, 0
	.set _ZN7rocprim17ROCPRIM_400000_NS6detail17trampoline_kernelINS0_14default_configENS1_27scan_by_key_config_selectorIiiEEZZNS1_16scan_by_key_implILNS1_25lookback_scan_determinismE0ELb1ES3_N6thrust23THRUST_200600_302600_NS6detail15normal_iteratorINS9_10device_ptrIiEEEENSB_INSC_IjEEEENSB_INSC_IfEEEEiNS9_4plusIvEENS9_8equal_toIvEEiEE10hipError_tPvRmT2_T3_T4_T5_mT6_T7_P12ihipStream_tbENKUlT_T0_E_clISt17integral_constantIbLb0EES13_EEDaSY_SZ_EUlSY_E_NS1_11comp_targetILNS1_3genE10ELNS1_11target_archE1201ELNS1_3gpuE5ELNS1_3repE0EEENS1_30default_config_static_selectorELNS0_4arch9wavefront6targetE0EEEvT1_.numbered_sgpr, 0
	.set _ZN7rocprim17ROCPRIM_400000_NS6detail17trampoline_kernelINS0_14default_configENS1_27scan_by_key_config_selectorIiiEEZZNS1_16scan_by_key_implILNS1_25lookback_scan_determinismE0ELb1ES3_N6thrust23THRUST_200600_302600_NS6detail15normal_iteratorINS9_10device_ptrIiEEEENSB_INSC_IjEEEENSB_INSC_IfEEEEiNS9_4plusIvEENS9_8equal_toIvEEiEE10hipError_tPvRmT2_T3_T4_T5_mT6_T7_P12ihipStream_tbENKUlT_T0_E_clISt17integral_constantIbLb0EES13_EEDaSY_SZ_EUlSY_E_NS1_11comp_targetILNS1_3genE10ELNS1_11target_archE1201ELNS1_3gpuE5ELNS1_3repE0EEENS1_30default_config_static_selectorELNS0_4arch9wavefront6targetE0EEEvT1_.num_named_barrier, 0
	.set _ZN7rocprim17ROCPRIM_400000_NS6detail17trampoline_kernelINS0_14default_configENS1_27scan_by_key_config_selectorIiiEEZZNS1_16scan_by_key_implILNS1_25lookback_scan_determinismE0ELb1ES3_N6thrust23THRUST_200600_302600_NS6detail15normal_iteratorINS9_10device_ptrIiEEEENSB_INSC_IjEEEENSB_INSC_IfEEEEiNS9_4plusIvEENS9_8equal_toIvEEiEE10hipError_tPvRmT2_T3_T4_T5_mT6_T7_P12ihipStream_tbENKUlT_T0_E_clISt17integral_constantIbLb0EES13_EEDaSY_SZ_EUlSY_E_NS1_11comp_targetILNS1_3genE10ELNS1_11target_archE1201ELNS1_3gpuE5ELNS1_3repE0EEENS1_30default_config_static_selectorELNS0_4arch9wavefront6targetE0EEEvT1_.private_seg_size, 0
	.set _ZN7rocprim17ROCPRIM_400000_NS6detail17trampoline_kernelINS0_14default_configENS1_27scan_by_key_config_selectorIiiEEZZNS1_16scan_by_key_implILNS1_25lookback_scan_determinismE0ELb1ES3_N6thrust23THRUST_200600_302600_NS6detail15normal_iteratorINS9_10device_ptrIiEEEENSB_INSC_IjEEEENSB_INSC_IfEEEEiNS9_4plusIvEENS9_8equal_toIvEEiEE10hipError_tPvRmT2_T3_T4_T5_mT6_T7_P12ihipStream_tbENKUlT_T0_E_clISt17integral_constantIbLb0EES13_EEDaSY_SZ_EUlSY_E_NS1_11comp_targetILNS1_3genE10ELNS1_11target_archE1201ELNS1_3gpuE5ELNS1_3repE0EEENS1_30default_config_static_selectorELNS0_4arch9wavefront6targetE0EEEvT1_.uses_vcc, 0
	.set _ZN7rocprim17ROCPRIM_400000_NS6detail17trampoline_kernelINS0_14default_configENS1_27scan_by_key_config_selectorIiiEEZZNS1_16scan_by_key_implILNS1_25lookback_scan_determinismE0ELb1ES3_N6thrust23THRUST_200600_302600_NS6detail15normal_iteratorINS9_10device_ptrIiEEEENSB_INSC_IjEEEENSB_INSC_IfEEEEiNS9_4plusIvEENS9_8equal_toIvEEiEE10hipError_tPvRmT2_T3_T4_T5_mT6_T7_P12ihipStream_tbENKUlT_T0_E_clISt17integral_constantIbLb0EES13_EEDaSY_SZ_EUlSY_E_NS1_11comp_targetILNS1_3genE10ELNS1_11target_archE1201ELNS1_3gpuE5ELNS1_3repE0EEENS1_30default_config_static_selectorELNS0_4arch9wavefront6targetE0EEEvT1_.uses_flat_scratch, 0
	.set _ZN7rocprim17ROCPRIM_400000_NS6detail17trampoline_kernelINS0_14default_configENS1_27scan_by_key_config_selectorIiiEEZZNS1_16scan_by_key_implILNS1_25lookback_scan_determinismE0ELb1ES3_N6thrust23THRUST_200600_302600_NS6detail15normal_iteratorINS9_10device_ptrIiEEEENSB_INSC_IjEEEENSB_INSC_IfEEEEiNS9_4plusIvEENS9_8equal_toIvEEiEE10hipError_tPvRmT2_T3_T4_T5_mT6_T7_P12ihipStream_tbENKUlT_T0_E_clISt17integral_constantIbLb0EES13_EEDaSY_SZ_EUlSY_E_NS1_11comp_targetILNS1_3genE10ELNS1_11target_archE1201ELNS1_3gpuE5ELNS1_3repE0EEENS1_30default_config_static_selectorELNS0_4arch9wavefront6targetE0EEEvT1_.has_dyn_sized_stack, 0
	.set _ZN7rocprim17ROCPRIM_400000_NS6detail17trampoline_kernelINS0_14default_configENS1_27scan_by_key_config_selectorIiiEEZZNS1_16scan_by_key_implILNS1_25lookback_scan_determinismE0ELb1ES3_N6thrust23THRUST_200600_302600_NS6detail15normal_iteratorINS9_10device_ptrIiEEEENSB_INSC_IjEEEENSB_INSC_IfEEEEiNS9_4plusIvEENS9_8equal_toIvEEiEE10hipError_tPvRmT2_T3_T4_T5_mT6_T7_P12ihipStream_tbENKUlT_T0_E_clISt17integral_constantIbLb0EES13_EEDaSY_SZ_EUlSY_E_NS1_11comp_targetILNS1_3genE10ELNS1_11target_archE1201ELNS1_3gpuE5ELNS1_3repE0EEENS1_30default_config_static_selectorELNS0_4arch9wavefront6targetE0EEEvT1_.has_recursion, 0
	.set _ZN7rocprim17ROCPRIM_400000_NS6detail17trampoline_kernelINS0_14default_configENS1_27scan_by_key_config_selectorIiiEEZZNS1_16scan_by_key_implILNS1_25lookback_scan_determinismE0ELb1ES3_N6thrust23THRUST_200600_302600_NS6detail15normal_iteratorINS9_10device_ptrIiEEEENSB_INSC_IjEEEENSB_INSC_IfEEEEiNS9_4plusIvEENS9_8equal_toIvEEiEE10hipError_tPvRmT2_T3_T4_T5_mT6_T7_P12ihipStream_tbENKUlT_T0_E_clISt17integral_constantIbLb0EES13_EEDaSY_SZ_EUlSY_E_NS1_11comp_targetILNS1_3genE10ELNS1_11target_archE1201ELNS1_3gpuE5ELNS1_3repE0EEENS1_30default_config_static_selectorELNS0_4arch9wavefront6targetE0EEEvT1_.has_indirect_call, 0
	.section	.AMDGPU.csdata,"",@progbits
; Kernel info:
; codeLenInByte = 0
; TotalNumSgprs: 0
; NumVgprs: 0
; ScratchSize: 0
; MemoryBound: 0
; FloatMode: 240
; IeeeMode: 1
; LDSByteSize: 0 bytes/workgroup (compile time only)
; SGPRBlocks: 0
; VGPRBlocks: 0
; NumSGPRsForWavesPerEU: 1
; NumVGPRsForWavesPerEU: 1
; NamedBarCnt: 0
; Occupancy: 16
; WaveLimiterHint : 0
; COMPUTE_PGM_RSRC2:SCRATCH_EN: 0
; COMPUTE_PGM_RSRC2:USER_SGPR: 2
; COMPUTE_PGM_RSRC2:TRAP_HANDLER: 0
; COMPUTE_PGM_RSRC2:TGID_X_EN: 1
; COMPUTE_PGM_RSRC2:TGID_Y_EN: 0
; COMPUTE_PGM_RSRC2:TGID_Z_EN: 0
; COMPUTE_PGM_RSRC2:TIDIG_COMP_CNT: 0
	.section	.text._ZN7rocprim17ROCPRIM_400000_NS6detail17trampoline_kernelINS0_14default_configENS1_27scan_by_key_config_selectorIiiEEZZNS1_16scan_by_key_implILNS1_25lookback_scan_determinismE0ELb1ES3_N6thrust23THRUST_200600_302600_NS6detail15normal_iteratorINS9_10device_ptrIiEEEENSB_INSC_IjEEEENSB_INSC_IfEEEEiNS9_4plusIvEENS9_8equal_toIvEEiEE10hipError_tPvRmT2_T3_T4_T5_mT6_T7_P12ihipStream_tbENKUlT_T0_E_clISt17integral_constantIbLb0EES13_EEDaSY_SZ_EUlSY_E_NS1_11comp_targetILNS1_3genE5ELNS1_11target_archE942ELNS1_3gpuE9ELNS1_3repE0EEENS1_30default_config_static_selectorELNS0_4arch9wavefront6targetE0EEEvT1_,"axG",@progbits,_ZN7rocprim17ROCPRIM_400000_NS6detail17trampoline_kernelINS0_14default_configENS1_27scan_by_key_config_selectorIiiEEZZNS1_16scan_by_key_implILNS1_25lookback_scan_determinismE0ELb1ES3_N6thrust23THRUST_200600_302600_NS6detail15normal_iteratorINS9_10device_ptrIiEEEENSB_INSC_IjEEEENSB_INSC_IfEEEEiNS9_4plusIvEENS9_8equal_toIvEEiEE10hipError_tPvRmT2_T3_T4_T5_mT6_T7_P12ihipStream_tbENKUlT_T0_E_clISt17integral_constantIbLb0EES13_EEDaSY_SZ_EUlSY_E_NS1_11comp_targetILNS1_3genE5ELNS1_11target_archE942ELNS1_3gpuE9ELNS1_3repE0EEENS1_30default_config_static_selectorELNS0_4arch9wavefront6targetE0EEEvT1_,comdat
	.protected	_ZN7rocprim17ROCPRIM_400000_NS6detail17trampoline_kernelINS0_14default_configENS1_27scan_by_key_config_selectorIiiEEZZNS1_16scan_by_key_implILNS1_25lookback_scan_determinismE0ELb1ES3_N6thrust23THRUST_200600_302600_NS6detail15normal_iteratorINS9_10device_ptrIiEEEENSB_INSC_IjEEEENSB_INSC_IfEEEEiNS9_4plusIvEENS9_8equal_toIvEEiEE10hipError_tPvRmT2_T3_T4_T5_mT6_T7_P12ihipStream_tbENKUlT_T0_E_clISt17integral_constantIbLb0EES13_EEDaSY_SZ_EUlSY_E_NS1_11comp_targetILNS1_3genE5ELNS1_11target_archE942ELNS1_3gpuE9ELNS1_3repE0EEENS1_30default_config_static_selectorELNS0_4arch9wavefront6targetE0EEEvT1_ ; -- Begin function _ZN7rocprim17ROCPRIM_400000_NS6detail17trampoline_kernelINS0_14default_configENS1_27scan_by_key_config_selectorIiiEEZZNS1_16scan_by_key_implILNS1_25lookback_scan_determinismE0ELb1ES3_N6thrust23THRUST_200600_302600_NS6detail15normal_iteratorINS9_10device_ptrIiEEEENSB_INSC_IjEEEENSB_INSC_IfEEEEiNS9_4plusIvEENS9_8equal_toIvEEiEE10hipError_tPvRmT2_T3_T4_T5_mT6_T7_P12ihipStream_tbENKUlT_T0_E_clISt17integral_constantIbLb0EES13_EEDaSY_SZ_EUlSY_E_NS1_11comp_targetILNS1_3genE5ELNS1_11target_archE942ELNS1_3gpuE9ELNS1_3repE0EEENS1_30default_config_static_selectorELNS0_4arch9wavefront6targetE0EEEvT1_
	.globl	_ZN7rocprim17ROCPRIM_400000_NS6detail17trampoline_kernelINS0_14default_configENS1_27scan_by_key_config_selectorIiiEEZZNS1_16scan_by_key_implILNS1_25lookback_scan_determinismE0ELb1ES3_N6thrust23THRUST_200600_302600_NS6detail15normal_iteratorINS9_10device_ptrIiEEEENSB_INSC_IjEEEENSB_INSC_IfEEEEiNS9_4plusIvEENS9_8equal_toIvEEiEE10hipError_tPvRmT2_T3_T4_T5_mT6_T7_P12ihipStream_tbENKUlT_T0_E_clISt17integral_constantIbLb0EES13_EEDaSY_SZ_EUlSY_E_NS1_11comp_targetILNS1_3genE5ELNS1_11target_archE942ELNS1_3gpuE9ELNS1_3repE0EEENS1_30default_config_static_selectorELNS0_4arch9wavefront6targetE0EEEvT1_
	.p2align	8
	.type	_ZN7rocprim17ROCPRIM_400000_NS6detail17trampoline_kernelINS0_14default_configENS1_27scan_by_key_config_selectorIiiEEZZNS1_16scan_by_key_implILNS1_25lookback_scan_determinismE0ELb1ES3_N6thrust23THRUST_200600_302600_NS6detail15normal_iteratorINS9_10device_ptrIiEEEENSB_INSC_IjEEEENSB_INSC_IfEEEEiNS9_4plusIvEENS9_8equal_toIvEEiEE10hipError_tPvRmT2_T3_T4_T5_mT6_T7_P12ihipStream_tbENKUlT_T0_E_clISt17integral_constantIbLb0EES13_EEDaSY_SZ_EUlSY_E_NS1_11comp_targetILNS1_3genE5ELNS1_11target_archE942ELNS1_3gpuE9ELNS1_3repE0EEENS1_30default_config_static_selectorELNS0_4arch9wavefront6targetE0EEEvT1_,@function
_ZN7rocprim17ROCPRIM_400000_NS6detail17trampoline_kernelINS0_14default_configENS1_27scan_by_key_config_selectorIiiEEZZNS1_16scan_by_key_implILNS1_25lookback_scan_determinismE0ELb1ES3_N6thrust23THRUST_200600_302600_NS6detail15normal_iteratorINS9_10device_ptrIiEEEENSB_INSC_IjEEEENSB_INSC_IfEEEEiNS9_4plusIvEENS9_8equal_toIvEEiEE10hipError_tPvRmT2_T3_T4_T5_mT6_T7_P12ihipStream_tbENKUlT_T0_E_clISt17integral_constantIbLb0EES13_EEDaSY_SZ_EUlSY_E_NS1_11comp_targetILNS1_3genE5ELNS1_11target_archE942ELNS1_3gpuE9ELNS1_3repE0EEENS1_30default_config_static_selectorELNS0_4arch9wavefront6targetE0EEEvT1_: ; @_ZN7rocprim17ROCPRIM_400000_NS6detail17trampoline_kernelINS0_14default_configENS1_27scan_by_key_config_selectorIiiEEZZNS1_16scan_by_key_implILNS1_25lookback_scan_determinismE0ELb1ES3_N6thrust23THRUST_200600_302600_NS6detail15normal_iteratorINS9_10device_ptrIiEEEENSB_INSC_IjEEEENSB_INSC_IfEEEEiNS9_4plusIvEENS9_8equal_toIvEEiEE10hipError_tPvRmT2_T3_T4_T5_mT6_T7_P12ihipStream_tbENKUlT_T0_E_clISt17integral_constantIbLb0EES13_EEDaSY_SZ_EUlSY_E_NS1_11comp_targetILNS1_3genE5ELNS1_11target_archE942ELNS1_3gpuE9ELNS1_3repE0EEENS1_30default_config_static_selectorELNS0_4arch9wavefront6targetE0EEEvT1_
; %bb.0:
	.section	.rodata,"a",@progbits
	.p2align	6, 0x0
	.amdhsa_kernel _ZN7rocprim17ROCPRIM_400000_NS6detail17trampoline_kernelINS0_14default_configENS1_27scan_by_key_config_selectorIiiEEZZNS1_16scan_by_key_implILNS1_25lookback_scan_determinismE0ELb1ES3_N6thrust23THRUST_200600_302600_NS6detail15normal_iteratorINS9_10device_ptrIiEEEENSB_INSC_IjEEEENSB_INSC_IfEEEEiNS9_4plusIvEENS9_8equal_toIvEEiEE10hipError_tPvRmT2_T3_T4_T5_mT6_T7_P12ihipStream_tbENKUlT_T0_E_clISt17integral_constantIbLb0EES13_EEDaSY_SZ_EUlSY_E_NS1_11comp_targetILNS1_3genE5ELNS1_11target_archE942ELNS1_3gpuE9ELNS1_3repE0EEENS1_30default_config_static_selectorELNS0_4arch9wavefront6targetE0EEEvT1_
		.amdhsa_group_segment_fixed_size 0
		.amdhsa_private_segment_fixed_size 0
		.amdhsa_kernarg_size 112
		.amdhsa_user_sgpr_count 2
		.amdhsa_user_sgpr_dispatch_ptr 0
		.amdhsa_user_sgpr_queue_ptr 0
		.amdhsa_user_sgpr_kernarg_segment_ptr 1
		.amdhsa_user_sgpr_dispatch_id 0
		.amdhsa_user_sgpr_kernarg_preload_length 0
		.amdhsa_user_sgpr_kernarg_preload_offset 0
		.amdhsa_user_sgpr_private_segment_size 0
		.amdhsa_wavefront_size32 1
		.amdhsa_uses_dynamic_stack 0
		.amdhsa_enable_private_segment 0
		.amdhsa_system_sgpr_workgroup_id_x 1
		.amdhsa_system_sgpr_workgroup_id_y 0
		.amdhsa_system_sgpr_workgroup_id_z 0
		.amdhsa_system_sgpr_workgroup_info 0
		.amdhsa_system_vgpr_workitem_id 0
		.amdhsa_next_free_vgpr 1
		.amdhsa_next_free_sgpr 1
		.amdhsa_named_barrier_count 0
		.amdhsa_reserve_vcc 0
		.amdhsa_float_round_mode_32 0
		.amdhsa_float_round_mode_16_64 0
		.amdhsa_float_denorm_mode_32 3
		.amdhsa_float_denorm_mode_16_64 3
		.amdhsa_fp16_overflow 0
		.amdhsa_memory_ordered 1
		.amdhsa_forward_progress 1
		.amdhsa_inst_pref_size 0
		.amdhsa_round_robin_scheduling 0
		.amdhsa_exception_fp_ieee_invalid_op 0
		.amdhsa_exception_fp_denorm_src 0
		.amdhsa_exception_fp_ieee_div_zero 0
		.amdhsa_exception_fp_ieee_overflow 0
		.amdhsa_exception_fp_ieee_underflow 0
		.amdhsa_exception_fp_ieee_inexact 0
		.amdhsa_exception_int_div_zero 0
	.end_amdhsa_kernel
	.section	.text._ZN7rocprim17ROCPRIM_400000_NS6detail17trampoline_kernelINS0_14default_configENS1_27scan_by_key_config_selectorIiiEEZZNS1_16scan_by_key_implILNS1_25lookback_scan_determinismE0ELb1ES3_N6thrust23THRUST_200600_302600_NS6detail15normal_iteratorINS9_10device_ptrIiEEEENSB_INSC_IjEEEENSB_INSC_IfEEEEiNS9_4plusIvEENS9_8equal_toIvEEiEE10hipError_tPvRmT2_T3_T4_T5_mT6_T7_P12ihipStream_tbENKUlT_T0_E_clISt17integral_constantIbLb0EES13_EEDaSY_SZ_EUlSY_E_NS1_11comp_targetILNS1_3genE5ELNS1_11target_archE942ELNS1_3gpuE9ELNS1_3repE0EEENS1_30default_config_static_selectorELNS0_4arch9wavefront6targetE0EEEvT1_,"axG",@progbits,_ZN7rocprim17ROCPRIM_400000_NS6detail17trampoline_kernelINS0_14default_configENS1_27scan_by_key_config_selectorIiiEEZZNS1_16scan_by_key_implILNS1_25lookback_scan_determinismE0ELb1ES3_N6thrust23THRUST_200600_302600_NS6detail15normal_iteratorINS9_10device_ptrIiEEEENSB_INSC_IjEEEENSB_INSC_IfEEEEiNS9_4plusIvEENS9_8equal_toIvEEiEE10hipError_tPvRmT2_T3_T4_T5_mT6_T7_P12ihipStream_tbENKUlT_T0_E_clISt17integral_constantIbLb0EES13_EEDaSY_SZ_EUlSY_E_NS1_11comp_targetILNS1_3genE5ELNS1_11target_archE942ELNS1_3gpuE9ELNS1_3repE0EEENS1_30default_config_static_selectorELNS0_4arch9wavefront6targetE0EEEvT1_,comdat
.Lfunc_end1718:
	.size	_ZN7rocprim17ROCPRIM_400000_NS6detail17trampoline_kernelINS0_14default_configENS1_27scan_by_key_config_selectorIiiEEZZNS1_16scan_by_key_implILNS1_25lookback_scan_determinismE0ELb1ES3_N6thrust23THRUST_200600_302600_NS6detail15normal_iteratorINS9_10device_ptrIiEEEENSB_INSC_IjEEEENSB_INSC_IfEEEEiNS9_4plusIvEENS9_8equal_toIvEEiEE10hipError_tPvRmT2_T3_T4_T5_mT6_T7_P12ihipStream_tbENKUlT_T0_E_clISt17integral_constantIbLb0EES13_EEDaSY_SZ_EUlSY_E_NS1_11comp_targetILNS1_3genE5ELNS1_11target_archE942ELNS1_3gpuE9ELNS1_3repE0EEENS1_30default_config_static_selectorELNS0_4arch9wavefront6targetE0EEEvT1_, .Lfunc_end1718-_ZN7rocprim17ROCPRIM_400000_NS6detail17trampoline_kernelINS0_14default_configENS1_27scan_by_key_config_selectorIiiEEZZNS1_16scan_by_key_implILNS1_25lookback_scan_determinismE0ELb1ES3_N6thrust23THRUST_200600_302600_NS6detail15normal_iteratorINS9_10device_ptrIiEEEENSB_INSC_IjEEEENSB_INSC_IfEEEEiNS9_4plusIvEENS9_8equal_toIvEEiEE10hipError_tPvRmT2_T3_T4_T5_mT6_T7_P12ihipStream_tbENKUlT_T0_E_clISt17integral_constantIbLb0EES13_EEDaSY_SZ_EUlSY_E_NS1_11comp_targetILNS1_3genE5ELNS1_11target_archE942ELNS1_3gpuE9ELNS1_3repE0EEENS1_30default_config_static_selectorELNS0_4arch9wavefront6targetE0EEEvT1_
                                        ; -- End function
	.set _ZN7rocprim17ROCPRIM_400000_NS6detail17trampoline_kernelINS0_14default_configENS1_27scan_by_key_config_selectorIiiEEZZNS1_16scan_by_key_implILNS1_25lookback_scan_determinismE0ELb1ES3_N6thrust23THRUST_200600_302600_NS6detail15normal_iteratorINS9_10device_ptrIiEEEENSB_INSC_IjEEEENSB_INSC_IfEEEEiNS9_4plusIvEENS9_8equal_toIvEEiEE10hipError_tPvRmT2_T3_T4_T5_mT6_T7_P12ihipStream_tbENKUlT_T0_E_clISt17integral_constantIbLb0EES13_EEDaSY_SZ_EUlSY_E_NS1_11comp_targetILNS1_3genE5ELNS1_11target_archE942ELNS1_3gpuE9ELNS1_3repE0EEENS1_30default_config_static_selectorELNS0_4arch9wavefront6targetE0EEEvT1_.num_vgpr, 0
	.set _ZN7rocprim17ROCPRIM_400000_NS6detail17trampoline_kernelINS0_14default_configENS1_27scan_by_key_config_selectorIiiEEZZNS1_16scan_by_key_implILNS1_25lookback_scan_determinismE0ELb1ES3_N6thrust23THRUST_200600_302600_NS6detail15normal_iteratorINS9_10device_ptrIiEEEENSB_INSC_IjEEEENSB_INSC_IfEEEEiNS9_4plusIvEENS9_8equal_toIvEEiEE10hipError_tPvRmT2_T3_T4_T5_mT6_T7_P12ihipStream_tbENKUlT_T0_E_clISt17integral_constantIbLb0EES13_EEDaSY_SZ_EUlSY_E_NS1_11comp_targetILNS1_3genE5ELNS1_11target_archE942ELNS1_3gpuE9ELNS1_3repE0EEENS1_30default_config_static_selectorELNS0_4arch9wavefront6targetE0EEEvT1_.num_agpr, 0
	.set _ZN7rocprim17ROCPRIM_400000_NS6detail17trampoline_kernelINS0_14default_configENS1_27scan_by_key_config_selectorIiiEEZZNS1_16scan_by_key_implILNS1_25lookback_scan_determinismE0ELb1ES3_N6thrust23THRUST_200600_302600_NS6detail15normal_iteratorINS9_10device_ptrIiEEEENSB_INSC_IjEEEENSB_INSC_IfEEEEiNS9_4plusIvEENS9_8equal_toIvEEiEE10hipError_tPvRmT2_T3_T4_T5_mT6_T7_P12ihipStream_tbENKUlT_T0_E_clISt17integral_constantIbLb0EES13_EEDaSY_SZ_EUlSY_E_NS1_11comp_targetILNS1_3genE5ELNS1_11target_archE942ELNS1_3gpuE9ELNS1_3repE0EEENS1_30default_config_static_selectorELNS0_4arch9wavefront6targetE0EEEvT1_.numbered_sgpr, 0
	.set _ZN7rocprim17ROCPRIM_400000_NS6detail17trampoline_kernelINS0_14default_configENS1_27scan_by_key_config_selectorIiiEEZZNS1_16scan_by_key_implILNS1_25lookback_scan_determinismE0ELb1ES3_N6thrust23THRUST_200600_302600_NS6detail15normal_iteratorINS9_10device_ptrIiEEEENSB_INSC_IjEEEENSB_INSC_IfEEEEiNS9_4plusIvEENS9_8equal_toIvEEiEE10hipError_tPvRmT2_T3_T4_T5_mT6_T7_P12ihipStream_tbENKUlT_T0_E_clISt17integral_constantIbLb0EES13_EEDaSY_SZ_EUlSY_E_NS1_11comp_targetILNS1_3genE5ELNS1_11target_archE942ELNS1_3gpuE9ELNS1_3repE0EEENS1_30default_config_static_selectorELNS0_4arch9wavefront6targetE0EEEvT1_.num_named_barrier, 0
	.set _ZN7rocprim17ROCPRIM_400000_NS6detail17trampoline_kernelINS0_14default_configENS1_27scan_by_key_config_selectorIiiEEZZNS1_16scan_by_key_implILNS1_25lookback_scan_determinismE0ELb1ES3_N6thrust23THRUST_200600_302600_NS6detail15normal_iteratorINS9_10device_ptrIiEEEENSB_INSC_IjEEEENSB_INSC_IfEEEEiNS9_4plusIvEENS9_8equal_toIvEEiEE10hipError_tPvRmT2_T3_T4_T5_mT6_T7_P12ihipStream_tbENKUlT_T0_E_clISt17integral_constantIbLb0EES13_EEDaSY_SZ_EUlSY_E_NS1_11comp_targetILNS1_3genE5ELNS1_11target_archE942ELNS1_3gpuE9ELNS1_3repE0EEENS1_30default_config_static_selectorELNS0_4arch9wavefront6targetE0EEEvT1_.private_seg_size, 0
	.set _ZN7rocprim17ROCPRIM_400000_NS6detail17trampoline_kernelINS0_14default_configENS1_27scan_by_key_config_selectorIiiEEZZNS1_16scan_by_key_implILNS1_25lookback_scan_determinismE0ELb1ES3_N6thrust23THRUST_200600_302600_NS6detail15normal_iteratorINS9_10device_ptrIiEEEENSB_INSC_IjEEEENSB_INSC_IfEEEEiNS9_4plusIvEENS9_8equal_toIvEEiEE10hipError_tPvRmT2_T3_T4_T5_mT6_T7_P12ihipStream_tbENKUlT_T0_E_clISt17integral_constantIbLb0EES13_EEDaSY_SZ_EUlSY_E_NS1_11comp_targetILNS1_3genE5ELNS1_11target_archE942ELNS1_3gpuE9ELNS1_3repE0EEENS1_30default_config_static_selectorELNS0_4arch9wavefront6targetE0EEEvT1_.uses_vcc, 0
	.set _ZN7rocprim17ROCPRIM_400000_NS6detail17trampoline_kernelINS0_14default_configENS1_27scan_by_key_config_selectorIiiEEZZNS1_16scan_by_key_implILNS1_25lookback_scan_determinismE0ELb1ES3_N6thrust23THRUST_200600_302600_NS6detail15normal_iteratorINS9_10device_ptrIiEEEENSB_INSC_IjEEEENSB_INSC_IfEEEEiNS9_4plusIvEENS9_8equal_toIvEEiEE10hipError_tPvRmT2_T3_T4_T5_mT6_T7_P12ihipStream_tbENKUlT_T0_E_clISt17integral_constantIbLb0EES13_EEDaSY_SZ_EUlSY_E_NS1_11comp_targetILNS1_3genE5ELNS1_11target_archE942ELNS1_3gpuE9ELNS1_3repE0EEENS1_30default_config_static_selectorELNS0_4arch9wavefront6targetE0EEEvT1_.uses_flat_scratch, 0
	.set _ZN7rocprim17ROCPRIM_400000_NS6detail17trampoline_kernelINS0_14default_configENS1_27scan_by_key_config_selectorIiiEEZZNS1_16scan_by_key_implILNS1_25lookback_scan_determinismE0ELb1ES3_N6thrust23THRUST_200600_302600_NS6detail15normal_iteratorINS9_10device_ptrIiEEEENSB_INSC_IjEEEENSB_INSC_IfEEEEiNS9_4plusIvEENS9_8equal_toIvEEiEE10hipError_tPvRmT2_T3_T4_T5_mT6_T7_P12ihipStream_tbENKUlT_T0_E_clISt17integral_constantIbLb0EES13_EEDaSY_SZ_EUlSY_E_NS1_11comp_targetILNS1_3genE5ELNS1_11target_archE942ELNS1_3gpuE9ELNS1_3repE0EEENS1_30default_config_static_selectorELNS0_4arch9wavefront6targetE0EEEvT1_.has_dyn_sized_stack, 0
	.set _ZN7rocprim17ROCPRIM_400000_NS6detail17trampoline_kernelINS0_14default_configENS1_27scan_by_key_config_selectorIiiEEZZNS1_16scan_by_key_implILNS1_25lookback_scan_determinismE0ELb1ES3_N6thrust23THRUST_200600_302600_NS6detail15normal_iteratorINS9_10device_ptrIiEEEENSB_INSC_IjEEEENSB_INSC_IfEEEEiNS9_4plusIvEENS9_8equal_toIvEEiEE10hipError_tPvRmT2_T3_T4_T5_mT6_T7_P12ihipStream_tbENKUlT_T0_E_clISt17integral_constantIbLb0EES13_EEDaSY_SZ_EUlSY_E_NS1_11comp_targetILNS1_3genE5ELNS1_11target_archE942ELNS1_3gpuE9ELNS1_3repE0EEENS1_30default_config_static_selectorELNS0_4arch9wavefront6targetE0EEEvT1_.has_recursion, 0
	.set _ZN7rocprim17ROCPRIM_400000_NS6detail17trampoline_kernelINS0_14default_configENS1_27scan_by_key_config_selectorIiiEEZZNS1_16scan_by_key_implILNS1_25lookback_scan_determinismE0ELb1ES3_N6thrust23THRUST_200600_302600_NS6detail15normal_iteratorINS9_10device_ptrIiEEEENSB_INSC_IjEEEENSB_INSC_IfEEEEiNS9_4plusIvEENS9_8equal_toIvEEiEE10hipError_tPvRmT2_T3_T4_T5_mT6_T7_P12ihipStream_tbENKUlT_T0_E_clISt17integral_constantIbLb0EES13_EEDaSY_SZ_EUlSY_E_NS1_11comp_targetILNS1_3genE5ELNS1_11target_archE942ELNS1_3gpuE9ELNS1_3repE0EEENS1_30default_config_static_selectorELNS0_4arch9wavefront6targetE0EEEvT1_.has_indirect_call, 0
	.section	.AMDGPU.csdata,"",@progbits
; Kernel info:
; codeLenInByte = 0
; TotalNumSgprs: 0
; NumVgprs: 0
; ScratchSize: 0
; MemoryBound: 0
; FloatMode: 240
; IeeeMode: 1
; LDSByteSize: 0 bytes/workgroup (compile time only)
; SGPRBlocks: 0
; VGPRBlocks: 0
; NumSGPRsForWavesPerEU: 1
; NumVGPRsForWavesPerEU: 1
; NamedBarCnt: 0
; Occupancy: 16
; WaveLimiterHint : 0
; COMPUTE_PGM_RSRC2:SCRATCH_EN: 0
; COMPUTE_PGM_RSRC2:USER_SGPR: 2
; COMPUTE_PGM_RSRC2:TRAP_HANDLER: 0
; COMPUTE_PGM_RSRC2:TGID_X_EN: 1
; COMPUTE_PGM_RSRC2:TGID_Y_EN: 0
; COMPUTE_PGM_RSRC2:TGID_Z_EN: 0
; COMPUTE_PGM_RSRC2:TIDIG_COMP_CNT: 0
	.section	.text._ZN7rocprim17ROCPRIM_400000_NS6detail17trampoline_kernelINS0_14default_configENS1_27scan_by_key_config_selectorIiiEEZZNS1_16scan_by_key_implILNS1_25lookback_scan_determinismE0ELb1ES3_N6thrust23THRUST_200600_302600_NS6detail15normal_iteratorINS9_10device_ptrIiEEEENSB_INSC_IjEEEENSB_INSC_IfEEEEiNS9_4plusIvEENS9_8equal_toIvEEiEE10hipError_tPvRmT2_T3_T4_T5_mT6_T7_P12ihipStream_tbENKUlT_T0_E_clISt17integral_constantIbLb0EES13_EEDaSY_SZ_EUlSY_E_NS1_11comp_targetILNS1_3genE4ELNS1_11target_archE910ELNS1_3gpuE8ELNS1_3repE0EEENS1_30default_config_static_selectorELNS0_4arch9wavefront6targetE0EEEvT1_,"axG",@progbits,_ZN7rocprim17ROCPRIM_400000_NS6detail17trampoline_kernelINS0_14default_configENS1_27scan_by_key_config_selectorIiiEEZZNS1_16scan_by_key_implILNS1_25lookback_scan_determinismE0ELb1ES3_N6thrust23THRUST_200600_302600_NS6detail15normal_iteratorINS9_10device_ptrIiEEEENSB_INSC_IjEEEENSB_INSC_IfEEEEiNS9_4plusIvEENS9_8equal_toIvEEiEE10hipError_tPvRmT2_T3_T4_T5_mT6_T7_P12ihipStream_tbENKUlT_T0_E_clISt17integral_constantIbLb0EES13_EEDaSY_SZ_EUlSY_E_NS1_11comp_targetILNS1_3genE4ELNS1_11target_archE910ELNS1_3gpuE8ELNS1_3repE0EEENS1_30default_config_static_selectorELNS0_4arch9wavefront6targetE0EEEvT1_,comdat
	.protected	_ZN7rocprim17ROCPRIM_400000_NS6detail17trampoline_kernelINS0_14default_configENS1_27scan_by_key_config_selectorIiiEEZZNS1_16scan_by_key_implILNS1_25lookback_scan_determinismE0ELb1ES3_N6thrust23THRUST_200600_302600_NS6detail15normal_iteratorINS9_10device_ptrIiEEEENSB_INSC_IjEEEENSB_INSC_IfEEEEiNS9_4plusIvEENS9_8equal_toIvEEiEE10hipError_tPvRmT2_T3_T4_T5_mT6_T7_P12ihipStream_tbENKUlT_T0_E_clISt17integral_constantIbLb0EES13_EEDaSY_SZ_EUlSY_E_NS1_11comp_targetILNS1_3genE4ELNS1_11target_archE910ELNS1_3gpuE8ELNS1_3repE0EEENS1_30default_config_static_selectorELNS0_4arch9wavefront6targetE0EEEvT1_ ; -- Begin function _ZN7rocprim17ROCPRIM_400000_NS6detail17trampoline_kernelINS0_14default_configENS1_27scan_by_key_config_selectorIiiEEZZNS1_16scan_by_key_implILNS1_25lookback_scan_determinismE0ELb1ES3_N6thrust23THRUST_200600_302600_NS6detail15normal_iteratorINS9_10device_ptrIiEEEENSB_INSC_IjEEEENSB_INSC_IfEEEEiNS9_4plusIvEENS9_8equal_toIvEEiEE10hipError_tPvRmT2_T3_T4_T5_mT6_T7_P12ihipStream_tbENKUlT_T0_E_clISt17integral_constantIbLb0EES13_EEDaSY_SZ_EUlSY_E_NS1_11comp_targetILNS1_3genE4ELNS1_11target_archE910ELNS1_3gpuE8ELNS1_3repE0EEENS1_30default_config_static_selectorELNS0_4arch9wavefront6targetE0EEEvT1_
	.globl	_ZN7rocprim17ROCPRIM_400000_NS6detail17trampoline_kernelINS0_14default_configENS1_27scan_by_key_config_selectorIiiEEZZNS1_16scan_by_key_implILNS1_25lookback_scan_determinismE0ELb1ES3_N6thrust23THRUST_200600_302600_NS6detail15normal_iteratorINS9_10device_ptrIiEEEENSB_INSC_IjEEEENSB_INSC_IfEEEEiNS9_4plusIvEENS9_8equal_toIvEEiEE10hipError_tPvRmT2_T3_T4_T5_mT6_T7_P12ihipStream_tbENKUlT_T0_E_clISt17integral_constantIbLb0EES13_EEDaSY_SZ_EUlSY_E_NS1_11comp_targetILNS1_3genE4ELNS1_11target_archE910ELNS1_3gpuE8ELNS1_3repE0EEENS1_30default_config_static_selectorELNS0_4arch9wavefront6targetE0EEEvT1_
	.p2align	8
	.type	_ZN7rocprim17ROCPRIM_400000_NS6detail17trampoline_kernelINS0_14default_configENS1_27scan_by_key_config_selectorIiiEEZZNS1_16scan_by_key_implILNS1_25lookback_scan_determinismE0ELb1ES3_N6thrust23THRUST_200600_302600_NS6detail15normal_iteratorINS9_10device_ptrIiEEEENSB_INSC_IjEEEENSB_INSC_IfEEEEiNS9_4plusIvEENS9_8equal_toIvEEiEE10hipError_tPvRmT2_T3_T4_T5_mT6_T7_P12ihipStream_tbENKUlT_T0_E_clISt17integral_constantIbLb0EES13_EEDaSY_SZ_EUlSY_E_NS1_11comp_targetILNS1_3genE4ELNS1_11target_archE910ELNS1_3gpuE8ELNS1_3repE0EEENS1_30default_config_static_selectorELNS0_4arch9wavefront6targetE0EEEvT1_,@function
_ZN7rocprim17ROCPRIM_400000_NS6detail17trampoline_kernelINS0_14default_configENS1_27scan_by_key_config_selectorIiiEEZZNS1_16scan_by_key_implILNS1_25lookback_scan_determinismE0ELb1ES3_N6thrust23THRUST_200600_302600_NS6detail15normal_iteratorINS9_10device_ptrIiEEEENSB_INSC_IjEEEENSB_INSC_IfEEEEiNS9_4plusIvEENS9_8equal_toIvEEiEE10hipError_tPvRmT2_T3_T4_T5_mT6_T7_P12ihipStream_tbENKUlT_T0_E_clISt17integral_constantIbLb0EES13_EEDaSY_SZ_EUlSY_E_NS1_11comp_targetILNS1_3genE4ELNS1_11target_archE910ELNS1_3gpuE8ELNS1_3repE0EEENS1_30default_config_static_selectorELNS0_4arch9wavefront6targetE0EEEvT1_: ; @_ZN7rocprim17ROCPRIM_400000_NS6detail17trampoline_kernelINS0_14default_configENS1_27scan_by_key_config_selectorIiiEEZZNS1_16scan_by_key_implILNS1_25lookback_scan_determinismE0ELb1ES3_N6thrust23THRUST_200600_302600_NS6detail15normal_iteratorINS9_10device_ptrIiEEEENSB_INSC_IjEEEENSB_INSC_IfEEEEiNS9_4plusIvEENS9_8equal_toIvEEiEE10hipError_tPvRmT2_T3_T4_T5_mT6_T7_P12ihipStream_tbENKUlT_T0_E_clISt17integral_constantIbLb0EES13_EEDaSY_SZ_EUlSY_E_NS1_11comp_targetILNS1_3genE4ELNS1_11target_archE910ELNS1_3gpuE8ELNS1_3repE0EEENS1_30default_config_static_selectorELNS0_4arch9wavefront6targetE0EEEvT1_
; %bb.0:
	.section	.rodata,"a",@progbits
	.p2align	6, 0x0
	.amdhsa_kernel _ZN7rocprim17ROCPRIM_400000_NS6detail17trampoline_kernelINS0_14default_configENS1_27scan_by_key_config_selectorIiiEEZZNS1_16scan_by_key_implILNS1_25lookback_scan_determinismE0ELb1ES3_N6thrust23THRUST_200600_302600_NS6detail15normal_iteratorINS9_10device_ptrIiEEEENSB_INSC_IjEEEENSB_INSC_IfEEEEiNS9_4plusIvEENS9_8equal_toIvEEiEE10hipError_tPvRmT2_T3_T4_T5_mT6_T7_P12ihipStream_tbENKUlT_T0_E_clISt17integral_constantIbLb0EES13_EEDaSY_SZ_EUlSY_E_NS1_11comp_targetILNS1_3genE4ELNS1_11target_archE910ELNS1_3gpuE8ELNS1_3repE0EEENS1_30default_config_static_selectorELNS0_4arch9wavefront6targetE0EEEvT1_
		.amdhsa_group_segment_fixed_size 0
		.amdhsa_private_segment_fixed_size 0
		.amdhsa_kernarg_size 112
		.amdhsa_user_sgpr_count 2
		.amdhsa_user_sgpr_dispatch_ptr 0
		.amdhsa_user_sgpr_queue_ptr 0
		.amdhsa_user_sgpr_kernarg_segment_ptr 1
		.amdhsa_user_sgpr_dispatch_id 0
		.amdhsa_user_sgpr_kernarg_preload_length 0
		.amdhsa_user_sgpr_kernarg_preload_offset 0
		.amdhsa_user_sgpr_private_segment_size 0
		.amdhsa_wavefront_size32 1
		.amdhsa_uses_dynamic_stack 0
		.amdhsa_enable_private_segment 0
		.amdhsa_system_sgpr_workgroup_id_x 1
		.amdhsa_system_sgpr_workgroup_id_y 0
		.amdhsa_system_sgpr_workgroup_id_z 0
		.amdhsa_system_sgpr_workgroup_info 0
		.amdhsa_system_vgpr_workitem_id 0
		.amdhsa_next_free_vgpr 1
		.amdhsa_next_free_sgpr 1
		.amdhsa_named_barrier_count 0
		.amdhsa_reserve_vcc 0
		.amdhsa_float_round_mode_32 0
		.amdhsa_float_round_mode_16_64 0
		.amdhsa_float_denorm_mode_32 3
		.amdhsa_float_denorm_mode_16_64 3
		.amdhsa_fp16_overflow 0
		.amdhsa_memory_ordered 1
		.amdhsa_forward_progress 1
		.amdhsa_inst_pref_size 0
		.amdhsa_round_robin_scheduling 0
		.amdhsa_exception_fp_ieee_invalid_op 0
		.amdhsa_exception_fp_denorm_src 0
		.amdhsa_exception_fp_ieee_div_zero 0
		.amdhsa_exception_fp_ieee_overflow 0
		.amdhsa_exception_fp_ieee_underflow 0
		.amdhsa_exception_fp_ieee_inexact 0
		.amdhsa_exception_int_div_zero 0
	.end_amdhsa_kernel
	.section	.text._ZN7rocprim17ROCPRIM_400000_NS6detail17trampoline_kernelINS0_14default_configENS1_27scan_by_key_config_selectorIiiEEZZNS1_16scan_by_key_implILNS1_25lookback_scan_determinismE0ELb1ES3_N6thrust23THRUST_200600_302600_NS6detail15normal_iteratorINS9_10device_ptrIiEEEENSB_INSC_IjEEEENSB_INSC_IfEEEEiNS9_4plusIvEENS9_8equal_toIvEEiEE10hipError_tPvRmT2_T3_T4_T5_mT6_T7_P12ihipStream_tbENKUlT_T0_E_clISt17integral_constantIbLb0EES13_EEDaSY_SZ_EUlSY_E_NS1_11comp_targetILNS1_3genE4ELNS1_11target_archE910ELNS1_3gpuE8ELNS1_3repE0EEENS1_30default_config_static_selectorELNS0_4arch9wavefront6targetE0EEEvT1_,"axG",@progbits,_ZN7rocprim17ROCPRIM_400000_NS6detail17trampoline_kernelINS0_14default_configENS1_27scan_by_key_config_selectorIiiEEZZNS1_16scan_by_key_implILNS1_25lookback_scan_determinismE0ELb1ES3_N6thrust23THRUST_200600_302600_NS6detail15normal_iteratorINS9_10device_ptrIiEEEENSB_INSC_IjEEEENSB_INSC_IfEEEEiNS9_4plusIvEENS9_8equal_toIvEEiEE10hipError_tPvRmT2_T3_T4_T5_mT6_T7_P12ihipStream_tbENKUlT_T0_E_clISt17integral_constantIbLb0EES13_EEDaSY_SZ_EUlSY_E_NS1_11comp_targetILNS1_3genE4ELNS1_11target_archE910ELNS1_3gpuE8ELNS1_3repE0EEENS1_30default_config_static_selectorELNS0_4arch9wavefront6targetE0EEEvT1_,comdat
.Lfunc_end1719:
	.size	_ZN7rocprim17ROCPRIM_400000_NS6detail17trampoline_kernelINS0_14default_configENS1_27scan_by_key_config_selectorIiiEEZZNS1_16scan_by_key_implILNS1_25lookback_scan_determinismE0ELb1ES3_N6thrust23THRUST_200600_302600_NS6detail15normal_iteratorINS9_10device_ptrIiEEEENSB_INSC_IjEEEENSB_INSC_IfEEEEiNS9_4plusIvEENS9_8equal_toIvEEiEE10hipError_tPvRmT2_T3_T4_T5_mT6_T7_P12ihipStream_tbENKUlT_T0_E_clISt17integral_constantIbLb0EES13_EEDaSY_SZ_EUlSY_E_NS1_11comp_targetILNS1_3genE4ELNS1_11target_archE910ELNS1_3gpuE8ELNS1_3repE0EEENS1_30default_config_static_selectorELNS0_4arch9wavefront6targetE0EEEvT1_, .Lfunc_end1719-_ZN7rocprim17ROCPRIM_400000_NS6detail17trampoline_kernelINS0_14default_configENS1_27scan_by_key_config_selectorIiiEEZZNS1_16scan_by_key_implILNS1_25lookback_scan_determinismE0ELb1ES3_N6thrust23THRUST_200600_302600_NS6detail15normal_iteratorINS9_10device_ptrIiEEEENSB_INSC_IjEEEENSB_INSC_IfEEEEiNS9_4plusIvEENS9_8equal_toIvEEiEE10hipError_tPvRmT2_T3_T4_T5_mT6_T7_P12ihipStream_tbENKUlT_T0_E_clISt17integral_constantIbLb0EES13_EEDaSY_SZ_EUlSY_E_NS1_11comp_targetILNS1_3genE4ELNS1_11target_archE910ELNS1_3gpuE8ELNS1_3repE0EEENS1_30default_config_static_selectorELNS0_4arch9wavefront6targetE0EEEvT1_
                                        ; -- End function
	.set _ZN7rocprim17ROCPRIM_400000_NS6detail17trampoline_kernelINS0_14default_configENS1_27scan_by_key_config_selectorIiiEEZZNS1_16scan_by_key_implILNS1_25lookback_scan_determinismE0ELb1ES3_N6thrust23THRUST_200600_302600_NS6detail15normal_iteratorINS9_10device_ptrIiEEEENSB_INSC_IjEEEENSB_INSC_IfEEEEiNS9_4plusIvEENS9_8equal_toIvEEiEE10hipError_tPvRmT2_T3_T4_T5_mT6_T7_P12ihipStream_tbENKUlT_T0_E_clISt17integral_constantIbLb0EES13_EEDaSY_SZ_EUlSY_E_NS1_11comp_targetILNS1_3genE4ELNS1_11target_archE910ELNS1_3gpuE8ELNS1_3repE0EEENS1_30default_config_static_selectorELNS0_4arch9wavefront6targetE0EEEvT1_.num_vgpr, 0
	.set _ZN7rocprim17ROCPRIM_400000_NS6detail17trampoline_kernelINS0_14default_configENS1_27scan_by_key_config_selectorIiiEEZZNS1_16scan_by_key_implILNS1_25lookback_scan_determinismE0ELb1ES3_N6thrust23THRUST_200600_302600_NS6detail15normal_iteratorINS9_10device_ptrIiEEEENSB_INSC_IjEEEENSB_INSC_IfEEEEiNS9_4plusIvEENS9_8equal_toIvEEiEE10hipError_tPvRmT2_T3_T4_T5_mT6_T7_P12ihipStream_tbENKUlT_T0_E_clISt17integral_constantIbLb0EES13_EEDaSY_SZ_EUlSY_E_NS1_11comp_targetILNS1_3genE4ELNS1_11target_archE910ELNS1_3gpuE8ELNS1_3repE0EEENS1_30default_config_static_selectorELNS0_4arch9wavefront6targetE0EEEvT1_.num_agpr, 0
	.set _ZN7rocprim17ROCPRIM_400000_NS6detail17trampoline_kernelINS0_14default_configENS1_27scan_by_key_config_selectorIiiEEZZNS1_16scan_by_key_implILNS1_25lookback_scan_determinismE0ELb1ES3_N6thrust23THRUST_200600_302600_NS6detail15normal_iteratorINS9_10device_ptrIiEEEENSB_INSC_IjEEEENSB_INSC_IfEEEEiNS9_4plusIvEENS9_8equal_toIvEEiEE10hipError_tPvRmT2_T3_T4_T5_mT6_T7_P12ihipStream_tbENKUlT_T0_E_clISt17integral_constantIbLb0EES13_EEDaSY_SZ_EUlSY_E_NS1_11comp_targetILNS1_3genE4ELNS1_11target_archE910ELNS1_3gpuE8ELNS1_3repE0EEENS1_30default_config_static_selectorELNS0_4arch9wavefront6targetE0EEEvT1_.numbered_sgpr, 0
	.set _ZN7rocprim17ROCPRIM_400000_NS6detail17trampoline_kernelINS0_14default_configENS1_27scan_by_key_config_selectorIiiEEZZNS1_16scan_by_key_implILNS1_25lookback_scan_determinismE0ELb1ES3_N6thrust23THRUST_200600_302600_NS6detail15normal_iteratorINS9_10device_ptrIiEEEENSB_INSC_IjEEEENSB_INSC_IfEEEEiNS9_4plusIvEENS9_8equal_toIvEEiEE10hipError_tPvRmT2_T3_T4_T5_mT6_T7_P12ihipStream_tbENKUlT_T0_E_clISt17integral_constantIbLb0EES13_EEDaSY_SZ_EUlSY_E_NS1_11comp_targetILNS1_3genE4ELNS1_11target_archE910ELNS1_3gpuE8ELNS1_3repE0EEENS1_30default_config_static_selectorELNS0_4arch9wavefront6targetE0EEEvT1_.num_named_barrier, 0
	.set _ZN7rocprim17ROCPRIM_400000_NS6detail17trampoline_kernelINS0_14default_configENS1_27scan_by_key_config_selectorIiiEEZZNS1_16scan_by_key_implILNS1_25lookback_scan_determinismE0ELb1ES3_N6thrust23THRUST_200600_302600_NS6detail15normal_iteratorINS9_10device_ptrIiEEEENSB_INSC_IjEEEENSB_INSC_IfEEEEiNS9_4plusIvEENS9_8equal_toIvEEiEE10hipError_tPvRmT2_T3_T4_T5_mT6_T7_P12ihipStream_tbENKUlT_T0_E_clISt17integral_constantIbLb0EES13_EEDaSY_SZ_EUlSY_E_NS1_11comp_targetILNS1_3genE4ELNS1_11target_archE910ELNS1_3gpuE8ELNS1_3repE0EEENS1_30default_config_static_selectorELNS0_4arch9wavefront6targetE0EEEvT1_.private_seg_size, 0
	.set _ZN7rocprim17ROCPRIM_400000_NS6detail17trampoline_kernelINS0_14default_configENS1_27scan_by_key_config_selectorIiiEEZZNS1_16scan_by_key_implILNS1_25lookback_scan_determinismE0ELb1ES3_N6thrust23THRUST_200600_302600_NS6detail15normal_iteratorINS9_10device_ptrIiEEEENSB_INSC_IjEEEENSB_INSC_IfEEEEiNS9_4plusIvEENS9_8equal_toIvEEiEE10hipError_tPvRmT2_T3_T4_T5_mT6_T7_P12ihipStream_tbENKUlT_T0_E_clISt17integral_constantIbLb0EES13_EEDaSY_SZ_EUlSY_E_NS1_11comp_targetILNS1_3genE4ELNS1_11target_archE910ELNS1_3gpuE8ELNS1_3repE0EEENS1_30default_config_static_selectorELNS0_4arch9wavefront6targetE0EEEvT1_.uses_vcc, 0
	.set _ZN7rocprim17ROCPRIM_400000_NS6detail17trampoline_kernelINS0_14default_configENS1_27scan_by_key_config_selectorIiiEEZZNS1_16scan_by_key_implILNS1_25lookback_scan_determinismE0ELb1ES3_N6thrust23THRUST_200600_302600_NS6detail15normal_iteratorINS9_10device_ptrIiEEEENSB_INSC_IjEEEENSB_INSC_IfEEEEiNS9_4plusIvEENS9_8equal_toIvEEiEE10hipError_tPvRmT2_T3_T4_T5_mT6_T7_P12ihipStream_tbENKUlT_T0_E_clISt17integral_constantIbLb0EES13_EEDaSY_SZ_EUlSY_E_NS1_11comp_targetILNS1_3genE4ELNS1_11target_archE910ELNS1_3gpuE8ELNS1_3repE0EEENS1_30default_config_static_selectorELNS0_4arch9wavefront6targetE0EEEvT1_.uses_flat_scratch, 0
	.set _ZN7rocprim17ROCPRIM_400000_NS6detail17trampoline_kernelINS0_14default_configENS1_27scan_by_key_config_selectorIiiEEZZNS1_16scan_by_key_implILNS1_25lookback_scan_determinismE0ELb1ES3_N6thrust23THRUST_200600_302600_NS6detail15normal_iteratorINS9_10device_ptrIiEEEENSB_INSC_IjEEEENSB_INSC_IfEEEEiNS9_4plusIvEENS9_8equal_toIvEEiEE10hipError_tPvRmT2_T3_T4_T5_mT6_T7_P12ihipStream_tbENKUlT_T0_E_clISt17integral_constantIbLb0EES13_EEDaSY_SZ_EUlSY_E_NS1_11comp_targetILNS1_3genE4ELNS1_11target_archE910ELNS1_3gpuE8ELNS1_3repE0EEENS1_30default_config_static_selectorELNS0_4arch9wavefront6targetE0EEEvT1_.has_dyn_sized_stack, 0
	.set _ZN7rocprim17ROCPRIM_400000_NS6detail17trampoline_kernelINS0_14default_configENS1_27scan_by_key_config_selectorIiiEEZZNS1_16scan_by_key_implILNS1_25lookback_scan_determinismE0ELb1ES3_N6thrust23THRUST_200600_302600_NS6detail15normal_iteratorINS9_10device_ptrIiEEEENSB_INSC_IjEEEENSB_INSC_IfEEEEiNS9_4plusIvEENS9_8equal_toIvEEiEE10hipError_tPvRmT2_T3_T4_T5_mT6_T7_P12ihipStream_tbENKUlT_T0_E_clISt17integral_constantIbLb0EES13_EEDaSY_SZ_EUlSY_E_NS1_11comp_targetILNS1_3genE4ELNS1_11target_archE910ELNS1_3gpuE8ELNS1_3repE0EEENS1_30default_config_static_selectorELNS0_4arch9wavefront6targetE0EEEvT1_.has_recursion, 0
	.set _ZN7rocprim17ROCPRIM_400000_NS6detail17trampoline_kernelINS0_14default_configENS1_27scan_by_key_config_selectorIiiEEZZNS1_16scan_by_key_implILNS1_25lookback_scan_determinismE0ELb1ES3_N6thrust23THRUST_200600_302600_NS6detail15normal_iteratorINS9_10device_ptrIiEEEENSB_INSC_IjEEEENSB_INSC_IfEEEEiNS9_4plusIvEENS9_8equal_toIvEEiEE10hipError_tPvRmT2_T3_T4_T5_mT6_T7_P12ihipStream_tbENKUlT_T0_E_clISt17integral_constantIbLb0EES13_EEDaSY_SZ_EUlSY_E_NS1_11comp_targetILNS1_3genE4ELNS1_11target_archE910ELNS1_3gpuE8ELNS1_3repE0EEENS1_30default_config_static_selectorELNS0_4arch9wavefront6targetE0EEEvT1_.has_indirect_call, 0
	.section	.AMDGPU.csdata,"",@progbits
; Kernel info:
; codeLenInByte = 0
; TotalNumSgprs: 0
; NumVgprs: 0
; ScratchSize: 0
; MemoryBound: 0
; FloatMode: 240
; IeeeMode: 1
; LDSByteSize: 0 bytes/workgroup (compile time only)
; SGPRBlocks: 0
; VGPRBlocks: 0
; NumSGPRsForWavesPerEU: 1
; NumVGPRsForWavesPerEU: 1
; NamedBarCnt: 0
; Occupancy: 16
; WaveLimiterHint : 0
; COMPUTE_PGM_RSRC2:SCRATCH_EN: 0
; COMPUTE_PGM_RSRC2:USER_SGPR: 2
; COMPUTE_PGM_RSRC2:TRAP_HANDLER: 0
; COMPUTE_PGM_RSRC2:TGID_X_EN: 1
; COMPUTE_PGM_RSRC2:TGID_Y_EN: 0
; COMPUTE_PGM_RSRC2:TGID_Z_EN: 0
; COMPUTE_PGM_RSRC2:TIDIG_COMP_CNT: 0
	.section	.text._ZN7rocprim17ROCPRIM_400000_NS6detail17trampoline_kernelINS0_14default_configENS1_27scan_by_key_config_selectorIiiEEZZNS1_16scan_by_key_implILNS1_25lookback_scan_determinismE0ELb1ES3_N6thrust23THRUST_200600_302600_NS6detail15normal_iteratorINS9_10device_ptrIiEEEENSB_INSC_IjEEEENSB_INSC_IfEEEEiNS9_4plusIvEENS9_8equal_toIvEEiEE10hipError_tPvRmT2_T3_T4_T5_mT6_T7_P12ihipStream_tbENKUlT_T0_E_clISt17integral_constantIbLb0EES13_EEDaSY_SZ_EUlSY_E_NS1_11comp_targetILNS1_3genE3ELNS1_11target_archE908ELNS1_3gpuE7ELNS1_3repE0EEENS1_30default_config_static_selectorELNS0_4arch9wavefront6targetE0EEEvT1_,"axG",@progbits,_ZN7rocprim17ROCPRIM_400000_NS6detail17trampoline_kernelINS0_14default_configENS1_27scan_by_key_config_selectorIiiEEZZNS1_16scan_by_key_implILNS1_25lookback_scan_determinismE0ELb1ES3_N6thrust23THRUST_200600_302600_NS6detail15normal_iteratorINS9_10device_ptrIiEEEENSB_INSC_IjEEEENSB_INSC_IfEEEEiNS9_4plusIvEENS9_8equal_toIvEEiEE10hipError_tPvRmT2_T3_T4_T5_mT6_T7_P12ihipStream_tbENKUlT_T0_E_clISt17integral_constantIbLb0EES13_EEDaSY_SZ_EUlSY_E_NS1_11comp_targetILNS1_3genE3ELNS1_11target_archE908ELNS1_3gpuE7ELNS1_3repE0EEENS1_30default_config_static_selectorELNS0_4arch9wavefront6targetE0EEEvT1_,comdat
	.protected	_ZN7rocprim17ROCPRIM_400000_NS6detail17trampoline_kernelINS0_14default_configENS1_27scan_by_key_config_selectorIiiEEZZNS1_16scan_by_key_implILNS1_25lookback_scan_determinismE0ELb1ES3_N6thrust23THRUST_200600_302600_NS6detail15normal_iteratorINS9_10device_ptrIiEEEENSB_INSC_IjEEEENSB_INSC_IfEEEEiNS9_4plusIvEENS9_8equal_toIvEEiEE10hipError_tPvRmT2_T3_T4_T5_mT6_T7_P12ihipStream_tbENKUlT_T0_E_clISt17integral_constantIbLb0EES13_EEDaSY_SZ_EUlSY_E_NS1_11comp_targetILNS1_3genE3ELNS1_11target_archE908ELNS1_3gpuE7ELNS1_3repE0EEENS1_30default_config_static_selectorELNS0_4arch9wavefront6targetE0EEEvT1_ ; -- Begin function _ZN7rocprim17ROCPRIM_400000_NS6detail17trampoline_kernelINS0_14default_configENS1_27scan_by_key_config_selectorIiiEEZZNS1_16scan_by_key_implILNS1_25lookback_scan_determinismE0ELb1ES3_N6thrust23THRUST_200600_302600_NS6detail15normal_iteratorINS9_10device_ptrIiEEEENSB_INSC_IjEEEENSB_INSC_IfEEEEiNS9_4plusIvEENS9_8equal_toIvEEiEE10hipError_tPvRmT2_T3_T4_T5_mT6_T7_P12ihipStream_tbENKUlT_T0_E_clISt17integral_constantIbLb0EES13_EEDaSY_SZ_EUlSY_E_NS1_11comp_targetILNS1_3genE3ELNS1_11target_archE908ELNS1_3gpuE7ELNS1_3repE0EEENS1_30default_config_static_selectorELNS0_4arch9wavefront6targetE0EEEvT1_
	.globl	_ZN7rocprim17ROCPRIM_400000_NS6detail17trampoline_kernelINS0_14default_configENS1_27scan_by_key_config_selectorIiiEEZZNS1_16scan_by_key_implILNS1_25lookback_scan_determinismE0ELb1ES3_N6thrust23THRUST_200600_302600_NS6detail15normal_iteratorINS9_10device_ptrIiEEEENSB_INSC_IjEEEENSB_INSC_IfEEEEiNS9_4plusIvEENS9_8equal_toIvEEiEE10hipError_tPvRmT2_T3_T4_T5_mT6_T7_P12ihipStream_tbENKUlT_T0_E_clISt17integral_constantIbLb0EES13_EEDaSY_SZ_EUlSY_E_NS1_11comp_targetILNS1_3genE3ELNS1_11target_archE908ELNS1_3gpuE7ELNS1_3repE0EEENS1_30default_config_static_selectorELNS0_4arch9wavefront6targetE0EEEvT1_
	.p2align	8
	.type	_ZN7rocprim17ROCPRIM_400000_NS6detail17trampoline_kernelINS0_14default_configENS1_27scan_by_key_config_selectorIiiEEZZNS1_16scan_by_key_implILNS1_25lookback_scan_determinismE0ELb1ES3_N6thrust23THRUST_200600_302600_NS6detail15normal_iteratorINS9_10device_ptrIiEEEENSB_INSC_IjEEEENSB_INSC_IfEEEEiNS9_4plusIvEENS9_8equal_toIvEEiEE10hipError_tPvRmT2_T3_T4_T5_mT6_T7_P12ihipStream_tbENKUlT_T0_E_clISt17integral_constantIbLb0EES13_EEDaSY_SZ_EUlSY_E_NS1_11comp_targetILNS1_3genE3ELNS1_11target_archE908ELNS1_3gpuE7ELNS1_3repE0EEENS1_30default_config_static_selectorELNS0_4arch9wavefront6targetE0EEEvT1_,@function
_ZN7rocprim17ROCPRIM_400000_NS6detail17trampoline_kernelINS0_14default_configENS1_27scan_by_key_config_selectorIiiEEZZNS1_16scan_by_key_implILNS1_25lookback_scan_determinismE0ELb1ES3_N6thrust23THRUST_200600_302600_NS6detail15normal_iteratorINS9_10device_ptrIiEEEENSB_INSC_IjEEEENSB_INSC_IfEEEEiNS9_4plusIvEENS9_8equal_toIvEEiEE10hipError_tPvRmT2_T3_T4_T5_mT6_T7_P12ihipStream_tbENKUlT_T0_E_clISt17integral_constantIbLb0EES13_EEDaSY_SZ_EUlSY_E_NS1_11comp_targetILNS1_3genE3ELNS1_11target_archE908ELNS1_3gpuE7ELNS1_3repE0EEENS1_30default_config_static_selectorELNS0_4arch9wavefront6targetE0EEEvT1_: ; @_ZN7rocprim17ROCPRIM_400000_NS6detail17trampoline_kernelINS0_14default_configENS1_27scan_by_key_config_selectorIiiEEZZNS1_16scan_by_key_implILNS1_25lookback_scan_determinismE0ELb1ES3_N6thrust23THRUST_200600_302600_NS6detail15normal_iteratorINS9_10device_ptrIiEEEENSB_INSC_IjEEEENSB_INSC_IfEEEEiNS9_4plusIvEENS9_8equal_toIvEEiEE10hipError_tPvRmT2_T3_T4_T5_mT6_T7_P12ihipStream_tbENKUlT_T0_E_clISt17integral_constantIbLb0EES13_EEDaSY_SZ_EUlSY_E_NS1_11comp_targetILNS1_3genE3ELNS1_11target_archE908ELNS1_3gpuE7ELNS1_3repE0EEENS1_30default_config_static_selectorELNS0_4arch9wavefront6targetE0EEEvT1_
; %bb.0:
	.section	.rodata,"a",@progbits
	.p2align	6, 0x0
	.amdhsa_kernel _ZN7rocprim17ROCPRIM_400000_NS6detail17trampoline_kernelINS0_14default_configENS1_27scan_by_key_config_selectorIiiEEZZNS1_16scan_by_key_implILNS1_25lookback_scan_determinismE0ELb1ES3_N6thrust23THRUST_200600_302600_NS6detail15normal_iteratorINS9_10device_ptrIiEEEENSB_INSC_IjEEEENSB_INSC_IfEEEEiNS9_4plusIvEENS9_8equal_toIvEEiEE10hipError_tPvRmT2_T3_T4_T5_mT6_T7_P12ihipStream_tbENKUlT_T0_E_clISt17integral_constantIbLb0EES13_EEDaSY_SZ_EUlSY_E_NS1_11comp_targetILNS1_3genE3ELNS1_11target_archE908ELNS1_3gpuE7ELNS1_3repE0EEENS1_30default_config_static_selectorELNS0_4arch9wavefront6targetE0EEEvT1_
		.amdhsa_group_segment_fixed_size 0
		.amdhsa_private_segment_fixed_size 0
		.amdhsa_kernarg_size 112
		.amdhsa_user_sgpr_count 2
		.amdhsa_user_sgpr_dispatch_ptr 0
		.amdhsa_user_sgpr_queue_ptr 0
		.amdhsa_user_sgpr_kernarg_segment_ptr 1
		.amdhsa_user_sgpr_dispatch_id 0
		.amdhsa_user_sgpr_kernarg_preload_length 0
		.amdhsa_user_sgpr_kernarg_preload_offset 0
		.amdhsa_user_sgpr_private_segment_size 0
		.amdhsa_wavefront_size32 1
		.amdhsa_uses_dynamic_stack 0
		.amdhsa_enable_private_segment 0
		.amdhsa_system_sgpr_workgroup_id_x 1
		.amdhsa_system_sgpr_workgroup_id_y 0
		.amdhsa_system_sgpr_workgroup_id_z 0
		.amdhsa_system_sgpr_workgroup_info 0
		.amdhsa_system_vgpr_workitem_id 0
		.amdhsa_next_free_vgpr 1
		.amdhsa_next_free_sgpr 1
		.amdhsa_named_barrier_count 0
		.amdhsa_reserve_vcc 0
		.amdhsa_float_round_mode_32 0
		.amdhsa_float_round_mode_16_64 0
		.amdhsa_float_denorm_mode_32 3
		.amdhsa_float_denorm_mode_16_64 3
		.amdhsa_fp16_overflow 0
		.amdhsa_memory_ordered 1
		.amdhsa_forward_progress 1
		.amdhsa_inst_pref_size 0
		.amdhsa_round_robin_scheduling 0
		.amdhsa_exception_fp_ieee_invalid_op 0
		.amdhsa_exception_fp_denorm_src 0
		.amdhsa_exception_fp_ieee_div_zero 0
		.amdhsa_exception_fp_ieee_overflow 0
		.amdhsa_exception_fp_ieee_underflow 0
		.amdhsa_exception_fp_ieee_inexact 0
		.amdhsa_exception_int_div_zero 0
	.end_amdhsa_kernel
	.section	.text._ZN7rocprim17ROCPRIM_400000_NS6detail17trampoline_kernelINS0_14default_configENS1_27scan_by_key_config_selectorIiiEEZZNS1_16scan_by_key_implILNS1_25lookback_scan_determinismE0ELb1ES3_N6thrust23THRUST_200600_302600_NS6detail15normal_iteratorINS9_10device_ptrIiEEEENSB_INSC_IjEEEENSB_INSC_IfEEEEiNS9_4plusIvEENS9_8equal_toIvEEiEE10hipError_tPvRmT2_T3_T4_T5_mT6_T7_P12ihipStream_tbENKUlT_T0_E_clISt17integral_constantIbLb0EES13_EEDaSY_SZ_EUlSY_E_NS1_11comp_targetILNS1_3genE3ELNS1_11target_archE908ELNS1_3gpuE7ELNS1_3repE0EEENS1_30default_config_static_selectorELNS0_4arch9wavefront6targetE0EEEvT1_,"axG",@progbits,_ZN7rocprim17ROCPRIM_400000_NS6detail17trampoline_kernelINS0_14default_configENS1_27scan_by_key_config_selectorIiiEEZZNS1_16scan_by_key_implILNS1_25lookback_scan_determinismE0ELb1ES3_N6thrust23THRUST_200600_302600_NS6detail15normal_iteratorINS9_10device_ptrIiEEEENSB_INSC_IjEEEENSB_INSC_IfEEEEiNS9_4plusIvEENS9_8equal_toIvEEiEE10hipError_tPvRmT2_T3_T4_T5_mT6_T7_P12ihipStream_tbENKUlT_T0_E_clISt17integral_constantIbLb0EES13_EEDaSY_SZ_EUlSY_E_NS1_11comp_targetILNS1_3genE3ELNS1_11target_archE908ELNS1_3gpuE7ELNS1_3repE0EEENS1_30default_config_static_selectorELNS0_4arch9wavefront6targetE0EEEvT1_,comdat
.Lfunc_end1720:
	.size	_ZN7rocprim17ROCPRIM_400000_NS6detail17trampoline_kernelINS0_14default_configENS1_27scan_by_key_config_selectorIiiEEZZNS1_16scan_by_key_implILNS1_25lookback_scan_determinismE0ELb1ES3_N6thrust23THRUST_200600_302600_NS6detail15normal_iteratorINS9_10device_ptrIiEEEENSB_INSC_IjEEEENSB_INSC_IfEEEEiNS9_4plusIvEENS9_8equal_toIvEEiEE10hipError_tPvRmT2_T3_T4_T5_mT6_T7_P12ihipStream_tbENKUlT_T0_E_clISt17integral_constantIbLb0EES13_EEDaSY_SZ_EUlSY_E_NS1_11comp_targetILNS1_3genE3ELNS1_11target_archE908ELNS1_3gpuE7ELNS1_3repE0EEENS1_30default_config_static_selectorELNS0_4arch9wavefront6targetE0EEEvT1_, .Lfunc_end1720-_ZN7rocprim17ROCPRIM_400000_NS6detail17trampoline_kernelINS0_14default_configENS1_27scan_by_key_config_selectorIiiEEZZNS1_16scan_by_key_implILNS1_25lookback_scan_determinismE0ELb1ES3_N6thrust23THRUST_200600_302600_NS6detail15normal_iteratorINS9_10device_ptrIiEEEENSB_INSC_IjEEEENSB_INSC_IfEEEEiNS9_4plusIvEENS9_8equal_toIvEEiEE10hipError_tPvRmT2_T3_T4_T5_mT6_T7_P12ihipStream_tbENKUlT_T0_E_clISt17integral_constantIbLb0EES13_EEDaSY_SZ_EUlSY_E_NS1_11comp_targetILNS1_3genE3ELNS1_11target_archE908ELNS1_3gpuE7ELNS1_3repE0EEENS1_30default_config_static_selectorELNS0_4arch9wavefront6targetE0EEEvT1_
                                        ; -- End function
	.set _ZN7rocprim17ROCPRIM_400000_NS6detail17trampoline_kernelINS0_14default_configENS1_27scan_by_key_config_selectorIiiEEZZNS1_16scan_by_key_implILNS1_25lookback_scan_determinismE0ELb1ES3_N6thrust23THRUST_200600_302600_NS6detail15normal_iteratorINS9_10device_ptrIiEEEENSB_INSC_IjEEEENSB_INSC_IfEEEEiNS9_4plusIvEENS9_8equal_toIvEEiEE10hipError_tPvRmT2_T3_T4_T5_mT6_T7_P12ihipStream_tbENKUlT_T0_E_clISt17integral_constantIbLb0EES13_EEDaSY_SZ_EUlSY_E_NS1_11comp_targetILNS1_3genE3ELNS1_11target_archE908ELNS1_3gpuE7ELNS1_3repE0EEENS1_30default_config_static_selectorELNS0_4arch9wavefront6targetE0EEEvT1_.num_vgpr, 0
	.set _ZN7rocprim17ROCPRIM_400000_NS6detail17trampoline_kernelINS0_14default_configENS1_27scan_by_key_config_selectorIiiEEZZNS1_16scan_by_key_implILNS1_25lookback_scan_determinismE0ELb1ES3_N6thrust23THRUST_200600_302600_NS6detail15normal_iteratorINS9_10device_ptrIiEEEENSB_INSC_IjEEEENSB_INSC_IfEEEEiNS9_4plusIvEENS9_8equal_toIvEEiEE10hipError_tPvRmT2_T3_T4_T5_mT6_T7_P12ihipStream_tbENKUlT_T0_E_clISt17integral_constantIbLb0EES13_EEDaSY_SZ_EUlSY_E_NS1_11comp_targetILNS1_3genE3ELNS1_11target_archE908ELNS1_3gpuE7ELNS1_3repE0EEENS1_30default_config_static_selectorELNS0_4arch9wavefront6targetE0EEEvT1_.num_agpr, 0
	.set _ZN7rocprim17ROCPRIM_400000_NS6detail17trampoline_kernelINS0_14default_configENS1_27scan_by_key_config_selectorIiiEEZZNS1_16scan_by_key_implILNS1_25lookback_scan_determinismE0ELb1ES3_N6thrust23THRUST_200600_302600_NS6detail15normal_iteratorINS9_10device_ptrIiEEEENSB_INSC_IjEEEENSB_INSC_IfEEEEiNS9_4plusIvEENS9_8equal_toIvEEiEE10hipError_tPvRmT2_T3_T4_T5_mT6_T7_P12ihipStream_tbENKUlT_T0_E_clISt17integral_constantIbLb0EES13_EEDaSY_SZ_EUlSY_E_NS1_11comp_targetILNS1_3genE3ELNS1_11target_archE908ELNS1_3gpuE7ELNS1_3repE0EEENS1_30default_config_static_selectorELNS0_4arch9wavefront6targetE0EEEvT1_.numbered_sgpr, 0
	.set _ZN7rocprim17ROCPRIM_400000_NS6detail17trampoline_kernelINS0_14default_configENS1_27scan_by_key_config_selectorIiiEEZZNS1_16scan_by_key_implILNS1_25lookback_scan_determinismE0ELb1ES3_N6thrust23THRUST_200600_302600_NS6detail15normal_iteratorINS9_10device_ptrIiEEEENSB_INSC_IjEEEENSB_INSC_IfEEEEiNS9_4plusIvEENS9_8equal_toIvEEiEE10hipError_tPvRmT2_T3_T4_T5_mT6_T7_P12ihipStream_tbENKUlT_T0_E_clISt17integral_constantIbLb0EES13_EEDaSY_SZ_EUlSY_E_NS1_11comp_targetILNS1_3genE3ELNS1_11target_archE908ELNS1_3gpuE7ELNS1_3repE0EEENS1_30default_config_static_selectorELNS0_4arch9wavefront6targetE0EEEvT1_.num_named_barrier, 0
	.set _ZN7rocprim17ROCPRIM_400000_NS6detail17trampoline_kernelINS0_14default_configENS1_27scan_by_key_config_selectorIiiEEZZNS1_16scan_by_key_implILNS1_25lookback_scan_determinismE0ELb1ES3_N6thrust23THRUST_200600_302600_NS6detail15normal_iteratorINS9_10device_ptrIiEEEENSB_INSC_IjEEEENSB_INSC_IfEEEEiNS9_4plusIvEENS9_8equal_toIvEEiEE10hipError_tPvRmT2_T3_T4_T5_mT6_T7_P12ihipStream_tbENKUlT_T0_E_clISt17integral_constantIbLb0EES13_EEDaSY_SZ_EUlSY_E_NS1_11comp_targetILNS1_3genE3ELNS1_11target_archE908ELNS1_3gpuE7ELNS1_3repE0EEENS1_30default_config_static_selectorELNS0_4arch9wavefront6targetE0EEEvT1_.private_seg_size, 0
	.set _ZN7rocprim17ROCPRIM_400000_NS6detail17trampoline_kernelINS0_14default_configENS1_27scan_by_key_config_selectorIiiEEZZNS1_16scan_by_key_implILNS1_25lookback_scan_determinismE0ELb1ES3_N6thrust23THRUST_200600_302600_NS6detail15normal_iteratorINS9_10device_ptrIiEEEENSB_INSC_IjEEEENSB_INSC_IfEEEEiNS9_4plusIvEENS9_8equal_toIvEEiEE10hipError_tPvRmT2_T3_T4_T5_mT6_T7_P12ihipStream_tbENKUlT_T0_E_clISt17integral_constantIbLb0EES13_EEDaSY_SZ_EUlSY_E_NS1_11comp_targetILNS1_3genE3ELNS1_11target_archE908ELNS1_3gpuE7ELNS1_3repE0EEENS1_30default_config_static_selectorELNS0_4arch9wavefront6targetE0EEEvT1_.uses_vcc, 0
	.set _ZN7rocprim17ROCPRIM_400000_NS6detail17trampoline_kernelINS0_14default_configENS1_27scan_by_key_config_selectorIiiEEZZNS1_16scan_by_key_implILNS1_25lookback_scan_determinismE0ELb1ES3_N6thrust23THRUST_200600_302600_NS6detail15normal_iteratorINS9_10device_ptrIiEEEENSB_INSC_IjEEEENSB_INSC_IfEEEEiNS9_4plusIvEENS9_8equal_toIvEEiEE10hipError_tPvRmT2_T3_T4_T5_mT6_T7_P12ihipStream_tbENKUlT_T0_E_clISt17integral_constantIbLb0EES13_EEDaSY_SZ_EUlSY_E_NS1_11comp_targetILNS1_3genE3ELNS1_11target_archE908ELNS1_3gpuE7ELNS1_3repE0EEENS1_30default_config_static_selectorELNS0_4arch9wavefront6targetE0EEEvT1_.uses_flat_scratch, 0
	.set _ZN7rocprim17ROCPRIM_400000_NS6detail17trampoline_kernelINS0_14default_configENS1_27scan_by_key_config_selectorIiiEEZZNS1_16scan_by_key_implILNS1_25lookback_scan_determinismE0ELb1ES3_N6thrust23THRUST_200600_302600_NS6detail15normal_iteratorINS9_10device_ptrIiEEEENSB_INSC_IjEEEENSB_INSC_IfEEEEiNS9_4plusIvEENS9_8equal_toIvEEiEE10hipError_tPvRmT2_T3_T4_T5_mT6_T7_P12ihipStream_tbENKUlT_T0_E_clISt17integral_constantIbLb0EES13_EEDaSY_SZ_EUlSY_E_NS1_11comp_targetILNS1_3genE3ELNS1_11target_archE908ELNS1_3gpuE7ELNS1_3repE0EEENS1_30default_config_static_selectorELNS0_4arch9wavefront6targetE0EEEvT1_.has_dyn_sized_stack, 0
	.set _ZN7rocprim17ROCPRIM_400000_NS6detail17trampoline_kernelINS0_14default_configENS1_27scan_by_key_config_selectorIiiEEZZNS1_16scan_by_key_implILNS1_25lookback_scan_determinismE0ELb1ES3_N6thrust23THRUST_200600_302600_NS6detail15normal_iteratorINS9_10device_ptrIiEEEENSB_INSC_IjEEEENSB_INSC_IfEEEEiNS9_4plusIvEENS9_8equal_toIvEEiEE10hipError_tPvRmT2_T3_T4_T5_mT6_T7_P12ihipStream_tbENKUlT_T0_E_clISt17integral_constantIbLb0EES13_EEDaSY_SZ_EUlSY_E_NS1_11comp_targetILNS1_3genE3ELNS1_11target_archE908ELNS1_3gpuE7ELNS1_3repE0EEENS1_30default_config_static_selectorELNS0_4arch9wavefront6targetE0EEEvT1_.has_recursion, 0
	.set _ZN7rocprim17ROCPRIM_400000_NS6detail17trampoline_kernelINS0_14default_configENS1_27scan_by_key_config_selectorIiiEEZZNS1_16scan_by_key_implILNS1_25lookback_scan_determinismE0ELb1ES3_N6thrust23THRUST_200600_302600_NS6detail15normal_iteratorINS9_10device_ptrIiEEEENSB_INSC_IjEEEENSB_INSC_IfEEEEiNS9_4plusIvEENS9_8equal_toIvEEiEE10hipError_tPvRmT2_T3_T4_T5_mT6_T7_P12ihipStream_tbENKUlT_T0_E_clISt17integral_constantIbLb0EES13_EEDaSY_SZ_EUlSY_E_NS1_11comp_targetILNS1_3genE3ELNS1_11target_archE908ELNS1_3gpuE7ELNS1_3repE0EEENS1_30default_config_static_selectorELNS0_4arch9wavefront6targetE0EEEvT1_.has_indirect_call, 0
	.section	.AMDGPU.csdata,"",@progbits
; Kernel info:
; codeLenInByte = 0
; TotalNumSgprs: 0
; NumVgprs: 0
; ScratchSize: 0
; MemoryBound: 0
; FloatMode: 240
; IeeeMode: 1
; LDSByteSize: 0 bytes/workgroup (compile time only)
; SGPRBlocks: 0
; VGPRBlocks: 0
; NumSGPRsForWavesPerEU: 1
; NumVGPRsForWavesPerEU: 1
; NamedBarCnt: 0
; Occupancy: 16
; WaveLimiterHint : 0
; COMPUTE_PGM_RSRC2:SCRATCH_EN: 0
; COMPUTE_PGM_RSRC2:USER_SGPR: 2
; COMPUTE_PGM_RSRC2:TRAP_HANDLER: 0
; COMPUTE_PGM_RSRC2:TGID_X_EN: 1
; COMPUTE_PGM_RSRC2:TGID_Y_EN: 0
; COMPUTE_PGM_RSRC2:TGID_Z_EN: 0
; COMPUTE_PGM_RSRC2:TIDIG_COMP_CNT: 0
	.section	.text._ZN7rocprim17ROCPRIM_400000_NS6detail17trampoline_kernelINS0_14default_configENS1_27scan_by_key_config_selectorIiiEEZZNS1_16scan_by_key_implILNS1_25lookback_scan_determinismE0ELb1ES3_N6thrust23THRUST_200600_302600_NS6detail15normal_iteratorINS9_10device_ptrIiEEEENSB_INSC_IjEEEENSB_INSC_IfEEEEiNS9_4plusIvEENS9_8equal_toIvEEiEE10hipError_tPvRmT2_T3_T4_T5_mT6_T7_P12ihipStream_tbENKUlT_T0_E_clISt17integral_constantIbLb0EES13_EEDaSY_SZ_EUlSY_E_NS1_11comp_targetILNS1_3genE2ELNS1_11target_archE906ELNS1_3gpuE6ELNS1_3repE0EEENS1_30default_config_static_selectorELNS0_4arch9wavefront6targetE0EEEvT1_,"axG",@progbits,_ZN7rocprim17ROCPRIM_400000_NS6detail17trampoline_kernelINS0_14default_configENS1_27scan_by_key_config_selectorIiiEEZZNS1_16scan_by_key_implILNS1_25lookback_scan_determinismE0ELb1ES3_N6thrust23THRUST_200600_302600_NS6detail15normal_iteratorINS9_10device_ptrIiEEEENSB_INSC_IjEEEENSB_INSC_IfEEEEiNS9_4plusIvEENS9_8equal_toIvEEiEE10hipError_tPvRmT2_T3_T4_T5_mT6_T7_P12ihipStream_tbENKUlT_T0_E_clISt17integral_constantIbLb0EES13_EEDaSY_SZ_EUlSY_E_NS1_11comp_targetILNS1_3genE2ELNS1_11target_archE906ELNS1_3gpuE6ELNS1_3repE0EEENS1_30default_config_static_selectorELNS0_4arch9wavefront6targetE0EEEvT1_,comdat
	.protected	_ZN7rocprim17ROCPRIM_400000_NS6detail17trampoline_kernelINS0_14default_configENS1_27scan_by_key_config_selectorIiiEEZZNS1_16scan_by_key_implILNS1_25lookback_scan_determinismE0ELb1ES3_N6thrust23THRUST_200600_302600_NS6detail15normal_iteratorINS9_10device_ptrIiEEEENSB_INSC_IjEEEENSB_INSC_IfEEEEiNS9_4plusIvEENS9_8equal_toIvEEiEE10hipError_tPvRmT2_T3_T4_T5_mT6_T7_P12ihipStream_tbENKUlT_T0_E_clISt17integral_constantIbLb0EES13_EEDaSY_SZ_EUlSY_E_NS1_11comp_targetILNS1_3genE2ELNS1_11target_archE906ELNS1_3gpuE6ELNS1_3repE0EEENS1_30default_config_static_selectorELNS0_4arch9wavefront6targetE0EEEvT1_ ; -- Begin function _ZN7rocprim17ROCPRIM_400000_NS6detail17trampoline_kernelINS0_14default_configENS1_27scan_by_key_config_selectorIiiEEZZNS1_16scan_by_key_implILNS1_25lookback_scan_determinismE0ELb1ES3_N6thrust23THRUST_200600_302600_NS6detail15normal_iteratorINS9_10device_ptrIiEEEENSB_INSC_IjEEEENSB_INSC_IfEEEEiNS9_4plusIvEENS9_8equal_toIvEEiEE10hipError_tPvRmT2_T3_T4_T5_mT6_T7_P12ihipStream_tbENKUlT_T0_E_clISt17integral_constantIbLb0EES13_EEDaSY_SZ_EUlSY_E_NS1_11comp_targetILNS1_3genE2ELNS1_11target_archE906ELNS1_3gpuE6ELNS1_3repE0EEENS1_30default_config_static_selectorELNS0_4arch9wavefront6targetE0EEEvT1_
	.globl	_ZN7rocprim17ROCPRIM_400000_NS6detail17trampoline_kernelINS0_14default_configENS1_27scan_by_key_config_selectorIiiEEZZNS1_16scan_by_key_implILNS1_25lookback_scan_determinismE0ELb1ES3_N6thrust23THRUST_200600_302600_NS6detail15normal_iteratorINS9_10device_ptrIiEEEENSB_INSC_IjEEEENSB_INSC_IfEEEEiNS9_4plusIvEENS9_8equal_toIvEEiEE10hipError_tPvRmT2_T3_T4_T5_mT6_T7_P12ihipStream_tbENKUlT_T0_E_clISt17integral_constantIbLb0EES13_EEDaSY_SZ_EUlSY_E_NS1_11comp_targetILNS1_3genE2ELNS1_11target_archE906ELNS1_3gpuE6ELNS1_3repE0EEENS1_30default_config_static_selectorELNS0_4arch9wavefront6targetE0EEEvT1_
	.p2align	8
	.type	_ZN7rocprim17ROCPRIM_400000_NS6detail17trampoline_kernelINS0_14default_configENS1_27scan_by_key_config_selectorIiiEEZZNS1_16scan_by_key_implILNS1_25lookback_scan_determinismE0ELb1ES3_N6thrust23THRUST_200600_302600_NS6detail15normal_iteratorINS9_10device_ptrIiEEEENSB_INSC_IjEEEENSB_INSC_IfEEEEiNS9_4plusIvEENS9_8equal_toIvEEiEE10hipError_tPvRmT2_T3_T4_T5_mT6_T7_P12ihipStream_tbENKUlT_T0_E_clISt17integral_constantIbLb0EES13_EEDaSY_SZ_EUlSY_E_NS1_11comp_targetILNS1_3genE2ELNS1_11target_archE906ELNS1_3gpuE6ELNS1_3repE0EEENS1_30default_config_static_selectorELNS0_4arch9wavefront6targetE0EEEvT1_,@function
_ZN7rocprim17ROCPRIM_400000_NS6detail17trampoline_kernelINS0_14default_configENS1_27scan_by_key_config_selectorIiiEEZZNS1_16scan_by_key_implILNS1_25lookback_scan_determinismE0ELb1ES3_N6thrust23THRUST_200600_302600_NS6detail15normal_iteratorINS9_10device_ptrIiEEEENSB_INSC_IjEEEENSB_INSC_IfEEEEiNS9_4plusIvEENS9_8equal_toIvEEiEE10hipError_tPvRmT2_T3_T4_T5_mT6_T7_P12ihipStream_tbENKUlT_T0_E_clISt17integral_constantIbLb0EES13_EEDaSY_SZ_EUlSY_E_NS1_11comp_targetILNS1_3genE2ELNS1_11target_archE906ELNS1_3gpuE6ELNS1_3repE0EEENS1_30default_config_static_selectorELNS0_4arch9wavefront6targetE0EEEvT1_: ; @_ZN7rocprim17ROCPRIM_400000_NS6detail17trampoline_kernelINS0_14default_configENS1_27scan_by_key_config_selectorIiiEEZZNS1_16scan_by_key_implILNS1_25lookback_scan_determinismE0ELb1ES3_N6thrust23THRUST_200600_302600_NS6detail15normal_iteratorINS9_10device_ptrIiEEEENSB_INSC_IjEEEENSB_INSC_IfEEEEiNS9_4plusIvEENS9_8equal_toIvEEiEE10hipError_tPvRmT2_T3_T4_T5_mT6_T7_P12ihipStream_tbENKUlT_T0_E_clISt17integral_constantIbLb0EES13_EEDaSY_SZ_EUlSY_E_NS1_11comp_targetILNS1_3genE2ELNS1_11target_archE906ELNS1_3gpuE6ELNS1_3repE0EEENS1_30default_config_static_selectorELNS0_4arch9wavefront6targetE0EEEvT1_
; %bb.0:
	.section	.rodata,"a",@progbits
	.p2align	6, 0x0
	.amdhsa_kernel _ZN7rocprim17ROCPRIM_400000_NS6detail17trampoline_kernelINS0_14default_configENS1_27scan_by_key_config_selectorIiiEEZZNS1_16scan_by_key_implILNS1_25lookback_scan_determinismE0ELb1ES3_N6thrust23THRUST_200600_302600_NS6detail15normal_iteratorINS9_10device_ptrIiEEEENSB_INSC_IjEEEENSB_INSC_IfEEEEiNS9_4plusIvEENS9_8equal_toIvEEiEE10hipError_tPvRmT2_T3_T4_T5_mT6_T7_P12ihipStream_tbENKUlT_T0_E_clISt17integral_constantIbLb0EES13_EEDaSY_SZ_EUlSY_E_NS1_11comp_targetILNS1_3genE2ELNS1_11target_archE906ELNS1_3gpuE6ELNS1_3repE0EEENS1_30default_config_static_selectorELNS0_4arch9wavefront6targetE0EEEvT1_
		.amdhsa_group_segment_fixed_size 0
		.amdhsa_private_segment_fixed_size 0
		.amdhsa_kernarg_size 112
		.amdhsa_user_sgpr_count 2
		.amdhsa_user_sgpr_dispatch_ptr 0
		.amdhsa_user_sgpr_queue_ptr 0
		.amdhsa_user_sgpr_kernarg_segment_ptr 1
		.amdhsa_user_sgpr_dispatch_id 0
		.amdhsa_user_sgpr_kernarg_preload_length 0
		.amdhsa_user_sgpr_kernarg_preload_offset 0
		.amdhsa_user_sgpr_private_segment_size 0
		.amdhsa_wavefront_size32 1
		.amdhsa_uses_dynamic_stack 0
		.amdhsa_enable_private_segment 0
		.amdhsa_system_sgpr_workgroup_id_x 1
		.amdhsa_system_sgpr_workgroup_id_y 0
		.amdhsa_system_sgpr_workgroup_id_z 0
		.amdhsa_system_sgpr_workgroup_info 0
		.amdhsa_system_vgpr_workitem_id 0
		.amdhsa_next_free_vgpr 1
		.amdhsa_next_free_sgpr 1
		.amdhsa_named_barrier_count 0
		.amdhsa_reserve_vcc 0
		.amdhsa_float_round_mode_32 0
		.amdhsa_float_round_mode_16_64 0
		.amdhsa_float_denorm_mode_32 3
		.amdhsa_float_denorm_mode_16_64 3
		.amdhsa_fp16_overflow 0
		.amdhsa_memory_ordered 1
		.amdhsa_forward_progress 1
		.amdhsa_inst_pref_size 0
		.amdhsa_round_robin_scheduling 0
		.amdhsa_exception_fp_ieee_invalid_op 0
		.amdhsa_exception_fp_denorm_src 0
		.amdhsa_exception_fp_ieee_div_zero 0
		.amdhsa_exception_fp_ieee_overflow 0
		.amdhsa_exception_fp_ieee_underflow 0
		.amdhsa_exception_fp_ieee_inexact 0
		.amdhsa_exception_int_div_zero 0
	.end_amdhsa_kernel
	.section	.text._ZN7rocprim17ROCPRIM_400000_NS6detail17trampoline_kernelINS0_14default_configENS1_27scan_by_key_config_selectorIiiEEZZNS1_16scan_by_key_implILNS1_25lookback_scan_determinismE0ELb1ES3_N6thrust23THRUST_200600_302600_NS6detail15normal_iteratorINS9_10device_ptrIiEEEENSB_INSC_IjEEEENSB_INSC_IfEEEEiNS9_4plusIvEENS9_8equal_toIvEEiEE10hipError_tPvRmT2_T3_T4_T5_mT6_T7_P12ihipStream_tbENKUlT_T0_E_clISt17integral_constantIbLb0EES13_EEDaSY_SZ_EUlSY_E_NS1_11comp_targetILNS1_3genE2ELNS1_11target_archE906ELNS1_3gpuE6ELNS1_3repE0EEENS1_30default_config_static_selectorELNS0_4arch9wavefront6targetE0EEEvT1_,"axG",@progbits,_ZN7rocprim17ROCPRIM_400000_NS6detail17trampoline_kernelINS0_14default_configENS1_27scan_by_key_config_selectorIiiEEZZNS1_16scan_by_key_implILNS1_25lookback_scan_determinismE0ELb1ES3_N6thrust23THRUST_200600_302600_NS6detail15normal_iteratorINS9_10device_ptrIiEEEENSB_INSC_IjEEEENSB_INSC_IfEEEEiNS9_4plusIvEENS9_8equal_toIvEEiEE10hipError_tPvRmT2_T3_T4_T5_mT6_T7_P12ihipStream_tbENKUlT_T0_E_clISt17integral_constantIbLb0EES13_EEDaSY_SZ_EUlSY_E_NS1_11comp_targetILNS1_3genE2ELNS1_11target_archE906ELNS1_3gpuE6ELNS1_3repE0EEENS1_30default_config_static_selectorELNS0_4arch9wavefront6targetE0EEEvT1_,comdat
.Lfunc_end1721:
	.size	_ZN7rocprim17ROCPRIM_400000_NS6detail17trampoline_kernelINS0_14default_configENS1_27scan_by_key_config_selectorIiiEEZZNS1_16scan_by_key_implILNS1_25lookback_scan_determinismE0ELb1ES3_N6thrust23THRUST_200600_302600_NS6detail15normal_iteratorINS9_10device_ptrIiEEEENSB_INSC_IjEEEENSB_INSC_IfEEEEiNS9_4plusIvEENS9_8equal_toIvEEiEE10hipError_tPvRmT2_T3_T4_T5_mT6_T7_P12ihipStream_tbENKUlT_T0_E_clISt17integral_constantIbLb0EES13_EEDaSY_SZ_EUlSY_E_NS1_11comp_targetILNS1_3genE2ELNS1_11target_archE906ELNS1_3gpuE6ELNS1_3repE0EEENS1_30default_config_static_selectorELNS0_4arch9wavefront6targetE0EEEvT1_, .Lfunc_end1721-_ZN7rocprim17ROCPRIM_400000_NS6detail17trampoline_kernelINS0_14default_configENS1_27scan_by_key_config_selectorIiiEEZZNS1_16scan_by_key_implILNS1_25lookback_scan_determinismE0ELb1ES3_N6thrust23THRUST_200600_302600_NS6detail15normal_iteratorINS9_10device_ptrIiEEEENSB_INSC_IjEEEENSB_INSC_IfEEEEiNS9_4plusIvEENS9_8equal_toIvEEiEE10hipError_tPvRmT2_T3_T4_T5_mT6_T7_P12ihipStream_tbENKUlT_T0_E_clISt17integral_constantIbLb0EES13_EEDaSY_SZ_EUlSY_E_NS1_11comp_targetILNS1_3genE2ELNS1_11target_archE906ELNS1_3gpuE6ELNS1_3repE0EEENS1_30default_config_static_selectorELNS0_4arch9wavefront6targetE0EEEvT1_
                                        ; -- End function
	.set _ZN7rocprim17ROCPRIM_400000_NS6detail17trampoline_kernelINS0_14default_configENS1_27scan_by_key_config_selectorIiiEEZZNS1_16scan_by_key_implILNS1_25lookback_scan_determinismE0ELb1ES3_N6thrust23THRUST_200600_302600_NS6detail15normal_iteratorINS9_10device_ptrIiEEEENSB_INSC_IjEEEENSB_INSC_IfEEEEiNS9_4plusIvEENS9_8equal_toIvEEiEE10hipError_tPvRmT2_T3_T4_T5_mT6_T7_P12ihipStream_tbENKUlT_T0_E_clISt17integral_constantIbLb0EES13_EEDaSY_SZ_EUlSY_E_NS1_11comp_targetILNS1_3genE2ELNS1_11target_archE906ELNS1_3gpuE6ELNS1_3repE0EEENS1_30default_config_static_selectorELNS0_4arch9wavefront6targetE0EEEvT1_.num_vgpr, 0
	.set _ZN7rocprim17ROCPRIM_400000_NS6detail17trampoline_kernelINS0_14default_configENS1_27scan_by_key_config_selectorIiiEEZZNS1_16scan_by_key_implILNS1_25lookback_scan_determinismE0ELb1ES3_N6thrust23THRUST_200600_302600_NS6detail15normal_iteratorINS9_10device_ptrIiEEEENSB_INSC_IjEEEENSB_INSC_IfEEEEiNS9_4plusIvEENS9_8equal_toIvEEiEE10hipError_tPvRmT2_T3_T4_T5_mT6_T7_P12ihipStream_tbENKUlT_T0_E_clISt17integral_constantIbLb0EES13_EEDaSY_SZ_EUlSY_E_NS1_11comp_targetILNS1_3genE2ELNS1_11target_archE906ELNS1_3gpuE6ELNS1_3repE0EEENS1_30default_config_static_selectorELNS0_4arch9wavefront6targetE0EEEvT1_.num_agpr, 0
	.set _ZN7rocprim17ROCPRIM_400000_NS6detail17trampoline_kernelINS0_14default_configENS1_27scan_by_key_config_selectorIiiEEZZNS1_16scan_by_key_implILNS1_25lookback_scan_determinismE0ELb1ES3_N6thrust23THRUST_200600_302600_NS6detail15normal_iteratorINS9_10device_ptrIiEEEENSB_INSC_IjEEEENSB_INSC_IfEEEEiNS9_4plusIvEENS9_8equal_toIvEEiEE10hipError_tPvRmT2_T3_T4_T5_mT6_T7_P12ihipStream_tbENKUlT_T0_E_clISt17integral_constantIbLb0EES13_EEDaSY_SZ_EUlSY_E_NS1_11comp_targetILNS1_3genE2ELNS1_11target_archE906ELNS1_3gpuE6ELNS1_3repE0EEENS1_30default_config_static_selectorELNS0_4arch9wavefront6targetE0EEEvT1_.numbered_sgpr, 0
	.set _ZN7rocprim17ROCPRIM_400000_NS6detail17trampoline_kernelINS0_14default_configENS1_27scan_by_key_config_selectorIiiEEZZNS1_16scan_by_key_implILNS1_25lookback_scan_determinismE0ELb1ES3_N6thrust23THRUST_200600_302600_NS6detail15normal_iteratorINS9_10device_ptrIiEEEENSB_INSC_IjEEEENSB_INSC_IfEEEEiNS9_4plusIvEENS9_8equal_toIvEEiEE10hipError_tPvRmT2_T3_T4_T5_mT6_T7_P12ihipStream_tbENKUlT_T0_E_clISt17integral_constantIbLb0EES13_EEDaSY_SZ_EUlSY_E_NS1_11comp_targetILNS1_3genE2ELNS1_11target_archE906ELNS1_3gpuE6ELNS1_3repE0EEENS1_30default_config_static_selectorELNS0_4arch9wavefront6targetE0EEEvT1_.num_named_barrier, 0
	.set _ZN7rocprim17ROCPRIM_400000_NS6detail17trampoline_kernelINS0_14default_configENS1_27scan_by_key_config_selectorIiiEEZZNS1_16scan_by_key_implILNS1_25lookback_scan_determinismE0ELb1ES3_N6thrust23THRUST_200600_302600_NS6detail15normal_iteratorINS9_10device_ptrIiEEEENSB_INSC_IjEEEENSB_INSC_IfEEEEiNS9_4plusIvEENS9_8equal_toIvEEiEE10hipError_tPvRmT2_T3_T4_T5_mT6_T7_P12ihipStream_tbENKUlT_T0_E_clISt17integral_constantIbLb0EES13_EEDaSY_SZ_EUlSY_E_NS1_11comp_targetILNS1_3genE2ELNS1_11target_archE906ELNS1_3gpuE6ELNS1_3repE0EEENS1_30default_config_static_selectorELNS0_4arch9wavefront6targetE0EEEvT1_.private_seg_size, 0
	.set _ZN7rocprim17ROCPRIM_400000_NS6detail17trampoline_kernelINS0_14default_configENS1_27scan_by_key_config_selectorIiiEEZZNS1_16scan_by_key_implILNS1_25lookback_scan_determinismE0ELb1ES3_N6thrust23THRUST_200600_302600_NS6detail15normal_iteratorINS9_10device_ptrIiEEEENSB_INSC_IjEEEENSB_INSC_IfEEEEiNS9_4plusIvEENS9_8equal_toIvEEiEE10hipError_tPvRmT2_T3_T4_T5_mT6_T7_P12ihipStream_tbENKUlT_T0_E_clISt17integral_constantIbLb0EES13_EEDaSY_SZ_EUlSY_E_NS1_11comp_targetILNS1_3genE2ELNS1_11target_archE906ELNS1_3gpuE6ELNS1_3repE0EEENS1_30default_config_static_selectorELNS0_4arch9wavefront6targetE0EEEvT1_.uses_vcc, 0
	.set _ZN7rocprim17ROCPRIM_400000_NS6detail17trampoline_kernelINS0_14default_configENS1_27scan_by_key_config_selectorIiiEEZZNS1_16scan_by_key_implILNS1_25lookback_scan_determinismE0ELb1ES3_N6thrust23THRUST_200600_302600_NS6detail15normal_iteratorINS9_10device_ptrIiEEEENSB_INSC_IjEEEENSB_INSC_IfEEEEiNS9_4plusIvEENS9_8equal_toIvEEiEE10hipError_tPvRmT2_T3_T4_T5_mT6_T7_P12ihipStream_tbENKUlT_T0_E_clISt17integral_constantIbLb0EES13_EEDaSY_SZ_EUlSY_E_NS1_11comp_targetILNS1_3genE2ELNS1_11target_archE906ELNS1_3gpuE6ELNS1_3repE0EEENS1_30default_config_static_selectorELNS0_4arch9wavefront6targetE0EEEvT1_.uses_flat_scratch, 0
	.set _ZN7rocprim17ROCPRIM_400000_NS6detail17trampoline_kernelINS0_14default_configENS1_27scan_by_key_config_selectorIiiEEZZNS1_16scan_by_key_implILNS1_25lookback_scan_determinismE0ELb1ES3_N6thrust23THRUST_200600_302600_NS6detail15normal_iteratorINS9_10device_ptrIiEEEENSB_INSC_IjEEEENSB_INSC_IfEEEEiNS9_4plusIvEENS9_8equal_toIvEEiEE10hipError_tPvRmT2_T3_T4_T5_mT6_T7_P12ihipStream_tbENKUlT_T0_E_clISt17integral_constantIbLb0EES13_EEDaSY_SZ_EUlSY_E_NS1_11comp_targetILNS1_3genE2ELNS1_11target_archE906ELNS1_3gpuE6ELNS1_3repE0EEENS1_30default_config_static_selectorELNS0_4arch9wavefront6targetE0EEEvT1_.has_dyn_sized_stack, 0
	.set _ZN7rocprim17ROCPRIM_400000_NS6detail17trampoline_kernelINS0_14default_configENS1_27scan_by_key_config_selectorIiiEEZZNS1_16scan_by_key_implILNS1_25lookback_scan_determinismE0ELb1ES3_N6thrust23THRUST_200600_302600_NS6detail15normal_iteratorINS9_10device_ptrIiEEEENSB_INSC_IjEEEENSB_INSC_IfEEEEiNS9_4plusIvEENS9_8equal_toIvEEiEE10hipError_tPvRmT2_T3_T4_T5_mT6_T7_P12ihipStream_tbENKUlT_T0_E_clISt17integral_constantIbLb0EES13_EEDaSY_SZ_EUlSY_E_NS1_11comp_targetILNS1_3genE2ELNS1_11target_archE906ELNS1_3gpuE6ELNS1_3repE0EEENS1_30default_config_static_selectorELNS0_4arch9wavefront6targetE0EEEvT1_.has_recursion, 0
	.set _ZN7rocprim17ROCPRIM_400000_NS6detail17trampoline_kernelINS0_14default_configENS1_27scan_by_key_config_selectorIiiEEZZNS1_16scan_by_key_implILNS1_25lookback_scan_determinismE0ELb1ES3_N6thrust23THRUST_200600_302600_NS6detail15normal_iteratorINS9_10device_ptrIiEEEENSB_INSC_IjEEEENSB_INSC_IfEEEEiNS9_4plusIvEENS9_8equal_toIvEEiEE10hipError_tPvRmT2_T3_T4_T5_mT6_T7_P12ihipStream_tbENKUlT_T0_E_clISt17integral_constantIbLb0EES13_EEDaSY_SZ_EUlSY_E_NS1_11comp_targetILNS1_3genE2ELNS1_11target_archE906ELNS1_3gpuE6ELNS1_3repE0EEENS1_30default_config_static_selectorELNS0_4arch9wavefront6targetE0EEEvT1_.has_indirect_call, 0
	.section	.AMDGPU.csdata,"",@progbits
; Kernel info:
; codeLenInByte = 0
; TotalNumSgprs: 0
; NumVgprs: 0
; ScratchSize: 0
; MemoryBound: 0
; FloatMode: 240
; IeeeMode: 1
; LDSByteSize: 0 bytes/workgroup (compile time only)
; SGPRBlocks: 0
; VGPRBlocks: 0
; NumSGPRsForWavesPerEU: 1
; NumVGPRsForWavesPerEU: 1
; NamedBarCnt: 0
; Occupancy: 16
; WaveLimiterHint : 0
; COMPUTE_PGM_RSRC2:SCRATCH_EN: 0
; COMPUTE_PGM_RSRC2:USER_SGPR: 2
; COMPUTE_PGM_RSRC2:TRAP_HANDLER: 0
; COMPUTE_PGM_RSRC2:TGID_X_EN: 1
; COMPUTE_PGM_RSRC2:TGID_Y_EN: 0
; COMPUTE_PGM_RSRC2:TGID_Z_EN: 0
; COMPUTE_PGM_RSRC2:TIDIG_COMP_CNT: 0
	.section	.text._ZN7rocprim17ROCPRIM_400000_NS6detail17trampoline_kernelINS0_14default_configENS1_27scan_by_key_config_selectorIiiEEZZNS1_16scan_by_key_implILNS1_25lookback_scan_determinismE0ELb1ES3_N6thrust23THRUST_200600_302600_NS6detail15normal_iteratorINS9_10device_ptrIiEEEENSB_INSC_IjEEEENSB_INSC_IfEEEEiNS9_4plusIvEENS9_8equal_toIvEEiEE10hipError_tPvRmT2_T3_T4_T5_mT6_T7_P12ihipStream_tbENKUlT_T0_E_clISt17integral_constantIbLb0EES13_EEDaSY_SZ_EUlSY_E_NS1_11comp_targetILNS1_3genE10ELNS1_11target_archE1200ELNS1_3gpuE4ELNS1_3repE0EEENS1_30default_config_static_selectorELNS0_4arch9wavefront6targetE0EEEvT1_,"axG",@progbits,_ZN7rocprim17ROCPRIM_400000_NS6detail17trampoline_kernelINS0_14default_configENS1_27scan_by_key_config_selectorIiiEEZZNS1_16scan_by_key_implILNS1_25lookback_scan_determinismE0ELb1ES3_N6thrust23THRUST_200600_302600_NS6detail15normal_iteratorINS9_10device_ptrIiEEEENSB_INSC_IjEEEENSB_INSC_IfEEEEiNS9_4plusIvEENS9_8equal_toIvEEiEE10hipError_tPvRmT2_T3_T4_T5_mT6_T7_P12ihipStream_tbENKUlT_T0_E_clISt17integral_constantIbLb0EES13_EEDaSY_SZ_EUlSY_E_NS1_11comp_targetILNS1_3genE10ELNS1_11target_archE1200ELNS1_3gpuE4ELNS1_3repE0EEENS1_30default_config_static_selectorELNS0_4arch9wavefront6targetE0EEEvT1_,comdat
	.protected	_ZN7rocprim17ROCPRIM_400000_NS6detail17trampoline_kernelINS0_14default_configENS1_27scan_by_key_config_selectorIiiEEZZNS1_16scan_by_key_implILNS1_25lookback_scan_determinismE0ELb1ES3_N6thrust23THRUST_200600_302600_NS6detail15normal_iteratorINS9_10device_ptrIiEEEENSB_INSC_IjEEEENSB_INSC_IfEEEEiNS9_4plusIvEENS9_8equal_toIvEEiEE10hipError_tPvRmT2_T3_T4_T5_mT6_T7_P12ihipStream_tbENKUlT_T0_E_clISt17integral_constantIbLb0EES13_EEDaSY_SZ_EUlSY_E_NS1_11comp_targetILNS1_3genE10ELNS1_11target_archE1200ELNS1_3gpuE4ELNS1_3repE0EEENS1_30default_config_static_selectorELNS0_4arch9wavefront6targetE0EEEvT1_ ; -- Begin function _ZN7rocprim17ROCPRIM_400000_NS6detail17trampoline_kernelINS0_14default_configENS1_27scan_by_key_config_selectorIiiEEZZNS1_16scan_by_key_implILNS1_25lookback_scan_determinismE0ELb1ES3_N6thrust23THRUST_200600_302600_NS6detail15normal_iteratorINS9_10device_ptrIiEEEENSB_INSC_IjEEEENSB_INSC_IfEEEEiNS9_4plusIvEENS9_8equal_toIvEEiEE10hipError_tPvRmT2_T3_T4_T5_mT6_T7_P12ihipStream_tbENKUlT_T0_E_clISt17integral_constantIbLb0EES13_EEDaSY_SZ_EUlSY_E_NS1_11comp_targetILNS1_3genE10ELNS1_11target_archE1200ELNS1_3gpuE4ELNS1_3repE0EEENS1_30default_config_static_selectorELNS0_4arch9wavefront6targetE0EEEvT1_
	.globl	_ZN7rocprim17ROCPRIM_400000_NS6detail17trampoline_kernelINS0_14default_configENS1_27scan_by_key_config_selectorIiiEEZZNS1_16scan_by_key_implILNS1_25lookback_scan_determinismE0ELb1ES3_N6thrust23THRUST_200600_302600_NS6detail15normal_iteratorINS9_10device_ptrIiEEEENSB_INSC_IjEEEENSB_INSC_IfEEEEiNS9_4plusIvEENS9_8equal_toIvEEiEE10hipError_tPvRmT2_T3_T4_T5_mT6_T7_P12ihipStream_tbENKUlT_T0_E_clISt17integral_constantIbLb0EES13_EEDaSY_SZ_EUlSY_E_NS1_11comp_targetILNS1_3genE10ELNS1_11target_archE1200ELNS1_3gpuE4ELNS1_3repE0EEENS1_30default_config_static_selectorELNS0_4arch9wavefront6targetE0EEEvT1_
	.p2align	8
	.type	_ZN7rocprim17ROCPRIM_400000_NS6detail17trampoline_kernelINS0_14default_configENS1_27scan_by_key_config_selectorIiiEEZZNS1_16scan_by_key_implILNS1_25lookback_scan_determinismE0ELb1ES3_N6thrust23THRUST_200600_302600_NS6detail15normal_iteratorINS9_10device_ptrIiEEEENSB_INSC_IjEEEENSB_INSC_IfEEEEiNS9_4plusIvEENS9_8equal_toIvEEiEE10hipError_tPvRmT2_T3_T4_T5_mT6_T7_P12ihipStream_tbENKUlT_T0_E_clISt17integral_constantIbLb0EES13_EEDaSY_SZ_EUlSY_E_NS1_11comp_targetILNS1_3genE10ELNS1_11target_archE1200ELNS1_3gpuE4ELNS1_3repE0EEENS1_30default_config_static_selectorELNS0_4arch9wavefront6targetE0EEEvT1_,@function
_ZN7rocprim17ROCPRIM_400000_NS6detail17trampoline_kernelINS0_14default_configENS1_27scan_by_key_config_selectorIiiEEZZNS1_16scan_by_key_implILNS1_25lookback_scan_determinismE0ELb1ES3_N6thrust23THRUST_200600_302600_NS6detail15normal_iteratorINS9_10device_ptrIiEEEENSB_INSC_IjEEEENSB_INSC_IfEEEEiNS9_4plusIvEENS9_8equal_toIvEEiEE10hipError_tPvRmT2_T3_T4_T5_mT6_T7_P12ihipStream_tbENKUlT_T0_E_clISt17integral_constantIbLb0EES13_EEDaSY_SZ_EUlSY_E_NS1_11comp_targetILNS1_3genE10ELNS1_11target_archE1200ELNS1_3gpuE4ELNS1_3repE0EEENS1_30default_config_static_selectorELNS0_4arch9wavefront6targetE0EEEvT1_: ; @_ZN7rocprim17ROCPRIM_400000_NS6detail17trampoline_kernelINS0_14default_configENS1_27scan_by_key_config_selectorIiiEEZZNS1_16scan_by_key_implILNS1_25lookback_scan_determinismE0ELb1ES3_N6thrust23THRUST_200600_302600_NS6detail15normal_iteratorINS9_10device_ptrIiEEEENSB_INSC_IjEEEENSB_INSC_IfEEEEiNS9_4plusIvEENS9_8equal_toIvEEiEE10hipError_tPvRmT2_T3_T4_T5_mT6_T7_P12ihipStream_tbENKUlT_T0_E_clISt17integral_constantIbLb0EES13_EEDaSY_SZ_EUlSY_E_NS1_11comp_targetILNS1_3genE10ELNS1_11target_archE1200ELNS1_3gpuE4ELNS1_3repE0EEENS1_30default_config_static_selectorELNS0_4arch9wavefront6targetE0EEEvT1_
; %bb.0:
	.section	.rodata,"a",@progbits
	.p2align	6, 0x0
	.amdhsa_kernel _ZN7rocprim17ROCPRIM_400000_NS6detail17trampoline_kernelINS0_14default_configENS1_27scan_by_key_config_selectorIiiEEZZNS1_16scan_by_key_implILNS1_25lookback_scan_determinismE0ELb1ES3_N6thrust23THRUST_200600_302600_NS6detail15normal_iteratorINS9_10device_ptrIiEEEENSB_INSC_IjEEEENSB_INSC_IfEEEEiNS9_4plusIvEENS9_8equal_toIvEEiEE10hipError_tPvRmT2_T3_T4_T5_mT6_T7_P12ihipStream_tbENKUlT_T0_E_clISt17integral_constantIbLb0EES13_EEDaSY_SZ_EUlSY_E_NS1_11comp_targetILNS1_3genE10ELNS1_11target_archE1200ELNS1_3gpuE4ELNS1_3repE0EEENS1_30default_config_static_selectorELNS0_4arch9wavefront6targetE0EEEvT1_
		.amdhsa_group_segment_fixed_size 0
		.amdhsa_private_segment_fixed_size 0
		.amdhsa_kernarg_size 112
		.amdhsa_user_sgpr_count 2
		.amdhsa_user_sgpr_dispatch_ptr 0
		.amdhsa_user_sgpr_queue_ptr 0
		.amdhsa_user_sgpr_kernarg_segment_ptr 1
		.amdhsa_user_sgpr_dispatch_id 0
		.amdhsa_user_sgpr_kernarg_preload_length 0
		.amdhsa_user_sgpr_kernarg_preload_offset 0
		.amdhsa_user_sgpr_private_segment_size 0
		.amdhsa_wavefront_size32 1
		.amdhsa_uses_dynamic_stack 0
		.amdhsa_enable_private_segment 0
		.amdhsa_system_sgpr_workgroup_id_x 1
		.amdhsa_system_sgpr_workgroup_id_y 0
		.amdhsa_system_sgpr_workgroup_id_z 0
		.amdhsa_system_sgpr_workgroup_info 0
		.amdhsa_system_vgpr_workitem_id 0
		.amdhsa_next_free_vgpr 1
		.amdhsa_next_free_sgpr 1
		.amdhsa_named_barrier_count 0
		.amdhsa_reserve_vcc 0
		.amdhsa_float_round_mode_32 0
		.amdhsa_float_round_mode_16_64 0
		.amdhsa_float_denorm_mode_32 3
		.amdhsa_float_denorm_mode_16_64 3
		.amdhsa_fp16_overflow 0
		.amdhsa_memory_ordered 1
		.amdhsa_forward_progress 1
		.amdhsa_inst_pref_size 0
		.amdhsa_round_robin_scheduling 0
		.amdhsa_exception_fp_ieee_invalid_op 0
		.amdhsa_exception_fp_denorm_src 0
		.amdhsa_exception_fp_ieee_div_zero 0
		.amdhsa_exception_fp_ieee_overflow 0
		.amdhsa_exception_fp_ieee_underflow 0
		.amdhsa_exception_fp_ieee_inexact 0
		.amdhsa_exception_int_div_zero 0
	.end_amdhsa_kernel
	.section	.text._ZN7rocprim17ROCPRIM_400000_NS6detail17trampoline_kernelINS0_14default_configENS1_27scan_by_key_config_selectorIiiEEZZNS1_16scan_by_key_implILNS1_25lookback_scan_determinismE0ELb1ES3_N6thrust23THRUST_200600_302600_NS6detail15normal_iteratorINS9_10device_ptrIiEEEENSB_INSC_IjEEEENSB_INSC_IfEEEEiNS9_4plusIvEENS9_8equal_toIvEEiEE10hipError_tPvRmT2_T3_T4_T5_mT6_T7_P12ihipStream_tbENKUlT_T0_E_clISt17integral_constantIbLb0EES13_EEDaSY_SZ_EUlSY_E_NS1_11comp_targetILNS1_3genE10ELNS1_11target_archE1200ELNS1_3gpuE4ELNS1_3repE0EEENS1_30default_config_static_selectorELNS0_4arch9wavefront6targetE0EEEvT1_,"axG",@progbits,_ZN7rocprim17ROCPRIM_400000_NS6detail17trampoline_kernelINS0_14default_configENS1_27scan_by_key_config_selectorIiiEEZZNS1_16scan_by_key_implILNS1_25lookback_scan_determinismE0ELb1ES3_N6thrust23THRUST_200600_302600_NS6detail15normal_iteratorINS9_10device_ptrIiEEEENSB_INSC_IjEEEENSB_INSC_IfEEEEiNS9_4plusIvEENS9_8equal_toIvEEiEE10hipError_tPvRmT2_T3_T4_T5_mT6_T7_P12ihipStream_tbENKUlT_T0_E_clISt17integral_constantIbLb0EES13_EEDaSY_SZ_EUlSY_E_NS1_11comp_targetILNS1_3genE10ELNS1_11target_archE1200ELNS1_3gpuE4ELNS1_3repE0EEENS1_30default_config_static_selectorELNS0_4arch9wavefront6targetE0EEEvT1_,comdat
.Lfunc_end1722:
	.size	_ZN7rocprim17ROCPRIM_400000_NS6detail17trampoline_kernelINS0_14default_configENS1_27scan_by_key_config_selectorIiiEEZZNS1_16scan_by_key_implILNS1_25lookback_scan_determinismE0ELb1ES3_N6thrust23THRUST_200600_302600_NS6detail15normal_iteratorINS9_10device_ptrIiEEEENSB_INSC_IjEEEENSB_INSC_IfEEEEiNS9_4plusIvEENS9_8equal_toIvEEiEE10hipError_tPvRmT2_T3_T4_T5_mT6_T7_P12ihipStream_tbENKUlT_T0_E_clISt17integral_constantIbLb0EES13_EEDaSY_SZ_EUlSY_E_NS1_11comp_targetILNS1_3genE10ELNS1_11target_archE1200ELNS1_3gpuE4ELNS1_3repE0EEENS1_30default_config_static_selectorELNS0_4arch9wavefront6targetE0EEEvT1_, .Lfunc_end1722-_ZN7rocprim17ROCPRIM_400000_NS6detail17trampoline_kernelINS0_14default_configENS1_27scan_by_key_config_selectorIiiEEZZNS1_16scan_by_key_implILNS1_25lookback_scan_determinismE0ELb1ES3_N6thrust23THRUST_200600_302600_NS6detail15normal_iteratorINS9_10device_ptrIiEEEENSB_INSC_IjEEEENSB_INSC_IfEEEEiNS9_4plusIvEENS9_8equal_toIvEEiEE10hipError_tPvRmT2_T3_T4_T5_mT6_T7_P12ihipStream_tbENKUlT_T0_E_clISt17integral_constantIbLb0EES13_EEDaSY_SZ_EUlSY_E_NS1_11comp_targetILNS1_3genE10ELNS1_11target_archE1200ELNS1_3gpuE4ELNS1_3repE0EEENS1_30default_config_static_selectorELNS0_4arch9wavefront6targetE0EEEvT1_
                                        ; -- End function
	.set _ZN7rocprim17ROCPRIM_400000_NS6detail17trampoline_kernelINS0_14default_configENS1_27scan_by_key_config_selectorIiiEEZZNS1_16scan_by_key_implILNS1_25lookback_scan_determinismE0ELb1ES3_N6thrust23THRUST_200600_302600_NS6detail15normal_iteratorINS9_10device_ptrIiEEEENSB_INSC_IjEEEENSB_INSC_IfEEEEiNS9_4plusIvEENS9_8equal_toIvEEiEE10hipError_tPvRmT2_T3_T4_T5_mT6_T7_P12ihipStream_tbENKUlT_T0_E_clISt17integral_constantIbLb0EES13_EEDaSY_SZ_EUlSY_E_NS1_11comp_targetILNS1_3genE10ELNS1_11target_archE1200ELNS1_3gpuE4ELNS1_3repE0EEENS1_30default_config_static_selectorELNS0_4arch9wavefront6targetE0EEEvT1_.num_vgpr, 0
	.set _ZN7rocprim17ROCPRIM_400000_NS6detail17trampoline_kernelINS0_14default_configENS1_27scan_by_key_config_selectorIiiEEZZNS1_16scan_by_key_implILNS1_25lookback_scan_determinismE0ELb1ES3_N6thrust23THRUST_200600_302600_NS6detail15normal_iteratorINS9_10device_ptrIiEEEENSB_INSC_IjEEEENSB_INSC_IfEEEEiNS9_4plusIvEENS9_8equal_toIvEEiEE10hipError_tPvRmT2_T3_T4_T5_mT6_T7_P12ihipStream_tbENKUlT_T0_E_clISt17integral_constantIbLb0EES13_EEDaSY_SZ_EUlSY_E_NS1_11comp_targetILNS1_3genE10ELNS1_11target_archE1200ELNS1_3gpuE4ELNS1_3repE0EEENS1_30default_config_static_selectorELNS0_4arch9wavefront6targetE0EEEvT1_.num_agpr, 0
	.set _ZN7rocprim17ROCPRIM_400000_NS6detail17trampoline_kernelINS0_14default_configENS1_27scan_by_key_config_selectorIiiEEZZNS1_16scan_by_key_implILNS1_25lookback_scan_determinismE0ELb1ES3_N6thrust23THRUST_200600_302600_NS6detail15normal_iteratorINS9_10device_ptrIiEEEENSB_INSC_IjEEEENSB_INSC_IfEEEEiNS9_4plusIvEENS9_8equal_toIvEEiEE10hipError_tPvRmT2_T3_T4_T5_mT6_T7_P12ihipStream_tbENKUlT_T0_E_clISt17integral_constantIbLb0EES13_EEDaSY_SZ_EUlSY_E_NS1_11comp_targetILNS1_3genE10ELNS1_11target_archE1200ELNS1_3gpuE4ELNS1_3repE0EEENS1_30default_config_static_selectorELNS0_4arch9wavefront6targetE0EEEvT1_.numbered_sgpr, 0
	.set _ZN7rocprim17ROCPRIM_400000_NS6detail17trampoline_kernelINS0_14default_configENS1_27scan_by_key_config_selectorIiiEEZZNS1_16scan_by_key_implILNS1_25lookback_scan_determinismE0ELb1ES3_N6thrust23THRUST_200600_302600_NS6detail15normal_iteratorINS9_10device_ptrIiEEEENSB_INSC_IjEEEENSB_INSC_IfEEEEiNS9_4plusIvEENS9_8equal_toIvEEiEE10hipError_tPvRmT2_T3_T4_T5_mT6_T7_P12ihipStream_tbENKUlT_T0_E_clISt17integral_constantIbLb0EES13_EEDaSY_SZ_EUlSY_E_NS1_11comp_targetILNS1_3genE10ELNS1_11target_archE1200ELNS1_3gpuE4ELNS1_3repE0EEENS1_30default_config_static_selectorELNS0_4arch9wavefront6targetE0EEEvT1_.num_named_barrier, 0
	.set _ZN7rocprim17ROCPRIM_400000_NS6detail17trampoline_kernelINS0_14default_configENS1_27scan_by_key_config_selectorIiiEEZZNS1_16scan_by_key_implILNS1_25lookback_scan_determinismE0ELb1ES3_N6thrust23THRUST_200600_302600_NS6detail15normal_iteratorINS9_10device_ptrIiEEEENSB_INSC_IjEEEENSB_INSC_IfEEEEiNS9_4plusIvEENS9_8equal_toIvEEiEE10hipError_tPvRmT2_T3_T4_T5_mT6_T7_P12ihipStream_tbENKUlT_T0_E_clISt17integral_constantIbLb0EES13_EEDaSY_SZ_EUlSY_E_NS1_11comp_targetILNS1_3genE10ELNS1_11target_archE1200ELNS1_3gpuE4ELNS1_3repE0EEENS1_30default_config_static_selectorELNS0_4arch9wavefront6targetE0EEEvT1_.private_seg_size, 0
	.set _ZN7rocprim17ROCPRIM_400000_NS6detail17trampoline_kernelINS0_14default_configENS1_27scan_by_key_config_selectorIiiEEZZNS1_16scan_by_key_implILNS1_25lookback_scan_determinismE0ELb1ES3_N6thrust23THRUST_200600_302600_NS6detail15normal_iteratorINS9_10device_ptrIiEEEENSB_INSC_IjEEEENSB_INSC_IfEEEEiNS9_4plusIvEENS9_8equal_toIvEEiEE10hipError_tPvRmT2_T3_T4_T5_mT6_T7_P12ihipStream_tbENKUlT_T0_E_clISt17integral_constantIbLb0EES13_EEDaSY_SZ_EUlSY_E_NS1_11comp_targetILNS1_3genE10ELNS1_11target_archE1200ELNS1_3gpuE4ELNS1_3repE0EEENS1_30default_config_static_selectorELNS0_4arch9wavefront6targetE0EEEvT1_.uses_vcc, 0
	.set _ZN7rocprim17ROCPRIM_400000_NS6detail17trampoline_kernelINS0_14default_configENS1_27scan_by_key_config_selectorIiiEEZZNS1_16scan_by_key_implILNS1_25lookback_scan_determinismE0ELb1ES3_N6thrust23THRUST_200600_302600_NS6detail15normal_iteratorINS9_10device_ptrIiEEEENSB_INSC_IjEEEENSB_INSC_IfEEEEiNS9_4plusIvEENS9_8equal_toIvEEiEE10hipError_tPvRmT2_T3_T4_T5_mT6_T7_P12ihipStream_tbENKUlT_T0_E_clISt17integral_constantIbLb0EES13_EEDaSY_SZ_EUlSY_E_NS1_11comp_targetILNS1_3genE10ELNS1_11target_archE1200ELNS1_3gpuE4ELNS1_3repE0EEENS1_30default_config_static_selectorELNS0_4arch9wavefront6targetE0EEEvT1_.uses_flat_scratch, 0
	.set _ZN7rocprim17ROCPRIM_400000_NS6detail17trampoline_kernelINS0_14default_configENS1_27scan_by_key_config_selectorIiiEEZZNS1_16scan_by_key_implILNS1_25lookback_scan_determinismE0ELb1ES3_N6thrust23THRUST_200600_302600_NS6detail15normal_iteratorINS9_10device_ptrIiEEEENSB_INSC_IjEEEENSB_INSC_IfEEEEiNS9_4plusIvEENS9_8equal_toIvEEiEE10hipError_tPvRmT2_T3_T4_T5_mT6_T7_P12ihipStream_tbENKUlT_T0_E_clISt17integral_constantIbLb0EES13_EEDaSY_SZ_EUlSY_E_NS1_11comp_targetILNS1_3genE10ELNS1_11target_archE1200ELNS1_3gpuE4ELNS1_3repE0EEENS1_30default_config_static_selectorELNS0_4arch9wavefront6targetE0EEEvT1_.has_dyn_sized_stack, 0
	.set _ZN7rocprim17ROCPRIM_400000_NS6detail17trampoline_kernelINS0_14default_configENS1_27scan_by_key_config_selectorIiiEEZZNS1_16scan_by_key_implILNS1_25lookback_scan_determinismE0ELb1ES3_N6thrust23THRUST_200600_302600_NS6detail15normal_iteratorINS9_10device_ptrIiEEEENSB_INSC_IjEEEENSB_INSC_IfEEEEiNS9_4plusIvEENS9_8equal_toIvEEiEE10hipError_tPvRmT2_T3_T4_T5_mT6_T7_P12ihipStream_tbENKUlT_T0_E_clISt17integral_constantIbLb0EES13_EEDaSY_SZ_EUlSY_E_NS1_11comp_targetILNS1_3genE10ELNS1_11target_archE1200ELNS1_3gpuE4ELNS1_3repE0EEENS1_30default_config_static_selectorELNS0_4arch9wavefront6targetE0EEEvT1_.has_recursion, 0
	.set _ZN7rocprim17ROCPRIM_400000_NS6detail17trampoline_kernelINS0_14default_configENS1_27scan_by_key_config_selectorIiiEEZZNS1_16scan_by_key_implILNS1_25lookback_scan_determinismE0ELb1ES3_N6thrust23THRUST_200600_302600_NS6detail15normal_iteratorINS9_10device_ptrIiEEEENSB_INSC_IjEEEENSB_INSC_IfEEEEiNS9_4plusIvEENS9_8equal_toIvEEiEE10hipError_tPvRmT2_T3_T4_T5_mT6_T7_P12ihipStream_tbENKUlT_T0_E_clISt17integral_constantIbLb0EES13_EEDaSY_SZ_EUlSY_E_NS1_11comp_targetILNS1_3genE10ELNS1_11target_archE1200ELNS1_3gpuE4ELNS1_3repE0EEENS1_30default_config_static_selectorELNS0_4arch9wavefront6targetE0EEEvT1_.has_indirect_call, 0
	.section	.AMDGPU.csdata,"",@progbits
; Kernel info:
; codeLenInByte = 0
; TotalNumSgprs: 0
; NumVgprs: 0
; ScratchSize: 0
; MemoryBound: 0
; FloatMode: 240
; IeeeMode: 1
; LDSByteSize: 0 bytes/workgroup (compile time only)
; SGPRBlocks: 0
; VGPRBlocks: 0
; NumSGPRsForWavesPerEU: 1
; NumVGPRsForWavesPerEU: 1
; NamedBarCnt: 0
; Occupancy: 16
; WaveLimiterHint : 0
; COMPUTE_PGM_RSRC2:SCRATCH_EN: 0
; COMPUTE_PGM_RSRC2:USER_SGPR: 2
; COMPUTE_PGM_RSRC2:TRAP_HANDLER: 0
; COMPUTE_PGM_RSRC2:TGID_X_EN: 1
; COMPUTE_PGM_RSRC2:TGID_Y_EN: 0
; COMPUTE_PGM_RSRC2:TGID_Z_EN: 0
; COMPUTE_PGM_RSRC2:TIDIG_COMP_CNT: 0
	.section	.text._ZN7rocprim17ROCPRIM_400000_NS6detail17trampoline_kernelINS0_14default_configENS1_27scan_by_key_config_selectorIiiEEZZNS1_16scan_by_key_implILNS1_25lookback_scan_determinismE0ELb1ES3_N6thrust23THRUST_200600_302600_NS6detail15normal_iteratorINS9_10device_ptrIiEEEENSB_INSC_IjEEEENSB_INSC_IfEEEEiNS9_4plusIvEENS9_8equal_toIvEEiEE10hipError_tPvRmT2_T3_T4_T5_mT6_T7_P12ihipStream_tbENKUlT_T0_E_clISt17integral_constantIbLb0EES13_EEDaSY_SZ_EUlSY_E_NS1_11comp_targetILNS1_3genE9ELNS1_11target_archE1100ELNS1_3gpuE3ELNS1_3repE0EEENS1_30default_config_static_selectorELNS0_4arch9wavefront6targetE0EEEvT1_,"axG",@progbits,_ZN7rocprim17ROCPRIM_400000_NS6detail17trampoline_kernelINS0_14default_configENS1_27scan_by_key_config_selectorIiiEEZZNS1_16scan_by_key_implILNS1_25lookback_scan_determinismE0ELb1ES3_N6thrust23THRUST_200600_302600_NS6detail15normal_iteratorINS9_10device_ptrIiEEEENSB_INSC_IjEEEENSB_INSC_IfEEEEiNS9_4plusIvEENS9_8equal_toIvEEiEE10hipError_tPvRmT2_T3_T4_T5_mT6_T7_P12ihipStream_tbENKUlT_T0_E_clISt17integral_constantIbLb0EES13_EEDaSY_SZ_EUlSY_E_NS1_11comp_targetILNS1_3genE9ELNS1_11target_archE1100ELNS1_3gpuE3ELNS1_3repE0EEENS1_30default_config_static_selectorELNS0_4arch9wavefront6targetE0EEEvT1_,comdat
	.protected	_ZN7rocprim17ROCPRIM_400000_NS6detail17trampoline_kernelINS0_14default_configENS1_27scan_by_key_config_selectorIiiEEZZNS1_16scan_by_key_implILNS1_25lookback_scan_determinismE0ELb1ES3_N6thrust23THRUST_200600_302600_NS6detail15normal_iteratorINS9_10device_ptrIiEEEENSB_INSC_IjEEEENSB_INSC_IfEEEEiNS9_4plusIvEENS9_8equal_toIvEEiEE10hipError_tPvRmT2_T3_T4_T5_mT6_T7_P12ihipStream_tbENKUlT_T0_E_clISt17integral_constantIbLb0EES13_EEDaSY_SZ_EUlSY_E_NS1_11comp_targetILNS1_3genE9ELNS1_11target_archE1100ELNS1_3gpuE3ELNS1_3repE0EEENS1_30default_config_static_selectorELNS0_4arch9wavefront6targetE0EEEvT1_ ; -- Begin function _ZN7rocprim17ROCPRIM_400000_NS6detail17trampoline_kernelINS0_14default_configENS1_27scan_by_key_config_selectorIiiEEZZNS1_16scan_by_key_implILNS1_25lookback_scan_determinismE0ELb1ES3_N6thrust23THRUST_200600_302600_NS6detail15normal_iteratorINS9_10device_ptrIiEEEENSB_INSC_IjEEEENSB_INSC_IfEEEEiNS9_4plusIvEENS9_8equal_toIvEEiEE10hipError_tPvRmT2_T3_T4_T5_mT6_T7_P12ihipStream_tbENKUlT_T0_E_clISt17integral_constantIbLb0EES13_EEDaSY_SZ_EUlSY_E_NS1_11comp_targetILNS1_3genE9ELNS1_11target_archE1100ELNS1_3gpuE3ELNS1_3repE0EEENS1_30default_config_static_selectorELNS0_4arch9wavefront6targetE0EEEvT1_
	.globl	_ZN7rocprim17ROCPRIM_400000_NS6detail17trampoline_kernelINS0_14default_configENS1_27scan_by_key_config_selectorIiiEEZZNS1_16scan_by_key_implILNS1_25lookback_scan_determinismE0ELb1ES3_N6thrust23THRUST_200600_302600_NS6detail15normal_iteratorINS9_10device_ptrIiEEEENSB_INSC_IjEEEENSB_INSC_IfEEEEiNS9_4plusIvEENS9_8equal_toIvEEiEE10hipError_tPvRmT2_T3_T4_T5_mT6_T7_P12ihipStream_tbENKUlT_T0_E_clISt17integral_constantIbLb0EES13_EEDaSY_SZ_EUlSY_E_NS1_11comp_targetILNS1_3genE9ELNS1_11target_archE1100ELNS1_3gpuE3ELNS1_3repE0EEENS1_30default_config_static_selectorELNS0_4arch9wavefront6targetE0EEEvT1_
	.p2align	8
	.type	_ZN7rocprim17ROCPRIM_400000_NS6detail17trampoline_kernelINS0_14default_configENS1_27scan_by_key_config_selectorIiiEEZZNS1_16scan_by_key_implILNS1_25lookback_scan_determinismE0ELb1ES3_N6thrust23THRUST_200600_302600_NS6detail15normal_iteratorINS9_10device_ptrIiEEEENSB_INSC_IjEEEENSB_INSC_IfEEEEiNS9_4plusIvEENS9_8equal_toIvEEiEE10hipError_tPvRmT2_T3_T4_T5_mT6_T7_P12ihipStream_tbENKUlT_T0_E_clISt17integral_constantIbLb0EES13_EEDaSY_SZ_EUlSY_E_NS1_11comp_targetILNS1_3genE9ELNS1_11target_archE1100ELNS1_3gpuE3ELNS1_3repE0EEENS1_30default_config_static_selectorELNS0_4arch9wavefront6targetE0EEEvT1_,@function
_ZN7rocprim17ROCPRIM_400000_NS6detail17trampoline_kernelINS0_14default_configENS1_27scan_by_key_config_selectorIiiEEZZNS1_16scan_by_key_implILNS1_25lookback_scan_determinismE0ELb1ES3_N6thrust23THRUST_200600_302600_NS6detail15normal_iteratorINS9_10device_ptrIiEEEENSB_INSC_IjEEEENSB_INSC_IfEEEEiNS9_4plusIvEENS9_8equal_toIvEEiEE10hipError_tPvRmT2_T3_T4_T5_mT6_T7_P12ihipStream_tbENKUlT_T0_E_clISt17integral_constantIbLb0EES13_EEDaSY_SZ_EUlSY_E_NS1_11comp_targetILNS1_3genE9ELNS1_11target_archE1100ELNS1_3gpuE3ELNS1_3repE0EEENS1_30default_config_static_selectorELNS0_4arch9wavefront6targetE0EEEvT1_: ; @_ZN7rocprim17ROCPRIM_400000_NS6detail17trampoline_kernelINS0_14default_configENS1_27scan_by_key_config_selectorIiiEEZZNS1_16scan_by_key_implILNS1_25lookback_scan_determinismE0ELb1ES3_N6thrust23THRUST_200600_302600_NS6detail15normal_iteratorINS9_10device_ptrIiEEEENSB_INSC_IjEEEENSB_INSC_IfEEEEiNS9_4plusIvEENS9_8equal_toIvEEiEE10hipError_tPvRmT2_T3_T4_T5_mT6_T7_P12ihipStream_tbENKUlT_T0_E_clISt17integral_constantIbLb0EES13_EEDaSY_SZ_EUlSY_E_NS1_11comp_targetILNS1_3genE9ELNS1_11target_archE1100ELNS1_3gpuE3ELNS1_3repE0EEENS1_30default_config_static_selectorELNS0_4arch9wavefront6targetE0EEEvT1_
; %bb.0:
	.section	.rodata,"a",@progbits
	.p2align	6, 0x0
	.amdhsa_kernel _ZN7rocprim17ROCPRIM_400000_NS6detail17trampoline_kernelINS0_14default_configENS1_27scan_by_key_config_selectorIiiEEZZNS1_16scan_by_key_implILNS1_25lookback_scan_determinismE0ELb1ES3_N6thrust23THRUST_200600_302600_NS6detail15normal_iteratorINS9_10device_ptrIiEEEENSB_INSC_IjEEEENSB_INSC_IfEEEEiNS9_4plusIvEENS9_8equal_toIvEEiEE10hipError_tPvRmT2_T3_T4_T5_mT6_T7_P12ihipStream_tbENKUlT_T0_E_clISt17integral_constantIbLb0EES13_EEDaSY_SZ_EUlSY_E_NS1_11comp_targetILNS1_3genE9ELNS1_11target_archE1100ELNS1_3gpuE3ELNS1_3repE0EEENS1_30default_config_static_selectorELNS0_4arch9wavefront6targetE0EEEvT1_
		.amdhsa_group_segment_fixed_size 0
		.amdhsa_private_segment_fixed_size 0
		.amdhsa_kernarg_size 112
		.amdhsa_user_sgpr_count 2
		.amdhsa_user_sgpr_dispatch_ptr 0
		.amdhsa_user_sgpr_queue_ptr 0
		.amdhsa_user_sgpr_kernarg_segment_ptr 1
		.amdhsa_user_sgpr_dispatch_id 0
		.amdhsa_user_sgpr_kernarg_preload_length 0
		.amdhsa_user_sgpr_kernarg_preload_offset 0
		.amdhsa_user_sgpr_private_segment_size 0
		.amdhsa_wavefront_size32 1
		.amdhsa_uses_dynamic_stack 0
		.amdhsa_enable_private_segment 0
		.amdhsa_system_sgpr_workgroup_id_x 1
		.amdhsa_system_sgpr_workgroup_id_y 0
		.amdhsa_system_sgpr_workgroup_id_z 0
		.amdhsa_system_sgpr_workgroup_info 0
		.amdhsa_system_vgpr_workitem_id 0
		.amdhsa_next_free_vgpr 1
		.amdhsa_next_free_sgpr 1
		.amdhsa_named_barrier_count 0
		.amdhsa_reserve_vcc 0
		.amdhsa_float_round_mode_32 0
		.amdhsa_float_round_mode_16_64 0
		.amdhsa_float_denorm_mode_32 3
		.amdhsa_float_denorm_mode_16_64 3
		.amdhsa_fp16_overflow 0
		.amdhsa_memory_ordered 1
		.amdhsa_forward_progress 1
		.amdhsa_inst_pref_size 0
		.amdhsa_round_robin_scheduling 0
		.amdhsa_exception_fp_ieee_invalid_op 0
		.amdhsa_exception_fp_denorm_src 0
		.amdhsa_exception_fp_ieee_div_zero 0
		.amdhsa_exception_fp_ieee_overflow 0
		.amdhsa_exception_fp_ieee_underflow 0
		.amdhsa_exception_fp_ieee_inexact 0
		.amdhsa_exception_int_div_zero 0
	.end_amdhsa_kernel
	.section	.text._ZN7rocprim17ROCPRIM_400000_NS6detail17trampoline_kernelINS0_14default_configENS1_27scan_by_key_config_selectorIiiEEZZNS1_16scan_by_key_implILNS1_25lookback_scan_determinismE0ELb1ES3_N6thrust23THRUST_200600_302600_NS6detail15normal_iteratorINS9_10device_ptrIiEEEENSB_INSC_IjEEEENSB_INSC_IfEEEEiNS9_4plusIvEENS9_8equal_toIvEEiEE10hipError_tPvRmT2_T3_T4_T5_mT6_T7_P12ihipStream_tbENKUlT_T0_E_clISt17integral_constantIbLb0EES13_EEDaSY_SZ_EUlSY_E_NS1_11comp_targetILNS1_3genE9ELNS1_11target_archE1100ELNS1_3gpuE3ELNS1_3repE0EEENS1_30default_config_static_selectorELNS0_4arch9wavefront6targetE0EEEvT1_,"axG",@progbits,_ZN7rocprim17ROCPRIM_400000_NS6detail17trampoline_kernelINS0_14default_configENS1_27scan_by_key_config_selectorIiiEEZZNS1_16scan_by_key_implILNS1_25lookback_scan_determinismE0ELb1ES3_N6thrust23THRUST_200600_302600_NS6detail15normal_iteratorINS9_10device_ptrIiEEEENSB_INSC_IjEEEENSB_INSC_IfEEEEiNS9_4plusIvEENS9_8equal_toIvEEiEE10hipError_tPvRmT2_T3_T4_T5_mT6_T7_P12ihipStream_tbENKUlT_T0_E_clISt17integral_constantIbLb0EES13_EEDaSY_SZ_EUlSY_E_NS1_11comp_targetILNS1_3genE9ELNS1_11target_archE1100ELNS1_3gpuE3ELNS1_3repE0EEENS1_30default_config_static_selectorELNS0_4arch9wavefront6targetE0EEEvT1_,comdat
.Lfunc_end1723:
	.size	_ZN7rocprim17ROCPRIM_400000_NS6detail17trampoline_kernelINS0_14default_configENS1_27scan_by_key_config_selectorIiiEEZZNS1_16scan_by_key_implILNS1_25lookback_scan_determinismE0ELb1ES3_N6thrust23THRUST_200600_302600_NS6detail15normal_iteratorINS9_10device_ptrIiEEEENSB_INSC_IjEEEENSB_INSC_IfEEEEiNS9_4plusIvEENS9_8equal_toIvEEiEE10hipError_tPvRmT2_T3_T4_T5_mT6_T7_P12ihipStream_tbENKUlT_T0_E_clISt17integral_constantIbLb0EES13_EEDaSY_SZ_EUlSY_E_NS1_11comp_targetILNS1_3genE9ELNS1_11target_archE1100ELNS1_3gpuE3ELNS1_3repE0EEENS1_30default_config_static_selectorELNS0_4arch9wavefront6targetE0EEEvT1_, .Lfunc_end1723-_ZN7rocprim17ROCPRIM_400000_NS6detail17trampoline_kernelINS0_14default_configENS1_27scan_by_key_config_selectorIiiEEZZNS1_16scan_by_key_implILNS1_25lookback_scan_determinismE0ELb1ES3_N6thrust23THRUST_200600_302600_NS6detail15normal_iteratorINS9_10device_ptrIiEEEENSB_INSC_IjEEEENSB_INSC_IfEEEEiNS9_4plusIvEENS9_8equal_toIvEEiEE10hipError_tPvRmT2_T3_T4_T5_mT6_T7_P12ihipStream_tbENKUlT_T0_E_clISt17integral_constantIbLb0EES13_EEDaSY_SZ_EUlSY_E_NS1_11comp_targetILNS1_3genE9ELNS1_11target_archE1100ELNS1_3gpuE3ELNS1_3repE0EEENS1_30default_config_static_selectorELNS0_4arch9wavefront6targetE0EEEvT1_
                                        ; -- End function
	.set _ZN7rocprim17ROCPRIM_400000_NS6detail17trampoline_kernelINS0_14default_configENS1_27scan_by_key_config_selectorIiiEEZZNS1_16scan_by_key_implILNS1_25lookback_scan_determinismE0ELb1ES3_N6thrust23THRUST_200600_302600_NS6detail15normal_iteratorINS9_10device_ptrIiEEEENSB_INSC_IjEEEENSB_INSC_IfEEEEiNS9_4plusIvEENS9_8equal_toIvEEiEE10hipError_tPvRmT2_T3_T4_T5_mT6_T7_P12ihipStream_tbENKUlT_T0_E_clISt17integral_constantIbLb0EES13_EEDaSY_SZ_EUlSY_E_NS1_11comp_targetILNS1_3genE9ELNS1_11target_archE1100ELNS1_3gpuE3ELNS1_3repE0EEENS1_30default_config_static_selectorELNS0_4arch9wavefront6targetE0EEEvT1_.num_vgpr, 0
	.set _ZN7rocprim17ROCPRIM_400000_NS6detail17trampoline_kernelINS0_14default_configENS1_27scan_by_key_config_selectorIiiEEZZNS1_16scan_by_key_implILNS1_25lookback_scan_determinismE0ELb1ES3_N6thrust23THRUST_200600_302600_NS6detail15normal_iteratorINS9_10device_ptrIiEEEENSB_INSC_IjEEEENSB_INSC_IfEEEEiNS9_4plusIvEENS9_8equal_toIvEEiEE10hipError_tPvRmT2_T3_T4_T5_mT6_T7_P12ihipStream_tbENKUlT_T0_E_clISt17integral_constantIbLb0EES13_EEDaSY_SZ_EUlSY_E_NS1_11comp_targetILNS1_3genE9ELNS1_11target_archE1100ELNS1_3gpuE3ELNS1_3repE0EEENS1_30default_config_static_selectorELNS0_4arch9wavefront6targetE0EEEvT1_.num_agpr, 0
	.set _ZN7rocprim17ROCPRIM_400000_NS6detail17trampoline_kernelINS0_14default_configENS1_27scan_by_key_config_selectorIiiEEZZNS1_16scan_by_key_implILNS1_25lookback_scan_determinismE0ELb1ES3_N6thrust23THRUST_200600_302600_NS6detail15normal_iteratorINS9_10device_ptrIiEEEENSB_INSC_IjEEEENSB_INSC_IfEEEEiNS9_4plusIvEENS9_8equal_toIvEEiEE10hipError_tPvRmT2_T3_T4_T5_mT6_T7_P12ihipStream_tbENKUlT_T0_E_clISt17integral_constantIbLb0EES13_EEDaSY_SZ_EUlSY_E_NS1_11comp_targetILNS1_3genE9ELNS1_11target_archE1100ELNS1_3gpuE3ELNS1_3repE0EEENS1_30default_config_static_selectorELNS0_4arch9wavefront6targetE0EEEvT1_.numbered_sgpr, 0
	.set _ZN7rocprim17ROCPRIM_400000_NS6detail17trampoline_kernelINS0_14default_configENS1_27scan_by_key_config_selectorIiiEEZZNS1_16scan_by_key_implILNS1_25lookback_scan_determinismE0ELb1ES3_N6thrust23THRUST_200600_302600_NS6detail15normal_iteratorINS9_10device_ptrIiEEEENSB_INSC_IjEEEENSB_INSC_IfEEEEiNS9_4plusIvEENS9_8equal_toIvEEiEE10hipError_tPvRmT2_T3_T4_T5_mT6_T7_P12ihipStream_tbENKUlT_T0_E_clISt17integral_constantIbLb0EES13_EEDaSY_SZ_EUlSY_E_NS1_11comp_targetILNS1_3genE9ELNS1_11target_archE1100ELNS1_3gpuE3ELNS1_3repE0EEENS1_30default_config_static_selectorELNS0_4arch9wavefront6targetE0EEEvT1_.num_named_barrier, 0
	.set _ZN7rocprim17ROCPRIM_400000_NS6detail17trampoline_kernelINS0_14default_configENS1_27scan_by_key_config_selectorIiiEEZZNS1_16scan_by_key_implILNS1_25lookback_scan_determinismE0ELb1ES3_N6thrust23THRUST_200600_302600_NS6detail15normal_iteratorINS9_10device_ptrIiEEEENSB_INSC_IjEEEENSB_INSC_IfEEEEiNS9_4plusIvEENS9_8equal_toIvEEiEE10hipError_tPvRmT2_T3_T4_T5_mT6_T7_P12ihipStream_tbENKUlT_T0_E_clISt17integral_constantIbLb0EES13_EEDaSY_SZ_EUlSY_E_NS1_11comp_targetILNS1_3genE9ELNS1_11target_archE1100ELNS1_3gpuE3ELNS1_3repE0EEENS1_30default_config_static_selectorELNS0_4arch9wavefront6targetE0EEEvT1_.private_seg_size, 0
	.set _ZN7rocprim17ROCPRIM_400000_NS6detail17trampoline_kernelINS0_14default_configENS1_27scan_by_key_config_selectorIiiEEZZNS1_16scan_by_key_implILNS1_25lookback_scan_determinismE0ELb1ES3_N6thrust23THRUST_200600_302600_NS6detail15normal_iteratorINS9_10device_ptrIiEEEENSB_INSC_IjEEEENSB_INSC_IfEEEEiNS9_4plusIvEENS9_8equal_toIvEEiEE10hipError_tPvRmT2_T3_T4_T5_mT6_T7_P12ihipStream_tbENKUlT_T0_E_clISt17integral_constantIbLb0EES13_EEDaSY_SZ_EUlSY_E_NS1_11comp_targetILNS1_3genE9ELNS1_11target_archE1100ELNS1_3gpuE3ELNS1_3repE0EEENS1_30default_config_static_selectorELNS0_4arch9wavefront6targetE0EEEvT1_.uses_vcc, 0
	.set _ZN7rocprim17ROCPRIM_400000_NS6detail17trampoline_kernelINS0_14default_configENS1_27scan_by_key_config_selectorIiiEEZZNS1_16scan_by_key_implILNS1_25lookback_scan_determinismE0ELb1ES3_N6thrust23THRUST_200600_302600_NS6detail15normal_iteratorINS9_10device_ptrIiEEEENSB_INSC_IjEEEENSB_INSC_IfEEEEiNS9_4plusIvEENS9_8equal_toIvEEiEE10hipError_tPvRmT2_T3_T4_T5_mT6_T7_P12ihipStream_tbENKUlT_T0_E_clISt17integral_constantIbLb0EES13_EEDaSY_SZ_EUlSY_E_NS1_11comp_targetILNS1_3genE9ELNS1_11target_archE1100ELNS1_3gpuE3ELNS1_3repE0EEENS1_30default_config_static_selectorELNS0_4arch9wavefront6targetE0EEEvT1_.uses_flat_scratch, 0
	.set _ZN7rocprim17ROCPRIM_400000_NS6detail17trampoline_kernelINS0_14default_configENS1_27scan_by_key_config_selectorIiiEEZZNS1_16scan_by_key_implILNS1_25lookback_scan_determinismE0ELb1ES3_N6thrust23THRUST_200600_302600_NS6detail15normal_iteratorINS9_10device_ptrIiEEEENSB_INSC_IjEEEENSB_INSC_IfEEEEiNS9_4plusIvEENS9_8equal_toIvEEiEE10hipError_tPvRmT2_T3_T4_T5_mT6_T7_P12ihipStream_tbENKUlT_T0_E_clISt17integral_constantIbLb0EES13_EEDaSY_SZ_EUlSY_E_NS1_11comp_targetILNS1_3genE9ELNS1_11target_archE1100ELNS1_3gpuE3ELNS1_3repE0EEENS1_30default_config_static_selectorELNS0_4arch9wavefront6targetE0EEEvT1_.has_dyn_sized_stack, 0
	.set _ZN7rocprim17ROCPRIM_400000_NS6detail17trampoline_kernelINS0_14default_configENS1_27scan_by_key_config_selectorIiiEEZZNS1_16scan_by_key_implILNS1_25lookback_scan_determinismE0ELb1ES3_N6thrust23THRUST_200600_302600_NS6detail15normal_iteratorINS9_10device_ptrIiEEEENSB_INSC_IjEEEENSB_INSC_IfEEEEiNS9_4plusIvEENS9_8equal_toIvEEiEE10hipError_tPvRmT2_T3_T4_T5_mT6_T7_P12ihipStream_tbENKUlT_T0_E_clISt17integral_constantIbLb0EES13_EEDaSY_SZ_EUlSY_E_NS1_11comp_targetILNS1_3genE9ELNS1_11target_archE1100ELNS1_3gpuE3ELNS1_3repE0EEENS1_30default_config_static_selectorELNS0_4arch9wavefront6targetE0EEEvT1_.has_recursion, 0
	.set _ZN7rocprim17ROCPRIM_400000_NS6detail17trampoline_kernelINS0_14default_configENS1_27scan_by_key_config_selectorIiiEEZZNS1_16scan_by_key_implILNS1_25lookback_scan_determinismE0ELb1ES3_N6thrust23THRUST_200600_302600_NS6detail15normal_iteratorINS9_10device_ptrIiEEEENSB_INSC_IjEEEENSB_INSC_IfEEEEiNS9_4plusIvEENS9_8equal_toIvEEiEE10hipError_tPvRmT2_T3_T4_T5_mT6_T7_P12ihipStream_tbENKUlT_T0_E_clISt17integral_constantIbLb0EES13_EEDaSY_SZ_EUlSY_E_NS1_11comp_targetILNS1_3genE9ELNS1_11target_archE1100ELNS1_3gpuE3ELNS1_3repE0EEENS1_30default_config_static_selectorELNS0_4arch9wavefront6targetE0EEEvT1_.has_indirect_call, 0
	.section	.AMDGPU.csdata,"",@progbits
; Kernel info:
; codeLenInByte = 0
; TotalNumSgprs: 0
; NumVgprs: 0
; ScratchSize: 0
; MemoryBound: 0
; FloatMode: 240
; IeeeMode: 1
; LDSByteSize: 0 bytes/workgroup (compile time only)
; SGPRBlocks: 0
; VGPRBlocks: 0
; NumSGPRsForWavesPerEU: 1
; NumVGPRsForWavesPerEU: 1
; NamedBarCnt: 0
; Occupancy: 16
; WaveLimiterHint : 0
; COMPUTE_PGM_RSRC2:SCRATCH_EN: 0
; COMPUTE_PGM_RSRC2:USER_SGPR: 2
; COMPUTE_PGM_RSRC2:TRAP_HANDLER: 0
; COMPUTE_PGM_RSRC2:TGID_X_EN: 1
; COMPUTE_PGM_RSRC2:TGID_Y_EN: 0
; COMPUTE_PGM_RSRC2:TGID_Z_EN: 0
; COMPUTE_PGM_RSRC2:TIDIG_COMP_CNT: 0
	.section	.text._ZN7rocprim17ROCPRIM_400000_NS6detail17trampoline_kernelINS0_14default_configENS1_27scan_by_key_config_selectorIiiEEZZNS1_16scan_by_key_implILNS1_25lookback_scan_determinismE0ELb1ES3_N6thrust23THRUST_200600_302600_NS6detail15normal_iteratorINS9_10device_ptrIiEEEENSB_INSC_IjEEEENSB_INSC_IfEEEEiNS9_4plusIvEENS9_8equal_toIvEEiEE10hipError_tPvRmT2_T3_T4_T5_mT6_T7_P12ihipStream_tbENKUlT_T0_E_clISt17integral_constantIbLb0EES13_EEDaSY_SZ_EUlSY_E_NS1_11comp_targetILNS1_3genE8ELNS1_11target_archE1030ELNS1_3gpuE2ELNS1_3repE0EEENS1_30default_config_static_selectorELNS0_4arch9wavefront6targetE0EEEvT1_,"axG",@progbits,_ZN7rocprim17ROCPRIM_400000_NS6detail17trampoline_kernelINS0_14default_configENS1_27scan_by_key_config_selectorIiiEEZZNS1_16scan_by_key_implILNS1_25lookback_scan_determinismE0ELb1ES3_N6thrust23THRUST_200600_302600_NS6detail15normal_iteratorINS9_10device_ptrIiEEEENSB_INSC_IjEEEENSB_INSC_IfEEEEiNS9_4plusIvEENS9_8equal_toIvEEiEE10hipError_tPvRmT2_T3_T4_T5_mT6_T7_P12ihipStream_tbENKUlT_T0_E_clISt17integral_constantIbLb0EES13_EEDaSY_SZ_EUlSY_E_NS1_11comp_targetILNS1_3genE8ELNS1_11target_archE1030ELNS1_3gpuE2ELNS1_3repE0EEENS1_30default_config_static_selectorELNS0_4arch9wavefront6targetE0EEEvT1_,comdat
	.protected	_ZN7rocprim17ROCPRIM_400000_NS6detail17trampoline_kernelINS0_14default_configENS1_27scan_by_key_config_selectorIiiEEZZNS1_16scan_by_key_implILNS1_25lookback_scan_determinismE0ELb1ES3_N6thrust23THRUST_200600_302600_NS6detail15normal_iteratorINS9_10device_ptrIiEEEENSB_INSC_IjEEEENSB_INSC_IfEEEEiNS9_4plusIvEENS9_8equal_toIvEEiEE10hipError_tPvRmT2_T3_T4_T5_mT6_T7_P12ihipStream_tbENKUlT_T0_E_clISt17integral_constantIbLb0EES13_EEDaSY_SZ_EUlSY_E_NS1_11comp_targetILNS1_3genE8ELNS1_11target_archE1030ELNS1_3gpuE2ELNS1_3repE0EEENS1_30default_config_static_selectorELNS0_4arch9wavefront6targetE0EEEvT1_ ; -- Begin function _ZN7rocprim17ROCPRIM_400000_NS6detail17trampoline_kernelINS0_14default_configENS1_27scan_by_key_config_selectorIiiEEZZNS1_16scan_by_key_implILNS1_25lookback_scan_determinismE0ELb1ES3_N6thrust23THRUST_200600_302600_NS6detail15normal_iteratorINS9_10device_ptrIiEEEENSB_INSC_IjEEEENSB_INSC_IfEEEEiNS9_4plusIvEENS9_8equal_toIvEEiEE10hipError_tPvRmT2_T3_T4_T5_mT6_T7_P12ihipStream_tbENKUlT_T0_E_clISt17integral_constantIbLb0EES13_EEDaSY_SZ_EUlSY_E_NS1_11comp_targetILNS1_3genE8ELNS1_11target_archE1030ELNS1_3gpuE2ELNS1_3repE0EEENS1_30default_config_static_selectorELNS0_4arch9wavefront6targetE0EEEvT1_
	.globl	_ZN7rocprim17ROCPRIM_400000_NS6detail17trampoline_kernelINS0_14default_configENS1_27scan_by_key_config_selectorIiiEEZZNS1_16scan_by_key_implILNS1_25lookback_scan_determinismE0ELb1ES3_N6thrust23THRUST_200600_302600_NS6detail15normal_iteratorINS9_10device_ptrIiEEEENSB_INSC_IjEEEENSB_INSC_IfEEEEiNS9_4plusIvEENS9_8equal_toIvEEiEE10hipError_tPvRmT2_T3_T4_T5_mT6_T7_P12ihipStream_tbENKUlT_T0_E_clISt17integral_constantIbLb0EES13_EEDaSY_SZ_EUlSY_E_NS1_11comp_targetILNS1_3genE8ELNS1_11target_archE1030ELNS1_3gpuE2ELNS1_3repE0EEENS1_30default_config_static_selectorELNS0_4arch9wavefront6targetE0EEEvT1_
	.p2align	8
	.type	_ZN7rocprim17ROCPRIM_400000_NS6detail17trampoline_kernelINS0_14default_configENS1_27scan_by_key_config_selectorIiiEEZZNS1_16scan_by_key_implILNS1_25lookback_scan_determinismE0ELb1ES3_N6thrust23THRUST_200600_302600_NS6detail15normal_iteratorINS9_10device_ptrIiEEEENSB_INSC_IjEEEENSB_INSC_IfEEEEiNS9_4plusIvEENS9_8equal_toIvEEiEE10hipError_tPvRmT2_T3_T4_T5_mT6_T7_P12ihipStream_tbENKUlT_T0_E_clISt17integral_constantIbLb0EES13_EEDaSY_SZ_EUlSY_E_NS1_11comp_targetILNS1_3genE8ELNS1_11target_archE1030ELNS1_3gpuE2ELNS1_3repE0EEENS1_30default_config_static_selectorELNS0_4arch9wavefront6targetE0EEEvT1_,@function
_ZN7rocprim17ROCPRIM_400000_NS6detail17trampoline_kernelINS0_14default_configENS1_27scan_by_key_config_selectorIiiEEZZNS1_16scan_by_key_implILNS1_25lookback_scan_determinismE0ELb1ES3_N6thrust23THRUST_200600_302600_NS6detail15normal_iteratorINS9_10device_ptrIiEEEENSB_INSC_IjEEEENSB_INSC_IfEEEEiNS9_4plusIvEENS9_8equal_toIvEEiEE10hipError_tPvRmT2_T3_T4_T5_mT6_T7_P12ihipStream_tbENKUlT_T0_E_clISt17integral_constantIbLb0EES13_EEDaSY_SZ_EUlSY_E_NS1_11comp_targetILNS1_3genE8ELNS1_11target_archE1030ELNS1_3gpuE2ELNS1_3repE0EEENS1_30default_config_static_selectorELNS0_4arch9wavefront6targetE0EEEvT1_: ; @_ZN7rocprim17ROCPRIM_400000_NS6detail17trampoline_kernelINS0_14default_configENS1_27scan_by_key_config_selectorIiiEEZZNS1_16scan_by_key_implILNS1_25lookback_scan_determinismE0ELb1ES3_N6thrust23THRUST_200600_302600_NS6detail15normal_iteratorINS9_10device_ptrIiEEEENSB_INSC_IjEEEENSB_INSC_IfEEEEiNS9_4plusIvEENS9_8equal_toIvEEiEE10hipError_tPvRmT2_T3_T4_T5_mT6_T7_P12ihipStream_tbENKUlT_T0_E_clISt17integral_constantIbLb0EES13_EEDaSY_SZ_EUlSY_E_NS1_11comp_targetILNS1_3genE8ELNS1_11target_archE1030ELNS1_3gpuE2ELNS1_3repE0EEENS1_30default_config_static_selectorELNS0_4arch9wavefront6targetE0EEEvT1_
; %bb.0:
	.section	.rodata,"a",@progbits
	.p2align	6, 0x0
	.amdhsa_kernel _ZN7rocprim17ROCPRIM_400000_NS6detail17trampoline_kernelINS0_14default_configENS1_27scan_by_key_config_selectorIiiEEZZNS1_16scan_by_key_implILNS1_25lookback_scan_determinismE0ELb1ES3_N6thrust23THRUST_200600_302600_NS6detail15normal_iteratorINS9_10device_ptrIiEEEENSB_INSC_IjEEEENSB_INSC_IfEEEEiNS9_4plusIvEENS9_8equal_toIvEEiEE10hipError_tPvRmT2_T3_T4_T5_mT6_T7_P12ihipStream_tbENKUlT_T0_E_clISt17integral_constantIbLb0EES13_EEDaSY_SZ_EUlSY_E_NS1_11comp_targetILNS1_3genE8ELNS1_11target_archE1030ELNS1_3gpuE2ELNS1_3repE0EEENS1_30default_config_static_selectorELNS0_4arch9wavefront6targetE0EEEvT1_
		.amdhsa_group_segment_fixed_size 0
		.amdhsa_private_segment_fixed_size 0
		.amdhsa_kernarg_size 112
		.amdhsa_user_sgpr_count 2
		.amdhsa_user_sgpr_dispatch_ptr 0
		.amdhsa_user_sgpr_queue_ptr 0
		.amdhsa_user_sgpr_kernarg_segment_ptr 1
		.amdhsa_user_sgpr_dispatch_id 0
		.amdhsa_user_sgpr_kernarg_preload_length 0
		.amdhsa_user_sgpr_kernarg_preload_offset 0
		.amdhsa_user_sgpr_private_segment_size 0
		.amdhsa_wavefront_size32 1
		.amdhsa_uses_dynamic_stack 0
		.amdhsa_enable_private_segment 0
		.amdhsa_system_sgpr_workgroup_id_x 1
		.amdhsa_system_sgpr_workgroup_id_y 0
		.amdhsa_system_sgpr_workgroup_id_z 0
		.amdhsa_system_sgpr_workgroup_info 0
		.amdhsa_system_vgpr_workitem_id 0
		.amdhsa_next_free_vgpr 1
		.amdhsa_next_free_sgpr 1
		.amdhsa_named_barrier_count 0
		.amdhsa_reserve_vcc 0
		.amdhsa_float_round_mode_32 0
		.amdhsa_float_round_mode_16_64 0
		.amdhsa_float_denorm_mode_32 3
		.amdhsa_float_denorm_mode_16_64 3
		.amdhsa_fp16_overflow 0
		.amdhsa_memory_ordered 1
		.amdhsa_forward_progress 1
		.amdhsa_inst_pref_size 0
		.amdhsa_round_robin_scheduling 0
		.amdhsa_exception_fp_ieee_invalid_op 0
		.amdhsa_exception_fp_denorm_src 0
		.amdhsa_exception_fp_ieee_div_zero 0
		.amdhsa_exception_fp_ieee_overflow 0
		.amdhsa_exception_fp_ieee_underflow 0
		.amdhsa_exception_fp_ieee_inexact 0
		.amdhsa_exception_int_div_zero 0
	.end_amdhsa_kernel
	.section	.text._ZN7rocprim17ROCPRIM_400000_NS6detail17trampoline_kernelINS0_14default_configENS1_27scan_by_key_config_selectorIiiEEZZNS1_16scan_by_key_implILNS1_25lookback_scan_determinismE0ELb1ES3_N6thrust23THRUST_200600_302600_NS6detail15normal_iteratorINS9_10device_ptrIiEEEENSB_INSC_IjEEEENSB_INSC_IfEEEEiNS9_4plusIvEENS9_8equal_toIvEEiEE10hipError_tPvRmT2_T3_T4_T5_mT6_T7_P12ihipStream_tbENKUlT_T0_E_clISt17integral_constantIbLb0EES13_EEDaSY_SZ_EUlSY_E_NS1_11comp_targetILNS1_3genE8ELNS1_11target_archE1030ELNS1_3gpuE2ELNS1_3repE0EEENS1_30default_config_static_selectorELNS0_4arch9wavefront6targetE0EEEvT1_,"axG",@progbits,_ZN7rocprim17ROCPRIM_400000_NS6detail17trampoline_kernelINS0_14default_configENS1_27scan_by_key_config_selectorIiiEEZZNS1_16scan_by_key_implILNS1_25lookback_scan_determinismE0ELb1ES3_N6thrust23THRUST_200600_302600_NS6detail15normal_iteratorINS9_10device_ptrIiEEEENSB_INSC_IjEEEENSB_INSC_IfEEEEiNS9_4plusIvEENS9_8equal_toIvEEiEE10hipError_tPvRmT2_T3_T4_T5_mT6_T7_P12ihipStream_tbENKUlT_T0_E_clISt17integral_constantIbLb0EES13_EEDaSY_SZ_EUlSY_E_NS1_11comp_targetILNS1_3genE8ELNS1_11target_archE1030ELNS1_3gpuE2ELNS1_3repE0EEENS1_30default_config_static_selectorELNS0_4arch9wavefront6targetE0EEEvT1_,comdat
.Lfunc_end1724:
	.size	_ZN7rocprim17ROCPRIM_400000_NS6detail17trampoline_kernelINS0_14default_configENS1_27scan_by_key_config_selectorIiiEEZZNS1_16scan_by_key_implILNS1_25lookback_scan_determinismE0ELb1ES3_N6thrust23THRUST_200600_302600_NS6detail15normal_iteratorINS9_10device_ptrIiEEEENSB_INSC_IjEEEENSB_INSC_IfEEEEiNS9_4plusIvEENS9_8equal_toIvEEiEE10hipError_tPvRmT2_T3_T4_T5_mT6_T7_P12ihipStream_tbENKUlT_T0_E_clISt17integral_constantIbLb0EES13_EEDaSY_SZ_EUlSY_E_NS1_11comp_targetILNS1_3genE8ELNS1_11target_archE1030ELNS1_3gpuE2ELNS1_3repE0EEENS1_30default_config_static_selectorELNS0_4arch9wavefront6targetE0EEEvT1_, .Lfunc_end1724-_ZN7rocprim17ROCPRIM_400000_NS6detail17trampoline_kernelINS0_14default_configENS1_27scan_by_key_config_selectorIiiEEZZNS1_16scan_by_key_implILNS1_25lookback_scan_determinismE0ELb1ES3_N6thrust23THRUST_200600_302600_NS6detail15normal_iteratorINS9_10device_ptrIiEEEENSB_INSC_IjEEEENSB_INSC_IfEEEEiNS9_4plusIvEENS9_8equal_toIvEEiEE10hipError_tPvRmT2_T3_T4_T5_mT6_T7_P12ihipStream_tbENKUlT_T0_E_clISt17integral_constantIbLb0EES13_EEDaSY_SZ_EUlSY_E_NS1_11comp_targetILNS1_3genE8ELNS1_11target_archE1030ELNS1_3gpuE2ELNS1_3repE0EEENS1_30default_config_static_selectorELNS0_4arch9wavefront6targetE0EEEvT1_
                                        ; -- End function
	.set _ZN7rocprim17ROCPRIM_400000_NS6detail17trampoline_kernelINS0_14default_configENS1_27scan_by_key_config_selectorIiiEEZZNS1_16scan_by_key_implILNS1_25lookback_scan_determinismE0ELb1ES3_N6thrust23THRUST_200600_302600_NS6detail15normal_iteratorINS9_10device_ptrIiEEEENSB_INSC_IjEEEENSB_INSC_IfEEEEiNS9_4plusIvEENS9_8equal_toIvEEiEE10hipError_tPvRmT2_T3_T4_T5_mT6_T7_P12ihipStream_tbENKUlT_T0_E_clISt17integral_constantIbLb0EES13_EEDaSY_SZ_EUlSY_E_NS1_11comp_targetILNS1_3genE8ELNS1_11target_archE1030ELNS1_3gpuE2ELNS1_3repE0EEENS1_30default_config_static_selectorELNS0_4arch9wavefront6targetE0EEEvT1_.num_vgpr, 0
	.set _ZN7rocprim17ROCPRIM_400000_NS6detail17trampoline_kernelINS0_14default_configENS1_27scan_by_key_config_selectorIiiEEZZNS1_16scan_by_key_implILNS1_25lookback_scan_determinismE0ELb1ES3_N6thrust23THRUST_200600_302600_NS6detail15normal_iteratorINS9_10device_ptrIiEEEENSB_INSC_IjEEEENSB_INSC_IfEEEEiNS9_4plusIvEENS9_8equal_toIvEEiEE10hipError_tPvRmT2_T3_T4_T5_mT6_T7_P12ihipStream_tbENKUlT_T0_E_clISt17integral_constantIbLb0EES13_EEDaSY_SZ_EUlSY_E_NS1_11comp_targetILNS1_3genE8ELNS1_11target_archE1030ELNS1_3gpuE2ELNS1_3repE0EEENS1_30default_config_static_selectorELNS0_4arch9wavefront6targetE0EEEvT1_.num_agpr, 0
	.set _ZN7rocprim17ROCPRIM_400000_NS6detail17trampoline_kernelINS0_14default_configENS1_27scan_by_key_config_selectorIiiEEZZNS1_16scan_by_key_implILNS1_25lookback_scan_determinismE0ELb1ES3_N6thrust23THRUST_200600_302600_NS6detail15normal_iteratorINS9_10device_ptrIiEEEENSB_INSC_IjEEEENSB_INSC_IfEEEEiNS9_4plusIvEENS9_8equal_toIvEEiEE10hipError_tPvRmT2_T3_T4_T5_mT6_T7_P12ihipStream_tbENKUlT_T0_E_clISt17integral_constantIbLb0EES13_EEDaSY_SZ_EUlSY_E_NS1_11comp_targetILNS1_3genE8ELNS1_11target_archE1030ELNS1_3gpuE2ELNS1_3repE0EEENS1_30default_config_static_selectorELNS0_4arch9wavefront6targetE0EEEvT1_.numbered_sgpr, 0
	.set _ZN7rocprim17ROCPRIM_400000_NS6detail17trampoline_kernelINS0_14default_configENS1_27scan_by_key_config_selectorIiiEEZZNS1_16scan_by_key_implILNS1_25lookback_scan_determinismE0ELb1ES3_N6thrust23THRUST_200600_302600_NS6detail15normal_iteratorINS9_10device_ptrIiEEEENSB_INSC_IjEEEENSB_INSC_IfEEEEiNS9_4plusIvEENS9_8equal_toIvEEiEE10hipError_tPvRmT2_T3_T4_T5_mT6_T7_P12ihipStream_tbENKUlT_T0_E_clISt17integral_constantIbLb0EES13_EEDaSY_SZ_EUlSY_E_NS1_11comp_targetILNS1_3genE8ELNS1_11target_archE1030ELNS1_3gpuE2ELNS1_3repE0EEENS1_30default_config_static_selectorELNS0_4arch9wavefront6targetE0EEEvT1_.num_named_barrier, 0
	.set _ZN7rocprim17ROCPRIM_400000_NS6detail17trampoline_kernelINS0_14default_configENS1_27scan_by_key_config_selectorIiiEEZZNS1_16scan_by_key_implILNS1_25lookback_scan_determinismE0ELb1ES3_N6thrust23THRUST_200600_302600_NS6detail15normal_iteratorINS9_10device_ptrIiEEEENSB_INSC_IjEEEENSB_INSC_IfEEEEiNS9_4plusIvEENS9_8equal_toIvEEiEE10hipError_tPvRmT2_T3_T4_T5_mT6_T7_P12ihipStream_tbENKUlT_T0_E_clISt17integral_constantIbLb0EES13_EEDaSY_SZ_EUlSY_E_NS1_11comp_targetILNS1_3genE8ELNS1_11target_archE1030ELNS1_3gpuE2ELNS1_3repE0EEENS1_30default_config_static_selectorELNS0_4arch9wavefront6targetE0EEEvT1_.private_seg_size, 0
	.set _ZN7rocprim17ROCPRIM_400000_NS6detail17trampoline_kernelINS0_14default_configENS1_27scan_by_key_config_selectorIiiEEZZNS1_16scan_by_key_implILNS1_25lookback_scan_determinismE0ELb1ES3_N6thrust23THRUST_200600_302600_NS6detail15normal_iteratorINS9_10device_ptrIiEEEENSB_INSC_IjEEEENSB_INSC_IfEEEEiNS9_4plusIvEENS9_8equal_toIvEEiEE10hipError_tPvRmT2_T3_T4_T5_mT6_T7_P12ihipStream_tbENKUlT_T0_E_clISt17integral_constantIbLb0EES13_EEDaSY_SZ_EUlSY_E_NS1_11comp_targetILNS1_3genE8ELNS1_11target_archE1030ELNS1_3gpuE2ELNS1_3repE0EEENS1_30default_config_static_selectorELNS0_4arch9wavefront6targetE0EEEvT1_.uses_vcc, 0
	.set _ZN7rocprim17ROCPRIM_400000_NS6detail17trampoline_kernelINS0_14default_configENS1_27scan_by_key_config_selectorIiiEEZZNS1_16scan_by_key_implILNS1_25lookback_scan_determinismE0ELb1ES3_N6thrust23THRUST_200600_302600_NS6detail15normal_iteratorINS9_10device_ptrIiEEEENSB_INSC_IjEEEENSB_INSC_IfEEEEiNS9_4plusIvEENS9_8equal_toIvEEiEE10hipError_tPvRmT2_T3_T4_T5_mT6_T7_P12ihipStream_tbENKUlT_T0_E_clISt17integral_constantIbLb0EES13_EEDaSY_SZ_EUlSY_E_NS1_11comp_targetILNS1_3genE8ELNS1_11target_archE1030ELNS1_3gpuE2ELNS1_3repE0EEENS1_30default_config_static_selectorELNS0_4arch9wavefront6targetE0EEEvT1_.uses_flat_scratch, 0
	.set _ZN7rocprim17ROCPRIM_400000_NS6detail17trampoline_kernelINS0_14default_configENS1_27scan_by_key_config_selectorIiiEEZZNS1_16scan_by_key_implILNS1_25lookback_scan_determinismE0ELb1ES3_N6thrust23THRUST_200600_302600_NS6detail15normal_iteratorINS9_10device_ptrIiEEEENSB_INSC_IjEEEENSB_INSC_IfEEEEiNS9_4plusIvEENS9_8equal_toIvEEiEE10hipError_tPvRmT2_T3_T4_T5_mT6_T7_P12ihipStream_tbENKUlT_T0_E_clISt17integral_constantIbLb0EES13_EEDaSY_SZ_EUlSY_E_NS1_11comp_targetILNS1_3genE8ELNS1_11target_archE1030ELNS1_3gpuE2ELNS1_3repE0EEENS1_30default_config_static_selectorELNS0_4arch9wavefront6targetE0EEEvT1_.has_dyn_sized_stack, 0
	.set _ZN7rocprim17ROCPRIM_400000_NS6detail17trampoline_kernelINS0_14default_configENS1_27scan_by_key_config_selectorIiiEEZZNS1_16scan_by_key_implILNS1_25lookback_scan_determinismE0ELb1ES3_N6thrust23THRUST_200600_302600_NS6detail15normal_iteratorINS9_10device_ptrIiEEEENSB_INSC_IjEEEENSB_INSC_IfEEEEiNS9_4plusIvEENS9_8equal_toIvEEiEE10hipError_tPvRmT2_T3_T4_T5_mT6_T7_P12ihipStream_tbENKUlT_T0_E_clISt17integral_constantIbLb0EES13_EEDaSY_SZ_EUlSY_E_NS1_11comp_targetILNS1_3genE8ELNS1_11target_archE1030ELNS1_3gpuE2ELNS1_3repE0EEENS1_30default_config_static_selectorELNS0_4arch9wavefront6targetE0EEEvT1_.has_recursion, 0
	.set _ZN7rocprim17ROCPRIM_400000_NS6detail17trampoline_kernelINS0_14default_configENS1_27scan_by_key_config_selectorIiiEEZZNS1_16scan_by_key_implILNS1_25lookback_scan_determinismE0ELb1ES3_N6thrust23THRUST_200600_302600_NS6detail15normal_iteratorINS9_10device_ptrIiEEEENSB_INSC_IjEEEENSB_INSC_IfEEEEiNS9_4plusIvEENS9_8equal_toIvEEiEE10hipError_tPvRmT2_T3_T4_T5_mT6_T7_P12ihipStream_tbENKUlT_T0_E_clISt17integral_constantIbLb0EES13_EEDaSY_SZ_EUlSY_E_NS1_11comp_targetILNS1_3genE8ELNS1_11target_archE1030ELNS1_3gpuE2ELNS1_3repE0EEENS1_30default_config_static_selectorELNS0_4arch9wavefront6targetE0EEEvT1_.has_indirect_call, 0
	.section	.AMDGPU.csdata,"",@progbits
; Kernel info:
; codeLenInByte = 0
; TotalNumSgprs: 0
; NumVgprs: 0
; ScratchSize: 0
; MemoryBound: 0
; FloatMode: 240
; IeeeMode: 1
; LDSByteSize: 0 bytes/workgroup (compile time only)
; SGPRBlocks: 0
; VGPRBlocks: 0
; NumSGPRsForWavesPerEU: 1
; NumVGPRsForWavesPerEU: 1
; NamedBarCnt: 0
; Occupancy: 16
; WaveLimiterHint : 0
; COMPUTE_PGM_RSRC2:SCRATCH_EN: 0
; COMPUTE_PGM_RSRC2:USER_SGPR: 2
; COMPUTE_PGM_RSRC2:TRAP_HANDLER: 0
; COMPUTE_PGM_RSRC2:TGID_X_EN: 1
; COMPUTE_PGM_RSRC2:TGID_Y_EN: 0
; COMPUTE_PGM_RSRC2:TGID_Z_EN: 0
; COMPUTE_PGM_RSRC2:TIDIG_COMP_CNT: 0
	.section	.text._ZN7rocprim17ROCPRIM_400000_NS6detail17trampoline_kernelINS0_14default_configENS1_27scan_by_key_config_selectorIiiEEZZNS1_16scan_by_key_implILNS1_25lookback_scan_determinismE0ELb1ES3_N6thrust23THRUST_200600_302600_NS6detail15normal_iteratorINS9_10device_ptrIiEEEENSB_INSC_IjEEEENSB_INSC_IfEEEEiNS9_4plusIvEENS9_8equal_toIvEEiEE10hipError_tPvRmT2_T3_T4_T5_mT6_T7_P12ihipStream_tbENKUlT_T0_E_clISt17integral_constantIbLb1EES13_EEDaSY_SZ_EUlSY_E_NS1_11comp_targetILNS1_3genE0ELNS1_11target_archE4294967295ELNS1_3gpuE0ELNS1_3repE0EEENS1_30default_config_static_selectorELNS0_4arch9wavefront6targetE0EEEvT1_,"axG",@progbits,_ZN7rocprim17ROCPRIM_400000_NS6detail17trampoline_kernelINS0_14default_configENS1_27scan_by_key_config_selectorIiiEEZZNS1_16scan_by_key_implILNS1_25lookback_scan_determinismE0ELb1ES3_N6thrust23THRUST_200600_302600_NS6detail15normal_iteratorINS9_10device_ptrIiEEEENSB_INSC_IjEEEENSB_INSC_IfEEEEiNS9_4plusIvEENS9_8equal_toIvEEiEE10hipError_tPvRmT2_T3_T4_T5_mT6_T7_P12ihipStream_tbENKUlT_T0_E_clISt17integral_constantIbLb1EES13_EEDaSY_SZ_EUlSY_E_NS1_11comp_targetILNS1_3genE0ELNS1_11target_archE4294967295ELNS1_3gpuE0ELNS1_3repE0EEENS1_30default_config_static_selectorELNS0_4arch9wavefront6targetE0EEEvT1_,comdat
	.protected	_ZN7rocprim17ROCPRIM_400000_NS6detail17trampoline_kernelINS0_14default_configENS1_27scan_by_key_config_selectorIiiEEZZNS1_16scan_by_key_implILNS1_25lookback_scan_determinismE0ELb1ES3_N6thrust23THRUST_200600_302600_NS6detail15normal_iteratorINS9_10device_ptrIiEEEENSB_INSC_IjEEEENSB_INSC_IfEEEEiNS9_4plusIvEENS9_8equal_toIvEEiEE10hipError_tPvRmT2_T3_T4_T5_mT6_T7_P12ihipStream_tbENKUlT_T0_E_clISt17integral_constantIbLb1EES13_EEDaSY_SZ_EUlSY_E_NS1_11comp_targetILNS1_3genE0ELNS1_11target_archE4294967295ELNS1_3gpuE0ELNS1_3repE0EEENS1_30default_config_static_selectorELNS0_4arch9wavefront6targetE0EEEvT1_ ; -- Begin function _ZN7rocprim17ROCPRIM_400000_NS6detail17trampoline_kernelINS0_14default_configENS1_27scan_by_key_config_selectorIiiEEZZNS1_16scan_by_key_implILNS1_25lookback_scan_determinismE0ELb1ES3_N6thrust23THRUST_200600_302600_NS6detail15normal_iteratorINS9_10device_ptrIiEEEENSB_INSC_IjEEEENSB_INSC_IfEEEEiNS9_4plusIvEENS9_8equal_toIvEEiEE10hipError_tPvRmT2_T3_T4_T5_mT6_T7_P12ihipStream_tbENKUlT_T0_E_clISt17integral_constantIbLb1EES13_EEDaSY_SZ_EUlSY_E_NS1_11comp_targetILNS1_3genE0ELNS1_11target_archE4294967295ELNS1_3gpuE0ELNS1_3repE0EEENS1_30default_config_static_selectorELNS0_4arch9wavefront6targetE0EEEvT1_
	.globl	_ZN7rocprim17ROCPRIM_400000_NS6detail17trampoline_kernelINS0_14default_configENS1_27scan_by_key_config_selectorIiiEEZZNS1_16scan_by_key_implILNS1_25lookback_scan_determinismE0ELb1ES3_N6thrust23THRUST_200600_302600_NS6detail15normal_iteratorINS9_10device_ptrIiEEEENSB_INSC_IjEEEENSB_INSC_IfEEEEiNS9_4plusIvEENS9_8equal_toIvEEiEE10hipError_tPvRmT2_T3_T4_T5_mT6_T7_P12ihipStream_tbENKUlT_T0_E_clISt17integral_constantIbLb1EES13_EEDaSY_SZ_EUlSY_E_NS1_11comp_targetILNS1_3genE0ELNS1_11target_archE4294967295ELNS1_3gpuE0ELNS1_3repE0EEENS1_30default_config_static_selectorELNS0_4arch9wavefront6targetE0EEEvT1_
	.p2align	8
	.type	_ZN7rocprim17ROCPRIM_400000_NS6detail17trampoline_kernelINS0_14default_configENS1_27scan_by_key_config_selectorIiiEEZZNS1_16scan_by_key_implILNS1_25lookback_scan_determinismE0ELb1ES3_N6thrust23THRUST_200600_302600_NS6detail15normal_iteratorINS9_10device_ptrIiEEEENSB_INSC_IjEEEENSB_INSC_IfEEEEiNS9_4plusIvEENS9_8equal_toIvEEiEE10hipError_tPvRmT2_T3_T4_T5_mT6_T7_P12ihipStream_tbENKUlT_T0_E_clISt17integral_constantIbLb1EES13_EEDaSY_SZ_EUlSY_E_NS1_11comp_targetILNS1_3genE0ELNS1_11target_archE4294967295ELNS1_3gpuE0ELNS1_3repE0EEENS1_30default_config_static_selectorELNS0_4arch9wavefront6targetE0EEEvT1_,@function
_ZN7rocprim17ROCPRIM_400000_NS6detail17trampoline_kernelINS0_14default_configENS1_27scan_by_key_config_selectorIiiEEZZNS1_16scan_by_key_implILNS1_25lookback_scan_determinismE0ELb1ES3_N6thrust23THRUST_200600_302600_NS6detail15normal_iteratorINS9_10device_ptrIiEEEENSB_INSC_IjEEEENSB_INSC_IfEEEEiNS9_4plusIvEENS9_8equal_toIvEEiEE10hipError_tPvRmT2_T3_T4_T5_mT6_T7_P12ihipStream_tbENKUlT_T0_E_clISt17integral_constantIbLb1EES13_EEDaSY_SZ_EUlSY_E_NS1_11comp_targetILNS1_3genE0ELNS1_11target_archE4294967295ELNS1_3gpuE0ELNS1_3repE0EEENS1_30default_config_static_selectorELNS0_4arch9wavefront6targetE0EEEvT1_: ; @_ZN7rocprim17ROCPRIM_400000_NS6detail17trampoline_kernelINS0_14default_configENS1_27scan_by_key_config_selectorIiiEEZZNS1_16scan_by_key_implILNS1_25lookback_scan_determinismE0ELb1ES3_N6thrust23THRUST_200600_302600_NS6detail15normal_iteratorINS9_10device_ptrIiEEEENSB_INSC_IjEEEENSB_INSC_IfEEEEiNS9_4plusIvEENS9_8equal_toIvEEiEE10hipError_tPvRmT2_T3_T4_T5_mT6_T7_P12ihipStream_tbENKUlT_T0_E_clISt17integral_constantIbLb1EES13_EEDaSY_SZ_EUlSY_E_NS1_11comp_targetILNS1_3genE0ELNS1_11target_archE4294967295ELNS1_3gpuE0ELNS1_3repE0EEENS1_30default_config_static_selectorELNS0_4arch9wavefront6targetE0EEEvT1_
; %bb.0:
	s_endpgm
	.section	.rodata,"a",@progbits
	.p2align	6, 0x0
	.amdhsa_kernel _ZN7rocprim17ROCPRIM_400000_NS6detail17trampoline_kernelINS0_14default_configENS1_27scan_by_key_config_selectorIiiEEZZNS1_16scan_by_key_implILNS1_25lookback_scan_determinismE0ELb1ES3_N6thrust23THRUST_200600_302600_NS6detail15normal_iteratorINS9_10device_ptrIiEEEENSB_INSC_IjEEEENSB_INSC_IfEEEEiNS9_4plusIvEENS9_8equal_toIvEEiEE10hipError_tPvRmT2_T3_T4_T5_mT6_T7_P12ihipStream_tbENKUlT_T0_E_clISt17integral_constantIbLb1EES13_EEDaSY_SZ_EUlSY_E_NS1_11comp_targetILNS1_3genE0ELNS1_11target_archE4294967295ELNS1_3gpuE0ELNS1_3repE0EEENS1_30default_config_static_selectorELNS0_4arch9wavefront6targetE0EEEvT1_
		.amdhsa_group_segment_fixed_size 0
		.amdhsa_private_segment_fixed_size 0
		.amdhsa_kernarg_size 112
		.amdhsa_user_sgpr_count 2
		.amdhsa_user_sgpr_dispatch_ptr 0
		.amdhsa_user_sgpr_queue_ptr 0
		.amdhsa_user_sgpr_kernarg_segment_ptr 1
		.amdhsa_user_sgpr_dispatch_id 0
		.amdhsa_user_sgpr_kernarg_preload_length 0
		.amdhsa_user_sgpr_kernarg_preload_offset 0
		.amdhsa_user_sgpr_private_segment_size 0
		.amdhsa_wavefront_size32 1
		.amdhsa_uses_dynamic_stack 0
		.amdhsa_enable_private_segment 0
		.amdhsa_system_sgpr_workgroup_id_x 1
		.amdhsa_system_sgpr_workgroup_id_y 0
		.amdhsa_system_sgpr_workgroup_id_z 0
		.amdhsa_system_sgpr_workgroup_info 0
		.amdhsa_system_vgpr_workitem_id 0
		.amdhsa_next_free_vgpr 1
		.amdhsa_next_free_sgpr 1
		.amdhsa_named_barrier_count 0
		.amdhsa_reserve_vcc 0
		.amdhsa_float_round_mode_32 0
		.amdhsa_float_round_mode_16_64 0
		.amdhsa_float_denorm_mode_32 3
		.amdhsa_float_denorm_mode_16_64 3
		.amdhsa_fp16_overflow 0
		.amdhsa_memory_ordered 1
		.amdhsa_forward_progress 1
		.amdhsa_inst_pref_size 1
		.amdhsa_round_robin_scheduling 0
		.amdhsa_exception_fp_ieee_invalid_op 0
		.amdhsa_exception_fp_denorm_src 0
		.amdhsa_exception_fp_ieee_div_zero 0
		.amdhsa_exception_fp_ieee_overflow 0
		.amdhsa_exception_fp_ieee_underflow 0
		.amdhsa_exception_fp_ieee_inexact 0
		.amdhsa_exception_int_div_zero 0
	.end_amdhsa_kernel
	.section	.text._ZN7rocprim17ROCPRIM_400000_NS6detail17trampoline_kernelINS0_14default_configENS1_27scan_by_key_config_selectorIiiEEZZNS1_16scan_by_key_implILNS1_25lookback_scan_determinismE0ELb1ES3_N6thrust23THRUST_200600_302600_NS6detail15normal_iteratorINS9_10device_ptrIiEEEENSB_INSC_IjEEEENSB_INSC_IfEEEEiNS9_4plusIvEENS9_8equal_toIvEEiEE10hipError_tPvRmT2_T3_T4_T5_mT6_T7_P12ihipStream_tbENKUlT_T0_E_clISt17integral_constantIbLb1EES13_EEDaSY_SZ_EUlSY_E_NS1_11comp_targetILNS1_3genE0ELNS1_11target_archE4294967295ELNS1_3gpuE0ELNS1_3repE0EEENS1_30default_config_static_selectorELNS0_4arch9wavefront6targetE0EEEvT1_,"axG",@progbits,_ZN7rocprim17ROCPRIM_400000_NS6detail17trampoline_kernelINS0_14default_configENS1_27scan_by_key_config_selectorIiiEEZZNS1_16scan_by_key_implILNS1_25lookback_scan_determinismE0ELb1ES3_N6thrust23THRUST_200600_302600_NS6detail15normal_iteratorINS9_10device_ptrIiEEEENSB_INSC_IjEEEENSB_INSC_IfEEEEiNS9_4plusIvEENS9_8equal_toIvEEiEE10hipError_tPvRmT2_T3_T4_T5_mT6_T7_P12ihipStream_tbENKUlT_T0_E_clISt17integral_constantIbLb1EES13_EEDaSY_SZ_EUlSY_E_NS1_11comp_targetILNS1_3genE0ELNS1_11target_archE4294967295ELNS1_3gpuE0ELNS1_3repE0EEENS1_30default_config_static_selectorELNS0_4arch9wavefront6targetE0EEEvT1_,comdat
.Lfunc_end1725:
	.size	_ZN7rocprim17ROCPRIM_400000_NS6detail17trampoline_kernelINS0_14default_configENS1_27scan_by_key_config_selectorIiiEEZZNS1_16scan_by_key_implILNS1_25lookback_scan_determinismE0ELb1ES3_N6thrust23THRUST_200600_302600_NS6detail15normal_iteratorINS9_10device_ptrIiEEEENSB_INSC_IjEEEENSB_INSC_IfEEEEiNS9_4plusIvEENS9_8equal_toIvEEiEE10hipError_tPvRmT2_T3_T4_T5_mT6_T7_P12ihipStream_tbENKUlT_T0_E_clISt17integral_constantIbLb1EES13_EEDaSY_SZ_EUlSY_E_NS1_11comp_targetILNS1_3genE0ELNS1_11target_archE4294967295ELNS1_3gpuE0ELNS1_3repE0EEENS1_30default_config_static_selectorELNS0_4arch9wavefront6targetE0EEEvT1_, .Lfunc_end1725-_ZN7rocprim17ROCPRIM_400000_NS6detail17trampoline_kernelINS0_14default_configENS1_27scan_by_key_config_selectorIiiEEZZNS1_16scan_by_key_implILNS1_25lookback_scan_determinismE0ELb1ES3_N6thrust23THRUST_200600_302600_NS6detail15normal_iteratorINS9_10device_ptrIiEEEENSB_INSC_IjEEEENSB_INSC_IfEEEEiNS9_4plusIvEENS9_8equal_toIvEEiEE10hipError_tPvRmT2_T3_T4_T5_mT6_T7_P12ihipStream_tbENKUlT_T0_E_clISt17integral_constantIbLb1EES13_EEDaSY_SZ_EUlSY_E_NS1_11comp_targetILNS1_3genE0ELNS1_11target_archE4294967295ELNS1_3gpuE0ELNS1_3repE0EEENS1_30default_config_static_selectorELNS0_4arch9wavefront6targetE0EEEvT1_
                                        ; -- End function
	.set _ZN7rocprim17ROCPRIM_400000_NS6detail17trampoline_kernelINS0_14default_configENS1_27scan_by_key_config_selectorIiiEEZZNS1_16scan_by_key_implILNS1_25lookback_scan_determinismE0ELb1ES3_N6thrust23THRUST_200600_302600_NS6detail15normal_iteratorINS9_10device_ptrIiEEEENSB_INSC_IjEEEENSB_INSC_IfEEEEiNS9_4plusIvEENS9_8equal_toIvEEiEE10hipError_tPvRmT2_T3_T4_T5_mT6_T7_P12ihipStream_tbENKUlT_T0_E_clISt17integral_constantIbLb1EES13_EEDaSY_SZ_EUlSY_E_NS1_11comp_targetILNS1_3genE0ELNS1_11target_archE4294967295ELNS1_3gpuE0ELNS1_3repE0EEENS1_30default_config_static_selectorELNS0_4arch9wavefront6targetE0EEEvT1_.num_vgpr, 0
	.set _ZN7rocprim17ROCPRIM_400000_NS6detail17trampoline_kernelINS0_14default_configENS1_27scan_by_key_config_selectorIiiEEZZNS1_16scan_by_key_implILNS1_25lookback_scan_determinismE0ELb1ES3_N6thrust23THRUST_200600_302600_NS6detail15normal_iteratorINS9_10device_ptrIiEEEENSB_INSC_IjEEEENSB_INSC_IfEEEEiNS9_4plusIvEENS9_8equal_toIvEEiEE10hipError_tPvRmT2_T3_T4_T5_mT6_T7_P12ihipStream_tbENKUlT_T0_E_clISt17integral_constantIbLb1EES13_EEDaSY_SZ_EUlSY_E_NS1_11comp_targetILNS1_3genE0ELNS1_11target_archE4294967295ELNS1_3gpuE0ELNS1_3repE0EEENS1_30default_config_static_selectorELNS0_4arch9wavefront6targetE0EEEvT1_.num_agpr, 0
	.set _ZN7rocprim17ROCPRIM_400000_NS6detail17trampoline_kernelINS0_14default_configENS1_27scan_by_key_config_selectorIiiEEZZNS1_16scan_by_key_implILNS1_25lookback_scan_determinismE0ELb1ES3_N6thrust23THRUST_200600_302600_NS6detail15normal_iteratorINS9_10device_ptrIiEEEENSB_INSC_IjEEEENSB_INSC_IfEEEEiNS9_4plusIvEENS9_8equal_toIvEEiEE10hipError_tPvRmT2_T3_T4_T5_mT6_T7_P12ihipStream_tbENKUlT_T0_E_clISt17integral_constantIbLb1EES13_EEDaSY_SZ_EUlSY_E_NS1_11comp_targetILNS1_3genE0ELNS1_11target_archE4294967295ELNS1_3gpuE0ELNS1_3repE0EEENS1_30default_config_static_selectorELNS0_4arch9wavefront6targetE0EEEvT1_.numbered_sgpr, 0
	.set _ZN7rocprim17ROCPRIM_400000_NS6detail17trampoline_kernelINS0_14default_configENS1_27scan_by_key_config_selectorIiiEEZZNS1_16scan_by_key_implILNS1_25lookback_scan_determinismE0ELb1ES3_N6thrust23THRUST_200600_302600_NS6detail15normal_iteratorINS9_10device_ptrIiEEEENSB_INSC_IjEEEENSB_INSC_IfEEEEiNS9_4plusIvEENS9_8equal_toIvEEiEE10hipError_tPvRmT2_T3_T4_T5_mT6_T7_P12ihipStream_tbENKUlT_T0_E_clISt17integral_constantIbLb1EES13_EEDaSY_SZ_EUlSY_E_NS1_11comp_targetILNS1_3genE0ELNS1_11target_archE4294967295ELNS1_3gpuE0ELNS1_3repE0EEENS1_30default_config_static_selectorELNS0_4arch9wavefront6targetE0EEEvT1_.num_named_barrier, 0
	.set _ZN7rocprim17ROCPRIM_400000_NS6detail17trampoline_kernelINS0_14default_configENS1_27scan_by_key_config_selectorIiiEEZZNS1_16scan_by_key_implILNS1_25lookback_scan_determinismE0ELb1ES3_N6thrust23THRUST_200600_302600_NS6detail15normal_iteratorINS9_10device_ptrIiEEEENSB_INSC_IjEEEENSB_INSC_IfEEEEiNS9_4plusIvEENS9_8equal_toIvEEiEE10hipError_tPvRmT2_T3_T4_T5_mT6_T7_P12ihipStream_tbENKUlT_T0_E_clISt17integral_constantIbLb1EES13_EEDaSY_SZ_EUlSY_E_NS1_11comp_targetILNS1_3genE0ELNS1_11target_archE4294967295ELNS1_3gpuE0ELNS1_3repE0EEENS1_30default_config_static_selectorELNS0_4arch9wavefront6targetE0EEEvT1_.private_seg_size, 0
	.set _ZN7rocprim17ROCPRIM_400000_NS6detail17trampoline_kernelINS0_14default_configENS1_27scan_by_key_config_selectorIiiEEZZNS1_16scan_by_key_implILNS1_25lookback_scan_determinismE0ELb1ES3_N6thrust23THRUST_200600_302600_NS6detail15normal_iteratorINS9_10device_ptrIiEEEENSB_INSC_IjEEEENSB_INSC_IfEEEEiNS9_4plusIvEENS9_8equal_toIvEEiEE10hipError_tPvRmT2_T3_T4_T5_mT6_T7_P12ihipStream_tbENKUlT_T0_E_clISt17integral_constantIbLb1EES13_EEDaSY_SZ_EUlSY_E_NS1_11comp_targetILNS1_3genE0ELNS1_11target_archE4294967295ELNS1_3gpuE0ELNS1_3repE0EEENS1_30default_config_static_selectorELNS0_4arch9wavefront6targetE0EEEvT1_.uses_vcc, 0
	.set _ZN7rocprim17ROCPRIM_400000_NS6detail17trampoline_kernelINS0_14default_configENS1_27scan_by_key_config_selectorIiiEEZZNS1_16scan_by_key_implILNS1_25lookback_scan_determinismE0ELb1ES3_N6thrust23THRUST_200600_302600_NS6detail15normal_iteratorINS9_10device_ptrIiEEEENSB_INSC_IjEEEENSB_INSC_IfEEEEiNS9_4plusIvEENS9_8equal_toIvEEiEE10hipError_tPvRmT2_T3_T4_T5_mT6_T7_P12ihipStream_tbENKUlT_T0_E_clISt17integral_constantIbLb1EES13_EEDaSY_SZ_EUlSY_E_NS1_11comp_targetILNS1_3genE0ELNS1_11target_archE4294967295ELNS1_3gpuE0ELNS1_3repE0EEENS1_30default_config_static_selectorELNS0_4arch9wavefront6targetE0EEEvT1_.uses_flat_scratch, 0
	.set _ZN7rocprim17ROCPRIM_400000_NS6detail17trampoline_kernelINS0_14default_configENS1_27scan_by_key_config_selectorIiiEEZZNS1_16scan_by_key_implILNS1_25lookback_scan_determinismE0ELb1ES3_N6thrust23THRUST_200600_302600_NS6detail15normal_iteratorINS9_10device_ptrIiEEEENSB_INSC_IjEEEENSB_INSC_IfEEEEiNS9_4plusIvEENS9_8equal_toIvEEiEE10hipError_tPvRmT2_T3_T4_T5_mT6_T7_P12ihipStream_tbENKUlT_T0_E_clISt17integral_constantIbLb1EES13_EEDaSY_SZ_EUlSY_E_NS1_11comp_targetILNS1_3genE0ELNS1_11target_archE4294967295ELNS1_3gpuE0ELNS1_3repE0EEENS1_30default_config_static_selectorELNS0_4arch9wavefront6targetE0EEEvT1_.has_dyn_sized_stack, 0
	.set _ZN7rocprim17ROCPRIM_400000_NS6detail17trampoline_kernelINS0_14default_configENS1_27scan_by_key_config_selectorIiiEEZZNS1_16scan_by_key_implILNS1_25lookback_scan_determinismE0ELb1ES3_N6thrust23THRUST_200600_302600_NS6detail15normal_iteratorINS9_10device_ptrIiEEEENSB_INSC_IjEEEENSB_INSC_IfEEEEiNS9_4plusIvEENS9_8equal_toIvEEiEE10hipError_tPvRmT2_T3_T4_T5_mT6_T7_P12ihipStream_tbENKUlT_T0_E_clISt17integral_constantIbLb1EES13_EEDaSY_SZ_EUlSY_E_NS1_11comp_targetILNS1_3genE0ELNS1_11target_archE4294967295ELNS1_3gpuE0ELNS1_3repE0EEENS1_30default_config_static_selectorELNS0_4arch9wavefront6targetE0EEEvT1_.has_recursion, 0
	.set _ZN7rocprim17ROCPRIM_400000_NS6detail17trampoline_kernelINS0_14default_configENS1_27scan_by_key_config_selectorIiiEEZZNS1_16scan_by_key_implILNS1_25lookback_scan_determinismE0ELb1ES3_N6thrust23THRUST_200600_302600_NS6detail15normal_iteratorINS9_10device_ptrIiEEEENSB_INSC_IjEEEENSB_INSC_IfEEEEiNS9_4plusIvEENS9_8equal_toIvEEiEE10hipError_tPvRmT2_T3_T4_T5_mT6_T7_P12ihipStream_tbENKUlT_T0_E_clISt17integral_constantIbLb1EES13_EEDaSY_SZ_EUlSY_E_NS1_11comp_targetILNS1_3genE0ELNS1_11target_archE4294967295ELNS1_3gpuE0ELNS1_3repE0EEENS1_30default_config_static_selectorELNS0_4arch9wavefront6targetE0EEEvT1_.has_indirect_call, 0
	.section	.AMDGPU.csdata,"",@progbits
; Kernel info:
; codeLenInByte = 4
; TotalNumSgprs: 0
; NumVgprs: 0
; ScratchSize: 0
; MemoryBound: 0
; FloatMode: 240
; IeeeMode: 1
; LDSByteSize: 0 bytes/workgroup (compile time only)
; SGPRBlocks: 0
; VGPRBlocks: 0
; NumSGPRsForWavesPerEU: 1
; NumVGPRsForWavesPerEU: 1
; NamedBarCnt: 0
; Occupancy: 16
; WaveLimiterHint : 0
; COMPUTE_PGM_RSRC2:SCRATCH_EN: 0
; COMPUTE_PGM_RSRC2:USER_SGPR: 2
; COMPUTE_PGM_RSRC2:TRAP_HANDLER: 0
; COMPUTE_PGM_RSRC2:TGID_X_EN: 1
; COMPUTE_PGM_RSRC2:TGID_Y_EN: 0
; COMPUTE_PGM_RSRC2:TGID_Z_EN: 0
; COMPUTE_PGM_RSRC2:TIDIG_COMP_CNT: 0
	.section	.text._ZN7rocprim17ROCPRIM_400000_NS6detail17trampoline_kernelINS0_14default_configENS1_27scan_by_key_config_selectorIiiEEZZNS1_16scan_by_key_implILNS1_25lookback_scan_determinismE0ELb1ES3_N6thrust23THRUST_200600_302600_NS6detail15normal_iteratorINS9_10device_ptrIiEEEENSB_INSC_IjEEEENSB_INSC_IfEEEEiNS9_4plusIvEENS9_8equal_toIvEEiEE10hipError_tPvRmT2_T3_T4_T5_mT6_T7_P12ihipStream_tbENKUlT_T0_E_clISt17integral_constantIbLb1EES13_EEDaSY_SZ_EUlSY_E_NS1_11comp_targetILNS1_3genE10ELNS1_11target_archE1201ELNS1_3gpuE5ELNS1_3repE0EEENS1_30default_config_static_selectorELNS0_4arch9wavefront6targetE0EEEvT1_,"axG",@progbits,_ZN7rocprim17ROCPRIM_400000_NS6detail17trampoline_kernelINS0_14default_configENS1_27scan_by_key_config_selectorIiiEEZZNS1_16scan_by_key_implILNS1_25lookback_scan_determinismE0ELb1ES3_N6thrust23THRUST_200600_302600_NS6detail15normal_iteratorINS9_10device_ptrIiEEEENSB_INSC_IjEEEENSB_INSC_IfEEEEiNS9_4plusIvEENS9_8equal_toIvEEiEE10hipError_tPvRmT2_T3_T4_T5_mT6_T7_P12ihipStream_tbENKUlT_T0_E_clISt17integral_constantIbLb1EES13_EEDaSY_SZ_EUlSY_E_NS1_11comp_targetILNS1_3genE10ELNS1_11target_archE1201ELNS1_3gpuE5ELNS1_3repE0EEENS1_30default_config_static_selectorELNS0_4arch9wavefront6targetE0EEEvT1_,comdat
	.protected	_ZN7rocprim17ROCPRIM_400000_NS6detail17trampoline_kernelINS0_14default_configENS1_27scan_by_key_config_selectorIiiEEZZNS1_16scan_by_key_implILNS1_25lookback_scan_determinismE0ELb1ES3_N6thrust23THRUST_200600_302600_NS6detail15normal_iteratorINS9_10device_ptrIiEEEENSB_INSC_IjEEEENSB_INSC_IfEEEEiNS9_4plusIvEENS9_8equal_toIvEEiEE10hipError_tPvRmT2_T3_T4_T5_mT6_T7_P12ihipStream_tbENKUlT_T0_E_clISt17integral_constantIbLb1EES13_EEDaSY_SZ_EUlSY_E_NS1_11comp_targetILNS1_3genE10ELNS1_11target_archE1201ELNS1_3gpuE5ELNS1_3repE0EEENS1_30default_config_static_selectorELNS0_4arch9wavefront6targetE0EEEvT1_ ; -- Begin function _ZN7rocprim17ROCPRIM_400000_NS6detail17trampoline_kernelINS0_14default_configENS1_27scan_by_key_config_selectorIiiEEZZNS1_16scan_by_key_implILNS1_25lookback_scan_determinismE0ELb1ES3_N6thrust23THRUST_200600_302600_NS6detail15normal_iteratorINS9_10device_ptrIiEEEENSB_INSC_IjEEEENSB_INSC_IfEEEEiNS9_4plusIvEENS9_8equal_toIvEEiEE10hipError_tPvRmT2_T3_T4_T5_mT6_T7_P12ihipStream_tbENKUlT_T0_E_clISt17integral_constantIbLb1EES13_EEDaSY_SZ_EUlSY_E_NS1_11comp_targetILNS1_3genE10ELNS1_11target_archE1201ELNS1_3gpuE5ELNS1_3repE0EEENS1_30default_config_static_selectorELNS0_4arch9wavefront6targetE0EEEvT1_
	.globl	_ZN7rocprim17ROCPRIM_400000_NS6detail17trampoline_kernelINS0_14default_configENS1_27scan_by_key_config_selectorIiiEEZZNS1_16scan_by_key_implILNS1_25lookback_scan_determinismE0ELb1ES3_N6thrust23THRUST_200600_302600_NS6detail15normal_iteratorINS9_10device_ptrIiEEEENSB_INSC_IjEEEENSB_INSC_IfEEEEiNS9_4plusIvEENS9_8equal_toIvEEiEE10hipError_tPvRmT2_T3_T4_T5_mT6_T7_P12ihipStream_tbENKUlT_T0_E_clISt17integral_constantIbLb1EES13_EEDaSY_SZ_EUlSY_E_NS1_11comp_targetILNS1_3genE10ELNS1_11target_archE1201ELNS1_3gpuE5ELNS1_3repE0EEENS1_30default_config_static_selectorELNS0_4arch9wavefront6targetE0EEEvT1_
	.p2align	8
	.type	_ZN7rocprim17ROCPRIM_400000_NS6detail17trampoline_kernelINS0_14default_configENS1_27scan_by_key_config_selectorIiiEEZZNS1_16scan_by_key_implILNS1_25lookback_scan_determinismE0ELb1ES3_N6thrust23THRUST_200600_302600_NS6detail15normal_iteratorINS9_10device_ptrIiEEEENSB_INSC_IjEEEENSB_INSC_IfEEEEiNS9_4plusIvEENS9_8equal_toIvEEiEE10hipError_tPvRmT2_T3_T4_T5_mT6_T7_P12ihipStream_tbENKUlT_T0_E_clISt17integral_constantIbLb1EES13_EEDaSY_SZ_EUlSY_E_NS1_11comp_targetILNS1_3genE10ELNS1_11target_archE1201ELNS1_3gpuE5ELNS1_3repE0EEENS1_30default_config_static_selectorELNS0_4arch9wavefront6targetE0EEEvT1_,@function
_ZN7rocprim17ROCPRIM_400000_NS6detail17trampoline_kernelINS0_14default_configENS1_27scan_by_key_config_selectorIiiEEZZNS1_16scan_by_key_implILNS1_25lookback_scan_determinismE0ELb1ES3_N6thrust23THRUST_200600_302600_NS6detail15normal_iteratorINS9_10device_ptrIiEEEENSB_INSC_IjEEEENSB_INSC_IfEEEEiNS9_4plusIvEENS9_8equal_toIvEEiEE10hipError_tPvRmT2_T3_T4_T5_mT6_T7_P12ihipStream_tbENKUlT_T0_E_clISt17integral_constantIbLb1EES13_EEDaSY_SZ_EUlSY_E_NS1_11comp_targetILNS1_3genE10ELNS1_11target_archE1201ELNS1_3gpuE5ELNS1_3repE0EEENS1_30default_config_static_selectorELNS0_4arch9wavefront6targetE0EEEvT1_: ; @_ZN7rocprim17ROCPRIM_400000_NS6detail17trampoline_kernelINS0_14default_configENS1_27scan_by_key_config_selectorIiiEEZZNS1_16scan_by_key_implILNS1_25lookback_scan_determinismE0ELb1ES3_N6thrust23THRUST_200600_302600_NS6detail15normal_iteratorINS9_10device_ptrIiEEEENSB_INSC_IjEEEENSB_INSC_IfEEEEiNS9_4plusIvEENS9_8equal_toIvEEiEE10hipError_tPvRmT2_T3_T4_T5_mT6_T7_P12ihipStream_tbENKUlT_T0_E_clISt17integral_constantIbLb1EES13_EEDaSY_SZ_EUlSY_E_NS1_11comp_targetILNS1_3genE10ELNS1_11target_archE1201ELNS1_3gpuE5ELNS1_3repE0EEENS1_30default_config_static_selectorELNS0_4arch9wavefront6targetE0EEEvT1_
; %bb.0:
	.section	.rodata,"a",@progbits
	.p2align	6, 0x0
	.amdhsa_kernel _ZN7rocprim17ROCPRIM_400000_NS6detail17trampoline_kernelINS0_14default_configENS1_27scan_by_key_config_selectorIiiEEZZNS1_16scan_by_key_implILNS1_25lookback_scan_determinismE0ELb1ES3_N6thrust23THRUST_200600_302600_NS6detail15normal_iteratorINS9_10device_ptrIiEEEENSB_INSC_IjEEEENSB_INSC_IfEEEEiNS9_4plusIvEENS9_8equal_toIvEEiEE10hipError_tPvRmT2_T3_T4_T5_mT6_T7_P12ihipStream_tbENKUlT_T0_E_clISt17integral_constantIbLb1EES13_EEDaSY_SZ_EUlSY_E_NS1_11comp_targetILNS1_3genE10ELNS1_11target_archE1201ELNS1_3gpuE5ELNS1_3repE0EEENS1_30default_config_static_selectorELNS0_4arch9wavefront6targetE0EEEvT1_
		.amdhsa_group_segment_fixed_size 0
		.amdhsa_private_segment_fixed_size 0
		.amdhsa_kernarg_size 112
		.amdhsa_user_sgpr_count 2
		.amdhsa_user_sgpr_dispatch_ptr 0
		.amdhsa_user_sgpr_queue_ptr 0
		.amdhsa_user_sgpr_kernarg_segment_ptr 1
		.amdhsa_user_sgpr_dispatch_id 0
		.amdhsa_user_sgpr_kernarg_preload_length 0
		.amdhsa_user_sgpr_kernarg_preload_offset 0
		.amdhsa_user_sgpr_private_segment_size 0
		.amdhsa_wavefront_size32 1
		.amdhsa_uses_dynamic_stack 0
		.amdhsa_enable_private_segment 0
		.amdhsa_system_sgpr_workgroup_id_x 1
		.amdhsa_system_sgpr_workgroup_id_y 0
		.amdhsa_system_sgpr_workgroup_id_z 0
		.amdhsa_system_sgpr_workgroup_info 0
		.amdhsa_system_vgpr_workitem_id 0
		.amdhsa_next_free_vgpr 1
		.amdhsa_next_free_sgpr 1
		.amdhsa_named_barrier_count 0
		.amdhsa_reserve_vcc 0
		.amdhsa_float_round_mode_32 0
		.amdhsa_float_round_mode_16_64 0
		.amdhsa_float_denorm_mode_32 3
		.amdhsa_float_denorm_mode_16_64 3
		.amdhsa_fp16_overflow 0
		.amdhsa_memory_ordered 1
		.amdhsa_forward_progress 1
		.amdhsa_inst_pref_size 0
		.amdhsa_round_robin_scheduling 0
		.amdhsa_exception_fp_ieee_invalid_op 0
		.amdhsa_exception_fp_denorm_src 0
		.amdhsa_exception_fp_ieee_div_zero 0
		.amdhsa_exception_fp_ieee_overflow 0
		.amdhsa_exception_fp_ieee_underflow 0
		.amdhsa_exception_fp_ieee_inexact 0
		.amdhsa_exception_int_div_zero 0
	.end_amdhsa_kernel
	.section	.text._ZN7rocprim17ROCPRIM_400000_NS6detail17trampoline_kernelINS0_14default_configENS1_27scan_by_key_config_selectorIiiEEZZNS1_16scan_by_key_implILNS1_25lookback_scan_determinismE0ELb1ES3_N6thrust23THRUST_200600_302600_NS6detail15normal_iteratorINS9_10device_ptrIiEEEENSB_INSC_IjEEEENSB_INSC_IfEEEEiNS9_4plusIvEENS9_8equal_toIvEEiEE10hipError_tPvRmT2_T3_T4_T5_mT6_T7_P12ihipStream_tbENKUlT_T0_E_clISt17integral_constantIbLb1EES13_EEDaSY_SZ_EUlSY_E_NS1_11comp_targetILNS1_3genE10ELNS1_11target_archE1201ELNS1_3gpuE5ELNS1_3repE0EEENS1_30default_config_static_selectorELNS0_4arch9wavefront6targetE0EEEvT1_,"axG",@progbits,_ZN7rocprim17ROCPRIM_400000_NS6detail17trampoline_kernelINS0_14default_configENS1_27scan_by_key_config_selectorIiiEEZZNS1_16scan_by_key_implILNS1_25lookback_scan_determinismE0ELb1ES3_N6thrust23THRUST_200600_302600_NS6detail15normal_iteratorINS9_10device_ptrIiEEEENSB_INSC_IjEEEENSB_INSC_IfEEEEiNS9_4plusIvEENS9_8equal_toIvEEiEE10hipError_tPvRmT2_T3_T4_T5_mT6_T7_P12ihipStream_tbENKUlT_T0_E_clISt17integral_constantIbLb1EES13_EEDaSY_SZ_EUlSY_E_NS1_11comp_targetILNS1_3genE10ELNS1_11target_archE1201ELNS1_3gpuE5ELNS1_3repE0EEENS1_30default_config_static_selectorELNS0_4arch9wavefront6targetE0EEEvT1_,comdat
.Lfunc_end1726:
	.size	_ZN7rocprim17ROCPRIM_400000_NS6detail17trampoline_kernelINS0_14default_configENS1_27scan_by_key_config_selectorIiiEEZZNS1_16scan_by_key_implILNS1_25lookback_scan_determinismE0ELb1ES3_N6thrust23THRUST_200600_302600_NS6detail15normal_iteratorINS9_10device_ptrIiEEEENSB_INSC_IjEEEENSB_INSC_IfEEEEiNS9_4plusIvEENS9_8equal_toIvEEiEE10hipError_tPvRmT2_T3_T4_T5_mT6_T7_P12ihipStream_tbENKUlT_T0_E_clISt17integral_constantIbLb1EES13_EEDaSY_SZ_EUlSY_E_NS1_11comp_targetILNS1_3genE10ELNS1_11target_archE1201ELNS1_3gpuE5ELNS1_3repE0EEENS1_30default_config_static_selectorELNS0_4arch9wavefront6targetE0EEEvT1_, .Lfunc_end1726-_ZN7rocprim17ROCPRIM_400000_NS6detail17trampoline_kernelINS0_14default_configENS1_27scan_by_key_config_selectorIiiEEZZNS1_16scan_by_key_implILNS1_25lookback_scan_determinismE0ELb1ES3_N6thrust23THRUST_200600_302600_NS6detail15normal_iteratorINS9_10device_ptrIiEEEENSB_INSC_IjEEEENSB_INSC_IfEEEEiNS9_4plusIvEENS9_8equal_toIvEEiEE10hipError_tPvRmT2_T3_T4_T5_mT6_T7_P12ihipStream_tbENKUlT_T0_E_clISt17integral_constantIbLb1EES13_EEDaSY_SZ_EUlSY_E_NS1_11comp_targetILNS1_3genE10ELNS1_11target_archE1201ELNS1_3gpuE5ELNS1_3repE0EEENS1_30default_config_static_selectorELNS0_4arch9wavefront6targetE0EEEvT1_
                                        ; -- End function
	.set _ZN7rocprim17ROCPRIM_400000_NS6detail17trampoline_kernelINS0_14default_configENS1_27scan_by_key_config_selectorIiiEEZZNS1_16scan_by_key_implILNS1_25lookback_scan_determinismE0ELb1ES3_N6thrust23THRUST_200600_302600_NS6detail15normal_iteratorINS9_10device_ptrIiEEEENSB_INSC_IjEEEENSB_INSC_IfEEEEiNS9_4plusIvEENS9_8equal_toIvEEiEE10hipError_tPvRmT2_T3_T4_T5_mT6_T7_P12ihipStream_tbENKUlT_T0_E_clISt17integral_constantIbLb1EES13_EEDaSY_SZ_EUlSY_E_NS1_11comp_targetILNS1_3genE10ELNS1_11target_archE1201ELNS1_3gpuE5ELNS1_3repE0EEENS1_30default_config_static_selectorELNS0_4arch9wavefront6targetE0EEEvT1_.num_vgpr, 0
	.set _ZN7rocprim17ROCPRIM_400000_NS6detail17trampoline_kernelINS0_14default_configENS1_27scan_by_key_config_selectorIiiEEZZNS1_16scan_by_key_implILNS1_25lookback_scan_determinismE0ELb1ES3_N6thrust23THRUST_200600_302600_NS6detail15normal_iteratorINS9_10device_ptrIiEEEENSB_INSC_IjEEEENSB_INSC_IfEEEEiNS9_4plusIvEENS9_8equal_toIvEEiEE10hipError_tPvRmT2_T3_T4_T5_mT6_T7_P12ihipStream_tbENKUlT_T0_E_clISt17integral_constantIbLb1EES13_EEDaSY_SZ_EUlSY_E_NS1_11comp_targetILNS1_3genE10ELNS1_11target_archE1201ELNS1_3gpuE5ELNS1_3repE0EEENS1_30default_config_static_selectorELNS0_4arch9wavefront6targetE0EEEvT1_.num_agpr, 0
	.set _ZN7rocprim17ROCPRIM_400000_NS6detail17trampoline_kernelINS0_14default_configENS1_27scan_by_key_config_selectorIiiEEZZNS1_16scan_by_key_implILNS1_25lookback_scan_determinismE0ELb1ES3_N6thrust23THRUST_200600_302600_NS6detail15normal_iteratorINS9_10device_ptrIiEEEENSB_INSC_IjEEEENSB_INSC_IfEEEEiNS9_4plusIvEENS9_8equal_toIvEEiEE10hipError_tPvRmT2_T3_T4_T5_mT6_T7_P12ihipStream_tbENKUlT_T0_E_clISt17integral_constantIbLb1EES13_EEDaSY_SZ_EUlSY_E_NS1_11comp_targetILNS1_3genE10ELNS1_11target_archE1201ELNS1_3gpuE5ELNS1_3repE0EEENS1_30default_config_static_selectorELNS0_4arch9wavefront6targetE0EEEvT1_.numbered_sgpr, 0
	.set _ZN7rocprim17ROCPRIM_400000_NS6detail17trampoline_kernelINS0_14default_configENS1_27scan_by_key_config_selectorIiiEEZZNS1_16scan_by_key_implILNS1_25lookback_scan_determinismE0ELb1ES3_N6thrust23THRUST_200600_302600_NS6detail15normal_iteratorINS9_10device_ptrIiEEEENSB_INSC_IjEEEENSB_INSC_IfEEEEiNS9_4plusIvEENS9_8equal_toIvEEiEE10hipError_tPvRmT2_T3_T4_T5_mT6_T7_P12ihipStream_tbENKUlT_T0_E_clISt17integral_constantIbLb1EES13_EEDaSY_SZ_EUlSY_E_NS1_11comp_targetILNS1_3genE10ELNS1_11target_archE1201ELNS1_3gpuE5ELNS1_3repE0EEENS1_30default_config_static_selectorELNS0_4arch9wavefront6targetE0EEEvT1_.num_named_barrier, 0
	.set _ZN7rocprim17ROCPRIM_400000_NS6detail17trampoline_kernelINS0_14default_configENS1_27scan_by_key_config_selectorIiiEEZZNS1_16scan_by_key_implILNS1_25lookback_scan_determinismE0ELb1ES3_N6thrust23THRUST_200600_302600_NS6detail15normal_iteratorINS9_10device_ptrIiEEEENSB_INSC_IjEEEENSB_INSC_IfEEEEiNS9_4plusIvEENS9_8equal_toIvEEiEE10hipError_tPvRmT2_T3_T4_T5_mT6_T7_P12ihipStream_tbENKUlT_T0_E_clISt17integral_constantIbLb1EES13_EEDaSY_SZ_EUlSY_E_NS1_11comp_targetILNS1_3genE10ELNS1_11target_archE1201ELNS1_3gpuE5ELNS1_3repE0EEENS1_30default_config_static_selectorELNS0_4arch9wavefront6targetE0EEEvT1_.private_seg_size, 0
	.set _ZN7rocprim17ROCPRIM_400000_NS6detail17trampoline_kernelINS0_14default_configENS1_27scan_by_key_config_selectorIiiEEZZNS1_16scan_by_key_implILNS1_25lookback_scan_determinismE0ELb1ES3_N6thrust23THRUST_200600_302600_NS6detail15normal_iteratorINS9_10device_ptrIiEEEENSB_INSC_IjEEEENSB_INSC_IfEEEEiNS9_4plusIvEENS9_8equal_toIvEEiEE10hipError_tPvRmT2_T3_T4_T5_mT6_T7_P12ihipStream_tbENKUlT_T0_E_clISt17integral_constantIbLb1EES13_EEDaSY_SZ_EUlSY_E_NS1_11comp_targetILNS1_3genE10ELNS1_11target_archE1201ELNS1_3gpuE5ELNS1_3repE0EEENS1_30default_config_static_selectorELNS0_4arch9wavefront6targetE0EEEvT1_.uses_vcc, 0
	.set _ZN7rocprim17ROCPRIM_400000_NS6detail17trampoline_kernelINS0_14default_configENS1_27scan_by_key_config_selectorIiiEEZZNS1_16scan_by_key_implILNS1_25lookback_scan_determinismE0ELb1ES3_N6thrust23THRUST_200600_302600_NS6detail15normal_iteratorINS9_10device_ptrIiEEEENSB_INSC_IjEEEENSB_INSC_IfEEEEiNS9_4plusIvEENS9_8equal_toIvEEiEE10hipError_tPvRmT2_T3_T4_T5_mT6_T7_P12ihipStream_tbENKUlT_T0_E_clISt17integral_constantIbLb1EES13_EEDaSY_SZ_EUlSY_E_NS1_11comp_targetILNS1_3genE10ELNS1_11target_archE1201ELNS1_3gpuE5ELNS1_3repE0EEENS1_30default_config_static_selectorELNS0_4arch9wavefront6targetE0EEEvT1_.uses_flat_scratch, 0
	.set _ZN7rocprim17ROCPRIM_400000_NS6detail17trampoline_kernelINS0_14default_configENS1_27scan_by_key_config_selectorIiiEEZZNS1_16scan_by_key_implILNS1_25lookback_scan_determinismE0ELb1ES3_N6thrust23THRUST_200600_302600_NS6detail15normal_iteratorINS9_10device_ptrIiEEEENSB_INSC_IjEEEENSB_INSC_IfEEEEiNS9_4plusIvEENS9_8equal_toIvEEiEE10hipError_tPvRmT2_T3_T4_T5_mT6_T7_P12ihipStream_tbENKUlT_T0_E_clISt17integral_constantIbLb1EES13_EEDaSY_SZ_EUlSY_E_NS1_11comp_targetILNS1_3genE10ELNS1_11target_archE1201ELNS1_3gpuE5ELNS1_3repE0EEENS1_30default_config_static_selectorELNS0_4arch9wavefront6targetE0EEEvT1_.has_dyn_sized_stack, 0
	.set _ZN7rocprim17ROCPRIM_400000_NS6detail17trampoline_kernelINS0_14default_configENS1_27scan_by_key_config_selectorIiiEEZZNS1_16scan_by_key_implILNS1_25lookback_scan_determinismE0ELb1ES3_N6thrust23THRUST_200600_302600_NS6detail15normal_iteratorINS9_10device_ptrIiEEEENSB_INSC_IjEEEENSB_INSC_IfEEEEiNS9_4plusIvEENS9_8equal_toIvEEiEE10hipError_tPvRmT2_T3_T4_T5_mT6_T7_P12ihipStream_tbENKUlT_T0_E_clISt17integral_constantIbLb1EES13_EEDaSY_SZ_EUlSY_E_NS1_11comp_targetILNS1_3genE10ELNS1_11target_archE1201ELNS1_3gpuE5ELNS1_3repE0EEENS1_30default_config_static_selectorELNS0_4arch9wavefront6targetE0EEEvT1_.has_recursion, 0
	.set _ZN7rocprim17ROCPRIM_400000_NS6detail17trampoline_kernelINS0_14default_configENS1_27scan_by_key_config_selectorIiiEEZZNS1_16scan_by_key_implILNS1_25lookback_scan_determinismE0ELb1ES3_N6thrust23THRUST_200600_302600_NS6detail15normal_iteratorINS9_10device_ptrIiEEEENSB_INSC_IjEEEENSB_INSC_IfEEEEiNS9_4plusIvEENS9_8equal_toIvEEiEE10hipError_tPvRmT2_T3_T4_T5_mT6_T7_P12ihipStream_tbENKUlT_T0_E_clISt17integral_constantIbLb1EES13_EEDaSY_SZ_EUlSY_E_NS1_11comp_targetILNS1_3genE10ELNS1_11target_archE1201ELNS1_3gpuE5ELNS1_3repE0EEENS1_30default_config_static_selectorELNS0_4arch9wavefront6targetE0EEEvT1_.has_indirect_call, 0
	.section	.AMDGPU.csdata,"",@progbits
; Kernel info:
; codeLenInByte = 0
; TotalNumSgprs: 0
; NumVgprs: 0
; ScratchSize: 0
; MemoryBound: 0
; FloatMode: 240
; IeeeMode: 1
; LDSByteSize: 0 bytes/workgroup (compile time only)
; SGPRBlocks: 0
; VGPRBlocks: 0
; NumSGPRsForWavesPerEU: 1
; NumVGPRsForWavesPerEU: 1
; NamedBarCnt: 0
; Occupancy: 16
; WaveLimiterHint : 0
; COMPUTE_PGM_RSRC2:SCRATCH_EN: 0
; COMPUTE_PGM_RSRC2:USER_SGPR: 2
; COMPUTE_PGM_RSRC2:TRAP_HANDLER: 0
; COMPUTE_PGM_RSRC2:TGID_X_EN: 1
; COMPUTE_PGM_RSRC2:TGID_Y_EN: 0
; COMPUTE_PGM_RSRC2:TGID_Z_EN: 0
; COMPUTE_PGM_RSRC2:TIDIG_COMP_CNT: 0
	.section	.text._ZN7rocprim17ROCPRIM_400000_NS6detail17trampoline_kernelINS0_14default_configENS1_27scan_by_key_config_selectorIiiEEZZNS1_16scan_by_key_implILNS1_25lookback_scan_determinismE0ELb1ES3_N6thrust23THRUST_200600_302600_NS6detail15normal_iteratorINS9_10device_ptrIiEEEENSB_INSC_IjEEEENSB_INSC_IfEEEEiNS9_4plusIvEENS9_8equal_toIvEEiEE10hipError_tPvRmT2_T3_T4_T5_mT6_T7_P12ihipStream_tbENKUlT_T0_E_clISt17integral_constantIbLb1EES13_EEDaSY_SZ_EUlSY_E_NS1_11comp_targetILNS1_3genE5ELNS1_11target_archE942ELNS1_3gpuE9ELNS1_3repE0EEENS1_30default_config_static_selectorELNS0_4arch9wavefront6targetE0EEEvT1_,"axG",@progbits,_ZN7rocprim17ROCPRIM_400000_NS6detail17trampoline_kernelINS0_14default_configENS1_27scan_by_key_config_selectorIiiEEZZNS1_16scan_by_key_implILNS1_25lookback_scan_determinismE0ELb1ES3_N6thrust23THRUST_200600_302600_NS6detail15normal_iteratorINS9_10device_ptrIiEEEENSB_INSC_IjEEEENSB_INSC_IfEEEEiNS9_4plusIvEENS9_8equal_toIvEEiEE10hipError_tPvRmT2_T3_T4_T5_mT6_T7_P12ihipStream_tbENKUlT_T0_E_clISt17integral_constantIbLb1EES13_EEDaSY_SZ_EUlSY_E_NS1_11comp_targetILNS1_3genE5ELNS1_11target_archE942ELNS1_3gpuE9ELNS1_3repE0EEENS1_30default_config_static_selectorELNS0_4arch9wavefront6targetE0EEEvT1_,comdat
	.protected	_ZN7rocprim17ROCPRIM_400000_NS6detail17trampoline_kernelINS0_14default_configENS1_27scan_by_key_config_selectorIiiEEZZNS1_16scan_by_key_implILNS1_25lookback_scan_determinismE0ELb1ES3_N6thrust23THRUST_200600_302600_NS6detail15normal_iteratorINS9_10device_ptrIiEEEENSB_INSC_IjEEEENSB_INSC_IfEEEEiNS9_4plusIvEENS9_8equal_toIvEEiEE10hipError_tPvRmT2_T3_T4_T5_mT6_T7_P12ihipStream_tbENKUlT_T0_E_clISt17integral_constantIbLb1EES13_EEDaSY_SZ_EUlSY_E_NS1_11comp_targetILNS1_3genE5ELNS1_11target_archE942ELNS1_3gpuE9ELNS1_3repE0EEENS1_30default_config_static_selectorELNS0_4arch9wavefront6targetE0EEEvT1_ ; -- Begin function _ZN7rocprim17ROCPRIM_400000_NS6detail17trampoline_kernelINS0_14default_configENS1_27scan_by_key_config_selectorIiiEEZZNS1_16scan_by_key_implILNS1_25lookback_scan_determinismE0ELb1ES3_N6thrust23THRUST_200600_302600_NS6detail15normal_iteratorINS9_10device_ptrIiEEEENSB_INSC_IjEEEENSB_INSC_IfEEEEiNS9_4plusIvEENS9_8equal_toIvEEiEE10hipError_tPvRmT2_T3_T4_T5_mT6_T7_P12ihipStream_tbENKUlT_T0_E_clISt17integral_constantIbLb1EES13_EEDaSY_SZ_EUlSY_E_NS1_11comp_targetILNS1_3genE5ELNS1_11target_archE942ELNS1_3gpuE9ELNS1_3repE0EEENS1_30default_config_static_selectorELNS0_4arch9wavefront6targetE0EEEvT1_
	.globl	_ZN7rocprim17ROCPRIM_400000_NS6detail17trampoline_kernelINS0_14default_configENS1_27scan_by_key_config_selectorIiiEEZZNS1_16scan_by_key_implILNS1_25lookback_scan_determinismE0ELb1ES3_N6thrust23THRUST_200600_302600_NS6detail15normal_iteratorINS9_10device_ptrIiEEEENSB_INSC_IjEEEENSB_INSC_IfEEEEiNS9_4plusIvEENS9_8equal_toIvEEiEE10hipError_tPvRmT2_T3_T4_T5_mT6_T7_P12ihipStream_tbENKUlT_T0_E_clISt17integral_constantIbLb1EES13_EEDaSY_SZ_EUlSY_E_NS1_11comp_targetILNS1_3genE5ELNS1_11target_archE942ELNS1_3gpuE9ELNS1_3repE0EEENS1_30default_config_static_selectorELNS0_4arch9wavefront6targetE0EEEvT1_
	.p2align	8
	.type	_ZN7rocprim17ROCPRIM_400000_NS6detail17trampoline_kernelINS0_14default_configENS1_27scan_by_key_config_selectorIiiEEZZNS1_16scan_by_key_implILNS1_25lookback_scan_determinismE0ELb1ES3_N6thrust23THRUST_200600_302600_NS6detail15normal_iteratorINS9_10device_ptrIiEEEENSB_INSC_IjEEEENSB_INSC_IfEEEEiNS9_4plusIvEENS9_8equal_toIvEEiEE10hipError_tPvRmT2_T3_T4_T5_mT6_T7_P12ihipStream_tbENKUlT_T0_E_clISt17integral_constantIbLb1EES13_EEDaSY_SZ_EUlSY_E_NS1_11comp_targetILNS1_3genE5ELNS1_11target_archE942ELNS1_3gpuE9ELNS1_3repE0EEENS1_30default_config_static_selectorELNS0_4arch9wavefront6targetE0EEEvT1_,@function
_ZN7rocprim17ROCPRIM_400000_NS6detail17trampoline_kernelINS0_14default_configENS1_27scan_by_key_config_selectorIiiEEZZNS1_16scan_by_key_implILNS1_25lookback_scan_determinismE0ELb1ES3_N6thrust23THRUST_200600_302600_NS6detail15normal_iteratorINS9_10device_ptrIiEEEENSB_INSC_IjEEEENSB_INSC_IfEEEEiNS9_4plusIvEENS9_8equal_toIvEEiEE10hipError_tPvRmT2_T3_T4_T5_mT6_T7_P12ihipStream_tbENKUlT_T0_E_clISt17integral_constantIbLb1EES13_EEDaSY_SZ_EUlSY_E_NS1_11comp_targetILNS1_3genE5ELNS1_11target_archE942ELNS1_3gpuE9ELNS1_3repE0EEENS1_30default_config_static_selectorELNS0_4arch9wavefront6targetE0EEEvT1_: ; @_ZN7rocprim17ROCPRIM_400000_NS6detail17trampoline_kernelINS0_14default_configENS1_27scan_by_key_config_selectorIiiEEZZNS1_16scan_by_key_implILNS1_25lookback_scan_determinismE0ELb1ES3_N6thrust23THRUST_200600_302600_NS6detail15normal_iteratorINS9_10device_ptrIiEEEENSB_INSC_IjEEEENSB_INSC_IfEEEEiNS9_4plusIvEENS9_8equal_toIvEEiEE10hipError_tPvRmT2_T3_T4_T5_mT6_T7_P12ihipStream_tbENKUlT_T0_E_clISt17integral_constantIbLb1EES13_EEDaSY_SZ_EUlSY_E_NS1_11comp_targetILNS1_3genE5ELNS1_11target_archE942ELNS1_3gpuE9ELNS1_3repE0EEENS1_30default_config_static_selectorELNS0_4arch9wavefront6targetE0EEEvT1_
; %bb.0:
	.section	.rodata,"a",@progbits
	.p2align	6, 0x0
	.amdhsa_kernel _ZN7rocprim17ROCPRIM_400000_NS6detail17trampoline_kernelINS0_14default_configENS1_27scan_by_key_config_selectorIiiEEZZNS1_16scan_by_key_implILNS1_25lookback_scan_determinismE0ELb1ES3_N6thrust23THRUST_200600_302600_NS6detail15normal_iteratorINS9_10device_ptrIiEEEENSB_INSC_IjEEEENSB_INSC_IfEEEEiNS9_4plusIvEENS9_8equal_toIvEEiEE10hipError_tPvRmT2_T3_T4_T5_mT6_T7_P12ihipStream_tbENKUlT_T0_E_clISt17integral_constantIbLb1EES13_EEDaSY_SZ_EUlSY_E_NS1_11comp_targetILNS1_3genE5ELNS1_11target_archE942ELNS1_3gpuE9ELNS1_3repE0EEENS1_30default_config_static_selectorELNS0_4arch9wavefront6targetE0EEEvT1_
		.amdhsa_group_segment_fixed_size 0
		.amdhsa_private_segment_fixed_size 0
		.amdhsa_kernarg_size 112
		.amdhsa_user_sgpr_count 2
		.amdhsa_user_sgpr_dispatch_ptr 0
		.amdhsa_user_sgpr_queue_ptr 0
		.amdhsa_user_sgpr_kernarg_segment_ptr 1
		.amdhsa_user_sgpr_dispatch_id 0
		.amdhsa_user_sgpr_kernarg_preload_length 0
		.amdhsa_user_sgpr_kernarg_preload_offset 0
		.amdhsa_user_sgpr_private_segment_size 0
		.amdhsa_wavefront_size32 1
		.amdhsa_uses_dynamic_stack 0
		.amdhsa_enable_private_segment 0
		.amdhsa_system_sgpr_workgroup_id_x 1
		.amdhsa_system_sgpr_workgroup_id_y 0
		.amdhsa_system_sgpr_workgroup_id_z 0
		.amdhsa_system_sgpr_workgroup_info 0
		.amdhsa_system_vgpr_workitem_id 0
		.amdhsa_next_free_vgpr 1
		.amdhsa_next_free_sgpr 1
		.amdhsa_named_barrier_count 0
		.amdhsa_reserve_vcc 0
		.amdhsa_float_round_mode_32 0
		.amdhsa_float_round_mode_16_64 0
		.amdhsa_float_denorm_mode_32 3
		.amdhsa_float_denorm_mode_16_64 3
		.amdhsa_fp16_overflow 0
		.amdhsa_memory_ordered 1
		.amdhsa_forward_progress 1
		.amdhsa_inst_pref_size 0
		.amdhsa_round_robin_scheduling 0
		.amdhsa_exception_fp_ieee_invalid_op 0
		.amdhsa_exception_fp_denorm_src 0
		.amdhsa_exception_fp_ieee_div_zero 0
		.amdhsa_exception_fp_ieee_overflow 0
		.amdhsa_exception_fp_ieee_underflow 0
		.amdhsa_exception_fp_ieee_inexact 0
		.amdhsa_exception_int_div_zero 0
	.end_amdhsa_kernel
	.section	.text._ZN7rocprim17ROCPRIM_400000_NS6detail17trampoline_kernelINS0_14default_configENS1_27scan_by_key_config_selectorIiiEEZZNS1_16scan_by_key_implILNS1_25lookback_scan_determinismE0ELb1ES3_N6thrust23THRUST_200600_302600_NS6detail15normal_iteratorINS9_10device_ptrIiEEEENSB_INSC_IjEEEENSB_INSC_IfEEEEiNS9_4plusIvEENS9_8equal_toIvEEiEE10hipError_tPvRmT2_T3_T4_T5_mT6_T7_P12ihipStream_tbENKUlT_T0_E_clISt17integral_constantIbLb1EES13_EEDaSY_SZ_EUlSY_E_NS1_11comp_targetILNS1_3genE5ELNS1_11target_archE942ELNS1_3gpuE9ELNS1_3repE0EEENS1_30default_config_static_selectorELNS0_4arch9wavefront6targetE0EEEvT1_,"axG",@progbits,_ZN7rocprim17ROCPRIM_400000_NS6detail17trampoline_kernelINS0_14default_configENS1_27scan_by_key_config_selectorIiiEEZZNS1_16scan_by_key_implILNS1_25lookback_scan_determinismE0ELb1ES3_N6thrust23THRUST_200600_302600_NS6detail15normal_iteratorINS9_10device_ptrIiEEEENSB_INSC_IjEEEENSB_INSC_IfEEEEiNS9_4plusIvEENS9_8equal_toIvEEiEE10hipError_tPvRmT2_T3_T4_T5_mT6_T7_P12ihipStream_tbENKUlT_T0_E_clISt17integral_constantIbLb1EES13_EEDaSY_SZ_EUlSY_E_NS1_11comp_targetILNS1_3genE5ELNS1_11target_archE942ELNS1_3gpuE9ELNS1_3repE0EEENS1_30default_config_static_selectorELNS0_4arch9wavefront6targetE0EEEvT1_,comdat
.Lfunc_end1727:
	.size	_ZN7rocprim17ROCPRIM_400000_NS6detail17trampoline_kernelINS0_14default_configENS1_27scan_by_key_config_selectorIiiEEZZNS1_16scan_by_key_implILNS1_25lookback_scan_determinismE0ELb1ES3_N6thrust23THRUST_200600_302600_NS6detail15normal_iteratorINS9_10device_ptrIiEEEENSB_INSC_IjEEEENSB_INSC_IfEEEEiNS9_4plusIvEENS9_8equal_toIvEEiEE10hipError_tPvRmT2_T3_T4_T5_mT6_T7_P12ihipStream_tbENKUlT_T0_E_clISt17integral_constantIbLb1EES13_EEDaSY_SZ_EUlSY_E_NS1_11comp_targetILNS1_3genE5ELNS1_11target_archE942ELNS1_3gpuE9ELNS1_3repE0EEENS1_30default_config_static_selectorELNS0_4arch9wavefront6targetE0EEEvT1_, .Lfunc_end1727-_ZN7rocprim17ROCPRIM_400000_NS6detail17trampoline_kernelINS0_14default_configENS1_27scan_by_key_config_selectorIiiEEZZNS1_16scan_by_key_implILNS1_25lookback_scan_determinismE0ELb1ES3_N6thrust23THRUST_200600_302600_NS6detail15normal_iteratorINS9_10device_ptrIiEEEENSB_INSC_IjEEEENSB_INSC_IfEEEEiNS9_4plusIvEENS9_8equal_toIvEEiEE10hipError_tPvRmT2_T3_T4_T5_mT6_T7_P12ihipStream_tbENKUlT_T0_E_clISt17integral_constantIbLb1EES13_EEDaSY_SZ_EUlSY_E_NS1_11comp_targetILNS1_3genE5ELNS1_11target_archE942ELNS1_3gpuE9ELNS1_3repE0EEENS1_30default_config_static_selectorELNS0_4arch9wavefront6targetE0EEEvT1_
                                        ; -- End function
	.set _ZN7rocprim17ROCPRIM_400000_NS6detail17trampoline_kernelINS0_14default_configENS1_27scan_by_key_config_selectorIiiEEZZNS1_16scan_by_key_implILNS1_25lookback_scan_determinismE0ELb1ES3_N6thrust23THRUST_200600_302600_NS6detail15normal_iteratorINS9_10device_ptrIiEEEENSB_INSC_IjEEEENSB_INSC_IfEEEEiNS9_4plusIvEENS9_8equal_toIvEEiEE10hipError_tPvRmT2_T3_T4_T5_mT6_T7_P12ihipStream_tbENKUlT_T0_E_clISt17integral_constantIbLb1EES13_EEDaSY_SZ_EUlSY_E_NS1_11comp_targetILNS1_3genE5ELNS1_11target_archE942ELNS1_3gpuE9ELNS1_3repE0EEENS1_30default_config_static_selectorELNS0_4arch9wavefront6targetE0EEEvT1_.num_vgpr, 0
	.set _ZN7rocprim17ROCPRIM_400000_NS6detail17trampoline_kernelINS0_14default_configENS1_27scan_by_key_config_selectorIiiEEZZNS1_16scan_by_key_implILNS1_25lookback_scan_determinismE0ELb1ES3_N6thrust23THRUST_200600_302600_NS6detail15normal_iteratorINS9_10device_ptrIiEEEENSB_INSC_IjEEEENSB_INSC_IfEEEEiNS9_4plusIvEENS9_8equal_toIvEEiEE10hipError_tPvRmT2_T3_T4_T5_mT6_T7_P12ihipStream_tbENKUlT_T0_E_clISt17integral_constantIbLb1EES13_EEDaSY_SZ_EUlSY_E_NS1_11comp_targetILNS1_3genE5ELNS1_11target_archE942ELNS1_3gpuE9ELNS1_3repE0EEENS1_30default_config_static_selectorELNS0_4arch9wavefront6targetE0EEEvT1_.num_agpr, 0
	.set _ZN7rocprim17ROCPRIM_400000_NS6detail17trampoline_kernelINS0_14default_configENS1_27scan_by_key_config_selectorIiiEEZZNS1_16scan_by_key_implILNS1_25lookback_scan_determinismE0ELb1ES3_N6thrust23THRUST_200600_302600_NS6detail15normal_iteratorINS9_10device_ptrIiEEEENSB_INSC_IjEEEENSB_INSC_IfEEEEiNS9_4plusIvEENS9_8equal_toIvEEiEE10hipError_tPvRmT2_T3_T4_T5_mT6_T7_P12ihipStream_tbENKUlT_T0_E_clISt17integral_constantIbLb1EES13_EEDaSY_SZ_EUlSY_E_NS1_11comp_targetILNS1_3genE5ELNS1_11target_archE942ELNS1_3gpuE9ELNS1_3repE0EEENS1_30default_config_static_selectorELNS0_4arch9wavefront6targetE0EEEvT1_.numbered_sgpr, 0
	.set _ZN7rocprim17ROCPRIM_400000_NS6detail17trampoline_kernelINS0_14default_configENS1_27scan_by_key_config_selectorIiiEEZZNS1_16scan_by_key_implILNS1_25lookback_scan_determinismE0ELb1ES3_N6thrust23THRUST_200600_302600_NS6detail15normal_iteratorINS9_10device_ptrIiEEEENSB_INSC_IjEEEENSB_INSC_IfEEEEiNS9_4plusIvEENS9_8equal_toIvEEiEE10hipError_tPvRmT2_T3_T4_T5_mT6_T7_P12ihipStream_tbENKUlT_T0_E_clISt17integral_constantIbLb1EES13_EEDaSY_SZ_EUlSY_E_NS1_11comp_targetILNS1_3genE5ELNS1_11target_archE942ELNS1_3gpuE9ELNS1_3repE0EEENS1_30default_config_static_selectorELNS0_4arch9wavefront6targetE0EEEvT1_.num_named_barrier, 0
	.set _ZN7rocprim17ROCPRIM_400000_NS6detail17trampoline_kernelINS0_14default_configENS1_27scan_by_key_config_selectorIiiEEZZNS1_16scan_by_key_implILNS1_25lookback_scan_determinismE0ELb1ES3_N6thrust23THRUST_200600_302600_NS6detail15normal_iteratorINS9_10device_ptrIiEEEENSB_INSC_IjEEEENSB_INSC_IfEEEEiNS9_4plusIvEENS9_8equal_toIvEEiEE10hipError_tPvRmT2_T3_T4_T5_mT6_T7_P12ihipStream_tbENKUlT_T0_E_clISt17integral_constantIbLb1EES13_EEDaSY_SZ_EUlSY_E_NS1_11comp_targetILNS1_3genE5ELNS1_11target_archE942ELNS1_3gpuE9ELNS1_3repE0EEENS1_30default_config_static_selectorELNS0_4arch9wavefront6targetE0EEEvT1_.private_seg_size, 0
	.set _ZN7rocprim17ROCPRIM_400000_NS6detail17trampoline_kernelINS0_14default_configENS1_27scan_by_key_config_selectorIiiEEZZNS1_16scan_by_key_implILNS1_25lookback_scan_determinismE0ELb1ES3_N6thrust23THRUST_200600_302600_NS6detail15normal_iteratorINS9_10device_ptrIiEEEENSB_INSC_IjEEEENSB_INSC_IfEEEEiNS9_4plusIvEENS9_8equal_toIvEEiEE10hipError_tPvRmT2_T3_T4_T5_mT6_T7_P12ihipStream_tbENKUlT_T0_E_clISt17integral_constantIbLb1EES13_EEDaSY_SZ_EUlSY_E_NS1_11comp_targetILNS1_3genE5ELNS1_11target_archE942ELNS1_3gpuE9ELNS1_3repE0EEENS1_30default_config_static_selectorELNS0_4arch9wavefront6targetE0EEEvT1_.uses_vcc, 0
	.set _ZN7rocprim17ROCPRIM_400000_NS6detail17trampoline_kernelINS0_14default_configENS1_27scan_by_key_config_selectorIiiEEZZNS1_16scan_by_key_implILNS1_25lookback_scan_determinismE0ELb1ES3_N6thrust23THRUST_200600_302600_NS6detail15normal_iteratorINS9_10device_ptrIiEEEENSB_INSC_IjEEEENSB_INSC_IfEEEEiNS9_4plusIvEENS9_8equal_toIvEEiEE10hipError_tPvRmT2_T3_T4_T5_mT6_T7_P12ihipStream_tbENKUlT_T0_E_clISt17integral_constantIbLb1EES13_EEDaSY_SZ_EUlSY_E_NS1_11comp_targetILNS1_3genE5ELNS1_11target_archE942ELNS1_3gpuE9ELNS1_3repE0EEENS1_30default_config_static_selectorELNS0_4arch9wavefront6targetE0EEEvT1_.uses_flat_scratch, 0
	.set _ZN7rocprim17ROCPRIM_400000_NS6detail17trampoline_kernelINS0_14default_configENS1_27scan_by_key_config_selectorIiiEEZZNS1_16scan_by_key_implILNS1_25lookback_scan_determinismE0ELb1ES3_N6thrust23THRUST_200600_302600_NS6detail15normal_iteratorINS9_10device_ptrIiEEEENSB_INSC_IjEEEENSB_INSC_IfEEEEiNS9_4plusIvEENS9_8equal_toIvEEiEE10hipError_tPvRmT2_T3_T4_T5_mT6_T7_P12ihipStream_tbENKUlT_T0_E_clISt17integral_constantIbLb1EES13_EEDaSY_SZ_EUlSY_E_NS1_11comp_targetILNS1_3genE5ELNS1_11target_archE942ELNS1_3gpuE9ELNS1_3repE0EEENS1_30default_config_static_selectorELNS0_4arch9wavefront6targetE0EEEvT1_.has_dyn_sized_stack, 0
	.set _ZN7rocprim17ROCPRIM_400000_NS6detail17trampoline_kernelINS0_14default_configENS1_27scan_by_key_config_selectorIiiEEZZNS1_16scan_by_key_implILNS1_25lookback_scan_determinismE0ELb1ES3_N6thrust23THRUST_200600_302600_NS6detail15normal_iteratorINS9_10device_ptrIiEEEENSB_INSC_IjEEEENSB_INSC_IfEEEEiNS9_4plusIvEENS9_8equal_toIvEEiEE10hipError_tPvRmT2_T3_T4_T5_mT6_T7_P12ihipStream_tbENKUlT_T0_E_clISt17integral_constantIbLb1EES13_EEDaSY_SZ_EUlSY_E_NS1_11comp_targetILNS1_3genE5ELNS1_11target_archE942ELNS1_3gpuE9ELNS1_3repE0EEENS1_30default_config_static_selectorELNS0_4arch9wavefront6targetE0EEEvT1_.has_recursion, 0
	.set _ZN7rocprim17ROCPRIM_400000_NS6detail17trampoline_kernelINS0_14default_configENS1_27scan_by_key_config_selectorIiiEEZZNS1_16scan_by_key_implILNS1_25lookback_scan_determinismE0ELb1ES3_N6thrust23THRUST_200600_302600_NS6detail15normal_iteratorINS9_10device_ptrIiEEEENSB_INSC_IjEEEENSB_INSC_IfEEEEiNS9_4plusIvEENS9_8equal_toIvEEiEE10hipError_tPvRmT2_T3_T4_T5_mT6_T7_P12ihipStream_tbENKUlT_T0_E_clISt17integral_constantIbLb1EES13_EEDaSY_SZ_EUlSY_E_NS1_11comp_targetILNS1_3genE5ELNS1_11target_archE942ELNS1_3gpuE9ELNS1_3repE0EEENS1_30default_config_static_selectorELNS0_4arch9wavefront6targetE0EEEvT1_.has_indirect_call, 0
	.section	.AMDGPU.csdata,"",@progbits
; Kernel info:
; codeLenInByte = 0
; TotalNumSgprs: 0
; NumVgprs: 0
; ScratchSize: 0
; MemoryBound: 0
; FloatMode: 240
; IeeeMode: 1
; LDSByteSize: 0 bytes/workgroup (compile time only)
; SGPRBlocks: 0
; VGPRBlocks: 0
; NumSGPRsForWavesPerEU: 1
; NumVGPRsForWavesPerEU: 1
; NamedBarCnt: 0
; Occupancy: 16
; WaveLimiterHint : 0
; COMPUTE_PGM_RSRC2:SCRATCH_EN: 0
; COMPUTE_PGM_RSRC2:USER_SGPR: 2
; COMPUTE_PGM_RSRC2:TRAP_HANDLER: 0
; COMPUTE_PGM_RSRC2:TGID_X_EN: 1
; COMPUTE_PGM_RSRC2:TGID_Y_EN: 0
; COMPUTE_PGM_RSRC2:TGID_Z_EN: 0
; COMPUTE_PGM_RSRC2:TIDIG_COMP_CNT: 0
	.section	.text._ZN7rocprim17ROCPRIM_400000_NS6detail17trampoline_kernelINS0_14default_configENS1_27scan_by_key_config_selectorIiiEEZZNS1_16scan_by_key_implILNS1_25lookback_scan_determinismE0ELb1ES3_N6thrust23THRUST_200600_302600_NS6detail15normal_iteratorINS9_10device_ptrIiEEEENSB_INSC_IjEEEENSB_INSC_IfEEEEiNS9_4plusIvEENS9_8equal_toIvEEiEE10hipError_tPvRmT2_T3_T4_T5_mT6_T7_P12ihipStream_tbENKUlT_T0_E_clISt17integral_constantIbLb1EES13_EEDaSY_SZ_EUlSY_E_NS1_11comp_targetILNS1_3genE4ELNS1_11target_archE910ELNS1_3gpuE8ELNS1_3repE0EEENS1_30default_config_static_selectorELNS0_4arch9wavefront6targetE0EEEvT1_,"axG",@progbits,_ZN7rocprim17ROCPRIM_400000_NS6detail17trampoline_kernelINS0_14default_configENS1_27scan_by_key_config_selectorIiiEEZZNS1_16scan_by_key_implILNS1_25lookback_scan_determinismE0ELb1ES3_N6thrust23THRUST_200600_302600_NS6detail15normal_iteratorINS9_10device_ptrIiEEEENSB_INSC_IjEEEENSB_INSC_IfEEEEiNS9_4plusIvEENS9_8equal_toIvEEiEE10hipError_tPvRmT2_T3_T4_T5_mT6_T7_P12ihipStream_tbENKUlT_T0_E_clISt17integral_constantIbLb1EES13_EEDaSY_SZ_EUlSY_E_NS1_11comp_targetILNS1_3genE4ELNS1_11target_archE910ELNS1_3gpuE8ELNS1_3repE0EEENS1_30default_config_static_selectorELNS0_4arch9wavefront6targetE0EEEvT1_,comdat
	.protected	_ZN7rocprim17ROCPRIM_400000_NS6detail17trampoline_kernelINS0_14default_configENS1_27scan_by_key_config_selectorIiiEEZZNS1_16scan_by_key_implILNS1_25lookback_scan_determinismE0ELb1ES3_N6thrust23THRUST_200600_302600_NS6detail15normal_iteratorINS9_10device_ptrIiEEEENSB_INSC_IjEEEENSB_INSC_IfEEEEiNS9_4plusIvEENS9_8equal_toIvEEiEE10hipError_tPvRmT2_T3_T4_T5_mT6_T7_P12ihipStream_tbENKUlT_T0_E_clISt17integral_constantIbLb1EES13_EEDaSY_SZ_EUlSY_E_NS1_11comp_targetILNS1_3genE4ELNS1_11target_archE910ELNS1_3gpuE8ELNS1_3repE0EEENS1_30default_config_static_selectorELNS0_4arch9wavefront6targetE0EEEvT1_ ; -- Begin function _ZN7rocprim17ROCPRIM_400000_NS6detail17trampoline_kernelINS0_14default_configENS1_27scan_by_key_config_selectorIiiEEZZNS1_16scan_by_key_implILNS1_25lookback_scan_determinismE0ELb1ES3_N6thrust23THRUST_200600_302600_NS6detail15normal_iteratorINS9_10device_ptrIiEEEENSB_INSC_IjEEEENSB_INSC_IfEEEEiNS9_4plusIvEENS9_8equal_toIvEEiEE10hipError_tPvRmT2_T3_T4_T5_mT6_T7_P12ihipStream_tbENKUlT_T0_E_clISt17integral_constantIbLb1EES13_EEDaSY_SZ_EUlSY_E_NS1_11comp_targetILNS1_3genE4ELNS1_11target_archE910ELNS1_3gpuE8ELNS1_3repE0EEENS1_30default_config_static_selectorELNS0_4arch9wavefront6targetE0EEEvT1_
	.globl	_ZN7rocprim17ROCPRIM_400000_NS6detail17trampoline_kernelINS0_14default_configENS1_27scan_by_key_config_selectorIiiEEZZNS1_16scan_by_key_implILNS1_25lookback_scan_determinismE0ELb1ES3_N6thrust23THRUST_200600_302600_NS6detail15normal_iteratorINS9_10device_ptrIiEEEENSB_INSC_IjEEEENSB_INSC_IfEEEEiNS9_4plusIvEENS9_8equal_toIvEEiEE10hipError_tPvRmT2_T3_T4_T5_mT6_T7_P12ihipStream_tbENKUlT_T0_E_clISt17integral_constantIbLb1EES13_EEDaSY_SZ_EUlSY_E_NS1_11comp_targetILNS1_3genE4ELNS1_11target_archE910ELNS1_3gpuE8ELNS1_3repE0EEENS1_30default_config_static_selectorELNS0_4arch9wavefront6targetE0EEEvT1_
	.p2align	8
	.type	_ZN7rocprim17ROCPRIM_400000_NS6detail17trampoline_kernelINS0_14default_configENS1_27scan_by_key_config_selectorIiiEEZZNS1_16scan_by_key_implILNS1_25lookback_scan_determinismE0ELb1ES3_N6thrust23THRUST_200600_302600_NS6detail15normal_iteratorINS9_10device_ptrIiEEEENSB_INSC_IjEEEENSB_INSC_IfEEEEiNS9_4plusIvEENS9_8equal_toIvEEiEE10hipError_tPvRmT2_T3_T4_T5_mT6_T7_P12ihipStream_tbENKUlT_T0_E_clISt17integral_constantIbLb1EES13_EEDaSY_SZ_EUlSY_E_NS1_11comp_targetILNS1_3genE4ELNS1_11target_archE910ELNS1_3gpuE8ELNS1_3repE0EEENS1_30default_config_static_selectorELNS0_4arch9wavefront6targetE0EEEvT1_,@function
_ZN7rocprim17ROCPRIM_400000_NS6detail17trampoline_kernelINS0_14default_configENS1_27scan_by_key_config_selectorIiiEEZZNS1_16scan_by_key_implILNS1_25lookback_scan_determinismE0ELb1ES3_N6thrust23THRUST_200600_302600_NS6detail15normal_iteratorINS9_10device_ptrIiEEEENSB_INSC_IjEEEENSB_INSC_IfEEEEiNS9_4plusIvEENS9_8equal_toIvEEiEE10hipError_tPvRmT2_T3_T4_T5_mT6_T7_P12ihipStream_tbENKUlT_T0_E_clISt17integral_constantIbLb1EES13_EEDaSY_SZ_EUlSY_E_NS1_11comp_targetILNS1_3genE4ELNS1_11target_archE910ELNS1_3gpuE8ELNS1_3repE0EEENS1_30default_config_static_selectorELNS0_4arch9wavefront6targetE0EEEvT1_: ; @_ZN7rocprim17ROCPRIM_400000_NS6detail17trampoline_kernelINS0_14default_configENS1_27scan_by_key_config_selectorIiiEEZZNS1_16scan_by_key_implILNS1_25lookback_scan_determinismE0ELb1ES3_N6thrust23THRUST_200600_302600_NS6detail15normal_iteratorINS9_10device_ptrIiEEEENSB_INSC_IjEEEENSB_INSC_IfEEEEiNS9_4plusIvEENS9_8equal_toIvEEiEE10hipError_tPvRmT2_T3_T4_T5_mT6_T7_P12ihipStream_tbENKUlT_T0_E_clISt17integral_constantIbLb1EES13_EEDaSY_SZ_EUlSY_E_NS1_11comp_targetILNS1_3genE4ELNS1_11target_archE910ELNS1_3gpuE8ELNS1_3repE0EEENS1_30default_config_static_selectorELNS0_4arch9wavefront6targetE0EEEvT1_
; %bb.0:
	.section	.rodata,"a",@progbits
	.p2align	6, 0x0
	.amdhsa_kernel _ZN7rocprim17ROCPRIM_400000_NS6detail17trampoline_kernelINS0_14default_configENS1_27scan_by_key_config_selectorIiiEEZZNS1_16scan_by_key_implILNS1_25lookback_scan_determinismE0ELb1ES3_N6thrust23THRUST_200600_302600_NS6detail15normal_iteratorINS9_10device_ptrIiEEEENSB_INSC_IjEEEENSB_INSC_IfEEEEiNS9_4plusIvEENS9_8equal_toIvEEiEE10hipError_tPvRmT2_T3_T4_T5_mT6_T7_P12ihipStream_tbENKUlT_T0_E_clISt17integral_constantIbLb1EES13_EEDaSY_SZ_EUlSY_E_NS1_11comp_targetILNS1_3genE4ELNS1_11target_archE910ELNS1_3gpuE8ELNS1_3repE0EEENS1_30default_config_static_selectorELNS0_4arch9wavefront6targetE0EEEvT1_
		.amdhsa_group_segment_fixed_size 0
		.amdhsa_private_segment_fixed_size 0
		.amdhsa_kernarg_size 112
		.amdhsa_user_sgpr_count 2
		.amdhsa_user_sgpr_dispatch_ptr 0
		.amdhsa_user_sgpr_queue_ptr 0
		.amdhsa_user_sgpr_kernarg_segment_ptr 1
		.amdhsa_user_sgpr_dispatch_id 0
		.amdhsa_user_sgpr_kernarg_preload_length 0
		.amdhsa_user_sgpr_kernarg_preload_offset 0
		.amdhsa_user_sgpr_private_segment_size 0
		.amdhsa_wavefront_size32 1
		.amdhsa_uses_dynamic_stack 0
		.amdhsa_enable_private_segment 0
		.amdhsa_system_sgpr_workgroup_id_x 1
		.amdhsa_system_sgpr_workgroup_id_y 0
		.amdhsa_system_sgpr_workgroup_id_z 0
		.amdhsa_system_sgpr_workgroup_info 0
		.amdhsa_system_vgpr_workitem_id 0
		.amdhsa_next_free_vgpr 1
		.amdhsa_next_free_sgpr 1
		.amdhsa_named_barrier_count 0
		.amdhsa_reserve_vcc 0
		.amdhsa_float_round_mode_32 0
		.amdhsa_float_round_mode_16_64 0
		.amdhsa_float_denorm_mode_32 3
		.amdhsa_float_denorm_mode_16_64 3
		.amdhsa_fp16_overflow 0
		.amdhsa_memory_ordered 1
		.amdhsa_forward_progress 1
		.amdhsa_inst_pref_size 0
		.amdhsa_round_robin_scheduling 0
		.amdhsa_exception_fp_ieee_invalid_op 0
		.amdhsa_exception_fp_denorm_src 0
		.amdhsa_exception_fp_ieee_div_zero 0
		.amdhsa_exception_fp_ieee_overflow 0
		.amdhsa_exception_fp_ieee_underflow 0
		.amdhsa_exception_fp_ieee_inexact 0
		.amdhsa_exception_int_div_zero 0
	.end_amdhsa_kernel
	.section	.text._ZN7rocprim17ROCPRIM_400000_NS6detail17trampoline_kernelINS0_14default_configENS1_27scan_by_key_config_selectorIiiEEZZNS1_16scan_by_key_implILNS1_25lookback_scan_determinismE0ELb1ES3_N6thrust23THRUST_200600_302600_NS6detail15normal_iteratorINS9_10device_ptrIiEEEENSB_INSC_IjEEEENSB_INSC_IfEEEEiNS9_4plusIvEENS9_8equal_toIvEEiEE10hipError_tPvRmT2_T3_T4_T5_mT6_T7_P12ihipStream_tbENKUlT_T0_E_clISt17integral_constantIbLb1EES13_EEDaSY_SZ_EUlSY_E_NS1_11comp_targetILNS1_3genE4ELNS1_11target_archE910ELNS1_3gpuE8ELNS1_3repE0EEENS1_30default_config_static_selectorELNS0_4arch9wavefront6targetE0EEEvT1_,"axG",@progbits,_ZN7rocprim17ROCPRIM_400000_NS6detail17trampoline_kernelINS0_14default_configENS1_27scan_by_key_config_selectorIiiEEZZNS1_16scan_by_key_implILNS1_25lookback_scan_determinismE0ELb1ES3_N6thrust23THRUST_200600_302600_NS6detail15normal_iteratorINS9_10device_ptrIiEEEENSB_INSC_IjEEEENSB_INSC_IfEEEEiNS9_4plusIvEENS9_8equal_toIvEEiEE10hipError_tPvRmT2_T3_T4_T5_mT6_T7_P12ihipStream_tbENKUlT_T0_E_clISt17integral_constantIbLb1EES13_EEDaSY_SZ_EUlSY_E_NS1_11comp_targetILNS1_3genE4ELNS1_11target_archE910ELNS1_3gpuE8ELNS1_3repE0EEENS1_30default_config_static_selectorELNS0_4arch9wavefront6targetE0EEEvT1_,comdat
.Lfunc_end1728:
	.size	_ZN7rocprim17ROCPRIM_400000_NS6detail17trampoline_kernelINS0_14default_configENS1_27scan_by_key_config_selectorIiiEEZZNS1_16scan_by_key_implILNS1_25lookback_scan_determinismE0ELb1ES3_N6thrust23THRUST_200600_302600_NS6detail15normal_iteratorINS9_10device_ptrIiEEEENSB_INSC_IjEEEENSB_INSC_IfEEEEiNS9_4plusIvEENS9_8equal_toIvEEiEE10hipError_tPvRmT2_T3_T4_T5_mT6_T7_P12ihipStream_tbENKUlT_T0_E_clISt17integral_constantIbLb1EES13_EEDaSY_SZ_EUlSY_E_NS1_11comp_targetILNS1_3genE4ELNS1_11target_archE910ELNS1_3gpuE8ELNS1_3repE0EEENS1_30default_config_static_selectorELNS0_4arch9wavefront6targetE0EEEvT1_, .Lfunc_end1728-_ZN7rocprim17ROCPRIM_400000_NS6detail17trampoline_kernelINS0_14default_configENS1_27scan_by_key_config_selectorIiiEEZZNS1_16scan_by_key_implILNS1_25lookback_scan_determinismE0ELb1ES3_N6thrust23THRUST_200600_302600_NS6detail15normal_iteratorINS9_10device_ptrIiEEEENSB_INSC_IjEEEENSB_INSC_IfEEEEiNS9_4plusIvEENS9_8equal_toIvEEiEE10hipError_tPvRmT2_T3_T4_T5_mT6_T7_P12ihipStream_tbENKUlT_T0_E_clISt17integral_constantIbLb1EES13_EEDaSY_SZ_EUlSY_E_NS1_11comp_targetILNS1_3genE4ELNS1_11target_archE910ELNS1_3gpuE8ELNS1_3repE0EEENS1_30default_config_static_selectorELNS0_4arch9wavefront6targetE0EEEvT1_
                                        ; -- End function
	.set _ZN7rocprim17ROCPRIM_400000_NS6detail17trampoline_kernelINS0_14default_configENS1_27scan_by_key_config_selectorIiiEEZZNS1_16scan_by_key_implILNS1_25lookback_scan_determinismE0ELb1ES3_N6thrust23THRUST_200600_302600_NS6detail15normal_iteratorINS9_10device_ptrIiEEEENSB_INSC_IjEEEENSB_INSC_IfEEEEiNS9_4plusIvEENS9_8equal_toIvEEiEE10hipError_tPvRmT2_T3_T4_T5_mT6_T7_P12ihipStream_tbENKUlT_T0_E_clISt17integral_constantIbLb1EES13_EEDaSY_SZ_EUlSY_E_NS1_11comp_targetILNS1_3genE4ELNS1_11target_archE910ELNS1_3gpuE8ELNS1_3repE0EEENS1_30default_config_static_selectorELNS0_4arch9wavefront6targetE0EEEvT1_.num_vgpr, 0
	.set _ZN7rocprim17ROCPRIM_400000_NS6detail17trampoline_kernelINS0_14default_configENS1_27scan_by_key_config_selectorIiiEEZZNS1_16scan_by_key_implILNS1_25lookback_scan_determinismE0ELb1ES3_N6thrust23THRUST_200600_302600_NS6detail15normal_iteratorINS9_10device_ptrIiEEEENSB_INSC_IjEEEENSB_INSC_IfEEEEiNS9_4plusIvEENS9_8equal_toIvEEiEE10hipError_tPvRmT2_T3_T4_T5_mT6_T7_P12ihipStream_tbENKUlT_T0_E_clISt17integral_constantIbLb1EES13_EEDaSY_SZ_EUlSY_E_NS1_11comp_targetILNS1_3genE4ELNS1_11target_archE910ELNS1_3gpuE8ELNS1_3repE0EEENS1_30default_config_static_selectorELNS0_4arch9wavefront6targetE0EEEvT1_.num_agpr, 0
	.set _ZN7rocprim17ROCPRIM_400000_NS6detail17trampoline_kernelINS0_14default_configENS1_27scan_by_key_config_selectorIiiEEZZNS1_16scan_by_key_implILNS1_25lookback_scan_determinismE0ELb1ES3_N6thrust23THRUST_200600_302600_NS6detail15normal_iteratorINS9_10device_ptrIiEEEENSB_INSC_IjEEEENSB_INSC_IfEEEEiNS9_4plusIvEENS9_8equal_toIvEEiEE10hipError_tPvRmT2_T3_T4_T5_mT6_T7_P12ihipStream_tbENKUlT_T0_E_clISt17integral_constantIbLb1EES13_EEDaSY_SZ_EUlSY_E_NS1_11comp_targetILNS1_3genE4ELNS1_11target_archE910ELNS1_3gpuE8ELNS1_3repE0EEENS1_30default_config_static_selectorELNS0_4arch9wavefront6targetE0EEEvT1_.numbered_sgpr, 0
	.set _ZN7rocprim17ROCPRIM_400000_NS6detail17trampoline_kernelINS0_14default_configENS1_27scan_by_key_config_selectorIiiEEZZNS1_16scan_by_key_implILNS1_25lookback_scan_determinismE0ELb1ES3_N6thrust23THRUST_200600_302600_NS6detail15normal_iteratorINS9_10device_ptrIiEEEENSB_INSC_IjEEEENSB_INSC_IfEEEEiNS9_4plusIvEENS9_8equal_toIvEEiEE10hipError_tPvRmT2_T3_T4_T5_mT6_T7_P12ihipStream_tbENKUlT_T0_E_clISt17integral_constantIbLb1EES13_EEDaSY_SZ_EUlSY_E_NS1_11comp_targetILNS1_3genE4ELNS1_11target_archE910ELNS1_3gpuE8ELNS1_3repE0EEENS1_30default_config_static_selectorELNS0_4arch9wavefront6targetE0EEEvT1_.num_named_barrier, 0
	.set _ZN7rocprim17ROCPRIM_400000_NS6detail17trampoline_kernelINS0_14default_configENS1_27scan_by_key_config_selectorIiiEEZZNS1_16scan_by_key_implILNS1_25lookback_scan_determinismE0ELb1ES3_N6thrust23THRUST_200600_302600_NS6detail15normal_iteratorINS9_10device_ptrIiEEEENSB_INSC_IjEEEENSB_INSC_IfEEEEiNS9_4plusIvEENS9_8equal_toIvEEiEE10hipError_tPvRmT2_T3_T4_T5_mT6_T7_P12ihipStream_tbENKUlT_T0_E_clISt17integral_constantIbLb1EES13_EEDaSY_SZ_EUlSY_E_NS1_11comp_targetILNS1_3genE4ELNS1_11target_archE910ELNS1_3gpuE8ELNS1_3repE0EEENS1_30default_config_static_selectorELNS0_4arch9wavefront6targetE0EEEvT1_.private_seg_size, 0
	.set _ZN7rocprim17ROCPRIM_400000_NS6detail17trampoline_kernelINS0_14default_configENS1_27scan_by_key_config_selectorIiiEEZZNS1_16scan_by_key_implILNS1_25lookback_scan_determinismE0ELb1ES3_N6thrust23THRUST_200600_302600_NS6detail15normal_iteratorINS9_10device_ptrIiEEEENSB_INSC_IjEEEENSB_INSC_IfEEEEiNS9_4plusIvEENS9_8equal_toIvEEiEE10hipError_tPvRmT2_T3_T4_T5_mT6_T7_P12ihipStream_tbENKUlT_T0_E_clISt17integral_constantIbLb1EES13_EEDaSY_SZ_EUlSY_E_NS1_11comp_targetILNS1_3genE4ELNS1_11target_archE910ELNS1_3gpuE8ELNS1_3repE0EEENS1_30default_config_static_selectorELNS0_4arch9wavefront6targetE0EEEvT1_.uses_vcc, 0
	.set _ZN7rocprim17ROCPRIM_400000_NS6detail17trampoline_kernelINS0_14default_configENS1_27scan_by_key_config_selectorIiiEEZZNS1_16scan_by_key_implILNS1_25lookback_scan_determinismE0ELb1ES3_N6thrust23THRUST_200600_302600_NS6detail15normal_iteratorINS9_10device_ptrIiEEEENSB_INSC_IjEEEENSB_INSC_IfEEEEiNS9_4plusIvEENS9_8equal_toIvEEiEE10hipError_tPvRmT2_T3_T4_T5_mT6_T7_P12ihipStream_tbENKUlT_T0_E_clISt17integral_constantIbLb1EES13_EEDaSY_SZ_EUlSY_E_NS1_11comp_targetILNS1_3genE4ELNS1_11target_archE910ELNS1_3gpuE8ELNS1_3repE0EEENS1_30default_config_static_selectorELNS0_4arch9wavefront6targetE0EEEvT1_.uses_flat_scratch, 0
	.set _ZN7rocprim17ROCPRIM_400000_NS6detail17trampoline_kernelINS0_14default_configENS1_27scan_by_key_config_selectorIiiEEZZNS1_16scan_by_key_implILNS1_25lookback_scan_determinismE0ELb1ES3_N6thrust23THRUST_200600_302600_NS6detail15normal_iteratorINS9_10device_ptrIiEEEENSB_INSC_IjEEEENSB_INSC_IfEEEEiNS9_4plusIvEENS9_8equal_toIvEEiEE10hipError_tPvRmT2_T3_T4_T5_mT6_T7_P12ihipStream_tbENKUlT_T0_E_clISt17integral_constantIbLb1EES13_EEDaSY_SZ_EUlSY_E_NS1_11comp_targetILNS1_3genE4ELNS1_11target_archE910ELNS1_3gpuE8ELNS1_3repE0EEENS1_30default_config_static_selectorELNS0_4arch9wavefront6targetE0EEEvT1_.has_dyn_sized_stack, 0
	.set _ZN7rocprim17ROCPRIM_400000_NS6detail17trampoline_kernelINS0_14default_configENS1_27scan_by_key_config_selectorIiiEEZZNS1_16scan_by_key_implILNS1_25lookback_scan_determinismE0ELb1ES3_N6thrust23THRUST_200600_302600_NS6detail15normal_iteratorINS9_10device_ptrIiEEEENSB_INSC_IjEEEENSB_INSC_IfEEEEiNS9_4plusIvEENS9_8equal_toIvEEiEE10hipError_tPvRmT2_T3_T4_T5_mT6_T7_P12ihipStream_tbENKUlT_T0_E_clISt17integral_constantIbLb1EES13_EEDaSY_SZ_EUlSY_E_NS1_11comp_targetILNS1_3genE4ELNS1_11target_archE910ELNS1_3gpuE8ELNS1_3repE0EEENS1_30default_config_static_selectorELNS0_4arch9wavefront6targetE0EEEvT1_.has_recursion, 0
	.set _ZN7rocprim17ROCPRIM_400000_NS6detail17trampoline_kernelINS0_14default_configENS1_27scan_by_key_config_selectorIiiEEZZNS1_16scan_by_key_implILNS1_25lookback_scan_determinismE0ELb1ES3_N6thrust23THRUST_200600_302600_NS6detail15normal_iteratorINS9_10device_ptrIiEEEENSB_INSC_IjEEEENSB_INSC_IfEEEEiNS9_4plusIvEENS9_8equal_toIvEEiEE10hipError_tPvRmT2_T3_T4_T5_mT6_T7_P12ihipStream_tbENKUlT_T0_E_clISt17integral_constantIbLb1EES13_EEDaSY_SZ_EUlSY_E_NS1_11comp_targetILNS1_3genE4ELNS1_11target_archE910ELNS1_3gpuE8ELNS1_3repE0EEENS1_30default_config_static_selectorELNS0_4arch9wavefront6targetE0EEEvT1_.has_indirect_call, 0
	.section	.AMDGPU.csdata,"",@progbits
; Kernel info:
; codeLenInByte = 0
; TotalNumSgprs: 0
; NumVgprs: 0
; ScratchSize: 0
; MemoryBound: 0
; FloatMode: 240
; IeeeMode: 1
; LDSByteSize: 0 bytes/workgroup (compile time only)
; SGPRBlocks: 0
; VGPRBlocks: 0
; NumSGPRsForWavesPerEU: 1
; NumVGPRsForWavesPerEU: 1
; NamedBarCnt: 0
; Occupancy: 16
; WaveLimiterHint : 0
; COMPUTE_PGM_RSRC2:SCRATCH_EN: 0
; COMPUTE_PGM_RSRC2:USER_SGPR: 2
; COMPUTE_PGM_RSRC2:TRAP_HANDLER: 0
; COMPUTE_PGM_RSRC2:TGID_X_EN: 1
; COMPUTE_PGM_RSRC2:TGID_Y_EN: 0
; COMPUTE_PGM_RSRC2:TGID_Z_EN: 0
; COMPUTE_PGM_RSRC2:TIDIG_COMP_CNT: 0
	.section	.text._ZN7rocprim17ROCPRIM_400000_NS6detail17trampoline_kernelINS0_14default_configENS1_27scan_by_key_config_selectorIiiEEZZNS1_16scan_by_key_implILNS1_25lookback_scan_determinismE0ELb1ES3_N6thrust23THRUST_200600_302600_NS6detail15normal_iteratorINS9_10device_ptrIiEEEENSB_INSC_IjEEEENSB_INSC_IfEEEEiNS9_4plusIvEENS9_8equal_toIvEEiEE10hipError_tPvRmT2_T3_T4_T5_mT6_T7_P12ihipStream_tbENKUlT_T0_E_clISt17integral_constantIbLb1EES13_EEDaSY_SZ_EUlSY_E_NS1_11comp_targetILNS1_3genE3ELNS1_11target_archE908ELNS1_3gpuE7ELNS1_3repE0EEENS1_30default_config_static_selectorELNS0_4arch9wavefront6targetE0EEEvT1_,"axG",@progbits,_ZN7rocprim17ROCPRIM_400000_NS6detail17trampoline_kernelINS0_14default_configENS1_27scan_by_key_config_selectorIiiEEZZNS1_16scan_by_key_implILNS1_25lookback_scan_determinismE0ELb1ES3_N6thrust23THRUST_200600_302600_NS6detail15normal_iteratorINS9_10device_ptrIiEEEENSB_INSC_IjEEEENSB_INSC_IfEEEEiNS9_4plusIvEENS9_8equal_toIvEEiEE10hipError_tPvRmT2_T3_T4_T5_mT6_T7_P12ihipStream_tbENKUlT_T0_E_clISt17integral_constantIbLb1EES13_EEDaSY_SZ_EUlSY_E_NS1_11comp_targetILNS1_3genE3ELNS1_11target_archE908ELNS1_3gpuE7ELNS1_3repE0EEENS1_30default_config_static_selectorELNS0_4arch9wavefront6targetE0EEEvT1_,comdat
	.protected	_ZN7rocprim17ROCPRIM_400000_NS6detail17trampoline_kernelINS0_14default_configENS1_27scan_by_key_config_selectorIiiEEZZNS1_16scan_by_key_implILNS1_25lookback_scan_determinismE0ELb1ES3_N6thrust23THRUST_200600_302600_NS6detail15normal_iteratorINS9_10device_ptrIiEEEENSB_INSC_IjEEEENSB_INSC_IfEEEEiNS9_4plusIvEENS9_8equal_toIvEEiEE10hipError_tPvRmT2_T3_T4_T5_mT6_T7_P12ihipStream_tbENKUlT_T0_E_clISt17integral_constantIbLb1EES13_EEDaSY_SZ_EUlSY_E_NS1_11comp_targetILNS1_3genE3ELNS1_11target_archE908ELNS1_3gpuE7ELNS1_3repE0EEENS1_30default_config_static_selectorELNS0_4arch9wavefront6targetE0EEEvT1_ ; -- Begin function _ZN7rocprim17ROCPRIM_400000_NS6detail17trampoline_kernelINS0_14default_configENS1_27scan_by_key_config_selectorIiiEEZZNS1_16scan_by_key_implILNS1_25lookback_scan_determinismE0ELb1ES3_N6thrust23THRUST_200600_302600_NS6detail15normal_iteratorINS9_10device_ptrIiEEEENSB_INSC_IjEEEENSB_INSC_IfEEEEiNS9_4plusIvEENS9_8equal_toIvEEiEE10hipError_tPvRmT2_T3_T4_T5_mT6_T7_P12ihipStream_tbENKUlT_T0_E_clISt17integral_constantIbLb1EES13_EEDaSY_SZ_EUlSY_E_NS1_11comp_targetILNS1_3genE3ELNS1_11target_archE908ELNS1_3gpuE7ELNS1_3repE0EEENS1_30default_config_static_selectorELNS0_4arch9wavefront6targetE0EEEvT1_
	.globl	_ZN7rocprim17ROCPRIM_400000_NS6detail17trampoline_kernelINS0_14default_configENS1_27scan_by_key_config_selectorIiiEEZZNS1_16scan_by_key_implILNS1_25lookback_scan_determinismE0ELb1ES3_N6thrust23THRUST_200600_302600_NS6detail15normal_iteratorINS9_10device_ptrIiEEEENSB_INSC_IjEEEENSB_INSC_IfEEEEiNS9_4plusIvEENS9_8equal_toIvEEiEE10hipError_tPvRmT2_T3_T4_T5_mT6_T7_P12ihipStream_tbENKUlT_T0_E_clISt17integral_constantIbLb1EES13_EEDaSY_SZ_EUlSY_E_NS1_11comp_targetILNS1_3genE3ELNS1_11target_archE908ELNS1_3gpuE7ELNS1_3repE0EEENS1_30default_config_static_selectorELNS0_4arch9wavefront6targetE0EEEvT1_
	.p2align	8
	.type	_ZN7rocprim17ROCPRIM_400000_NS6detail17trampoline_kernelINS0_14default_configENS1_27scan_by_key_config_selectorIiiEEZZNS1_16scan_by_key_implILNS1_25lookback_scan_determinismE0ELb1ES3_N6thrust23THRUST_200600_302600_NS6detail15normal_iteratorINS9_10device_ptrIiEEEENSB_INSC_IjEEEENSB_INSC_IfEEEEiNS9_4plusIvEENS9_8equal_toIvEEiEE10hipError_tPvRmT2_T3_T4_T5_mT6_T7_P12ihipStream_tbENKUlT_T0_E_clISt17integral_constantIbLb1EES13_EEDaSY_SZ_EUlSY_E_NS1_11comp_targetILNS1_3genE3ELNS1_11target_archE908ELNS1_3gpuE7ELNS1_3repE0EEENS1_30default_config_static_selectorELNS0_4arch9wavefront6targetE0EEEvT1_,@function
_ZN7rocprim17ROCPRIM_400000_NS6detail17trampoline_kernelINS0_14default_configENS1_27scan_by_key_config_selectorIiiEEZZNS1_16scan_by_key_implILNS1_25lookback_scan_determinismE0ELb1ES3_N6thrust23THRUST_200600_302600_NS6detail15normal_iteratorINS9_10device_ptrIiEEEENSB_INSC_IjEEEENSB_INSC_IfEEEEiNS9_4plusIvEENS9_8equal_toIvEEiEE10hipError_tPvRmT2_T3_T4_T5_mT6_T7_P12ihipStream_tbENKUlT_T0_E_clISt17integral_constantIbLb1EES13_EEDaSY_SZ_EUlSY_E_NS1_11comp_targetILNS1_3genE3ELNS1_11target_archE908ELNS1_3gpuE7ELNS1_3repE0EEENS1_30default_config_static_selectorELNS0_4arch9wavefront6targetE0EEEvT1_: ; @_ZN7rocprim17ROCPRIM_400000_NS6detail17trampoline_kernelINS0_14default_configENS1_27scan_by_key_config_selectorIiiEEZZNS1_16scan_by_key_implILNS1_25lookback_scan_determinismE0ELb1ES3_N6thrust23THRUST_200600_302600_NS6detail15normal_iteratorINS9_10device_ptrIiEEEENSB_INSC_IjEEEENSB_INSC_IfEEEEiNS9_4plusIvEENS9_8equal_toIvEEiEE10hipError_tPvRmT2_T3_T4_T5_mT6_T7_P12ihipStream_tbENKUlT_T0_E_clISt17integral_constantIbLb1EES13_EEDaSY_SZ_EUlSY_E_NS1_11comp_targetILNS1_3genE3ELNS1_11target_archE908ELNS1_3gpuE7ELNS1_3repE0EEENS1_30default_config_static_selectorELNS0_4arch9wavefront6targetE0EEEvT1_
; %bb.0:
	.section	.rodata,"a",@progbits
	.p2align	6, 0x0
	.amdhsa_kernel _ZN7rocprim17ROCPRIM_400000_NS6detail17trampoline_kernelINS0_14default_configENS1_27scan_by_key_config_selectorIiiEEZZNS1_16scan_by_key_implILNS1_25lookback_scan_determinismE0ELb1ES3_N6thrust23THRUST_200600_302600_NS6detail15normal_iteratorINS9_10device_ptrIiEEEENSB_INSC_IjEEEENSB_INSC_IfEEEEiNS9_4plusIvEENS9_8equal_toIvEEiEE10hipError_tPvRmT2_T3_T4_T5_mT6_T7_P12ihipStream_tbENKUlT_T0_E_clISt17integral_constantIbLb1EES13_EEDaSY_SZ_EUlSY_E_NS1_11comp_targetILNS1_3genE3ELNS1_11target_archE908ELNS1_3gpuE7ELNS1_3repE0EEENS1_30default_config_static_selectorELNS0_4arch9wavefront6targetE0EEEvT1_
		.amdhsa_group_segment_fixed_size 0
		.amdhsa_private_segment_fixed_size 0
		.amdhsa_kernarg_size 112
		.amdhsa_user_sgpr_count 2
		.amdhsa_user_sgpr_dispatch_ptr 0
		.amdhsa_user_sgpr_queue_ptr 0
		.amdhsa_user_sgpr_kernarg_segment_ptr 1
		.amdhsa_user_sgpr_dispatch_id 0
		.amdhsa_user_sgpr_kernarg_preload_length 0
		.amdhsa_user_sgpr_kernarg_preload_offset 0
		.amdhsa_user_sgpr_private_segment_size 0
		.amdhsa_wavefront_size32 1
		.amdhsa_uses_dynamic_stack 0
		.amdhsa_enable_private_segment 0
		.amdhsa_system_sgpr_workgroup_id_x 1
		.amdhsa_system_sgpr_workgroup_id_y 0
		.amdhsa_system_sgpr_workgroup_id_z 0
		.amdhsa_system_sgpr_workgroup_info 0
		.amdhsa_system_vgpr_workitem_id 0
		.amdhsa_next_free_vgpr 1
		.amdhsa_next_free_sgpr 1
		.amdhsa_named_barrier_count 0
		.amdhsa_reserve_vcc 0
		.amdhsa_float_round_mode_32 0
		.amdhsa_float_round_mode_16_64 0
		.amdhsa_float_denorm_mode_32 3
		.amdhsa_float_denorm_mode_16_64 3
		.amdhsa_fp16_overflow 0
		.amdhsa_memory_ordered 1
		.amdhsa_forward_progress 1
		.amdhsa_inst_pref_size 0
		.amdhsa_round_robin_scheduling 0
		.amdhsa_exception_fp_ieee_invalid_op 0
		.amdhsa_exception_fp_denorm_src 0
		.amdhsa_exception_fp_ieee_div_zero 0
		.amdhsa_exception_fp_ieee_overflow 0
		.amdhsa_exception_fp_ieee_underflow 0
		.amdhsa_exception_fp_ieee_inexact 0
		.amdhsa_exception_int_div_zero 0
	.end_amdhsa_kernel
	.section	.text._ZN7rocprim17ROCPRIM_400000_NS6detail17trampoline_kernelINS0_14default_configENS1_27scan_by_key_config_selectorIiiEEZZNS1_16scan_by_key_implILNS1_25lookback_scan_determinismE0ELb1ES3_N6thrust23THRUST_200600_302600_NS6detail15normal_iteratorINS9_10device_ptrIiEEEENSB_INSC_IjEEEENSB_INSC_IfEEEEiNS9_4plusIvEENS9_8equal_toIvEEiEE10hipError_tPvRmT2_T3_T4_T5_mT6_T7_P12ihipStream_tbENKUlT_T0_E_clISt17integral_constantIbLb1EES13_EEDaSY_SZ_EUlSY_E_NS1_11comp_targetILNS1_3genE3ELNS1_11target_archE908ELNS1_3gpuE7ELNS1_3repE0EEENS1_30default_config_static_selectorELNS0_4arch9wavefront6targetE0EEEvT1_,"axG",@progbits,_ZN7rocprim17ROCPRIM_400000_NS6detail17trampoline_kernelINS0_14default_configENS1_27scan_by_key_config_selectorIiiEEZZNS1_16scan_by_key_implILNS1_25lookback_scan_determinismE0ELb1ES3_N6thrust23THRUST_200600_302600_NS6detail15normal_iteratorINS9_10device_ptrIiEEEENSB_INSC_IjEEEENSB_INSC_IfEEEEiNS9_4plusIvEENS9_8equal_toIvEEiEE10hipError_tPvRmT2_T3_T4_T5_mT6_T7_P12ihipStream_tbENKUlT_T0_E_clISt17integral_constantIbLb1EES13_EEDaSY_SZ_EUlSY_E_NS1_11comp_targetILNS1_3genE3ELNS1_11target_archE908ELNS1_3gpuE7ELNS1_3repE0EEENS1_30default_config_static_selectorELNS0_4arch9wavefront6targetE0EEEvT1_,comdat
.Lfunc_end1729:
	.size	_ZN7rocprim17ROCPRIM_400000_NS6detail17trampoline_kernelINS0_14default_configENS1_27scan_by_key_config_selectorIiiEEZZNS1_16scan_by_key_implILNS1_25lookback_scan_determinismE0ELb1ES3_N6thrust23THRUST_200600_302600_NS6detail15normal_iteratorINS9_10device_ptrIiEEEENSB_INSC_IjEEEENSB_INSC_IfEEEEiNS9_4plusIvEENS9_8equal_toIvEEiEE10hipError_tPvRmT2_T3_T4_T5_mT6_T7_P12ihipStream_tbENKUlT_T0_E_clISt17integral_constantIbLb1EES13_EEDaSY_SZ_EUlSY_E_NS1_11comp_targetILNS1_3genE3ELNS1_11target_archE908ELNS1_3gpuE7ELNS1_3repE0EEENS1_30default_config_static_selectorELNS0_4arch9wavefront6targetE0EEEvT1_, .Lfunc_end1729-_ZN7rocprim17ROCPRIM_400000_NS6detail17trampoline_kernelINS0_14default_configENS1_27scan_by_key_config_selectorIiiEEZZNS1_16scan_by_key_implILNS1_25lookback_scan_determinismE0ELb1ES3_N6thrust23THRUST_200600_302600_NS6detail15normal_iteratorINS9_10device_ptrIiEEEENSB_INSC_IjEEEENSB_INSC_IfEEEEiNS9_4plusIvEENS9_8equal_toIvEEiEE10hipError_tPvRmT2_T3_T4_T5_mT6_T7_P12ihipStream_tbENKUlT_T0_E_clISt17integral_constantIbLb1EES13_EEDaSY_SZ_EUlSY_E_NS1_11comp_targetILNS1_3genE3ELNS1_11target_archE908ELNS1_3gpuE7ELNS1_3repE0EEENS1_30default_config_static_selectorELNS0_4arch9wavefront6targetE0EEEvT1_
                                        ; -- End function
	.set _ZN7rocprim17ROCPRIM_400000_NS6detail17trampoline_kernelINS0_14default_configENS1_27scan_by_key_config_selectorIiiEEZZNS1_16scan_by_key_implILNS1_25lookback_scan_determinismE0ELb1ES3_N6thrust23THRUST_200600_302600_NS6detail15normal_iteratorINS9_10device_ptrIiEEEENSB_INSC_IjEEEENSB_INSC_IfEEEEiNS9_4plusIvEENS9_8equal_toIvEEiEE10hipError_tPvRmT2_T3_T4_T5_mT6_T7_P12ihipStream_tbENKUlT_T0_E_clISt17integral_constantIbLb1EES13_EEDaSY_SZ_EUlSY_E_NS1_11comp_targetILNS1_3genE3ELNS1_11target_archE908ELNS1_3gpuE7ELNS1_3repE0EEENS1_30default_config_static_selectorELNS0_4arch9wavefront6targetE0EEEvT1_.num_vgpr, 0
	.set _ZN7rocprim17ROCPRIM_400000_NS6detail17trampoline_kernelINS0_14default_configENS1_27scan_by_key_config_selectorIiiEEZZNS1_16scan_by_key_implILNS1_25lookback_scan_determinismE0ELb1ES3_N6thrust23THRUST_200600_302600_NS6detail15normal_iteratorINS9_10device_ptrIiEEEENSB_INSC_IjEEEENSB_INSC_IfEEEEiNS9_4plusIvEENS9_8equal_toIvEEiEE10hipError_tPvRmT2_T3_T4_T5_mT6_T7_P12ihipStream_tbENKUlT_T0_E_clISt17integral_constantIbLb1EES13_EEDaSY_SZ_EUlSY_E_NS1_11comp_targetILNS1_3genE3ELNS1_11target_archE908ELNS1_3gpuE7ELNS1_3repE0EEENS1_30default_config_static_selectorELNS0_4arch9wavefront6targetE0EEEvT1_.num_agpr, 0
	.set _ZN7rocprim17ROCPRIM_400000_NS6detail17trampoline_kernelINS0_14default_configENS1_27scan_by_key_config_selectorIiiEEZZNS1_16scan_by_key_implILNS1_25lookback_scan_determinismE0ELb1ES3_N6thrust23THRUST_200600_302600_NS6detail15normal_iteratorINS9_10device_ptrIiEEEENSB_INSC_IjEEEENSB_INSC_IfEEEEiNS9_4plusIvEENS9_8equal_toIvEEiEE10hipError_tPvRmT2_T3_T4_T5_mT6_T7_P12ihipStream_tbENKUlT_T0_E_clISt17integral_constantIbLb1EES13_EEDaSY_SZ_EUlSY_E_NS1_11comp_targetILNS1_3genE3ELNS1_11target_archE908ELNS1_3gpuE7ELNS1_3repE0EEENS1_30default_config_static_selectorELNS0_4arch9wavefront6targetE0EEEvT1_.numbered_sgpr, 0
	.set _ZN7rocprim17ROCPRIM_400000_NS6detail17trampoline_kernelINS0_14default_configENS1_27scan_by_key_config_selectorIiiEEZZNS1_16scan_by_key_implILNS1_25lookback_scan_determinismE0ELb1ES3_N6thrust23THRUST_200600_302600_NS6detail15normal_iteratorINS9_10device_ptrIiEEEENSB_INSC_IjEEEENSB_INSC_IfEEEEiNS9_4plusIvEENS9_8equal_toIvEEiEE10hipError_tPvRmT2_T3_T4_T5_mT6_T7_P12ihipStream_tbENKUlT_T0_E_clISt17integral_constantIbLb1EES13_EEDaSY_SZ_EUlSY_E_NS1_11comp_targetILNS1_3genE3ELNS1_11target_archE908ELNS1_3gpuE7ELNS1_3repE0EEENS1_30default_config_static_selectorELNS0_4arch9wavefront6targetE0EEEvT1_.num_named_barrier, 0
	.set _ZN7rocprim17ROCPRIM_400000_NS6detail17trampoline_kernelINS0_14default_configENS1_27scan_by_key_config_selectorIiiEEZZNS1_16scan_by_key_implILNS1_25lookback_scan_determinismE0ELb1ES3_N6thrust23THRUST_200600_302600_NS6detail15normal_iteratorINS9_10device_ptrIiEEEENSB_INSC_IjEEEENSB_INSC_IfEEEEiNS9_4plusIvEENS9_8equal_toIvEEiEE10hipError_tPvRmT2_T3_T4_T5_mT6_T7_P12ihipStream_tbENKUlT_T0_E_clISt17integral_constantIbLb1EES13_EEDaSY_SZ_EUlSY_E_NS1_11comp_targetILNS1_3genE3ELNS1_11target_archE908ELNS1_3gpuE7ELNS1_3repE0EEENS1_30default_config_static_selectorELNS0_4arch9wavefront6targetE0EEEvT1_.private_seg_size, 0
	.set _ZN7rocprim17ROCPRIM_400000_NS6detail17trampoline_kernelINS0_14default_configENS1_27scan_by_key_config_selectorIiiEEZZNS1_16scan_by_key_implILNS1_25lookback_scan_determinismE0ELb1ES3_N6thrust23THRUST_200600_302600_NS6detail15normal_iteratorINS9_10device_ptrIiEEEENSB_INSC_IjEEEENSB_INSC_IfEEEEiNS9_4plusIvEENS9_8equal_toIvEEiEE10hipError_tPvRmT2_T3_T4_T5_mT6_T7_P12ihipStream_tbENKUlT_T0_E_clISt17integral_constantIbLb1EES13_EEDaSY_SZ_EUlSY_E_NS1_11comp_targetILNS1_3genE3ELNS1_11target_archE908ELNS1_3gpuE7ELNS1_3repE0EEENS1_30default_config_static_selectorELNS0_4arch9wavefront6targetE0EEEvT1_.uses_vcc, 0
	.set _ZN7rocprim17ROCPRIM_400000_NS6detail17trampoline_kernelINS0_14default_configENS1_27scan_by_key_config_selectorIiiEEZZNS1_16scan_by_key_implILNS1_25lookback_scan_determinismE0ELb1ES3_N6thrust23THRUST_200600_302600_NS6detail15normal_iteratorINS9_10device_ptrIiEEEENSB_INSC_IjEEEENSB_INSC_IfEEEEiNS9_4plusIvEENS9_8equal_toIvEEiEE10hipError_tPvRmT2_T3_T4_T5_mT6_T7_P12ihipStream_tbENKUlT_T0_E_clISt17integral_constantIbLb1EES13_EEDaSY_SZ_EUlSY_E_NS1_11comp_targetILNS1_3genE3ELNS1_11target_archE908ELNS1_3gpuE7ELNS1_3repE0EEENS1_30default_config_static_selectorELNS0_4arch9wavefront6targetE0EEEvT1_.uses_flat_scratch, 0
	.set _ZN7rocprim17ROCPRIM_400000_NS6detail17trampoline_kernelINS0_14default_configENS1_27scan_by_key_config_selectorIiiEEZZNS1_16scan_by_key_implILNS1_25lookback_scan_determinismE0ELb1ES3_N6thrust23THRUST_200600_302600_NS6detail15normal_iteratorINS9_10device_ptrIiEEEENSB_INSC_IjEEEENSB_INSC_IfEEEEiNS9_4plusIvEENS9_8equal_toIvEEiEE10hipError_tPvRmT2_T3_T4_T5_mT6_T7_P12ihipStream_tbENKUlT_T0_E_clISt17integral_constantIbLb1EES13_EEDaSY_SZ_EUlSY_E_NS1_11comp_targetILNS1_3genE3ELNS1_11target_archE908ELNS1_3gpuE7ELNS1_3repE0EEENS1_30default_config_static_selectorELNS0_4arch9wavefront6targetE0EEEvT1_.has_dyn_sized_stack, 0
	.set _ZN7rocprim17ROCPRIM_400000_NS6detail17trampoline_kernelINS0_14default_configENS1_27scan_by_key_config_selectorIiiEEZZNS1_16scan_by_key_implILNS1_25lookback_scan_determinismE0ELb1ES3_N6thrust23THRUST_200600_302600_NS6detail15normal_iteratorINS9_10device_ptrIiEEEENSB_INSC_IjEEEENSB_INSC_IfEEEEiNS9_4plusIvEENS9_8equal_toIvEEiEE10hipError_tPvRmT2_T3_T4_T5_mT6_T7_P12ihipStream_tbENKUlT_T0_E_clISt17integral_constantIbLb1EES13_EEDaSY_SZ_EUlSY_E_NS1_11comp_targetILNS1_3genE3ELNS1_11target_archE908ELNS1_3gpuE7ELNS1_3repE0EEENS1_30default_config_static_selectorELNS0_4arch9wavefront6targetE0EEEvT1_.has_recursion, 0
	.set _ZN7rocprim17ROCPRIM_400000_NS6detail17trampoline_kernelINS0_14default_configENS1_27scan_by_key_config_selectorIiiEEZZNS1_16scan_by_key_implILNS1_25lookback_scan_determinismE0ELb1ES3_N6thrust23THRUST_200600_302600_NS6detail15normal_iteratorINS9_10device_ptrIiEEEENSB_INSC_IjEEEENSB_INSC_IfEEEEiNS9_4plusIvEENS9_8equal_toIvEEiEE10hipError_tPvRmT2_T3_T4_T5_mT6_T7_P12ihipStream_tbENKUlT_T0_E_clISt17integral_constantIbLb1EES13_EEDaSY_SZ_EUlSY_E_NS1_11comp_targetILNS1_3genE3ELNS1_11target_archE908ELNS1_3gpuE7ELNS1_3repE0EEENS1_30default_config_static_selectorELNS0_4arch9wavefront6targetE0EEEvT1_.has_indirect_call, 0
	.section	.AMDGPU.csdata,"",@progbits
; Kernel info:
; codeLenInByte = 0
; TotalNumSgprs: 0
; NumVgprs: 0
; ScratchSize: 0
; MemoryBound: 0
; FloatMode: 240
; IeeeMode: 1
; LDSByteSize: 0 bytes/workgroup (compile time only)
; SGPRBlocks: 0
; VGPRBlocks: 0
; NumSGPRsForWavesPerEU: 1
; NumVGPRsForWavesPerEU: 1
; NamedBarCnt: 0
; Occupancy: 16
; WaveLimiterHint : 0
; COMPUTE_PGM_RSRC2:SCRATCH_EN: 0
; COMPUTE_PGM_RSRC2:USER_SGPR: 2
; COMPUTE_PGM_RSRC2:TRAP_HANDLER: 0
; COMPUTE_PGM_RSRC2:TGID_X_EN: 1
; COMPUTE_PGM_RSRC2:TGID_Y_EN: 0
; COMPUTE_PGM_RSRC2:TGID_Z_EN: 0
; COMPUTE_PGM_RSRC2:TIDIG_COMP_CNT: 0
	.section	.text._ZN7rocprim17ROCPRIM_400000_NS6detail17trampoline_kernelINS0_14default_configENS1_27scan_by_key_config_selectorIiiEEZZNS1_16scan_by_key_implILNS1_25lookback_scan_determinismE0ELb1ES3_N6thrust23THRUST_200600_302600_NS6detail15normal_iteratorINS9_10device_ptrIiEEEENSB_INSC_IjEEEENSB_INSC_IfEEEEiNS9_4plusIvEENS9_8equal_toIvEEiEE10hipError_tPvRmT2_T3_T4_T5_mT6_T7_P12ihipStream_tbENKUlT_T0_E_clISt17integral_constantIbLb1EES13_EEDaSY_SZ_EUlSY_E_NS1_11comp_targetILNS1_3genE2ELNS1_11target_archE906ELNS1_3gpuE6ELNS1_3repE0EEENS1_30default_config_static_selectorELNS0_4arch9wavefront6targetE0EEEvT1_,"axG",@progbits,_ZN7rocprim17ROCPRIM_400000_NS6detail17trampoline_kernelINS0_14default_configENS1_27scan_by_key_config_selectorIiiEEZZNS1_16scan_by_key_implILNS1_25lookback_scan_determinismE0ELb1ES3_N6thrust23THRUST_200600_302600_NS6detail15normal_iteratorINS9_10device_ptrIiEEEENSB_INSC_IjEEEENSB_INSC_IfEEEEiNS9_4plusIvEENS9_8equal_toIvEEiEE10hipError_tPvRmT2_T3_T4_T5_mT6_T7_P12ihipStream_tbENKUlT_T0_E_clISt17integral_constantIbLb1EES13_EEDaSY_SZ_EUlSY_E_NS1_11comp_targetILNS1_3genE2ELNS1_11target_archE906ELNS1_3gpuE6ELNS1_3repE0EEENS1_30default_config_static_selectorELNS0_4arch9wavefront6targetE0EEEvT1_,comdat
	.protected	_ZN7rocprim17ROCPRIM_400000_NS6detail17trampoline_kernelINS0_14default_configENS1_27scan_by_key_config_selectorIiiEEZZNS1_16scan_by_key_implILNS1_25lookback_scan_determinismE0ELb1ES3_N6thrust23THRUST_200600_302600_NS6detail15normal_iteratorINS9_10device_ptrIiEEEENSB_INSC_IjEEEENSB_INSC_IfEEEEiNS9_4plusIvEENS9_8equal_toIvEEiEE10hipError_tPvRmT2_T3_T4_T5_mT6_T7_P12ihipStream_tbENKUlT_T0_E_clISt17integral_constantIbLb1EES13_EEDaSY_SZ_EUlSY_E_NS1_11comp_targetILNS1_3genE2ELNS1_11target_archE906ELNS1_3gpuE6ELNS1_3repE0EEENS1_30default_config_static_selectorELNS0_4arch9wavefront6targetE0EEEvT1_ ; -- Begin function _ZN7rocprim17ROCPRIM_400000_NS6detail17trampoline_kernelINS0_14default_configENS1_27scan_by_key_config_selectorIiiEEZZNS1_16scan_by_key_implILNS1_25lookback_scan_determinismE0ELb1ES3_N6thrust23THRUST_200600_302600_NS6detail15normal_iteratorINS9_10device_ptrIiEEEENSB_INSC_IjEEEENSB_INSC_IfEEEEiNS9_4plusIvEENS9_8equal_toIvEEiEE10hipError_tPvRmT2_T3_T4_T5_mT6_T7_P12ihipStream_tbENKUlT_T0_E_clISt17integral_constantIbLb1EES13_EEDaSY_SZ_EUlSY_E_NS1_11comp_targetILNS1_3genE2ELNS1_11target_archE906ELNS1_3gpuE6ELNS1_3repE0EEENS1_30default_config_static_selectorELNS0_4arch9wavefront6targetE0EEEvT1_
	.globl	_ZN7rocprim17ROCPRIM_400000_NS6detail17trampoline_kernelINS0_14default_configENS1_27scan_by_key_config_selectorIiiEEZZNS1_16scan_by_key_implILNS1_25lookback_scan_determinismE0ELb1ES3_N6thrust23THRUST_200600_302600_NS6detail15normal_iteratorINS9_10device_ptrIiEEEENSB_INSC_IjEEEENSB_INSC_IfEEEEiNS9_4plusIvEENS9_8equal_toIvEEiEE10hipError_tPvRmT2_T3_T4_T5_mT6_T7_P12ihipStream_tbENKUlT_T0_E_clISt17integral_constantIbLb1EES13_EEDaSY_SZ_EUlSY_E_NS1_11comp_targetILNS1_3genE2ELNS1_11target_archE906ELNS1_3gpuE6ELNS1_3repE0EEENS1_30default_config_static_selectorELNS0_4arch9wavefront6targetE0EEEvT1_
	.p2align	8
	.type	_ZN7rocprim17ROCPRIM_400000_NS6detail17trampoline_kernelINS0_14default_configENS1_27scan_by_key_config_selectorIiiEEZZNS1_16scan_by_key_implILNS1_25lookback_scan_determinismE0ELb1ES3_N6thrust23THRUST_200600_302600_NS6detail15normal_iteratorINS9_10device_ptrIiEEEENSB_INSC_IjEEEENSB_INSC_IfEEEEiNS9_4plusIvEENS9_8equal_toIvEEiEE10hipError_tPvRmT2_T3_T4_T5_mT6_T7_P12ihipStream_tbENKUlT_T0_E_clISt17integral_constantIbLb1EES13_EEDaSY_SZ_EUlSY_E_NS1_11comp_targetILNS1_3genE2ELNS1_11target_archE906ELNS1_3gpuE6ELNS1_3repE0EEENS1_30default_config_static_selectorELNS0_4arch9wavefront6targetE0EEEvT1_,@function
_ZN7rocprim17ROCPRIM_400000_NS6detail17trampoline_kernelINS0_14default_configENS1_27scan_by_key_config_selectorIiiEEZZNS1_16scan_by_key_implILNS1_25lookback_scan_determinismE0ELb1ES3_N6thrust23THRUST_200600_302600_NS6detail15normal_iteratorINS9_10device_ptrIiEEEENSB_INSC_IjEEEENSB_INSC_IfEEEEiNS9_4plusIvEENS9_8equal_toIvEEiEE10hipError_tPvRmT2_T3_T4_T5_mT6_T7_P12ihipStream_tbENKUlT_T0_E_clISt17integral_constantIbLb1EES13_EEDaSY_SZ_EUlSY_E_NS1_11comp_targetILNS1_3genE2ELNS1_11target_archE906ELNS1_3gpuE6ELNS1_3repE0EEENS1_30default_config_static_selectorELNS0_4arch9wavefront6targetE0EEEvT1_: ; @_ZN7rocprim17ROCPRIM_400000_NS6detail17trampoline_kernelINS0_14default_configENS1_27scan_by_key_config_selectorIiiEEZZNS1_16scan_by_key_implILNS1_25lookback_scan_determinismE0ELb1ES3_N6thrust23THRUST_200600_302600_NS6detail15normal_iteratorINS9_10device_ptrIiEEEENSB_INSC_IjEEEENSB_INSC_IfEEEEiNS9_4plusIvEENS9_8equal_toIvEEiEE10hipError_tPvRmT2_T3_T4_T5_mT6_T7_P12ihipStream_tbENKUlT_T0_E_clISt17integral_constantIbLb1EES13_EEDaSY_SZ_EUlSY_E_NS1_11comp_targetILNS1_3genE2ELNS1_11target_archE906ELNS1_3gpuE6ELNS1_3repE0EEENS1_30default_config_static_selectorELNS0_4arch9wavefront6targetE0EEEvT1_
; %bb.0:
	.section	.rodata,"a",@progbits
	.p2align	6, 0x0
	.amdhsa_kernel _ZN7rocprim17ROCPRIM_400000_NS6detail17trampoline_kernelINS0_14default_configENS1_27scan_by_key_config_selectorIiiEEZZNS1_16scan_by_key_implILNS1_25lookback_scan_determinismE0ELb1ES3_N6thrust23THRUST_200600_302600_NS6detail15normal_iteratorINS9_10device_ptrIiEEEENSB_INSC_IjEEEENSB_INSC_IfEEEEiNS9_4plusIvEENS9_8equal_toIvEEiEE10hipError_tPvRmT2_T3_T4_T5_mT6_T7_P12ihipStream_tbENKUlT_T0_E_clISt17integral_constantIbLb1EES13_EEDaSY_SZ_EUlSY_E_NS1_11comp_targetILNS1_3genE2ELNS1_11target_archE906ELNS1_3gpuE6ELNS1_3repE0EEENS1_30default_config_static_selectorELNS0_4arch9wavefront6targetE0EEEvT1_
		.amdhsa_group_segment_fixed_size 0
		.amdhsa_private_segment_fixed_size 0
		.amdhsa_kernarg_size 112
		.amdhsa_user_sgpr_count 2
		.amdhsa_user_sgpr_dispatch_ptr 0
		.amdhsa_user_sgpr_queue_ptr 0
		.amdhsa_user_sgpr_kernarg_segment_ptr 1
		.amdhsa_user_sgpr_dispatch_id 0
		.amdhsa_user_sgpr_kernarg_preload_length 0
		.amdhsa_user_sgpr_kernarg_preload_offset 0
		.amdhsa_user_sgpr_private_segment_size 0
		.amdhsa_wavefront_size32 1
		.amdhsa_uses_dynamic_stack 0
		.amdhsa_enable_private_segment 0
		.amdhsa_system_sgpr_workgroup_id_x 1
		.amdhsa_system_sgpr_workgroup_id_y 0
		.amdhsa_system_sgpr_workgroup_id_z 0
		.amdhsa_system_sgpr_workgroup_info 0
		.amdhsa_system_vgpr_workitem_id 0
		.amdhsa_next_free_vgpr 1
		.amdhsa_next_free_sgpr 1
		.amdhsa_named_barrier_count 0
		.amdhsa_reserve_vcc 0
		.amdhsa_float_round_mode_32 0
		.amdhsa_float_round_mode_16_64 0
		.amdhsa_float_denorm_mode_32 3
		.amdhsa_float_denorm_mode_16_64 3
		.amdhsa_fp16_overflow 0
		.amdhsa_memory_ordered 1
		.amdhsa_forward_progress 1
		.amdhsa_inst_pref_size 0
		.amdhsa_round_robin_scheduling 0
		.amdhsa_exception_fp_ieee_invalid_op 0
		.amdhsa_exception_fp_denorm_src 0
		.amdhsa_exception_fp_ieee_div_zero 0
		.amdhsa_exception_fp_ieee_overflow 0
		.amdhsa_exception_fp_ieee_underflow 0
		.amdhsa_exception_fp_ieee_inexact 0
		.amdhsa_exception_int_div_zero 0
	.end_amdhsa_kernel
	.section	.text._ZN7rocprim17ROCPRIM_400000_NS6detail17trampoline_kernelINS0_14default_configENS1_27scan_by_key_config_selectorIiiEEZZNS1_16scan_by_key_implILNS1_25lookback_scan_determinismE0ELb1ES3_N6thrust23THRUST_200600_302600_NS6detail15normal_iteratorINS9_10device_ptrIiEEEENSB_INSC_IjEEEENSB_INSC_IfEEEEiNS9_4plusIvEENS9_8equal_toIvEEiEE10hipError_tPvRmT2_T3_T4_T5_mT6_T7_P12ihipStream_tbENKUlT_T0_E_clISt17integral_constantIbLb1EES13_EEDaSY_SZ_EUlSY_E_NS1_11comp_targetILNS1_3genE2ELNS1_11target_archE906ELNS1_3gpuE6ELNS1_3repE0EEENS1_30default_config_static_selectorELNS0_4arch9wavefront6targetE0EEEvT1_,"axG",@progbits,_ZN7rocprim17ROCPRIM_400000_NS6detail17trampoline_kernelINS0_14default_configENS1_27scan_by_key_config_selectorIiiEEZZNS1_16scan_by_key_implILNS1_25lookback_scan_determinismE0ELb1ES3_N6thrust23THRUST_200600_302600_NS6detail15normal_iteratorINS9_10device_ptrIiEEEENSB_INSC_IjEEEENSB_INSC_IfEEEEiNS9_4plusIvEENS9_8equal_toIvEEiEE10hipError_tPvRmT2_T3_T4_T5_mT6_T7_P12ihipStream_tbENKUlT_T0_E_clISt17integral_constantIbLb1EES13_EEDaSY_SZ_EUlSY_E_NS1_11comp_targetILNS1_3genE2ELNS1_11target_archE906ELNS1_3gpuE6ELNS1_3repE0EEENS1_30default_config_static_selectorELNS0_4arch9wavefront6targetE0EEEvT1_,comdat
.Lfunc_end1730:
	.size	_ZN7rocprim17ROCPRIM_400000_NS6detail17trampoline_kernelINS0_14default_configENS1_27scan_by_key_config_selectorIiiEEZZNS1_16scan_by_key_implILNS1_25lookback_scan_determinismE0ELb1ES3_N6thrust23THRUST_200600_302600_NS6detail15normal_iteratorINS9_10device_ptrIiEEEENSB_INSC_IjEEEENSB_INSC_IfEEEEiNS9_4plusIvEENS9_8equal_toIvEEiEE10hipError_tPvRmT2_T3_T4_T5_mT6_T7_P12ihipStream_tbENKUlT_T0_E_clISt17integral_constantIbLb1EES13_EEDaSY_SZ_EUlSY_E_NS1_11comp_targetILNS1_3genE2ELNS1_11target_archE906ELNS1_3gpuE6ELNS1_3repE0EEENS1_30default_config_static_selectorELNS0_4arch9wavefront6targetE0EEEvT1_, .Lfunc_end1730-_ZN7rocprim17ROCPRIM_400000_NS6detail17trampoline_kernelINS0_14default_configENS1_27scan_by_key_config_selectorIiiEEZZNS1_16scan_by_key_implILNS1_25lookback_scan_determinismE0ELb1ES3_N6thrust23THRUST_200600_302600_NS6detail15normal_iteratorINS9_10device_ptrIiEEEENSB_INSC_IjEEEENSB_INSC_IfEEEEiNS9_4plusIvEENS9_8equal_toIvEEiEE10hipError_tPvRmT2_T3_T4_T5_mT6_T7_P12ihipStream_tbENKUlT_T0_E_clISt17integral_constantIbLb1EES13_EEDaSY_SZ_EUlSY_E_NS1_11comp_targetILNS1_3genE2ELNS1_11target_archE906ELNS1_3gpuE6ELNS1_3repE0EEENS1_30default_config_static_selectorELNS0_4arch9wavefront6targetE0EEEvT1_
                                        ; -- End function
	.set _ZN7rocprim17ROCPRIM_400000_NS6detail17trampoline_kernelINS0_14default_configENS1_27scan_by_key_config_selectorIiiEEZZNS1_16scan_by_key_implILNS1_25lookback_scan_determinismE0ELb1ES3_N6thrust23THRUST_200600_302600_NS6detail15normal_iteratorINS9_10device_ptrIiEEEENSB_INSC_IjEEEENSB_INSC_IfEEEEiNS9_4plusIvEENS9_8equal_toIvEEiEE10hipError_tPvRmT2_T3_T4_T5_mT6_T7_P12ihipStream_tbENKUlT_T0_E_clISt17integral_constantIbLb1EES13_EEDaSY_SZ_EUlSY_E_NS1_11comp_targetILNS1_3genE2ELNS1_11target_archE906ELNS1_3gpuE6ELNS1_3repE0EEENS1_30default_config_static_selectorELNS0_4arch9wavefront6targetE0EEEvT1_.num_vgpr, 0
	.set _ZN7rocprim17ROCPRIM_400000_NS6detail17trampoline_kernelINS0_14default_configENS1_27scan_by_key_config_selectorIiiEEZZNS1_16scan_by_key_implILNS1_25lookback_scan_determinismE0ELb1ES3_N6thrust23THRUST_200600_302600_NS6detail15normal_iteratorINS9_10device_ptrIiEEEENSB_INSC_IjEEEENSB_INSC_IfEEEEiNS9_4plusIvEENS9_8equal_toIvEEiEE10hipError_tPvRmT2_T3_T4_T5_mT6_T7_P12ihipStream_tbENKUlT_T0_E_clISt17integral_constantIbLb1EES13_EEDaSY_SZ_EUlSY_E_NS1_11comp_targetILNS1_3genE2ELNS1_11target_archE906ELNS1_3gpuE6ELNS1_3repE0EEENS1_30default_config_static_selectorELNS0_4arch9wavefront6targetE0EEEvT1_.num_agpr, 0
	.set _ZN7rocprim17ROCPRIM_400000_NS6detail17trampoline_kernelINS0_14default_configENS1_27scan_by_key_config_selectorIiiEEZZNS1_16scan_by_key_implILNS1_25lookback_scan_determinismE0ELb1ES3_N6thrust23THRUST_200600_302600_NS6detail15normal_iteratorINS9_10device_ptrIiEEEENSB_INSC_IjEEEENSB_INSC_IfEEEEiNS9_4plusIvEENS9_8equal_toIvEEiEE10hipError_tPvRmT2_T3_T4_T5_mT6_T7_P12ihipStream_tbENKUlT_T0_E_clISt17integral_constantIbLb1EES13_EEDaSY_SZ_EUlSY_E_NS1_11comp_targetILNS1_3genE2ELNS1_11target_archE906ELNS1_3gpuE6ELNS1_3repE0EEENS1_30default_config_static_selectorELNS0_4arch9wavefront6targetE0EEEvT1_.numbered_sgpr, 0
	.set _ZN7rocprim17ROCPRIM_400000_NS6detail17trampoline_kernelINS0_14default_configENS1_27scan_by_key_config_selectorIiiEEZZNS1_16scan_by_key_implILNS1_25lookback_scan_determinismE0ELb1ES3_N6thrust23THRUST_200600_302600_NS6detail15normal_iteratorINS9_10device_ptrIiEEEENSB_INSC_IjEEEENSB_INSC_IfEEEEiNS9_4plusIvEENS9_8equal_toIvEEiEE10hipError_tPvRmT2_T3_T4_T5_mT6_T7_P12ihipStream_tbENKUlT_T0_E_clISt17integral_constantIbLb1EES13_EEDaSY_SZ_EUlSY_E_NS1_11comp_targetILNS1_3genE2ELNS1_11target_archE906ELNS1_3gpuE6ELNS1_3repE0EEENS1_30default_config_static_selectorELNS0_4arch9wavefront6targetE0EEEvT1_.num_named_barrier, 0
	.set _ZN7rocprim17ROCPRIM_400000_NS6detail17trampoline_kernelINS0_14default_configENS1_27scan_by_key_config_selectorIiiEEZZNS1_16scan_by_key_implILNS1_25lookback_scan_determinismE0ELb1ES3_N6thrust23THRUST_200600_302600_NS6detail15normal_iteratorINS9_10device_ptrIiEEEENSB_INSC_IjEEEENSB_INSC_IfEEEEiNS9_4plusIvEENS9_8equal_toIvEEiEE10hipError_tPvRmT2_T3_T4_T5_mT6_T7_P12ihipStream_tbENKUlT_T0_E_clISt17integral_constantIbLb1EES13_EEDaSY_SZ_EUlSY_E_NS1_11comp_targetILNS1_3genE2ELNS1_11target_archE906ELNS1_3gpuE6ELNS1_3repE0EEENS1_30default_config_static_selectorELNS0_4arch9wavefront6targetE0EEEvT1_.private_seg_size, 0
	.set _ZN7rocprim17ROCPRIM_400000_NS6detail17trampoline_kernelINS0_14default_configENS1_27scan_by_key_config_selectorIiiEEZZNS1_16scan_by_key_implILNS1_25lookback_scan_determinismE0ELb1ES3_N6thrust23THRUST_200600_302600_NS6detail15normal_iteratorINS9_10device_ptrIiEEEENSB_INSC_IjEEEENSB_INSC_IfEEEEiNS9_4plusIvEENS9_8equal_toIvEEiEE10hipError_tPvRmT2_T3_T4_T5_mT6_T7_P12ihipStream_tbENKUlT_T0_E_clISt17integral_constantIbLb1EES13_EEDaSY_SZ_EUlSY_E_NS1_11comp_targetILNS1_3genE2ELNS1_11target_archE906ELNS1_3gpuE6ELNS1_3repE0EEENS1_30default_config_static_selectorELNS0_4arch9wavefront6targetE0EEEvT1_.uses_vcc, 0
	.set _ZN7rocprim17ROCPRIM_400000_NS6detail17trampoline_kernelINS0_14default_configENS1_27scan_by_key_config_selectorIiiEEZZNS1_16scan_by_key_implILNS1_25lookback_scan_determinismE0ELb1ES3_N6thrust23THRUST_200600_302600_NS6detail15normal_iteratorINS9_10device_ptrIiEEEENSB_INSC_IjEEEENSB_INSC_IfEEEEiNS9_4plusIvEENS9_8equal_toIvEEiEE10hipError_tPvRmT2_T3_T4_T5_mT6_T7_P12ihipStream_tbENKUlT_T0_E_clISt17integral_constantIbLb1EES13_EEDaSY_SZ_EUlSY_E_NS1_11comp_targetILNS1_3genE2ELNS1_11target_archE906ELNS1_3gpuE6ELNS1_3repE0EEENS1_30default_config_static_selectorELNS0_4arch9wavefront6targetE0EEEvT1_.uses_flat_scratch, 0
	.set _ZN7rocprim17ROCPRIM_400000_NS6detail17trampoline_kernelINS0_14default_configENS1_27scan_by_key_config_selectorIiiEEZZNS1_16scan_by_key_implILNS1_25lookback_scan_determinismE0ELb1ES3_N6thrust23THRUST_200600_302600_NS6detail15normal_iteratorINS9_10device_ptrIiEEEENSB_INSC_IjEEEENSB_INSC_IfEEEEiNS9_4plusIvEENS9_8equal_toIvEEiEE10hipError_tPvRmT2_T3_T4_T5_mT6_T7_P12ihipStream_tbENKUlT_T0_E_clISt17integral_constantIbLb1EES13_EEDaSY_SZ_EUlSY_E_NS1_11comp_targetILNS1_3genE2ELNS1_11target_archE906ELNS1_3gpuE6ELNS1_3repE0EEENS1_30default_config_static_selectorELNS0_4arch9wavefront6targetE0EEEvT1_.has_dyn_sized_stack, 0
	.set _ZN7rocprim17ROCPRIM_400000_NS6detail17trampoline_kernelINS0_14default_configENS1_27scan_by_key_config_selectorIiiEEZZNS1_16scan_by_key_implILNS1_25lookback_scan_determinismE0ELb1ES3_N6thrust23THRUST_200600_302600_NS6detail15normal_iteratorINS9_10device_ptrIiEEEENSB_INSC_IjEEEENSB_INSC_IfEEEEiNS9_4plusIvEENS9_8equal_toIvEEiEE10hipError_tPvRmT2_T3_T4_T5_mT6_T7_P12ihipStream_tbENKUlT_T0_E_clISt17integral_constantIbLb1EES13_EEDaSY_SZ_EUlSY_E_NS1_11comp_targetILNS1_3genE2ELNS1_11target_archE906ELNS1_3gpuE6ELNS1_3repE0EEENS1_30default_config_static_selectorELNS0_4arch9wavefront6targetE0EEEvT1_.has_recursion, 0
	.set _ZN7rocprim17ROCPRIM_400000_NS6detail17trampoline_kernelINS0_14default_configENS1_27scan_by_key_config_selectorIiiEEZZNS1_16scan_by_key_implILNS1_25lookback_scan_determinismE0ELb1ES3_N6thrust23THRUST_200600_302600_NS6detail15normal_iteratorINS9_10device_ptrIiEEEENSB_INSC_IjEEEENSB_INSC_IfEEEEiNS9_4plusIvEENS9_8equal_toIvEEiEE10hipError_tPvRmT2_T3_T4_T5_mT6_T7_P12ihipStream_tbENKUlT_T0_E_clISt17integral_constantIbLb1EES13_EEDaSY_SZ_EUlSY_E_NS1_11comp_targetILNS1_3genE2ELNS1_11target_archE906ELNS1_3gpuE6ELNS1_3repE0EEENS1_30default_config_static_selectorELNS0_4arch9wavefront6targetE0EEEvT1_.has_indirect_call, 0
	.section	.AMDGPU.csdata,"",@progbits
; Kernel info:
; codeLenInByte = 0
; TotalNumSgprs: 0
; NumVgprs: 0
; ScratchSize: 0
; MemoryBound: 0
; FloatMode: 240
; IeeeMode: 1
; LDSByteSize: 0 bytes/workgroup (compile time only)
; SGPRBlocks: 0
; VGPRBlocks: 0
; NumSGPRsForWavesPerEU: 1
; NumVGPRsForWavesPerEU: 1
; NamedBarCnt: 0
; Occupancy: 16
; WaveLimiterHint : 0
; COMPUTE_PGM_RSRC2:SCRATCH_EN: 0
; COMPUTE_PGM_RSRC2:USER_SGPR: 2
; COMPUTE_PGM_RSRC2:TRAP_HANDLER: 0
; COMPUTE_PGM_RSRC2:TGID_X_EN: 1
; COMPUTE_PGM_RSRC2:TGID_Y_EN: 0
; COMPUTE_PGM_RSRC2:TGID_Z_EN: 0
; COMPUTE_PGM_RSRC2:TIDIG_COMP_CNT: 0
	.section	.text._ZN7rocprim17ROCPRIM_400000_NS6detail17trampoline_kernelINS0_14default_configENS1_27scan_by_key_config_selectorIiiEEZZNS1_16scan_by_key_implILNS1_25lookback_scan_determinismE0ELb1ES3_N6thrust23THRUST_200600_302600_NS6detail15normal_iteratorINS9_10device_ptrIiEEEENSB_INSC_IjEEEENSB_INSC_IfEEEEiNS9_4plusIvEENS9_8equal_toIvEEiEE10hipError_tPvRmT2_T3_T4_T5_mT6_T7_P12ihipStream_tbENKUlT_T0_E_clISt17integral_constantIbLb1EES13_EEDaSY_SZ_EUlSY_E_NS1_11comp_targetILNS1_3genE10ELNS1_11target_archE1200ELNS1_3gpuE4ELNS1_3repE0EEENS1_30default_config_static_selectorELNS0_4arch9wavefront6targetE0EEEvT1_,"axG",@progbits,_ZN7rocprim17ROCPRIM_400000_NS6detail17trampoline_kernelINS0_14default_configENS1_27scan_by_key_config_selectorIiiEEZZNS1_16scan_by_key_implILNS1_25lookback_scan_determinismE0ELb1ES3_N6thrust23THRUST_200600_302600_NS6detail15normal_iteratorINS9_10device_ptrIiEEEENSB_INSC_IjEEEENSB_INSC_IfEEEEiNS9_4plusIvEENS9_8equal_toIvEEiEE10hipError_tPvRmT2_T3_T4_T5_mT6_T7_P12ihipStream_tbENKUlT_T0_E_clISt17integral_constantIbLb1EES13_EEDaSY_SZ_EUlSY_E_NS1_11comp_targetILNS1_3genE10ELNS1_11target_archE1200ELNS1_3gpuE4ELNS1_3repE0EEENS1_30default_config_static_selectorELNS0_4arch9wavefront6targetE0EEEvT1_,comdat
	.protected	_ZN7rocprim17ROCPRIM_400000_NS6detail17trampoline_kernelINS0_14default_configENS1_27scan_by_key_config_selectorIiiEEZZNS1_16scan_by_key_implILNS1_25lookback_scan_determinismE0ELb1ES3_N6thrust23THRUST_200600_302600_NS6detail15normal_iteratorINS9_10device_ptrIiEEEENSB_INSC_IjEEEENSB_INSC_IfEEEEiNS9_4plusIvEENS9_8equal_toIvEEiEE10hipError_tPvRmT2_T3_T4_T5_mT6_T7_P12ihipStream_tbENKUlT_T0_E_clISt17integral_constantIbLb1EES13_EEDaSY_SZ_EUlSY_E_NS1_11comp_targetILNS1_3genE10ELNS1_11target_archE1200ELNS1_3gpuE4ELNS1_3repE0EEENS1_30default_config_static_selectorELNS0_4arch9wavefront6targetE0EEEvT1_ ; -- Begin function _ZN7rocprim17ROCPRIM_400000_NS6detail17trampoline_kernelINS0_14default_configENS1_27scan_by_key_config_selectorIiiEEZZNS1_16scan_by_key_implILNS1_25lookback_scan_determinismE0ELb1ES3_N6thrust23THRUST_200600_302600_NS6detail15normal_iteratorINS9_10device_ptrIiEEEENSB_INSC_IjEEEENSB_INSC_IfEEEEiNS9_4plusIvEENS9_8equal_toIvEEiEE10hipError_tPvRmT2_T3_T4_T5_mT6_T7_P12ihipStream_tbENKUlT_T0_E_clISt17integral_constantIbLb1EES13_EEDaSY_SZ_EUlSY_E_NS1_11comp_targetILNS1_3genE10ELNS1_11target_archE1200ELNS1_3gpuE4ELNS1_3repE0EEENS1_30default_config_static_selectorELNS0_4arch9wavefront6targetE0EEEvT1_
	.globl	_ZN7rocprim17ROCPRIM_400000_NS6detail17trampoline_kernelINS0_14default_configENS1_27scan_by_key_config_selectorIiiEEZZNS1_16scan_by_key_implILNS1_25lookback_scan_determinismE0ELb1ES3_N6thrust23THRUST_200600_302600_NS6detail15normal_iteratorINS9_10device_ptrIiEEEENSB_INSC_IjEEEENSB_INSC_IfEEEEiNS9_4plusIvEENS9_8equal_toIvEEiEE10hipError_tPvRmT2_T3_T4_T5_mT6_T7_P12ihipStream_tbENKUlT_T0_E_clISt17integral_constantIbLb1EES13_EEDaSY_SZ_EUlSY_E_NS1_11comp_targetILNS1_3genE10ELNS1_11target_archE1200ELNS1_3gpuE4ELNS1_3repE0EEENS1_30default_config_static_selectorELNS0_4arch9wavefront6targetE0EEEvT1_
	.p2align	8
	.type	_ZN7rocprim17ROCPRIM_400000_NS6detail17trampoline_kernelINS0_14default_configENS1_27scan_by_key_config_selectorIiiEEZZNS1_16scan_by_key_implILNS1_25lookback_scan_determinismE0ELb1ES3_N6thrust23THRUST_200600_302600_NS6detail15normal_iteratorINS9_10device_ptrIiEEEENSB_INSC_IjEEEENSB_INSC_IfEEEEiNS9_4plusIvEENS9_8equal_toIvEEiEE10hipError_tPvRmT2_T3_T4_T5_mT6_T7_P12ihipStream_tbENKUlT_T0_E_clISt17integral_constantIbLb1EES13_EEDaSY_SZ_EUlSY_E_NS1_11comp_targetILNS1_3genE10ELNS1_11target_archE1200ELNS1_3gpuE4ELNS1_3repE0EEENS1_30default_config_static_selectorELNS0_4arch9wavefront6targetE0EEEvT1_,@function
_ZN7rocprim17ROCPRIM_400000_NS6detail17trampoline_kernelINS0_14default_configENS1_27scan_by_key_config_selectorIiiEEZZNS1_16scan_by_key_implILNS1_25lookback_scan_determinismE0ELb1ES3_N6thrust23THRUST_200600_302600_NS6detail15normal_iteratorINS9_10device_ptrIiEEEENSB_INSC_IjEEEENSB_INSC_IfEEEEiNS9_4plusIvEENS9_8equal_toIvEEiEE10hipError_tPvRmT2_T3_T4_T5_mT6_T7_P12ihipStream_tbENKUlT_T0_E_clISt17integral_constantIbLb1EES13_EEDaSY_SZ_EUlSY_E_NS1_11comp_targetILNS1_3genE10ELNS1_11target_archE1200ELNS1_3gpuE4ELNS1_3repE0EEENS1_30default_config_static_selectorELNS0_4arch9wavefront6targetE0EEEvT1_: ; @_ZN7rocprim17ROCPRIM_400000_NS6detail17trampoline_kernelINS0_14default_configENS1_27scan_by_key_config_selectorIiiEEZZNS1_16scan_by_key_implILNS1_25lookback_scan_determinismE0ELb1ES3_N6thrust23THRUST_200600_302600_NS6detail15normal_iteratorINS9_10device_ptrIiEEEENSB_INSC_IjEEEENSB_INSC_IfEEEEiNS9_4plusIvEENS9_8equal_toIvEEiEE10hipError_tPvRmT2_T3_T4_T5_mT6_T7_P12ihipStream_tbENKUlT_T0_E_clISt17integral_constantIbLb1EES13_EEDaSY_SZ_EUlSY_E_NS1_11comp_targetILNS1_3genE10ELNS1_11target_archE1200ELNS1_3gpuE4ELNS1_3repE0EEENS1_30default_config_static_selectorELNS0_4arch9wavefront6targetE0EEEvT1_
; %bb.0:
	.section	.rodata,"a",@progbits
	.p2align	6, 0x0
	.amdhsa_kernel _ZN7rocprim17ROCPRIM_400000_NS6detail17trampoline_kernelINS0_14default_configENS1_27scan_by_key_config_selectorIiiEEZZNS1_16scan_by_key_implILNS1_25lookback_scan_determinismE0ELb1ES3_N6thrust23THRUST_200600_302600_NS6detail15normal_iteratorINS9_10device_ptrIiEEEENSB_INSC_IjEEEENSB_INSC_IfEEEEiNS9_4plusIvEENS9_8equal_toIvEEiEE10hipError_tPvRmT2_T3_T4_T5_mT6_T7_P12ihipStream_tbENKUlT_T0_E_clISt17integral_constantIbLb1EES13_EEDaSY_SZ_EUlSY_E_NS1_11comp_targetILNS1_3genE10ELNS1_11target_archE1200ELNS1_3gpuE4ELNS1_3repE0EEENS1_30default_config_static_selectorELNS0_4arch9wavefront6targetE0EEEvT1_
		.amdhsa_group_segment_fixed_size 0
		.amdhsa_private_segment_fixed_size 0
		.amdhsa_kernarg_size 112
		.amdhsa_user_sgpr_count 2
		.amdhsa_user_sgpr_dispatch_ptr 0
		.amdhsa_user_sgpr_queue_ptr 0
		.amdhsa_user_sgpr_kernarg_segment_ptr 1
		.amdhsa_user_sgpr_dispatch_id 0
		.amdhsa_user_sgpr_kernarg_preload_length 0
		.amdhsa_user_sgpr_kernarg_preload_offset 0
		.amdhsa_user_sgpr_private_segment_size 0
		.amdhsa_wavefront_size32 1
		.amdhsa_uses_dynamic_stack 0
		.amdhsa_enable_private_segment 0
		.amdhsa_system_sgpr_workgroup_id_x 1
		.amdhsa_system_sgpr_workgroup_id_y 0
		.amdhsa_system_sgpr_workgroup_id_z 0
		.amdhsa_system_sgpr_workgroup_info 0
		.amdhsa_system_vgpr_workitem_id 0
		.amdhsa_next_free_vgpr 1
		.amdhsa_next_free_sgpr 1
		.amdhsa_named_barrier_count 0
		.amdhsa_reserve_vcc 0
		.amdhsa_float_round_mode_32 0
		.amdhsa_float_round_mode_16_64 0
		.amdhsa_float_denorm_mode_32 3
		.amdhsa_float_denorm_mode_16_64 3
		.amdhsa_fp16_overflow 0
		.amdhsa_memory_ordered 1
		.amdhsa_forward_progress 1
		.amdhsa_inst_pref_size 0
		.amdhsa_round_robin_scheduling 0
		.amdhsa_exception_fp_ieee_invalid_op 0
		.amdhsa_exception_fp_denorm_src 0
		.amdhsa_exception_fp_ieee_div_zero 0
		.amdhsa_exception_fp_ieee_overflow 0
		.amdhsa_exception_fp_ieee_underflow 0
		.amdhsa_exception_fp_ieee_inexact 0
		.amdhsa_exception_int_div_zero 0
	.end_amdhsa_kernel
	.section	.text._ZN7rocprim17ROCPRIM_400000_NS6detail17trampoline_kernelINS0_14default_configENS1_27scan_by_key_config_selectorIiiEEZZNS1_16scan_by_key_implILNS1_25lookback_scan_determinismE0ELb1ES3_N6thrust23THRUST_200600_302600_NS6detail15normal_iteratorINS9_10device_ptrIiEEEENSB_INSC_IjEEEENSB_INSC_IfEEEEiNS9_4plusIvEENS9_8equal_toIvEEiEE10hipError_tPvRmT2_T3_T4_T5_mT6_T7_P12ihipStream_tbENKUlT_T0_E_clISt17integral_constantIbLb1EES13_EEDaSY_SZ_EUlSY_E_NS1_11comp_targetILNS1_3genE10ELNS1_11target_archE1200ELNS1_3gpuE4ELNS1_3repE0EEENS1_30default_config_static_selectorELNS0_4arch9wavefront6targetE0EEEvT1_,"axG",@progbits,_ZN7rocprim17ROCPRIM_400000_NS6detail17trampoline_kernelINS0_14default_configENS1_27scan_by_key_config_selectorIiiEEZZNS1_16scan_by_key_implILNS1_25lookback_scan_determinismE0ELb1ES3_N6thrust23THRUST_200600_302600_NS6detail15normal_iteratorINS9_10device_ptrIiEEEENSB_INSC_IjEEEENSB_INSC_IfEEEEiNS9_4plusIvEENS9_8equal_toIvEEiEE10hipError_tPvRmT2_T3_T4_T5_mT6_T7_P12ihipStream_tbENKUlT_T0_E_clISt17integral_constantIbLb1EES13_EEDaSY_SZ_EUlSY_E_NS1_11comp_targetILNS1_3genE10ELNS1_11target_archE1200ELNS1_3gpuE4ELNS1_3repE0EEENS1_30default_config_static_selectorELNS0_4arch9wavefront6targetE0EEEvT1_,comdat
.Lfunc_end1731:
	.size	_ZN7rocprim17ROCPRIM_400000_NS6detail17trampoline_kernelINS0_14default_configENS1_27scan_by_key_config_selectorIiiEEZZNS1_16scan_by_key_implILNS1_25lookback_scan_determinismE0ELb1ES3_N6thrust23THRUST_200600_302600_NS6detail15normal_iteratorINS9_10device_ptrIiEEEENSB_INSC_IjEEEENSB_INSC_IfEEEEiNS9_4plusIvEENS9_8equal_toIvEEiEE10hipError_tPvRmT2_T3_T4_T5_mT6_T7_P12ihipStream_tbENKUlT_T0_E_clISt17integral_constantIbLb1EES13_EEDaSY_SZ_EUlSY_E_NS1_11comp_targetILNS1_3genE10ELNS1_11target_archE1200ELNS1_3gpuE4ELNS1_3repE0EEENS1_30default_config_static_selectorELNS0_4arch9wavefront6targetE0EEEvT1_, .Lfunc_end1731-_ZN7rocprim17ROCPRIM_400000_NS6detail17trampoline_kernelINS0_14default_configENS1_27scan_by_key_config_selectorIiiEEZZNS1_16scan_by_key_implILNS1_25lookback_scan_determinismE0ELb1ES3_N6thrust23THRUST_200600_302600_NS6detail15normal_iteratorINS9_10device_ptrIiEEEENSB_INSC_IjEEEENSB_INSC_IfEEEEiNS9_4plusIvEENS9_8equal_toIvEEiEE10hipError_tPvRmT2_T3_T4_T5_mT6_T7_P12ihipStream_tbENKUlT_T0_E_clISt17integral_constantIbLb1EES13_EEDaSY_SZ_EUlSY_E_NS1_11comp_targetILNS1_3genE10ELNS1_11target_archE1200ELNS1_3gpuE4ELNS1_3repE0EEENS1_30default_config_static_selectorELNS0_4arch9wavefront6targetE0EEEvT1_
                                        ; -- End function
	.set _ZN7rocprim17ROCPRIM_400000_NS6detail17trampoline_kernelINS0_14default_configENS1_27scan_by_key_config_selectorIiiEEZZNS1_16scan_by_key_implILNS1_25lookback_scan_determinismE0ELb1ES3_N6thrust23THRUST_200600_302600_NS6detail15normal_iteratorINS9_10device_ptrIiEEEENSB_INSC_IjEEEENSB_INSC_IfEEEEiNS9_4plusIvEENS9_8equal_toIvEEiEE10hipError_tPvRmT2_T3_T4_T5_mT6_T7_P12ihipStream_tbENKUlT_T0_E_clISt17integral_constantIbLb1EES13_EEDaSY_SZ_EUlSY_E_NS1_11comp_targetILNS1_3genE10ELNS1_11target_archE1200ELNS1_3gpuE4ELNS1_3repE0EEENS1_30default_config_static_selectorELNS0_4arch9wavefront6targetE0EEEvT1_.num_vgpr, 0
	.set _ZN7rocprim17ROCPRIM_400000_NS6detail17trampoline_kernelINS0_14default_configENS1_27scan_by_key_config_selectorIiiEEZZNS1_16scan_by_key_implILNS1_25lookback_scan_determinismE0ELb1ES3_N6thrust23THRUST_200600_302600_NS6detail15normal_iteratorINS9_10device_ptrIiEEEENSB_INSC_IjEEEENSB_INSC_IfEEEEiNS9_4plusIvEENS9_8equal_toIvEEiEE10hipError_tPvRmT2_T3_T4_T5_mT6_T7_P12ihipStream_tbENKUlT_T0_E_clISt17integral_constantIbLb1EES13_EEDaSY_SZ_EUlSY_E_NS1_11comp_targetILNS1_3genE10ELNS1_11target_archE1200ELNS1_3gpuE4ELNS1_3repE0EEENS1_30default_config_static_selectorELNS0_4arch9wavefront6targetE0EEEvT1_.num_agpr, 0
	.set _ZN7rocprim17ROCPRIM_400000_NS6detail17trampoline_kernelINS0_14default_configENS1_27scan_by_key_config_selectorIiiEEZZNS1_16scan_by_key_implILNS1_25lookback_scan_determinismE0ELb1ES3_N6thrust23THRUST_200600_302600_NS6detail15normal_iteratorINS9_10device_ptrIiEEEENSB_INSC_IjEEEENSB_INSC_IfEEEEiNS9_4plusIvEENS9_8equal_toIvEEiEE10hipError_tPvRmT2_T3_T4_T5_mT6_T7_P12ihipStream_tbENKUlT_T0_E_clISt17integral_constantIbLb1EES13_EEDaSY_SZ_EUlSY_E_NS1_11comp_targetILNS1_3genE10ELNS1_11target_archE1200ELNS1_3gpuE4ELNS1_3repE0EEENS1_30default_config_static_selectorELNS0_4arch9wavefront6targetE0EEEvT1_.numbered_sgpr, 0
	.set _ZN7rocprim17ROCPRIM_400000_NS6detail17trampoline_kernelINS0_14default_configENS1_27scan_by_key_config_selectorIiiEEZZNS1_16scan_by_key_implILNS1_25lookback_scan_determinismE0ELb1ES3_N6thrust23THRUST_200600_302600_NS6detail15normal_iteratorINS9_10device_ptrIiEEEENSB_INSC_IjEEEENSB_INSC_IfEEEEiNS9_4plusIvEENS9_8equal_toIvEEiEE10hipError_tPvRmT2_T3_T4_T5_mT6_T7_P12ihipStream_tbENKUlT_T0_E_clISt17integral_constantIbLb1EES13_EEDaSY_SZ_EUlSY_E_NS1_11comp_targetILNS1_3genE10ELNS1_11target_archE1200ELNS1_3gpuE4ELNS1_3repE0EEENS1_30default_config_static_selectorELNS0_4arch9wavefront6targetE0EEEvT1_.num_named_barrier, 0
	.set _ZN7rocprim17ROCPRIM_400000_NS6detail17trampoline_kernelINS0_14default_configENS1_27scan_by_key_config_selectorIiiEEZZNS1_16scan_by_key_implILNS1_25lookback_scan_determinismE0ELb1ES3_N6thrust23THRUST_200600_302600_NS6detail15normal_iteratorINS9_10device_ptrIiEEEENSB_INSC_IjEEEENSB_INSC_IfEEEEiNS9_4plusIvEENS9_8equal_toIvEEiEE10hipError_tPvRmT2_T3_T4_T5_mT6_T7_P12ihipStream_tbENKUlT_T0_E_clISt17integral_constantIbLb1EES13_EEDaSY_SZ_EUlSY_E_NS1_11comp_targetILNS1_3genE10ELNS1_11target_archE1200ELNS1_3gpuE4ELNS1_3repE0EEENS1_30default_config_static_selectorELNS0_4arch9wavefront6targetE0EEEvT1_.private_seg_size, 0
	.set _ZN7rocprim17ROCPRIM_400000_NS6detail17trampoline_kernelINS0_14default_configENS1_27scan_by_key_config_selectorIiiEEZZNS1_16scan_by_key_implILNS1_25lookback_scan_determinismE0ELb1ES3_N6thrust23THRUST_200600_302600_NS6detail15normal_iteratorINS9_10device_ptrIiEEEENSB_INSC_IjEEEENSB_INSC_IfEEEEiNS9_4plusIvEENS9_8equal_toIvEEiEE10hipError_tPvRmT2_T3_T4_T5_mT6_T7_P12ihipStream_tbENKUlT_T0_E_clISt17integral_constantIbLb1EES13_EEDaSY_SZ_EUlSY_E_NS1_11comp_targetILNS1_3genE10ELNS1_11target_archE1200ELNS1_3gpuE4ELNS1_3repE0EEENS1_30default_config_static_selectorELNS0_4arch9wavefront6targetE0EEEvT1_.uses_vcc, 0
	.set _ZN7rocprim17ROCPRIM_400000_NS6detail17trampoline_kernelINS0_14default_configENS1_27scan_by_key_config_selectorIiiEEZZNS1_16scan_by_key_implILNS1_25lookback_scan_determinismE0ELb1ES3_N6thrust23THRUST_200600_302600_NS6detail15normal_iteratorINS9_10device_ptrIiEEEENSB_INSC_IjEEEENSB_INSC_IfEEEEiNS9_4plusIvEENS9_8equal_toIvEEiEE10hipError_tPvRmT2_T3_T4_T5_mT6_T7_P12ihipStream_tbENKUlT_T0_E_clISt17integral_constantIbLb1EES13_EEDaSY_SZ_EUlSY_E_NS1_11comp_targetILNS1_3genE10ELNS1_11target_archE1200ELNS1_3gpuE4ELNS1_3repE0EEENS1_30default_config_static_selectorELNS0_4arch9wavefront6targetE0EEEvT1_.uses_flat_scratch, 0
	.set _ZN7rocprim17ROCPRIM_400000_NS6detail17trampoline_kernelINS0_14default_configENS1_27scan_by_key_config_selectorIiiEEZZNS1_16scan_by_key_implILNS1_25lookback_scan_determinismE0ELb1ES3_N6thrust23THRUST_200600_302600_NS6detail15normal_iteratorINS9_10device_ptrIiEEEENSB_INSC_IjEEEENSB_INSC_IfEEEEiNS9_4plusIvEENS9_8equal_toIvEEiEE10hipError_tPvRmT2_T3_T4_T5_mT6_T7_P12ihipStream_tbENKUlT_T0_E_clISt17integral_constantIbLb1EES13_EEDaSY_SZ_EUlSY_E_NS1_11comp_targetILNS1_3genE10ELNS1_11target_archE1200ELNS1_3gpuE4ELNS1_3repE0EEENS1_30default_config_static_selectorELNS0_4arch9wavefront6targetE0EEEvT1_.has_dyn_sized_stack, 0
	.set _ZN7rocprim17ROCPRIM_400000_NS6detail17trampoline_kernelINS0_14default_configENS1_27scan_by_key_config_selectorIiiEEZZNS1_16scan_by_key_implILNS1_25lookback_scan_determinismE0ELb1ES3_N6thrust23THRUST_200600_302600_NS6detail15normal_iteratorINS9_10device_ptrIiEEEENSB_INSC_IjEEEENSB_INSC_IfEEEEiNS9_4plusIvEENS9_8equal_toIvEEiEE10hipError_tPvRmT2_T3_T4_T5_mT6_T7_P12ihipStream_tbENKUlT_T0_E_clISt17integral_constantIbLb1EES13_EEDaSY_SZ_EUlSY_E_NS1_11comp_targetILNS1_3genE10ELNS1_11target_archE1200ELNS1_3gpuE4ELNS1_3repE0EEENS1_30default_config_static_selectorELNS0_4arch9wavefront6targetE0EEEvT1_.has_recursion, 0
	.set _ZN7rocprim17ROCPRIM_400000_NS6detail17trampoline_kernelINS0_14default_configENS1_27scan_by_key_config_selectorIiiEEZZNS1_16scan_by_key_implILNS1_25lookback_scan_determinismE0ELb1ES3_N6thrust23THRUST_200600_302600_NS6detail15normal_iteratorINS9_10device_ptrIiEEEENSB_INSC_IjEEEENSB_INSC_IfEEEEiNS9_4plusIvEENS9_8equal_toIvEEiEE10hipError_tPvRmT2_T3_T4_T5_mT6_T7_P12ihipStream_tbENKUlT_T0_E_clISt17integral_constantIbLb1EES13_EEDaSY_SZ_EUlSY_E_NS1_11comp_targetILNS1_3genE10ELNS1_11target_archE1200ELNS1_3gpuE4ELNS1_3repE0EEENS1_30default_config_static_selectorELNS0_4arch9wavefront6targetE0EEEvT1_.has_indirect_call, 0
	.section	.AMDGPU.csdata,"",@progbits
; Kernel info:
; codeLenInByte = 0
; TotalNumSgprs: 0
; NumVgprs: 0
; ScratchSize: 0
; MemoryBound: 0
; FloatMode: 240
; IeeeMode: 1
; LDSByteSize: 0 bytes/workgroup (compile time only)
; SGPRBlocks: 0
; VGPRBlocks: 0
; NumSGPRsForWavesPerEU: 1
; NumVGPRsForWavesPerEU: 1
; NamedBarCnt: 0
; Occupancy: 16
; WaveLimiterHint : 0
; COMPUTE_PGM_RSRC2:SCRATCH_EN: 0
; COMPUTE_PGM_RSRC2:USER_SGPR: 2
; COMPUTE_PGM_RSRC2:TRAP_HANDLER: 0
; COMPUTE_PGM_RSRC2:TGID_X_EN: 1
; COMPUTE_PGM_RSRC2:TGID_Y_EN: 0
; COMPUTE_PGM_RSRC2:TGID_Z_EN: 0
; COMPUTE_PGM_RSRC2:TIDIG_COMP_CNT: 0
	.section	.text._ZN7rocprim17ROCPRIM_400000_NS6detail17trampoline_kernelINS0_14default_configENS1_27scan_by_key_config_selectorIiiEEZZNS1_16scan_by_key_implILNS1_25lookback_scan_determinismE0ELb1ES3_N6thrust23THRUST_200600_302600_NS6detail15normal_iteratorINS9_10device_ptrIiEEEENSB_INSC_IjEEEENSB_INSC_IfEEEEiNS9_4plusIvEENS9_8equal_toIvEEiEE10hipError_tPvRmT2_T3_T4_T5_mT6_T7_P12ihipStream_tbENKUlT_T0_E_clISt17integral_constantIbLb1EES13_EEDaSY_SZ_EUlSY_E_NS1_11comp_targetILNS1_3genE9ELNS1_11target_archE1100ELNS1_3gpuE3ELNS1_3repE0EEENS1_30default_config_static_selectorELNS0_4arch9wavefront6targetE0EEEvT1_,"axG",@progbits,_ZN7rocprim17ROCPRIM_400000_NS6detail17trampoline_kernelINS0_14default_configENS1_27scan_by_key_config_selectorIiiEEZZNS1_16scan_by_key_implILNS1_25lookback_scan_determinismE0ELb1ES3_N6thrust23THRUST_200600_302600_NS6detail15normal_iteratorINS9_10device_ptrIiEEEENSB_INSC_IjEEEENSB_INSC_IfEEEEiNS9_4plusIvEENS9_8equal_toIvEEiEE10hipError_tPvRmT2_T3_T4_T5_mT6_T7_P12ihipStream_tbENKUlT_T0_E_clISt17integral_constantIbLb1EES13_EEDaSY_SZ_EUlSY_E_NS1_11comp_targetILNS1_3genE9ELNS1_11target_archE1100ELNS1_3gpuE3ELNS1_3repE0EEENS1_30default_config_static_selectorELNS0_4arch9wavefront6targetE0EEEvT1_,comdat
	.protected	_ZN7rocprim17ROCPRIM_400000_NS6detail17trampoline_kernelINS0_14default_configENS1_27scan_by_key_config_selectorIiiEEZZNS1_16scan_by_key_implILNS1_25lookback_scan_determinismE0ELb1ES3_N6thrust23THRUST_200600_302600_NS6detail15normal_iteratorINS9_10device_ptrIiEEEENSB_INSC_IjEEEENSB_INSC_IfEEEEiNS9_4plusIvEENS9_8equal_toIvEEiEE10hipError_tPvRmT2_T3_T4_T5_mT6_T7_P12ihipStream_tbENKUlT_T0_E_clISt17integral_constantIbLb1EES13_EEDaSY_SZ_EUlSY_E_NS1_11comp_targetILNS1_3genE9ELNS1_11target_archE1100ELNS1_3gpuE3ELNS1_3repE0EEENS1_30default_config_static_selectorELNS0_4arch9wavefront6targetE0EEEvT1_ ; -- Begin function _ZN7rocprim17ROCPRIM_400000_NS6detail17trampoline_kernelINS0_14default_configENS1_27scan_by_key_config_selectorIiiEEZZNS1_16scan_by_key_implILNS1_25lookback_scan_determinismE0ELb1ES3_N6thrust23THRUST_200600_302600_NS6detail15normal_iteratorINS9_10device_ptrIiEEEENSB_INSC_IjEEEENSB_INSC_IfEEEEiNS9_4plusIvEENS9_8equal_toIvEEiEE10hipError_tPvRmT2_T3_T4_T5_mT6_T7_P12ihipStream_tbENKUlT_T0_E_clISt17integral_constantIbLb1EES13_EEDaSY_SZ_EUlSY_E_NS1_11comp_targetILNS1_3genE9ELNS1_11target_archE1100ELNS1_3gpuE3ELNS1_3repE0EEENS1_30default_config_static_selectorELNS0_4arch9wavefront6targetE0EEEvT1_
	.globl	_ZN7rocprim17ROCPRIM_400000_NS6detail17trampoline_kernelINS0_14default_configENS1_27scan_by_key_config_selectorIiiEEZZNS1_16scan_by_key_implILNS1_25lookback_scan_determinismE0ELb1ES3_N6thrust23THRUST_200600_302600_NS6detail15normal_iteratorINS9_10device_ptrIiEEEENSB_INSC_IjEEEENSB_INSC_IfEEEEiNS9_4plusIvEENS9_8equal_toIvEEiEE10hipError_tPvRmT2_T3_T4_T5_mT6_T7_P12ihipStream_tbENKUlT_T0_E_clISt17integral_constantIbLb1EES13_EEDaSY_SZ_EUlSY_E_NS1_11comp_targetILNS1_3genE9ELNS1_11target_archE1100ELNS1_3gpuE3ELNS1_3repE0EEENS1_30default_config_static_selectorELNS0_4arch9wavefront6targetE0EEEvT1_
	.p2align	8
	.type	_ZN7rocprim17ROCPRIM_400000_NS6detail17trampoline_kernelINS0_14default_configENS1_27scan_by_key_config_selectorIiiEEZZNS1_16scan_by_key_implILNS1_25lookback_scan_determinismE0ELb1ES3_N6thrust23THRUST_200600_302600_NS6detail15normal_iteratorINS9_10device_ptrIiEEEENSB_INSC_IjEEEENSB_INSC_IfEEEEiNS9_4plusIvEENS9_8equal_toIvEEiEE10hipError_tPvRmT2_T3_T4_T5_mT6_T7_P12ihipStream_tbENKUlT_T0_E_clISt17integral_constantIbLb1EES13_EEDaSY_SZ_EUlSY_E_NS1_11comp_targetILNS1_3genE9ELNS1_11target_archE1100ELNS1_3gpuE3ELNS1_3repE0EEENS1_30default_config_static_selectorELNS0_4arch9wavefront6targetE0EEEvT1_,@function
_ZN7rocprim17ROCPRIM_400000_NS6detail17trampoline_kernelINS0_14default_configENS1_27scan_by_key_config_selectorIiiEEZZNS1_16scan_by_key_implILNS1_25lookback_scan_determinismE0ELb1ES3_N6thrust23THRUST_200600_302600_NS6detail15normal_iteratorINS9_10device_ptrIiEEEENSB_INSC_IjEEEENSB_INSC_IfEEEEiNS9_4plusIvEENS9_8equal_toIvEEiEE10hipError_tPvRmT2_T3_T4_T5_mT6_T7_P12ihipStream_tbENKUlT_T0_E_clISt17integral_constantIbLb1EES13_EEDaSY_SZ_EUlSY_E_NS1_11comp_targetILNS1_3genE9ELNS1_11target_archE1100ELNS1_3gpuE3ELNS1_3repE0EEENS1_30default_config_static_selectorELNS0_4arch9wavefront6targetE0EEEvT1_: ; @_ZN7rocprim17ROCPRIM_400000_NS6detail17trampoline_kernelINS0_14default_configENS1_27scan_by_key_config_selectorIiiEEZZNS1_16scan_by_key_implILNS1_25lookback_scan_determinismE0ELb1ES3_N6thrust23THRUST_200600_302600_NS6detail15normal_iteratorINS9_10device_ptrIiEEEENSB_INSC_IjEEEENSB_INSC_IfEEEEiNS9_4plusIvEENS9_8equal_toIvEEiEE10hipError_tPvRmT2_T3_T4_T5_mT6_T7_P12ihipStream_tbENKUlT_T0_E_clISt17integral_constantIbLb1EES13_EEDaSY_SZ_EUlSY_E_NS1_11comp_targetILNS1_3genE9ELNS1_11target_archE1100ELNS1_3gpuE3ELNS1_3repE0EEENS1_30default_config_static_selectorELNS0_4arch9wavefront6targetE0EEEvT1_
; %bb.0:
	.section	.rodata,"a",@progbits
	.p2align	6, 0x0
	.amdhsa_kernel _ZN7rocprim17ROCPRIM_400000_NS6detail17trampoline_kernelINS0_14default_configENS1_27scan_by_key_config_selectorIiiEEZZNS1_16scan_by_key_implILNS1_25lookback_scan_determinismE0ELb1ES3_N6thrust23THRUST_200600_302600_NS6detail15normal_iteratorINS9_10device_ptrIiEEEENSB_INSC_IjEEEENSB_INSC_IfEEEEiNS9_4plusIvEENS9_8equal_toIvEEiEE10hipError_tPvRmT2_T3_T4_T5_mT6_T7_P12ihipStream_tbENKUlT_T0_E_clISt17integral_constantIbLb1EES13_EEDaSY_SZ_EUlSY_E_NS1_11comp_targetILNS1_3genE9ELNS1_11target_archE1100ELNS1_3gpuE3ELNS1_3repE0EEENS1_30default_config_static_selectorELNS0_4arch9wavefront6targetE0EEEvT1_
		.amdhsa_group_segment_fixed_size 0
		.amdhsa_private_segment_fixed_size 0
		.amdhsa_kernarg_size 112
		.amdhsa_user_sgpr_count 2
		.amdhsa_user_sgpr_dispatch_ptr 0
		.amdhsa_user_sgpr_queue_ptr 0
		.amdhsa_user_sgpr_kernarg_segment_ptr 1
		.amdhsa_user_sgpr_dispatch_id 0
		.amdhsa_user_sgpr_kernarg_preload_length 0
		.amdhsa_user_sgpr_kernarg_preload_offset 0
		.amdhsa_user_sgpr_private_segment_size 0
		.amdhsa_wavefront_size32 1
		.amdhsa_uses_dynamic_stack 0
		.amdhsa_enable_private_segment 0
		.amdhsa_system_sgpr_workgroup_id_x 1
		.amdhsa_system_sgpr_workgroup_id_y 0
		.amdhsa_system_sgpr_workgroup_id_z 0
		.amdhsa_system_sgpr_workgroup_info 0
		.amdhsa_system_vgpr_workitem_id 0
		.amdhsa_next_free_vgpr 1
		.amdhsa_next_free_sgpr 1
		.amdhsa_named_barrier_count 0
		.amdhsa_reserve_vcc 0
		.amdhsa_float_round_mode_32 0
		.amdhsa_float_round_mode_16_64 0
		.amdhsa_float_denorm_mode_32 3
		.amdhsa_float_denorm_mode_16_64 3
		.amdhsa_fp16_overflow 0
		.amdhsa_memory_ordered 1
		.amdhsa_forward_progress 1
		.amdhsa_inst_pref_size 0
		.amdhsa_round_robin_scheduling 0
		.amdhsa_exception_fp_ieee_invalid_op 0
		.amdhsa_exception_fp_denorm_src 0
		.amdhsa_exception_fp_ieee_div_zero 0
		.amdhsa_exception_fp_ieee_overflow 0
		.amdhsa_exception_fp_ieee_underflow 0
		.amdhsa_exception_fp_ieee_inexact 0
		.amdhsa_exception_int_div_zero 0
	.end_amdhsa_kernel
	.section	.text._ZN7rocprim17ROCPRIM_400000_NS6detail17trampoline_kernelINS0_14default_configENS1_27scan_by_key_config_selectorIiiEEZZNS1_16scan_by_key_implILNS1_25lookback_scan_determinismE0ELb1ES3_N6thrust23THRUST_200600_302600_NS6detail15normal_iteratorINS9_10device_ptrIiEEEENSB_INSC_IjEEEENSB_INSC_IfEEEEiNS9_4plusIvEENS9_8equal_toIvEEiEE10hipError_tPvRmT2_T3_T4_T5_mT6_T7_P12ihipStream_tbENKUlT_T0_E_clISt17integral_constantIbLb1EES13_EEDaSY_SZ_EUlSY_E_NS1_11comp_targetILNS1_3genE9ELNS1_11target_archE1100ELNS1_3gpuE3ELNS1_3repE0EEENS1_30default_config_static_selectorELNS0_4arch9wavefront6targetE0EEEvT1_,"axG",@progbits,_ZN7rocprim17ROCPRIM_400000_NS6detail17trampoline_kernelINS0_14default_configENS1_27scan_by_key_config_selectorIiiEEZZNS1_16scan_by_key_implILNS1_25lookback_scan_determinismE0ELb1ES3_N6thrust23THRUST_200600_302600_NS6detail15normal_iteratorINS9_10device_ptrIiEEEENSB_INSC_IjEEEENSB_INSC_IfEEEEiNS9_4plusIvEENS9_8equal_toIvEEiEE10hipError_tPvRmT2_T3_T4_T5_mT6_T7_P12ihipStream_tbENKUlT_T0_E_clISt17integral_constantIbLb1EES13_EEDaSY_SZ_EUlSY_E_NS1_11comp_targetILNS1_3genE9ELNS1_11target_archE1100ELNS1_3gpuE3ELNS1_3repE0EEENS1_30default_config_static_selectorELNS0_4arch9wavefront6targetE0EEEvT1_,comdat
.Lfunc_end1732:
	.size	_ZN7rocprim17ROCPRIM_400000_NS6detail17trampoline_kernelINS0_14default_configENS1_27scan_by_key_config_selectorIiiEEZZNS1_16scan_by_key_implILNS1_25lookback_scan_determinismE0ELb1ES3_N6thrust23THRUST_200600_302600_NS6detail15normal_iteratorINS9_10device_ptrIiEEEENSB_INSC_IjEEEENSB_INSC_IfEEEEiNS9_4plusIvEENS9_8equal_toIvEEiEE10hipError_tPvRmT2_T3_T4_T5_mT6_T7_P12ihipStream_tbENKUlT_T0_E_clISt17integral_constantIbLb1EES13_EEDaSY_SZ_EUlSY_E_NS1_11comp_targetILNS1_3genE9ELNS1_11target_archE1100ELNS1_3gpuE3ELNS1_3repE0EEENS1_30default_config_static_selectorELNS0_4arch9wavefront6targetE0EEEvT1_, .Lfunc_end1732-_ZN7rocprim17ROCPRIM_400000_NS6detail17trampoline_kernelINS0_14default_configENS1_27scan_by_key_config_selectorIiiEEZZNS1_16scan_by_key_implILNS1_25lookback_scan_determinismE0ELb1ES3_N6thrust23THRUST_200600_302600_NS6detail15normal_iteratorINS9_10device_ptrIiEEEENSB_INSC_IjEEEENSB_INSC_IfEEEEiNS9_4plusIvEENS9_8equal_toIvEEiEE10hipError_tPvRmT2_T3_T4_T5_mT6_T7_P12ihipStream_tbENKUlT_T0_E_clISt17integral_constantIbLb1EES13_EEDaSY_SZ_EUlSY_E_NS1_11comp_targetILNS1_3genE9ELNS1_11target_archE1100ELNS1_3gpuE3ELNS1_3repE0EEENS1_30default_config_static_selectorELNS0_4arch9wavefront6targetE0EEEvT1_
                                        ; -- End function
	.set _ZN7rocprim17ROCPRIM_400000_NS6detail17trampoline_kernelINS0_14default_configENS1_27scan_by_key_config_selectorIiiEEZZNS1_16scan_by_key_implILNS1_25lookback_scan_determinismE0ELb1ES3_N6thrust23THRUST_200600_302600_NS6detail15normal_iteratorINS9_10device_ptrIiEEEENSB_INSC_IjEEEENSB_INSC_IfEEEEiNS9_4plusIvEENS9_8equal_toIvEEiEE10hipError_tPvRmT2_T3_T4_T5_mT6_T7_P12ihipStream_tbENKUlT_T0_E_clISt17integral_constantIbLb1EES13_EEDaSY_SZ_EUlSY_E_NS1_11comp_targetILNS1_3genE9ELNS1_11target_archE1100ELNS1_3gpuE3ELNS1_3repE0EEENS1_30default_config_static_selectorELNS0_4arch9wavefront6targetE0EEEvT1_.num_vgpr, 0
	.set _ZN7rocprim17ROCPRIM_400000_NS6detail17trampoline_kernelINS0_14default_configENS1_27scan_by_key_config_selectorIiiEEZZNS1_16scan_by_key_implILNS1_25lookback_scan_determinismE0ELb1ES3_N6thrust23THRUST_200600_302600_NS6detail15normal_iteratorINS9_10device_ptrIiEEEENSB_INSC_IjEEEENSB_INSC_IfEEEEiNS9_4plusIvEENS9_8equal_toIvEEiEE10hipError_tPvRmT2_T3_T4_T5_mT6_T7_P12ihipStream_tbENKUlT_T0_E_clISt17integral_constantIbLb1EES13_EEDaSY_SZ_EUlSY_E_NS1_11comp_targetILNS1_3genE9ELNS1_11target_archE1100ELNS1_3gpuE3ELNS1_3repE0EEENS1_30default_config_static_selectorELNS0_4arch9wavefront6targetE0EEEvT1_.num_agpr, 0
	.set _ZN7rocprim17ROCPRIM_400000_NS6detail17trampoline_kernelINS0_14default_configENS1_27scan_by_key_config_selectorIiiEEZZNS1_16scan_by_key_implILNS1_25lookback_scan_determinismE0ELb1ES3_N6thrust23THRUST_200600_302600_NS6detail15normal_iteratorINS9_10device_ptrIiEEEENSB_INSC_IjEEEENSB_INSC_IfEEEEiNS9_4plusIvEENS9_8equal_toIvEEiEE10hipError_tPvRmT2_T3_T4_T5_mT6_T7_P12ihipStream_tbENKUlT_T0_E_clISt17integral_constantIbLb1EES13_EEDaSY_SZ_EUlSY_E_NS1_11comp_targetILNS1_3genE9ELNS1_11target_archE1100ELNS1_3gpuE3ELNS1_3repE0EEENS1_30default_config_static_selectorELNS0_4arch9wavefront6targetE0EEEvT1_.numbered_sgpr, 0
	.set _ZN7rocprim17ROCPRIM_400000_NS6detail17trampoline_kernelINS0_14default_configENS1_27scan_by_key_config_selectorIiiEEZZNS1_16scan_by_key_implILNS1_25lookback_scan_determinismE0ELb1ES3_N6thrust23THRUST_200600_302600_NS6detail15normal_iteratorINS9_10device_ptrIiEEEENSB_INSC_IjEEEENSB_INSC_IfEEEEiNS9_4plusIvEENS9_8equal_toIvEEiEE10hipError_tPvRmT2_T3_T4_T5_mT6_T7_P12ihipStream_tbENKUlT_T0_E_clISt17integral_constantIbLb1EES13_EEDaSY_SZ_EUlSY_E_NS1_11comp_targetILNS1_3genE9ELNS1_11target_archE1100ELNS1_3gpuE3ELNS1_3repE0EEENS1_30default_config_static_selectorELNS0_4arch9wavefront6targetE0EEEvT1_.num_named_barrier, 0
	.set _ZN7rocprim17ROCPRIM_400000_NS6detail17trampoline_kernelINS0_14default_configENS1_27scan_by_key_config_selectorIiiEEZZNS1_16scan_by_key_implILNS1_25lookback_scan_determinismE0ELb1ES3_N6thrust23THRUST_200600_302600_NS6detail15normal_iteratorINS9_10device_ptrIiEEEENSB_INSC_IjEEEENSB_INSC_IfEEEEiNS9_4plusIvEENS9_8equal_toIvEEiEE10hipError_tPvRmT2_T3_T4_T5_mT6_T7_P12ihipStream_tbENKUlT_T0_E_clISt17integral_constantIbLb1EES13_EEDaSY_SZ_EUlSY_E_NS1_11comp_targetILNS1_3genE9ELNS1_11target_archE1100ELNS1_3gpuE3ELNS1_3repE0EEENS1_30default_config_static_selectorELNS0_4arch9wavefront6targetE0EEEvT1_.private_seg_size, 0
	.set _ZN7rocprim17ROCPRIM_400000_NS6detail17trampoline_kernelINS0_14default_configENS1_27scan_by_key_config_selectorIiiEEZZNS1_16scan_by_key_implILNS1_25lookback_scan_determinismE0ELb1ES3_N6thrust23THRUST_200600_302600_NS6detail15normal_iteratorINS9_10device_ptrIiEEEENSB_INSC_IjEEEENSB_INSC_IfEEEEiNS9_4plusIvEENS9_8equal_toIvEEiEE10hipError_tPvRmT2_T3_T4_T5_mT6_T7_P12ihipStream_tbENKUlT_T0_E_clISt17integral_constantIbLb1EES13_EEDaSY_SZ_EUlSY_E_NS1_11comp_targetILNS1_3genE9ELNS1_11target_archE1100ELNS1_3gpuE3ELNS1_3repE0EEENS1_30default_config_static_selectorELNS0_4arch9wavefront6targetE0EEEvT1_.uses_vcc, 0
	.set _ZN7rocprim17ROCPRIM_400000_NS6detail17trampoline_kernelINS0_14default_configENS1_27scan_by_key_config_selectorIiiEEZZNS1_16scan_by_key_implILNS1_25lookback_scan_determinismE0ELb1ES3_N6thrust23THRUST_200600_302600_NS6detail15normal_iteratorINS9_10device_ptrIiEEEENSB_INSC_IjEEEENSB_INSC_IfEEEEiNS9_4plusIvEENS9_8equal_toIvEEiEE10hipError_tPvRmT2_T3_T4_T5_mT6_T7_P12ihipStream_tbENKUlT_T0_E_clISt17integral_constantIbLb1EES13_EEDaSY_SZ_EUlSY_E_NS1_11comp_targetILNS1_3genE9ELNS1_11target_archE1100ELNS1_3gpuE3ELNS1_3repE0EEENS1_30default_config_static_selectorELNS0_4arch9wavefront6targetE0EEEvT1_.uses_flat_scratch, 0
	.set _ZN7rocprim17ROCPRIM_400000_NS6detail17trampoline_kernelINS0_14default_configENS1_27scan_by_key_config_selectorIiiEEZZNS1_16scan_by_key_implILNS1_25lookback_scan_determinismE0ELb1ES3_N6thrust23THRUST_200600_302600_NS6detail15normal_iteratorINS9_10device_ptrIiEEEENSB_INSC_IjEEEENSB_INSC_IfEEEEiNS9_4plusIvEENS9_8equal_toIvEEiEE10hipError_tPvRmT2_T3_T4_T5_mT6_T7_P12ihipStream_tbENKUlT_T0_E_clISt17integral_constantIbLb1EES13_EEDaSY_SZ_EUlSY_E_NS1_11comp_targetILNS1_3genE9ELNS1_11target_archE1100ELNS1_3gpuE3ELNS1_3repE0EEENS1_30default_config_static_selectorELNS0_4arch9wavefront6targetE0EEEvT1_.has_dyn_sized_stack, 0
	.set _ZN7rocprim17ROCPRIM_400000_NS6detail17trampoline_kernelINS0_14default_configENS1_27scan_by_key_config_selectorIiiEEZZNS1_16scan_by_key_implILNS1_25lookback_scan_determinismE0ELb1ES3_N6thrust23THRUST_200600_302600_NS6detail15normal_iteratorINS9_10device_ptrIiEEEENSB_INSC_IjEEEENSB_INSC_IfEEEEiNS9_4plusIvEENS9_8equal_toIvEEiEE10hipError_tPvRmT2_T3_T4_T5_mT6_T7_P12ihipStream_tbENKUlT_T0_E_clISt17integral_constantIbLb1EES13_EEDaSY_SZ_EUlSY_E_NS1_11comp_targetILNS1_3genE9ELNS1_11target_archE1100ELNS1_3gpuE3ELNS1_3repE0EEENS1_30default_config_static_selectorELNS0_4arch9wavefront6targetE0EEEvT1_.has_recursion, 0
	.set _ZN7rocprim17ROCPRIM_400000_NS6detail17trampoline_kernelINS0_14default_configENS1_27scan_by_key_config_selectorIiiEEZZNS1_16scan_by_key_implILNS1_25lookback_scan_determinismE0ELb1ES3_N6thrust23THRUST_200600_302600_NS6detail15normal_iteratorINS9_10device_ptrIiEEEENSB_INSC_IjEEEENSB_INSC_IfEEEEiNS9_4plusIvEENS9_8equal_toIvEEiEE10hipError_tPvRmT2_T3_T4_T5_mT6_T7_P12ihipStream_tbENKUlT_T0_E_clISt17integral_constantIbLb1EES13_EEDaSY_SZ_EUlSY_E_NS1_11comp_targetILNS1_3genE9ELNS1_11target_archE1100ELNS1_3gpuE3ELNS1_3repE0EEENS1_30default_config_static_selectorELNS0_4arch9wavefront6targetE0EEEvT1_.has_indirect_call, 0
	.section	.AMDGPU.csdata,"",@progbits
; Kernel info:
; codeLenInByte = 0
; TotalNumSgprs: 0
; NumVgprs: 0
; ScratchSize: 0
; MemoryBound: 0
; FloatMode: 240
; IeeeMode: 1
; LDSByteSize: 0 bytes/workgroup (compile time only)
; SGPRBlocks: 0
; VGPRBlocks: 0
; NumSGPRsForWavesPerEU: 1
; NumVGPRsForWavesPerEU: 1
; NamedBarCnt: 0
; Occupancy: 16
; WaveLimiterHint : 0
; COMPUTE_PGM_RSRC2:SCRATCH_EN: 0
; COMPUTE_PGM_RSRC2:USER_SGPR: 2
; COMPUTE_PGM_RSRC2:TRAP_HANDLER: 0
; COMPUTE_PGM_RSRC2:TGID_X_EN: 1
; COMPUTE_PGM_RSRC2:TGID_Y_EN: 0
; COMPUTE_PGM_RSRC2:TGID_Z_EN: 0
; COMPUTE_PGM_RSRC2:TIDIG_COMP_CNT: 0
	.section	.text._ZN7rocprim17ROCPRIM_400000_NS6detail17trampoline_kernelINS0_14default_configENS1_27scan_by_key_config_selectorIiiEEZZNS1_16scan_by_key_implILNS1_25lookback_scan_determinismE0ELb1ES3_N6thrust23THRUST_200600_302600_NS6detail15normal_iteratorINS9_10device_ptrIiEEEENSB_INSC_IjEEEENSB_INSC_IfEEEEiNS9_4plusIvEENS9_8equal_toIvEEiEE10hipError_tPvRmT2_T3_T4_T5_mT6_T7_P12ihipStream_tbENKUlT_T0_E_clISt17integral_constantIbLb1EES13_EEDaSY_SZ_EUlSY_E_NS1_11comp_targetILNS1_3genE8ELNS1_11target_archE1030ELNS1_3gpuE2ELNS1_3repE0EEENS1_30default_config_static_selectorELNS0_4arch9wavefront6targetE0EEEvT1_,"axG",@progbits,_ZN7rocprim17ROCPRIM_400000_NS6detail17trampoline_kernelINS0_14default_configENS1_27scan_by_key_config_selectorIiiEEZZNS1_16scan_by_key_implILNS1_25lookback_scan_determinismE0ELb1ES3_N6thrust23THRUST_200600_302600_NS6detail15normal_iteratorINS9_10device_ptrIiEEEENSB_INSC_IjEEEENSB_INSC_IfEEEEiNS9_4plusIvEENS9_8equal_toIvEEiEE10hipError_tPvRmT2_T3_T4_T5_mT6_T7_P12ihipStream_tbENKUlT_T0_E_clISt17integral_constantIbLb1EES13_EEDaSY_SZ_EUlSY_E_NS1_11comp_targetILNS1_3genE8ELNS1_11target_archE1030ELNS1_3gpuE2ELNS1_3repE0EEENS1_30default_config_static_selectorELNS0_4arch9wavefront6targetE0EEEvT1_,comdat
	.protected	_ZN7rocprim17ROCPRIM_400000_NS6detail17trampoline_kernelINS0_14default_configENS1_27scan_by_key_config_selectorIiiEEZZNS1_16scan_by_key_implILNS1_25lookback_scan_determinismE0ELb1ES3_N6thrust23THRUST_200600_302600_NS6detail15normal_iteratorINS9_10device_ptrIiEEEENSB_INSC_IjEEEENSB_INSC_IfEEEEiNS9_4plusIvEENS9_8equal_toIvEEiEE10hipError_tPvRmT2_T3_T4_T5_mT6_T7_P12ihipStream_tbENKUlT_T0_E_clISt17integral_constantIbLb1EES13_EEDaSY_SZ_EUlSY_E_NS1_11comp_targetILNS1_3genE8ELNS1_11target_archE1030ELNS1_3gpuE2ELNS1_3repE0EEENS1_30default_config_static_selectorELNS0_4arch9wavefront6targetE0EEEvT1_ ; -- Begin function _ZN7rocprim17ROCPRIM_400000_NS6detail17trampoline_kernelINS0_14default_configENS1_27scan_by_key_config_selectorIiiEEZZNS1_16scan_by_key_implILNS1_25lookback_scan_determinismE0ELb1ES3_N6thrust23THRUST_200600_302600_NS6detail15normal_iteratorINS9_10device_ptrIiEEEENSB_INSC_IjEEEENSB_INSC_IfEEEEiNS9_4plusIvEENS9_8equal_toIvEEiEE10hipError_tPvRmT2_T3_T4_T5_mT6_T7_P12ihipStream_tbENKUlT_T0_E_clISt17integral_constantIbLb1EES13_EEDaSY_SZ_EUlSY_E_NS1_11comp_targetILNS1_3genE8ELNS1_11target_archE1030ELNS1_3gpuE2ELNS1_3repE0EEENS1_30default_config_static_selectorELNS0_4arch9wavefront6targetE0EEEvT1_
	.globl	_ZN7rocprim17ROCPRIM_400000_NS6detail17trampoline_kernelINS0_14default_configENS1_27scan_by_key_config_selectorIiiEEZZNS1_16scan_by_key_implILNS1_25lookback_scan_determinismE0ELb1ES3_N6thrust23THRUST_200600_302600_NS6detail15normal_iteratorINS9_10device_ptrIiEEEENSB_INSC_IjEEEENSB_INSC_IfEEEEiNS9_4plusIvEENS9_8equal_toIvEEiEE10hipError_tPvRmT2_T3_T4_T5_mT6_T7_P12ihipStream_tbENKUlT_T0_E_clISt17integral_constantIbLb1EES13_EEDaSY_SZ_EUlSY_E_NS1_11comp_targetILNS1_3genE8ELNS1_11target_archE1030ELNS1_3gpuE2ELNS1_3repE0EEENS1_30default_config_static_selectorELNS0_4arch9wavefront6targetE0EEEvT1_
	.p2align	8
	.type	_ZN7rocprim17ROCPRIM_400000_NS6detail17trampoline_kernelINS0_14default_configENS1_27scan_by_key_config_selectorIiiEEZZNS1_16scan_by_key_implILNS1_25lookback_scan_determinismE0ELb1ES3_N6thrust23THRUST_200600_302600_NS6detail15normal_iteratorINS9_10device_ptrIiEEEENSB_INSC_IjEEEENSB_INSC_IfEEEEiNS9_4plusIvEENS9_8equal_toIvEEiEE10hipError_tPvRmT2_T3_T4_T5_mT6_T7_P12ihipStream_tbENKUlT_T0_E_clISt17integral_constantIbLb1EES13_EEDaSY_SZ_EUlSY_E_NS1_11comp_targetILNS1_3genE8ELNS1_11target_archE1030ELNS1_3gpuE2ELNS1_3repE0EEENS1_30default_config_static_selectorELNS0_4arch9wavefront6targetE0EEEvT1_,@function
_ZN7rocprim17ROCPRIM_400000_NS6detail17trampoline_kernelINS0_14default_configENS1_27scan_by_key_config_selectorIiiEEZZNS1_16scan_by_key_implILNS1_25lookback_scan_determinismE0ELb1ES3_N6thrust23THRUST_200600_302600_NS6detail15normal_iteratorINS9_10device_ptrIiEEEENSB_INSC_IjEEEENSB_INSC_IfEEEEiNS9_4plusIvEENS9_8equal_toIvEEiEE10hipError_tPvRmT2_T3_T4_T5_mT6_T7_P12ihipStream_tbENKUlT_T0_E_clISt17integral_constantIbLb1EES13_EEDaSY_SZ_EUlSY_E_NS1_11comp_targetILNS1_3genE8ELNS1_11target_archE1030ELNS1_3gpuE2ELNS1_3repE0EEENS1_30default_config_static_selectorELNS0_4arch9wavefront6targetE0EEEvT1_: ; @_ZN7rocprim17ROCPRIM_400000_NS6detail17trampoline_kernelINS0_14default_configENS1_27scan_by_key_config_selectorIiiEEZZNS1_16scan_by_key_implILNS1_25lookback_scan_determinismE0ELb1ES3_N6thrust23THRUST_200600_302600_NS6detail15normal_iteratorINS9_10device_ptrIiEEEENSB_INSC_IjEEEENSB_INSC_IfEEEEiNS9_4plusIvEENS9_8equal_toIvEEiEE10hipError_tPvRmT2_T3_T4_T5_mT6_T7_P12ihipStream_tbENKUlT_T0_E_clISt17integral_constantIbLb1EES13_EEDaSY_SZ_EUlSY_E_NS1_11comp_targetILNS1_3genE8ELNS1_11target_archE1030ELNS1_3gpuE2ELNS1_3repE0EEENS1_30default_config_static_selectorELNS0_4arch9wavefront6targetE0EEEvT1_
; %bb.0:
	.section	.rodata,"a",@progbits
	.p2align	6, 0x0
	.amdhsa_kernel _ZN7rocprim17ROCPRIM_400000_NS6detail17trampoline_kernelINS0_14default_configENS1_27scan_by_key_config_selectorIiiEEZZNS1_16scan_by_key_implILNS1_25lookback_scan_determinismE0ELb1ES3_N6thrust23THRUST_200600_302600_NS6detail15normal_iteratorINS9_10device_ptrIiEEEENSB_INSC_IjEEEENSB_INSC_IfEEEEiNS9_4plusIvEENS9_8equal_toIvEEiEE10hipError_tPvRmT2_T3_T4_T5_mT6_T7_P12ihipStream_tbENKUlT_T0_E_clISt17integral_constantIbLb1EES13_EEDaSY_SZ_EUlSY_E_NS1_11comp_targetILNS1_3genE8ELNS1_11target_archE1030ELNS1_3gpuE2ELNS1_3repE0EEENS1_30default_config_static_selectorELNS0_4arch9wavefront6targetE0EEEvT1_
		.amdhsa_group_segment_fixed_size 0
		.amdhsa_private_segment_fixed_size 0
		.amdhsa_kernarg_size 112
		.amdhsa_user_sgpr_count 2
		.amdhsa_user_sgpr_dispatch_ptr 0
		.amdhsa_user_sgpr_queue_ptr 0
		.amdhsa_user_sgpr_kernarg_segment_ptr 1
		.amdhsa_user_sgpr_dispatch_id 0
		.amdhsa_user_sgpr_kernarg_preload_length 0
		.amdhsa_user_sgpr_kernarg_preload_offset 0
		.amdhsa_user_sgpr_private_segment_size 0
		.amdhsa_wavefront_size32 1
		.amdhsa_uses_dynamic_stack 0
		.amdhsa_enable_private_segment 0
		.amdhsa_system_sgpr_workgroup_id_x 1
		.amdhsa_system_sgpr_workgroup_id_y 0
		.amdhsa_system_sgpr_workgroup_id_z 0
		.amdhsa_system_sgpr_workgroup_info 0
		.amdhsa_system_vgpr_workitem_id 0
		.amdhsa_next_free_vgpr 1
		.amdhsa_next_free_sgpr 1
		.amdhsa_named_barrier_count 0
		.amdhsa_reserve_vcc 0
		.amdhsa_float_round_mode_32 0
		.amdhsa_float_round_mode_16_64 0
		.amdhsa_float_denorm_mode_32 3
		.amdhsa_float_denorm_mode_16_64 3
		.amdhsa_fp16_overflow 0
		.amdhsa_memory_ordered 1
		.amdhsa_forward_progress 1
		.amdhsa_inst_pref_size 0
		.amdhsa_round_robin_scheduling 0
		.amdhsa_exception_fp_ieee_invalid_op 0
		.amdhsa_exception_fp_denorm_src 0
		.amdhsa_exception_fp_ieee_div_zero 0
		.amdhsa_exception_fp_ieee_overflow 0
		.amdhsa_exception_fp_ieee_underflow 0
		.amdhsa_exception_fp_ieee_inexact 0
		.amdhsa_exception_int_div_zero 0
	.end_amdhsa_kernel
	.section	.text._ZN7rocprim17ROCPRIM_400000_NS6detail17trampoline_kernelINS0_14default_configENS1_27scan_by_key_config_selectorIiiEEZZNS1_16scan_by_key_implILNS1_25lookback_scan_determinismE0ELb1ES3_N6thrust23THRUST_200600_302600_NS6detail15normal_iteratorINS9_10device_ptrIiEEEENSB_INSC_IjEEEENSB_INSC_IfEEEEiNS9_4plusIvEENS9_8equal_toIvEEiEE10hipError_tPvRmT2_T3_T4_T5_mT6_T7_P12ihipStream_tbENKUlT_T0_E_clISt17integral_constantIbLb1EES13_EEDaSY_SZ_EUlSY_E_NS1_11comp_targetILNS1_3genE8ELNS1_11target_archE1030ELNS1_3gpuE2ELNS1_3repE0EEENS1_30default_config_static_selectorELNS0_4arch9wavefront6targetE0EEEvT1_,"axG",@progbits,_ZN7rocprim17ROCPRIM_400000_NS6detail17trampoline_kernelINS0_14default_configENS1_27scan_by_key_config_selectorIiiEEZZNS1_16scan_by_key_implILNS1_25lookback_scan_determinismE0ELb1ES3_N6thrust23THRUST_200600_302600_NS6detail15normal_iteratorINS9_10device_ptrIiEEEENSB_INSC_IjEEEENSB_INSC_IfEEEEiNS9_4plusIvEENS9_8equal_toIvEEiEE10hipError_tPvRmT2_T3_T4_T5_mT6_T7_P12ihipStream_tbENKUlT_T0_E_clISt17integral_constantIbLb1EES13_EEDaSY_SZ_EUlSY_E_NS1_11comp_targetILNS1_3genE8ELNS1_11target_archE1030ELNS1_3gpuE2ELNS1_3repE0EEENS1_30default_config_static_selectorELNS0_4arch9wavefront6targetE0EEEvT1_,comdat
.Lfunc_end1733:
	.size	_ZN7rocprim17ROCPRIM_400000_NS6detail17trampoline_kernelINS0_14default_configENS1_27scan_by_key_config_selectorIiiEEZZNS1_16scan_by_key_implILNS1_25lookback_scan_determinismE0ELb1ES3_N6thrust23THRUST_200600_302600_NS6detail15normal_iteratorINS9_10device_ptrIiEEEENSB_INSC_IjEEEENSB_INSC_IfEEEEiNS9_4plusIvEENS9_8equal_toIvEEiEE10hipError_tPvRmT2_T3_T4_T5_mT6_T7_P12ihipStream_tbENKUlT_T0_E_clISt17integral_constantIbLb1EES13_EEDaSY_SZ_EUlSY_E_NS1_11comp_targetILNS1_3genE8ELNS1_11target_archE1030ELNS1_3gpuE2ELNS1_3repE0EEENS1_30default_config_static_selectorELNS0_4arch9wavefront6targetE0EEEvT1_, .Lfunc_end1733-_ZN7rocprim17ROCPRIM_400000_NS6detail17trampoline_kernelINS0_14default_configENS1_27scan_by_key_config_selectorIiiEEZZNS1_16scan_by_key_implILNS1_25lookback_scan_determinismE0ELb1ES3_N6thrust23THRUST_200600_302600_NS6detail15normal_iteratorINS9_10device_ptrIiEEEENSB_INSC_IjEEEENSB_INSC_IfEEEEiNS9_4plusIvEENS9_8equal_toIvEEiEE10hipError_tPvRmT2_T3_T4_T5_mT6_T7_P12ihipStream_tbENKUlT_T0_E_clISt17integral_constantIbLb1EES13_EEDaSY_SZ_EUlSY_E_NS1_11comp_targetILNS1_3genE8ELNS1_11target_archE1030ELNS1_3gpuE2ELNS1_3repE0EEENS1_30default_config_static_selectorELNS0_4arch9wavefront6targetE0EEEvT1_
                                        ; -- End function
	.set _ZN7rocprim17ROCPRIM_400000_NS6detail17trampoline_kernelINS0_14default_configENS1_27scan_by_key_config_selectorIiiEEZZNS1_16scan_by_key_implILNS1_25lookback_scan_determinismE0ELb1ES3_N6thrust23THRUST_200600_302600_NS6detail15normal_iteratorINS9_10device_ptrIiEEEENSB_INSC_IjEEEENSB_INSC_IfEEEEiNS9_4plusIvEENS9_8equal_toIvEEiEE10hipError_tPvRmT2_T3_T4_T5_mT6_T7_P12ihipStream_tbENKUlT_T0_E_clISt17integral_constantIbLb1EES13_EEDaSY_SZ_EUlSY_E_NS1_11comp_targetILNS1_3genE8ELNS1_11target_archE1030ELNS1_3gpuE2ELNS1_3repE0EEENS1_30default_config_static_selectorELNS0_4arch9wavefront6targetE0EEEvT1_.num_vgpr, 0
	.set _ZN7rocprim17ROCPRIM_400000_NS6detail17trampoline_kernelINS0_14default_configENS1_27scan_by_key_config_selectorIiiEEZZNS1_16scan_by_key_implILNS1_25lookback_scan_determinismE0ELb1ES3_N6thrust23THRUST_200600_302600_NS6detail15normal_iteratorINS9_10device_ptrIiEEEENSB_INSC_IjEEEENSB_INSC_IfEEEEiNS9_4plusIvEENS9_8equal_toIvEEiEE10hipError_tPvRmT2_T3_T4_T5_mT6_T7_P12ihipStream_tbENKUlT_T0_E_clISt17integral_constantIbLb1EES13_EEDaSY_SZ_EUlSY_E_NS1_11comp_targetILNS1_3genE8ELNS1_11target_archE1030ELNS1_3gpuE2ELNS1_3repE0EEENS1_30default_config_static_selectorELNS0_4arch9wavefront6targetE0EEEvT1_.num_agpr, 0
	.set _ZN7rocprim17ROCPRIM_400000_NS6detail17trampoline_kernelINS0_14default_configENS1_27scan_by_key_config_selectorIiiEEZZNS1_16scan_by_key_implILNS1_25lookback_scan_determinismE0ELb1ES3_N6thrust23THRUST_200600_302600_NS6detail15normal_iteratorINS9_10device_ptrIiEEEENSB_INSC_IjEEEENSB_INSC_IfEEEEiNS9_4plusIvEENS9_8equal_toIvEEiEE10hipError_tPvRmT2_T3_T4_T5_mT6_T7_P12ihipStream_tbENKUlT_T0_E_clISt17integral_constantIbLb1EES13_EEDaSY_SZ_EUlSY_E_NS1_11comp_targetILNS1_3genE8ELNS1_11target_archE1030ELNS1_3gpuE2ELNS1_3repE0EEENS1_30default_config_static_selectorELNS0_4arch9wavefront6targetE0EEEvT1_.numbered_sgpr, 0
	.set _ZN7rocprim17ROCPRIM_400000_NS6detail17trampoline_kernelINS0_14default_configENS1_27scan_by_key_config_selectorIiiEEZZNS1_16scan_by_key_implILNS1_25lookback_scan_determinismE0ELb1ES3_N6thrust23THRUST_200600_302600_NS6detail15normal_iteratorINS9_10device_ptrIiEEEENSB_INSC_IjEEEENSB_INSC_IfEEEEiNS9_4plusIvEENS9_8equal_toIvEEiEE10hipError_tPvRmT2_T3_T4_T5_mT6_T7_P12ihipStream_tbENKUlT_T0_E_clISt17integral_constantIbLb1EES13_EEDaSY_SZ_EUlSY_E_NS1_11comp_targetILNS1_3genE8ELNS1_11target_archE1030ELNS1_3gpuE2ELNS1_3repE0EEENS1_30default_config_static_selectorELNS0_4arch9wavefront6targetE0EEEvT1_.num_named_barrier, 0
	.set _ZN7rocprim17ROCPRIM_400000_NS6detail17trampoline_kernelINS0_14default_configENS1_27scan_by_key_config_selectorIiiEEZZNS1_16scan_by_key_implILNS1_25lookback_scan_determinismE0ELb1ES3_N6thrust23THRUST_200600_302600_NS6detail15normal_iteratorINS9_10device_ptrIiEEEENSB_INSC_IjEEEENSB_INSC_IfEEEEiNS9_4plusIvEENS9_8equal_toIvEEiEE10hipError_tPvRmT2_T3_T4_T5_mT6_T7_P12ihipStream_tbENKUlT_T0_E_clISt17integral_constantIbLb1EES13_EEDaSY_SZ_EUlSY_E_NS1_11comp_targetILNS1_3genE8ELNS1_11target_archE1030ELNS1_3gpuE2ELNS1_3repE0EEENS1_30default_config_static_selectorELNS0_4arch9wavefront6targetE0EEEvT1_.private_seg_size, 0
	.set _ZN7rocprim17ROCPRIM_400000_NS6detail17trampoline_kernelINS0_14default_configENS1_27scan_by_key_config_selectorIiiEEZZNS1_16scan_by_key_implILNS1_25lookback_scan_determinismE0ELb1ES3_N6thrust23THRUST_200600_302600_NS6detail15normal_iteratorINS9_10device_ptrIiEEEENSB_INSC_IjEEEENSB_INSC_IfEEEEiNS9_4plusIvEENS9_8equal_toIvEEiEE10hipError_tPvRmT2_T3_T4_T5_mT6_T7_P12ihipStream_tbENKUlT_T0_E_clISt17integral_constantIbLb1EES13_EEDaSY_SZ_EUlSY_E_NS1_11comp_targetILNS1_3genE8ELNS1_11target_archE1030ELNS1_3gpuE2ELNS1_3repE0EEENS1_30default_config_static_selectorELNS0_4arch9wavefront6targetE0EEEvT1_.uses_vcc, 0
	.set _ZN7rocprim17ROCPRIM_400000_NS6detail17trampoline_kernelINS0_14default_configENS1_27scan_by_key_config_selectorIiiEEZZNS1_16scan_by_key_implILNS1_25lookback_scan_determinismE0ELb1ES3_N6thrust23THRUST_200600_302600_NS6detail15normal_iteratorINS9_10device_ptrIiEEEENSB_INSC_IjEEEENSB_INSC_IfEEEEiNS9_4plusIvEENS9_8equal_toIvEEiEE10hipError_tPvRmT2_T3_T4_T5_mT6_T7_P12ihipStream_tbENKUlT_T0_E_clISt17integral_constantIbLb1EES13_EEDaSY_SZ_EUlSY_E_NS1_11comp_targetILNS1_3genE8ELNS1_11target_archE1030ELNS1_3gpuE2ELNS1_3repE0EEENS1_30default_config_static_selectorELNS0_4arch9wavefront6targetE0EEEvT1_.uses_flat_scratch, 0
	.set _ZN7rocprim17ROCPRIM_400000_NS6detail17trampoline_kernelINS0_14default_configENS1_27scan_by_key_config_selectorIiiEEZZNS1_16scan_by_key_implILNS1_25lookback_scan_determinismE0ELb1ES3_N6thrust23THRUST_200600_302600_NS6detail15normal_iteratorINS9_10device_ptrIiEEEENSB_INSC_IjEEEENSB_INSC_IfEEEEiNS9_4plusIvEENS9_8equal_toIvEEiEE10hipError_tPvRmT2_T3_T4_T5_mT6_T7_P12ihipStream_tbENKUlT_T0_E_clISt17integral_constantIbLb1EES13_EEDaSY_SZ_EUlSY_E_NS1_11comp_targetILNS1_3genE8ELNS1_11target_archE1030ELNS1_3gpuE2ELNS1_3repE0EEENS1_30default_config_static_selectorELNS0_4arch9wavefront6targetE0EEEvT1_.has_dyn_sized_stack, 0
	.set _ZN7rocprim17ROCPRIM_400000_NS6detail17trampoline_kernelINS0_14default_configENS1_27scan_by_key_config_selectorIiiEEZZNS1_16scan_by_key_implILNS1_25lookback_scan_determinismE0ELb1ES3_N6thrust23THRUST_200600_302600_NS6detail15normal_iteratorINS9_10device_ptrIiEEEENSB_INSC_IjEEEENSB_INSC_IfEEEEiNS9_4plusIvEENS9_8equal_toIvEEiEE10hipError_tPvRmT2_T3_T4_T5_mT6_T7_P12ihipStream_tbENKUlT_T0_E_clISt17integral_constantIbLb1EES13_EEDaSY_SZ_EUlSY_E_NS1_11comp_targetILNS1_3genE8ELNS1_11target_archE1030ELNS1_3gpuE2ELNS1_3repE0EEENS1_30default_config_static_selectorELNS0_4arch9wavefront6targetE0EEEvT1_.has_recursion, 0
	.set _ZN7rocprim17ROCPRIM_400000_NS6detail17trampoline_kernelINS0_14default_configENS1_27scan_by_key_config_selectorIiiEEZZNS1_16scan_by_key_implILNS1_25lookback_scan_determinismE0ELb1ES3_N6thrust23THRUST_200600_302600_NS6detail15normal_iteratorINS9_10device_ptrIiEEEENSB_INSC_IjEEEENSB_INSC_IfEEEEiNS9_4plusIvEENS9_8equal_toIvEEiEE10hipError_tPvRmT2_T3_T4_T5_mT6_T7_P12ihipStream_tbENKUlT_T0_E_clISt17integral_constantIbLb1EES13_EEDaSY_SZ_EUlSY_E_NS1_11comp_targetILNS1_3genE8ELNS1_11target_archE1030ELNS1_3gpuE2ELNS1_3repE0EEENS1_30default_config_static_selectorELNS0_4arch9wavefront6targetE0EEEvT1_.has_indirect_call, 0
	.section	.AMDGPU.csdata,"",@progbits
; Kernel info:
; codeLenInByte = 0
; TotalNumSgprs: 0
; NumVgprs: 0
; ScratchSize: 0
; MemoryBound: 0
; FloatMode: 240
; IeeeMode: 1
; LDSByteSize: 0 bytes/workgroup (compile time only)
; SGPRBlocks: 0
; VGPRBlocks: 0
; NumSGPRsForWavesPerEU: 1
; NumVGPRsForWavesPerEU: 1
; NamedBarCnt: 0
; Occupancy: 16
; WaveLimiterHint : 0
; COMPUTE_PGM_RSRC2:SCRATCH_EN: 0
; COMPUTE_PGM_RSRC2:USER_SGPR: 2
; COMPUTE_PGM_RSRC2:TRAP_HANDLER: 0
; COMPUTE_PGM_RSRC2:TGID_X_EN: 1
; COMPUTE_PGM_RSRC2:TGID_Y_EN: 0
; COMPUTE_PGM_RSRC2:TGID_Z_EN: 0
; COMPUTE_PGM_RSRC2:TIDIG_COMP_CNT: 0
	.section	.text._ZN7rocprim17ROCPRIM_400000_NS6detail17trampoline_kernelINS0_14default_configENS1_27scan_by_key_config_selectorIiiEEZZNS1_16scan_by_key_implILNS1_25lookback_scan_determinismE0ELb1ES3_N6thrust23THRUST_200600_302600_NS6detail15normal_iteratorINS9_10device_ptrIiEEEENSB_INSC_IjEEEENSB_INSC_IfEEEEiNS9_4plusIvEENS9_8equal_toIvEEiEE10hipError_tPvRmT2_T3_T4_T5_mT6_T7_P12ihipStream_tbENKUlT_T0_E_clISt17integral_constantIbLb1EES12_IbLb0EEEEDaSY_SZ_EUlSY_E_NS1_11comp_targetILNS1_3genE0ELNS1_11target_archE4294967295ELNS1_3gpuE0ELNS1_3repE0EEENS1_30default_config_static_selectorELNS0_4arch9wavefront6targetE0EEEvT1_,"axG",@progbits,_ZN7rocprim17ROCPRIM_400000_NS6detail17trampoline_kernelINS0_14default_configENS1_27scan_by_key_config_selectorIiiEEZZNS1_16scan_by_key_implILNS1_25lookback_scan_determinismE0ELb1ES3_N6thrust23THRUST_200600_302600_NS6detail15normal_iteratorINS9_10device_ptrIiEEEENSB_INSC_IjEEEENSB_INSC_IfEEEEiNS9_4plusIvEENS9_8equal_toIvEEiEE10hipError_tPvRmT2_T3_T4_T5_mT6_T7_P12ihipStream_tbENKUlT_T0_E_clISt17integral_constantIbLb1EES12_IbLb0EEEEDaSY_SZ_EUlSY_E_NS1_11comp_targetILNS1_3genE0ELNS1_11target_archE4294967295ELNS1_3gpuE0ELNS1_3repE0EEENS1_30default_config_static_selectorELNS0_4arch9wavefront6targetE0EEEvT1_,comdat
	.protected	_ZN7rocprim17ROCPRIM_400000_NS6detail17trampoline_kernelINS0_14default_configENS1_27scan_by_key_config_selectorIiiEEZZNS1_16scan_by_key_implILNS1_25lookback_scan_determinismE0ELb1ES3_N6thrust23THRUST_200600_302600_NS6detail15normal_iteratorINS9_10device_ptrIiEEEENSB_INSC_IjEEEENSB_INSC_IfEEEEiNS9_4plusIvEENS9_8equal_toIvEEiEE10hipError_tPvRmT2_T3_T4_T5_mT6_T7_P12ihipStream_tbENKUlT_T0_E_clISt17integral_constantIbLb1EES12_IbLb0EEEEDaSY_SZ_EUlSY_E_NS1_11comp_targetILNS1_3genE0ELNS1_11target_archE4294967295ELNS1_3gpuE0ELNS1_3repE0EEENS1_30default_config_static_selectorELNS0_4arch9wavefront6targetE0EEEvT1_ ; -- Begin function _ZN7rocprim17ROCPRIM_400000_NS6detail17trampoline_kernelINS0_14default_configENS1_27scan_by_key_config_selectorIiiEEZZNS1_16scan_by_key_implILNS1_25lookback_scan_determinismE0ELb1ES3_N6thrust23THRUST_200600_302600_NS6detail15normal_iteratorINS9_10device_ptrIiEEEENSB_INSC_IjEEEENSB_INSC_IfEEEEiNS9_4plusIvEENS9_8equal_toIvEEiEE10hipError_tPvRmT2_T3_T4_T5_mT6_T7_P12ihipStream_tbENKUlT_T0_E_clISt17integral_constantIbLb1EES12_IbLb0EEEEDaSY_SZ_EUlSY_E_NS1_11comp_targetILNS1_3genE0ELNS1_11target_archE4294967295ELNS1_3gpuE0ELNS1_3repE0EEENS1_30default_config_static_selectorELNS0_4arch9wavefront6targetE0EEEvT1_
	.globl	_ZN7rocprim17ROCPRIM_400000_NS6detail17trampoline_kernelINS0_14default_configENS1_27scan_by_key_config_selectorIiiEEZZNS1_16scan_by_key_implILNS1_25lookback_scan_determinismE0ELb1ES3_N6thrust23THRUST_200600_302600_NS6detail15normal_iteratorINS9_10device_ptrIiEEEENSB_INSC_IjEEEENSB_INSC_IfEEEEiNS9_4plusIvEENS9_8equal_toIvEEiEE10hipError_tPvRmT2_T3_T4_T5_mT6_T7_P12ihipStream_tbENKUlT_T0_E_clISt17integral_constantIbLb1EES12_IbLb0EEEEDaSY_SZ_EUlSY_E_NS1_11comp_targetILNS1_3genE0ELNS1_11target_archE4294967295ELNS1_3gpuE0ELNS1_3repE0EEENS1_30default_config_static_selectorELNS0_4arch9wavefront6targetE0EEEvT1_
	.p2align	8
	.type	_ZN7rocprim17ROCPRIM_400000_NS6detail17trampoline_kernelINS0_14default_configENS1_27scan_by_key_config_selectorIiiEEZZNS1_16scan_by_key_implILNS1_25lookback_scan_determinismE0ELb1ES3_N6thrust23THRUST_200600_302600_NS6detail15normal_iteratorINS9_10device_ptrIiEEEENSB_INSC_IjEEEENSB_INSC_IfEEEEiNS9_4plusIvEENS9_8equal_toIvEEiEE10hipError_tPvRmT2_T3_T4_T5_mT6_T7_P12ihipStream_tbENKUlT_T0_E_clISt17integral_constantIbLb1EES12_IbLb0EEEEDaSY_SZ_EUlSY_E_NS1_11comp_targetILNS1_3genE0ELNS1_11target_archE4294967295ELNS1_3gpuE0ELNS1_3repE0EEENS1_30default_config_static_selectorELNS0_4arch9wavefront6targetE0EEEvT1_,@function
_ZN7rocprim17ROCPRIM_400000_NS6detail17trampoline_kernelINS0_14default_configENS1_27scan_by_key_config_selectorIiiEEZZNS1_16scan_by_key_implILNS1_25lookback_scan_determinismE0ELb1ES3_N6thrust23THRUST_200600_302600_NS6detail15normal_iteratorINS9_10device_ptrIiEEEENSB_INSC_IjEEEENSB_INSC_IfEEEEiNS9_4plusIvEENS9_8equal_toIvEEiEE10hipError_tPvRmT2_T3_T4_T5_mT6_T7_P12ihipStream_tbENKUlT_T0_E_clISt17integral_constantIbLb1EES12_IbLb0EEEEDaSY_SZ_EUlSY_E_NS1_11comp_targetILNS1_3genE0ELNS1_11target_archE4294967295ELNS1_3gpuE0ELNS1_3repE0EEENS1_30default_config_static_selectorELNS0_4arch9wavefront6targetE0EEEvT1_: ; @_ZN7rocprim17ROCPRIM_400000_NS6detail17trampoline_kernelINS0_14default_configENS1_27scan_by_key_config_selectorIiiEEZZNS1_16scan_by_key_implILNS1_25lookback_scan_determinismE0ELb1ES3_N6thrust23THRUST_200600_302600_NS6detail15normal_iteratorINS9_10device_ptrIiEEEENSB_INSC_IjEEEENSB_INSC_IfEEEEiNS9_4plusIvEENS9_8equal_toIvEEiEE10hipError_tPvRmT2_T3_T4_T5_mT6_T7_P12ihipStream_tbENKUlT_T0_E_clISt17integral_constantIbLb1EES12_IbLb0EEEEDaSY_SZ_EUlSY_E_NS1_11comp_targetILNS1_3genE0ELNS1_11target_archE4294967295ELNS1_3gpuE0ELNS1_3repE0EEENS1_30default_config_static_selectorELNS0_4arch9wavefront6targetE0EEEvT1_
; %bb.0:
	s_endpgm
	.section	.rodata,"a",@progbits
	.p2align	6, 0x0
	.amdhsa_kernel _ZN7rocprim17ROCPRIM_400000_NS6detail17trampoline_kernelINS0_14default_configENS1_27scan_by_key_config_selectorIiiEEZZNS1_16scan_by_key_implILNS1_25lookback_scan_determinismE0ELb1ES3_N6thrust23THRUST_200600_302600_NS6detail15normal_iteratorINS9_10device_ptrIiEEEENSB_INSC_IjEEEENSB_INSC_IfEEEEiNS9_4plusIvEENS9_8equal_toIvEEiEE10hipError_tPvRmT2_T3_T4_T5_mT6_T7_P12ihipStream_tbENKUlT_T0_E_clISt17integral_constantIbLb1EES12_IbLb0EEEEDaSY_SZ_EUlSY_E_NS1_11comp_targetILNS1_3genE0ELNS1_11target_archE4294967295ELNS1_3gpuE0ELNS1_3repE0EEENS1_30default_config_static_selectorELNS0_4arch9wavefront6targetE0EEEvT1_
		.amdhsa_group_segment_fixed_size 0
		.amdhsa_private_segment_fixed_size 0
		.amdhsa_kernarg_size 112
		.amdhsa_user_sgpr_count 2
		.amdhsa_user_sgpr_dispatch_ptr 0
		.amdhsa_user_sgpr_queue_ptr 0
		.amdhsa_user_sgpr_kernarg_segment_ptr 1
		.amdhsa_user_sgpr_dispatch_id 0
		.amdhsa_user_sgpr_kernarg_preload_length 0
		.amdhsa_user_sgpr_kernarg_preload_offset 0
		.amdhsa_user_sgpr_private_segment_size 0
		.amdhsa_wavefront_size32 1
		.amdhsa_uses_dynamic_stack 0
		.amdhsa_enable_private_segment 0
		.amdhsa_system_sgpr_workgroup_id_x 1
		.amdhsa_system_sgpr_workgroup_id_y 0
		.amdhsa_system_sgpr_workgroup_id_z 0
		.amdhsa_system_sgpr_workgroup_info 0
		.amdhsa_system_vgpr_workitem_id 0
		.amdhsa_next_free_vgpr 1
		.amdhsa_next_free_sgpr 1
		.amdhsa_named_barrier_count 0
		.amdhsa_reserve_vcc 0
		.amdhsa_float_round_mode_32 0
		.amdhsa_float_round_mode_16_64 0
		.amdhsa_float_denorm_mode_32 3
		.amdhsa_float_denorm_mode_16_64 3
		.amdhsa_fp16_overflow 0
		.amdhsa_memory_ordered 1
		.amdhsa_forward_progress 1
		.amdhsa_inst_pref_size 1
		.amdhsa_round_robin_scheduling 0
		.amdhsa_exception_fp_ieee_invalid_op 0
		.amdhsa_exception_fp_denorm_src 0
		.amdhsa_exception_fp_ieee_div_zero 0
		.amdhsa_exception_fp_ieee_overflow 0
		.amdhsa_exception_fp_ieee_underflow 0
		.amdhsa_exception_fp_ieee_inexact 0
		.amdhsa_exception_int_div_zero 0
	.end_amdhsa_kernel
	.section	.text._ZN7rocprim17ROCPRIM_400000_NS6detail17trampoline_kernelINS0_14default_configENS1_27scan_by_key_config_selectorIiiEEZZNS1_16scan_by_key_implILNS1_25lookback_scan_determinismE0ELb1ES3_N6thrust23THRUST_200600_302600_NS6detail15normal_iteratorINS9_10device_ptrIiEEEENSB_INSC_IjEEEENSB_INSC_IfEEEEiNS9_4plusIvEENS9_8equal_toIvEEiEE10hipError_tPvRmT2_T3_T4_T5_mT6_T7_P12ihipStream_tbENKUlT_T0_E_clISt17integral_constantIbLb1EES12_IbLb0EEEEDaSY_SZ_EUlSY_E_NS1_11comp_targetILNS1_3genE0ELNS1_11target_archE4294967295ELNS1_3gpuE0ELNS1_3repE0EEENS1_30default_config_static_selectorELNS0_4arch9wavefront6targetE0EEEvT1_,"axG",@progbits,_ZN7rocprim17ROCPRIM_400000_NS6detail17trampoline_kernelINS0_14default_configENS1_27scan_by_key_config_selectorIiiEEZZNS1_16scan_by_key_implILNS1_25lookback_scan_determinismE0ELb1ES3_N6thrust23THRUST_200600_302600_NS6detail15normal_iteratorINS9_10device_ptrIiEEEENSB_INSC_IjEEEENSB_INSC_IfEEEEiNS9_4plusIvEENS9_8equal_toIvEEiEE10hipError_tPvRmT2_T3_T4_T5_mT6_T7_P12ihipStream_tbENKUlT_T0_E_clISt17integral_constantIbLb1EES12_IbLb0EEEEDaSY_SZ_EUlSY_E_NS1_11comp_targetILNS1_3genE0ELNS1_11target_archE4294967295ELNS1_3gpuE0ELNS1_3repE0EEENS1_30default_config_static_selectorELNS0_4arch9wavefront6targetE0EEEvT1_,comdat
.Lfunc_end1734:
	.size	_ZN7rocprim17ROCPRIM_400000_NS6detail17trampoline_kernelINS0_14default_configENS1_27scan_by_key_config_selectorIiiEEZZNS1_16scan_by_key_implILNS1_25lookback_scan_determinismE0ELb1ES3_N6thrust23THRUST_200600_302600_NS6detail15normal_iteratorINS9_10device_ptrIiEEEENSB_INSC_IjEEEENSB_INSC_IfEEEEiNS9_4plusIvEENS9_8equal_toIvEEiEE10hipError_tPvRmT2_T3_T4_T5_mT6_T7_P12ihipStream_tbENKUlT_T0_E_clISt17integral_constantIbLb1EES12_IbLb0EEEEDaSY_SZ_EUlSY_E_NS1_11comp_targetILNS1_3genE0ELNS1_11target_archE4294967295ELNS1_3gpuE0ELNS1_3repE0EEENS1_30default_config_static_selectorELNS0_4arch9wavefront6targetE0EEEvT1_, .Lfunc_end1734-_ZN7rocprim17ROCPRIM_400000_NS6detail17trampoline_kernelINS0_14default_configENS1_27scan_by_key_config_selectorIiiEEZZNS1_16scan_by_key_implILNS1_25lookback_scan_determinismE0ELb1ES3_N6thrust23THRUST_200600_302600_NS6detail15normal_iteratorINS9_10device_ptrIiEEEENSB_INSC_IjEEEENSB_INSC_IfEEEEiNS9_4plusIvEENS9_8equal_toIvEEiEE10hipError_tPvRmT2_T3_T4_T5_mT6_T7_P12ihipStream_tbENKUlT_T0_E_clISt17integral_constantIbLb1EES12_IbLb0EEEEDaSY_SZ_EUlSY_E_NS1_11comp_targetILNS1_3genE0ELNS1_11target_archE4294967295ELNS1_3gpuE0ELNS1_3repE0EEENS1_30default_config_static_selectorELNS0_4arch9wavefront6targetE0EEEvT1_
                                        ; -- End function
	.set _ZN7rocprim17ROCPRIM_400000_NS6detail17trampoline_kernelINS0_14default_configENS1_27scan_by_key_config_selectorIiiEEZZNS1_16scan_by_key_implILNS1_25lookback_scan_determinismE0ELb1ES3_N6thrust23THRUST_200600_302600_NS6detail15normal_iteratorINS9_10device_ptrIiEEEENSB_INSC_IjEEEENSB_INSC_IfEEEEiNS9_4plusIvEENS9_8equal_toIvEEiEE10hipError_tPvRmT2_T3_T4_T5_mT6_T7_P12ihipStream_tbENKUlT_T0_E_clISt17integral_constantIbLb1EES12_IbLb0EEEEDaSY_SZ_EUlSY_E_NS1_11comp_targetILNS1_3genE0ELNS1_11target_archE4294967295ELNS1_3gpuE0ELNS1_3repE0EEENS1_30default_config_static_selectorELNS0_4arch9wavefront6targetE0EEEvT1_.num_vgpr, 0
	.set _ZN7rocprim17ROCPRIM_400000_NS6detail17trampoline_kernelINS0_14default_configENS1_27scan_by_key_config_selectorIiiEEZZNS1_16scan_by_key_implILNS1_25lookback_scan_determinismE0ELb1ES3_N6thrust23THRUST_200600_302600_NS6detail15normal_iteratorINS9_10device_ptrIiEEEENSB_INSC_IjEEEENSB_INSC_IfEEEEiNS9_4plusIvEENS9_8equal_toIvEEiEE10hipError_tPvRmT2_T3_T4_T5_mT6_T7_P12ihipStream_tbENKUlT_T0_E_clISt17integral_constantIbLb1EES12_IbLb0EEEEDaSY_SZ_EUlSY_E_NS1_11comp_targetILNS1_3genE0ELNS1_11target_archE4294967295ELNS1_3gpuE0ELNS1_3repE0EEENS1_30default_config_static_selectorELNS0_4arch9wavefront6targetE0EEEvT1_.num_agpr, 0
	.set _ZN7rocprim17ROCPRIM_400000_NS6detail17trampoline_kernelINS0_14default_configENS1_27scan_by_key_config_selectorIiiEEZZNS1_16scan_by_key_implILNS1_25lookback_scan_determinismE0ELb1ES3_N6thrust23THRUST_200600_302600_NS6detail15normal_iteratorINS9_10device_ptrIiEEEENSB_INSC_IjEEEENSB_INSC_IfEEEEiNS9_4plusIvEENS9_8equal_toIvEEiEE10hipError_tPvRmT2_T3_T4_T5_mT6_T7_P12ihipStream_tbENKUlT_T0_E_clISt17integral_constantIbLb1EES12_IbLb0EEEEDaSY_SZ_EUlSY_E_NS1_11comp_targetILNS1_3genE0ELNS1_11target_archE4294967295ELNS1_3gpuE0ELNS1_3repE0EEENS1_30default_config_static_selectorELNS0_4arch9wavefront6targetE0EEEvT1_.numbered_sgpr, 0
	.set _ZN7rocprim17ROCPRIM_400000_NS6detail17trampoline_kernelINS0_14default_configENS1_27scan_by_key_config_selectorIiiEEZZNS1_16scan_by_key_implILNS1_25lookback_scan_determinismE0ELb1ES3_N6thrust23THRUST_200600_302600_NS6detail15normal_iteratorINS9_10device_ptrIiEEEENSB_INSC_IjEEEENSB_INSC_IfEEEEiNS9_4plusIvEENS9_8equal_toIvEEiEE10hipError_tPvRmT2_T3_T4_T5_mT6_T7_P12ihipStream_tbENKUlT_T0_E_clISt17integral_constantIbLb1EES12_IbLb0EEEEDaSY_SZ_EUlSY_E_NS1_11comp_targetILNS1_3genE0ELNS1_11target_archE4294967295ELNS1_3gpuE0ELNS1_3repE0EEENS1_30default_config_static_selectorELNS0_4arch9wavefront6targetE0EEEvT1_.num_named_barrier, 0
	.set _ZN7rocprim17ROCPRIM_400000_NS6detail17trampoline_kernelINS0_14default_configENS1_27scan_by_key_config_selectorIiiEEZZNS1_16scan_by_key_implILNS1_25lookback_scan_determinismE0ELb1ES3_N6thrust23THRUST_200600_302600_NS6detail15normal_iteratorINS9_10device_ptrIiEEEENSB_INSC_IjEEEENSB_INSC_IfEEEEiNS9_4plusIvEENS9_8equal_toIvEEiEE10hipError_tPvRmT2_T3_T4_T5_mT6_T7_P12ihipStream_tbENKUlT_T0_E_clISt17integral_constantIbLb1EES12_IbLb0EEEEDaSY_SZ_EUlSY_E_NS1_11comp_targetILNS1_3genE0ELNS1_11target_archE4294967295ELNS1_3gpuE0ELNS1_3repE0EEENS1_30default_config_static_selectorELNS0_4arch9wavefront6targetE0EEEvT1_.private_seg_size, 0
	.set _ZN7rocprim17ROCPRIM_400000_NS6detail17trampoline_kernelINS0_14default_configENS1_27scan_by_key_config_selectorIiiEEZZNS1_16scan_by_key_implILNS1_25lookback_scan_determinismE0ELb1ES3_N6thrust23THRUST_200600_302600_NS6detail15normal_iteratorINS9_10device_ptrIiEEEENSB_INSC_IjEEEENSB_INSC_IfEEEEiNS9_4plusIvEENS9_8equal_toIvEEiEE10hipError_tPvRmT2_T3_T4_T5_mT6_T7_P12ihipStream_tbENKUlT_T0_E_clISt17integral_constantIbLb1EES12_IbLb0EEEEDaSY_SZ_EUlSY_E_NS1_11comp_targetILNS1_3genE0ELNS1_11target_archE4294967295ELNS1_3gpuE0ELNS1_3repE0EEENS1_30default_config_static_selectorELNS0_4arch9wavefront6targetE0EEEvT1_.uses_vcc, 0
	.set _ZN7rocprim17ROCPRIM_400000_NS6detail17trampoline_kernelINS0_14default_configENS1_27scan_by_key_config_selectorIiiEEZZNS1_16scan_by_key_implILNS1_25lookback_scan_determinismE0ELb1ES3_N6thrust23THRUST_200600_302600_NS6detail15normal_iteratorINS9_10device_ptrIiEEEENSB_INSC_IjEEEENSB_INSC_IfEEEEiNS9_4plusIvEENS9_8equal_toIvEEiEE10hipError_tPvRmT2_T3_T4_T5_mT6_T7_P12ihipStream_tbENKUlT_T0_E_clISt17integral_constantIbLb1EES12_IbLb0EEEEDaSY_SZ_EUlSY_E_NS1_11comp_targetILNS1_3genE0ELNS1_11target_archE4294967295ELNS1_3gpuE0ELNS1_3repE0EEENS1_30default_config_static_selectorELNS0_4arch9wavefront6targetE0EEEvT1_.uses_flat_scratch, 0
	.set _ZN7rocprim17ROCPRIM_400000_NS6detail17trampoline_kernelINS0_14default_configENS1_27scan_by_key_config_selectorIiiEEZZNS1_16scan_by_key_implILNS1_25lookback_scan_determinismE0ELb1ES3_N6thrust23THRUST_200600_302600_NS6detail15normal_iteratorINS9_10device_ptrIiEEEENSB_INSC_IjEEEENSB_INSC_IfEEEEiNS9_4plusIvEENS9_8equal_toIvEEiEE10hipError_tPvRmT2_T3_T4_T5_mT6_T7_P12ihipStream_tbENKUlT_T0_E_clISt17integral_constantIbLb1EES12_IbLb0EEEEDaSY_SZ_EUlSY_E_NS1_11comp_targetILNS1_3genE0ELNS1_11target_archE4294967295ELNS1_3gpuE0ELNS1_3repE0EEENS1_30default_config_static_selectorELNS0_4arch9wavefront6targetE0EEEvT1_.has_dyn_sized_stack, 0
	.set _ZN7rocprim17ROCPRIM_400000_NS6detail17trampoline_kernelINS0_14default_configENS1_27scan_by_key_config_selectorIiiEEZZNS1_16scan_by_key_implILNS1_25lookback_scan_determinismE0ELb1ES3_N6thrust23THRUST_200600_302600_NS6detail15normal_iteratorINS9_10device_ptrIiEEEENSB_INSC_IjEEEENSB_INSC_IfEEEEiNS9_4plusIvEENS9_8equal_toIvEEiEE10hipError_tPvRmT2_T3_T4_T5_mT6_T7_P12ihipStream_tbENKUlT_T0_E_clISt17integral_constantIbLb1EES12_IbLb0EEEEDaSY_SZ_EUlSY_E_NS1_11comp_targetILNS1_3genE0ELNS1_11target_archE4294967295ELNS1_3gpuE0ELNS1_3repE0EEENS1_30default_config_static_selectorELNS0_4arch9wavefront6targetE0EEEvT1_.has_recursion, 0
	.set _ZN7rocprim17ROCPRIM_400000_NS6detail17trampoline_kernelINS0_14default_configENS1_27scan_by_key_config_selectorIiiEEZZNS1_16scan_by_key_implILNS1_25lookback_scan_determinismE0ELb1ES3_N6thrust23THRUST_200600_302600_NS6detail15normal_iteratorINS9_10device_ptrIiEEEENSB_INSC_IjEEEENSB_INSC_IfEEEEiNS9_4plusIvEENS9_8equal_toIvEEiEE10hipError_tPvRmT2_T3_T4_T5_mT6_T7_P12ihipStream_tbENKUlT_T0_E_clISt17integral_constantIbLb1EES12_IbLb0EEEEDaSY_SZ_EUlSY_E_NS1_11comp_targetILNS1_3genE0ELNS1_11target_archE4294967295ELNS1_3gpuE0ELNS1_3repE0EEENS1_30default_config_static_selectorELNS0_4arch9wavefront6targetE0EEEvT1_.has_indirect_call, 0
	.section	.AMDGPU.csdata,"",@progbits
; Kernel info:
; codeLenInByte = 4
; TotalNumSgprs: 0
; NumVgprs: 0
; ScratchSize: 0
; MemoryBound: 0
; FloatMode: 240
; IeeeMode: 1
; LDSByteSize: 0 bytes/workgroup (compile time only)
; SGPRBlocks: 0
; VGPRBlocks: 0
; NumSGPRsForWavesPerEU: 1
; NumVGPRsForWavesPerEU: 1
; NamedBarCnt: 0
; Occupancy: 16
; WaveLimiterHint : 0
; COMPUTE_PGM_RSRC2:SCRATCH_EN: 0
; COMPUTE_PGM_RSRC2:USER_SGPR: 2
; COMPUTE_PGM_RSRC2:TRAP_HANDLER: 0
; COMPUTE_PGM_RSRC2:TGID_X_EN: 1
; COMPUTE_PGM_RSRC2:TGID_Y_EN: 0
; COMPUTE_PGM_RSRC2:TGID_Z_EN: 0
; COMPUTE_PGM_RSRC2:TIDIG_COMP_CNT: 0
	.section	.text._ZN7rocprim17ROCPRIM_400000_NS6detail17trampoline_kernelINS0_14default_configENS1_27scan_by_key_config_selectorIiiEEZZNS1_16scan_by_key_implILNS1_25lookback_scan_determinismE0ELb1ES3_N6thrust23THRUST_200600_302600_NS6detail15normal_iteratorINS9_10device_ptrIiEEEENSB_INSC_IjEEEENSB_INSC_IfEEEEiNS9_4plusIvEENS9_8equal_toIvEEiEE10hipError_tPvRmT2_T3_T4_T5_mT6_T7_P12ihipStream_tbENKUlT_T0_E_clISt17integral_constantIbLb1EES12_IbLb0EEEEDaSY_SZ_EUlSY_E_NS1_11comp_targetILNS1_3genE10ELNS1_11target_archE1201ELNS1_3gpuE5ELNS1_3repE0EEENS1_30default_config_static_selectorELNS0_4arch9wavefront6targetE0EEEvT1_,"axG",@progbits,_ZN7rocprim17ROCPRIM_400000_NS6detail17trampoline_kernelINS0_14default_configENS1_27scan_by_key_config_selectorIiiEEZZNS1_16scan_by_key_implILNS1_25lookback_scan_determinismE0ELb1ES3_N6thrust23THRUST_200600_302600_NS6detail15normal_iteratorINS9_10device_ptrIiEEEENSB_INSC_IjEEEENSB_INSC_IfEEEEiNS9_4plusIvEENS9_8equal_toIvEEiEE10hipError_tPvRmT2_T3_T4_T5_mT6_T7_P12ihipStream_tbENKUlT_T0_E_clISt17integral_constantIbLb1EES12_IbLb0EEEEDaSY_SZ_EUlSY_E_NS1_11comp_targetILNS1_3genE10ELNS1_11target_archE1201ELNS1_3gpuE5ELNS1_3repE0EEENS1_30default_config_static_selectorELNS0_4arch9wavefront6targetE0EEEvT1_,comdat
	.protected	_ZN7rocprim17ROCPRIM_400000_NS6detail17trampoline_kernelINS0_14default_configENS1_27scan_by_key_config_selectorIiiEEZZNS1_16scan_by_key_implILNS1_25lookback_scan_determinismE0ELb1ES3_N6thrust23THRUST_200600_302600_NS6detail15normal_iteratorINS9_10device_ptrIiEEEENSB_INSC_IjEEEENSB_INSC_IfEEEEiNS9_4plusIvEENS9_8equal_toIvEEiEE10hipError_tPvRmT2_T3_T4_T5_mT6_T7_P12ihipStream_tbENKUlT_T0_E_clISt17integral_constantIbLb1EES12_IbLb0EEEEDaSY_SZ_EUlSY_E_NS1_11comp_targetILNS1_3genE10ELNS1_11target_archE1201ELNS1_3gpuE5ELNS1_3repE0EEENS1_30default_config_static_selectorELNS0_4arch9wavefront6targetE0EEEvT1_ ; -- Begin function _ZN7rocprim17ROCPRIM_400000_NS6detail17trampoline_kernelINS0_14default_configENS1_27scan_by_key_config_selectorIiiEEZZNS1_16scan_by_key_implILNS1_25lookback_scan_determinismE0ELb1ES3_N6thrust23THRUST_200600_302600_NS6detail15normal_iteratorINS9_10device_ptrIiEEEENSB_INSC_IjEEEENSB_INSC_IfEEEEiNS9_4plusIvEENS9_8equal_toIvEEiEE10hipError_tPvRmT2_T3_T4_T5_mT6_T7_P12ihipStream_tbENKUlT_T0_E_clISt17integral_constantIbLb1EES12_IbLb0EEEEDaSY_SZ_EUlSY_E_NS1_11comp_targetILNS1_3genE10ELNS1_11target_archE1201ELNS1_3gpuE5ELNS1_3repE0EEENS1_30default_config_static_selectorELNS0_4arch9wavefront6targetE0EEEvT1_
	.globl	_ZN7rocprim17ROCPRIM_400000_NS6detail17trampoline_kernelINS0_14default_configENS1_27scan_by_key_config_selectorIiiEEZZNS1_16scan_by_key_implILNS1_25lookback_scan_determinismE0ELb1ES3_N6thrust23THRUST_200600_302600_NS6detail15normal_iteratorINS9_10device_ptrIiEEEENSB_INSC_IjEEEENSB_INSC_IfEEEEiNS9_4plusIvEENS9_8equal_toIvEEiEE10hipError_tPvRmT2_T3_T4_T5_mT6_T7_P12ihipStream_tbENKUlT_T0_E_clISt17integral_constantIbLb1EES12_IbLb0EEEEDaSY_SZ_EUlSY_E_NS1_11comp_targetILNS1_3genE10ELNS1_11target_archE1201ELNS1_3gpuE5ELNS1_3repE0EEENS1_30default_config_static_selectorELNS0_4arch9wavefront6targetE0EEEvT1_
	.p2align	8
	.type	_ZN7rocprim17ROCPRIM_400000_NS6detail17trampoline_kernelINS0_14default_configENS1_27scan_by_key_config_selectorIiiEEZZNS1_16scan_by_key_implILNS1_25lookback_scan_determinismE0ELb1ES3_N6thrust23THRUST_200600_302600_NS6detail15normal_iteratorINS9_10device_ptrIiEEEENSB_INSC_IjEEEENSB_INSC_IfEEEEiNS9_4plusIvEENS9_8equal_toIvEEiEE10hipError_tPvRmT2_T3_T4_T5_mT6_T7_P12ihipStream_tbENKUlT_T0_E_clISt17integral_constantIbLb1EES12_IbLb0EEEEDaSY_SZ_EUlSY_E_NS1_11comp_targetILNS1_3genE10ELNS1_11target_archE1201ELNS1_3gpuE5ELNS1_3repE0EEENS1_30default_config_static_selectorELNS0_4arch9wavefront6targetE0EEEvT1_,@function
_ZN7rocprim17ROCPRIM_400000_NS6detail17trampoline_kernelINS0_14default_configENS1_27scan_by_key_config_selectorIiiEEZZNS1_16scan_by_key_implILNS1_25lookback_scan_determinismE0ELb1ES3_N6thrust23THRUST_200600_302600_NS6detail15normal_iteratorINS9_10device_ptrIiEEEENSB_INSC_IjEEEENSB_INSC_IfEEEEiNS9_4plusIvEENS9_8equal_toIvEEiEE10hipError_tPvRmT2_T3_T4_T5_mT6_T7_P12ihipStream_tbENKUlT_T0_E_clISt17integral_constantIbLb1EES12_IbLb0EEEEDaSY_SZ_EUlSY_E_NS1_11comp_targetILNS1_3genE10ELNS1_11target_archE1201ELNS1_3gpuE5ELNS1_3repE0EEENS1_30default_config_static_selectorELNS0_4arch9wavefront6targetE0EEEvT1_: ; @_ZN7rocprim17ROCPRIM_400000_NS6detail17trampoline_kernelINS0_14default_configENS1_27scan_by_key_config_selectorIiiEEZZNS1_16scan_by_key_implILNS1_25lookback_scan_determinismE0ELb1ES3_N6thrust23THRUST_200600_302600_NS6detail15normal_iteratorINS9_10device_ptrIiEEEENSB_INSC_IjEEEENSB_INSC_IfEEEEiNS9_4plusIvEENS9_8equal_toIvEEiEE10hipError_tPvRmT2_T3_T4_T5_mT6_T7_P12ihipStream_tbENKUlT_T0_E_clISt17integral_constantIbLb1EES12_IbLb0EEEEDaSY_SZ_EUlSY_E_NS1_11comp_targetILNS1_3genE10ELNS1_11target_archE1201ELNS1_3gpuE5ELNS1_3repE0EEENS1_30default_config_static_selectorELNS0_4arch9wavefront6targetE0EEEvT1_
; %bb.0:
	.section	.rodata,"a",@progbits
	.p2align	6, 0x0
	.amdhsa_kernel _ZN7rocprim17ROCPRIM_400000_NS6detail17trampoline_kernelINS0_14default_configENS1_27scan_by_key_config_selectorIiiEEZZNS1_16scan_by_key_implILNS1_25lookback_scan_determinismE0ELb1ES3_N6thrust23THRUST_200600_302600_NS6detail15normal_iteratorINS9_10device_ptrIiEEEENSB_INSC_IjEEEENSB_INSC_IfEEEEiNS9_4plusIvEENS9_8equal_toIvEEiEE10hipError_tPvRmT2_T3_T4_T5_mT6_T7_P12ihipStream_tbENKUlT_T0_E_clISt17integral_constantIbLb1EES12_IbLb0EEEEDaSY_SZ_EUlSY_E_NS1_11comp_targetILNS1_3genE10ELNS1_11target_archE1201ELNS1_3gpuE5ELNS1_3repE0EEENS1_30default_config_static_selectorELNS0_4arch9wavefront6targetE0EEEvT1_
		.amdhsa_group_segment_fixed_size 0
		.amdhsa_private_segment_fixed_size 0
		.amdhsa_kernarg_size 112
		.amdhsa_user_sgpr_count 2
		.amdhsa_user_sgpr_dispatch_ptr 0
		.amdhsa_user_sgpr_queue_ptr 0
		.amdhsa_user_sgpr_kernarg_segment_ptr 1
		.amdhsa_user_sgpr_dispatch_id 0
		.amdhsa_user_sgpr_kernarg_preload_length 0
		.amdhsa_user_sgpr_kernarg_preload_offset 0
		.amdhsa_user_sgpr_private_segment_size 0
		.amdhsa_wavefront_size32 1
		.amdhsa_uses_dynamic_stack 0
		.amdhsa_enable_private_segment 0
		.amdhsa_system_sgpr_workgroup_id_x 1
		.amdhsa_system_sgpr_workgroup_id_y 0
		.amdhsa_system_sgpr_workgroup_id_z 0
		.amdhsa_system_sgpr_workgroup_info 0
		.amdhsa_system_vgpr_workitem_id 0
		.amdhsa_next_free_vgpr 1
		.amdhsa_next_free_sgpr 1
		.amdhsa_named_barrier_count 0
		.amdhsa_reserve_vcc 0
		.amdhsa_float_round_mode_32 0
		.amdhsa_float_round_mode_16_64 0
		.amdhsa_float_denorm_mode_32 3
		.amdhsa_float_denorm_mode_16_64 3
		.amdhsa_fp16_overflow 0
		.amdhsa_memory_ordered 1
		.amdhsa_forward_progress 1
		.amdhsa_inst_pref_size 0
		.amdhsa_round_robin_scheduling 0
		.amdhsa_exception_fp_ieee_invalid_op 0
		.amdhsa_exception_fp_denorm_src 0
		.amdhsa_exception_fp_ieee_div_zero 0
		.amdhsa_exception_fp_ieee_overflow 0
		.amdhsa_exception_fp_ieee_underflow 0
		.amdhsa_exception_fp_ieee_inexact 0
		.amdhsa_exception_int_div_zero 0
	.end_amdhsa_kernel
	.section	.text._ZN7rocprim17ROCPRIM_400000_NS6detail17trampoline_kernelINS0_14default_configENS1_27scan_by_key_config_selectorIiiEEZZNS1_16scan_by_key_implILNS1_25lookback_scan_determinismE0ELb1ES3_N6thrust23THRUST_200600_302600_NS6detail15normal_iteratorINS9_10device_ptrIiEEEENSB_INSC_IjEEEENSB_INSC_IfEEEEiNS9_4plusIvEENS9_8equal_toIvEEiEE10hipError_tPvRmT2_T3_T4_T5_mT6_T7_P12ihipStream_tbENKUlT_T0_E_clISt17integral_constantIbLb1EES12_IbLb0EEEEDaSY_SZ_EUlSY_E_NS1_11comp_targetILNS1_3genE10ELNS1_11target_archE1201ELNS1_3gpuE5ELNS1_3repE0EEENS1_30default_config_static_selectorELNS0_4arch9wavefront6targetE0EEEvT1_,"axG",@progbits,_ZN7rocprim17ROCPRIM_400000_NS6detail17trampoline_kernelINS0_14default_configENS1_27scan_by_key_config_selectorIiiEEZZNS1_16scan_by_key_implILNS1_25lookback_scan_determinismE0ELb1ES3_N6thrust23THRUST_200600_302600_NS6detail15normal_iteratorINS9_10device_ptrIiEEEENSB_INSC_IjEEEENSB_INSC_IfEEEEiNS9_4plusIvEENS9_8equal_toIvEEiEE10hipError_tPvRmT2_T3_T4_T5_mT6_T7_P12ihipStream_tbENKUlT_T0_E_clISt17integral_constantIbLb1EES12_IbLb0EEEEDaSY_SZ_EUlSY_E_NS1_11comp_targetILNS1_3genE10ELNS1_11target_archE1201ELNS1_3gpuE5ELNS1_3repE0EEENS1_30default_config_static_selectorELNS0_4arch9wavefront6targetE0EEEvT1_,comdat
.Lfunc_end1735:
	.size	_ZN7rocprim17ROCPRIM_400000_NS6detail17trampoline_kernelINS0_14default_configENS1_27scan_by_key_config_selectorIiiEEZZNS1_16scan_by_key_implILNS1_25lookback_scan_determinismE0ELb1ES3_N6thrust23THRUST_200600_302600_NS6detail15normal_iteratorINS9_10device_ptrIiEEEENSB_INSC_IjEEEENSB_INSC_IfEEEEiNS9_4plusIvEENS9_8equal_toIvEEiEE10hipError_tPvRmT2_T3_T4_T5_mT6_T7_P12ihipStream_tbENKUlT_T0_E_clISt17integral_constantIbLb1EES12_IbLb0EEEEDaSY_SZ_EUlSY_E_NS1_11comp_targetILNS1_3genE10ELNS1_11target_archE1201ELNS1_3gpuE5ELNS1_3repE0EEENS1_30default_config_static_selectorELNS0_4arch9wavefront6targetE0EEEvT1_, .Lfunc_end1735-_ZN7rocprim17ROCPRIM_400000_NS6detail17trampoline_kernelINS0_14default_configENS1_27scan_by_key_config_selectorIiiEEZZNS1_16scan_by_key_implILNS1_25lookback_scan_determinismE0ELb1ES3_N6thrust23THRUST_200600_302600_NS6detail15normal_iteratorINS9_10device_ptrIiEEEENSB_INSC_IjEEEENSB_INSC_IfEEEEiNS9_4plusIvEENS9_8equal_toIvEEiEE10hipError_tPvRmT2_T3_T4_T5_mT6_T7_P12ihipStream_tbENKUlT_T0_E_clISt17integral_constantIbLb1EES12_IbLb0EEEEDaSY_SZ_EUlSY_E_NS1_11comp_targetILNS1_3genE10ELNS1_11target_archE1201ELNS1_3gpuE5ELNS1_3repE0EEENS1_30default_config_static_selectorELNS0_4arch9wavefront6targetE0EEEvT1_
                                        ; -- End function
	.set _ZN7rocprim17ROCPRIM_400000_NS6detail17trampoline_kernelINS0_14default_configENS1_27scan_by_key_config_selectorIiiEEZZNS1_16scan_by_key_implILNS1_25lookback_scan_determinismE0ELb1ES3_N6thrust23THRUST_200600_302600_NS6detail15normal_iteratorINS9_10device_ptrIiEEEENSB_INSC_IjEEEENSB_INSC_IfEEEEiNS9_4plusIvEENS9_8equal_toIvEEiEE10hipError_tPvRmT2_T3_T4_T5_mT6_T7_P12ihipStream_tbENKUlT_T0_E_clISt17integral_constantIbLb1EES12_IbLb0EEEEDaSY_SZ_EUlSY_E_NS1_11comp_targetILNS1_3genE10ELNS1_11target_archE1201ELNS1_3gpuE5ELNS1_3repE0EEENS1_30default_config_static_selectorELNS0_4arch9wavefront6targetE0EEEvT1_.num_vgpr, 0
	.set _ZN7rocprim17ROCPRIM_400000_NS6detail17trampoline_kernelINS0_14default_configENS1_27scan_by_key_config_selectorIiiEEZZNS1_16scan_by_key_implILNS1_25lookback_scan_determinismE0ELb1ES3_N6thrust23THRUST_200600_302600_NS6detail15normal_iteratorINS9_10device_ptrIiEEEENSB_INSC_IjEEEENSB_INSC_IfEEEEiNS9_4plusIvEENS9_8equal_toIvEEiEE10hipError_tPvRmT2_T3_T4_T5_mT6_T7_P12ihipStream_tbENKUlT_T0_E_clISt17integral_constantIbLb1EES12_IbLb0EEEEDaSY_SZ_EUlSY_E_NS1_11comp_targetILNS1_3genE10ELNS1_11target_archE1201ELNS1_3gpuE5ELNS1_3repE0EEENS1_30default_config_static_selectorELNS0_4arch9wavefront6targetE0EEEvT1_.num_agpr, 0
	.set _ZN7rocprim17ROCPRIM_400000_NS6detail17trampoline_kernelINS0_14default_configENS1_27scan_by_key_config_selectorIiiEEZZNS1_16scan_by_key_implILNS1_25lookback_scan_determinismE0ELb1ES3_N6thrust23THRUST_200600_302600_NS6detail15normal_iteratorINS9_10device_ptrIiEEEENSB_INSC_IjEEEENSB_INSC_IfEEEEiNS9_4plusIvEENS9_8equal_toIvEEiEE10hipError_tPvRmT2_T3_T4_T5_mT6_T7_P12ihipStream_tbENKUlT_T0_E_clISt17integral_constantIbLb1EES12_IbLb0EEEEDaSY_SZ_EUlSY_E_NS1_11comp_targetILNS1_3genE10ELNS1_11target_archE1201ELNS1_3gpuE5ELNS1_3repE0EEENS1_30default_config_static_selectorELNS0_4arch9wavefront6targetE0EEEvT1_.numbered_sgpr, 0
	.set _ZN7rocprim17ROCPRIM_400000_NS6detail17trampoline_kernelINS0_14default_configENS1_27scan_by_key_config_selectorIiiEEZZNS1_16scan_by_key_implILNS1_25lookback_scan_determinismE0ELb1ES3_N6thrust23THRUST_200600_302600_NS6detail15normal_iteratorINS9_10device_ptrIiEEEENSB_INSC_IjEEEENSB_INSC_IfEEEEiNS9_4plusIvEENS9_8equal_toIvEEiEE10hipError_tPvRmT2_T3_T4_T5_mT6_T7_P12ihipStream_tbENKUlT_T0_E_clISt17integral_constantIbLb1EES12_IbLb0EEEEDaSY_SZ_EUlSY_E_NS1_11comp_targetILNS1_3genE10ELNS1_11target_archE1201ELNS1_3gpuE5ELNS1_3repE0EEENS1_30default_config_static_selectorELNS0_4arch9wavefront6targetE0EEEvT1_.num_named_barrier, 0
	.set _ZN7rocprim17ROCPRIM_400000_NS6detail17trampoline_kernelINS0_14default_configENS1_27scan_by_key_config_selectorIiiEEZZNS1_16scan_by_key_implILNS1_25lookback_scan_determinismE0ELb1ES3_N6thrust23THRUST_200600_302600_NS6detail15normal_iteratorINS9_10device_ptrIiEEEENSB_INSC_IjEEEENSB_INSC_IfEEEEiNS9_4plusIvEENS9_8equal_toIvEEiEE10hipError_tPvRmT2_T3_T4_T5_mT6_T7_P12ihipStream_tbENKUlT_T0_E_clISt17integral_constantIbLb1EES12_IbLb0EEEEDaSY_SZ_EUlSY_E_NS1_11comp_targetILNS1_3genE10ELNS1_11target_archE1201ELNS1_3gpuE5ELNS1_3repE0EEENS1_30default_config_static_selectorELNS0_4arch9wavefront6targetE0EEEvT1_.private_seg_size, 0
	.set _ZN7rocprim17ROCPRIM_400000_NS6detail17trampoline_kernelINS0_14default_configENS1_27scan_by_key_config_selectorIiiEEZZNS1_16scan_by_key_implILNS1_25lookback_scan_determinismE0ELb1ES3_N6thrust23THRUST_200600_302600_NS6detail15normal_iteratorINS9_10device_ptrIiEEEENSB_INSC_IjEEEENSB_INSC_IfEEEEiNS9_4plusIvEENS9_8equal_toIvEEiEE10hipError_tPvRmT2_T3_T4_T5_mT6_T7_P12ihipStream_tbENKUlT_T0_E_clISt17integral_constantIbLb1EES12_IbLb0EEEEDaSY_SZ_EUlSY_E_NS1_11comp_targetILNS1_3genE10ELNS1_11target_archE1201ELNS1_3gpuE5ELNS1_3repE0EEENS1_30default_config_static_selectorELNS0_4arch9wavefront6targetE0EEEvT1_.uses_vcc, 0
	.set _ZN7rocprim17ROCPRIM_400000_NS6detail17trampoline_kernelINS0_14default_configENS1_27scan_by_key_config_selectorIiiEEZZNS1_16scan_by_key_implILNS1_25lookback_scan_determinismE0ELb1ES3_N6thrust23THRUST_200600_302600_NS6detail15normal_iteratorINS9_10device_ptrIiEEEENSB_INSC_IjEEEENSB_INSC_IfEEEEiNS9_4plusIvEENS9_8equal_toIvEEiEE10hipError_tPvRmT2_T3_T4_T5_mT6_T7_P12ihipStream_tbENKUlT_T0_E_clISt17integral_constantIbLb1EES12_IbLb0EEEEDaSY_SZ_EUlSY_E_NS1_11comp_targetILNS1_3genE10ELNS1_11target_archE1201ELNS1_3gpuE5ELNS1_3repE0EEENS1_30default_config_static_selectorELNS0_4arch9wavefront6targetE0EEEvT1_.uses_flat_scratch, 0
	.set _ZN7rocprim17ROCPRIM_400000_NS6detail17trampoline_kernelINS0_14default_configENS1_27scan_by_key_config_selectorIiiEEZZNS1_16scan_by_key_implILNS1_25lookback_scan_determinismE0ELb1ES3_N6thrust23THRUST_200600_302600_NS6detail15normal_iteratorINS9_10device_ptrIiEEEENSB_INSC_IjEEEENSB_INSC_IfEEEEiNS9_4plusIvEENS9_8equal_toIvEEiEE10hipError_tPvRmT2_T3_T4_T5_mT6_T7_P12ihipStream_tbENKUlT_T0_E_clISt17integral_constantIbLb1EES12_IbLb0EEEEDaSY_SZ_EUlSY_E_NS1_11comp_targetILNS1_3genE10ELNS1_11target_archE1201ELNS1_3gpuE5ELNS1_3repE0EEENS1_30default_config_static_selectorELNS0_4arch9wavefront6targetE0EEEvT1_.has_dyn_sized_stack, 0
	.set _ZN7rocprim17ROCPRIM_400000_NS6detail17trampoline_kernelINS0_14default_configENS1_27scan_by_key_config_selectorIiiEEZZNS1_16scan_by_key_implILNS1_25lookback_scan_determinismE0ELb1ES3_N6thrust23THRUST_200600_302600_NS6detail15normal_iteratorINS9_10device_ptrIiEEEENSB_INSC_IjEEEENSB_INSC_IfEEEEiNS9_4plusIvEENS9_8equal_toIvEEiEE10hipError_tPvRmT2_T3_T4_T5_mT6_T7_P12ihipStream_tbENKUlT_T0_E_clISt17integral_constantIbLb1EES12_IbLb0EEEEDaSY_SZ_EUlSY_E_NS1_11comp_targetILNS1_3genE10ELNS1_11target_archE1201ELNS1_3gpuE5ELNS1_3repE0EEENS1_30default_config_static_selectorELNS0_4arch9wavefront6targetE0EEEvT1_.has_recursion, 0
	.set _ZN7rocprim17ROCPRIM_400000_NS6detail17trampoline_kernelINS0_14default_configENS1_27scan_by_key_config_selectorIiiEEZZNS1_16scan_by_key_implILNS1_25lookback_scan_determinismE0ELb1ES3_N6thrust23THRUST_200600_302600_NS6detail15normal_iteratorINS9_10device_ptrIiEEEENSB_INSC_IjEEEENSB_INSC_IfEEEEiNS9_4plusIvEENS9_8equal_toIvEEiEE10hipError_tPvRmT2_T3_T4_T5_mT6_T7_P12ihipStream_tbENKUlT_T0_E_clISt17integral_constantIbLb1EES12_IbLb0EEEEDaSY_SZ_EUlSY_E_NS1_11comp_targetILNS1_3genE10ELNS1_11target_archE1201ELNS1_3gpuE5ELNS1_3repE0EEENS1_30default_config_static_selectorELNS0_4arch9wavefront6targetE0EEEvT1_.has_indirect_call, 0
	.section	.AMDGPU.csdata,"",@progbits
; Kernel info:
; codeLenInByte = 0
; TotalNumSgprs: 0
; NumVgprs: 0
; ScratchSize: 0
; MemoryBound: 0
; FloatMode: 240
; IeeeMode: 1
; LDSByteSize: 0 bytes/workgroup (compile time only)
; SGPRBlocks: 0
; VGPRBlocks: 0
; NumSGPRsForWavesPerEU: 1
; NumVGPRsForWavesPerEU: 1
; NamedBarCnt: 0
; Occupancy: 16
; WaveLimiterHint : 0
; COMPUTE_PGM_RSRC2:SCRATCH_EN: 0
; COMPUTE_PGM_RSRC2:USER_SGPR: 2
; COMPUTE_PGM_RSRC2:TRAP_HANDLER: 0
; COMPUTE_PGM_RSRC2:TGID_X_EN: 1
; COMPUTE_PGM_RSRC2:TGID_Y_EN: 0
; COMPUTE_PGM_RSRC2:TGID_Z_EN: 0
; COMPUTE_PGM_RSRC2:TIDIG_COMP_CNT: 0
	.section	.text._ZN7rocprim17ROCPRIM_400000_NS6detail17trampoline_kernelINS0_14default_configENS1_27scan_by_key_config_selectorIiiEEZZNS1_16scan_by_key_implILNS1_25lookback_scan_determinismE0ELb1ES3_N6thrust23THRUST_200600_302600_NS6detail15normal_iteratorINS9_10device_ptrIiEEEENSB_INSC_IjEEEENSB_INSC_IfEEEEiNS9_4plusIvEENS9_8equal_toIvEEiEE10hipError_tPvRmT2_T3_T4_T5_mT6_T7_P12ihipStream_tbENKUlT_T0_E_clISt17integral_constantIbLb1EES12_IbLb0EEEEDaSY_SZ_EUlSY_E_NS1_11comp_targetILNS1_3genE5ELNS1_11target_archE942ELNS1_3gpuE9ELNS1_3repE0EEENS1_30default_config_static_selectorELNS0_4arch9wavefront6targetE0EEEvT1_,"axG",@progbits,_ZN7rocprim17ROCPRIM_400000_NS6detail17trampoline_kernelINS0_14default_configENS1_27scan_by_key_config_selectorIiiEEZZNS1_16scan_by_key_implILNS1_25lookback_scan_determinismE0ELb1ES3_N6thrust23THRUST_200600_302600_NS6detail15normal_iteratorINS9_10device_ptrIiEEEENSB_INSC_IjEEEENSB_INSC_IfEEEEiNS9_4plusIvEENS9_8equal_toIvEEiEE10hipError_tPvRmT2_T3_T4_T5_mT6_T7_P12ihipStream_tbENKUlT_T0_E_clISt17integral_constantIbLb1EES12_IbLb0EEEEDaSY_SZ_EUlSY_E_NS1_11comp_targetILNS1_3genE5ELNS1_11target_archE942ELNS1_3gpuE9ELNS1_3repE0EEENS1_30default_config_static_selectorELNS0_4arch9wavefront6targetE0EEEvT1_,comdat
	.protected	_ZN7rocprim17ROCPRIM_400000_NS6detail17trampoline_kernelINS0_14default_configENS1_27scan_by_key_config_selectorIiiEEZZNS1_16scan_by_key_implILNS1_25lookback_scan_determinismE0ELb1ES3_N6thrust23THRUST_200600_302600_NS6detail15normal_iteratorINS9_10device_ptrIiEEEENSB_INSC_IjEEEENSB_INSC_IfEEEEiNS9_4plusIvEENS9_8equal_toIvEEiEE10hipError_tPvRmT2_T3_T4_T5_mT6_T7_P12ihipStream_tbENKUlT_T0_E_clISt17integral_constantIbLb1EES12_IbLb0EEEEDaSY_SZ_EUlSY_E_NS1_11comp_targetILNS1_3genE5ELNS1_11target_archE942ELNS1_3gpuE9ELNS1_3repE0EEENS1_30default_config_static_selectorELNS0_4arch9wavefront6targetE0EEEvT1_ ; -- Begin function _ZN7rocprim17ROCPRIM_400000_NS6detail17trampoline_kernelINS0_14default_configENS1_27scan_by_key_config_selectorIiiEEZZNS1_16scan_by_key_implILNS1_25lookback_scan_determinismE0ELb1ES3_N6thrust23THRUST_200600_302600_NS6detail15normal_iteratorINS9_10device_ptrIiEEEENSB_INSC_IjEEEENSB_INSC_IfEEEEiNS9_4plusIvEENS9_8equal_toIvEEiEE10hipError_tPvRmT2_T3_T4_T5_mT6_T7_P12ihipStream_tbENKUlT_T0_E_clISt17integral_constantIbLb1EES12_IbLb0EEEEDaSY_SZ_EUlSY_E_NS1_11comp_targetILNS1_3genE5ELNS1_11target_archE942ELNS1_3gpuE9ELNS1_3repE0EEENS1_30default_config_static_selectorELNS0_4arch9wavefront6targetE0EEEvT1_
	.globl	_ZN7rocprim17ROCPRIM_400000_NS6detail17trampoline_kernelINS0_14default_configENS1_27scan_by_key_config_selectorIiiEEZZNS1_16scan_by_key_implILNS1_25lookback_scan_determinismE0ELb1ES3_N6thrust23THRUST_200600_302600_NS6detail15normal_iteratorINS9_10device_ptrIiEEEENSB_INSC_IjEEEENSB_INSC_IfEEEEiNS9_4plusIvEENS9_8equal_toIvEEiEE10hipError_tPvRmT2_T3_T4_T5_mT6_T7_P12ihipStream_tbENKUlT_T0_E_clISt17integral_constantIbLb1EES12_IbLb0EEEEDaSY_SZ_EUlSY_E_NS1_11comp_targetILNS1_3genE5ELNS1_11target_archE942ELNS1_3gpuE9ELNS1_3repE0EEENS1_30default_config_static_selectorELNS0_4arch9wavefront6targetE0EEEvT1_
	.p2align	8
	.type	_ZN7rocprim17ROCPRIM_400000_NS6detail17trampoline_kernelINS0_14default_configENS1_27scan_by_key_config_selectorIiiEEZZNS1_16scan_by_key_implILNS1_25lookback_scan_determinismE0ELb1ES3_N6thrust23THRUST_200600_302600_NS6detail15normal_iteratorINS9_10device_ptrIiEEEENSB_INSC_IjEEEENSB_INSC_IfEEEEiNS9_4plusIvEENS9_8equal_toIvEEiEE10hipError_tPvRmT2_T3_T4_T5_mT6_T7_P12ihipStream_tbENKUlT_T0_E_clISt17integral_constantIbLb1EES12_IbLb0EEEEDaSY_SZ_EUlSY_E_NS1_11comp_targetILNS1_3genE5ELNS1_11target_archE942ELNS1_3gpuE9ELNS1_3repE0EEENS1_30default_config_static_selectorELNS0_4arch9wavefront6targetE0EEEvT1_,@function
_ZN7rocprim17ROCPRIM_400000_NS6detail17trampoline_kernelINS0_14default_configENS1_27scan_by_key_config_selectorIiiEEZZNS1_16scan_by_key_implILNS1_25lookback_scan_determinismE0ELb1ES3_N6thrust23THRUST_200600_302600_NS6detail15normal_iteratorINS9_10device_ptrIiEEEENSB_INSC_IjEEEENSB_INSC_IfEEEEiNS9_4plusIvEENS9_8equal_toIvEEiEE10hipError_tPvRmT2_T3_T4_T5_mT6_T7_P12ihipStream_tbENKUlT_T0_E_clISt17integral_constantIbLb1EES12_IbLb0EEEEDaSY_SZ_EUlSY_E_NS1_11comp_targetILNS1_3genE5ELNS1_11target_archE942ELNS1_3gpuE9ELNS1_3repE0EEENS1_30default_config_static_selectorELNS0_4arch9wavefront6targetE0EEEvT1_: ; @_ZN7rocprim17ROCPRIM_400000_NS6detail17trampoline_kernelINS0_14default_configENS1_27scan_by_key_config_selectorIiiEEZZNS1_16scan_by_key_implILNS1_25lookback_scan_determinismE0ELb1ES3_N6thrust23THRUST_200600_302600_NS6detail15normal_iteratorINS9_10device_ptrIiEEEENSB_INSC_IjEEEENSB_INSC_IfEEEEiNS9_4plusIvEENS9_8equal_toIvEEiEE10hipError_tPvRmT2_T3_T4_T5_mT6_T7_P12ihipStream_tbENKUlT_T0_E_clISt17integral_constantIbLb1EES12_IbLb0EEEEDaSY_SZ_EUlSY_E_NS1_11comp_targetILNS1_3genE5ELNS1_11target_archE942ELNS1_3gpuE9ELNS1_3repE0EEENS1_30default_config_static_selectorELNS0_4arch9wavefront6targetE0EEEvT1_
; %bb.0:
	.section	.rodata,"a",@progbits
	.p2align	6, 0x0
	.amdhsa_kernel _ZN7rocprim17ROCPRIM_400000_NS6detail17trampoline_kernelINS0_14default_configENS1_27scan_by_key_config_selectorIiiEEZZNS1_16scan_by_key_implILNS1_25lookback_scan_determinismE0ELb1ES3_N6thrust23THRUST_200600_302600_NS6detail15normal_iteratorINS9_10device_ptrIiEEEENSB_INSC_IjEEEENSB_INSC_IfEEEEiNS9_4plusIvEENS9_8equal_toIvEEiEE10hipError_tPvRmT2_T3_T4_T5_mT6_T7_P12ihipStream_tbENKUlT_T0_E_clISt17integral_constantIbLb1EES12_IbLb0EEEEDaSY_SZ_EUlSY_E_NS1_11comp_targetILNS1_3genE5ELNS1_11target_archE942ELNS1_3gpuE9ELNS1_3repE0EEENS1_30default_config_static_selectorELNS0_4arch9wavefront6targetE0EEEvT1_
		.amdhsa_group_segment_fixed_size 0
		.amdhsa_private_segment_fixed_size 0
		.amdhsa_kernarg_size 112
		.amdhsa_user_sgpr_count 2
		.amdhsa_user_sgpr_dispatch_ptr 0
		.amdhsa_user_sgpr_queue_ptr 0
		.amdhsa_user_sgpr_kernarg_segment_ptr 1
		.amdhsa_user_sgpr_dispatch_id 0
		.amdhsa_user_sgpr_kernarg_preload_length 0
		.amdhsa_user_sgpr_kernarg_preload_offset 0
		.amdhsa_user_sgpr_private_segment_size 0
		.amdhsa_wavefront_size32 1
		.amdhsa_uses_dynamic_stack 0
		.amdhsa_enable_private_segment 0
		.amdhsa_system_sgpr_workgroup_id_x 1
		.amdhsa_system_sgpr_workgroup_id_y 0
		.amdhsa_system_sgpr_workgroup_id_z 0
		.amdhsa_system_sgpr_workgroup_info 0
		.amdhsa_system_vgpr_workitem_id 0
		.amdhsa_next_free_vgpr 1
		.amdhsa_next_free_sgpr 1
		.amdhsa_named_barrier_count 0
		.amdhsa_reserve_vcc 0
		.amdhsa_float_round_mode_32 0
		.amdhsa_float_round_mode_16_64 0
		.amdhsa_float_denorm_mode_32 3
		.amdhsa_float_denorm_mode_16_64 3
		.amdhsa_fp16_overflow 0
		.amdhsa_memory_ordered 1
		.amdhsa_forward_progress 1
		.amdhsa_inst_pref_size 0
		.amdhsa_round_robin_scheduling 0
		.amdhsa_exception_fp_ieee_invalid_op 0
		.amdhsa_exception_fp_denorm_src 0
		.amdhsa_exception_fp_ieee_div_zero 0
		.amdhsa_exception_fp_ieee_overflow 0
		.amdhsa_exception_fp_ieee_underflow 0
		.amdhsa_exception_fp_ieee_inexact 0
		.amdhsa_exception_int_div_zero 0
	.end_amdhsa_kernel
	.section	.text._ZN7rocprim17ROCPRIM_400000_NS6detail17trampoline_kernelINS0_14default_configENS1_27scan_by_key_config_selectorIiiEEZZNS1_16scan_by_key_implILNS1_25lookback_scan_determinismE0ELb1ES3_N6thrust23THRUST_200600_302600_NS6detail15normal_iteratorINS9_10device_ptrIiEEEENSB_INSC_IjEEEENSB_INSC_IfEEEEiNS9_4plusIvEENS9_8equal_toIvEEiEE10hipError_tPvRmT2_T3_T4_T5_mT6_T7_P12ihipStream_tbENKUlT_T0_E_clISt17integral_constantIbLb1EES12_IbLb0EEEEDaSY_SZ_EUlSY_E_NS1_11comp_targetILNS1_3genE5ELNS1_11target_archE942ELNS1_3gpuE9ELNS1_3repE0EEENS1_30default_config_static_selectorELNS0_4arch9wavefront6targetE0EEEvT1_,"axG",@progbits,_ZN7rocprim17ROCPRIM_400000_NS6detail17trampoline_kernelINS0_14default_configENS1_27scan_by_key_config_selectorIiiEEZZNS1_16scan_by_key_implILNS1_25lookback_scan_determinismE0ELb1ES3_N6thrust23THRUST_200600_302600_NS6detail15normal_iteratorINS9_10device_ptrIiEEEENSB_INSC_IjEEEENSB_INSC_IfEEEEiNS9_4plusIvEENS9_8equal_toIvEEiEE10hipError_tPvRmT2_T3_T4_T5_mT6_T7_P12ihipStream_tbENKUlT_T0_E_clISt17integral_constantIbLb1EES12_IbLb0EEEEDaSY_SZ_EUlSY_E_NS1_11comp_targetILNS1_3genE5ELNS1_11target_archE942ELNS1_3gpuE9ELNS1_3repE0EEENS1_30default_config_static_selectorELNS0_4arch9wavefront6targetE0EEEvT1_,comdat
.Lfunc_end1736:
	.size	_ZN7rocprim17ROCPRIM_400000_NS6detail17trampoline_kernelINS0_14default_configENS1_27scan_by_key_config_selectorIiiEEZZNS1_16scan_by_key_implILNS1_25lookback_scan_determinismE0ELb1ES3_N6thrust23THRUST_200600_302600_NS6detail15normal_iteratorINS9_10device_ptrIiEEEENSB_INSC_IjEEEENSB_INSC_IfEEEEiNS9_4plusIvEENS9_8equal_toIvEEiEE10hipError_tPvRmT2_T3_T4_T5_mT6_T7_P12ihipStream_tbENKUlT_T0_E_clISt17integral_constantIbLb1EES12_IbLb0EEEEDaSY_SZ_EUlSY_E_NS1_11comp_targetILNS1_3genE5ELNS1_11target_archE942ELNS1_3gpuE9ELNS1_3repE0EEENS1_30default_config_static_selectorELNS0_4arch9wavefront6targetE0EEEvT1_, .Lfunc_end1736-_ZN7rocprim17ROCPRIM_400000_NS6detail17trampoline_kernelINS0_14default_configENS1_27scan_by_key_config_selectorIiiEEZZNS1_16scan_by_key_implILNS1_25lookback_scan_determinismE0ELb1ES3_N6thrust23THRUST_200600_302600_NS6detail15normal_iteratorINS9_10device_ptrIiEEEENSB_INSC_IjEEEENSB_INSC_IfEEEEiNS9_4plusIvEENS9_8equal_toIvEEiEE10hipError_tPvRmT2_T3_T4_T5_mT6_T7_P12ihipStream_tbENKUlT_T0_E_clISt17integral_constantIbLb1EES12_IbLb0EEEEDaSY_SZ_EUlSY_E_NS1_11comp_targetILNS1_3genE5ELNS1_11target_archE942ELNS1_3gpuE9ELNS1_3repE0EEENS1_30default_config_static_selectorELNS0_4arch9wavefront6targetE0EEEvT1_
                                        ; -- End function
	.set _ZN7rocprim17ROCPRIM_400000_NS6detail17trampoline_kernelINS0_14default_configENS1_27scan_by_key_config_selectorIiiEEZZNS1_16scan_by_key_implILNS1_25lookback_scan_determinismE0ELb1ES3_N6thrust23THRUST_200600_302600_NS6detail15normal_iteratorINS9_10device_ptrIiEEEENSB_INSC_IjEEEENSB_INSC_IfEEEEiNS9_4plusIvEENS9_8equal_toIvEEiEE10hipError_tPvRmT2_T3_T4_T5_mT6_T7_P12ihipStream_tbENKUlT_T0_E_clISt17integral_constantIbLb1EES12_IbLb0EEEEDaSY_SZ_EUlSY_E_NS1_11comp_targetILNS1_3genE5ELNS1_11target_archE942ELNS1_3gpuE9ELNS1_3repE0EEENS1_30default_config_static_selectorELNS0_4arch9wavefront6targetE0EEEvT1_.num_vgpr, 0
	.set _ZN7rocprim17ROCPRIM_400000_NS6detail17trampoline_kernelINS0_14default_configENS1_27scan_by_key_config_selectorIiiEEZZNS1_16scan_by_key_implILNS1_25lookback_scan_determinismE0ELb1ES3_N6thrust23THRUST_200600_302600_NS6detail15normal_iteratorINS9_10device_ptrIiEEEENSB_INSC_IjEEEENSB_INSC_IfEEEEiNS9_4plusIvEENS9_8equal_toIvEEiEE10hipError_tPvRmT2_T3_T4_T5_mT6_T7_P12ihipStream_tbENKUlT_T0_E_clISt17integral_constantIbLb1EES12_IbLb0EEEEDaSY_SZ_EUlSY_E_NS1_11comp_targetILNS1_3genE5ELNS1_11target_archE942ELNS1_3gpuE9ELNS1_3repE0EEENS1_30default_config_static_selectorELNS0_4arch9wavefront6targetE0EEEvT1_.num_agpr, 0
	.set _ZN7rocprim17ROCPRIM_400000_NS6detail17trampoline_kernelINS0_14default_configENS1_27scan_by_key_config_selectorIiiEEZZNS1_16scan_by_key_implILNS1_25lookback_scan_determinismE0ELb1ES3_N6thrust23THRUST_200600_302600_NS6detail15normal_iteratorINS9_10device_ptrIiEEEENSB_INSC_IjEEEENSB_INSC_IfEEEEiNS9_4plusIvEENS9_8equal_toIvEEiEE10hipError_tPvRmT2_T3_T4_T5_mT6_T7_P12ihipStream_tbENKUlT_T0_E_clISt17integral_constantIbLb1EES12_IbLb0EEEEDaSY_SZ_EUlSY_E_NS1_11comp_targetILNS1_3genE5ELNS1_11target_archE942ELNS1_3gpuE9ELNS1_3repE0EEENS1_30default_config_static_selectorELNS0_4arch9wavefront6targetE0EEEvT1_.numbered_sgpr, 0
	.set _ZN7rocprim17ROCPRIM_400000_NS6detail17trampoline_kernelINS0_14default_configENS1_27scan_by_key_config_selectorIiiEEZZNS1_16scan_by_key_implILNS1_25lookback_scan_determinismE0ELb1ES3_N6thrust23THRUST_200600_302600_NS6detail15normal_iteratorINS9_10device_ptrIiEEEENSB_INSC_IjEEEENSB_INSC_IfEEEEiNS9_4plusIvEENS9_8equal_toIvEEiEE10hipError_tPvRmT2_T3_T4_T5_mT6_T7_P12ihipStream_tbENKUlT_T0_E_clISt17integral_constantIbLb1EES12_IbLb0EEEEDaSY_SZ_EUlSY_E_NS1_11comp_targetILNS1_3genE5ELNS1_11target_archE942ELNS1_3gpuE9ELNS1_3repE0EEENS1_30default_config_static_selectorELNS0_4arch9wavefront6targetE0EEEvT1_.num_named_barrier, 0
	.set _ZN7rocprim17ROCPRIM_400000_NS6detail17trampoline_kernelINS0_14default_configENS1_27scan_by_key_config_selectorIiiEEZZNS1_16scan_by_key_implILNS1_25lookback_scan_determinismE0ELb1ES3_N6thrust23THRUST_200600_302600_NS6detail15normal_iteratorINS9_10device_ptrIiEEEENSB_INSC_IjEEEENSB_INSC_IfEEEEiNS9_4plusIvEENS9_8equal_toIvEEiEE10hipError_tPvRmT2_T3_T4_T5_mT6_T7_P12ihipStream_tbENKUlT_T0_E_clISt17integral_constantIbLb1EES12_IbLb0EEEEDaSY_SZ_EUlSY_E_NS1_11comp_targetILNS1_3genE5ELNS1_11target_archE942ELNS1_3gpuE9ELNS1_3repE0EEENS1_30default_config_static_selectorELNS0_4arch9wavefront6targetE0EEEvT1_.private_seg_size, 0
	.set _ZN7rocprim17ROCPRIM_400000_NS6detail17trampoline_kernelINS0_14default_configENS1_27scan_by_key_config_selectorIiiEEZZNS1_16scan_by_key_implILNS1_25lookback_scan_determinismE0ELb1ES3_N6thrust23THRUST_200600_302600_NS6detail15normal_iteratorINS9_10device_ptrIiEEEENSB_INSC_IjEEEENSB_INSC_IfEEEEiNS9_4plusIvEENS9_8equal_toIvEEiEE10hipError_tPvRmT2_T3_T4_T5_mT6_T7_P12ihipStream_tbENKUlT_T0_E_clISt17integral_constantIbLb1EES12_IbLb0EEEEDaSY_SZ_EUlSY_E_NS1_11comp_targetILNS1_3genE5ELNS1_11target_archE942ELNS1_3gpuE9ELNS1_3repE0EEENS1_30default_config_static_selectorELNS0_4arch9wavefront6targetE0EEEvT1_.uses_vcc, 0
	.set _ZN7rocprim17ROCPRIM_400000_NS6detail17trampoline_kernelINS0_14default_configENS1_27scan_by_key_config_selectorIiiEEZZNS1_16scan_by_key_implILNS1_25lookback_scan_determinismE0ELb1ES3_N6thrust23THRUST_200600_302600_NS6detail15normal_iteratorINS9_10device_ptrIiEEEENSB_INSC_IjEEEENSB_INSC_IfEEEEiNS9_4plusIvEENS9_8equal_toIvEEiEE10hipError_tPvRmT2_T3_T4_T5_mT6_T7_P12ihipStream_tbENKUlT_T0_E_clISt17integral_constantIbLb1EES12_IbLb0EEEEDaSY_SZ_EUlSY_E_NS1_11comp_targetILNS1_3genE5ELNS1_11target_archE942ELNS1_3gpuE9ELNS1_3repE0EEENS1_30default_config_static_selectorELNS0_4arch9wavefront6targetE0EEEvT1_.uses_flat_scratch, 0
	.set _ZN7rocprim17ROCPRIM_400000_NS6detail17trampoline_kernelINS0_14default_configENS1_27scan_by_key_config_selectorIiiEEZZNS1_16scan_by_key_implILNS1_25lookback_scan_determinismE0ELb1ES3_N6thrust23THRUST_200600_302600_NS6detail15normal_iteratorINS9_10device_ptrIiEEEENSB_INSC_IjEEEENSB_INSC_IfEEEEiNS9_4plusIvEENS9_8equal_toIvEEiEE10hipError_tPvRmT2_T3_T4_T5_mT6_T7_P12ihipStream_tbENKUlT_T0_E_clISt17integral_constantIbLb1EES12_IbLb0EEEEDaSY_SZ_EUlSY_E_NS1_11comp_targetILNS1_3genE5ELNS1_11target_archE942ELNS1_3gpuE9ELNS1_3repE0EEENS1_30default_config_static_selectorELNS0_4arch9wavefront6targetE0EEEvT1_.has_dyn_sized_stack, 0
	.set _ZN7rocprim17ROCPRIM_400000_NS6detail17trampoline_kernelINS0_14default_configENS1_27scan_by_key_config_selectorIiiEEZZNS1_16scan_by_key_implILNS1_25lookback_scan_determinismE0ELb1ES3_N6thrust23THRUST_200600_302600_NS6detail15normal_iteratorINS9_10device_ptrIiEEEENSB_INSC_IjEEEENSB_INSC_IfEEEEiNS9_4plusIvEENS9_8equal_toIvEEiEE10hipError_tPvRmT2_T3_T4_T5_mT6_T7_P12ihipStream_tbENKUlT_T0_E_clISt17integral_constantIbLb1EES12_IbLb0EEEEDaSY_SZ_EUlSY_E_NS1_11comp_targetILNS1_3genE5ELNS1_11target_archE942ELNS1_3gpuE9ELNS1_3repE0EEENS1_30default_config_static_selectorELNS0_4arch9wavefront6targetE0EEEvT1_.has_recursion, 0
	.set _ZN7rocprim17ROCPRIM_400000_NS6detail17trampoline_kernelINS0_14default_configENS1_27scan_by_key_config_selectorIiiEEZZNS1_16scan_by_key_implILNS1_25lookback_scan_determinismE0ELb1ES3_N6thrust23THRUST_200600_302600_NS6detail15normal_iteratorINS9_10device_ptrIiEEEENSB_INSC_IjEEEENSB_INSC_IfEEEEiNS9_4plusIvEENS9_8equal_toIvEEiEE10hipError_tPvRmT2_T3_T4_T5_mT6_T7_P12ihipStream_tbENKUlT_T0_E_clISt17integral_constantIbLb1EES12_IbLb0EEEEDaSY_SZ_EUlSY_E_NS1_11comp_targetILNS1_3genE5ELNS1_11target_archE942ELNS1_3gpuE9ELNS1_3repE0EEENS1_30default_config_static_selectorELNS0_4arch9wavefront6targetE0EEEvT1_.has_indirect_call, 0
	.section	.AMDGPU.csdata,"",@progbits
; Kernel info:
; codeLenInByte = 0
; TotalNumSgprs: 0
; NumVgprs: 0
; ScratchSize: 0
; MemoryBound: 0
; FloatMode: 240
; IeeeMode: 1
; LDSByteSize: 0 bytes/workgroup (compile time only)
; SGPRBlocks: 0
; VGPRBlocks: 0
; NumSGPRsForWavesPerEU: 1
; NumVGPRsForWavesPerEU: 1
; NamedBarCnt: 0
; Occupancy: 16
; WaveLimiterHint : 0
; COMPUTE_PGM_RSRC2:SCRATCH_EN: 0
; COMPUTE_PGM_RSRC2:USER_SGPR: 2
; COMPUTE_PGM_RSRC2:TRAP_HANDLER: 0
; COMPUTE_PGM_RSRC2:TGID_X_EN: 1
; COMPUTE_PGM_RSRC2:TGID_Y_EN: 0
; COMPUTE_PGM_RSRC2:TGID_Z_EN: 0
; COMPUTE_PGM_RSRC2:TIDIG_COMP_CNT: 0
	.section	.text._ZN7rocprim17ROCPRIM_400000_NS6detail17trampoline_kernelINS0_14default_configENS1_27scan_by_key_config_selectorIiiEEZZNS1_16scan_by_key_implILNS1_25lookback_scan_determinismE0ELb1ES3_N6thrust23THRUST_200600_302600_NS6detail15normal_iteratorINS9_10device_ptrIiEEEENSB_INSC_IjEEEENSB_INSC_IfEEEEiNS9_4plusIvEENS9_8equal_toIvEEiEE10hipError_tPvRmT2_T3_T4_T5_mT6_T7_P12ihipStream_tbENKUlT_T0_E_clISt17integral_constantIbLb1EES12_IbLb0EEEEDaSY_SZ_EUlSY_E_NS1_11comp_targetILNS1_3genE4ELNS1_11target_archE910ELNS1_3gpuE8ELNS1_3repE0EEENS1_30default_config_static_selectorELNS0_4arch9wavefront6targetE0EEEvT1_,"axG",@progbits,_ZN7rocprim17ROCPRIM_400000_NS6detail17trampoline_kernelINS0_14default_configENS1_27scan_by_key_config_selectorIiiEEZZNS1_16scan_by_key_implILNS1_25lookback_scan_determinismE0ELb1ES3_N6thrust23THRUST_200600_302600_NS6detail15normal_iteratorINS9_10device_ptrIiEEEENSB_INSC_IjEEEENSB_INSC_IfEEEEiNS9_4plusIvEENS9_8equal_toIvEEiEE10hipError_tPvRmT2_T3_T4_T5_mT6_T7_P12ihipStream_tbENKUlT_T0_E_clISt17integral_constantIbLb1EES12_IbLb0EEEEDaSY_SZ_EUlSY_E_NS1_11comp_targetILNS1_3genE4ELNS1_11target_archE910ELNS1_3gpuE8ELNS1_3repE0EEENS1_30default_config_static_selectorELNS0_4arch9wavefront6targetE0EEEvT1_,comdat
	.protected	_ZN7rocprim17ROCPRIM_400000_NS6detail17trampoline_kernelINS0_14default_configENS1_27scan_by_key_config_selectorIiiEEZZNS1_16scan_by_key_implILNS1_25lookback_scan_determinismE0ELb1ES3_N6thrust23THRUST_200600_302600_NS6detail15normal_iteratorINS9_10device_ptrIiEEEENSB_INSC_IjEEEENSB_INSC_IfEEEEiNS9_4plusIvEENS9_8equal_toIvEEiEE10hipError_tPvRmT2_T3_T4_T5_mT6_T7_P12ihipStream_tbENKUlT_T0_E_clISt17integral_constantIbLb1EES12_IbLb0EEEEDaSY_SZ_EUlSY_E_NS1_11comp_targetILNS1_3genE4ELNS1_11target_archE910ELNS1_3gpuE8ELNS1_3repE0EEENS1_30default_config_static_selectorELNS0_4arch9wavefront6targetE0EEEvT1_ ; -- Begin function _ZN7rocprim17ROCPRIM_400000_NS6detail17trampoline_kernelINS0_14default_configENS1_27scan_by_key_config_selectorIiiEEZZNS1_16scan_by_key_implILNS1_25lookback_scan_determinismE0ELb1ES3_N6thrust23THRUST_200600_302600_NS6detail15normal_iteratorINS9_10device_ptrIiEEEENSB_INSC_IjEEEENSB_INSC_IfEEEEiNS9_4plusIvEENS9_8equal_toIvEEiEE10hipError_tPvRmT2_T3_T4_T5_mT6_T7_P12ihipStream_tbENKUlT_T0_E_clISt17integral_constantIbLb1EES12_IbLb0EEEEDaSY_SZ_EUlSY_E_NS1_11comp_targetILNS1_3genE4ELNS1_11target_archE910ELNS1_3gpuE8ELNS1_3repE0EEENS1_30default_config_static_selectorELNS0_4arch9wavefront6targetE0EEEvT1_
	.globl	_ZN7rocprim17ROCPRIM_400000_NS6detail17trampoline_kernelINS0_14default_configENS1_27scan_by_key_config_selectorIiiEEZZNS1_16scan_by_key_implILNS1_25lookback_scan_determinismE0ELb1ES3_N6thrust23THRUST_200600_302600_NS6detail15normal_iteratorINS9_10device_ptrIiEEEENSB_INSC_IjEEEENSB_INSC_IfEEEEiNS9_4plusIvEENS9_8equal_toIvEEiEE10hipError_tPvRmT2_T3_T4_T5_mT6_T7_P12ihipStream_tbENKUlT_T0_E_clISt17integral_constantIbLb1EES12_IbLb0EEEEDaSY_SZ_EUlSY_E_NS1_11comp_targetILNS1_3genE4ELNS1_11target_archE910ELNS1_3gpuE8ELNS1_3repE0EEENS1_30default_config_static_selectorELNS0_4arch9wavefront6targetE0EEEvT1_
	.p2align	8
	.type	_ZN7rocprim17ROCPRIM_400000_NS6detail17trampoline_kernelINS0_14default_configENS1_27scan_by_key_config_selectorIiiEEZZNS1_16scan_by_key_implILNS1_25lookback_scan_determinismE0ELb1ES3_N6thrust23THRUST_200600_302600_NS6detail15normal_iteratorINS9_10device_ptrIiEEEENSB_INSC_IjEEEENSB_INSC_IfEEEEiNS9_4plusIvEENS9_8equal_toIvEEiEE10hipError_tPvRmT2_T3_T4_T5_mT6_T7_P12ihipStream_tbENKUlT_T0_E_clISt17integral_constantIbLb1EES12_IbLb0EEEEDaSY_SZ_EUlSY_E_NS1_11comp_targetILNS1_3genE4ELNS1_11target_archE910ELNS1_3gpuE8ELNS1_3repE0EEENS1_30default_config_static_selectorELNS0_4arch9wavefront6targetE0EEEvT1_,@function
_ZN7rocprim17ROCPRIM_400000_NS6detail17trampoline_kernelINS0_14default_configENS1_27scan_by_key_config_selectorIiiEEZZNS1_16scan_by_key_implILNS1_25lookback_scan_determinismE0ELb1ES3_N6thrust23THRUST_200600_302600_NS6detail15normal_iteratorINS9_10device_ptrIiEEEENSB_INSC_IjEEEENSB_INSC_IfEEEEiNS9_4plusIvEENS9_8equal_toIvEEiEE10hipError_tPvRmT2_T3_T4_T5_mT6_T7_P12ihipStream_tbENKUlT_T0_E_clISt17integral_constantIbLb1EES12_IbLb0EEEEDaSY_SZ_EUlSY_E_NS1_11comp_targetILNS1_3genE4ELNS1_11target_archE910ELNS1_3gpuE8ELNS1_3repE0EEENS1_30default_config_static_selectorELNS0_4arch9wavefront6targetE0EEEvT1_: ; @_ZN7rocprim17ROCPRIM_400000_NS6detail17trampoline_kernelINS0_14default_configENS1_27scan_by_key_config_selectorIiiEEZZNS1_16scan_by_key_implILNS1_25lookback_scan_determinismE0ELb1ES3_N6thrust23THRUST_200600_302600_NS6detail15normal_iteratorINS9_10device_ptrIiEEEENSB_INSC_IjEEEENSB_INSC_IfEEEEiNS9_4plusIvEENS9_8equal_toIvEEiEE10hipError_tPvRmT2_T3_T4_T5_mT6_T7_P12ihipStream_tbENKUlT_T0_E_clISt17integral_constantIbLb1EES12_IbLb0EEEEDaSY_SZ_EUlSY_E_NS1_11comp_targetILNS1_3genE4ELNS1_11target_archE910ELNS1_3gpuE8ELNS1_3repE0EEENS1_30default_config_static_selectorELNS0_4arch9wavefront6targetE0EEEvT1_
; %bb.0:
	.section	.rodata,"a",@progbits
	.p2align	6, 0x0
	.amdhsa_kernel _ZN7rocprim17ROCPRIM_400000_NS6detail17trampoline_kernelINS0_14default_configENS1_27scan_by_key_config_selectorIiiEEZZNS1_16scan_by_key_implILNS1_25lookback_scan_determinismE0ELb1ES3_N6thrust23THRUST_200600_302600_NS6detail15normal_iteratorINS9_10device_ptrIiEEEENSB_INSC_IjEEEENSB_INSC_IfEEEEiNS9_4plusIvEENS9_8equal_toIvEEiEE10hipError_tPvRmT2_T3_T4_T5_mT6_T7_P12ihipStream_tbENKUlT_T0_E_clISt17integral_constantIbLb1EES12_IbLb0EEEEDaSY_SZ_EUlSY_E_NS1_11comp_targetILNS1_3genE4ELNS1_11target_archE910ELNS1_3gpuE8ELNS1_3repE0EEENS1_30default_config_static_selectorELNS0_4arch9wavefront6targetE0EEEvT1_
		.amdhsa_group_segment_fixed_size 0
		.amdhsa_private_segment_fixed_size 0
		.amdhsa_kernarg_size 112
		.amdhsa_user_sgpr_count 2
		.amdhsa_user_sgpr_dispatch_ptr 0
		.amdhsa_user_sgpr_queue_ptr 0
		.amdhsa_user_sgpr_kernarg_segment_ptr 1
		.amdhsa_user_sgpr_dispatch_id 0
		.amdhsa_user_sgpr_kernarg_preload_length 0
		.amdhsa_user_sgpr_kernarg_preload_offset 0
		.amdhsa_user_sgpr_private_segment_size 0
		.amdhsa_wavefront_size32 1
		.amdhsa_uses_dynamic_stack 0
		.amdhsa_enable_private_segment 0
		.amdhsa_system_sgpr_workgroup_id_x 1
		.amdhsa_system_sgpr_workgroup_id_y 0
		.amdhsa_system_sgpr_workgroup_id_z 0
		.amdhsa_system_sgpr_workgroup_info 0
		.amdhsa_system_vgpr_workitem_id 0
		.amdhsa_next_free_vgpr 1
		.amdhsa_next_free_sgpr 1
		.amdhsa_named_barrier_count 0
		.amdhsa_reserve_vcc 0
		.amdhsa_float_round_mode_32 0
		.amdhsa_float_round_mode_16_64 0
		.amdhsa_float_denorm_mode_32 3
		.amdhsa_float_denorm_mode_16_64 3
		.amdhsa_fp16_overflow 0
		.amdhsa_memory_ordered 1
		.amdhsa_forward_progress 1
		.amdhsa_inst_pref_size 0
		.amdhsa_round_robin_scheduling 0
		.amdhsa_exception_fp_ieee_invalid_op 0
		.amdhsa_exception_fp_denorm_src 0
		.amdhsa_exception_fp_ieee_div_zero 0
		.amdhsa_exception_fp_ieee_overflow 0
		.amdhsa_exception_fp_ieee_underflow 0
		.amdhsa_exception_fp_ieee_inexact 0
		.amdhsa_exception_int_div_zero 0
	.end_amdhsa_kernel
	.section	.text._ZN7rocprim17ROCPRIM_400000_NS6detail17trampoline_kernelINS0_14default_configENS1_27scan_by_key_config_selectorIiiEEZZNS1_16scan_by_key_implILNS1_25lookback_scan_determinismE0ELb1ES3_N6thrust23THRUST_200600_302600_NS6detail15normal_iteratorINS9_10device_ptrIiEEEENSB_INSC_IjEEEENSB_INSC_IfEEEEiNS9_4plusIvEENS9_8equal_toIvEEiEE10hipError_tPvRmT2_T3_T4_T5_mT6_T7_P12ihipStream_tbENKUlT_T0_E_clISt17integral_constantIbLb1EES12_IbLb0EEEEDaSY_SZ_EUlSY_E_NS1_11comp_targetILNS1_3genE4ELNS1_11target_archE910ELNS1_3gpuE8ELNS1_3repE0EEENS1_30default_config_static_selectorELNS0_4arch9wavefront6targetE0EEEvT1_,"axG",@progbits,_ZN7rocprim17ROCPRIM_400000_NS6detail17trampoline_kernelINS0_14default_configENS1_27scan_by_key_config_selectorIiiEEZZNS1_16scan_by_key_implILNS1_25lookback_scan_determinismE0ELb1ES3_N6thrust23THRUST_200600_302600_NS6detail15normal_iteratorINS9_10device_ptrIiEEEENSB_INSC_IjEEEENSB_INSC_IfEEEEiNS9_4plusIvEENS9_8equal_toIvEEiEE10hipError_tPvRmT2_T3_T4_T5_mT6_T7_P12ihipStream_tbENKUlT_T0_E_clISt17integral_constantIbLb1EES12_IbLb0EEEEDaSY_SZ_EUlSY_E_NS1_11comp_targetILNS1_3genE4ELNS1_11target_archE910ELNS1_3gpuE8ELNS1_3repE0EEENS1_30default_config_static_selectorELNS0_4arch9wavefront6targetE0EEEvT1_,comdat
.Lfunc_end1737:
	.size	_ZN7rocprim17ROCPRIM_400000_NS6detail17trampoline_kernelINS0_14default_configENS1_27scan_by_key_config_selectorIiiEEZZNS1_16scan_by_key_implILNS1_25lookback_scan_determinismE0ELb1ES3_N6thrust23THRUST_200600_302600_NS6detail15normal_iteratorINS9_10device_ptrIiEEEENSB_INSC_IjEEEENSB_INSC_IfEEEEiNS9_4plusIvEENS9_8equal_toIvEEiEE10hipError_tPvRmT2_T3_T4_T5_mT6_T7_P12ihipStream_tbENKUlT_T0_E_clISt17integral_constantIbLb1EES12_IbLb0EEEEDaSY_SZ_EUlSY_E_NS1_11comp_targetILNS1_3genE4ELNS1_11target_archE910ELNS1_3gpuE8ELNS1_3repE0EEENS1_30default_config_static_selectorELNS0_4arch9wavefront6targetE0EEEvT1_, .Lfunc_end1737-_ZN7rocprim17ROCPRIM_400000_NS6detail17trampoline_kernelINS0_14default_configENS1_27scan_by_key_config_selectorIiiEEZZNS1_16scan_by_key_implILNS1_25lookback_scan_determinismE0ELb1ES3_N6thrust23THRUST_200600_302600_NS6detail15normal_iteratorINS9_10device_ptrIiEEEENSB_INSC_IjEEEENSB_INSC_IfEEEEiNS9_4plusIvEENS9_8equal_toIvEEiEE10hipError_tPvRmT2_T3_T4_T5_mT6_T7_P12ihipStream_tbENKUlT_T0_E_clISt17integral_constantIbLb1EES12_IbLb0EEEEDaSY_SZ_EUlSY_E_NS1_11comp_targetILNS1_3genE4ELNS1_11target_archE910ELNS1_3gpuE8ELNS1_3repE0EEENS1_30default_config_static_selectorELNS0_4arch9wavefront6targetE0EEEvT1_
                                        ; -- End function
	.set _ZN7rocprim17ROCPRIM_400000_NS6detail17trampoline_kernelINS0_14default_configENS1_27scan_by_key_config_selectorIiiEEZZNS1_16scan_by_key_implILNS1_25lookback_scan_determinismE0ELb1ES3_N6thrust23THRUST_200600_302600_NS6detail15normal_iteratorINS9_10device_ptrIiEEEENSB_INSC_IjEEEENSB_INSC_IfEEEEiNS9_4plusIvEENS9_8equal_toIvEEiEE10hipError_tPvRmT2_T3_T4_T5_mT6_T7_P12ihipStream_tbENKUlT_T0_E_clISt17integral_constantIbLb1EES12_IbLb0EEEEDaSY_SZ_EUlSY_E_NS1_11comp_targetILNS1_3genE4ELNS1_11target_archE910ELNS1_3gpuE8ELNS1_3repE0EEENS1_30default_config_static_selectorELNS0_4arch9wavefront6targetE0EEEvT1_.num_vgpr, 0
	.set _ZN7rocprim17ROCPRIM_400000_NS6detail17trampoline_kernelINS0_14default_configENS1_27scan_by_key_config_selectorIiiEEZZNS1_16scan_by_key_implILNS1_25lookback_scan_determinismE0ELb1ES3_N6thrust23THRUST_200600_302600_NS6detail15normal_iteratorINS9_10device_ptrIiEEEENSB_INSC_IjEEEENSB_INSC_IfEEEEiNS9_4plusIvEENS9_8equal_toIvEEiEE10hipError_tPvRmT2_T3_T4_T5_mT6_T7_P12ihipStream_tbENKUlT_T0_E_clISt17integral_constantIbLb1EES12_IbLb0EEEEDaSY_SZ_EUlSY_E_NS1_11comp_targetILNS1_3genE4ELNS1_11target_archE910ELNS1_3gpuE8ELNS1_3repE0EEENS1_30default_config_static_selectorELNS0_4arch9wavefront6targetE0EEEvT1_.num_agpr, 0
	.set _ZN7rocprim17ROCPRIM_400000_NS6detail17trampoline_kernelINS0_14default_configENS1_27scan_by_key_config_selectorIiiEEZZNS1_16scan_by_key_implILNS1_25lookback_scan_determinismE0ELb1ES3_N6thrust23THRUST_200600_302600_NS6detail15normal_iteratorINS9_10device_ptrIiEEEENSB_INSC_IjEEEENSB_INSC_IfEEEEiNS9_4plusIvEENS9_8equal_toIvEEiEE10hipError_tPvRmT2_T3_T4_T5_mT6_T7_P12ihipStream_tbENKUlT_T0_E_clISt17integral_constantIbLb1EES12_IbLb0EEEEDaSY_SZ_EUlSY_E_NS1_11comp_targetILNS1_3genE4ELNS1_11target_archE910ELNS1_3gpuE8ELNS1_3repE0EEENS1_30default_config_static_selectorELNS0_4arch9wavefront6targetE0EEEvT1_.numbered_sgpr, 0
	.set _ZN7rocprim17ROCPRIM_400000_NS6detail17trampoline_kernelINS0_14default_configENS1_27scan_by_key_config_selectorIiiEEZZNS1_16scan_by_key_implILNS1_25lookback_scan_determinismE0ELb1ES3_N6thrust23THRUST_200600_302600_NS6detail15normal_iteratorINS9_10device_ptrIiEEEENSB_INSC_IjEEEENSB_INSC_IfEEEEiNS9_4plusIvEENS9_8equal_toIvEEiEE10hipError_tPvRmT2_T3_T4_T5_mT6_T7_P12ihipStream_tbENKUlT_T0_E_clISt17integral_constantIbLb1EES12_IbLb0EEEEDaSY_SZ_EUlSY_E_NS1_11comp_targetILNS1_3genE4ELNS1_11target_archE910ELNS1_3gpuE8ELNS1_3repE0EEENS1_30default_config_static_selectorELNS0_4arch9wavefront6targetE0EEEvT1_.num_named_barrier, 0
	.set _ZN7rocprim17ROCPRIM_400000_NS6detail17trampoline_kernelINS0_14default_configENS1_27scan_by_key_config_selectorIiiEEZZNS1_16scan_by_key_implILNS1_25lookback_scan_determinismE0ELb1ES3_N6thrust23THRUST_200600_302600_NS6detail15normal_iteratorINS9_10device_ptrIiEEEENSB_INSC_IjEEEENSB_INSC_IfEEEEiNS9_4plusIvEENS9_8equal_toIvEEiEE10hipError_tPvRmT2_T3_T4_T5_mT6_T7_P12ihipStream_tbENKUlT_T0_E_clISt17integral_constantIbLb1EES12_IbLb0EEEEDaSY_SZ_EUlSY_E_NS1_11comp_targetILNS1_3genE4ELNS1_11target_archE910ELNS1_3gpuE8ELNS1_3repE0EEENS1_30default_config_static_selectorELNS0_4arch9wavefront6targetE0EEEvT1_.private_seg_size, 0
	.set _ZN7rocprim17ROCPRIM_400000_NS6detail17trampoline_kernelINS0_14default_configENS1_27scan_by_key_config_selectorIiiEEZZNS1_16scan_by_key_implILNS1_25lookback_scan_determinismE0ELb1ES3_N6thrust23THRUST_200600_302600_NS6detail15normal_iteratorINS9_10device_ptrIiEEEENSB_INSC_IjEEEENSB_INSC_IfEEEEiNS9_4plusIvEENS9_8equal_toIvEEiEE10hipError_tPvRmT2_T3_T4_T5_mT6_T7_P12ihipStream_tbENKUlT_T0_E_clISt17integral_constantIbLb1EES12_IbLb0EEEEDaSY_SZ_EUlSY_E_NS1_11comp_targetILNS1_3genE4ELNS1_11target_archE910ELNS1_3gpuE8ELNS1_3repE0EEENS1_30default_config_static_selectorELNS0_4arch9wavefront6targetE0EEEvT1_.uses_vcc, 0
	.set _ZN7rocprim17ROCPRIM_400000_NS6detail17trampoline_kernelINS0_14default_configENS1_27scan_by_key_config_selectorIiiEEZZNS1_16scan_by_key_implILNS1_25lookback_scan_determinismE0ELb1ES3_N6thrust23THRUST_200600_302600_NS6detail15normal_iteratorINS9_10device_ptrIiEEEENSB_INSC_IjEEEENSB_INSC_IfEEEEiNS9_4plusIvEENS9_8equal_toIvEEiEE10hipError_tPvRmT2_T3_T4_T5_mT6_T7_P12ihipStream_tbENKUlT_T0_E_clISt17integral_constantIbLb1EES12_IbLb0EEEEDaSY_SZ_EUlSY_E_NS1_11comp_targetILNS1_3genE4ELNS1_11target_archE910ELNS1_3gpuE8ELNS1_3repE0EEENS1_30default_config_static_selectorELNS0_4arch9wavefront6targetE0EEEvT1_.uses_flat_scratch, 0
	.set _ZN7rocprim17ROCPRIM_400000_NS6detail17trampoline_kernelINS0_14default_configENS1_27scan_by_key_config_selectorIiiEEZZNS1_16scan_by_key_implILNS1_25lookback_scan_determinismE0ELb1ES3_N6thrust23THRUST_200600_302600_NS6detail15normal_iteratorINS9_10device_ptrIiEEEENSB_INSC_IjEEEENSB_INSC_IfEEEEiNS9_4plusIvEENS9_8equal_toIvEEiEE10hipError_tPvRmT2_T3_T4_T5_mT6_T7_P12ihipStream_tbENKUlT_T0_E_clISt17integral_constantIbLb1EES12_IbLb0EEEEDaSY_SZ_EUlSY_E_NS1_11comp_targetILNS1_3genE4ELNS1_11target_archE910ELNS1_3gpuE8ELNS1_3repE0EEENS1_30default_config_static_selectorELNS0_4arch9wavefront6targetE0EEEvT1_.has_dyn_sized_stack, 0
	.set _ZN7rocprim17ROCPRIM_400000_NS6detail17trampoline_kernelINS0_14default_configENS1_27scan_by_key_config_selectorIiiEEZZNS1_16scan_by_key_implILNS1_25lookback_scan_determinismE0ELb1ES3_N6thrust23THRUST_200600_302600_NS6detail15normal_iteratorINS9_10device_ptrIiEEEENSB_INSC_IjEEEENSB_INSC_IfEEEEiNS9_4plusIvEENS9_8equal_toIvEEiEE10hipError_tPvRmT2_T3_T4_T5_mT6_T7_P12ihipStream_tbENKUlT_T0_E_clISt17integral_constantIbLb1EES12_IbLb0EEEEDaSY_SZ_EUlSY_E_NS1_11comp_targetILNS1_3genE4ELNS1_11target_archE910ELNS1_3gpuE8ELNS1_3repE0EEENS1_30default_config_static_selectorELNS0_4arch9wavefront6targetE0EEEvT1_.has_recursion, 0
	.set _ZN7rocprim17ROCPRIM_400000_NS6detail17trampoline_kernelINS0_14default_configENS1_27scan_by_key_config_selectorIiiEEZZNS1_16scan_by_key_implILNS1_25lookback_scan_determinismE0ELb1ES3_N6thrust23THRUST_200600_302600_NS6detail15normal_iteratorINS9_10device_ptrIiEEEENSB_INSC_IjEEEENSB_INSC_IfEEEEiNS9_4plusIvEENS9_8equal_toIvEEiEE10hipError_tPvRmT2_T3_T4_T5_mT6_T7_P12ihipStream_tbENKUlT_T0_E_clISt17integral_constantIbLb1EES12_IbLb0EEEEDaSY_SZ_EUlSY_E_NS1_11comp_targetILNS1_3genE4ELNS1_11target_archE910ELNS1_3gpuE8ELNS1_3repE0EEENS1_30default_config_static_selectorELNS0_4arch9wavefront6targetE0EEEvT1_.has_indirect_call, 0
	.section	.AMDGPU.csdata,"",@progbits
; Kernel info:
; codeLenInByte = 0
; TotalNumSgprs: 0
; NumVgprs: 0
; ScratchSize: 0
; MemoryBound: 0
; FloatMode: 240
; IeeeMode: 1
; LDSByteSize: 0 bytes/workgroup (compile time only)
; SGPRBlocks: 0
; VGPRBlocks: 0
; NumSGPRsForWavesPerEU: 1
; NumVGPRsForWavesPerEU: 1
; NamedBarCnt: 0
; Occupancy: 16
; WaveLimiterHint : 0
; COMPUTE_PGM_RSRC2:SCRATCH_EN: 0
; COMPUTE_PGM_RSRC2:USER_SGPR: 2
; COMPUTE_PGM_RSRC2:TRAP_HANDLER: 0
; COMPUTE_PGM_RSRC2:TGID_X_EN: 1
; COMPUTE_PGM_RSRC2:TGID_Y_EN: 0
; COMPUTE_PGM_RSRC2:TGID_Z_EN: 0
; COMPUTE_PGM_RSRC2:TIDIG_COMP_CNT: 0
	.section	.text._ZN7rocprim17ROCPRIM_400000_NS6detail17trampoline_kernelINS0_14default_configENS1_27scan_by_key_config_selectorIiiEEZZNS1_16scan_by_key_implILNS1_25lookback_scan_determinismE0ELb1ES3_N6thrust23THRUST_200600_302600_NS6detail15normal_iteratorINS9_10device_ptrIiEEEENSB_INSC_IjEEEENSB_INSC_IfEEEEiNS9_4plusIvEENS9_8equal_toIvEEiEE10hipError_tPvRmT2_T3_T4_T5_mT6_T7_P12ihipStream_tbENKUlT_T0_E_clISt17integral_constantIbLb1EES12_IbLb0EEEEDaSY_SZ_EUlSY_E_NS1_11comp_targetILNS1_3genE3ELNS1_11target_archE908ELNS1_3gpuE7ELNS1_3repE0EEENS1_30default_config_static_selectorELNS0_4arch9wavefront6targetE0EEEvT1_,"axG",@progbits,_ZN7rocprim17ROCPRIM_400000_NS6detail17trampoline_kernelINS0_14default_configENS1_27scan_by_key_config_selectorIiiEEZZNS1_16scan_by_key_implILNS1_25lookback_scan_determinismE0ELb1ES3_N6thrust23THRUST_200600_302600_NS6detail15normal_iteratorINS9_10device_ptrIiEEEENSB_INSC_IjEEEENSB_INSC_IfEEEEiNS9_4plusIvEENS9_8equal_toIvEEiEE10hipError_tPvRmT2_T3_T4_T5_mT6_T7_P12ihipStream_tbENKUlT_T0_E_clISt17integral_constantIbLb1EES12_IbLb0EEEEDaSY_SZ_EUlSY_E_NS1_11comp_targetILNS1_3genE3ELNS1_11target_archE908ELNS1_3gpuE7ELNS1_3repE0EEENS1_30default_config_static_selectorELNS0_4arch9wavefront6targetE0EEEvT1_,comdat
	.protected	_ZN7rocprim17ROCPRIM_400000_NS6detail17trampoline_kernelINS0_14default_configENS1_27scan_by_key_config_selectorIiiEEZZNS1_16scan_by_key_implILNS1_25lookback_scan_determinismE0ELb1ES3_N6thrust23THRUST_200600_302600_NS6detail15normal_iteratorINS9_10device_ptrIiEEEENSB_INSC_IjEEEENSB_INSC_IfEEEEiNS9_4plusIvEENS9_8equal_toIvEEiEE10hipError_tPvRmT2_T3_T4_T5_mT6_T7_P12ihipStream_tbENKUlT_T0_E_clISt17integral_constantIbLb1EES12_IbLb0EEEEDaSY_SZ_EUlSY_E_NS1_11comp_targetILNS1_3genE3ELNS1_11target_archE908ELNS1_3gpuE7ELNS1_3repE0EEENS1_30default_config_static_selectorELNS0_4arch9wavefront6targetE0EEEvT1_ ; -- Begin function _ZN7rocprim17ROCPRIM_400000_NS6detail17trampoline_kernelINS0_14default_configENS1_27scan_by_key_config_selectorIiiEEZZNS1_16scan_by_key_implILNS1_25lookback_scan_determinismE0ELb1ES3_N6thrust23THRUST_200600_302600_NS6detail15normal_iteratorINS9_10device_ptrIiEEEENSB_INSC_IjEEEENSB_INSC_IfEEEEiNS9_4plusIvEENS9_8equal_toIvEEiEE10hipError_tPvRmT2_T3_T4_T5_mT6_T7_P12ihipStream_tbENKUlT_T0_E_clISt17integral_constantIbLb1EES12_IbLb0EEEEDaSY_SZ_EUlSY_E_NS1_11comp_targetILNS1_3genE3ELNS1_11target_archE908ELNS1_3gpuE7ELNS1_3repE0EEENS1_30default_config_static_selectorELNS0_4arch9wavefront6targetE0EEEvT1_
	.globl	_ZN7rocprim17ROCPRIM_400000_NS6detail17trampoline_kernelINS0_14default_configENS1_27scan_by_key_config_selectorIiiEEZZNS1_16scan_by_key_implILNS1_25lookback_scan_determinismE0ELb1ES3_N6thrust23THRUST_200600_302600_NS6detail15normal_iteratorINS9_10device_ptrIiEEEENSB_INSC_IjEEEENSB_INSC_IfEEEEiNS9_4plusIvEENS9_8equal_toIvEEiEE10hipError_tPvRmT2_T3_T4_T5_mT6_T7_P12ihipStream_tbENKUlT_T0_E_clISt17integral_constantIbLb1EES12_IbLb0EEEEDaSY_SZ_EUlSY_E_NS1_11comp_targetILNS1_3genE3ELNS1_11target_archE908ELNS1_3gpuE7ELNS1_3repE0EEENS1_30default_config_static_selectorELNS0_4arch9wavefront6targetE0EEEvT1_
	.p2align	8
	.type	_ZN7rocprim17ROCPRIM_400000_NS6detail17trampoline_kernelINS0_14default_configENS1_27scan_by_key_config_selectorIiiEEZZNS1_16scan_by_key_implILNS1_25lookback_scan_determinismE0ELb1ES3_N6thrust23THRUST_200600_302600_NS6detail15normal_iteratorINS9_10device_ptrIiEEEENSB_INSC_IjEEEENSB_INSC_IfEEEEiNS9_4plusIvEENS9_8equal_toIvEEiEE10hipError_tPvRmT2_T3_T4_T5_mT6_T7_P12ihipStream_tbENKUlT_T0_E_clISt17integral_constantIbLb1EES12_IbLb0EEEEDaSY_SZ_EUlSY_E_NS1_11comp_targetILNS1_3genE3ELNS1_11target_archE908ELNS1_3gpuE7ELNS1_3repE0EEENS1_30default_config_static_selectorELNS0_4arch9wavefront6targetE0EEEvT1_,@function
_ZN7rocprim17ROCPRIM_400000_NS6detail17trampoline_kernelINS0_14default_configENS1_27scan_by_key_config_selectorIiiEEZZNS1_16scan_by_key_implILNS1_25lookback_scan_determinismE0ELb1ES3_N6thrust23THRUST_200600_302600_NS6detail15normal_iteratorINS9_10device_ptrIiEEEENSB_INSC_IjEEEENSB_INSC_IfEEEEiNS9_4plusIvEENS9_8equal_toIvEEiEE10hipError_tPvRmT2_T3_T4_T5_mT6_T7_P12ihipStream_tbENKUlT_T0_E_clISt17integral_constantIbLb1EES12_IbLb0EEEEDaSY_SZ_EUlSY_E_NS1_11comp_targetILNS1_3genE3ELNS1_11target_archE908ELNS1_3gpuE7ELNS1_3repE0EEENS1_30default_config_static_selectorELNS0_4arch9wavefront6targetE0EEEvT1_: ; @_ZN7rocprim17ROCPRIM_400000_NS6detail17trampoline_kernelINS0_14default_configENS1_27scan_by_key_config_selectorIiiEEZZNS1_16scan_by_key_implILNS1_25lookback_scan_determinismE0ELb1ES3_N6thrust23THRUST_200600_302600_NS6detail15normal_iteratorINS9_10device_ptrIiEEEENSB_INSC_IjEEEENSB_INSC_IfEEEEiNS9_4plusIvEENS9_8equal_toIvEEiEE10hipError_tPvRmT2_T3_T4_T5_mT6_T7_P12ihipStream_tbENKUlT_T0_E_clISt17integral_constantIbLb1EES12_IbLb0EEEEDaSY_SZ_EUlSY_E_NS1_11comp_targetILNS1_3genE3ELNS1_11target_archE908ELNS1_3gpuE7ELNS1_3repE0EEENS1_30default_config_static_selectorELNS0_4arch9wavefront6targetE0EEEvT1_
; %bb.0:
	.section	.rodata,"a",@progbits
	.p2align	6, 0x0
	.amdhsa_kernel _ZN7rocprim17ROCPRIM_400000_NS6detail17trampoline_kernelINS0_14default_configENS1_27scan_by_key_config_selectorIiiEEZZNS1_16scan_by_key_implILNS1_25lookback_scan_determinismE0ELb1ES3_N6thrust23THRUST_200600_302600_NS6detail15normal_iteratorINS9_10device_ptrIiEEEENSB_INSC_IjEEEENSB_INSC_IfEEEEiNS9_4plusIvEENS9_8equal_toIvEEiEE10hipError_tPvRmT2_T3_T4_T5_mT6_T7_P12ihipStream_tbENKUlT_T0_E_clISt17integral_constantIbLb1EES12_IbLb0EEEEDaSY_SZ_EUlSY_E_NS1_11comp_targetILNS1_3genE3ELNS1_11target_archE908ELNS1_3gpuE7ELNS1_3repE0EEENS1_30default_config_static_selectorELNS0_4arch9wavefront6targetE0EEEvT1_
		.amdhsa_group_segment_fixed_size 0
		.amdhsa_private_segment_fixed_size 0
		.amdhsa_kernarg_size 112
		.amdhsa_user_sgpr_count 2
		.amdhsa_user_sgpr_dispatch_ptr 0
		.amdhsa_user_sgpr_queue_ptr 0
		.amdhsa_user_sgpr_kernarg_segment_ptr 1
		.amdhsa_user_sgpr_dispatch_id 0
		.amdhsa_user_sgpr_kernarg_preload_length 0
		.amdhsa_user_sgpr_kernarg_preload_offset 0
		.amdhsa_user_sgpr_private_segment_size 0
		.amdhsa_wavefront_size32 1
		.amdhsa_uses_dynamic_stack 0
		.amdhsa_enable_private_segment 0
		.amdhsa_system_sgpr_workgroup_id_x 1
		.amdhsa_system_sgpr_workgroup_id_y 0
		.amdhsa_system_sgpr_workgroup_id_z 0
		.amdhsa_system_sgpr_workgroup_info 0
		.amdhsa_system_vgpr_workitem_id 0
		.amdhsa_next_free_vgpr 1
		.amdhsa_next_free_sgpr 1
		.amdhsa_named_barrier_count 0
		.amdhsa_reserve_vcc 0
		.amdhsa_float_round_mode_32 0
		.amdhsa_float_round_mode_16_64 0
		.amdhsa_float_denorm_mode_32 3
		.amdhsa_float_denorm_mode_16_64 3
		.amdhsa_fp16_overflow 0
		.amdhsa_memory_ordered 1
		.amdhsa_forward_progress 1
		.amdhsa_inst_pref_size 0
		.amdhsa_round_robin_scheduling 0
		.amdhsa_exception_fp_ieee_invalid_op 0
		.amdhsa_exception_fp_denorm_src 0
		.amdhsa_exception_fp_ieee_div_zero 0
		.amdhsa_exception_fp_ieee_overflow 0
		.amdhsa_exception_fp_ieee_underflow 0
		.amdhsa_exception_fp_ieee_inexact 0
		.amdhsa_exception_int_div_zero 0
	.end_amdhsa_kernel
	.section	.text._ZN7rocprim17ROCPRIM_400000_NS6detail17trampoline_kernelINS0_14default_configENS1_27scan_by_key_config_selectorIiiEEZZNS1_16scan_by_key_implILNS1_25lookback_scan_determinismE0ELb1ES3_N6thrust23THRUST_200600_302600_NS6detail15normal_iteratorINS9_10device_ptrIiEEEENSB_INSC_IjEEEENSB_INSC_IfEEEEiNS9_4plusIvEENS9_8equal_toIvEEiEE10hipError_tPvRmT2_T3_T4_T5_mT6_T7_P12ihipStream_tbENKUlT_T0_E_clISt17integral_constantIbLb1EES12_IbLb0EEEEDaSY_SZ_EUlSY_E_NS1_11comp_targetILNS1_3genE3ELNS1_11target_archE908ELNS1_3gpuE7ELNS1_3repE0EEENS1_30default_config_static_selectorELNS0_4arch9wavefront6targetE0EEEvT1_,"axG",@progbits,_ZN7rocprim17ROCPRIM_400000_NS6detail17trampoline_kernelINS0_14default_configENS1_27scan_by_key_config_selectorIiiEEZZNS1_16scan_by_key_implILNS1_25lookback_scan_determinismE0ELb1ES3_N6thrust23THRUST_200600_302600_NS6detail15normal_iteratorINS9_10device_ptrIiEEEENSB_INSC_IjEEEENSB_INSC_IfEEEEiNS9_4plusIvEENS9_8equal_toIvEEiEE10hipError_tPvRmT2_T3_T4_T5_mT6_T7_P12ihipStream_tbENKUlT_T0_E_clISt17integral_constantIbLb1EES12_IbLb0EEEEDaSY_SZ_EUlSY_E_NS1_11comp_targetILNS1_3genE3ELNS1_11target_archE908ELNS1_3gpuE7ELNS1_3repE0EEENS1_30default_config_static_selectorELNS0_4arch9wavefront6targetE0EEEvT1_,comdat
.Lfunc_end1738:
	.size	_ZN7rocprim17ROCPRIM_400000_NS6detail17trampoline_kernelINS0_14default_configENS1_27scan_by_key_config_selectorIiiEEZZNS1_16scan_by_key_implILNS1_25lookback_scan_determinismE0ELb1ES3_N6thrust23THRUST_200600_302600_NS6detail15normal_iteratorINS9_10device_ptrIiEEEENSB_INSC_IjEEEENSB_INSC_IfEEEEiNS9_4plusIvEENS9_8equal_toIvEEiEE10hipError_tPvRmT2_T3_T4_T5_mT6_T7_P12ihipStream_tbENKUlT_T0_E_clISt17integral_constantIbLb1EES12_IbLb0EEEEDaSY_SZ_EUlSY_E_NS1_11comp_targetILNS1_3genE3ELNS1_11target_archE908ELNS1_3gpuE7ELNS1_3repE0EEENS1_30default_config_static_selectorELNS0_4arch9wavefront6targetE0EEEvT1_, .Lfunc_end1738-_ZN7rocprim17ROCPRIM_400000_NS6detail17trampoline_kernelINS0_14default_configENS1_27scan_by_key_config_selectorIiiEEZZNS1_16scan_by_key_implILNS1_25lookback_scan_determinismE0ELb1ES3_N6thrust23THRUST_200600_302600_NS6detail15normal_iteratorINS9_10device_ptrIiEEEENSB_INSC_IjEEEENSB_INSC_IfEEEEiNS9_4plusIvEENS9_8equal_toIvEEiEE10hipError_tPvRmT2_T3_T4_T5_mT6_T7_P12ihipStream_tbENKUlT_T0_E_clISt17integral_constantIbLb1EES12_IbLb0EEEEDaSY_SZ_EUlSY_E_NS1_11comp_targetILNS1_3genE3ELNS1_11target_archE908ELNS1_3gpuE7ELNS1_3repE0EEENS1_30default_config_static_selectorELNS0_4arch9wavefront6targetE0EEEvT1_
                                        ; -- End function
	.set _ZN7rocprim17ROCPRIM_400000_NS6detail17trampoline_kernelINS0_14default_configENS1_27scan_by_key_config_selectorIiiEEZZNS1_16scan_by_key_implILNS1_25lookback_scan_determinismE0ELb1ES3_N6thrust23THRUST_200600_302600_NS6detail15normal_iteratorINS9_10device_ptrIiEEEENSB_INSC_IjEEEENSB_INSC_IfEEEEiNS9_4plusIvEENS9_8equal_toIvEEiEE10hipError_tPvRmT2_T3_T4_T5_mT6_T7_P12ihipStream_tbENKUlT_T0_E_clISt17integral_constantIbLb1EES12_IbLb0EEEEDaSY_SZ_EUlSY_E_NS1_11comp_targetILNS1_3genE3ELNS1_11target_archE908ELNS1_3gpuE7ELNS1_3repE0EEENS1_30default_config_static_selectorELNS0_4arch9wavefront6targetE0EEEvT1_.num_vgpr, 0
	.set _ZN7rocprim17ROCPRIM_400000_NS6detail17trampoline_kernelINS0_14default_configENS1_27scan_by_key_config_selectorIiiEEZZNS1_16scan_by_key_implILNS1_25lookback_scan_determinismE0ELb1ES3_N6thrust23THRUST_200600_302600_NS6detail15normal_iteratorINS9_10device_ptrIiEEEENSB_INSC_IjEEEENSB_INSC_IfEEEEiNS9_4plusIvEENS9_8equal_toIvEEiEE10hipError_tPvRmT2_T3_T4_T5_mT6_T7_P12ihipStream_tbENKUlT_T0_E_clISt17integral_constantIbLb1EES12_IbLb0EEEEDaSY_SZ_EUlSY_E_NS1_11comp_targetILNS1_3genE3ELNS1_11target_archE908ELNS1_3gpuE7ELNS1_3repE0EEENS1_30default_config_static_selectorELNS0_4arch9wavefront6targetE0EEEvT1_.num_agpr, 0
	.set _ZN7rocprim17ROCPRIM_400000_NS6detail17trampoline_kernelINS0_14default_configENS1_27scan_by_key_config_selectorIiiEEZZNS1_16scan_by_key_implILNS1_25lookback_scan_determinismE0ELb1ES3_N6thrust23THRUST_200600_302600_NS6detail15normal_iteratorINS9_10device_ptrIiEEEENSB_INSC_IjEEEENSB_INSC_IfEEEEiNS9_4plusIvEENS9_8equal_toIvEEiEE10hipError_tPvRmT2_T3_T4_T5_mT6_T7_P12ihipStream_tbENKUlT_T0_E_clISt17integral_constantIbLb1EES12_IbLb0EEEEDaSY_SZ_EUlSY_E_NS1_11comp_targetILNS1_3genE3ELNS1_11target_archE908ELNS1_3gpuE7ELNS1_3repE0EEENS1_30default_config_static_selectorELNS0_4arch9wavefront6targetE0EEEvT1_.numbered_sgpr, 0
	.set _ZN7rocprim17ROCPRIM_400000_NS6detail17trampoline_kernelINS0_14default_configENS1_27scan_by_key_config_selectorIiiEEZZNS1_16scan_by_key_implILNS1_25lookback_scan_determinismE0ELb1ES3_N6thrust23THRUST_200600_302600_NS6detail15normal_iteratorINS9_10device_ptrIiEEEENSB_INSC_IjEEEENSB_INSC_IfEEEEiNS9_4plusIvEENS9_8equal_toIvEEiEE10hipError_tPvRmT2_T3_T4_T5_mT6_T7_P12ihipStream_tbENKUlT_T0_E_clISt17integral_constantIbLb1EES12_IbLb0EEEEDaSY_SZ_EUlSY_E_NS1_11comp_targetILNS1_3genE3ELNS1_11target_archE908ELNS1_3gpuE7ELNS1_3repE0EEENS1_30default_config_static_selectorELNS0_4arch9wavefront6targetE0EEEvT1_.num_named_barrier, 0
	.set _ZN7rocprim17ROCPRIM_400000_NS6detail17trampoline_kernelINS0_14default_configENS1_27scan_by_key_config_selectorIiiEEZZNS1_16scan_by_key_implILNS1_25lookback_scan_determinismE0ELb1ES3_N6thrust23THRUST_200600_302600_NS6detail15normal_iteratorINS9_10device_ptrIiEEEENSB_INSC_IjEEEENSB_INSC_IfEEEEiNS9_4plusIvEENS9_8equal_toIvEEiEE10hipError_tPvRmT2_T3_T4_T5_mT6_T7_P12ihipStream_tbENKUlT_T0_E_clISt17integral_constantIbLb1EES12_IbLb0EEEEDaSY_SZ_EUlSY_E_NS1_11comp_targetILNS1_3genE3ELNS1_11target_archE908ELNS1_3gpuE7ELNS1_3repE0EEENS1_30default_config_static_selectorELNS0_4arch9wavefront6targetE0EEEvT1_.private_seg_size, 0
	.set _ZN7rocprim17ROCPRIM_400000_NS6detail17trampoline_kernelINS0_14default_configENS1_27scan_by_key_config_selectorIiiEEZZNS1_16scan_by_key_implILNS1_25lookback_scan_determinismE0ELb1ES3_N6thrust23THRUST_200600_302600_NS6detail15normal_iteratorINS9_10device_ptrIiEEEENSB_INSC_IjEEEENSB_INSC_IfEEEEiNS9_4plusIvEENS9_8equal_toIvEEiEE10hipError_tPvRmT2_T3_T4_T5_mT6_T7_P12ihipStream_tbENKUlT_T0_E_clISt17integral_constantIbLb1EES12_IbLb0EEEEDaSY_SZ_EUlSY_E_NS1_11comp_targetILNS1_3genE3ELNS1_11target_archE908ELNS1_3gpuE7ELNS1_3repE0EEENS1_30default_config_static_selectorELNS0_4arch9wavefront6targetE0EEEvT1_.uses_vcc, 0
	.set _ZN7rocprim17ROCPRIM_400000_NS6detail17trampoline_kernelINS0_14default_configENS1_27scan_by_key_config_selectorIiiEEZZNS1_16scan_by_key_implILNS1_25lookback_scan_determinismE0ELb1ES3_N6thrust23THRUST_200600_302600_NS6detail15normal_iteratorINS9_10device_ptrIiEEEENSB_INSC_IjEEEENSB_INSC_IfEEEEiNS9_4plusIvEENS9_8equal_toIvEEiEE10hipError_tPvRmT2_T3_T4_T5_mT6_T7_P12ihipStream_tbENKUlT_T0_E_clISt17integral_constantIbLb1EES12_IbLb0EEEEDaSY_SZ_EUlSY_E_NS1_11comp_targetILNS1_3genE3ELNS1_11target_archE908ELNS1_3gpuE7ELNS1_3repE0EEENS1_30default_config_static_selectorELNS0_4arch9wavefront6targetE0EEEvT1_.uses_flat_scratch, 0
	.set _ZN7rocprim17ROCPRIM_400000_NS6detail17trampoline_kernelINS0_14default_configENS1_27scan_by_key_config_selectorIiiEEZZNS1_16scan_by_key_implILNS1_25lookback_scan_determinismE0ELb1ES3_N6thrust23THRUST_200600_302600_NS6detail15normal_iteratorINS9_10device_ptrIiEEEENSB_INSC_IjEEEENSB_INSC_IfEEEEiNS9_4plusIvEENS9_8equal_toIvEEiEE10hipError_tPvRmT2_T3_T4_T5_mT6_T7_P12ihipStream_tbENKUlT_T0_E_clISt17integral_constantIbLb1EES12_IbLb0EEEEDaSY_SZ_EUlSY_E_NS1_11comp_targetILNS1_3genE3ELNS1_11target_archE908ELNS1_3gpuE7ELNS1_3repE0EEENS1_30default_config_static_selectorELNS0_4arch9wavefront6targetE0EEEvT1_.has_dyn_sized_stack, 0
	.set _ZN7rocprim17ROCPRIM_400000_NS6detail17trampoline_kernelINS0_14default_configENS1_27scan_by_key_config_selectorIiiEEZZNS1_16scan_by_key_implILNS1_25lookback_scan_determinismE0ELb1ES3_N6thrust23THRUST_200600_302600_NS6detail15normal_iteratorINS9_10device_ptrIiEEEENSB_INSC_IjEEEENSB_INSC_IfEEEEiNS9_4plusIvEENS9_8equal_toIvEEiEE10hipError_tPvRmT2_T3_T4_T5_mT6_T7_P12ihipStream_tbENKUlT_T0_E_clISt17integral_constantIbLb1EES12_IbLb0EEEEDaSY_SZ_EUlSY_E_NS1_11comp_targetILNS1_3genE3ELNS1_11target_archE908ELNS1_3gpuE7ELNS1_3repE0EEENS1_30default_config_static_selectorELNS0_4arch9wavefront6targetE0EEEvT1_.has_recursion, 0
	.set _ZN7rocprim17ROCPRIM_400000_NS6detail17trampoline_kernelINS0_14default_configENS1_27scan_by_key_config_selectorIiiEEZZNS1_16scan_by_key_implILNS1_25lookback_scan_determinismE0ELb1ES3_N6thrust23THRUST_200600_302600_NS6detail15normal_iteratorINS9_10device_ptrIiEEEENSB_INSC_IjEEEENSB_INSC_IfEEEEiNS9_4plusIvEENS9_8equal_toIvEEiEE10hipError_tPvRmT2_T3_T4_T5_mT6_T7_P12ihipStream_tbENKUlT_T0_E_clISt17integral_constantIbLb1EES12_IbLb0EEEEDaSY_SZ_EUlSY_E_NS1_11comp_targetILNS1_3genE3ELNS1_11target_archE908ELNS1_3gpuE7ELNS1_3repE0EEENS1_30default_config_static_selectorELNS0_4arch9wavefront6targetE0EEEvT1_.has_indirect_call, 0
	.section	.AMDGPU.csdata,"",@progbits
; Kernel info:
; codeLenInByte = 0
; TotalNumSgprs: 0
; NumVgprs: 0
; ScratchSize: 0
; MemoryBound: 0
; FloatMode: 240
; IeeeMode: 1
; LDSByteSize: 0 bytes/workgroup (compile time only)
; SGPRBlocks: 0
; VGPRBlocks: 0
; NumSGPRsForWavesPerEU: 1
; NumVGPRsForWavesPerEU: 1
; NamedBarCnt: 0
; Occupancy: 16
; WaveLimiterHint : 0
; COMPUTE_PGM_RSRC2:SCRATCH_EN: 0
; COMPUTE_PGM_RSRC2:USER_SGPR: 2
; COMPUTE_PGM_RSRC2:TRAP_HANDLER: 0
; COMPUTE_PGM_RSRC2:TGID_X_EN: 1
; COMPUTE_PGM_RSRC2:TGID_Y_EN: 0
; COMPUTE_PGM_RSRC2:TGID_Z_EN: 0
; COMPUTE_PGM_RSRC2:TIDIG_COMP_CNT: 0
	.section	.text._ZN7rocprim17ROCPRIM_400000_NS6detail17trampoline_kernelINS0_14default_configENS1_27scan_by_key_config_selectorIiiEEZZNS1_16scan_by_key_implILNS1_25lookback_scan_determinismE0ELb1ES3_N6thrust23THRUST_200600_302600_NS6detail15normal_iteratorINS9_10device_ptrIiEEEENSB_INSC_IjEEEENSB_INSC_IfEEEEiNS9_4plusIvEENS9_8equal_toIvEEiEE10hipError_tPvRmT2_T3_T4_T5_mT6_T7_P12ihipStream_tbENKUlT_T0_E_clISt17integral_constantIbLb1EES12_IbLb0EEEEDaSY_SZ_EUlSY_E_NS1_11comp_targetILNS1_3genE2ELNS1_11target_archE906ELNS1_3gpuE6ELNS1_3repE0EEENS1_30default_config_static_selectorELNS0_4arch9wavefront6targetE0EEEvT1_,"axG",@progbits,_ZN7rocprim17ROCPRIM_400000_NS6detail17trampoline_kernelINS0_14default_configENS1_27scan_by_key_config_selectorIiiEEZZNS1_16scan_by_key_implILNS1_25lookback_scan_determinismE0ELb1ES3_N6thrust23THRUST_200600_302600_NS6detail15normal_iteratorINS9_10device_ptrIiEEEENSB_INSC_IjEEEENSB_INSC_IfEEEEiNS9_4plusIvEENS9_8equal_toIvEEiEE10hipError_tPvRmT2_T3_T4_T5_mT6_T7_P12ihipStream_tbENKUlT_T0_E_clISt17integral_constantIbLb1EES12_IbLb0EEEEDaSY_SZ_EUlSY_E_NS1_11comp_targetILNS1_3genE2ELNS1_11target_archE906ELNS1_3gpuE6ELNS1_3repE0EEENS1_30default_config_static_selectorELNS0_4arch9wavefront6targetE0EEEvT1_,comdat
	.protected	_ZN7rocprim17ROCPRIM_400000_NS6detail17trampoline_kernelINS0_14default_configENS1_27scan_by_key_config_selectorIiiEEZZNS1_16scan_by_key_implILNS1_25lookback_scan_determinismE0ELb1ES3_N6thrust23THRUST_200600_302600_NS6detail15normal_iteratorINS9_10device_ptrIiEEEENSB_INSC_IjEEEENSB_INSC_IfEEEEiNS9_4plusIvEENS9_8equal_toIvEEiEE10hipError_tPvRmT2_T3_T4_T5_mT6_T7_P12ihipStream_tbENKUlT_T0_E_clISt17integral_constantIbLb1EES12_IbLb0EEEEDaSY_SZ_EUlSY_E_NS1_11comp_targetILNS1_3genE2ELNS1_11target_archE906ELNS1_3gpuE6ELNS1_3repE0EEENS1_30default_config_static_selectorELNS0_4arch9wavefront6targetE0EEEvT1_ ; -- Begin function _ZN7rocprim17ROCPRIM_400000_NS6detail17trampoline_kernelINS0_14default_configENS1_27scan_by_key_config_selectorIiiEEZZNS1_16scan_by_key_implILNS1_25lookback_scan_determinismE0ELb1ES3_N6thrust23THRUST_200600_302600_NS6detail15normal_iteratorINS9_10device_ptrIiEEEENSB_INSC_IjEEEENSB_INSC_IfEEEEiNS9_4plusIvEENS9_8equal_toIvEEiEE10hipError_tPvRmT2_T3_T4_T5_mT6_T7_P12ihipStream_tbENKUlT_T0_E_clISt17integral_constantIbLb1EES12_IbLb0EEEEDaSY_SZ_EUlSY_E_NS1_11comp_targetILNS1_3genE2ELNS1_11target_archE906ELNS1_3gpuE6ELNS1_3repE0EEENS1_30default_config_static_selectorELNS0_4arch9wavefront6targetE0EEEvT1_
	.globl	_ZN7rocprim17ROCPRIM_400000_NS6detail17trampoline_kernelINS0_14default_configENS1_27scan_by_key_config_selectorIiiEEZZNS1_16scan_by_key_implILNS1_25lookback_scan_determinismE0ELb1ES3_N6thrust23THRUST_200600_302600_NS6detail15normal_iteratorINS9_10device_ptrIiEEEENSB_INSC_IjEEEENSB_INSC_IfEEEEiNS9_4plusIvEENS9_8equal_toIvEEiEE10hipError_tPvRmT2_T3_T4_T5_mT6_T7_P12ihipStream_tbENKUlT_T0_E_clISt17integral_constantIbLb1EES12_IbLb0EEEEDaSY_SZ_EUlSY_E_NS1_11comp_targetILNS1_3genE2ELNS1_11target_archE906ELNS1_3gpuE6ELNS1_3repE0EEENS1_30default_config_static_selectorELNS0_4arch9wavefront6targetE0EEEvT1_
	.p2align	8
	.type	_ZN7rocprim17ROCPRIM_400000_NS6detail17trampoline_kernelINS0_14default_configENS1_27scan_by_key_config_selectorIiiEEZZNS1_16scan_by_key_implILNS1_25lookback_scan_determinismE0ELb1ES3_N6thrust23THRUST_200600_302600_NS6detail15normal_iteratorINS9_10device_ptrIiEEEENSB_INSC_IjEEEENSB_INSC_IfEEEEiNS9_4plusIvEENS9_8equal_toIvEEiEE10hipError_tPvRmT2_T3_T4_T5_mT6_T7_P12ihipStream_tbENKUlT_T0_E_clISt17integral_constantIbLb1EES12_IbLb0EEEEDaSY_SZ_EUlSY_E_NS1_11comp_targetILNS1_3genE2ELNS1_11target_archE906ELNS1_3gpuE6ELNS1_3repE0EEENS1_30default_config_static_selectorELNS0_4arch9wavefront6targetE0EEEvT1_,@function
_ZN7rocprim17ROCPRIM_400000_NS6detail17trampoline_kernelINS0_14default_configENS1_27scan_by_key_config_selectorIiiEEZZNS1_16scan_by_key_implILNS1_25lookback_scan_determinismE0ELb1ES3_N6thrust23THRUST_200600_302600_NS6detail15normal_iteratorINS9_10device_ptrIiEEEENSB_INSC_IjEEEENSB_INSC_IfEEEEiNS9_4plusIvEENS9_8equal_toIvEEiEE10hipError_tPvRmT2_T3_T4_T5_mT6_T7_P12ihipStream_tbENKUlT_T0_E_clISt17integral_constantIbLb1EES12_IbLb0EEEEDaSY_SZ_EUlSY_E_NS1_11comp_targetILNS1_3genE2ELNS1_11target_archE906ELNS1_3gpuE6ELNS1_3repE0EEENS1_30default_config_static_selectorELNS0_4arch9wavefront6targetE0EEEvT1_: ; @_ZN7rocprim17ROCPRIM_400000_NS6detail17trampoline_kernelINS0_14default_configENS1_27scan_by_key_config_selectorIiiEEZZNS1_16scan_by_key_implILNS1_25lookback_scan_determinismE0ELb1ES3_N6thrust23THRUST_200600_302600_NS6detail15normal_iteratorINS9_10device_ptrIiEEEENSB_INSC_IjEEEENSB_INSC_IfEEEEiNS9_4plusIvEENS9_8equal_toIvEEiEE10hipError_tPvRmT2_T3_T4_T5_mT6_T7_P12ihipStream_tbENKUlT_T0_E_clISt17integral_constantIbLb1EES12_IbLb0EEEEDaSY_SZ_EUlSY_E_NS1_11comp_targetILNS1_3genE2ELNS1_11target_archE906ELNS1_3gpuE6ELNS1_3repE0EEENS1_30default_config_static_selectorELNS0_4arch9wavefront6targetE0EEEvT1_
; %bb.0:
	.section	.rodata,"a",@progbits
	.p2align	6, 0x0
	.amdhsa_kernel _ZN7rocprim17ROCPRIM_400000_NS6detail17trampoline_kernelINS0_14default_configENS1_27scan_by_key_config_selectorIiiEEZZNS1_16scan_by_key_implILNS1_25lookback_scan_determinismE0ELb1ES3_N6thrust23THRUST_200600_302600_NS6detail15normal_iteratorINS9_10device_ptrIiEEEENSB_INSC_IjEEEENSB_INSC_IfEEEEiNS9_4plusIvEENS9_8equal_toIvEEiEE10hipError_tPvRmT2_T3_T4_T5_mT6_T7_P12ihipStream_tbENKUlT_T0_E_clISt17integral_constantIbLb1EES12_IbLb0EEEEDaSY_SZ_EUlSY_E_NS1_11comp_targetILNS1_3genE2ELNS1_11target_archE906ELNS1_3gpuE6ELNS1_3repE0EEENS1_30default_config_static_selectorELNS0_4arch9wavefront6targetE0EEEvT1_
		.amdhsa_group_segment_fixed_size 0
		.amdhsa_private_segment_fixed_size 0
		.amdhsa_kernarg_size 112
		.amdhsa_user_sgpr_count 2
		.amdhsa_user_sgpr_dispatch_ptr 0
		.amdhsa_user_sgpr_queue_ptr 0
		.amdhsa_user_sgpr_kernarg_segment_ptr 1
		.amdhsa_user_sgpr_dispatch_id 0
		.amdhsa_user_sgpr_kernarg_preload_length 0
		.amdhsa_user_sgpr_kernarg_preload_offset 0
		.amdhsa_user_sgpr_private_segment_size 0
		.amdhsa_wavefront_size32 1
		.amdhsa_uses_dynamic_stack 0
		.amdhsa_enable_private_segment 0
		.amdhsa_system_sgpr_workgroup_id_x 1
		.amdhsa_system_sgpr_workgroup_id_y 0
		.amdhsa_system_sgpr_workgroup_id_z 0
		.amdhsa_system_sgpr_workgroup_info 0
		.amdhsa_system_vgpr_workitem_id 0
		.amdhsa_next_free_vgpr 1
		.amdhsa_next_free_sgpr 1
		.amdhsa_named_barrier_count 0
		.amdhsa_reserve_vcc 0
		.amdhsa_float_round_mode_32 0
		.amdhsa_float_round_mode_16_64 0
		.amdhsa_float_denorm_mode_32 3
		.amdhsa_float_denorm_mode_16_64 3
		.amdhsa_fp16_overflow 0
		.amdhsa_memory_ordered 1
		.amdhsa_forward_progress 1
		.amdhsa_inst_pref_size 0
		.amdhsa_round_robin_scheduling 0
		.amdhsa_exception_fp_ieee_invalid_op 0
		.amdhsa_exception_fp_denorm_src 0
		.amdhsa_exception_fp_ieee_div_zero 0
		.amdhsa_exception_fp_ieee_overflow 0
		.amdhsa_exception_fp_ieee_underflow 0
		.amdhsa_exception_fp_ieee_inexact 0
		.amdhsa_exception_int_div_zero 0
	.end_amdhsa_kernel
	.section	.text._ZN7rocprim17ROCPRIM_400000_NS6detail17trampoline_kernelINS0_14default_configENS1_27scan_by_key_config_selectorIiiEEZZNS1_16scan_by_key_implILNS1_25lookback_scan_determinismE0ELb1ES3_N6thrust23THRUST_200600_302600_NS6detail15normal_iteratorINS9_10device_ptrIiEEEENSB_INSC_IjEEEENSB_INSC_IfEEEEiNS9_4plusIvEENS9_8equal_toIvEEiEE10hipError_tPvRmT2_T3_T4_T5_mT6_T7_P12ihipStream_tbENKUlT_T0_E_clISt17integral_constantIbLb1EES12_IbLb0EEEEDaSY_SZ_EUlSY_E_NS1_11comp_targetILNS1_3genE2ELNS1_11target_archE906ELNS1_3gpuE6ELNS1_3repE0EEENS1_30default_config_static_selectorELNS0_4arch9wavefront6targetE0EEEvT1_,"axG",@progbits,_ZN7rocprim17ROCPRIM_400000_NS6detail17trampoline_kernelINS0_14default_configENS1_27scan_by_key_config_selectorIiiEEZZNS1_16scan_by_key_implILNS1_25lookback_scan_determinismE0ELb1ES3_N6thrust23THRUST_200600_302600_NS6detail15normal_iteratorINS9_10device_ptrIiEEEENSB_INSC_IjEEEENSB_INSC_IfEEEEiNS9_4plusIvEENS9_8equal_toIvEEiEE10hipError_tPvRmT2_T3_T4_T5_mT6_T7_P12ihipStream_tbENKUlT_T0_E_clISt17integral_constantIbLb1EES12_IbLb0EEEEDaSY_SZ_EUlSY_E_NS1_11comp_targetILNS1_3genE2ELNS1_11target_archE906ELNS1_3gpuE6ELNS1_3repE0EEENS1_30default_config_static_selectorELNS0_4arch9wavefront6targetE0EEEvT1_,comdat
.Lfunc_end1739:
	.size	_ZN7rocprim17ROCPRIM_400000_NS6detail17trampoline_kernelINS0_14default_configENS1_27scan_by_key_config_selectorIiiEEZZNS1_16scan_by_key_implILNS1_25lookback_scan_determinismE0ELb1ES3_N6thrust23THRUST_200600_302600_NS6detail15normal_iteratorINS9_10device_ptrIiEEEENSB_INSC_IjEEEENSB_INSC_IfEEEEiNS9_4plusIvEENS9_8equal_toIvEEiEE10hipError_tPvRmT2_T3_T4_T5_mT6_T7_P12ihipStream_tbENKUlT_T0_E_clISt17integral_constantIbLb1EES12_IbLb0EEEEDaSY_SZ_EUlSY_E_NS1_11comp_targetILNS1_3genE2ELNS1_11target_archE906ELNS1_3gpuE6ELNS1_3repE0EEENS1_30default_config_static_selectorELNS0_4arch9wavefront6targetE0EEEvT1_, .Lfunc_end1739-_ZN7rocprim17ROCPRIM_400000_NS6detail17trampoline_kernelINS0_14default_configENS1_27scan_by_key_config_selectorIiiEEZZNS1_16scan_by_key_implILNS1_25lookback_scan_determinismE0ELb1ES3_N6thrust23THRUST_200600_302600_NS6detail15normal_iteratorINS9_10device_ptrIiEEEENSB_INSC_IjEEEENSB_INSC_IfEEEEiNS9_4plusIvEENS9_8equal_toIvEEiEE10hipError_tPvRmT2_T3_T4_T5_mT6_T7_P12ihipStream_tbENKUlT_T0_E_clISt17integral_constantIbLb1EES12_IbLb0EEEEDaSY_SZ_EUlSY_E_NS1_11comp_targetILNS1_3genE2ELNS1_11target_archE906ELNS1_3gpuE6ELNS1_3repE0EEENS1_30default_config_static_selectorELNS0_4arch9wavefront6targetE0EEEvT1_
                                        ; -- End function
	.set _ZN7rocprim17ROCPRIM_400000_NS6detail17trampoline_kernelINS0_14default_configENS1_27scan_by_key_config_selectorIiiEEZZNS1_16scan_by_key_implILNS1_25lookback_scan_determinismE0ELb1ES3_N6thrust23THRUST_200600_302600_NS6detail15normal_iteratorINS9_10device_ptrIiEEEENSB_INSC_IjEEEENSB_INSC_IfEEEEiNS9_4plusIvEENS9_8equal_toIvEEiEE10hipError_tPvRmT2_T3_T4_T5_mT6_T7_P12ihipStream_tbENKUlT_T0_E_clISt17integral_constantIbLb1EES12_IbLb0EEEEDaSY_SZ_EUlSY_E_NS1_11comp_targetILNS1_3genE2ELNS1_11target_archE906ELNS1_3gpuE6ELNS1_3repE0EEENS1_30default_config_static_selectorELNS0_4arch9wavefront6targetE0EEEvT1_.num_vgpr, 0
	.set _ZN7rocprim17ROCPRIM_400000_NS6detail17trampoline_kernelINS0_14default_configENS1_27scan_by_key_config_selectorIiiEEZZNS1_16scan_by_key_implILNS1_25lookback_scan_determinismE0ELb1ES3_N6thrust23THRUST_200600_302600_NS6detail15normal_iteratorINS9_10device_ptrIiEEEENSB_INSC_IjEEEENSB_INSC_IfEEEEiNS9_4plusIvEENS9_8equal_toIvEEiEE10hipError_tPvRmT2_T3_T4_T5_mT6_T7_P12ihipStream_tbENKUlT_T0_E_clISt17integral_constantIbLb1EES12_IbLb0EEEEDaSY_SZ_EUlSY_E_NS1_11comp_targetILNS1_3genE2ELNS1_11target_archE906ELNS1_3gpuE6ELNS1_3repE0EEENS1_30default_config_static_selectorELNS0_4arch9wavefront6targetE0EEEvT1_.num_agpr, 0
	.set _ZN7rocprim17ROCPRIM_400000_NS6detail17trampoline_kernelINS0_14default_configENS1_27scan_by_key_config_selectorIiiEEZZNS1_16scan_by_key_implILNS1_25lookback_scan_determinismE0ELb1ES3_N6thrust23THRUST_200600_302600_NS6detail15normal_iteratorINS9_10device_ptrIiEEEENSB_INSC_IjEEEENSB_INSC_IfEEEEiNS9_4plusIvEENS9_8equal_toIvEEiEE10hipError_tPvRmT2_T3_T4_T5_mT6_T7_P12ihipStream_tbENKUlT_T0_E_clISt17integral_constantIbLb1EES12_IbLb0EEEEDaSY_SZ_EUlSY_E_NS1_11comp_targetILNS1_3genE2ELNS1_11target_archE906ELNS1_3gpuE6ELNS1_3repE0EEENS1_30default_config_static_selectorELNS0_4arch9wavefront6targetE0EEEvT1_.numbered_sgpr, 0
	.set _ZN7rocprim17ROCPRIM_400000_NS6detail17trampoline_kernelINS0_14default_configENS1_27scan_by_key_config_selectorIiiEEZZNS1_16scan_by_key_implILNS1_25lookback_scan_determinismE0ELb1ES3_N6thrust23THRUST_200600_302600_NS6detail15normal_iteratorINS9_10device_ptrIiEEEENSB_INSC_IjEEEENSB_INSC_IfEEEEiNS9_4plusIvEENS9_8equal_toIvEEiEE10hipError_tPvRmT2_T3_T4_T5_mT6_T7_P12ihipStream_tbENKUlT_T0_E_clISt17integral_constantIbLb1EES12_IbLb0EEEEDaSY_SZ_EUlSY_E_NS1_11comp_targetILNS1_3genE2ELNS1_11target_archE906ELNS1_3gpuE6ELNS1_3repE0EEENS1_30default_config_static_selectorELNS0_4arch9wavefront6targetE0EEEvT1_.num_named_barrier, 0
	.set _ZN7rocprim17ROCPRIM_400000_NS6detail17trampoline_kernelINS0_14default_configENS1_27scan_by_key_config_selectorIiiEEZZNS1_16scan_by_key_implILNS1_25lookback_scan_determinismE0ELb1ES3_N6thrust23THRUST_200600_302600_NS6detail15normal_iteratorINS9_10device_ptrIiEEEENSB_INSC_IjEEEENSB_INSC_IfEEEEiNS9_4plusIvEENS9_8equal_toIvEEiEE10hipError_tPvRmT2_T3_T4_T5_mT6_T7_P12ihipStream_tbENKUlT_T0_E_clISt17integral_constantIbLb1EES12_IbLb0EEEEDaSY_SZ_EUlSY_E_NS1_11comp_targetILNS1_3genE2ELNS1_11target_archE906ELNS1_3gpuE6ELNS1_3repE0EEENS1_30default_config_static_selectorELNS0_4arch9wavefront6targetE0EEEvT1_.private_seg_size, 0
	.set _ZN7rocprim17ROCPRIM_400000_NS6detail17trampoline_kernelINS0_14default_configENS1_27scan_by_key_config_selectorIiiEEZZNS1_16scan_by_key_implILNS1_25lookback_scan_determinismE0ELb1ES3_N6thrust23THRUST_200600_302600_NS6detail15normal_iteratorINS9_10device_ptrIiEEEENSB_INSC_IjEEEENSB_INSC_IfEEEEiNS9_4plusIvEENS9_8equal_toIvEEiEE10hipError_tPvRmT2_T3_T4_T5_mT6_T7_P12ihipStream_tbENKUlT_T0_E_clISt17integral_constantIbLb1EES12_IbLb0EEEEDaSY_SZ_EUlSY_E_NS1_11comp_targetILNS1_3genE2ELNS1_11target_archE906ELNS1_3gpuE6ELNS1_3repE0EEENS1_30default_config_static_selectorELNS0_4arch9wavefront6targetE0EEEvT1_.uses_vcc, 0
	.set _ZN7rocprim17ROCPRIM_400000_NS6detail17trampoline_kernelINS0_14default_configENS1_27scan_by_key_config_selectorIiiEEZZNS1_16scan_by_key_implILNS1_25lookback_scan_determinismE0ELb1ES3_N6thrust23THRUST_200600_302600_NS6detail15normal_iteratorINS9_10device_ptrIiEEEENSB_INSC_IjEEEENSB_INSC_IfEEEEiNS9_4plusIvEENS9_8equal_toIvEEiEE10hipError_tPvRmT2_T3_T4_T5_mT6_T7_P12ihipStream_tbENKUlT_T0_E_clISt17integral_constantIbLb1EES12_IbLb0EEEEDaSY_SZ_EUlSY_E_NS1_11comp_targetILNS1_3genE2ELNS1_11target_archE906ELNS1_3gpuE6ELNS1_3repE0EEENS1_30default_config_static_selectorELNS0_4arch9wavefront6targetE0EEEvT1_.uses_flat_scratch, 0
	.set _ZN7rocprim17ROCPRIM_400000_NS6detail17trampoline_kernelINS0_14default_configENS1_27scan_by_key_config_selectorIiiEEZZNS1_16scan_by_key_implILNS1_25lookback_scan_determinismE0ELb1ES3_N6thrust23THRUST_200600_302600_NS6detail15normal_iteratorINS9_10device_ptrIiEEEENSB_INSC_IjEEEENSB_INSC_IfEEEEiNS9_4plusIvEENS9_8equal_toIvEEiEE10hipError_tPvRmT2_T3_T4_T5_mT6_T7_P12ihipStream_tbENKUlT_T0_E_clISt17integral_constantIbLb1EES12_IbLb0EEEEDaSY_SZ_EUlSY_E_NS1_11comp_targetILNS1_3genE2ELNS1_11target_archE906ELNS1_3gpuE6ELNS1_3repE0EEENS1_30default_config_static_selectorELNS0_4arch9wavefront6targetE0EEEvT1_.has_dyn_sized_stack, 0
	.set _ZN7rocprim17ROCPRIM_400000_NS6detail17trampoline_kernelINS0_14default_configENS1_27scan_by_key_config_selectorIiiEEZZNS1_16scan_by_key_implILNS1_25lookback_scan_determinismE0ELb1ES3_N6thrust23THRUST_200600_302600_NS6detail15normal_iteratorINS9_10device_ptrIiEEEENSB_INSC_IjEEEENSB_INSC_IfEEEEiNS9_4plusIvEENS9_8equal_toIvEEiEE10hipError_tPvRmT2_T3_T4_T5_mT6_T7_P12ihipStream_tbENKUlT_T0_E_clISt17integral_constantIbLb1EES12_IbLb0EEEEDaSY_SZ_EUlSY_E_NS1_11comp_targetILNS1_3genE2ELNS1_11target_archE906ELNS1_3gpuE6ELNS1_3repE0EEENS1_30default_config_static_selectorELNS0_4arch9wavefront6targetE0EEEvT1_.has_recursion, 0
	.set _ZN7rocprim17ROCPRIM_400000_NS6detail17trampoline_kernelINS0_14default_configENS1_27scan_by_key_config_selectorIiiEEZZNS1_16scan_by_key_implILNS1_25lookback_scan_determinismE0ELb1ES3_N6thrust23THRUST_200600_302600_NS6detail15normal_iteratorINS9_10device_ptrIiEEEENSB_INSC_IjEEEENSB_INSC_IfEEEEiNS9_4plusIvEENS9_8equal_toIvEEiEE10hipError_tPvRmT2_T3_T4_T5_mT6_T7_P12ihipStream_tbENKUlT_T0_E_clISt17integral_constantIbLb1EES12_IbLb0EEEEDaSY_SZ_EUlSY_E_NS1_11comp_targetILNS1_3genE2ELNS1_11target_archE906ELNS1_3gpuE6ELNS1_3repE0EEENS1_30default_config_static_selectorELNS0_4arch9wavefront6targetE0EEEvT1_.has_indirect_call, 0
	.section	.AMDGPU.csdata,"",@progbits
; Kernel info:
; codeLenInByte = 0
; TotalNumSgprs: 0
; NumVgprs: 0
; ScratchSize: 0
; MemoryBound: 0
; FloatMode: 240
; IeeeMode: 1
; LDSByteSize: 0 bytes/workgroup (compile time only)
; SGPRBlocks: 0
; VGPRBlocks: 0
; NumSGPRsForWavesPerEU: 1
; NumVGPRsForWavesPerEU: 1
; NamedBarCnt: 0
; Occupancy: 16
; WaveLimiterHint : 0
; COMPUTE_PGM_RSRC2:SCRATCH_EN: 0
; COMPUTE_PGM_RSRC2:USER_SGPR: 2
; COMPUTE_PGM_RSRC2:TRAP_HANDLER: 0
; COMPUTE_PGM_RSRC2:TGID_X_EN: 1
; COMPUTE_PGM_RSRC2:TGID_Y_EN: 0
; COMPUTE_PGM_RSRC2:TGID_Z_EN: 0
; COMPUTE_PGM_RSRC2:TIDIG_COMP_CNT: 0
	.section	.text._ZN7rocprim17ROCPRIM_400000_NS6detail17trampoline_kernelINS0_14default_configENS1_27scan_by_key_config_selectorIiiEEZZNS1_16scan_by_key_implILNS1_25lookback_scan_determinismE0ELb1ES3_N6thrust23THRUST_200600_302600_NS6detail15normal_iteratorINS9_10device_ptrIiEEEENSB_INSC_IjEEEENSB_INSC_IfEEEEiNS9_4plusIvEENS9_8equal_toIvEEiEE10hipError_tPvRmT2_T3_T4_T5_mT6_T7_P12ihipStream_tbENKUlT_T0_E_clISt17integral_constantIbLb1EES12_IbLb0EEEEDaSY_SZ_EUlSY_E_NS1_11comp_targetILNS1_3genE10ELNS1_11target_archE1200ELNS1_3gpuE4ELNS1_3repE0EEENS1_30default_config_static_selectorELNS0_4arch9wavefront6targetE0EEEvT1_,"axG",@progbits,_ZN7rocprim17ROCPRIM_400000_NS6detail17trampoline_kernelINS0_14default_configENS1_27scan_by_key_config_selectorIiiEEZZNS1_16scan_by_key_implILNS1_25lookback_scan_determinismE0ELb1ES3_N6thrust23THRUST_200600_302600_NS6detail15normal_iteratorINS9_10device_ptrIiEEEENSB_INSC_IjEEEENSB_INSC_IfEEEEiNS9_4plusIvEENS9_8equal_toIvEEiEE10hipError_tPvRmT2_T3_T4_T5_mT6_T7_P12ihipStream_tbENKUlT_T0_E_clISt17integral_constantIbLb1EES12_IbLb0EEEEDaSY_SZ_EUlSY_E_NS1_11comp_targetILNS1_3genE10ELNS1_11target_archE1200ELNS1_3gpuE4ELNS1_3repE0EEENS1_30default_config_static_selectorELNS0_4arch9wavefront6targetE0EEEvT1_,comdat
	.protected	_ZN7rocprim17ROCPRIM_400000_NS6detail17trampoline_kernelINS0_14default_configENS1_27scan_by_key_config_selectorIiiEEZZNS1_16scan_by_key_implILNS1_25lookback_scan_determinismE0ELb1ES3_N6thrust23THRUST_200600_302600_NS6detail15normal_iteratorINS9_10device_ptrIiEEEENSB_INSC_IjEEEENSB_INSC_IfEEEEiNS9_4plusIvEENS9_8equal_toIvEEiEE10hipError_tPvRmT2_T3_T4_T5_mT6_T7_P12ihipStream_tbENKUlT_T0_E_clISt17integral_constantIbLb1EES12_IbLb0EEEEDaSY_SZ_EUlSY_E_NS1_11comp_targetILNS1_3genE10ELNS1_11target_archE1200ELNS1_3gpuE4ELNS1_3repE0EEENS1_30default_config_static_selectorELNS0_4arch9wavefront6targetE0EEEvT1_ ; -- Begin function _ZN7rocprim17ROCPRIM_400000_NS6detail17trampoline_kernelINS0_14default_configENS1_27scan_by_key_config_selectorIiiEEZZNS1_16scan_by_key_implILNS1_25lookback_scan_determinismE0ELb1ES3_N6thrust23THRUST_200600_302600_NS6detail15normal_iteratorINS9_10device_ptrIiEEEENSB_INSC_IjEEEENSB_INSC_IfEEEEiNS9_4plusIvEENS9_8equal_toIvEEiEE10hipError_tPvRmT2_T3_T4_T5_mT6_T7_P12ihipStream_tbENKUlT_T0_E_clISt17integral_constantIbLb1EES12_IbLb0EEEEDaSY_SZ_EUlSY_E_NS1_11comp_targetILNS1_3genE10ELNS1_11target_archE1200ELNS1_3gpuE4ELNS1_3repE0EEENS1_30default_config_static_selectorELNS0_4arch9wavefront6targetE0EEEvT1_
	.globl	_ZN7rocprim17ROCPRIM_400000_NS6detail17trampoline_kernelINS0_14default_configENS1_27scan_by_key_config_selectorIiiEEZZNS1_16scan_by_key_implILNS1_25lookback_scan_determinismE0ELb1ES3_N6thrust23THRUST_200600_302600_NS6detail15normal_iteratorINS9_10device_ptrIiEEEENSB_INSC_IjEEEENSB_INSC_IfEEEEiNS9_4plusIvEENS9_8equal_toIvEEiEE10hipError_tPvRmT2_T3_T4_T5_mT6_T7_P12ihipStream_tbENKUlT_T0_E_clISt17integral_constantIbLb1EES12_IbLb0EEEEDaSY_SZ_EUlSY_E_NS1_11comp_targetILNS1_3genE10ELNS1_11target_archE1200ELNS1_3gpuE4ELNS1_3repE0EEENS1_30default_config_static_selectorELNS0_4arch9wavefront6targetE0EEEvT1_
	.p2align	8
	.type	_ZN7rocprim17ROCPRIM_400000_NS6detail17trampoline_kernelINS0_14default_configENS1_27scan_by_key_config_selectorIiiEEZZNS1_16scan_by_key_implILNS1_25lookback_scan_determinismE0ELb1ES3_N6thrust23THRUST_200600_302600_NS6detail15normal_iteratorINS9_10device_ptrIiEEEENSB_INSC_IjEEEENSB_INSC_IfEEEEiNS9_4plusIvEENS9_8equal_toIvEEiEE10hipError_tPvRmT2_T3_T4_T5_mT6_T7_P12ihipStream_tbENKUlT_T0_E_clISt17integral_constantIbLb1EES12_IbLb0EEEEDaSY_SZ_EUlSY_E_NS1_11comp_targetILNS1_3genE10ELNS1_11target_archE1200ELNS1_3gpuE4ELNS1_3repE0EEENS1_30default_config_static_selectorELNS0_4arch9wavefront6targetE0EEEvT1_,@function
_ZN7rocprim17ROCPRIM_400000_NS6detail17trampoline_kernelINS0_14default_configENS1_27scan_by_key_config_selectorIiiEEZZNS1_16scan_by_key_implILNS1_25lookback_scan_determinismE0ELb1ES3_N6thrust23THRUST_200600_302600_NS6detail15normal_iteratorINS9_10device_ptrIiEEEENSB_INSC_IjEEEENSB_INSC_IfEEEEiNS9_4plusIvEENS9_8equal_toIvEEiEE10hipError_tPvRmT2_T3_T4_T5_mT6_T7_P12ihipStream_tbENKUlT_T0_E_clISt17integral_constantIbLb1EES12_IbLb0EEEEDaSY_SZ_EUlSY_E_NS1_11comp_targetILNS1_3genE10ELNS1_11target_archE1200ELNS1_3gpuE4ELNS1_3repE0EEENS1_30default_config_static_selectorELNS0_4arch9wavefront6targetE0EEEvT1_: ; @_ZN7rocprim17ROCPRIM_400000_NS6detail17trampoline_kernelINS0_14default_configENS1_27scan_by_key_config_selectorIiiEEZZNS1_16scan_by_key_implILNS1_25lookback_scan_determinismE0ELb1ES3_N6thrust23THRUST_200600_302600_NS6detail15normal_iteratorINS9_10device_ptrIiEEEENSB_INSC_IjEEEENSB_INSC_IfEEEEiNS9_4plusIvEENS9_8equal_toIvEEiEE10hipError_tPvRmT2_T3_T4_T5_mT6_T7_P12ihipStream_tbENKUlT_T0_E_clISt17integral_constantIbLb1EES12_IbLb0EEEEDaSY_SZ_EUlSY_E_NS1_11comp_targetILNS1_3genE10ELNS1_11target_archE1200ELNS1_3gpuE4ELNS1_3repE0EEENS1_30default_config_static_selectorELNS0_4arch9wavefront6targetE0EEEvT1_
; %bb.0:
	.section	.rodata,"a",@progbits
	.p2align	6, 0x0
	.amdhsa_kernel _ZN7rocprim17ROCPRIM_400000_NS6detail17trampoline_kernelINS0_14default_configENS1_27scan_by_key_config_selectorIiiEEZZNS1_16scan_by_key_implILNS1_25lookback_scan_determinismE0ELb1ES3_N6thrust23THRUST_200600_302600_NS6detail15normal_iteratorINS9_10device_ptrIiEEEENSB_INSC_IjEEEENSB_INSC_IfEEEEiNS9_4plusIvEENS9_8equal_toIvEEiEE10hipError_tPvRmT2_T3_T4_T5_mT6_T7_P12ihipStream_tbENKUlT_T0_E_clISt17integral_constantIbLb1EES12_IbLb0EEEEDaSY_SZ_EUlSY_E_NS1_11comp_targetILNS1_3genE10ELNS1_11target_archE1200ELNS1_3gpuE4ELNS1_3repE0EEENS1_30default_config_static_selectorELNS0_4arch9wavefront6targetE0EEEvT1_
		.amdhsa_group_segment_fixed_size 0
		.amdhsa_private_segment_fixed_size 0
		.amdhsa_kernarg_size 112
		.amdhsa_user_sgpr_count 2
		.amdhsa_user_sgpr_dispatch_ptr 0
		.amdhsa_user_sgpr_queue_ptr 0
		.amdhsa_user_sgpr_kernarg_segment_ptr 1
		.amdhsa_user_sgpr_dispatch_id 0
		.amdhsa_user_sgpr_kernarg_preload_length 0
		.amdhsa_user_sgpr_kernarg_preload_offset 0
		.amdhsa_user_sgpr_private_segment_size 0
		.amdhsa_wavefront_size32 1
		.amdhsa_uses_dynamic_stack 0
		.amdhsa_enable_private_segment 0
		.amdhsa_system_sgpr_workgroup_id_x 1
		.amdhsa_system_sgpr_workgroup_id_y 0
		.amdhsa_system_sgpr_workgroup_id_z 0
		.amdhsa_system_sgpr_workgroup_info 0
		.amdhsa_system_vgpr_workitem_id 0
		.amdhsa_next_free_vgpr 1
		.amdhsa_next_free_sgpr 1
		.amdhsa_named_barrier_count 0
		.amdhsa_reserve_vcc 0
		.amdhsa_float_round_mode_32 0
		.amdhsa_float_round_mode_16_64 0
		.amdhsa_float_denorm_mode_32 3
		.amdhsa_float_denorm_mode_16_64 3
		.amdhsa_fp16_overflow 0
		.amdhsa_memory_ordered 1
		.amdhsa_forward_progress 1
		.amdhsa_inst_pref_size 0
		.amdhsa_round_robin_scheduling 0
		.amdhsa_exception_fp_ieee_invalid_op 0
		.amdhsa_exception_fp_denorm_src 0
		.amdhsa_exception_fp_ieee_div_zero 0
		.amdhsa_exception_fp_ieee_overflow 0
		.amdhsa_exception_fp_ieee_underflow 0
		.amdhsa_exception_fp_ieee_inexact 0
		.amdhsa_exception_int_div_zero 0
	.end_amdhsa_kernel
	.section	.text._ZN7rocprim17ROCPRIM_400000_NS6detail17trampoline_kernelINS0_14default_configENS1_27scan_by_key_config_selectorIiiEEZZNS1_16scan_by_key_implILNS1_25lookback_scan_determinismE0ELb1ES3_N6thrust23THRUST_200600_302600_NS6detail15normal_iteratorINS9_10device_ptrIiEEEENSB_INSC_IjEEEENSB_INSC_IfEEEEiNS9_4plusIvEENS9_8equal_toIvEEiEE10hipError_tPvRmT2_T3_T4_T5_mT6_T7_P12ihipStream_tbENKUlT_T0_E_clISt17integral_constantIbLb1EES12_IbLb0EEEEDaSY_SZ_EUlSY_E_NS1_11comp_targetILNS1_3genE10ELNS1_11target_archE1200ELNS1_3gpuE4ELNS1_3repE0EEENS1_30default_config_static_selectorELNS0_4arch9wavefront6targetE0EEEvT1_,"axG",@progbits,_ZN7rocprim17ROCPRIM_400000_NS6detail17trampoline_kernelINS0_14default_configENS1_27scan_by_key_config_selectorIiiEEZZNS1_16scan_by_key_implILNS1_25lookback_scan_determinismE0ELb1ES3_N6thrust23THRUST_200600_302600_NS6detail15normal_iteratorINS9_10device_ptrIiEEEENSB_INSC_IjEEEENSB_INSC_IfEEEEiNS9_4plusIvEENS9_8equal_toIvEEiEE10hipError_tPvRmT2_T3_T4_T5_mT6_T7_P12ihipStream_tbENKUlT_T0_E_clISt17integral_constantIbLb1EES12_IbLb0EEEEDaSY_SZ_EUlSY_E_NS1_11comp_targetILNS1_3genE10ELNS1_11target_archE1200ELNS1_3gpuE4ELNS1_3repE0EEENS1_30default_config_static_selectorELNS0_4arch9wavefront6targetE0EEEvT1_,comdat
.Lfunc_end1740:
	.size	_ZN7rocprim17ROCPRIM_400000_NS6detail17trampoline_kernelINS0_14default_configENS1_27scan_by_key_config_selectorIiiEEZZNS1_16scan_by_key_implILNS1_25lookback_scan_determinismE0ELb1ES3_N6thrust23THRUST_200600_302600_NS6detail15normal_iteratorINS9_10device_ptrIiEEEENSB_INSC_IjEEEENSB_INSC_IfEEEEiNS9_4plusIvEENS9_8equal_toIvEEiEE10hipError_tPvRmT2_T3_T4_T5_mT6_T7_P12ihipStream_tbENKUlT_T0_E_clISt17integral_constantIbLb1EES12_IbLb0EEEEDaSY_SZ_EUlSY_E_NS1_11comp_targetILNS1_3genE10ELNS1_11target_archE1200ELNS1_3gpuE4ELNS1_3repE0EEENS1_30default_config_static_selectorELNS0_4arch9wavefront6targetE0EEEvT1_, .Lfunc_end1740-_ZN7rocprim17ROCPRIM_400000_NS6detail17trampoline_kernelINS0_14default_configENS1_27scan_by_key_config_selectorIiiEEZZNS1_16scan_by_key_implILNS1_25lookback_scan_determinismE0ELb1ES3_N6thrust23THRUST_200600_302600_NS6detail15normal_iteratorINS9_10device_ptrIiEEEENSB_INSC_IjEEEENSB_INSC_IfEEEEiNS9_4plusIvEENS9_8equal_toIvEEiEE10hipError_tPvRmT2_T3_T4_T5_mT6_T7_P12ihipStream_tbENKUlT_T0_E_clISt17integral_constantIbLb1EES12_IbLb0EEEEDaSY_SZ_EUlSY_E_NS1_11comp_targetILNS1_3genE10ELNS1_11target_archE1200ELNS1_3gpuE4ELNS1_3repE0EEENS1_30default_config_static_selectorELNS0_4arch9wavefront6targetE0EEEvT1_
                                        ; -- End function
	.set _ZN7rocprim17ROCPRIM_400000_NS6detail17trampoline_kernelINS0_14default_configENS1_27scan_by_key_config_selectorIiiEEZZNS1_16scan_by_key_implILNS1_25lookback_scan_determinismE0ELb1ES3_N6thrust23THRUST_200600_302600_NS6detail15normal_iteratorINS9_10device_ptrIiEEEENSB_INSC_IjEEEENSB_INSC_IfEEEEiNS9_4plusIvEENS9_8equal_toIvEEiEE10hipError_tPvRmT2_T3_T4_T5_mT6_T7_P12ihipStream_tbENKUlT_T0_E_clISt17integral_constantIbLb1EES12_IbLb0EEEEDaSY_SZ_EUlSY_E_NS1_11comp_targetILNS1_3genE10ELNS1_11target_archE1200ELNS1_3gpuE4ELNS1_3repE0EEENS1_30default_config_static_selectorELNS0_4arch9wavefront6targetE0EEEvT1_.num_vgpr, 0
	.set _ZN7rocprim17ROCPRIM_400000_NS6detail17trampoline_kernelINS0_14default_configENS1_27scan_by_key_config_selectorIiiEEZZNS1_16scan_by_key_implILNS1_25lookback_scan_determinismE0ELb1ES3_N6thrust23THRUST_200600_302600_NS6detail15normal_iteratorINS9_10device_ptrIiEEEENSB_INSC_IjEEEENSB_INSC_IfEEEEiNS9_4plusIvEENS9_8equal_toIvEEiEE10hipError_tPvRmT2_T3_T4_T5_mT6_T7_P12ihipStream_tbENKUlT_T0_E_clISt17integral_constantIbLb1EES12_IbLb0EEEEDaSY_SZ_EUlSY_E_NS1_11comp_targetILNS1_3genE10ELNS1_11target_archE1200ELNS1_3gpuE4ELNS1_3repE0EEENS1_30default_config_static_selectorELNS0_4arch9wavefront6targetE0EEEvT1_.num_agpr, 0
	.set _ZN7rocprim17ROCPRIM_400000_NS6detail17trampoline_kernelINS0_14default_configENS1_27scan_by_key_config_selectorIiiEEZZNS1_16scan_by_key_implILNS1_25lookback_scan_determinismE0ELb1ES3_N6thrust23THRUST_200600_302600_NS6detail15normal_iteratorINS9_10device_ptrIiEEEENSB_INSC_IjEEEENSB_INSC_IfEEEEiNS9_4plusIvEENS9_8equal_toIvEEiEE10hipError_tPvRmT2_T3_T4_T5_mT6_T7_P12ihipStream_tbENKUlT_T0_E_clISt17integral_constantIbLb1EES12_IbLb0EEEEDaSY_SZ_EUlSY_E_NS1_11comp_targetILNS1_3genE10ELNS1_11target_archE1200ELNS1_3gpuE4ELNS1_3repE0EEENS1_30default_config_static_selectorELNS0_4arch9wavefront6targetE0EEEvT1_.numbered_sgpr, 0
	.set _ZN7rocprim17ROCPRIM_400000_NS6detail17trampoline_kernelINS0_14default_configENS1_27scan_by_key_config_selectorIiiEEZZNS1_16scan_by_key_implILNS1_25lookback_scan_determinismE0ELb1ES3_N6thrust23THRUST_200600_302600_NS6detail15normal_iteratorINS9_10device_ptrIiEEEENSB_INSC_IjEEEENSB_INSC_IfEEEEiNS9_4plusIvEENS9_8equal_toIvEEiEE10hipError_tPvRmT2_T3_T4_T5_mT6_T7_P12ihipStream_tbENKUlT_T0_E_clISt17integral_constantIbLb1EES12_IbLb0EEEEDaSY_SZ_EUlSY_E_NS1_11comp_targetILNS1_3genE10ELNS1_11target_archE1200ELNS1_3gpuE4ELNS1_3repE0EEENS1_30default_config_static_selectorELNS0_4arch9wavefront6targetE0EEEvT1_.num_named_barrier, 0
	.set _ZN7rocprim17ROCPRIM_400000_NS6detail17trampoline_kernelINS0_14default_configENS1_27scan_by_key_config_selectorIiiEEZZNS1_16scan_by_key_implILNS1_25lookback_scan_determinismE0ELb1ES3_N6thrust23THRUST_200600_302600_NS6detail15normal_iteratorINS9_10device_ptrIiEEEENSB_INSC_IjEEEENSB_INSC_IfEEEEiNS9_4plusIvEENS9_8equal_toIvEEiEE10hipError_tPvRmT2_T3_T4_T5_mT6_T7_P12ihipStream_tbENKUlT_T0_E_clISt17integral_constantIbLb1EES12_IbLb0EEEEDaSY_SZ_EUlSY_E_NS1_11comp_targetILNS1_3genE10ELNS1_11target_archE1200ELNS1_3gpuE4ELNS1_3repE0EEENS1_30default_config_static_selectorELNS0_4arch9wavefront6targetE0EEEvT1_.private_seg_size, 0
	.set _ZN7rocprim17ROCPRIM_400000_NS6detail17trampoline_kernelINS0_14default_configENS1_27scan_by_key_config_selectorIiiEEZZNS1_16scan_by_key_implILNS1_25lookback_scan_determinismE0ELb1ES3_N6thrust23THRUST_200600_302600_NS6detail15normal_iteratorINS9_10device_ptrIiEEEENSB_INSC_IjEEEENSB_INSC_IfEEEEiNS9_4plusIvEENS9_8equal_toIvEEiEE10hipError_tPvRmT2_T3_T4_T5_mT6_T7_P12ihipStream_tbENKUlT_T0_E_clISt17integral_constantIbLb1EES12_IbLb0EEEEDaSY_SZ_EUlSY_E_NS1_11comp_targetILNS1_3genE10ELNS1_11target_archE1200ELNS1_3gpuE4ELNS1_3repE0EEENS1_30default_config_static_selectorELNS0_4arch9wavefront6targetE0EEEvT1_.uses_vcc, 0
	.set _ZN7rocprim17ROCPRIM_400000_NS6detail17trampoline_kernelINS0_14default_configENS1_27scan_by_key_config_selectorIiiEEZZNS1_16scan_by_key_implILNS1_25lookback_scan_determinismE0ELb1ES3_N6thrust23THRUST_200600_302600_NS6detail15normal_iteratorINS9_10device_ptrIiEEEENSB_INSC_IjEEEENSB_INSC_IfEEEEiNS9_4plusIvEENS9_8equal_toIvEEiEE10hipError_tPvRmT2_T3_T4_T5_mT6_T7_P12ihipStream_tbENKUlT_T0_E_clISt17integral_constantIbLb1EES12_IbLb0EEEEDaSY_SZ_EUlSY_E_NS1_11comp_targetILNS1_3genE10ELNS1_11target_archE1200ELNS1_3gpuE4ELNS1_3repE0EEENS1_30default_config_static_selectorELNS0_4arch9wavefront6targetE0EEEvT1_.uses_flat_scratch, 0
	.set _ZN7rocprim17ROCPRIM_400000_NS6detail17trampoline_kernelINS0_14default_configENS1_27scan_by_key_config_selectorIiiEEZZNS1_16scan_by_key_implILNS1_25lookback_scan_determinismE0ELb1ES3_N6thrust23THRUST_200600_302600_NS6detail15normal_iteratorINS9_10device_ptrIiEEEENSB_INSC_IjEEEENSB_INSC_IfEEEEiNS9_4plusIvEENS9_8equal_toIvEEiEE10hipError_tPvRmT2_T3_T4_T5_mT6_T7_P12ihipStream_tbENKUlT_T0_E_clISt17integral_constantIbLb1EES12_IbLb0EEEEDaSY_SZ_EUlSY_E_NS1_11comp_targetILNS1_3genE10ELNS1_11target_archE1200ELNS1_3gpuE4ELNS1_3repE0EEENS1_30default_config_static_selectorELNS0_4arch9wavefront6targetE0EEEvT1_.has_dyn_sized_stack, 0
	.set _ZN7rocprim17ROCPRIM_400000_NS6detail17trampoline_kernelINS0_14default_configENS1_27scan_by_key_config_selectorIiiEEZZNS1_16scan_by_key_implILNS1_25lookback_scan_determinismE0ELb1ES3_N6thrust23THRUST_200600_302600_NS6detail15normal_iteratorINS9_10device_ptrIiEEEENSB_INSC_IjEEEENSB_INSC_IfEEEEiNS9_4plusIvEENS9_8equal_toIvEEiEE10hipError_tPvRmT2_T3_T4_T5_mT6_T7_P12ihipStream_tbENKUlT_T0_E_clISt17integral_constantIbLb1EES12_IbLb0EEEEDaSY_SZ_EUlSY_E_NS1_11comp_targetILNS1_3genE10ELNS1_11target_archE1200ELNS1_3gpuE4ELNS1_3repE0EEENS1_30default_config_static_selectorELNS0_4arch9wavefront6targetE0EEEvT1_.has_recursion, 0
	.set _ZN7rocprim17ROCPRIM_400000_NS6detail17trampoline_kernelINS0_14default_configENS1_27scan_by_key_config_selectorIiiEEZZNS1_16scan_by_key_implILNS1_25lookback_scan_determinismE0ELb1ES3_N6thrust23THRUST_200600_302600_NS6detail15normal_iteratorINS9_10device_ptrIiEEEENSB_INSC_IjEEEENSB_INSC_IfEEEEiNS9_4plusIvEENS9_8equal_toIvEEiEE10hipError_tPvRmT2_T3_T4_T5_mT6_T7_P12ihipStream_tbENKUlT_T0_E_clISt17integral_constantIbLb1EES12_IbLb0EEEEDaSY_SZ_EUlSY_E_NS1_11comp_targetILNS1_3genE10ELNS1_11target_archE1200ELNS1_3gpuE4ELNS1_3repE0EEENS1_30default_config_static_selectorELNS0_4arch9wavefront6targetE0EEEvT1_.has_indirect_call, 0
	.section	.AMDGPU.csdata,"",@progbits
; Kernel info:
; codeLenInByte = 0
; TotalNumSgprs: 0
; NumVgprs: 0
; ScratchSize: 0
; MemoryBound: 0
; FloatMode: 240
; IeeeMode: 1
; LDSByteSize: 0 bytes/workgroup (compile time only)
; SGPRBlocks: 0
; VGPRBlocks: 0
; NumSGPRsForWavesPerEU: 1
; NumVGPRsForWavesPerEU: 1
; NamedBarCnt: 0
; Occupancy: 16
; WaveLimiterHint : 0
; COMPUTE_PGM_RSRC2:SCRATCH_EN: 0
; COMPUTE_PGM_RSRC2:USER_SGPR: 2
; COMPUTE_PGM_RSRC2:TRAP_HANDLER: 0
; COMPUTE_PGM_RSRC2:TGID_X_EN: 1
; COMPUTE_PGM_RSRC2:TGID_Y_EN: 0
; COMPUTE_PGM_RSRC2:TGID_Z_EN: 0
; COMPUTE_PGM_RSRC2:TIDIG_COMP_CNT: 0
	.section	.text._ZN7rocprim17ROCPRIM_400000_NS6detail17trampoline_kernelINS0_14default_configENS1_27scan_by_key_config_selectorIiiEEZZNS1_16scan_by_key_implILNS1_25lookback_scan_determinismE0ELb1ES3_N6thrust23THRUST_200600_302600_NS6detail15normal_iteratorINS9_10device_ptrIiEEEENSB_INSC_IjEEEENSB_INSC_IfEEEEiNS9_4plusIvEENS9_8equal_toIvEEiEE10hipError_tPvRmT2_T3_T4_T5_mT6_T7_P12ihipStream_tbENKUlT_T0_E_clISt17integral_constantIbLb1EES12_IbLb0EEEEDaSY_SZ_EUlSY_E_NS1_11comp_targetILNS1_3genE9ELNS1_11target_archE1100ELNS1_3gpuE3ELNS1_3repE0EEENS1_30default_config_static_selectorELNS0_4arch9wavefront6targetE0EEEvT1_,"axG",@progbits,_ZN7rocprim17ROCPRIM_400000_NS6detail17trampoline_kernelINS0_14default_configENS1_27scan_by_key_config_selectorIiiEEZZNS1_16scan_by_key_implILNS1_25lookback_scan_determinismE0ELb1ES3_N6thrust23THRUST_200600_302600_NS6detail15normal_iteratorINS9_10device_ptrIiEEEENSB_INSC_IjEEEENSB_INSC_IfEEEEiNS9_4plusIvEENS9_8equal_toIvEEiEE10hipError_tPvRmT2_T3_T4_T5_mT6_T7_P12ihipStream_tbENKUlT_T0_E_clISt17integral_constantIbLb1EES12_IbLb0EEEEDaSY_SZ_EUlSY_E_NS1_11comp_targetILNS1_3genE9ELNS1_11target_archE1100ELNS1_3gpuE3ELNS1_3repE0EEENS1_30default_config_static_selectorELNS0_4arch9wavefront6targetE0EEEvT1_,comdat
	.protected	_ZN7rocprim17ROCPRIM_400000_NS6detail17trampoline_kernelINS0_14default_configENS1_27scan_by_key_config_selectorIiiEEZZNS1_16scan_by_key_implILNS1_25lookback_scan_determinismE0ELb1ES3_N6thrust23THRUST_200600_302600_NS6detail15normal_iteratorINS9_10device_ptrIiEEEENSB_INSC_IjEEEENSB_INSC_IfEEEEiNS9_4plusIvEENS9_8equal_toIvEEiEE10hipError_tPvRmT2_T3_T4_T5_mT6_T7_P12ihipStream_tbENKUlT_T0_E_clISt17integral_constantIbLb1EES12_IbLb0EEEEDaSY_SZ_EUlSY_E_NS1_11comp_targetILNS1_3genE9ELNS1_11target_archE1100ELNS1_3gpuE3ELNS1_3repE0EEENS1_30default_config_static_selectorELNS0_4arch9wavefront6targetE0EEEvT1_ ; -- Begin function _ZN7rocprim17ROCPRIM_400000_NS6detail17trampoline_kernelINS0_14default_configENS1_27scan_by_key_config_selectorIiiEEZZNS1_16scan_by_key_implILNS1_25lookback_scan_determinismE0ELb1ES3_N6thrust23THRUST_200600_302600_NS6detail15normal_iteratorINS9_10device_ptrIiEEEENSB_INSC_IjEEEENSB_INSC_IfEEEEiNS9_4plusIvEENS9_8equal_toIvEEiEE10hipError_tPvRmT2_T3_T4_T5_mT6_T7_P12ihipStream_tbENKUlT_T0_E_clISt17integral_constantIbLb1EES12_IbLb0EEEEDaSY_SZ_EUlSY_E_NS1_11comp_targetILNS1_3genE9ELNS1_11target_archE1100ELNS1_3gpuE3ELNS1_3repE0EEENS1_30default_config_static_selectorELNS0_4arch9wavefront6targetE0EEEvT1_
	.globl	_ZN7rocprim17ROCPRIM_400000_NS6detail17trampoline_kernelINS0_14default_configENS1_27scan_by_key_config_selectorIiiEEZZNS1_16scan_by_key_implILNS1_25lookback_scan_determinismE0ELb1ES3_N6thrust23THRUST_200600_302600_NS6detail15normal_iteratorINS9_10device_ptrIiEEEENSB_INSC_IjEEEENSB_INSC_IfEEEEiNS9_4plusIvEENS9_8equal_toIvEEiEE10hipError_tPvRmT2_T3_T4_T5_mT6_T7_P12ihipStream_tbENKUlT_T0_E_clISt17integral_constantIbLb1EES12_IbLb0EEEEDaSY_SZ_EUlSY_E_NS1_11comp_targetILNS1_3genE9ELNS1_11target_archE1100ELNS1_3gpuE3ELNS1_3repE0EEENS1_30default_config_static_selectorELNS0_4arch9wavefront6targetE0EEEvT1_
	.p2align	8
	.type	_ZN7rocprim17ROCPRIM_400000_NS6detail17trampoline_kernelINS0_14default_configENS1_27scan_by_key_config_selectorIiiEEZZNS1_16scan_by_key_implILNS1_25lookback_scan_determinismE0ELb1ES3_N6thrust23THRUST_200600_302600_NS6detail15normal_iteratorINS9_10device_ptrIiEEEENSB_INSC_IjEEEENSB_INSC_IfEEEEiNS9_4plusIvEENS9_8equal_toIvEEiEE10hipError_tPvRmT2_T3_T4_T5_mT6_T7_P12ihipStream_tbENKUlT_T0_E_clISt17integral_constantIbLb1EES12_IbLb0EEEEDaSY_SZ_EUlSY_E_NS1_11comp_targetILNS1_3genE9ELNS1_11target_archE1100ELNS1_3gpuE3ELNS1_3repE0EEENS1_30default_config_static_selectorELNS0_4arch9wavefront6targetE0EEEvT1_,@function
_ZN7rocprim17ROCPRIM_400000_NS6detail17trampoline_kernelINS0_14default_configENS1_27scan_by_key_config_selectorIiiEEZZNS1_16scan_by_key_implILNS1_25lookback_scan_determinismE0ELb1ES3_N6thrust23THRUST_200600_302600_NS6detail15normal_iteratorINS9_10device_ptrIiEEEENSB_INSC_IjEEEENSB_INSC_IfEEEEiNS9_4plusIvEENS9_8equal_toIvEEiEE10hipError_tPvRmT2_T3_T4_T5_mT6_T7_P12ihipStream_tbENKUlT_T0_E_clISt17integral_constantIbLb1EES12_IbLb0EEEEDaSY_SZ_EUlSY_E_NS1_11comp_targetILNS1_3genE9ELNS1_11target_archE1100ELNS1_3gpuE3ELNS1_3repE0EEENS1_30default_config_static_selectorELNS0_4arch9wavefront6targetE0EEEvT1_: ; @_ZN7rocprim17ROCPRIM_400000_NS6detail17trampoline_kernelINS0_14default_configENS1_27scan_by_key_config_selectorIiiEEZZNS1_16scan_by_key_implILNS1_25lookback_scan_determinismE0ELb1ES3_N6thrust23THRUST_200600_302600_NS6detail15normal_iteratorINS9_10device_ptrIiEEEENSB_INSC_IjEEEENSB_INSC_IfEEEEiNS9_4plusIvEENS9_8equal_toIvEEiEE10hipError_tPvRmT2_T3_T4_T5_mT6_T7_P12ihipStream_tbENKUlT_T0_E_clISt17integral_constantIbLb1EES12_IbLb0EEEEDaSY_SZ_EUlSY_E_NS1_11comp_targetILNS1_3genE9ELNS1_11target_archE1100ELNS1_3gpuE3ELNS1_3repE0EEENS1_30default_config_static_selectorELNS0_4arch9wavefront6targetE0EEEvT1_
; %bb.0:
	.section	.rodata,"a",@progbits
	.p2align	6, 0x0
	.amdhsa_kernel _ZN7rocprim17ROCPRIM_400000_NS6detail17trampoline_kernelINS0_14default_configENS1_27scan_by_key_config_selectorIiiEEZZNS1_16scan_by_key_implILNS1_25lookback_scan_determinismE0ELb1ES3_N6thrust23THRUST_200600_302600_NS6detail15normal_iteratorINS9_10device_ptrIiEEEENSB_INSC_IjEEEENSB_INSC_IfEEEEiNS9_4plusIvEENS9_8equal_toIvEEiEE10hipError_tPvRmT2_T3_T4_T5_mT6_T7_P12ihipStream_tbENKUlT_T0_E_clISt17integral_constantIbLb1EES12_IbLb0EEEEDaSY_SZ_EUlSY_E_NS1_11comp_targetILNS1_3genE9ELNS1_11target_archE1100ELNS1_3gpuE3ELNS1_3repE0EEENS1_30default_config_static_selectorELNS0_4arch9wavefront6targetE0EEEvT1_
		.amdhsa_group_segment_fixed_size 0
		.amdhsa_private_segment_fixed_size 0
		.amdhsa_kernarg_size 112
		.amdhsa_user_sgpr_count 2
		.amdhsa_user_sgpr_dispatch_ptr 0
		.amdhsa_user_sgpr_queue_ptr 0
		.amdhsa_user_sgpr_kernarg_segment_ptr 1
		.amdhsa_user_sgpr_dispatch_id 0
		.amdhsa_user_sgpr_kernarg_preload_length 0
		.amdhsa_user_sgpr_kernarg_preload_offset 0
		.amdhsa_user_sgpr_private_segment_size 0
		.amdhsa_wavefront_size32 1
		.amdhsa_uses_dynamic_stack 0
		.amdhsa_enable_private_segment 0
		.amdhsa_system_sgpr_workgroup_id_x 1
		.amdhsa_system_sgpr_workgroup_id_y 0
		.amdhsa_system_sgpr_workgroup_id_z 0
		.amdhsa_system_sgpr_workgroup_info 0
		.amdhsa_system_vgpr_workitem_id 0
		.amdhsa_next_free_vgpr 1
		.amdhsa_next_free_sgpr 1
		.amdhsa_named_barrier_count 0
		.amdhsa_reserve_vcc 0
		.amdhsa_float_round_mode_32 0
		.amdhsa_float_round_mode_16_64 0
		.amdhsa_float_denorm_mode_32 3
		.amdhsa_float_denorm_mode_16_64 3
		.amdhsa_fp16_overflow 0
		.amdhsa_memory_ordered 1
		.amdhsa_forward_progress 1
		.amdhsa_inst_pref_size 0
		.amdhsa_round_robin_scheduling 0
		.amdhsa_exception_fp_ieee_invalid_op 0
		.amdhsa_exception_fp_denorm_src 0
		.amdhsa_exception_fp_ieee_div_zero 0
		.amdhsa_exception_fp_ieee_overflow 0
		.amdhsa_exception_fp_ieee_underflow 0
		.amdhsa_exception_fp_ieee_inexact 0
		.amdhsa_exception_int_div_zero 0
	.end_amdhsa_kernel
	.section	.text._ZN7rocprim17ROCPRIM_400000_NS6detail17trampoline_kernelINS0_14default_configENS1_27scan_by_key_config_selectorIiiEEZZNS1_16scan_by_key_implILNS1_25lookback_scan_determinismE0ELb1ES3_N6thrust23THRUST_200600_302600_NS6detail15normal_iteratorINS9_10device_ptrIiEEEENSB_INSC_IjEEEENSB_INSC_IfEEEEiNS9_4plusIvEENS9_8equal_toIvEEiEE10hipError_tPvRmT2_T3_T4_T5_mT6_T7_P12ihipStream_tbENKUlT_T0_E_clISt17integral_constantIbLb1EES12_IbLb0EEEEDaSY_SZ_EUlSY_E_NS1_11comp_targetILNS1_3genE9ELNS1_11target_archE1100ELNS1_3gpuE3ELNS1_3repE0EEENS1_30default_config_static_selectorELNS0_4arch9wavefront6targetE0EEEvT1_,"axG",@progbits,_ZN7rocprim17ROCPRIM_400000_NS6detail17trampoline_kernelINS0_14default_configENS1_27scan_by_key_config_selectorIiiEEZZNS1_16scan_by_key_implILNS1_25lookback_scan_determinismE0ELb1ES3_N6thrust23THRUST_200600_302600_NS6detail15normal_iteratorINS9_10device_ptrIiEEEENSB_INSC_IjEEEENSB_INSC_IfEEEEiNS9_4plusIvEENS9_8equal_toIvEEiEE10hipError_tPvRmT2_T3_T4_T5_mT6_T7_P12ihipStream_tbENKUlT_T0_E_clISt17integral_constantIbLb1EES12_IbLb0EEEEDaSY_SZ_EUlSY_E_NS1_11comp_targetILNS1_3genE9ELNS1_11target_archE1100ELNS1_3gpuE3ELNS1_3repE0EEENS1_30default_config_static_selectorELNS0_4arch9wavefront6targetE0EEEvT1_,comdat
.Lfunc_end1741:
	.size	_ZN7rocprim17ROCPRIM_400000_NS6detail17trampoline_kernelINS0_14default_configENS1_27scan_by_key_config_selectorIiiEEZZNS1_16scan_by_key_implILNS1_25lookback_scan_determinismE0ELb1ES3_N6thrust23THRUST_200600_302600_NS6detail15normal_iteratorINS9_10device_ptrIiEEEENSB_INSC_IjEEEENSB_INSC_IfEEEEiNS9_4plusIvEENS9_8equal_toIvEEiEE10hipError_tPvRmT2_T3_T4_T5_mT6_T7_P12ihipStream_tbENKUlT_T0_E_clISt17integral_constantIbLb1EES12_IbLb0EEEEDaSY_SZ_EUlSY_E_NS1_11comp_targetILNS1_3genE9ELNS1_11target_archE1100ELNS1_3gpuE3ELNS1_3repE0EEENS1_30default_config_static_selectorELNS0_4arch9wavefront6targetE0EEEvT1_, .Lfunc_end1741-_ZN7rocprim17ROCPRIM_400000_NS6detail17trampoline_kernelINS0_14default_configENS1_27scan_by_key_config_selectorIiiEEZZNS1_16scan_by_key_implILNS1_25lookback_scan_determinismE0ELb1ES3_N6thrust23THRUST_200600_302600_NS6detail15normal_iteratorINS9_10device_ptrIiEEEENSB_INSC_IjEEEENSB_INSC_IfEEEEiNS9_4plusIvEENS9_8equal_toIvEEiEE10hipError_tPvRmT2_T3_T4_T5_mT6_T7_P12ihipStream_tbENKUlT_T0_E_clISt17integral_constantIbLb1EES12_IbLb0EEEEDaSY_SZ_EUlSY_E_NS1_11comp_targetILNS1_3genE9ELNS1_11target_archE1100ELNS1_3gpuE3ELNS1_3repE0EEENS1_30default_config_static_selectorELNS0_4arch9wavefront6targetE0EEEvT1_
                                        ; -- End function
	.set _ZN7rocprim17ROCPRIM_400000_NS6detail17trampoline_kernelINS0_14default_configENS1_27scan_by_key_config_selectorIiiEEZZNS1_16scan_by_key_implILNS1_25lookback_scan_determinismE0ELb1ES3_N6thrust23THRUST_200600_302600_NS6detail15normal_iteratorINS9_10device_ptrIiEEEENSB_INSC_IjEEEENSB_INSC_IfEEEEiNS9_4plusIvEENS9_8equal_toIvEEiEE10hipError_tPvRmT2_T3_T4_T5_mT6_T7_P12ihipStream_tbENKUlT_T0_E_clISt17integral_constantIbLb1EES12_IbLb0EEEEDaSY_SZ_EUlSY_E_NS1_11comp_targetILNS1_3genE9ELNS1_11target_archE1100ELNS1_3gpuE3ELNS1_3repE0EEENS1_30default_config_static_selectorELNS0_4arch9wavefront6targetE0EEEvT1_.num_vgpr, 0
	.set _ZN7rocprim17ROCPRIM_400000_NS6detail17trampoline_kernelINS0_14default_configENS1_27scan_by_key_config_selectorIiiEEZZNS1_16scan_by_key_implILNS1_25lookback_scan_determinismE0ELb1ES3_N6thrust23THRUST_200600_302600_NS6detail15normal_iteratorINS9_10device_ptrIiEEEENSB_INSC_IjEEEENSB_INSC_IfEEEEiNS9_4plusIvEENS9_8equal_toIvEEiEE10hipError_tPvRmT2_T3_T4_T5_mT6_T7_P12ihipStream_tbENKUlT_T0_E_clISt17integral_constantIbLb1EES12_IbLb0EEEEDaSY_SZ_EUlSY_E_NS1_11comp_targetILNS1_3genE9ELNS1_11target_archE1100ELNS1_3gpuE3ELNS1_3repE0EEENS1_30default_config_static_selectorELNS0_4arch9wavefront6targetE0EEEvT1_.num_agpr, 0
	.set _ZN7rocprim17ROCPRIM_400000_NS6detail17trampoline_kernelINS0_14default_configENS1_27scan_by_key_config_selectorIiiEEZZNS1_16scan_by_key_implILNS1_25lookback_scan_determinismE0ELb1ES3_N6thrust23THRUST_200600_302600_NS6detail15normal_iteratorINS9_10device_ptrIiEEEENSB_INSC_IjEEEENSB_INSC_IfEEEEiNS9_4plusIvEENS9_8equal_toIvEEiEE10hipError_tPvRmT2_T3_T4_T5_mT6_T7_P12ihipStream_tbENKUlT_T0_E_clISt17integral_constantIbLb1EES12_IbLb0EEEEDaSY_SZ_EUlSY_E_NS1_11comp_targetILNS1_3genE9ELNS1_11target_archE1100ELNS1_3gpuE3ELNS1_3repE0EEENS1_30default_config_static_selectorELNS0_4arch9wavefront6targetE0EEEvT1_.numbered_sgpr, 0
	.set _ZN7rocprim17ROCPRIM_400000_NS6detail17trampoline_kernelINS0_14default_configENS1_27scan_by_key_config_selectorIiiEEZZNS1_16scan_by_key_implILNS1_25lookback_scan_determinismE0ELb1ES3_N6thrust23THRUST_200600_302600_NS6detail15normal_iteratorINS9_10device_ptrIiEEEENSB_INSC_IjEEEENSB_INSC_IfEEEEiNS9_4plusIvEENS9_8equal_toIvEEiEE10hipError_tPvRmT2_T3_T4_T5_mT6_T7_P12ihipStream_tbENKUlT_T0_E_clISt17integral_constantIbLb1EES12_IbLb0EEEEDaSY_SZ_EUlSY_E_NS1_11comp_targetILNS1_3genE9ELNS1_11target_archE1100ELNS1_3gpuE3ELNS1_3repE0EEENS1_30default_config_static_selectorELNS0_4arch9wavefront6targetE0EEEvT1_.num_named_barrier, 0
	.set _ZN7rocprim17ROCPRIM_400000_NS6detail17trampoline_kernelINS0_14default_configENS1_27scan_by_key_config_selectorIiiEEZZNS1_16scan_by_key_implILNS1_25lookback_scan_determinismE0ELb1ES3_N6thrust23THRUST_200600_302600_NS6detail15normal_iteratorINS9_10device_ptrIiEEEENSB_INSC_IjEEEENSB_INSC_IfEEEEiNS9_4plusIvEENS9_8equal_toIvEEiEE10hipError_tPvRmT2_T3_T4_T5_mT6_T7_P12ihipStream_tbENKUlT_T0_E_clISt17integral_constantIbLb1EES12_IbLb0EEEEDaSY_SZ_EUlSY_E_NS1_11comp_targetILNS1_3genE9ELNS1_11target_archE1100ELNS1_3gpuE3ELNS1_3repE0EEENS1_30default_config_static_selectorELNS0_4arch9wavefront6targetE0EEEvT1_.private_seg_size, 0
	.set _ZN7rocprim17ROCPRIM_400000_NS6detail17trampoline_kernelINS0_14default_configENS1_27scan_by_key_config_selectorIiiEEZZNS1_16scan_by_key_implILNS1_25lookback_scan_determinismE0ELb1ES3_N6thrust23THRUST_200600_302600_NS6detail15normal_iteratorINS9_10device_ptrIiEEEENSB_INSC_IjEEEENSB_INSC_IfEEEEiNS9_4plusIvEENS9_8equal_toIvEEiEE10hipError_tPvRmT2_T3_T4_T5_mT6_T7_P12ihipStream_tbENKUlT_T0_E_clISt17integral_constantIbLb1EES12_IbLb0EEEEDaSY_SZ_EUlSY_E_NS1_11comp_targetILNS1_3genE9ELNS1_11target_archE1100ELNS1_3gpuE3ELNS1_3repE0EEENS1_30default_config_static_selectorELNS0_4arch9wavefront6targetE0EEEvT1_.uses_vcc, 0
	.set _ZN7rocprim17ROCPRIM_400000_NS6detail17trampoline_kernelINS0_14default_configENS1_27scan_by_key_config_selectorIiiEEZZNS1_16scan_by_key_implILNS1_25lookback_scan_determinismE0ELb1ES3_N6thrust23THRUST_200600_302600_NS6detail15normal_iteratorINS9_10device_ptrIiEEEENSB_INSC_IjEEEENSB_INSC_IfEEEEiNS9_4plusIvEENS9_8equal_toIvEEiEE10hipError_tPvRmT2_T3_T4_T5_mT6_T7_P12ihipStream_tbENKUlT_T0_E_clISt17integral_constantIbLb1EES12_IbLb0EEEEDaSY_SZ_EUlSY_E_NS1_11comp_targetILNS1_3genE9ELNS1_11target_archE1100ELNS1_3gpuE3ELNS1_3repE0EEENS1_30default_config_static_selectorELNS0_4arch9wavefront6targetE0EEEvT1_.uses_flat_scratch, 0
	.set _ZN7rocprim17ROCPRIM_400000_NS6detail17trampoline_kernelINS0_14default_configENS1_27scan_by_key_config_selectorIiiEEZZNS1_16scan_by_key_implILNS1_25lookback_scan_determinismE0ELb1ES3_N6thrust23THRUST_200600_302600_NS6detail15normal_iteratorINS9_10device_ptrIiEEEENSB_INSC_IjEEEENSB_INSC_IfEEEEiNS9_4plusIvEENS9_8equal_toIvEEiEE10hipError_tPvRmT2_T3_T4_T5_mT6_T7_P12ihipStream_tbENKUlT_T0_E_clISt17integral_constantIbLb1EES12_IbLb0EEEEDaSY_SZ_EUlSY_E_NS1_11comp_targetILNS1_3genE9ELNS1_11target_archE1100ELNS1_3gpuE3ELNS1_3repE0EEENS1_30default_config_static_selectorELNS0_4arch9wavefront6targetE0EEEvT1_.has_dyn_sized_stack, 0
	.set _ZN7rocprim17ROCPRIM_400000_NS6detail17trampoline_kernelINS0_14default_configENS1_27scan_by_key_config_selectorIiiEEZZNS1_16scan_by_key_implILNS1_25lookback_scan_determinismE0ELb1ES3_N6thrust23THRUST_200600_302600_NS6detail15normal_iteratorINS9_10device_ptrIiEEEENSB_INSC_IjEEEENSB_INSC_IfEEEEiNS9_4plusIvEENS9_8equal_toIvEEiEE10hipError_tPvRmT2_T3_T4_T5_mT6_T7_P12ihipStream_tbENKUlT_T0_E_clISt17integral_constantIbLb1EES12_IbLb0EEEEDaSY_SZ_EUlSY_E_NS1_11comp_targetILNS1_3genE9ELNS1_11target_archE1100ELNS1_3gpuE3ELNS1_3repE0EEENS1_30default_config_static_selectorELNS0_4arch9wavefront6targetE0EEEvT1_.has_recursion, 0
	.set _ZN7rocprim17ROCPRIM_400000_NS6detail17trampoline_kernelINS0_14default_configENS1_27scan_by_key_config_selectorIiiEEZZNS1_16scan_by_key_implILNS1_25lookback_scan_determinismE0ELb1ES3_N6thrust23THRUST_200600_302600_NS6detail15normal_iteratorINS9_10device_ptrIiEEEENSB_INSC_IjEEEENSB_INSC_IfEEEEiNS9_4plusIvEENS9_8equal_toIvEEiEE10hipError_tPvRmT2_T3_T4_T5_mT6_T7_P12ihipStream_tbENKUlT_T0_E_clISt17integral_constantIbLb1EES12_IbLb0EEEEDaSY_SZ_EUlSY_E_NS1_11comp_targetILNS1_3genE9ELNS1_11target_archE1100ELNS1_3gpuE3ELNS1_3repE0EEENS1_30default_config_static_selectorELNS0_4arch9wavefront6targetE0EEEvT1_.has_indirect_call, 0
	.section	.AMDGPU.csdata,"",@progbits
; Kernel info:
; codeLenInByte = 0
; TotalNumSgprs: 0
; NumVgprs: 0
; ScratchSize: 0
; MemoryBound: 0
; FloatMode: 240
; IeeeMode: 1
; LDSByteSize: 0 bytes/workgroup (compile time only)
; SGPRBlocks: 0
; VGPRBlocks: 0
; NumSGPRsForWavesPerEU: 1
; NumVGPRsForWavesPerEU: 1
; NamedBarCnt: 0
; Occupancy: 16
; WaveLimiterHint : 0
; COMPUTE_PGM_RSRC2:SCRATCH_EN: 0
; COMPUTE_PGM_RSRC2:USER_SGPR: 2
; COMPUTE_PGM_RSRC2:TRAP_HANDLER: 0
; COMPUTE_PGM_RSRC2:TGID_X_EN: 1
; COMPUTE_PGM_RSRC2:TGID_Y_EN: 0
; COMPUTE_PGM_RSRC2:TGID_Z_EN: 0
; COMPUTE_PGM_RSRC2:TIDIG_COMP_CNT: 0
	.section	.text._ZN7rocprim17ROCPRIM_400000_NS6detail17trampoline_kernelINS0_14default_configENS1_27scan_by_key_config_selectorIiiEEZZNS1_16scan_by_key_implILNS1_25lookback_scan_determinismE0ELb1ES3_N6thrust23THRUST_200600_302600_NS6detail15normal_iteratorINS9_10device_ptrIiEEEENSB_INSC_IjEEEENSB_INSC_IfEEEEiNS9_4plusIvEENS9_8equal_toIvEEiEE10hipError_tPvRmT2_T3_T4_T5_mT6_T7_P12ihipStream_tbENKUlT_T0_E_clISt17integral_constantIbLb1EES12_IbLb0EEEEDaSY_SZ_EUlSY_E_NS1_11comp_targetILNS1_3genE8ELNS1_11target_archE1030ELNS1_3gpuE2ELNS1_3repE0EEENS1_30default_config_static_selectorELNS0_4arch9wavefront6targetE0EEEvT1_,"axG",@progbits,_ZN7rocprim17ROCPRIM_400000_NS6detail17trampoline_kernelINS0_14default_configENS1_27scan_by_key_config_selectorIiiEEZZNS1_16scan_by_key_implILNS1_25lookback_scan_determinismE0ELb1ES3_N6thrust23THRUST_200600_302600_NS6detail15normal_iteratorINS9_10device_ptrIiEEEENSB_INSC_IjEEEENSB_INSC_IfEEEEiNS9_4plusIvEENS9_8equal_toIvEEiEE10hipError_tPvRmT2_T3_T4_T5_mT6_T7_P12ihipStream_tbENKUlT_T0_E_clISt17integral_constantIbLb1EES12_IbLb0EEEEDaSY_SZ_EUlSY_E_NS1_11comp_targetILNS1_3genE8ELNS1_11target_archE1030ELNS1_3gpuE2ELNS1_3repE0EEENS1_30default_config_static_selectorELNS0_4arch9wavefront6targetE0EEEvT1_,comdat
	.protected	_ZN7rocprim17ROCPRIM_400000_NS6detail17trampoline_kernelINS0_14default_configENS1_27scan_by_key_config_selectorIiiEEZZNS1_16scan_by_key_implILNS1_25lookback_scan_determinismE0ELb1ES3_N6thrust23THRUST_200600_302600_NS6detail15normal_iteratorINS9_10device_ptrIiEEEENSB_INSC_IjEEEENSB_INSC_IfEEEEiNS9_4plusIvEENS9_8equal_toIvEEiEE10hipError_tPvRmT2_T3_T4_T5_mT6_T7_P12ihipStream_tbENKUlT_T0_E_clISt17integral_constantIbLb1EES12_IbLb0EEEEDaSY_SZ_EUlSY_E_NS1_11comp_targetILNS1_3genE8ELNS1_11target_archE1030ELNS1_3gpuE2ELNS1_3repE0EEENS1_30default_config_static_selectorELNS0_4arch9wavefront6targetE0EEEvT1_ ; -- Begin function _ZN7rocprim17ROCPRIM_400000_NS6detail17trampoline_kernelINS0_14default_configENS1_27scan_by_key_config_selectorIiiEEZZNS1_16scan_by_key_implILNS1_25lookback_scan_determinismE0ELb1ES3_N6thrust23THRUST_200600_302600_NS6detail15normal_iteratorINS9_10device_ptrIiEEEENSB_INSC_IjEEEENSB_INSC_IfEEEEiNS9_4plusIvEENS9_8equal_toIvEEiEE10hipError_tPvRmT2_T3_T4_T5_mT6_T7_P12ihipStream_tbENKUlT_T0_E_clISt17integral_constantIbLb1EES12_IbLb0EEEEDaSY_SZ_EUlSY_E_NS1_11comp_targetILNS1_3genE8ELNS1_11target_archE1030ELNS1_3gpuE2ELNS1_3repE0EEENS1_30default_config_static_selectorELNS0_4arch9wavefront6targetE0EEEvT1_
	.globl	_ZN7rocprim17ROCPRIM_400000_NS6detail17trampoline_kernelINS0_14default_configENS1_27scan_by_key_config_selectorIiiEEZZNS1_16scan_by_key_implILNS1_25lookback_scan_determinismE0ELb1ES3_N6thrust23THRUST_200600_302600_NS6detail15normal_iteratorINS9_10device_ptrIiEEEENSB_INSC_IjEEEENSB_INSC_IfEEEEiNS9_4plusIvEENS9_8equal_toIvEEiEE10hipError_tPvRmT2_T3_T4_T5_mT6_T7_P12ihipStream_tbENKUlT_T0_E_clISt17integral_constantIbLb1EES12_IbLb0EEEEDaSY_SZ_EUlSY_E_NS1_11comp_targetILNS1_3genE8ELNS1_11target_archE1030ELNS1_3gpuE2ELNS1_3repE0EEENS1_30default_config_static_selectorELNS0_4arch9wavefront6targetE0EEEvT1_
	.p2align	8
	.type	_ZN7rocprim17ROCPRIM_400000_NS6detail17trampoline_kernelINS0_14default_configENS1_27scan_by_key_config_selectorIiiEEZZNS1_16scan_by_key_implILNS1_25lookback_scan_determinismE0ELb1ES3_N6thrust23THRUST_200600_302600_NS6detail15normal_iteratorINS9_10device_ptrIiEEEENSB_INSC_IjEEEENSB_INSC_IfEEEEiNS9_4plusIvEENS9_8equal_toIvEEiEE10hipError_tPvRmT2_T3_T4_T5_mT6_T7_P12ihipStream_tbENKUlT_T0_E_clISt17integral_constantIbLb1EES12_IbLb0EEEEDaSY_SZ_EUlSY_E_NS1_11comp_targetILNS1_3genE8ELNS1_11target_archE1030ELNS1_3gpuE2ELNS1_3repE0EEENS1_30default_config_static_selectorELNS0_4arch9wavefront6targetE0EEEvT1_,@function
_ZN7rocprim17ROCPRIM_400000_NS6detail17trampoline_kernelINS0_14default_configENS1_27scan_by_key_config_selectorIiiEEZZNS1_16scan_by_key_implILNS1_25lookback_scan_determinismE0ELb1ES3_N6thrust23THRUST_200600_302600_NS6detail15normal_iteratorINS9_10device_ptrIiEEEENSB_INSC_IjEEEENSB_INSC_IfEEEEiNS9_4plusIvEENS9_8equal_toIvEEiEE10hipError_tPvRmT2_T3_T4_T5_mT6_T7_P12ihipStream_tbENKUlT_T0_E_clISt17integral_constantIbLb1EES12_IbLb0EEEEDaSY_SZ_EUlSY_E_NS1_11comp_targetILNS1_3genE8ELNS1_11target_archE1030ELNS1_3gpuE2ELNS1_3repE0EEENS1_30default_config_static_selectorELNS0_4arch9wavefront6targetE0EEEvT1_: ; @_ZN7rocprim17ROCPRIM_400000_NS6detail17trampoline_kernelINS0_14default_configENS1_27scan_by_key_config_selectorIiiEEZZNS1_16scan_by_key_implILNS1_25lookback_scan_determinismE0ELb1ES3_N6thrust23THRUST_200600_302600_NS6detail15normal_iteratorINS9_10device_ptrIiEEEENSB_INSC_IjEEEENSB_INSC_IfEEEEiNS9_4plusIvEENS9_8equal_toIvEEiEE10hipError_tPvRmT2_T3_T4_T5_mT6_T7_P12ihipStream_tbENKUlT_T0_E_clISt17integral_constantIbLb1EES12_IbLb0EEEEDaSY_SZ_EUlSY_E_NS1_11comp_targetILNS1_3genE8ELNS1_11target_archE1030ELNS1_3gpuE2ELNS1_3repE0EEENS1_30default_config_static_selectorELNS0_4arch9wavefront6targetE0EEEvT1_
; %bb.0:
	.section	.rodata,"a",@progbits
	.p2align	6, 0x0
	.amdhsa_kernel _ZN7rocprim17ROCPRIM_400000_NS6detail17trampoline_kernelINS0_14default_configENS1_27scan_by_key_config_selectorIiiEEZZNS1_16scan_by_key_implILNS1_25lookback_scan_determinismE0ELb1ES3_N6thrust23THRUST_200600_302600_NS6detail15normal_iteratorINS9_10device_ptrIiEEEENSB_INSC_IjEEEENSB_INSC_IfEEEEiNS9_4plusIvEENS9_8equal_toIvEEiEE10hipError_tPvRmT2_T3_T4_T5_mT6_T7_P12ihipStream_tbENKUlT_T0_E_clISt17integral_constantIbLb1EES12_IbLb0EEEEDaSY_SZ_EUlSY_E_NS1_11comp_targetILNS1_3genE8ELNS1_11target_archE1030ELNS1_3gpuE2ELNS1_3repE0EEENS1_30default_config_static_selectorELNS0_4arch9wavefront6targetE0EEEvT1_
		.amdhsa_group_segment_fixed_size 0
		.amdhsa_private_segment_fixed_size 0
		.amdhsa_kernarg_size 112
		.amdhsa_user_sgpr_count 2
		.amdhsa_user_sgpr_dispatch_ptr 0
		.amdhsa_user_sgpr_queue_ptr 0
		.amdhsa_user_sgpr_kernarg_segment_ptr 1
		.amdhsa_user_sgpr_dispatch_id 0
		.amdhsa_user_sgpr_kernarg_preload_length 0
		.amdhsa_user_sgpr_kernarg_preload_offset 0
		.amdhsa_user_sgpr_private_segment_size 0
		.amdhsa_wavefront_size32 1
		.amdhsa_uses_dynamic_stack 0
		.amdhsa_enable_private_segment 0
		.amdhsa_system_sgpr_workgroup_id_x 1
		.amdhsa_system_sgpr_workgroup_id_y 0
		.amdhsa_system_sgpr_workgroup_id_z 0
		.amdhsa_system_sgpr_workgroup_info 0
		.amdhsa_system_vgpr_workitem_id 0
		.amdhsa_next_free_vgpr 1
		.amdhsa_next_free_sgpr 1
		.amdhsa_named_barrier_count 0
		.amdhsa_reserve_vcc 0
		.amdhsa_float_round_mode_32 0
		.amdhsa_float_round_mode_16_64 0
		.amdhsa_float_denorm_mode_32 3
		.amdhsa_float_denorm_mode_16_64 3
		.amdhsa_fp16_overflow 0
		.amdhsa_memory_ordered 1
		.amdhsa_forward_progress 1
		.amdhsa_inst_pref_size 0
		.amdhsa_round_robin_scheduling 0
		.amdhsa_exception_fp_ieee_invalid_op 0
		.amdhsa_exception_fp_denorm_src 0
		.amdhsa_exception_fp_ieee_div_zero 0
		.amdhsa_exception_fp_ieee_overflow 0
		.amdhsa_exception_fp_ieee_underflow 0
		.amdhsa_exception_fp_ieee_inexact 0
		.amdhsa_exception_int_div_zero 0
	.end_amdhsa_kernel
	.section	.text._ZN7rocprim17ROCPRIM_400000_NS6detail17trampoline_kernelINS0_14default_configENS1_27scan_by_key_config_selectorIiiEEZZNS1_16scan_by_key_implILNS1_25lookback_scan_determinismE0ELb1ES3_N6thrust23THRUST_200600_302600_NS6detail15normal_iteratorINS9_10device_ptrIiEEEENSB_INSC_IjEEEENSB_INSC_IfEEEEiNS9_4plusIvEENS9_8equal_toIvEEiEE10hipError_tPvRmT2_T3_T4_T5_mT6_T7_P12ihipStream_tbENKUlT_T0_E_clISt17integral_constantIbLb1EES12_IbLb0EEEEDaSY_SZ_EUlSY_E_NS1_11comp_targetILNS1_3genE8ELNS1_11target_archE1030ELNS1_3gpuE2ELNS1_3repE0EEENS1_30default_config_static_selectorELNS0_4arch9wavefront6targetE0EEEvT1_,"axG",@progbits,_ZN7rocprim17ROCPRIM_400000_NS6detail17trampoline_kernelINS0_14default_configENS1_27scan_by_key_config_selectorIiiEEZZNS1_16scan_by_key_implILNS1_25lookback_scan_determinismE0ELb1ES3_N6thrust23THRUST_200600_302600_NS6detail15normal_iteratorINS9_10device_ptrIiEEEENSB_INSC_IjEEEENSB_INSC_IfEEEEiNS9_4plusIvEENS9_8equal_toIvEEiEE10hipError_tPvRmT2_T3_T4_T5_mT6_T7_P12ihipStream_tbENKUlT_T0_E_clISt17integral_constantIbLb1EES12_IbLb0EEEEDaSY_SZ_EUlSY_E_NS1_11comp_targetILNS1_3genE8ELNS1_11target_archE1030ELNS1_3gpuE2ELNS1_3repE0EEENS1_30default_config_static_selectorELNS0_4arch9wavefront6targetE0EEEvT1_,comdat
.Lfunc_end1742:
	.size	_ZN7rocprim17ROCPRIM_400000_NS6detail17trampoline_kernelINS0_14default_configENS1_27scan_by_key_config_selectorIiiEEZZNS1_16scan_by_key_implILNS1_25lookback_scan_determinismE0ELb1ES3_N6thrust23THRUST_200600_302600_NS6detail15normal_iteratorINS9_10device_ptrIiEEEENSB_INSC_IjEEEENSB_INSC_IfEEEEiNS9_4plusIvEENS9_8equal_toIvEEiEE10hipError_tPvRmT2_T3_T4_T5_mT6_T7_P12ihipStream_tbENKUlT_T0_E_clISt17integral_constantIbLb1EES12_IbLb0EEEEDaSY_SZ_EUlSY_E_NS1_11comp_targetILNS1_3genE8ELNS1_11target_archE1030ELNS1_3gpuE2ELNS1_3repE0EEENS1_30default_config_static_selectorELNS0_4arch9wavefront6targetE0EEEvT1_, .Lfunc_end1742-_ZN7rocprim17ROCPRIM_400000_NS6detail17trampoline_kernelINS0_14default_configENS1_27scan_by_key_config_selectorIiiEEZZNS1_16scan_by_key_implILNS1_25lookback_scan_determinismE0ELb1ES3_N6thrust23THRUST_200600_302600_NS6detail15normal_iteratorINS9_10device_ptrIiEEEENSB_INSC_IjEEEENSB_INSC_IfEEEEiNS9_4plusIvEENS9_8equal_toIvEEiEE10hipError_tPvRmT2_T3_T4_T5_mT6_T7_P12ihipStream_tbENKUlT_T0_E_clISt17integral_constantIbLb1EES12_IbLb0EEEEDaSY_SZ_EUlSY_E_NS1_11comp_targetILNS1_3genE8ELNS1_11target_archE1030ELNS1_3gpuE2ELNS1_3repE0EEENS1_30default_config_static_selectorELNS0_4arch9wavefront6targetE0EEEvT1_
                                        ; -- End function
	.set _ZN7rocprim17ROCPRIM_400000_NS6detail17trampoline_kernelINS0_14default_configENS1_27scan_by_key_config_selectorIiiEEZZNS1_16scan_by_key_implILNS1_25lookback_scan_determinismE0ELb1ES3_N6thrust23THRUST_200600_302600_NS6detail15normal_iteratorINS9_10device_ptrIiEEEENSB_INSC_IjEEEENSB_INSC_IfEEEEiNS9_4plusIvEENS9_8equal_toIvEEiEE10hipError_tPvRmT2_T3_T4_T5_mT6_T7_P12ihipStream_tbENKUlT_T0_E_clISt17integral_constantIbLb1EES12_IbLb0EEEEDaSY_SZ_EUlSY_E_NS1_11comp_targetILNS1_3genE8ELNS1_11target_archE1030ELNS1_3gpuE2ELNS1_3repE0EEENS1_30default_config_static_selectorELNS0_4arch9wavefront6targetE0EEEvT1_.num_vgpr, 0
	.set _ZN7rocprim17ROCPRIM_400000_NS6detail17trampoline_kernelINS0_14default_configENS1_27scan_by_key_config_selectorIiiEEZZNS1_16scan_by_key_implILNS1_25lookback_scan_determinismE0ELb1ES3_N6thrust23THRUST_200600_302600_NS6detail15normal_iteratorINS9_10device_ptrIiEEEENSB_INSC_IjEEEENSB_INSC_IfEEEEiNS9_4plusIvEENS9_8equal_toIvEEiEE10hipError_tPvRmT2_T3_T4_T5_mT6_T7_P12ihipStream_tbENKUlT_T0_E_clISt17integral_constantIbLb1EES12_IbLb0EEEEDaSY_SZ_EUlSY_E_NS1_11comp_targetILNS1_3genE8ELNS1_11target_archE1030ELNS1_3gpuE2ELNS1_3repE0EEENS1_30default_config_static_selectorELNS0_4arch9wavefront6targetE0EEEvT1_.num_agpr, 0
	.set _ZN7rocprim17ROCPRIM_400000_NS6detail17trampoline_kernelINS0_14default_configENS1_27scan_by_key_config_selectorIiiEEZZNS1_16scan_by_key_implILNS1_25lookback_scan_determinismE0ELb1ES3_N6thrust23THRUST_200600_302600_NS6detail15normal_iteratorINS9_10device_ptrIiEEEENSB_INSC_IjEEEENSB_INSC_IfEEEEiNS9_4plusIvEENS9_8equal_toIvEEiEE10hipError_tPvRmT2_T3_T4_T5_mT6_T7_P12ihipStream_tbENKUlT_T0_E_clISt17integral_constantIbLb1EES12_IbLb0EEEEDaSY_SZ_EUlSY_E_NS1_11comp_targetILNS1_3genE8ELNS1_11target_archE1030ELNS1_3gpuE2ELNS1_3repE0EEENS1_30default_config_static_selectorELNS0_4arch9wavefront6targetE0EEEvT1_.numbered_sgpr, 0
	.set _ZN7rocprim17ROCPRIM_400000_NS6detail17trampoline_kernelINS0_14default_configENS1_27scan_by_key_config_selectorIiiEEZZNS1_16scan_by_key_implILNS1_25lookback_scan_determinismE0ELb1ES3_N6thrust23THRUST_200600_302600_NS6detail15normal_iteratorINS9_10device_ptrIiEEEENSB_INSC_IjEEEENSB_INSC_IfEEEEiNS9_4plusIvEENS9_8equal_toIvEEiEE10hipError_tPvRmT2_T3_T4_T5_mT6_T7_P12ihipStream_tbENKUlT_T0_E_clISt17integral_constantIbLb1EES12_IbLb0EEEEDaSY_SZ_EUlSY_E_NS1_11comp_targetILNS1_3genE8ELNS1_11target_archE1030ELNS1_3gpuE2ELNS1_3repE0EEENS1_30default_config_static_selectorELNS0_4arch9wavefront6targetE0EEEvT1_.num_named_barrier, 0
	.set _ZN7rocprim17ROCPRIM_400000_NS6detail17trampoline_kernelINS0_14default_configENS1_27scan_by_key_config_selectorIiiEEZZNS1_16scan_by_key_implILNS1_25lookback_scan_determinismE0ELb1ES3_N6thrust23THRUST_200600_302600_NS6detail15normal_iteratorINS9_10device_ptrIiEEEENSB_INSC_IjEEEENSB_INSC_IfEEEEiNS9_4plusIvEENS9_8equal_toIvEEiEE10hipError_tPvRmT2_T3_T4_T5_mT6_T7_P12ihipStream_tbENKUlT_T0_E_clISt17integral_constantIbLb1EES12_IbLb0EEEEDaSY_SZ_EUlSY_E_NS1_11comp_targetILNS1_3genE8ELNS1_11target_archE1030ELNS1_3gpuE2ELNS1_3repE0EEENS1_30default_config_static_selectorELNS0_4arch9wavefront6targetE0EEEvT1_.private_seg_size, 0
	.set _ZN7rocprim17ROCPRIM_400000_NS6detail17trampoline_kernelINS0_14default_configENS1_27scan_by_key_config_selectorIiiEEZZNS1_16scan_by_key_implILNS1_25lookback_scan_determinismE0ELb1ES3_N6thrust23THRUST_200600_302600_NS6detail15normal_iteratorINS9_10device_ptrIiEEEENSB_INSC_IjEEEENSB_INSC_IfEEEEiNS9_4plusIvEENS9_8equal_toIvEEiEE10hipError_tPvRmT2_T3_T4_T5_mT6_T7_P12ihipStream_tbENKUlT_T0_E_clISt17integral_constantIbLb1EES12_IbLb0EEEEDaSY_SZ_EUlSY_E_NS1_11comp_targetILNS1_3genE8ELNS1_11target_archE1030ELNS1_3gpuE2ELNS1_3repE0EEENS1_30default_config_static_selectorELNS0_4arch9wavefront6targetE0EEEvT1_.uses_vcc, 0
	.set _ZN7rocprim17ROCPRIM_400000_NS6detail17trampoline_kernelINS0_14default_configENS1_27scan_by_key_config_selectorIiiEEZZNS1_16scan_by_key_implILNS1_25lookback_scan_determinismE0ELb1ES3_N6thrust23THRUST_200600_302600_NS6detail15normal_iteratorINS9_10device_ptrIiEEEENSB_INSC_IjEEEENSB_INSC_IfEEEEiNS9_4plusIvEENS9_8equal_toIvEEiEE10hipError_tPvRmT2_T3_T4_T5_mT6_T7_P12ihipStream_tbENKUlT_T0_E_clISt17integral_constantIbLb1EES12_IbLb0EEEEDaSY_SZ_EUlSY_E_NS1_11comp_targetILNS1_3genE8ELNS1_11target_archE1030ELNS1_3gpuE2ELNS1_3repE0EEENS1_30default_config_static_selectorELNS0_4arch9wavefront6targetE0EEEvT1_.uses_flat_scratch, 0
	.set _ZN7rocprim17ROCPRIM_400000_NS6detail17trampoline_kernelINS0_14default_configENS1_27scan_by_key_config_selectorIiiEEZZNS1_16scan_by_key_implILNS1_25lookback_scan_determinismE0ELb1ES3_N6thrust23THRUST_200600_302600_NS6detail15normal_iteratorINS9_10device_ptrIiEEEENSB_INSC_IjEEEENSB_INSC_IfEEEEiNS9_4plusIvEENS9_8equal_toIvEEiEE10hipError_tPvRmT2_T3_T4_T5_mT6_T7_P12ihipStream_tbENKUlT_T0_E_clISt17integral_constantIbLb1EES12_IbLb0EEEEDaSY_SZ_EUlSY_E_NS1_11comp_targetILNS1_3genE8ELNS1_11target_archE1030ELNS1_3gpuE2ELNS1_3repE0EEENS1_30default_config_static_selectorELNS0_4arch9wavefront6targetE0EEEvT1_.has_dyn_sized_stack, 0
	.set _ZN7rocprim17ROCPRIM_400000_NS6detail17trampoline_kernelINS0_14default_configENS1_27scan_by_key_config_selectorIiiEEZZNS1_16scan_by_key_implILNS1_25lookback_scan_determinismE0ELb1ES3_N6thrust23THRUST_200600_302600_NS6detail15normal_iteratorINS9_10device_ptrIiEEEENSB_INSC_IjEEEENSB_INSC_IfEEEEiNS9_4plusIvEENS9_8equal_toIvEEiEE10hipError_tPvRmT2_T3_T4_T5_mT6_T7_P12ihipStream_tbENKUlT_T0_E_clISt17integral_constantIbLb1EES12_IbLb0EEEEDaSY_SZ_EUlSY_E_NS1_11comp_targetILNS1_3genE8ELNS1_11target_archE1030ELNS1_3gpuE2ELNS1_3repE0EEENS1_30default_config_static_selectorELNS0_4arch9wavefront6targetE0EEEvT1_.has_recursion, 0
	.set _ZN7rocprim17ROCPRIM_400000_NS6detail17trampoline_kernelINS0_14default_configENS1_27scan_by_key_config_selectorIiiEEZZNS1_16scan_by_key_implILNS1_25lookback_scan_determinismE0ELb1ES3_N6thrust23THRUST_200600_302600_NS6detail15normal_iteratorINS9_10device_ptrIiEEEENSB_INSC_IjEEEENSB_INSC_IfEEEEiNS9_4plusIvEENS9_8equal_toIvEEiEE10hipError_tPvRmT2_T3_T4_T5_mT6_T7_P12ihipStream_tbENKUlT_T0_E_clISt17integral_constantIbLb1EES12_IbLb0EEEEDaSY_SZ_EUlSY_E_NS1_11comp_targetILNS1_3genE8ELNS1_11target_archE1030ELNS1_3gpuE2ELNS1_3repE0EEENS1_30default_config_static_selectorELNS0_4arch9wavefront6targetE0EEEvT1_.has_indirect_call, 0
	.section	.AMDGPU.csdata,"",@progbits
; Kernel info:
; codeLenInByte = 0
; TotalNumSgprs: 0
; NumVgprs: 0
; ScratchSize: 0
; MemoryBound: 0
; FloatMode: 240
; IeeeMode: 1
; LDSByteSize: 0 bytes/workgroup (compile time only)
; SGPRBlocks: 0
; VGPRBlocks: 0
; NumSGPRsForWavesPerEU: 1
; NumVGPRsForWavesPerEU: 1
; NamedBarCnt: 0
; Occupancy: 16
; WaveLimiterHint : 0
; COMPUTE_PGM_RSRC2:SCRATCH_EN: 0
; COMPUTE_PGM_RSRC2:USER_SGPR: 2
; COMPUTE_PGM_RSRC2:TRAP_HANDLER: 0
; COMPUTE_PGM_RSRC2:TGID_X_EN: 1
; COMPUTE_PGM_RSRC2:TGID_Y_EN: 0
; COMPUTE_PGM_RSRC2:TGID_Z_EN: 0
; COMPUTE_PGM_RSRC2:TIDIG_COMP_CNT: 0
	.section	.text._ZN7rocprim17ROCPRIM_400000_NS6detail17trampoline_kernelINS0_14default_configENS1_27scan_by_key_config_selectorIiiEEZZNS1_16scan_by_key_implILNS1_25lookback_scan_determinismE0ELb1ES3_N6thrust23THRUST_200600_302600_NS6detail15normal_iteratorINS9_10device_ptrIiEEEENSB_INSC_IjEEEENSB_INSC_IfEEEEiNS9_4plusIvEENS9_8equal_toIvEEiEE10hipError_tPvRmT2_T3_T4_T5_mT6_T7_P12ihipStream_tbENKUlT_T0_E_clISt17integral_constantIbLb0EES12_IbLb1EEEEDaSY_SZ_EUlSY_E_NS1_11comp_targetILNS1_3genE0ELNS1_11target_archE4294967295ELNS1_3gpuE0ELNS1_3repE0EEENS1_30default_config_static_selectorELNS0_4arch9wavefront6targetE0EEEvT1_,"axG",@progbits,_ZN7rocprim17ROCPRIM_400000_NS6detail17trampoline_kernelINS0_14default_configENS1_27scan_by_key_config_selectorIiiEEZZNS1_16scan_by_key_implILNS1_25lookback_scan_determinismE0ELb1ES3_N6thrust23THRUST_200600_302600_NS6detail15normal_iteratorINS9_10device_ptrIiEEEENSB_INSC_IjEEEENSB_INSC_IfEEEEiNS9_4plusIvEENS9_8equal_toIvEEiEE10hipError_tPvRmT2_T3_T4_T5_mT6_T7_P12ihipStream_tbENKUlT_T0_E_clISt17integral_constantIbLb0EES12_IbLb1EEEEDaSY_SZ_EUlSY_E_NS1_11comp_targetILNS1_3genE0ELNS1_11target_archE4294967295ELNS1_3gpuE0ELNS1_3repE0EEENS1_30default_config_static_selectorELNS0_4arch9wavefront6targetE0EEEvT1_,comdat
	.protected	_ZN7rocprim17ROCPRIM_400000_NS6detail17trampoline_kernelINS0_14default_configENS1_27scan_by_key_config_selectorIiiEEZZNS1_16scan_by_key_implILNS1_25lookback_scan_determinismE0ELb1ES3_N6thrust23THRUST_200600_302600_NS6detail15normal_iteratorINS9_10device_ptrIiEEEENSB_INSC_IjEEEENSB_INSC_IfEEEEiNS9_4plusIvEENS9_8equal_toIvEEiEE10hipError_tPvRmT2_T3_T4_T5_mT6_T7_P12ihipStream_tbENKUlT_T0_E_clISt17integral_constantIbLb0EES12_IbLb1EEEEDaSY_SZ_EUlSY_E_NS1_11comp_targetILNS1_3genE0ELNS1_11target_archE4294967295ELNS1_3gpuE0ELNS1_3repE0EEENS1_30default_config_static_selectorELNS0_4arch9wavefront6targetE0EEEvT1_ ; -- Begin function _ZN7rocprim17ROCPRIM_400000_NS6detail17trampoline_kernelINS0_14default_configENS1_27scan_by_key_config_selectorIiiEEZZNS1_16scan_by_key_implILNS1_25lookback_scan_determinismE0ELb1ES3_N6thrust23THRUST_200600_302600_NS6detail15normal_iteratorINS9_10device_ptrIiEEEENSB_INSC_IjEEEENSB_INSC_IfEEEEiNS9_4plusIvEENS9_8equal_toIvEEiEE10hipError_tPvRmT2_T3_T4_T5_mT6_T7_P12ihipStream_tbENKUlT_T0_E_clISt17integral_constantIbLb0EES12_IbLb1EEEEDaSY_SZ_EUlSY_E_NS1_11comp_targetILNS1_3genE0ELNS1_11target_archE4294967295ELNS1_3gpuE0ELNS1_3repE0EEENS1_30default_config_static_selectorELNS0_4arch9wavefront6targetE0EEEvT1_
	.globl	_ZN7rocprim17ROCPRIM_400000_NS6detail17trampoline_kernelINS0_14default_configENS1_27scan_by_key_config_selectorIiiEEZZNS1_16scan_by_key_implILNS1_25lookback_scan_determinismE0ELb1ES3_N6thrust23THRUST_200600_302600_NS6detail15normal_iteratorINS9_10device_ptrIiEEEENSB_INSC_IjEEEENSB_INSC_IfEEEEiNS9_4plusIvEENS9_8equal_toIvEEiEE10hipError_tPvRmT2_T3_T4_T5_mT6_T7_P12ihipStream_tbENKUlT_T0_E_clISt17integral_constantIbLb0EES12_IbLb1EEEEDaSY_SZ_EUlSY_E_NS1_11comp_targetILNS1_3genE0ELNS1_11target_archE4294967295ELNS1_3gpuE0ELNS1_3repE0EEENS1_30default_config_static_selectorELNS0_4arch9wavefront6targetE0EEEvT1_
	.p2align	8
	.type	_ZN7rocprim17ROCPRIM_400000_NS6detail17trampoline_kernelINS0_14default_configENS1_27scan_by_key_config_selectorIiiEEZZNS1_16scan_by_key_implILNS1_25lookback_scan_determinismE0ELb1ES3_N6thrust23THRUST_200600_302600_NS6detail15normal_iteratorINS9_10device_ptrIiEEEENSB_INSC_IjEEEENSB_INSC_IfEEEEiNS9_4plusIvEENS9_8equal_toIvEEiEE10hipError_tPvRmT2_T3_T4_T5_mT6_T7_P12ihipStream_tbENKUlT_T0_E_clISt17integral_constantIbLb0EES12_IbLb1EEEEDaSY_SZ_EUlSY_E_NS1_11comp_targetILNS1_3genE0ELNS1_11target_archE4294967295ELNS1_3gpuE0ELNS1_3repE0EEENS1_30default_config_static_selectorELNS0_4arch9wavefront6targetE0EEEvT1_,@function
_ZN7rocprim17ROCPRIM_400000_NS6detail17trampoline_kernelINS0_14default_configENS1_27scan_by_key_config_selectorIiiEEZZNS1_16scan_by_key_implILNS1_25lookback_scan_determinismE0ELb1ES3_N6thrust23THRUST_200600_302600_NS6detail15normal_iteratorINS9_10device_ptrIiEEEENSB_INSC_IjEEEENSB_INSC_IfEEEEiNS9_4plusIvEENS9_8equal_toIvEEiEE10hipError_tPvRmT2_T3_T4_T5_mT6_T7_P12ihipStream_tbENKUlT_T0_E_clISt17integral_constantIbLb0EES12_IbLb1EEEEDaSY_SZ_EUlSY_E_NS1_11comp_targetILNS1_3genE0ELNS1_11target_archE4294967295ELNS1_3gpuE0ELNS1_3repE0EEENS1_30default_config_static_selectorELNS0_4arch9wavefront6targetE0EEEvT1_: ; @_ZN7rocprim17ROCPRIM_400000_NS6detail17trampoline_kernelINS0_14default_configENS1_27scan_by_key_config_selectorIiiEEZZNS1_16scan_by_key_implILNS1_25lookback_scan_determinismE0ELb1ES3_N6thrust23THRUST_200600_302600_NS6detail15normal_iteratorINS9_10device_ptrIiEEEENSB_INSC_IjEEEENSB_INSC_IfEEEEiNS9_4plusIvEENS9_8equal_toIvEEiEE10hipError_tPvRmT2_T3_T4_T5_mT6_T7_P12ihipStream_tbENKUlT_T0_E_clISt17integral_constantIbLb0EES12_IbLb1EEEEDaSY_SZ_EUlSY_E_NS1_11comp_targetILNS1_3genE0ELNS1_11target_archE4294967295ELNS1_3gpuE0ELNS1_3repE0EEENS1_30default_config_static_selectorELNS0_4arch9wavefront6targetE0EEEvT1_
; %bb.0:
	s_clause 0x2
	s_load_b32 s33, s[0:1], 0x20
	s_load_b128 s[20:23], s[0:1], 0x28
	s_load_b64 s[30:31], s[0:1], 0x38
	v_cmp_ne_u32_e64 s3, 0, v0
	v_cmp_eq_u32_e64 s2, 0, v0
	s_and_saveexec_b32 s4, s2
	s_cbranch_execz .LBB1743_4
; %bb.1:
	s_mov_b32 s6, exec_lo
	s_mov_b32 s5, exec_lo
	v_mbcnt_lo_u32_b32 v1, s6, 0
                                        ; implicit-def: $vgpr2
	s_delay_alu instid0(VALU_DEP_1)
	v_cmpx_eq_u32_e32 0, v1
	s_cbranch_execz .LBB1743_3
; %bb.2:
	s_load_b64 s[8:9], s[0:1], 0x68
	s_bcnt1_i32_b32 s6, s6
	s_delay_alu instid0(SALU_CYCLE_1)
	v_dual_mov_b32 v2, 0 :: v_dual_mov_b32 v3, s6
	s_wait_xcnt 0x0
	s_wait_kmcnt 0x0
	global_atomic_add_u32 v2, v2, v3, s[8:9] th:TH_ATOMIC_RETURN scope:SCOPE_DEV
.LBB1743_3:
	s_wait_xcnt 0x0
	s_or_b32 exec_lo, exec_lo, s5
	s_wait_loadcnt 0x0
	v_readfirstlane_b32 s5, v2
	s_delay_alu instid0(VALU_DEP_1)
	v_dual_mov_b32 v2, 0 :: v_dual_add_nc_u32 v1, s5, v1
	ds_store_b32 v2, v1
.LBB1743_4:
	s_or_b32 exec_lo, exec_lo, s4
	v_mov_b32_e32 v3, 0
	s_clause 0x2
	s_load_b256 s[12:19], s[0:1], 0x0
	s_load_b32 s4, s[0:1], 0x40
	s_load_b128 s[24:27], s[0:1], 0x48
	s_wait_dscnt 0x0
	s_barrier_signal -1
	s_barrier_wait -1
	ds_load_b32 v2, v3
	s_mov_b32 s5, 0
	s_wait_dscnt 0x0
	s_barrier_signal -1
	s_barrier_wait -1
	s_barrier_signal -1
	s_barrier_wait -1
	s_wait_kmcnt 0x0
	s_lshl_b64 s[28:29], s[14:15], 2
	s_mul_u64 s[0:1], s[30:31], s[4:5]
	s_add_nc_u64 s[10:11], s[24:25], -1
	s_add_nc_u64 s[6:7], s[12:13], s[28:29]
	s_add_nc_u64 s[8:9], s[16:17], s[28:29]
	s_mul_i32 s23, s10, 0xfffff400
	v_add_nc_u64_e32 v[4:5], s[0:1], v[2:3]
	v_readfirstlane_b32 s36, v2
	s_mul_i32 s4, s36, 0xc00
	v_cmp_le_u64_e64 s0, s[10:11], v[4:5]
	s_lshl_b64 s[16:17], s[4:5], 2
	s_delay_alu instid0(SALU_CYCLE_1)
	s_add_nc_u64 s[34:35], s[6:7], s[16:17]
	s_add_nc_u64 s[24:25], s[8:9], s[16:17]
	s_and_b32 vcc_lo, exec_lo, s0
	s_cbranch_vccz .LBB1743_70
; %bb.5:
	flat_load_b32 v1, v3, s[34:35]
	s_add_co_i32 s15, s23, s22
	s_delay_alu instid0(SALU_CYCLE_1)
	v_cmp_gt_u32_e32 vcc_lo, s15, v0
	s_wait_loadcnt_dscnt 0x0
	v_mov_b32_e32 v2, v1
	s_and_saveexec_b32 s1, vcc_lo
	s_cbranch_execz .LBB1743_7
; %bb.6:
	flat_load_b32 v2, v0, s[34:35] scale_offset
.LBB1743_7:
	s_wait_xcnt 0x0
	s_or_b32 exec_lo, exec_lo, s1
	v_or_b32_e32 v3, 0x100, v0
	s_delay_alu instid0(VALU_DEP_1)
	v_cmp_gt_u32_e64 s1, s15, v3
	v_mov_b32_e32 v3, v1
	s_and_saveexec_b32 s4, s1
	s_cbranch_execz .LBB1743_9
; %bb.8:
	flat_load_b32 v3, v0, s[34:35] offset:1024 scale_offset
.LBB1743_9:
	s_wait_xcnt 0x0
	s_or_b32 exec_lo, exec_lo, s4
	v_or_b32_e32 v4, 0x200, v0
	s_delay_alu instid0(VALU_DEP_1)
	v_cmp_gt_u32_e64 s4, s15, v4
	v_mov_b32_e32 v4, v1
	s_and_saveexec_b32 s5, s4
	s_cbranch_execz .LBB1743_11
; %bb.10:
	flat_load_b32 v4, v0, s[34:35] offset:2048 scale_offset
.LBB1743_11:
	;; [unrolled: 11-line block ×10, first 2 shown]
	s_wait_xcnt 0x0
	s_or_b32 exec_lo, exec_lo, s13
	v_or_b32_e32 v13, 0xb00, v0
	s_delay_alu instid0(VALU_DEP_1) | instskip(SKIP_2) | instid1(SALU_CYCLE_1)
	v_cmp_gt_u32_e64 s13, s15, v13
	v_cmp_le_u32_e64 s14, s15, v13
	s_and_saveexec_b32 s37, s14
	s_xor_b32 s14, exec_lo, s37
	s_delay_alu instid0(SALU_CYCLE_1)
	s_and_not1_saveexec_b32 s14, s14
	s_cbranch_execz .LBB1743_29
; %bb.28:
	flat_load_b32 v1, v0, s[34:35] offset:11264 scale_offset
.LBB1743_29:
	s_wait_xcnt 0x0
	s_or_b32 exec_lo, exec_lo, s14
	v_lshlrev_b32_e32 v14, 2, v0
	s_mov_b32 s37, exec_lo
	s_wait_loadcnt_dscnt 0x0
	ds_store_2addr_stride64_b32 v14, v2, v3 offset1:4
	ds_store_2addr_stride64_b32 v14, v4, v5 offset0:8 offset1:12
	ds_store_2addr_stride64_b32 v14, v6, v7 offset0:16 offset1:20
	;; [unrolled: 1-line block ×5, first 2 shown]
	v_mov_b32_e32 v1, 0
	s_wait_dscnt 0x0
	s_barrier_signal -1
	s_barrier_wait -1
	flat_load_b32 v38, v1, s[34:35]
	s_wait_xcnt 0x0
	v_mad_u32_u24 v1, v0, 44, v14
	ds_load_b128 v[10:13], v1
	ds_load_b128 v[6:9], v1 offset:16
	ds_load_b128 v[2:5], v1 offset:32
	v_mad_i32_i24 v15, 0xffffffd4, v0, v1
	s_wait_dscnt 0x2
	ds_store_b32 v15, v10 offset:13312
	s_wait_loadcnt_dscnt 0x0
	s_barrier_signal -1
	s_barrier_wait -1
	v_cmpx_ne_u32_e32 0xff, v0
; %bb.30:
	v_mul_i32_i24_e32 v15, 0xffffffd4, v0
	s_delay_alu instid0(VALU_DEP_1)
	v_add_nc_u32_e32 v15, v1, v15
	ds_load_b32 v38, v15 offset:13316
; %bb.31:
	s_or_b32 exec_lo, exec_lo, s37
	s_wait_dscnt 0x0
	s_barrier_signal -1
	s_barrier_wait -1
                                        ; implicit-def: $vgpr15
	s_and_saveexec_b32 s14, vcc_lo
	s_cbranch_execz .LBB1743_106
; %bb.32:
	flat_load_b32 v15, v0, s[24:25] scale_offset
	s_wait_xcnt 0x0
	s_or_b32 exec_lo, exec_lo, s14
                                        ; implicit-def: $vgpr16
	s_and_saveexec_b32 s14, s1
	s_cbranch_execnz .LBB1743_107
.LBB1743_33:
	s_or_b32 exec_lo, exec_lo, s14
                                        ; implicit-def: $vgpr17
	s_and_saveexec_b32 s1, s4
	s_cbranch_execz .LBB1743_108
.LBB1743_34:
	flat_load_b32 v17, v0, s[24:25] offset:2048 scale_offset
	s_wait_xcnt 0x0
	s_or_b32 exec_lo, exec_lo, s1
                                        ; implicit-def: $vgpr18
	s_and_saveexec_b32 s1, s5
	s_cbranch_execnz .LBB1743_109
.LBB1743_35:
	s_or_b32 exec_lo, exec_lo, s1
                                        ; implicit-def: $vgpr19
	s_and_saveexec_b32 s1, s6
	s_cbranch_execz .LBB1743_110
.LBB1743_36:
	flat_load_b32 v19, v0, s[24:25] offset:4096 scale_offset
	s_wait_xcnt 0x0
	s_or_b32 exec_lo, exec_lo, s1
                                        ; implicit-def: $vgpr20
	s_and_saveexec_b32 s1, s7
	s_cbranch_execnz .LBB1743_111
.LBB1743_37:
	s_or_b32 exec_lo, exec_lo, s1
                                        ; implicit-def: $vgpr21
	s_and_saveexec_b32 s1, s8
	s_cbranch_execz .LBB1743_112
.LBB1743_38:
	flat_load_b32 v21, v0, s[24:25] offset:6144 scale_offset
	s_wait_xcnt 0x0
	s_or_b32 exec_lo, exec_lo, s1
                                        ; implicit-def: $vgpr22
	s_and_saveexec_b32 s1, s9
	s_cbranch_execnz .LBB1743_113
.LBB1743_39:
	s_or_b32 exec_lo, exec_lo, s1
                                        ; implicit-def: $vgpr23
	s_and_saveexec_b32 s1, s10
	s_cbranch_execz .LBB1743_114
.LBB1743_40:
	flat_load_b32 v23, v0, s[24:25] offset:8192 scale_offset
	s_wait_xcnt 0x0
	s_or_b32 exec_lo, exec_lo, s1
                                        ; implicit-def: $vgpr24
	s_and_saveexec_b32 s1, s11
	s_cbranch_execnz .LBB1743_115
.LBB1743_41:
	s_or_b32 exec_lo, exec_lo, s1
                                        ; implicit-def: $vgpr25
	s_and_saveexec_b32 s1, s12
	s_cbranch_execz .LBB1743_43
.LBB1743_42:
	flat_load_b32 v25, v0, s[24:25] offset:10240 scale_offset
.LBB1743_43:
	s_wait_xcnt 0x0
	s_or_b32 exec_lo, exec_lo, s1
	v_mul_u32_u24_e32 v39, 12, v0
                                        ; implicit-def: $vgpr26
	s_and_saveexec_b32 s1, s13
	s_cbranch_execz .LBB1743_45
; %bb.44:
	flat_load_b32 v26, v0, s[24:25] offset:11264 scale_offset
.LBB1743_45:
	s_wait_xcnt 0x0
	s_or_b32 exec_lo, exec_lo, s1
	s_wait_loadcnt_dscnt 0x0
	ds_store_2addr_stride64_b32 v14, v15, v16 offset1:4
	ds_store_2addr_stride64_b32 v14, v17, v18 offset0:8 offset1:12
	ds_store_2addr_stride64_b32 v14, v19, v20 offset0:16 offset1:20
	;; [unrolled: 1-line block ×5, first 2 shown]
	v_mov_b64_e32 v[14:15], 0
	v_mov_b64_e32 v[42:43], 0
	;; [unrolled: 1-line block ×21, first 2 shown]
	s_mov_b32 s1, 0
	s_mov_b32 s5, 0
	s_mov_b32 s4, exec_lo
	s_wait_dscnt 0x0
	s_barrier_signal -1
	s_barrier_wait -1
                                        ; implicit-def: $sgpr6
                                        ; implicit-def: $vgpr60
	v_cmpx_gt_u32_e64 s15, v39
	s_cbranch_execz .LBB1743_69
; %bb.46:
	ds_load_b32 v14, v1
	v_cmp_eq_u32_e32 vcc_lo, v10, v11
	v_or_b32_e32 v16, 1, v39
	v_mov_b64_e32 v[42:43], 0
	v_mov_b64_e32 v[40:41], 0
	;; [unrolled: 1-line block ×17, first 2 shown]
	s_wait_dscnt 0x0
	v_cndmask_b32_e32 v14, s33, v14, vcc_lo
	v_cmp_ne_u32_e32 vcc_lo, v10, v11
	v_mov_b64_e32 v[20:21], 0
	v_mov_b64_e32 v[18:19], 0
	s_mov_b32 s7, 0
	s_mov_b32 s5, exec_lo
	v_cndmask_b32_e64 v15, 0, 1, vcc_lo
                                        ; implicit-def: $sgpr6
                                        ; implicit-def: $vgpr60
	v_cmpx_gt_u32_e64 s15, v16
	s_cbranch_execz .LBB1743_68
; %bb.47:
	ds_load_2addr_b32 v[16:17], v1 offset0:1 offset1:2
	v_cmp_eq_u32_e32 vcc_lo, v11, v12
	v_or_b32_e32 v10, 2, v39
	v_mov_b64_e32 v[40:41], 0
	v_mov_b64_e32 v[44:45], 0
	;; [unrolled: 1-line block ×17, first 2 shown]
	s_wait_dscnt 0x0
	v_cndmask_b32_e32 v42, s33, v16, vcc_lo
	v_cmp_ne_u32_e32 vcc_lo, v11, v12
	s_mov_b32 s8, 0
	s_mov_b32 s7, exec_lo
                                        ; implicit-def: $sgpr6
                                        ; implicit-def: $vgpr60
	v_cndmask_b32_e64 v43, 0, 1, vcc_lo
	v_cmpx_gt_u32_e64 s15, v10
	s_cbranch_execz .LBB1743_67
; %bb.48:
	v_cmp_eq_u32_e32 vcc_lo, v12, v13
	v_mov_b64_e32 v[44:45], 0
	v_mov_b64_e32 v[46:47], 0
	;; [unrolled: 1-line block ×4, first 2 shown]
	v_dual_cndmask_b32 v40, s33, v17, vcc_lo :: v_dual_bitop2_b32 v10, 3, v39 bitop3:0x54
	v_cmp_ne_u32_e32 vcc_lo, v12, v13
	v_mov_b64_e32 v[52:53], 0
	v_mov_b64_e32 v[54:55], 0
	v_mov_b64_e32 v[56:57], 0
	v_mov_b64_e32 v[58:59], 0
	v_mov_b64_e32 v[30:31], 0
	v_mov_b64_e32 v[28:29], 0
	v_mov_b64_e32 v[26:27], 0
	v_mov_b64_e32 v[24:25], 0
	v_mov_b64_e32 v[22:23], 0
	v_mov_b64_e32 v[20:21], 0
	v_mov_b64_e32 v[18:19], 0
	v_cndmask_b32_e64 v41, 0, 1, vcc_lo
	s_mov_b32 s9, 0
	s_mov_b32 s8, exec_lo
                                        ; implicit-def: $sgpr6
                                        ; implicit-def: $vgpr60
	v_cmpx_gt_u32_e64 s15, v10
	s_cbranch_execz .LBB1743_66
; %bb.49:
	ds_load_2addr_b32 v[10:11], v1 offset0:3 offset1:4
	v_cmp_ne_u32_e32 vcc_lo, v13, v6
	v_mov_b64_e32 v[46:47], 0
	v_mov_b64_e32 v[48:49], 0
	v_mov_b64_e32 v[50:51], 0
	v_mov_b64_e32 v[52:53], 0
	v_cndmask_b32_e64 v45, 0, 1, vcc_lo
	v_cmp_eq_u32_e32 vcc_lo, v13, v6
	v_mov_b64_e32 v[54:55], 0
	v_mov_b64_e32 v[56:57], 0
	;; [unrolled: 1-line block ×9, first 2 shown]
	v_add_nc_u32_e32 v12, 4, v39
	s_mov_b32 s10, 0
	s_mov_b32 s9, exec_lo
	s_wait_dscnt 0x0
	v_cndmask_b32_e32 v44, s33, v10, vcc_lo
                                        ; implicit-def: $sgpr6
                                        ; implicit-def: $vgpr60
	v_cmpx_gt_u32_e64 s15, v12
	s_cbranch_execz .LBB1743_65
; %bb.50:
	v_cmp_eq_u32_e32 vcc_lo, v6, v7
	v_mov_b64_e32 v[48:49], 0
	v_mov_b64_e32 v[50:51], 0
	;; [unrolled: 1-line block ×4, first 2 shown]
	v_cndmask_b32_e32 v46, s33, v11, vcc_lo
	v_cmp_ne_u32_e32 vcc_lo, v6, v7
	v_mov_b64_e32 v[56:57], 0
	v_mov_b64_e32 v[58:59], 0
	;; [unrolled: 1-line block ×7, first 2 shown]
	v_add_nc_u32_e32 v10, 5, v39
	v_cndmask_b32_e64 v47, 0, 1, vcc_lo
	s_mov_b32 s11, 0
	s_mov_b32 s10, exec_lo
                                        ; implicit-def: $sgpr6
                                        ; implicit-def: $vgpr60
	s_delay_alu instid0(VALU_DEP_2)
	v_cmpx_gt_u32_e64 s15, v10
	s_cbranch_execz .LBB1743_64
; %bb.51:
	ds_load_2addr_b32 v[10:11], v1 offset0:5 offset1:6
	v_cmp_ne_u32_e32 vcc_lo, v7, v8
	v_mov_b64_e32 v[50:51], 0
	v_mov_b64_e32 v[52:53], 0
	;; [unrolled: 1-line block ×4, first 2 shown]
	v_cndmask_b32_e64 v49, 0, 1, vcc_lo
	v_cmp_eq_u32_e32 vcc_lo, v7, v8
	v_mov_b64_e32 v[58:59], 0
	v_mov_b64_e32 v[24:25], 0
	;; [unrolled: 1-line block ×5, first 2 shown]
	v_add_nc_u32_e32 v6, 6, v39
	s_mov_b32 s12, 0
	s_mov_b32 s11, exec_lo
                                        ; implicit-def: $sgpr6
                                        ; implicit-def: $vgpr60
	s_wait_dscnt 0x0
	v_cndmask_b32_e32 v48, s33, v10, vcc_lo
	v_cmpx_gt_u32_e64 s15, v6
	s_cbranch_execz .LBB1743_63
; %bb.52:
	v_cmp_eq_u32_e32 vcc_lo, v8, v9
	v_mov_b64_e32 v[52:53], 0
	v_mov_b64_e32 v[54:55], 0
	;; [unrolled: 1-line block ×4, first 2 shown]
	v_cndmask_b32_e32 v50, s33, v11, vcc_lo
	v_cmp_ne_u32_e32 vcc_lo, v8, v9
	v_mov_b64_e32 v[22:23], 0
	v_mov_b64_e32 v[20:21], 0
	;; [unrolled: 1-line block ×3, first 2 shown]
	v_add_nc_u32_e32 v6, 7, v39
	v_cndmask_b32_e64 v51, 0, 1, vcc_lo
	s_mov_b32 s13, 0
	s_mov_b32 s12, exec_lo
                                        ; implicit-def: $sgpr6
                                        ; implicit-def: $vgpr60
	s_delay_alu instid0(VALU_DEP_2)
	v_cmpx_gt_u32_e64 s15, v6
	s_cbranch_execz .LBB1743_62
; %bb.53:
	ds_load_2addr_b32 v[6:7], v1 offset0:7 offset1:8
	v_cmp_ne_u32_e32 vcc_lo, v9, v2
	v_mov_b64_e32 v[54:55], 0
	v_mov_b64_e32 v[56:57], 0
	;; [unrolled: 1-line block ×4, first 2 shown]
	v_cndmask_b32_e64 v53, 0, 1, vcc_lo
	v_cmp_eq_u32_e32 vcc_lo, v9, v2
	v_mov_b64_e32 v[18:19], 0
	v_add_nc_u32_e32 v8, 8, v39
	s_mov_b32 s14, 0
	s_mov_b32 s13, exec_lo
                                        ; implicit-def: $sgpr6
                                        ; implicit-def: $vgpr60
	s_wait_dscnt 0x0
	v_cndmask_b32_e32 v52, s33, v6, vcc_lo
	v_cmpx_gt_u32_e64 s15, v8
	s_cbranch_execz .LBB1743_61
; %bb.54:
	v_cmp_eq_u32_e32 vcc_lo, v2, v3
	v_mov_b64_e32 v[56:57], 0
	v_mov_b64_e32 v[58:59], 0
	;; [unrolled: 1-line block ×3, first 2 shown]
	v_add_nc_u32_e32 v6, 9, v39
	v_cndmask_b32_e32 v54, s33, v7, vcc_lo
	v_cmp_ne_u32_e32 vcc_lo, v2, v3
	s_mov_b32 s37, 0
	s_mov_b32 s14, exec_lo
                                        ; implicit-def: $sgpr6
                                        ; implicit-def: $vgpr60
	v_cndmask_b32_e64 v55, 0, 1, vcc_lo
	v_cmpx_gt_u32_e64 s15, v6
	s_cbranch_execz .LBB1743_60
; %bb.55:
	ds_load_2addr_b32 v[6:7], v1 offset0:9 offset1:10
	v_cmp_ne_u32_e32 vcc_lo, v3, v4
	v_mov_b64_e32 v[58:59], 0
	s_mov_b32 s38, 0
	s_mov_b32 s37, exec_lo
                                        ; implicit-def: $sgpr6
                                        ; implicit-def: $vgpr60
	v_cndmask_b32_e64 v57, 0, 1, vcc_lo
	v_cmp_eq_u32_e32 vcc_lo, v3, v4
	s_wait_dscnt 0x0
	v_dual_add_nc_u32 v2, 10, v39 :: v_dual_cndmask_b32 v56, s33, v6, vcc_lo
	s_delay_alu instid0(VALU_DEP_1)
	v_cmpx_gt_u32_e64 s15, v2
	s_cbranch_execz .LBB1743_59
; %bb.56:
	v_cmp_eq_u32_e32 vcc_lo, v4, v5
	v_add_nc_u32_e32 v2, 11, v39
                                        ; implicit-def: $sgpr6
                                        ; implicit-def: $vgpr60
	v_cndmask_b32_e32 v58, s33, v7, vcc_lo
	v_cmp_ne_u32_e32 vcc_lo, v4, v5
	v_cndmask_b32_e64 v59, 0, 1, vcc_lo
	s_delay_alu instid0(VALU_DEP_4) | instskip(SKIP_2) | instid1(SALU_CYCLE_1)
	v_cmp_gt_u32_e32 vcc_lo, s15, v2
	s_mov_b32 s15, 0
	s_and_saveexec_b32 s38, vcc_lo
	s_xor_b32 s38, exec_lo, s38
	s_cbranch_execz .LBB1743_58
; %bb.57:
	ds_load_b32 v1, v1 offset:44
	v_cmp_ne_u32_e64 s6, v5, v38
	s_mov_b32 s15, exec_lo
	s_wait_dscnt 0x0
	v_cndmask_b32_e64 v60, v1, s33, s6
.LBB1743_58:
	s_or_b32 exec_lo, exec_lo, s38
	s_delay_alu instid0(SALU_CYCLE_1)
	s_and_b32 s38, s15, exec_lo
.LBB1743_59:
	s_or_b32 exec_lo, exec_lo, s37
	v_mov_b64_e32 v[18:19], v[58:59]
	s_and_b32 s37, s38, exec_lo
.LBB1743_60:
	s_or_b32 exec_lo, exec_lo, s14
	v_mov_b64_e32 v[20:21], v[56:57]
	s_and_b32 s14, s37, exec_lo
.LBB1743_61:
	s_or_b32 exec_lo, exec_lo, s13
	v_mov_b64_e32 v[22:23], v[54:55]
	s_and_b32 s13, s14, exec_lo
.LBB1743_62:
	s_or_b32 exec_lo, exec_lo, s12
	v_mov_b64_e32 v[24:25], v[52:53]
	s_and_b32 s12, s13, exec_lo
.LBB1743_63:
	s_or_b32 exec_lo, exec_lo, s11
	v_mov_b64_e32 v[26:27], v[50:51]
	s_and_b32 s11, s12, exec_lo
.LBB1743_64:
	s_or_b32 exec_lo, exec_lo, s10
	v_mov_b64_e32 v[28:29], v[48:49]
	s_and_b32 s10, s11, exec_lo
.LBB1743_65:
	s_or_b32 exec_lo, exec_lo, s9
	v_mov_b64_e32 v[30:31], v[46:47]
	s_and_b32 s9, s10, exec_lo
.LBB1743_66:
	s_or_b32 exec_lo, exec_lo, s8
	v_mov_b64_e32 v[32:33], v[44:45]
	s_and_b32 s8, s9, exec_lo
.LBB1743_67:
	s_or_b32 exec_lo, exec_lo, s7
	v_mov_b64_e32 v[34:35], v[40:41]
	s_and_b32 s7, s8, exec_lo
.LBB1743_68:
	s_or_b32 exec_lo, exec_lo, s5
	v_mov_b64_e32 v[36:37], v[42:43]
	s_and_b32 s5, s7, exec_lo
.LBB1743_69:
	s_or_b32 exec_lo, exec_lo, s4
	v_lshlrev_b32_e32 v16, 2, v0
	s_and_b32 vcc_lo, exec_lo, s1
	s_cbranch_vccnz .LBB1743_71
	s_branch .LBB1743_76
.LBB1743_70:
                                        ; implicit-def: $sgpr6
                                        ; implicit-def: $vgpr60
                                        ; implicit-def: $vgpr14_vgpr15
                                        ; implicit-def: $vgpr42_vgpr43
                                        ; implicit-def: $vgpr40_vgpr41
                                        ; implicit-def: $vgpr44_vgpr45
                                        ; implicit-def: $vgpr46_vgpr47
                                        ; implicit-def: $vgpr48_vgpr49
                                        ; implicit-def: $vgpr50_vgpr51
                                        ; implicit-def: $vgpr52_vgpr53
                                        ; implicit-def: $vgpr54_vgpr55
                                        ; implicit-def: $vgpr56_vgpr57
                                        ; implicit-def: $vgpr58_vgpr59
                                        ; implicit-def: $vgpr36_vgpr37
                                        ; implicit-def: $vgpr34_vgpr35
                                        ; implicit-def: $vgpr32_vgpr33
                                        ; implicit-def: $vgpr30_vgpr31
                                        ; implicit-def: $vgpr28_vgpr29
                                        ; implicit-def: $vgpr26_vgpr27
                                        ; implicit-def: $vgpr24_vgpr25
                                        ; implicit-def: $vgpr22_vgpr23
                                        ; implicit-def: $vgpr20_vgpr21
                                        ; implicit-def: $vgpr18_vgpr19
	v_lshlrev_b32_e32 v16, 2, v0
	s_cbranch_execz .LBB1743_76
.LBB1743_71:
	s_clause 0xb
	flat_load_b32 v1, v0, s[34:35] scale_offset
	flat_load_b32 v2, v0, s[34:35] offset:1024 scale_offset
	flat_load_b32 v3, v0, s[34:35] offset:2048 scale_offset
	flat_load_b32 v4, v0, s[34:35] offset:3072 scale_offset
	flat_load_b32 v5, v0, s[34:35] offset:4096 scale_offset
	flat_load_b32 v6, v0, s[34:35] offset:5120 scale_offset
	flat_load_b32 v7, v0, s[34:35] offset:6144 scale_offset
	flat_load_b32 v8, v0, s[34:35] offset:7168 scale_offset
	flat_load_b32 v9, v0, s[34:35] offset:8192 scale_offset
	flat_load_b32 v10, v0, s[34:35] offset:9216 scale_offset
	flat_load_b32 v11, v0, s[34:35] offset:10240 scale_offset
	flat_load_b32 v12, v0, s[34:35] offset:11264 scale_offset
	v_mov_b32_e32 v13, 0
	v_mad_u32_u24 v28, v0, 44, v16
	s_mov_b32 s1, exec_lo
	s_wait_loadcnt_dscnt 0xa0a
	ds_store_2addr_stride64_b32 v16, v1, v2 offset1:4
	s_wait_loadcnt_dscnt 0x809
	ds_store_2addr_stride64_b32 v16, v3, v4 offset0:8 offset1:12
	s_wait_loadcnt_dscnt 0x608
	ds_store_2addr_stride64_b32 v16, v5, v6 offset0:16 offset1:20
	;; [unrolled: 2-line block ×5, first 2 shown]
	s_wait_dscnt 0x0
	s_barrier_signal -1
	s_barrier_wait -1
	flat_load_b32 v1, v13, s[34:35] offset:12288
	s_wait_xcnt 0x0
	ds_load_b128 v[10:13], v28
	ds_load_b128 v[6:9], v28 offset:16
	ds_load_b128 v[2:5], v28 offset:32
	v_mad_i32_i24 v14, 0xffffffd4, v0, v28
	s_wait_dscnt 0x2
	ds_store_b32 v14, v10 offset:13312
	s_wait_loadcnt_dscnt 0x0
	s_barrier_signal -1
	s_barrier_wait -1
	v_cmpx_ne_u32_e32 0xff, v0
; %bb.72:
	v_mul_i32_i24_e32 v1, 0xffffffd4, v0
	s_delay_alu instid0(VALU_DEP_1)
	v_add_nc_u32_e32 v1, v28, v1
	ds_load_b32 v1, v1 offset:13316
; %bb.73:
	s_or_b32 exec_lo, exec_lo, s1
	s_wait_dscnt 0x0
	s_barrier_signal -1
	s_barrier_wait -1
	s_clause 0xb
	flat_load_b32 v14, v0, s[24:25] scale_offset
	flat_load_b32 v15, v0, s[24:25] offset:1024 scale_offset
	flat_load_b32 v17, v0, s[24:25] offset:2048 scale_offset
	;; [unrolled: 1-line block ×11, first 2 shown]
	v_cmp_eq_u32_e32 vcc_lo, v10, v11
	v_mov_b32_e32 v10, s33
	s_wait_loadcnt_dscnt 0xa0a
	ds_store_2addr_stride64_b32 v16, v14, v15 offset1:4
	s_wait_loadcnt_dscnt 0x809
	ds_store_2addr_stride64_b32 v16, v17, v18 offset0:8 offset1:12
	s_wait_loadcnt_dscnt 0x608
	ds_store_2addr_stride64_b32 v16, v19, v20 offset0:16 offset1:20
	;; [unrolled: 2-line block ×5, first 2 shown]
	s_wait_dscnt 0x0
	s_barrier_signal -1
	s_barrier_wait -1
	ds_load_2addr_b32 v[26:27], v28 offset0:1 offset1:2
	ds_load_2addr_b32 v[24:25], v28 offset0:3 offset1:4
	;; [unrolled: 1-line block ×5, first 2 shown]
	ds_load_b32 v17, v28 offset:44
	v_mov_b64_e32 v[14:15], 0x100000000
	s_and_saveexec_b32 s1, vcc_lo
; %bb.74:
	ds_load_b32 v10, v28
	v_mov_b64_e32 v[14:15], 0
; %bb.75:
	s_or_b32 exec_lo, exec_lo, s1
	v_cmp_eq_u32_e32 vcc_lo, v11, v12
	v_cmp_ne_u32_e64 s6, v5, v1
	s_mov_b32 s5, -1
	s_wait_dscnt 0x5
	v_cndmask_b32_e32 v42, s33, v26, vcc_lo
	v_cmp_ne_u32_e32 vcc_lo, v11, v12
	s_wait_dscnt 0x0
	v_cndmask_b32_e64 v60, v17, s33, s6
	v_cndmask_b32_e64 v43, 0, 1, vcc_lo
	v_cmp_eq_u32_e32 vcc_lo, v12, v13
	v_or_b32_e32 v14, v14, v10
	s_delay_alu instid0(VALU_DEP_3) | instskip(SKIP_4) | instid1(VALU_DEP_2)
	v_mov_b64_e32 v[36:37], v[42:43]
	v_cndmask_b32_e32 v40, s33, v27, vcc_lo
	v_cmp_ne_u32_e32 vcc_lo, v12, v13
	v_cndmask_b32_e64 v41, 0, 1, vcc_lo
	v_cmp_eq_u32_e32 vcc_lo, v13, v6
	v_mov_b64_e32 v[34:35], v[40:41]
	v_cndmask_b32_e32 v44, s33, v24, vcc_lo
	v_cmp_ne_u32_e32 vcc_lo, v13, v6
	v_cndmask_b32_e64 v45, 0, 1, vcc_lo
	v_cmp_eq_u32_e32 vcc_lo, v6, v7
	s_delay_alu instid0(VALU_DEP_2) | instskip(SKIP_4) | instid1(VALU_DEP_2)
	v_mov_b64_e32 v[32:33], v[44:45]
	v_cndmask_b32_e32 v46, s33, v25, vcc_lo
	v_cmp_ne_u32_e32 vcc_lo, v6, v7
	v_cndmask_b32_e64 v47, 0, 1, vcc_lo
	v_cmp_eq_u32_e32 vcc_lo, v7, v8
	v_mov_b64_e32 v[30:31], v[46:47]
	v_cndmask_b32_e32 v48, s33, v22, vcc_lo
	v_cmp_ne_u32_e32 vcc_lo, v7, v8
	v_cndmask_b32_e64 v49, 0, 1, vcc_lo
	v_cmp_eq_u32_e32 vcc_lo, v8, v9
	s_delay_alu instid0(VALU_DEP_2) | instskip(SKIP_4) | instid1(VALU_DEP_2)
	;; [unrolled: 11-line block ×3, first 2 shown]
	v_mov_b64_e32 v[24:25], v[52:53]
	v_cndmask_b32_e32 v54, s33, v21, vcc_lo
	v_cmp_ne_u32_e32 vcc_lo, v2, v3
	v_cndmask_b32_e64 v55, 0, 1, vcc_lo
	v_cmp_eq_u32_e32 vcc_lo, v3, v4
	v_mov_b64_e32 v[22:23], v[54:55]
	v_cndmask_b32_e32 v56, s33, v18, vcc_lo
	v_cmp_ne_u32_e32 vcc_lo, v3, v4
	v_cndmask_b32_e64 v57, 0, 1, vcc_lo
	v_cmp_eq_u32_e32 vcc_lo, v4, v5
	s_delay_alu instid0(VALU_DEP_2) | instskip(SKIP_3) | instid1(VALU_DEP_1)
	v_mov_b64_e32 v[20:21], v[56:57]
	v_cndmask_b32_e32 v58, s33, v19, vcc_lo
	v_cmp_ne_u32_e32 vcc_lo, v4, v5
	v_cndmask_b32_e64 v59, 0, 1, vcc_lo
	v_mov_b64_e32 v[18:19], v[58:59]
.LBB1743_76:
	v_mov_b64_e32 v[38:39], 0
	s_and_saveexec_b32 s1, s5
	s_cbranch_execz .LBB1743_78
; %bb.77:
	v_cndmask_b32_e64 v61, 0, 1, s6
	v_mov_b64_e32 v[18:19], v[58:59]
	v_mov_b64_e32 v[20:21], v[56:57]
	;; [unrolled: 1-line block ×11, first 2 shown]
.LBB1743_78:
	s_or_b32 exec_lo, exec_lo, s1
	v_dual_lshrrev_b32 v1, 2, v0 :: v_dual_bitop2_b32 v40, v25, v23 bitop3:0x54
	s_delay_alu instid0(VALU_DEP_3)
	v_or_b32_e32 v17, v21, v19
	s_cmp_lg_u32 s36, 0
	v_cmp_gt_u32_e32 vcc_lo, 32, v0
	s_barrier_signal -1
	s_barrier_wait -1
	s_cbranch_scc0 .LBB1743_116
; %bb.79:
	s_mov_b64 s[14:15], 0x100000000
	v_or3_b32 v3, v40, v27, v29
	v_cmp_gt_u64_e64 s1, s[14:15], v[36:37]
	v_cmp_gt_u64_e64 s4, s[14:15], v[34:35]
	;; [unrolled: 1-line block ×7, first 2 shown]
	v_dual_cndmask_b32 v2, 0, v14, s1 :: v_dual_bitop2_b32 v5, 56, v1 bitop3:0x40
	v_cmp_gt_u64_e64 s9, s[14:15], v[24:25]
	v_cmp_gt_u64_e64 s10, s[14:15], v[22:23]
	;; [unrolled: 1-line block ×3, first 2 shown]
	s_delay_alu instid0(VALU_DEP_4) | instskip(SKIP_3) | instid1(VALU_DEP_4)
	v_add_nc_u32_e32 v2, v2, v36
	v_or3_b32 v3, v3, v31, v33
	v_cmp_gt_u64_e64 s12, s[14:15], v[18:19]
	v_lshl_add_u32 v5, v0, 3, v5
	v_cndmask_b32_e64 v2, 0, v2, s4
	s_delay_alu instid0(VALU_DEP_4) | instskip(NEXT) | instid1(VALU_DEP_2)
	v_or3_b32 v3, v3, v35, v37
	v_add_nc_u32_e32 v2, v2, v34
	s_delay_alu instid0(VALU_DEP_2) | instskip(NEXT) | instid1(VALU_DEP_2)
	v_or3_b32 v3, v39, v17, v3
	v_cndmask_b32_e64 v2, 0, v2, s5
	s_delay_alu instid0(VALU_DEP_2) | instskip(NEXT) | instid1(VALU_DEP_2)
	v_and_b32_e32 v3, 0xff, v3
	v_add_nc_u32_e32 v2, v2, v32
	s_delay_alu instid0(VALU_DEP_1) | instskip(NEXT) | instid1(VALU_DEP_1)
	v_cndmask_b32_e64 v2, 0, v2, s6
	v_add_nc_u32_e32 v2, v2, v30
	s_delay_alu instid0(VALU_DEP_1) | instskip(NEXT) | instid1(VALU_DEP_1)
	v_cndmask_b32_e64 v2, 0, v2, s7
	;; [unrolled: 3-line block ×7, first 2 shown]
	v_dual_add_nc_u32 v4, v2, v18 :: v_dual_mov_b32 v2, 0
	s_delay_alu instid0(VALU_DEP_1) | instskip(NEXT) | instid1(VALU_DEP_2)
	v_cndmask_b32_e64 v4, 0, v4, s13
	v_cmp_eq_u64_e64 s13, 0, v[2:3]
	s_delay_alu instid0(VALU_DEP_1)
	v_dual_add_nc_u32 v12, v4, v38 :: v_dual_cndmask_b32 v13, 1, v15, s13
	ds_store_b32 v5, v12
	ds_store_b8 v5, v13 offset:4
	s_wait_dscnt 0x0
	s_barrier_signal -1
	s_barrier_wait -1
	s_and_saveexec_b32 s14, vcc_lo
	s_cbranch_execz .LBB1743_89
; %bb.80:
	v_dual_lshlrev_b32 v2, 1, v0 :: v_dual_lshlrev_b32 v3, 6, v0
	s_mov_b32 s15, exec_lo
	s_delay_alu instid0(VALU_DEP_1) | instskip(NEXT) | instid1(VALU_DEP_1)
	v_and_b32_e32 v2, 0x1f8, v2
	v_add_nc_u32_e32 v4, v2, v3
	ds_load_u8 v5, v4 offset:12
	ds_load_b64 v[2:3], v4
	ds_load_2addr_b32 v[6:7], v4 offset0:2 offset1:4
	ds_load_u8 v10, v4 offset:20
	ds_load_u8 v11, v4 offset:28
	;; [unrolled: 1-line block ×5, first 2 shown]
	ds_load_b32 v44, v4 offset:56
	s_wait_dscnt 0x8
	v_cmp_eq_u16_e64 s13, 0, v5
	s_wait_dscnt 0x5
	s_delay_alu instid0(VALU_DEP_1)
	v_dual_cndmask_b32 v45, 0, v2, s13 :: v_dual_bitop2_b32 v5, v10, v5 bitop3:0x54
	ds_load_2addr_b32 v[8:9], v4 offset0:6 offset1:8
	v_cmp_eq_u16_e64 s13, 0, v10
	s_wait_dscnt 0x4
	v_bitop3_b16 v5, v5, v41, v11 bitop3:0xfe
	v_add_nc_u32_e32 v6, v45, v6
	s_delay_alu instid0(VALU_DEP_1) | instskip(SKIP_1) | instid1(VALU_DEP_2)
	v_cndmask_b32_e64 v6, 0, v6, s13
	v_cmp_eq_u16_e64 s13, 0, v11
	v_add_nc_u32_e32 v6, v6, v7
	s_delay_alu instid0(VALU_DEP_1)
	v_cndmask_b32_e64 v45, 0, v6, s13
	ds_load_2addr_b32 v[6:7], v4 offset0:10 offset1:12
	v_cmp_eq_u16_e64 s13, 0, v41
	s_wait_dscnt 0x1
	v_add_nc_u32_e32 v8, v45, v8
	ds_load_u8 v45, v4 offset:60
	v_cndmask_b32_e64 v8, 0, v8, s13
	v_cmp_eq_u16_e64 s13, 0, v42
	s_delay_alu instid0(VALU_DEP_2) | instskip(SKIP_1) | instid1(VALU_DEP_2)
	v_add_nc_u32_e32 v8, v8, v9
	v_bitop3_b16 v9, v5, v43, v42 bitop3:0xfe
	v_dual_cndmask_b32 v8, 0, v8, s13 :: v_dual_bitop2_b32 v5, 1, v3 bitop3:0x40
	s_delay_alu instid0(VALU_DEP_2) | instskip(SKIP_1) | instid1(VALU_DEP_2)
	v_cmp_eq_u16_e64 s13, 0, v9
	s_wait_dscnt 0x0
	v_dual_add_nc_u32 v6, v8, v6 :: v_dual_bitop2_b32 v8, 1, v45 bitop3:0x40
	s_delay_alu instid0(VALU_DEP_2) | instskip(SKIP_1) | instid1(VALU_DEP_1)
	v_cndmask_b32_e64 v9, 1, v5, s13
	v_cmp_eq_u16_e64 s13, 0, v43
	v_cndmask_b32_e64 v6, 0, v6, s13
	s_delay_alu instid0(VALU_DEP_4) | instskip(SKIP_1) | instid1(VALU_DEP_2)
	v_cmp_eq_u32_e64 s13, 1, v8
	v_mbcnt_lo_u32_b32 v8, -1, 0
	v_cndmask_b32_e64 v9, v9, 1, s13
	v_cmp_eq_u16_e64 s13, 0, v45
	s_delay_alu instid0(VALU_DEP_2) | instskip(SKIP_2) | instid1(VALU_DEP_1)
	v_and_b32_e32 v10, 0xffff, v9
	v_add_nc_u32_e32 v7, v6, v7
	v_and_b32_e32 v6, 0xffffff00, v3
	v_dual_cndmask_b32 v7, 0, v7, s13 :: v_dual_bitop2_b32 v11, v6, v10 bitop3:0x54
	v_and_b32_e32 v10, 15, v8
	s_delay_alu instid0(VALU_DEP_2) | instskip(NEXT) | instid1(VALU_DEP_3)
	v_mov_b32_dpp v42, v11 row_shr:1 row_mask:0xf bank_mask:0xf
	v_add_nc_u32_e32 v7, v7, v44
	s_delay_alu instid0(VALU_DEP_1) | instskip(NEXT) | instid1(VALU_DEP_4)
	v_mov_b32_dpp v41, v7 row_shr:1 row_mask:0xf bank_mask:0xf
	v_cmpx_ne_u32_e32 0, v10
	s_cbranch_execz .LBB1743_82
; %bb.81:
	v_and_b32_e32 v11, 1, v9
	v_and_b32_e32 v42, 1, v42
	s_delay_alu instid0(VALU_DEP_2) | instskip(NEXT) | instid1(VALU_DEP_1)
	v_cmp_eq_u32_e64 s13, 1, v11
	v_cndmask_b32_e64 v42, v42, 1, s13
	v_cmp_eq_u16_e64 s13, 0, v9
	s_delay_alu instid0(VALU_DEP_2) | instskip(NEXT) | instid1(VALU_DEP_1)
	v_and_b32_e32 v11, 0xffff, v42
	v_dual_cndmask_b32 v9, 0, v41, s13 :: v_dual_bitop2_b32 v11, v6, v11 bitop3:0x54
	s_delay_alu instid0(VALU_DEP_1)
	v_dual_add_nc_u32 v7, v9, v7 :: v_dual_mov_b32 v9, v42
.LBB1743_82:
	s_or_b32 exec_lo, exec_lo, s15
	s_delay_alu instid0(VALU_DEP_1) | instskip(NEXT) | instid1(VALU_DEP_3)
	v_mov_b32_dpp v41, v7 row_shr:2 row_mask:0xf bank_mask:0xf
	v_mov_b32_dpp v42, v11 row_shr:2 row_mask:0xf bank_mask:0xf
	s_mov_b32 s15, exec_lo
	v_cmpx_lt_u32_e32 1, v10
	s_cbranch_execz .LBB1743_84
; %bb.83:
	v_and_b32_e32 v11, 1, v9
	v_and_b32_e32 v42, 1, v42
	s_delay_alu instid0(VALU_DEP_2) | instskip(NEXT) | instid1(VALU_DEP_1)
	v_cmp_eq_u32_e64 s13, 1, v11
	v_cndmask_b32_e64 v42, v42, 1, s13
	v_cmp_eq_u16_e64 s13, 0, v9
	s_delay_alu instid0(VALU_DEP_2) | instskip(NEXT) | instid1(VALU_DEP_1)
	v_and_b32_e32 v11, 0xffff, v42
	v_dual_cndmask_b32 v9, 0, v41, s13 :: v_dual_bitop2_b32 v11, v6, v11 bitop3:0x54
	s_delay_alu instid0(VALU_DEP_1)
	v_dual_add_nc_u32 v7, v9, v7 :: v_dual_mov_b32 v9, v42
.LBB1743_84:
	s_or_b32 exec_lo, exec_lo, s15
	s_delay_alu instid0(VALU_DEP_1) | instskip(NEXT) | instid1(VALU_DEP_3)
	v_mov_b32_dpp v41, v7 row_shr:4 row_mask:0xf bank_mask:0xf
	v_mov_b32_dpp v42, v11 row_shr:4 row_mask:0xf bank_mask:0xf
	s_mov_b32 s15, exec_lo
	v_cmpx_lt_u32_e32 3, v10
	;; [unrolled: 20-line block ×3, first 2 shown]
	s_cbranch_execz .LBB1743_88
; %bb.87:
	v_and_b32_e32 v10, 1, v9
	v_and_b32_e32 v11, 1, v42
	s_delay_alu instid0(VALU_DEP_2) | instskip(NEXT) | instid1(VALU_DEP_1)
	v_cmp_eq_u32_e64 s13, 1, v10
	v_cndmask_b32_e64 v10, v11, 1, s13
	v_cmp_eq_u16_e64 s13, 0, v9
	s_delay_alu instid0(VALU_DEP_2) | instskip(NEXT) | instid1(VALU_DEP_1)
	v_and_b32_e32 v11, 0xffff, v10
	v_dual_cndmask_b32 v9, 0, v41, s13 :: v_dual_bitop2_b32 v11, v6, v11 bitop3:0x54
	s_delay_alu instid0(VALU_DEP_1)
	v_dual_add_nc_u32 v7, v9, v7 :: v_dual_mov_b32 v9, v10
.LBB1743_88:
	s_or_b32 exec_lo, exec_lo, s15
	ds_swizzle_b32 v10, v11 offset:swizzle(BROADCAST,32,15)
	ds_swizzle_b32 v11, v7 offset:swizzle(BROADCAST,32,15)
	v_and_b32_e32 v41, 1, v9
	v_bfe_i32 v43, v8, 4, 1
	v_and_b32_e32 v3, 0xff, v3
	; wave barrier
	s_delay_alu instid0(VALU_DEP_3) | instskip(SKIP_2) | instid1(VALU_DEP_1)
	v_cmp_eq_u32_e64 s13, 1, v41
	s_wait_dscnt 0x1
	v_dual_add_nc_u32 v41, -1, v8 :: v_dual_bitop2_b32 v10, 1, v10 bitop3:0x40
	v_cndmask_b32_e64 v10, v10, 1, s13
	v_and_b32_e32 v42, 16, v8
	v_cmp_eq_u16_e64 s13, 0, v9
	s_wait_dscnt 0x0
	s_delay_alu instid0(VALU_DEP_1) | instskip(NEXT) | instid1(VALU_DEP_3)
	v_cndmask_b32_e64 v11, 0, v11, s13
	v_cmp_eq_u32_e64 s13, 0, v42
	s_delay_alu instid0(VALU_DEP_1) | instskip(SKIP_1) | instid1(VALU_DEP_4)
	v_cndmask_b32_e64 v9, v10, v9, s13
	v_cmp_gt_i32_e64 s13, 0, v41
	v_and_b32_e32 v10, v43, v11
	s_delay_alu instid0(VALU_DEP_3) | instskip(NEXT) | instid1(VALU_DEP_2)
	v_and_b32_e32 v9, 0xffff, v9
	v_dual_cndmask_b32 v8, v41, v8, s13 :: v_dual_add_nc_u32 v7, v10, v7
	v_cmp_eq_u16_e64 s13, 0, v3
	s_delay_alu instid0(VALU_DEP_2)
	v_lshlrev_b32_e32 v8, 2, v8
	ds_bpermute_b32 v7, v8, v7
	s_wait_dscnt 0x0
	v_dual_cndmask_b32 v3, 0, v7, s13 :: v_dual_bitop2_b32 v6, v6, v9 bitop3:0x54
	ds_bpermute_b32 v6, v8, v6
	v_cmp_eq_u32_e64 s13, 1, v5
	v_add_nc_u32_e32 v2, v3, v2
	s_wait_dscnt 0x0
	s_delay_alu instid0(VALU_DEP_1) | instskip(NEXT) | instid1(VALU_DEP_1)
	v_dual_cndmask_b32 v5, v2, v12, s2 :: v_dual_bitop2_b32 v6, 1, v6 bitop3:0x40
	v_cndmask_b32_e64 v3, v6, 1, s13
	s_delay_alu instid0(VALU_DEP_1)
	v_cndmask_b32_e64 v8, v3, v13, s2
	ds_store_b32 v4, v5
	ds_store_b8 v4, v8 offset:4
	; wave barrier
	ds_load_u8 v9, v4 offset:12
	ds_load_2addr_b32 v[2:3], v4 offset0:2 offset1:4
	ds_load_u8 v10, v4 offset:20
	ds_load_u8 v11, v4 offset:28
	;; [unrolled: 1-line block ×5, first 2 shown]
	ds_load_b32 v44, v4 offset:56
	ds_load_u8 v45, v4 offset:60
	ds_load_2addr_b32 v[6:7], v4 offset0:6 offset1:8
	s_wait_dscnt 0x9
	v_cmp_eq_u16_e64 s13, 0, v9
	v_and_b32_e32 v9, 1, v9
	s_delay_alu instid0(VALU_DEP_2) | instskip(SKIP_2) | instid1(VALU_DEP_2)
	v_cndmask_b32_e64 v5, 0, v5, s13
	s_wait_dscnt 0x7
	v_cmp_eq_u16_e64 s13, 0, v10
	v_add_nc_u32_e32 v5, v5, v2
	s_delay_alu instid0(VALU_DEP_1) | instskip(SKIP_2) | instid1(VALU_DEP_2)
	v_cndmask_b32_e64 v2, 0, v5, s13
	s_wait_dscnt 0x6
	v_cmp_eq_u16_e64 s13, 0, v11
	v_add_nc_u32_e32 v46, v2, v3
	ds_load_2addr_b32 v[2:3], v4 offset0:10 offset1:12
	v_cndmask_b32_e64 v47, 0, v46, s13
	s_wait_dscnt 0x6
	v_cmp_eq_u16_e64 s13, 0, v41
	ds_store_2addr_b32 v4, v5, v46 offset0:2 offset1:4
	s_wait_dscnt 0x2
	v_add_nc_u32_e32 v6, v47, v6
	s_delay_alu instid0(VALU_DEP_1) | instskip(SKIP_3) | instid1(VALU_DEP_4)
	v_cndmask_b32_e64 v47, 0, v6, s13
	v_cmp_eq_u32_e64 s13, 1, v9
	v_and_b32_e32 v9, 1, v11
	v_and_b32_e32 v11, 1, v41
	v_dual_add_nc_u32 v7, v47, v7 :: v_dual_bitop2_b32 v10, 1, v10 bitop3:0x40
	s_delay_alu instid0(VALU_DEP_4) | instskip(SKIP_1) | instid1(VALU_DEP_3)
	v_cndmask_b32_e64 v8, v8, 1, s13
	v_and_b32_e32 v47, 1, v45
	v_cmp_eq_u32_e64 s13, 1, v10
	s_delay_alu instid0(VALU_DEP_1) | instskip(SKIP_1) | instid1(VALU_DEP_1)
	v_cndmask_b32_e64 v10, v8, 1, s13
	v_cmp_eq_u16_e64 s13, 0, v42
	v_dual_cndmask_b32 v41, 0, v7, s13 :: v_dual_bitop2_b32 v42, 1, v42 bitop3:0x40
	v_cmp_eq_u32_e64 s13, 1, v9
	s_wait_dscnt 0x1
	s_delay_alu instid0(VALU_DEP_2) | instskip(NEXT) | instid1(VALU_DEP_2)
	v_dual_add_nc_u32 v2, v41, v2 :: v_dual_bitop2_b32 v41, 1, v43 bitop3:0x40
	v_cndmask_b32_e64 v9, v10, 1, s13
	v_cmp_eq_u32_e64 s13, 1, v11
	s_delay_alu instid0(VALU_DEP_1) | instskip(SKIP_1) | instid1(VALU_DEP_1)
	v_cndmask_b32_e64 v11, v9, 1, s13
	v_cmp_eq_u16_e64 s13, 0, v43
	v_cndmask_b32_e64 v43, 0, v2, s13
	v_cmp_eq_u32_e64 s13, 1, v42
	s_delay_alu instid0(VALU_DEP_2) | instskip(NEXT) | instid1(VALU_DEP_2)
	v_add_nc_u32_e32 v3, v43, v3
	v_cndmask_b32_e64 v42, v11, 1, s13
	v_cmp_eq_u32_e64 s13, 1, v41
	ds_store_2addr_b32 v4, v6, v7 offset0:6 offset1:8
	ds_store_2addr_b32 v4, v2, v3 offset0:10 offset1:12
	v_cndmask_b32_e64 v41, v42, 1, s13
	v_cmp_eq_u16_e64 s13, 0, v45
	s_delay_alu instid0(VALU_DEP_1) | instskip(SKIP_1) | instid1(VALU_DEP_2)
	v_cndmask_b32_e64 v5, 0, v3, s13
	v_cmp_eq_u32_e64 s13, 1, v47
	v_add_nc_u32_e32 v2, v5, v44
	s_delay_alu instid0(VALU_DEP_2)
	v_cndmask_b32_e64 v43, v41, 1, s13
	ds_store_b8 v4, v8 offset:12
	ds_store_b8 v4, v10 offset:20
	;; [unrolled: 1-line block ×6, first 2 shown]
	ds_store_b32 v4, v2 offset:56
	ds_store_b8 v4, v43 offset:60
.LBB1743_89:
	s_or_b32 exec_lo, exec_lo, s14
	s_wait_dscnt 0x0
	s_barrier_signal -1
	s_barrier_wait -1
	s_and_saveexec_b32 s13, s3
	s_cbranch_execz .LBB1743_91
; %bb.90:
	v_add_nc_u32_e32 v2, -1, v0
	s_delay_alu instid0(VALU_DEP_1) | instskip(NEXT) | instid1(VALU_DEP_1)
	v_lshrrev_b32_e32 v3, 2, v2
	v_and_b32_e32 v3, 0x3ffffff8, v3
	s_delay_alu instid0(VALU_DEP_1)
	v_lshl_add_u32 v2, v2, 3, v3
	ds_load_b32 v12, v2
	ds_load_u8 v13, v2 offset:4
.LBB1743_91:
	s_or_b32 exec_lo, exec_lo, s13
	s_and_saveexec_b32 s34, vcc_lo
	s_cbranch_execz .LBB1743_161
; %bb.92:
	v_mov_b32_e32 v5, 0
	v_mbcnt_lo_u32_b32 v41, -1, 0
	s_mov_b32 s15, 0
	ds_load_b64 v[2:3], v5 offset:2096
	v_cmp_eq_u32_e64 s13, 0, v41
	s_and_saveexec_b32 s24, s13
	s_cbranch_execz .LBB1743_94
; %bb.93:
	s_add_co_i32 s14, s36, 32
	v_mov_b32_e32 v4, 1
	s_lshl_b64 s[14:15], s[14:15], 4
	s_delay_alu instid0(SALU_CYCLE_1) | instskip(NEXT) | instid1(SALU_CYCLE_1)
	s_add_nc_u64 s[14:15], s[20:21], s[14:15]
	v_mov_b64_e32 v[6:7], s[14:15]
	s_wait_dscnt 0x0
	;;#ASMSTART
	global_store_b128 v[6:7], v[2:5] off scope:SCOPE_DEV	
s_wait_storecnt 0x0
	;;#ASMEND
.LBB1743_94:
	s_or_b32 exec_lo, exec_lo, s24
	v_xad_u32 v8, v41, -1, s36
	s_mov_b32 s14, exec_lo
	s_delay_alu instid0(VALU_DEP_1) | instskip(NEXT) | instid1(VALU_DEP_1)
	v_add_nc_u32_e32 v4, 32, v8
	v_lshl_add_u64 v[10:11], v[4:5], 4, s[20:21]
	;;#ASMSTART
	global_load_b128 v[4:7], v[10:11] off scope:SCOPE_DEV	
s_wait_loadcnt 0x0
	;;#ASMEND
	v_and_b32_e32 v7, 0xff, v6
	v_and_b32_e32 v5, 0xff, v5
	s_delay_alu instid0(VALU_DEP_2)
	v_cmpx_eq_u16_e32 0, v7
	s_cbranch_execz .LBB1743_98
; %bb.95:
	s_mov_b32 s15, 0
.LBB1743_96:                            ; =>This Inner Loop Header: Depth=1
	;;#ASMSTART
	global_load_b128 v[4:7], v[10:11] off scope:SCOPE_DEV	
s_wait_loadcnt 0x0
	;;#ASMEND
	v_and_b32_e32 v7, 0xff, v6
	s_delay_alu instid0(VALU_DEP_1) | instskip(SKIP_1) | instid1(SALU_CYCLE_1)
	v_cmp_ne_u16_e32 vcc_lo, 0, v7
	s_or_b32 s15, vcc_lo, s15
	s_and_not1_b32 exec_lo, exec_lo, s15
	s_cbranch_execnz .LBB1743_96
; %bb.97:
	s_or_b32 exec_lo, exec_lo, s15
	v_and_b32_e32 v5, 0xff, v5
.LBB1743_98:
	s_or_b32 exec_lo, exec_lo, s14
	v_cmp_ne_u32_e32 vcc_lo, 31, v41
	v_and_b32_e32 v9, 0xff, v6
	v_lshlrev_b32_e64 v43, v41, -1
	s_mov_b64 s[24:25], 0x100000000
	v_lshl_or_b32 v52, v41, 2, 64
	v_add_co_ci_u32_e64 v7, null, 0, v41, vcc_lo
	v_cmp_eq_u16_e32 vcc_lo, 2, v9
	v_cmp_gt_u64_e64 s14, s[24:25], v[4:5]
	s_delay_alu instid0(VALU_DEP_3) | instskip(SKIP_1) | instid1(VALU_DEP_2)
	v_dual_lshlrev_b32 v42, 2, v7 :: v_dual_bitop2_b32 v10, 1, v5 bitop3:0x40
	v_and_or_b32 v9, vcc_lo, v43, 0x80000000
	v_cmp_eq_u32_e32 vcc_lo, 1, v10
	ds_bpermute_b32 v7, v42, v5
	ds_bpermute_b32 v10, v42, v4
	v_ctz_i32_b32_e32 v9, v9
	s_wait_dscnt 0x1
	v_and_b32_e32 v7, 1, v7
	s_delay_alu instid0(VALU_DEP_1) | instskip(SKIP_1) | instid1(VALU_DEP_2)
	v_cndmask_b32_e64 v7, v7, 1, vcc_lo
	v_cmp_gt_u32_e32 vcc_lo, 30, v41
	v_and_b32_e32 v45, 0xffff, v7
	v_cndmask_b32_e64 v11, 0, 2, vcc_lo
	v_cmp_lt_u32_e32 vcc_lo, v41, v9
	s_delay_alu instid0(VALU_DEP_2) | instskip(NEXT) | instid1(VALU_DEP_4)
	v_add_lshl_u32 v44, v11, v41, 2
	v_dual_cndmask_b32 v11, v5, v45, vcc_lo :: v_dual_cndmask_b32 v7, v5, v7, vcc_lo
	s_and_b32 vcc_lo, vcc_lo, s14
	s_wait_dscnt 0x0
	v_cndmask_b32_e32 v10, 0, v10, vcc_lo
	ds_bpermute_b32 v5, v44, v11
	v_and_b32_e32 v46, 1, v7
	v_and_b32_e32 v48, 0xff, v7
	v_add_nc_u32_e32 v4, v10, v4
	s_delay_alu instid0(VALU_DEP_3) | instskip(NEXT) | instid1(VALU_DEP_3)
	v_cmp_eq_u32_e32 vcc_lo, 1, v46
	v_cmp_eq_u16_e64 s14, 0, v48
	ds_bpermute_b32 v10, v44, v4
	s_wait_dscnt 0x1
	v_and_b32_e32 v5, 1, v5
	s_delay_alu instid0(VALU_DEP_1) | instskip(SKIP_2) | instid1(VALU_DEP_3)
	v_cndmask_b32_e64 v5, v5, 1, vcc_lo
	v_add_nc_u32_e32 v45, 2, v41
	v_cmp_gt_u32_e32 vcc_lo, 28, v41
	v_and_b32_e32 v47, 0xffff, v5
	v_cndmask_b32_e64 v46, 0, 4, vcc_lo
	s_delay_alu instid0(VALU_DEP_4) | instskip(NEXT) | instid1(VALU_DEP_2)
	v_cmp_gt_u32_e32 vcc_lo, v45, v9
	v_add_lshl_u32 v46, v46, v41, 2
	v_cndmask_b32_e32 v5, v5, v7, vcc_lo
	s_wait_dscnt 0x0
	v_dual_cndmask_b32 v7, v47, v11, vcc_lo :: v_dual_cndmask_b32 v10, 0, v10, s14
	s_delay_alu instid0(VALU_DEP_2) | instskip(SKIP_4) | instid1(VALU_DEP_3)
	v_and_b32_e32 v48, 1, v5
	ds_bpermute_b32 v11, v46, v7
	v_cndmask_b32_e64 v10, v10, 0, vcc_lo
	v_cmp_eq_u32_e32 vcc_lo, 1, v48
	v_and_b32_e32 v48, 0xff, v5
	v_add_nc_u32_e32 v4, v10, v4
	s_delay_alu instid0(VALU_DEP_2)
	v_cmp_eq_u16_e64 s14, 0, v48
	s_wait_dscnt 0x0
	v_and_b32_e32 v11, 1, v11
	ds_bpermute_b32 v10, v46, v4
	v_add_nc_u32_e32 v47, 4, v41
	v_cndmask_b32_e64 v11, v11, 1, vcc_lo
	v_cmp_gt_u32_e32 vcc_lo, 24, v41
	s_delay_alu instid0(VALU_DEP_2) | instskip(SKIP_1) | instid1(VALU_DEP_1)
	v_and_b32_e32 v50, 0xffff, v11
	v_cndmask_b32_e64 v49, 0, 8, vcc_lo
	v_add_lshl_u32 v48, v49, v41, 2
	s_wait_dscnt 0x0
	v_dual_add_nc_u32 v49, 8, v41 :: v_dual_cndmask_b32 v10, 0, v10, s14
	v_cmp_gt_u32_e32 vcc_lo, v47, v9
	v_dual_cndmask_b32 v5, v11, v5, vcc_lo :: v_dual_cndmask_b32 v7, v50, v7, vcc_lo
	s_delay_alu instid0(VALU_DEP_3) | instskip(NEXT) | instid1(VALU_DEP_2)
	v_cndmask_b32_e64 v10, v10, 0, vcc_lo
	v_and_b32_e32 v50, 1, v5
	ds_bpermute_b32 v11, v48, v7
	v_add_nc_u32_e32 v4, v10, v4
	v_and_b32_e32 v51, 0xff, v5
	v_cmp_eq_u32_e32 vcc_lo, 1, v50
	ds_bpermute_b32 v10, v48, v4
	s_wait_dscnt 0x1
	v_and_b32_e32 v11, 1, v11
	s_delay_alu instid0(VALU_DEP_1) | instskip(SKIP_1) | instid1(VALU_DEP_2)
	v_cndmask_b32_e64 v11, v11, 1, vcc_lo
	v_cmp_eq_u16_e32 vcc_lo, 0, v51
	v_and_b32_e32 v50, 0xffff, v11
	s_wait_dscnt 0x0
	v_cndmask_b32_e32 v10, 0, v10, vcc_lo
	v_cmp_gt_u32_e32 vcc_lo, v49, v9
	s_delay_alu instid0(VALU_DEP_3) | instskip(NEXT) | instid1(VALU_DEP_3)
	v_dual_cndmask_b32 v5, v11, v5, vcc_lo :: v_dual_cndmask_b32 v7, v50, v7, vcc_lo
	v_cndmask_b32_e64 v10, v10, 0, vcc_lo
	s_delay_alu instid0(VALU_DEP_2) | instskip(SKIP_3) | instid1(VALU_DEP_1)
	v_and_b32_e32 v50, 1, v5
	ds_bpermute_b32 v7, v52, v7
	v_add_nc_u32_e32 v4, v10, v4
	v_and_b32_e32 v11, 0xff, v5
	v_cmp_eq_u16_e32 vcc_lo, 0, v11
	s_wait_dscnt 0x0
	v_and_b32_e32 v7, 1, v7
	ds_bpermute_b32 v10, v52, v4
	s_wait_dscnt 0x0
	v_dual_cndmask_b32 v10, 0, v10 :: v_dual_add_nc_u32 v53, 16, v41
	v_cmp_eq_u32_e32 vcc_lo, 1, v50
	v_cndmask_b32_e64 v7, v7, 1, vcc_lo
	s_delay_alu instid0(VALU_DEP_3) | instskip(NEXT) | instid1(VALU_DEP_2)
	v_cmp_gt_u32_e32 vcc_lo, v53, v9
	v_dual_mov_b32 v9, 0 :: v_dual_cndmask_b32 v5, v7, v5, vcc_lo
	v_cndmask_b32_e64 v7, v10, 0, vcc_lo
	s_delay_alu instid0(VALU_DEP_1)
	v_add_nc_u32_e32 v4, v7, v4
	s_branch .LBB1743_102
.LBB1743_99:                            ;   in Loop: Header=BB1743_102 Depth=1
	s_or_b32 exec_lo, exec_lo, s15
	v_and_b32_e32 v5, 0xff, v5
.LBB1743_100:                           ;   in Loop: Header=BB1743_102 Depth=1
	s_or_b32 exec_lo, exec_lo, s14
	ds_bpermute_b32 v7, v42, v5
	v_and_b32_e32 v10, 0xff, v6
	v_cmp_gt_u64_e64 s14, s[24:25], v[4:5]
	v_subrev_nc_u32_e32 v8, 32, v8
	s_delay_alu instid0(VALU_DEP_3) | instskip(SKIP_2) | instid1(VALU_DEP_2)
	v_cmp_eq_u16_e32 vcc_lo, 2, v10
	v_and_b32_e32 v10, 1, v5
	v_and_or_b32 v11, vcc_lo, v43, 0x80000000
	v_cmp_eq_u32_e32 vcc_lo, 1, v10
	s_delay_alu instid0(VALU_DEP_2) | instskip(SKIP_3) | instid1(VALU_DEP_1)
	v_ctz_i32_b32_e32 v10, v11
	ds_bpermute_b32 v11, v42, v4
	s_wait_dscnt 0x1
	v_and_b32_e32 v7, 1, v7
	v_cndmask_b32_e64 v7, v7, 1, vcc_lo
	v_cmp_lt_u32_e32 vcc_lo, v41, v10
	s_delay_alu instid0(VALU_DEP_2) | instskip(NEXT) | instid1(VALU_DEP_1)
	v_and_b32_e32 v54, 0xffff, v7
	v_dual_cndmask_b32 v7, v5, v7 :: v_dual_cndmask_b32 v54, v5, v54
	s_and_b32 vcc_lo, vcc_lo, s14
	s_delay_alu instid0(VALU_DEP_1)
	v_and_b32_e32 v56, 0xff, v7
	v_and_b32_e32 v55, 1, v7
	ds_bpermute_b32 v5, v44, v54
	s_wait_dscnt 0x1
	v_cndmask_b32_e32 v11, 0, v11, vcc_lo
	v_cmp_eq_u16_e64 s14, 0, v56
	v_cmp_eq_u32_e32 vcc_lo, 1, v55
	s_wait_dscnt 0x0
	s_delay_alu instid0(VALU_DEP_3) | instskip(NEXT) | instid1(VALU_DEP_1)
	v_dual_add_nc_u32 v4, v11, v4 :: v_dual_bitop2_b32 v5, 1, v5 bitop3:0x40
	v_cndmask_b32_e64 v5, v5, 1, vcc_lo
	ds_bpermute_b32 v11, v44, v4
	v_cmp_gt_u32_e32 vcc_lo, v45, v10
	v_and_b32_e32 v55, 0xffff, v5
	s_delay_alu instid0(VALU_DEP_1) | instskip(NEXT) | instid1(VALU_DEP_1)
	v_dual_cndmask_b32 v5, v5, v7, vcc_lo :: v_dual_cndmask_b32 v7, v55, v54, vcc_lo
	v_and_b32_e32 v55, 1, v5
	ds_bpermute_b32 v54, v46, v7
	s_wait_dscnt 0x1
	v_cndmask_b32_e64 v11, 0, v11, s14
	s_delay_alu instid0(VALU_DEP_1) | instskip(SKIP_2) | instid1(VALU_DEP_3)
	v_cndmask_b32_e64 v11, v11, 0, vcc_lo
	v_cmp_eq_u32_e32 vcc_lo, 1, v55
	v_and_b32_e32 v55, 0xff, v5
	v_add_nc_u32_e32 v4, v11, v4
	s_delay_alu instid0(VALU_DEP_2)
	v_cmp_eq_u16_e64 s14, 0, v55
	s_wait_dscnt 0x0
	v_and_b32_e32 v54, 1, v54
	ds_bpermute_b32 v11, v46, v4
	v_cndmask_b32_e64 v54, v54, 1, vcc_lo
	v_cmp_gt_u32_e32 vcc_lo, v47, v10
	s_delay_alu instid0(VALU_DEP_2) | instskip(SKIP_3) | instid1(VALU_DEP_1)
	v_and_b32_e32 v56, 0xffff, v54
	s_wait_dscnt 0x0
	v_dual_cndmask_b32 v5, v54, v5, vcc_lo :: v_dual_cndmask_b32 v11, 0, v11, s14
	s_mov_b32 s14, 0
	v_cndmask_b32_e64 v11, v11, 0, vcc_lo
	v_cndmask_b32_e32 v7, v56, v7, vcc_lo
	s_delay_alu instid0(VALU_DEP_3) | instskip(NEXT) | instid1(VALU_DEP_3)
	v_and_b32_e32 v56, 0xff, v5
	v_add_nc_u32_e32 v4, v11, v4
	ds_bpermute_b32 v54, v48, v7
	ds_bpermute_b32 v11, v48, v4
	v_and_b32_e32 v55, 1, v5
	s_delay_alu instid0(VALU_DEP_1) | instskip(SKIP_2) | instid1(VALU_DEP_1)
	v_cmp_eq_u32_e32 vcc_lo, 1, v55
	s_wait_dscnt 0x1
	v_and_b32_e32 v54, 1, v54
	v_cndmask_b32_e64 v54, v54, 1, vcc_lo
	v_cmp_eq_u16_e32 vcc_lo, 0, v56
	s_delay_alu instid0(VALU_DEP_2) | instskip(SKIP_3) | instid1(VALU_DEP_2)
	v_and_b32_e32 v55, 0xffff, v54
	s_wait_dscnt 0x0
	v_cndmask_b32_e32 v11, 0, v11, vcc_lo
	v_cmp_gt_u32_e32 vcc_lo, v49, v10
	v_cndmask_b32_e64 v11, v11, 0, vcc_lo
	v_dual_cndmask_b32 v7, v55, v7, vcc_lo :: v_dual_cndmask_b32 v5, v54, v5, vcc_lo
	s_delay_alu instid0(VALU_DEP_2) | instskip(SKIP_4) | instid1(VALU_DEP_1)
	v_add_nc_u32_e32 v4, v11, v4
	ds_bpermute_b32 v7, v52, v7
	v_and_b32_e32 v55, 0xff, v5
	ds_bpermute_b32 v11, v52, v4
	v_and_b32_e32 v54, 1, v5
	v_cmp_eq_u32_e32 vcc_lo, 1, v54
	s_wait_dscnt 0x1
	v_cndmask_b32_e64 v7, v7, 1, vcc_lo
	v_cmp_eq_u16_e32 vcc_lo, 0, v55
	s_wait_dscnt 0x0
	v_cndmask_b32_e32 v11, 0, v11, vcc_lo
	v_cmp_gt_u32_e32 vcc_lo, v53, v10
	v_and_b32_e32 v10, 0xff, v50
	v_cndmask_b32_e32 v5, v7, v5, vcc_lo
	s_delay_alu instid0(VALU_DEP_4) | instskip(NEXT) | instid1(VALU_DEP_3)
	v_cndmask_b32_e64 v7, v11, 0, vcc_lo
	v_cmp_eq_u16_e32 vcc_lo, 0, v10
	s_delay_alu instid0(VALU_DEP_2) | instskip(NEXT) | instid1(VALU_DEP_1)
	v_dual_add_nc_u32 v4, v7, v4 :: v_dual_bitop2_b32 v7, 1, v50 bitop3:0x40
	v_dual_cndmask_b32 v4, 0, v4, vcc_lo :: v_dual_bitop2_b32 v5, 1, v5 bitop3:0x40
	s_delay_alu instid0(VALU_DEP_2) | instskip(NEXT) | instid1(VALU_DEP_2)
	v_cmp_eq_u32_e32 vcc_lo, 1, v7
	v_add_nc_u32_e32 v4, v4, v51
	s_delay_alu instid0(VALU_DEP_3)
	v_cndmask_b32_e64 v5, v5, 1, vcc_lo
.LBB1743_101:                           ;   in Loop: Header=BB1743_102 Depth=1
	s_and_b32 vcc_lo, exec_lo, s14
	s_cbranch_vccnz .LBB1743_157
.LBB1743_102:                           ; =>This Loop Header: Depth=1
                                        ;     Child Loop BB1743_105 Depth 2
	v_and_b32_e32 v6, 0xff, v6
	s_delay_alu instid0(VALU_DEP_2) | instskip(SKIP_1) | instid1(VALU_DEP_2)
	v_dual_mov_b32 v50, v5 :: v_dual_mov_b32 v51, v4
	s_mov_b32 s14, -1
                                        ; implicit-def: $vgpr5
                                        ; implicit-def: $vgpr4
	v_cmp_ne_u16_e32 vcc_lo, 2, v6
                                        ; implicit-def: $vgpr6
	s_cmp_lg_u32 vcc_lo, exec_lo
	s_cbranch_scc1 .LBB1743_101
; %bb.103:                              ;   in Loop: Header=BB1743_102 Depth=1
	v_lshl_add_u64 v[10:11], v[8:9], 4, s[20:21]
	;;#ASMSTART
	global_load_b128 v[4:7], v[10:11] off scope:SCOPE_DEV	
s_wait_loadcnt 0x0
	;;#ASMEND
	v_and_b32_e32 v7, 0xff, v6
	v_and_b32_e32 v5, 0xff, v5
	s_mov_b32 s14, exec_lo
	s_delay_alu instid0(VALU_DEP_2)
	v_cmpx_eq_u16_e32 0, v7
	s_cbranch_execz .LBB1743_100
; %bb.104:                              ;   in Loop: Header=BB1743_102 Depth=1
	s_mov_b32 s15, 0
.LBB1743_105:                           ;   Parent Loop BB1743_102 Depth=1
                                        ; =>  This Inner Loop Header: Depth=2
	;;#ASMSTART
	global_load_b128 v[4:7], v[10:11] off scope:SCOPE_DEV	
s_wait_loadcnt 0x0
	;;#ASMEND
	v_and_b32_e32 v7, 0xff, v6
	s_delay_alu instid0(VALU_DEP_1) | instskip(SKIP_1) | instid1(SALU_CYCLE_1)
	v_cmp_ne_u16_e32 vcc_lo, 0, v7
	s_or_b32 s15, vcc_lo, s15
	s_and_not1_b32 exec_lo, exec_lo, s15
	s_cbranch_execnz .LBB1743_105
	s_branch .LBB1743_99
.LBB1743_106:
	s_or_b32 exec_lo, exec_lo, s14
                                        ; implicit-def: $vgpr16
	s_and_saveexec_b32 s14, s1
	s_cbranch_execz .LBB1743_33
.LBB1743_107:
	flat_load_b32 v16, v0, s[24:25] offset:1024 scale_offset
	s_wait_xcnt 0x0
	s_or_b32 exec_lo, exec_lo, s14
                                        ; implicit-def: $vgpr17
	s_and_saveexec_b32 s1, s4
	s_cbranch_execnz .LBB1743_34
.LBB1743_108:
	s_or_b32 exec_lo, exec_lo, s1
                                        ; implicit-def: $vgpr18
	s_and_saveexec_b32 s1, s5
	s_cbranch_execz .LBB1743_35
.LBB1743_109:
	flat_load_b32 v18, v0, s[24:25] offset:3072 scale_offset
	s_wait_xcnt 0x0
	s_or_b32 exec_lo, exec_lo, s1
                                        ; implicit-def: $vgpr19
	s_and_saveexec_b32 s1, s6
	s_cbranch_execnz .LBB1743_36
.LBB1743_110:
	s_or_b32 exec_lo, exec_lo, s1
                                        ; implicit-def: $vgpr20
	s_and_saveexec_b32 s1, s7
	s_cbranch_execz .LBB1743_37
.LBB1743_111:
	flat_load_b32 v20, v0, s[24:25] offset:5120 scale_offset
	s_wait_xcnt 0x0
	s_or_b32 exec_lo, exec_lo, s1
                                        ; implicit-def: $vgpr21
	s_and_saveexec_b32 s1, s8
	s_cbranch_execnz .LBB1743_38
.LBB1743_112:
	s_or_b32 exec_lo, exec_lo, s1
                                        ; implicit-def: $vgpr22
	s_and_saveexec_b32 s1, s9
	s_cbranch_execz .LBB1743_39
.LBB1743_113:
	flat_load_b32 v22, v0, s[24:25] offset:7168 scale_offset
	s_wait_xcnt 0x0
	s_or_b32 exec_lo, exec_lo, s1
                                        ; implicit-def: $vgpr23
	s_and_saveexec_b32 s1, s10
	s_cbranch_execnz .LBB1743_40
.LBB1743_114:
	s_or_b32 exec_lo, exec_lo, s1
                                        ; implicit-def: $vgpr24
	s_and_saveexec_b32 s1, s11
	s_cbranch_execz .LBB1743_41
.LBB1743_115:
	flat_load_b32 v24, v0, s[24:25] offset:9216 scale_offset
	s_wait_xcnt 0x0
	s_or_b32 exec_lo, exec_lo, s1
                                        ; implicit-def: $vgpr25
	s_and_saveexec_b32 s1, s12
	s_cbranch_execz .LBB1743_43
	s_branch .LBB1743_42
.LBB1743_116:
                                        ; implicit-def: $vgpr13
                                        ; implicit-def: $vgpr9
                                        ; implicit-def: $vgpr5
	s_cbranch_execnz .LBB1743_162
.LBB1743_117:
	s_add_nc_u64 s[2:3], s[18:19], s[28:29]
	s_and_b32 vcc_lo, exec_lo, s0
	s_add_nc_u64 s[0:1], s[2:3], s[16:17]
	s_cbranch_vccz .LBB1743_179
.LBB1743_118:
	v_mul_u32_u24_e32 v1, 12, v0
	s_add_co_i32 s23, s23, s22
	s_mov_b32 s2, exec_lo
	s_delay_alu instid0(VALU_DEP_1)
	v_cmpx_gt_u32_e64 s23, v1
	s_cbranch_execz .LBB1743_134
; %bb.119:
	v_or_b32_e32 v14, 1, v1
	s_mov_b32 s3, exec_lo
	s_delay_alu instid0(VALU_DEP_1)
	v_cmpx_gt_u32_e64 s23, v14
	s_cbranch_execz .LBB1743_133
; %bb.120:
	v_or_b32_e32 v14, 2, v1
	;; [unrolled: 6-line block ×3, first 2 shown]
	s_mov_b32 s5, exec_lo
	s_delay_alu instid0(VALU_DEP_1)
	v_cmpx_gt_u32_e64 s23, v14
	s_cbranch_execz .LBB1743_131
; %bb.122:
	v_add_nc_u32_e32 v14, 4, v1
	s_mov_b32 s6, exec_lo
	s_delay_alu instid0(VALU_DEP_1)
	v_cmpx_gt_u32_e64 s23, v14
	s_cbranch_execz .LBB1743_130
; %bb.123:
	v_add_nc_u32_e32 v14, 5, v1
	;; [unrolled: 6-line block ×4, first 2 shown]
	s_mov_b32 s9, exec_lo
	s_delay_alu instid0(VALU_DEP_1)
	v_cmpx_gt_u32_e64 s23, v14
; %bb.126:
	v_add_nc_u32_e32 v14, 8, v1
	s_mov_b32 s10, exec_lo
	s_delay_alu instid0(VALU_DEP_1)
	v_cmpx_gt_u32_e64 s23, v14
	s_or_b32 exec_lo, exec_lo, s10
; %bb.127:
	s_delay_alu instid0(SALU_CYCLE_1)
	s_or_b32 exec_lo, exec_lo, s9
.LBB1743_128:
	s_delay_alu instid0(SALU_CYCLE_1)
	s_or_b32 exec_lo, exec_lo, s8
.LBB1743_129:
	s_delay_alu instid0(SALU_CYCLE_1)
	s_or_b32 exec_lo, exec_lo, s7
.LBB1743_130:
	s_delay_alu instid0(SALU_CYCLE_1)
	s_or_b32 exec_lo, exec_lo, s6
.LBB1743_131:
	s_delay_alu instid0(SALU_CYCLE_1)
	s_or_b32 exec_lo, exec_lo, s5
.LBB1743_132:
	s_delay_alu instid0(SALU_CYCLE_1)
	s_or_b32 exec_lo, exec_lo, s4
.LBB1743_133:
	s_delay_alu instid0(SALU_CYCLE_1)
	s_or_b32 exec_lo, exec_lo, s3
.LBB1743_134:
	s_delay_alu instid0(SALU_CYCLE_1) | instskip(SKIP_3) | instid1(VALU_DEP_1)
	s_or_b32 exec_lo, exec_lo, s2
	v_dual_lshlrev_b32 v1, 2, v1 :: v_dual_mov_b32 v17, 0
	s_barrier_signal -1
	s_barrier_wait -1
	v_mad_i32_i24 v14, 0xffffffd4, v0, v1
	ds_store_b128 v1, v[2:5]
	ds_store_b128 v1, v[6:9] offset:16
	ds_store_b128 v1, v[10:13] offset:32
	s_wait_dscnt 0x0
	s_barrier_signal -1
	s_barrier_wait -1
	ds_load_2addr_stride64_b32 v[26:27], v14 offset0:4 offset1:8
	ds_load_2addr_stride64_b32 v[24:25], v14 offset0:12 offset1:16
	;; [unrolled: 1-line block ×5, first 2 shown]
	ds_load_b32 v15, v14 offset:11264
	v_add_nc_u64_e32 v[16:17], s[0:1], v[16:17]
	s_mov_b32 s2, exec_lo
	v_cmpx_gt_u32_e64 s23, v0
	s_cbranch_execz .LBB1743_136
; %bb.135:
	v_mul_i32_i24_e32 v14, 0xffffffd4, v0
	s_delay_alu instid0(VALU_DEP_1)
	v_add_nc_u32_e32 v1, v1, v14
	ds_load_b32 v1, v1
	s_wait_dscnt 0x0
	v_cvt_f32_i32_e32 v1, v1
	flat_store_b32 v[16:17], v1
.LBB1743_136:
	s_wait_xcnt 0x0
	s_or_b32 exec_lo, exec_lo, s2
	v_or_b32_e32 v1, 0x100, v0
	s_mov_b32 s2, exec_lo
	s_delay_alu instid0(VALU_DEP_1)
	v_cmpx_gt_u32_e64 s23, v1
	s_cbranch_execz .LBB1743_138
; %bb.137:
	s_wait_dscnt 0x5
	v_cvt_f32_i32_e32 v1, v26
	flat_store_b32 v[16:17], v1 offset:1024
.LBB1743_138:
	s_wait_xcnt 0x0
	s_or_b32 exec_lo, exec_lo, s2
	v_or_b32_e32 v1, 0x200, v0
	s_mov_b32 s2, exec_lo
	s_delay_alu instid0(VALU_DEP_1)
	v_cmpx_gt_u32_e64 s23, v1
	s_cbranch_execz .LBB1743_140
; %bb.139:
	s_wait_dscnt 0x5
	v_cvt_f32_i32_e32 v1, v27
	flat_store_b32 v[16:17], v1 offset:2048
.LBB1743_140:
	;; [unrolled: 12-line block ×10, first 2 shown]
	s_wait_xcnt 0x0
	s_or_b32 exec_lo, exec_lo, s2
	v_or_b32_e32 v1, 0xb00, v0
	s_delay_alu instid0(VALU_DEP_1)
	v_cmp_gt_u32_e64 s2, s23, v1
	s_branch .LBB1743_181
.LBB1743_157:
	s_and_saveexec_b32 s14, s13
	s_cbranch_execz .LBB1743_159
; %bb.158:
	v_and_b32_e32 v4, 0xff, v3
	s_mov_b32 s25, 0
	s_add_co_i32 s24, s36, 32
	v_and_b32_e32 v5, 1, v50
	s_lshl_b64 s[24:25], s[24:25], 4
	v_cmp_eq_u32_e32 vcc_lo, 0, v4
	s_add_nc_u64 s[24:25], s[20:21], s[24:25]
	s_delay_alu instid0(SALU_CYCLE_1) | instskip(SKIP_1) | instid1(VALU_DEP_1)
	v_mov_b64_e32 v[6:7], s[24:25]
	v_cndmask_b32_e32 v4, 0, v51, vcc_lo
	v_dual_add_nc_u32 v2, v4, v2 :: v_dual_bitop2_b32 v3, 1, v3 bitop3:0x40
	s_delay_alu instid0(VALU_DEP_1)
	v_cmp_eq_u32_e32 vcc_lo, 1, v3
	v_mov_b32_e32 v4, 2
	v_cndmask_b32_e64 v3, v5, 1, vcc_lo
	v_mov_b32_e32 v5, 0
	;;#ASMSTART
	global_store_b128 v[6:7], v[2:5] off scope:SCOPE_DEV	
s_wait_storecnt 0x0
	;;#ASMEND
.LBB1743_159:
	s_or_b32 exec_lo, exec_lo, s14
	s_delay_alu instid0(SALU_CYCLE_1)
	s_and_b32 exec_lo, exec_lo, s2
	s_cbranch_execz .LBB1743_161
; %bb.160:
	v_mov_b32_e32 v2, 0
	ds_store_b32 v2, v51
	ds_store_b8 v2, v50 offset:4
.LBB1743_161:
	s_or_b32 exec_lo, exec_lo, s34
	s_wait_dscnt 0x0
	v_and_b32_e32 v3, 0xff, v13
	s_barrier_signal -1
	s_barrier_wait -1
	s_delay_alu instid0(VALU_DEP_1)
	v_cmp_eq_u16_e32 vcc_lo, 0, v3
	v_mov_b32_e32 v4, 0
	v_and_b32_e32 v5, 0xff, v15
	ds_load_b32 v2, v4
	s_wait_dscnt 0x0
	v_cndmask_b32_e32 v3, 0, v2, vcc_lo
	v_cmp_eq_u64_e32 vcc_lo, 0, v[4:5]
	s_delay_alu instid0(VALU_DEP_2) | instskip(NEXT) | instid1(VALU_DEP_1)
	v_add_nc_u32_e32 v3, v3, v12
	v_cndmask_b32_e64 v2, v3, v2, s2
	s_delay_alu instid0(VALU_DEP_1) | instskip(NEXT) | instid1(VALU_DEP_1)
	v_cndmask_b32_e32 v3, 0, v2, vcc_lo
	v_add_nc_u32_e32 v3, v3, v14
	s_delay_alu instid0(VALU_DEP_1) | instskip(NEXT) | instid1(VALU_DEP_1)
	v_cndmask_b32_e64 v4, 0, v3, s1
	v_add_nc_u32_e32 v4, v4, v36
	s_delay_alu instid0(VALU_DEP_1) | instskip(NEXT) | instid1(VALU_DEP_1)
	v_cndmask_b32_e64 v5, 0, v4, s4
	;; [unrolled: 3-line block ×10, first 2 shown]
	v_add_nc_u32_e32 v13, v13, v18
	s_branch .LBB1743_117
.LBB1743_162:
	s_cmp_eq_u64 s[30:31], 0
	v_mov_b32_e32 v41, s33
	s_cselect_b32 s1, -1, 0
	s_cmp_eq_u64 s[26:27], 0
	s_cselect_b32 s4, -1, 0
	s_delay_alu instid0(SALU_CYCLE_1) | instskip(NEXT) | instid1(SALU_CYCLE_1)
	s_or_b32 s1, s1, s4
	s_and_b32 vcc_lo, exec_lo, s1
	s_cbranch_vccnz .LBB1743_164
; %bb.163:
	v_mov_b32_e32 v2, 0
	global_load_b32 v41, v2, s[26:27]
.LBB1743_164:
	s_mov_b64 s[12:13], 0x100000000
	v_or3_b32 v3, v40, v27, v29
	v_cmp_gt_u64_e32 vcc_lo, s[12:13], v[36:37]
	v_cmp_gt_u64_e64 s1, s[12:13], v[34:35]
	v_cmp_gt_u64_e64 s4, s[12:13], v[32:33]
	;; [unrolled: 1-line block ×6, first 2 shown]
	s_wait_xcnt 0x0
	v_dual_cndmask_b32 v2, 0, v14, vcc_lo :: v_dual_bitop2_b32 v1, 56, v1 bitop3:0x40
	v_cmp_gt_u64_e64 s9, s[12:13], v[22:23]
	v_cmp_gt_u64_e64 s10, s[12:13], v[20:21]
	;; [unrolled: 1-line block ×3, first 2 shown]
	s_delay_alu instid0(VALU_DEP_4)
	v_add_nc_u32_e32 v2, v2, v36
	v_cmp_gt_u64_e64 s12, s[12:13], v[38:39]
	v_or3_b32 v3, v3, v31, v33
	v_lshl_add_u32 v1, v0, 3, v1
	s_mov_b32 s13, exec_lo
	v_cndmask_b32_e64 v2, 0, v2, s1
	s_delay_alu instid0(VALU_DEP_3) | instskip(NEXT) | instid1(VALU_DEP_2)
	v_or3_b32 v3, v3, v35, v37
	v_add_nc_u32_e32 v2, v2, v34
	s_delay_alu instid0(VALU_DEP_2) | instskip(NEXT) | instid1(VALU_DEP_2)
	v_or3_b32 v3, v39, v17, v3
	v_cndmask_b32_e64 v2, 0, v2, s4
	s_delay_alu instid0(VALU_DEP_2) | instskip(NEXT) | instid1(VALU_DEP_2)
	v_and_b32_e32 v3, 0xff, v3
	v_add_nc_u32_e32 v2, v2, v32
	s_delay_alu instid0(VALU_DEP_1) | instskip(NEXT) | instid1(VALU_DEP_1)
	v_cndmask_b32_e64 v2, 0, v2, s5
	v_add_nc_u32_e32 v2, v2, v30
	s_delay_alu instid0(VALU_DEP_1) | instskip(NEXT) | instid1(VALU_DEP_1)
	v_cndmask_b32_e64 v2, 0, v2, s6
	;; [unrolled: 3-line block ×7, first 2 shown]
	v_dual_add_nc_u32 v4, v2, v18 :: v_dual_mov_b32 v2, 0
	s_delay_alu instid0(VALU_DEP_1) | instskip(NEXT) | instid1(VALU_DEP_2)
	v_cndmask_b32_e64 v4, 0, v4, s12
	v_cmp_eq_u64_e64 s12, 0, v[2:3]
	s_delay_alu instid0(VALU_DEP_1)
	v_dual_add_nc_u32 v4, v4, v38 :: v_dual_cndmask_b32 v5, 1, v15, s12
	ds_store_b32 v1, v4
	ds_store_b8 v1, v5 offset:4
	s_wait_loadcnt_dscnt 0x0
	s_barrier_signal -1
	s_barrier_wait -1
	v_cmpx_gt_u32_e32 32, v0
	s_cbranch_execz .LBB1743_174
; %bb.165:
	v_dual_lshlrev_b32 v1, 1, v0 :: v_dual_lshlrev_b32 v2, 6, v0
	s_mov_b32 s14, exec_lo
	s_delay_alu instid0(VALU_DEP_1) | instskip(NEXT) | instid1(VALU_DEP_1)
	v_and_b32_e32 v1, 0x1f8, v1
	v_add_nc_u32_e32 v1, v1, v2
	ds_load_u8 v12, v1 offset:12
	ds_load_b64 v[2:3], v1
	ds_load_2addr_b32 v[6:7], v1 offset0:2 offset1:4
	ds_load_u8 v13, v1 offset:20
	ds_load_u8 v17, v1 offset:28
	;; [unrolled: 1-line block ×5, first 2 shown]
	ds_load_b32 v25, v1 offset:56
	s_wait_dscnt 0x8
	v_cmp_eq_u16_e64 s12, 0, v12
	s_wait_dscnt 0x7
	s_delay_alu instid0(VALU_DEP_1)
	v_cndmask_b32_e64 v10, 0, v2, s12
	ds_load_2addr_b32 v[8:9], v1 offset0:6 offset1:8
	s_wait_dscnt 0x6
	v_cmp_eq_u16_e64 s12, 0, v13
	v_add_nc_u32_e32 v6, v10, v6
	ds_load_2addr_b32 v[10:11], v1 offset0:10 offset1:12
	v_cndmask_b32_e64 v6, 0, v6, s12
	s_wait_dscnt 0x6
	v_cmp_eq_u16_e64 s12, 0, v17
	s_delay_alu instid0(VALU_DEP_2) | instskip(NEXT) | instid1(VALU_DEP_1)
	v_dual_add_nc_u32 v6, v6, v7 :: v_dual_bitop2_b32 v7, v13, v12 bitop3:0x54
	v_cndmask_b32_e64 v6, 0, v6, s12
	s_wait_dscnt 0x5
	v_cmp_eq_u16_e64 s12, 0, v19
	s_delay_alu instid0(VALU_DEP_3)
	v_bitop3_b16 v7, v7, v19, v17 bitop3:0xfe
	s_wait_dscnt 0x1
	v_add_nc_u32_e32 v6, v6, v8
	ds_load_u8 v8, v1 offset:60
	v_bitop3_b16 v7, v7, v23, v21 bitop3:0xfe
	v_cndmask_b32_e64 v6, 0, v6, s12
	v_cmp_eq_u16_e64 s12, 0, v21
	s_delay_alu instid0(VALU_DEP_2) | instskip(NEXT) | instid1(VALU_DEP_1)
	v_add_nc_u32_e32 v6, v6, v9
	v_dual_cndmask_b32 v9, 0, v6, s12 :: v_dual_bitop2_b32 v6, 1, v3 bitop3:0x40
	v_cmp_eq_u16_e64 s12, 0, v7
	s_wait_dscnt 0x0
	s_delay_alu instid0(VALU_DEP_2) | instskip(NEXT) | instid1(VALU_DEP_2)
	v_dual_add_nc_u32 v9, v9, v10 :: v_dual_bitop2_b32 v10, 1, v8 bitop3:0x40
	v_cndmask_b32_e64 v7, 1, v6, s12
	v_cmp_eq_u16_e64 s12, 0, v23
	s_delay_alu instid0(VALU_DEP_1) | instskip(NEXT) | instid1(VALU_DEP_4)
	v_cndmask_b32_e64 v9, 0, v9, s12
	v_cmp_eq_u32_e64 s12, 1, v10
	s_delay_alu instid0(VALU_DEP_2) | instskip(NEXT) | instid1(VALU_DEP_2)
	v_add_nc_u32_e32 v9, v9, v11
	v_cndmask_b32_e64 v10, v7, 1, s12
	v_cmp_eq_u16_e64 s12, 0, v8
	v_and_b32_e32 v7, 0xffffff00, v3
	s_delay_alu instid0(VALU_DEP_3) | instskip(NEXT) | instid1(VALU_DEP_3)
	v_and_b32_e32 v11, 0xffff, v10
	v_cndmask_b32_e64 v8, 0, v9, s12
	v_mbcnt_lo_u32_b32 v9, -1, 0
	s_delay_alu instid0(VALU_DEP_2) | instskip(NEXT) | instid1(VALU_DEP_2)
	v_dual_add_nc_u32 v8, v8, v25 :: v_dual_bitop2_b32 v12, v7, v11 bitop3:0x54
	v_and_b32_e32 v11, 15, v9
	s_delay_alu instid0(VALU_DEP_2) | instskip(NEXT) | instid1(VALU_DEP_3)
	v_mov_b32_dpp v17, v12 row_shr:1 row_mask:0xf bank_mask:0xf
	v_mov_b32_dpp v13, v8 row_shr:1 row_mask:0xf bank_mask:0xf
	s_delay_alu instid0(VALU_DEP_3)
	v_cmpx_ne_u32_e32 0, v11
	s_cbranch_execz .LBB1743_167
; %bb.166:
	v_and_b32_e32 v12, 1, v10
	v_and_b32_e32 v17, 1, v17
	s_delay_alu instid0(VALU_DEP_2) | instskip(NEXT) | instid1(VALU_DEP_1)
	v_cmp_eq_u32_e64 s12, 1, v12
	v_cndmask_b32_e64 v17, v17, 1, s12
	v_cmp_eq_u16_e64 s12, 0, v10
	s_delay_alu instid0(VALU_DEP_2) | instskip(NEXT) | instid1(VALU_DEP_1)
	v_and_b32_e32 v12, 0xffff, v17
	v_dual_cndmask_b32 v10, 0, v13, s12 :: v_dual_bitop2_b32 v12, v7, v12 bitop3:0x54
	s_delay_alu instid0(VALU_DEP_1)
	v_dual_add_nc_u32 v8, v10, v8 :: v_dual_mov_b32 v10, v17
.LBB1743_167:
	s_or_b32 exec_lo, exec_lo, s14
	s_delay_alu instid0(VALU_DEP_1) | instskip(NEXT) | instid1(VALU_DEP_3)
	v_mov_b32_dpp v13, v8 row_shr:2 row_mask:0xf bank_mask:0xf
	v_mov_b32_dpp v17, v12 row_shr:2 row_mask:0xf bank_mask:0xf
	s_mov_b32 s14, exec_lo
	v_cmpx_lt_u32_e32 1, v11
	s_cbranch_execz .LBB1743_169
; %bb.168:
	v_and_b32_e32 v12, 1, v10
	v_and_b32_e32 v17, 1, v17
	s_delay_alu instid0(VALU_DEP_2) | instskip(NEXT) | instid1(VALU_DEP_1)
	v_cmp_eq_u32_e64 s12, 1, v12
	v_cndmask_b32_e64 v17, v17, 1, s12
	v_cmp_eq_u16_e64 s12, 0, v10
	s_delay_alu instid0(VALU_DEP_2) | instskip(NEXT) | instid1(VALU_DEP_1)
	v_and_b32_e32 v12, 0xffff, v17
	v_dual_cndmask_b32 v10, 0, v13, s12 :: v_dual_bitop2_b32 v12, v7, v12 bitop3:0x54
	s_delay_alu instid0(VALU_DEP_1)
	v_dual_add_nc_u32 v8, v10, v8 :: v_dual_mov_b32 v10, v17
.LBB1743_169:
	s_or_b32 exec_lo, exec_lo, s14
	s_delay_alu instid0(VALU_DEP_1) | instskip(NEXT) | instid1(VALU_DEP_3)
	v_mov_b32_dpp v13, v8 row_shr:4 row_mask:0xf bank_mask:0xf
	v_mov_b32_dpp v17, v12 row_shr:4 row_mask:0xf bank_mask:0xf
	s_mov_b32 s14, exec_lo
	v_cmpx_lt_u32_e32 3, v11
	;; [unrolled: 20-line block ×3, first 2 shown]
	s_cbranch_execz .LBB1743_173
; %bb.172:
	v_and_b32_e32 v11, 1, v10
	v_and_b32_e32 v12, 1, v17
	s_delay_alu instid0(VALU_DEP_2) | instskip(NEXT) | instid1(VALU_DEP_1)
	v_cmp_eq_u32_e64 s12, 1, v11
	v_cndmask_b32_e64 v11, v12, 1, s12
	v_cmp_eq_u16_e64 s12, 0, v10
	s_delay_alu instid0(VALU_DEP_2) | instskip(NEXT) | instid1(VALU_DEP_1)
	v_and_b32_e32 v12, 0xffff, v11
	v_dual_cndmask_b32 v10, 0, v13, s12 :: v_dual_bitop2_b32 v12, v7, v12 bitop3:0x54
	s_delay_alu instid0(VALU_DEP_1)
	v_dual_add_nc_u32 v8, v10, v8 :: v_dual_mov_b32 v10, v11
.LBB1743_173:
	s_or_b32 exec_lo, exec_lo, s14
	ds_swizzle_b32 v11, v12 offset:swizzle(BROADCAST,32,15)
	ds_swizzle_b32 v12, v8 offset:swizzle(BROADCAST,32,15)
	v_and_b32_e32 v13, 1, v10
	v_bfe_i32 v19, v9, 4, 1
	v_and_b32_e32 v3, 0xff, v3
	; wave barrier
	s_delay_alu instid0(VALU_DEP_3) | instskip(SKIP_2) | instid1(VALU_DEP_1)
	v_cmp_eq_u32_e64 s12, 1, v13
	s_wait_dscnt 0x1
	v_dual_add_nc_u32 v13, -1, v9 :: v_dual_bitop2_b32 v11, 1, v11 bitop3:0x40
	v_cndmask_b32_e64 v11, v11, 1, s12
	v_and_b32_e32 v17, 16, v9
	v_cmp_eq_u16_e64 s12, 0, v10
	s_wait_dscnt 0x0
	s_delay_alu instid0(VALU_DEP_1) | instskip(NEXT) | instid1(VALU_DEP_3)
	v_cndmask_b32_e64 v12, 0, v12, s12
	v_cmp_eq_u32_e64 s12, 0, v17
	s_delay_alu instid0(VALU_DEP_1) | instskip(SKIP_1) | instid1(VALU_DEP_4)
	v_cndmask_b32_e64 v10, v11, v10, s12
	v_cmp_gt_i32_e64 s12, 0, v13
	v_and_b32_e32 v11, v19, v12
	s_delay_alu instid0(VALU_DEP_3) | instskip(NEXT) | instid1(VALU_DEP_2)
	v_and_b32_e32 v10, 0xffff, v10
	v_dual_cndmask_b32 v9, v13, v9, s12 :: v_dual_add_nc_u32 v8, v11, v8
	v_cmp_eq_u16_e64 s12, 0, v3
	s_delay_alu instid0(VALU_DEP_2)
	v_lshlrev_b32_e32 v9, 2, v9
	ds_bpermute_b32 v8, v9, v8
	s_wait_dscnt 0x0
	v_dual_cndmask_b32 v3, 0, v8, s12 :: v_dual_bitop2_b32 v7, v7, v10 bitop3:0x54
	ds_bpermute_b32 v7, v9, v7
	v_cmp_eq_u32_e64 s12, 1, v6
	s_wait_dscnt 0x0
	v_dual_add_nc_u32 v2, v3, v2 :: v_dual_bitop2_b32 v7, 1, v7 bitop3:0x40
	s_delay_alu instid0(VALU_DEP_1) | instskip(NEXT) | instid1(VALU_DEP_1)
	v_cndmask_b32_e64 v3, v7, 1, s12
	v_dual_cndmask_b32 v4, v2, v4, s2 :: v_dual_cndmask_b32 v6, v3, v5, s2
	ds_store_b32 v1, v4
	ds_store_b8 v1, v6 offset:4
	; wave barrier
	ds_load_u8 v7, v1 offset:12
	ds_load_2addr_b32 v[2:3], v1 offset0:2 offset1:4
	ds_load_u8 v8, v1 offset:20
	ds_load_u8 v9, v1 offset:28
	ds_load_u8 v10, v1 offset:36
	ds_load_u8 v11, v1 offset:44
	ds_load_u8 v12, v1 offset:52
	ds_load_b32 v13, v1 offset:56
	ds_load_u8 v17, v1 offset:60
	s_wait_dscnt 0x8
	v_cmp_eq_u16_e64 s12, 0, v7
	s_delay_alu instid0(VALU_DEP_1) | instskip(SKIP_4) | instid1(VALU_DEP_1)
	v_cndmask_b32_e64 v19, 0, v4, s12
	ds_load_2addr_b32 v[4:5], v1 offset0:6 offset1:8
	s_wait_dscnt 0x7
	v_cmp_eq_u16_e64 s12, 0, v8
	v_add_nc_u32_e32 v19, v19, v2
	v_cndmask_b32_e64 v2, 0, v19, s12
	s_wait_dscnt 0x6
	v_cmp_eq_u16_e64 s12, 0, v9
	s_delay_alu instid0(VALU_DEP_2)
	v_add_nc_u32_e32 v21, v2, v3
	ds_load_2addr_b32 v[2:3], v1 offset0:10 offset1:12
	v_cndmask_b32_e64 v23, 0, v21, s12
	s_wait_dscnt 0x6
	v_cmp_eq_u16_e64 s12, 0, v10
	ds_store_2addr_b32 v1, v19, v21 offset0:2 offset1:4
	s_wait_dscnt 0x2
	v_dual_add_nc_u32 v4, v23, v4 :: v_dual_bitop2_b32 v7, 1, v7 bitop3:0x40
	s_delay_alu instid0(VALU_DEP_1) | instskip(SKIP_1) | instid1(VALU_DEP_3)
	v_cndmask_b32_e64 v23, 0, v4, s12
	v_and_b32_e32 v8, 1, v8
	v_cmp_eq_u32_e64 s12, 1, v7
	v_and_b32_e32 v7, 1, v9
	s_delay_alu instid0(VALU_DEP_4) | instskip(NEXT) | instid1(VALU_DEP_3)
	v_add_nc_u32_e32 v5, v23, v5
	v_cndmask_b32_e64 v6, v6, 1, s12
	v_cmp_eq_u32_e64 s12, 1, v8
	s_delay_alu instid0(VALU_DEP_1) | instskip(SKIP_1) | instid1(VALU_DEP_1)
	v_cndmask_b32_e64 v8, v6, 1, s12
	v_cmp_eq_u16_e64 s12, 0, v11
	v_dual_cndmask_b32 v10, 0, v5, s12 :: v_dual_bitop2_b32 v9, 1, v10 bitop3:0x40
	s_wait_dscnt 0x1
	s_delay_alu instid0(VALU_DEP_1) | instskip(SKIP_2) | instid1(VALU_DEP_2)
	v_add_nc_u32_e32 v2, v10, v2
	v_cmp_eq_u32_e64 s12, 1, v7
	v_and_b32_e32 v10, 1, v12
	v_cndmask_b32_e64 v7, v8, 1, s12
	v_cmp_eq_u32_e64 s12, 1, v9
	s_delay_alu instid0(VALU_DEP_1) | instskip(SKIP_1) | instid1(VALU_DEP_1)
	v_cndmask_b32_e64 v9, v7, 1, s12
	v_cmp_eq_u16_e64 s12, 0, v12
	v_dual_cndmask_b32 v12, 0, v2, s12 :: v_dual_bitop2_b32 v11, 1, v11 bitop3:0x40
	s_delay_alu instid0(VALU_DEP_1) | instskip(NEXT) | instid1(VALU_DEP_2)
	v_cmp_eq_u32_e64 s12, 1, v11
	v_add_nc_u32_e32 v3, v12, v3
	s_delay_alu instid0(VALU_DEP_2)
	v_cndmask_b32_e64 v11, v9, 1, s12
	v_cmp_eq_u32_e64 s12, 1, v10
	ds_store_2addr_b32 v1, v4, v5 offset0:6 offset1:8
	ds_store_2addr_b32 v1, v2, v3 offset0:10 offset1:12
	v_cndmask_b32_e64 v10, v11, 1, s12
	v_cmp_eq_u16_e64 s12, 0, v17
	s_delay_alu instid0(VALU_DEP_1) | instskip(NEXT) | instid1(VALU_DEP_1)
	v_dual_cndmask_b32 v12, 0, v3, s12 :: v_dual_bitop2_b32 v23, 1, v17 bitop3:0x40
	v_cmp_eq_u32_e64 s12, 1, v23
	s_delay_alu instid0(VALU_DEP_2) | instskip(NEXT) | instid1(VALU_DEP_2)
	v_add_nc_u32_e32 v2, v12, v13
	v_cndmask_b32_e64 v17, v10, 1, s12
	ds_store_b8 v1, v6 offset:12
	ds_store_b8 v1, v8 offset:20
	;; [unrolled: 1-line block ×6, first 2 shown]
	ds_store_b32 v1, v2 offset:56
	ds_store_b8 v1, v17 offset:60
.LBB1743_174:
	s_or_b32 exec_lo, exec_lo, s13
	v_mov_b32_e32 v2, v41
	s_wait_dscnt 0x0
	s_barrier_signal -1
	s_barrier_wait -1
	s_and_saveexec_b32 s12, s3
	s_cbranch_execz .LBB1743_176
; %bb.175:
	v_add_nc_u32_e32 v1, -1, v0
	s_delay_alu instid0(VALU_DEP_1) | instskip(NEXT) | instid1(VALU_DEP_1)
	v_lshrrev_b32_e32 v2, 2, v1
	v_and_b32_e32 v2, 0x3ffffff8, v2
	s_delay_alu instid0(VALU_DEP_1) | instskip(SKIP_4) | instid1(VALU_DEP_1)
	v_lshl_add_u32 v1, v1, 3, v2
	ds_load_u8 v2, v1 offset:4
	ds_load_b32 v1, v1
	s_wait_dscnt 0x1
	v_cmp_eq_u16_e64 s3, 0, v2
	v_cndmask_b32_e64 v2, 0, v41, s3
	s_wait_dscnt 0x0
	s_delay_alu instid0(VALU_DEP_1)
	v_add_nc_u32_e32 v2, v2, v1
.LBB1743_176:
	s_or_b32 exec_lo, exec_lo, s12
	v_and_b32_e32 v39, 0xff, v15
	v_mov_b32_e32 v38, 0
	s_delay_alu instid0(VALU_DEP_1) | instskip(NEXT) | instid1(VALU_DEP_1)
	v_cmp_eq_u64_e64 s3, 0, v[38:39]
	v_cndmask_b32_e64 v1, 0, v2, s3
	s_delay_alu instid0(VALU_DEP_1) | instskip(NEXT) | instid1(VALU_DEP_1)
	v_add_nc_u32_e32 v3, v1, v14
	v_cndmask_b32_e32 v1, 0, v3, vcc_lo
	s_delay_alu instid0(VALU_DEP_1) | instskip(NEXT) | instid1(VALU_DEP_1)
	v_add_nc_u32_e32 v4, v1, v36
	v_cndmask_b32_e64 v1, 0, v4, s1
	s_delay_alu instid0(VALU_DEP_1) | instskip(NEXT) | instid1(VALU_DEP_1)
	v_add_nc_u32_e32 v5, v1, v34
	v_cndmask_b32_e64 v1, 0, v5, s4
	;; [unrolled: 3-line block ×9, first 2 shown]
	s_delay_alu instid0(VALU_DEP_1)
	v_add_nc_u32_e32 v13, v1, v18
	s_and_saveexec_b32 s1, s2
	s_cbranch_execz .LBB1743_178
; %bb.177:
	ds_load_u8 v1, v38 offset:2100
	ds_load_b32 v17, v38 offset:2096
	v_mov_b32_e32 v15, v38
	s_add_nc_u64 s[2:3], s[20:21], 0x200
	v_dual_mov_b32 v20, 2 :: v_dual_mov_b32 v21, v38
	s_wait_dscnt 0x1
	v_and_b32_e32 v14, 0xffff, v1
	s_delay_alu instid0(VALU_DEP_1) | instskip(SKIP_3) | instid1(VALU_DEP_2)
	v_cmp_eq_u64_e32 vcc_lo, 0, v[14:15]
	v_dual_cndmask_b32 v1, 0, v41, vcc_lo :: v_dual_mov_b32 v19, v14
	v_mov_b64_e32 v[14:15], s[2:3]
	s_wait_dscnt 0x0
	v_add_nc_u32_e32 v18, v1, v17
	;;#ASMSTART
	global_store_b128 v[14:15], v[18:21] off scope:SCOPE_DEV	
s_wait_storecnt 0x0
	;;#ASMEND
.LBB1743_178:
	s_or_b32 exec_lo, exec_lo, s1
	s_add_nc_u64 s[2:3], s[18:19], s[28:29]
	s_and_b32 vcc_lo, exec_lo, s0
	s_add_nc_u64 s[0:1], s[2:3], s[16:17]
	s_cbranch_vccnz .LBB1743_118
.LBB1743_179:
	s_mov_b32 s2, 0
                                        ; implicit-def: $vgpr15
	s_cbranch_execz .LBB1743_181
; %bb.180:
	v_mul_u32_u24_e32 v1, 48, v0
	v_mul_i32_i24_e32 v14, 0xffffffd4, v0
	s_wait_storecnt_dscnt 0x0
	s_barrier_signal -1
	s_barrier_wait -1
	ds_store_b128 v1, v[2:5]
	ds_store_b128 v1, v[6:9] offset:16
	ds_store_b128 v1, v[10:13] offset:32
	v_mad_u32_u24 v1, v0, 48, v14
	s_wait_dscnt 0x0
	s_barrier_signal -1
	s_barrier_wait -1
	ds_load_2addr_stride64_b32 v[2:3], v1 offset1:4
	ds_load_2addr_stride64_b32 v[4:5], v1 offset0:8 offset1:12
	ds_load_2addr_stride64_b32 v[6:7], v1 offset0:16 offset1:20
	;; [unrolled: 1-line block ×5, first 2 shown]
	s_or_b32 s2, s2, exec_lo
	s_wait_dscnt 0x5
	v_cvt_f32_i32_e32 v1, v2
	v_cvt_f32_i32_e32 v2, v3
	s_wait_dscnt 0x4
	v_cvt_f32_i32_e32 v3, v4
	v_cvt_f32_i32_e32 v4, v5
	;; [unrolled: 3-line block ×5, first 2 shown]
	s_wait_dscnt 0x0
	v_cvt_f32_i32_e32 v11, v14
	s_clause 0xa
	flat_store_b32 v0, v1, s[0:1] scale_offset
	flat_store_b32 v0, v2, s[0:1] offset:1024 scale_offset
	flat_store_b32 v0, v3, s[0:1] offset:2048 scale_offset
	;; [unrolled: 1-line block ×10, first 2 shown]
.LBB1743_181:
	s_wait_xcnt 0x0
	s_delay_alu instid0(VALU_DEP_1)
	s_and_saveexec_b32 s3, s2
	s_cbranch_execz .LBB1743_183
; %bb.182:
	s_wait_dscnt 0x0
	v_cvt_f32_i32_e32 v1, v15
	flat_store_b32 v0, v1, s[0:1] offset:11264 scale_offset
	s_endpgm
.LBB1743_183:
	s_endpgm
	.section	.rodata,"a",@progbits
	.p2align	6, 0x0
	.amdhsa_kernel _ZN7rocprim17ROCPRIM_400000_NS6detail17trampoline_kernelINS0_14default_configENS1_27scan_by_key_config_selectorIiiEEZZNS1_16scan_by_key_implILNS1_25lookback_scan_determinismE0ELb1ES3_N6thrust23THRUST_200600_302600_NS6detail15normal_iteratorINS9_10device_ptrIiEEEENSB_INSC_IjEEEENSB_INSC_IfEEEEiNS9_4plusIvEENS9_8equal_toIvEEiEE10hipError_tPvRmT2_T3_T4_T5_mT6_T7_P12ihipStream_tbENKUlT_T0_E_clISt17integral_constantIbLb0EES12_IbLb1EEEEDaSY_SZ_EUlSY_E_NS1_11comp_targetILNS1_3genE0ELNS1_11target_archE4294967295ELNS1_3gpuE0ELNS1_3repE0EEENS1_30default_config_static_selectorELNS0_4arch9wavefront6targetE0EEEvT1_
		.amdhsa_group_segment_fixed_size 14336
		.amdhsa_private_segment_fixed_size 0
		.amdhsa_kernarg_size 112
		.amdhsa_user_sgpr_count 2
		.amdhsa_user_sgpr_dispatch_ptr 0
		.amdhsa_user_sgpr_queue_ptr 0
		.amdhsa_user_sgpr_kernarg_segment_ptr 1
		.amdhsa_user_sgpr_dispatch_id 0
		.amdhsa_user_sgpr_kernarg_preload_length 0
		.amdhsa_user_sgpr_kernarg_preload_offset 0
		.amdhsa_user_sgpr_private_segment_size 0
		.amdhsa_wavefront_size32 1
		.amdhsa_uses_dynamic_stack 0
		.amdhsa_enable_private_segment 0
		.amdhsa_system_sgpr_workgroup_id_x 1
		.amdhsa_system_sgpr_workgroup_id_y 0
		.amdhsa_system_sgpr_workgroup_id_z 0
		.amdhsa_system_sgpr_workgroup_info 0
		.amdhsa_system_vgpr_workitem_id 0
		.amdhsa_next_free_vgpr 62
		.amdhsa_next_free_sgpr 39
		.amdhsa_named_barrier_count 0
		.amdhsa_reserve_vcc 1
		.amdhsa_float_round_mode_32 0
		.amdhsa_float_round_mode_16_64 0
		.amdhsa_float_denorm_mode_32 3
		.amdhsa_float_denorm_mode_16_64 3
		.amdhsa_fp16_overflow 0
		.amdhsa_memory_ordered 1
		.amdhsa_forward_progress 1
		.amdhsa_inst_pref_size 96
		.amdhsa_round_robin_scheduling 0
		.amdhsa_exception_fp_ieee_invalid_op 0
		.amdhsa_exception_fp_denorm_src 0
		.amdhsa_exception_fp_ieee_div_zero 0
		.amdhsa_exception_fp_ieee_overflow 0
		.amdhsa_exception_fp_ieee_underflow 0
		.amdhsa_exception_fp_ieee_inexact 0
		.amdhsa_exception_int_div_zero 0
	.end_amdhsa_kernel
	.section	.text._ZN7rocprim17ROCPRIM_400000_NS6detail17trampoline_kernelINS0_14default_configENS1_27scan_by_key_config_selectorIiiEEZZNS1_16scan_by_key_implILNS1_25lookback_scan_determinismE0ELb1ES3_N6thrust23THRUST_200600_302600_NS6detail15normal_iteratorINS9_10device_ptrIiEEEENSB_INSC_IjEEEENSB_INSC_IfEEEEiNS9_4plusIvEENS9_8equal_toIvEEiEE10hipError_tPvRmT2_T3_T4_T5_mT6_T7_P12ihipStream_tbENKUlT_T0_E_clISt17integral_constantIbLb0EES12_IbLb1EEEEDaSY_SZ_EUlSY_E_NS1_11comp_targetILNS1_3genE0ELNS1_11target_archE4294967295ELNS1_3gpuE0ELNS1_3repE0EEENS1_30default_config_static_selectorELNS0_4arch9wavefront6targetE0EEEvT1_,"axG",@progbits,_ZN7rocprim17ROCPRIM_400000_NS6detail17trampoline_kernelINS0_14default_configENS1_27scan_by_key_config_selectorIiiEEZZNS1_16scan_by_key_implILNS1_25lookback_scan_determinismE0ELb1ES3_N6thrust23THRUST_200600_302600_NS6detail15normal_iteratorINS9_10device_ptrIiEEEENSB_INSC_IjEEEENSB_INSC_IfEEEEiNS9_4plusIvEENS9_8equal_toIvEEiEE10hipError_tPvRmT2_T3_T4_T5_mT6_T7_P12ihipStream_tbENKUlT_T0_E_clISt17integral_constantIbLb0EES12_IbLb1EEEEDaSY_SZ_EUlSY_E_NS1_11comp_targetILNS1_3genE0ELNS1_11target_archE4294967295ELNS1_3gpuE0ELNS1_3repE0EEENS1_30default_config_static_selectorELNS0_4arch9wavefront6targetE0EEEvT1_,comdat
.Lfunc_end1743:
	.size	_ZN7rocprim17ROCPRIM_400000_NS6detail17trampoline_kernelINS0_14default_configENS1_27scan_by_key_config_selectorIiiEEZZNS1_16scan_by_key_implILNS1_25lookback_scan_determinismE0ELb1ES3_N6thrust23THRUST_200600_302600_NS6detail15normal_iteratorINS9_10device_ptrIiEEEENSB_INSC_IjEEEENSB_INSC_IfEEEEiNS9_4plusIvEENS9_8equal_toIvEEiEE10hipError_tPvRmT2_T3_T4_T5_mT6_T7_P12ihipStream_tbENKUlT_T0_E_clISt17integral_constantIbLb0EES12_IbLb1EEEEDaSY_SZ_EUlSY_E_NS1_11comp_targetILNS1_3genE0ELNS1_11target_archE4294967295ELNS1_3gpuE0ELNS1_3repE0EEENS1_30default_config_static_selectorELNS0_4arch9wavefront6targetE0EEEvT1_, .Lfunc_end1743-_ZN7rocprim17ROCPRIM_400000_NS6detail17trampoline_kernelINS0_14default_configENS1_27scan_by_key_config_selectorIiiEEZZNS1_16scan_by_key_implILNS1_25lookback_scan_determinismE0ELb1ES3_N6thrust23THRUST_200600_302600_NS6detail15normal_iteratorINS9_10device_ptrIiEEEENSB_INSC_IjEEEENSB_INSC_IfEEEEiNS9_4plusIvEENS9_8equal_toIvEEiEE10hipError_tPvRmT2_T3_T4_T5_mT6_T7_P12ihipStream_tbENKUlT_T0_E_clISt17integral_constantIbLb0EES12_IbLb1EEEEDaSY_SZ_EUlSY_E_NS1_11comp_targetILNS1_3genE0ELNS1_11target_archE4294967295ELNS1_3gpuE0ELNS1_3repE0EEENS1_30default_config_static_selectorELNS0_4arch9wavefront6targetE0EEEvT1_
                                        ; -- End function
	.set _ZN7rocprim17ROCPRIM_400000_NS6detail17trampoline_kernelINS0_14default_configENS1_27scan_by_key_config_selectorIiiEEZZNS1_16scan_by_key_implILNS1_25lookback_scan_determinismE0ELb1ES3_N6thrust23THRUST_200600_302600_NS6detail15normal_iteratorINS9_10device_ptrIiEEEENSB_INSC_IjEEEENSB_INSC_IfEEEEiNS9_4plusIvEENS9_8equal_toIvEEiEE10hipError_tPvRmT2_T3_T4_T5_mT6_T7_P12ihipStream_tbENKUlT_T0_E_clISt17integral_constantIbLb0EES12_IbLb1EEEEDaSY_SZ_EUlSY_E_NS1_11comp_targetILNS1_3genE0ELNS1_11target_archE4294967295ELNS1_3gpuE0ELNS1_3repE0EEENS1_30default_config_static_selectorELNS0_4arch9wavefront6targetE0EEEvT1_.num_vgpr, 62
	.set _ZN7rocprim17ROCPRIM_400000_NS6detail17trampoline_kernelINS0_14default_configENS1_27scan_by_key_config_selectorIiiEEZZNS1_16scan_by_key_implILNS1_25lookback_scan_determinismE0ELb1ES3_N6thrust23THRUST_200600_302600_NS6detail15normal_iteratorINS9_10device_ptrIiEEEENSB_INSC_IjEEEENSB_INSC_IfEEEEiNS9_4plusIvEENS9_8equal_toIvEEiEE10hipError_tPvRmT2_T3_T4_T5_mT6_T7_P12ihipStream_tbENKUlT_T0_E_clISt17integral_constantIbLb0EES12_IbLb1EEEEDaSY_SZ_EUlSY_E_NS1_11comp_targetILNS1_3genE0ELNS1_11target_archE4294967295ELNS1_3gpuE0ELNS1_3repE0EEENS1_30default_config_static_selectorELNS0_4arch9wavefront6targetE0EEEvT1_.num_agpr, 0
	.set _ZN7rocprim17ROCPRIM_400000_NS6detail17trampoline_kernelINS0_14default_configENS1_27scan_by_key_config_selectorIiiEEZZNS1_16scan_by_key_implILNS1_25lookback_scan_determinismE0ELb1ES3_N6thrust23THRUST_200600_302600_NS6detail15normal_iteratorINS9_10device_ptrIiEEEENSB_INSC_IjEEEENSB_INSC_IfEEEEiNS9_4plusIvEENS9_8equal_toIvEEiEE10hipError_tPvRmT2_T3_T4_T5_mT6_T7_P12ihipStream_tbENKUlT_T0_E_clISt17integral_constantIbLb0EES12_IbLb1EEEEDaSY_SZ_EUlSY_E_NS1_11comp_targetILNS1_3genE0ELNS1_11target_archE4294967295ELNS1_3gpuE0ELNS1_3repE0EEENS1_30default_config_static_selectorELNS0_4arch9wavefront6targetE0EEEvT1_.numbered_sgpr, 39
	.set _ZN7rocprim17ROCPRIM_400000_NS6detail17trampoline_kernelINS0_14default_configENS1_27scan_by_key_config_selectorIiiEEZZNS1_16scan_by_key_implILNS1_25lookback_scan_determinismE0ELb1ES3_N6thrust23THRUST_200600_302600_NS6detail15normal_iteratorINS9_10device_ptrIiEEEENSB_INSC_IjEEEENSB_INSC_IfEEEEiNS9_4plusIvEENS9_8equal_toIvEEiEE10hipError_tPvRmT2_T3_T4_T5_mT6_T7_P12ihipStream_tbENKUlT_T0_E_clISt17integral_constantIbLb0EES12_IbLb1EEEEDaSY_SZ_EUlSY_E_NS1_11comp_targetILNS1_3genE0ELNS1_11target_archE4294967295ELNS1_3gpuE0ELNS1_3repE0EEENS1_30default_config_static_selectorELNS0_4arch9wavefront6targetE0EEEvT1_.num_named_barrier, 0
	.set _ZN7rocprim17ROCPRIM_400000_NS6detail17trampoline_kernelINS0_14default_configENS1_27scan_by_key_config_selectorIiiEEZZNS1_16scan_by_key_implILNS1_25lookback_scan_determinismE0ELb1ES3_N6thrust23THRUST_200600_302600_NS6detail15normal_iteratorINS9_10device_ptrIiEEEENSB_INSC_IjEEEENSB_INSC_IfEEEEiNS9_4plusIvEENS9_8equal_toIvEEiEE10hipError_tPvRmT2_T3_T4_T5_mT6_T7_P12ihipStream_tbENKUlT_T0_E_clISt17integral_constantIbLb0EES12_IbLb1EEEEDaSY_SZ_EUlSY_E_NS1_11comp_targetILNS1_3genE0ELNS1_11target_archE4294967295ELNS1_3gpuE0ELNS1_3repE0EEENS1_30default_config_static_selectorELNS0_4arch9wavefront6targetE0EEEvT1_.private_seg_size, 0
	.set _ZN7rocprim17ROCPRIM_400000_NS6detail17trampoline_kernelINS0_14default_configENS1_27scan_by_key_config_selectorIiiEEZZNS1_16scan_by_key_implILNS1_25lookback_scan_determinismE0ELb1ES3_N6thrust23THRUST_200600_302600_NS6detail15normal_iteratorINS9_10device_ptrIiEEEENSB_INSC_IjEEEENSB_INSC_IfEEEEiNS9_4plusIvEENS9_8equal_toIvEEiEE10hipError_tPvRmT2_T3_T4_T5_mT6_T7_P12ihipStream_tbENKUlT_T0_E_clISt17integral_constantIbLb0EES12_IbLb1EEEEDaSY_SZ_EUlSY_E_NS1_11comp_targetILNS1_3genE0ELNS1_11target_archE4294967295ELNS1_3gpuE0ELNS1_3repE0EEENS1_30default_config_static_selectorELNS0_4arch9wavefront6targetE0EEEvT1_.uses_vcc, 1
	.set _ZN7rocprim17ROCPRIM_400000_NS6detail17trampoline_kernelINS0_14default_configENS1_27scan_by_key_config_selectorIiiEEZZNS1_16scan_by_key_implILNS1_25lookback_scan_determinismE0ELb1ES3_N6thrust23THRUST_200600_302600_NS6detail15normal_iteratorINS9_10device_ptrIiEEEENSB_INSC_IjEEEENSB_INSC_IfEEEEiNS9_4plusIvEENS9_8equal_toIvEEiEE10hipError_tPvRmT2_T3_T4_T5_mT6_T7_P12ihipStream_tbENKUlT_T0_E_clISt17integral_constantIbLb0EES12_IbLb1EEEEDaSY_SZ_EUlSY_E_NS1_11comp_targetILNS1_3genE0ELNS1_11target_archE4294967295ELNS1_3gpuE0ELNS1_3repE0EEENS1_30default_config_static_selectorELNS0_4arch9wavefront6targetE0EEEvT1_.uses_flat_scratch, 1
	.set _ZN7rocprim17ROCPRIM_400000_NS6detail17trampoline_kernelINS0_14default_configENS1_27scan_by_key_config_selectorIiiEEZZNS1_16scan_by_key_implILNS1_25lookback_scan_determinismE0ELb1ES3_N6thrust23THRUST_200600_302600_NS6detail15normal_iteratorINS9_10device_ptrIiEEEENSB_INSC_IjEEEENSB_INSC_IfEEEEiNS9_4plusIvEENS9_8equal_toIvEEiEE10hipError_tPvRmT2_T3_T4_T5_mT6_T7_P12ihipStream_tbENKUlT_T0_E_clISt17integral_constantIbLb0EES12_IbLb1EEEEDaSY_SZ_EUlSY_E_NS1_11comp_targetILNS1_3genE0ELNS1_11target_archE4294967295ELNS1_3gpuE0ELNS1_3repE0EEENS1_30default_config_static_selectorELNS0_4arch9wavefront6targetE0EEEvT1_.has_dyn_sized_stack, 0
	.set _ZN7rocprim17ROCPRIM_400000_NS6detail17trampoline_kernelINS0_14default_configENS1_27scan_by_key_config_selectorIiiEEZZNS1_16scan_by_key_implILNS1_25lookback_scan_determinismE0ELb1ES3_N6thrust23THRUST_200600_302600_NS6detail15normal_iteratorINS9_10device_ptrIiEEEENSB_INSC_IjEEEENSB_INSC_IfEEEEiNS9_4plusIvEENS9_8equal_toIvEEiEE10hipError_tPvRmT2_T3_T4_T5_mT6_T7_P12ihipStream_tbENKUlT_T0_E_clISt17integral_constantIbLb0EES12_IbLb1EEEEDaSY_SZ_EUlSY_E_NS1_11comp_targetILNS1_3genE0ELNS1_11target_archE4294967295ELNS1_3gpuE0ELNS1_3repE0EEENS1_30default_config_static_selectorELNS0_4arch9wavefront6targetE0EEEvT1_.has_recursion, 0
	.set _ZN7rocprim17ROCPRIM_400000_NS6detail17trampoline_kernelINS0_14default_configENS1_27scan_by_key_config_selectorIiiEEZZNS1_16scan_by_key_implILNS1_25lookback_scan_determinismE0ELb1ES3_N6thrust23THRUST_200600_302600_NS6detail15normal_iteratorINS9_10device_ptrIiEEEENSB_INSC_IjEEEENSB_INSC_IfEEEEiNS9_4plusIvEENS9_8equal_toIvEEiEE10hipError_tPvRmT2_T3_T4_T5_mT6_T7_P12ihipStream_tbENKUlT_T0_E_clISt17integral_constantIbLb0EES12_IbLb1EEEEDaSY_SZ_EUlSY_E_NS1_11comp_targetILNS1_3genE0ELNS1_11target_archE4294967295ELNS1_3gpuE0ELNS1_3repE0EEENS1_30default_config_static_selectorELNS0_4arch9wavefront6targetE0EEEvT1_.has_indirect_call, 0
	.section	.AMDGPU.csdata,"",@progbits
; Kernel info:
; codeLenInByte = 12216
; TotalNumSgprs: 41
; NumVgprs: 62
; ScratchSize: 0
; MemoryBound: 0
; FloatMode: 240
; IeeeMode: 1
; LDSByteSize: 14336 bytes/workgroup (compile time only)
; SGPRBlocks: 0
; VGPRBlocks: 3
; NumSGPRsForWavesPerEU: 41
; NumVGPRsForWavesPerEU: 62
; NamedBarCnt: 0
; Occupancy: 16
; WaveLimiterHint : 1
; COMPUTE_PGM_RSRC2:SCRATCH_EN: 0
; COMPUTE_PGM_RSRC2:USER_SGPR: 2
; COMPUTE_PGM_RSRC2:TRAP_HANDLER: 0
; COMPUTE_PGM_RSRC2:TGID_X_EN: 1
; COMPUTE_PGM_RSRC2:TGID_Y_EN: 0
; COMPUTE_PGM_RSRC2:TGID_Z_EN: 0
; COMPUTE_PGM_RSRC2:TIDIG_COMP_CNT: 0
	.section	.text._ZN7rocprim17ROCPRIM_400000_NS6detail17trampoline_kernelINS0_14default_configENS1_27scan_by_key_config_selectorIiiEEZZNS1_16scan_by_key_implILNS1_25lookback_scan_determinismE0ELb1ES3_N6thrust23THRUST_200600_302600_NS6detail15normal_iteratorINS9_10device_ptrIiEEEENSB_INSC_IjEEEENSB_INSC_IfEEEEiNS9_4plusIvEENS9_8equal_toIvEEiEE10hipError_tPvRmT2_T3_T4_T5_mT6_T7_P12ihipStream_tbENKUlT_T0_E_clISt17integral_constantIbLb0EES12_IbLb1EEEEDaSY_SZ_EUlSY_E_NS1_11comp_targetILNS1_3genE10ELNS1_11target_archE1201ELNS1_3gpuE5ELNS1_3repE0EEENS1_30default_config_static_selectorELNS0_4arch9wavefront6targetE0EEEvT1_,"axG",@progbits,_ZN7rocprim17ROCPRIM_400000_NS6detail17trampoline_kernelINS0_14default_configENS1_27scan_by_key_config_selectorIiiEEZZNS1_16scan_by_key_implILNS1_25lookback_scan_determinismE0ELb1ES3_N6thrust23THRUST_200600_302600_NS6detail15normal_iteratorINS9_10device_ptrIiEEEENSB_INSC_IjEEEENSB_INSC_IfEEEEiNS9_4plusIvEENS9_8equal_toIvEEiEE10hipError_tPvRmT2_T3_T4_T5_mT6_T7_P12ihipStream_tbENKUlT_T0_E_clISt17integral_constantIbLb0EES12_IbLb1EEEEDaSY_SZ_EUlSY_E_NS1_11comp_targetILNS1_3genE10ELNS1_11target_archE1201ELNS1_3gpuE5ELNS1_3repE0EEENS1_30default_config_static_selectorELNS0_4arch9wavefront6targetE0EEEvT1_,comdat
	.protected	_ZN7rocprim17ROCPRIM_400000_NS6detail17trampoline_kernelINS0_14default_configENS1_27scan_by_key_config_selectorIiiEEZZNS1_16scan_by_key_implILNS1_25lookback_scan_determinismE0ELb1ES3_N6thrust23THRUST_200600_302600_NS6detail15normal_iteratorINS9_10device_ptrIiEEEENSB_INSC_IjEEEENSB_INSC_IfEEEEiNS9_4plusIvEENS9_8equal_toIvEEiEE10hipError_tPvRmT2_T3_T4_T5_mT6_T7_P12ihipStream_tbENKUlT_T0_E_clISt17integral_constantIbLb0EES12_IbLb1EEEEDaSY_SZ_EUlSY_E_NS1_11comp_targetILNS1_3genE10ELNS1_11target_archE1201ELNS1_3gpuE5ELNS1_3repE0EEENS1_30default_config_static_selectorELNS0_4arch9wavefront6targetE0EEEvT1_ ; -- Begin function _ZN7rocprim17ROCPRIM_400000_NS6detail17trampoline_kernelINS0_14default_configENS1_27scan_by_key_config_selectorIiiEEZZNS1_16scan_by_key_implILNS1_25lookback_scan_determinismE0ELb1ES3_N6thrust23THRUST_200600_302600_NS6detail15normal_iteratorINS9_10device_ptrIiEEEENSB_INSC_IjEEEENSB_INSC_IfEEEEiNS9_4plusIvEENS9_8equal_toIvEEiEE10hipError_tPvRmT2_T3_T4_T5_mT6_T7_P12ihipStream_tbENKUlT_T0_E_clISt17integral_constantIbLb0EES12_IbLb1EEEEDaSY_SZ_EUlSY_E_NS1_11comp_targetILNS1_3genE10ELNS1_11target_archE1201ELNS1_3gpuE5ELNS1_3repE0EEENS1_30default_config_static_selectorELNS0_4arch9wavefront6targetE0EEEvT1_
	.globl	_ZN7rocprim17ROCPRIM_400000_NS6detail17trampoline_kernelINS0_14default_configENS1_27scan_by_key_config_selectorIiiEEZZNS1_16scan_by_key_implILNS1_25lookback_scan_determinismE0ELb1ES3_N6thrust23THRUST_200600_302600_NS6detail15normal_iteratorINS9_10device_ptrIiEEEENSB_INSC_IjEEEENSB_INSC_IfEEEEiNS9_4plusIvEENS9_8equal_toIvEEiEE10hipError_tPvRmT2_T3_T4_T5_mT6_T7_P12ihipStream_tbENKUlT_T0_E_clISt17integral_constantIbLb0EES12_IbLb1EEEEDaSY_SZ_EUlSY_E_NS1_11comp_targetILNS1_3genE10ELNS1_11target_archE1201ELNS1_3gpuE5ELNS1_3repE0EEENS1_30default_config_static_selectorELNS0_4arch9wavefront6targetE0EEEvT1_
	.p2align	8
	.type	_ZN7rocprim17ROCPRIM_400000_NS6detail17trampoline_kernelINS0_14default_configENS1_27scan_by_key_config_selectorIiiEEZZNS1_16scan_by_key_implILNS1_25lookback_scan_determinismE0ELb1ES3_N6thrust23THRUST_200600_302600_NS6detail15normal_iteratorINS9_10device_ptrIiEEEENSB_INSC_IjEEEENSB_INSC_IfEEEEiNS9_4plusIvEENS9_8equal_toIvEEiEE10hipError_tPvRmT2_T3_T4_T5_mT6_T7_P12ihipStream_tbENKUlT_T0_E_clISt17integral_constantIbLb0EES12_IbLb1EEEEDaSY_SZ_EUlSY_E_NS1_11comp_targetILNS1_3genE10ELNS1_11target_archE1201ELNS1_3gpuE5ELNS1_3repE0EEENS1_30default_config_static_selectorELNS0_4arch9wavefront6targetE0EEEvT1_,@function
_ZN7rocprim17ROCPRIM_400000_NS6detail17trampoline_kernelINS0_14default_configENS1_27scan_by_key_config_selectorIiiEEZZNS1_16scan_by_key_implILNS1_25lookback_scan_determinismE0ELb1ES3_N6thrust23THRUST_200600_302600_NS6detail15normal_iteratorINS9_10device_ptrIiEEEENSB_INSC_IjEEEENSB_INSC_IfEEEEiNS9_4plusIvEENS9_8equal_toIvEEiEE10hipError_tPvRmT2_T3_T4_T5_mT6_T7_P12ihipStream_tbENKUlT_T0_E_clISt17integral_constantIbLb0EES12_IbLb1EEEEDaSY_SZ_EUlSY_E_NS1_11comp_targetILNS1_3genE10ELNS1_11target_archE1201ELNS1_3gpuE5ELNS1_3repE0EEENS1_30default_config_static_selectorELNS0_4arch9wavefront6targetE0EEEvT1_: ; @_ZN7rocprim17ROCPRIM_400000_NS6detail17trampoline_kernelINS0_14default_configENS1_27scan_by_key_config_selectorIiiEEZZNS1_16scan_by_key_implILNS1_25lookback_scan_determinismE0ELb1ES3_N6thrust23THRUST_200600_302600_NS6detail15normal_iteratorINS9_10device_ptrIiEEEENSB_INSC_IjEEEENSB_INSC_IfEEEEiNS9_4plusIvEENS9_8equal_toIvEEiEE10hipError_tPvRmT2_T3_T4_T5_mT6_T7_P12ihipStream_tbENKUlT_T0_E_clISt17integral_constantIbLb0EES12_IbLb1EEEEDaSY_SZ_EUlSY_E_NS1_11comp_targetILNS1_3genE10ELNS1_11target_archE1201ELNS1_3gpuE5ELNS1_3repE0EEENS1_30default_config_static_selectorELNS0_4arch9wavefront6targetE0EEEvT1_
; %bb.0:
	.section	.rodata,"a",@progbits
	.p2align	6, 0x0
	.amdhsa_kernel _ZN7rocprim17ROCPRIM_400000_NS6detail17trampoline_kernelINS0_14default_configENS1_27scan_by_key_config_selectorIiiEEZZNS1_16scan_by_key_implILNS1_25lookback_scan_determinismE0ELb1ES3_N6thrust23THRUST_200600_302600_NS6detail15normal_iteratorINS9_10device_ptrIiEEEENSB_INSC_IjEEEENSB_INSC_IfEEEEiNS9_4plusIvEENS9_8equal_toIvEEiEE10hipError_tPvRmT2_T3_T4_T5_mT6_T7_P12ihipStream_tbENKUlT_T0_E_clISt17integral_constantIbLb0EES12_IbLb1EEEEDaSY_SZ_EUlSY_E_NS1_11comp_targetILNS1_3genE10ELNS1_11target_archE1201ELNS1_3gpuE5ELNS1_3repE0EEENS1_30default_config_static_selectorELNS0_4arch9wavefront6targetE0EEEvT1_
		.amdhsa_group_segment_fixed_size 0
		.amdhsa_private_segment_fixed_size 0
		.amdhsa_kernarg_size 112
		.amdhsa_user_sgpr_count 2
		.amdhsa_user_sgpr_dispatch_ptr 0
		.amdhsa_user_sgpr_queue_ptr 0
		.amdhsa_user_sgpr_kernarg_segment_ptr 1
		.amdhsa_user_sgpr_dispatch_id 0
		.amdhsa_user_sgpr_kernarg_preload_length 0
		.amdhsa_user_sgpr_kernarg_preload_offset 0
		.amdhsa_user_sgpr_private_segment_size 0
		.amdhsa_wavefront_size32 1
		.amdhsa_uses_dynamic_stack 0
		.amdhsa_enable_private_segment 0
		.amdhsa_system_sgpr_workgroup_id_x 1
		.amdhsa_system_sgpr_workgroup_id_y 0
		.amdhsa_system_sgpr_workgroup_id_z 0
		.amdhsa_system_sgpr_workgroup_info 0
		.amdhsa_system_vgpr_workitem_id 0
		.amdhsa_next_free_vgpr 1
		.amdhsa_next_free_sgpr 1
		.amdhsa_named_barrier_count 0
		.amdhsa_reserve_vcc 0
		.amdhsa_float_round_mode_32 0
		.amdhsa_float_round_mode_16_64 0
		.amdhsa_float_denorm_mode_32 3
		.amdhsa_float_denorm_mode_16_64 3
		.amdhsa_fp16_overflow 0
		.amdhsa_memory_ordered 1
		.amdhsa_forward_progress 1
		.amdhsa_inst_pref_size 0
		.amdhsa_round_robin_scheduling 0
		.amdhsa_exception_fp_ieee_invalid_op 0
		.amdhsa_exception_fp_denorm_src 0
		.amdhsa_exception_fp_ieee_div_zero 0
		.amdhsa_exception_fp_ieee_overflow 0
		.amdhsa_exception_fp_ieee_underflow 0
		.amdhsa_exception_fp_ieee_inexact 0
		.amdhsa_exception_int_div_zero 0
	.end_amdhsa_kernel
	.section	.text._ZN7rocprim17ROCPRIM_400000_NS6detail17trampoline_kernelINS0_14default_configENS1_27scan_by_key_config_selectorIiiEEZZNS1_16scan_by_key_implILNS1_25lookback_scan_determinismE0ELb1ES3_N6thrust23THRUST_200600_302600_NS6detail15normal_iteratorINS9_10device_ptrIiEEEENSB_INSC_IjEEEENSB_INSC_IfEEEEiNS9_4plusIvEENS9_8equal_toIvEEiEE10hipError_tPvRmT2_T3_T4_T5_mT6_T7_P12ihipStream_tbENKUlT_T0_E_clISt17integral_constantIbLb0EES12_IbLb1EEEEDaSY_SZ_EUlSY_E_NS1_11comp_targetILNS1_3genE10ELNS1_11target_archE1201ELNS1_3gpuE5ELNS1_3repE0EEENS1_30default_config_static_selectorELNS0_4arch9wavefront6targetE0EEEvT1_,"axG",@progbits,_ZN7rocprim17ROCPRIM_400000_NS6detail17trampoline_kernelINS0_14default_configENS1_27scan_by_key_config_selectorIiiEEZZNS1_16scan_by_key_implILNS1_25lookback_scan_determinismE0ELb1ES3_N6thrust23THRUST_200600_302600_NS6detail15normal_iteratorINS9_10device_ptrIiEEEENSB_INSC_IjEEEENSB_INSC_IfEEEEiNS9_4plusIvEENS9_8equal_toIvEEiEE10hipError_tPvRmT2_T3_T4_T5_mT6_T7_P12ihipStream_tbENKUlT_T0_E_clISt17integral_constantIbLb0EES12_IbLb1EEEEDaSY_SZ_EUlSY_E_NS1_11comp_targetILNS1_3genE10ELNS1_11target_archE1201ELNS1_3gpuE5ELNS1_3repE0EEENS1_30default_config_static_selectorELNS0_4arch9wavefront6targetE0EEEvT1_,comdat
.Lfunc_end1744:
	.size	_ZN7rocprim17ROCPRIM_400000_NS6detail17trampoline_kernelINS0_14default_configENS1_27scan_by_key_config_selectorIiiEEZZNS1_16scan_by_key_implILNS1_25lookback_scan_determinismE0ELb1ES3_N6thrust23THRUST_200600_302600_NS6detail15normal_iteratorINS9_10device_ptrIiEEEENSB_INSC_IjEEEENSB_INSC_IfEEEEiNS9_4plusIvEENS9_8equal_toIvEEiEE10hipError_tPvRmT2_T3_T4_T5_mT6_T7_P12ihipStream_tbENKUlT_T0_E_clISt17integral_constantIbLb0EES12_IbLb1EEEEDaSY_SZ_EUlSY_E_NS1_11comp_targetILNS1_3genE10ELNS1_11target_archE1201ELNS1_3gpuE5ELNS1_3repE0EEENS1_30default_config_static_selectorELNS0_4arch9wavefront6targetE0EEEvT1_, .Lfunc_end1744-_ZN7rocprim17ROCPRIM_400000_NS6detail17trampoline_kernelINS0_14default_configENS1_27scan_by_key_config_selectorIiiEEZZNS1_16scan_by_key_implILNS1_25lookback_scan_determinismE0ELb1ES3_N6thrust23THRUST_200600_302600_NS6detail15normal_iteratorINS9_10device_ptrIiEEEENSB_INSC_IjEEEENSB_INSC_IfEEEEiNS9_4plusIvEENS9_8equal_toIvEEiEE10hipError_tPvRmT2_T3_T4_T5_mT6_T7_P12ihipStream_tbENKUlT_T0_E_clISt17integral_constantIbLb0EES12_IbLb1EEEEDaSY_SZ_EUlSY_E_NS1_11comp_targetILNS1_3genE10ELNS1_11target_archE1201ELNS1_3gpuE5ELNS1_3repE0EEENS1_30default_config_static_selectorELNS0_4arch9wavefront6targetE0EEEvT1_
                                        ; -- End function
	.set _ZN7rocprim17ROCPRIM_400000_NS6detail17trampoline_kernelINS0_14default_configENS1_27scan_by_key_config_selectorIiiEEZZNS1_16scan_by_key_implILNS1_25lookback_scan_determinismE0ELb1ES3_N6thrust23THRUST_200600_302600_NS6detail15normal_iteratorINS9_10device_ptrIiEEEENSB_INSC_IjEEEENSB_INSC_IfEEEEiNS9_4plusIvEENS9_8equal_toIvEEiEE10hipError_tPvRmT2_T3_T4_T5_mT6_T7_P12ihipStream_tbENKUlT_T0_E_clISt17integral_constantIbLb0EES12_IbLb1EEEEDaSY_SZ_EUlSY_E_NS1_11comp_targetILNS1_3genE10ELNS1_11target_archE1201ELNS1_3gpuE5ELNS1_3repE0EEENS1_30default_config_static_selectorELNS0_4arch9wavefront6targetE0EEEvT1_.num_vgpr, 0
	.set _ZN7rocprim17ROCPRIM_400000_NS6detail17trampoline_kernelINS0_14default_configENS1_27scan_by_key_config_selectorIiiEEZZNS1_16scan_by_key_implILNS1_25lookback_scan_determinismE0ELb1ES3_N6thrust23THRUST_200600_302600_NS6detail15normal_iteratorINS9_10device_ptrIiEEEENSB_INSC_IjEEEENSB_INSC_IfEEEEiNS9_4plusIvEENS9_8equal_toIvEEiEE10hipError_tPvRmT2_T3_T4_T5_mT6_T7_P12ihipStream_tbENKUlT_T0_E_clISt17integral_constantIbLb0EES12_IbLb1EEEEDaSY_SZ_EUlSY_E_NS1_11comp_targetILNS1_3genE10ELNS1_11target_archE1201ELNS1_3gpuE5ELNS1_3repE0EEENS1_30default_config_static_selectorELNS0_4arch9wavefront6targetE0EEEvT1_.num_agpr, 0
	.set _ZN7rocprim17ROCPRIM_400000_NS6detail17trampoline_kernelINS0_14default_configENS1_27scan_by_key_config_selectorIiiEEZZNS1_16scan_by_key_implILNS1_25lookback_scan_determinismE0ELb1ES3_N6thrust23THRUST_200600_302600_NS6detail15normal_iteratorINS9_10device_ptrIiEEEENSB_INSC_IjEEEENSB_INSC_IfEEEEiNS9_4plusIvEENS9_8equal_toIvEEiEE10hipError_tPvRmT2_T3_T4_T5_mT6_T7_P12ihipStream_tbENKUlT_T0_E_clISt17integral_constantIbLb0EES12_IbLb1EEEEDaSY_SZ_EUlSY_E_NS1_11comp_targetILNS1_3genE10ELNS1_11target_archE1201ELNS1_3gpuE5ELNS1_3repE0EEENS1_30default_config_static_selectorELNS0_4arch9wavefront6targetE0EEEvT1_.numbered_sgpr, 0
	.set _ZN7rocprim17ROCPRIM_400000_NS6detail17trampoline_kernelINS0_14default_configENS1_27scan_by_key_config_selectorIiiEEZZNS1_16scan_by_key_implILNS1_25lookback_scan_determinismE0ELb1ES3_N6thrust23THRUST_200600_302600_NS6detail15normal_iteratorINS9_10device_ptrIiEEEENSB_INSC_IjEEEENSB_INSC_IfEEEEiNS9_4plusIvEENS9_8equal_toIvEEiEE10hipError_tPvRmT2_T3_T4_T5_mT6_T7_P12ihipStream_tbENKUlT_T0_E_clISt17integral_constantIbLb0EES12_IbLb1EEEEDaSY_SZ_EUlSY_E_NS1_11comp_targetILNS1_3genE10ELNS1_11target_archE1201ELNS1_3gpuE5ELNS1_3repE0EEENS1_30default_config_static_selectorELNS0_4arch9wavefront6targetE0EEEvT1_.num_named_barrier, 0
	.set _ZN7rocprim17ROCPRIM_400000_NS6detail17trampoline_kernelINS0_14default_configENS1_27scan_by_key_config_selectorIiiEEZZNS1_16scan_by_key_implILNS1_25lookback_scan_determinismE0ELb1ES3_N6thrust23THRUST_200600_302600_NS6detail15normal_iteratorINS9_10device_ptrIiEEEENSB_INSC_IjEEEENSB_INSC_IfEEEEiNS9_4plusIvEENS9_8equal_toIvEEiEE10hipError_tPvRmT2_T3_T4_T5_mT6_T7_P12ihipStream_tbENKUlT_T0_E_clISt17integral_constantIbLb0EES12_IbLb1EEEEDaSY_SZ_EUlSY_E_NS1_11comp_targetILNS1_3genE10ELNS1_11target_archE1201ELNS1_3gpuE5ELNS1_3repE0EEENS1_30default_config_static_selectorELNS0_4arch9wavefront6targetE0EEEvT1_.private_seg_size, 0
	.set _ZN7rocprim17ROCPRIM_400000_NS6detail17trampoline_kernelINS0_14default_configENS1_27scan_by_key_config_selectorIiiEEZZNS1_16scan_by_key_implILNS1_25lookback_scan_determinismE0ELb1ES3_N6thrust23THRUST_200600_302600_NS6detail15normal_iteratorINS9_10device_ptrIiEEEENSB_INSC_IjEEEENSB_INSC_IfEEEEiNS9_4plusIvEENS9_8equal_toIvEEiEE10hipError_tPvRmT2_T3_T4_T5_mT6_T7_P12ihipStream_tbENKUlT_T0_E_clISt17integral_constantIbLb0EES12_IbLb1EEEEDaSY_SZ_EUlSY_E_NS1_11comp_targetILNS1_3genE10ELNS1_11target_archE1201ELNS1_3gpuE5ELNS1_3repE0EEENS1_30default_config_static_selectorELNS0_4arch9wavefront6targetE0EEEvT1_.uses_vcc, 0
	.set _ZN7rocprim17ROCPRIM_400000_NS6detail17trampoline_kernelINS0_14default_configENS1_27scan_by_key_config_selectorIiiEEZZNS1_16scan_by_key_implILNS1_25lookback_scan_determinismE0ELb1ES3_N6thrust23THRUST_200600_302600_NS6detail15normal_iteratorINS9_10device_ptrIiEEEENSB_INSC_IjEEEENSB_INSC_IfEEEEiNS9_4plusIvEENS9_8equal_toIvEEiEE10hipError_tPvRmT2_T3_T4_T5_mT6_T7_P12ihipStream_tbENKUlT_T0_E_clISt17integral_constantIbLb0EES12_IbLb1EEEEDaSY_SZ_EUlSY_E_NS1_11comp_targetILNS1_3genE10ELNS1_11target_archE1201ELNS1_3gpuE5ELNS1_3repE0EEENS1_30default_config_static_selectorELNS0_4arch9wavefront6targetE0EEEvT1_.uses_flat_scratch, 0
	.set _ZN7rocprim17ROCPRIM_400000_NS6detail17trampoline_kernelINS0_14default_configENS1_27scan_by_key_config_selectorIiiEEZZNS1_16scan_by_key_implILNS1_25lookback_scan_determinismE0ELb1ES3_N6thrust23THRUST_200600_302600_NS6detail15normal_iteratorINS9_10device_ptrIiEEEENSB_INSC_IjEEEENSB_INSC_IfEEEEiNS9_4plusIvEENS9_8equal_toIvEEiEE10hipError_tPvRmT2_T3_T4_T5_mT6_T7_P12ihipStream_tbENKUlT_T0_E_clISt17integral_constantIbLb0EES12_IbLb1EEEEDaSY_SZ_EUlSY_E_NS1_11comp_targetILNS1_3genE10ELNS1_11target_archE1201ELNS1_3gpuE5ELNS1_3repE0EEENS1_30default_config_static_selectorELNS0_4arch9wavefront6targetE0EEEvT1_.has_dyn_sized_stack, 0
	.set _ZN7rocprim17ROCPRIM_400000_NS6detail17trampoline_kernelINS0_14default_configENS1_27scan_by_key_config_selectorIiiEEZZNS1_16scan_by_key_implILNS1_25lookback_scan_determinismE0ELb1ES3_N6thrust23THRUST_200600_302600_NS6detail15normal_iteratorINS9_10device_ptrIiEEEENSB_INSC_IjEEEENSB_INSC_IfEEEEiNS9_4plusIvEENS9_8equal_toIvEEiEE10hipError_tPvRmT2_T3_T4_T5_mT6_T7_P12ihipStream_tbENKUlT_T0_E_clISt17integral_constantIbLb0EES12_IbLb1EEEEDaSY_SZ_EUlSY_E_NS1_11comp_targetILNS1_3genE10ELNS1_11target_archE1201ELNS1_3gpuE5ELNS1_3repE0EEENS1_30default_config_static_selectorELNS0_4arch9wavefront6targetE0EEEvT1_.has_recursion, 0
	.set _ZN7rocprim17ROCPRIM_400000_NS6detail17trampoline_kernelINS0_14default_configENS1_27scan_by_key_config_selectorIiiEEZZNS1_16scan_by_key_implILNS1_25lookback_scan_determinismE0ELb1ES3_N6thrust23THRUST_200600_302600_NS6detail15normal_iteratorINS9_10device_ptrIiEEEENSB_INSC_IjEEEENSB_INSC_IfEEEEiNS9_4plusIvEENS9_8equal_toIvEEiEE10hipError_tPvRmT2_T3_T4_T5_mT6_T7_P12ihipStream_tbENKUlT_T0_E_clISt17integral_constantIbLb0EES12_IbLb1EEEEDaSY_SZ_EUlSY_E_NS1_11comp_targetILNS1_3genE10ELNS1_11target_archE1201ELNS1_3gpuE5ELNS1_3repE0EEENS1_30default_config_static_selectorELNS0_4arch9wavefront6targetE0EEEvT1_.has_indirect_call, 0
	.section	.AMDGPU.csdata,"",@progbits
; Kernel info:
; codeLenInByte = 0
; TotalNumSgprs: 0
; NumVgprs: 0
; ScratchSize: 0
; MemoryBound: 0
; FloatMode: 240
; IeeeMode: 1
; LDSByteSize: 0 bytes/workgroup (compile time only)
; SGPRBlocks: 0
; VGPRBlocks: 0
; NumSGPRsForWavesPerEU: 1
; NumVGPRsForWavesPerEU: 1
; NamedBarCnt: 0
; Occupancy: 16
; WaveLimiterHint : 0
; COMPUTE_PGM_RSRC2:SCRATCH_EN: 0
; COMPUTE_PGM_RSRC2:USER_SGPR: 2
; COMPUTE_PGM_RSRC2:TRAP_HANDLER: 0
; COMPUTE_PGM_RSRC2:TGID_X_EN: 1
; COMPUTE_PGM_RSRC2:TGID_Y_EN: 0
; COMPUTE_PGM_RSRC2:TGID_Z_EN: 0
; COMPUTE_PGM_RSRC2:TIDIG_COMP_CNT: 0
	.section	.text._ZN7rocprim17ROCPRIM_400000_NS6detail17trampoline_kernelINS0_14default_configENS1_27scan_by_key_config_selectorIiiEEZZNS1_16scan_by_key_implILNS1_25lookback_scan_determinismE0ELb1ES3_N6thrust23THRUST_200600_302600_NS6detail15normal_iteratorINS9_10device_ptrIiEEEENSB_INSC_IjEEEENSB_INSC_IfEEEEiNS9_4plusIvEENS9_8equal_toIvEEiEE10hipError_tPvRmT2_T3_T4_T5_mT6_T7_P12ihipStream_tbENKUlT_T0_E_clISt17integral_constantIbLb0EES12_IbLb1EEEEDaSY_SZ_EUlSY_E_NS1_11comp_targetILNS1_3genE5ELNS1_11target_archE942ELNS1_3gpuE9ELNS1_3repE0EEENS1_30default_config_static_selectorELNS0_4arch9wavefront6targetE0EEEvT1_,"axG",@progbits,_ZN7rocprim17ROCPRIM_400000_NS6detail17trampoline_kernelINS0_14default_configENS1_27scan_by_key_config_selectorIiiEEZZNS1_16scan_by_key_implILNS1_25lookback_scan_determinismE0ELb1ES3_N6thrust23THRUST_200600_302600_NS6detail15normal_iteratorINS9_10device_ptrIiEEEENSB_INSC_IjEEEENSB_INSC_IfEEEEiNS9_4plusIvEENS9_8equal_toIvEEiEE10hipError_tPvRmT2_T3_T4_T5_mT6_T7_P12ihipStream_tbENKUlT_T0_E_clISt17integral_constantIbLb0EES12_IbLb1EEEEDaSY_SZ_EUlSY_E_NS1_11comp_targetILNS1_3genE5ELNS1_11target_archE942ELNS1_3gpuE9ELNS1_3repE0EEENS1_30default_config_static_selectorELNS0_4arch9wavefront6targetE0EEEvT1_,comdat
	.protected	_ZN7rocprim17ROCPRIM_400000_NS6detail17trampoline_kernelINS0_14default_configENS1_27scan_by_key_config_selectorIiiEEZZNS1_16scan_by_key_implILNS1_25lookback_scan_determinismE0ELb1ES3_N6thrust23THRUST_200600_302600_NS6detail15normal_iteratorINS9_10device_ptrIiEEEENSB_INSC_IjEEEENSB_INSC_IfEEEEiNS9_4plusIvEENS9_8equal_toIvEEiEE10hipError_tPvRmT2_T3_T4_T5_mT6_T7_P12ihipStream_tbENKUlT_T0_E_clISt17integral_constantIbLb0EES12_IbLb1EEEEDaSY_SZ_EUlSY_E_NS1_11comp_targetILNS1_3genE5ELNS1_11target_archE942ELNS1_3gpuE9ELNS1_3repE0EEENS1_30default_config_static_selectorELNS0_4arch9wavefront6targetE0EEEvT1_ ; -- Begin function _ZN7rocprim17ROCPRIM_400000_NS6detail17trampoline_kernelINS0_14default_configENS1_27scan_by_key_config_selectorIiiEEZZNS1_16scan_by_key_implILNS1_25lookback_scan_determinismE0ELb1ES3_N6thrust23THRUST_200600_302600_NS6detail15normal_iteratorINS9_10device_ptrIiEEEENSB_INSC_IjEEEENSB_INSC_IfEEEEiNS9_4plusIvEENS9_8equal_toIvEEiEE10hipError_tPvRmT2_T3_T4_T5_mT6_T7_P12ihipStream_tbENKUlT_T0_E_clISt17integral_constantIbLb0EES12_IbLb1EEEEDaSY_SZ_EUlSY_E_NS1_11comp_targetILNS1_3genE5ELNS1_11target_archE942ELNS1_3gpuE9ELNS1_3repE0EEENS1_30default_config_static_selectorELNS0_4arch9wavefront6targetE0EEEvT1_
	.globl	_ZN7rocprim17ROCPRIM_400000_NS6detail17trampoline_kernelINS0_14default_configENS1_27scan_by_key_config_selectorIiiEEZZNS1_16scan_by_key_implILNS1_25lookback_scan_determinismE0ELb1ES3_N6thrust23THRUST_200600_302600_NS6detail15normal_iteratorINS9_10device_ptrIiEEEENSB_INSC_IjEEEENSB_INSC_IfEEEEiNS9_4plusIvEENS9_8equal_toIvEEiEE10hipError_tPvRmT2_T3_T4_T5_mT6_T7_P12ihipStream_tbENKUlT_T0_E_clISt17integral_constantIbLb0EES12_IbLb1EEEEDaSY_SZ_EUlSY_E_NS1_11comp_targetILNS1_3genE5ELNS1_11target_archE942ELNS1_3gpuE9ELNS1_3repE0EEENS1_30default_config_static_selectorELNS0_4arch9wavefront6targetE0EEEvT1_
	.p2align	8
	.type	_ZN7rocprim17ROCPRIM_400000_NS6detail17trampoline_kernelINS0_14default_configENS1_27scan_by_key_config_selectorIiiEEZZNS1_16scan_by_key_implILNS1_25lookback_scan_determinismE0ELb1ES3_N6thrust23THRUST_200600_302600_NS6detail15normal_iteratorINS9_10device_ptrIiEEEENSB_INSC_IjEEEENSB_INSC_IfEEEEiNS9_4plusIvEENS9_8equal_toIvEEiEE10hipError_tPvRmT2_T3_T4_T5_mT6_T7_P12ihipStream_tbENKUlT_T0_E_clISt17integral_constantIbLb0EES12_IbLb1EEEEDaSY_SZ_EUlSY_E_NS1_11comp_targetILNS1_3genE5ELNS1_11target_archE942ELNS1_3gpuE9ELNS1_3repE0EEENS1_30default_config_static_selectorELNS0_4arch9wavefront6targetE0EEEvT1_,@function
_ZN7rocprim17ROCPRIM_400000_NS6detail17trampoline_kernelINS0_14default_configENS1_27scan_by_key_config_selectorIiiEEZZNS1_16scan_by_key_implILNS1_25lookback_scan_determinismE0ELb1ES3_N6thrust23THRUST_200600_302600_NS6detail15normal_iteratorINS9_10device_ptrIiEEEENSB_INSC_IjEEEENSB_INSC_IfEEEEiNS9_4plusIvEENS9_8equal_toIvEEiEE10hipError_tPvRmT2_T3_T4_T5_mT6_T7_P12ihipStream_tbENKUlT_T0_E_clISt17integral_constantIbLb0EES12_IbLb1EEEEDaSY_SZ_EUlSY_E_NS1_11comp_targetILNS1_3genE5ELNS1_11target_archE942ELNS1_3gpuE9ELNS1_3repE0EEENS1_30default_config_static_selectorELNS0_4arch9wavefront6targetE0EEEvT1_: ; @_ZN7rocprim17ROCPRIM_400000_NS6detail17trampoline_kernelINS0_14default_configENS1_27scan_by_key_config_selectorIiiEEZZNS1_16scan_by_key_implILNS1_25lookback_scan_determinismE0ELb1ES3_N6thrust23THRUST_200600_302600_NS6detail15normal_iteratorINS9_10device_ptrIiEEEENSB_INSC_IjEEEENSB_INSC_IfEEEEiNS9_4plusIvEENS9_8equal_toIvEEiEE10hipError_tPvRmT2_T3_T4_T5_mT6_T7_P12ihipStream_tbENKUlT_T0_E_clISt17integral_constantIbLb0EES12_IbLb1EEEEDaSY_SZ_EUlSY_E_NS1_11comp_targetILNS1_3genE5ELNS1_11target_archE942ELNS1_3gpuE9ELNS1_3repE0EEENS1_30default_config_static_selectorELNS0_4arch9wavefront6targetE0EEEvT1_
; %bb.0:
	.section	.rodata,"a",@progbits
	.p2align	6, 0x0
	.amdhsa_kernel _ZN7rocprim17ROCPRIM_400000_NS6detail17trampoline_kernelINS0_14default_configENS1_27scan_by_key_config_selectorIiiEEZZNS1_16scan_by_key_implILNS1_25lookback_scan_determinismE0ELb1ES3_N6thrust23THRUST_200600_302600_NS6detail15normal_iteratorINS9_10device_ptrIiEEEENSB_INSC_IjEEEENSB_INSC_IfEEEEiNS9_4plusIvEENS9_8equal_toIvEEiEE10hipError_tPvRmT2_T3_T4_T5_mT6_T7_P12ihipStream_tbENKUlT_T0_E_clISt17integral_constantIbLb0EES12_IbLb1EEEEDaSY_SZ_EUlSY_E_NS1_11comp_targetILNS1_3genE5ELNS1_11target_archE942ELNS1_3gpuE9ELNS1_3repE0EEENS1_30default_config_static_selectorELNS0_4arch9wavefront6targetE0EEEvT1_
		.amdhsa_group_segment_fixed_size 0
		.amdhsa_private_segment_fixed_size 0
		.amdhsa_kernarg_size 112
		.amdhsa_user_sgpr_count 2
		.amdhsa_user_sgpr_dispatch_ptr 0
		.amdhsa_user_sgpr_queue_ptr 0
		.amdhsa_user_sgpr_kernarg_segment_ptr 1
		.amdhsa_user_sgpr_dispatch_id 0
		.amdhsa_user_sgpr_kernarg_preload_length 0
		.amdhsa_user_sgpr_kernarg_preload_offset 0
		.amdhsa_user_sgpr_private_segment_size 0
		.amdhsa_wavefront_size32 1
		.amdhsa_uses_dynamic_stack 0
		.amdhsa_enable_private_segment 0
		.amdhsa_system_sgpr_workgroup_id_x 1
		.amdhsa_system_sgpr_workgroup_id_y 0
		.amdhsa_system_sgpr_workgroup_id_z 0
		.amdhsa_system_sgpr_workgroup_info 0
		.amdhsa_system_vgpr_workitem_id 0
		.amdhsa_next_free_vgpr 1
		.amdhsa_next_free_sgpr 1
		.amdhsa_named_barrier_count 0
		.amdhsa_reserve_vcc 0
		.amdhsa_float_round_mode_32 0
		.amdhsa_float_round_mode_16_64 0
		.amdhsa_float_denorm_mode_32 3
		.amdhsa_float_denorm_mode_16_64 3
		.amdhsa_fp16_overflow 0
		.amdhsa_memory_ordered 1
		.amdhsa_forward_progress 1
		.amdhsa_inst_pref_size 0
		.amdhsa_round_robin_scheduling 0
		.amdhsa_exception_fp_ieee_invalid_op 0
		.amdhsa_exception_fp_denorm_src 0
		.amdhsa_exception_fp_ieee_div_zero 0
		.amdhsa_exception_fp_ieee_overflow 0
		.amdhsa_exception_fp_ieee_underflow 0
		.amdhsa_exception_fp_ieee_inexact 0
		.amdhsa_exception_int_div_zero 0
	.end_amdhsa_kernel
	.section	.text._ZN7rocprim17ROCPRIM_400000_NS6detail17trampoline_kernelINS0_14default_configENS1_27scan_by_key_config_selectorIiiEEZZNS1_16scan_by_key_implILNS1_25lookback_scan_determinismE0ELb1ES3_N6thrust23THRUST_200600_302600_NS6detail15normal_iteratorINS9_10device_ptrIiEEEENSB_INSC_IjEEEENSB_INSC_IfEEEEiNS9_4plusIvEENS9_8equal_toIvEEiEE10hipError_tPvRmT2_T3_T4_T5_mT6_T7_P12ihipStream_tbENKUlT_T0_E_clISt17integral_constantIbLb0EES12_IbLb1EEEEDaSY_SZ_EUlSY_E_NS1_11comp_targetILNS1_3genE5ELNS1_11target_archE942ELNS1_3gpuE9ELNS1_3repE0EEENS1_30default_config_static_selectorELNS0_4arch9wavefront6targetE0EEEvT1_,"axG",@progbits,_ZN7rocprim17ROCPRIM_400000_NS6detail17trampoline_kernelINS0_14default_configENS1_27scan_by_key_config_selectorIiiEEZZNS1_16scan_by_key_implILNS1_25lookback_scan_determinismE0ELb1ES3_N6thrust23THRUST_200600_302600_NS6detail15normal_iteratorINS9_10device_ptrIiEEEENSB_INSC_IjEEEENSB_INSC_IfEEEEiNS9_4plusIvEENS9_8equal_toIvEEiEE10hipError_tPvRmT2_T3_T4_T5_mT6_T7_P12ihipStream_tbENKUlT_T0_E_clISt17integral_constantIbLb0EES12_IbLb1EEEEDaSY_SZ_EUlSY_E_NS1_11comp_targetILNS1_3genE5ELNS1_11target_archE942ELNS1_3gpuE9ELNS1_3repE0EEENS1_30default_config_static_selectorELNS0_4arch9wavefront6targetE0EEEvT1_,comdat
.Lfunc_end1745:
	.size	_ZN7rocprim17ROCPRIM_400000_NS6detail17trampoline_kernelINS0_14default_configENS1_27scan_by_key_config_selectorIiiEEZZNS1_16scan_by_key_implILNS1_25lookback_scan_determinismE0ELb1ES3_N6thrust23THRUST_200600_302600_NS6detail15normal_iteratorINS9_10device_ptrIiEEEENSB_INSC_IjEEEENSB_INSC_IfEEEEiNS9_4plusIvEENS9_8equal_toIvEEiEE10hipError_tPvRmT2_T3_T4_T5_mT6_T7_P12ihipStream_tbENKUlT_T0_E_clISt17integral_constantIbLb0EES12_IbLb1EEEEDaSY_SZ_EUlSY_E_NS1_11comp_targetILNS1_3genE5ELNS1_11target_archE942ELNS1_3gpuE9ELNS1_3repE0EEENS1_30default_config_static_selectorELNS0_4arch9wavefront6targetE0EEEvT1_, .Lfunc_end1745-_ZN7rocprim17ROCPRIM_400000_NS6detail17trampoline_kernelINS0_14default_configENS1_27scan_by_key_config_selectorIiiEEZZNS1_16scan_by_key_implILNS1_25lookback_scan_determinismE0ELb1ES3_N6thrust23THRUST_200600_302600_NS6detail15normal_iteratorINS9_10device_ptrIiEEEENSB_INSC_IjEEEENSB_INSC_IfEEEEiNS9_4plusIvEENS9_8equal_toIvEEiEE10hipError_tPvRmT2_T3_T4_T5_mT6_T7_P12ihipStream_tbENKUlT_T0_E_clISt17integral_constantIbLb0EES12_IbLb1EEEEDaSY_SZ_EUlSY_E_NS1_11comp_targetILNS1_3genE5ELNS1_11target_archE942ELNS1_3gpuE9ELNS1_3repE0EEENS1_30default_config_static_selectorELNS0_4arch9wavefront6targetE0EEEvT1_
                                        ; -- End function
	.set _ZN7rocprim17ROCPRIM_400000_NS6detail17trampoline_kernelINS0_14default_configENS1_27scan_by_key_config_selectorIiiEEZZNS1_16scan_by_key_implILNS1_25lookback_scan_determinismE0ELb1ES3_N6thrust23THRUST_200600_302600_NS6detail15normal_iteratorINS9_10device_ptrIiEEEENSB_INSC_IjEEEENSB_INSC_IfEEEEiNS9_4plusIvEENS9_8equal_toIvEEiEE10hipError_tPvRmT2_T3_T4_T5_mT6_T7_P12ihipStream_tbENKUlT_T0_E_clISt17integral_constantIbLb0EES12_IbLb1EEEEDaSY_SZ_EUlSY_E_NS1_11comp_targetILNS1_3genE5ELNS1_11target_archE942ELNS1_3gpuE9ELNS1_3repE0EEENS1_30default_config_static_selectorELNS0_4arch9wavefront6targetE0EEEvT1_.num_vgpr, 0
	.set _ZN7rocprim17ROCPRIM_400000_NS6detail17trampoline_kernelINS0_14default_configENS1_27scan_by_key_config_selectorIiiEEZZNS1_16scan_by_key_implILNS1_25lookback_scan_determinismE0ELb1ES3_N6thrust23THRUST_200600_302600_NS6detail15normal_iteratorINS9_10device_ptrIiEEEENSB_INSC_IjEEEENSB_INSC_IfEEEEiNS9_4plusIvEENS9_8equal_toIvEEiEE10hipError_tPvRmT2_T3_T4_T5_mT6_T7_P12ihipStream_tbENKUlT_T0_E_clISt17integral_constantIbLb0EES12_IbLb1EEEEDaSY_SZ_EUlSY_E_NS1_11comp_targetILNS1_3genE5ELNS1_11target_archE942ELNS1_3gpuE9ELNS1_3repE0EEENS1_30default_config_static_selectorELNS0_4arch9wavefront6targetE0EEEvT1_.num_agpr, 0
	.set _ZN7rocprim17ROCPRIM_400000_NS6detail17trampoline_kernelINS0_14default_configENS1_27scan_by_key_config_selectorIiiEEZZNS1_16scan_by_key_implILNS1_25lookback_scan_determinismE0ELb1ES3_N6thrust23THRUST_200600_302600_NS6detail15normal_iteratorINS9_10device_ptrIiEEEENSB_INSC_IjEEEENSB_INSC_IfEEEEiNS9_4plusIvEENS9_8equal_toIvEEiEE10hipError_tPvRmT2_T3_T4_T5_mT6_T7_P12ihipStream_tbENKUlT_T0_E_clISt17integral_constantIbLb0EES12_IbLb1EEEEDaSY_SZ_EUlSY_E_NS1_11comp_targetILNS1_3genE5ELNS1_11target_archE942ELNS1_3gpuE9ELNS1_3repE0EEENS1_30default_config_static_selectorELNS0_4arch9wavefront6targetE0EEEvT1_.numbered_sgpr, 0
	.set _ZN7rocprim17ROCPRIM_400000_NS6detail17trampoline_kernelINS0_14default_configENS1_27scan_by_key_config_selectorIiiEEZZNS1_16scan_by_key_implILNS1_25lookback_scan_determinismE0ELb1ES3_N6thrust23THRUST_200600_302600_NS6detail15normal_iteratorINS9_10device_ptrIiEEEENSB_INSC_IjEEEENSB_INSC_IfEEEEiNS9_4plusIvEENS9_8equal_toIvEEiEE10hipError_tPvRmT2_T3_T4_T5_mT6_T7_P12ihipStream_tbENKUlT_T0_E_clISt17integral_constantIbLb0EES12_IbLb1EEEEDaSY_SZ_EUlSY_E_NS1_11comp_targetILNS1_3genE5ELNS1_11target_archE942ELNS1_3gpuE9ELNS1_3repE0EEENS1_30default_config_static_selectorELNS0_4arch9wavefront6targetE0EEEvT1_.num_named_barrier, 0
	.set _ZN7rocprim17ROCPRIM_400000_NS6detail17trampoline_kernelINS0_14default_configENS1_27scan_by_key_config_selectorIiiEEZZNS1_16scan_by_key_implILNS1_25lookback_scan_determinismE0ELb1ES3_N6thrust23THRUST_200600_302600_NS6detail15normal_iteratorINS9_10device_ptrIiEEEENSB_INSC_IjEEEENSB_INSC_IfEEEEiNS9_4plusIvEENS9_8equal_toIvEEiEE10hipError_tPvRmT2_T3_T4_T5_mT6_T7_P12ihipStream_tbENKUlT_T0_E_clISt17integral_constantIbLb0EES12_IbLb1EEEEDaSY_SZ_EUlSY_E_NS1_11comp_targetILNS1_3genE5ELNS1_11target_archE942ELNS1_3gpuE9ELNS1_3repE0EEENS1_30default_config_static_selectorELNS0_4arch9wavefront6targetE0EEEvT1_.private_seg_size, 0
	.set _ZN7rocprim17ROCPRIM_400000_NS6detail17trampoline_kernelINS0_14default_configENS1_27scan_by_key_config_selectorIiiEEZZNS1_16scan_by_key_implILNS1_25lookback_scan_determinismE0ELb1ES3_N6thrust23THRUST_200600_302600_NS6detail15normal_iteratorINS9_10device_ptrIiEEEENSB_INSC_IjEEEENSB_INSC_IfEEEEiNS9_4plusIvEENS9_8equal_toIvEEiEE10hipError_tPvRmT2_T3_T4_T5_mT6_T7_P12ihipStream_tbENKUlT_T0_E_clISt17integral_constantIbLb0EES12_IbLb1EEEEDaSY_SZ_EUlSY_E_NS1_11comp_targetILNS1_3genE5ELNS1_11target_archE942ELNS1_3gpuE9ELNS1_3repE0EEENS1_30default_config_static_selectorELNS0_4arch9wavefront6targetE0EEEvT1_.uses_vcc, 0
	.set _ZN7rocprim17ROCPRIM_400000_NS6detail17trampoline_kernelINS0_14default_configENS1_27scan_by_key_config_selectorIiiEEZZNS1_16scan_by_key_implILNS1_25lookback_scan_determinismE0ELb1ES3_N6thrust23THRUST_200600_302600_NS6detail15normal_iteratorINS9_10device_ptrIiEEEENSB_INSC_IjEEEENSB_INSC_IfEEEEiNS9_4plusIvEENS9_8equal_toIvEEiEE10hipError_tPvRmT2_T3_T4_T5_mT6_T7_P12ihipStream_tbENKUlT_T0_E_clISt17integral_constantIbLb0EES12_IbLb1EEEEDaSY_SZ_EUlSY_E_NS1_11comp_targetILNS1_3genE5ELNS1_11target_archE942ELNS1_3gpuE9ELNS1_3repE0EEENS1_30default_config_static_selectorELNS0_4arch9wavefront6targetE0EEEvT1_.uses_flat_scratch, 0
	.set _ZN7rocprim17ROCPRIM_400000_NS6detail17trampoline_kernelINS0_14default_configENS1_27scan_by_key_config_selectorIiiEEZZNS1_16scan_by_key_implILNS1_25lookback_scan_determinismE0ELb1ES3_N6thrust23THRUST_200600_302600_NS6detail15normal_iteratorINS9_10device_ptrIiEEEENSB_INSC_IjEEEENSB_INSC_IfEEEEiNS9_4plusIvEENS9_8equal_toIvEEiEE10hipError_tPvRmT2_T3_T4_T5_mT6_T7_P12ihipStream_tbENKUlT_T0_E_clISt17integral_constantIbLb0EES12_IbLb1EEEEDaSY_SZ_EUlSY_E_NS1_11comp_targetILNS1_3genE5ELNS1_11target_archE942ELNS1_3gpuE9ELNS1_3repE0EEENS1_30default_config_static_selectorELNS0_4arch9wavefront6targetE0EEEvT1_.has_dyn_sized_stack, 0
	.set _ZN7rocprim17ROCPRIM_400000_NS6detail17trampoline_kernelINS0_14default_configENS1_27scan_by_key_config_selectorIiiEEZZNS1_16scan_by_key_implILNS1_25lookback_scan_determinismE0ELb1ES3_N6thrust23THRUST_200600_302600_NS6detail15normal_iteratorINS9_10device_ptrIiEEEENSB_INSC_IjEEEENSB_INSC_IfEEEEiNS9_4plusIvEENS9_8equal_toIvEEiEE10hipError_tPvRmT2_T3_T4_T5_mT6_T7_P12ihipStream_tbENKUlT_T0_E_clISt17integral_constantIbLb0EES12_IbLb1EEEEDaSY_SZ_EUlSY_E_NS1_11comp_targetILNS1_3genE5ELNS1_11target_archE942ELNS1_3gpuE9ELNS1_3repE0EEENS1_30default_config_static_selectorELNS0_4arch9wavefront6targetE0EEEvT1_.has_recursion, 0
	.set _ZN7rocprim17ROCPRIM_400000_NS6detail17trampoline_kernelINS0_14default_configENS1_27scan_by_key_config_selectorIiiEEZZNS1_16scan_by_key_implILNS1_25lookback_scan_determinismE0ELb1ES3_N6thrust23THRUST_200600_302600_NS6detail15normal_iteratorINS9_10device_ptrIiEEEENSB_INSC_IjEEEENSB_INSC_IfEEEEiNS9_4plusIvEENS9_8equal_toIvEEiEE10hipError_tPvRmT2_T3_T4_T5_mT6_T7_P12ihipStream_tbENKUlT_T0_E_clISt17integral_constantIbLb0EES12_IbLb1EEEEDaSY_SZ_EUlSY_E_NS1_11comp_targetILNS1_3genE5ELNS1_11target_archE942ELNS1_3gpuE9ELNS1_3repE0EEENS1_30default_config_static_selectorELNS0_4arch9wavefront6targetE0EEEvT1_.has_indirect_call, 0
	.section	.AMDGPU.csdata,"",@progbits
; Kernel info:
; codeLenInByte = 0
; TotalNumSgprs: 0
; NumVgprs: 0
; ScratchSize: 0
; MemoryBound: 0
; FloatMode: 240
; IeeeMode: 1
; LDSByteSize: 0 bytes/workgroup (compile time only)
; SGPRBlocks: 0
; VGPRBlocks: 0
; NumSGPRsForWavesPerEU: 1
; NumVGPRsForWavesPerEU: 1
; NamedBarCnt: 0
; Occupancy: 16
; WaveLimiterHint : 0
; COMPUTE_PGM_RSRC2:SCRATCH_EN: 0
; COMPUTE_PGM_RSRC2:USER_SGPR: 2
; COMPUTE_PGM_RSRC2:TRAP_HANDLER: 0
; COMPUTE_PGM_RSRC2:TGID_X_EN: 1
; COMPUTE_PGM_RSRC2:TGID_Y_EN: 0
; COMPUTE_PGM_RSRC2:TGID_Z_EN: 0
; COMPUTE_PGM_RSRC2:TIDIG_COMP_CNT: 0
	.section	.text._ZN7rocprim17ROCPRIM_400000_NS6detail17trampoline_kernelINS0_14default_configENS1_27scan_by_key_config_selectorIiiEEZZNS1_16scan_by_key_implILNS1_25lookback_scan_determinismE0ELb1ES3_N6thrust23THRUST_200600_302600_NS6detail15normal_iteratorINS9_10device_ptrIiEEEENSB_INSC_IjEEEENSB_INSC_IfEEEEiNS9_4plusIvEENS9_8equal_toIvEEiEE10hipError_tPvRmT2_T3_T4_T5_mT6_T7_P12ihipStream_tbENKUlT_T0_E_clISt17integral_constantIbLb0EES12_IbLb1EEEEDaSY_SZ_EUlSY_E_NS1_11comp_targetILNS1_3genE4ELNS1_11target_archE910ELNS1_3gpuE8ELNS1_3repE0EEENS1_30default_config_static_selectorELNS0_4arch9wavefront6targetE0EEEvT1_,"axG",@progbits,_ZN7rocprim17ROCPRIM_400000_NS6detail17trampoline_kernelINS0_14default_configENS1_27scan_by_key_config_selectorIiiEEZZNS1_16scan_by_key_implILNS1_25lookback_scan_determinismE0ELb1ES3_N6thrust23THRUST_200600_302600_NS6detail15normal_iteratorINS9_10device_ptrIiEEEENSB_INSC_IjEEEENSB_INSC_IfEEEEiNS9_4plusIvEENS9_8equal_toIvEEiEE10hipError_tPvRmT2_T3_T4_T5_mT6_T7_P12ihipStream_tbENKUlT_T0_E_clISt17integral_constantIbLb0EES12_IbLb1EEEEDaSY_SZ_EUlSY_E_NS1_11comp_targetILNS1_3genE4ELNS1_11target_archE910ELNS1_3gpuE8ELNS1_3repE0EEENS1_30default_config_static_selectorELNS0_4arch9wavefront6targetE0EEEvT1_,comdat
	.protected	_ZN7rocprim17ROCPRIM_400000_NS6detail17trampoline_kernelINS0_14default_configENS1_27scan_by_key_config_selectorIiiEEZZNS1_16scan_by_key_implILNS1_25lookback_scan_determinismE0ELb1ES3_N6thrust23THRUST_200600_302600_NS6detail15normal_iteratorINS9_10device_ptrIiEEEENSB_INSC_IjEEEENSB_INSC_IfEEEEiNS9_4plusIvEENS9_8equal_toIvEEiEE10hipError_tPvRmT2_T3_T4_T5_mT6_T7_P12ihipStream_tbENKUlT_T0_E_clISt17integral_constantIbLb0EES12_IbLb1EEEEDaSY_SZ_EUlSY_E_NS1_11comp_targetILNS1_3genE4ELNS1_11target_archE910ELNS1_3gpuE8ELNS1_3repE0EEENS1_30default_config_static_selectorELNS0_4arch9wavefront6targetE0EEEvT1_ ; -- Begin function _ZN7rocprim17ROCPRIM_400000_NS6detail17trampoline_kernelINS0_14default_configENS1_27scan_by_key_config_selectorIiiEEZZNS1_16scan_by_key_implILNS1_25lookback_scan_determinismE0ELb1ES3_N6thrust23THRUST_200600_302600_NS6detail15normal_iteratorINS9_10device_ptrIiEEEENSB_INSC_IjEEEENSB_INSC_IfEEEEiNS9_4plusIvEENS9_8equal_toIvEEiEE10hipError_tPvRmT2_T3_T4_T5_mT6_T7_P12ihipStream_tbENKUlT_T0_E_clISt17integral_constantIbLb0EES12_IbLb1EEEEDaSY_SZ_EUlSY_E_NS1_11comp_targetILNS1_3genE4ELNS1_11target_archE910ELNS1_3gpuE8ELNS1_3repE0EEENS1_30default_config_static_selectorELNS0_4arch9wavefront6targetE0EEEvT1_
	.globl	_ZN7rocprim17ROCPRIM_400000_NS6detail17trampoline_kernelINS0_14default_configENS1_27scan_by_key_config_selectorIiiEEZZNS1_16scan_by_key_implILNS1_25lookback_scan_determinismE0ELb1ES3_N6thrust23THRUST_200600_302600_NS6detail15normal_iteratorINS9_10device_ptrIiEEEENSB_INSC_IjEEEENSB_INSC_IfEEEEiNS9_4plusIvEENS9_8equal_toIvEEiEE10hipError_tPvRmT2_T3_T4_T5_mT6_T7_P12ihipStream_tbENKUlT_T0_E_clISt17integral_constantIbLb0EES12_IbLb1EEEEDaSY_SZ_EUlSY_E_NS1_11comp_targetILNS1_3genE4ELNS1_11target_archE910ELNS1_3gpuE8ELNS1_3repE0EEENS1_30default_config_static_selectorELNS0_4arch9wavefront6targetE0EEEvT1_
	.p2align	8
	.type	_ZN7rocprim17ROCPRIM_400000_NS6detail17trampoline_kernelINS0_14default_configENS1_27scan_by_key_config_selectorIiiEEZZNS1_16scan_by_key_implILNS1_25lookback_scan_determinismE0ELb1ES3_N6thrust23THRUST_200600_302600_NS6detail15normal_iteratorINS9_10device_ptrIiEEEENSB_INSC_IjEEEENSB_INSC_IfEEEEiNS9_4plusIvEENS9_8equal_toIvEEiEE10hipError_tPvRmT2_T3_T4_T5_mT6_T7_P12ihipStream_tbENKUlT_T0_E_clISt17integral_constantIbLb0EES12_IbLb1EEEEDaSY_SZ_EUlSY_E_NS1_11comp_targetILNS1_3genE4ELNS1_11target_archE910ELNS1_3gpuE8ELNS1_3repE0EEENS1_30default_config_static_selectorELNS0_4arch9wavefront6targetE0EEEvT1_,@function
_ZN7rocprim17ROCPRIM_400000_NS6detail17trampoline_kernelINS0_14default_configENS1_27scan_by_key_config_selectorIiiEEZZNS1_16scan_by_key_implILNS1_25lookback_scan_determinismE0ELb1ES3_N6thrust23THRUST_200600_302600_NS6detail15normal_iteratorINS9_10device_ptrIiEEEENSB_INSC_IjEEEENSB_INSC_IfEEEEiNS9_4plusIvEENS9_8equal_toIvEEiEE10hipError_tPvRmT2_T3_T4_T5_mT6_T7_P12ihipStream_tbENKUlT_T0_E_clISt17integral_constantIbLb0EES12_IbLb1EEEEDaSY_SZ_EUlSY_E_NS1_11comp_targetILNS1_3genE4ELNS1_11target_archE910ELNS1_3gpuE8ELNS1_3repE0EEENS1_30default_config_static_selectorELNS0_4arch9wavefront6targetE0EEEvT1_: ; @_ZN7rocprim17ROCPRIM_400000_NS6detail17trampoline_kernelINS0_14default_configENS1_27scan_by_key_config_selectorIiiEEZZNS1_16scan_by_key_implILNS1_25lookback_scan_determinismE0ELb1ES3_N6thrust23THRUST_200600_302600_NS6detail15normal_iteratorINS9_10device_ptrIiEEEENSB_INSC_IjEEEENSB_INSC_IfEEEEiNS9_4plusIvEENS9_8equal_toIvEEiEE10hipError_tPvRmT2_T3_T4_T5_mT6_T7_P12ihipStream_tbENKUlT_T0_E_clISt17integral_constantIbLb0EES12_IbLb1EEEEDaSY_SZ_EUlSY_E_NS1_11comp_targetILNS1_3genE4ELNS1_11target_archE910ELNS1_3gpuE8ELNS1_3repE0EEENS1_30default_config_static_selectorELNS0_4arch9wavefront6targetE0EEEvT1_
; %bb.0:
	.section	.rodata,"a",@progbits
	.p2align	6, 0x0
	.amdhsa_kernel _ZN7rocprim17ROCPRIM_400000_NS6detail17trampoline_kernelINS0_14default_configENS1_27scan_by_key_config_selectorIiiEEZZNS1_16scan_by_key_implILNS1_25lookback_scan_determinismE0ELb1ES3_N6thrust23THRUST_200600_302600_NS6detail15normal_iteratorINS9_10device_ptrIiEEEENSB_INSC_IjEEEENSB_INSC_IfEEEEiNS9_4plusIvEENS9_8equal_toIvEEiEE10hipError_tPvRmT2_T3_T4_T5_mT6_T7_P12ihipStream_tbENKUlT_T0_E_clISt17integral_constantIbLb0EES12_IbLb1EEEEDaSY_SZ_EUlSY_E_NS1_11comp_targetILNS1_3genE4ELNS1_11target_archE910ELNS1_3gpuE8ELNS1_3repE0EEENS1_30default_config_static_selectorELNS0_4arch9wavefront6targetE0EEEvT1_
		.amdhsa_group_segment_fixed_size 0
		.amdhsa_private_segment_fixed_size 0
		.amdhsa_kernarg_size 112
		.amdhsa_user_sgpr_count 2
		.amdhsa_user_sgpr_dispatch_ptr 0
		.amdhsa_user_sgpr_queue_ptr 0
		.amdhsa_user_sgpr_kernarg_segment_ptr 1
		.amdhsa_user_sgpr_dispatch_id 0
		.amdhsa_user_sgpr_kernarg_preload_length 0
		.amdhsa_user_sgpr_kernarg_preload_offset 0
		.amdhsa_user_sgpr_private_segment_size 0
		.amdhsa_wavefront_size32 1
		.amdhsa_uses_dynamic_stack 0
		.amdhsa_enable_private_segment 0
		.amdhsa_system_sgpr_workgroup_id_x 1
		.amdhsa_system_sgpr_workgroup_id_y 0
		.amdhsa_system_sgpr_workgroup_id_z 0
		.amdhsa_system_sgpr_workgroup_info 0
		.amdhsa_system_vgpr_workitem_id 0
		.amdhsa_next_free_vgpr 1
		.amdhsa_next_free_sgpr 1
		.amdhsa_named_barrier_count 0
		.amdhsa_reserve_vcc 0
		.amdhsa_float_round_mode_32 0
		.amdhsa_float_round_mode_16_64 0
		.amdhsa_float_denorm_mode_32 3
		.amdhsa_float_denorm_mode_16_64 3
		.amdhsa_fp16_overflow 0
		.amdhsa_memory_ordered 1
		.amdhsa_forward_progress 1
		.amdhsa_inst_pref_size 0
		.amdhsa_round_robin_scheduling 0
		.amdhsa_exception_fp_ieee_invalid_op 0
		.amdhsa_exception_fp_denorm_src 0
		.amdhsa_exception_fp_ieee_div_zero 0
		.amdhsa_exception_fp_ieee_overflow 0
		.amdhsa_exception_fp_ieee_underflow 0
		.amdhsa_exception_fp_ieee_inexact 0
		.amdhsa_exception_int_div_zero 0
	.end_amdhsa_kernel
	.section	.text._ZN7rocprim17ROCPRIM_400000_NS6detail17trampoline_kernelINS0_14default_configENS1_27scan_by_key_config_selectorIiiEEZZNS1_16scan_by_key_implILNS1_25lookback_scan_determinismE0ELb1ES3_N6thrust23THRUST_200600_302600_NS6detail15normal_iteratorINS9_10device_ptrIiEEEENSB_INSC_IjEEEENSB_INSC_IfEEEEiNS9_4plusIvEENS9_8equal_toIvEEiEE10hipError_tPvRmT2_T3_T4_T5_mT6_T7_P12ihipStream_tbENKUlT_T0_E_clISt17integral_constantIbLb0EES12_IbLb1EEEEDaSY_SZ_EUlSY_E_NS1_11comp_targetILNS1_3genE4ELNS1_11target_archE910ELNS1_3gpuE8ELNS1_3repE0EEENS1_30default_config_static_selectorELNS0_4arch9wavefront6targetE0EEEvT1_,"axG",@progbits,_ZN7rocprim17ROCPRIM_400000_NS6detail17trampoline_kernelINS0_14default_configENS1_27scan_by_key_config_selectorIiiEEZZNS1_16scan_by_key_implILNS1_25lookback_scan_determinismE0ELb1ES3_N6thrust23THRUST_200600_302600_NS6detail15normal_iteratorINS9_10device_ptrIiEEEENSB_INSC_IjEEEENSB_INSC_IfEEEEiNS9_4plusIvEENS9_8equal_toIvEEiEE10hipError_tPvRmT2_T3_T4_T5_mT6_T7_P12ihipStream_tbENKUlT_T0_E_clISt17integral_constantIbLb0EES12_IbLb1EEEEDaSY_SZ_EUlSY_E_NS1_11comp_targetILNS1_3genE4ELNS1_11target_archE910ELNS1_3gpuE8ELNS1_3repE0EEENS1_30default_config_static_selectorELNS0_4arch9wavefront6targetE0EEEvT1_,comdat
.Lfunc_end1746:
	.size	_ZN7rocprim17ROCPRIM_400000_NS6detail17trampoline_kernelINS0_14default_configENS1_27scan_by_key_config_selectorIiiEEZZNS1_16scan_by_key_implILNS1_25lookback_scan_determinismE0ELb1ES3_N6thrust23THRUST_200600_302600_NS6detail15normal_iteratorINS9_10device_ptrIiEEEENSB_INSC_IjEEEENSB_INSC_IfEEEEiNS9_4plusIvEENS9_8equal_toIvEEiEE10hipError_tPvRmT2_T3_T4_T5_mT6_T7_P12ihipStream_tbENKUlT_T0_E_clISt17integral_constantIbLb0EES12_IbLb1EEEEDaSY_SZ_EUlSY_E_NS1_11comp_targetILNS1_3genE4ELNS1_11target_archE910ELNS1_3gpuE8ELNS1_3repE0EEENS1_30default_config_static_selectorELNS0_4arch9wavefront6targetE0EEEvT1_, .Lfunc_end1746-_ZN7rocprim17ROCPRIM_400000_NS6detail17trampoline_kernelINS0_14default_configENS1_27scan_by_key_config_selectorIiiEEZZNS1_16scan_by_key_implILNS1_25lookback_scan_determinismE0ELb1ES3_N6thrust23THRUST_200600_302600_NS6detail15normal_iteratorINS9_10device_ptrIiEEEENSB_INSC_IjEEEENSB_INSC_IfEEEEiNS9_4plusIvEENS9_8equal_toIvEEiEE10hipError_tPvRmT2_T3_T4_T5_mT6_T7_P12ihipStream_tbENKUlT_T0_E_clISt17integral_constantIbLb0EES12_IbLb1EEEEDaSY_SZ_EUlSY_E_NS1_11comp_targetILNS1_3genE4ELNS1_11target_archE910ELNS1_3gpuE8ELNS1_3repE0EEENS1_30default_config_static_selectorELNS0_4arch9wavefront6targetE0EEEvT1_
                                        ; -- End function
	.set _ZN7rocprim17ROCPRIM_400000_NS6detail17trampoline_kernelINS0_14default_configENS1_27scan_by_key_config_selectorIiiEEZZNS1_16scan_by_key_implILNS1_25lookback_scan_determinismE0ELb1ES3_N6thrust23THRUST_200600_302600_NS6detail15normal_iteratorINS9_10device_ptrIiEEEENSB_INSC_IjEEEENSB_INSC_IfEEEEiNS9_4plusIvEENS9_8equal_toIvEEiEE10hipError_tPvRmT2_T3_T4_T5_mT6_T7_P12ihipStream_tbENKUlT_T0_E_clISt17integral_constantIbLb0EES12_IbLb1EEEEDaSY_SZ_EUlSY_E_NS1_11comp_targetILNS1_3genE4ELNS1_11target_archE910ELNS1_3gpuE8ELNS1_3repE0EEENS1_30default_config_static_selectorELNS0_4arch9wavefront6targetE0EEEvT1_.num_vgpr, 0
	.set _ZN7rocprim17ROCPRIM_400000_NS6detail17trampoline_kernelINS0_14default_configENS1_27scan_by_key_config_selectorIiiEEZZNS1_16scan_by_key_implILNS1_25lookback_scan_determinismE0ELb1ES3_N6thrust23THRUST_200600_302600_NS6detail15normal_iteratorINS9_10device_ptrIiEEEENSB_INSC_IjEEEENSB_INSC_IfEEEEiNS9_4plusIvEENS9_8equal_toIvEEiEE10hipError_tPvRmT2_T3_T4_T5_mT6_T7_P12ihipStream_tbENKUlT_T0_E_clISt17integral_constantIbLb0EES12_IbLb1EEEEDaSY_SZ_EUlSY_E_NS1_11comp_targetILNS1_3genE4ELNS1_11target_archE910ELNS1_3gpuE8ELNS1_3repE0EEENS1_30default_config_static_selectorELNS0_4arch9wavefront6targetE0EEEvT1_.num_agpr, 0
	.set _ZN7rocprim17ROCPRIM_400000_NS6detail17trampoline_kernelINS0_14default_configENS1_27scan_by_key_config_selectorIiiEEZZNS1_16scan_by_key_implILNS1_25lookback_scan_determinismE0ELb1ES3_N6thrust23THRUST_200600_302600_NS6detail15normal_iteratorINS9_10device_ptrIiEEEENSB_INSC_IjEEEENSB_INSC_IfEEEEiNS9_4plusIvEENS9_8equal_toIvEEiEE10hipError_tPvRmT2_T3_T4_T5_mT6_T7_P12ihipStream_tbENKUlT_T0_E_clISt17integral_constantIbLb0EES12_IbLb1EEEEDaSY_SZ_EUlSY_E_NS1_11comp_targetILNS1_3genE4ELNS1_11target_archE910ELNS1_3gpuE8ELNS1_3repE0EEENS1_30default_config_static_selectorELNS0_4arch9wavefront6targetE0EEEvT1_.numbered_sgpr, 0
	.set _ZN7rocprim17ROCPRIM_400000_NS6detail17trampoline_kernelINS0_14default_configENS1_27scan_by_key_config_selectorIiiEEZZNS1_16scan_by_key_implILNS1_25lookback_scan_determinismE0ELb1ES3_N6thrust23THRUST_200600_302600_NS6detail15normal_iteratorINS9_10device_ptrIiEEEENSB_INSC_IjEEEENSB_INSC_IfEEEEiNS9_4plusIvEENS9_8equal_toIvEEiEE10hipError_tPvRmT2_T3_T4_T5_mT6_T7_P12ihipStream_tbENKUlT_T0_E_clISt17integral_constantIbLb0EES12_IbLb1EEEEDaSY_SZ_EUlSY_E_NS1_11comp_targetILNS1_3genE4ELNS1_11target_archE910ELNS1_3gpuE8ELNS1_3repE0EEENS1_30default_config_static_selectorELNS0_4arch9wavefront6targetE0EEEvT1_.num_named_barrier, 0
	.set _ZN7rocprim17ROCPRIM_400000_NS6detail17trampoline_kernelINS0_14default_configENS1_27scan_by_key_config_selectorIiiEEZZNS1_16scan_by_key_implILNS1_25lookback_scan_determinismE0ELb1ES3_N6thrust23THRUST_200600_302600_NS6detail15normal_iteratorINS9_10device_ptrIiEEEENSB_INSC_IjEEEENSB_INSC_IfEEEEiNS9_4plusIvEENS9_8equal_toIvEEiEE10hipError_tPvRmT2_T3_T4_T5_mT6_T7_P12ihipStream_tbENKUlT_T0_E_clISt17integral_constantIbLb0EES12_IbLb1EEEEDaSY_SZ_EUlSY_E_NS1_11comp_targetILNS1_3genE4ELNS1_11target_archE910ELNS1_3gpuE8ELNS1_3repE0EEENS1_30default_config_static_selectorELNS0_4arch9wavefront6targetE0EEEvT1_.private_seg_size, 0
	.set _ZN7rocprim17ROCPRIM_400000_NS6detail17trampoline_kernelINS0_14default_configENS1_27scan_by_key_config_selectorIiiEEZZNS1_16scan_by_key_implILNS1_25lookback_scan_determinismE0ELb1ES3_N6thrust23THRUST_200600_302600_NS6detail15normal_iteratorINS9_10device_ptrIiEEEENSB_INSC_IjEEEENSB_INSC_IfEEEEiNS9_4plusIvEENS9_8equal_toIvEEiEE10hipError_tPvRmT2_T3_T4_T5_mT6_T7_P12ihipStream_tbENKUlT_T0_E_clISt17integral_constantIbLb0EES12_IbLb1EEEEDaSY_SZ_EUlSY_E_NS1_11comp_targetILNS1_3genE4ELNS1_11target_archE910ELNS1_3gpuE8ELNS1_3repE0EEENS1_30default_config_static_selectorELNS0_4arch9wavefront6targetE0EEEvT1_.uses_vcc, 0
	.set _ZN7rocprim17ROCPRIM_400000_NS6detail17trampoline_kernelINS0_14default_configENS1_27scan_by_key_config_selectorIiiEEZZNS1_16scan_by_key_implILNS1_25lookback_scan_determinismE0ELb1ES3_N6thrust23THRUST_200600_302600_NS6detail15normal_iteratorINS9_10device_ptrIiEEEENSB_INSC_IjEEEENSB_INSC_IfEEEEiNS9_4plusIvEENS9_8equal_toIvEEiEE10hipError_tPvRmT2_T3_T4_T5_mT6_T7_P12ihipStream_tbENKUlT_T0_E_clISt17integral_constantIbLb0EES12_IbLb1EEEEDaSY_SZ_EUlSY_E_NS1_11comp_targetILNS1_3genE4ELNS1_11target_archE910ELNS1_3gpuE8ELNS1_3repE0EEENS1_30default_config_static_selectorELNS0_4arch9wavefront6targetE0EEEvT1_.uses_flat_scratch, 0
	.set _ZN7rocprim17ROCPRIM_400000_NS6detail17trampoline_kernelINS0_14default_configENS1_27scan_by_key_config_selectorIiiEEZZNS1_16scan_by_key_implILNS1_25lookback_scan_determinismE0ELb1ES3_N6thrust23THRUST_200600_302600_NS6detail15normal_iteratorINS9_10device_ptrIiEEEENSB_INSC_IjEEEENSB_INSC_IfEEEEiNS9_4plusIvEENS9_8equal_toIvEEiEE10hipError_tPvRmT2_T3_T4_T5_mT6_T7_P12ihipStream_tbENKUlT_T0_E_clISt17integral_constantIbLb0EES12_IbLb1EEEEDaSY_SZ_EUlSY_E_NS1_11comp_targetILNS1_3genE4ELNS1_11target_archE910ELNS1_3gpuE8ELNS1_3repE0EEENS1_30default_config_static_selectorELNS0_4arch9wavefront6targetE0EEEvT1_.has_dyn_sized_stack, 0
	.set _ZN7rocprim17ROCPRIM_400000_NS6detail17trampoline_kernelINS0_14default_configENS1_27scan_by_key_config_selectorIiiEEZZNS1_16scan_by_key_implILNS1_25lookback_scan_determinismE0ELb1ES3_N6thrust23THRUST_200600_302600_NS6detail15normal_iteratorINS9_10device_ptrIiEEEENSB_INSC_IjEEEENSB_INSC_IfEEEEiNS9_4plusIvEENS9_8equal_toIvEEiEE10hipError_tPvRmT2_T3_T4_T5_mT6_T7_P12ihipStream_tbENKUlT_T0_E_clISt17integral_constantIbLb0EES12_IbLb1EEEEDaSY_SZ_EUlSY_E_NS1_11comp_targetILNS1_3genE4ELNS1_11target_archE910ELNS1_3gpuE8ELNS1_3repE0EEENS1_30default_config_static_selectorELNS0_4arch9wavefront6targetE0EEEvT1_.has_recursion, 0
	.set _ZN7rocprim17ROCPRIM_400000_NS6detail17trampoline_kernelINS0_14default_configENS1_27scan_by_key_config_selectorIiiEEZZNS1_16scan_by_key_implILNS1_25lookback_scan_determinismE0ELb1ES3_N6thrust23THRUST_200600_302600_NS6detail15normal_iteratorINS9_10device_ptrIiEEEENSB_INSC_IjEEEENSB_INSC_IfEEEEiNS9_4plusIvEENS9_8equal_toIvEEiEE10hipError_tPvRmT2_T3_T4_T5_mT6_T7_P12ihipStream_tbENKUlT_T0_E_clISt17integral_constantIbLb0EES12_IbLb1EEEEDaSY_SZ_EUlSY_E_NS1_11comp_targetILNS1_3genE4ELNS1_11target_archE910ELNS1_3gpuE8ELNS1_3repE0EEENS1_30default_config_static_selectorELNS0_4arch9wavefront6targetE0EEEvT1_.has_indirect_call, 0
	.section	.AMDGPU.csdata,"",@progbits
; Kernel info:
; codeLenInByte = 0
; TotalNumSgprs: 0
; NumVgprs: 0
; ScratchSize: 0
; MemoryBound: 0
; FloatMode: 240
; IeeeMode: 1
; LDSByteSize: 0 bytes/workgroup (compile time only)
; SGPRBlocks: 0
; VGPRBlocks: 0
; NumSGPRsForWavesPerEU: 1
; NumVGPRsForWavesPerEU: 1
; NamedBarCnt: 0
; Occupancy: 16
; WaveLimiterHint : 0
; COMPUTE_PGM_RSRC2:SCRATCH_EN: 0
; COMPUTE_PGM_RSRC2:USER_SGPR: 2
; COMPUTE_PGM_RSRC2:TRAP_HANDLER: 0
; COMPUTE_PGM_RSRC2:TGID_X_EN: 1
; COMPUTE_PGM_RSRC2:TGID_Y_EN: 0
; COMPUTE_PGM_RSRC2:TGID_Z_EN: 0
; COMPUTE_PGM_RSRC2:TIDIG_COMP_CNT: 0
	.section	.text._ZN7rocprim17ROCPRIM_400000_NS6detail17trampoline_kernelINS0_14default_configENS1_27scan_by_key_config_selectorIiiEEZZNS1_16scan_by_key_implILNS1_25lookback_scan_determinismE0ELb1ES3_N6thrust23THRUST_200600_302600_NS6detail15normal_iteratorINS9_10device_ptrIiEEEENSB_INSC_IjEEEENSB_INSC_IfEEEEiNS9_4plusIvEENS9_8equal_toIvEEiEE10hipError_tPvRmT2_T3_T4_T5_mT6_T7_P12ihipStream_tbENKUlT_T0_E_clISt17integral_constantIbLb0EES12_IbLb1EEEEDaSY_SZ_EUlSY_E_NS1_11comp_targetILNS1_3genE3ELNS1_11target_archE908ELNS1_3gpuE7ELNS1_3repE0EEENS1_30default_config_static_selectorELNS0_4arch9wavefront6targetE0EEEvT1_,"axG",@progbits,_ZN7rocprim17ROCPRIM_400000_NS6detail17trampoline_kernelINS0_14default_configENS1_27scan_by_key_config_selectorIiiEEZZNS1_16scan_by_key_implILNS1_25lookback_scan_determinismE0ELb1ES3_N6thrust23THRUST_200600_302600_NS6detail15normal_iteratorINS9_10device_ptrIiEEEENSB_INSC_IjEEEENSB_INSC_IfEEEEiNS9_4plusIvEENS9_8equal_toIvEEiEE10hipError_tPvRmT2_T3_T4_T5_mT6_T7_P12ihipStream_tbENKUlT_T0_E_clISt17integral_constantIbLb0EES12_IbLb1EEEEDaSY_SZ_EUlSY_E_NS1_11comp_targetILNS1_3genE3ELNS1_11target_archE908ELNS1_3gpuE7ELNS1_3repE0EEENS1_30default_config_static_selectorELNS0_4arch9wavefront6targetE0EEEvT1_,comdat
	.protected	_ZN7rocprim17ROCPRIM_400000_NS6detail17trampoline_kernelINS0_14default_configENS1_27scan_by_key_config_selectorIiiEEZZNS1_16scan_by_key_implILNS1_25lookback_scan_determinismE0ELb1ES3_N6thrust23THRUST_200600_302600_NS6detail15normal_iteratorINS9_10device_ptrIiEEEENSB_INSC_IjEEEENSB_INSC_IfEEEEiNS9_4plusIvEENS9_8equal_toIvEEiEE10hipError_tPvRmT2_T3_T4_T5_mT6_T7_P12ihipStream_tbENKUlT_T0_E_clISt17integral_constantIbLb0EES12_IbLb1EEEEDaSY_SZ_EUlSY_E_NS1_11comp_targetILNS1_3genE3ELNS1_11target_archE908ELNS1_3gpuE7ELNS1_3repE0EEENS1_30default_config_static_selectorELNS0_4arch9wavefront6targetE0EEEvT1_ ; -- Begin function _ZN7rocprim17ROCPRIM_400000_NS6detail17trampoline_kernelINS0_14default_configENS1_27scan_by_key_config_selectorIiiEEZZNS1_16scan_by_key_implILNS1_25lookback_scan_determinismE0ELb1ES3_N6thrust23THRUST_200600_302600_NS6detail15normal_iteratorINS9_10device_ptrIiEEEENSB_INSC_IjEEEENSB_INSC_IfEEEEiNS9_4plusIvEENS9_8equal_toIvEEiEE10hipError_tPvRmT2_T3_T4_T5_mT6_T7_P12ihipStream_tbENKUlT_T0_E_clISt17integral_constantIbLb0EES12_IbLb1EEEEDaSY_SZ_EUlSY_E_NS1_11comp_targetILNS1_3genE3ELNS1_11target_archE908ELNS1_3gpuE7ELNS1_3repE0EEENS1_30default_config_static_selectorELNS0_4arch9wavefront6targetE0EEEvT1_
	.globl	_ZN7rocprim17ROCPRIM_400000_NS6detail17trampoline_kernelINS0_14default_configENS1_27scan_by_key_config_selectorIiiEEZZNS1_16scan_by_key_implILNS1_25lookback_scan_determinismE0ELb1ES3_N6thrust23THRUST_200600_302600_NS6detail15normal_iteratorINS9_10device_ptrIiEEEENSB_INSC_IjEEEENSB_INSC_IfEEEEiNS9_4plusIvEENS9_8equal_toIvEEiEE10hipError_tPvRmT2_T3_T4_T5_mT6_T7_P12ihipStream_tbENKUlT_T0_E_clISt17integral_constantIbLb0EES12_IbLb1EEEEDaSY_SZ_EUlSY_E_NS1_11comp_targetILNS1_3genE3ELNS1_11target_archE908ELNS1_3gpuE7ELNS1_3repE0EEENS1_30default_config_static_selectorELNS0_4arch9wavefront6targetE0EEEvT1_
	.p2align	8
	.type	_ZN7rocprim17ROCPRIM_400000_NS6detail17trampoline_kernelINS0_14default_configENS1_27scan_by_key_config_selectorIiiEEZZNS1_16scan_by_key_implILNS1_25lookback_scan_determinismE0ELb1ES3_N6thrust23THRUST_200600_302600_NS6detail15normal_iteratorINS9_10device_ptrIiEEEENSB_INSC_IjEEEENSB_INSC_IfEEEEiNS9_4plusIvEENS9_8equal_toIvEEiEE10hipError_tPvRmT2_T3_T4_T5_mT6_T7_P12ihipStream_tbENKUlT_T0_E_clISt17integral_constantIbLb0EES12_IbLb1EEEEDaSY_SZ_EUlSY_E_NS1_11comp_targetILNS1_3genE3ELNS1_11target_archE908ELNS1_3gpuE7ELNS1_3repE0EEENS1_30default_config_static_selectorELNS0_4arch9wavefront6targetE0EEEvT1_,@function
_ZN7rocprim17ROCPRIM_400000_NS6detail17trampoline_kernelINS0_14default_configENS1_27scan_by_key_config_selectorIiiEEZZNS1_16scan_by_key_implILNS1_25lookback_scan_determinismE0ELb1ES3_N6thrust23THRUST_200600_302600_NS6detail15normal_iteratorINS9_10device_ptrIiEEEENSB_INSC_IjEEEENSB_INSC_IfEEEEiNS9_4plusIvEENS9_8equal_toIvEEiEE10hipError_tPvRmT2_T3_T4_T5_mT6_T7_P12ihipStream_tbENKUlT_T0_E_clISt17integral_constantIbLb0EES12_IbLb1EEEEDaSY_SZ_EUlSY_E_NS1_11comp_targetILNS1_3genE3ELNS1_11target_archE908ELNS1_3gpuE7ELNS1_3repE0EEENS1_30default_config_static_selectorELNS0_4arch9wavefront6targetE0EEEvT1_: ; @_ZN7rocprim17ROCPRIM_400000_NS6detail17trampoline_kernelINS0_14default_configENS1_27scan_by_key_config_selectorIiiEEZZNS1_16scan_by_key_implILNS1_25lookback_scan_determinismE0ELb1ES3_N6thrust23THRUST_200600_302600_NS6detail15normal_iteratorINS9_10device_ptrIiEEEENSB_INSC_IjEEEENSB_INSC_IfEEEEiNS9_4plusIvEENS9_8equal_toIvEEiEE10hipError_tPvRmT2_T3_T4_T5_mT6_T7_P12ihipStream_tbENKUlT_T0_E_clISt17integral_constantIbLb0EES12_IbLb1EEEEDaSY_SZ_EUlSY_E_NS1_11comp_targetILNS1_3genE3ELNS1_11target_archE908ELNS1_3gpuE7ELNS1_3repE0EEENS1_30default_config_static_selectorELNS0_4arch9wavefront6targetE0EEEvT1_
; %bb.0:
	.section	.rodata,"a",@progbits
	.p2align	6, 0x0
	.amdhsa_kernel _ZN7rocprim17ROCPRIM_400000_NS6detail17trampoline_kernelINS0_14default_configENS1_27scan_by_key_config_selectorIiiEEZZNS1_16scan_by_key_implILNS1_25lookback_scan_determinismE0ELb1ES3_N6thrust23THRUST_200600_302600_NS6detail15normal_iteratorINS9_10device_ptrIiEEEENSB_INSC_IjEEEENSB_INSC_IfEEEEiNS9_4plusIvEENS9_8equal_toIvEEiEE10hipError_tPvRmT2_T3_T4_T5_mT6_T7_P12ihipStream_tbENKUlT_T0_E_clISt17integral_constantIbLb0EES12_IbLb1EEEEDaSY_SZ_EUlSY_E_NS1_11comp_targetILNS1_3genE3ELNS1_11target_archE908ELNS1_3gpuE7ELNS1_3repE0EEENS1_30default_config_static_selectorELNS0_4arch9wavefront6targetE0EEEvT1_
		.amdhsa_group_segment_fixed_size 0
		.amdhsa_private_segment_fixed_size 0
		.amdhsa_kernarg_size 112
		.amdhsa_user_sgpr_count 2
		.amdhsa_user_sgpr_dispatch_ptr 0
		.amdhsa_user_sgpr_queue_ptr 0
		.amdhsa_user_sgpr_kernarg_segment_ptr 1
		.amdhsa_user_sgpr_dispatch_id 0
		.amdhsa_user_sgpr_kernarg_preload_length 0
		.amdhsa_user_sgpr_kernarg_preload_offset 0
		.amdhsa_user_sgpr_private_segment_size 0
		.amdhsa_wavefront_size32 1
		.amdhsa_uses_dynamic_stack 0
		.amdhsa_enable_private_segment 0
		.amdhsa_system_sgpr_workgroup_id_x 1
		.amdhsa_system_sgpr_workgroup_id_y 0
		.amdhsa_system_sgpr_workgroup_id_z 0
		.amdhsa_system_sgpr_workgroup_info 0
		.amdhsa_system_vgpr_workitem_id 0
		.amdhsa_next_free_vgpr 1
		.amdhsa_next_free_sgpr 1
		.amdhsa_named_barrier_count 0
		.amdhsa_reserve_vcc 0
		.amdhsa_float_round_mode_32 0
		.amdhsa_float_round_mode_16_64 0
		.amdhsa_float_denorm_mode_32 3
		.amdhsa_float_denorm_mode_16_64 3
		.amdhsa_fp16_overflow 0
		.amdhsa_memory_ordered 1
		.amdhsa_forward_progress 1
		.amdhsa_inst_pref_size 0
		.amdhsa_round_robin_scheduling 0
		.amdhsa_exception_fp_ieee_invalid_op 0
		.amdhsa_exception_fp_denorm_src 0
		.amdhsa_exception_fp_ieee_div_zero 0
		.amdhsa_exception_fp_ieee_overflow 0
		.amdhsa_exception_fp_ieee_underflow 0
		.amdhsa_exception_fp_ieee_inexact 0
		.amdhsa_exception_int_div_zero 0
	.end_amdhsa_kernel
	.section	.text._ZN7rocprim17ROCPRIM_400000_NS6detail17trampoline_kernelINS0_14default_configENS1_27scan_by_key_config_selectorIiiEEZZNS1_16scan_by_key_implILNS1_25lookback_scan_determinismE0ELb1ES3_N6thrust23THRUST_200600_302600_NS6detail15normal_iteratorINS9_10device_ptrIiEEEENSB_INSC_IjEEEENSB_INSC_IfEEEEiNS9_4plusIvEENS9_8equal_toIvEEiEE10hipError_tPvRmT2_T3_T4_T5_mT6_T7_P12ihipStream_tbENKUlT_T0_E_clISt17integral_constantIbLb0EES12_IbLb1EEEEDaSY_SZ_EUlSY_E_NS1_11comp_targetILNS1_3genE3ELNS1_11target_archE908ELNS1_3gpuE7ELNS1_3repE0EEENS1_30default_config_static_selectorELNS0_4arch9wavefront6targetE0EEEvT1_,"axG",@progbits,_ZN7rocprim17ROCPRIM_400000_NS6detail17trampoline_kernelINS0_14default_configENS1_27scan_by_key_config_selectorIiiEEZZNS1_16scan_by_key_implILNS1_25lookback_scan_determinismE0ELb1ES3_N6thrust23THRUST_200600_302600_NS6detail15normal_iteratorINS9_10device_ptrIiEEEENSB_INSC_IjEEEENSB_INSC_IfEEEEiNS9_4plusIvEENS9_8equal_toIvEEiEE10hipError_tPvRmT2_T3_T4_T5_mT6_T7_P12ihipStream_tbENKUlT_T0_E_clISt17integral_constantIbLb0EES12_IbLb1EEEEDaSY_SZ_EUlSY_E_NS1_11comp_targetILNS1_3genE3ELNS1_11target_archE908ELNS1_3gpuE7ELNS1_3repE0EEENS1_30default_config_static_selectorELNS0_4arch9wavefront6targetE0EEEvT1_,comdat
.Lfunc_end1747:
	.size	_ZN7rocprim17ROCPRIM_400000_NS6detail17trampoline_kernelINS0_14default_configENS1_27scan_by_key_config_selectorIiiEEZZNS1_16scan_by_key_implILNS1_25lookback_scan_determinismE0ELb1ES3_N6thrust23THRUST_200600_302600_NS6detail15normal_iteratorINS9_10device_ptrIiEEEENSB_INSC_IjEEEENSB_INSC_IfEEEEiNS9_4plusIvEENS9_8equal_toIvEEiEE10hipError_tPvRmT2_T3_T4_T5_mT6_T7_P12ihipStream_tbENKUlT_T0_E_clISt17integral_constantIbLb0EES12_IbLb1EEEEDaSY_SZ_EUlSY_E_NS1_11comp_targetILNS1_3genE3ELNS1_11target_archE908ELNS1_3gpuE7ELNS1_3repE0EEENS1_30default_config_static_selectorELNS0_4arch9wavefront6targetE0EEEvT1_, .Lfunc_end1747-_ZN7rocprim17ROCPRIM_400000_NS6detail17trampoline_kernelINS0_14default_configENS1_27scan_by_key_config_selectorIiiEEZZNS1_16scan_by_key_implILNS1_25lookback_scan_determinismE0ELb1ES3_N6thrust23THRUST_200600_302600_NS6detail15normal_iteratorINS9_10device_ptrIiEEEENSB_INSC_IjEEEENSB_INSC_IfEEEEiNS9_4plusIvEENS9_8equal_toIvEEiEE10hipError_tPvRmT2_T3_T4_T5_mT6_T7_P12ihipStream_tbENKUlT_T0_E_clISt17integral_constantIbLb0EES12_IbLb1EEEEDaSY_SZ_EUlSY_E_NS1_11comp_targetILNS1_3genE3ELNS1_11target_archE908ELNS1_3gpuE7ELNS1_3repE0EEENS1_30default_config_static_selectorELNS0_4arch9wavefront6targetE0EEEvT1_
                                        ; -- End function
	.set _ZN7rocprim17ROCPRIM_400000_NS6detail17trampoline_kernelINS0_14default_configENS1_27scan_by_key_config_selectorIiiEEZZNS1_16scan_by_key_implILNS1_25lookback_scan_determinismE0ELb1ES3_N6thrust23THRUST_200600_302600_NS6detail15normal_iteratorINS9_10device_ptrIiEEEENSB_INSC_IjEEEENSB_INSC_IfEEEEiNS9_4plusIvEENS9_8equal_toIvEEiEE10hipError_tPvRmT2_T3_T4_T5_mT6_T7_P12ihipStream_tbENKUlT_T0_E_clISt17integral_constantIbLb0EES12_IbLb1EEEEDaSY_SZ_EUlSY_E_NS1_11comp_targetILNS1_3genE3ELNS1_11target_archE908ELNS1_3gpuE7ELNS1_3repE0EEENS1_30default_config_static_selectorELNS0_4arch9wavefront6targetE0EEEvT1_.num_vgpr, 0
	.set _ZN7rocprim17ROCPRIM_400000_NS6detail17trampoline_kernelINS0_14default_configENS1_27scan_by_key_config_selectorIiiEEZZNS1_16scan_by_key_implILNS1_25lookback_scan_determinismE0ELb1ES3_N6thrust23THRUST_200600_302600_NS6detail15normal_iteratorINS9_10device_ptrIiEEEENSB_INSC_IjEEEENSB_INSC_IfEEEEiNS9_4plusIvEENS9_8equal_toIvEEiEE10hipError_tPvRmT2_T3_T4_T5_mT6_T7_P12ihipStream_tbENKUlT_T0_E_clISt17integral_constantIbLb0EES12_IbLb1EEEEDaSY_SZ_EUlSY_E_NS1_11comp_targetILNS1_3genE3ELNS1_11target_archE908ELNS1_3gpuE7ELNS1_3repE0EEENS1_30default_config_static_selectorELNS0_4arch9wavefront6targetE0EEEvT1_.num_agpr, 0
	.set _ZN7rocprim17ROCPRIM_400000_NS6detail17trampoline_kernelINS0_14default_configENS1_27scan_by_key_config_selectorIiiEEZZNS1_16scan_by_key_implILNS1_25lookback_scan_determinismE0ELb1ES3_N6thrust23THRUST_200600_302600_NS6detail15normal_iteratorINS9_10device_ptrIiEEEENSB_INSC_IjEEEENSB_INSC_IfEEEEiNS9_4plusIvEENS9_8equal_toIvEEiEE10hipError_tPvRmT2_T3_T4_T5_mT6_T7_P12ihipStream_tbENKUlT_T0_E_clISt17integral_constantIbLb0EES12_IbLb1EEEEDaSY_SZ_EUlSY_E_NS1_11comp_targetILNS1_3genE3ELNS1_11target_archE908ELNS1_3gpuE7ELNS1_3repE0EEENS1_30default_config_static_selectorELNS0_4arch9wavefront6targetE0EEEvT1_.numbered_sgpr, 0
	.set _ZN7rocprim17ROCPRIM_400000_NS6detail17trampoline_kernelINS0_14default_configENS1_27scan_by_key_config_selectorIiiEEZZNS1_16scan_by_key_implILNS1_25lookback_scan_determinismE0ELb1ES3_N6thrust23THRUST_200600_302600_NS6detail15normal_iteratorINS9_10device_ptrIiEEEENSB_INSC_IjEEEENSB_INSC_IfEEEEiNS9_4plusIvEENS9_8equal_toIvEEiEE10hipError_tPvRmT2_T3_T4_T5_mT6_T7_P12ihipStream_tbENKUlT_T0_E_clISt17integral_constantIbLb0EES12_IbLb1EEEEDaSY_SZ_EUlSY_E_NS1_11comp_targetILNS1_3genE3ELNS1_11target_archE908ELNS1_3gpuE7ELNS1_3repE0EEENS1_30default_config_static_selectorELNS0_4arch9wavefront6targetE0EEEvT1_.num_named_barrier, 0
	.set _ZN7rocprim17ROCPRIM_400000_NS6detail17trampoline_kernelINS0_14default_configENS1_27scan_by_key_config_selectorIiiEEZZNS1_16scan_by_key_implILNS1_25lookback_scan_determinismE0ELb1ES3_N6thrust23THRUST_200600_302600_NS6detail15normal_iteratorINS9_10device_ptrIiEEEENSB_INSC_IjEEEENSB_INSC_IfEEEEiNS9_4plusIvEENS9_8equal_toIvEEiEE10hipError_tPvRmT2_T3_T4_T5_mT6_T7_P12ihipStream_tbENKUlT_T0_E_clISt17integral_constantIbLb0EES12_IbLb1EEEEDaSY_SZ_EUlSY_E_NS1_11comp_targetILNS1_3genE3ELNS1_11target_archE908ELNS1_3gpuE7ELNS1_3repE0EEENS1_30default_config_static_selectorELNS0_4arch9wavefront6targetE0EEEvT1_.private_seg_size, 0
	.set _ZN7rocprim17ROCPRIM_400000_NS6detail17trampoline_kernelINS0_14default_configENS1_27scan_by_key_config_selectorIiiEEZZNS1_16scan_by_key_implILNS1_25lookback_scan_determinismE0ELb1ES3_N6thrust23THRUST_200600_302600_NS6detail15normal_iteratorINS9_10device_ptrIiEEEENSB_INSC_IjEEEENSB_INSC_IfEEEEiNS9_4plusIvEENS9_8equal_toIvEEiEE10hipError_tPvRmT2_T3_T4_T5_mT6_T7_P12ihipStream_tbENKUlT_T0_E_clISt17integral_constantIbLb0EES12_IbLb1EEEEDaSY_SZ_EUlSY_E_NS1_11comp_targetILNS1_3genE3ELNS1_11target_archE908ELNS1_3gpuE7ELNS1_3repE0EEENS1_30default_config_static_selectorELNS0_4arch9wavefront6targetE0EEEvT1_.uses_vcc, 0
	.set _ZN7rocprim17ROCPRIM_400000_NS6detail17trampoline_kernelINS0_14default_configENS1_27scan_by_key_config_selectorIiiEEZZNS1_16scan_by_key_implILNS1_25lookback_scan_determinismE0ELb1ES3_N6thrust23THRUST_200600_302600_NS6detail15normal_iteratorINS9_10device_ptrIiEEEENSB_INSC_IjEEEENSB_INSC_IfEEEEiNS9_4plusIvEENS9_8equal_toIvEEiEE10hipError_tPvRmT2_T3_T4_T5_mT6_T7_P12ihipStream_tbENKUlT_T0_E_clISt17integral_constantIbLb0EES12_IbLb1EEEEDaSY_SZ_EUlSY_E_NS1_11comp_targetILNS1_3genE3ELNS1_11target_archE908ELNS1_3gpuE7ELNS1_3repE0EEENS1_30default_config_static_selectorELNS0_4arch9wavefront6targetE0EEEvT1_.uses_flat_scratch, 0
	.set _ZN7rocprim17ROCPRIM_400000_NS6detail17trampoline_kernelINS0_14default_configENS1_27scan_by_key_config_selectorIiiEEZZNS1_16scan_by_key_implILNS1_25lookback_scan_determinismE0ELb1ES3_N6thrust23THRUST_200600_302600_NS6detail15normal_iteratorINS9_10device_ptrIiEEEENSB_INSC_IjEEEENSB_INSC_IfEEEEiNS9_4plusIvEENS9_8equal_toIvEEiEE10hipError_tPvRmT2_T3_T4_T5_mT6_T7_P12ihipStream_tbENKUlT_T0_E_clISt17integral_constantIbLb0EES12_IbLb1EEEEDaSY_SZ_EUlSY_E_NS1_11comp_targetILNS1_3genE3ELNS1_11target_archE908ELNS1_3gpuE7ELNS1_3repE0EEENS1_30default_config_static_selectorELNS0_4arch9wavefront6targetE0EEEvT1_.has_dyn_sized_stack, 0
	.set _ZN7rocprim17ROCPRIM_400000_NS6detail17trampoline_kernelINS0_14default_configENS1_27scan_by_key_config_selectorIiiEEZZNS1_16scan_by_key_implILNS1_25lookback_scan_determinismE0ELb1ES3_N6thrust23THRUST_200600_302600_NS6detail15normal_iteratorINS9_10device_ptrIiEEEENSB_INSC_IjEEEENSB_INSC_IfEEEEiNS9_4plusIvEENS9_8equal_toIvEEiEE10hipError_tPvRmT2_T3_T4_T5_mT6_T7_P12ihipStream_tbENKUlT_T0_E_clISt17integral_constantIbLb0EES12_IbLb1EEEEDaSY_SZ_EUlSY_E_NS1_11comp_targetILNS1_3genE3ELNS1_11target_archE908ELNS1_3gpuE7ELNS1_3repE0EEENS1_30default_config_static_selectorELNS0_4arch9wavefront6targetE0EEEvT1_.has_recursion, 0
	.set _ZN7rocprim17ROCPRIM_400000_NS6detail17trampoline_kernelINS0_14default_configENS1_27scan_by_key_config_selectorIiiEEZZNS1_16scan_by_key_implILNS1_25lookback_scan_determinismE0ELb1ES3_N6thrust23THRUST_200600_302600_NS6detail15normal_iteratorINS9_10device_ptrIiEEEENSB_INSC_IjEEEENSB_INSC_IfEEEEiNS9_4plusIvEENS9_8equal_toIvEEiEE10hipError_tPvRmT2_T3_T4_T5_mT6_T7_P12ihipStream_tbENKUlT_T0_E_clISt17integral_constantIbLb0EES12_IbLb1EEEEDaSY_SZ_EUlSY_E_NS1_11comp_targetILNS1_3genE3ELNS1_11target_archE908ELNS1_3gpuE7ELNS1_3repE0EEENS1_30default_config_static_selectorELNS0_4arch9wavefront6targetE0EEEvT1_.has_indirect_call, 0
	.section	.AMDGPU.csdata,"",@progbits
; Kernel info:
; codeLenInByte = 0
; TotalNumSgprs: 0
; NumVgprs: 0
; ScratchSize: 0
; MemoryBound: 0
; FloatMode: 240
; IeeeMode: 1
; LDSByteSize: 0 bytes/workgroup (compile time only)
; SGPRBlocks: 0
; VGPRBlocks: 0
; NumSGPRsForWavesPerEU: 1
; NumVGPRsForWavesPerEU: 1
; NamedBarCnt: 0
; Occupancy: 16
; WaveLimiterHint : 0
; COMPUTE_PGM_RSRC2:SCRATCH_EN: 0
; COMPUTE_PGM_RSRC2:USER_SGPR: 2
; COMPUTE_PGM_RSRC2:TRAP_HANDLER: 0
; COMPUTE_PGM_RSRC2:TGID_X_EN: 1
; COMPUTE_PGM_RSRC2:TGID_Y_EN: 0
; COMPUTE_PGM_RSRC2:TGID_Z_EN: 0
; COMPUTE_PGM_RSRC2:TIDIG_COMP_CNT: 0
	.section	.text._ZN7rocprim17ROCPRIM_400000_NS6detail17trampoline_kernelINS0_14default_configENS1_27scan_by_key_config_selectorIiiEEZZNS1_16scan_by_key_implILNS1_25lookback_scan_determinismE0ELb1ES3_N6thrust23THRUST_200600_302600_NS6detail15normal_iteratorINS9_10device_ptrIiEEEENSB_INSC_IjEEEENSB_INSC_IfEEEEiNS9_4plusIvEENS9_8equal_toIvEEiEE10hipError_tPvRmT2_T3_T4_T5_mT6_T7_P12ihipStream_tbENKUlT_T0_E_clISt17integral_constantIbLb0EES12_IbLb1EEEEDaSY_SZ_EUlSY_E_NS1_11comp_targetILNS1_3genE2ELNS1_11target_archE906ELNS1_3gpuE6ELNS1_3repE0EEENS1_30default_config_static_selectorELNS0_4arch9wavefront6targetE0EEEvT1_,"axG",@progbits,_ZN7rocprim17ROCPRIM_400000_NS6detail17trampoline_kernelINS0_14default_configENS1_27scan_by_key_config_selectorIiiEEZZNS1_16scan_by_key_implILNS1_25lookback_scan_determinismE0ELb1ES3_N6thrust23THRUST_200600_302600_NS6detail15normal_iteratorINS9_10device_ptrIiEEEENSB_INSC_IjEEEENSB_INSC_IfEEEEiNS9_4plusIvEENS9_8equal_toIvEEiEE10hipError_tPvRmT2_T3_T4_T5_mT6_T7_P12ihipStream_tbENKUlT_T0_E_clISt17integral_constantIbLb0EES12_IbLb1EEEEDaSY_SZ_EUlSY_E_NS1_11comp_targetILNS1_3genE2ELNS1_11target_archE906ELNS1_3gpuE6ELNS1_3repE0EEENS1_30default_config_static_selectorELNS0_4arch9wavefront6targetE0EEEvT1_,comdat
	.protected	_ZN7rocprim17ROCPRIM_400000_NS6detail17trampoline_kernelINS0_14default_configENS1_27scan_by_key_config_selectorIiiEEZZNS1_16scan_by_key_implILNS1_25lookback_scan_determinismE0ELb1ES3_N6thrust23THRUST_200600_302600_NS6detail15normal_iteratorINS9_10device_ptrIiEEEENSB_INSC_IjEEEENSB_INSC_IfEEEEiNS9_4plusIvEENS9_8equal_toIvEEiEE10hipError_tPvRmT2_T3_T4_T5_mT6_T7_P12ihipStream_tbENKUlT_T0_E_clISt17integral_constantIbLb0EES12_IbLb1EEEEDaSY_SZ_EUlSY_E_NS1_11comp_targetILNS1_3genE2ELNS1_11target_archE906ELNS1_3gpuE6ELNS1_3repE0EEENS1_30default_config_static_selectorELNS0_4arch9wavefront6targetE0EEEvT1_ ; -- Begin function _ZN7rocprim17ROCPRIM_400000_NS6detail17trampoline_kernelINS0_14default_configENS1_27scan_by_key_config_selectorIiiEEZZNS1_16scan_by_key_implILNS1_25lookback_scan_determinismE0ELb1ES3_N6thrust23THRUST_200600_302600_NS6detail15normal_iteratorINS9_10device_ptrIiEEEENSB_INSC_IjEEEENSB_INSC_IfEEEEiNS9_4plusIvEENS9_8equal_toIvEEiEE10hipError_tPvRmT2_T3_T4_T5_mT6_T7_P12ihipStream_tbENKUlT_T0_E_clISt17integral_constantIbLb0EES12_IbLb1EEEEDaSY_SZ_EUlSY_E_NS1_11comp_targetILNS1_3genE2ELNS1_11target_archE906ELNS1_3gpuE6ELNS1_3repE0EEENS1_30default_config_static_selectorELNS0_4arch9wavefront6targetE0EEEvT1_
	.globl	_ZN7rocprim17ROCPRIM_400000_NS6detail17trampoline_kernelINS0_14default_configENS1_27scan_by_key_config_selectorIiiEEZZNS1_16scan_by_key_implILNS1_25lookback_scan_determinismE0ELb1ES3_N6thrust23THRUST_200600_302600_NS6detail15normal_iteratorINS9_10device_ptrIiEEEENSB_INSC_IjEEEENSB_INSC_IfEEEEiNS9_4plusIvEENS9_8equal_toIvEEiEE10hipError_tPvRmT2_T3_T4_T5_mT6_T7_P12ihipStream_tbENKUlT_T0_E_clISt17integral_constantIbLb0EES12_IbLb1EEEEDaSY_SZ_EUlSY_E_NS1_11comp_targetILNS1_3genE2ELNS1_11target_archE906ELNS1_3gpuE6ELNS1_3repE0EEENS1_30default_config_static_selectorELNS0_4arch9wavefront6targetE0EEEvT1_
	.p2align	8
	.type	_ZN7rocprim17ROCPRIM_400000_NS6detail17trampoline_kernelINS0_14default_configENS1_27scan_by_key_config_selectorIiiEEZZNS1_16scan_by_key_implILNS1_25lookback_scan_determinismE0ELb1ES3_N6thrust23THRUST_200600_302600_NS6detail15normal_iteratorINS9_10device_ptrIiEEEENSB_INSC_IjEEEENSB_INSC_IfEEEEiNS9_4plusIvEENS9_8equal_toIvEEiEE10hipError_tPvRmT2_T3_T4_T5_mT6_T7_P12ihipStream_tbENKUlT_T0_E_clISt17integral_constantIbLb0EES12_IbLb1EEEEDaSY_SZ_EUlSY_E_NS1_11comp_targetILNS1_3genE2ELNS1_11target_archE906ELNS1_3gpuE6ELNS1_3repE0EEENS1_30default_config_static_selectorELNS0_4arch9wavefront6targetE0EEEvT1_,@function
_ZN7rocprim17ROCPRIM_400000_NS6detail17trampoline_kernelINS0_14default_configENS1_27scan_by_key_config_selectorIiiEEZZNS1_16scan_by_key_implILNS1_25lookback_scan_determinismE0ELb1ES3_N6thrust23THRUST_200600_302600_NS6detail15normal_iteratorINS9_10device_ptrIiEEEENSB_INSC_IjEEEENSB_INSC_IfEEEEiNS9_4plusIvEENS9_8equal_toIvEEiEE10hipError_tPvRmT2_T3_T4_T5_mT6_T7_P12ihipStream_tbENKUlT_T0_E_clISt17integral_constantIbLb0EES12_IbLb1EEEEDaSY_SZ_EUlSY_E_NS1_11comp_targetILNS1_3genE2ELNS1_11target_archE906ELNS1_3gpuE6ELNS1_3repE0EEENS1_30default_config_static_selectorELNS0_4arch9wavefront6targetE0EEEvT1_: ; @_ZN7rocprim17ROCPRIM_400000_NS6detail17trampoline_kernelINS0_14default_configENS1_27scan_by_key_config_selectorIiiEEZZNS1_16scan_by_key_implILNS1_25lookback_scan_determinismE0ELb1ES3_N6thrust23THRUST_200600_302600_NS6detail15normal_iteratorINS9_10device_ptrIiEEEENSB_INSC_IjEEEENSB_INSC_IfEEEEiNS9_4plusIvEENS9_8equal_toIvEEiEE10hipError_tPvRmT2_T3_T4_T5_mT6_T7_P12ihipStream_tbENKUlT_T0_E_clISt17integral_constantIbLb0EES12_IbLb1EEEEDaSY_SZ_EUlSY_E_NS1_11comp_targetILNS1_3genE2ELNS1_11target_archE906ELNS1_3gpuE6ELNS1_3repE0EEENS1_30default_config_static_selectorELNS0_4arch9wavefront6targetE0EEEvT1_
; %bb.0:
	.section	.rodata,"a",@progbits
	.p2align	6, 0x0
	.amdhsa_kernel _ZN7rocprim17ROCPRIM_400000_NS6detail17trampoline_kernelINS0_14default_configENS1_27scan_by_key_config_selectorIiiEEZZNS1_16scan_by_key_implILNS1_25lookback_scan_determinismE0ELb1ES3_N6thrust23THRUST_200600_302600_NS6detail15normal_iteratorINS9_10device_ptrIiEEEENSB_INSC_IjEEEENSB_INSC_IfEEEEiNS9_4plusIvEENS9_8equal_toIvEEiEE10hipError_tPvRmT2_T3_T4_T5_mT6_T7_P12ihipStream_tbENKUlT_T0_E_clISt17integral_constantIbLb0EES12_IbLb1EEEEDaSY_SZ_EUlSY_E_NS1_11comp_targetILNS1_3genE2ELNS1_11target_archE906ELNS1_3gpuE6ELNS1_3repE0EEENS1_30default_config_static_selectorELNS0_4arch9wavefront6targetE0EEEvT1_
		.amdhsa_group_segment_fixed_size 0
		.amdhsa_private_segment_fixed_size 0
		.amdhsa_kernarg_size 112
		.amdhsa_user_sgpr_count 2
		.amdhsa_user_sgpr_dispatch_ptr 0
		.amdhsa_user_sgpr_queue_ptr 0
		.amdhsa_user_sgpr_kernarg_segment_ptr 1
		.amdhsa_user_sgpr_dispatch_id 0
		.amdhsa_user_sgpr_kernarg_preload_length 0
		.amdhsa_user_sgpr_kernarg_preload_offset 0
		.amdhsa_user_sgpr_private_segment_size 0
		.amdhsa_wavefront_size32 1
		.amdhsa_uses_dynamic_stack 0
		.amdhsa_enable_private_segment 0
		.amdhsa_system_sgpr_workgroup_id_x 1
		.amdhsa_system_sgpr_workgroup_id_y 0
		.amdhsa_system_sgpr_workgroup_id_z 0
		.amdhsa_system_sgpr_workgroup_info 0
		.amdhsa_system_vgpr_workitem_id 0
		.amdhsa_next_free_vgpr 1
		.amdhsa_next_free_sgpr 1
		.amdhsa_named_barrier_count 0
		.amdhsa_reserve_vcc 0
		.amdhsa_float_round_mode_32 0
		.amdhsa_float_round_mode_16_64 0
		.amdhsa_float_denorm_mode_32 3
		.amdhsa_float_denorm_mode_16_64 3
		.amdhsa_fp16_overflow 0
		.amdhsa_memory_ordered 1
		.amdhsa_forward_progress 1
		.amdhsa_inst_pref_size 0
		.amdhsa_round_robin_scheduling 0
		.amdhsa_exception_fp_ieee_invalid_op 0
		.amdhsa_exception_fp_denorm_src 0
		.amdhsa_exception_fp_ieee_div_zero 0
		.amdhsa_exception_fp_ieee_overflow 0
		.amdhsa_exception_fp_ieee_underflow 0
		.amdhsa_exception_fp_ieee_inexact 0
		.amdhsa_exception_int_div_zero 0
	.end_amdhsa_kernel
	.section	.text._ZN7rocprim17ROCPRIM_400000_NS6detail17trampoline_kernelINS0_14default_configENS1_27scan_by_key_config_selectorIiiEEZZNS1_16scan_by_key_implILNS1_25lookback_scan_determinismE0ELb1ES3_N6thrust23THRUST_200600_302600_NS6detail15normal_iteratorINS9_10device_ptrIiEEEENSB_INSC_IjEEEENSB_INSC_IfEEEEiNS9_4plusIvEENS9_8equal_toIvEEiEE10hipError_tPvRmT2_T3_T4_T5_mT6_T7_P12ihipStream_tbENKUlT_T0_E_clISt17integral_constantIbLb0EES12_IbLb1EEEEDaSY_SZ_EUlSY_E_NS1_11comp_targetILNS1_3genE2ELNS1_11target_archE906ELNS1_3gpuE6ELNS1_3repE0EEENS1_30default_config_static_selectorELNS0_4arch9wavefront6targetE0EEEvT1_,"axG",@progbits,_ZN7rocprim17ROCPRIM_400000_NS6detail17trampoline_kernelINS0_14default_configENS1_27scan_by_key_config_selectorIiiEEZZNS1_16scan_by_key_implILNS1_25lookback_scan_determinismE0ELb1ES3_N6thrust23THRUST_200600_302600_NS6detail15normal_iteratorINS9_10device_ptrIiEEEENSB_INSC_IjEEEENSB_INSC_IfEEEEiNS9_4plusIvEENS9_8equal_toIvEEiEE10hipError_tPvRmT2_T3_T4_T5_mT6_T7_P12ihipStream_tbENKUlT_T0_E_clISt17integral_constantIbLb0EES12_IbLb1EEEEDaSY_SZ_EUlSY_E_NS1_11comp_targetILNS1_3genE2ELNS1_11target_archE906ELNS1_3gpuE6ELNS1_3repE0EEENS1_30default_config_static_selectorELNS0_4arch9wavefront6targetE0EEEvT1_,comdat
.Lfunc_end1748:
	.size	_ZN7rocprim17ROCPRIM_400000_NS6detail17trampoline_kernelINS0_14default_configENS1_27scan_by_key_config_selectorIiiEEZZNS1_16scan_by_key_implILNS1_25lookback_scan_determinismE0ELb1ES3_N6thrust23THRUST_200600_302600_NS6detail15normal_iteratorINS9_10device_ptrIiEEEENSB_INSC_IjEEEENSB_INSC_IfEEEEiNS9_4plusIvEENS9_8equal_toIvEEiEE10hipError_tPvRmT2_T3_T4_T5_mT6_T7_P12ihipStream_tbENKUlT_T0_E_clISt17integral_constantIbLb0EES12_IbLb1EEEEDaSY_SZ_EUlSY_E_NS1_11comp_targetILNS1_3genE2ELNS1_11target_archE906ELNS1_3gpuE6ELNS1_3repE0EEENS1_30default_config_static_selectorELNS0_4arch9wavefront6targetE0EEEvT1_, .Lfunc_end1748-_ZN7rocprim17ROCPRIM_400000_NS6detail17trampoline_kernelINS0_14default_configENS1_27scan_by_key_config_selectorIiiEEZZNS1_16scan_by_key_implILNS1_25lookback_scan_determinismE0ELb1ES3_N6thrust23THRUST_200600_302600_NS6detail15normal_iteratorINS9_10device_ptrIiEEEENSB_INSC_IjEEEENSB_INSC_IfEEEEiNS9_4plusIvEENS9_8equal_toIvEEiEE10hipError_tPvRmT2_T3_T4_T5_mT6_T7_P12ihipStream_tbENKUlT_T0_E_clISt17integral_constantIbLb0EES12_IbLb1EEEEDaSY_SZ_EUlSY_E_NS1_11comp_targetILNS1_3genE2ELNS1_11target_archE906ELNS1_3gpuE6ELNS1_3repE0EEENS1_30default_config_static_selectorELNS0_4arch9wavefront6targetE0EEEvT1_
                                        ; -- End function
	.set _ZN7rocprim17ROCPRIM_400000_NS6detail17trampoline_kernelINS0_14default_configENS1_27scan_by_key_config_selectorIiiEEZZNS1_16scan_by_key_implILNS1_25lookback_scan_determinismE0ELb1ES3_N6thrust23THRUST_200600_302600_NS6detail15normal_iteratorINS9_10device_ptrIiEEEENSB_INSC_IjEEEENSB_INSC_IfEEEEiNS9_4plusIvEENS9_8equal_toIvEEiEE10hipError_tPvRmT2_T3_T4_T5_mT6_T7_P12ihipStream_tbENKUlT_T0_E_clISt17integral_constantIbLb0EES12_IbLb1EEEEDaSY_SZ_EUlSY_E_NS1_11comp_targetILNS1_3genE2ELNS1_11target_archE906ELNS1_3gpuE6ELNS1_3repE0EEENS1_30default_config_static_selectorELNS0_4arch9wavefront6targetE0EEEvT1_.num_vgpr, 0
	.set _ZN7rocprim17ROCPRIM_400000_NS6detail17trampoline_kernelINS0_14default_configENS1_27scan_by_key_config_selectorIiiEEZZNS1_16scan_by_key_implILNS1_25lookback_scan_determinismE0ELb1ES3_N6thrust23THRUST_200600_302600_NS6detail15normal_iteratorINS9_10device_ptrIiEEEENSB_INSC_IjEEEENSB_INSC_IfEEEEiNS9_4plusIvEENS9_8equal_toIvEEiEE10hipError_tPvRmT2_T3_T4_T5_mT6_T7_P12ihipStream_tbENKUlT_T0_E_clISt17integral_constantIbLb0EES12_IbLb1EEEEDaSY_SZ_EUlSY_E_NS1_11comp_targetILNS1_3genE2ELNS1_11target_archE906ELNS1_3gpuE6ELNS1_3repE0EEENS1_30default_config_static_selectorELNS0_4arch9wavefront6targetE0EEEvT1_.num_agpr, 0
	.set _ZN7rocprim17ROCPRIM_400000_NS6detail17trampoline_kernelINS0_14default_configENS1_27scan_by_key_config_selectorIiiEEZZNS1_16scan_by_key_implILNS1_25lookback_scan_determinismE0ELb1ES3_N6thrust23THRUST_200600_302600_NS6detail15normal_iteratorINS9_10device_ptrIiEEEENSB_INSC_IjEEEENSB_INSC_IfEEEEiNS9_4plusIvEENS9_8equal_toIvEEiEE10hipError_tPvRmT2_T3_T4_T5_mT6_T7_P12ihipStream_tbENKUlT_T0_E_clISt17integral_constantIbLb0EES12_IbLb1EEEEDaSY_SZ_EUlSY_E_NS1_11comp_targetILNS1_3genE2ELNS1_11target_archE906ELNS1_3gpuE6ELNS1_3repE0EEENS1_30default_config_static_selectorELNS0_4arch9wavefront6targetE0EEEvT1_.numbered_sgpr, 0
	.set _ZN7rocprim17ROCPRIM_400000_NS6detail17trampoline_kernelINS0_14default_configENS1_27scan_by_key_config_selectorIiiEEZZNS1_16scan_by_key_implILNS1_25lookback_scan_determinismE0ELb1ES3_N6thrust23THRUST_200600_302600_NS6detail15normal_iteratorINS9_10device_ptrIiEEEENSB_INSC_IjEEEENSB_INSC_IfEEEEiNS9_4plusIvEENS9_8equal_toIvEEiEE10hipError_tPvRmT2_T3_T4_T5_mT6_T7_P12ihipStream_tbENKUlT_T0_E_clISt17integral_constantIbLb0EES12_IbLb1EEEEDaSY_SZ_EUlSY_E_NS1_11comp_targetILNS1_3genE2ELNS1_11target_archE906ELNS1_3gpuE6ELNS1_3repE0EEENS1_30default_config_static_selectorELNS0_4arch9wavefront6targetE0EEEvT1_.num_named_barrier, 0
	.set _ZN7rocprim17ROCPRIM_400000_NS6detail17trampoline_kernelINS0_14default_configENS1_27scan_by_key_config_selectorIiiEEZZNS1_16scan_by_key_implILNS1_25lookback_scan_determinismE0ELb1ES3_N6thrust23THRUST_200600_302600_NS6detail15normal_iteratorINS9_10device_ptrIiEEEENSB_INSC_IjEEEENSB_INSC_IfEEEEiNS9_4plusIvEENS9_8equal_toIvEEiEE10hipError_tPvRmT2_T3_T4_T5_mT6_T7_P12ihipStream_tbENKUlT_T0_E_clISt17integral_constantIbLb0EES12_IbLb1EEEEDaSY_SZ_EUlSY_E_NS1_11comp_targetILNS1_3genE2ELNS1_11target_archE906ELNS1_3gpuE6ELNS1_3repE0EEENS1_30default_config_static_selectorELNS0_4arch9wavefront6targetE0EEEvT1_.private_seg_size, 0
	.set _ZN7rocprim17ROCPRIM_400000_NS6detail17trampoline_kernelINS0_14default_configENS1_27scan_by_key_config_selectorIiiEEZZNS1_16scan_by_key_implILNS1_25lookback_scan_determinismE0ELb1ES3_N6thrust23THRUST_200600_302600_NS6detail15normal_iteratorINS9_10device_ptrIiEEEENSB_INSC_IjEEEENSB_INSC_IfEEEEiNS9_4plusIvEENS9_8equal_toIvEEiEE10hipError_tPvRmT2_T3_T4_T5_mT6_T7_P12ihipStream_tbENKUlT_T0_E_clISt17integral_constantIbLb0EES12_IbLb1EEEEDaSY_SZ_EUlSY_E_NS1_11comp_targetILNS1_3genE2ELNS1_11target_archE906ELNS1_3gpuE6ELNS1_3repE0EEENS1_30default_config_static_selectorELNS0_4arch9wavefront6targetE0EEEvT1_.uses_vcc, 0
	.set _ZN7rocprim17ROCPRIM_400000_NS6detail17trampoline_kernelINS0_14default_configENS1_27scan_by_key_config_selectorIiiEEZZNS1_16scan_by_key_implILNS1_25lookback_scan_determinismE0ELb1ES3_N6thrust23THRUST_200600_302600_NS6detail15normal_iteratorINS9_10device_ptrIiEEEENSB_INSC_IjEEEENSB_INSC_IfEEEEiNS9_4plusIvEENS9_8equal_toIvEEiEE10hipError_tPvRmT2_T3_T4_T5_mT6_T7_P12ihipStream_tbENKUlT_T0_E_clISt17integral_constantIbLb0EES12_IbLb1EEEEDaSY_SZ_EUlSY_E_NS1_11comp_targetILNS1_3genE2ELNS1_11target_archE906ELNS1_3gpuE6ELNS1_3repE0EEENS1_30default_config_static_selectorELNS0_4arch9wavefront6targetE0EEEvT1_.uses_flat_scratch, 0
	.set _ZN7rocprim17ROCPRIM_400000_NS6detail17trampoline_kernelINS0_14default_configENS1_27scan_by_key_config_selectorIiiEEZZNS1_16scan_by_key_implILNS1_25lookback_scan_determinismE0ELb1ES3_N6thrust23THRUST_200600_302600_NS6detail15normal_iteratorINS9_10device_ptrIiEEEENSB_INSC_IjEEEENSB_INSC_IfEEEEiNS9_4plusIvEENS9_8equal_toIvEEiEE10hipError_tPvRmT2_T3_T4_T5_mT6_T7_P12ihipStream_tbENKUlT_T0_E_clISt17integral_constantIbLb0EES12_IbLb1EEEEDaSY_SZ_EUlSY_E_NS1_11comp_targetILNS1_3genE2ELNS1_11target_archE906ELNS1_3gpuE6ELNS1_3repE0EEENS1_30default_config_static_selectorELNS0_4arch9wavefront6targetE0EEEvT1_.has_dyn_sized_stack, 0
	.set _ZN7rocprim17ROCPRIM_400000_NS6detail17trampoline_kernelINS0_14default_configENS1_27scan_by_key_config_selectorIiiEEZZNS1_16scan_by_key_implILNS1_25lookback_scan_determinismE0ELb1ES3_N6thrust23THRUST_200600_302600_NS6detail15normal_iteratorINS9_10device_ptrIiEEEENSB_INSC_IjEEEENSB_INSC_IfEEEEiNS9_4plusIvEENS9_8equal_toIvEEiEE10hipError_tPvRmT2_T3_T4_T5_mT6_T7_P12ihipStream_tbENKUlT_T0_E_clISt17integral_constantIbLb0EES12_IbLb1EEEEDaSY_SZ_EUlSY_E_NS1_11comp_targetILNS1_3genE2ELNS1_11target_archE906ELNS1_3gpuE6ELNS1_3repE0EEENS1_30default_config_static_selectorELNS0_4arch9wavefront6targetE0EEEvT1_.has_recursion, 0
	.set _ZN7rocprim17ROCPRIM_400000_NS6detail17trampoline_kernelINS0_14default_configENS1_27scan_by_key_config_selectorIiiEEZZNS1_16scan_by_key_implILNS1_25lookback_scan_determinismE0ELb1ES3_N6thrust23THRUST_200600_302600_NS6detail15normal_iteratorINS9_10device_ptrIiEEEENSB_INSC_IjEEEENSB_INSC_IfEEEEiNS9_4plusIvEENS9_8equal_toIvEEiEE10hipError_tPvRmT2_T3_T4_T5_mT6_T7_P12ihipStream_tbENKUlT_T0_E_clISt17integral_constantIbLb0EES12_IbLb1EEEEDaSY_SZ_EUlSY_E_NS1_11comp_targetILNS1_3genE2ELNS1_11target_archE906ELNS1_3gpuE6ELNS1_3repE0EEENS1_30default_config_static_selectorELNS0_4arch9wavefront6targetE0EEEvT1_.has_indirect_call, 0
	.section	.AMDGPU.csdata,"",@progbits
; Kernel info:
; codeLenInByte = 0
; TotalNumSgprs: 0
; NumVgprs: 0
; ScratchSize: 0
; MemoryBound: 0
; FloatMode: 240
; IeeeMode: 1
; LDSByteSize: 0 bytes/workgroup (compile time only)
; SGPRBlocks: 0
; VGPRBlocks: 0
; NumSGPRsForWavesPerEU: 1
; NumVGPRsForWavesPerEU: 1
; NamedBarCnt: 0
; Occupancy: 16
; WaveLimiterHint : 0
; COMPUTE_PGM_RSRC2:SCRATCH_EN: 0
; COMPUTE_PGM_RSRC2:USER_SGPR: 2
; COMPUTE_PGM_RSRC2:TRAP_HANDLER: 0
; COMPUTE_PGM_RSRC2:TGID_X_EN: 1
; COMPUTE_PGM_RSRC2:TGID_Y_EN: 0
; COMPUTE_PGM_RSRC2:TGID_Z_EN: 0
; COMPUTE_PGM_RSRC2:TIDIG_COMP_CNT: 0
	.section	.text._ZN7rocprim17ROCPRIM_400000_NS6detail17trampoline_kernelINS0_14default_configENS1_27scan_by_key_config_selectorIiiEEZZNS1_16scan_by_key_implILNS1_25lookback_scan_determinismE0ELb1ES3_N6thrust23THRUST_200600_302600_NS6detail15normal_iteratorINS9_10device_ptrIiEEEENSB_INSC_IjEEEENSB_INSC_IfEEEEiNS9_4plusIvEENS9_8equal_toIvEEiEE10hipError_tPvRmT2_T3_T4_T5_mT6_T7_P12ihipStream_tbENKUlT_T0_E_clISt17integral_constantIbLb0EES12_IbLb1EEEEDaSY_SZ_EUlSY_E_NS1_11comp_targetILNS1_3genE10ELNS1_11target_archE1200ELNS1_3gpuE4ELNS1_3repE0EEENS1_30default_config_static_selectorELNS0_4arch9wavefront6targetE0EEEvT1_,"axG",@progbits,_ZN7rocprim17ROCPRIM_400000_NS6detail17trampoline_kernelINS0_14default_configENS1_27scan_by_key_config_selectorIiiEEZZNS1_16scan_by_key_implILNS1_25lookback_scan_determinismE0ELb1ES3_N6thrust23THRUST_200600_302600_NS6detail15normal_iteratorINS9_10device_ptrIiEEEENSB_INSC_IjEEEENSB_INSC_IfEEEEiNS9_4plusIvEENS9_8equal_toIvEEiEE10hipError_tPvRmT2_T3_T4_T5_mT6_T7_P12ihipStream_tbENKUlT_T0_E_clISt17integral_constantIbLb0EES12_IbLb1EEEEDaSY_SZ_EUlSY_E_NS1_11comp_targetILNS1_3genE10ELNS1_11target_archE1200ELNS1_3gpuE4ELNS1_3repE0EEENS1_30default_config_static_selectorELNS0_4arch9wavefront6targetE0EEEvT1_,comdat
	.protected	_ZN7rocprim17ROCPRIM_400000_NS6detail17trampoline_kernelINS0_14default_configENS1_27scan_by_key_config_selectorIiiEEZZNS1_16scan_by_key_implILNS1_25lookback_scan_determinismE0ELb1ES3_N6thrust23THRUST_200600_302600_NS6detail15normal_iteratorINS9_10device_ptrIiEEEENSB_INSC_IjEEEENSB_INSC_IfEEEEiNS9_4plusIvEENS9_8equal_toIvEEiEE10hipError_tPvRmT2_T3_T4_T5_mT6_T7_P12ihipStream_tbENKUlT_T0_E_clISt17integral_constantIbLb0EES12_IbLb1EEEEDaSY_SZ_EUlSY_E_NS1_11comp_targetILNS1_3genE10ELNS1_11target_archE1200ELNS1_3gpuE4ELNS1_3repE0EEENS1_30default_config_static_selectorELNS0_4arch9wavefront6targetE0EEEvT1_ ; -- Begin function _ZN7rocprim17ROCPRIM_400000_NS6detail17trampoline_kernelINS0_14default_configENS1_27scan_by_key_config_selectorIiiEEZZNS1_16scan_by_key_implILNS1_25lookback_scan_determinismE0ELb1ES3_N6thrust23THRUST_200600_302600_NS6detail15normal_iteratorINS9_10device_ptrIiEEEENSB_INSC_IjEEEENSB_INSC_IfEEEEiNS9_4plusIvEENS9_8equal_toIvEEiEE10hipError_tPvRmT2_T3_T4_T5_mT6_T7_P12ihipStream_tbENKUlT_T0_E_clISt17integral_constantIbLb0EES12_IbLb1EEEEDaSY_SZ_EUlSY_E_NS1_11comp_targetILNS1_3genE10ELNS1_11target_archE1200ELNS1_3gpuE4ELNS1_3repE0EEENS1_30default_config_static_selectorELNS0_4arch9wavefront6targetE0EEEvT1_
	.globl	_ZN7rocprim17ROCPRIM_400000_NS6detail17trampoline_kernelINS0_14default_configENS1_27scan_by_key_config_selectorIiiEEZZNS1_16scan_by_key_implILNS1_25lookback_scan_determinismE0ELb1ES3_N6thrust23THRUST_200600_302600_NS6detail15normal_iteratorINS9_10device_ptrIiEEEENSB_INSC_IjEEEENSB_INSC_IfEEEEiNS9_4plusIvEENS9_8equal_toIvEEiEE10hipError_tPvRmT2_T3_T4_T5_mT6_T7_P12ihipStream_tbENKUlT_T0_E_clISt17integral_constantIbLb0EES12_IbLb1EEEEDaSY_SZ_EUlSY_E_NS1_11comp_targetILNS1_3genE10ELNS1_11target_archE1200ELNS1_3gpuE4ELNS1_3repE0EEENS1_30default_config_static_selectorELNS0_4arch9wavefront6targetE0EEEvT1_
	.p2align	8
	.type	_ZN7rocprim17ROCPRIM_400000_NS6detail17trampoline_kernelINS0_14default_configENS1_27scan_by_key_config_selectorIiiEEZZNS1_16scan_by_key_implILNS1_25lookback_scan_determinismE0ELb1ES3_N6thrust23THRUST_200600_302600_NS6detail15normal_iteratorINS9_10device_ptrIiEEEENSB_INSC_IjEEEENSB_INSC_IfEEEEiNS9_4plusIvEENS9_8equal_toIvEEiEE10hipError_tPvRmT2_T3_T4_T5_mT6_T7_P12ihipStream_tbENKUlT_T0_E_clISt17integral_constantIbLb0EES12_IbLb1EEEEDaSY_SZ_EUlSY_E_NS1_11comp_targetILNS1_3genE10ELNS1_11target_archE1200ELNS1_3gpuE4ELNS1_3repE0EEENS1_30default_config_static_selectorELNS0_4arch9wavefront6targetE0EEEvT1_,@function
_ZN7rocprim17ROCPRIM_400000_NS6detail17trampoline_kernelINS0_14default_configENS1_27scan_by_key_config_selectorIiiEEZZNS1_16scan_by_key_implILNS1_25lookback_scan_determinismE0ELb1ES3_N6thrust23THRUST_200600_302600_NS6detail15normal_iteratorINS9_10device_ptrIiEEEENSB_INSC_IjEEEENSB_INSC_IfEEEEiNS9_4plusIvEENS9_8equal_toIvEEiEE10hipError_tPvRmT2_T3_T4_T5_mT6_T7_P12ihipStream_tbENKUlT_T0_E_clISt17integral_constantIbLb0EES12_IbLb1EEEEDaSY_SZ_EUlSY_E_NS1_11comp_targetILNS1_3genE10ELNS1_11target_archE1200ELNS1_3gpuE4ELNS1_3repE0EEENS1_30default_config_static_selectorELNS0_4arch9wavefront6targetE0EEEvT1_: ; @_ZN7rocprim17ROCPRIM_400000_NS6detail17trampoline_kernelINS0_14default_configENS1_27scan_by_key_config_selectorIiiEEZZNS1_16scan_by_key_implILNS1_25lookback_scan_determinismE0ELb1ES3_N6thrust23THRUST_200600_302600_NS6detail15normal_iteratorINS9_10device_ptrIiEEEENSB_INSC_IjEEEENSB_INSC_IfEEEEiNS9_4plusIvEENS9_8equal_toIvEEiEE10hipError_tPvRmT2_T3_T4_T5_mT6_T7_P12ihipStream_tbENKUlT_T0_E_clISt17integral_constantIbLb0EES12_IbLb1EEEEDaSY_SZ_EUlSY_E_NS1_11comp_targetILNS1_3genE10ELNS1_11target_archE1200ELNS1_3gpuE4ELNS1_3repE0EEENS1_30default_config_static_selectorELNS0_4arch9wavefront6targetE0EEEvT1_
; %bb.0:
	.section	.rodata,"a",@progbits
	.p2align	6, 0x0
	.amdhsa_kernel _ZN7rocprim17ROCPRIM_400000_NS6detail17trampoline_kernelINS0_14default_configENS1_27scan_by_key_config_selectorIiiEEZZNS1_16scan_by_key_implILNS1_25lookback_scan_determinismE0ELb1ES3_N6thrust23THRUST_200600_302600_NS6detail15normal_iteratorINS9_10device_ptrIiEEEENSB_INSC_IjEEEENSB_INSC_IfEEEEiNS9_4plusIvEENS9_8equal_toIvEEiEE10hipError_tPvRmT2_T3_T4_T5_mT6_T7_P12ihipStream_tbENKUlT_T0_E_clISt17integral_constantIbLb0EES12_IbLb1EEEEDaSY_SZ_EUlSY_E_NS1_11comp_targetILNS1_3genE10ELNS1_11target_archE1200ELNS1_3gpuE4ELNS1_3repE0EEENS1_30default_config_static_selectorELNS0_4arch9wavefront6targetE0EEEvT1_
		.amdhsa_group_segment_fixed_size 0
		.amdhsa_private_segment_fixed_size 0
		.amdhsa_kernarg_size 112
		.amdhsa_user_sgpr_count 2
		.amdhsa_user_sgpr_dispatch_ptr 0
		.amdhsa_user_sgpr_queue_ptr 0
		.amdhsa_user_sgpr_kernarg_segment_ptr 1
		.amdhsa_user_sgpr_dispatch_id 0
		.amdhsa_user_sgpr_kernarg_preload_length 0
		.amdhsa_user_sgpr_kernarg_preload_offset 0
		.amdhsa_user_sgpr_private_segment_size 0
		.amdhsa_wavefront_size32 1
		.amdhsa_uses_dynamic_stack 0
		.amdhsa_enable_private_segment 0
		.amdhsa_system_sgpr_workgroup_id_x 1
		.amdhsa_system_sgpr_workgroup_id_y 0
		.amdhsa_system_sgpr_workgroup_id_z 0
		.amdhsa_system_sgpr_workgroup_info 0
		.amdhsa_system_vgpr_workitem_id 0
		.amdhsa_next_free_vgpr 1
		.amdhsa_next_free_sgpr 1
		.amdhsa_named_barrier_count 0
		.amdhsa_reserve_vcc 0
		.amdhsa_float_round_mode_32 0
		.amdhsa_float_round_mode_16_64 0
		.amdhsa_float_denorm_mode_32 3
		.amdhsa_float_denorm_mode_16_64 3
		.amdhsa_fp16_overflow 0
		.amdhsa_memory_ordered 1
		.amdhsa_forward_progress 1
		.amdhsa_inst_pref_size 0
		.amdhsa_round_robin_scheduling 0
		.amdhsa_exception_fp_ieee_invalid_op 0
		.amdhsa_exception_fp_denorm_src 0
		.amdhsa_exception_fp_ieee_div_zero 0
		.amdhsa_exception_fp_ieee_overflow 0
		.amdhsa_exception_fp_ieee_underflow 0
		.amdhsa_exception_fp_ieee_inexact 0
		.amdhsa_exception_int_div_zero 0
	.end_amdhsa_kernel
	.section	.text._ZN7rocprim17ROCPRIM_400000_NS6detail17trampoline_kernelINS0_14default_configENS1_27scan_by_key_config_selectorIiiEEZZNS1_16scan_by_key_implILNS1_25lookback_scan_determinismE0ELb1ES3_N6thrust23THRUST_200600_302600_NS6detail15normal_iteratorINS9_10device_ptrIiEEEENSB_INSC_IjEEEENSB_INSC_IfEEEEiNS9_4plusIvEENS9_8equal_toIvEEiEE10hipError_tPvRmT2_T3_T4_T5_mT6_T7_P12ihipStream_tbENKUlT_T0_E_clISt17integral_constantIbLb0EES12_IbLb1EEEEDaSY_SZ_EUlSY_E_NS1_11comp_targetILNS1_3genE10ELNS1_11target_archE1200ELNS1_3gpuE4ELNS1_3repE0EEENS1_30default_config_static_selectorELNS0_4arch9wavefront6targetE0EEEvT1_,"axG",@progbits,_ZN7rocprim17ROCPRIM_400000_NS6detail17trampoline_kernelINS0_14default_configENS1_27scan_by_key_config_selectorIiiEEZZNS1_16scan_by_key_implILNS1_25lookback_scan_determinismE0ELb1ES3_N6thrust23THRUST_200600_302600_NS6detail15normal_iteratorINS9_10device_ptrIiEEEENSB_INSC_IjEEEENSB_INSC_IfEEEEiNS9_4plusIvEENS9_8equal_toIvEEiEE10hipError_tPvRmT2_T3_T4_T5_mT6_T7_P12ihipStream_tbENKUlT_T0_E_clISt17integral_constantIbLb0EES12_IbLb1EEEEDaSY_SZ_EUlSY_E_NS1_11comp_targetILNS1_3genE10ELNS1_11target_archE1200ELNS1_3gpuE4ELNS1_3repE0EEENS1_30default_config_static_selectorELNS0_4arch9wavefront6targetE0EEEvT1_,comdat
.Lfunc_end1749:
	.size	_ZN7rocprim17ROCPRIM_400000_NS6detail17trampoline_kernelINS0_14default_configENS1_27scan_by_key_config_selectorIiiEEZZNS1_16scan_by_key_implILNS1_25lookback_scan_determinismE0ELb1ES3_N6thrust23THRUST_200600_302600_NS6detail15normal_iteratorINS9_10device_ptrIiEEEENSB_INSC_IjEEEENSB_INSC_IfEEEEiNS9_4plusIvEENS9_8equal_toIvEEiEE10hipError_tPvRmT2_T3_T4_T5_mT6_T7_P12ihipStream_tbENKUlT_T0_E_clISt17integral_constantIbLb0EES12_IbLb1EEEEDaSY_SZ_EUlSY_E_NS1_11comp_targetILNS1_3genE10ELNS1_11target_archE1200ELNS1_3gpuE4ELNS1_3repE0EEENS1_30default_config_static_selectorELNS0_4arch9wavefront6targetE0EEEvT1_, .Lfunc_end1749-_ZN7rocprim17ROCPRIM_400000_NS6detail17trampoline_kernelINS0_14default_configENS1_27scan_by_key_config_selectorIiiEEZZNS1_16scan_by_key_implILNS1_25lookback_scan_determinismE0ELb1ES3_N6thrust23THRUST_200600_302600_NS6detail15normal_iteratorINS9_10device_ptrIiEEEENSB_INSC_IjEEEENSB_INSC_IfEEEEiNS9_4plusIvEENS9_8equal_toIvEEiEE10hipError_tPvRmT2_T3_T4_T5_mT6_T7_P12ihipStream_tbENKUlT_T0_E_clISt17integral_constantIbLb0EES12_IbLb1EEEEDaSY_SZ_EUlSY_E_NS1_11comp_targetILNS1_3genE10ELNS1_11target_archE1200ELNS1_3gpuE4ELNS1_3repE0EEENS1_30default_config_static_selectorELNS0_4arch9wavefront6targetE0EEEvT1_
                                        ; -- End function
	.set _ZN7rocprim17ROCPRIM_400000_NS6detail17trampoline_kernelINS0_14default_configENS1_27scan_by_key_config_selectorIiiEEZZNS1_16scan_by_key_implILNS1_25lookback_scan_determinismE0ELb1ES3_N6thrust23THRUST_200600_302600_NS6detail15normal_iteratorINS9_10device_ptrIiEEEENSB_INSC_IjEEEENSB_INSC_IfEEEEiNS9_4plusIvEENS9_8equal_toIvEEiEE10hipError_tPvRmT2_T3_T4_T5_mT6_T7_P12ihipStream_tbENKUlT_T0_E_clISt17integral_constantIbLb0EES12_IbLb1EEEEDaSY_SZ_EUlSY_E_NS1_11comp_targetILNS1_3genE10ELNS1_11target_archE1200ELNS1_3gpuE4ELNS1_3repE0EEENS1_30default_config_static_selectorELNS0_4arch9wavefront6targetE0EEEvT1_.num_vgpr, 0
	.set _ZN7rocprim17ROCPRIM_400000_NS6detail17trampoline_kernelINS0_14default_configENS1_27scan_by_key_config_selectorIiiEEZZNS1_16scan_by_key_implILNS1_25lookback_scan_determinismE0ELb1ES3_N6thrust23THRUST_200600_302600_NS6detail15normal_iteratorINS9_10device_ptrIiEEEENSB_INSC_IjEEEENSB_INSC_IfEEEEiNS9_4plusIvEENS9_8equal_toIvEEiEE10hipError_tPvRmT2_T3_T4_T5_mT6_T7_P12ihipStream_tbENKUlT_T0_E_clISt17integral_constantIbLb0EES12_IbLb1EEEEDaSY_SZ_EUlSY_E_NS1_11comp_targetILNS1_3genE10ELNS1_11target_archE1200ELNS1_3gpuE4ELNS1_3repE0EEENS1_30default_config_static_selectorELNS0_4arch9wavefront6targetE0EEEvT1_.num_agpr, 0
	.set _ZN7rocprim17ROCPRIM_400000_NS6detail17trampoline_kernelINS0_14default_configENS1_27scan_by_key_config_selectorIiiEEZZNS1_16scan_by_key_implILNS1_25lookback_scan_determinismE0ELb1ES3_N6thrust23THRUST_200600_302600_NS6detail15normal_iteratorINS9_10device_ptrIiEEEENSB_INSC_IjEEEENSB_INSC_IfEEEEiNS9_4plusIvEENS9_8equal_toIvEEiEE10hipError_tPvRmT2_T3_T4_T5_mT6_T7_P12ihipStream_tbENKUlT_T0_E_clISt17integral_constantIbLb0EES12_IbLb1EEEEDaSY_SZ_EUlSY_E_NS1_11comp_targetILNS1_3genE10ELNS1_11target_archE1200ELNS1_3gpuE4ELNS1_3repE0EEENS1_30default_config_static_selectorELNS0_4arch9wavefront6targetE0EEEvT1_.numbered_sgpr, 0
	.set _ZN7rocprim17ROCPRIM_400000_NS6detail17trampoline_kernelINS0_14default_configENS1_27scan_by_key_config_selectorIiiEEZZNS1_16scan_by_key_implILNS1_25lookback_scan_determinismE0ELb1ES3_N6thrust23THRUST_200600_302600_NS6detail15normal_iteratorINS9_10device_ptrIiEEEENSB_INSC_IjEEEENSB_INSC_IfEEEEiNS9_4plusIvEENS9_8equal_toIvEEiEE10hipError_tPvRmT2_T3_T4_T5_mT6_T7_P12ihipStream_tbENKUlT_T0_E_clISt17integral_constantIbLb0EES12_IbLb1EEEEDaSY_SZ_EUlSY_E_NS1_11comp_targetILNS1_3genE10ELNS1_11target_archE1200ELNS1_3gpuE4ELNS1_3repE0EEENS1_30default_config_static_selectorELNS0_4arch9wavefront6targetE0EEEvT1_.num_named_barrier, 0
	.set _ZN7rocprim17ROCPRIM_400000_NS6detail17trampoline_kernelINS0_14default_configENS1_27scan_by_key_config_selectorIiiEEZZNS1_16scan_by_key_implILNS1_25lookback_scan_determinismE0ELb1ES3_N6thrust23THRUST_200600_302600_NS6detail15normal_iteratorINS9_10device_ptrIiEEEENSB_INSC_IjEEEENSB_INSC_IfEEEEiNS9_4plusIvEENS9_8equal_toIvEEiEE10hipError_tPvRmT2_T3_T4_T5_mT6_T7_P12ihipStream_tbENKUlT_T0_E_clISt17integral_constantIbLb0EES12_IbLb1EEEEDaSY_SZ_EUlSY_E_NS1_11comp_targetILNS1_3genE10ELNS1_11target_archE1200ELNS1_3gpuE4ELNS1_3repE0EEENS1_30default_config_static_selectorELNS0_4arch9wavefront6targetE0EEEvT1_.private_seg_size, 0
	.set _ZN7rocprim17ROCPRIM_400000_NS6detail17trampoline_kernelINS0_14default_configENS1_27scan_by_key_config_selectorIiiEEZZNS1_16scan_by_key_implILNS1_25lookback_scan_determinismE0ELb1ES3_N6thrust23THRUST_200600_302600_NS6detail15normal_iteratorINS9_10device_ptrIiEEEENSB_INSC_IjEEEENSB_INSC_IfEEEEiNS9_4plusIvEENS9_8equal_toIvEEiEE10hipError_tPvRmT2_T3_T4_T5_mT6_T7_P12ihipStream_tbENKUlT_T0_E_clISt17integral_constantIbLb0EES12_IbLb1EEEEDaSY_SZ_EUlSY_E_NS1_11comp_targetILNS1_3genE10ELNS1_11target_archE1200ELNS1_3gpuE4ELNS1_3repE0EEENS1_30default_config_static_selectorELNS0_4arch9wavefront6targetE0EEEvT1_.uses_vcc, 0
	.set _ZN7rocprim17ROCPRIM_400000_NS6detail17trampoline_kernelINS0_14default_configENS1_27scan_by_key_config_selectorIiiEEZZNS1_16scan_by_key_implILNS1_25lookback_scan_determinismE0ELb1ES3_N6thrust23THRUST_200600_302600_NS6detail15normal_iteratorINS9_10device_ptrIiEEEENSB_INSC_IjEEEENSB_INSC_IfEEEEiNS9_4plusIvEENS9_8equal_toIvEEiEE10hipError_tPvRmT2_T3_T4_T5_mT6_T7_P12ihipStream_tbENKUlT_T0_E_clISt17integral_constantIbLb0EES12_IbLb1EEEEDaSY_SZ_EUlSY_E_NS1_11comp_targetILNS1_3genE10ELNS1_11target_archE1200ELNS1_3gpuE4ELNS1_3repE0EEENS1_30default_config_static_selectorELNS0_4arch9wavefront6targetE0EEEvT1_.uses_flat_scratch, 0
	.set _ZN7rocprim17ROCPRIM_400000_NS6detail17trampoline_kernelINS0_14default_configENS1_27scan_by_key_config_selectorIiiEEZZNS1_16scan_by_key_implILNS1_25lookback_scan_determinismE0ELb1ES3_N6thrust23THRUST_200600_302600_NS6detail15normal_iteratorINS9_10device_ptrIiEEEENSB_INSC_IjEEEENSB_INSC_IfEEEEiNS9_4plusIvEENS9_8equal_toIvEEiEE10hipError_tPvRmT2_T3_T4_T5_mT6_T7_P12ihipStream_tbENKUlT_T0_E_clISt17integral_constantIbLb0EES12_IbLb1EEEEDaSY_SZ_EUlSY_E_NS1_11comp_targetILNS1_3genE10ELNS1_11target_archE1200ELNS1_3gpuE4ELNS1_3repE0EEENS1_30default_config_static_selectorELNS0_4arch9wavefront6targetE0EEEvT1_.has_dyn_sized_stack, 0
	.set _ZN7rocprim17ROCPRIM_400000_NS6detail17trampoline_kernelINS0_14default_configENS1_27scan_by_key_config_selectorIiiEEZZNS1_16scan_by_key_implILNS1_25lookback_scan_determinismE0ELb1ES3_N6thrust23THRUST_200600_302600_NS6detail15normal_iteratorINS9_10device_ptrIiEEEENSB_INSC_IjEEEENSB_INSC_IfEEEEiNS9_4plusIvEENS9_8equal_toIvEEiEE10hipError_tPvRmT2_T3_T4_T5_mT6_T7_P12ihipStream_tbENKUlT_T0_E_clISt17integral_constantIbLb0EES12_IbLb1EEEEDaSY_SZ_EUlSY_E_NS1_11comp_targetILNS1_3genE10ELNS1_11target_archE1200ELNS1_3gpuE4ELNS1_3repE0EEENS1_30default_config_static_selectorELNS0_4arch9wavefront6targetE0EEEvT1_.has_recursion, 0
	.set _ZN7rocprim17ROCPRIM_400000_NS6detail17trampoline_kernelINS0_14default_configENS1_27scan_by_key_config_selectorIiiEEZZNS1_16scan_by_key_implILNS1_25lookback_scan_determinismE0ELb1ES3_N6thrust23THRUST_200600_302600_NS6detail15normal_iteratorINS9_10device_ptrIiEEEENSB_INSC_IjEEEENSB_INSC_IfEEEEiNS9_4plusIvEENS9_8equal_toIvEEiEE10hipError_tPvRmT2_T3_T4_T5_mT6_T7_P12ihipStream_tbENKUlT_T0_E_clISt17integral_constantIbLb0EES12_IbLb1EEEEDaSY_SZ_EUlSY_E_NS1_11comp_targetILNS1_3genE10ELNS1_11target_archE1200ELNS1_3gpuE4ELNS1_3repE0EEENS1_30default_config_static_selectorELNS0_4arch9wavefront6targetE0EEEvT1_.has_indirect_call, 0
	.section	.AMDGPU.csdata,"",@progbits
; Kernel info:
; codeLenInByte = 0
; TotalNumSgprs: 0
; NumVgprs: 0
; ScratchSize: 0
; MemoryBound: 0
; FloatMode: 240
; IeeeMode: 1
; LDSByteSize: 0 bytes/workgroup (compile time only)
; SGPRBlocks: 0
; VGPRBlocks: 0
; NumSGPRsForWavesPerEU: 1
; NumVGPRsForWavesPerEU: 1
; NamedBarCnt: 0
; Occupancy: 16
; WaveLimiterHint : 0
; COMPUTE_PGM_RSRC2:SCRATCH_EN: 0
; COMPUTE_PGM_RSRC2:USER_SGPR: 2
; COMPUTE_PGM_RSRC2:TRAP_HANDLER: 0
; COMPUTE_PGM_RSRC2:TGID_X_EN: 1
; COMPUTE_PGM_RSRC2:TGID_Y_EN: 0
; COMPUTE_PGM_RSRC2:TGID_Z_EN: 0
; COMPUTE_PGM_RSRC2:TIDIG_COMP_CNT: 0
	.section	.text._ZN7rocprim17ROCPRIM_400000_NS6detail17trampoline_kernelINS0_14default_configENS1_27scan_by_key_config_selectorIiiEEZZNS1_16scan_by_key_implILNS1_25lookback_scan_determinismE0ELb1ES3_N6thrust23THRUST_200600_302600_NS6detail15normal_iteratorINS9_10device_ptrIiEEEENSB_INSC_IjEEEENSB_INSC_IfEEEEiNS9_4plusIvEENS9_8equal_toIvEEiEE10hipError_tPvRmT2_T3_T4_T5_mT6_T7_P12ihipStream_tbENKUlT_T0_E_clISt17integral_constantIbLb0EES12_IbLb1EEEEDaSY_SZ_EUlSY_E_NS1_11comp_targetILNS1_3genE9ELNS1_11target_archE1100ELNS1_3gpuE3ELNS1_3repE0EEENS1_30default_config_static_selectorELNS0_4arch9wavefront6targetE0EEEvT1_,"axG",@progbits,_ZN7rocprim17ROCPRIM_400000_NS6detail17trampoline_kernelINS0_14default_configENS1_27scan_by_key_config_selectorIiiEEZZNS1_16scan_by_key_implILNS1_25lookback_scan_determinismE0ELb1ES3_N6thrust23THRUST_200600_302600_NS6detail15normal_iteratorINS9_10device_ptrIiEEEENSB_INSC_IjEEEENSB_INSC_IfEEEEiNS9_4plusIvEENS9_8equal_toIvEEiEE10hipError_tPvRmT2_T3_T4_T5_mT6_T7_P12ihipStream_tbENKUlT_T0_E_clISt17integral_constantIbLb0EES12_IbLb1EEEEDaSY_SZ_EUlSY_E_NS1_11comp_targetILNS1_3genE9ELNS1_11target_archE1100ELNS1_3gpuE3ELNS1_3repE0EEENS1_30default_config_static_selectorELNS0_4arch9wavefront6targetE0EEEvT1_,comdat
	.protected	_ZN7rocprim17ROCPRIM_400000_NS6detail17trampoline_kernelINS0_14default_configENS1_27scan_by_key_config_selectorIiiEEZZNS1_16scan_by_key_implILNS1_25lookback_scan_determinismE0ELb1ES3_N6thrust23THRUST_200600_302600_NS6detail15normal_iteratorINS9_10device_ptrIiEEEENSB_INSC_IjEEEENSB_INSC_IfEEEEiNS9_4plusIvEENS9_8equal_toIvEEiEE10hipError_tPvRmT2_T3_T4_T5_mT6_T7_P12ihipStream_tbENKUlT_T0_E_clISt17integral_constantIbLb0EES12_IbLb1EEEEDaSY_SZ_EUlSY_E_NS1_11comp_targetILNS1_3genE9ELNS1_11target_archE1100ELNS1_3gpuE3ELNS1_3repE0EEENS1_30default_config_static_selectorELNS0_4arch9wavefront6targetE0EEEvT1_ ; -- Begin function _ZN7rocprim17ROCPRIM_400000_NS6detail17trampoline_kernelINS0_14default_configENS1_27scan_by_key_config_selectorIiiEEZZNS1_16scan_by_key_implILNS1_25lookback_scan_determinismE0ELb1ES3_N6thrust23THRUST_200600_302600_NS6detail15normal_iteratorINS9_10device_ptrIiEEEENSB_INSC_IjEEEENSB_INSC_IfEEEEiNS9_4plusIvEENS9_8equal_toIvEEiEE10hipError_tPvRmT2_T3_T4_T5_mT6_T7_P12ihipStream_tbENKUlT_T0_E_clISt17integral_constantIbLb0EES12_IbLb1EEEEDaSY_SZ_EUlSY_E_NS1_11comp_targetILNS1_3genE9ELNS1_11target_archE1100ELNS1_3gpuE3ELNS1_3repE0EEENS1_30default_config_static_selectorELNS0_4arch9wavefront6targetE0EEEvT1_
	.globl	_ZN7rocprim17ROCPRIM_400000_NS6detail17trampoline_kernelINS0_14default_configENS1_27scan_by_key_config_selectorIiiEEZZNS1_16scan_by_key_implILNS1_25lookback_scan_determinismE0ELb1ES3_N6thrust23THRUST_200600_302600_NS6detail15normal_iteratorINS9_10device_ptrIiEEEENSB_INSC_IjEEEENSB_INSC_IfEEEEiNS9_4plusIvEENS9_8equal_toIvEEiEE10hipError_tPvRmT2_T3_T4_T5_mT6_T7_P12ihipStream_tbENKUlT_T0_E_clISt17integral_constantIbLb0EES12_IbLb1EEEEDaSY_SZ_EUlSY_E_NS1_11comp_targetILNS1_3genE9ELNS1_11target_archE1100ELNS1_3gpuE3ELNS1_3repE0EEENS1_30default_config_static_selectorELNS0_4arch9wavefront6targetE0EEEvT1_
	.p2align	8
	.type	_ZN7rocprim17ROCPRIM_400000_NS6detail17trampoline_kernelINS0_14default_configENS1_27scan_by_key_config_selectorIiiEEZZNS1_16scan_by_key_implILNS1_25lookback_scan_determinismE0ELb1ES3_N6thrust23THRUST_200600_302600_NS6detail15normal_iteratorINS9_10device_ptrIiEEEENSB_INSC_IjEEEENSB_INSC_IfEEEEiNS9_4plusIvEENS9_8equal_toIvEEiEE10hipError_tPvRmT2_T3_T4_T5_mT6_T7_P12ihipStream_tbENKUlT_T0_E_clISt17integral_constantIbLb0EES12_IbLb1EEEEDaSY_SZ_EUlSY_E_NS1_11comp_targetILNS1_3genE9ELNS1_11target_archE1100ELNS1_3gpuE3ELNS1_3repE0EEENS1_30default_config_static_selectorELNS0_4arch9wavefront6targetE0EEEvT1_,@function
_ZN7rocprim17ROCPRIM_400000_NS6detail17trampoline_kernelINS0_14default_configENS1_27scan_by_key_config_selectorIiiEEZZNS1_16scan_by_key_implILNS1_25lookback_scan_determinismE0ELb1ES3_N6thrust23THRUST_200600_302600_NS6detail15normal_iteratorINS9_10device_ptrIiEEEENSB_INSC_IjEEEENSB_INSC_IfEEEEiNS9_4plusIvEENS9_8equal_toIvEEiEE10hipError_tPvRmT2_T3_T4_T5_mT6_T7_P12ihipStream_tbENKUlT_T0_E_clISt17integral_constantIbLb0EES12_IbLb1EEEEDaSY_SZ_EUlSY_E_NS1_11comp_targetILNS1_3genE9ELNS1_11target_archE1100ELNS1_3gpuE3ELNS1_3repE0EEENS1_30default_config_static_selectorELNS0_4arch9wavefront6targetE0EEEvT1_: ; @_ZN7rocprim17ROCPRIM_400000_NS6detail17trampoline_kernelINS0_14default_configENS1_27scan_by_key_config_selectorIiiEEZZNS1_16scan_by_key_implILNS1_25lookback_scan_determinismE0ELb1ES3_N6thrust23THRUST_200600_302600_NS6detail15normal_iteratorINS9_10device_ptrIiEEEENSB_INSC_IjEEEENSB_INSC_IfEEEEiNS9_4plusIvEENS9_8equal_toIvEEiEE10hipError_tPvRmT2_T3_T4_T5_mT6_T7_P12ihipStream_tbENKUlT_T0_E_clISt17integral_constantIbLb0EES12_IbLb1EEEEDaSY_SZ_EUlSY_E_NS1_11comp_targetILNS1_3genE9ELNS1_11target_archE1100ELNS1_3gpuE3ELNS1_3repE0EEENS1_30default_config_static_selectorELNS0_4arch9wavefront6targetE0EEEvT1_
; %bb.0:
	.section	.rodata,"a",@progbits
	.p2align	6, 0x0
	.amdhsa_kernel _ZN7rocprim17ROCPRIM_400000_NS6detail17trampoline_kernelINS0_14default_configENS1_27scan_by_key_config_selectorIiiEEZZNS1_16scan_by_key_implILNS1_25lookback_scan_determinismE0ELb1ES3_N6thrust23THRUST_200600_302600_NS6detail15normal_iteratorINS9_10device_ptrIiEEEENSB_INSC_IjEEEENSB_INSC_IfEEEEiNS9_4plusIvEENS9_8equal_toIvEEiEE10hipError_tPvRmT2_T3_T4_T5_mT6_T7_P12ihipStream_tbENKUlT_T0_E_clISt17integral_constantIbLb0EES12_IbLb1EEEEDaSY_SZ_EUlSY_E_NS1_11comp_targetILNS1_3genE9ELNS1_11target_archE1100ELNS1_3gpuE3ELNS1_3repE0EEENS1_30default_config_static_selectorELNS0_4arch9wavefront6targetE0EEEvT1_
		.amdhsa_group_segment_fixed_size 0
		.amdhsa_private_segment_fixed_size 0
		.amdhsa_kernarg_size 112
		.amdhsa_user_sgpr_count 2
		.amdhsa_user_sgpr_dispatch_ptr 0
		.amdhsa_user_sgpr_queue_ptr 0
		.amdhsa_user_sgpr_kernarg_segment_ptr 1
		.amdhsa_user_sgpr_dispatch_id 0
		.amdhsa_user_sgpr_kernarg_preload_length 0
		.amdhsa_user_sgpr_kernarg_preload_offset 0
		.amdhsa_user_sgpr_private_segment_size 0
		.amdhsa_wavefront_size32 1
		.amdhsa_uses_dynamic_stack 0
		.amdhsa_enable_private_segment 0
		.amdhsa_system_sgpr_workgroup_id_x 1
		.amdhsa_system_sgpr_workgroup_id_y 0
		.amdhsa_system_sgpr_workgroup_id_z 0
		.amdhsa_system_sgpr_workgroup_info 0
		.amdhsa_system_vgpr_workitem_id 0
		.amdhsa_next_free_vgpr 1
		.amdhsa_next_free_sgpr 1
		.amdhsa_named_barrier_count 0
		.amdhsa_reserve_vcc 0
		.amdhsa_float_round_mode_32 0
		.amdhsa_float_round_mode_16_64 0
		.amdhsa_float_denorm_mode_32 3
		.amdhsa_float_denorm_mode_16_64 3
		.amdhsa_fp16_overflow 0
		.amdhsa_memory_ordered 1
		.amdhsa_forward_progress 1
		.amdhsa_inst_pref_size 0
		.amdhsa_round_robin_scheduling 0
		.amdhsa_exception_fp_ieee_invalid_op 0
		.amdhsa_exception_fp_denorm_src 0
		.amdhsa_exception_fp_ieee_div_zero 0
		.amdhsa_exception_fp_ieee_overflow 0
		.amdhsa_exception_fp_ieee_underflow 0
		.amdhsa_exception_fp_ieee_inexact 0
		.amdhsa_exception_int_div_zero 0
	.end_amdhsa_kernel
	.section	.text._ZN7rocprim17ROCPRIM_400000_NS6detail17trampoline_kernelINS0_14default_configENS1_27scan_by_key_config_selectorIiiEEZZNS1_16scan_by_key_implILNS1_25lookback_scan_determinismE0ELb1ES3_N6thrust23THRUST_200600_302600_NS6detail15normal_iteratorINS9_10device_ptrIiEEEENSB_INSC_IjEEEENSB_INSC_IfEEEEiNS9_4plusIvEENS9_8equal_toIvEEiEE10hipError_tPvRmT2_T3_T4_T5_mT6_T7_P12ihipStream_tbENKUlT_T0_E_clISt17integral_constantIbLb0EES12_IbLb1EEEEDaSY_SZ_EUlSY_E_NS1_11comp_targetILNS1_3genE9ELNS1_11target_archE1100ELNS1_3gpuE3ELNS1_3repE0EEENS1_30default_config_static_selectorELNS0_4arch9wavefront6targetE0EEEvT1_,"axG",@progbits,_ZN7rocprim17ROCPRIM_400000_NS6detail17trampoline_kernelINS0_14default_configENS1_27scan_by_key_config_selectorIiiEEZZNS1_16scan_by_key_implILNS1_25lookback_scan_determinismE0ELb1ES3_N6thrust23THRUST_200600_302600_NS6detail15normal_iteratorINS9_10device_ptrIiEEEENSB_INSC_IjEEEENSB_INSC_IfEEEEiNS9_4plusIvEENS9_8equal_toIvEEiEE10hipError_tPvRmT2_T3_T4_T5_mT6_T7_P12ihipStream_tbENKUlT_T0_E_clISt17integral_constantIbLb0EES12_IbLb1EEEEDaSY_SZ_EUlSY_E_NS1_11comp_targetILNS1_3genE9ELNS1_11target_archE1100ELNS1_3gpuE3ELNS1_3repE0EEENS1_30default_config_static_selectorELNS0_4arch9wavefront6targetE0EEEvT1_,comdat
.Lfunc_end1750:
	.size	_ZN7rocprim17ROCPRIM_400000_NS6detail17trampoline_kernelINS0_14default_configENS1_27scan_by_key_config_selectorIiiEEZZNS1_16scan_by_key_implILNS1_25lookback_scan_determinismE0ELb1ES3_N6thrust23THRUST_200600_302600_NS6detail15normal_iteratorINS9_10device_ptrIiEEEENSB_INSC_IjEEEENSB_INSC_IfEEEEiNS9_4plusIvEENS9_8equal_toIvEEiEE10hipError_tPvRmT2_T3_T4_T5_mT6_T7_P12ihipStream_tbENKUlT_T0_E_clISt17integral_constantIbLb0EES12_IbLb1EEEEDaSY_SZ_EUlSY_E_NS1_11comp_targetILNS1_3genE9ELNS1_11target_archE1100ELNS1_3gpuE3ELNS1_3repE0EEENS1_30default_config_static_selectorELNS0_4arch9wavefront6targetE0EEEvT1_, .Lfunc_end1750-_ZN7rocprim17ROCPRIM_400000_NS6detail17trampoline_kernelINS0_14default_configENS1_27scan_by_key_config_selectorIiiEEZZNS1_16scan_by_key_implILNS1_25lookback_scan_determinismE0ELb1ES3_N6thrust23THRUST_200600_302600_NS6detail15normal_iteratorINS9_10device_ptrIiEEEENSB_INSC_IjEEEENSB_INSC_IfEEEEiNS9_4plusIvEENS9_8equal_toIvEEiEE10hipError_tPvRmT2_T3_T4_T5_mT6_T7_P12ihipStream_tbENKUlT_T0_E_clISt17integral_constantIbLb0EES12_IbLb1EEEEDaSY_SZ_EUlSY_E_NS1_11comp_targetILNS1_3genE9ELNS1_11target_archE1100ELNS1_3gpuE3ELNS1_3repE0EEENS1_30default_config_static_selectorELNS0_4arch9wavefront6targetE0EEEvT1_
                                        ; -- End function
	.set _ZN7rocprim17ROCPRIM_400000_NS6detail17trampoline_kernelINS0_14default_configENS1_27scan_by_key_config_selectorIiiEEZZNS1_16scan_by_key_implILNS1_25lookback_scan_determinismE0ELb1ES3_N6thrust23THRUST_200600_302600_NS6detail15normal_iteratorINS9_10device_ptrIiEEEENSB_INSC_IjEEEENSB_INSC_IfEEEEiNS9_4plusIvEENS9_8equal_toIvEEiEE10hipError_tPvRmT2_T3_T4_T5_mT6_T7_P12ihipStream_tbENKUlT_T0_E_clISt17integral_constantIbLb0EES12_IbLb1EEEEDaSY_SZ_EUlSY_E_NS1_11comp_targetILNS1_3genE9ELNS1_11target_archE1100ELNS1_3gpuE3ELNS1_3repE0EEENS1_30default_config_static_selectorELNS0_4arch9wavefront6targetE0EEEvT1_.num_vgpr, 0
	.set _ZN7rocprim17ROCPRIM_400000_NS6detail17trampoline_kernelINS0_14default_configENS1_27scan_by_key_config_selectorIiiEEZZNS1_16scan_by_key_implILNS1_25lookback_scan_determinismE0ELb1ES3_N6thrust23THRUST_200600_302600_NS6detail15normal_iteratorINS9_10device_ptrIiEEEENSB_INSC_IjEEEENSB_INSC_IfEEEEiNS9_4plusIvEENS9_8equal_toIvEEiEE10hipError_tPvRmT2_T3_T4_T5_mT6_T7_P12ihipStream_tbENKUlT_T0_E_clISt17integral_constantIbLb0EES12_IbLb1EEEEDaSY_SZ_EUlSY_E_NS1_11comp_targetILNS1_3genE9ELNS1_11target_archE1100ELNS1_3gpuE3ELNS1_3repE0EEENS1_30default_config_static_selectorELNS0_4arch9wavefront6targetE0EEEvT1_.num_agpr, 0
	.set _ZN7rocprim17ROCPRIM_400000_NS6detail17trampoline_kernelINS0_14default_configENS1_27scan_by_key_config_selectorIiiEEZZNS1_16scan_by_key_implILNS1_25lookback_scan_determinismE0ELb1ES3_N6thrust23THRUST_200600_302600_NS6detail15normal_iteratorINS9_10device_ptrIiEEEENSB_INSC_IjEEEENSB_INSC_IfEEEEiNS9_4plusIvEENS9_8equal_toIvEEiEE10hipError_tPvRmT2_T3_T4_T5_mT6_T7_P12ihipStream_tbENKUlT_T0_E_clISt17integral_constantIbLb0EES12_IbLb1EEEEDaSY_SZ_EUlSY_E_NS1_11comp_targetILNS1_3genE9ELNS1_11target_archE1100ELNS1_3gpuE3ELNS1_3repE0EEENS1_30default_config_static_selectorELNS0_4arch9wavefront6targetE0EEEvT1_.numbered_sgpr, 0
	.set _ZN7rocprim17ROCPRIM_400000_NS6detail17trampoline_kernelINS0_14default_configENS1_27scan_by_key_config_selectorIiiEEZZNS1_16scan_by_key_implILNS1_25lookback_scan_determinismE0ELb1ES3_N6thrust23THRUST_200600_302600_NS6detail15normal_iteratorINS9_10device_ptrIiEEEENSB_INSC_IjEEEENSB_INSC_IfEEEEiNS9_4plusIvEENS9_8equal_toIvEEiEE10hipError_tPvRmT2_T3_T4_T5_mT6_T7_P12ihipStream_tbENKUlT_T0_E_clISt17integral_constantIbLb0EES12_IbLb1EEEEDaSY_SZ_EUlSY_E_NS1_11comp_targetILNS1_3genE9ELNS1_11target_archE1100ELNS1_3gpuE3ELNS1_3repE0EEENS1_30default_config_static_selectorELNS0_4arch9wavefront6targetE0EEEvT1_.num_named_barrier, 0
	.set _ZN7rocprim17ROCPRIM_400000_NS6detail17trampoline_kernelINS0_14default_configENS1_27scan_by_key_config_selectorIiiEEZZNS1_16scan_by_key_implILNS1_25lookback_scan_determinismE0ELb1ES3_N6thrust23THRUST_200600_302600_NS6detail15normal_iteratorINS9_10device_ptrIiEEEENSB_INSC_IjEEEENSB_INSC_IfEEEEiNS9_4plusIvEENS9_8equal_toIvEEiEE10hipError_tPvRmT2_T3_T4_T5_mT6_T7_P12ihipStream_tbENKUlT_T0_E_clISt17integral_constantIbLb0EES12_IbLb1EEEEDaSY_SZ_EUlSY_E_NS1_11comp_targetILNS1_3genE9ELNS1_11target_archE1100ELNS1_3gpuE3ELNS1_3repE0EEENS1_30default_config_static_selectorELNS0_4arch9wavefront6targetE0EEEvT1_.private_seg_size, 0
	.set _ZN7rocprim17ROCPRIM_400000_NS6detail17trampoline_kernelINS0_14default_configENS1_27scan_by_key_config_selectorIiiEEZZNS1_16scan_by_key_implILNS1_25lookback_scan_determinismE0ELb1ES3_N6thrust23THRUST_200600_302600_NS6detail15normal_iteratorINS9_10device_ptrIiEEEENSB_INSC_IjEEEENSB_INSC_IfEEEEiNS9_4plusIvEENS9_8equal_toIvEEiEE10hipError_tPvRmT2_T3_T4_T5_mT6_T7_P12ihipStream_tbENKUlT_T0_E_clISt17integral_constantIbLb0EES12_IbLb1EEEEDaSY_SZ_EUlSY_E_NS1_11comp_targetILNS1_3genE9ELNS1_11target_archE1100ELNS1_3gpuE3ELNS1_3repE0EEENS1_30default_config_static_selectorELNS0_4arch9wavefront6targetE0EEEvT1_.uses_vcc, 0
	.set _ZN7rocprim17ROCPRIM_400000_NS6detail17trampoline_kernelINS0_14default_configENS1_27scan_by_key_config_selectorIiiEEZZNS1_16scan_by_key_implILNS1_25lookback_scan_determinismE0ELb1ES3_N6thrust23THRUST_200600_302600_NS6detail15normal_iteratorINS9_10device_ptrIiEEEENSB_INSC_IjEEEENSB_INSC_IfEEEEiNS9_4plusIvEENS9_8equal_toIvEEiEE10hipError_tPvRmT2_T3_T4_T5_mT6_T7_P12ihipStream_tbENKUlT_T0_E_clISt17integral_constantIbLb0EES12_IbLb1EEEEDaSY_SZ_EUlSY_E_NS1_11comp_targetILNS1_3genE9ELNS1_11target_archE1100ELNS1_3gpuE3ELNS1_3repE0EEENS1_30default_config_static_selectorELNS0_4arch9wavefront6targetE0EEEvT1_.uses_flat_scratch, 0
	.set _ZN7rocprim17ROCPRIM_400000_NS6detail17trampoline_kernelINS0_14default_configENS1_27scan_by_key_config_selectorIiiEEZZNS1_16scan_by_key_implILNS1_25lookback_scan_determinismE0ELb1ES3_N6thrust23THRUST_200600_302600_NS6detail15normal_iteratorINS9_10device_ptrIiEEEENSB_INSC_IjEEEENSB_INSC_IfEEEEiNS9_4plusIvEENS9_8equal_toIvEEiEE10hipError_tPvRmT2_T3_T4_T5_mT6_T7_P12ihipStream_tbENKUlT_T0_E_clISt17integral_constantIbLb0EES12_IbLb1EEEEDaSY_SZ_EUlSY_E_NS1_11comp_targetILNS1_3genE9ELNS1_11target_archE1100ELNS1_3gpuE3ELNS1_3repE0EEENS1_30default_config_static_selectorELNS0_4arch9wavefront6targetE0EEEvT1_.has_dyn_sized_stack, 0
	.set _ZN7rocprim17ROCPRIM_400000_NS6detail17trampoline_kernelINS0_14default_configENS1_27scan_by_key_config_selectorIiiEEZZNS1_16scan_by_key_implILNS1_25lookback_scan_determinismE0ELb1ES3_N6thrust23THRUST_200600_302600_NS6detail15normal_iteratorINS9_10device_ptrIiEEEENSB_INSC_IjEEEENSB_INSC_IfEEEEiNS9_4plusIvEENS9_8equal_toIvEEiEE10hipError_tPvRmT2_T3_T4_T5_mT6_T7_P12ihipStream_tbENKUlT_T0_E_clISt17integral_constantIbLb0EES12_IbLb1EEEEDaSY_SZ_EUlSY_E_NS1_11comp_targetILNS1_3genE9ELNS1_11target_archE1100ELNS1_3gpuE3ELNS1_3repE0EEENS1_30default_config_static_selectorELNS0_4arch9wavefront6targetE0EEEvT1_.has_recursion, 0
	.set _ZN7rocprim17ROCPRIM_400000_NS6detail17trampoline_kernelINS0_14default_configENS1_27scan_by_key_config_selectorIiiEEZZNS1_16scan_by_key_implILNS1_25lookback_scan_determinismE0ELb1ES3_N6thrust23THRUST_200600_302600_NS6detail15normal_iteratorINS9_10device_ptrIiEEEENSB_INSC_IjEEEENSB_INSC_IfEEEEiNS9_4plusIvEENS9_8equal_toIvEEiEE10hipError_tPvRmT2_T3_T4_T5_mT6_T7_P12ihipStream_tbENKUlT_T0_E_clISt17integral_constantIbLb0EES12_IbLb1EEEEDaSY_SZ_EUlSY_E_NS1_11comp_targetILNS1_3genE9ELNS1_11target_archE1100ELNS1_3gpuE3ELNS1_3repE0EEENS1_30default_config_static_selectorELNS0_4arch9wavefront6targetE0EEEvT1_.has_indirect_call, 0
	.section	.AMDGPU.csdata,"",@progbits
; Kernel info:
; codeLenInByte = 0
; TotalNumSgprs: 0
; NumVgprs: 0
; ScratchSize: 0
; MemoryBound: 0
; FloatMode: 240
; IeeeMode: 1
; LDSByteSize: 0 bytes/workgroup (compile time only)
; SGPRBlocks: 0
; VGPRBlocks: 0
; NumSGPRsForWavesPerEU: 1
; NumVGPRsForWavesPerEU: 1
; NamedBarCnt: 0
; Occupancy: 16
; WaveLimiterHint : 0
; COMPUTE_PGM_RSRC2:SCRATCH_EN: 0
; COMPUTE_PGM_RSRC2:USER_SGPR: 2
; COMPUTE_PGM_RSRC2:TRAP_HANDLER: 0
; COMPUTE_PGM_RSRC2:TGID_X_EN: 1
; COMPUTE_PGM_RSRC2:TGID_Y_EN: 0
; COMPUTE_PGM_RSRC2:TGID_Z_EN: 0
; COMPUTE_PGM_RSRC2:TIDIG_COMP_CNT: 0
	.section	.text._ZN7rocprim17ROCPRIM_400000_NS6detail17trampoline_kernelINS0_14default_configENS1_27scan_by_key_config_selectorIiiEEZZNS1_16scan_by_key_implILNS1_25lookback_scan_determinismE0ELb1ES3_N6thrust23THRUST_200600_302600_NS6detail15normal_iteratorINS9_10device_ptrIiEEEENSB_INSC_IjEEEENSB_INSC_IfEEEEiNS9_4plusIvEENS9_8equal_toIvEEiEE10hipError_tPvRmT2_T3_T4_T5_mT6_T7_P12ihipStream_tbENKUlT_T0_E_clISt17integral_constantIbLb0EES12_IbLb1EEEEDaSY_SZ_EUlSY_E_NS1_11comp_targetILNS1_3genE8ELNS1_11target_archE1030ELNS1_3gpuE2ELNS1_3repE0EEENS1_30default_config_static_selectorELNS0_4arch9wavefront6targetE0EEEvT1_,"axG",@progbits,_ZN7rocprim17ROCPRIM_400000_NS6detail17trampoline_kernelINS0_14default_configENS1_27scan_by_key_config_selectorIiiEEZZNS1_16scan_by_key_implILNS1_25lookback_scan_determinismE0ELb1ES3_N6thrust23THRUST_200600_302600_NS6detail15normal_iteratorINS9_10device_ptrIiEEEENSB_INSC_IjEEEENSB_INSC_IfEEEEiNS9_4plusIvEENS9_8equal_toIvEEiEE10hipError_tPvRmT2_T3_T4_T5_mT6_T7_P12ihipStream_tbENKUlT_T0_E_clISt17integral_constantIbLb0EES12_IbLb1EEEEDaSY_SZ_EUlSY_E_NS1_11comp_targetILNS1_3genE8ELNS1_11target_archE1030ELNS1_3gpuE2ELNS1_3repE0EEENS1_30default_config_static_selectorELNS0_4arch9wavefront6targetE0EEEvT1_,comdat
	.protected	_ZN7rocprim17ROCPRIM_400000_NS6detail17trampoline_kernelINS0_14default_configENS1_27scan_by_key_config_selectorIiiEEZZNS1_16scan_by_key_implILNS1_25lookback_scan_determinismE0ELb1ES3_N6thrust23THRUST_200600_302600_NS6detail15normal_iteratorINS9_10device_ptrIiEEEENSB_INSC_IjEEEENSB_INSC_IfEEEEiNS9_4plusIvEENS9_8equal_toIvEEiEE10hipError_tPvRmT2_T3_T4_T5_mT6_T7_P12ihipStream_tbENKUlT_T0_E_clISt17integral_constantIbLb0EES12_IbLb1EEEEDaSY_SZ_EUlSY_E_NS1_11comp_targetILNS1_3genE8ELNS1_11target_archE1030ELNS1_3gpuE2ELNS1_3repE0EEENS1_30default_config_static_selectorELNS0_4arch9wavefront6targetE0EEEvT1_ ; -- Begin function _ZN7rocprim17ROCPRIM_400000_NS6detail17trampoline_kernelINS0_14default_configENS1_27scan_by_key_config_selectorIiiEEZZNS1_16scan_by_key_implILNS1_25lookback_scan_determinismE0ELb1ES3_N6thrust23THRUST_200600_302600_NS6detail15normal_iteratorINS9_10device_ptrIiEEEENSB_INSC_IjEEEENSB_INSC_IfEEEEiNS9_4plusIvEENS9_8equal_toIvEEiEE10hipError_tPvRmT2_T3_T4_T5_mT6_T7_P12ihipStream_tbENKUlT_T0_E_clISt17integral_constantIbLb0EES12_IbLb1EEEEDaSY_SZ_EUlSY_E_NS1_11comp_targetILNS1_3genE8ELNS1_11target_archE1030ELNS1_3gpuE2ELNS1_3repE0EEENS1_30default_config_static_selectorELNS0_4arch9wavefront6targetE0EEEvT1_
	.globl	_ZN7rocprim17ROCPRIM_400000_NS6detail17trampoline_kernelINS0_14default_configENS1_27scan_by_key_config_selectorIiiEEZZNS1_16scan_by_key_implILNS1_25lookback_scan_determinismE0ELb1ES3_N6thrust23THRUST_200600_302600_NS6detail15normal_iteratorINS9_10device_ptrIiEEEENSB_INSC_IjEEEENSB_INSC_IfEEEEiNS9_4plusIvEENS9_8equal_toIvEEiEE10hipError_tPvRmT2_T3_T4_T5_mT6_T7_P12ihipStream_tbENKUlT_T0_E_clISt17integral_constantIbLb0EES12_IbLb1EEEEDaSY_SZ_EUlSY_E_NS1_11comp_targetILNS1_3genE8ELNS1_11target_archE1030ELNS1_3gpuE2ELNS1_3repE0EEENS1_30default_config_static_selectorELNS0_4arch9wavefront6targetE0EEEvT1_
	.p2align	8
	.type	_ZN7rocprim17ROCPRIM_400000_NS6detail17trampoline_kernelINS0_14default_configENS1_27scan_by_key_config_selectorIiiEEZZNS1_16scan_by_key_implILNS1_25lookback_scan_determinismE0ELb1ES3_N6thrust23THRUST_200600_302600_NS6detail15normal_iteratorINS9_10device_ptrIiEEEENSB_INSC_IjEEEENSB_INSC_IfEEEEiNS9_4plusIvEENS9_8equal_toIvEEiEE10hipError_tPvRmT2_T3_T4_T5_mT6_T7_P12ihipStream_tbENKUlT_T0_E_clISt17integral_constantIbLb0EES12_IbLb1EEEEDaSY_SZ_EUlSY_E_NS1_11comp_targetILNS1_3genE8ELNS1_11target_archE1030ELNS1_3gpuE2ELNS1_3repE0EEENS1_30default_config_static_selectorELNS0_4arch9wavefront6targetE0EEEvT1_,@function
_ZN7rocprim17ROCPRIM_400000_NS6detail17trampoline_kernelINS0_14default_configENS1_27scan_by_key_config_selectorIiiEEZZNS1_16scan_by_key_implILNS1_25lookback_scan_determinismE0ELb1ES3_N6thrust23THRUST_200600_302600_NS6detail15normal_iteratorINS9_10device_ptrIiEEEENSB_INSC_IjEEEENSB_INSC_IfEEEEiNS9_4plusIvEENS9_8equal_toIvEEiEE10hipError_tPvRmT2_T3_T4_T5_mT6_T7_P12ihipStream_tbENKUlT_T0_E_clISt17integral_constantIbLb0EES12_IbLb1EEEEDaSY_SZ_EUlSY_E_NS1_11comp_targetILNS1_3genE8ELNS1_11target_archE1030ELNS1_3gpuE2ELNS1_3repE0EEENS1_30default_config_static_selectorELNS0_4arch9wavefront6targetE0EEEvT1_: ; @_ZN7rocprim17ROCPRIM_400000_NS6detail17trampoline_kernelINS0_14default_configENS1_27scan_by_key_config_selectorIiiEEZZNS1_16scan_by_key_implILNS1_25lookback_scan_determinismE0ELb1ES3_N6thrust23THRUST_200600_302600_NS6detail15normal_iteratorINS9_10device_ptrIiEEEENSB_INSC_IjEEEENSB_INSC_IfEEEEiNS9_4plusIvEENS9_8equal_toIvEEiEE10hipError_tPvRmT2_T3_T4_T5_mT6_T7_P12ihipStream_tbENKUlT_T0_E_clISt17integral_constantIbLb0EES12_IbLb1EEEEDaSY_SZ_EUlSY_E_NS1_11comp_targetILNS1_3genE8ELNS1_11target_archE1030ELNS1_3gpuE2ELNS1_3repE0EEENS1_30default_config_static_selectorELNS0_4arch9wavefront6targetE0EEEvT1_
; %bb.0:
	.section	.rodata,"a",@progbits
	.p2align	6, 0x0
	.amdhsa_kernel _ZN7rocprim17ROCPRIM_400000_NS6detail17trampoline_kernelINS0_14default_configENS1_27scan_by_key_config_selectorIiiEEZZNS1_16scan_by_key_implILNS1_25lookback_scan_determinismE0ELb1ES3_N6thrust23THRUST_200600_302600_NS6detail15normal_iteratorINS9_10device_ptrIiEEEENSB_INSC_IjEEEENSB_INSC_IfEEEEiNS9_4plusIvEENS9_8equal_toIvEEiEE10hipError_tPvRmT2_T3_T4_T5_mT6_T7_P12ihipStream_tbENKUlT_T0_E_clISt17integral_constantIbLb0EES12_IbLb1EEEEDaSY_SZ_EUlSY_E_NS1_11comp_targetILNS1_3genE8ELNS1_11target_archE1030ELNS1_3gpuE2ELNS1_3repE0EEENS1_30default_config_static_selectorELNS0_4arch9wavefront6targetE0EEEvT1_
		.amdhsa_group_segment_fixed_size 0
		.amdhsa_private_segment_fixed_size 0
		.amdhsa_kernarg_size 112
		.amdhsa_user_sgpr_count 2
		.amdhsa_user_sgpr_dispatch_ptr 0
		.amdhsa_user_sgpr_queue_ptr 0
		.amdhsa_user_sgpr_kernarg_segment_ptr 1
		.amdhsa_user_sgpr_dispatch_id 0
		.amdhsa_user_sgpr_kernarg_preload_length 0
		.amdhsa_user_sgpr_kernarg_preload_offset 0
		.amdhsa_user_sgpr_private_segment_size 0
		.amdhsa_wavefront_size32 1
		.amdhsa_uses_dynamic_stack 0
		.amdhsa_enable_private_segment 0
		.amdhsa_system_sgpr_workgroup_id_x 1
		.amdhsa_system_sgpr_workgroup_id_y 0
		.amdhsa_system_sgpr_workgroup_id_z 0
		.amdhsa_system_sgpr_workgroup_info 0
		.amdhsa_system_vgpr_workitem_id 0
		.amdhsa_next_free_vgpr 1
		.amdhsa_next_free_sgpr 1
		.amdhsa_named_barrier_count 0
		.amdhsa_reserve_vcc 0
		.amdhsa_float_round_mode_32 0
		.amdhsa_float_round_mode_16_64 0
		.amdhsa_float_denorm_mode_32 3
		.amdhsa_float_denorm_mode_16_64 3
		.amdhsa_fp16_overflow 0
		.amdhsa_memory_ordered 1
		.amdhsa_forward_progress 1
		.amdhsa_inst_pref_size 0
		.amdhsa_round_robin_scheduling 0
		.amdhsa_exception_fp_ieee_invalid_op 0
		.amdhsa_exception_fp_denorm_src 0
		.amdhsa_exception_fp_ieee_div_zero 0
		.amdhsa_exception_fp_ieee_overflow 0
		.amdhsa_exception_fp_ieee_underflow 0
		.amdhsa_exception_fp_ieee_inexact 0
		.amdhsa_exception_int_div_zero 0
	.end_amdhsa_kernel
	.section	.text._ZN7rocprim17ROCPRIM_400000_NS6detail17trampoline_kernelINS0_14default_configENS1_27scan_by_key_config_selectorIiiEEZZNS1_16scan_by_key_implILNS1_25lookback_scan_determinismE0ELb1ES3_N6thrust23THRUST_200600_302600_NS6detail15normal_iteratorINS9_10device_ptrIiEEEENSB_INSC_IjEEEENSB_INSC_IfEEEEiNS9_4plusIvEENS9_8equal_toIvEEiEE10hipError_tPvRmT2_T3_T4_T5_mT6_T7_P12ihipStream_tbENKUlT_T0_E_clISt17integral_constantIbLb0EES12_IbLb1EEEEDaSY_SZ_EUlSY_E_NS1_11comp_targetILNS1_3genE8ELNS1_11target_archE1030ELNS1_3gpuE2ELNS1_3repE0EEENS1_30default_config_static_selectorELNS0_4arch9wavefront6targetE0EEEvT1_,"axG",@progbits,_ZN7rocprim17ROCPRIM_400000_NS6detail17trampoline_kernelINS0_14default_configENS1_27scan_by_key_config_selectorIiiEEZZNS1_16scan_by_key_implILNS1_25lookback_scan_determinismE0ELb1ES3_N6thrust23THRUST_200600_302600_NS6detail15normal_iteratorINS9_10device_ptrIiEEEENSB_INSC_IjEEEENSB_INSC_IfEEEEiNS9_4plusIvEENS9_8equal_toIvEEiEE10hipError_tPvRmT2_T3_T4_T5_mT6_T7_P12ihipStream_tbENKUlT_T0_E_clISt17integral_constantIbLb0EES12_IbLb1EEEEDaSY_SZ_EUlSY_E_NS1_11comp_targetILNS1_3genE8ELNS1_11target_archE1030ELNS1_3gpuE2ELNS1_3repE0EEENS1_30default_config_static_selectorELNS0_4arch9wavefront6targetE0EEEvT1_,comdat
.Lfunc_end1751:
	.size	_ZN7rocprim17ROCPRIM_400000_NS6detail17trampoline_kernelINS0_14default_configENS1_27scan_by_key_config_selectorIiiEEZZNS1_16scan_by_key_implILNS1_25lookback_scan_determinismE0ELb1ES3_N6thrust23THRUST_200600_302600_NS6detail15normal_iteratorINS9_10device_ptrIiEEEENSB_INSC_IjEEEENSB_INSC_IfEEEEiNS9_4plusIvEENS9_8equal_toIvEEiEE10hipError_tPvRmT2_T3_T4_T5_mT6_T7_P12ihipStream_tbENKUlT_T0_E_clISt17integral_constantIbLb0EES12_IbLb1EEEEDaSY_SZ_EUlSY_E_NS1_11comp_targetILNS1_3genE8ELNS1_11target_archE1030ELNS1_3gpuE2ELNS1_3repE0EEENS1_30default_config_static_selectorELNS0_4arch9wavefront6targetE0EEEvT1_, .Lfunc_end1751-_ZN7rocprim17ROCPRIM_400000_NS6detail17trampoline_kernelINS0_14default_configENS1_27scan_by_key_config_selectorIiiEEZZNS1_16scan_by_key_implILNS1_25lookback_scan_determinismE0ELb1ES3_N6thrust23THRUST_200600_302600_NS6detail15normal_iteratorINS9_10device_ptrIiEEEENSB_INSC_IjEEEENSB_INSC_IfEEEEiNS9_4plusIvEENS9_8equal_toIvEEiEE10hipError_tPvRmT2_T3_T4_T5_mT6_T7_P12ihipStream_tbENKUlT_T0_E_clISt17integral_constantIbLb0EES12_IbLb1EEEEDaSY_SZ_EUlSY_E_NS1_11comp_targetILNS1_3genE8ELNS1_11target_archE1030ELNS1_3gpuE2ELNS1_3repE0EEENS1_30default_config_static_selectorELNS0_4arch9wavefront6targetE0EEEvT1_
                                        ; -- End function
	.set _ZN7rocprim17ROCPRIM_400000_NS6detail17trampoline_kernelINS0_14default_configENS1_27scan_by_key_config_selectorIiiEEZZNS1_16scan_by_key_implILNS1_25lookback_scan_determinismE0ELb1ES3_N6thrust23THRUST_200600_302600_NS6detail15normal_iteratorINS9_10device_ptrIiEEEENSB_INSC_IjEEEENSB_INSC_IfEEEEiNS9_4plusIvEENS9_8equal_toIvEEiEE10hipError_tPvRmT2_T3_T4_T5_mT6_T7_P12ihipStream_tbENKUlT_T0_E_clISt17integral_constantIbLb0EES12_IbLb1EEEEDaSY_SZ_EUlSY_E_NS1_11comp_targetILNS1_3genE8ELNS1_11target_archE1030ELNS1_3gpuE2ELNS1_3repE0EEENS1_30default_config_static_selectorELNS0_4arch9wavefront6targetE0EEEvT1_.num_vgpr, 0
	.set _ZN7rocprim17ROCPRIM_400000_NS6detail17trampoline_kernelINS0_14default_configENS1_27scan_by_key_config_selectorIiiEEZZNS1_16scan_by_key_implILNS1_25lookback_scan_determinismE0ELb1ES3_N6thrust23THRUST_200600_302600_NS6detail15normal_iteratorINS9_10device_ptrIiEEEENSB_INSC_IjEEEENSB_INSC_IfEEEEiNS9_4plusIvEENS9_8equal_toIvEEiEE10hipError_tPvRmT2_T3_T4_T5_mT6_T7_P12ihipStream_tbENKUlT_T0_E_clISt17integral_constantIbLb0EES12_IbLb1EEEEDaSY_SZ_EUlSY_E_NS1_11comp_targetILNS1_3genE8ELNS1_11target_archE1030ELNS1_3gpuE2ELNS1_3repE0EEENS1_30default_config_static_selectorELNS0_4arch9wavefront6targetE0EEEvT1_.num_agpr, 0
	.set _ZN7rocprim17ROCPRIM_400000_NS6detail17trampoline_kernelINS0_14default_configENS1_27scan_by_key_config_selectorIiiEEZZNS1_16scan_by_key_implILNS1_25lookback_scan_determinismE0ELb1ES3_N6thrust23THRUST_200600_302600_NS6detail15normal_iteratorINS9_10device_ptrIiEEEENSB_INSC_IjEEEENSB_INSC_IfEEEEiNS9_4plusIvEENS9_8equal_toIvEEiEE10hipError_tPvRmT2_T3_T4_T5_mT6_T7_P12ihipStream_tbENKUlT_T0_E_clISt17integral_constantIbLb0EES12_IbLb1EEEEDaSY_SZ_EUlSY_E_NS1_11comp_targetILNS1_3genE8ELNS1_11target_archE1030ELNS1_3gpuE2ELNS1_3repE0EEENS1_30default_config_static_selectorELNS0_4arch9wavefront6targetE0EEEvT1_.numbered_sgpr, 0
	.set _ZN7rocprim17ROCPRIM_400000_NS6detail17trampoline_kernelINS0_14default_configENS1_27scan_by_key_config_selectorIiiEEZZNS1_16scan_by_key_implILNS1_25lookback_scan_determinismE0ELb1ES3_N6thrust23THRUST_200600_302600_NS6detail15normal_iteratorINS9_10device_ptrIiEEEENSB_INSC_IjEEEENSB_INSC_IfEEEEiNS9_4plusIvEENS9_8equal_toIvEEiEE10hipError_tPvRmT2_T3_T4_T5_mT6_T7_P12ihipStream_tbENKUlT_T0_E_clISt17integral_constantIbLb0EES12_IbLb1EEEEDaSY_SZ_EUlSY_E_NS1_11comp_targetILNS1_3genE8ELNS1_11target_archE1030ELNS1_3gpuE2ELNS1_3repE0EEENS1_30default_config_static_selectorELNS0_4arch9wavefront6targetE0EEEvT1_.num_named_barrier, 0
	.set _ZN7rocprim17ROCPRIM_400000_NS6detail17trampoline_kernelINS0_14default_configENS1_27scan_by_key_config_selectorIiiEEZZNS1_16scan_by_key_implILNS1_25lookback_scan_determinismE0ELb1ES3_N6thrust23THRUST_200600_302600_NS6detail15normal_iteratorINS9_10device_ptrIiEEEENSB_INSC_IjEEEENSB_INSC_IfEEEEiNS9_4plusIvEENS9_8equal_toIvEEiEE10hipError_tPvRmT2_T3_T4_T5_mT6_T7_P12ihipStream_tbENKUlT_T0_E_clISt17integral_constantIbLb0EES12_IbLb1EEEEDaSY_SZ_EUlSY_E_NS1_11comp_targetILNS1_3genE8ELNS1_11target_archE1030ELNS1_3gpuE2ELNS1_3repE0EEENS1_30default_config_static_selectorELNS0_4arch9wavefront6targetE0EEEvT1_.private_seg_size, 0
	.set _ZN7rocprim17ROCPRIM_400000_NS6detail17trampoline_kernelINS0_14default_configENS1_27scan_by_key_config_selectorIiiEEZZNS1_16scan_by_key_implILNS1_25lookback_scan_determinismE0ELb1ES3_N6thrust23THRUST_200600_302600_NS6detail15normal_iteratorINS9_10device_ptrIiEEEENSB_INSC_IjEEEENSB_INSC_IfEEEEiNS9_4plusIvEENS9_8equal_toIvEEiEE10hipError_tPvRmT2_T3_T4_T5_mT6_T7_P12ihipStream_tbENKUlT_T0_E_clISt17integral_constantIbLb0EES12_IbLb1EEEEDaSY_SZ_EUlSY_E_NS1_11comp_targetILNS1_3genE8ELNS1_11target_archE1030ELNS1_3gpuE2ELNS1_3repE0EEENS1_30default_config_static_selectorELNS0_4arch9wavefront6targetE0EEEvT1_.uses_vcc, 0
	.set _ZN7rocprim17ROCPRIM_400000_NS6detail17trampoline_kernelINS0_14default_configENS1_27scan_by_key_config_selectorIiiEEZZNS1_16scan_by_key_implILNS1_25lookback_scan_determinismE0ELb1ES3_N6thrust23THRUST_200600_302600_NS6detail15normal_iteratorINS9_10device_ptrIiEEEENSB_INSC_IjEEEENSB_INSC_IfEEEEiNS9_4plusIvEENS9_8equal_toIvEEiEE10hipError_tPvRmT2_T3_T4_T5_mT6_T7_P12ihipStream_tbENKUlT_T0_E_clISt17integral_constantIbLb0EES12_IbLb1EEEEDaSY_SZ_EUlSY_E_NS1_11comp_targetILNS1_3genE8ELNS1_11target_archE1030ELNS1_3gpuE2ELNS1_3repE0EEENS1_30default_config_static_selectorELNS0_4arch9wavefront6targetE0EEEvT1_.uses_flat_scratch, 0
	.set _ZN7rocprim17ROCPRIM_400000_NS6detail17trampoline_kernelINS0_14default_configENS1_27scan_by_key_config_selectorIiiEEZZNS1_16scan_by_key_implILNS1_25lookback_scan_determinismE0ELb1ES3_N6thrust23THRUST_200600_302600_NS6detail15normal_iteratorINS9_10device_ptrIiEEEENSB_INSC_IjEEEENSB_INSC_IfEEEEiNS9_4plusIvEENS9_8equal_toIvEEiEE10hipError_tPvRmT2_T3_T4_T5_mT6_T7_P12ihipStream_tbENKUlT_T0_E_clISt17integral_constantIbLb0EES12_IbLb1EEEEDaSY_SZ_EUlSY_E_NS1_11comp_targetILNS1_3genE8ELNS1_11target_archE1030ELNS1_3gpuE2ELNS1_3repE0EEENS1_30default_config_static_selectorELNS0_4arch9wavefront6targetE0EEEvT1_.has_dyn_sized_stack, 0
	.set _ZN7rocprim17ROCPRIM_400000_NS6detail17trampoline_kernelINS0_14default_configENS1_27scan_by_key_config_selectorIiiEEZZNS1_16scan_by_key_implILNS1_25lookback_scan_determinismE0ELb1ES3_N6thrust23THRUST_200600_302600_NS6detail15normal_iteratorINS9_10device_ptrIiEEEENSB_INSC_IjEEEENSB_INSC_IfEEEEiNS9_4plusIvEENS9_8equal_toIvEEiEE10hipError_tPvRmT2_T3_T4_T5_mT6_T7_P12ihipStream_tbENKUlT_T0_E_clISt17integral_constantIbLb0EES12_IbLb1EEEEDaSY_SZ_EUlSY_E_NS1_11comp_targetILNS1_3genE8ELNS1_11target_archE1030ELNS1_3gpuE2ELNS1_3repE0EEENS1_30default_config_static_selectorELNS0_4arch9wavefront6targetE0EEEvT1_.has_recursion, 0
	.set _ZN7rocprim17ROCPRIM_400000_NS6detail17trampoline_kernelINS0_14default_configENS1_27scan_by_key_config_selectorIiiEEZZNS1_16scan_by_key_implILNS1_25lookback_scan_determinismE0ELb1ES3_N6thrust23THRUST_200600_302600_NS6detail15normal_iteratorINS9_10device_ptrIiEEEENSB_INSC_IjEEEENSB_INSC_IfEEEEiNS9_4plusIvEENS9_8equal_toIvEEiEE10hipError_tPvRmT2_T3_T4_T5_mT6_T7_P12ihipStream_tbENKUlT_T0_E_clISt17integral_constantIbLb0EES12_IbLb1EEEEDaSY_SZ_EUlSY_E_NS1_11comp_targetILNS1_3genE8ELNS1_11target_archE1030ELNS1_3gpuE2ELNS1_3repE0EEENS1_30default_config_static_selectorELNS0_4arch9wavefront6targetE0EEEvT1_.has_indirect_call, 0
	.section	.AMDGPU.csdata,"",@progbits
; Kernel info:
; codeLenInByte = 0
; TotalNumSgprs: 0
; NumVgprs: 0
; ScratchSize: 0
; MemoryBound: 0
; FloatMode: 240
; IeeeMode: 1
; LDSByteSize: 0 bytes/workgroup (compile time only)
; SGPRBlocks: 0
; VGPRBlocks: 0
; NumSGPRsForWavesPerEU: 1
; NumVGPRsForWavesPerEU: 1
; NamedBarCnt: 0
; Occupancy: 16
; WaveLimiterHint : 0
; COMPUTE_PGM_RSRC2:SCRATCH_EN: 0
; COMPUTE_PGM_RSRC2:USER_SGPR: 2
; COMPUTE_PGM_RSRC2:TRAP_HANDLER: 0
; COMPUTE_PGM_RSRC2:TGID_X_EN: 1
; COMPUTE_PGM_RSRC2:TGID_Y_EN: 0
; COMPUTE_PGM_RSRC2:TGID_Z_EN: 0
; COMPUTE_PGM_RSRC2:TIDIG_COMP_CNT: 0
	.section	.text._ZN7rocprim17ROCPRIM_400000_NS6detail17trampoline_kernelINS0_14default_configENS1_27scan_by_key_config_selectorIiiEEZZNS1_16scan_by_key_implILNS1_25lookback_scan_determinismE0ELb1ES3_N6thrust23THRUST_200600_302600_NS6detail15normal_iteratorINS9_10device_ptrIiEEEENSB_INSC_IjEEEESE_iNS9_4plusIvEENS9_8equal_toIvEEiEE10hipError_tPvRmT2_T3_T4_T5_mT6_T7_P12ihipStream_tbENKUlT_T0_E_clISt17integral_constantIbLb0EES11_EEDaSW_SX_EUlSW_E_NS1_11comp_targetILNS1_3genE0ELNS1_11target_archE4294967295ELNS1_3gpuE0ELNS1_3repE0EEENS1_30default_config_static_selectorELNS0_4arch9wavefront6targetE0EEEvT1_,"axG",@progbits,_ZN7rocprim17ROCPRIM_400000_NS6detail17trampoline_kernelINS0_14default_configENS1_27scan_by_key_config_selectorIiiEEZZNS1_16scan_by_key_implILNS1_25lookback_scan_determinismE0ELb1ES3_N6thrust23THRUST_200600_302600_NS6detail15normal_iteratorINS9_10device_ptrIiEEEENSB_INSC_IjEEEESE_iNS9_4plusIvEENS9_8equal_toIvEEiEE10hipError_tPvRmT2_T3_T4_T5_mT6_T7_P12ihipStream_tbENKUlT_T0_E_clISt17integral_constantIbLb0EES11_EEDaSW_SX_EUlSW_E_NS1_11comp_targetILNS1_3genE0ELNS1_11target_archE4294967295ELNS1_3gpuE0ELNS1_3repE0EEENS1_30default_config_static_selectorELNS0_4arch9wavefront6targetE0EEEvT1_,comdat
	.protected	_ZN7rocprim17ROCPRIM_400000_NS6detail17trampoline_kernelINS0_14default_configENS1_27scan_by_key_config_selectorIiiEEZZNS1_16scan_by_key_implILNS1_25lookback_scan_determinismE0ELb1ES3_N6thrust23THRUST_200600_302600_NS6detail15normal_iteratorINS9_10device_ptrIiEEEENSB_INSC_IjEEEESE_iNS9_4plusIvEENS9_8equal_toIvEEiEE10hipError_tPvRmT2_T3_T4_T5_mT6_T7_P12ihipStream_tbENKUlT_T0_E_clISt17integral_constantIbLb0EES11_EEDaSW_SX_EUlSW_E_NS1_11comp_targetILNS1_3genE0ELNS1_11target_archE4294967295ELNS1_3gpuE0ELNS1_3repE0EEENS1_30default_config_static_selectorELNS0_4arch9wavefront6targetE0EEEvT1_ ; -- Begin function _ZN7rocprim17ROCPRIM_400000_NS6detail17trampoline_kernelINS0_14default_configENS1_27scan_by_key_config_selectorIiiEEZZNS1_16scan_by_key_implILNS1_25lookback_scan_determinismE0ELb1ES3_N6thrust23THRUST_200600_302600_NS6detail15normal_iteratorINS9_10device_ptrIiEEEENSB_INSC_IjEEEESE_iNS9_4plusIvEENS9_8equal_toIvEEiEE10hipError_tPvRmT2_T3_T4_T5_mT6_T7_P12ihipStream_tbENKUlT_T0_E_clISt17integral_constantIbLb0EES11_EEDaSW_SX_EUlSW_E_NS1_11comp_targetILNS1_3genE0ELNS1_11target_archE4294967295ELNS1_3gpuE0ELNS1_3repE0EEENS1_30default_config_static_selectorELNS0_4arch9wavefront6targetE0EEEvT1_
	.globl	_ZN7rocprim17ROCPRIM_400000_NS6detail17trampoline_kernelINS0_14default_configENS1_27scan_by_key_config_selectorIiiEEZZNS1_16scan_by_key_implILNS1_25lookback_scan_determinismE0ELb1ES3_N6thrust23THRUST_200600_302600_NS6detail15normal_iteratorINS9_10device_ptrIiEEEENSB_INSC_IjEEEESE_iNS9_4plusIvEENS9_8equal_toIvEEiEE10hipError_tPvRmT2_T3_T4_T5_mT6_T7_P12ihipStream_tbENKUlT_T0_E_clISt17integral_constantIbLb0EES11_EEDaSW_SX_EUlSW_E_NS1_11comp_targetILNS1_3genE0ELNS1_11target_archE4294967295ELNS1_3gpuE0ELNS1_3repE0EEENS1_30default_config_static_selectorELNS0_4arch9wavefront6targetE0EEEvT1_
	.p2align	8
	.type	_ZN7rocprim17ROCPRIM_400000_NS6detail17trampoline_kernelINS0_14default_configENS1_27scan_by_key_config_selectorIiiEEZZNS1_16scan_by_key_implILNS1_25lookback_scan_determinismE0ELb1ES3_N6thrust23THRUST_200600_302600_NS6detail15normal_iteratorINS9_10device_ptrIiEEEENSB_INSC_IjEEEESE_iNS9_4plusIvEENS9_8equal_toIvEEiEE10hipError_tPvRmT2_T3_T4_T5_mT6_T7_P12ihipStream_tbENKUlT_T0_E_clISt17integral_constantIbLb0EES11_EEDaSW_SX_EUlSW_E_NS1_11comp_targetILNS1_3genE0ELNS1_11target_archE4294967295ELNS1_3gpuE0ELNS1_3repE0EEENS1_30default_config_static_selectorELNS0_4arch9wavefront6targetE0EEEvT1_,@function
_ZN7rocprim17ROCPRIM_400000_NS6detail17trampoline_kernelINS0_14default_configENS1_27scan_by_key_config_selectorIiiEEZZNS1_16scan_by_key_implILNS1_25lookback_scan_determinismE0ELb1ES3_N6thrust23THRUST_200600_302600_NS6detail15normal_iteratorINS9_10device_ptrIiEEEENSB_INSC_IjEEEESE_iNS9_4plusIvEENS9_8equal_toIvEEiEE10hipError_tPvRmT2_T3_T4_T5_mT6_T7_P12ihipStream_tbENKUlT_T0_E_clISt17integral_constantIbLb0EES11_EEDaSW_SX_EUlSW_E_NS1_11comp_targetILNS1_3genE0ELNS1_11target_archE4294967295ELNS1_3gpuE0ELNS1_3repE0EEENS1_30default_config_static_selectorELNS0_4arch9wavefront6targetE0EEEvT1_: ; @_ZN7rocprim17ROCPRIM_400000_NS6detail17trampoline_kernelINS0_14default_configENS1_27scan_by_key_config_selectorIiiEEZZNS1_16scan_by_key_implILNS1_25lookback_scan_determinismE0ELb1ES3_N6thrust23THRUST_200600_302600_NS6detail15normal_iteratorINS9_10device_ptrIiEEEENSB_INSC_IjEEEESE_iNS9_4plusIvEENS9_8equal_toIvEEiEE10hipError_tPvRmT2_T3_T4_T5_mT6_T7_P12ihipStream_tbENKUlT_T0_E_clISt17integral_constantIbLb0EES11_EEDaSW_SX_EUlSW_E_NS1_11comp_targetILNS1_3genE0ELNS1_11target_archE4294967295ELNS1_3gpuE0ELNS1_3repE0EEENS1_30default_config_static_selectorELNS0_4arch9wavefront6targetE0EEEvT1_
; %bb.0:
	s_clause 0x2
	s_load_b96 s[24:26], s[0:1], 0x38
	s_load_b256 s[8:15], s[0:1], 0x0
	s_load_b128 s[20:23], s[0:1], 0x48
	s_bfe_u32 s4, ttmp6, 0x4000c
	s_delay_alu instid0(SALU_CYCLE_1)
	s_add_co_i32 s4, s4, 1
	s_clause 0x1
	s_load_b32 s33, s[0:1], 0x20
	s_load_b128 s[16:19], s[0:1], 0x28
	s_and_b32 s2, ttmp6, 15
	s_wait_xcnt 0x0
	s_mul_i32 s0, ttmp9, s4
	s_getreg_b32 s5, hwreg(HW_REG_IB_STS2, 6, 4)
	s_add_co_i32 s6, s2, s0
	s_mov_b32 s3, 0
	s_barrier_signal -1
	s_mov_b32 s29, s3
	s_barrier_wait -1
	s_wait_kmcnt 0x0
	s_mov_b32 s2, s26
	s_lshl_b64 s[26:27], s[10:11], 2
	s_cmp_eq_u32 s5, 0
	s_mul_u64 s[4:5], s[24:25], s[2:3]
	s_cselect_b32 s28, ttmp9, s6
	s_add_nc_u64 s[0:1], s[8:9], s[26:27]
	s_add_nc_u64 s[4:5], s[4:5], s[28:29]
	s_add_nc_u64 s[8:9], s[20:21], -1
	s_mul_i32 s2, s28, 0xc00
	v_cmp_ge_u64_e64 s19, s[4:5], s[8:9]
	s_add_nc_u64 s[6:7], s[12:13], s[26:27]
	s_lshl_b64 s[20:21], s[2:3], 2
	s_mul_i32 s29, s8, 0xfffff400
	s_add_nc_u64 s[30:31], s[0:1], s[20:21]
	s_add_nc_u64 s[12:13], s[6:7], s[20:21]
	s_and_b32 vcc_lo, exec_lo, s19
	s_cbranch_vccz .LBB1752_66
; %bb.1:
	v_mov_b32_e32 v1, 0
	s_add_co_i32 s34, s29, s18
	s_delay_alu instid0(SALU_CYCLE_1)
	v_cmp_gt_u32_e32 vcc_lo, s34, v0
	flat_load_b32 v1, v1, s[30:31]
	s_wait_loadcnt_dscnt 0x0
	v_mov_b32_e32 v2, v1
	s_and_saveexec_b32 s0, vcc_lo
	s_cbranch_execz .LBB1752_3
; %bb.2:
	flat_load_b32 v2, v0, s[30:31] scale_offset
.LBB1752_3:
	s_wait_xcnt 0x0
	s_or_b32 exec_lo, exec_lo, s0
	v_or_b32_e32 v3, 0x100, v0
	s_delay_alu instid0(VALU_DEP_1)
	v_cmp_gt_u32_e64 s0, s34, v3
	v_mov_b32_e32 v3, v1
	s_and_saveexec_b32 s1, s0
	s_cbranch_execz .LBB1752_5
; %bb.4:
	flat_load_b32 v3, v0, s[30:31] offset:1024 scale_offset
.LBB1752_5:
	s_wait_xcnt 0x0
	s_or_b32 exec_lo, exec_lo, s1
	v_or_b32_e32 v4, 0x200, v0
	s_delay_alu instid0(VALU_DEP_1)
	v_cmp_gt_u32_e64 s1, s34, v4
	v_mov_b32_e32 v4, v1
	s_and_saveexec_b32 s2, s1
	s_cbranch_execz .LBB1752_7
; %bb.6:
	flat_load_b32 v4, v0, s[30:31] offset:2048 scale_offset
.LBB1752_7:
	;; [unrolled: 11-line block ×10, first 2 shown]
	s_wait_xcnt 0x0
	s_or_b32 exec_lo, exec_lo, s10
	v_or_b32_e32 v13, 0xb00, v0
	s_delay_alu instid0(VALU_DEP_1) | instskip(SKIP_2) | instid1(SALU_CYCLE_1)
	v_cmp_gt_u32_e64 s10, s34, v13
	v_cmp_le_u32_e64 s11, s34, v13
	s_and_saveexec_b32 s35, s11
	s_xor_b32 s11, exec_lo, s35
	s_delay_alu instid0(SALU_CYCLE_1)
	s_and_not1_saveexec_b32 s11, s11
	s_cbranch_execz .LBB1752_25
; %bb.24:
	flat_load_b32 v1, v0, s[30:31] offset:11264 scale_offset
.LBB1752_25:
	s_wait_xcnt 0x0
	s_or_b32 exec_lo, exec_lo, s11
	v_lshlrev_b32_e32 v14, 2, v0
	s_mov_b32 s35, exec_lo
	s_wait_loadcnt_dscnt 0x0
	ds_store_2addr_stride64_b32 v14, v2, v3 offset1:4
	ds_store_2addr_stride64_b32 v14, v4, v5 offset0:8 offset1:12
	ds_store_2addr_stride64_b32 v14, v6, v7 offset0:16 offset1:20
	;; [unrolled: 1-line block ×5, first 2 shown]
	v_mov_b32_e32 v1, 0
	s_wait_dscnt 0x0
	s_barrier_signal -1
	s_barrier_wait -1
	flat_load_b32 v38, v1, s[30:31]
	s_wait_xcnt 0x0
	v_mad_u32_u24 v1, v0, 44, v14
	ds_load_b128 v[10:13], v1
	ds_load_b128 v[6:9], v1 offset:16
	ds_load_b128 v[2:5], v1 offset:32
	v_mad_i32_i24 v15, 0xffffffd4, v0, v1
	s_wait_dscnt 0x2
	ds_store_b32 v15, v10 offset:13312
	s_wait_loadcnt_dscnt 0x0
	s_barrier_signal -1
	s_barrier_wait -1
	v_cmpx_ne_u32_e32 0xff, v0
; %bb.26:
	v_mul_i32_i24_e32 v15, 0xffffffd4, v0
	s_delay_alu instid0(VALU_DEP_1)
	v_add_nc_u32_e32 v15, v1, v15
	ds_load_b32 v38, v15 offset:13316
; %bb.27:
	s_or_b32 exec_lo, exec_lo, s35
	s_wait_dscnt 0x0
	s_barrier_signal -1
	s_barrier_wait -1
                                        ; implicit-def: $vgpr15
	s_and_saveexec_b32 s11, vcc_lo
	s_cbranch_execz .LBB1752_102
; %bb.28:
	flat_load_b32 v15, v0, s[12:13] scale_offset
	s_wait_xcnt 0x0
	s_or_b32 exec_lo, exec_lo, s11
                                        ; implicit-def: $vgpr16
	s_and_saveexec_b32 s11, s0
	s_cbranch_execnz .LBB1752_103
.LBB1752_29:
	s_or_b32 exec_lo, exec_lo, s11
                                        ; implicit-def: $vgpr17
	s_and_saveexec_b32 s0, s1
	s_cbranch_execz .LBB1752_104
.LBB1752_30:
	flat_load_b32 v17, v0, s[12:13] offset:2048 scale_offset
	s_wait_xcnt 0x0
	s_or_b32 exec_lo, exec_lo, s0
                                        ; implicit-def: $vgpr18
	s_and_saveexec_b32 s0, s2
	s_cbranch_execnz .LBB1752_105
.LBB1752_31:
	s_or_b32 exec_lo, exec_lo, s0
                                        ; implicit-def: $vgpr19
	s_and_saveexec_b32 s0, s3
	s_cbranch_execz .LBB1752_106
.LBB1752_32:
	flat_load_b32 v19, v0, s[12:13] offset:4096 scale_offset
	s_wait_xcnt 0x0
	s_or_b32 exec_lo, exec_lo, s0
                                        ; implicit-def: $vgpr20
	s_and_saveexec_b32 s0, s4
	s_cbranch_execnz .LBB1752_107
.LBB1752_33:
	s_or_b32 exec_lo, exec_lo, s0
                                        ; implicit-def: $vgpr21
	s_and_saveexec_b32 s0, s5
	s_cbranch_execz .LBB1752_108
.LBB1752_34:
	flat_load_b32 v21, v0, s[12:13] offset:6144 scale_offset
	s_wait_xcnt 0x0
	s_or_b32 exec_lo, exec_lo, s0
                                        ; implicit-def: $vgpr22
	s_and_saveexec_b32 s0, s6
	s_cbranch_execnz .LBB1752_109
.LBB1752_35:
	s_or_b32 exec_lo, exec_lo, s0
                                        ; implicit-def: $vgpr23
	s_and_saveexec_b32 s0, s7
	s_cbranch_execz .LBB1752_110
.LBB1752_36:
	flat_load_b32 v23, v0, s[12:13] offset:8192 scale_offset
	s_wait_xcnt 0x0
	s_or_b32 exec_lo, exec_lo, s0
                                        ; implicit-def: $vgpr24
	s_and_saveexec_b32 s0, s8
	s_cbranch_execnz .LBB1752_111
.LBB1752_37:
	s_or_b32 exec_lo, exec_lo, s0
                                        ; implicit-def: $vgpr25
	s_and_saveexec_b32 s0, s9
	s_cbranch_execz .LBB1752_39
.LBB1752_38:
	flat_load_b32 v25, v0, s[12:13] offset:10240 scale_offset
.LBB1752_39:
	s_wait_xcnt 0x0
	s_or_b32 exec_lo, exec_lo, s0
	v_mul_u32_u24_e32 v39, 12, v0
                                        ; implicit-def: $vgpr26
	s_and_saveexec_b32 s0, s10
	s_cbranch_execz .LBB1752_41
; %bb.40:
	flat_load_b32 v26, v0, s[12:13] offset:11264 scale_offset
.LBB1752_41:
	s_wait_xcnt 0x0
	s_or_b32 exec_lo, exec_lo, s0
	s_wait_loadcnt_dscnt 0x0
	ds_store_2addr_stride64_b32 v14, v15, v16 offset1:4
	ds_store_2addr_stride64_b32 v14, v17, v18 offset0:8 offset1:12
	ds_store_2addr_stride64_b32 v14, v19, v20 offset0:16 offset1:20
	;; [unrolled: 1-line block ×5, first 2 shown]
	v_mov_b64_e32 v[14:15], 0
	v_mov_b64_e32 v[42:43], 0
	;; [unrolled: 1-line block ×21, first 2 shown]
	s_mov_b32 s0, 0
	s_mov_b32 s3, 0
	s_mov_b32 s1, exec_lo
	s_wait_dscnt 0x0
	s_barrier_signal -1
	s_barrier_wait -1
                                        ; implicit-def: $sgpr2
                                        ; implicit-def: $vgpr60
	v_cmpx_gt_u32_e64 s34, v39
	s_cbranch_execz .LBB1752_65
; %bb.42:
	ds_load_b32 v14, v1
	v_cmp_eq_u32_e32 vcc_lo, v10, v11
	v_or_b32_e32 v16, 1, v39
	v_mov_b64_e32 v[42:43], 0
	v_mov_b64_e32 v[40:41], 0
	;; [unrolled: 1-line block ×17, first 2 shown]
	s_wait_dscnt 0x0
	v_cndmask_b32_e32 v14, s33, v14, vcc_lo
	v_cmp_ne_u32_e32 vcc_lo, v10, v11
	v_mov_b64_e32 v[20:21], 0
	v_mov_b64_e32 v[18:19], 0
	s_mov_b32 s4, 0
	s_mov_b32 s3, exec_lo
	v_cndmask_b32_e64 v15, 0, 1, vcc_lo
                                        ; implicit-def: $sgpr2
                                        ; implicit-def: $vgpr60
	v_cmpx_gt_u32_e64 s34, v16
	s_cbranch_execz .LBB1752_64
; %bb.43:
	ds_load_2addr_b32 v[16:17], v1 offset0:1 offset1:2
	v_cmp_eq_u32_e32 vcc_lo, v11, v12
	v_or_b32_e32 v10, 2, v39
	v_mov_b64_e32 v[40:41], 0
	v_mov_b64_e32 v[44:45], 0
	v_mov_b64_e32 v[46:47], 0
	v_mov_b64_e32 v[48:49], 0
	v_mov_b64_e32 v[50:51], 0
	v_mov_b64_e32 v[52:53], 0
	v_mov_b64_e32 v[54:55], 0
	v_mov_b64_e32 v[56:57], 0
	v_mov_b64_e32 v[58:59], 0
	v_mov_b64_e32 v[32:33], 0
	v_mov_b64_e32 v[30:31], 0
	v_mov_b64_e32 v[28:29], 0
	v_mov_b64_e32 v[26:27], 0
	v_mov_b64_e32 v[24:25], 0
	v_mov_b64_e32 v[22:23], 0
	v_mov_b64_e32 v[20:21], 0
	v_mov_b64_e32 v[18:19], 0
	s_wait_dscnt 0x0
	v_cndmask_b32_e32 v42, s33, v16, vcc_lo
	v_cmp_ne_u32_e32 vcc_lo, v11, v12
	s_mov_b32 s5, 0
	s_mov_b32 s4, exec_lo
                                        ; implicit-def: $sgpr2
                                        ; implicit-def: $vgpr60
	v_cndmask_b32_e64 v43, 0, 1, vcc_lo
	v_cmpx_gt_u32_e64 s34, v10
	s_cbranch_execz .LBB1752_63
; %bb.44:
	v_cmp_eq_u32_e32 vcc_lo, v12, v13
	v_mov_b64_e32 v[44:45], 0
	v_mov_b64_e32 v[46:47], 0
	;; [unrolled: 1-line block ×4, first 2 shown]
	v_dual_cndmask_b32 v40, s33, v17, vcc_lo :: v_dual_bitop2_b32 v10, 3, v39 bitop3:0x54
	v_cmp_ne_u32_e32 vcc_lo, v12, v13
	v_mov_b64_e32 v[52:53], 0
	v_mov_b64_e32 v[54:55], 0
	;; [unrolled: 1-line block ×11, first 2 shown]
	v_cndmask_b32_e64 v41, 0, 1, vcc_lo
	s_mov_b32 s6, 0
	s_mov_b32 s5, exec_lo
                                        ; implicit-def: $sgpr2
                                        ; implicit-def: $vgpr60
	v_cmpx_gt_u32_e64 s34, v10
	s_cbranch_execz .LBB1752_62
; %bb.45:
	ds_load_2addr_b32 v[10:11], v1 offset0:3 offset1:4
	v_cmp_ne_u32_e32 vcc_lo, v13, v6
	v_mov_b64_e32 v[46:47], 0
	v_mov_b64_e32 v[48:49], 0
	;; [unrolled: 1-line block ×4, first 2 shown]
	v_cndmask_b32_e64 v45, 0, 1, vcc_lo
	v_cmp_eq_u32_e32 vcc_lo, v13, v6
	v_mov_b64_e32 v[54:55], 0
	v_mov_b64_e32 v[56:57], 0
	;; [unrolled: 1-line block ×9, first 2 shown]
	v_add_nc_u32_e32 v12, 4, v39
	s_mov_b32 s7, 0
	s_mov_b32 s6, exec_lo
	s_wait_dscnt 0x0
	v_cndmask_b32_e32 v44, s33, v10, vcc_lo
                                        ; implicit-def: $sgpr2
                                        ; implicit-def: $vgpr60
	v_cmpx_gt_u32_e64 s34, v12
	s_cbranch_execz .LBB1752_61
; %bb.46:
	v_cmp_eq_u32_e32 vcc_lo, v6, v7
	v_mov_b64_e32 v[48:49], 0
	v_mov_b64_e32 v[50:51], 0
	;; [unrolled: 1-line block ×4, first 2 shown]
	v_cndmask_b32_e32 v46, s33, v11, vcc_lo
	v_cmp_ne_u32_e32 vcc_lo, v6, v7
	v_mov_b64_e32 v[56:57], 0
	v_mov_b64_e32 v[58:59], 0
	;; [unrolled: 1-line block ×7, first 2 shown]
	v_add_nc_u32_e32 v10, 5, v39
	v_cndmask_b32_e64 v47, 0, 1, vcc_lo
	s_mov_b32 s8, 0
	s_mov_b32 s7, exec_lo
                                        ; implicit-def: $sgpr2
                                        ; implicit-def: $vgpr60
	s_delay_alu instid0(VALU_DEP_2)
	v_cmpx_gt_u32_e64 s34, v10
	s_cbranch_execz .LBB1752_60
; %bb.47:
	ds_load_2addr_b32 v[10:11], v1 offset0:5 offset1:6
	v_cmp_ne_u32_e32 vcc_lo, v7, v8
	v_mov_b64_e32 v[50:51], 0
	v_mov_b64_e32 v[52:53], 0
	;; [unrolled: 1-line block ×4, first 2 shown]
	v_cndmask_b32_e64 v49, 0, 1, vcc_lo
	v_cmp_eq_u32_e32 vcc_lo, v7, v8
	v_mov_b64_e32 v[58:59], 0
	v_mov_b64_e32 v[24:25], 0
	;; [unrolled: 1-line block ×5, first 2 shown]
	v_add_nc_u32_e32 v6, 6, v39
	s_mov_b32 s9, 0
	s_mov_b32 s8, exec_lo
                                        ; implicit-def: $sgpr2
                                        ; implicit-def: $vgpr60
	s_wait_dscnt 0x0
	v_cndmask_b32_e32 v48, s33, v10, vcc_lo
	v_cmpx_gt_u32_e64 s34, v6
	s_cbranch_execz .LBB1752_59
; %bb.48:
	v_cmp_eq_u32_e32 vcc_lo, v8, v9
	v_mov_b64_e32 v[52:53], 0
	v_mov_b64_e32 v[54:55], 0
	;; [unrolled: 1-line block ×4, first 2 shown]
	v_cndmask_b32_e32 v50, s33, v11, vcc_lo
	v_cmp_ne_u32_e32 vcc_lo, v8, v9
	v_mov_b64_e32 v[22:23], 0
	v_mov_b64_e32 v[20:21], 0
	;; [unrolled: 1-line block ×3, first 2 shown]
	v_add_nc_u32_e32 v6, 7, v39
	v_cndmask_b32_e64 v51, 0, 1, vcc_lo
	s_mov_b32 s10, 0
	s_mov_b32 s9, exec_lo
                                        ; implicit-def: $sgpr2
                                        ; implicit-def: $vgpr60
	s_delay_alu instid0(VALU_DEP_2)
	v_cmpx_gt_u32_e64 s34, v6
	s_cbranch_execz .LBB1752_58
; %bb.49:
	ds_load_2addr_b32 v[6:7], v1 offset0:7 offset1:8
	v_cmp_ne_u32_e32 vcc_lo, v9, v2
	v_mov_b64_e32 v[54:55], 0
	v_mov_b64_e32 v[56:57], 0
	;; [unrolled: 1-line block ×4, first 2 shown]
	v_cndmask_b32_e64 v53, 0, 1, vcc_lo
	v_cmp_eq_u32_e32 vcc_lo, v9, v2
	v_mov_b64_e32 v[18:19], 0
	v_add_nc_u32_e32 v8, 8, v39
	s_mov_b32 s11, 0
	s_mov_b32 s10, exec_lo
                                        ; implicit-def: $sgpr2
                                        ; implicit-def: $vgpr60
	s_wait_dscnt 0x0
	v_cndmask_b32_e32 v52, s33, v6, vcc_lo
	v_cmpx_gt_u32_e64 s34, v8
	s_cbranch_execz .LBB1752_57
; %bb.50:
	v_cmp_eq_u32_e32 vcc_lo, v2, v3
	v_mov_b64_e32 v[56:57], 0
	v_mov_b64_e32 v[58:59], 0
	;; [unrolled: 1-line block ×3, first 2 shown]
	v_add_nc_u32_e32 v6, 9, v39
	v_cndmask_b32_e32 v54, s33, v7, vcc_lo
	v_cmp_ne_u32_e32 vcc_lo, v2, v3
	s_mov_b32 s35, 0
	s_mov_b32 s11, exec_lo
                                        ; implicit-def: $sgpr2
                                        ; implicit-def: $vgpr60
	v_cndmask_b32_e64 v55, 0, 1, vcc_lo
	v_cmpx_gt_u32_e64 s34, v6
	s_cbranch_execz .LBB1752_56
; %bb.51:
	ds_load_2addr_b32 v[6:7], v1 offset0:9 offset1:10
	v_cmp_ne_u32_e32 vcc_lo, v3, v4
	v_mov_b64_e32 v[58:59], 0
	s_mov_b32 s36, 0
	s_mov_b32 s35, exec_lo
                                        ; implicit-def: $sgpr2
                                        ; implicit-def: $vgpr60
	v_cndmask_b32_e64 v57, 0, 1, vcc_lo
	v_cmp_eq_u32_e32 vcc_lo, v3, v4
	s_wait_dscnt 0x0
	v_dual_add_nc_u32 v2, 10, v39 :: v_dual_cndmask_b32 v56, s33, v6, vcc_lo
	s_delay_alu instid0(VALU_DEP_1)
	v_cmpx_gt_u32_e64 s34, v2
	s_cbranch_execz .LBB1752_55
; %bb.52:
	v_cmp_eq_u32_e32 vcc_lo, v4, v5
	v_add_nc_u32_e32 v2, 11, v39
                                        ; implicit-def: $sgpr2
                                        ; implicit-def: $vgpr60
	v_cndmask_b32_e32 v58, s33, v7, vcc_lo
	v_cmp_ne_u32_e32 vcc_lo, v4, v5
	v_cndmask_b32_e64 v59, 0, 1, vcc_lo
	s_delay_alu instid0(VALU_DEP_4) | instskip(SKIP_2) | instid1(SALU_CYCLE_1)
	v_cmp_gt_u32_e32 vcc_lo, s34, v2
	s_mov_b32 s34, 0
	s_and_saveexec_b32 s36, vcc_lo
	s_xor_b32 s36, exec_lo, s36
	s_cbranch_execz .LBB1752_54
; %bb.53:
	ds_load_b32 v1, v1 offset:44
	v_cmp_ne_u32_e64 s2, v5, v38
	s_mov_b32 s34, exec_lo
	s_wait_dscnt 0x0
	v_cndmask_b32_e64 v60, v1, s33, s2
.LBB1752_54:
	s_or_b32 exec_lo, exec_lo, s36
	s_delay_alu instid0(SALU_CYCLE_1)
	s_and_b32 s36, s34, exec_lo
.LBB1752_55:
	s_or_b32 exec_lo, exec_lo, s35
	v_mov_b64_e32 v[18:19], v[58:59]
	s_and_b32 s35, s36, exec_lo
.LBB1752_56:
	s_or_b32 exec_lo, exec_lo, s11
	v_mov_b64_e32 v[20:21], v[56:57]
	s_and_b32 s11, s35, exec_lo
.LBB1752_57:
	s_or_b32 exec_lo, exec_lo, s10
	v_mov_b64_e32 v[22:23], v[54:55]
	s_and_b32 s10, s11, exec_lo
.LBB1752_58:
	s_or_b32 exec_lo, exec_lo, s9
	v_mov_b64_e32 v[24:25], v[52:53]
	s_and_b32 s9, s10, exec_lo
.LBB1752_59:
	s_or_b32 exec_lo, exec_lo, s8
	v_mov_b64_e32 v[26:27], v[50:51]
	s_and_b32 s8, s9, exec_lo
.LBB1752_60:
	s_or_b32 exec_lo, exec_lo, s7
	v_mov_b64_e32 v[28:29], v[48:49]
	s_and_b32 s7, s8, exec_lo
.LBB1752_61:
	s_or_b32 exec_lo, exec_lo, s6
	v_mov_b64_e32 v[30:31], v[46:47]
	s_and_b32 s6, s7, exec_lo
.LBB1752_62:
	s_or_b32 exec_lo, exec_lo, s5
	v_mov_b64_e32 v[32:33], v[44:45]
	s_and_b32 s5, s6, exec_lo
.LBB1752_63:
	s_or_b32 exec_lo, exec_lo, s4
	v_mov_b64_e32 v[34:35], v[40:41]
	s_and_b32 s4, s5, exec_lo
.LBB1752_64:
	s_or_b32 exec_lo, exec_lo, s3
	v_mov_b64_e32 v[36:37], v[42:43]
	s_and_b32 s3, s4, exec_lo
.LBB1752_65:
	s_or_b32 exec_lo, exec_lo, s1
	v_lshlrev_b32_e32 v16, 2, v0
	s_and_b32 vcc_lo, exec_lo, s0
	s_cbranch_vccnz .LBB1752_67
	s_branch .LBB1752_72
.LBB1752_66:
                                        ; implicit-def: $sgpr2
                                        ; implicit-def: $vgpr60
                                        ; implicit-def: $vgpr14_vgpr15
                                        ; implicit-def: $vgpr42_vgpr43
                                        ; implicit-def: $vgpr40_vgpr41
                                        ; implicit-def: $vgpr44_vgpr45
                                        ; implicit-def: $vgpr46_vgpr47
                                        ; implicit-def: $vgpr48_vgpr49
                                        ; implicit-def: $vgpr50_vgpr51
                                        ; implicit-def: $vgpr52_vgpr53
                                        ; implicit-def: $vgpr54_vgpr55
                                        ; implicit-def: $vgpr56_vgpr57
                                        ; implicit-def: $vgpr58_vgpr59
                                        ; implicit-def: $vgpr36_vgpr37
                                        ; implicit-def: $vgpr34_vgpr35
                                        ; implicit-def: $vgpr32_vgpr33
                                        ; implicit-def: $vgpr30_vgpr31
                                        ; implicit-def: $vgpr28_vgpr29
                                        ; implicit-def: $vgpr26_vgpr27
                                        ; implicit-def: $vgpr24_vgpr25
                                        ; implicit-def: $vgpr22_vgpr23
                                        ; implicit-def: $vgpr20_vgpr21
                                        ; implicit-def: $vgpr18_vgpr19
	v_lshlrev_b32_e32 v16, 2, v0
	s_cbranch_execz .LBB1752_72
.LBB1752_67:
	s_clause 0xb
	flat_load_b32 v1, v0, s[30:31] scale_offset
	flat_load_b32 v2, v0, s[30:31] offset:1024 scale_offset
	flat_load_b32 v3, v0, s[30:31] offset:2048 scale_offset
	;; [unrolled: 1-line block ×11, first 2 shown]
	v_mov_b32_e32 v13, 0
	v_mad_u32_u24 v28, v0, 44, v16
	s_mov_b32 s0, exec_lo
	s_wait_loadcnt_dscnt 0xa0a
	ds_store_2addr_stride64_b32 v16, v1, v2 offset1:4
	s_wait_loadcnt_dscnt 0x809
	ds_store_2addr_stride64_b32 v16, v3, v4 offset0:8 offset1:12
	s_wait_loadcnt_dscnt 0x608
	ds_store_2addr_stride64_b32 v16, v5, v6 offset0:16 offset1:20
	;; [unrolled: 2-line block ×5, first 2 shown]
	s_wait_dscnt 0x0
	s_barrier_signal -1
	s_barrier_wait -1
	flat_load_b32 v1, v13, s[30:31] offset:12288
	s_wait_xcnt 0x0
	ds_load_b128 v[10:13], v28
	ds_load_b128 v[6:9], v28 offset:16
	ds_load_b128 v[2:5], v28 offset:32
	v_mad_i32_i24 v14, 0xffffffd4, v0, v28
	s_wait_dscnt 0x2
	ds_store_b32 v14, v10 offset:13312
	s_wait_loadcnt_dscnt 0x0
	s_barrier_signal -1
	s_barrier_wait -1
	v_cmpx_ne_u32_e32 0xff, v0
; %bb.68:
	v_mul_i32_i24_e32 v1, 0xffffffd4, v0
	s_delay_alu instid0(VALU_DEP_1)
	v_add_nc_u32_e32 v1, v28, v1
	ds_load_b32 v1, v1 offset:13316
; %bb.69:
	s_or_b32 exec_lo, exec_lo, s0
	s_wait_dscnt 0x0
	s_barrier_signal -1
	s_barrier_wait -1
	s_clause 0xb
	flat_load_b32 v14, v0, s[12:13] scale_offset
	flat_load_b32 v15, v0, s[12:13] offset:1024 scale_offset
	flat_load_b32 v17, v0, s[12:13] offset:2048 scale_offset
	flat_load_b32 v18, v0, s[12:13] offset:3072 scale_offset
	flat_load_b32 v19, v0, s[12:13] offset:4096 scale_offset
	flat_load_b32 v20, v0, s[12:13] offset:5120 scale_offset
	flat_load_b32 v21, v0, s[12:13] offset:6144 scale_offset
	flat_load_b32 v22, v0, s[12:13] offset:7168 scale_offset
	flat_load_b32 v23, v0, s[12:13] offset:8192 scale_offset
	flat_load_b32 v24, v0, s[12:13] offset:9216 scale_offset
	flat_load_b32 v25, v0, s[12:13] offset:10240 scale_offset
	flat_load_b32 v26, v0, s[12:13] offset:11264 scale_offset
	v_cmp_eq_u32_e32 vcc_lo, v10, v11
	v_mov_b32_e32 v10, s33
	s_wait_loadcnt_dscnt 0xa0a
	ds_store_2addr_stride64_b32 v16, v14, v15 offset1:4
	s_wait_loadcnt_dscnt 0x809
	ds_store_2addr_stride64_b32 v16, v17, v18 offset0:8 offset1:12
	s_wait_loadcnt_dscnt 0x608
	ds_store_2addr_stride64_b32 v16, v19, v20 offset0:16 offset1:20
	;; [unrolled: 2-line block ×5, first 2 shown]
	s_wait_dscnt 0x0
	s_barrier_signal -1
	s_barrier_wait -1
	ds_load_2addr_b32 v[26:27], v28 offset0:1 offset1:2
	ds_load_2addr_b32 v[24:25], v28 offset0:3 offset1:4
	ds_load_2addr_b32 v[22:23], v28 offset0:5 offset1:6
	ds_load_2addr_b32 v[20:21], v28 offset0:7 offset1:8
	ds_load_2addr_b32 v[18:19], v28 offset0:9 offset1:10
	ds_load_b32 v17, v28 offset:44
	v_mov_b64_e32 v[14:15], 0x100000000
	s_and_saveexec_b32 s0, vcc_lo
; %bb.70:
	ds_load_b32 v10, v28
	v_mov_b64_e32 v[14:15], 0
; %bb.71:
	s_or_b32 exec_lo, exec_lo, s0
	v_cmp_eq_u32_e32 vcc_lo, v11, v12
	v_cmp_ne_u32_e64 s2, v5, v1
	s_mov_b32 s3, -1
	s_wait_dscnt 0x5
	v_cndmask_b32_e32 v42, s33, v26, vcc_lo
	v_cmp_ne_u32_e32 vcc_lo, v11, v12
	s_wait_dscnt 0x0
	v_cndmask_b32_e64 v60, v17, s33, s2
	v_cndmask_b32_e64 v43, 0, 1, vcc_lo
	v_cmp_eq_u32_e32 vcc_lo, v12, v13
	v_or_b32_e32 v14, v14, v10
	s_delay_alu instid0(VALU_DEP_3) | instskip(SKIP_4) | instid1(VALU_DEP_2)
	v_mov_b64_e32 v[36:37], v[42:43]
	v_cndmask_b32_e32 v40, s33, v27, vcc_lo
	v_cmp_ne_u32_e32 vcc_lo, v12, v13
	v_cndmask_b32_e64 v41, 0, 1, vcc_lo
	v_cmp_eq_u32_e32 vcc_lo, v13, v6
	v_mov_b64_e32 v[34:35], v[40:41]
	v_cndmask_b32_e32 v44, s33, v24, vcc_lo
	v_cmp_ne_u32_e32 vcc_lo, v13, v6
	v_cndmask_b32_e64 v45, 0, 1, vcc_lo
	v_cmp_eq_u32_e32 vcc_lo, v6, v7
	s_delay_alu instid0(VALU_DEP_2) | instskip(SKIP_4) | instid1(VALU_DEP_2)
	v_mov_b64_e32 v[32:33], v[44:45]
	v_cndmask_b32_e32 v46, s33, v25, vcc_lo
	v_cmp_ne_u32_e32 vcc_lo, v6, v7
	v_cndmask_b32_e64 v47, 0, 1, vcc_lo
	v_cmp_eq_u32_e32 vcc_lo, v7, v8
	v_mov_b64_e32 v[30:31], v[46:47]
	v_cndmask_b32_e32 v48, s33, v22, vcc_lo
	v_cmp_ne_u32_e32 vcc_lo, v7, v8
	v_cndmask_b32_e64 v49, 0, 1, vcc_lo
	v_cmp_eq_u32_e32 vcc_lo, v8, v9
	s_delay_alu instid0(VALU_DEP_2) | instskip(SKIP_4) | instid1(VALU_DEP_2)
	;; [unrolled: 11-line block ×3, first 2 shown]
	v_mov_b64_e32 v[24:25], v[52:53]
	v_cndmask_b32_e32 v54, s33, v21, vcc_lo
	v_cmp_ne_u32_e32 vcc_lo, v2, v3
	v_cndmask_b32_e64 v55, 0, 1, vcc_lo
	v_cmp_eq_u32_e32 vcc_lo, v3, v4
	v_mov_b64_e32 v[22:23], v[54:55]
	v_cndmask_b32_e32 v56, s33, v18, vcc_lo
	v_cmp_ne_u32_e32 vcc_lo, v3, v4
	v_cndmask_b32_e64 v57, 0, 1, vcc_lo
	v_cmp_eq_u32_e32 vcc_lo, v4, v5
	s_delay_alu instid0(VALU_DEP_2) | instskip(SKIP_3) | instid1(VALU_DEP_1)
	v_mov_b64_e32 v[20:21], v[56:57]
	v_cndmask_b32_e32 v58, s33, v19, vcc_lo
	v_cmp_ne_u32_e32 vcc_lo, v4, v5
	v_cndmask_b32_e64 v59, 0, 1, vcc_lo
	v_mov_b64_e32 v[18:19], v[58:59]
.LBB1752_72:
	v_mov_b64_e32 v[38:39], 0
	s_and_saveexec_b32 s0, s3
	s_cbranch_execz .LBB1752_74
; %bb.73:
	v_cndmask_b32_e64 v61, 0, 1, s2
	v_mov_b64_e32 v[18:19], v[58:59]
	v_mov_b64_e32 v[20:21], v[56:57]
	;; [unrolled: 1-line block ×11, first 2 shown]
.LBB1752_74:
	s_or_b32 exec_lo, exec_lo, s0
	v_dual_lshrrev_b32 v1, 2, v0 :: v_dual_bitop2_b32 v40, v25, v23 bitop3:0x54
	s_delay_alu instid0(VALU_DEP_3)
	v_or_b32_e32 v17, v21, v19
	s_cmp_lg_u32 s28, 0
	v_cmp_gt_u32_e32 vcc_lo, 32, v0
	s_barrier_signal -1
	s_barrier_wait -1
	s_cbranch_scc0 .LBB1752_112
; %bb.75:
	s_mov_b64 s[10:11], 0x100000000
	v_or3_b32 v3, v40, v27, v29
	v_cmp_gt_u64_e64 s0, s[10:11], v[36:37]
	v_cmp_gt_u64_e64 s1, s[10:11], v[34:35]
	v_cmp_gt_u64_e64 s2, s[10:11], v[32:33]
	v_cmp_gt_u64_e64 s3, s[10:11], v[30:31]
	v_cmp_gt_u64_e64 s4, s[10:11], v[28:29]
	v_cmp_gt_u64_e64 s5, s[10:11], v[26:27]
	v_cmp_gt_u64_e64 s6, s[10:11], v[24:25]
	v_dual_cndmask_b32 v2, 0, v14, s0 :: v_dual_bitop2_b32 v5, 56, v1 bitop3:0x40
	v_cmp_gt_u64_e64 s7, s[10:11], v[22:23]
	v_cmp_gt_u64_e64 s8, s[10:11], v[20:21]
	;; [unrolled: 1-line block ×3, first 2 shown]
	s_delay_alu instid0(VALU_DEP_4) | instskip(SKIP_3) | instid1(VALU_DEP_4)
	v_add_nc_u32_e32 v2, v2, v36
	v_cmp_gt_u64_e64 s10, s[10:11], v[38:39]
	v_or3_b32 v3, v3, v31, v33
	v_lshl_add_u32 v5, v0, 3, v5
	v_cndmask_b32_e64 v2, 0, v2, s1
	s_delay_alu instid0(VALU_DEP_3) | instskip(NEXT) | instid1(VALU_DEP_2)
	v_or3_b32 v3, v3, v35, v37
	v_add_nc_u32_e32 v2, v2, v34
	s_delay_alu instid0(VALU_DEP_2) | instskip(NEXT) | instid1(VALU_DEP_2)
	v_or3_b32 v3, v39, v17, v3
	v_cndmask_b32_e64 v2, 0, v2, s2
	s_delay_alu instid0(VALU_DEP_2) | instskip(NEXT) | instid1(VALU_DEP_2)
	v_and_b32_e32 v3, 0xff, v3
	v_add_nc_u32_e32 v2, v2, v32
	s_delay_alu instid0(VALU_DEP_1) | instskip(NEXT) | instid1(VALU_DEP_1)
	v_cndmask_b32_e64 v2, 0, v2, s3
	v_add_nc_u32_e32 v2, v2, v30
	s_delay_alu instid0(VALU_DEP_1) | instskip(NEXT) | instid1(VALU_DEP_1)
	v_cndmask_b32_e64 v2, 0, v2, s4
	;; [unrolled: 3-line block ×7, first 2 shown]
	v_dual_add_nc_u32 v4, v2, v18 :: v_dual_mov_b32 v2, 0
	s_delay_alu instid0(VALU_DEP_1) | instskip(NEXT) | instid1(VALU_DEP_2)
	v_cndmask_b32_e64 v4, 0, v4, s10
	v_cmp_eq_u64_e64 s10, 0, v[2:3]
	s_delay_alu instid0(VALU_DEP_1)
	v_dual_add_nc_u32 v12, v4, v38 :: v_dual_cndmask_b32 v13, 1, v15, s10
	ds_store_b32 v5, v12
	ds_store_b8 v5, v13 offset:4
	s_wait_dscnt 0x0
	s_barrier_signal -1
	s_barrier_wait -1
	s_and_saveexec_b32 s11, vcc_lo
	s_cbranch_execz .LBB1752_85
; %bb.76:
	v_dual_lshlrev_b32 v2, 1, v0 :: v_dual_lshlrev_b32 v3, 6, v0
	s_mov_b32 s12, exec_lo
	s_delay_alu instid0(VALU_DEP_1) | instskip(NEXT) | instid1(VALU_DEP_1)
	v_and_b32_e32 v2, 0x1f8, v2
	v_add_nc_u32_e32 v4, v2, v3
	ds_load_u8 v5, v4 offset:12
	ds_load_b64 v[2:3], v4
	ds_load_2addr_b32 v[6:7], v4 offset0:2 offset1:4
	ds_load_u8 v10, v4 offset:20
	ds_load_u8 v11, v4 offset:28
	;; [unrolled: 1-line block ×5, first 2 shown]
	ds_load_b32 v44, v4 offset:56
	s_wait_dscnt 0x8
	v_cmp_eq_u16_e64 s10, 0, v5
	s_wait_dscnt 0x5
	s_delay_alu instid0(VALU_DEP_1)
	v_dual_cndmask_b32 v45, 0, v2, s10 :: v_dual_bitop2_b32 v5, v10, v5 bitop3:0x54
	ds_load_2addr_b32 v[8:9], v4 offset0:6 offset1:8
	v_cmp_eq_u16_e64 s10, 0, v10
	s_wait_dscnt 0x4
	v_bitop3_b16 v5, v5, v41, v11 bitop3:0xfe
	v_add_nc_u32_e32 v6, v45, v6
	s_delay_alu instid0(VALU_DEP_1) | instskip(SKIP_1) | instid1(VALU_DEP_2)
	v_cndmask_b32_e64 v6, 0, v6, s10
	v_cmp_eq_u16_e64 s10, 0, v11
	v_add_nc_u32_e32 v6, v6, v7
	s_delay_alu instid0(VALU_DEP_1)
	v_cndmask_b32_e64 v45, 0, v6, s10
	ds_load_2addr_b32 v[6:7], v4 offset0:10 offset1:12
	v_cmp_eq_u16_e64 s10, 0, v41
	s_wait_dscnt 0x1
	v_add_nc_u32_e32 v8, v45, v8
	ds_load_u8 v45, v4 offset:60
	v_cndmask_b32_e64 v8, 0, v8, s10
	v_cmp_eq_u16_e64 s10, 0, v42
	s_delay_alu instid0(VALU_DEP_2) | instskip(SKIP_1) | instid1(VALU_DEP_2)
	v_add_nc_u32_e32 v8, v8, v9
	v_bitop3_b16 v9, v5, v43, v42 bitop3:0xfe
	v_dual_cndmask_b32 v8, 0, v8, s10 :: v_dual_bitop2_b32 v5, 1, v3 bitop3:0x40
	s_delay_alu instid0(VALU_DEP_2) | instskip(SKIP_1) | instid1(VALU_DEP_2)
	v_cmp_eq_u16_e64 s10, 0, v9
	s_wait_dscnt 0x0
	v_dual_add_nc_u32 v6, v8, v6 :: v_dual_bitop2_b32 v8, 1, v45 bitop3:0x40
	s_delay_alu instid0(VALU_DEP_2) | instskip(SKIP_1) | instid1(VALU_DEP_1)
	v_cndmask_b32_e64 v9, 1, v5, s10
	v_cmp_eq_u16_e64 s10, 0, v43
	v_cndmask_b32_e64 v6, 0, v6, s10
	s_delay_alu instid0(VALU_DEP_4) | instskip(SKIP_1) | instid1(VALU_DEP_2)
	v_cmp_eq_u32_e64 s10, 1, v8
	v_mbcnt_lo_u32_b32 v8, -1, 0
	v_cndmask_b32_e64 v9, v9, 1, s10
	v_cmp_eq_u16_e64 s10, 0, v45
	s_delay_alu instid0(VALU_DEP_2) | instskip(SKIP_2) | instid1(VALU_DEP_1)
	v_and_b32_e32 v10, 0xffff, v9
	v_add_nc_u32_e32 v7, v6, v7
	v_and_b32_e32 v6, 0xffffff00, v3
	v_dual_cndmask_b32 v7, 0, v7, s10 :: v_dual_bitop2_b32 v11, v6, v10 bitop3:0x54
	v_and_b32_e32 v10, 15, v8
	s_delay_alu instid0(VALU_DEP_2) | instskip(NEXT) | instid1(VALU_DEP_3)
	v_mov_b32_dpp v42, v11 row_shr:1 row_mask:0xf bank_mask:0xf
	v_add_nc_u32_e32 v7, v7, v44
	s_delay_alu instid0(VALU_DEP_1) | instskip(NEXT) | instid1(VALU_DEP_4)
	v_mov_b32_dpp v41, v7 row_shr:1 row_mask:0xf bank_mask:0xf
	v_cmpx_ne_u32_e32 0, v10
	s_cbranch_execz .LBB1752_78
; %bb.77:
	v_and_b32_e32 v11, 1, v9
	v_and_b32_e32 v42, 1, v42
	s_delay_alu instid0(VALU_DEP_2) | instskip(NEXT) | instid1(VALU_DEP_1)
	v_cmp_eq_u32_e64 s10, 1, v11
	v_cndmask_b32_e64 v42, v42, 1, s10
	v_cmp_eq_u16_e64 s10, 0, v9
	s_delay_alu instid0(VALU_DEP_2) | instskip(NEXT) | instid1(VALU_DEP_1)
	v_and_b32_e32 v11, 0xffff, v42
	v_dual_cndmask_b32 v9, 0, v41, s10 :: v_dual_bitop2_b32 v11, v6, v11 bitop3:0x54
	s_delay_alu instid0(VALU_DEP_1)
	v_dual_add_nc_u32 v7, v9, v7 :: v_dual_mov_b32 v9, v42
.LBB1752_78:
	s_or_b32 exec_lo, exec_lo, s12
	s_delay_alu instid0(VALU_DEP_1) | instskip(NEXT) | instid1(VALU_DEP_3)
	v_mov_b32_dpp v41, v7 row_shr:2 row_mask:0xf bank_mask:0xf
	v_mov_b32_dpp v42, v11 row_shr:2 row_mask:0xf bank_mask:0xf
	s_mov_b32 s12, exec_lo
	v_cmpx_lt_u32_e32 1, v10
	s_cbranch_execz .LBB1752_80
; %bb.79:
	v_and_b32_e32 v11, 1, v9
	v_and_b32_e32 v42, 1, v42
	s_delay_alu instid0(VALU_DEP_2) | instskip(NEXT) | instid1(VALU_DEP_1)
	v_cmp_eq_u32_e64 s10, 1, v11
	v_cndmask_b32_e64 v42, v42, 1, s10
	v_cmp_eq_u16_e64 s10, 0, v9
	s_delay_alu instid0(VALU_DEP_2) | instskip(NEXT) | instid1(VALU_DEP_1)
	v_and_b32_e32 v11, 0xffff, v42
	v_dual_cndmask_b32 v9, 0, v41, s10 :: v_dual_bitop2_b32 v11, v6, v11 bitop3:0x54
	s_delay_alu instid0(VALU_DEP_1)
	v_dual_add_nc_u32 v7, v9, v7 :: v_dual_mov_b32 v9, v42
.LBB1752_80:
	s_or_b32 exec_lo, exec_lo, s12
	s_delay_alu instid0(VALU_DEP_1) | instskip(NEXT) | instid1(VALU_DEP_3)
	v_mov_b32_dpp v41, v7 row_shr:4 row_mask:0xf bank_mask:0xf
	v_mov_b32_dpp v42, v11 row_shr:4 row_mask:0xf bank_mask:0xf
	s_mov_b32 s12, exec_lo
	v_cmpx_lt_u32_e32 3, v10
	s_cbranch_execz .LBB1752_82
; %bb.81:
	v_and_b32_e32 v11, 1, v9
	v_and_b32_e32 v42, 1, v42
	s_delay_alu instid0(VALU_DEP_2) | instskip(NEXT) | instid1(VALU_DEP_1)
	v_cmp_eq_u32_e64 s10, 1, v11
	v_cndmask_b32_e64 v42, v42, 1, s10
	v_cmp_eq_u16_e64 s10, 0, v9
	s_delay_alu instid0(VALU_DEP_2) | instskip(NEXT) | instid1(VALU_DEP_1)
	v_and_b32_e32 v11, 0xffff, v42
	v_dual_cndmask_b32 v9, 0, v41, s10 :: v_dual_bitop2_b32 v11, v6, v11 bitop3:0x54
	s_delay_alu instid0(VALU_DEP_1)
	v_dual_add_nc_u32 v7, v9, v7 :: v_dual_mov_b32 v9, v42
.LBB1752_82:
	s_or_b32 exec_lo, exec_lo, s12
	s_delay_alu instid0(VALU_DEP_1) | instskip(NEXT) | instid1(VALU_DEP_3)
	v_mov_b32_dpp v41, v7 row_shr:8 row_mask:0xf bank_mask:0xf
	v_mov_b32_dpp v42, v11 row_shr:8 row_mask:0xf bank_mask:0xf
	s_mov_b32 s12, exec_lo
	v_cmpx_lt_u32_e32 7, v10
	s_cbranch_execz .LBB1752_84
; %bb.83:
	v_and_b32_e32 v10, 1, v9
	v_and_b32_e32 v11, 1, v42
	s_delay_alu instid0(VALU_DEP_2) | instskip(NEXT) | instid1(VALU_DEP_1)
	v_cmp_eq_u32_e64 s10, 1, v10
	v_cndmask_b32_e64 v10, v11, 1, s10
	v_cmp_eq_u16_e64 s10, 0, v9
	s_delay_alu instid0(VALU_DEP_2) | instskip(NEXT) | instid1(VALU_DEP_1)
	v_and_b32_e32 v11, 0xffff, v10
	v_dual_cndmask_b32 v9, 0, v41, s10 :: v_dual_bitop2_b32 v11, v6, v11 bitop3:0x54
	s_delay_alu instid0(VALU_DEP_1)
	v_dual_add_nc_u32 v7, v9, v7 :: v_dual_mov_b32 v9, v10
.LBB1752_84:
	s_or_b32 exec_lo, exec_lo, s12
	ds_swizzle_b32 v10, v11 offset:swizzle(BROADCAST,32,15)
	ds_swizzle_b32 v11, v7 offset:swizzle(BROADCAST,32,15)
	v_and_b32_e32 v41, 1, v9
	v_bfe_i32 v43, v8, 4, 1
	v_and_b32_e32 v3, 0xff, v3
	; wave barrier
	s_delay_alu instid0(VALU_DEP_3) | instskip(SKIP_2) | instid1(VALU_DEP_1)
	v_cmp_eq_u32_e64 s10, 1, v41
	s_wait_dscnt 0x1
	v_dual_add_nc_u32 v41, -1, v8 :: v_dual_bitop2_b32 v10, 1, v10 bitop3:0x40
	v_cndmask_b32_e64 v10, v10, 1, s10
	v_and_b32_e32 v42, 16, v8
	v_cmp_eq_u16_e64 s10, 0, v9
	s_wait_dscnt 0x0
	s_delay_alu instid0(VALU_DEP_1) | instskip(NEXT) | instid1(VALU_DEP_3)
	v_cndmask_b32_e64 v11, 0, v11, s10
	v_cmp_eq_u32_e64 s10, 0, v42
	s_delay_alu instid0(VALU_DEP_1) | instskip(SKIP_1) | instid1(VALU_DEP_4)
	v_cndmask_b32_e64 v9, v10, v9, s10
	v_cmp_gt_i32_e64 s10, 0, v41
	v_and_b32_e32 v10, v43, v11
	s_delay_alu instid0(VALU_DEP_3) | instskip(NEXT) | instid1(VALU_DEP_2)
	v_and_b32_e32 v9, 0xffff, v9
	v_dual_cndmask_b32 v8, v41, v8, s10 :: v_dual_add_nc_u32 v7, v10, v7
	v_cmp_eq_u16_e64 s10, 0, v3
	s_delay_alu instid0(VALU_DEP_2)
	v_lshlrev_b32_e32 v8, 2, v8
	ds_bpermute_b32 v7, v8, v7
	s_wait_dscnt 0x0
	v_dual_cndmask_b32 v3, 0, v7, s10 :: v_dual_bitop2_b32 v6, v6, v9 bitop3:0x54
	ds_bpermute_b32 v6, v8, v6
	v_cmp_eq_u32_e64 s10, 1, v5
	v_add_nc_u32_e32 v2, v3, v2
	s_wait_dscnt 0x0
	v_and_b32_e32 v6, 1, v6
	s_delay_alu instid0(VALU_DEP_1) | instskip(SKIP_1) | instid1(VALU_DEP_1)
	v_cndmask_b32_e64 v3, v6, 1, s10
	v_cmp_eq_u32_e64 s10, 0, v0
	v_dual_cndmask_b32 v8, v3, v13, s10 :: v_dual_cndmask_b32 v5, v2, v12, s10
	ds_store_b32 v4, v5
	ds_store_b8 v4, v8 offset:4
	; wave barrier
	ds_load_u8 v9, v4 offset:12
	ds_load_2addr_b32 v[2:3], v4 offset0:2 offset1:4
	ds_load_u8 v10, v4 offset:20
	ds_load_u8 v11, v4 offset:28
	;; [unrolled: 1-line block ×5, first 2 shown]
	ds_load_b32 v44, v4 offset:56
	ds_load_u8 v45, v4 offset:60
	ds_load_2addr_b32 v[6:7], v4 offset0:6 offset1:8
	s_wait_dscnt 0x9
	v_cmp_eq_u16_e64 s10, 0, v9
	v_and_b32_e32 v9, 1, v9
	s_delay_alu instid0(VALU_DEP_2) | instskip(SKIP_2) | instid1(VALU_DEP_2)
	v_cndmask_b32_e64 v5, 0, v5, s10
	s_wait_dscnt 0x7
	v_cmp_eq_u16_e64 s10, 0, v10
	v_add_nc_u32_e32 v5, v5, v2
	s_delay_alu instid0(VALU_DEP_1) | instskip(SKIP_2) | instid1(VALU_DEP_2)
	v_cndmask_b32_e64 v2, 0, v5, s10
	s_wait_dscnt 0x6
	v_cmp_eq_u16_e64 s10, 0, v11
	v_add_nc_u32_e32 v46, v2, v3
	ds_load_2addr_b32 v[2:3], v4 offset0:10 offset1:12
	v_cndmask_b32_e64 v47, 0, v46, s10
	s_wait_dscnt 0x6
	v_cmp_eq_u16_e64 s10, 0, v41
	ds_store_2addr_b32 v4, v5, v46 offset0:2 offset1:4
	s_wait_dscnt 0x2
	v_add_nc_u32_e32 v6, v47, v6
	s_delay_alu instid0(VALU_DEP_1) | instskip(SKIP_3) | instid1(VALU_DEP_4)
	v_cndmask_b32_e64 v47, 0, v6, s10
	v_cmp_eq_u32_e64 s10, 1, v9
	v_and_b32_e32 v9, 1, v11
	v_and_b32_e32 v11, 1, v41
	v_dual_add_nc_u32 v7, v47, v7 :: v_dual_bitop2_b32 v10, 1, v10 bitop3:0x40
	s_delay_alu instid0(VALU_DEP_4) | instskip(SKIP_1) | instid1(VALU_DEP_3)
	v_cndmask_b32_e64 v8, v8, 1, s10
	v_and_b32_e32 v47, 1, v45
	v_cmp_eq_u32_e64 s10, 1, v10
	s_delay_alu instid0(VALU_DEP_1) | instskip(SKIP_1) | instid1(VALU_DEP_1)
	v_cndmask_b32_e64 v10, v8, 1, s10
	v_cmp_eq_u16_e64 s10, 0, v42
	v_dual_cndmask_b32 v41, 0, v7, s10 :: v_dual_bitop2_b32 v42, 1, v42 bitop3:0x40
	v_cmp_eq_u32_e64 s10, 1, v9
	s_wait_dscnt 0x1
	s_delay_alu instid0(VALU_DEP_2) | instskip(NEXT) | instid1(VALU_DEP_2)
	v_dual_add_nc_u32 v2, v41, v2 :: v_dual_bitop2_b32 v41, 1, v43 bitop3:0x40
	v_cndmask_b32_e64 v9, v10, 1, s10
	v_cmp_eq_u32_e64 s10, 1, v11
	s_delay_alu instid0(VALU_DEP_1) | instskip(SKIP_1) | instid1(VALU_DEP_1)
	v_cndmask_b32_e64 v11, v9, 1, s10
	v_cmp_eq_u16_e64 s10, 0, v43
	v_cndmask_b32_e64 v43, 0, v2, s10
	v_cmp_eq_u32_e64 s10, 1, v42
	s_delay_alu instid0(VALU_DEP_2) | instskip(NEXT) | instid1(VALU_DEP_2)
	v_add_nc_u32_e32 v3, v43, v3
	v_cndmask_b32_e64 v42, v11, 1, s10
	v_cmp_eq_u32_e64 s10, 1, v41
	ds_store_2addr_b32 v4, v6, v7 offset0:6 offset1:8
	ds_store_2addr_b32 v4, v2, v3 offset0:10 offset1:12
	v_cndmask_b32_e64 v41, v42, 1, s10
	v_cmp_eq_u16_e64 s10, 0, v45
	s_delay_alu instid0(VALU_DEP_1) | instskip(SKIP_1) | instid1(VALU_DEP_2)
	v_cndmask_b32_e64 v5, 0, v3, s10
	v_cmp_eq_u32_e64 s10, 1, v47
	v_add_nc_u32_e32 v2, v5, v44
	s_delay_alu instid0(VALU_DEP_2)
	v_cndmask_b32_e64 v43, v41, 1, s10
	ds_store_b8 v4, v8 offset:12
	ds_store_b8 v4, v10 offset:20
	;; [unrolled: 1-line block ×6, first 2 shown]
	ds_store_b32 v4, v2 offset:56
	ds_store_b8 v4, v43 offset:60
.LBB1752_85:
	s_or_b32 exec_lo, exec_lo, s11
	v_cmp_eq_u32_e64 s10, 0, v0
	s_mov_b32 s12, exec_lo
	s_wait_dscnt 0x0
	s_barrier_signal -1
	s_barrier_wait -1
	v_cmpx_ne_u32_e32 0, v0
	s_cbranch_execz .LBB1752_87
; %bb.86:
	v_add_nc_u32_e32 v2, -1, v0
	s_delay_alu instid0(VALU_DEP_1) | instskip(NEXT) | instid1(VALU_DEP_1)
	v_lshrrev_b32_e32 v3, 2, v2
	v_and_b32_e32 v3, 0x3ffffff8, v3
	s_delay_alu instid0(VALU_DEP_1)
	v_lshl_add_u32 v2, v2, 3, v3
	ds_load_b32 v12, v2
	ds_load_u8 v13, v2 offset:4
.LBB1752_87:
	s_or_b32 exec_lo, exec_lo, s12
	s_and_saveexec_b32 s34, vcc_lo
	s_cbranch_execz .LBB1752_157
; %bb.88:
	v_mov_b32_e32 v5, 0
	v_mbcnt_lo_u32_b32 v41, -1, 0
	s_mov_b32 s13, 0
	ds_load_b64 v[2:3], v5 offset:2096
	v_cmp_eq_u32_e64 s11, 0, v41
	s_and_saveexec_b32 s30, s11
	s_cbranch_execz .LBB1752_90
; %bb.89:
	s_add_co_i32 s12, s28, 32
	v_mov_b32_e32 v4, 1
	s_lshl_b64 s[12:13], s[12:13], 4
	s_delay_alu instid0(SALU_CYCLE_1) | instskip(NEXT) | instid1(SALU_CYCLE_1)
	s_add_nc_u64 s[12:13], s[16:17], s[12:13]
	v_mov_b64_e32 v[6:7], s[12:13]
	s_wait_dscnt 0x0
	;;#ASMSTART
	global_store_b128 v[6:7], v[2:5] off scope:SCOPE_DEV	
s_wait_storecnt 0x0
	;;#ASMEND
.LBB1752_90:
	s_or_b32 exec_lo, exec_lo, s30
	v_xad_u32 v8, v41, -1, s28
	s_mov_b32 s12, exec_lo
	s_delay_alu instid0(VALU_DEP_1) | instskip(NEXT) | instid1(VALU_DEP_1)
	v_add_nc_u32_e32 v4, 32, v8
	v_lshl_add_u64 v[10:11], v[4:5], 4, s[16:17]
	;;#ASMSTART
	global_load_b128 v[4:7], v[10:11] off scope:SCOPE_DEV	
s_wait_loadcnt 0x0
	;;#ASMEND
	v_and_b32_e32 v7, 0xff, v6
	v_and_b32_e32 v5, 0xff, v5
	s_delay_alu instid0(VALU_DEP_2)
	v_cmpx_eq_u16_e32 0, v7
	s_cbranch_execz .LBB1752_94
; %bb.91:
	s_mov_b32 s13, 0
.LBB1752_92:                            ; =>This Inner Loop Header: Depth=1
	;;#ASMSTART
	global_load_b128 v[4:7], v[10:11] off scope:SCOPE_DEV	
s_wait_loadcnt 0x0
	;;#ASMEND
	v_and_b32_e32 v7, 0xff, v6
	s_delay_alu instid0(VALU_DEP_1) | instskip(SKIP_1) | instid1(SALU_CYCLE_1)
	v_cmp_ne_u16_e32 vcc_lo, 0, v7
	s_or_b32 s13, vcc_lo, s13
	s_and_not1_b32 exec_lo, exec_lo, s13
	s_cbranch_execnz .LBB1752_92
; %bb.93:
	s_or_b32 exec_lo, exec_lo, s13
	v_and_b32_e32 v5, 0xff, v5
.LBB1752_94:
	s_or_b32 exec_lo, exec_lo, s12
	v_cmp_ne_u32_e32 vcc_lo, 31, v41
	v_and_b32_e32 v9, 0xff, v6
	v_lshlrev_b32_e64 v43, v41, -1
	s_mov_b64 s[30:31], 0x100000000
	v_lshl_or_b32 v52, v41, 2, 64
	v_add_co_ci_u32_e64 v7, null, 0, v41, vcc_lo
	v_cmp_eq_u16_e32 vcc_lo, 2, v9
	v_cmp_gt_u64_e64 s12, s[30:31], v[4:5]
	s_delay_alu instid0(VALU_DEP_3) | instskip(SKIP_1) | instid1(VALU_DEP_2)
	v_dual_lshlrev_b32 v42, 2, v7 :: v_dual_bitop2_b32 v10, 1, v5 bitop3:0x40
	v_and_or_b32 v9, vcc_lo, v43, 0x80000000
	v_cmp_eq_u32_e32 vcc_lo, 1, v10
	ds_bpermute_b32 v7, v42, v5
	ds_bpermute_b32 v10, v42, v4
	v_ctz_i32_b32_e32 v9, v9
	s_wait_dscnt 0x1
	v_and_b32_e32 v7, 1, v7
	s_delay_alu instid0(VALU_DEP_1) | instskip(SKIP_1) | instid1(VALU_DEP_2)
	v_cndmask_b32_e64 v7, v7, 1, vcc_lo
	v_cmp_gt_u32_e32 vcc_lo, 30, v41
	v_and_b32_e32 v45, 0xffff, v7
	v_cndmask_b32_e64 v11, 0, 2, vcc_lo
	v_cmp_lt_u32_e32 vcc_lo, v41, v9
	s_delay_alu instid0(VALU_DEP_2) | instskip(NEXT) | instid1(VALU_DEP_4)
	v_add_lshl_u32 v44, v11, v41, 2
	v_dual_cndmask_b32 v11, v5, v45, vcc_lo :: v_dual_cndmask_b32 v7, v5, v7, vcc_lo
	s_and_b32 vcc_lo, vcc_lo, s12
	s_wait_dscnt 0x0
	v_cndmask_b32_e32 v10, 0, v10, vcc_lo
	ds_bpermute_b32 v5, v44, v11
	v_and_b32_e32 v46, 1, v7
	v_and_b32_e32 v48, 0xff, v7
	v_add_nc_u32_e32 v4, v10, v4
	s_delay_alu instid0(VALU_DEP_3) | instskip(NEXT) | instid1(VALU_DEP_3)
	v_cmp_eq_u32_e32 vcc_lo, 1, v46
	v_cmp_eq_u16_e64 s12, 0, v48
	ds_bpermute_b32 v10, v44, v4
	s_wait_dscnt 0x1
	v_and_b32_e32 v5, 1, v5
	s_delay_alu instid0(VALU_DEP_1) | instskip(SKIP_2) | instid1(VALU_DEP_3)
	v_cndmask_b32_e64 v5, v5, 1, vcc_lo
	v_add_nc_u32_e32 v45, 2, v41
	v_cmp_gt_u32_e32 vcc_lo, 28, v41
	v_and_b32_e32 v47, 0xffff, v5
	v_cndmask_b32_e64 v46, 0, 4, vcc_lo
	s_delay_alu instid0(VALU_DEP_4) | instskip(NEXT) | instid1(VALU_DEP_2)
	v_cmp_gt_u32_e32 vcc_lo, v45, v9
	v_add_lshl_u32 v46, v46, v41, 2
	v_cndmask_b32_e32 v5, v5, v7, vcc_lo
	s_wait_dscnt 0x0
	v_dual_cndmask_b32 v7, v47, v11, vcc_lo :: v_dual_cndmask_b32 v10, 0, v10, s12
	s_delay_alu instid0(VALU_DEP_2) | instskip(SKIP_4) | instid1(VALU_DEP_3)
	v_and_b32_e32 v48, 1, v5
	ds_bpermute_b32 v11, v46, v7
	v_cndmask_b32_e64 v10, v10, 0, vcc_lo
	v_cmp_eq_u32_e32 vcc_lo, 1, v48
	v_and_b32_e32 v48, 0xff, v5
	v_add_nc_u32_e32 v4, v10, v4
	s_delay_alu instid0(VALU_DEP_2)
	v_cmp_eq_u16_e64 s12, 0, v48
	s_wait_dscnt 0x0
	v_and_b32_e32 v11, 1, v11
	ds_bpermute_b32 v10, v46, v4
	v_add_nc_u32_e32 v47, 4, v41
	v_cndmask_b32_e64 v11, v11, 1, vcc_lo
	v_cmp_gt_u32_e32 vcc_lo, 24, v41
	s_delay_alu instid0(VALU_DEP_2) | instskip(SKIP_1) | instid1(VALU_DEP_1)
	v_and_b32_e32 v50, 0xffff, v11
	v_cndmask_b32_e64 v49, 0, 8, vcc_lo
	v_add_lshl_u32 v48, v49, v41, 2
	s_wait_dscnt 0x0
	v_dual_add_nc_u32 v49, 8, v41 :: v_dual_cndmask_b32 v10, 0, v10, s12
	v_cmp_gt_u32_e32 vcc_lo, v47, v9
	v_dual_cndmask_b32 v5, v11, v5, vcc_lo :: v_dual_cndmask_b32 v7, v50, v7, vcc_lo
	s_delay_alu instid0(VALU_DEP_3) | instskip(NEXT) | instid1(VALU_DEP_2)
	v_cndmask_b32_e64 v10, v10, 0, vcc_lo
	v_and_b32_e32 v50, 1, v5
	ds_bpermute_b32 v11, v48, v7
	v_add_nc_u32_e32 v4, v10, v4
	v_and_b32_e32 v51, 0xff, v5
	v_cmp_eq_u32_e32 vcc_lo, 1, v50
	ds_bpermute_b32 v10, v48, v4
	s_wait_dscnt 0x1
	v_and_b32_e32 v11, 1, v11
	s_delay_alu instid0(VALU_DEP_1) | instskip(SKIP_1) | instid1(VALU_DEP_2)
	v_cndmask_b32_e64 v11, v11, 1, vcc_lo
	v_cmp_eq_u16_e32 vcc_lo, 0, v51
	v_and_b32_e32 v50, 0xffff, v11
	s_wait_dscnt 0x0
	v_cndmask_b32_e32 v10, 0, v10, vcc_lo
	v_cmp_gt_u32_e32 vcc_lo, v49, v9
	s_delay_alu instid0(VALU_DEP_3) | instskip(NEXT) | instid1(VALU_DEP_3)
	v_dual_cndmask_b32 v5, v11, v5, vcc_lo :: v_dual_cndmask_b32 v7, v50, v7, vcc_lo
	v_cndmask_b32_e64 v10, v10, 0, vcc_lo
	s_delay_alu instid0(VALU_DEP_2) | instskip(SKIP_3) | instid1(VALU_DEP_1)
	v_and_b32_e32 v50, 1, v5
	ds_bpermute_b32 v7, v52, v7
	v_add_nc_u32_e32 v4, v10, v4
	v_and_b32_e32 v11, 0xff, v5
	v_cmp_eq_u16_e32 vcc_lo, 0, v11
	s_wait_dscnt 0x0
	v_and_b32_e32 v7, 1, v7
	ds_bpermute_b32 v10, v52, v4
	s_wait_dscnt 0x0
	v_dual_cndmask_b32 v10, 0, v10 :: v_dual_add_nc_u32 v53, 16, v41
	v_cmp_eq_u32_e32 vcc_lo, 1, v50
	v_cndmask_b32_e64 v7, v7, 1, vcc_lo
	s_delay_alu instid0(VALU_DEP_3) | instskip(NEXT) | instid1(VALU_DEP_2)
	v_cmp_gt_u32_e32 vcc_lo, v53, v9
	v_dual_mov_b32 v9, 0 :: v_dual_cndmask_b32 v5, v7, v5, vcc_lo
	v_cndmask_b32_e64 v7, v10, 0, vcc_lo
	s_delay_alu instid0(VALU_DEP_1)
	v_add_nc_u32_e32 v4, v7, v4
	s_branch .LBB1752_98
.LBB1752_95:                            ;   in Loop: Header=BB1752_98 Depth=1
	s_or_b32 exec_lo, exec_lo, s13
	v_and_b32_e32 v5, 0xff, v5
.LBB1752_96:                            ;   in Loop: Header=BB1752_98 Depth=1
	s_or_b32 exec_lo, exec_lo, s12
	ds_bpermute_b32 v7, v42, v5
	v_and_b32_e32 v10, 0xff, v6
	v_cmp_gt_u64_e64 s12, s[30:31], v[4:5]
	v_subrev_nc_u32_e32 v8, 32, v8
	s_delay_alu instid0(VALU_DEP_3) | instskip(SKIP_2) | instid1(VALU_DEP_2)
	v_cmp_eq_u16_e32 vcc_lo, 2, v10
	v_and_b32_e32 v10, 1, v5
	v_and_or_b32 v11, vcc_lo, v43, 0x80000000
	v_cmp_eq_u32_e32 vcc_lo, 1, v10
	s_delay_alu instid0(VALU_DEP_2) | instskip(SKIP_3) | instid1(VALU_DEP_1)
	v_ctz_i32_b32_e32 v10, v11
	ds_bpermute_b32 v11, v42, v4
	s_wait_dscnt 0x1
	v_and_b32_e32 v7, 1, v7
	v_cndmask_b32_e64 v7, v7, 1, vcc_lo
	v_cmp_lt_u32_e32 vcc_lo, v41, v10
	s_delay_alu instid0(VALU_DEP_2) | instskip(NEXT) | instid1(VALU_DEP_1)
	v_and_b32_e32 v54, 0xffff, v7
	v_dual_cndmask_b32 v7, v5, v7 :: v_dual_cndmask_b32 v54, v5, v54
	s_and_b32 vcc_lo, vcc_lo, s12
	s_delay_alu instid0(VALU_DEP_1)
	v_and_b32_e32 v56, 0xff, v7
	v_and_b32_e32 v55, 1, v7
	ds_bpermute_b32 v5, v44, v54
	s_wait_dscnt 0x1
	v_cndmask_b32_e32 v11, 0, v11, vcc_lo
	v_cmp_eq_u16_e64 s12, 0, v56
	v_cmp_eq_u32_e32 vcc_lo, 1, v55
	s_wait_dscnt 0x0
	s_delay_alu instid0(VALU_DEP_3) | instskip(NEXT) | instid1(VALU_DEP_1)
	v_dual_add_nc_u32 v4, v11, v4 :: v_dual_bitop2_b32 v5, 1, v5 bitop3:0x40
	v_cndmask_b32_e64 v5, v5, 1, vcc_lo
	ds_bpermute_b32 v11, v44, v4
	v_cmp_gt_u32_e32 vcc_lo, v45, v10
	v_and_b32_e32 v55, 0xffff, v5
	s_delay_alu instid0(VALU_DEP_1) | instskip(NEXT) | instid1(VALU_DEP_1)
	v_dual_cndmask_b32 v5, v5, v7, vcc_lo :: v_dual_cndmask_b32 v7, v55, v54, vcc_lo
	v_and_b32_e32 v55, 1, v5
	ds_bpermute_b32 v54, v46, v7
	s_wait_dscnt 0x1
	v_cndmask_b32_e64 v11, 0, v11, s12
	s_delay_alu instid0(VALU_DEP_1) | instskip(SKIP_2) | instid1(VALU_DEP_3)
	v_cndmask_b32_e64 v11, v11, 0, vcc_lo
	v_cmp_eq_u32_e32 vcc_lo, 1, v55
	v_and_b32_e32 v55, 0xff, v5
	v_add_nc_u32_e32 v4, v11, v4
	s_delay_alu instid0(VALU_DEP_2)
	v_cmp_eq_u16_e64 s12, 0, v55
	s_wait_dscnt 0x0
	v_and_b32_e32 v54, 1, v54
	ds_bpermute_b32 v11, v46, v4
	v_cndmask_b32_e64 v54, v54, 1, vcc_lo
	v_cmp_gt_u32_e32 vcc_lo, v47, v10
	s_delay_alu instid0(VALU_DEP_2) | instskip(SKIP_3) | instid1(VALU_DEP_1)
	v_and_b32_e32 v56, 0xffff, v54
	s_wait_dscnt 0x0
	v_dual_cndmask_b32 v5, v54, v5, vcc_lo :: v_dual_cndmask_b32 v11, 0, v11, s12
	s_mov_b32 s12, 0
	v_cndmask_b32_e64 v11, v11, 0, vcc_lo
	v_cndmask_b32_e32 v7, v56, v7, vcc_lo
	s_delay_alu instid0(VALU_DEP_3) | instskip(NEXT) | instid1(VALU_DEP_3)
	v_and_b32_e32 v56, 0xff, v5
	v_add_nc_u32_e32 v4, v11, v4
	ds_bpermute_b32 v54, v48, v7
	ds_bpermute_b32 v11, v48, v4
	v_and_b32_e32 v55, 1, v5
	s_delay_alu instid0(VALU_DEP_1) | instskip(SKIP_2) | instid1(VALU_DEP_1)
	v_cmp_eq_u32_e32 vcc_lo, 1, v55
	s_wait_dscnt 0x1
	v_and_b32_e32 v54, 1, v54
	v_cndmask_b32_e64 v54, v54, 1, vcc_lo
	v_cmp_eq_u16_e32 vcc_lo, 0, v56
	s_delay_alu instid0(VALU_DEP_2) | instskip(SKIP_3) | instid1(VALU_DEP_2)
	v_and_b32_e32 v55, 0xffff, v54
	s_wait_dscnt 0x0
	v_cndmask_b32_e32 v11, 0, v11, vcc_lo
	v_cmp_gt_u32_e32 vcc_lo, v49, v10
	v_cndmask_b32_e64 v11, v11, 0, vcc_lo
	v_dual_cndmask_b32 v7, v55, v7, vcc_lo :: v_dual_cndmask_b32 v5, v54, v5, vcc_lo
	s_delay_alu instid0(VALU_DEP_2) | instskip(SKIP_4) | instid1(VALU_DEP_1)
	v_add_nc_u32_e32 v4, v11, v4
	ds_bpermute_b32 v7, v52, v7
	v_and_b32_e32 v55, 0xff, v5
	ds_bpermute_b32 v11, v52, v4
	v_and_b32_e32 v54, 1, v5
	v_cmp_eq_u32_e32 vcc_lo, 1, v54
	s_wait_dscnt 0x1
	v_cndmask_b32_e64 v7, v7, 1, vcc_lo
	v_cmp_eq_u16_e32 vcc_lo, 0, v55
	s_wait_dscnt 0x0
	v_cndmask_b32_e32 v11, 0, v11, vcc_lo
	v_cmp_gt_u32_e32 vcc_lo, v53, v10
	v_and_b32_e32 v10, 0xff, v50
	v_cndmask_b32_e32 v5, v7, v5, vcc_lo
	s_delay_alu instid0(VALU_DEP_4) | instskip(NEXT) | instid1(VALU_DEP_3)
	v_cndmask_b32_e64 v7, v11, 0, vcc_lo
	v_cmp_eq_u16_e32 vcc_lo, 0, v10
	s_delay_alu instid0(VALU_DEP_2) | instskip(NEXT) | instid1(VALU_DEP_1)
	v_dual_add_nc_u32 v4, v7, v4 :: v_dual_bitop2_b32 v7, 1, v50 bitop3:0x40
	v_dual_cndmask_b32 v4, 0, v4, vcc_lo :: v_dual_bitop2_b32 v5, 1, v5 bitop3:0x40
	s_delay_alu instid0(VALU_DEP_2) | instskip(NEXT) | instid1(VALU_DEP_2)
	v_cmp_eq_u32_e32 vcc_lo, 1, v7
	v_add_nc_u32_e32 v4, v4, v51
	s_delay_alu instid0(VALU_DEP_3)
	v_cndmask_b32_e64 v5, v5, 1, vcc_lo
.LBB1752_97:                            ;   in Loop: Header=BB1752_98 Depth=1
	s_and_b32 vcc_lo, exec_lo, s12
	s_cbranch_vccnz .LBB1752_153
.LBB1752_98:                            ; =>This Loop Header: Depth=1
                                        ;     Child Loop BB1752_101 Depth 2
	v_and_b32_e32 v6, 0xff, v6
	s_delay_alu instid0(VALU_DEP_2) | instskip(SKIP_1) | instid1(VALU_DEP_2)
	v_dual_mov_b32 v50, v5 :: v_dual_mov_b32 v51, v4
	s_mov_b32 s12, -1
                                        ; implicit-def: $vgpr5
                                        ; implicit-def: $vgpr4
	v_cmp_ne_u16_e32 vcc_lo, 2, v6
                                        ; implicit-def: $vgpr6
	s_cmp_lg_u32 vcc_lo, exec_lo
	s_cbranch_scc1 .LBB1752_97
; %bb.99:                               ;   in Loop: Header=BB1752_98 Depth=1
	v_lshl_add_u64 v[10:11], v[8:9], 4, s[16:17]
	;;#ASMSTART
	global_load_b128 v[4:7], v[10:11] off scope:SCOPE_DEV	
s_wait_loadcnt 0x0
	;;#ASMEND
	v_and_b32_e32 v7, 0xff, v6
	v_and_b32_e32 v5, 0xff, v5
	s_mov_b32 s12, exec_lo
	s_delay_alu instid0(VALU_DEP_2)
	v_cmpx_eq_u16_e32 0, v7
	s_cbranch_execz .LBB1752_96
; %bb.100:                              ;   in Loop: Header=BB1752_98 Depth=1
	s_mov_b32 s13, 0
.LBB1752_101:                           ;   Parent Loop BB1752_98 Depth=1
                                        ; =>  This Inner Loop Header: Depth=2
	;;#ASMSTART
	global_load_b128 v[4:7], v[10:11] off scope:SCOPE_DEV	
s_wait_loadcnt 0x0
	;;#ASMEND
	v_and_b32_e32 v7, 0xff, v6
	s_delay_alu instid0(VALU_DEP_1) | instskip(SKIP_1) | instid1(SALU_CYCLE_1)
	v_cmp_ne_u16_e32 vcc_lo, 0, v7
	s_or_b32 s13, vcc_lo, s13
	s_and_not1_b32 exec_lo, exec_lo, s13
	s_cbranch_execnz .LBB1752_101
	s_branch .LBB1752_95
.LBB1752_102:
	s_or_b32 exec_lo, exec_lo, s11
                                        ; implicit-def: $vgpr16
	s_and_saveexec_b32 s11, s0
	s_cbranch_execz .LBB1752_29
.LBB1752_103:
	flat_load_b32 v16, v0, s[12:13] offset:1024 scale_offset
	s_wait_xcnt 0x0
	s_or_b32 exec_lo, exec_lo, s11
                                        ; implicit-def: $vgpr17
	s_and_saveexec_b32 s0, s1
	s_cbranch_execnz .LBB1752_30
.LBB1752_104:
	s_or_b32 exec_lo, exec_lo, s0
                                        ; implicit-def: $vgpr18
	s_and_saveexec_b32 s0, s2
	s_cbranch_execz .LBB1752_31
.LBB1752_105:
	flat_load_b32 v18, v0, s[12:13] offset:3072 scale_offset
	s_wait_xcnt 0x0
	s_or_b32 exec_lo, exec_lo, s0
                                        ; implicit-def: $vgpr19
	s_and_saveexec_b32 s0, s3
	s_cbranch_execnz .LBB1752_32
.LBB1752_106:
	s_or_b32 exec_lo, exec_lo, s0
                                        ; implicit-def: $vgpr20
	s_and_saveexec_b32 s0, s4
	s_cbranch_execz .LBB1752_33
.LBB1752_107:
	flat_load_b32 v20, v0, s[12:13] offset:5120 scale_offset
	s_wait_xcnt 0x0
	s_or_b32 exec_lo, exec_lo, s0
                                        ; implicit-def: $vgpr21
	s_and_saveexec_b32 s0, s5
	s_cbranch_execnz .LBB1752_34
.LBB1752_108:
	s_or_b32 exec_lo, exec_lo, s0
                                        ; implicit-def: $vgpr22
	s_and_saveexec_b32 s0, s6
	s_cbranch_execz .LBB1752_35
.LBB1752_109:
	flat_load_b32 v22, v0, s[12:13] offset:7168 scale_offset
	s_wait_xcnt 0x0
	s_or_b32 exec_lo, exec_lo, s0
                                        ; implicit-def: $vgpr23
	s_and_saveexec_b32 s0, s7
	s_cbranch_execnz .LBB1752_36
.LBB1752_110:
	s_or_b32 exec_lo, exec_lo, s0
                                        ; implicit-def: $vgpr24
	s_and_saveexec_b32 s0, s8
	s_cbranch_execz .LBB1752_37
.LBB1752_111:
	flat_load_b32 v24, v0, s[12:13] offset:9216 scale_offset
	s_wait_xcnt 0x0
	s_or_b32 exec_lo, exec_lo, s0
                                        ; implicit-def: $vgpr25
	s_and_saveexec_b32 s0, s9
	s_cbranch_execz .LBB1752_39
	s_branch .LBB1752_38
.LBB1752_112:
                                        ; implicit-def: $vgpr13
                                        ; implicit-def: $vgpr9
                                        ; implicit-def: $vgpr5
	s_cbranch_execnz .LBB1752_158
.LBB1752_113:
	s_add_nc_u64 s[0:1], s[14:15], s[26:27]
	s_and_b32 vcc_lo, exec_lo, s19
	s_add_nc_u64 s[0:1], s[0:1], s[20:21]
	s_cbranch_vccz .LBB1752_175
.LBB1752_114:
	v_mul_u32_u24_e32 v1, 12, v0
	s_add_co_i32 s29, s29, s18
	s_mov_b32 s2, exec_lo
	s_delay_alu instid0(VALU_DEP_1)
	v_cmpx_gt_u32_e64 s29, v1
	s_cbranch_execz .LBB1752_130
; %bb.115:
	v_or_b32_e32 v14, 1, v1
	s_mov_b32 s3, exec_lo
	s_delay_alu instid0(VALU_DEP_1)
	v_cmpx_gt_u32_e64 s29, v14
	s_cbranch_execz .LBB1752_129
; %bb.116:
	v_or_b32_e32 v14, 2, v1
	;; [unrolled: 6-line block ×3, first 2 shown]
	s_mov_b32 s5, exec_lo
	s_delay_alu instid0(VALU_DEP_1)
	v_cmpx_gt_u32_e64 s29, v14
	s_cbranch_execz .LBB1752_127
; %bb.118:
	v_add_nc_u32_e32 v14, 4, v1
	s_mov_b32 s6, exec_lo
	s_delay_alu instid0(VALU_DEP_1)
	v_cmpx_gt_u32_e64 s29, v14
	s_cbranch_execz .LBB1752_126
; %bb.119:
	v_add_nc_u32_e32 v14, 5, v1
	;; [unrolled: 6-line block ×4, first 2 shown]
	s_mov_b32 s9, exec_lo
	s_delay_alu instid0(VALU_DEP_1)
	v_cmpx_gt_u32_e64 s29, v14
; %bb.122:
	v_add_nc_u32_e32 v14, 8, v1
	s_mov_b32 s10, exec_lo
	s_delay_alu instid0(VALU_DEP_1)
	v_cmpx_gt_u32_e64 s29, v14
	s_or_b32 exec_lo, exec_lo, s10
; %bb.123:
	s_delay_alu instid0(SALU_CYCLE_1)
	s_or_b32 exec_lo, exec_lo, s9
.LBB1752_124:
	s_delay_alu instid0(SALU_CYCLE_1)
	s_or_b32 exec_lo, exec_lo, s8
.LBB1752_125:
	s_delay_alu instid0(SALU_CYCLE_1)
	s_or_b32 exec_lo, exec_lo, s7
.LBB1752_126:
	s_delay_alu instid0(SALU_CYCLE_1)
	s_or_b32 exec_lo, exec_lo, s6
.LBB1752_127:
	s_delay_alu instid0(SALU_CYCLE_1)
	s_or_b32 exec_lo, exec_lo, s5
.LBB1752_128:
	s_delay_alu instid0(SALU_CYCLE_1)
	s_or_b32 exec_lo, exec_lo, s4
.LBB1752_129:
	s_delay_alu instid0(SALU_CYCLE_1)
	s_or_b32 exec_lo, exec_lo, s3
.LBB1752_130:
	s_delay_alu instid0(SALU_CYCLE_1) | instskip(SKIP_3) | instid1(VALU_DEP_1)
	s_or_b32 exec_lo, exec_lo, s2
	v_dual_lshlrev_b32 v1, 2, v1 :: v_dual_mov_b32 v17, 0
	s_barrier_signal -1
	s_barrier_wait -1
	v_mad_i32_i24 v14, 0xffffffd4, v0, v1
	ds_store_b128 v1, v[2:5]
	ds_store_b128 v1, v[6:9] offset:16
	ds_store_b128 v1, v[10:13] offset:32
	s_wait_dscnt 0x0
	s_barrier_signal -1
	s_barrier_wait -1
	ds_load_2addr_stride64_b32 v[26:27], v14 offset0:4 offset1:8
	ds_load_2addr_stride64_b32 v[24:25], v14 offset0:12 offset1:16
	ds_load_2addr_stride64_b32 v[22:23], v14 offset0:20 offset1:24
	ds_load_2addr_stride64_b32 v[20:21], v14 offset0:28 offset1:32
	ds_load_2addr_stride64_b32 v[18:19], v14 offset0:36 offset1:40
	ds_load_b32 v15, v14 offset:11264
	v_add_nc_u64_e32 v[16:17], s[0:1], v[16:17]
	s_mov_b32 s2, exec_lo
	v_cmpx_gt_u32_e64 s29, v0
	s_cbranch_execz .LBB1752_132
; %bb.131:
	v_mul_i32_i24_e32 v14, 0xffffffd4, v0
	s_delay_alu instid0(VALU_DEP_1)
	v_add_nc_u32_e32 v1, v1, v14
	ds_load_b32 v1, v1
	s_wait_dscnt 0x0
	flat_store_b32 v[16:17], v1
.LBB1752_132:
	s_wait_xcnt 0x0
	s_or_b32 exec_lo, exec_lo, s2
	v_or_b32_e32 v1, 0x100, v0
	s_mov_b32 s2, exec_lo
	s_delay_alu instid0(VALU_DEP_1)
	v_cmpx_gt_u32_e64 s29, v1
	s_cbranch_execz .LBB1752_134
; %bb.133:
	s_wait_dscnt 0x5
	flat_store_b32 v[16:17], v26 offset:1024
.LBB1752_134:
	s_wait_xcnt 0x0
	s_or_b32 exec_lo, exec_lo, s2
	v_or_b32_e32 v1, 0x200, v0
	s_mov_b32 s2, exec_lo
	s_delay_alu instid0(VALU_DEP_1)
	v_cmpx_gt_u32_e64 s29, v1
	s_cbranch_execz .LBB1752_136
; %bb.135:
	s_wait_dscnt 0x5
	flat_store_b32 v[16:17], v27 offset:2048
.LBB1752_136:
	;; [unrolled: 11-line block ×10, first 2 shown]
	s_wait_xcnt 0x0
	s_or_b32 exec_lo, exec_lo, s2
	v_or_b32_e32 v1, 0xb00, v0
	s_delay_alu instid0(VALU_DEP_1)
	v_cmp_gt_u32_e64 s2, s29, v1
	s_branch .LBB1752_177
.LBB1752_153:
	s_and_saveexec_b32 s12, s11
	s_cbranch_execz .LBB1752_155
; %bb.154:
	v_and_b32_e32 v4, 0xff, v3
	s_mov_b32 s31, 0
	s_add_co_i32 s30, s28, 32
	v_and_b32_e32 v5, 1, v50
	s_lshl_b64 s[30:31], s[30:31], 4
	v_cmp_eq_u32_e32 vcc_lo, 0, v4
	s_add_nc_u64 s[30:31], s[16:17], s[30:31]
	s_delay_alu instid0(SALU_CYCLE_1) | instskip(SKIP_1) | instid1(VALU_DEP_1)
	v_mov_b64_e32 v[6:7], s[30:31]
	v_cndmask_b32_e32 v4, 0, v51, vcc_lo
	v_dual_add_nc_u32 v2, v4, v2 :: v_dual_bitop2_b32 v3, 1, v3 bitop3:0x40
	s_delay_alu instid0(VALU_DEP_1)
	v_cmp_eq_u32_e32 vcc_lo, 1, v3
	v_mov_b32_e32 v4, 2
	v_cndmask_b32_e64 v3, v5, 1, vcc_lo
	v_mov_b32_e32 v5, 0
	;;#ASMSTART
	global_store_b128 v[6:7], v[2:5] off scope:SCOPE_DEV	
s_wait_storecnt 0x0
	;;#ASMEND
.LBB1752_155:
	s_or_b32 exec_lo, exec_lo, s12
	s_delay_alu instid0(SALU_CYCLE_1)
	s_and_b32 exec_lo, exec_lo, s10
	s_cbranch_execz .LBB1752_157
; %bb.156:
	v_mov_b32_e32 v2, 0
	ds_store_b32 v2, v51
	ds_store_b8 v2, v50 offset:4
.LBB1752_157:
	s_or_b32 exec_lo, exec_lo, s34
	s_wait_dscnt 0x0
	v_and_b32_e32 v3, 0xff, v13
	s_barrier_signal -1
	s_barrier_wait -1
	s_delay_alu instid0(VALU_DEP_1)
	v_cmp_eq_u16_e32 vcc_lo, 0, v3
	v_mov_b32_e32 v4, 0
	v_and_b32_e32 v5, 0xff, v15
	ds_load_b32 v2, v4
	s_wait_dscnt 0x0
	v_cndmask_b32_e32 v3, 0, v2, vcc_lo
	v_cmp_eq_u64_e32 vcc_lo, 0, v[4:5]
	s_delay_alu instid0(VALU_DEP_2) | instskip(NEXT) | instid1(VALU_DEP_1)
	v_add_nc_u32_e32 v3, v3, v12
	v_cndmask_b32_e64 v2, v3, v2, s10
	s_delay_alu instid0(VALU_DEP_1) | instskip(NEXT) | instid1(VALU_DEP_1)
	v_cndmask_b32_e32 v3, 0, v2, vcc_lo
	v_add_nc_u32_e32 v3, v3, v14
	s_delay_alu instid0(VALU_DEP_1) | instskip(NEXT) | instid1(VALU_DEP_1)
	v_cndmask_b32_e64 v4, 0, v3, s0
	v_add_nc_u32_e32 v4, v4, v36
	s_delay_alu instid0(VALU_DEP_1) | instskip(NEXT) | instid1(VALU_DEP_1)
	v_cndmask_b32_e64 v5, 0, v4, s1
	;; [unrolled: 3-line block ×10, first 2 shown]
	v_add_nc_u32_e32 v13, v13, v18
	s_branch .LBB1752_113
.LBB1752_158:
	s_cmp_eq_u64 s[24:25], 0
	v_mov_b32_e32 v41, s33
	s_cselect_b32 s0, -1, 0
	s_cmp_eq_u64 s[22:23], 0
	s_cselect_b32 s1, -1, 0
	s_delay_alu instid0(SALU_CYCLE_1) | instskip(NEXT) | instid1(SALU_CYCLE_1)
	s_or_b32 s0, s0, s1
	s_and_b32 vcc_lo, exec_lo, s0
	s_cbranch_vccnz .LBB1752_160
; %bb.159:
	v_mov_b32_e32 v2, 0
	global_load_b32 v41, v2, s[22:23]
.LBB1752_160:
	s_mov_b64 s[10:11], 0x100000000
	v_or3_b32 v3, v40, v27, v29
	v_cmp_gt_u64_e32 vcc_lo, s[10:11], v[36:37]
	v_cmp_gt_u64_e64 s0, s[10:11], v[34:35]
	v_cmp_gt_u64_e64 s9, s[10:11], v[38:39]
	;; [unrolled: 1-line block ×6, first 2 shown]
	s_wait_xcnt 0x0
	v_dual_cndmask_b32 v2, 0, v14, vcc_lo :: v_dual_bitop2_b32 v1, 56, v1 bitop3:0x40
	v_cmp_gt_u64_e64 s5, s[10:11], v[24:25]
	v_cmp_gt_u64_e64 s6, s[10:11], v[22:23]
	;; [unrolled: 1-line block ×3, first 2 shown]
	s_delay_alu instid0(VALU_DEP_4)
	v_add_nc_u32_e32 v2, v2, v36
	v_or3_b32 v3, v3, v31, v33
	v_cmp_gt_u64_e64 s8, s[10:11], v[18:19]
	v_lshl_add_u32 v1, v0, 3, v1
	s_mov_b32 s10, exec_lo
	v_cndmask_b32_e64 v2, 0, v2, s0
	v_or3_b32 v3, v3, v35, v37
	s_delay_alu instid0(VALU_DEP_2) | instskip(NEXT) | instid1(VALU_DEP_2)
	v_add_nc_u32_e32 v2, v2, v34
	v_or3_b32 v3, v39, v17, v3
	s_delay_alu instid0(VALU_DEP_2) | instskip(NEXT) | instid1(VALU_DEP_2)
	v_cndmask_b32_e64 v2, 0, v2, s1
	v_and_b32_e32 v3, 0xff, v3
	s_delay_alu instid0(VALU_DEP_2) | instskip(NEXT) | instid1(VALU_DEP_1)
	v_add_nc_u32_e32 v2, v2, v32
	v_cndmask_b32_e64 v2, 0, v2, s2
	s_delay_alu instid0(VALU_DEP_1) | instskip(NEXT) | instid1(VALU_DEP_1)
	v_add_nc_u32_e32 v2, v2, v30
	v_cndmask_b32_e64 v2, 0, v2, s3
	s_delay_alu instid0(VALU_DEP_1) | instskip(NEXT) | instid1(VALU_DEP_1)
	;; [unrolled: 3-line block ×7, first 2 shown]
	v_dual_add_nc_u32 v4, v2, v18 :: v_dual_mov_b32 v2, 0
	v_cndmask_b32_e64 v4, 0, v4, s9
	s_delay_alu instid0(VALU_DEP_2) | instskip(NEXT) | instid1(VALU_DEP_1)
	v_cmp_eq_u64_e64 s9, 0, v[2:3]
	v_dual_add_nc_u32 v4, v4, v38 :: v_dual_cndmask_b32 v5, 1, v15, s9
	ds_store_b32 v1, v4
	ds_store_b8 v1, v5 offset:4
	s_wait_loadcnt_dscnt 0x0
	s_barrier_signal -1
	s_barrier_wait -1
	v_cmpx_gt_u32_e32 32, v0
	s_cbranch_execz .LBB1752_170
; %bb.161:
	v_dual_lshlrev_b32 v1, 1, v0 :: v_dual_lshlrev_b32 v2, 6, v0
	s_mov_b32 s11, exec_lo
	s_delay_alu instid0(VALU_DEP_1) | instskip(NEXT) | instid1(VALU_DEP_1)
	v_and_b32_e32 v1, 0x1f8, v1
	v_add_nc_u32_e32 v1, v1, v2
	ds_load_u8 v12, v1 offset:12
	ds_load_b64 v[2:3], v1
	ds_load_2addr_b32 v[6:7], v1 offset0:2 offset1:4
	ds_load_u8 v13, v1 offset:20
	ds_load_u8 v17, v1 offset:28
	ds_load_u8 v19, v1 offset:36
	ds_load_u8 v21, v1 offset:44
	ds_load_u8 v23, v1 offset:52
	ds_load_b32 v25, v1 offset:56
	s_wait_dscnt 0x8
	v_cmp_eq_u16_e64 s9, 0, v12
	s_wait_dscnt 0x7
	s_delay_alu instid0(VALU_DEP_1)
	v_cndmask_b32_e64 v10, 0, v2, s9
	ds_load_2addr_b32 v[8:9], v1 offset0:6 offset1:8
	s_wait_dscnt 0x6
	v_cmp_eq_u16_e64 s9, 0, v13
	v_add_nc_u32_e32 v6, v10, v6
	ds_load_2addr_b32 v[10:11], v1 offset0:10 offset1:12
	v_cndmask_b32_e64 v6, 0, v6, s9
	s_wait_dscnt 0x6
	v_cmp_eq_u16_e64 s9, 0, v17
	s_delay_alu instid0(VALU_DEP_2) | instskip(NEXT) | instid1(VALU_DEP_1)
	v_dual_add_nc_u32 v6, v6, v7 :: v_dual_bitop2_b32 v7, v13, v12 bitop3:0x54
	v_cndmask_b32_e64 v6, 0, v6, s9
	s_wait_dscnt 0x5
	v_cmp_eq_u16_e64 s9, 0, v19
	s_delay_alu instid0(VALU_DEP_3)
	v_bitop3_b16 v7, v7, v19, v17 bitop3:0xfe
	s_wait_dscnt 0x1
	v_add_nc_u32_e32 v6, v6, v8
	ds_load_u8 v8, v1 offset:60
	v_bitop3_b16 v7, v7, v23, v21 bitop3:0xfe
	v_cndmask_b32_e64 v6, 0, v6, s9
	v_cmp_eq_u16_e64 s9, 0, v21
	s_delay_alu instid0(VALU_DEP_2) | instskip(NEXT) | instid1(VALU_DEP_1)
	v_add_nc_u32_e32 v6, v6, v9
	v_dual_cndmask_b32 v9, 0, v6, s9 :: v_dual_bitop2_b32 v6, 1, v3 bitop3:0x40
	v_cmp_eq_u16_e64 s9, 0, v7
	s_wait_dscnt 0x0
	s_delay_alu instid0(VALU_DEP_2) | instskip(NEXT) | instid1(VALU_DEP_2)
	v_dual_add_nc_u32 v9, v9, v10 :: v_dual_bitop2_b32 v10, 1, v8 bitop3:0x40
	v_cndmask_b32_e64 v7, 1, v6, s9
	v_cmp_eq_u16_e64 s9, 0, v23
	s_delay_alu instid0(VALU_DEP_1) | instskip(NEXT) | instid1(VALU_DEP_4)
	v_cndmask_b32_e64 v9, 0, v9, s9
	v_cmp_eq_u32_e64 s9, 1, v10
	s_delay_alu instid0(VALU_DEP_2) | instskip(NEXT) | instid1(VALU_DEP_2)
	v_add_nc_u32_e32 v9, v9, v11
	v_cndmask_b32_e64 v10, v7, 1, s9
	v_cmp_eq_u16_e64 s9, 0, v8
	v_and_b32_e32 v7, 0xffffff00, v3
	s_delay_alu instid0(VALU_DEP_3) | instskip(NEXT) | instid1(VALU_DEP_3)
	v_and_b32_e32 v11, 0xffff, v10
	v_cndmask_b32_e64 v8, 0, v9, s9
	v_mbcnt_lo_u32_b32 v9, -1, 0
	s_delay_alu instid0(VALU_DEP_2) | instskip(NEXT) | instid1(VALU_DEP_2)
	v_dual_add_nc_u32 v8, v8, v25 :: v_dual_bitop2_b32 v12, v7, v11 bitop3:0x54
	v_and_b32_e32 v11, 15, v9
	s_delay_alu instid0(VALU_DEP_2) | instskip(NEXT) | instid1(VALU_DEP_3)
	v_mov_b32_dpp v17, v12 row_shr:1 row_mask:0xf bank_mask:0xf
	v_mov_b32_dpp v13, v8 row_shr:1 row_mask:0xf bank_mask:0xf
	s_delay_alu instid0(VALU_DEP_3)
	v_cmpx_ne_u32_e32 0, v11
	s_cbranch_execz .LBB1752_163
; %bb.162:
	v_and_b32_e32 v12, 1, v10
	v_and_b32_e32 v17, 1, v17
	s_delay_alu instid0(VALU_DEP_2) | instskip(NEXT) | instid1(VALU_DEP_1)
	v_cmp_eq_u32_e64 s9, 1, v12
	v_cndmask_b32_e64 v17, v17, 1, s9
	v_cmp_eq_u16_e64 s9, 0, v10
	s_delay_alu instid0(VALU_DEP_2) | instskip(NEXT) | instid1(VALU_DEP_1)
	v_and_b32_e32 v12, 0xffff, v17
	v_dual_cndmask_b32 v10, 0, v13, s9 :: v_dual_bitop2_b32 v12, v7, v12 bitop3:0x54
	s_delay_alu instid0(VALU_DEP_1)
	v_dual_add_nc_u32 v8, v10, v8 :: v_dual_mov_b32 v10, v17
.LBB1752_163:
	s_or_b32 exec_lo, exec_lo, s11
	s_delay_alu instid0(VALU_DEP_1) | instskip(NEXT) | instid1(VALU_DEP_3)
	v_mov_b32_dpp v13, v8 row_shr:2 row_mask:0xf bank_mask:0xf
	v_mov_b32_dpp v17, v12 row_shr:2 row_mask:0xf bank_mask:0xf
	s_mov_b32 s11, exec_lo
	v_cmpx_lt_u32_e32 1, v11
	s_cbranch_execz .LBB1752_165
; %bb.164:
	v_and_b32_e32 v12, 1, v10
	v_and_b32_e32 v17, 1, v17
	s_delay_alu instid0(VALU_DEP_2) | instskip(NEXT) | instid1(VALU_DEP_1)
	v_cmp_eq_u32_e64 s9, 1, v12
	v_cndmask_b32_e64 v17, v17, 1, s9
	v_cmp_eq_u16_e64 s9, 0, v10
	s_delay_alu instid0(VALU_DEP_2) | instskip(NEXT) | instid1(VALU_DEP_1)
	v_and_b32_e32 v12, 0xffff, v17
	v_dual_cndmask_b32 v10, 0, v13, s9 :: v_dual_bitop2_b32 v12, v7, v12 bitop3:0x54
	s_delay_alu instid0(VALU_DEP_1)
	v_dual_add_nc_u32 v8, v10, v8 :: v_dual_mov_b32 v10, v17
.LBB1752_165:
	s_or_b32 exec_lo, exec_lo, s11
	s_delay_alu instid0(VALU_DEP_1) | instskip(NEXT) | instid1(VALU_DEP_3)
	v_mov_b32_dpp v13, v8 row_shr:4 row_mask:0xf bank_mask:0xf
	v_mov_b32_dpp v17, v12 row_shr:4 row_mask:0xf bank_mask:0xf
	s_mov_b32 s11, exec_lo
	v_cmpx_lt_u32_e32 3, v11
	;; [unrolled: 20-line block ×3, first 2 shown]
	s_cbranch_execz .LBB1752_169
; %bb.168:
	v_and_b32_e32 v11, 1, v10
	v_and_b32_e32 v12, 1, v17
	s_delay_alu instid0(VALU_DEP_2) | instskip(NEXT) | instid1(VALU_DEP_1)
	v_cmp_eq_u32_e64 s9, 1, v11
	v_cndmask_b32_e64 v11, v12, 1, s9
	v_cmp_eq_u16_e64 s9, 0, v10
	s_delay_alu instid0(VALU_DEP_2) | instskip(NEXT) | instid1(VALU_DEP_1)
	v_and_b32_e32 v12, 0xffff, v11
	v_dual_cndmask_b32 v10, 0, v13, s9 :: v_dual_bitop2_b32 v12, v7, v12 bitop3:0x54
	s_delay_alu instid0(VALU_DEP_1)
	v_dual_add_nc_u32 v8, v10, v8 :: v_dual_mov_b32 v10, v11
.LBB1752_169:
	s_or_b32 exec_lo, exec_lo, s11
	ds_swizzle_b32 v11, v12 offset:swizzle(BROADCAST,32,15)
	ds_swizzle_b32 v12, v8 offset:swizzle(BROADCAST,32,15)
	v_and_b32_e32 v13, 1, v10
	v_bfe_i32 v19, v9, 4, 1
	v_and_b32_e32 v3, 0xff, v3
	; wave barrier
	s_delay_alu instid0(VALU_DEP_3) | instskip(SKIP_2) | instid1(VALU_DEP_1)
	v_cmp_eq_u32_e64 s9, 1, v13
	s_wait_dscnt 0x1
	v_dual_add_nc_u32 v13, -1, v9 :: v_dual_bitop2_b32 v11, 1, v11 bitop3:0x40
	v_cndmask_b32_e64 v11, v11, 1, s9
	v_and_b32_e32 v17, 16, v9
	v_cmp_eq_u16_e64 s9, 0, v10
	s_wait_dscnt 0x0
	s_delay_alu instid0(VALU_DEP_1) | instskip(NEXT) | instid1(VALU_DEP_3)
	v_cndmask_b32_e64 v12, 0, v12, s9
	v_cmp_eq_u32_e64 s9, 0, v17
	s_delay_alu instid0(VALU_DEP_1) | instskip(SKIP_1) | instid1(VALU_DEP_4)
	v_cndmask_b32_e64 v10, v11, v10, s9
	v_cmp_gt_i32_e64 s9, 0, v13
	v_and_b32_e32 v11, v19, v12
	s_delay_alu instid0(VALU_DEP_3) | instskip(NEXT) | instid1(VALU_DEP_2)
	v_and_b32_e32 v10, 0xffff, v10
	v_dual_cndmask_b32 v9, v13, v9, s9 :: v_dual_add_nc_u32 v8, v11, v8
	v_cmp_eq_u16_e64 s9, 0, v3
	s_delay_alu instid0(VALU_DEP_2)
	v_lshlrev_b32_e32 v9, 2, v9
	ds_bpermute_b32 v8, v9, v8
	s_wait_dscnt 0x0
	v_dual_cndmask_b32 v3, 0, v8, s9 :: v_dual_bitop2_b32 v7, v7, v10 bitop3:0x54
	ds_bpermute_b32 v7, v9, v7
	v_cmp_eq_u32_e64 s9, 1, v6
	s_wait_dscnt 0x0
	v_dual_add_nc_u32 v2, v3, v2 :: v_dual_bitop2_b32 v7, 1, v7 bitop3:0x40
	s_delay_alu instid0(VALU_DEP_1) | instskip(SKIP_1) | instid1(VALU_DEP_1)
	v_cndmask_b32_e64 v3, v7, 1, s9
	v_cmp_eq_u32_e64 s9, 0, v0
	v_dual_cndmask_b32 v4, v2, v4, s9 :: v_dual_cndmask_b32 v6, v3, v5, s9
	ds_store_b32 v1, v4
	ds_store_b8 v1, v6 offset:4
	; wave barrier
	ds_load_u8 v7, v1 offset:12
	ds_load_2addr_b32 v[2:3], v1 offset0:2 offset1:4
	ds_load_u8 v8, v1 offset:20
	ds_load_u8 v9, v1 offset:28
	;; [unrolled: 1-line block ×5, first 2 shown]
	ds_load_b32 v13, v1 offset:56
	ds_load_u8 v17, v1 offset:60
	s_wait_dscnt 0x8
	v_cmp_eq_u16_e64 s9, 0, v7
	s_delay_alu instid0(VALU_DEP_1) | instskip(SKIP_4) | instid1(VALU_DEP_1)
	v_cndmask_b32_e64 v19, 0, v4, s9
	ds_load_2addr_b32 v[4:5], v1 offset0:6 offset1:8
	s_wait_dscnt 0x7
	v_cmp_eq_u16_e64 s9, 0, v8
	v_add_nc_u32_e32 v19, v19, v2
	v_cndmask_b32_e64 v2, 0, v19, s9
	s_wait_dscnt 0x6
	v_cmp_eq_u16_e64 s9, 0, v9
	s_delay_alu instid0(VALU_DEP_2)
	v_add_nc_u32_e32 v21, v2, v3
	ds_load_2addr_b32 v[2:3], v1 offset0:10 offset1:12
	v_cndmask_b32_e64 v23, 0, v21, s9
	s_wait_dscnt 0x6
	v_cmp_eq_u16_e64 s9, 0, v10
	ds_store_2addr_b32 v1, v19, v21 offset0:2 offset1:4
	s_wait_dscnt 0x2
	v_dual_add_nc_u32 v4, v23, v4 :: v_dual_bitop2_b32 v7, 1, v7 bitop3:0x40
	s_delay_alu instid0(VALU_DEP_1) | instskip(SKIP_1) | instid1(VALU_DEP_3)
	v_cndmask_b32_e64 v23, 0, v4, s9
	v_and_b32_e32 v8, 1, v8
	v_cmp_eq_u32_e64 s9, 1, v7
	v_and_b32_e32 v7, 1, v9
	s_delay_alu instid0(VALU_DEP_4) | instskip(NEXT) | instid1(VALU_DEP_3)
	v_add_nc_u32_e32 v5, v23, v5
	v_cndmask_b32_e64 v6, v6, 1, s9
	v_cmp_eq_u32_e64 s9, 1, v8
	s_delay_alu instid0(VALU_DEP_1) | instskip(SKIP_1) | instid1(VALU_DEP_1)
	v_cndmask_b32_e64 v8, v6, 1, s9
	v_cmp_eq_u16_e64 s9, 0, v11
	v_dual_cndmask_b32 v10, 0, v5, s9 :: v_dual_bitop2_b32 v9, 1, v10 bitop3:0x40
	s_wait_dscnt 0x1
	s_delay_alu instid0(VALU_DEP_1) | instskip(SKIP_2) | instid1(VALU_DEP_2)
	v_add_nc_u32_e32 v2, v10, v2
	v_cmp_eq_u32_e64 s9, 1, v7
	v_and_b32_e32 v10, 1, v12
	v_cndmask_b32_e64 v7, v8, 1, s9
	v_cmp_eq_u32_e64 s9, 1, v9
	s_delay_alu instid0(VALU_DEP_1) | instskip(SKIP_1) | instid1(VALU_DEP_1)
	v_cndmask_b32_e64 v9, v7, 1, s9
	v_cmp_eq_u16_e64 s9, 0, v12
	v_dual_cndmask_b32 v12, 0, v2, s9 :: v_dual_bitop2_b32 v11, 1, v11 bitop3:0x40
	s_delay_alu instid0(VALU_DEP_1) | instskip(NEXT) | instid1(VALU_DEP_2)
	v_cmp_eq_u32_e64 s9, 1, v11
	v_add_nc_u32_e32 v3, v12, v3
	s_delay_alu instid0(VALU_DEP_2)
	v_cndmask_b32_e64 v11, v9, 1, s9
	v_cmp_eq_u32_e64 s9, 1, v10
	ds_store_2addr_b32 v1, v4, v5 offset0:6 offset1:8
	ds_store_2addr_b32 v1, v2, v3 offset0:10 offset1:12
	v_cndmask_b32_e64 v10, v11, 1, s9
	v_cmp_eq_u16_e64 s9, 0, v17
	s_delay_alu instid0(VALU_DEP_1) | instskip(NEXT) | instid1(VALU_DEP_1)
	v_dual_cndmask_b32 v12, 0, v3, s9 :: v_dual_bitop2_b32 v23, 1, v17 bitop3:0x40
	v_cmp_eq_u32_e64 s9, 1, v23
	s_delay_alu instid0(VALU_DEP_2) | instskip(NEXT) | instid1(VALU_DEP_2)
	v_add_nc_u32_e32 v2, v12, v13
	v_cndmask_b32_e64 v17, v10, 1, s9
	ds_store_b8 v1, v6 offset:12
	ds_store_b8 v1, v8 offset:20
	;; [unrolled: 1-line block ×6, first 2 shown]
	ds_store_b32 v1, v2 offset:56
	ds_store_b8 v1, v17 offset:60
.LBB1752_170:
	s_or_b32 exec_lo, exec_lo, s10
	v_cmp_eq_u32_e64 s9, 0, v0
	v_mov_b32_e32 v2, v41
	s_mov_b32 s11, exec_lo
	s_wait_dscnt 0x0
	s_barrier_signal -1
	s_barrier_wait -1
	v_cmpx_ne_u32_e32 0, v0
	s_cbranch_execz .LBB1752_172
; %bb.171:
	v_add_nc_u32_e32 v1, -1, v0
	s_delay_alu instid0(VALU_DEP_1) | instskip(NEXT) | instid1(VALU_DEP_1)
	v_lshrrev_b32_e32 v2, 2, v1
	v_and_b32_e32 v2, 0x3ffffff8, v2
	s_delay_alu instid0(VALU_DEP_1) | instskip(SKIP_4) | instid1(VALU_DEP_1)
	v_lshl_add_u32 v1, v1, 3, v2
	ds_load_u8 v2, v1 offset:4
	ds_load_b32 v1, v1
	s_wait_dscnt 0x1
	v_cmp_eq_u16_e64 s10, 0, v2
	v_cndmask_b32_e64 v2, 0, v41, s10
	s_wait_dscnt 0x0
	s_delay_alu instid0(VALU_DEP_1)
	v_add_nc_u32_e32 v2, v2, v1
.LBB1752_172:
	s_or_b32 exec_lo, exec_lo, s11
	v_and_b32_e32 v39, 0xff, v15
	v_mov_b32_e32 v38, 0
	s_delay_alu instid0(VALU_DEP_1) | instskip(NEXT) | instid1(VALU_DEP_1)
	v_cmp_eq_u64_e64 s10, 0, v[38:39]
	v_cndmask_b32_e64 v1, 0, v2, s10
	s_delay_alu instid0(VALU_DEP_1) | instskip(NEXT) | instid1(VALU_DEP_1)
	v_add_nc_u32_e32 v3, v1, v14
	v_cndmask_b32_e32 v1, 0, v3, vcc_lo
	s_delay_alu instid0(VALU_DEP_1) | instskip(NEXT) | instid1(VALU_DEP_1)
	v_add_nc_u32_e32 v4, v1, v36
	v_cndmask_b32_e64 v1, 0, v4, s0
	s_delay_alu instid0(VALU_DEP_1) | instskip(NEXT) | instid1(VALU_DEP_1)
	v_add_nc_u32_e32 v5, v1, v34
	v_cndmask_b32_e64 v1, 0, v5, s1
	;; [unrolled: 3-line block ×9, first 2 shown]
	s_delay_alu instid0(VALU_DEP_1)
	v_add_nc_u32_e32 v13, v1, v18
	s_and_saveexec_b32 s0, s9
	s_cbranch_execz .LBB1752_174
; %bb.173:
	ds_load_u8 v1, v38 offset:2100
	ds_load_b32 v17, v38 offset:2096
	v_mov_b32_e32 v15, v38
	s_add_nc_u64 s[2:3], s[16:17], 0x200
	v_dual_mov_b32 v20, 2 :: v_dual_mov_b32 v21, v38
	s_wait_dscnt 0x1
	v_and_b32_e32 v14, 0xffff, v1
	s_delay_alu instid0(VALU_DEP_1) | instskip(SKIP_3) | instid1(VALU_DEP_2)
	v_cmp_eq_u64_e32 vcc_lo, 0, v[14:15]
	v_dual_cndmask_b32 v1, 0, v41, vcc_lo :: v_dual_mov_b32 v19, v14
	v_mov_b64_e32 v[14:15], s[2:3]
	s_wait_dscnt 0x0
	v_add_nc_u32_e32 v18, v1, v17
	;;#ASMSTART
	global_store_b128 v[14:15], v[18:21] off scope:SCOPE_DEV	
s_wait_storecnt 0x0
	;;#ASMEND
.LBB1752_174:
	s_or_b32 exec_lo, exec_lo, s0
	s_add_nc_u64 s[0:1], s[14:15], s[26:27]
	s_and_b32 vcc_lo, exec_lo, s19
	s_add_nc_u64 s[0:1], s[0:1], s[20:21]
	s_cbranch_vccnz .LBB1752_114
.LBB1752_175:
	s_mov_b32 s2, 0
                                        ; implicit-def: $vgpr15
	s_cbranch_execz .LBB1752_177
; %bb.176:
	v_mul_u32_u24_e32 v1, 48, v0
	v_mul_i32_i24_e32 v14, 0xffffffd4, v0
	s_wait_storecnt_dscnt 0x0
	s_barrier_signal -1
	s_barrier_wait -1
	ds_store_b128 v1, v[2:5]
	ds_store_b128 v1, v[6:9] offset:16
	ds_store_b128 v1, v[10:13] offset:32
	v_mad_u32_u24 v1, v0, 48, v14
	s_wait_dscnt 0x0
	s_barrier_signal -1
	s_barrier_wait -1
	ds_load_2addr_stride64_b32 v[2:3], v1 offset1:4
	ds_load_2addr_stride64_b32 v[4:5], v1 offset0:8 offset1:12
	ds_load_2addr_stride64_b32 v[6:7], v1 offset0:16 offset1:20
	;; [unrolled: 1-line block ×5, first 2 shown]
	s_or_b32 s2, s2, exec_lo
	s_wait_dscnt 0x5
	s_clause 0x1
	flat_store_b32 v0, v2, s[0:1] scale_offset
	flat_store_b32 v0, v3, s[0:1] offset:1024 scale_offset
	s_wait_dscnt 0x6
	s_clause 0x1
	flat_store_b32 v0, v4, s[0:1] offset:2048 scale_offset
	flat_store_b32 v0, v5, s[0:1] offset:3072 scale_offset
	s_wait_dscnt 0x7
	s_clause 0x1
	flat_store_b32 v0, v6, s[0:1] offset:4096 scale_offset
	;; [unrolled: 4-line block ×4, first 2 shown]
	flat_store_b32 v0, v11, s[0:1] offset:9216 scale_offset
	s_wait_dscnt 0xa
	flat_store_b32 v0, v14, s[0:1] offset:10240 scale_offset
.LBB1752_177:
	s_wait_xcnt 0x0
	s_delay_alu instid0(VALU_DEP_1)
	s_and_saveexec_b32 s3, s2
	s_cbranch_execz .LBB1752_179
; %bb.178:
	s_wait_dscnt 0x0
	flat_store_b32 v0, v15, s[0:1] offset:11264 scale_offset
	s_endpgm
.LBB1752_179:
	s_endpgm
	.section	.rodata,"a",@progbits
	.p2align	6, 0x0
	.amdhsa_kernel _ZN7rocprim17ROCPRIM_400000_NS6detail17trampoline_kernelINS0_14default_configENS1_27scan_by_key_config_selectorIiiEEZZNS1_16scan_by_key_implILNS1_25lookback_scan_determinismE0ELb1ES3_N6thrust23THRUST_200600_302600_NS6detail15normal_iteratorINS9_10device_ptrIiEEEENSB_INSC_IjEEEESE_iNS9_4plusIvEENS9_8equal_toIvEEiEE10hipError_tPvRmT2_T3_T4_T5_mT6_T7_P12ihipStream_tbENKUlT_T0_E_clISt17integral_constantIbLb0EES11_EEDaSW_SX_EUlSW_E_NS1_11comp_targetILNS1_3genE0ELNS1_11target_archE4294967295ELNS1_3gpuE0ELNS1_3repE0EEENS1_30default_config_static_selectorELNS0_4arch9wavefront6targetE0EEEvT1_
		.amdhsa_group_segment_fixed_size 14336
		.amdhsa_private_segment_fixed_size 0
		.amdhsa_kernarg_size 112
		.amdhsa_user_sgpr_count 2
		.amdhsa_user_sgpr_dispatch_ptr 0
		.amdhsa_user_sgpr_queue_ptr 0
		.amdhsa_user_sgpr_kernarg_segment_ptr 1
		.amdhsa_user_sgpr_dispatch_id 0
		.amdhsa_user_sgpr_kernarg_preload_length 0
		.amdhsa_user_sgpr_kernarg_preload_offset 0
		.amdhsa_user_sgpr_private_segment_size 0
		.amdhsa_wavefront_size32 1
		.amdhsa_uses_dynamic_stack 0
		.amdhsa_enable_private_segment 0
		.amdhsa_system_sgpr_workgroup_id_x 1
		.amdhsa_system_sgpr_workgroup_id_y 0
		.amdhsa_system_sgpr_workgroup_id_z 0
		.amdhsa_system_sgpr_workgroup_info 0
		.amdhsa_system_vgpr_workitem_id 0
		.amdhsa_next_free_vgpr 62
		.amdhsa_next_free_sgpr 37
		.amdhsa_named_barrier_count 0
		.amdhsa_reserve_vcc 1
		.amdhsa_float_round_mode_32 0
		.amdhsa_float_round_mode_16_64 0
		.amdhsa_float_denorm_mode_32 3
		.amdhsa_float_denorm_mode_16_64 3
		.amdhsa_fp16_overflow 0
		.amdhsa_memory_ordered 1
		.amdhsa_forward_progress 1
		.amdhsa_inst_pref_size 95
		.amdhsa_round_robin_scheduling 0
		.amdhsa_exception_fp_ieee_invalid_op 0
		.amdhsa_exception_fp_denorm_src 0
		.amdhsa_exception_fp_ieee_div_zero 0
		.amdhsa_exception_fp_ieee_overflow 0
		.amdhsa_exception_fp_ieee_underflow 0
		.amdhsa_exception_fp_ieee_inexact 0
		.amdhsa_exception_int_div_zero 0
	.end_amdhsa_kernel
	.section	.text._ZN7rocprim17ROCPRIM_400000_NS6detail17trampoline_kernelINS0_14default_configENS1_27scan_by_key_config_selectorIiiEEZZNS1_16scan_by_key_implILNS1_25lookback_scan_determinismE0ELb1ES3_N6thrust23THRUST_200600_302600_NS6detail15normal_iteratorINS9_10device_ptrIiEEEENSB_INSC_IjEEEESE_iNS9_4plusIvEENS9_8equal_toIvEEiEE10hipError_tPvRmT2_T3_T4_T5_mT6_T7_P12ihipStream_tbENKUlT_T0_E_clISt17integral_constantIbLb0EES11_EEDaSW_SX_EUlSW_E_NS1_11comp_targetILNS1_3genE0ELNS1_11target_archE4294967295ELNS1_3gpuE0ELNS1_3repE0EEENS1_30default_config_static_selectorELNS0_4arch9wavefront6targetE0EEEvT1_,"axG",@progbits,_ZN7rocprim17ROCPRIM_400000_NS6detail17trampoline_kernelINS0_14default_configENS1_27scan_by_key_config_selectorIiiEEZZNS1_16scan_by_key_implILNS1_25lookback_scan_determinismE0ELb1ES3_N6thrust23THRUST_200600_302600_NS6detail15normal_iteratorINS9_10device_ptrIiEEEENSB_INSC_IjEEEESE_iNS9_4plusIvEENS9_8equal_toIvEEiEE10hipError_tPvRmT2_T3_T4_T5_mT6_T7_P12ihipStream_tbENKUlT_T0_E_clISt17integral_constantIbLb0EES11_EEDaSW_SX_EUlSW_E_NS1_11comp_targetILNS1_3genE0ELNS1_11target_archE4294967295ELNS1_3gpuE0ELNS1_3repE0EEENS1_30default_config_static_selectorELNS0_4arch9wavefront6targetE0EEEvT1_,comdat
.Lfunc_end1752:
	.size	_ZN7rocprim17ROCPRIM_400000_NS6detail17trampoline_kernelINS0_14default_configENS1_27scan_by_key_config_selectorIiiEEZZNS1_16scan_by_key_implILNS1_25lookback_scan_determinismE0ELb1ES3_N6thrust23THRUST_200600_302600_NS6detail15normal_iteratorINS9_10device_ptrIiEEEENSB_INSC_IjEEEESE_iNS9_4plusIvEENS9_8equal_toIvEEiEE10hipError_tPvRmT2_T3_T4_T5_mT6_T7_P12ihipStream_tbENKUlT_T0_E_clISt17integral_constantIbLb0EES11_EEDaSW_SX_EUlSW_E_NS1_11comp_targetILNS1_3genE0ELNS1_11target_archE4294967295ELNS1_3gpuE0ELNS1_3repE0EEENS1_30default_config_static_selectorELNS0_4arch9wavefront6targetE0EEEvT1_, .Lfunc_end1752-_ZN7rocprim17ROCPRIM_400000_NS6detail17trampoline_kernelINS0_14default_configENS1_27scan_by_key_config_selectorIiiEEZZNS1_16scan_by_key_implILNS1_25lookback_scan_determinismE0ELb1ES3_N6thrust23THRUST_200600_302600_NS6detail15normal_iteratorINS9_10device_ptrIiEEEENSB_INSC_IjEEEESE_iNS9_4plusIvEENS9_8equal_toIvEEiEE10hipError_tPvRmT2_T3_T4_T5_mT6_T7_P12ihipStream_tbENKUlT_T0_E_clISt17integral_constantIbLb0EES11_EEDaSW_SX_EUlSW_E_NS1_11comp_targetILNS1_3genE0ELNS1_11target_archE4294967295ELNS1_3gpuE0ELNS1_3repE0EEENS1_30default_config_static_selectorELNS0_4arch9wavefront6targetE0EEEvT1_
                                        ; -- End function
	.set _ZN7rocprim17ROCPRIM_400000_NS6detail17trampoline_kernelINS0_14default_configENS1_27scan_by_key_config_selectorIiiEEZZNS1_16scan_by_key_implILNS1_25lookback_scan_determinismE0ELb1ES3_N6thrust23THRUST_200600_302600_NS6detail15normal_iteratorINS9_10device_ptrIiEEEENSB_INSC_IjEEEESE_iNS9_4plusIvEENS9_8equal_toIvEEiEE10hipError_tPvRmT2_T3_T4_T5_mT6_T7_P12ihipStream_tbENKUlT_T0_E_clISt17integral_constantIbLb0EES11_EEDaSW_SX_EUlSW_E_NS1_11comp_targetILNS1_3genE0ELNS1_11target_archE4294967295ELNS1_3gpuE0ELNS1_3repE0EEENS1_30default_config_static_selectorELNS0_4arch9wavefront6targetE0EEEvT1_.num_vgpr, 62
	.set _ZN7rocprim17ROCPRIM_400000_NS6detail17trampoline_kernelINS0_14default_configENS1_27scan_by_key_config_selectorIiiEEZZNS1_16scan_by_key_implILNS1_25lookback_scan_determinismE0ELb1ES3_N6thrust23THRUST_200600_302600_NS6detail15normal_iteratorINS9_10device_ptrIiEEEENSB_INSC_IjEEEESE_iNS9_4plusIvEENS9_8equal_toIvEEiEE10hipError_tPvRmT2_T3_T4_T5_mT6_T7_P12ihipStream_tbENKUlT_T0_E_clISt17integral_constantIbLb0EES11_EEDaSW_SX_EUlSW_E_NS1_11comp_targetILNS1_3genE0ELNS1_11target_archE4294967295ELNS1_3gpuE0ELNS1_3repE0EEENS1_30default_config_static_selectorELNS0_4arch9wavefront6targetE0EEEvT1_.num_agpr, 0
	.set _ZN7rocprim17ROCPRIM_400000_NS6detail17trampoline_kernelINS0_14default_configENS1_27scan_by_key_config_selectorIiiEEZZNS1_16scan_by_key_implILNS1_25lookback_scan_determinismE0ELb1ES3_N6thrust23THRUST_200600_302600_NS6detail15normal_iteratorINS9_10device_ptrIiEEEENSB_INSC_IjEEEESE_iNS9_4plusIvEENS9_8equal_toIvEEiEE10hipError_tPvRmT2_T3_T4_T5_mT6_T7_P12ihipStream_tbENKUlT_T0_E_clISt17integral_constantIbLb0EES11_EEDaSW_SX_EUlSW_E_NS1_11comp_targetILNS1_3genE0ELNS1_11target_archE4294967295ELNS1_3gpuE0ELNS1_3repE0EEENS1_30default_config_static_selectorELNS0_4arch9wavefront6targetE0EEEvT1_.numbered_sgpr, 37
	.set _ZN7rocprim17ROCPRIM_400000_NS6detail17trampoline_kernelINS0_14default_configENS1_27scan_by_key_config_selectorIiiEEZZNS1_16scan_by_key_implILNS1_25lookback_scan_determinismE0ELb1ES3_N6thrust23THRUST_200600_302600_NS6detail15normal_iteratorINS9_10device_ptrIiEEEENSB_INSC_IjEEEESE_iNS9_4plusIvEENS9_8equal_toIvEEiEE10hipError_tPvRmT2_T3_T4_T5_mT6_T7_P12ihipStream_tbENKUlT_T0_E_clISt17integral_constantIbLb0EES11_EEDaSW_SX_EUlSW_E_NS1_11comp_targetILNS1_3genE0ELNS1_11target_archE4294967295ELNS1_3gpuE0ELNS1_3repE0EEENS1_30default_config_static_selectorELNS0_4arch9wavefront6targetE0EEEvT1_.num_named_barrier, 0
	.set _ZN7rocprim17ROCPRIM_400000_NS6detail17trampoline_kernelINS0_14default_configENS1_27scan_by_key_config_selectorIiiEEZZNS1_16scan_by_key_implILNS1_25lookback_scan_determinismE0ELb1ES3_N6thrust23THRUST_200600_302600_NS6detail15normal_iteratorINS9_10device_ptrIiEEEENSB_INSC_IjEEEESE_iNS9_4plusIvEENS9_8equal_toIvEEiEE10hipError_tPvRmT2_T3_T4_T5_mT6_T7_P12ihipStream_tbENKUlT_T0_E_clISt17integral_constantIbLb0EES11_EEDaSW_SX_EUlSW_E_NS1_11comp_targetILNS1_3genE0ELNS1_11target_archE4294967295ELNS1_3gpuE0ELNS1_3repE0EEENS1_30default_config_static_selectorELNS0_4arch9wavefront6targetE0EEEvT1_.private_seg_size, 0
	.set _ZN7rocprim17ROCPRIM_400000_NS6detail17trampoline_kernelINS0_14default_configENS1_27scan_by_key_config_selectorIiiEEZZNS1_16scan_by_key_implILNS1_25lookback_scan_determinismE0ELb1ES3_N6thrust23THRUST_200600_302600_NS6detail15normal_iteratorINS9_10device_ptrIiEEEENSB_INSC_IjEEEESE_iNS9_4plusIvEENS9_8equal_toIvEEiEE10hipError_tPvRmT2_T3_T4_T5_mT6_T7_P12ihipStream_tbENKUlT_T0_E_clISt17integral_constantIbLb0EES11_EEDaSW_SX_EUlSW_E_NS1_11comp_targetILNS1_3genE0ELNS1_11target_archE4294967295ELNS1_3gpuE0ELNS1_3repE0EEENS1_30default_config_static_selectorELNS0_4arch9wavefront6targetE0EEEvT1_.uses_vcc, 1
	.set _ZN7rocprim17ROCPRIM_400000_NS6detail17trampoline_kernelINS0_14default_configENS1_27scan_by_key_config_selectorIiiEEZZNS1_16scan_by_key_implILNS1_25lookback_scan_determinismE0ELb1ES3_N6thrust23THRUST_200600_302600_NS6detail15normal_iteratorINS9_10device_ptrIiEEEENSB_INSC_IjEEEESE_iNS9_4plusIvEENS9_8equal_toIvEEiEE10hipError_tPvRmT2_T3_T4_T5_mT6_T7_P12ihipStream_tbENKUlT_T0_E_clISt17integral_constantIbLb0EES11_EEDaSW_SX_EUlSW_E_NS1_11comp_targetILNS1_3genE0ELNS1_11target_archE4294967295ELNS1_3gpuE0ELNS1_3repE0EEENS1_30default_config_static_selectorELNS0_4arch9wavefront6targetE0EEEvT1_.uses_flat_scratch, 1
	.set _ZN7rocprim17ROCPRIM_400000_NS6detail17trampoline_kernelINS0_14default_configENS1_27scan_by_key_config_selectorIiiEEZZNS1_16scan_by_key_implILNS1_25lookback_scan_determinismE0ELb1ES3_N6thrust23THRUST_200600_302600_NS6detail15normal_iteratorINS9_10device_ptrIiEEEENSB_INSC_IjEEEESE_iNS9_4plusIvEENS9_8equal_toIvEEiEE10hipError_tPvRmT2_T3_T4_T5_mT6_T7_P12ihipStream_tbENKUlT_T0_E_clISt17integral_constantIbLb0EES11_EEDaSW_SX_EUlSW_E_NS1_11comp_targetILNS1_3genE0ELNS1_11target_archE4294967295ELNS1_3gpuE0ELNS1_3repE0EEENS1_30default_config_static_selectorELNS0_4arch9wavefront6targetE0EEEvT1_.has_dyn_sized_stack, 0
	.set _ZN7rocprim17ROCPRIM_400000_NS6detail17trampoline_kernelINS0_14default_configENS1_27scan_by_key_config_selectorIiiEEZZNS1_16scan_by_key_implILNS1_25lookback_scan_determinismE0ELb1ES3_N6thrust23THRUST_200600_302600_NS6detail15normal_iteratorINS9_10device_ptrIiEEEENSB_INSC_IjEEEESE_iNS9_4plusIvEENS9_8equal_toIvEEiEE10hipError_tPvRmT2_T3_T4_T5_mT6_T7_P12ihipStream_tbENKUlT_T0_E_clISt17integral_constantIbLb0EES11_EEDaSW_SX_EUlSW_E_NS1_11comp_targetILNS1_3genE0ELNS1_11target_archE4294967295ELNS1_3gpuE0ELNS1_3repE0EEENS1_30default_config_static_selectorELNS0_4arch9wavefront6targetE0EEEvT1_.has_recursion, 0
	.set _ZN7rocprim17ROCPRIM_400000_NS6detail17trampoline_kernelINS0_14default_configENS1_27scan_by_key_config_selectorIiiEEZZNS1_16scan_by_key_implILNS1_25lookback_scan_determinismE0ELb1ES3_N6thrust23THRUST_200600_302600_NS6detail15normal_iteratorINS9_10device_ptrIiEEEENSB_INSC_IjEEEESE_iNS9_4plusIvEENS9_8equal_toIvEEiEE10hipError_tPvRmT2_T3_T4_T5_mT6_T7_P12ihipStream_tbENKUlT_T0_E_clISt17integral_constantIbLb0EES11_EEDaSW_SX_EUlSW_E_NS1_11comp_targetILNS1_3genE0ELNS1_11target_archE4294967295ELNS1_3gpuE0ELNS1_3repE0EEENS1_30default_config_static_selectorELNS0_4arch9wavefront6targetE0EEEvT1_.has_indirect_call, 0
	.section	.AMDGPU.csdata,"",@progbits
; Kernel info:
; codeLenInByte = 12036
; TotalNumSgprs: 39
; NumVgprs: 62
; ScratchSize: 0
; MemoryBound: 0
; FloatMode: 240
; IeeeMode: 1
; LDSByteSize: 14336 bytes/workgroup (compile time only)
; SGPRBlocks: 0
; VGPRBlocks: 3
; NumSGPRsForWavesPerEU: 39
; NumVGPRsForWavesPerEU: 62
; NamedBarCnt: 0
; Occupancy: 16
; WaveLimiterHint : 1
; COMPUTE_PGM_RSRC2:SCRATCH_EN: 0
; COMPUTE_PGM_RSRC2:USER_SGPR: 2
; COMPUTE_PGM_RSRC2:TRAP_HANDLER: 0
; COMPUTE_PGM_RSRC2:TGID_X_EN: 1
; COMPUTE_PGM_RSRC2:TGID_Y_EN: 0
; COMPUTE_PGM_RSRC2:TGID_Z_EN: 0
; COMPUTE_PGM_RSRC2:TIDIG_COMP_CNT: 0
	.section	.text._ZN7rocprim17ROCPRIM_400000_NS6detail17trampoline_kernelINS0_14default_configENS1_27scan_by_key_config_selectorIiiEEZZNS1_16scan_by_key_implILNS1_25lookback_scan_determinismE0ELb1ES3_N6thrust23THRUST_200600_302600_NS6detail15normal_iteratorINS9_10device_ptrIiEEEENSB_INSC_IjEEEESE_iNS9_4plusIvEENS9_8equal_toIvEEiEE10hipError_tPvRmT2_T3_T4_T5_mT6_T7_P12ihipStream_tbENKUlT_T0_E_clISt17integral_constantIbLb0EES11_EEDaSW_SX_EUlSW_E_NS1_11comp_targetILNS1_3genE10ELNS1_11target_archE1201ELNS1_3gpuE5ELNS1_3repE0EEENS1_30default_config_static_selectorELNS0_4arch9wavefront6targetE0EEEvT1_,"axG",@progbits,_ZN7rocprim17ROCPRIM_400000_NS6detail17trampoline_kernelINS0_14default_configENS1_27scan_by_key_config_selectorIiiEEZZNS1_16scan_by_key_implILNS1_25lookback_scan_determinismE0ELb1ES3_N6thrust23THRUST_200600_302600_NS6detail15normal_iteratorINS9_10device_ptrIiEEEENSB_INSC_IjEEEESE_iNS9_4plusIvEENS9_8equal_toIvEEiEE10hipError_tPvRmT2_T3_T4_T5_mT6_T7_P12ihipStream_tbENKUlT_T0_E_clISt17integral_constantIbLb0EES11_EEDaSW_SX_EUlSW_E_NS1_11comp_targetILNS1_3genE10ELNS1_11target_archE1201ELNS1_3gpuE5ELNS1_3repE0EEENS1_30default_config_static_selectorELNS0_4arch9wavefront6targetE0EEEvT1_,comdat
	.protected	_ZN7rocprim17ROCPRIM_400000_NS6detail17trampoline_kernelINS0_14default_configENS1_27scan_by_key_config_selectorIiiEEZZNS1_16scan_by_key_implILNS1_25lookback_scan_determinismE0ELb1ES3_N6thrust23THRUST_200600_302600_NS6detail15normal_iteratorINS9_10device_ptrIiEEEENSB_INSC_IjEEEESE_iNS9_4plusIvEENS9_8equal_toIvEEiEE10hipError_tPvRmT2_T3_T4_T5_mT6_T7_P12ihipStream_tbENKUlT_T0_E_clISt17integral_constantIbLb0EES11_EEDaSW_SX_EUlSW_E_NS1_11comp_targetILNS1_3genE10ELNS1_11target_archE1201ELNS1_3gpuE5ELNS1_3repE0EEENS1_30default_config_static_selectorELNS0_4arch9wavefront6targetE0EEEvT1_ ; -- Begin function _ZN7rocprim17ROCPRIM_400000_NS6detail17trampoline_kernelINS0_14default_configENS1_27scan_by_key_config_selectorIiiEEZZNS1_16scan_by_key_implILNS1_25lookback_scan_determinismE0ELb1ES3_N6thrust23THRUST_200600_302600_NS6detail15normal_iteratorINS9_10device_ptrIiEEEENSB_INSC_IjEEEESE_iNS9_4plusIvEENS9_8equal_toIvEEiEE10hipError_tPvRmT2_T3_T4_T5_mT6_T7_P12ihipStream_tbENKUlT_T0_E_clISt17integral_constantIbLb0EES11_EEDaSW_SX_EUlSW_E_NS1_11comp_targetILNS1_3genE10ELNS1_11target_archE1201ELNS1_3gpuE5ELNS1_3repE0EEENS1_30default_config_static_selectorELNS0_4arch9wavefront6targetE0EEEvT1_
	.globl	_ZN7rocprim17ROCPRIM_400000_NS6detail17trampoline_kernelINS0_14default_configENS1_27scan_by_key_config_selectorIiiEEZZNS1_16scan_by_key_implILNS1_25lookback_scan_determinismE0ELb1ES3_N6thrust23THRUST_200600_302600_NS6detail15normal_iteratorINS9_10device_ptrIiEEEENSB_INSC_IjEEEESE_iNS9_4plusIvEENS9_8equal_toIvEEiEE10hipError_tPvRmT2_T3_T4_T5_mT6_T7_P12ihipStream_tbENKUlT_T0_E_clISt17integral_constantIbLb0EES11_EEDaSW_SX_EUlSW_E_NS1_11comp_targetILNS1_3genE10ELNS1_11target_archE1201ELNS1_3gpuE5ELNS1_3repE0EEENS1_30default_config_static_selectorELNS0_4arch9wavefront6targetE0EEEvT1_
	.p2align	8
	.type	_ZN7rocprim17ROCPRIM_400000_NS6detail17trampoline_kernelINS0_14default_configENS1_27scan_by_key_config_selectorIiiEEZZNS1_16scan_by_key_implILNS1_25lookback_scan_determinismE0ELb1ES3_N6thrust23THRUST_200600_302600_NS6detail15normal_iteratorINS9_10device_ptrIiEEEENSB_INSC_IjEEEESE_iNS9_4plusIvEENS9_8equal_toIvEEiEE10hipError_tPvRmT2_T3_T4_T5_mT6_T7_P12ihipStream_tbENKUlT_T0_E_clISt17integral_constantIbLb0EES11_EEDaSW_SX_EUlSW_E_NS1_11comp_targetILNS1_3genE10ELNS1_11target_archE1201ELNS1_3gpuE5ELNS1_3repE0EEENS1_30default_config_static_selectorELNS0_4arch9wavefront6targetE0EEEvT1_,@function
_ZN7rocprim17ROCPRIM_400000_NS6detail17trampoline_kernelINS0_14default_configENS1_27scan_by_key_config_selectorIiiEEZZNS1_16scan_by_key_implILNS1_25lookback_scan_determinismE0ELb1ES3_N6thrust23THRUST_200600_302600_NS6detail15normal_iteratorINS9_10device_ptrIiEEEENSB_INSC_IjEEEESE_iNS9_4plusIvEENS9_8equal_toIvEEiEE10hipError_tPvRmT2_T3_T4_T5_mT6_T7_P12ihipStream_tbENKUlT_T0_E_clISt17integral_constantIbLb0EES11_EEDaSW_SX_EUlSW_E_NS1_11comp_targetILNS1_3genE10ELNS1_11target_archE1201ELNS1_3gpuE5ELNS1_3repE0EEENS1_30default_config_static_selectorELNS0_4arch9wavefront6targetE0EEEvT1_: ; @_ZN7rocprim17ROCPRIM_400000_NS6detail17trampoline_kernelINS0_14default_configENS1_27scan_by_key_config_selectorIiiEEZZNS1_16scan_by_key_implILNS1_25lookback_scan_determinismE0ELb1ES3_N6thrust23THRUST_200600_302600_NS6detail15normal_iteratorINS9_10device_ptrIiEEEENSB_INSC_IjEEEESE_iNS9_4plusIvEENS9_8equal_toIvEEiEE10hipError_tPvRmT2_T3_T4_T5_mT6_T7_P12ihipStream_tbENKUlT_T0_E_clISt17integral_constantIbLb0EES11_EEDaSW_SX_EUlSW_E_NS1_11comp_targetILNS1_3genE10ELNS1_11target_archE1201ELNS1_3gpuE5ELNS1_3repE0EEENS1_30default_config_static_selectorELNS0_4arch9wavefront6targetE0EEEvT1_
; %bb.0:
	.section	.rodata,"a",@progbits
	.p2align	6, 0x0
	.amdhsa_kernel _ZN7rocprim17ROCPRIM_400000_NS6detail17trampoline_kernelINS0_14default_configENS1_27scan_by_key_config_selectorIiiEEZZNS1_16scan_by_key_implILNS1_25lookback_scan_determinismE0ELb1ES3_N6thrust23THRUST_200600_302600_NS6detail15normal_iteratorINS9_10device_ptrIiEEEENSB_INSC_IjEEEESE_iNS9_4plusIvEENS9_8equal_toIvEEiEE10hipError_tPvRmT2_T3_T4_T5_mT6_T7_P12ihipStream_tbENKUlT_T0_E_clISt17integral_constantIbLb0EES11_EEDaSW_SX_EUlSW_E_NS1_11comp_targetILNS1_3genE10ELNS1_11target_archE1201ELNS1_3gpuE5ELNS1_3repE0EEENS1_30default_config_static_selectorELNS0_4arch9wavefront6targetE0EEEvT1_
		.amdhsa_group_segment_fixed_size 0
		.amdhsa_private_segment_fixed_size 0
		.amdhsa_kernarg_size 112
		.amdhsa_user_sgpr_count 2
		.amdhsa_user_sgpr_dispatch_ptr 0
		.amdhsa_user_sgpr_queue_ptr 0
		.amdhsa_user_sgpr_kernarg_segment_ptr 1
		.amdhsa_user_sgpr_dispatch_id 0
		.amdhsa_user_sgpr_kernarg_preload_length 0
		.amdhsa_user_sgpr_kernarg_preload_offset 0
		.amdhsa_user_sgpr_private_segment_size 0
		.amdhsa_wavefront_size32 1
		.amdhsa_uses_dynamic_stack 0
		.amdhsa_enable_private_segment 0
		.amdhsa_system_sgpr_workgroup_id_x 1
		.amdhsa_system_sgpr_workgroup_id_y 0
		.amdhsa_system_sgpr_workgroup_id_z 0
		.amdhsa_system_sgpr_workgroup_info 0
		.amdhsa_system_vgpr_workitem_id 0
		.amdhsa_next_free_vgpr 1
		.amdhsa_next_free_sgpr 1
		.amdhsa_named_barrier_count 0
		.amdhsa_reserve_vcc 0
		.amdhsa_float_round_mode_32 0
		.amdhsa_float_round_mode_16_64 0
		.amdhsa_float_denorm_mode_32 3
		.amdhsa_float_denorm_mode_16_64 3
		.amdhsa_fp16_overflow 0
		.amdhsa_memory_ordered 1
		.amdhsa_forward_progress 1
		.amdhsa_inst_pref_size 0
		.amdhsa_round_robin_scheduling 0
		.amdhsa_exception_fp_ieee_invalid_op 0
		.amdhsa_exception_fp_denorm_src 0
		.amdhsa_exception_fp_ieee_div_zero 0
		.amdhsa_exception_fp_ieee_overflow 0
		.amdhsa_exception_fp_ieee_underflow 0
		.amdhsa_exception_fp_ieee_inexact 0
		.amdhsa_exception_int_div_zero 0
	.end_amdhsa_kernel
	.section	.text._ZN7rocprim17ROCPRIM_400000_NS6detail17trampoline_kernelINS0_14default_configENS1_27scan_by_key_config_selectorIiiEEZZNS1_16scan_by_key_implILNS1_25lookback_scan_determinismE0ELb1ES3_N6thrust23THRUST_200600_302600_NS6detail15normal_iteratorINS9_10device_ptrIiEEEENSB_INSC_IjEEEESE_iNS9_4plusIvEENS9_8equal_toIvEEiEE10hipError_tPvRmT2_T3_T4_T5_mT6_T7_P12ihipStream_tbENKUlT_T0_E_clISt17integral_constantIbLb0EES11_EEDaSW_SX_EUlSW_E_NS1_11comp_targetILNS1_3genE10ELNS1_11target_archE1201ELNS1_3gpuE5ELNS1_3repE0EEENS1_30default_config_static_selectorELNS0_4arch9wavefront6targetE0EEEvT1_,"axG",@progbits,_ZN7rocprim17ROCPRIM_400000_NS6detail17trampoline_kernelINS0_14default_configENS1_27scan_by_key_config_selectorIiiEEZZNS1_16scan_by_key_implILNS1_25lookback_scan_determinismE0ELb1ES3_N6thrust23THRUST_200600_302600_NS6detail15normal_iteratorINS9_10device_ptrIiEEEENSB_INSC_IjEEEESE_iNS9_4plusIvEENS9_8equal_toIvEEiEE10hipError_tPvRmT2_T3_T4_T5_mT6_T7_P12ihipStream_tbENKUlT_T0_E_clISt17integral_constantIbLb0EES11_EEDaSW_SX_EUlSW_E_NS1_11comp_targetILNS1_3genE10ELNS1_11target_archE1201ELNS1_3gpuE5ELNS1_3repE0EEENS1_30default_config_static_selectorELNS0_4arch9wavefront6targetE0EEEvT1_,comdat
.Lfunc_end1753:
	.size	_ZN7rocprim17ROCPRIM_400000_NS6detail17trampoline_kernelINS0_14default_configENS1_27scan_by_key_config_selectorIiiEEZZNS1_16scan_by_key_implILNS1_25lookback_scan_determinismE0ELb1ES3_N6thrust23THRUST_200600_302600_NS6detail15normal_iteratorINS9_10device_ptrIiEEEENSB_INSC_IjEEEESE_iNS9_4plusIvEENS9_8equal_toIvEEiEE10hipError_tPvRmT2_T3_T4_T5_mT6_T7_P12ihipStream_tbENKUlT_T0_E_clISt17integral_constantIbLb0EES11_EEDaSW_SX_EUlSW_E_NS1_11comp_targetILNS1_3genE10ELNS1_11target_archE1201ELNS1_3gpuE5ELNS1_3repE0EEENS1_30default_config_static_selectorELNS0_4arch9wavefront6targetE0EEEvT1_, .Lfunc_end1753-_ZN7rocprim17ROCPRIM_400000_NS6detail17trampoline_kernelINS0_14default_configENS1_27scan_by_key_config_selectorIiiEEZZNS1_16scan_by_key_implILNS1_25lookback_scan_determinismE0ELb1ES3_N6thrust23THRUST_200600_302600_NS6detail15normal_iteratorINS9_10device_ptrIiEEEENSB_INSC_IjEEEESE_iNS9_4plusIvEENS9_8equal_toIvEEiEE10hipError_tPvRmT2_T3_T4_T5_mT6_T7_P12ihipStream_tbENKUlT_T0_E_clISt17integral_constantIbLb0EES11_EEDaSW_SX_EUlSW_E_NS1_11comp_targetILNS1_3genE10ELNS1_11target_archE1201ELNS1_3gpuE5ELNS1_3repE0EEENS1_30default_config_static_selectorELNS0_4arch9wavefront6targetE0EEEvT1_
                                        ; -- End function
	.set _ZN7rocprim17ROCPRIM_400000_NS6detail17trampoline_kernelINS0_14default_configENS1_27scan_by_key_config_selectorIiiEEZZNS1_16scan_by_key_implILNS1_25lookback_scan_determinismE0ELb1ES3_N6thrust23THRUST_200600_302600_NS6detail15normal_iteratorINS9_10device_ptrIiEEEENSB_INSC_IjEEEESE_iNS9_4plusIvEENS9_8equal_toIvEEiEE10hipError_tPvRmT2_T3_T4_T5_mT6_T7_P12ihipStream_tbENKUlT_T0_E_clISt17integral_constantIbLb0EES11_EEDaSW_SX_EUlSW_E_NS1_11comp_targetILNS1_3genE10ELNS1_11target_archE1201ELNS1_3gpuE5ELNS1_3repE0EEENS1_30default_config_static_selectorELNS0_4arch9wavefront6targetE0EEEvT1_.num_vgpr, 0
	.set _ZN7rocprim17ROCPRIM_400000_NS6detail17trampoline_kernelINS0_14default_configENS1_27scan_by_key_config_selectorIiiEEZZNS1_16scan_by_key_implILNS1_25lookback_scan_determinismE0ELb1ES3_N6thrust23THRUST_200600_302600_NS6detail15normal_iteratorINS9_10device_ptrIiEEEENSB_INSC_IjEEEESE_iNS9_4plusIvEENS9_8equal_toIvEEiEE10hipError_tPvRmT2_T3_T4_T5_mT6_T7_P12ihipStream_tbENKUlT_T0_E_clISt17integral_constantIbLb0EES11_EEDaSW_SX_EUlSW_E_NS1_11comp_targetILNS1_3genE10ELNS1_11target_archE1201ELNS1_3gpuE5ELNS1_3repE0EEENS1_30default_config_static_selectorELNS0_4arch9wavefront6targetE0EEEvT1_.num_agpr, 0
	.set _ZN7rocprim17ROCPRIM_400000_NS6detail17trampoline_kernelINS0_14default_configENS1_27scan_by_key_config_selectorIiiEEZZNS1_16scan_by_key_implILNS1_25lookback_scan_determinismE0ELb1ES3_N6thrust23THRUST_200600_302600_NS6detail15normal_iteratorINS9_10device_ptrIiEEEENSB_INSC_IjEEEESE_iNS9_4plusIvEENS9_8equal_toIvEEiEE10hipError_tPvRmT2_T3_T4_T5_mT6_T7_P12ihipStream_tbENKUlT_T0_E_clISt17integral_constantIbLb0EES11_EEDaSW_SX_EUlSW_E_NS1_11comp_targetILNS1_3genE10ELNS1_11target_archE1201ELNS1_3gpuE5ELNS1_3repE0EEENS1_30default_config_static_selectorELNS0_4arch9wavefront6targetE0EEEvT1_.numbered_sgpr, 0
	.set _ZN7rocprim17ROCPRIM_400000_NS6detail17trampoline_kernelINS0_14default_configENS1_27scan_by_key_config_selectorIiiEEZZNS1_16scan_by_key_implILNS1_25lookback_scan_determinismE0ELb1ES3_N6thrust23THRUST_200600_302600_NS6detail15normal_iteratorINS9_10device_ptrIiEEEENSB_INSC_IjEEEESE_iNS9_4plusIvEENS9_8equal_toIvEEiEE10hipError_tPvRmT2_T3_T4_T5_mT6_T7_P12ihipStream_tbENKUlT_T0_E_clISt17integral_constantIbLb0EES11_EEDaSW_SX_EUlSW_E_NS1_11comp_targetILNS1_3genE10ELNS1_11target_archE1201ELNS1_3gpuE5ELNS1_3repE0EEENS1_30default_config_static_selectorELNS0_4arch9wavefront6targetE0EEEvT1_.num_named_barrier, 0
	.set _ZN7rocprim17ROCPRIM_400000_NS6detail17trampoline_kernelINS0_14default_configENS1_27scan_by_key_config_selectorIiiEEZZNS1_16scan_by_key_implILNS1_25lookback_scan_determinismE0ELb1ES3_N6thrust23THRUST_200600_302600_NS6detail15normal_iteratorINS9_10device_ptrIiEEEENSB_INSC_IjEEEESE_iNS9_4plusIvEENS9_8equal_toIvEEiEE10hipError_tPvRmT2_T3_T4_T5_mT6_T7_P12ihipStream_tbENKUlT_T0_E_clISt17integral_constantIbLb0EES11_EEDaSW_SX_EUlSW_E_NS1_11comp_targetILNS1_3genE10ELNS1_11target_archE1201ELNS1_3gpuE5ELNS1_3repE0EEENS1_30default_config_static_selectorELNS0_4arch9wavefront6targetE0EEEvT1_.private_seg_size, 0
	.set _ZN7rocprim17ROCPRIM_400000_NS6detail17trampoline_kernelINS0_14default_configENS1_27scan_by_key_config_selectorIiiEEZZNS1_16scan_by_key_implILNS1_25lookback_scan_determinismE0ELb1ES3_N6thrust23THRUST_200600_302600_NS6detail15normal_iteratorINS9_10device_ptrIiEEEENSB_INSC_IjEEEESE_iNS9_4plusIvEENS9_8equal_toIvEEiEE10hipError_tPvRmT2_T3_T4_T5_mT6_T7_P12ihipStream_tbENKUlT_T0_E_clISt17integral_constantIbLb0EES11_EEDaSW_SX_EUlSW_E_NS1_11comp_targetILNS1_3genE10ELNS1_11target_archE1201ELNS1_3gpuE5ELNS1_3repE0EEENS1_30default_config_static_selectorELNS0_4arch9wavefront6targetE0EEEvT1_.uses_vcc, 0
	.set _ZN7rocprim17ROCPRIM_400000_NS6detail17trampoline_kernelINS0_14default_configENS1_27scan_by_key_config_selectorIiiEEZZNS1_16scan_by_key_implILNS1_25lookback_scan_determinismE0ELb1ES3_N6thrust23THRUST_200600_302600_NS6detail15normal_iteratorINS9_10device_ptrIiEEEENSB_INSC_IjEEEESE_iNS9_4plusIvEENS9_8equal_toIvEEiEE10hipError_tPvRmT2_T3_T4_T5_mT6_T7_P12ihipStream_tbENKUlT_T0_E_clISt17integral_constantIbLb0EES11_EEDaSW_SX_EUlSW_E_NS1_11comp_targetILNS1_3genE10ELNS1_11target_archE1201ELNS1_3gpuE5ELNS1_3repE0EEENS1_30default_config_static_selectorELNS0_4arch9wavefront6targetE0EEEvT1_.uses_flat_scratch, 0
	.set _ZN7rocprim17ROCPRIM_400000_NS6detail17trampoline_kernelINS0_14default_configENS1_27scan_by_key_config_selectorIiiEEZZNS1_16scan_by_key_implILNS1_25lookback_scan_determinismE0ELb1ES3_N6thrust23THRUST_200600_302600_NS6detail15normal_iteratorINS9_10device_ptrIiEEEENSB_INSC_IjEEEESE_iNS9_4plusIvEENS9_8equal_toIvEEiEE10hipError_tPvRmT2_T3_T4_T5_mT6_T7_P12ihipStream_tbENKUlT_T0_E_clISt17integral_constantIbLb0EES11_EEDaSW_SX_EUlSW_E_NS1_11comp_targetILNS1_3genE10ELNS1_11target_archE1201ELNS1_3gpuE5ELNS1_3repE0EEENS1_30default_config_static_selectorELNS0_4arch9wavefront6targetE0EEEvT1_.has_dyn_sized_stack, 0
	.set _ZN7rocprim17ROCPRIM_400000_NS6detail17trampoline_kernelINS0_14default_configENS1_27scan_by_key_config_selectorIiiEEZZNS1_16scan_by_key_implILNS1_25lookback_scan_determinismE0ELb1ES3_N6thrust23THRUST_200600_302600_NS6detail15normal_iteratorINS9_10device_ptrIiEEEENSB_INSC_IjEEEESE_iNS9_4plusIvEENS9_8equal_toIvEEiEE10hipError_tPvRmT2_T3_T4_T5_mT6_T7_P12ihipStream_tbENKUlT_T0_E_clISt17integral_constantIbLb0EES11_EEDaSW_SX_EUlSW_E_NS1_11comp_targetILNS1_3genE10ELNS1_11target_archE1201ELNS1_3gpuE5ELNS1_3repE0EEENS1_30default_config_static_selectorELNS0_4arch9wavefront6targetE0EEEvT1_.has_recursion, 0
	.set _ZN7rocprim17ROCPRIM_400000_NS6detail17trampoline_kernelINS0_14default_configENS1_27scan_by_key_config_selectorIiiEEZZNS1_16scan_by_key_implILNS1_25lookback_scan_determinismE0ELb1ES3_N6thrust23THRUST_200600_302600_NS6detail15normal_iteratorINS9_10device_ptrIiEEEENSB_INSC_IjEEEESE_iNS9_4plusIvEENS9_8equal_toIvEEiEE10hipError_tPvRmT2_T3_T4_T5_mT6_T7_P12ihipStream_tbENKUlT_T0_E_clISt17integral_constantIbLb0EES11_EEDaSW_SX_EUlSW_E_NS1_11comp_targetILNS1_3genE10ELNS1_11target_archE1201ELNS1_3gpuE5ELNS1_3repE0EEENS1_30default_config_static_selectorELNS0_4arch9wavefront6targetE0EEEvT1_.has_indirect_call, 0
	.section	.AMDGPU.csdata,"",@progbits
; Kernel info:
; codeLenInByte = 0
; TotalNumSgprs: 0
; NumVgprs: 0
; ScratchSize: 0
; MemoryBound: 0
; FloatMode: 240
; IeeeMode: 1
; LDSByteSize: 0 bytes/workgroup (compile time only)
; SGPRBlocks: 0
; VGPRBlocks: 0
; NumSGPRsForWavesPerEU: 1
; NumVGPRsForWavesPerEU: 1
; NamedBarCnt: 0
; Occupancy: 16
; WaveLimiterHint : 0
; COMPUTE_PGM_RSRC2:SCRATCH_EN: 0
; COMPUTE_PGM_RSRC2:USER_SGPR: 2
; COMPUTE_PGM_RSRC2:TRAP_HANDLER: 0
; COMPUTE_PGM_RSRC2:TGID_X_EN: 1
; COMPUTE_PGM_RSRC2:TGID_Y_EN: 0
; COMPUTE_PGM_RSRC2:TGID_Z_EN: 0
; COMPUTE_PGM_RSRC2:TIDIG_COMP_CNT: 0
	.section	.text._ZN7rocprim17ROCPRIM_400000_NS6detail17trampoline_kernelINS0_14default_configENS1_27scan_by_key_config_selectorIiiEEZZNS1_16scan_by_key_implILNS1_25lookback_scan_determinismE0ELb1ES3_N6thrust23THRUST_200600_302600_NS6detail15normal_iteratorINS9_10device_ptrIiEEEENSB_INSC_IjEEEESE_iNS9_4plusIvEENS9_8equal_toIvEEiEE10hipError_tPvRmT2_T3_T4_T5_mT6_T7_P12ihipStream_tbENKUlT_T0_E_clISt17integral_constantIbLb0EES11_EEDaSW_SX_EUlSW_E_NS1_11comp_targetILNS1_3genE5ELNS1_11target_archE942ELNS1_3gpuE9ELNS1_3repE0EEENS1_30default_config_static_selectorELNS0_4arch9wavefront6targetE0EEEvT1_,"axG",@progbits,_ZN7rocprim17ROCPRIM_400000_NS6detail17trampoline_kernelINS0_14default_configENS1_27scan_by_key_config_selectorIiiEEZZNS1_16scan_by_key_implILNS1_25lookback_scan_determinismE0ELb1ES3_N6thrust23THRUST_200600_302600_NS6detail15normal_iteratorINS9_10device_ptrIiEEEENSB_INSC_IjEEEESE_iNS9_4plusIvEENS9_8equal_toIvEEiEE10hipError_tPvRmT2_T3_T4_T5_mT6_T7_P12ihipStream_tbENKUlT_T0_E_clISt17integral_constantIbLb0EES11_EEDaSW_SX_EUlSW_E_NS1_11comp_targetILNS1_3genE5ELNS1_11target_archE942ELNS1_3gpuE9ELNS1_3repE0EEENS1_30default_config_static_selectorELNS0_4arch9wavefront6targetE0EEEvT1_,comdat
	.protected	_ZN7rocprim17ROCPRIM_400000_NS6detail17trampoline_kernelINS0_14default_configENS1_27scan_by_key_config_selectorIiiEEZZNS1_16scan_by_key_implILNS1_25lookback_scan_determinismE0ELb1ES3_N6thrust23THRUST_200600_302600_NS6detail15normal_iteratorINS9_10device_ptrIiEEEENSB_INSC_IjEEEESE_iNS9_4plusIvEENS9_8equal_toIvEEiEE10hipError_tPvRmT2_T3_T4_T5_mT6_T7_P12ihipStream_tbENKUlT_T0_E_clISt17integral_constantIbLb0EES11_EEDaSW_SX_EUlSW_E_NS1_11comp_targetILNS1_3genE5ELNS1_11target_archE942ELNS1_3gpuE9ELNS1_3repE0EEENS1_30default_config_static_selectorELNS0_4arch9wavefront6targetE0EEEvT1_ ; -- Begin function _ZN7rocprim17ROCPRIM_400000_NS6detail17trampoline_kernelINS0_14default_configENS1_27scan_by_key_config_selectorIiiEEZZNS1_16scan_by_key_implILNS1_25lookback_scan_determinismE0ELb1ES3_N6thrust23THRUST_200600_302600_NS6detail15normal_iteratorINS9_10device_ptrIiEEEENSB_INSC_IjEEEESE_iNS9_4plusIvEENS9_8equal_toIvEEiEE10hipError_tPvRmT2_T3_T4_T5_mT6_T7_P12ihipStream_tbENKUlT_T0_E_clISt17integral_constantIbLb0EES11_EEDaSW_SX_EUlSW_E_NS1_11comp_targetILNS1_3genE5ELNS1_11target_archE942ELNS1_3gpuE9ELNS1_3repE0EEENS1_30default_config_static_selectorELNS0_4arch9wavefront6targetE0EEEvT1_
	.globl	_ZN7rocprim17ROCPRIM_400000_NS6detail17trampoline_kernelINS0_14default_configENS1_27scan_by_key_config_selectorIiiEEZZNS1_16scan_by_key_implILNS1_25lookback_scan_determinismE0ELb1ES3_N6thrust23THRUST_200600_302600_NS6detail15normal_iteratorINS9_10device_ptrIiEEEENSB_INSC_IjEEEESE_iNS9_4plusIvEENS9_8equal_toIvEEiEE10hipError_tPvRmT2_T3_T4_T5_mT6_T7_P12ihipStream_tbENKUlT_T0_E_clISt17integral_constantIbLb0EES11_EEDaSW_SX_EUlSW_E_NS1_11comp_targetILNS1_3genE5ELNS1_11target_archE942ELNS1_3gpuE9ELNS1_3repE0EEENS1_30default_config_static_selectorELNS0_4arch9wavefront6targetE0EEEvT1_
	.p2align	8
	.type	_ZN7rocprim17ROCPRIM_400000_NS6detail17trampoline_kernelINS0_14default_configENS1_27scan_by_key_config_selectorIiiEEZZNS1_16scan_by_key_implILNS1_25lookback_scan_determinismE0ELb1ES3_N6thrust23THRUST_200600_302600_NS6detail15normal_iteratorINS9_10device_ptrIiEEEENSB_INSC_IjEEEESE_iNS9_4plusIvEENS9_8equal_toIvEEiEE10hipError_tPvRmT2_T3_T4_T5_mT6_T7_P12ihipStream_tbENKUlT_T0_E_clISt17integral_constantIbLb0EES11_EEDaSW_SX_EUlSW_E_NS1_11comp_targetILNS1_3genE5ELNS1_11target_archE942ELNS1_3gpuE9ELNS1_3repE0EEENS1_30default_config_static_selectorELNS0_4arch9wavefront6targetE0EEEvT1_,@function
_ZN7rocprim17ROCPRIM_400000_NS6detail17trampoline_kernelINS0_14default_configENS1_27scan_by_key_config_selectorIiiEEZZNS1_16scan_by_key_implILNS1_25lookback_scan_determinismE0ELb1ES3_N6thrust23THRUST_200600_302600_NS6detail15normal_iteratorINS9_10device_ptrIiEEEENSB_INSC_IjEEEESE_iNS9_4plusIvEENS9_8equal_toIvEEiEE10hipError_tPvRmT2_T3_T4_T5_mT6_T7_P12ihipStream_tbENKUlT_T0_E_clISt17integral_constantIbLb0EES11_EEDaSW_SX_EUlSW_E_NS1_11comp_targetILNS1_3genE5ELNS1_11target_archE942ELNS1_3gpuE9ELNS1_3repE0EEENS1_30default_config_static_selectorELNS0_4arch9wavefront6targetE0EEEvT1_: ; @_ZN7rocprim17ROCPRIM_400000_NS6detail17trampoline_kernelINS0_14default_configENS1_27scan_by_key_config_selectorIiiEEZZNS1_16scan_by_key_implILNS1_25lookback_scan_determinismE0ELb1ES3_N6thrust23THRUST_200600_302600_NS6detail15normal_iteratorINS9_10device_ptrIiEEEENSB_INSC_IjEEEESE_iNS9_4plusIvEENS9_8equal_toIvEEiEE10hipError_tPvRmT2_T3_T4_T5_mT6_T7_P12ihipStream_tbENKUlT_T0_E_clISt17integral_constantIbLb0EES11_EEDaSW_SX_EUlSW_E_NS1_11comp_targetILNS1_3genE5ELNS1_11target_archE942ELNS1_3gpuE9ELNS1_3repE0EEENS1_30default_config_static_selectorELNS0_4arch9wavefront6targetE0EEEvT1_
; %bb.0:
	.section	.rodata,"a",@progbits
	.p2align	6, 0x0
	.amdhsa_kernel _ZN7rocprim17ROCPRIM_400000_NS6detail17trampoline_kernelINS0_14default_configENS1_27scan_by_key_config_selectorIiiEEZZNS1_16scan_by_key_implILNS1_25lookback_scan_determinismE0ELb1ES3_N6thrust23THRUST_200600_302600_NS6detail15normal_iteratorINS9_10device_ptrIiEEEENSB_INSC_IjEEEESE_iNS9_4plusIvEENS9_8equal_toIvEEiEE10hipError_tPvRmT2_T3_T4_T5_mT6_T7_P12ihipStream_tbENKUlT_T0_E_clISt17integral_constantIbLb0EES11_EEDaSW_SX_EUlSW_E_NS1_11comp_targetILNS1_3genE5ELNS1_11target_archE942ELNS1_3gpuE9ELNS1_3repE0EEENS1_30default_config_static_selectorELNS0_4arch9wavefront6targetE0EEEvT1_
		.amdhsa_group_segment_fixed_size 0
		.amdhsa_private_segment_fixed_size 0
		.amdhsa_kernarg_size 112
		.amdhsa_user_sgpr_count 2
		.amdhsa_user_sgpr_dispatch_ptr 0
		.amdhsa_user_sgpr_queue_ptr 0
		.amdhsa_user_sgpr_kernarg_segment_ptr 1
		.amdhsa_user_sgpr_dispatch_id 0
		.amdhsa_user_sgpr_kernarg_preload_length 0
		.amdhsa_user_sgpr_kernarg_preload_offset 0
		.amdhsa_user_sgpr_private_segment_size 0
		.amdhsa_wavefront_size32 1
		.amdhsa_uses_dynamic_stack 0
		.amdhsa_enable_private_segment 0
		.amdhsa_system_sgpr_workgroup_id_x 1
		.amdhsa_system_sgpr_workgroup_id_y 0
		.amdhsa_system_sgpr_workgroup_id_z 0
		.amdhsa_system_sgpr_workgroup_info 0
		.amdhsa_system_vgpr_workitem_id 0
		.amdhsa_next_free_vgpr 1
		.amdhsa_next_free_sgpr 1
		.amdhsa_named_barrier_count 0
		.amdhsa_reserve_vcc 0
		.amdhsa_float_round_mode_32 0
		.amdhsa_float_round_mode_16_64 0
		.amdhsa_float_denorm_mode_32 3
		.amdhsa_float_denorm_mode_16_64 3
		.amdhsa_fp16_overflow 0
		.amdhsa_memory_ordered 1
		.amdhsa_forward_progress 1
		.amdhsa_inst_pref_size 0
		.amdhsa_round_robin_scheduling 0
		.amdhsa_exception_fp_ieee_invalid_op 0
		.amdhsa_exception_fp_denorm_src 0
		.amdhsa_exception_fp_ieee_div_zero 0
		.amdhsa_exception_fp_ieee_overflow 0
		.amdhsa_exception_fp_ieee_underflow 0
		.amdhsa_exception_fp_ieee_inexact 0
		.amdhsa_exception_int_div_zero 0
	.end_amdhsa_kernel
	.section	.text._ZN7rocprim17ROCPRIM_400000_NS6detail17trampoline_kernelINS0_14default_configENS1_27scan_by_key_config_selectorIiiEEZZNS1_16scan_by_key_implILNS1_25lookback_scan_determinismE0ELb1ES3_N6thrust23THRUST_200600_302600_NS6detail15normal_iteratorINS9_10device_ptrIiEEEENSB_INSC_IjEEEESE_iNS9_4plusIvEENS9_8equal_toIvEEiEE10hipError_tPvRmT2_T3_T4_T5_mT6_T7_P12ihipStream_tbENKUlT_T0_E_clISt17integral_constantIbLb0EES11_EEDaSW_SX_EUlSW_E_NS1_11comp_targetILNS1_3genE5ELNS1_11target_archE942ELNS1_3gpuE9ELNS1_3repE0EEENS1_30default_config_static_selectorELNS0_4arch9wavefront6targetE0EEEvT1_,"axG",@progbits,_ZN7rocprim17ROCPRIM_400000_NS6detail17trampoline_kernelINS0_14default_configENS1_27scan_by_key_config_selectorIiiEEZZNS1_16scan_by_key_implILNS1_25lookback_scan_determinismE0ELb1ES3_N6thrust23THRUST_200600_302600_NS6detail15normal_iteratorINS9_10device_ptrIiEEEENSB_INSC_IjEEEESE_iNS9_4plusIvEENS9_8equal_toIvEEiEE10hipError_tPvRmT2_T3_T4_T5_mT6_T7_P12ihipStream_tbENKUlT_T0_E_clISt17integral_constantIbLb0EES11_EEDaSW_SX_EUlSW_E_NS1_11comp_targetILNS1_3genE5ELNS1_11target_archE942ELNS1_3gpuE9ELNS1_3repE0EEENS1_30default_config_static_selectorELNS0_4arch9wavefront6targetE0EEEvT1_,comdat
.Lfunc_end1754:
	.size	_ZN7rocprim17ROCPRIM_400000_NS6detail17trampoline_kernelINS0_14default_configENS1_27scan_by_key_config_selectorIiiEEZZNS1_16scan_by_key_implILNS1_25lookback_scan_determinismE0ELb1ES3_N6thrust23THRUST_200600_302600_NS6detail15normal_iteratorINS9_10device_ptrIiEEEENSB_INSC_IjEEEESE_iNS9_4plusIvEENS9_8equal_toIvEEiEE10hipError_tPvRmT2_T3_T4_T5_mT6_T7_P12ihipStream_tbENKUlT_T0_E_clISt17integral_constantIbLb0EES11_EEDaSW_SX_EUlSW_E_NS1_11comp_targetILNS1_3genE5ELNS1_11target_archE942ELNS1_3gpuE9ELNS1_3repE0EEENS1_30default_config_static_selectorELNS0_4arch9wavefront6targetE0EEEvT1_, .Lfunc_end1754-_ZN7rocprim17ROCPRIM_400000_NS6detail17trampoline_kernelINS0_14default_configENS1_27scan_by_key_config_selectorIiiEEZZNS1_16scan_by_key_implILNS1_25lookback_scan_determinismE0ELb1ES3_N6thrust23THRUST_200600_302600_NS6detail15normal_iteratorINS9_10device_ptrIiEEEENSB_INSC_IjEEEESE_iNS9_4plusIvEENS9_8equal_toIvEEiEE10hipError_tPvRmT2_T3_T4_T5_mT6_T7_P12ihipStream_tbENKUlT_T0_E_clISt17integral_constantIbLb0EES11_EEDaSW_SX_EUlSW_E_NS1_11comp_targetILNS1_3genE5ELNS1_11target_archE942ELNS1_3gpuE9ELNS1_3repE0EEENS1_30default_config_static_selectorELNS0_4arch9wavefront6targetE0EEEvT1_
                                        ; -- End function
	.set _ZN7rocprim17ROCPRIM_400000_NS6detail17trampoline_kernelINS0_14default_configENS1_27scan_by_key_config_selectorIiiEEZZNS1_16scan_by_key_implILNS1_25lookback_scan_determinismE0ELb1ES3_N6thrust23THRUST_200600_302600_NS6detail15normal_iteratorINS9_10device_ptrIiEEEENSB_INSC_IjEEEESE_iNS9_4plusIvEENS9_8equal_toIvEEiEE10hipError_tPvRmT2_T3_T4_T5_mT6_T7_P12ihipStream_tbENKUlT_T0_E_clISt17integral_constantIbLb0EES11_EEDaSW_SX_EUlSW_E_NS1_11comp_targetILNS1_3genE5ELNS1_11target_archE942ELNS1_3gpuE9ELNS1_3repE0EEENS1_30default_config_static_selectorELNS0_4arch9wavefront6targetE0EEEvT1_.num_vgpr, 0
	.set _ZN7rocprim17ROCPRIM_400000_NS6detail17trampoline_kernelINS0_14default_configENS1_27scan_by_key_config_selectorIiiEEZZNS1_16scan_by_key_implILNS1_25lookback_scan_determinismE0ELb1ES3_N6thrust23THRUST_200600_302600_NS6detail15normal_iteratorINS9_10device_ptrIiEEEENSB_INSC_IjEEEESE_iNS9_4plusIvEENS9_8equal_toIvEEiEE10hipError_tPvRmT2_T3_T4_T5_mT6_T7_P12ihipStream_tbENKUlT_T0_E_clISt17integral_constantIbLb0EES11_EEDaSW_SX_EUlSW_E_NS1_11comp_targetILNS1_3genE5ELNS1_11target_archE942ELNS1_3gpuE9ELNS1_3repE0EEENS1_30default_config_static_selectorELNS0_4arch9wavefront6targetE0EEEvT1_.num_agpr, 0
	.set _ZN7rocprim17ROCPRIM_400000_NS6detail17trampoline_kernelINS0_14default_configENS1_27scan_by_key_config_selectorIiiEEZZNS1_16scan_by_key_implILNS1_25lookback_scan_determinismE0ELb1ES3_N6thrust23THRUST_200600_302600_NS6detail15normal_iteratorINS9_10device_ptrIiEEEENSB_INSC_IjEEEESE_iNS9_4plusIvEENS9_8equal_toIvEEiEE10hipError_tPvRmT2_T3_T4_T5_mT6_T7_P12ihipStream_tbENKUlT_T0_E_clISt17integral_constantIbLb0EES11_EEDaSW_SX_EUlSW_E_NS1_11comp_targetILNS1_3genE5ELNS1_11target_archE942ELNS1_3gpuE9ELNS1_3repE0EEENS1_30default_config_static_selectorELNS0_4arch9wavefront6targetE0EEEvT1_.numbered_sgpr, 0
	.set _ZN7rocprim17ROCPRIM_400000_NS6detail17trampoline_kernelINS0_14default_configENS1_27scan_by_key_config_selectorIiiEEZZNS1_16scan_by_key_implILNS1_25lookback_scan_determinismE0ELb1ES3_N6thrust23THRUST_200600_302600_NS6detail15normal_iteratorINS9_10device_ptrIiEEEENSB_INSC_IjEEEESE_iNS9_4plusIvEENS9_8equal_toIvEEiEE10hipError_tPvRmT2_T3_T4_T5_mT6_T7_P12ihipStream_tbENKUlT_T0_E_clISt17integral_constantIbLb0EES11_EEDaSW_SX_EUlSW_E_NS1_11comp_targetILNS1_3genE5ELNS1_11target_archE942ELNS1_3gpuE9ELNS1_3repE0EEENS1_30default_config_static_selectorELNS0_4arch9wavefront6targetE0EEEvT1_.num_named_barrier, 0
	.set _ZN7rocprim17ROCPRIM_400000_NS6detail17trampoline_kernelINS0_14default_configENS1_27scan_by_key_config_selectorIiiEEZZNS1_16scan_by_key_implILNS1_25lookback_scan_determinismE0ELb1ES3_N6thrust23THRUST_200600_302600_NS6detail15normal_iteratorINS9_10device_ptrIiEEEENSB_INSC_IjEEEESE_iNS9_4plusIvEENS9_8equal_toIvEEiEE10hipError_tPvRmT2_T3_T4_T5_mT6_T7_P12ihipStream_tbENKUlT_T0_E_clISt17integral_constantIbLb0EES11_EEDaSW_SX_EUlSW_E_NS1_11comp_targetILNS1_3genE5ELNS1_11target_archE942ELNS1_3gpuE9ELNS1_3repE0EEENS1_30default_config_static_selectorELNS0_4arch9wavefront6targetE0EEEvT1_.private_seg_size, 0
	.set _ZN7rocprim17ROCPRIM_400000_NS6detail17trampoline_kernelINS0_14default_configENS1_27scan_by_key_config_selectorIiiEEZZNS1_16scan_by_key_implILNS1_25lookback_scan_determinismE0ELb1ES3_N6thrust23THRUST_200600_302600_NS6detail15normal_iteratorINS9_10device_ptrIiEEEENSB_INSC_IjEEEESE_iNS9_4plusIvEENS9_8equal_toIvEEiEE10hipError_tPvRmT2_T3_T4_T5_mT6_T7_P12ihipStream_tbENKUlT_T0_E_clISt17integral_constantIbLb0EES11_EEDaSW_SX_EUlSW_E_NS1_11comp_targetILNS1_3genE5ELNS1_11target_archE942ELNS1_3gpuE9ELNS1_3repE0EEENS1_30default_config_static_selectorELNS0_4arch9wavefront6targetE0EEEvT1_.uses_vcc, 0
	.set _ZN7rocprim17ROCPRIM_400000_NS6detail17trampoline_kernelINS0_14default_configENS1_27scan_by_key_config_selectorIiiEEZZNS1_16scan_by_key_implILNS1_25lookback_scan_determinismE0ELb1ES3_N6thrust23THRUST_200600_302600_NS6detail15normal_iteratorINS9_10device_ptrIiEEEENSB_INSC_IjEEEESE_iNS9_4plusIvEENS9_8equal_toIvEEiEE10hipError_tPvRmT2_T3_T4_T5_mT6_T7_P12ihipStream_tbENKUlT_T0_E_clISt17integral_constantIbLb0EES11_EEDaSW_SX_EUlSW_E_NS1_11comp_targetILNS1_3genE5ELNS1_11target_archE942ELNS1_3gpuE9ELNS1_3repE0EEENS1_30default_config_static_selectorELNS0_4arch9wavefront6targetE0EEEvT1_.uses_flat_scratch, 0
	.set _ZN7rocprim17ROCPRIM_400000_NS6detail17trampoline_kernelINS0_14default_configENS1_27scan_by_key_config_selectorIiiEEZZNS1_16scan_by_key_implILNS1_25lookback_scan_determinismE0ELb1ES3_N6thrust23THRUST_200600_302600_NS6detail15normal_iteratorINS9_10device_ptrIiEEEENSB_INSC_IjEEEESE_iNS9_4plusIvEENS9_8equal_toIvEEiEE10hipError_tPvRmT2_T3_T4_T5_mT6_T7_P12ihipStream_tbENKUlT_T0_E_clISt17integral_constantIbLb0EES11_EEDaSW_SX_EUlSW_E_NS1_11comp_targetILNS1_3genE5ELNS1_11target_archE942ELNS1_3gpuE9ELNS1_3repE0EEENS1_30default_config_static_selectorELNS0_4arch9wavefront6targetE0EEEvT1_.has_dyn_sized_stack, 0
	.set _ZN7rocprim17ROCPRIM_400000_NS6detail17trampoline_kernelINS0_14default_configENS1_27scan_by_key_config_selectorIiiEEZZNS1_16scan_by_key_implILNS1_25lookback_scan_determinismE0ELb1ES3_N6thrust23THRUST_200600_302600_NS6detail15normal_iteratorINS9_10device_ptrIiEEEENSB_INSC_IjEEEESE_iNS9_4plusIvEENS9_8equal_toIvEEiEE10hipError_tPvRmT2_T3_T4_T5_mT6_T7_P12ihipStream_tbENKUlT_T0_E_clISt17integral_constantIbLb0EES11_EEDaSW_SX_EUlSW_E_NS1_11comp_targetILNS1_3genE5ELNS1_11target_archE942ELNS1_3gpuE9ELNS1_3repE0EEENS1_30default_config_static_selectorELNS0_4arch9wavefront6targetE0EEEvT1_.has_recursion, 0
	.set _ZN7rocprim17ROCPRIM_400000_NS6detail17trampoline_kernelINS0_14default_configENS1_27scan_by_key_config_selectorIiiEEZZNS1_16scan_by_key_implILNS1_25lookback_scan_determinismE0ELb1ES3_N6thrust23THRUST_200600_302600_NS6detail15normal_iteratorINS9_10device_ptrIiEEEENSB_INSC_IjEEEESE_iNS9_4plusIvEENS9_8equal_toIvEEiEE10hipError_tPvRmT2_T3_T4_T5_mT6_T7_P12ihipStream_tbENKUlT_T0_E_clISt17integral_constantIbLb0EES11_EEDaSW_SX_EUlSW_E_NS1_11comp_targetILNS1_3genE5ELNS1_11target_archE942ELNS1_3gpuE9ELNS1_3repE0EEENS1_30default_config_static_selectorELNS0_4arch9wavefront6targetE0EEEvT1_.has_indirect_call, 0
	.section	.AMDGPU.csdata,"",@progbits
; Kernel info:
; codeLenInByte = 0
; TotalNumSgprs: 0
; NumVgprs: 0
; ScratchSize: 0
; MemoryBound: 0
; FloatMode: 240
; IeeeMode: 1
; LDSByteSize: 0 bytes/workgroup (compile time only)
; SGPRBlocks: 0
; VGPRBlocks: 0
; NumSGPRsForWavesPerEU: 1
; NumVGPRsForWavesPerEU: 1
; NamedBarCnt: 0
; Occupancy: 16
; WaveLimiterHint : 0
; COMPUTE_PGM_RSRC2:SCRATCH_EN: 0
; COMPUTE_PGM_RSRC2:USER_SGPR: 2
; COMPUTE_PGM_RSRC2:TRAP_HANDLER: 0
; COMPUTE_PGM_RSRC2:TGID_X_EN: 1
; COMPUTE_PGM_RSRC2:TGID_Y_EN: 0
; COMPUTE_PGM_RSRC2:TGID_Z_EN: 0
; COMPUTE_PGM_RSRC2:TIDIG_COMP_CNT: 0
	.section	.text._ZN7rocprim17ROCPRIM_400000_NS6detail17trampoline_kernelINS0_14default_configENS1_27scan_by_key_config_selectorIiiEEZZNS1_16scan_by_key_implILNS1_25lookback_scan_determinismE0ELb1ES3_N6thrust23THRUST_200600_302600_NS6detail15normal_iteratorINS9_10device_ptrIiEEEENSB_INSC_IjEEEESE_iNS9_4plusIvEENS9_8equal_toIvEEiEE10hipError_tPvRmT2_T3_T4_T5_mT6_T7_P12ihipStream_tbENKUlT_T0_E_clISt17integral_constantIbLb0EES11_EEDaSW_SX_EUlSW_E_NS1_11comp_targetILNS1_3genE4ELNS1_11target_archE910ELNS1_3gpuE8ELNS1_3repE0EEENS1_30default_config_static_selectorELNS0_4arch9wavefront6targetE0EEEvT1_,"axG",@progbits,_ZN7rocprim17ROCPRIM_400000_NS6detail17trampoline_kernelINS0_14default_configENS1_27scan_by_key_config_selectorIiiEEZZNS1_16scan_by_key_implILNS1_25lookback_scan_determinismE0ELb1ES3_N6thrust23THRUST_200600_302600_NS6detail15normal_iteratorINS9_10device_ptrIiEEEENSB_INSC_IjEEEESE_iNS9_4plusIvEENS9_8equal_toIvEEiEE10hipError_tPvRmT2_T3_T4_T5_mT6_T7_P12ihipStream_tbENKUlT_T0_E_clISt17integral_constantIbLb0EES11_EEDaSW_SX_EUlSW_E_NS1_11comp_targetILNS1_3genE4ELNS1_11target_archE910ELNS1_3gpuE8ELNS1_3repE0EEENS1_30default_config_static_selectorELNS0_4arch9wavefront6targetE0EEEvT1_,comdat
	.protected	_ZN7rocprim17ROCPRIM_400000_NS6detail17trampoline_kernelINS0_14default_configENS1_27scan_by_key_config_selectorIiiEEZZNS1_16scan_by_key_implILNS1_25lookback_scan_determinismE0ELb1ES3_N6thrust23THRUST_200600_302600_NS6detail15normal_iteratorINS9_10device_ptrIiEEEENSB_INSC_IjEEEESE_iNS9_4plusIvEENS9_8equal_toIvEEiEE10hipError_tPvRmT2_T3_T4_T5_mT6_T7_P12ihipStream_tbENKUlT_T0_E_clISt17integral_constantIbLb0EES11_EEDaSW_SX_EUlSW_E_NS1_11comp_targetILNS1_3genE4ELNS1_11target_archE910ELNS1_3gpuE8ELNS1_3repE0EEENS1_30default_config_static_selectorELNS0_4arch9wavefront6targetE0EEEvT1_ ; -- Begin function _ZN7rocprim17ROCPRIM_400000_NS6detail17trampoline_kernelINS0_14default_configENS1_27scan_by_key_config_selectorIiiEEZZNS1_16scan_by_key_implILNS1_25lookback_scan_determinismE0ELb1ES3_N6thrust23THRUST_200600_302600_NS6detail15normal_iteratorINS9_10device_ptrIiEEEENSB_INSC_IjEEEESE_iNS9_4plusIvEENS9_8equal_toIvEEiEE10hipError_tPvRmT2_T3_T4_T5_mT6_T7_P12ihipStream_tbENKUlT_T0_E_clISt17integral_constantIbLb0EES11_EEDaSW_SX_EUlSW_E_NS1_11comp_targetILNS1_3genE4ELNS1_11target_archE910ELNS1_3gpuE8ELNS1_3repE0EEENS1_30default_config_static_selectorELNS0_4arch9wavefront6targetE0EEEvT1_
	.globl	_ZN7rocprim17ROCPRIM_400000_NS6detail17trampoline_kernelINS0_14default_configENS1_27scan_by_key_config_selectorIiiEEZZNS1_16scan_by_key_implILNS1_25lookback_scan_determinismE0ELb1ES3_N6thrust23THRUST_200600_302600_NS6detail15normal_iteratorINS9_10device_ptrIiEEEENSB_INSC_IjEEEESE_iNS9_4plusIvEENS9_8equal_toIvEEiEE10hipError_tPvRmT2_T3_T4_T5_mT6_T7_P12ihipStream_tbENKUlT_T0_E_clISt17integral_constantIbLb0EES11_EEDaSW_SX_EUlSW_E_NS1_11comp_targetILNS1_3genE4ELNS1_11target_archE910ELNS1_3gpuE8ELNS1_3repE0EEENS1_30default_config_static_selectorELNS0_4arch9wavefront6targetE0EEEvT1_
	.p2align	8
	.type	_ZN7rocprim17ROCPRIM_400000_NS6detail17trampoline_kernelINS0_14default_configENS1_27scan_by_key_config_selectorIiiEEZZNS1_16scan_by_key_implILNS1_25lookback_scan_determinismE0ELb1ES3_N6thrust23THRUST_200600_302600_NS6detail15normal_iteratorINS9_10device_ptrIiEEEENSB_INSC_IjEEEESE_iNS9_4plusIvEENS9_8equal_toIvEEiEE10hipError_tPvRmT2_T3_T4_T5_mT6_T7_P12ihipStream_tbENKUlT_T0_E_clISt17integral_constantIbLb0EES11_EEDaSW_SX_EUlSW_E_NS1_11comp_targetILNS1_3genE4ELNS1_11target_archE910ELNS1_3gpuE8ELNS1_3repE0EEENS1_30default_config_static_selectorELNS0_4arch9wavefront6targetE0EEEvT1_,@function
_ZN7rocprim17ROCPRIM_400000_NS6detail17trampoline_kernelINS0_14default_configENS1_27scan_by_key_config_selectorIiiEEZZNS1_16scan_by_key_implILNS1_25lookback_scan_determinismE0ELb1ES3_N6thrust23THRUST_200600_302600_NS6detail15normal_iteratorINS9_10device_ptrIiEEEENSB_INSC_IjEEEESE_iNS9_4plusIvEENS9_8equal_toIvEEiEE10hipError_tPvRmT2_T3_T4_T5_mT6_T7_P12ihipStream_tbENKUlT_T0_E_clISt17integral_constantIbLb0EES11_EEDaSW_SX_EUlSW_E_NS1_11comp_targetILNS1_3genE4ELNS1_11target_archE910ELNS1_3gpuE8ELNS1_3repE0EEENS1_30default_config_static_selectorELNS0_4arch9wavefront6targetE0EEEvT1_: ; @_ZN7rocprim17ROCPRIM_400000_NS6detail17trampoline_kernelINS0_14default_configENS1_27scan_by_key_config_selectorIiiEEZZNS1_16scan_by_key_implILNS1_25lookback_scan_determinismE0ELb1ES3_N6thrust23THRUST_200600_302600_NS6detail15normal_iteratorINS9_10device_ptrIiEEEENSB_INSC_IjEEEESE_iNS9_4plusIvEENS9_8equal_toIvEEiEE10hipError_tPvRmT2_T3_T4_T5_mT6_T7_P12ihipStream_tbENKUlT_T0_E_clISt17integral_constantIbLb0EES11_EEDaSW_SX_EUlSW_E_NS1_11comp_targetILNS1_3genE4ELNS1_11target_archE910ELNS1_3gpuE8ELNS1_3repE0EEENS1_30default_config_static_selectorELNS0_4arch9wavefront6targetE0EEEvT1_
; %bb.0:
	.section	.rodata,"a",@progbits
	.p2align	6, 0x0
	.amdhsa_kernel _ZN7rocprim17ROCPRIM_400000_NS6detail17trampoline_kernelINS0_14default_configENS1_27scan_by_key_config_selectorIiiEEZZNS1_16scan_by_key_implILNS1_25lookback_scan_determinismE0ELb1ES3_N6thrust23THRUST_200600_302600_NS6detail15normal_iteratorINS9_10device_ptrIiEEEENSB_INSC_IjEEEESE_iNS9_4plusIvEENS9_8equal_toIvEEiEE10hipError_tPvRmT2_T3_T4_T5_mT6_T7_P12ihipStream_tbENKUlT_T0_E_clISt17integral_constantIbLb0EES11_EEDaSW_SX_EUlSW_E_NS1_11comp_targetILNS1_3genE4ELNS1_11target_archE910ELNS1_3gpuE8ELNS1_3repE0EEENS1_30default_config_static_selectorELNS0_4arch9wavefront6targetE0EEEvT1_
		.amdhsa_group_segment_fixed_size 0
		.amdhsa_private_segment_fixed_size 0
		.amdhsa_kernarg_size 112
		.amdhsa_user_sgpr_count 2
		.amdhsa_user_sgpr_dispatch_ptr 0
		.amdhsa_user_sgpr_queue_ptr 0
		.amdhsa_user_sgpr_kernarg_segment_ptr 1
		.amdhsa_user_sgpr_dispatch_id 0
		.amdhsa_user_sgpr_kernarg_preload_length 0
		.amdhsa_user_sgpr_kernarg_preload_offset 0
		.amdhsa_user_sgpr_private_segment_size 0
		.amdhsa_wavefront_size32 1
		.amdhsa_uses_dynamic_stack 0
		.amdhsa_enable_private_segment 0
		.amdhsa_system_sgpr_workgroup_id_x 1
		.amdhsa_system_sgpr_workgroup_id_y 0
		.amdhsa_system_sgpr_workgroup_id_z 0
		.amdhsa_system_sgpr_workgroup_info 0
		.amdhsa_system_vgpr_workitem_id 0
		.amdhsa_next_free_vgpr 1
		.amdhsa_next_free_sgpr 1
		.amdhsa_named_barrier_count 0
		.amdhsa_reserve_vcc 0
		.amdhsa_float_round_mode_32 0
		.amdhsa_float_round_mode_16_64 0
		.amdhsa_float_denorm_mode_32 3
		.amdhsa_float_denorm_mode_16_64 3
		.amdhsa_fp16_overflow 0
		.amdhsa_memory_ordered 1
		.amdhsa_forward_progress 1
		.amdhsa_inst_pref_size 0
		.amdhsa_round_robin_scheduling 0
		.amdhsa_exception_fp_ieee_invalid_op 0
		.amdhsa_exception_fp_denorm_src 0
		.amdhsa_exception_fp_ieee_div_zero 0
		.amdhsa_exception_fp_ieee_overflow 0
		.amdhsa_exception_fp_ieee_underflow 0
		.amdhsa_exception_fp_ieee_inexact 0
		.amdhsa_exception_int_div_zero 0
	.end_amdhsa_kernel
	.section	.text._ZN7rocprim17ROCPRIM_400000_NS6detail17trampoline_kernelINS0_14default_configENS1_27scan_by_key_config_selectorIiiEEZZNS1_16scan_by_key_implILNS1_25lookback_scan_determinismE0ELb1ES3_N6thrust23THRUST_200600_302600_NS6detail15normal_iteratorINS9_10device_ptrIiEEEENSB_INSC_IjEEEESE_iNS9_4plusIvEENS9_8equal_toIvEEiEE10hipError_tPvRmT2_T3_T4_T5_mT6_T7_P12ihipStream_tbENKUlT_T0_E_clISt17integral_constantIbLb0EES11_EEDaSW_SX_EUlSW_E_NS1_11comp_targetILNS1_3genE4ELNS1_11target_archE910ELNS1_3gpuE8ELNS1_3repE0EEENS1_30default_config_static_selectorELNS0_4arch9wavefront6targetE0EEEvT1_,"axG",@progbits,_ZN7rocprim17ROCPRIM_400000_NS6detail17trampoline_kernelINS0_14default_configENS1_27scan_by_key_config_selectorIiiEEZZNS1_16scan_by_key_implILNS1_25lookback_scan_determinismE0ELb1ES3_N6thrust23THRUST_200600_302600_NS6detail15normal_iteratorINS9_10device_ptrIiEEEENSB_INSC_IjEEEESE_iNS9_4plusIvEENS9_8equal_toIvEEiEE10hipError_tPvRmT2_T3_T4_T5_mT6_T7_P12ihipStream_tbENKUlT_T0_E_clISt17integral_constantIbLb0EES11_EEDaSW_SX_EUlSW_E_NS1_11comp_targetILNS1_3genE4ELNS1_11target_archE910ELNS1_3gpuE8ELNS1_3repE0EEENS1_30default_config_static_selectorELNS0_4arch9wavefront6targetE0EEEvT1_,comdat
.Lfunc_end1755:
	.size	_ZN7rocprim17ROCPRIM_400000_NS6detail17trampoline_kernelINS0_14default_configENS1_27scan_by_key_config_selectorIiiEEZZNS1_16scan_by_key_implILNS1_25lookback_scan_determinismE0ELb1ES3_N6thrust23THRUST_200600_302600_NS6detail15normal_iteratorINS9_10device_ptrIiEEEENSB_INSC_IjEEEESE_iNS9_4plusIvEENS9_8equal_toIvEEiEE10hipError_tPvRmT2_T3_T4_T5_mT6_T7_P12ihipStream_tbENKUlT_T0_E_clISt17integral_constantIbLb0EES11_EEDaSW_SX_EUlSW_E_NS1_11comp_targetILNS1_3genE4ELNS1_11target_archE910ELNS1_3gpuE8ELNS1_3repE0EEENS1_30default_config_static_selectorELNS0_4arch9wavefront6targetE0EEEvT1_, .Lfunc_end1755-_ZN7rocprim17ROCPRIM_400000_NS6detail17trampoline_kernelINS0_14default_configENS1_27scan_by_key_config_selectorIiiEEZZNS1_16scan_by_key_implILNS1_25lookback_scan_determinismE0ELb1ES3_N6thrust23THRUST_200600_302600_NS6detail15normal_iteratorINS9_10device_ptrIiEEEENSB_INSC_IjEEEESE_iNS9_4plusIvEENS9_8equal_toIvEEiEE10hipError_tPvRmT2_T3_T4_T5_mT6_T7_P12ihipStream_tbENKUlT_T0_E_clISt17integral_constantIbLb0EES11_EEDaSW_SX_EUlSW_E_NS1_11comp_targetILNS1_3genE4ELNS1_11target_archE910ELNS1_3gpuE8ELNS1_3repE0EEENS1_30default_config_static_selectorELNS0_4arch9wavefront6targetE0EEEvT1_
                                        ; -- End function
	.set _ZN7rocprim17ROCPRIM_400000_NS6detail17trampoline_kernelINS0_14default_configENS1_27scan_by_key_config_selectorIiiEEZZNS1_16scan_by_key_implILNS1_25lookback_scan_determinismE0ELb1ES3_N6thrust23THRUST_200600_302600_NS6detail15normal_iteratorINS9_10device_ptrIiEEEENSB_INSC_IjEEEESE_iNS9_4plusIvEENS9_8equal_toIvEEiEE10hipError_tPvRmT2_T3_T4_T5_mT6_T7_P12ihipStream_tbENKUlT_T0_E_clISt17integral_constantIbLb0EES11_EEDaSW_SX_EUlSW_E_NS1_11comp_targetILNS1_3genE4ELNS1_11target_archE910ELNS1_3gpuE8ELNS1_3repE0EEENS1_30default_config_static_selectorELNS0_4arch9wavefront6targetE0EEEvT1_.num_vgpr, 0
	.set _ZN7rocprim17ROCPRIM_400000_NS6detail17trampoline_kernelINS0_14default_configENS1_27scan_by_key_config_selectorIiiEEZZNS1_16scan_by_key_implILNS1_25lookback_scan_determinismE0ELb1ES3_N6thrust23THRUST_200600_302600_NS6detail15normal_iteratorINS9_10device_ptrIiEEEENSB_INSC_IjEEEESE_iNS9_4plusIvEENS9_8equal_toIvEEiEE10hipError_tPvRmT2_T3_T4_T5_mT6_T7_P12ihipStream_tbENKUlT_T0_E_clISt17integral_constantIbLb0EES11_EEDaSW_SX_EUlSW_E_NS1_11comp_targetILNS1_3genE4ELNS1_11target_archE910ELNS1_3gpuE8ELNS1_3repE0EEENS1_30default_config_static_selectorELNS0_4arch9wavefront6targetE0EEEvT1_.num_agpr, 0
	.set _ZN7rocprim17ROCPRIM_400000_NS6detail17trampoline_kernelINS0_14default_configENS1_27scan_by_key_config_selectorIiiEEZZNS1_16scan_by_key_implILNS1_25lookback_scan_determinismE0ELb1ES3_N6thrust23THRUST_200600_302600_NS6detail15normal_iteratorINS9_10device_ptrIiEEEENSB_INSC_IjEEEESE_iNS9_4plusIvEENS9_8equal_toIvEEiEE10hipError_tPvRmT2_T3_T4_T5_mT6_T7_P12ihipStream_tbENKUlT_T0_E_clISt17integral_constantIbLb0EES11_EEDaSW_SX_EUlSW_E_NS1_11comp_targetILNS1_3genE4ELNS1_11target_archE910ELNS1_3gpuE8ELNS1_3repE0EEENS1_30default_config_static_selectorELNS0_4arch9wavefront6targetE0EEEvT1_.numbered_sgpr, 0
	.set _ZN7rocprim17ROCPRIM_400000_NS6detail17trampoline_kernelINS0_14default_configENS1_27scan_by_key_config_selectorIiiEEZZNS1_16scan_by_key_implILNS1_25lookback_scan_determinismE0ELb1ES3_N6thrust23THRUST_200600_302600_NS6detail15normal_iteratorINS9_10device_ptrIiEEEENSB_INSC_IjEEEESE_iNS9_4plusIvEENS9_8equal_toIvEEiEE10hipError_tPvRmT2_T3_T4_T5_mT6_T7_P12ihipStream_tbENKUlT_T0_E_clISt17integral_constantIbLb0EES11_EEDaSW_SX_EUlSW_E_NS1_11comp_targetILNS1_3genE4ELNS1_11target_archE910ELNS1_3gpuE8ELNS1_3repE0EEENS1_30default_config_static_selectorELNS0_4arch9wavefront6targetE0EEEvT1_.num_named_barrier, 0
	.set _ZN7rocprim17ROCPRIM_400000_NS6detail17trampoline_kernelINS0_14default_configENS1_27scan_by_key_config_selectorIiiEEZZNS1_16scan_by_key_implILNS1_25lookback_scan_determinismE0ELb1ES3_N6thrust23THRUST_200600_302600_NS6detail15normal_iteratorINS9_10device_ptrIiEEEENSB_INSC_IjEEEESE_iNS9_4plusIvEENS9_8equal_toIvEEiEE10hipError_tPvRmT2_T3_T4_T5_mT6_T7_P12ihipStream_tbENKUlT_T0_E_clISt17integral_constantIbLb0EES11_EEDaSW_SX_EUlSW_E_NS1_11comp_targetILNS1_3genE4ELNS1_11target_archE910ELNS1_3gpuE8ELNS1_3repE0EEENS1_30default_config_static_selectorELNS0_4arch9wavefront6targetE0EEEvT1_.private_seg_size, 0
	.set _ZN7rocprim17ROCPRIM_400000_NS6detail17trampoline_kernelINS0_14default_configENS1_27scan_by_key_config_selectorIiiEEZZNS1_16scan_by_key_implILNS1_25lookback_scan_determinismE0ELb1ES3_N6thrust23THRUST_200600_302600_NS6detail15normal_iteratorINS9_10device_ptrIiEEEENSB_INSC_IjEEEESE_iNS9_4plusIvEENS9_8equal_toIvEEiEE10hipError_tPvRmT2_T3_T4_T5_mT6_T7_P12ihipStream_tbENKUlT_T0_E_clISt17integral_constantIbLb0EES11_EEDaSW_SX_EUlSW_E_NS1_11comp_targetILNS1_3genE4ELNS1_11target_archE910ELNS1_3gpuE8ELNS1_3repE0EEENS1_30default_config_static_selectorELNS0_4arch9wavefront6targetE0EEEvT1_.uses_vcc, 0
	.set _ZN7rocprim17ROCPRIM_400000_NS6detail17trampoline_kernelINS0_14default_configENS1_27scan_by_key_config_selectorIiiEEZZNS1_16scan_by_key_implILNS1_25lookback_scan_determinismE0ELb1ES3_N6thrust23THRUST_200600_302600_NS6detail15normal_iteratorINS9_10device_ptrIiEEEENSB_INSC_IjEEEESE_iNS9_4plusIvEENS9_8equal_toIvEEiEE10hipError_tPvRmT2_T3_T4_T5_mT6_T7_P12ihipStream_tbENKUlT_T0_E_clISt17integral_constantIbLb0EES11_EEDaSW_SX_EUlSW_E_NS1_11comp_targetILNS1_3genE4ELNS1_11target_archE910ELNS1_3gpuE8ELNS1_3repE0EEENS1_30default_config_static_selectorELNS0_4arch9wavefront6targetE0EEEvT1_.uses_flat_scratch, 0
	.set _ZN7rocprim17ROCPRIM_400000_NS6detail17trampoline_kernelINS0_14default_configENS1_27scan_by_key_config_selectorIiiEEZZNS1_16scan_by_key_implILNS1_25lookback_scan_determinismE0ELb1ES3_N6thrust23THRUST_200600_302600_NS6detail15normal_iteratorINS9_10device_ptrIiEEEENSB_INSC_IjEEEESE_iNS9_4plusIvEENS9_8equal_toIvEEiEE10hipError_tPvRmT2_T3_T4_T5_mT6_T7_P12ihipStream_tbENKUlT_T0_E_clISt17integral_constantIbLb0EES11_EEDaSW_SX_EUlSW_E_NS1_11comp_targetILNS1_3genE4ELNS1_11target_archE910ELNS1_3gpuE8ELNS1_3repE0EEENS1_30default_config_static_selectorELNS0_4arch9wavefront6targetE0EEEvT1_.has_dyn_sized_stack, 0
	.set _ZN7rocprim17ROCPRIM_400000_NS6detail17trampoline_kernelINS0_14default_configENS1_27scan_by_key_config_selectorIiiEEZZNS1_16scan_by_key_implILNS1_25lookback_scan_determinismE0ELb1ES3_N6thrust23THRUST_200600_302600_NS6detail15normal_iteratorINS9_10device_ptrIiEEEENSB_INSC_IjEEEESE_iNS9_4plusIvEENS9_8equal_toIvEEiEE10hipError_tPvRmT2_T3_T4_T5_mT6_T7_P12ihipStream_tbENKUlT_T0_E_clISt17integral_constantIbLb0EES11_EEDaSW_SX_EUlSW_E_NS1_11comp_targetILNS1_3genE4ELNS1_11target_archE910ELNS1_3gpuE8ELNS1_3repE0EEENS1_30default_config_static_selectorELNS0_4arch9wavefront6targetE0EEEvT1_.has_recursion, 0
	.set _ZN7rocprim17ROCPRIM_400000_NS6detail17trampoline_kernelINS0_14default_configENS1_27scan_by_key_config_selectorIiiEEZZNS1_16scan_by_key_implILNS1_25lookback_scan_determinismE0ELb1ES3_N6thrust23THRUST_200600_302600_NS6detail15normal_iteratorINS9_10device_ptrIiEEEENSB_INSC_IjEEEESE_iNS9_4plusIvEENS9_8equal_toIvEEiEE10hipError_tPvRmT2_T3_T4_T5_mT6_T7_P12ihipStream_tbENKUlT_T0_E_clISt17integral_constantIbLb0EES11_EEDaSW_SX_EUlSW_E_NS1_11comp_targetILNS1_3genE4ELNS1_11target_archE910ELNS1_3gpuE8ELNS1_3repE0EEENS1_30default_config_static_selectorELNS0_4arch9wavefront6targetE0EEEvT1_.has_indirect_call, 0
	.section	.AMDGPU.csdata,"",@progbits
; Kernel info:
; codeLenInByte = 0
; TotalNumSgprs: 0
; NumVgprs: 0
; ScratchSize: 0
; MemoryBound: 0
; FloatMode: 240
; IeeeMode: 1
; LDSByteSize: 0 bytes/workgroup (compile time only)
; SGPRBlocks: 0
; VGPRBlocks: 0
; NumSGPRsForWavesPerEU: 1
; NumVGPRsForWavesPerEU: 1
; NamedBarCnt: 0
; Occupancy: 16
; WaveLimiterHint : 0
; COMPUTE_PGM_RSRC2:SCRATCH_EN: 0
; COMPUTE_PGM_RSRC2:USER_SGPR: 2
; COMPUTE_PGM_RSRC2:TRAP_HANDLER: 0
; COMPUTE_PGM_RSRC2:TGID_X_EN: 1
; COMPUTE_PGM_RSRC2:TGID_Y_EN: 0
; COMPUTE_PGM_RSRC2:TGID_Z_EN: 0
; COMPUTE_PGM_RSRC2:TIDIG_COMP_CNT: 0
	.section	.text._ZN7rocprim17ROCPRIM_400000_NS6detail17trampoline_kernelINS0_14default_configENS1_27scan_by_key_config_selectorIiiEEZZNS1_16scan_by_key_implILNS1_25lookback_scan_determinismE0ELb1ES3_N6thrust23THRUST_200600_302600_NS6detail15normal_iteratorINS9_10device_ptrIiEEEENSB_INSC_IjEEEESE_iNS9_4plusIvEENS9_8equal_toIvEEiEE10hipError_tPvRmT2_T3_T4_T5_mT6_T7_P12ihipStream_tbENKUlT_T0_E_clISt17integral_constantIbLb0EES11_EEDaSW_SX_EUlSW_E_NS1_11comp_targetILNS1_3genE3ELNS1_11target_archE908ELNS1_3gpuE7ELNS1_3repE0EEENS1_30default_config_static_selectorELNS0_4arch9wavefront6targetE0EEEvT1_,"axG",@progbits,_ZN7rocprim17ROCPRIM_400000_NS6detail17trampoline_kernelINS0_14default_configENS1_27scan_by_key_config_selectorIiiEEZZNS1_16scan_by_key_implILNS1_25lookback_scan_determinismE0ELb1ES3_N6thrust23THRUST_200600_302600_NS6detail15normal_iteratorINS9_10device_ptrIiEEEENSB_INSC_IjEEEESE_iNS9_4plusIvEENS9_8equal_toIvEEiEE10hipError_tPvRmT2_T3_T4_T5_mT6_T7_P12ihipStream_tbENKUlT_T0_E_clISt17integral_constantIbLb0EES11_EEDaSW_SX_EUlSW_E_NS1_11comp_targetILNS1_3genE3ELNS1_11target_archE908ELNS1_3gpuE7ELNS1_3repE0EEENS1_30default_config_static_selectorELNS0_4arch9wavefront6targetE0EEEvT1_,comdat
	.protected	_ZN7rocprim17ROCPRIM_400000_NS6detail17trampoline_kernelINS0_14default_configENS1_27scan_by_key_config_selectorIiiEEZZNS1_16scan_by_key_implILNS1_25lookback_scan_determinismE0ELb1ES3_N6thrust23THRUST_200600_302600_NS6detail15normal_iteratorINS9_10device_ptrIiEEEENSB_INSC_IjEEEESE_iNS9_4plusIvEENS9_8equal_toIvEEiEE10hipError_tPvRmT2_T3_T4_T5_mT6_T7_P12ihipStream_tbENKUlT_T0_E_clISt17integral_constantIbLb0EES11_EEDaSW_SX_EUlSW_E_NS1_11comp_targetILNS1_3genE3ELNS1_11target_archE908ELNS1_3gpuE7ELNS1_3repE0EEENS1_30default_config_static_selectorELNS0_4arch9wavefront6targetE0EEEvT1_ ; -- Begin function _ZN7rocprim17ROCPRIM_400000_NS6detail17trampoline_kernelINS0_14default_configENS1_27scan_by_key_config_selectorIiiEEZZNS1_16scan_by_key_implILNS1_25lookback_scan_determinismE0ELb1ES3_N6thrust23THRUST_200600_302600_NS6detail15normal_iteratorINS9_10device_ptrIiEEEENSB_INSC_IjEEEESE_iNS9_4plusIvEENS9_8equal_toIvEEiEE10hipError_tPvRmT2_T3_T4_T5_mT6_T7_P12ihipStream_tbENKUlT_T0_E_clISt17integral_constantIbLb0EES11_EEDaSW_SX_EUlSW_E_NS1_11comp_targetILNS1_3genE3ELNS1_11target_archE908ELNS1_3gpuE7ELNS1_3repE0EEENS1_30default_config_static_selectorELNS0_4arch9wavefront6targetE0EEEvT1_
	.globl	_ZN7rocprim17ROCPRIM_400000_NS6detail17trampoline_kernelINS0_14default_configENS1_27scan_by_key_config_selectorIiiEEZZNS1_16scan_by_key_implILNS1_25lookback_scan_determinismE0ELb1ES3_N6thrust23THRUST_200600_302600_NS6detail15normal_iteratorINS9_10device_ptrIiEEEENSB_INSC_IjEEEESE_iNS9_4plusIvEENS9_8equal_toIvEEiEE10hipError_tPvRmT2_T3_T4_T5_mT6_T7_P12ihipStream_tbENKUlT_T0_E_clISt17integral_constantIbLb0EES11_EEDaSW_SX_EUlSW_E_NS1_11comp_targetILNS1_3genE3ELNS1_11target_archE908ELNS1_3gpuE7ELNS1_3repE0EEENS1_30default_config_static_selectorELNS0_4arch9wavefront6targetE0EEEvT1_
	.p2align	8
	.type	_ZN7rocprim17ROCPRIM_400000_NS6detail17trampoline_kernelINS0_14default_configENS1_27scan_by_key_config_selectorIiiEEZZNS1_16scan_by_key_implILNS1_25lookback_scan_determinismE0ELb1ES3_N6thrust23THRUST_200600_302600_NS6detail15normal_iteratorINS9_10device_ptrIiEEEENSB_INSC_IjEEEESE_iNS9_4plusIvEENS9_8equal_toIvEEiEE10hipError_tPvRmT2_T3_T4_T5_mT6_T7_P12ihipStream_tbENKUlT_T0_E_clISt17integral_constantIbLb0EES11_EEDaSW_SX_EUlSW_E_NS1_11comp_targetILNS1_3genE3ELNS1_11target_archE908ELNS1_3gpuE7ELNS1_3repE0EEENS1_30default_config_static_selectorELNS0_4arch9wavefront6targetE0EEEvT1_,@function
_ZN7rocprim17ROCPRIM_400000_NS6detail17trampoline_kernelINS0_14default_configENS1_27scan_by_key_config_selectorIiiEEZZNS1_16scan_by_key_implILNS1_25lookback_scan_determinismE0ELb1ES3_N6thrust23THRUST_200600_302600_NS6detail15normal_iteratorINS9_10device_ptrIiEEEENSB_INSC_IjEEEESE_iNS9_4plusIvEENS9_8equal_toIvEEiEE10hipError_tPvRmT2_T3_T4_T5_mT6_T7_P12ihipStream_tbENKUlT_T0_E_clISt17integral_constantIbLb0EES11_EEDaSW_SX_EUlSW_E_NS1_11comp_targetILNS1_3genE3ELNS1_11target_archE908ELNS1_3gpuE7ELNS1_3repE0EEENS1_30default_config_static_selectorELNS0_4arch9wavefront6targetE0EEEvT1_: ; @_ZN7rocprim17ROCPRIM_400000_NS6detail17trampoline_kernelINS0_14default_configENS1_27scan_by_key_config_selectorIiiEEZZNS1_16scan_by_key_implILNS1_25lookback_scan_determinismE0ELb1ES3_N6thrust23THRUST_200600_302600_NS6detail15normal_iteratorINS9_10device_ptrIiEEEENSB_INSC_IjEEEESE_iNS9_4plusIvEENS9_8equal_toIvEEiEE10hipError_tPvRmT2_T3_T4_T5_mT6_T7_P12ihipStream_tbENKUlT_T0_E_clISt17integral_constantIbLb0EES11_EEDaSW_SX_EUlSW_E_NS1_11comp_targetILNS1_3genE3ELNS1_11target_archE908ELNS1_3gpuE7ELNS1_3repE0EEENS1_30default_config_static_selectorELNS0_4arch9wavefront6targetE0EEEvT1_
; %bb.0:
	.section	.rodata,"a",@progbits
	.p2align	6, 0x0
	.amdhsa_kernel _ZN7rocprim17ROCPRIM_400000_NS6detail17trampoline_kernelINS0_14default_configENS1_27scan_by_key_config_selectorIiiEEZZNS1_16scan_by_key_implILNS1_25lookback_scan_determinismE0ELb1ES3_N6thrust23THRUST_200600_302600_NS6detail15normal_iteratorINS9_10device_ptrIiEEEENSB_INSC_IjEEEESE_iNS9_4plusIvEENS9_8equal_toIvEEiEE10hipError_tPvRmT2_T3_T4_T5_mT6_T7_P12ihipStream_tbENKUlT_T0_E_clISt17integral_constantIbLb0EES11_EEDaSW_SX_EUlSW_E_NS1_11comp_targetILNS1_3genE3ELNS1_11target_archE908ELNS1_3gpuE7ELNS1_3repE0EEENS1_30default_config_static_selectorELNS0_4arch9wavefront6targetE0EEEvT1_
		.amdhsa_group_segment_fixed_size 0
		.amdhsa_private_segment_fixed_size 0
		.amdhsa_kernarg_size 112
		.amdhsa_user_sgpr_count 2
		.amdhsa_user_sgpr_dispatch_ptr 0
		.amdhsa_user_sgpr_queue_ptr 0
		.amdhsa_user_sgpr_kernarg_segment_ptr 1
		.amdhsa_user_sgpr_dispatch_id 0
		.amdhsa_user_sgpr_kernarg_preload_length 0
		.amdhsa_user_sgpr_kernarg_preload_offset 0
		.amdhsa_user_sgpr_private_segment_size 0
		.amdhsa_wavefront_size32 1
		.amdhsa_uses_dynamic_stack 0
		.amdhsa_enable_private_segment 0
		.amdhsa_system_sgpr_workgroup_id_x 1
		.amdhsa_system_sgpr_workgroup_id_y 0
		.amdhsa_system_sgpr_workgroup_id_z 0
		.amdhsa_system_sgpr_workgroup_info 0
		.amdhsa_system_vgpr_workitem_id 0
		.amdhsa_next_free_vgpr 1
		.amdhsa_next_free_sgpr 1
		.amdhsa_named_barrier_count 0
		.amdhsa_reserve_vcc 0
		.amdhsa_float_round_mode_32 0
		.amdhsa_float_round_mode_16_64 0
		.amdhsa_float_denorm_mode_32 3
		.amdhsa_float_denorm_mode_16_64 3
		.amdhsa_fp16_overflow 0
		.amdhsa_memory_ordered 1
		.amdhsa_forward_progress 1
		.amdhsa_inst_pref_size 0
		.amdhsa_round_robin_scheduling 0
		.amdhsa_exception_fp_ieee_invalid_op 0
		.amdhsa_exception_fp_denorm_src 0
		.amdhsa_exception_fp_ieee_div_zero 0
		.amdhsa_exception_fp_ieee_overflow 0
		.amdhsa_exception_fp_ieee_underflow 0
		.amdhsa_exception_fp_ieee_inexact 0
		.amdhsa_exception_int_div_zero 0
	.end_amdhsa_kernel
	.section	.text._ZN7rocprim17ROCPRIM_400000_NS6detail17trampoline_kernelINS0_14default_configENS1_27scan_by_key_config_selectorIiiEEZZNS1_16scan_by_key_implILNS1_25lookback_scan_determinismE0ELb1ES3_N6thrust23THRUST_200600_302600_NS6detail15normal_iteratorINS9_10device_ptrIiEEEENSB_INSC_IjEEEESE_iNS9_4plusIvEENS9_8equal_toIvEEiEE10hipError_tPvRmT2_T3_T4_T5_mT6_T7_P12ihipStream_tbENKUlT_T0_E_clISt17integral_constantIbLb0EES11_EEDaSW_SX_EUlSW_E_NS1_11comp_targetILNS1_3genE3ELNS1_11target_archE908ELNS1_3gpuE7ELNS1_3repE0EEENS1_30default_config_static_selectorELNS0_4arch9wavefront6targetE0EEEvT1_,"axG",@progbits,_ZN7rocprim17ROCPRIM_400000_NS6detail17trampoline_kernelINS0_14default_configENS1_27scan_by_key_config_selectorIiiEEZZNS1_16scan_by_key_implILNS1_25lookback_scan_determinismE0ELb1ES3_N6thrust23THRUST_200600_302600_NS6detail15normal_iteratorINS9_10device_ptrIiEEEENSB_INSC_IjEEEESE_iNS9_4plusIvEENS9_8equal_toIvEEiEE10hipError_tPvRmT2_T3_T4_T5_mT6_T7_P12ihipStream_tbENKUlT_T0_E_clISt17integral_constantIbLb0EES11_EEDaSW_SX_EUlSW_E_NS1_11comp_targetILNS1_3genE3ELNS1_11target_archE908ELNS1_3gpuE7ELNS1_3repE0EEENS1_30default_config_static_selectorELNS0_4arch9wavefront6targetE0EEEvT1_,comdat
.Lfunc_end1756:
	.size	_ZN7rocprim17ROCPRIM_400000_NS6detail17trampoline_kernelINS0_14default_configENS1_27scan_by_key_config_selectorIiiEEZZNS1_16scan_by_key_implILNS1_25lookback_scan_determinismE0ELb1ES3_N6thrust23THRUST_200600_302600_NS6detail15normal_iteratorINS9_10device_ptrIiEEEENSB_INSC_IjEEEESE_iNS9_4plusIvEENS9_8equal_toIvEEiEE10hipError_tPvRmT2_T3_T4_T5_mT6_T7_P12ihipStream_tbENKUlT_T0_E_clISt17integral_constantIbLb0EES11_EEDaSW_SX_EUlSW_E_NS1_11comp_targetILNS1_3genE3ELNS1_11target_archE908ELNS1_3gpuE7ELNS1_3repE0EEENS1_30default_config_static_selectorELNS0_4arch9wavefront6targetE0EEEvT1_, .Lfunc_end1756-_ZN7rocprim17ROCPRIM_400000_NS6detail17trampoline_kernelINS0_14default_configENS1_27scan_by_key_config_selectorIiiEEZZNS1_16scan_by_key_implILNS1_25lookback_scan_determinismE0ELb1ES3_N6thrust23THRUST_200600_302600_NS6detail15normal_iteratorINS9_10device_ptrIiEEEENSB_INSC_IjEEEESE_iNS9_4plusIvEENS9_8equal_toIvEEiEE10hipError_tPvRmT2_T3_T4_T5_mT6_T7_P12ihipStream_tbENKUlT_T0_E_clISt17integral_constantIbLb0EES11_EEDaSW_SX_EUlSW_E_NS1_11comp_targetILNS1_3genE3ELNS1_11target_archE908ELNS1_3gpuE7ELNS1_3repE0EEENS1_30default_config_static_selectorELNS0_4arch9wavefront6targetE0EEEvT1_
                                        ; -- End function
	.set _ZN7rocprim17ROCPRIM_400000_NS6detail17trampoline_kernelINS0_14default_configENS1_27scan_by_key_config_selectorIiiEEZZNS1_16scan_by_key_implILNS1_25lookback_scan_determinismE0ELb1ES3_N6thrust23THRUST_200600_302600_NS6detail15normal_iteratorINS9_10device_ptrIiEEEENSB_INSC_IjEEEESE_iNS9_4plusIvEENS9_8equal_toIvEEiEE10hipError_tPvRmT2_T3_T4_T5_mT6_T7_P12ihipStream_tbENKUlT_T0_E_clISt17integral_constantIbLb0EES11_EEDaSW_SX_EUlSW_E_NS1_11comp_targetILNS1_3genE3ELNS1_11target_archE908ELNS1_3gpuE7ELNS1_3repE0EEENS1_30default_config_static_selectorELNS0_4arch9wavefront6targetE0EEEvT1_.num_vgpr, 0
	.set _ZN7rocprim17ROCPRIM_400000_NS6detail17trampoline_kernelINS0_14default_configENS1_27scan_by_key_config_selectorIiiEEZZNS1_16scan_by_key_implILNS1_25lookback_scan_determinismE0ELb1ES3_N6thrust23THRUST_200600_302600_NS6detail15normal_iteratorINS9_10device_ptrIiEEEENSB_INSC_IjEEEESE_iNS9_4plusIvEENS9_8equal_toIvEEiEE10hipError_tPvRmT2_T3_T4_T5_mT6_T7_P12ihipStream_tbENKUlT_T0_E_clISt17integral_constantIbLb0EES11_EEDaSW_SX_EUlSW_E_NS1_11comp_targetILNS1_3genE3ELNS1_11target_archE908ELNS1_3gpuE7ELNS1_3repE0EEENS1_30default_config_static_selectorELNS0_4arch9wavefront6targetE0EEEvT1_.num_agpr, 0
	.set _ZN7rocprim17ROCPRIM_400000_NS6detail17trampoline_kernelINS0_14default_configENS1_27scan_by_key_config_selectorIiiEEZZNS1_16scan_by_key_implILNS1_25lookback_scan_determinismE0ELb1ES3_N6thrust23THRUST_200600_302600_NS6detail15normal_iteratorINS9_10device_ptrIiEEEENSB_INSC_IjEEEESE_iNS9_4plusIvEENS9_8equal_toIvEEiEE10hipError_tPvRmT2_T3_T4_T5_mT6_T7_P12ihipStream_tbENKUlT_T0_E_clISt17integral_constantIbLb0EES11_EEDaSW_SX_EUlSW_E_NS1_11comp_targetILNS1_3genE3ELNS1_11target_archE908ELNS1_3gpuE7ELNS1_3repE0EEENS1_30default_config_static_selectorELNS0_4arch9wavefront6targetE0EEEvT1_.numbered_sgpr, 0
	.set _ZN7rocprim17ROCPRIM_400000_NS6detail17trampoline_kernelINS0_14default_configENS1_27scan_by_key_config_selectorIiiEEZZNS1_16scan_by_key_implILNS1_25lookback_scan_determinismE0ELb1ES3_N6thrust23THRUST_200600_302600_NS6detail15normal_iteratorINS9_10device_ptrIiEEEENSB_INSC_IjEEEESE_iNS9_4plusIvEENS9_8equal_toIvEEiEE10hipError_tPvRmT2_T3_T4_T5_mT6_T7_P12ihipStream_tbENKUlT_T0_E_clISt17integral_constantIbLb0EES11_EEDaSW_SX_EUlSW_E_NS1_11comp_targetILNS1_3genE3ELNS1_11target_archE908ELNS1_3gpuE7ELNS1_3repE0EEENS1_30default_config_static_selectorELNS0_4arch9wavefront6targetE0EEEvT1_.num_named_barrier, 0
	.set _ZN7rocprim17ROCPRIM_400000_NS6detail17trampoline_kernelINS0_14default_configENS1_27scan_by_key_config_selectorIiiEEZZNS1_16scan_by_key_implILNS1_25lookback_scan_determinismE0ELb1ES3_N6thrust23THRUST_200600_302600_NS6detail15normal_iteratorINS9_10device_ptrIiEEEENSB_INSC_IjEEEESE_iNS9_4plusIvEENS9_8equal_toIvEEiEE10hipError_tPvRmT2_T3_T4_T5_mT6_T7_P12ihipStream_tbENKUlT_T0_E_clISt17integral_constantIbLb0EES11_EEDaSW_SX_EUlSW_E_NS1_11comp_targetILNS1_3genE3ELNS1_11target_archE908ELNS1_3gpuE7ELNS1_3repE0EEENS1_30default_config_static_selectorELNS0_4arch9wavefront6targetE0EEEvT1_.private_seg_size, 0
	.set _ZN7rocprim17ROCPRIM_400000_NS6detail17trampoline_kernelINS0_14default_configENS1_27scan_by_key_config_selectorIiiEEZZNS1_16scan_by_key_implILNS1_25lookback_scan_determinismE0ELb1ES3_N6thrust23THRUST_200600_302600_NS6detail15normal_iteratorINS9_10device_ptrIiEEEENSB_INSC_IjEEEESE_iNS9_4plusIvEENS9_8equal_toIvEEiEE10hipError_tPvRmT2_T3_T4_T5_mT6_T7_P12ihipStream_tbENKUlT_T0_E_clISt17integral_constantIbLb0EES11_EEDaSW_SX_EUlSW_E_NS1_11comp_targetILNS1_3genE3ELNS1_11target_archE908ELNS1_3gpuE7ELNS1_3repE0EEENS1_30default_config_static_selectorELNS0_4arch9wavefront6targetE0EEEvT1_.uses_vcc, 0
	.set _ZN7rocprim17ROCPRIM_400000_NS6detail17trampoline_kernelINS0_14default_configENS1_27scan_by_key_config_selectorIiiEEZZNS1_16scan_by_key_implILNS1_25lookback_scan_determinismE0ELb1ES3_N6thrust23THRUST_200600_302600_NS6detail15normal_iteratorINS9_10device_ptrIiEEEENSB_INSC_IjEEEESE_iNS9_4plusIvEENS9_8equal_toIvEEiEE10hipError_tPvRmT2_T3_T4_T5_mT6_T7_P12ihipStream_tbENKUlT_T0_E_clISt17integral_constantIbLb0EES11_EEDaSW_SX_EUlSW_E_NS1_11comp_targetILNS1_3genE3ELNS1_11target_archE908ELNS1_3gpuE7ELNS1_3repE0EEENS1_30default_config_static_selectorELNS0_4arch9wavefront6targetE0EEEvT1_.uses_flat_scratch, 0
	.set _ZN7rocprim17ROCPRIM_400000_NS6detail17trampoline_kernelINS0_14default_configENS1_27scan_by_key_config_selectorIiiEEZZNS1_16scan_by_key_implILNS1_25lookback_scan_determinismE0ELb1ES3_N6thrust23THRUST_200600_302600_NS6detail15normal_iteratorINS9_10device_ptrIiEEEENSB_INSC_IjEEEESE_iNS9_4plusIvEENS9_8equal_toIvEEiEE10hipError_tPvRmT2_T3_T4_T5_mT6_T7_P12ihipStream_tbENKUlT_T0_E_clISt17integral_constantIbLb0EES11_EEDaSW_SX_EUlSW_E_NS1_11comp_targetILNS1_3genE3ELNS1_11target_archE908ELNS1_3gpuE7ELNS1_3repE0EEENS1_30default_config_static_selectorELNS0_4arch9wavefront6targetE0EEEvT1_.has_dyn_sized_stack, 0
	.set _ZN7rocprim17ROCPRIM_400000_NS6detail17trampoline_kernelINS0_14default_configENS1_27scan_by_key_config_selectorIiiEEZZNS1_16scan_by_key_implILNS1_25lookback_scan_determinismE0ELb1ES3_N6thrust23THRUST_200600_302600_NS6detail15normal_iteratorINS9_10device_ptrIiEEEENSB_INSC_IjEEEESE_iNS9_4plusIvEENS9_8equal_toIvEEiEE10hipError_tPvRmT2_T3_T4_T5_mT6_T7_P12ihipStream_tbENKUlT_T0_E_clISt17integral_constantIbLb0EES11_EEDaSW_SX_EUlSW_E_NS1_11comp_targetILNS1_3genE3ELNS1_11target_archE908ELNS1_3gpuE7ELNS1_3repE0EEENS1_30default_config_static_selectorELNS0_4arch9wavefront6targetE0EEEvT1_.has_recursion, 0
	.set _ZN7rocprim17ROCPRIM_400000_NS6detail17trampoline_kernelINS0_14default_configENS1_27scan_by_key_config_selectorIiiEEZZNS1_16scan_by_key_implILNS1_25lookback_scan_determinismE0ELb1ES3_N6thrust23THRUST_200600_302600_NS6detail15normal_iteratorINS9_10device_ptrIiEEEENSB_INSC_IjEEEESE_iNS9_4plusIvEENS9_8equal_toIvEEiEE10hipError_tPvRmT2_T3_T4_T5_mT6_T7_P12ihipStream_tbENKUlT_T0_E_clISt17integral_constantIbLb0EES11_EEDaSW_SX_EUlSW_E_NS1_11comp_targetILNS1_3genE3ELNS1_11target_archE908ELNS1_3gpuE7ELNS1_3repE0EEENS1_30default_config_static_selectorELNS0_4arch9wavefront6targetE0EEEvT1_.has_indirect_call, 0
	.section	.AMDGPU.csdata,"",@progbits
; Kernel info:
; codeLenInByte = 0
; TotalNumSgprs: 0
; NumVgprs: 0
; ScratchSize: 0
; MemoryBound: 0
; FloatMode: 240
; IeeeMode: 1
; LDSByteSize: 0 bytes/workgroup (compile time only)
; SGPRBlocks: 0
; VGPRBlocks: 0
; NumSGPRsForWavesPerEU: 1
; NumVGPRsForWavesPerEU: 1
; NamedBarCnt: 0
; Occupancy: 16
; WaveLimiterHint : 0
; COMPUTE_PGM_RSRC2:SCRATCH_EN: 0
; COMPUTE_PGM_RSRC2:USER_SGPR: 2
; COMPUTE_PGM_RSRC2:TRAP_HANDLER: 0
; COMPUTE_PGM_RSRC2:TGID_X_EN: 1
; COMPUTE_PGM_RSRC2:TGID_Y_EN: 0
; COMPUTE_PGM_RSRC2:TGID_Z_EN: 0
; COMPUTE_PGM_RSRC2:TIDIG_COMP_CNT: 0
	.section	.text._ZN7rocprim17ROCPRIM_400000_NS6detail17trampoline_kernelINS0_14default_configENS1_27scan_by_key_config_selectorIiiEEZZNS1_16scan_by_key_implILNS1_25lookback_scan_determinismE0ELb1ES3_N6thrust23THRUST_200600_302600_NS6detail15normal_iteratorINS9_10device_ptrIiEEEENSB_INSC_IjEEEESE_iNS9_4plusIvEENS9_8equal_toIvEEiEE10hipError_tPvRmT2_T3_T4_T5_mT6_T7_P12ihipStream_tbENKUlT_T0_E_clISt17integral_constantIbLb0EES11_EEDaSW_SX_EUlSW_E_NS1_11comp_targetILNS1_3genE2ELNS1_11target_archE906ELNS1_3gpuE6ELNS1_3repE0EEENS1_30default_config_static_selectorELNS0_4arch9wavefront6targetE0EEEvT1_,"axG",@progbits,_ZN7rocprim17ROCPRIM_400000_NS6detail17trampoline_kernelINS0_14default_configENS1_27scan_by_key_config_selectorIiiEEZZNS1_16scan_by_key_implILNS1_25lookback_scan_determinismE0ELb1ES3_N6thrust23THRUST_200600_302600_NS6detail15normal_iteratorINS9_10device_ptrIiEEEENSB_INSC_IjEEEESE_iNS9_4plusIvEENS9_8equal_toIvEEiEE10hipError_tPvRmT2_T3_T4_T5_mT6_T7_P12ihipStream_tbENKUlT_T0_E_clISt17integral_constantIbLb0EES11_EEDaSW_SX_EUlSW_E_NS1_11comp_targetILNS1_3genE2ELNS1_11target_archE906ELNS1_3gpuE6ELNS1_3repE0EEENS1_30default_config_static_selectorELNS0_4arch9wavefront6targetE0EEEvT1_,comdat
	.protected	_ZN7rocprim17ROCPRIM_400000_NS6detail17trampoline_kernelINS0_14default_configENS1_27scan_by_key_config_selectorIiiEEZZNS1_16scan_by_key_implILNS1_25lookback_scan_determinismE0ELb1ES3_N6thrust23THRUST_200600_302600_NS6detail15normal_iteratorINS9_10device_ptrIiEEEENSB_INSC_IjEEEESE_iNS9_4plusIvEENS9_8equal_toIvEEiEE10hipError_tPvRmT2_T3_T4_T5_mT6_T7_P12ihipStream_tbENKUlT_T0_E_clISt17integral_constantIbLb0EES11_EEDaSW_SX_EUlSW_E_NS1_11comp_targetILNS1_3genE2ELNS1_11target_archE906ELNS1_3gpuE6ELNS1_3repE0EEENS1_30default_config_static_selectorELNS0_4arch9wavefront6targetE0EEEvT1_ ; -- Begin function _ZN7rocprim17ROCPRIM_400000_NS6detail17trampoline_kernelINS0_14default_configENS1_27scan_by_key_config_selectorIiiEEZZNS1_16scan_by_key_implILNS1_25lookback_scan_determinismE0ELb1ES3_N6thrust23THRUST_200600_302600_NS6detail15normal_iteratorINS9_10device_ptrIiEEEENSB_INSC_IjEEEESE_iNS9_4plusIvEENS9_8equal_toIvEEiEE10hipError_tPvRmT2_T3_T4_T5_mT6_T7_P12ihipStream_tbENKUlT_T0_E_clISt17integral_constantIbLb0EES11_EEDaSW_SX_EUlSW_E_NS1_11comp_targetILNS1_3genE2ELNS1_11target_archE906ELNS1_3gpuE6ELNS1_3repE0EEENS1_30default_config_static_selectorELNS0_4arch9wavefront6targetE0EEEvT1_
	.globl	_ZN7rocprim17ROCPRIM_400000_NS6detail17trampoline_kernelINS0_14default_configENS1_27scan_by_key_config_selectorIiiEEZZNS1_16scan_by_key_implILNS1_25lookback_scan_determinismE0ELb1ES3_N6thrust23THRUST_200600_302600_NS6detail15normal_iteratorINS9_10device_ptrIiEEEENSB_INSC_IjEEEESE_iNS9_4plusIvEENS9_8equal_toIvEEiEE10hipError_tPvRmT2_T3_T4_T5_mT6_T7_P12ihipStream_tbENKUlT_T0_E_clISt17integral_constantIbLb0EES11_EEDaSW_SX_EUlSW_E_NS1_11comp_targetILNS1_3genE2ELNS1_11target_archE906ELNS1_3gpuE6ELNS1_3repE0EEENS1_30default_config_static_selectorELNS0_4arch9wavefront6targetE0EEEvT1_
	.p2align	8
	.type	_ZN7rocprim17ROCPRIM_400000_NS6detail17trampoline_kernelINS0_14default_configENS1_27scan_by_key_config_selectorIiiEEZZNS1_16scan_by_key_implILNS1_25lookback_scan_determinismE0ELb1ES3_N6thrust23THRUST_200600_302600_NS6detail15normal_iteratorINS9_10device_ptrIiEEEENSB_INSC_IjEEEESE_iNS9_4plusIvEENS9_8equal_toIvEEiEE10hipError_tPvRmT2_T3_T4_T5_mT6_T7_P12ihipStream_tbENKUlT_T0_E_clISt17integral_constantIbLb0EES11_EEDaSW_SX_EUlSW_E_NS1_11comp_targetILNS1_3genE2ELNS1_11target_archE906ELNS1_3gpuE6ELNS1_3repE0EEENS1_30default_config_static_selectorELNS0_4arch9wavefront6targetE0EEEvT1_,@function
_ZN7rocprim17ROCPRIM_400000_NS6detail17trampoline_kernelINS0_14default_configENS1_27scan_by_key_config_selectorIiiEEZZNS1_16scan_by_key_implILNS1_25lookback_scan_determinismE0ELb1ES3_N6thrust23THRUST_200600_302600_NS6detail15normal_iteratorINS9_10device_ptrIiEEEENSB_INSC_IjEEEESE_iNS9_4plusIvEENS9_8equal_toIvEEiEE10hipError_tPvRmT2_T3_T4_T5_mT6_T7_P12ihipStream_tbENKUlT_T0_E_clISt17integral_constantIbLb0EES11_EEDaSW_SX_EUlSW_E_NS1_11comp_targetILNS1_3genE2ELNS1_11target_archE906ELNS1_3gpuE6ELNS1_3repE0EEENS1_30default_config_static_selectorELNS0_4arch9wavefront6targetE0EEEvT1_: ; @_ZN7rocprim17ROCPRIM_400000_NS6detail17trampoline_kernelINS0_14default_configENS1_27scan_by_key_config_selectorIiiEEZZNS1_16scan_by_key_implILNS1_25lookback_scan_determinismE0ELb1ES3_N6thrust23THRUST_200600_302600_NS6detail15normal_iteratorINS9_10device_ptrIiEEEENSB_INSC_IjEEEESE_iNS9_4plusIvEENS9_8equal_toIvEEiEE10hipError_tPvRmT2_T3_T4_T5_mT6_T7_P12ihipStream_tbENKUlT_T0_E_clISt17integral_constantIbLb0EES11_EEDaSW_SX_EUlSW_E_NS1_11comp_targetILNS1_3genE2ELNS1_11target_archE906ELNS1_3gpuE6ELNS1_3repE0EEENS1_30default_config_static_selectorELNS0_4arch9wavefront6targetE0EEEvT1_
; %bb.0:
	.section	.rodata,"a",@progbits
	.p2align	6, 0x0
	.amdhsa_kernel _ZN7rocprim17ROCPRIM_400000_NS6detail17trampoline_kernelINS0_14default_configENS1_27scan_by_key_config_selectorIiiEEZZNS1_16scan_by_key_implILNS1_25lookback_scan_determinismE0ELb1ES3_N6thrust23THRUST_200600_302600_NS6detail15normal_iteratorINS9_10device_ptrIiEEEENSB_INSC_IjEEEESE_iNS9_4plusIvEENS9_8equal_toIvEEiEE10hipError_tPvRmT2_T3_T4_T5_mT6_T7_P12ihipStream_tbENKUlT_T0_E_clISt17integral_constantIbLb0EES11_EEDaSW_SX_EUlSW_E_NS1_11comp_targetILNS1_3genE2ELNS1_11target_archE906ELNS1_3gpuE6ELNS1_3repE0EEENS1_30default_config_static_selectorELNS0_4arch9wavefront6targetE0EEEvT1_
		.amdhsa_group_segment_fixed_size 0
		.amdhsa_private_segment_fixed_size 0
		.amdhsa_kernarg_size 112
		.amdhsa_user_sgpr_count 2
		.amdhsa_user_sgpr_dispatch_ptr 0
		.amdhsa_user_sgpr_queue_ptr 0
		.amdhsa_user_sgpr_kernarg_segment_ptr 1
		.amdhsa_user_sgpr_dispatch_id 0
		.amdhsa_user_sgpr_kernarg_preload_length 0
		.amdhsa_user_sgpr_kernarg_preload_offset 0
		.amdhsa_user_sgpr_private_segment_size 0
		.amdhsa_wavefront_size32 1
		.amdhsa_uses_dynamic_stack 0
		.amdhsa_enable_private_segment 0
		.amdhsa_system_sgpr_workgroup_id_x 1
		.amdhsa_system_sgpr_workgroup_id_y 0
		.amdhsa_system_sgpr_workgroup_id_z 0
		.amdhsa_system_sgpr_workgroup_info 0
		.amdhsa_system_vgpr_workitem_id 0
		.amdhsa_next_free_vgpr 1
		.amdhsa_next_free_sgpr 1
		.amdhsa_named_barrier_count 0
		.amdhsa_reserve_vcc 0
		.amdhsa_float_round_mode_32 0
		.amdhsa_float_round_mode_16_64 0
		.amdhsa_float_denorm_mode_32 3
		.amdhsa_float_denorm_mode_16_64 3
		.amdhsa_fp16_overflow 0
		.amdhsa_memory_ordered 1
		.amdhsa_forward_progress 1
		.amdhsa_inst_pref_size 0
		.amdhsa_round_robin_scheduling 0
		.amdhsa_exception_fp_ieee_invalid_op 0
		.amdhsa_exception_fp_denorm_src 0
		.amdhsa_exception_fp_ieee_div_zero 0
		.amdhsa_exception_fp_ieee_overflow 0
		.amdhsa_exception_fp_ieee_underflow 0
		.amdhsa_exception_fp_ieee_inexact 0
		.amdhsa_exception_int_div_zero 0
	.end_amdhsa_kernel
	.section	.text._ZN7rocprim17ROCPRIM_400000_NS6detail17trampoline_kernelINS0_14default_configENS1_27scan_by_key_config_selectorIiiEEZZNS1_16scan_by_key_implILNS1_25lookback_scan_determinismE0ELb1ES3_N6thrust23THRUST_200600_302600_NS6detail15normal_iteratorINS9_10device_ptrIiEEEENSB_INSC_IjEEEESE_iNS9_4plusIvEENS9_8equal_toIvEEiEE10hipError_tPvRmT2_T3_T4_T5_mT6_T7_P12ihipStream_tbENKUlT_T0_E_clISt17integral_constantIbLb0EES11_EEDaSW_SX_EUlSW_E_NS1_11comp_targetILNS1_3genE2ELNS1_11target_archE906ELNS1_3gpuE6ELNS1_3repE0EEENS1_30default_config_static_selectorELNS0_4arch9wavefront6targetE0EEEvT1_,"axG",@progbits,_ZN7rocprim17ROCPRIM_400000_NS6detail17trampoline_kernelINS0_14default_configENS1_27scan_by_key_config_selectorIiiEEZZNS1_16scan_by_key_implILNS1_25lookback_scan_determinismE0ELb1ES3_N6thrust23THRUST_200600_302600_NS6detail15normal_iteratorINS9_10device_ptrIiEEEENSB_INSC_IjEEEESE_iNS9_4plusIvEENS9_8equal_toIvEEiEE10hipError_tPvRmT2_T3_T4_T5_mT6_T7_P12ihipStream_tbENKUlT_T0_E_clISt17integral_constantIbLb0EES11_EEDaSW_SX_EUlSW_E_NS1_11comp_targetILNS1_3genE2ELNS1_11target_archE906ELNS1_3gpuE6ELNS1_3repE0EEENS1_30default_config_static_selectorELNS0_4arch9wavefront6targetE0EEEvT1_,comdat
.Lfunc_end1757:
	.size	_ZN7rocprim17ROCPRIM_400000_NS6detail17trampoline_kernelINS0_14default_configENS1_27scan_by_key_config_selectorIiiEEZZNS1_16scan_by_key_implILNS1_25lookback_scan_determinismE0ELb1ES3_N6thrust23THRUST_200600_302600_NS6detail15normal_iteratorINS9_10device_ptrIiEEEENSB_INSC_IjEEEESE_iNS9_4plusIvEENS9_8equal_toIvEEiEE10hipError_tPvRmT2_T3_T4_T5_mT6_T7_P12ihipStream_tbENKUlT_T0_E_clISt17integral_constantIbLb0EES11_EEDaSW_SX_EUlSW_E_NS1_11comp_targetILNS1_3genE2ELNS1_11target_archE906ELNS1_3gpuE6ELNS1_3repE0EEENS1_30default_config_static_selectorELNS0_4arch9wavefront6targetE0EEEvT1_, .Lfunc_end1757-_ZN7rocprim17ROCPRIM_400000_NS6detail17trampoline_kernelINS0_14default_configENS1_27scan_by_key_config_selectorIiiEEZZNS1_16scan_by_key_implILNS1_25lookback_scan_determinismE0ELb1ES3_N6thrust23THRUST_200600_302600_NS6detail15normal_iteratorINS9_10device_ptrIiEEEENSB_INSC_IjEEEESE_iNS9_4plusIvEENS9_8equal_toIvEEiEE10hipError_tPvRmT2_T3_T4_T5_mT6_T7_P12ihipStream_tbENKUlT_T0_E_clISt17integral_constantIbLb0EES11_EEDaSW_SX_EUlSW_E_NS1_11comp_targetILNS1_3genE2ELNS1_11target_archE906ELNS1_3gpuE6ELNS1_3repE0EEENS1_30default_config_static_selectorELNS0_4arch9wavefront6targetE0EEEvT1_
                                        ; -- End function
	.set _ZN7rocprim17ROCPRIM_400000_NS6detail17trampoline_kernelINS0_14default_configENS1_27scan_by_key_config_selectorIiiEEZZNS1_16scan_by_key_implILNS1_25lookback_scan_determinismE0ELb1ES3_N6thrust23THRUST_200600_302600_NS6detail15normal_iteratorINS9_10device_ptrIiEEEENSB_INSC_IjEEEESE_iNS9_4plusIvEENS9_8equal_toIvEEiEE10hipError_tPvRmT2_T3_T4_T5_mT6_T7_P12ihipStream_tbENKUlT_T0_E_clISt17integral_constantIbLb0EES11_EEDaSW_SX_EUlSW_E_NS1_11comp_targetILNS1_3genE2ELNS1_11target_archE906ELNS1_3gpuE6ELNS1_3repE0EEENS1_30default_config_static_selectorELNS0_4arch9wavefront6targetE0EEEvT1_.num_vgpr, 0
	.set _ZN7rocprim17ROCPRIM_400000_NS6detail17trampoline_kernelINS0_14default_configENS1_27scan_by_key_config_selectorIiiEEZZNS1_16scan_by_key_implILNS1_25lookback_scan_determinismE0ELb1ES3_N6thrust23THRUST_200600_302600_NS6detail15normal_iteratorINS9_10device_ptrIiEEEENSB_INSC_IjEEEESE_iNS9_4plusIvEENS9_8equal_toIvEEiEE10hipError_tPvRmT2_T3_T4_T5_mT6_T7_P12ihipStream_tbENKUlT_T0_E_clISt17integral_constantIbLb0EES11_EEDaSW_SX_EUlSW_E_NS1_11comp_targetILNS1_3genE2ELNS1_11target_archE906ELNS1_3gpuE6ELNS1_3repE0EEENS1_30default_config_static_selectorELNS0_4arch9wavefront6targetE0EEEvT1_.num_agpr, 0
	.set _ZN7rocprim17ROCPRIM_400000_NS6detail17trampoline_kernelINS0_14default_configENS1_27scan_by_key_config_selectorIiiEEZZNS1_16scan_by_key_implILNS1_25lookback_scan_determinismE0ELb1ES3_N6thrust23THRUST_200600_302600_NS6detail15normal_iteratorINS9_10device_ptrIiEEEENSB_INSC_IjEEEESE_iNS9_4plusIvEENS9_8equal_toIvEEiEE10hipError_tPvRmT2_T3_T4_T5_mT6_T7_P12ihipStream_tbENKUlT_T0_E_clISt17integral_constantIbLb0EES11_EEDaSW_SX_EUlSW_E_NS1_11comp_targetILNS1_3genE2ELNS1_11target_archE906ELNS1_3gpuE6ELNS1_3repE0EEENS1_30default_config_static_selectorELNS0_4arch9wavefront6targetE0EEEvT1_.numbered_sgpr, 0
	.set _ZN7rocprim17ROCPRIM_400000_NS6detail17trampoline_kernelINS0_14default_configENS1_27scan_by_key_config_selectorIiiEEZZNS1_16scan_by_key_implILNS1_25lookback_scan_determinismE0ELb1ES3_N6thrust23THRUST_200600_302600_NS6detail15normal_iteratorINS9_10device_ptrIiEEEENSB_INSC_IjEEEESE_iNS9_4plusIvEENS9_8equal_toIvEEiEE10hipError_tPvRmT2_T3_T4_T5_mT6_T7_P12ihipStream_tbENKUlT_T0_E_clISt17integral_constantIbLb0EES11_EEDaSW_SX_EUlSW_E_NS1_11comp_targetILNS1_3genE2ELNS1_11target_archE906ELNS1_3gpuE6ELNS1_3repE0EEENS1_30default_config_static_selectorELNS0_4arch9wavefront6targetE0EEEvT1_.num_named_barrier, 0
	.set _ZN7rocprim17ROCPRIM_400000_NS6detail17trampoline_kernelINS0_14default_configENS1_27scan_by_key_config_selectorIiiEEZZNS1_16scan_by_key_implILNS1_25lookback_scan_determinismE0ELb1ES3_N6thrust23THRUST_200600_302600_NS6detail15normal_iteratorINS9_10device_ptrIiEEEENSB_INSC_IjEEEESE_iNS9_4plusIvEENS9_8equal_toIvEEiEE10hipError_tPvRmT2_T3_T4_T5_mT6_T7_P12ihipStream_tbENKUlT_T0_E_clISt17integral_constantIbLb0EES11_EEDaSW_SX_EUlSW_E_NS1_11comp_targetILNS1_3genE2ELNS1_11target_archE906ELNS1_3gpuE6ELNS1_3repE0EEENS1_30default_config_static_selectorELNS0_4arch9wavefront6targetE0EEEvT1_.private_seg_size, 0
	.set _ZN7rocprim17ROCPRIM_400000_NS6detail17trampoline_kernelINS0_14default_configENS1_27scan_by_key_config_selectorIiiEEZZNS1_16scan_by_key_implILNS1_25lookback_scan_determinismE0ELb1ES3_N6thrust23THRUST_200600_302600_NS6detail15normal_iteratorINS9_10device_ptrIiEEEENSB_INSC_IjEEEESE_iNS9_4plusIvEENS9_8equal_toIvEEiEE10hipError_tPvRmT2_T3_T4_T5_mT6_T7_P12ihipStream_tbENKUlT_T0_E_clISt17integral_constantIbLb0EES11_EEDaSW_SX_EUlSW_E_NS1_11comp_targetILNS1_3genE2ELNS1_11target_archE906ELNS1_3gpuE6ELNS1_3repE0EEENS1_30default_config_static_selectorELNS0_4arch9wavefront6targetE0EEEvT1_.uses_vcc, 0
	.set _ZN7rocprim17ROCPRIM_400000_NS6detail17trampoline_kernelINS0_14default_configENS1_27scan_by_key_config_selectorIiiEEZZNS1_16scan_by_key_implILNS1_25lookback_scan_determinismE0ELb1ES3_N6thrust23THRUST_200600_302600_NS6detail15normal_iteratorINS9_10device_ptrIiEEEENSB_INSC_IjEEEESE_iNS9_4plusIvEENS9_8equal_toIvEEiEE10hipError_tPvRmT2_T3_T4_T5_mT6_T7_P12ihipStream_tbENKUlT_T0_E_clISt17integral_constantIbLb0EES11_EEDaSW_SX_EUlSW_E_NS1_11comp_targetILNS1_3genE2ELNS1_11target_archE906ELNS1_3gpuE6ELNS1_3repE0EEENS1_30default_config_static_selectorELNS0_4arch9wavefront6targetE0EEEvT1_.uses_flat_scratch, 0
	.set _ZN7rocprim17ROCPRIM_400000_NS6detail17trampoline_kernelINS0_14default_configENS1_27scan_by_key_config_selectorIiiEEZZNS1_16scan_by_key_implILNS1_25lookback_scan_determinismE0ELb1ES3_N6thrust23THRUST_200600_302600_NS6detail15normal_iteratorINS9_10device_ptrIiEEEENSB_INSC_IjEEEESE_iNS9_4plusIvEENS9_8equal_toIvEEiEE10hipError_tPvRmT2_T3_T4_T5_mT6_T7_P12ihipStream_tbENKUlT_T0_E_clISt17integral_constantIbLb0EES11_EEDaSW_SX_EUlSW_E_NS1_11comp_targetILNS1_3genE2ELNS1_11target_archE906ELNS1_3gpuE6ELNS1_3repE0EEENS1_30default_config_static_selectorELNS0_4arch9wavefront6targetE0EEEvT1_.has_dyn_sized_stack, 0
	.set _ZN7rocprim17ROCPRIM_400000_NS6detail17trampoline_kernelINS0_14default_configENS1_27scan_by_key_config_selectorIiiEEZZNS1_16scan_by_key_implILNS1_25lookback_scan_determinismE0ELb1ES3_N6thrust23THRUST_200600_302600_NS6detail15normal_iteratorINS9_10device_ptrIiEEEENSB_INSC_IjEEEESE_iNS9_4plusIvEENS9_8equal_toIvEEiEE10hipError_tPvRmT2_T3_T4_T5_mT6_T7_P12ihipStream_tbENKUlT_T0_E_clISt17integral_constantIbLb0EES11_EEDaSW_SX_EUlSW_E_NS1_11comp_targetILNS1_3genE2ELNS1_11target_archE906ELNS1_3gpuE6ELNS1_3repE0EEENS1_30default_config_static_selectorELNS0_4arch9wavefront6targetE0EEEvT1_.has_recursion, 0
	.set _ZN7rocprim17ROCPRIM_400000_NS6detail17trampoline_kernelINS0_14default_configENS1_27scan_by_key_config_selectorIiiEEZZNS1_16scan_by_key_implILNS1_25lookback_scan_determinismE0ELb1ES3_N6thrust23THRUST_200600_302600_NS6detail15normal_iteratorINS9_10device_ptrIiEEEENSB_INSC_IjEEEESE_iNS9_4plusIvEENS9_8equal_toIvEEiEE10hipError_tPvRmT2_T3_T4_T5_mT6_T7_P12ihipStream_tbENKUlT_T0_E_clISt17integral_constantIbLb0EES11_EEDaSW_SX_EUlSW_E_NS1_11comp_targetILNS1_3genE2ELNS1_11target_archE906ELNS1_3gpuE6ELNS1_3repE0EEENS1_30default_config_static_selectorELNS0_4arch9wavefront6targetE0EEEvT1_.has_indirect_call, 0
	.section	.AMDGPU.csdata,"",@progbits
; Kernel info:
; codeLenInByte = 0
; TotalNumSgprs: 0
; NumVgprs: 0
; ScratchSize: 0
; MemoryBound: 0
; FloatMode: 240
; IeeeMode: 1
; LDSByteSize: 0 bytes/workgroup (compile time only)
; SGPRBlocks: 0
; VGPRBlocks: 0
; NumSGPRsForWavesPerEU: 1
; NumVGPRsForWavesPerEU: 1
; NamedBarCnt: 0
; Occupancy: 16
; WaveLimiterHint : 0
; COMPUTE_PGM_RSRC2:SCRATCH_EN: 0
; COMPUTE_PGM_RSRC2:USER_SGPR: 2
; COMPUTE_PGM_RSRC2:TRAP_HANDLER: 0
; COMPUTE_PGM_RSRC2:TGID_X_EN: 1
; COMPUTE_PGM_RSRC2:TGID_Y_EN: 0
; COMPUTE_PGM_RSRC2:TGID_Z_EN: 0
; COMPUTE_PGM_RSRC2:TIDIG_COMP_CNT: 0
	.section	.text._ZN7rocprim17ROCPRIM_400000_NS6detail17trampoline_kernelINS0_14default_configENS1_27scan_by_key_config_selectorIiiEEZZNS1_16scan_by_key_implILNS1_25lookback_scan_determinismE0ELb1ES3_N6thrust23THRUST_200600_302600_NS6detail15normal_iteratorINS9_10device_ptrIiEEEENSB_INSC_IjEEEESE_iNS9_4plusIvEENS9_8equal_toIvEEiEE10hipError_tPvRmT2_T3_T4_T5_mT6_T7_P12ihipStream_tbENKUlT_T0_E_clISt17integral_constantIbLb0EES11_EEDaSW_SX_EUlSW_E_NS1_11comp_targetILNS1_3genE10ELNS1_11target_archE1200ELNS1_3gpuE4ELNS1_3repE0EEENS1_30default_config_static_selectorELNS0_4arch9wavefront6targetE0EEEvT1_,"axG",@progbits,_ZN7rocprim17ROCPRIM_400000_NS6detail17trampoline_kernelINS0_14default_configENS1_27scan_by_key_config_selectorIiiEEZZNS1_16scan_by_key_implILNS1_25lookback_scan_determinismE0ELb1ES3_N6thrust23THRUST_200600_302600_NS6detail15normal_iteratorINS9_10device_ptrIiEEEENSB_INSC_IjEEEESE_iNS9_4plusIvEENS9_8equal_toIvEEiEE10hipError_tPvRmT2_T3_T4_T5_mT6_T7_P12ihipStream_tbENKUlT_T0_E_clISt17integral_constantIbLb0EES11_EEDaSW_SX_EUlSW_E_NS1_11comp_targetILNS1_3genE10ELNS1_11target_archE1200ELNS1_3gpuE4ELNS1_3repE0EEENS1_30default_config_static_selectorELNS0_4arch9wavefront6targetE0EEEvT1_,comdat
	.protected	_ZN7rocprim17ROCPRIM_400000_NS6detail17trampoline_kernelINS0_14default_configENS1_27scan_by_key_config_selectorIiiEEZZNS1_16scan_by_key_implILNS1_25lookback_scan_determinismE0ELb1ES3_N6thrust23THRUST_200600_302600_NS6detail15normal_iteratorINS9_10device_ptrIiEEEENSB_INSC_IjEEEESE_iNS9_4plusIvEENS9_8equal_toIvEEiEE10hipError_tPvRmT2_T3_T4_T5_mT6_T7_P12ihipStream_tbENKUlT_T0_E_clISt17integral_constantIbLb0EES11_EEDaSW_SX_EUlSW_E_NS1_11comp_targetILNS1_3genE10ELNS1_11target_archE1200ELNS1_3gpuE4ELNS1_3repE0EEENS1_30default_config_static_selectorELNS0_4arch9wavefront6targetE0EEEvT1_ ; -- Begin function _ZN7rocprim17ROCPRIM_400000_NS6detail17trampoline_kernelINS0_14default_configENS1_27scan_by_key_config_selectorIiiEEZZNS1_16scan_by_key_implILNS1_25lookback_scan_determinismE0ELb1ES3_N6thrust23THRUST_200600_302600_NS6detail15normal_iteratorINS9_10device_ptrIiEEEENSB_INSC_IjEEEESE_iNS9_4plusIvEENS9_8equal_toIvEEiEE10hipError_tPvRmT2_T3_T4_T5_mT6_T7_P12ihipStream_tbENKUlT_T0_E_clISt17integral_constantIbLb0EES11_EEDaSW_SX_EUlSW_E_NS1_11comp_targetILNS1_3genE10ELNS1_11target_archE1200ELNS1_3gpuE4ELNS1_3repE0EEENS1_30default_config_static_selectorELNS0_4arch9wavefront6targetE0EEEvT1_
	.globl	_ZN7rocprim17ROCPRIM_400000_NS6detail17trampoline_kernelINS0_14default_configENS1_27scan_by_key_config_selectorIiiEEZZNS1_16scan_by_key_implILNS1_25lookback_scan_determinismE0ELb1ES3_N6thrust23THRUST_200600_302600_NS6detail15normal_iteratorINS9_10device_ptrIiEEEENSB_INSC_IjEEEESE_iNS9_4plusIvEENS9_8equal_toIvEEiEE10hipError_tPvRmT2_T3_T4_T5_mT6_T7_P12ihipStream_tbENKUlT_T0_E_clISt17integral_constantIbLb0EES11_EEDaSW_SX_EUlSW_E_NS1_11comp_targetILNS1_3genE10ELNS1_11target_archE1200ELNS1_3gpuE4ELNS1_3repE0EEENS1_30default_config_static_selectorELNS0_4arch9wavefront6targetE0EEEvT1_
	.p2align	8
	.type	_ZN7rocprim17ROCPRIM_400000_NS6detail17trampoline_kernelINS0_14default_configENS1_27scan_by_key_config_selectorIiiEEZZNS1_16scan_by_key_implILNS1_25lookback_scan_determinismE0ELb1ES3_N6thrust23THRUST_200600_302600_NS6detail15normal_iteratorINS9_10device_ptrIiEEEENSB_INSC_IjEEEESE_iNS9_4plusIvEENS9_8equal_toIvEEiEE10hipError_tPvRmT2_T3_T4_T5_mT6_T7_P12ihipStream_tbENKUlT_T0_E_clISt17integral_constantIbLb0EES11_EEDaSW_SX_EUlSW_E_NS1_11comp_targetILNS1_3genE10ELNS1_11target_archE1200ELNS1_3gpuE4ELNS1_3repE0EEENS1_30default_config_static_selectorELNS0_4arch9wavefront6targetE0EEEvT1_,@function
_ZN7rocprim17ROCPRIM_400000_NS6detail17trampoline_kernelINS0_14default_configENS1_27scan_by_key_config_selectorIiiEEZZNS1_16scan_by_key_implILNS1_25lookback_scan_determinismE0ELb1ES3_N6thrust23THRUST_200600_302600_NS6detail15normal_iteratorINS9_10device_ptrIiEEEENSB_INSC_IjEEEESE_iNS9_4plusIvEENS9_8equal_toIvEEiEE10hipError_tPvRmT2_T3_T4_T5_mT6_T7_P12ihipStream_tbENKUlT_T0_E_clISt17integral_constantIbLb0EES11_EEDaSW_SX_EUlSW_E_NS1_11comp_targetILNS1_3genE10ELNS1_11target_archE1200ELNS1_3gpuE4ELNS1_3repE0EEENS1_30default_config_static_selectorELNS0_4arch9wavefront6targetE0EEEvT1_: ; @_ZN7rocprim17ROCPRIM_400000_NS6detail17trampoline_kernelINS0_14default_configENS1_27scan_by_key_config_selectorIiiEEZZNS1_16scan_by_key_implILNS1_25lookback_scan_determinismE0ELb1ES3_N6thrust23THRUST_200600_302600_NS6detail15normal_iteratorINS9_10device_ptrIiEEEENSB_INSC_IjEEEESE_iNS9_4plusIvEENS9_8equal_toIvEEiEE10hipError_tPvRmT2_T3_T4_T5_mT6_T7_P12ihipStream_tbENKUlT_T0_E_clISt17integral_constantIbLb0EES11_EEDaSW_SX_EUlSW_E_NS1_11comp_targetILNS1_3genE10ELNS1_11target_archE1200ELNS1_3gpuE4ELNS1_3repE0EEENS1_30default_config_static_selectorELNS0_4arch9wavefront6targetE0EEEvT1_
; %bb.0:
	.section	.rodata,"a",@progbits
	.p2align	6, 0x0
	.amdhsa_kernel _ZN7rocprim17ROCPRIM_400000_NS6detail17trampoline_kernelINS0_14default_configENS1_27scan_by_key_config_selectorIiiEEZZNS1_16scan_by_key_implILNS1_25lookback_scan_determinismE0ELb1ES3_N6thrust23THRUST_200600_302600_NS6detail15normal_iteratorINS9_10device_ptrIiEEEENSB_INSC_IjEEEESE_iNS9_4plusIvEENS9_8equal_toIvEEiEE10hipError_tPvRmT2_T3_T4_T5_mT6_T7_P12ihipStream_tbENKUlT_T0_E_clISt17integral_constantIbLb0EES11_EEDaSW_SX_EUlSW_E_NS1_11comp_targetILNS1_3genE10ELNS1_11target_archE1200ELNS1_3gpuE4ELNS1_3repE0EEENS1_30default_config_static_selectorELNS0_4arch9wavefront6targetE0EEEvT1_
		.amdhsa_group_segment_fixed_size 0
		.amdhsa_private_segment_fixed_size 0
		.amdhsa_kernarg_size 112
		.amdhsa_user_sgpr_count 2
		.amdhsa_user_sgpr_dispatch_ptr 0
		.amdhsa_user_sgpr_queue_ptr 0
		.amdhsa_user_sgpr_kernarg_segment_ptr 1
		.amdhsa_user_sgpr_dispatch_id 0
		.amdhsa_user_sgpr_kernarg_preload_length 0
		.amdhsa_user_sgpr_kernarg_preload_offset 0
		.amdhsa_user_sgpr_private_segment_size 0
		.amdhsa_wavefront_size32 1
		.amdhsa_uses_dynamic_stack 0
		.amdhsa_enable_private_segment 0
		.amdhsa_system_sgpr_workgroup_id_x 1
		.amdhsa_system_sgpr_workgroup_id_y 0
		.amdhsa_system_sgpr_workgroup_id_z 0
		.amdhsa_system_sgpr_workgroup_info 0
		.amdhsa_system_vgpr_workitem_id 0
		.amdhsa_next_free_vgpr 1
		.amdhsa_next_free_sgpr 1
		.amdhsa_named_barrier_count 0
		.amdhsa_reserve_vcc 0
		.amdhsa_float_round_mode_32 0
		.amdhsa_float_round_mode_16_64 0
		.amdhsa_float_denorm_mode_32 3
		.amdhsa_float_denorm_mode_16_64 3
		.amdhsa_fp16_overflow 0
		.amdhsa_memory_ordered 1
		.amdhsa_forward_progress 1
		.amdhsa_inst_pref_size 0
		.amdhsa_round_robin_scheduling 0
		.amdhsa_exception_fp_ieee_invalid_op 0
		.amdhsa_exception_fp_denorm_src 0
		.amdhsa_exception_fp_ieee_div_zero 0
		.amdhsa_exception_fp_ieee_overflow 0
		.amdhsa_exception_fp_ieee_underflow 0
		.amdhsa_exception_fp_ieee_inexact 0
		.amdhsa_exception_int_div_zero 0
	.end_amdhsa_kernel
	.section	.text._ZN7rocprim17ROCPRIM_400000_NS6detail17trampoline_kernelINS0_14default_configENS1_27scan_by_key_config_selectorIiiEEZZNS1_16scan_by_key_implILNS1_25lookback_scan_determinismE0ELb1ES3_N6thrust23THRUST_200600_302600_NS6detail15normal_iteratorINS9_10device_ptrIiEEEENSB_INSC_IjEEEESE_iNS9_4plusIvEENS9_8equal_toIvEEiEE10hipError_tPvRmT2_T3_T4_T5_mT6_T7_P12ihipStream_tbENKUlT_T0_E_clISt17integral_constantIbLb0EES11_EEDaSW_SX_EUlSW_E_NS1_11comp_targetILNS1_3genE10ELNS1_11target_archE1200ELNS1_3gpuE4ELNS1_3repE0EEENS1_30default_config_static_selectorELNS0_4arch9wavefront6targetE0EEEvT1_,"axG",@progbits,_ZN7rocprim17ROCPRIM_400000_NS6detail17trampoline_kernelINS0_14default_configENS1_27scan_by_key_config_selectorIiiEEZZNS1_16scan_by_key_implILNS1_25lookback_scan_determinismE0ELb1ES3_N6thrust23THRUST_200600_302600_NS6detail15normal_iteratorINS9_10device_ptrIiEEEENSB_INSC_IjEEEESE_iNS9_4plusIvEENS9_8equal_toIvEEiEE10hipError_tPvRmT2_T3_T4_T5_mT6_T7_P12ihipStream_tbENKUlT_T0_E_clISt17integral_constantIbLb0EES11_EEDaSW_SX_EUlSW_E_NS1_11comp_targetILNS1_3genE10ELNS1_11target_archE1200ELNS1_3gpuE4ELNS1_3repE0EEENS1_30default_config_static_selectorELNS0_4arch9wavefront6targetE0EEEvT1_,comdat
.Lfunc_end1758:
	.size	_ZN7rocprim17ROCPRIM_400000_NS6detail17trampoline_kernelINS0_14default_configENS1_27scan_by_key_config_selectorIiiEEZZNS1_16scan_by_key_implILNS1_25lookback_scan_determinismE0ELb1ES3_N6thrust23THRUST_200600_302600_NS6detail15normal_iteratorINS9_10device_ptrIiEEEENSB_INSC_IjEEEESE_iNS9_4plusIvEENS9_8equal_toIvEEiEE10hipError_tPvRmT2_T3_T4_T5_mT6_T7_P12ihipStream_tbENKUlT_T0_E_clISt17integral_constantIbLb0EES11_EEDaSW_SX_EUlSW_E_NS1_11comp_targetILNS1_3genE10ELNS1_11target_archE1200ELNS1_3gpuE4ELNS1_3repE0EEENS1_30default_config_static_selectorELNS0_4arch9wavefront6targetE0EEEvT1_, .Lfunc_end1758-_ZN7rocprim17ROCPRIM_400000_NS6detail17trampoline_kernelINS0_14default_configENS1_27scan_by_key_config_selectorIiiEEZZNS1_16scan_by_key_implILNS1_25lookback_scan_determinismE0ELb1ES3_N6thrust23THRUST_200600_302600_NS6detail15normal_iteratorINS9_10device_ptrIiEEEENSB_INSC_IjEEEESE_iNS9_4plusIvEENS9_8equal_toIvEEiEE10hipError_tPvRmT2_T3_T4_T5_mT6_T7_P12ihipStream_tbENKUlT_T0_E_clISt17integral_constantIbLb0EES11_EEDaSW_SX_EUlSW_E_NS1_11comp_targetILNS1_3genE10ELNS1_11target_archE1200ELNS1_3gpuE4ELNS1_3repE0EEENS1_30default_config_static_selectorELNS0_4arch9wavefront6targetE0EEEvT1_
                                        ; -- End function
	.set _ZN7rocprim17ROCPRIM_400000_NS6detail17trampoline_kernelINS0_14default_configENS1_27scan_by_key_config_selectorIiiEEZZNS1_16scan_by_key_implILNS1_25lookback_scan_determinismE0ELb1ES3_N6thrust23THRUST_200600_302600_NS6detail15normal_iteratorINS9_10device_ptrIiEEEENSB_INSC_IjEEEESE_iNS9_4plusIvEENS9_8equal_toIvEEiEE10hipError_tPvRmT2_T3_T4_T5_mT6_T7_P12ihipStream_tbENKUlT_T0_E_clISt17integral_constantIbLb0EES11_EEDaSW_SX_EUlSW_E_NS1_11comp_targetILNS1_3genE10ELNS1_11target_archE1200ELNS1_3gpuE4ELNS1_3repE0EEENS1_30default_config_static_selectorELNS0_4arch9wavefront6targetE0EEEvT1_.num_vgpr, 0
	.set _ZN7rocprim17ROCPRIM_400000_NS6detail17trampoline_kernelINS0_14default_configENS1_27scan_by_key_config_selectorIiiEEZZNS1_16scan_by_key_implILNS1_25lookback_scan_determinismE0ELb1ES3_N6thrust23THRUST_200600_302600_NS6detail15normal_iteratorINS9_10device_ptrIiEEEENSB_INSC_IjEEEESE_iNS9_4plusIvEENS9_8equal_toIvEEiEE10hipError_tPvRmT2_T3_T4_T5_mT6_T7_P12ihipStream_tbENKUlT_T0_E_clISt17integral_constantIbLb0EES11_EEDaSW_SX_EUlSW_E_NS1_11comp_targetILNS1_3genE10ELNS1_11target_archE1200ELNS1_3gpuE4ELNS1_3repE0EEENS1_30default_config_static_selectorELNS0_4arch9wavefront6targetE0EEEvT1_.num_agpr, 0
	.set _ZN7rocprim17ROCPRIM_400000_NS6detail17trampoline_kernelINS0_14default_configENS1_27scan_by_key_config_selectorIiiEEZZNS1_16scan_by_key_implILNS1_25lookback_scan_determinismE0ELb1ES3_N6thrust23THRUST_200600_302600_NS6detail15normal_iteratorINS9_10device_ptrIiEEEENSB_INSC_IjEEEESE_iNS9_4plusIvEENS9_8equal_toIvEEiEE10hipError_tPvRmT2_T3_T4_T5_mT6_T7_P12ihipStream_tbENKUlT_T0_E_clISt17integral_constantIbLb0EES11_EEDaSW_SX_EUlSW_E_NS1_11comp_targetILNS1_3genE10ELNS1_11target_archE1200ELNS1_3gpuE4ELNS1_3repE0EEENS1_30default_config_static_selectorELNS0_4arch9wavefront6targetE0EEEvT1_.numbered_sgpr, 0
	.set _ZN7rocprim17ROCPRIM_400000_NS6detail17trampoline_kernelINS0_14default_configENS1_27scan_by_key_config_selectorIiiEEZZNS1_16scan_by_key_implILNS1_25lookback_scan_determinismE0ELb1ES3_N6thrust23THRUST_200600_302600_NS6detail15normal_iteratorINS9_10device_ptrIiEEEENSB_INSC_IjEEEESE_iNS9_4plusIvEENS9_8equal_toIvEEiEE10hipError_tPvRmT2_T3_T4_T5_mT6_T7_P12ihipStream_tbENKUlT_T0_E_clISt17integral_constantIbLb0EES11_EEDaSW_SX_EUlSW_E_NS1_11comp_targetILNS1_3genE10ELNS1_11target_archE1200ELNS1_3gpuE4ELNS1_3repE0EEENS1_30default_config_static_selectorELNS0_4arch9wavefront6targetE0EEEvT1_.num_named_barrier, 0
	.set _ZN7rocprim17ROCPRIM_400000_NS6detail17trampoline_kernelINS0_14default_configENS1_27scan_by_key_config_selectorIiiEEZZNS1_16scan_by_key_implILNS1_25lookback_scan_determinismE0ELb1ES3_N6thrust23THRUST_200600_302600_NS6detail15normal_iteratorINS9_10device_ptrIiEEEENSB_INSC_IjEEEESE_iNS9_4plusIvEENS9_8equal_toIvEEiEE10hipError_tPvRmT2_T3_T4_T5_mT6_T7_P12ihipStream_tbENKUlT_T0_E_clISt17integral_constantIbLb0EES11_EEDaSW_SX_EUlSW_E_NS1_11comp_targetILNS1_3genE10ELNS1_11target_archE1200ELNS1_3gpuE4ELNS1_3repE0EEENS1_30default_config_static_selectorELNS0_4arch9wavefront6targetE0EEEvT1_.private_seg_size, 0
	.set _ZN7rocprim17ROCPRIM_400000_NS6detail17trampoline_kernelINS0_14default_configENS1_27scan_by_key_config_selectorIiiEEZZNS1_16scan_by_key_implILNS1_25lookback_scan_determinismE0ELb1ES3_N6thrust23THRUST_200600_302600_NS6detail15normal_iteratorINS9_10device_ptrIiEEEENSB_INSC_IjEEEESE_iNS9_4plusIvEENS9_8equal_toIvEEiEE10hipError_tPvRmT2_T3_T4_T5_mT6_T7_P12ihipStream_tbENKUlT_T0_E_clISt17integral_constantIbLb0EES11_EEDaSW_SX_EUlSW_E_NS1_11comp_targetILNS1_3genE10ELNS1_11target_archE1200ELNS1_3gpuE4ELNS1_3repE0EEENS1_30default_config_static_selectorELNS0_4arch9wavefront6targetE0EEEvT1_.uses_vcc, 0
	.set _ZN7rocprim17ROCPRIM_400000_NS6detail17trampoline_kernelINS0_14default_configENS1_27scan_by_key_config_selectorIiiEEZZNS1_16scan_by_key_implILNS1_25lookback_scan_determinismE0ELb1ES3_N6thrust23THRUST_200600_302600_NS6detail15normal_iteratorINS9_10device_ptrIiEEEENSB_INSC_IjEEEESE_iNS9_4plusIvEENS9_8equal_toIvEEiEE10hipError_tPvRmT2_T3_T4_T5_mT6_T7_P12ihipStream_tbENKUlT_T0_E_clISt17integral_constantIbLb0EES11_EEDaSW_SX_EUlSW_E_NS1_11comp_targetILNS1_3genE10ELNS1_11target_archE1200ELNS1_3gpuE4ELNS1_3repE0EEENS1_30default_config_static_selectorELNS0_4arch9wavefront6targetE0EEEvT1_.uses_flat_scratch, 0
	.set _ZN7rocprim17ROCPRIM_400000_NS6detail17trampoline_kernelINS0_14default_configENS1_27scan_by_key_config_selectorIiiEEZZNS1_16scan_by_key_implILNS1_25lookback_scan_determinismE0ELb1ES3_N6thrust23THRUST_200600_302600_NS6detail15normal_iteratorINS9_10device_ptrIiEEEENSB_INSC_IjEEEESE_iNS9_4plusIvEENS9_8equal_toIvEEiEE10hipError_tPvRmT2_T3_T4_T5_mT6_T7_P12ihipStream_tbENKUlT_T0_E_clISt17integral_constantIbLb0EES11_EEDaSW_SX_EUlSW_E_NS1_11comp_targetILNS1_3genE10ELNS1_11target_archE1200ELNS1_3gpuE4ELNS1_3repE0EEENS1_30default_config_static_selectorELNS0_4arch9wavefront6targetE0EEEvT1_.has_dyn_sized_stack, 0
	.set _ZN7rocprim17ROCPRIM_400000_NS6detail17trampoline_kernelINS0_14default_configENS1_27scan_by_key_config_selectorIiiEEZZNS1_16scan_by_key_implILNS1_25lookback_scan_determinismE0ELb1ES3_N6thrust23THRUST_200600_302600_NS6detail15normal_iteratorINS9_10device_ptrIiEEEENSB_INSC_IjEEEESE_iNS9_4plusIvEENS9_8equal_toIvEEiEE10hipError_tPvRmT2_T3_T4_T5_mT6_T7_P12ihipStream_tbENKUlT_T0_E_clISt17integral_constantIbLb0EES11_EEDaSW_SX_EUlSW_E_NS1_11comp_targetILNS1_3genE10ELNS1_11target_archE1200ELNS1_3gpuE4ELNS1_3repE0EEENS1_30default_config_static_selectorELNS0_4arch9wavefront6targetE0EEEvT1_.has_recursion, 0
	.set _ZN7rocprim17ROCPRIM_400000_NS6detail17trampoline_kernelINS0_14default_configENS1_27scan_by_key_config_selectorIiiEEZZNS1_16scan_by_key_implILNS1_25lookback_scan_determinismE0ELb1ES3_N6thrust23THRUST_200600_302600_NS6detail15normal_iteratorINS9_10device_ptrIiEEEENSB_INSC_IjEEEESE_iNS9_4plusIvEENS9_8equal_toIvEEiEE10hipError_tPvRmT2_T3_T4_T5_mT6_T7_P12ihipStream_tbENKUlT_T0_E_clISt17integral_constantIbLb0EES11_EEDaSW_SX_EUlSW_E_NS1_11comp_targetILNS1_3genE10ELNS1_11target_archE1200ELNS1_3gpuE4ELNS1_3repE0EEENS1_30default_config_static_selectorELNS0_4arch9wavefront6targetE0EEEvT1_.has_indirect_call, 0
	.section	.AMDGPU.csdata,"",@progbits
; Kernel info:
; codeLenInByte = 0
; TotalNumSgprs: 0
; NumVgprs: 0
; ScratchSize: 0
; MemoryBound: 0
; FloatMode: 240
; IeeeMode: 1
; LDSByteSize: 0 bytes/workgroup (compile time only)
; SGPRBlocks: 0
; VGPRBlocks: 0
; NumSGPRsForWavesPerEU: 1
; NumVGPRsForWavesPerEU: 1
; NamedBarCnt: 0
; Occupancy: 16
; WaveLimiterHint : 0
; COMPUTE_PGM_RSRC2:SCRATCH_EN: 0
; COMPUTE_PGM_RSRC2:USER_SGPR: 2
; COMPUTE_PGM_RSRC2:TRAP_HANDLER: 0
; COMPUTE_PGM_RSRC2:TGID_X_EN: 1
; COMPUTE_PGM_RSRC2:TGID_Y_EN: 0
; COMPUTE_PGM_RSRC2:TGID_Z_EN: 0
; COMPUTE_PGM_RSRC2:TIDIG_COMP_CNT: 0
	.section	.text._ZN7rocprim17ROCPRIM_400000_NS6detail17trampoline_kernelINS0_14default_configENS1_27scan_by_key_config_selectorIiiEEZZNS1_16scan_by_key_implILNS1_25lookback_scan_determinismE0ELb1ES3_N6thrust23THRUST_200600_302600_NS6detail15normal_iteratorINS9_10device_ptrIiEEEENSB_INSC_IjEEEESE_iNS9_4plusIvEENS9_8equal_toIvEEiEE10hipError_tPvRmT2_T3_T4_T5_mT6_T7_P12ihipStream_tbENKUlT_T0_E_clISt17integral_constantIbLb0EES11_EEDaSW_SX_EUlSW_E_NS1_11comp_targetILNS1_3genE9ELNS1_11target_archE1100ELNS1_3gpuE3ELNS1_3repE0EEENS1_30default_config_static_selectorELNS0_4arch9wavefront6targetE0EEEvT1_,"axG",@progbits,_ZN7rocprim17ROCPRIM_400000_NS6detail17trampoline_kernelINS0_14default_configENS1_27scan_by_key_config_selectorIiiEEZZNS1_16scan_by_key_implILNS1_25lookback_scan_determinismE0ELb1ES3_N6thrust23THRUST_200600_302600_NS6detail15normal_iteratorINS9_10device_ptrIiEEEENSB_INSC_IjEEEESE_iNS9_4plusIvEENS9_8equal_toIvEEiEE10hipError_tPvRmT2_T3_T4_T5_mT6_T7_P12ihipStream_tbENKUlT_T0_E_clISt17integral_constantIbLb0EES11_EEDaSW_SX_EUlSW_E_NS1_11comp_targetILNS1_3genE9ELNS1_11target_archE1100ELNS1_3gpuE3ELNS1_3repE0EEENS1_30default_config_static_selectorELNS0_4arch9wavefront6targetE0EEEvT1_,comdat
	.protected	_ZN7rocprim17ROCPRIM_400000_NS6detail17trampoline_kernelINS0_14default_configENS1_27scan_by_key_config_selectorIiiEEZZNS1_16scan_by_key_implILNS1_25lookback_scan_determinismE0ELb1ES3_N6thrust23THRUST_200600_302600_NS6detail15normal_iteratorINS9_10device_ptrIiEEEENSB_INSC_IjEEEESE_iNS9_4plusIvEENS9_8equal_toIvEEiEE10hipError_tPvRmT2_T3_T4_T5_mT6_T7_P12ihipStream_tbENKUlT_T0_E_clISt17integral_constantIbLb0EES11_EEDaSW_SX_EUlSW_E_NS1_11comp_targetILNS1_3genE9ELNS1_11target_archE1100ELNS1_3gpuE3ELNS1_3repE0EEENS1_30default_config_static_selectorELNS0_4arch9wavefront6targetE0EEEvT1_ ; -- Begin function _ZN7rocprim17ROCPRIM_400000_NS6detail17trampoline_kernelINS0_14default_configENS1_27scan_by_key_config_selectorIiiEEZZNS1_16scan_by_key_implILNS1_25lookback_scan_determinismE0ELb1ES3_N6thrust23THRUST_200600_302600_NS6detail15normal_iteratorINS9_10device_ptrIiEEEENSB_INSC_IjEEEESE_iNS9_4plusIvEENS9_8equal_toIvEEiEE10hipError_tPvRmT2_T3_T4_T5_mT6_T7_P12ihipStream_tbENKUlT_T0_E_clISt17integral_constantIbLb0EES11_EEDaSW_SX_EUlSW_E_NS1_11comp_targetILNS1_3genE9ELNS1_11target_archE1100ELNS1_3gpuE3ELNS1_3repE0EEENS1_30default_config_static_selectorELNS0_4arch9wavefront6targetE0EEEvT1_
	.globl	_ZN7rocprim17ROCPRIM_400000_NS6detail17trampoline_kernelINS0_14default_configENS1_27scan_by_key_config_selectorIiiEEZZNS1_16scan_by_key_implILNS1_25lookback_scan_determinismE0ELb1ES3_N6thrust23THRUST_200600_302600_NS6detail15normal_iteratorINS9_10device_ptrIiEEEENSB_INSC_IjEEEESE_iNS9_4plusIvEENS9_8equal_toIvEEiEE10hipError_tPvRmT2_T3_T4_T5_mT6_T7_P12ihipStream_tbENKUlT_T0_E_clISt17integral_constantIbLb0EES11_EEDaSW_SX_EUlSW_E_NS1_11comp_targetILNS1_3genE9ELNS1_11target_archE1100ELNS1_3gpuE3ELNS1_3repE0EEENS1_30default_config_static_selectorELNS0_4arch9wavefront6targetE0EEEvT1_
	.p2align	8
	.type	_ZN7rocprim17ROCPRIM_400000_NS6detail17trampoline_kernelINS0_14default_configENS1_27scan_by_key_config_selectorIiiEEZZNS1_16scan_by_key_implILNS1_25lookback_scan_determinismE0ELb1ES3_N6thrust23THRUST_200600_302600_NS6detail15normal_iteratorINS9_10device_ptrIiEEEENSB_INSC_IjEEEESE_iNS9_4plusIvEENS9_8equal_toIvEEiEE10hipError_tPvRmT2_T3_T4_T5_mT6_T7_P12ihipStream_tbENKUlT_T0_E_clISt17integral_constantIbLb0EES11_EEDaSW_SX_EUlSW_E_NS1_11comp_targetILNS1_3genE9ELNS1_11target_archE1100ELNS1_3gpuE3ELNS1_3repE0EEENS1_30default_config_static_selectorELNS0_4arch9wavefront6targetE0EEEvT1_,@function
_ZN7rocprim17ROCPRIM_400000_NS6detail17trampoline_kernelINS0_14default_configENS1_27scan_by_key_config_selectorIiiEEZZNS1_16scan_by_key_implILNS1_25lookback_scan_determinismE0ELb1ES3_N6thrust23THRUST_200600_302600_NS6detail15normal_iteratorINS9_10device_ptrIiEEEENSB_INSC_IjEEEESE_iNS9_4plusIvEENS9_8equal_toIvEEiEE10hipError_tPvRmT2_T3_T4_T5_mT6_T7_P12ihipStream_tbENKUlT_T0_E_clISt17integral_constantIbLb0EES11_EEDaSW_SX_EUlSW_E_NS1_11comp_targetILNS1_3genE9ELNS1_11target_archE1100ELNS1_3gpuE3ELNS1_3repE0EEENS1_30default_config_static_selectorELNS0_4arch9wavefront6targetE0EEEvT1_: ; @_ZN7rocprim17ROCPRIM_400000_NS6detail17trampoline_kernelINS0_14default_configENS1_27scan_by_key_config_selectorIiiEEZZNS1_16scan_by_key_implILNS1_25lookback_scan_determinismE0ELb1ES3_N6thrust23THRUST_200600_302600_NS6detail15normal_iteratorINS9_10device_ptrIiEEEENSB_INSC_IjEEEESE_iNS9_4plusIvEENS9_8equal_toIvEEiEE10hipError_tPvRmT2_T3_T4_T5_mT6_T7_P12ihipStream_tbENKUlT_T0_E_clISt17integral_constantIbLb0EES11_EEDaSW_SX_EUlSW_E_NS1_11comp_targetILNS1_3genE9ELNS1_11target_archE1100ELNS1_3gpuE3ELNS1_3repE0EEENS1_30default_config_static_selectorELNS0_4arch9wavefront6targetE0EEEvT1_
; %bb.0:
	.section	.rodata,"a",@progbits
	.p2align	6, 0x0
	.amdhsa_kernel _ZN7rocprim17ROCPRIM_400000_NS6detail17trampoline_kernelINS0_14default_configENS1_27scan_by_key_config_selectorIiiEEZZNS1_16scan_by_key_implILNS1_25lookback_scan_determinismE0ELb1ES3_N6thrust23THRUST_200600_302600_NS6detail15normal_iteratorINS9_10device_ptrIiEEEENSB_INSC_IjEEEESE_iNS9_4plusIvEENS9_8equal_toIvEEiEE10hipError_tPvRmT2_T3_T4_T5_mT6_T7_P12ihipStream_tbENKUlT_T0_E_clISt17integral_constantIbLb0EES11_EEDaSW_SX_EUlSW_E_NS1_11comp_targetILNS1_3genE9ELNS1_11target_archE1100ELNS1_3gpuE3ELNS1_3repE0EEENS1_30default_config_static_selectorELNS0_4arch9wavefront6targetE0EEEvT1_
		.amdhsa_group_segment_fixed_size 0
		.amdhsa_private_segment_fixed_size 0
		.amdhsa_kernarg_size 112
		.amdhsa_user_sgpr_count 2
		.amdhsa_user_sgpr_dispatch_ptr 0
		.amdhsa_user_sgpr_queue_ptr 0
		.amdhsa_user_sgpr_kernarg_segment_ptr 1
		.amdhsa_user_sgpr_dispatch_id 0
		.amdhsa_user_sgpr_kernarg_preload_length 0
		.amdhsa_user_sgpr_kernarg_preload_offset 0
		.amdhsa_user_sgpr_private_segment_size 0
		.amdhsa_wavefront_size32 1
		.amdhsa_uses_dynamic_stack 0
		.amdhsa_enable_private_segment 0
		.amdhsa_system_sgpr_workgroup_id_x 1
		.amdhsa_system_sgpr_workgroup_id_y 0
		.amdhsa_system_sgpr_workgroup_id_z 0
		.amdhsa_system_sgpr_workgroup_info 0
		.amdhsa_system_vgpr_workitem_id 0
		.amdhsa_next_free_vgpr 1
		.amdhsa_next_free_sgpr 1
		.amdhsa_named_barrier_count 0
		.amdhsa_reserve_vcc 0
		.amdhsa_float_round_mode_32 0
		.amdhsa_float_round_mode_16_64 0
		.amdhsa_float_denorm_mode_32 3
		.amdhsa_float_denorm_mode_16_64 3
		.amdhsa_fp16_overflow 0
		.amdhsa_memory_ordered 1
		.amdhsa_forward_progress 1
		.amdhsa_inst_pref_size 0
		.amdhsa_round_robin_scheduling 0
		.amdhsa_exception_fp_ieee_invalid_op 0
		.amdhsa_exception_fp_denorm_src 0
		.amdhsa_exception_fp_ieee_div_zero 0
		.amdhsa_exception_fp_ieee_overflow 0
		.amdhsa_exception_fp_ieee_underflow 0
		.amdhsa_exception_fp_ieee_inexact 0
		.amdhsa_exception_int_div_zero 0
	.end_amdhsa_kernel
	.section	.text._ZN7rocprim17ROCPRIM_400000_NS6detail17trampoline_kernelINS0_14default_configENS1_27scan_by_key_config_selectorIiiEEZZNS1_16scan_by_key_implILNS1_25lookback_scan_determinismE0ELb1ES3_N6thrust23THRUST_200600_302600_NS6detail15normal_iteratorINS9_10device_ptrIiEEEENSB_INSC_IjEEEESE_iNS9_4plusIvEENS9_8equal_toIvEEiEE10hipError_tPvRmT2_T3_T4_T5_mT6_T7_P12ihipStream_tbENKUlT_T0_E_clISt17integral_constantIbLb0EES11_EEDaSW_SX_EUlSW_E_NS1_11comp_targetILNS1_3genE9ELNS1_11target_archE1100ELNS1_3gpuE3ELNS1_3repE0EEENS1_30default_config_static_selectorELNS0_4arch9wavefront6targetE0EEEvT1_,"axG",@progbits,_ZN7rocprim17ROCPRIM_400000_NS6detail17trampoline_kernelINS0_14default_configENS1_27scan_by_key_config_selectorIiiEEZZNS1_16scan_by_key_implILNS1_25lookback_scan_determinismE0ELb1ES3_N6thrust23THRUST_200600_302600_NS6detail15normal_iteratorINS9_10device_ptrIiEEEENSB_INSC_IjEEEESE_iNS9_4plusIvEENS9_8equal_toIvEEiEE10hipError_tPvRmT2_T3_T4_T5_mT6_T7_P12ihipStream_tbENKUlT_T0_E_clISt17integral_constantIbLb0EES11_EEDaSW_SX_EUlSW_E_NS1_11comp_targetILNS1_3genE9ELNS1_11target_archE1100ELNS1_3gpuE3ELNS1_3repE0EEENS1_30default_config_static_selectorELNS0_4arch9wavefront6targetE0EEEvT1_,comdat
.Lfunc_end1759:
	.size	_ZN7rocprim17ROCPRIM_400000_NS6detail17trampoline_kernelINS0_14default_configENS1_27scan_by_key_config_selectorIiiEEZZNS1_16scan_by_key_implILNS1_25lookback_scan_determinismE0ELb1ES3_N6thrust23THRUST_200600_302600_NS6detail15normal_iteratorINS9_10device_ptrIiEEEENSB_INSC_IjEEEESE_iNS9_4plusIvEENS9_8equal_toIvEEiEE10hipError_tPvRmT2_T3_T4_T5_mT6_T7_P12ihipStream_tbENKUlT_T0_E_clISt17integral_constantIbLb0EES11_EEDaSW_SX_EUlSW_E_NS1_11comp_targetILNS1_3genE9ELNS1_11target_archE1100ELNS1_3gpuE3ELNS1_3repE0EEENS1_30default_config_static_selectorELNS0_4arch9wavefront6targetE0EEEvT1_, .Lfunc_end1759-_ZN7rocprim17ROCPRIM_400000_NS6detail17trampoline_kernelINS0_14default_configENS1_27scan_by_key_config_selectorIiiEEZZNS1_16scan_by_key_implILNS1_25lookback_scan_determinismE0ELb1ES3_N6thrust23THRUST_200600_302600_NS6detail15normal_iteratorINS9_10device_ptrIiEEEENSB_INSC_IjEEEESE_iNS9_4plusIvEENS9_8equal_toIvEEiEE10hipError_tPvRmT2_T3_T4_T5_mT6_T7_P12ihipStream_tbENKUlT_T0_E_clISt17integral_constantIbLb0EES11_EEDaSW_SX_EUlSW_E_NS1_11comp_targetILNS1_3genE9ELNS1_11target_archE1100ELNS1_3gpuE3ELNS1_3repE0EEENS1_30default_config_static_selectorELNS0_4arch9wavefront6targetE0EEEvT1_
                                        ; -- End function
	.set _ZN7rocprim17ROCPRIM_400000_NS6detail17trampoline_kernelINS0_14default_configENS1_27scan_by_key_config_selectorIiiEEZZNS1_16scan_by_key_implILNS1_25lookback_scan_determinismE0ELb1ES3_N6thrust23THRUST_200600_302600_NS6detail15normal_iteratorINS9_10device_ptrIiEEEENSB_INSC_IjEEEESE_iNS9_4plusIvEENS9_8equal_toIvEEiEE10hipError_tPvRmT2_T3_T4_T5_mT6_T7_P12ihipStream_tbENKUlT_T0_E_clISt17integral_constantIbLb0EES11_EEDaSW_SX_EUlSW_E_NS1_11comp_targetILNS1_3genE9ELNS1_11target_archE1100ELNS1_3gpuE3ELNS1_3repE0EEENS1_30default_config_static_selectorELNS0_4arch9wavefront6targetE0EEEvT1_.num_vgpr, 0
	.set _ZN7rocprim17ROCPRIM_400000_NS6detail17trampoline_kernelINS0_14default_configENS1_27scan_by_key_config_selectorIiiEEZZNS1_16scan_by_key_implILNS1_25lookback_scan_determinismE0ELb1ES3_N6thrust23THRUST_200600_302600_NS6detail15normal_iteratorINS9_10device_ptrIiEEEENSB_INSC_IjEEEESE_iNS9_4plusIvEENS9_8equal_toIvEEiEE10hipError_tPvRmT2_T3_T4_T5_mT6_T7_P12ihipStream_tbENKUlT_T0_E_clISt17integral_constantIbLb0EES11_EEDaSW_SX_EUlSW_E_NS1_11comp_targetILNS1_3genE9ELNS1_11target_archE1100ELNS1_3gpuE3ELNS1_3repE0EEENS1_30default_config_static_selectorELNS0_4arch9wavefront6targetE0EEEvT1_.num_agpr, 0
	.set _ZN7rocprim17ROCPRIM_400000_NS6detail17trampoline_kernelINS0_14default_configENS1_27scan_by_key_config_selectorIiiEEZZNS1_16scan_by_key_implILNS1_25lookback_scan_determinismE0ELb1ES3_N6thrust23THRUST_200600_302600_NS6detail15normal_iteratorINS9_10device_ptrIiEEEENSB_INSC_IjEEEESE_iNS9_4plusIvEENS9_8equal_toIvEEiEE10hipError_tPvRmT2_T3_T4_T5_mT6_T7_P12ihipStream_tbENKUlT_T0_E_clISt17integral_constantIbLb0EES11_EEDaSW_SX_EUlSW_E_NS1_11comp_targetILNS1_3genE9ELNS1_11target_archE1100ELNS1_3gpuE3ELNS1_3repE0EEENS1_30default_config_static_selectorELNS0_4arch9wavefront6targetE0EEEvT1_.numbered_sgpr, 0
	.set _ZN7rocprim17ROCPRIM_400000_NS6detail17trampoline_kernelINS0_14default_configENS1_27scan_by_key_config_selectorIiiEEZZNS1_16scan_by_key_implILNS1_25lookback_scan_determinismE0ELb1ES3_N6thrust23THRUST_200600_302600_NS6detail15normal_iteratorINS9_10device_ptrIiEEEENSB_INSC_IjEEEESE_iNS9_4plusIvEENS9_8equal_toIvEEiEE10hipError_tPvRmT2_T3_T4_T5_mT6_T7_P12ihipStream_tbENKUlT_T0_E_clISt17integral_constantIbLb0EES11_EEDaSW_SX_EUlSW_E_NS1_11comp_targetILNS1_3genE9ELNS1_11target_archE1100ELNS1_3gpuE3ELNS1_3repE0EEENS1_30default_config_static_selectorELNS0_4arch9wavefront6targetE0EEEvT1_.num_named_barrier, 0
	.set _ZN7rocprim17ROCPRIM_400000_NS6detail17trampoline_kernelINS0_14default_configENS1_27scan_by_key_config_selectorIiiEEZZNS1_16scan_by_key_implILNS1_25lookback_scan_determinismE0ELb1ES3_N6thrust23THRUST_200600_302600_NS6detail15normal_iteratorINS9_10device_ptrIiEEEENSB_INSC_IjEEEESE_iNS9_4plusIvEENS9_8equal_toIvEEiEE10hipError_tPvRmT2_T3_T4_T5_mT6_T7_P12ihipStream_tbENKUlT_T0_E_clISt17integral_constantIbLb0EES11_EEDaSW_SX_EUlSW_E_NS1_11comp_targetILNS1_3genE9ELNS1_11target_archE1100ELNS1_3gpuE3ELNS1_3repE0EEENS1_30default_config_static_selectorELNS0_4arch9wavefront6targetE0EEEvT1_.private_seg_size, 0
	.set _ZN7rocprim17ROCPRIM_400000_NS6detail17trampoline_kernelINS0_14default_configENS1_27scan_by_key_config_selectorIiiEEZZNS1_16scan_by_key_implILNS1_25lookback_scan_determinismE0ELb1ES3_N6thrust23THRUST_200600_302600_NS6detail15normal_iteratorINS9_10device_ptrIiEEEENSB_INSC_IjEEEESE_iNS9_4plusIvEENS9_8equal_toIvEEiEE10hipError_tPvRmT2_T3_T4_T5_mT6_T7_P12ihipStream_tbENKUlT_T0_E_clISt17integral_constantIbLb0EES11_EEDaSW_SX_EUlSW_E_NS1_11comp_targetILNS1_3genE9ELNS1_11target_archE1100ELNS1_3gpuE3ELNS1_3repE0EEENS1_30default_config_static_selectorELNS0_4arch9wavefront6targetE0EEEvT1_.uses_vcc, 0
	.set _ZN7rocprim17ROCPRIM_400000_NS6detail17trampoline_kernelINS0_14default_configENS1_27scan_by_key_config_selectorIiiEEZZNS1_16scan_by_key_implILNS1_25lookback_scan_determinismE0ELb1ES3_N6thrust23THRUST_200600_302600_NS6detail15normal_iteratorINS9_10device_ptrIiEEEENSB_INSC_IjEEEESE_iNS9_4plusIvEENS9_8equal_toIvEEiEE10hipError_tPvRmT2_T3_T4_T5_mT6_T7_P12ihipStream_tbENKUlT_T0_E_clISt17integral_constantIbLb0EES11_EEDaSW_SX_EUlSW_E_NS1_11comp_targetILNS1_3genE9ELNS1_11target_archE1100ELNS1_3gpuE3ELNS1_3repE0EEENS1_30default_config_static_selectorELNS0_4arch9wavefront6targetE0EEEvT1_.uses_flat_scratch, 0
	.set _ZN7rocprim17ROCPRIM_400000_NS6detail17trampoline_kernelINS0_14default_configENS1_27scan_by_key_config_selectorIiiEEZZNS1_16scan_by_key_implILNS1_25lookback_scan_determinismE0ELb1ES3_N6thrust23THRUST_200600_302600_NS6detail15normal_iteratorINS9_10device_ptrIiEEEENSB_INSC_IjEEEESE_iNS9_4plusIvEENS9_8equal_toIvEEiEE10hipError_tPvRmT2_T3_T4_T5_mT6_T7_P12ihipStream_tbENKUlT_T0_E_clISt17integral_constantIbLb0EES11_EEDaSW_SX_EUlSW_E_NS1_11comp_targetILNS1_3genE9ELNS1_11target_archE1100ELNS1_3gpuE3ELNS1_3repE0EEENS1_30default_config_static_selectorELNS0_4arch9wavefront6targetE0EEEvT1_.has_dyn_sized_stack, 0
	.set _ZN7rocprim17ROCPRIM_400000_NS6detail17trampoline_kernelINS0_14default_configENS1_27scan_by_key_config_selectorIiiEEZZNS1_16scan_by_key_implILNS1_25lookback_scan_determinismE0ELb1ES3_N6thrust23THRUST_200600_302600_NS6detail15normal_iteratorINS9_10device_ptrIiEEEENSB_INSC_IjEEEESE_iNS9_4plusIvEENS9_8equal_toIvEEiEE10hipError_tPvRmT2_T3_T4_T5_mT6_T7_P12ihipStream_tbENKUlT_T0_E_clISt17integral_constantIbLb0EES11_EEDaSW_SX_EUlSW_E_NS1_11comp_targetILNS1_3genE9ELNS1_11target_archE1100ELNS1_3gpuE3ELNS1_3repE0EEENS1_30default_config_static_selectorELNS0_4arch9wavefront6targetE0EEEvT1_.has_recursion, 0
	.set _ZN7rocprim17ROCPRIM_400000_NS6detail17trampoline_kernelINS0_14default_configENS1_27scan_by_key_config_selectorIiiEEZZNS1_16scan_by_key_implILNS1_25lookback_scan_determinismE0ELb1ES3_N6thrust23THRUST_200600_302600_NS6detail15normal_iteratorINS9_10device_ptrIiEEEENSB_INSC_IjEEEESE_iNS9_4plusIvEENS9_8equal_toIvEEiEE10hipError_tPvRmT2_T3_T4_T5_mT6_T7_P12ihipStream_tbENKUlT_T0_E_clISt17integral_constantIbLb0EES11_EEDaSW_SX_EUlSW_E_NS1_11comp_targetILNS1_3genE9ELNS1_11target_archE1100ELNS1_3gpuE3ELNS1_3repE0EEENS1_30default_config_static_selectorELNS0_4arch9wavefront6targetE0EEEvT1_.has_indirect_call, 0
	.section	.AMDGPU.csdata,"",@progbits
; Kernel info:
; codeLenInByte = 0
; TotalNumSgprs: 0
; NumVgprs: 0
; ScratchSize: 0
; MemoryBound: 0
; FloatMode: 240
; IeeeMode: 1
; LDSByteSize: 0 bytes/workgroup (compile time only)
; SGPRBlocks: 0
; VGPRBlocks: 0
; NumSGPRsForWavesPerEU: 1
; NumVGPRsForWavesPerEU: 1
; NamedBarCnt: 0
; Occupancy: 16
; WaveLimiterHint : 0
; COMPUTE_PGM_RSRC2:SCRATCH_EN: 0
; COMPUTE_PGM_RSRC2:USER_SGPR: 2
; COMPUTE_PGM_RSRC2:TRAP_HANDLER: 0
; COMPUTE_PGM_RSRC2:TGID_X_EN: 1
; COMPUTE_PGM_RSRC2:TGID_Y_EN: 0
; COMPUTE_PGM_RSRC2:TGID_Z_EN: 0
; COMPUTE_PGM_RSRC2:TIDIG_COMP_CNT: 0
	.section	.text._ZN7rocprim17ROCPRIM_400000_NS6detail17trampoline_kernelINS0_14default_configENS1_27scan_by_key_config_selectorIiiEEZZNS1_16scan_by_key_implILNS1_25lookback_scan_determinismE0ELb1ES3_N6thrust23THRUST_200600_302600_NS6detail15normal_iteratorINS9_10device_ptrIiEEEENSB_INSC_IjEEEESE_iNS9_4plusIvEENS9_8equal_toIvEEiEE10hipError_tPvRmT2_T3_T4_T5_mT6_T7_P12ihipStream_tbENKUlT_T0_E_clISt17integral_constantIbLb0EES11_EEDaSW_SX_EUlSW_E_NS1_11comp_targetILNS1_3genE8ELNS1_11target_archE1030ELNS1_3gpuE2ELNS1_3repE0EEENS1_30default_config_static_selectorELNS0_4arch9wavefront6targetE0EEEvT1_,"axG",@progbits,_ZN7rocprim17ROCPRIM_400000_NS6detail17trampoline_kernelINS0_14default_configENS1_27scan_by_key_config_selectorIiiEEZZNS1_16scan_by_key_implILNS1_25lookback_scan_determinismE0ELb1ES3_N6thrust23THRUST_200600_302600_NS6detail15normal_iteratorINS9_10device_ptrIiEEEENSB_INSC_IjEEEESE_iNS9_4plusIvEENS9_8equal_toIvEEiEE10hipError_tPvRmT2_T3_T4_T5_mT6_T7_P12ihipStream_tbENKUlT_T0_E_clISt17integral_constantIbLb0EES11_EEDaSW_SX_EUlSW_E_NS1_11comp_targetILNS1_3genE8ELNS1_11target_archE1030ELNS1_3gpuE2ELNS1_3repE0EEENS1_30default_config_static_selectorELNS0_4arch9wavefront6targetE0EEEvT1_,comdat
	.protected	_ZN7rocprim17ROCPRIM_400000_NS6detail17trampoline_kernelINS0_14default_configENS1_27scan_by_key_config_selectorIiiEEZZNS1_16scan_by_key_implILNS1_25lookback_scan_determinismE0ELb1ES3_N6thrust23THRUST_200600_302600_NS6detail15normal_iteratorINS9_10device_ptrIiEEEENSB_INSC_IjEEEESE_iNS9_4plusIvEENS9_8equal_toIvEEiEE10hipError_tPvRmT2_T3_T4_T5_mT6_T7_P12ihipStream_tbENKUlT_T0_E_clISt17integral_constantIbLb0EES11_EEDaSW_SX_EUlSW_E_NS1_11comp_targetILNS1_3genE8ELNS1_11target_archE1030ELNS1_3gpuE2ELNS1_3repE0EEENS1_30default_config_static_selectorELNS0_4arch9wavefront6targetE0EEEvT1_ ; -- Begin function _ZN7rocprim17ROCPRIM_400000_NS6detail17trampoline_kernelINS0_14default_configENS1_27scan_by_key_config_selectorIiiEEZZNS1_16scan_by_key_implILNS1_25lookback_scan_determinismE0ELb1ES3_N6thrust23THRUST_200600_302600_NS6detail15normal_iteratorINS9_10device_ptrIiEEEENSB_INSC_IjEEEESE_iNS9_4plusIvEENS9_8equal_toIvEEiEE10hipError_tPvRmT2_T3_T4_T5_mT6_T7_P12ihipStream_tbENKUlT_T0_E_clISt17integral_constantIbLb0EES11_EEDaSW_SX_EUlSW_E_NS1_11comp_targetILNS1_3genE8ELNS1_11target_archE1030ELNS1_3gpuE2ELNS1_3repE0EEENS1_30default_config_static_selectorELNS0_4arch9wavefront6targetE0EEEvT1_
	.globl	_ZN7rocprim17ROCPRIM_400000_NS6detail17trampoline_kernelINS0_14default_configENS1_27scan_by_key_config_selectorIiiEEZZNS1_16scan_by_key_implILNS1_25lookback_scan_determinismE0ELb1ES3_N6thrust23THRUST_200600_302600_NS6detail15normal_iteratorINS9_10device_ptrIiEEEENSB_INSC_IjEEEESE_iNS9_4plusIvEENS9_8equal_toIvEEiEE10hipError_tPvRmT2_T3_T4_T5_mT6_T7_P12ihipStream_tbENKUlT_T0_E_clISt17integral_constantIbLb0EES11_EEDaSW_SX_EUlSW_E_NS1_11comp_targetILNS1_3genE8ELNS1_11target_archE1030ELNS1_3gpuE2ELNS1_3repE0EEENS1_30default_config_static_selectorELNS0_4arch9wavefront6targetE0EEEvT1_
	.p2align	8
	.type	_ZN7rocprim17ROCPRIM_400000_NS6detail17trampoline_kernelINS0_14default_configENS1_27scan_by_key_config_selectorIiiEEZZNS1_16scan_by_key_implILNS1_25lookback_scan_determinismE0ELb1ES3_N6thrust23THRUST_200600_302600_NS6detail15normal_iteratorINS9_10device_ptrIiEEEENSB_INSC_IjEEEESE_iNS9_4plusIvEENS9_8equal_toIvEEiEE10hipError_tPvRmT2_T3_T4_T5_mT6_T7_P12ihipStream_tbENKUlT_T0_E_clISt17integral_constantIbLb0EES11_EEDaSW_SX_EUlSW_E_NS1_11comp_targetILNS1_3genE8ELNS1_11target_archE1030ELNS1_3gpuE2ELNS1_3repE0EEENS1_30default_config_static_selectorELNS0_4arch9wavefront6targetE0EEEvT1_,@function
_ZN7rocprim17ROCPRIM_400000_NS6detail17trampoline_kernelINS0_14default_configENS1_27scan_by_key_config_selectorIiiEEZZNS1_16scan_by_key_implILNS1_25lookback_scan_determinismE0ELb1ES3_N6thrust23THRUST_200600_302600_NS6detail15normal_iteratorINS9_10device_ptrIiEEEENSB_INSC_IjEEEESE_iNS9_4plusIvEENS9_8equal_toIvEEiEE10hipError_tPvRmT2_T3_T4_T5_mT6_T7_P12ihipStream_tbENKUlT_T0_E_clISt17integral_constantIbLb0EES11_EEDaSW_SX_EUlSW_E_NS1_11comp_targetILNS1_3genE8ELNS1_11target_archE1030ELNS1_3gpuE2ELNS1_3repE0EEENS1_30default_config_static_selectorELNS0_4arch9wavefront6targetE0EEEvT1_: ; @_ZN7rocprim17ROCPRIM_400000_NS6detail17trampoline_kernelINS0_14default_configENS1_27scan_by_key_config_selectorIiiEEZZNS1_16scan_by_key_implILNS1_25lookback_scan_determinismE0ELb1ES3_N6thrust23THRUST_200600_302600_NS6detail15normal_iteratorINS9_10device_ptrIiEEEENSB_INSC_IjEEEESE_iNS9_4plusIvEENS9_8equal_toIvEEiEE10hipError_tPvRmT2_T3_T4_T5_mT6_T7_P12ihipStream_tbENKUlT_T0_E_clISt17integral_constantIbLb0EES11_EEDaSW_SX_EUlSW_E_NS1_11comp_targetILNS1_3genE8ELNS1_11target_archE1030ELNS1_3gpuE2ELNS1_3repE0EEENS1_30default_config_static_selectorELNS0_4arch9wavefront6targetE0EEEvT1_
; %bb.0:
	.section	.rodata,"a",@progbits
	.p2align	6, 0x0
	.amdhsa_kernel _ZN7rocprim17ROCPRIM_400000_NS6detail17trampoline_kernelINS0_14default_configENS1_27scan_by_key_config_selectorIiiEEZZNS1_16scan_by_key_implILNS1_25lookback_scan_determinismE0ELb1ES3_N6thrust23THRUST_200600_302600_NS6detail15normal_iteratorINS9_10device_ptrIiEEEENSB_INSC_IjEEEESE_iNS9_4plusIvEENS9_8equal_toIvEEiEE10hipError_tPvRmT2_T3_T4_T5_mT6_T7_P12ihipStream_tbENKUlT_T0_E_clISt17integral_constantIbLb0EES11_EEDaSW_SX_EUlSW_E_NS1_11comp_targetILNS1_3genE8ELNS1_11target_archE1030ELNS1_3gpuE2ELNS1_3repE0EEENS1_30default_config_static_selectorELNS0_4arch9wavefront6targetE0EEEvT1_
		.amdhsa_group_segment_fixed_size 0
		.amdhsa_private_segment_fixed_size 0
		.amdhsa_kernarg_size 112
		.amdhsa_user_sgpr_count 2
		.amdhsa_user_sgpr_dispatch_ptr 0
		.amdhsa_user_sgpr_queue_ptr 0
		.amdhsa_user_sgpr_kernarg_segment_ptr 1
		.amdhsa_user_sgpr_dispatch_id 0
		.amdhsa_user_sgpr_kernarg_preload_length 0
		.amdhsa_user_sgpr_kernarg_preload_offset 0
		.amdhsa_user_sgpr_private_segment_size 0
		.amdhsa_wavefront_size32 1
		.amdhsa_uses_dynamic_stack 0
		.amdhsa_enable_private_segment 0
		.amdhsa_system_sgpr_workgroup_id_x 1
		.amdhsa_system_sgpr_workgroup_id_y 0
		.amdhsa_system_sgpr_workgroup_id_z 0
		.amdhsa_system_sgpr_workgroup_info 0
		.amdhsa_system_vgpr_workitem_id 0
		.amdhsa_next_free_vgpr 1
		.amdhsa_next_free_sgpr 1
		.amdhsa_named_barrier_count 0
		.amdhsa_reserve_vcc 0
		.amdhsa_float_round_mode_32 0
		.amdhsa_float_round_mode_16_64 0
		.amdhsa_float_denorm_mode_32 3
		.amdhsa_float_denorm_mode_16_64 3
		.amdhsa_fp16_overflow 0
		.amdhsa_memory_ordered 1
		.amdhsa_forward_progress 1
		.amdhsa_inst_pref_size 0
		.amdhsa_round_robin_scheduling 0
		.amdhsa_exception_fp_ieee_invalid_op 0
		.amdhsa_exception_fp_denorm_src 0
		.amdhsa_exception_fp_ieee_div_zero 0
		.amdhsa_exception_fp_ieee_overflow 0
		.amdhsa_exception_fp_ieee_underflow 0
		.amdhsa_exception_fp_ieee_inexact 0
		.amdhsa_exception_int_div_zero 0
	.end_amdhsa_kernel
	.section	.text._ZN7rocprim17ROCPRIM_400000_NS6detail17trampoline_kernelINS0_14default_configENS1_27scan_by_key_config_selectorIiiEEZZNS1_16scan_by_key_implILNS1_25lookback_scan_determinismE0ELb1ES3_N6thrust23THRUST_200600_302600_NS6detail15normal_iteratorINS9_10device_ptrIiEEEENSB_INSC_IjEEEESE_iNS9_4plusIvEENS9_8equal_toIvEEiEE10hipError_tPvRmT2_T3_T4_T5_mT6_T7_P12ihipStream_tbENKUlT_T0_E_clISt17integral_constantIbLb0EES11_EEDaSW_SX_EUlSW_E_NS1_11comp_targetILNS1_3genE8ELNS1_11target_archE1030ELNS1_3gpuE2ELNS1_3repE0EEENS1_30default_config_static_selectorELNS0_4arch9wavefront6targetE0EEEvT1_,"axG",@progbits,_ZN7rocprim17ROCPRIM_400000_NS6detail17trampoline_kernelINS0_14default_configENS1_27scan_by_key_config_selectorIiiEEZZNS1_16scan_by_key_implILNS1_25lookback_scan_determinismE0ELb1ES3_N6thrust23THRUST_200600_302600_NS6detail15normal_iteratorINS9_10device_ptrIiEEEENSB_INSC_IjEEEESE_iNS9_4plusIvEENS9_8equal_toIvEEiEE10hipError_tPvRmT2_T3_T4_T5_mT6_T7_P12ihipStream_tbENKUlT_T0_E_clISt17integral_constantIbLb0EES11_EEDaSW_SX_EUlSW_E_NS1_11comp_targetILNS1_3genE8ELNS1_11target_archE1030ELNS1_3gpuE2ELNS1_3repE0EEENS1_30default_config_static_selectorELNS0_4arch9wavefront6targetE0EEEvT1_,comdat
.Lfunc_end1760:
	.size	_ZN7rocprim17ROCPRIM_400000_NS6detail17trampoline_kernelINS0_14default_configENS1_27scan_by_key_config_selectorIiiEEZZNS1_16scan_by_key_implILNS1_25lookback_scan_determinismE0ELb1ES3_N6thrust23THRUST_200600_302600_NS6detail15normal_iteratorINS9_10device_ptrIiEEEENSB_INSC_IjEEEESE_iNS9_4plusIvEENS9_8equal_toIvEEiEE10hipError_tPvRmT2_T3_T4_T5_mT6_T7_P12ihipStream_tbENKUlT_T0_E_clISt17integral_constantIbLb0EES11_EEDaSW_SX_EUlSW_E_NS1_11comp_targetILNS1_3genE8ELNS1_11target_archE1030ELNS1_3gpuE2ELNS1_3repE0EEENS1_30default_config_static_selectorELNS0_4arch9wavefront6targetE0EEEvT1_, .Lfunc_end1760-_ZN7rocprim17ROCPRIM_400000_NS6detail17trampoline_kernelINS0_14default_configENS1_27scan_by_key_config_selectorIiiEEZZNS1_16scan_by_key_implILNS1_25lookback_scan_determinismE0ELb1ES3_N6thrust23THRUST_200600_302600_NS6detail15normal_iteratorINS9_10device_ptrIiEEEENSB_INSC_IjEEEESE_iNS9_4plusIvEENS9_8equal_toIvEEiEE10hipError_tPvRmT2_T3_T4_T5_mT6_T7_P12ihipStream_tbENKUlT_T0_E_clISt17integral_constantIbLb0EES11_EEDaSW_SX_EUlSW_E_NS1_11comp_targetILNS1_3genE8ELNS1_11target_archE1030ELNS1_3gpuE2ELNS1_3repE0EEENS1_30default_config_static_selectorELNS0_4arch9wavefront6targetE0EEEvT1_
                                        ; -- End function
	.set _ZN7rocprim17ROCPRIM_400000_NS6detail17trampoline_kernelINS0_14default_configENS1_27scan_by_key_config_selectorIiiEEZZNS1_16scan_by_key_implILNS1_25lookback_scan_determinismE0ELb1ES3_N6thrust23THRUST_200600_302600_NS6detail15normal_iteratorINS9_10device_ptrIiEEEENSB_INSC_IjEEEESE_iNS9_4plusIvEENS9_8equal_toIvEEiEE10hipError_tPvRmT2_T3_T4_T5_mT6_T7_P12ihipStream_tbENKUlT_T0_E_clISt17integral_constantIbLb0EES11_EEDaSW_SX_EUlSW_E_NS1_11comp_targetILNS1_3genE8ELNS1_11target_archE1030ELNS1_3gpuE2ELNS1_3repE0EEENS1_30default_config_static_selectorELNS0_4arch9wavefront6targetE0EEEvT1_.num_vgpr, 0
	.set _ZN7rocprim17ROCPRIM_400000_NS6detail17trampoline_kernelINS0_14default_configENS1_27scan_by_key_config_selectorIiiEEZZNS1_16scan_by_key_implILNS1_25lookback_scan_determinismE0ELb1ES3_N6thrust23THRUST_200600_302600_NS6detail15normal_iteratorINS9_10device_ptrIiEEEENSB_INSC_IjEEEESE_iNS9_4plusIvEENS9_8equal_toIvEEiEE10hipError_tPvRmT2_T3_T4_T5_mT6_T7_P12ihipStream_tbENKUlT_T0_E_clISt17integral_constantIbLb0EES11_EEDaSW_SX_EUlSW_E_NS1_11comp_targetILNS1_3genE8ELNS1_11target_archE1030ELNS1_3gpuE2ELNS1_3repE0EEENS1_30default_config_static_selectorELNS0_4arch9wavefront6targetE0EEEvT1_.num_agpr, 0
	.set _ZN7rocprim17ROCPRIM_400000_NS6detail17trampoline_kernelINS0_14default_configENS1_27scan_by_key_config_selectorIiiEEZZNS1_16scan_by_key_implILNS1_25lookback_scan_determinismE0ELb1ES3_N6thrust23THRUST_200600_302600_NS6detail15normal_iteratorINS9_10device_ptrIiEEEENSB_INSC_IjEEEESE_iNS9_4plusIvEENS9_8equal_toIvEEiEE10hipError_tPvRmT2_T3_T4_T5_mT6_T7_P12ihipStream_tbENKUlT_T0_E_clISt17integral_constantIbLb0EES11_EEDaSW_SX_EUlSW_E_NS1_11comp_targetILNS1_3genE8ELNS1_11target_archE1030ELNS1_3gpuE2ELNS1_3repE0EEENS1_30default_config_static_selectorELNS0_4arch9wavefront6targetE0EEEvT1_.numbered_sgpr, 0
	.set _ZN7rocprim17ROCPRIM_400000_NS6detail17trampoline_kernelINS0_14default_configENS1_27scan_by_key_config_selectorIiiEEZZNS1_16scan_by_key_implILNS1_25lookback_scan_determinismE0ELb1ES3_N6thrust23THRUST_200600_302600_NS6detail15normal_iteratorINS9_10device_ptrIiEEEENSB_INSC_IjEEEESE_iNS9_4plusIvEENS9_8equal_toIvEEiEE10hipError_tPvRmT2_T3_T4_T5_mT6_T7_P12ihipStream_tbENKUlT_T0_E_clISt17integral_constantIbLb0EES11_EEDaSW_SX_EUlSW_E_NS1_11comp_targetILNS1_3genE8ELNS1_11target_archE1030ELNS1_3gpuE2ELNS1_3repE0EEENS1_30default_config_static_selectorELNS0_4arch9wavefront6targetE0EEEvT1_.num_named_barrier, 0
	.set _ZN7rocprim17ROCPRIM_400000_NS6detail17trampoline_kernelINS0_14default_configENS1_27scan_by_key_config_selectorIiiEEZZNS1_16scan_by_key_implILNS1_25lookback_scan_determinismE0ELb1ES3_N6thrust23THRUST_200600_302600_NS6detail15normal_iteratorINS9_10device_ptrIiEEEENSB_INSC_IjEEEESE_iNS9_4plusIvEENS9_8equal_toIvEEiEE10hipError_tPvRmT2_T3_T4_T5_mT6_T7_P12ihipStream_tbENKUlT_T0_E_clISt17integral_constantIbLb0EES11_EEDaSW_SX_EUlSW_E_NS1_11comp_targetILNS1_3genE8ELNS1_11target_archE1030ELNS1_3gpuE2ELNS1_3repE0EEENS1_30default_config_static_selectorELNS0_4arch9wavefront6targetE0EEEvT1_.private_seg_size, 0
	.set _ZN7rocprim17ROCPRIM_400000_NS6detail17trampoline_kernelINS0_14default_configENS1_27scan_by_key_config_selectorIiiEEZZNS1_16scan_by_key_implILNS1_25lookback_scan_determinismE0ELb1ES3_N6thrust23THRUST_200600_302600_NS6detail15normal_iteratorINS9_10device_ptrIiEEEENSB_INSC_IjEEEESE_iNS9_4plusIvEENS9_8equal_toIvEEiEE10hipError_tPvRmT2_T3_T4_T5_mT6_T7_P12ihipStream_tbENKUlT_T0_E_clISt17integral_constantIbLb0EES11_EEDaSW_SX_EUlSW_E_NS1_11comp_targetILNS1_3genE8ELNS1_11target_archE1030ELNS1_3gpuE2ELNS1_3repE0EEENS1_30default_config_static_selectorELNS0_4arch9wavefront6targetE0EEEvT1_.uses_vcc, 0
	.set _ZN7rocprim17ROCPRIM_400000_NS6detail17trampoline_kernelINS0_14default_configENS1_27scan_by_key_config_selectorIiiEEZZNS1_16scan_by_key_implILNS1_25lookback_scan_determinismE0ELb1ES3_N6thrust23THRUST_200600_302600_NS6detail15normal_iteratorINS9_10device_ptrIiEEEENSB_INSC_IjEEEESE_iNS9_4plusIvEENS9_8equal_toIvEEiEE10hipError_tPvRmT2_T3_T4_T5_mT6_T7_P12ihipStream_tbENKUlT_T0_E_clISt17integral_constantIbLb0EES11_EEDaSW_SX_EUlSW_E_NS1_11comp_targetILNS1_3genE8ELNS1_11target_archE1030ELNS1_3gpuE2ELNS1_3repE0EEENS1_30default_config_static_selectorELNS0_4arch9wavefront6targetE0EEEvT1_.uses_flat_scratch, 0
	.set _ZN7rocprim17ROCPRIM_400000_NS6detail17trampoline_kernelINS0_14default_configENS1_27scan_by_key_config_selectorIiiEEZZNS1_16scan_by_key_implILNS1_25lookback_scan_determinismE0ELb1ES3_N6thrust23THRUST_200600_302600_NS6detail15normal_iteratorINS9_10device_ptrIiEEEENSB_INSC_IjEEEESE_iNS9_4plusIvEENS9_8equal_toIvEEiEE10hipError_tPvRmT2_T3_T4_T5_mT6_T7_P12ihipStream_tbENKUlT_T0_E_clISt17integral_constantIbLb0EES11_EEDaSW_SX_EUlSW_E_NS1_11comp_targetILNS1_3genE8ELNS1_11target_archE1030ELNS1_3gpuE2ELNS1_3repE0EEENS1_30default_config_static_selectorELNS0_4arch9wavefront6targetE0EEEvT1_.has_dyn_sized_stack, 0
	.set _ZN7rocprim17ROCPRIM_400000_NS6detail17trampoline_kernelINS0_14default_configENS1_27scan_by_key_config_selectorIiiEEZZNS1_16scan_by_key_implILNS1_25lookback_scan_determinismE0ELb1ES3_N6thrust23THRUST_200600_302600_NS6detail15normal_iteratorINS9_10device_ptrIiEEEENSB_INSC_IjEEEESE_iNS9_4plusIvEENS9_8equal_toIvEEiEE10hipError_tPvRmT2_T3_T4_T5_mT6_T7_P12ihipStream_tbENKUlT_T0_E_clISt17integral_constantIbLb0EES11_EEDaSW_SX_EUlSW_E_NS1_11comp_targetILNS1_3genE8ELNS1_11target_archE1030ELNS1_3gpuE2ELNS1_3repE0EEENS1_30default_config_static_selectorELNS0_4arch9wavefront6targetE0EEEvT1_.has_recursion, 0
	.set _ZN7rocprim17ROCPRIM_400000_NS6detail17trampoline_kernelINS0_14default_configENS1_27scan_by_key_config_selectorIiiEEZZNS1_16scan_by_key_implILNS1_25lookback_scan_determinismE0ELb1ES3_N6thrust23THRUST_200600_302600_NS6detail15normal_iteratorINS9_10device_ptrIiEEEENSB_INSC_IjEEEESE_iNS9_4plusIvEENS9_8equal_toIvEEiEE10hipError_tPvRmT2_T3_T4_T5_mT6_T7_P12ihipStream_tbENKUlT_T0_E_clISt17integral_constantIbLb0EES11_EEDaSW_SX_EUlSW_E_NS1_11comp_targetILNS1_3genE8ELNS1_11target_archE1030ELNS1_3gpuE2ELNS1_3repE0EEENS1_30default_config_static_selectorELNS0_4arch9wavefront6targetE0EEEvT1_.has_indirect_call, 0
	.section	.AMDGPU.csdata,"",@progbits
; Kernel info:
; codeLenInByte = 0
; TotalNumSgprs: 0
; NumVgprs: 0
; ScratchSize: 0
; MemoryBound: 0
; FloatMode: 240
; IeeeMode: 1
; LDSByteSize: 0 bytes/workgroup (compile time only)
; SGPRBlocks: 0
; VGPRBlocks: 0
; NumSGPRsForWavesPerEU: 1
; NumVGPRsForWavesPerEU: 1
; NamedBarCnt: 0
; Occupancy: 16
; WaveLimiterHint : 0
; COMPUTE_PGM_RSRC2:SCRATCH_EN: 0
; COMPUTE_PGM_RSRC2:USER_SGPR: 2
; COMPUTE_PGM_RSRC2:TRAP_HANDLER: 0
; COMPUTE_PGM_RSRC2:TGID_X_EN: 1
; COMPUTE_PGM_RSRC2:TGID_Y_EN: 0
; COMPUTE_PGM_RSRC2:TGID_Z_EN: 0
; COMPUTE_PGM_RSRC2:TIDIG_COMP_CNT: 0
	.section	.text._ZN7rocprim17ROCPRIM_400000_NS6detail17trampoline_kernelINS0_14default_configENS1_27scan_by_key_config_selectorIiiEEZZNS1_16scan_by_key_implILNS1_25lookback_scan_determinismE0ELb1ES3_N6thrust23THRUST_200600_302600_NS6detail15normal_iteratorINS9_10device_ptrIiEEEENSB_INSC_IjEEEESE_iNS9_4plusIvEENS9_8equal_toIvEEiEE10hipError_tPvRmT2_T3_T4_T5_mT6_T7_P12ihipStream_tbENKUlT_T0_E_clISt17integral_constantIbLb1EES11_EEDaSW_SX_EUlSW_E_NS1_11comp_targetILNS1_3genE0ELNS1_11target_archE4294967295ELNS1_3gpuE0ELNS1_3repE0EEENS1_30default_config_static_selectorELNS0_4arch9wavefront6targetE0EEEvT1_,"axG",@progbits,_ZN7rocprim17ROCPRIM_400000_NS6detail17trampoline_kernelINS0_14default_configENS1_27scan_by_key_config_selectorIiiEEZZNS1_16scan_by_key_implILNS1_25lookback_scan_determinismE0ELb1ES3_N6thrust23THRUST_200600_302600_NS6detail15normal_iteratorINS9_10device_ptrIiEEEENSB_INSC_IjEEEESE_iNS9_4plusIvEENS9_8equal_toIvEEiEE10hipError_tPvRmT2_T3_T4_T5_mT6_T7_P12ihipStream_tbENKUlT_T0_E_clISt17integral_constantIbLb1EES11_EEDaSW_SX_EUlSW_E_NS1_11comp_targetILNS1_3genE0ELNS1_11target_archE4294967295ELNS1_3gpuE0ELNS1_3repE0EEENS1_30default_config_static_selectorELNS0_4arch9wavefront6targetE0EEEvT1_,comdat
	.protected	_ZN7rocprim17ROCPRIM_400000_NS6detail17trampoline_kernelINS0_14default_configENS1_27scan_by_key_config_selectorIiiEEZZNS1_16scan_by_key_implILNS1_25lookback_scan_determinismE0ELb1ES3_N6thrust23THRUST_200600_302600_NS6detail15normal_iteratorINS9_10device_ptrIiEEEENSB_INSC_IjEEEESE_iNS9_4plusIvEENS9_8equal_toIvEEiEE10hipError_tPvRmT2_T3_T4_T5_mT6_T7_P12ihipStream_tbENKUlT_T0_E_clISt17integral_constantIbLb1EES11_EEDaSW_SX_EUlSW_E_NS1_11comp_targetILNS1_3genE0ELNS1_11target_archE4294967295ELNS1_3gpuE0ELNS1_3repE0EEENS1_30default_config_static_selectorELNS0_4arch9wavefront6targetE0EEEvT1_ ; -- Begin function _ZN7rocprim17ROCPRIM_400000_NS6detail17trampoline_kernelINS0_14default_configENS1_27scan_by_key_config_selectorIiiEEZZNS1_16scan_by_key_implILNS1_25lookback_scan_determinismE0ELb1ES3_N6thrust23THRUST_200600_302600_NS6detail15normal_iteratorINS9_10device_ptrIiEEEENSB_INSC_IjEEEESE_iNS9_4plusIvEENS9_8equal_toIvEEiEE10hipError_tPvRmT2_T3_T4_T5_mT6_T7_P12ihipStream_tbENKUlT_T0_E_clISt17integral_constantIbLb1EES11_EEDaSW_SX_EUlSW_E_NS1_11comp_targetILNS1_3genE0ELNS1_11target_archE4294967295ELNS1_3gpuE0ELNS1_3repE0EEENS1_30default_config_static_selectorELNS0_4arch9wavefront6targetE0EEEvT1_
	.globl	_ZN7rocprim17ROCPRIM_400000_NS6detail17trampoline_kernelINS0_14default_configENS1_27scan_by_key_config_selectorIiiEEZZNS1_16scan_by_key_implILNS1_25lookback_scan_determinismE0ELb1ES3_N6thrust23THRUST_200600_302600_NS6detail15normal_iteratorINS9_10device_ptrIiEEEENSB_INSC_IjEEEESE_iNS9_4plusIvEENS9_8equal_toIvEEiEE10hipError_tPvRmT2_T3_T4_T5_mT6_T7_P12ihipStream_tbENKUlT_T0_E_clISt17integral_constantIbLb1EES11_EEDaSW_SX_EUlSW_E_NS1_11comp_targetILNS1_3genE0ELNS1_11target_archE4294967295ELNS1_3gpuE0ELNS1_3repE0EEENS1_30default_config_static_selectorELNS0_4arch9wavefront6targetE0EEEvT1_
	.p2align	8
	.type	_ZN7rocprim17ROCPRIM_400000_NS6detail17trampoline_kernelINS0_14default_configENS1_27scan_by_key_config_selectorIiiEEZZNS1_16scan_by_key_implILNS1_25lookback_scan_determinismE0ELb1ES3_N6thrust23THRUST_200600_302600_NS6detail15normal_iteratorINS9_10device_ptrIiEEEENSB_INSC_IjEEEESE_iNS9_4plusIvEENS9_8equal_toIvEEiEE10hipError_tPvRmT2_T3_T4_T5_mT6_T7_P12ihipStream_tbENKUlT_T0_E_clISt17integral_constantIbLb1EES11_EEDaSW_SX_EUlSW_E_NS1_11comp_targetILNS1_3genE0ELNS1_11target_archE4294967295ELNS1_3gpuE0ELNS1_3repE0EEENS1_30default_config_static_selectorELNS0_4arch9wavefront6targetE0EEEvT1_,@function
_ZN7rocprim17ROCPRIM_400000_NS6detail17trampoline_kernelINS0_14default_configENS1_27scan_by_key_config_selectorIiiEEZZNS1_16scan_by_key_implILNS1_25lookback_scan_determinismE0ELb1ES3_N6thrust23THRUST_200600_302600_NS6detail15normal_iteratorINS9_10device_ptrIiEEEENSB_INSC_IjEEEESE_iNS9_4plusIvEENS9_8equal_toIvEEiEE10hipError_tPvRmT2_T3_T4_T5_mT6_T7_P12ihipStream_tbENKUlT_T0_E_clISt17integral_constantIbLb1EES11_EEDaSW_SX_EUlSW_E_NS1_11comp_targetILNS1_3genE0ELNS1_11target_archE4294967295ELNS1_3gpuE0ELNS1_3repE0EEENS1_30default_config_static_selectorELNS0_4arch9wavefront6targetE0EEEvT1_: ; @_ZN7rocprim17ROCPRIM_400000_NS6detail17trampoline_kernelINS0_14default_configENS1_27scan_by_key_config_selectorIiiEEZZNS1_16scan_by_key_implILNS1_25lookback_scan_determinismE0ELb1ES3_N6thrust23THRUST_200600_302600_NS6detail15normal_iteratorINS9_10device_ptrIiEEEENSB_INSC_IjEEEESE_iNS9_4plusIvEENS9_8equal_toIvEEiEE10hipError_tPvRmT2_T3_T4_T5_mT6_T7_P12ihipStream_tbENKUlT_T0_E_clISt17integral_constantIbLb1EES11_EEDaSW_SX_EUlSW_E_NS1_11comp_targetILNS1_3genE0ELNS1_11target_archE4294967295ELNS1_3gpuE0ELNS1_3repE0EEENS1_30default_config_static_selectorELNS0_4arch9wavefront6targetE0EEEvT1_
; %bb.0:
	s_endpgm
	.section	.rodata,"a",@progbits
	.p2align	6, 0x0
	.amdhsa_kernel _ZN7rocprim17ROCPRIM_400000_NS6detail17trampoline_kernelINS0_14default_configENS1_27scan_by_key_config_selectorIiiEEZZNS1_16scan_by_key_implILNS1_25lookback_scan_determinismE0ELb1ES3_N6thrust23THRUST_200600_302600_NS6detail15normal_iteratorINS9_10device_ptrIiEEEENSB_INSC_IjEEEESE_iNS9_4plusIvEENS9_8equal_toIvEEiEE10hipError_tPvRmT2_T3_T4_T5_mT6_T7_P12ihipStream_tbENKUlT_T0_E_clISt17integral_constantIbLb1EES11_EEDaSW_SX_EUlSW_E_NS1_11comp_targetILNS1_3genE0ELNS1_11target_archE4294967295ELNS1_3gpuE0ELNS1_3repE0EEENS1_30default_config_static_selectorELNS0_4arch9wavefront6targetE0EEEvT1_
		.amdhsa_group_segment_fixed_size 0
		.amdhsa_private_segment_fixed_size 0
		.amdhsa_kernarg_size 112
		.amdhsa_user_sgpr_count 2
		.amdhsa_user_sgpr_dispatch_ptr 0
		.amdhsa_user_sgpr_queue_ptr 0
		.amdhsa_user_sgpr_kernarg_segment_ptr 1
		.amdhsa_user_sgpr_dispatch_id 0
		.amdhsa_user_sgpr_kernarg_preload_length 0
		.amdhsa_user_sgpr_kernarg_preload_offset 0
		.amdhsa_user_sgpr_private_segment_size 0
		.amdhsa_wavefront_size32 1
		.amdhsa_uses_dynamic_stack 0
		.amdhsa_enable_private_segment 0
		.amdhsa_system_sgpr_workgroup_id_x 1
		.amdhsa_system_sgpr_workgroup_id_y 0
		.amdhsa_system_sgpr_workgroup_id_z 0
		.amdhsa_system_sgpr_workgroup_info 0
		.amdhsa_system_vgpr_workitem_id 0
		.amdhsa_next_free_vgpr 1
		.amdhsa_next_free_sgpr 1
		.amdhsa_named_barrier_count 0
		.amdhsa_reserve_vcc 0
		.amdhsa_float_round_mode_32 0
		.amdhsa_float_round_mode_16_64 0
		.amdhsa_float_denorm_mode_32 3
		.amdhsa_float_denorm_mode_16_64 3
		.amdhsa_fp16_overflow 0
		.amdhsa_memory_ordered 1
		.amdhsa_forward_progress 1
		.amdhsa_inst_pref_size 1
		.amdhsa_round_robin_scheduling 0
		.amdhsa_exception_fp_ieee_invalid_op 0
		.amdhsa_exception_fp_denorm_src 0
		.amdhsa_exception_fp_ieee_div_zero 0
		.amdhsa_exception_fp_ieee_overflow 0
		.amdhsa_exception_fp_ieee_underflow 0
		.amdhsa_exception_fp_ieee_inexact 0
		.amdhsa_exception_int_div_zero 0
	.end_amdhsa_kernel
	.section	.text._ZN7rocprim17ROCPRIM_400000_NS6detail17trampoline_kernelINS0_14default_configENS1_27scan_by_key_config_selectorIiiEEZZNS1_16scan_by_key_implILNS1_25lookback_scan_determinismE0ELb1ES3_N6thrust23THRUST_200600_302600_NS6detail15normal_iteratorINS9_10device_ptrIiEEEENSB_INSC_IjEEEESE_iNS9_4plusIvEENS9_8equal_toIvEEiEE10hipError_tPvRmT2_T3_T4_T5_mT6_T7_P12ihipStream_tbENKUlT_T0_E_clISt17integral_constantIbLb1EES11_EEDaSW_SX_EUlSW_E_NS1_11comp_targetILNS1_3genE0ELNS1_11target_archE4294967295ELNS1_3gpuE0ELNS1_3repE0EEENS1_30default_config_static_selectorELNS0_4arch9wavefront6targetE0EEEvT1_,"axG",@progbits,_ZN7rocprim17ROCPRIM_400000_NS6detail17trampoline_kernelINS0_14default_configENS1_27scan_by_key_config_selectorIiiEEZZNS1_16scan_by_key_implILNS1_25lookback_scan_determinismE0ELb1ES3_N6thrust23THRUST_200600_302600_NS6detail15normal_iteratorINS9_10device_ptrIiEEEENSB_INSC_IjEEEESE_iNS9_4plusIvEENS9_8equal_toIvEEiEE10hipError_tPvRmT2_T3_T4_T5_mT6_T7_P12ihipStream_tbENKUlT_T0_E_clISt17integral_constantIbLb1EES11_EEDaSW_SX_EUlSW_E_NS1_11comp_targetILNS1_3genE0ELNS1_11target_archE4294967295ELNS1_3gpuE0ELNS1_3repE0EEENS1_30default_config_static_selectorELNS0_4arch9wavefront6targetE0EEEvT1_,comdat
.Lfunc_end1761:
	.size	_ZN7rocprim17ROCPRIM_400000_NS6detail17trampoline_kernelINS0_14default_configENS1_27scan_by_key_config_selectorIiiEEZZNS1_16scan_by_key_implILNS1_25lookback_scan_determinismE0ELb1ES3_N6thrust23THRUST_200600_302600_NS6detail15normal_iteratorINS9_10device_ptrIiEEEENSB_INSC_IjEEEESE_iNS9_4plusIvEENS9_8equal_toIvEEiEE10hipError_tPvRmT2_T3_T4_T5_mT6_T7_P12ihipStream_tbENKUlT_T0_E_clISt17integral_constantIbLb1EES11_EEDaSW_SX_EUlSW_E_NS1_11comp_targetILNS1_3genE0ELNS1_11target_archE4294967295ELNS1_3gpuE0ELNS1_3repE0EEENS1_30default_config_static_selectorELNS0_4arch9wavefront6targetE0EEEvT1_, .Lfunc_end1761-_ZN7rocprim17ROCPRIM_400000_NS6detail17trampoline_kernelINS0_14default_configENS1_27scan_by_key_config_selectorIiiEEZZNS1_16scan_by_key_implILNS1_25lookback_scan_determinismE0ELb1ES3_N6thrust23THRUST_200600_302600_NS6detail15normal_iteratorINS9_10device_ptrIiEEEENSB_INSC_IjEEEESE_iNS9_4plusIvEENS9_8equal_toIvEEiEE10hipError_tPvRmT2_T3_T4_T5_mT6_T7_P12ihipStream_tbENKUlT_T0_E_clISt17integral_constantIbLb1EES11_EEDaSW_SX_EUlSW_E_NS1_11comp_targetILNS1_3genE0ELNS1_11target_archE4294967295ELNS1_3gpuE0ELNS1_3repE0EEENS1_30default_config_static_selectorELNS0_4arch9wavefront6targetE0EEEvT1_
                                        ; -- End function
	.set _ZN7rocprim17ROCPRIM_400000_NS6detail17trampoline_kernelINS0_14default_configENS1_27scan_by_key_config_selectorIiiEEZZNS1_16scan_by_key_implILNS1_25lookback_scan_determinismE0ELb1ES3_N6thrust23THRUST_200600_302600_NS6detail15normal_iteratorINS9_10device_ptrIiEEEENSB_INSC_IjEEEESE_iNS9_4plusIvEENS9_8equal_toIvEEiEE10hipError_tPvRmT2_T3_T4_T5_mT6_T7_P12ihipStream_tbENKUlT_T0_E_clISt17integral_constantIbLb1EES11_EEDaSW_SX_EUlSW_E_NS1_11comp_targetILNS1_3genE0ELNS1_11target_archE4294967295ELNS1_3gpuE0ELNS1_3repE0EEENS1_30default_config_static_selectorELNS0_4arch9wavefront6targetE0EEEvT1_.num_vgpr, 0
	.set _ZN7rocprim17ROCPRIM_400000_NS6detail17trampoline_kernelINS0_14default_configENS1_27scan_by_key_config_selectorIiiEEZZNS1_16scan_by_key_implILNS1_25lookback_scan_determinismE0ELb1ES3_N6thrust23THRUST_200600_302600_NS6detail15normal_iteratorINS9_10device_ptrIiEEEENSB_INSC_IjEEEESE_iNS9_4plusIvEENS9_8equal_toIvEEiEE10hipError_tPvRmT2_T3_T4_T5_mT6_T7_P12ihipStream_tbENKUlT_T0_E_clISt17integral_constantIbLb1EES11_EEDaSW_SX_EUlSW_E_NS1_11comp_targetILNS1_3genE0ELNS1_11target_archE4294967295ELNS1_3gpuE0ELNS1_3repE0EEENS1_30default_config_static_selectorELNS0_4arch9wavefront6targetE0EEEvT1_.num_agpr, 0
	.set _ZN7rocprim17ROCPRIM_400000_NS6detail17trampoline_kernelINS0_14default_configENS1_27scan_by_key_config_selectorIiiEEZZNS1_16scan_by_key_implILNS1_25lookback_scan_determinismE0ELb1ES3_N6thrust23THRUST_200600_302600_NS6detail15normal_iteratorINS9_10device_ptrIiEEEENSB_INSC_IjEEEESE_iNS9_4plusIvEENS9_8equal_toIvEEiEE10hipError_tPvRmT2_T3_T4_T5_mT6_T7_P12ihipStream_tbENKUlT_T0_E_clISt17integral_constantIbLb1EES11_EEDaSW_SX_EUlSW_E_NS1_11comp_targetILNS1_3genE0ELNS1_11target_archE4294967295ELNS1_3gpuE0ELNS1_3repE0EEENS1_30default_config_static_selectorELNS0_4arch9wavefront6targetE0EEEvT1_.numbered_sgpr, 0
	.set _ZN7rocprim17ROCPRIM_400000_NS6detail17trampoline_kernelINS0_14default_configENS1_27scan_by_key_config_selectorIiiEEZZNS1_16scan_by_key_implILNS1_25lookback_scan_determinismE0ELb1ES3_N6thrust23THRUST_200600_302600_NS6detail15normal_iteratorINS9_10device_ptrIiEEEENSB_INSC_IjEEEESE_iNS9_4plusIvEENS9_8equal_toIvEEiEE10hipError_tPvRmT2_T3_T4_T5_mT6_T7_P12ihipStream_tbENKUlT_T0_E_clISt17integral_constantIbLb1EES11_EEDaSW_SX_EUlSW_E_NS1_11comp_targetILNS1_3genE0ELNS1_11target_archE4294967295ELNS1_3gpuE0ELNS1_3repE0EEENS1_30default_config_static_selectorELNS0_4arch9wavefront6targetE0EEEvT1_.num_named_barrier, 0
	.set _ZN7rocprim17ROCPRIM_400000_NS6detail17trampoline_kernelINS0_14default_configENS1_27scan_by_key_config_selectorIiiEEZZNS1_16scan_by_key_implILNS1_25lookback_scan_determinismE0ELb1ES3_N6thrust23THRUST_200600_302600_NS6detail15normal_iteratorINS9_10device_ptrIiEEEENSB_INSC_IjEEEESE_iNS9_4plusIvEENS9_8equal_toIvEEiEE10hipError_tPvRmT2_T3_T4_T5_mT6_T7_P12ihipStream_tbENKUlT_T0_E_clISt17integral_constantIbLb1EES11_EEDaSW_SX_EUlSW_E_NS1_11comp_targetILNS1_3genE0ELNS1_11target_archE4294967295ELNS1_3gpuE0ELNS1_3repE0EEENS1_30default_config_static_selectorELNS0_4arch9wavefront6targetE0EEEvT1_.private_seg_size, 0
	.set _ZN7rocprim17ROCPRIM_400000_NS6detail17trampoline_kernelINS0_14default_configENS1_27scan_by_key_config_selectorIiiEEZZNS1_16scan_by_key_implILNS1_25lookback_scan_determinismE0ELb1ES3_N6thrust23THRUST_200600_302600_NS6detail15normal_iteratorINS9_10device_ptrIiEEEENSB_INSC_IjEEEESE_iNS9_4plusIvEENS9_8equal_toIvEEiEE10hipError_tPvRmT2_T3_T4_T5_mT6_T7_P12ihipStream_tbENKUlT_T0_E_clISt17integral_constantIbLb1EES11_EEDaSW_SX_EUlSW_E_NS1_11comp_targetILNS1_3genE0ELNS1_11target_archE4294967295ELNS1_3gpuE0ELNS1_3repE0EEENS1_30default_config_static_selectorELNS0_4arch9wavefront6targetE0EEEvT1_.uses_vcc, 0
	.set _ZN7rocprim17ROCPRIM_400000_NS6detail17trampoline_kernelINS0_14default_configENS1_27scan_by_key_config_selectorIiiEEZZNS1_16scan_by_key_implILNS1_25lookback_scan_determinismE0ELb1ES3_N6thrust23THRUST_200600_302600_NS6detail15normal_iteratorINS9_10device_ptrIiEEEENSB_INSC_IjEEEESE_iNS9_4plusIvEENS9_8equal_toIvEEiEE10hipError_tPvRmT2_T3_T4_T5_mT6_T7_P12ihipStream_tbENKUlT_T0_E_clISt17integral_constantIbLb1EES11_EEDaSW_SX_EUlSW_E_NS1_11comp_targetILNS1_3genE0ELNS1_11target_archE4294967295ELNS1_3gpuE0ELNS1_3repE0EEENS1_30default_config_static_selectorELNS0_4arch9wavefront6targetE0EEEvT1_.uses_flat_scratch, 0
	.set _ZN7rocprim17ROCPRIM_400000_NS6detail17trampoline_kernelINS0_14default_configENS1_27scan_by_key_config_selectorIiiEEZZNS1_16scan_by_key_implILNS1_25lookback_scan_determinismE0ELb1ES3_N6thrust23THRUST_200600_302600_NS6detail15normal_iteratorINS9_10device_ptrIiEEEENSB_INSC_IjEEEESE_iNS9_4plusIvEENS9_8equal_toIvEEiEE10hipError_tPvRmT2_T3_T4_T5_mT6_T7_P12ihipStream_tbENKUlT_T0_E_clISt17integral_constantIbLb1EES11_EEDaSW_SX_EUlSW_E_NS1_11comp_targetILNS1_3genE0ELNS1_11target_archE4294967295ELNS1_3gpuE0ELNS1_3repE0EEENS1_30default_config_static_selectorELNS0_4arch9wavefront6targetE0EEEvT1_.has_dyn_sized_stack, 0
	.set _ZN7rocprim17ROCPRIM_400000_NS6detail17trampoline_kernelINS0_14default_configENS1_27scan_by_key_config_selectorIiiEEZZNS1_16scan_by_key_implILNS1_25lookback_scan_determinismE0ELb1ES3_N6thrust23THRUST_200600_302600_NS6detail15normal_iteratorINS9_10device_ptrIiEEEENSB_INSC_IjEEEESE_iNS9_4plusIvEENS9_8equal_toIvEEiEE10hipError_tPvRmT2_T3_T4_T5_mT6_T7_P12ihipStream_tbENKUlT_T0_E_clISt17integral_constantIbLb1EES11_EEDaSW_SX_EUlSW_E_NS1_11comp_targetILNS1_3genE0ELNS1_11target_archE4294967295ELNS1_3gpuE0ELNS1_3repE0EEENS1_30default_config_static_selectorELNS0_4arch9wavefront6targetE0EEEvT1_.has_recursion, 0
	.set _ZN7rocprim17ROCPRIM_400000_NS6detail17trampoline_kernelINS0_14default_configENS1_27scan_by_key_config_selectorIiiEEZZNS1_16scan_by_key_implILNS1_25lookback_scan_determinismE0ELb1ES3_N6thrust23THRUST_200600_302600_NS6detail15normal_iteratorINS9_10device_ptrIiEEEENSB_INSC_IjEEEESE_iNS9_4plusIvEENS9_8equal_toIvEEiEE10hipError_tPvRmT2_T3_T4_T5_mT6_T7_P12ihipStream_tbENKUlT_T0_E_clISt17integral_constantIbLb1EES11_EEDaSW_SX_EUlSW_E_NS1_11comp_targetILNS1_3genE0ELNS1_11target_archE4294967295ELNS1_3gpuE0ELNS1_3repE0EEENS1_30default_config_static_selectorELNS0_4arch9wavefront6targetE0EEEvT1_.has_indirect_call, 0
	.section	.AMDGPU.csdata,"",@progbits
; Kernel info:
; codeLenInByte = 4
; TotalNumSgprs: 0
; NumVgprs: 0
; ScratchSize: 0
; MemoryBound: 0
; FloatMode: 240
; IeeeMode: 1
; LDSByteSize: 0 bytes/workgroup (compile time only)
; SGPRBlocks: 0
; VGPRBlocks: 0
; NumSGPRsForWavesPerEU: 1
; NumVGPRsForWavesPerEU: 1
; NamedBarCnt: 0
; Occupancy: 16
; WaveLimiterHint : 0
; COMPUTE_PGM_RSRC2:SCRATCH_EN: 0
; COMPUTE_PGM_RSRC2:USER_SGPR: 2
; COMPUTE_PGM_RSRC2:TRAP_HANDLER: 0
; COMPUTE_PGM_RSRC2:TGID_X_EN: 1
; COMPUTE_PGM_RSRC2:TGID_Y_EN: 0
; COMPUTE_PGM_RSRC2:TGID_Z_EN: 0
; COMPUTE_PGM_RSRC2:TIDIG_COMP_CNT: 0
	.section	.text._ZN7rocprim17ROCPRIM_400000_NS6detail17trampoline_kernelINS0_14default_configENS1_27scan_by_key_config_selectorIiiEEZZNS1_16scan_by_key_implILNS1_25lookback_scan_determinismE0ELb1ES3_N6thrust23THRUST_200600_302600_NS6detail15normal_iteratorINS9_10device_ptrIiEEEENSB_INSC_IjEEEESE_iNS9_4plusIvEENS9_8equal_toIvEEiEE10hipError_tPvRmT2_T3_T4_T5_mT6_T7_P12ihipStream_tbENKUlT_T0_E_clISt17integral_constantIbLb1EES11_EEDaSW_SX_EUlSW_E_NS1_11comp_targetILNS1_3genE10ELNS1_11target_archE1201ELNS1_3gpuE5ELNS1_3repE0EEENS1_30default_config_static_selectorELNS0_4arch9wavefront6targetE0EEEvT1_,"axG",@progbits,_ZN7rocprim17ROCPRIM_400000_NS6detail17trampoline_kernelINS0_14default_configENS1_27scan_by_key_config_selectorIiiEEZZNS1_16scan_by_key_implILNS1_25lookback_scan_determinismE0ELb1ES3_N6thrust23THRUST_200600_302600_NS6detail15normal_iteratorINS9_10device_ptrIiEEEENSB_INSC_IjEEEESE_iNS9_4plusIvEENS9_8equal_toIvEEiEE10hipError_tPvRmT2_T3_T4_T5_mT6_T7_P12ihipStream_tbENKUlT_T0_E_clISt17integral_constantIbLb1EES11_EEDaSW_SX_EUlSW_E_NS1_11comp_targetILNS1_3genE10ELNS1_11target_archE1201ELNS1_3gpuE5ELNS1_3repE0EEENS1_30default_config_static_selectorELNS0_4arch9wavefront6targetE0EEEvT1_,comdat
	.protected	_ZN7rocprim17ROCPRIM_400000_NS6detail17trampoline_kernelINS0_14default_configENS1_27scan_by_key_config_selectorIiiEEZZNS1_16scan_by_key_implILNS1_25lookback_scan_determinismE0ELb1ES3_N6thrust23THRUST_200600_302600_NS6detail15normal_iteratorINS9_10device_ptrIiEEEENSB_INSC_IjEEEESE_iNS9_4plusIvEENS9_8equal_toIvEEiEE10hipError_tPvRmT2_T3_T4_T5_mT6_T7_P12ihipStream_tbENKUlT_T0_E_clISt17integral_constantIbLb1EES11_EEDaSW_SX_EUlSW_E_NS1_11comp_targetILNS1_3genE10ELNS1_11target_archE1201ELNS1_3gpuE5ELNS1_3repE0EEENS1_30default_config_static_selectorELNS0_4arch9wavefront6targetE0EEEvT1_ ; -- Begin function _ZN7rocprim17ROCPRIM_400000_NS6detail17trampoline_kernelINS0_14default_configENS1_27scan_by_key_config_selectorIiiEEZZNS1_16scan_by_key_implILNS1_25lookback_scan_determinismE0ELb1ES3_N6thrust23THRUST_200600_302600_NS6detail15normal_iteratorINS9_10device_ptrIiEEEENSB_INSC_IjEEEESE_iNS9_4plusIvEENS9_8equal_toIvEEiEE10hipError_tPvRmT2_T3_T4_T5_mT6_T7_P12ihipStream_tbENKUlT_T0_E_clISt17integral_constantIbLb1EES11_EEDaSW_SX_EUlSW_E_NS1_11comp_targetILNS1_3genE10ELNS1_11target_archE1201ELNS1_3gpuE5ELNS1_3repE0EEENS1_30default_config_static_selectorELNS0_4arch9wavefront6targetE0EEEvT1_
	.globl	_ZN7rocprim17ROCPRIM_400000_NS6detail17trampoline_kernelINS0_14default_configENS1_27scan_by_key_config_selectorIiiEEZZNS1_16scan_by_key_implILNS1_25lookback_scan_determinismE0ELb1ES3_N6thrust23THRUST_200600_302600_NS6detail15normal_iteratorINS9_10device_ptrIiEEEENSB_INSC_IjEEEESE_iNS9_4plusIvEENS9_8equal_toIvEEiEE10hipError_tPvRmT2_T3_T4_T5_mT6_T7_P12ihipStream_tbENKUlT_T0_E_clISt17integral_constantIbLb1EES11_EEDaSW_SX_EUlSW_E_NS1_11comp_targetILNS1_3genE10ELNS1_11target_archE1201ELNS1_3gpuE5ELNS1_3repE0EEENS1_30default_config_static_selectorELNS0_4arch9wavefront6targetE0EEEvT1_
	.p2align	8
	.type	_ZN7rocprim17ROCPRIM_400000_NS6detail17trampoline_kernelINS0_14default_configENS1_27scan_by_key_config_selectorIiiEEZZNS1_16scan_by_key_implILNS1_25lookback_scan_determinismE0ELb1ES3_N6thrust23THRUST_200600_302600_NS6detail15normal_iteratorINS9_10device_ptrIiEEEENSB_INSC_IjEEEESE_iNS9_4plusIvEENS9_8equal_toIvEEiEE10hipError_tPvRmT2_T3_T4_T5_mT6_T7_P12ihipStream_tbENKUlT_T0_E_clISt17integral_constantIbLb1EES11_EEDaSW_SX_EUlSW_E_NS1_11comp_targetILNS1_3genE10ELNS1_11target_archE1201ELNS1_3gpuE5ELNS1_3repE0EEENS1_30default_config_static_selectorELNS0_4arch9wavefront6targetE0EEEvT1_,@function
_ZN7rocprim17ROCPRIM_400000_NS6detail17trampoline_kernelINS0_14default_configENS1_27scan_by_key_config_selectorIiiEEZZNS1_16scan_by_key_implILNS1_25lookback_scan_determinismE0ELb1ES3_N6thrust23THRUST_200600_302600_NS6detail15normal_iteratorINS9_10device_ptrIiEEEENSB_INSC_IjEEEESE_iNS9_4plusIvEENS9_8equal_toIvEEiEE10hipError_tPvRmT2_T3_T4_T5_mT6_T7_P12ihipStream_tbENKUlT_T0_E_clISt17integral_constantIbLb1EES11_EEDaSW_SX_EUlSW_E_NS1_11comp_targetILNS1_3genE10ELNS1_11target_archE1201ELNS1_3gpuE5ELNS1_3repE0EEENS1_30default_config_static_selectorELNS0_4arch9wavefront6targetE0EEEvT1_: ; @_ZN7rocprim17ROCPRIM_400000_NS6detail17trampoline_kernelINS0_14default_configENS1_27scan_by_key_config_selectorIiiEEZZNS1_16scan_by_key_implILNS1_25lookback_scan_determinismE0ELb1ES3_N6thrust23THRUST_200600_302600_NS6detail15normal_iteratorINS9_10device_ptrIiEEEENSB_INSC_IjEEEESE_iNS9_4plusIvEENS9_8equal_toIvEEiEE10hipError_tPvRmT2_T3_T4_T5_mT6_T7_P12ihipStream_tbENKUlT_T0_E_clISt17integral_constantIbLb1EES11_EEDaSW_SX_EUlSW_E_NS1_11comp_targetILNS1_3genE10ELNS1_11target_archE1201ELNS1_3gpuE5ELNS1_3repE0EEENS1_30default_config_static_selectorELNS0_4arch9wavefront6targetE0EEEvT1_
; %bb.0:
	.section	.rodata,"a",@progbits
	.p2align	6, 0x0
	.amdhsa_kernel _ZN7rocprim17ROCPRIM_400000_NS6detail17trampoline_kernelINS0_14default_configENS1_27scan_by_key_config_selectorIiiEEZZNS1_16scan_by_key_implILNS1_25lookback_scan_determinismE0ELb1ES3_N6thrust23THRUST_200600_302600_NS6detail15normal_iteratorINS9_10device_ptrIiEEEENSB_INSC_IjEEEESE_iNS9_4plusIvEENS9_8equal_toIvEEiEE10hipError_tPvRmT2_T3_T4_T5_mT6_T7_P12ihipStream_tbENKUlT_T0_E_clISt17integral_constantIbLb1EES11_EEDaSW_SX_EUlSW_E_NS1_11comp_targetILNS1_3genE10ELNS1_11target_archE1201ELNS1_3gpuE5ELNS1_3repE0EEENS1_30default_config_static_selectorELNS0_4arch9wavefront6targetE0EEEvT1_
		.amdhsa_group_segment_fixed_size 0
		.amdhsa_private_segment_fixed_size 0
		.amdhsa_kernarg_size 112
		.amdhsa_user_sgpr_count 2
		.amdhsa_user_sgpr_dispatch_ptr 0
		.amdhsa_user_sgpr_queue_ptr 0
		.amdhsa_user_sgpr_kernarg_segment_ptr 1
		.amdhsa_user_sgpr_dispatch_id 0
		.amdhsa_user_sgpr_kernarg_preload_length 0
		.amdhsa_user_sgpr_kernarg_preload_offset 0
		.amdhsa_user_sgpr_private_segment_size 0
		.amdhsa_wavefront_size32 1
		.amdhsa_uses_dynamic_stack 0
		.amdhsa_enable_private_segment 0
		.amdhsa_system_sgpr_workgroup_id_x 1
		.amdhsa_system_sgpr_workgroup_id_y 0
		.amdhsa_system_sgpr_workgroup_id_z 0
		.amdhsa_system_sgpr_workgroup_info 0
		.amdhsa_system_vgpr_workitem_id 0
		.amdhsa_next_free_vgpr 1
		.amdhsa_next_free_sgpr 1
		.amdhsa_named_barrier_count 0
		.amdhsa_reserve_vcc 0
		.amdhsa_float_round_mode_32 0
		.amdhsa_float_round_mode_16_64 0
		.amdhsa_float_denorm_mode_32 3
		.amdhsa_float_denorm_mode_16_64 3
		.amdhsa_fp16_overflow 0
		.amdhsa_memory_ordered 1
		.amdhsa_forward_progress 1
		.amdhsa_inst_pref_size 0
		.amdhsa_round_robin_scheduling 0
		.amdhsa_exception_fp_ieee_invalid_op 0
		.amdhsa_exception_fp_denorm_src 0
		.amdhsa_exception_fp_ieee_div_zero 0
		.amdhsa_exception_fp_ieee_overflow 0
		.amdhsa_exception_fp_ieee_underflow 0
		.amdhsa_exception_fp_ieee_inexact 0
		.amdhsa_exception_int_div_zero 0
	.end_amdhsa_kernel
	.section	.text._ZN7rocprim17ROCPRIM_400000_NS6detail17trampoline_kernelINS0_14default_configENS1_27scan_by_key_config_selectorIiiEEZZNS1_16scan_by_key_implILNS1_25lookback_scan_determinismE0ELb1ES3_N6thrust23THRUST_200600_302600_NS6detail15normal_iteratorINS9_10device_ptrIiEEEENSB_INSC_IjEEEESE_iNS9_4plusIvEENS9_8equal_toIvEEiEE10hipError_tPvRmT2_T3_T4_T5_mT6_T7_P12ihipStream_tbENKUlT_T0_E_clISt17integral_constantIbLb1EES11_EEDaSW_SX_EUlSW_E_NS1_11comp_targetILNS1_3genE10ELNS1_11target_archE1201ELNS1_3gpuE5ELNS1_3repE0EEENS1_30default_config_static_selectorELNS0_4arch9wavefront6targetE0EEEvT1_,"axG",@progbits,_ZN7rocprim17ROCPRIM_400000_NS6detail17trampoline_kernelINS0_14default_configENS1_27scan_by_key_config_selectorIiiEEZZNS1_16scan_by_key_implILNS1_25lookback_scan_determinismE0ELb1ES3_N6thrust23THRUST_200600_302600_NS6detail15normal_iteratorINS9_10device_ptrIiEEEENSB_INSC_IjEEEESE_iNS9_4plusIvEENS9_8equal_toIvEEiEE10hipError_tPvRmT2_T3_T4_T5_mT6_T7_P12ihipStream_tbENKUlT_T0_E_clISt17integral_constantIbLb1EES11_EEDaSW_SX_EUlSW_E_NS1_11comp_targetILNS1_3genE10ELNS1_11target_archE1201ELNS1_3gpuE5ELNS1_3repE0EEENS1_30default_config_static_selectorELNS0_4arch9wavefront6targetE0EEEvT1_,comdat
.Lfunc_end1762:
	.size	_ZN7rocprim17ROCPRIM_400000_NS6detail17trampoline_kernelINS0_14default_configENS1_27scan_by_key_config_selectorIiiEEZZNS1_16scan_by_key_implILNS1_25lookback_scan_determinismE0ELb1ES3_N6thrust23THRUST_200600_302600_NS6detail15normal_iteratorINS9_10device_ptrIiEEEENSB_INSC_IjEEEESE_iNS9_4plusIvEENS9_8equal_toIvEEiEE10hipError_tPvRmT2_T3_T4_T5_mT6_T7_P12ihipStream_tbENKUlT_T0_E_clISt17integral_constantIbLb1EES11_EEDaSW_SX_EUlSW_E_NS1_11comp_targetILNS1_3genE10ELNS1_11target_archE1201ELNS1_3gpuE5ELNS1_3repE0EEENS1_30default_config_static_selectorELNS0_4arch9wavefront6targetE0EEEvT1_, .Lfunc_end1762-_ZN7rocprim17ROCPRIM_400000_NS6detail17trampoline_kernelINS0_14default_configENS1_27scan_by_key_config_selectorIiiEEZZNS1_16scan_by_key_implILNS1_25lookback_scan_determinismE0ELb1ES3_N6thrust23THRUST_200600_302600_NS6detail15normal_iteratorINS9_10device_ptrIiEEEENSB_INSC_IjEEEESE_iNS9_4plusIvEENS9_8equal_toIvEEiEE10hipError_tPvRmT2_T3_T4_T5_mT6_T7_P12ihipStream_tbENKUlT_T0_E_clISt17integral_constantIbLb1EES11_EEDaSW_SX_EUlSW_E_NS1_11comp_targetILNS1_3genE10ELNS1_11target_archE1201ELNS1_3gpuE5ELNS1_3repE0EEENS1_30default_config_static_selectorELNS0_4arch9wavefront6targetE0EEEvT1_
                                        ; -- End function
	.set _ZN7rocprim17ROCPRIM_400000_NS6detail17trampoline_kernelINS0_14default_configENS1_27scan_by_key_config_selectorIiiEEZZNS1_16scan_by_key_implILNS1_25lookback_scan_determinismE0ELb1ES3_N6thrust23THRUST_200600_302600_NS6detail15normal_iteratorINS9_10device_ptrIiEEEENSB_INSC_IjEEEESE_iNS9_4plusIvEENS9_8equal_toIvEEiEE10hipError_tPvRmT2_T3_T4_T5_mT6_T7_P12ihipStream_tbENKUlT_T0_E_clISt17integral_constantIbLb1EES11_EEDaSW_SX_EUlSW_E_NS1_11comp_targetILNS1_3genE10ELNS1_11target_archE1201ELNS1_3gpuE5ELNS1_3repE0EEENS1_30default_config_static_selectorELNS0_4arch9wavefront6targetE0EEEvT1_.num_vgpr, 0
	.set _ZN7rocprim17ROCPRIM_400000_NS6detail17trampoline_kernelINS0_14default_configENS1_27scan_by_key_config_selectorIiiEEZZNS1_16scan_by_key_implILNS1_25lookback_scan_determinismE0ELb1ES3_N6thrust23THRUST_200600_302600_NS6detail15normal_iteratorINS9_10device_ptrIiEEEENSB_INSC_IjEEEESE_iNS9_4plusIvEENS9_8equal_toIvEEiEE10hipError_tPvRmT2_T3_T4_T5_mT6_T7_P12ihipStream_tbENKUlT_T0_E_clISt17integral_constantIbLb1EES11_EEDaSW_SX_EUlSW_E_NS1_11comp_targetILNS1_3genE10ELNS1_11target_archE1201ELNS1_3gpuE5ELNS1_3repE0EEENS1_30default_config_static_selectorELNS0_4arch9wavefront6targetE0EEEvT1_.num_agpr, 0
	.set _ZN7rocprim17ROCPRIM_400000_NS6detail17trampoline_kernelINS0_14default_configENS1_27scan_by_key_config_selectorIiiEEZZNS1_16scan_by_key_implILNS1_25lookback_scan_determinismE0ELb1ES3_N6thrust23THRUST_200600_302600_NS6detail15normal_iteratorINS9_10device_ptrIiEEEENSB_INSC_IjEEEESE_iNS9_4plusIvEENS9_8equal_toIvEEiEE10hipError_tPvRmT2_T3_T4_T5_mT6_T7_P12ihipStream_tbENKUlT_T0_E_clISt17integral_constantIbLb1EES11_EEDaSW_SX_EUlSW_E_NS1_11comp_targetILNS1_3genE10ELNS1_11target_archE1201ELNS1_3gpuE5ELNS1_3repE0EEENS1_30default_config_static_selectorELNS0_4arch9wavefront6targetE0EEEvT1_.numbered_sgpr, 0
	.set _ZN7rocprim17ROCPRIM_400000_NS6detail17trampoline_kernelINS0_14default_configENS1_27scan_by_key_config_selectorIiiEEZZNS1_16scan_by_key_implILNS1_25lookback_scan_determinismE0ELb1ES3_N6thrust23THRUST_200600_302600_NS6detail15normal_iteratorINS9_10device_ptrIiEEEENSB_INSC_IjEEEESE_iNS9_4plusIvEENS9_8equal_toIvEEiEE10hipError_tPvRmT2_T3_T4_T5_mT6_T7_P12ihipStream_tbENKUlT_T0_E_clISt17integral_constantIbLb1EES11_EEDaSW_SX_EUlSW_E_NS1_11comp_targetILNS1_3genE10ELNS1_11target_archE1201ELNS1_3gpuE5ELNS1_3repE0EEENS1_30default_config_static_selectorELNS0_4arch9wavefront6targetE0EEEvT1_.num_named_barrier, 0
	.set _ZN7rocprim17ROCPRIM_400000_NS6detail17trampoline_kernelINS0_14default_configENS1_27scan_by_key_config_selectorIiiEEZZNS1_16scan_by_key_implILNS1_25lookback_scan_determinismE0ELb1ES3_N6thrust23THRUST_200600_302600_NS6detail15normal_iteratorINS9_10device_ptrIiEEEENSB_INSC_IjEEEESE_iNS9_4plusIvEENS9_8equal_toIvEEiEE10hipError_tPvRmT2_T3_T4_T5_mT6_T7_P12ihipStream_tbENKUlT_T0_E_clISt17integral_constantIbLb1EES11_EEDaSW_SX_EUlSW_E_NS1_11comp_targetILNS1_3genE10ELNS1_11target_archE1201ELNS1_3gpuE5ELNS1_3repE0EEENS1_30default_config_static_selectorELNS0_4arch9wavefront6targetE0EEEvT1_.private_seg_size, 0
	.set _ZN7rocprim17ROCPRIM_400000_NS6detail17trampoline_kernelINS0_14default_configENS1_27scan_by_key_config_selectorIiiEEZZNS1_16scan_by_key_implILNS1_25lookback_scan_determinismE0ELb1ES3_N6thrust23THRUST_200600_302600_NS6detail15normal_iteratorINS9_10device_ptrIiEEEENSB_INSC_IjEEEESE_iNS9_4plusIvEENS9_8equal_toIvEEiEE10hipError_tPvRmT2_T3_T4_T5_mT6_T7_P12ihipStream_tbENKUlT_T0_E_clISt17integral_constantIbLb1EES11_EEDaSW_SX_EUlSW_E_NS1_11comp_targetILNS1_3genE10ELNS1_11target_archE1201ELNS1_3gpuE5ELNS1_3repE0EEENS1_30default_config_static_selectorELNS0_4arch9wavefront6targetE0EEEvT1_.uses_vcc, 0
	.set _ZN7rocprim17ROCPRIM_400000_NS6detail17trampoline_kernelINS0_14default_configENS1_27scan_by_key_config_selectorIiiEEZZNS1_16scan_by_key_implILNS1_25lookback_scan_determinismE0ELb1ES3_N6thrust23THRUST_200600_302600_NS6detail15normal_iteratorINS9_10device_ptrIiEEEENSB_INSC_IjEEEESE_iNS9_4plusIvEENS9_8equal_toIvEEiEE10hipError_tPvRmT2_T3_T4_T5_mT6_T7_P12ihipStream_tbENKUlT_T0_E_clISt17integral_constantIbLb1EES11_EEDaSW_SX_EUlSW_E_NS1_11comp_targetILNS1_3genE10ELNS1_11target_archE1201ELNS1_3gpuE5ELNS1_3repE0EEENS1_30default_config_static_selectorELNS0_4arch9wavefront6targetE0EEEvT1_.uses_flat_scratch, 0
	.set _ZN7rocprim17ROCPRIM_400000_NS6detail17trampoline_kernelINS0_14default_configENS1_27scan_by_key_config_selectorIiiEEZZNS1_16scan_by_key_implILNS1_25lookback_scan_determinismE0ELb1ES3_N6thrust23THRUST_200600_302600_NS6detail15normal_iteratorINS9_10device_ptrIiEEEENSB_INSC_IjEEEESE_iNS9_4plusIvEENS9_8equal_toIvEEiEE10hipError_tPvRmT2_T3_T4_T5_mT6_T7_P12ihipStream_tbENKUlT_T0_E_clISt17integral_constantIbLb1EES11_EEDaSW_SX_EUlSW_E_NS1_11comp_targetILNS1_3genE10ELNS1_11target_archE1201ELNS1_3gpuE5ELNS1_3repE0EEENS1_30default_config_static_selectorELNS0_4arch9wavefront6targetE0EEEvT1_.has_dyn_sized_stack, 0
	.set _ZN7rocprim17ROCPRIM_400000_NS6detail17trampoline_kernelINS0_14default_configENS1_27scan_by_key_config_selectorIiiEEZZNS1_16scan_by_key_implILNS1_25lookback_scan_determinismE0ELb1ES3_N6thrust23THRUST_200600_302600_NS6detail15normal_iteratorINS9_10device_ptrIiEEEENSB_INSC_IjEEEESE_iNS9_4plusIvEENS9_8equal_toIvEEiEE10hipError_tPvRmT2_T3_T4_T5_mT6_T7_P12ihipStream_tbENKUlT_T0_E_clISt17integral_constantIbLb1EES11_EEDaSW_SX_EUlSW_E_NS1_11comp_targetILNS1_3genE10ELNS1_11target_archE1201ELNS1_3gpuE5ELNS1_3repE0EEENS1_30default_config_static_selectorELNS0_4arch9wavefront6targetE0EEEvT1_.has_recursion, 0
	.set _ZN7rocprim17ROCPRIM_400000_NS6detail17trampoline_kernelINS0_14default_configENS1_27scan_by_key_config_selectorIiiEEZZNS1_16scan_by_key_implILNS1_25lookback_scan_determinismE0ELb1ES3_N6thrust23THRUST_200600_302600_NS6detail15normal_iteratorINS9_10device_ptrIiEEEENSB_INSC_IjEEEESE_iNS9_4plusIvEENS9_8equal_toIvEEiEE10hipError_tPvRmT2_T3_T4_T5_mT6_T7_P12ihipStream_tbENKUlT_T0_E_clISt17integral_constantIbLb1EES11_EEDaSW_SX_EUlSW_E_NS1_11comp_targetILNS1_3genE10ELNS1_11target_archE1201ELNS1_3gpuE5ELNS1_3repE0EEENS1_30default_config_static_selectorELNS0_4arch9wavefront6targetE0EEEvT1_.has_indirect_call, 0
	.section	.AMDGPU.csdata,"",@progbits
; Kernel info:
; codeLenInByte = 0
; TotalNumSgprs: 0
; NumVgprs: 0
; ScratchSize: 0
; MemoryBound: 0
; FloatMode: 240
; IeeeMode: 1
; LDSByteSize: 0 bytes/workgroup (compile time only)
; SGPRBlocks: 0
; VGPRBlocks: 0
; NumSGPRsForWavesPerEU: 1
; NumVGPRsForWavesPerEU: 1
; NamedBarCnt: 0
; Occupancy: 16
; WaveLimiterHint : 0
; COMPUTE_PGM_RSRC2:SCRATCH_EN: 0
; COMPUTE_PGM_RSRC2:USER_SGPR: 2
; COMPUTE_PGM_RSRC2:TRAP_HANDLER: 0
; COMPUTE_PGM_RSRC2:TGID_X_EN: 1
; COMPUTE_PGM_RSRC2:TGID_Y_EN: 0
; COMPUTE_PGM_RSRC2:TGID_Z_EN: 0
; COMPUTE_PGM_RSRC2:TIDIG_COMP_CNT: 0
	.section	.text._ZN7rocprim17ROCPRIM_400000_NS6detail17trampoline_kernelINS0_14default_configENS1_27scan_by_key_config_selectorIiiEEZZNS1_16scan_by_key_implILNS1_25lookback_scan_determinismE0ELb1ES3_N6thrust23THRUST_200600_302600_NS6detail15normal_iteratorINS9_10device_ptrIiEEEENSB_INSC_IjEEEESE_iNS9_4plusIvEENS9_8equal_toIvEEiEE10hipError_tPvRmT2_T3_T4_T5_mT6_T7_P12ihipStream_tbENKUlT_T0_E_clISt17integral_constantIbLb1EES11_EEDaSW_SX_EUlSW_E_NS1_11comp_targetILNS1_3genE5ELNS1_11target_archE942ELNS1_3gpuE9ELNS1_3repE0EEENS1_30default_config_static_selectorELNS0_4arch9wavefront6targetE0EEEvT1_,"axG",@progbits,_ZN7rocprim17ROCPRIM_400000_NS6detail17trampoline_kernelINS0_14default_configENS1_27scan_by_key_config_selectorIiiEEZZNS1_16scan_by_key_implILNS1_25lookback_scan_determinismE0ELb1ES3_N6thrust23THRUST_200600_302600_NS6detail15normal_iteratorINS9_10device_ptrIiEEEENSB_INSC_IjEEEESE_iNS9_4plusIvEENS9_8equal_toIvEEiEE10hipError_tPvRmT2_T3_T4_T5_mT6_T7_P12ihipStream_tbENKUlT_T0_E_clISt17integral_constantIbLb1EES11_EEDaSW_SX_EUlSW_E_NS1_11comp_targetILNS1_3genE5ELNS1_11target_archE942ELNS1_3gpuE9ELNS1_3repE0EEENS1_30default_config_static_selectorELNS0_4arch9wavefront6targetE0EEEvT1_,comdat
	.protected	_ZN7rocprim17ROCPRIM_400000_NS6detail17trampoline_kernelINS0_14default_configENS1_27scan_by_key_config_selectorIiiEEZZNS1_16scan_by_key_implILNS1_25lookback_scan_determinismE0ELb1ES3_N6thrust23THRUST_200600_302600_NS6detail15normal_iteratorINS9_10device_ptrIiEEEENSB_INSC_IjEEEESE_iNS9_4plusIvEENS9_8equal_toIvEEiEE10hipError_tPvRmT2_T3_T4_T5_mT6_T7_P12ihipStream_tbENKUlT_T0_E_clISt17integral_constantIbLb1EES11_EEDaSW_SX_EUlSW_E_NS1_11comp_targetILNS1_3genE5ELNS1_11target_archE942ELNS1_3gpuE9ELNS1_3repE0EEENS1_30default_config_static_selectorELNS0_4arch9wavefront6targetE0EEEvT1_ ; -- Begin function _ZN7rocprim17ROCPRIM_400000_NS6detail17trampoline_kernelINS0_14default_configENS1_27scan_by_key_config_selectorIiiEEZZNS1_16scan_by_key_implILNS1_25lookback_scan_determinismE0ELb1ES3_N6thrust23THRUST_200600_302600_NS6detail15normal_iteratorINS9_10device_ptrIiEEEENSB_INSC_IjEEEESE_iNS9_4plusIvEENS9_8equal_toIvEEiEE10hipError_tPvRmT2_T3_T4_T5_mT6_T7_P12ihipStream_tbENKUlT_T0_E_clISt17integral_constantIbLb1EES11_EEDaSW_SX_EUlSW_E_NS1_11comp_targetILNS1_3genE5ELNS1_11target_archE942ELNS1_3gpuE9ELNS1_3repE0EEENS1_30default_config_static_selectorELNS0_4arch9wavefront6targetE0EEEvT1_
	.globl	_ZN7rocprim17ROCPRIM_400000_NS6detail17trampoline_kernelINS0_14default_configENS1_27scan_by_key_config_selectorIiiEEZZNS1_16scan_by_key_implILNS1_25lookback_scan_determinismE0ELb1ES3_N6thrust23THRUST_200600_302600_NS6detail15normal_iteratorINS9_10device_ptrIiEEEENSB_INSC_IjEEEESE_iNS9_4plusIvEENS9_8equal_toIvEEiEE10hipError_tPvRmT2_T3_T4_T5_mT6_T7_P12ihipStream_tbENKUlT_T0_E_clISt17integral_constantIbLb1EES11_EEDaSW_SX_EUlSW_E_NS1_11comp_targetILNS1_3genE5ELNS1_11target_archE942ELNS1_3gpuE9ELNS1_3repE0EEENS1_30default_config_static_selectorELNS0_4arch9wavefront6targetE0EEEvT1_
	.p2align	8
	.type	_ZN7rocprim17ROCPRIM_400000_NS6detail17trampoline_kernelINS0_14default_configENS1_27scan_by_key_config_selectorIiiEEZZNS1_16scan_by_key_implILNS1_25lookback_scan_determinismE0ELb1ES3_N6thrust23THRUST_200600_302600_NS6detail15normal_iteratorINS9_10device_ptrIiEEEENSB_INSC_IjEEEESE_iNS9_4plusIvEENS9_8equal_toIvEEiEE10hipError_tPvRmT2_T3_T4_T5_mT6_T7_P12ihipStream_tbENKUlT_T0_E_clISt17integral_constantIbLb1EES11_EEDaSW_SX_EUlSW_E_NS1_11comp_targetILNS1_3genE5ELNS1_11target_archE942ELNS1_3gpuE9ELNS1_3repE0EEENS1_30default_config_static_selectorELNS0_4arch9wavefront6targetE0EEEvT1_,@function
_ZN7rocprim17ROCPRIM_400000_NS6detail17trampoline_kernelINS0_14default_configENS1_27scan_by_key_config_selectorIiiEEZZNS1_16scan_by_key_implILNS1_25lookback_scan_determinismE0ELb1ES3_N6thrust23THRUST_200600_302600_NS6detail15normal_iteratorINS9_10device_ptrIiEEEENSB_INSC_IjEEEESE_iNS9_4plusIvEENS9_8equal_toIvEEiEE10hipError_tPvRmT2_T3_T4_T5_mT6_T7_P12ihipStream_tbENKUlT_T0_E_clISt17integral_constantIbLb1EES11_EEDaSW_SX_EUlSW_E_NS1_11comp_targetILNS1_3genE5ELNS1_11target_archE942ELNS1_3gpuE9ELNS1_3repE0EEENS1_30default_config_static_selectorELNS0_4arch9wavefront6targetE0EEEvT1_: ; @_ZN7rocprim17ROCPRIM_400000_NS6detail17trampoline_kernelINS0_14default_configENS1_27scan_by_key_config_selectorIiiEEZZNS1_16scan_by_key_implILNS1_25lookback_scan_determinismE0ELb1ES3_N6thrust23THRUST_200600_302600_NS6detail15normal_iteratorINS9_10device_ptrIiEEEENSB_INSC_IjEEEESE_iNS9_4plusIvEENS9_8equal_toIvEEiEE10hipError_tPvRmT2_T3_T4_T5_mT6_T7_P12ihipStream_tbENKUlT_T0_E_clISt17integral_constantIbLb1EES11_EEDaSW_SX_EUlSW_E_NS1_11comp_targetILNS1_3genE5ELNS1_11target_archE942ELNS1_3gpuE9ELNS1_3repE0EEENS1_30default_config_static_selectorELNS0_4arch9wavefront6targetE0EEEvT1_
; %bb.0:
	.section	.rodata,"a",@progbits
	.p2align	6, 0x0
	.amdhsa_kernel _ZN7rocprim17ROCPRIM_400000_NS6detail17trampoline_kernelINS0_14default_configENS1_27scan_by_key_config_selectorIiiEEZZNS1_16scan_by_key_implILNS1_25lookback_scan_determinismE0ELb1ES3_N6thrust23THRUST_200600_302600_NS6detail15normal_iteratorINS9_10device_ptrIiEEEENSB_INSC_IjEEEESE_iNS9_4plusIvEENS9_8equal_toIvEEiEE10hipError_tPvRmT2_T3_T4_T5_mT6_T7_P12ihipStream_tbENKUlT_T0_E_clISt17integral_constantIbLb1EES11_EEDaSW_SX_EUlSW_E_NS1_11comp_targetILNS1_3genE5ELNS1_11target_archE942ELNS1_3gpuE9ELNS1_3repE0EEENS1_30default_config_static_selectorELNS0_4arch9wavefront6targetE0EEEvT1_
		.amdhsa_group_segment_fixed_size 0
		.amdhsa_private_segment_fixed_size 0
		.amdhsa_kernarg_size 112
		.amdhsa_user_sgpr_count 2
		.amdhsa_user_sgpr_dispatch_ptr 0
		.amdhsa_user_sgpr_queue_ptr 0
		.amdhsa_user_sgpr_kernarg_segment_ptr 1
		.amdhsa_user_sgpr_dispatch_id 0
		.amdhsa_user_sgpr_kernarg_preload_length 0
		.amdhsa_user_sgpr_kernarg_preload_offset 0
		.amdhsa_user_sgpr_private_segment_size 0
		.amdhsa_wavefront_size32 1
		.amdhsa_uses_dynamic_stack 0
		.amdhsa_enable_private_segment 0
		.amdhsa_system_sgpr_workgroup_id_x 1
		.amdhsa_system_sgpr_workgroup_id_y 0
		.amdhsa_system_sgpr_workgroup_id_z 0
		.amdhsa_system_sgpr_workgroup_info 0
		.amdhsa_system_vgpr_workitem_id 0
		.amdhsa_next_free_vgpr 1
		.amdhsa_next_free_sgpr 1
		.amdhsa_named_barrier_count 0
		.amdhsa_reserve_vcc 0
		.amdhsa_float_round_mode_32 0
		.amdhsa_float_round_mode_16_64 0
		.amdhsa_float_denorm_mode_32 3
		.amdhsa_float_denorm_mode_16_64 3
		.amdhsa_fp16_overflow 0
		.amdhsa_memory_ordered 1
		.amdhsa_forward_progress 1
		.amdhsa_inst_pref_size 0
		.amdhsa_round_robin_scheduling 0
		.amdhsa_exception_fp_ieee_invalid_op 0
		.amdhsa_exception_fp_denorm_src 0
		.amdhsa_exception_fp_ieee_div_zero 0
		.amdhsa_exception_fp_ieee_overflow 0
		.amdhsa_exception_fp_ieee_underflow 0
		.amdhsa_exception_fp_ieee_inexact 0
		.amdhsa_exception_int_div_zero 0
	.end_amdhsa_kernel
	.section	.text._ZN7rocprim17ROCPRIM_400000_NS6detail17trampoline_kernelINS0_14default_configENS1_27scan_by_key_config_selectorIiiEEZZNS1_16scan_by_key_implILNS1_25lookback_scan_determinismE0ELb1ES3_N6thrust23THRUST_200600_302600_NS6detail15normal_iteratorINS9_10device_ptrIiEEEENSB_INSC_IjEEEESE_iNS9_4plusIvEENS9_8equal_toIvEEiEE10hipError_tPvRmT2_T3_T4_T5_mT6_T7_P12ihipStream_tbENKUlT_T0_E_clISt17integral_constantIbLb1EES11_EEDaSW_SX_EUlSW_E_NS1_11comp_targetILNS1_3genE5ELNS1_11target_archE942ELNS1_3gpuE9ELNS1_3repE0EEENS1_30default_config_static_selectorELNS0_4arch9wavefront6targetE0EEEvT1_,"axG",@progbits,_ZN7rocprim17ROCPRIM_400000_NS6detail17trampoline_kernelINS0_14default_configENS1_27scan_by_key_config_selectorIiiEEZZNS1_16scan_by_key_implILNS1_25lookback_scan_determinismE0ELb1ES3_N6thrust23THRUST_200600_302600_NS6detail15normal_iteratorINS9_10device_ptrIiEEEENSB_INSC_IjEEEESE_iNS9_4plusIvEENS9_8equal_toIvEEiEE10hipError_tPvRmT2_T3_T4_T5_mT6_T7_P12ihipStream_tbENKUlT_T0_E_clISt17integral_constantIbLb1EES11_EEDaSW_SX_EUlSW_E_NS1_11comp_targetILNS1_3genE5ELNS1_11target_archE942ELNS1_3gpuE9ELNS1_3repE0EEENS1_30default_config_static_selectorELNS0_4arch9wavefront6targetE0EEEvT1_,comdat
.Lfunc_end1763:
	.size	_ZN7rocprim17ROCPRIM_400000_NS6detail17trampoline_kernelINS0_14default_configENS1_27scan_by_key_config_selectorIiiEEZZNS1_16scan_by_key_implILNS1_25lookback_scan_determinismE0ELb1ES3_N6thrust23THRUST_200600_302600_NS6detail15normal_iteratorINS9_10device_ptrIiEEEENSB_INSC_IjEEEESE_iNS9_4plusIvEENS9_8equal_toIvEEiEE10hipError_tPvRmT2_T3_T4_T5_mT6_T7_P12ihipStream_tbENKUlT_T0_E_clISt17integral_constantIbLb1EES11_EEDaSW_SX_EUlSW_E_NS1_11comp_targetILNS1_3genE5ELNS1_11target_archE942ELNS1_3gpuE9ELNS1_3repE0EEENS1_30default_config_static_selectorELNS0_4arch9wavefront6targetE0EEEvT1_, .Lfunc_end1763-_ZN7rocprim17ROCPRIM_400000_NS6detail17trampoline_kernelINS0_14default_configENS1_27scan_by_key_config_selectorIiiEEZZNS1_16scan_by_key_implILNS1_25lookback_scan_determinismE0ELb1ES3_N6thrust23THRUST_200600_302600_NS6detail15normal_iteratorINS9_10device_ptrIiEEEENSB_INSC_IjEEEESE_iNS9_4plusIvEENS9_8equal_toIvEEiEE10hipError_tPvRmT2_T3_T4_T5_mT6_T7_P12ihipStream_tbENKUlT_T0_E_clISt17integral_constantIbLb1EES11_EEDaSW_SX_EUlSW_E_NS1_11comp_targetILNS1_3genE5ELNS1_11target_archE942ELNS1_3gpuE9ELNS1_3repE0EEENS1_30default_config_static_selectorELNS0_4arch9wavefront6targetE0EEEvT1_
                                        ; -- End function
	.set _ZN7rocprim17ROCPRIM_400000_NS6detail17trampoline_kernelINS0_14default_configENS1_27scan_by_key_config_selectorIiiEEZZNS1_16scan_by_key_implILNS1_25lookback_scan_determinismE0ELb1ES3_N6thrust23THRUST_200600_302600_NS6detail15normal_iteratorINS9_10device_ptrIiEEEENSB_INSC_IjEEEESE_iNS9_4plusIvEENS9_8equal_toIvEEiEE10hipError_tPvRmT2_T3_T4_T5_mT6_T7_P12ihipStream_tbENKUlT_T0_E_clISt17integral_constantIbLb1EES11_EEDaSW_SX_EUlSW_E_NS1_11comp_targetILNS1_3genE5ELNS1_11target_archE942ELNS1_3gpuE9ELNS1_3repE0EEENS1_30default_config_static_selectorELNS0_4arch9wavefront6targetE0EEEvT1_.num_vgpr, 0
	.set _ZN7rocprim17ROCPRIM_400000_NS6detail17trampoline_kernelINS0_14default_configENS1_27scan_by_key_config_selectorIiiEEZZNS1_16scan_by_key_implILNS1_25lookback_scan_determinismE0ELb1ES3_N6thrust23THRUST_200600_302600_NS6detail15normal_iteratorINS9_10device_ptrIiEEEENSB_INSC_IjEEEESE_iNS9_4plusIvEENS9_8equal_toIvEEiEE10hipError_tPvRmT2_T3_T4_T5_mT6_T7_P12ihipStream_tbENKUlT_T0_E_clISt17integral_constantIbLb1EES11_EEDaSW_SX_EUlSW_E_NS1_11comp_targetILNS1_3genE5ELNS1_11target_archE942ELNS1_3gpuE9ELNS1_3repE0EEENS1_30default_config_static_selectorELNS0_4arch9wavefront6targetE0EEEvT1_.num_agpr, 0
	.set _ZN7rocprim17ROCPRIM_400000_NS6detail17trampoline_kernelINS0_14default_configENS1_27scan_by_key_config_selectorIiiEEZZNS1_16scan_by_key_implILNS1_25lookback_scan_determinismE0ELb1ES3_N6thrust23THRUST_200600_302600_NS6detail15normal_iteratorINS9_10device_ptrIiEEEENSB_INSC_IjEEEESE_iNS9_4plusIvEENS9_8equal_toIvEEiEE10hipError_tPvRmT2_T3_T4_T5_mT6_T7_P12ihipStream_tbENKUlT_T0_E_clISt17integral_constantIbLb1EES11_EEDaSW_SX_EUlSW_E_NS1_11comp_targetILNS1_3genE5ELNS1_11target_archE942ELNS1_3gpuE9ELNS1_3repE0EEENS1_30default_config_static_selectorELNS0_4arch9wavefront6targetE0EEEvT1_.numbered_sgpr, 0
	.set _ZN7rocprim17ROCPRIM_400000_NS6detail17trampoline_kernelINS0_14default_configENS1_27scan_by_key_config_selectorIiiEEZZNS1_16scan_by_key_implILNS1_25lookback_scan_determinismE0ELb1ES3_N6thrust23THRUST_200600_302600_NS6detail15normal_iteratorINS9_10device_ptrIiEEEENSB_INSC_IjEEEESE_iNS9_4plusIvEENS9_8equal_toIvEEiEE10hipError_tPvRmT2_T3_T4_T5_mT6_T7_P12ihipStream_tbENKUlT_T0_E_clISt17integral_constantIbLb1EES11_EEDaSW_SX_EUlSW_E_NS1_11comp_targetILNS1_3genE5ELNS1_11target_archE942ELNS1_3gpuE9ELNS1_3repE0EEENS1_30default_config_static_selectorELNS0_4arch9wavefront6targetE0EEEvT1_.num_named_barrier, 0
	.set _ZN7rocprim17ROCPRIM_400000_NS6detail17trampoline_kernelINS0_14default_configENS1_27scan_by_key_config_selectorIiiEEZZNS1_16scan_by_key_implILNS1_25lookback_scan_determinismE0ELb1ES3_N6thrust23THRUST_200600_302600_NS6detail15normal_iteratorINS9_10device_ptrIiEEEENSB_INSC_IjEEEESE_iNS9_4plusIvEENS9_8equal_toIvEEiEE10hipError_tPvRmT2_T3_T4_T5_mT6_T7_P12ihipStream_tbENKUlT_T0_E_clISt17integral_constantIbLb1EES11_EEDaSW_SX_EUlSW_E_NS1_11comp_targetILNS1_3genE5ELNS1_11target_archE942ELNS1_3gpuE9ELNS1_3repE0EEENS1_30default_config_static_selectorELNS0_4arch9wavefront6targetE0EEEvT1_.private_seg_size, 0
	.set _ZN7rocprim17ROCPRIM_400000_NS6detail17trampoline_kernelINS0_14default_configENS1_27scan_by_key_config_selectorIiiEEZZNS1_16scan_by_key_implILNS1_25lookback_scan_determinismE0ELb1ES3_N6thrust23THRUST_200600_302600_NS6detail15normal_iteratorINS9_10device_ptrIiEEEENSB_INSC_IjEEEESE_iNS9_4plusIvEENS9_8equal_toIvEEiEE10hipError_tPvRmT2_T3_T4_T5_mT6_T7_P12ihipStream_tbENKUlT_T0_E_clISt17integral_constantIbLb1EES11_EEDaSW_SX_EUlSW_E_NS1_11comp_targetILNS1_3genE5ELNS1_11target_archE942ELNS1_3gpuE9ELNS1_3repE0EEENS1_30default_config_static_selectorELNS0_4arch9wavefront6targetE0EEEvT1_.uses_vcc, 0
	.set _ZN7rocprim17ROCPRIM_400000_NS6detail17trampoline_kernelINS0_14default_configENS1_27scan_by_key_config_selectorIiiEEZZNS1_16scan_by_key_implILNS1_25lookback_scan_determinismE0ELb1ES3_N6thrust23THRUST_200600_302600_NS6detail15normal_iteratorINS9_10device_ptrIiEEEENSB_INSC_IjEEEESE_iNS9_4plusIvEENS9_8equal_toIvEEiEE10hipError_tPvRmT2_T3_T4_T5_mT6_T7_P12ihipStream_tbENKUlT_T0_E_clISt17integral_constantIbLb1EES11_EEDaSW_SX_EUlSW_E_NS1_11comp_targetILNS1_3genE5ELNS1_11target_archE942ELNS1_3gpuE9ELNS1_3repE0EEENS1_30default_config_static_selectorELNS0_4arch9wavefront6targetE0EEEvT1_.uses_flat_scratch, 0
	.set _ZN7rocprim17ROCPRIM_400000_NS6detail17trampoline_kernelINS0_14default_configENS1_27scan_by_key_config_selectorIiiEEZZNS1_16scan_by_key_implILNS1_25lookback_scan_determinismE0ELb1ES3_N6thrust23THRUST_200600_302600_NS6detail15normal_iteratorINS9_10device_ptrIiEEEENSB_INSC_IjEEEESE_iNS9_4plusIvEENS9_8equal_toIvEEiEE10hipError_tPvRmT2_T3_T4_T5_mT6_T7_P12ihipStream_tbENKUlT_T0_E_clISt17integral_constantIbLb1EES11_EEDaSW_SX_EUlSW_E_NS1_11comp_targetILNS1_3genE5ELNS1_11target_archE942ELNS1_3gpuE9ELNS1_3repE0EEENS1_30default_config_static_selectorELNS0_4arch9wavefront6targetE0EEEvT1_.has_dyn_sized_stack, 0
	.set _ZN7rocprim17ROCPRIM_400000_NS6detail17trampoline_kernelINS0_14default_configENS1_27scan_by_key_config_selectorIiiEEZZNS1_16scan_by_key_implILNS1_25lookback_scan_determinismE0ELb1ES3_N6thrust23THRUST_200600_302600_NS6detail15normal_iteratorINS9_10device_ptrIiEEEENSB_INSC_IjEEEESE_iNS9_4plusIvEENS9_8equal_toIvEEiEE10hipError_tPvRmT2_T3_T4_T5_mT6_T7_P12ihipStream_tbENKUlT_T0_E_clISt17integral_constantIbLb1EES11_EEDaSW_SX_EUlSW_E_NS1_11comp_targetILNS1_3genE5ELNS1_11target_archE942ELNS1_3gpuE9ELNS1_3repE0EEENS1_30default_config_static_selectorELNS0_4arch9wavefront6targetE0EEEvT1_.has_recursion, 0
	.set _ZN7rocprim17ROCPRIM_400000_NS6detail17trampoline_kernelINS0_14default_configENS1_27scan_by_key_config_selectorIiiEEZZNS1_16scan_by_key_implILNS1_25lookback_scan_determinismE0ELb1ES3_N6thrust23THRUST_200600_302600_NS6detail15normal_iteratorINS9_10device_ptrIiEEEENSB_INSC_IjEEEESE_iNS9_4plusIvEENS9_8equal_toIvEEiEE10hipError_tPvRmT2_T3_T4_T5_mT6_T7_P12ihipStream_tbENKUlT_T0_E_clISt17integral_constantIbLb1EES11_EEDaSW_SX_EUlSW_E_NS1_11comp_targetILNS1_3genE5ELNS1_11target_archE942ELNS1_3gpuE9ELNS1_3repE0EEENS1_30default_config_static_selectorELNS0_4arch9wavefront6targetE0EEEvT1_.has_indirect_call, 0
	.section	.AMDGPU.csdata,"",@progbits
; Kernel info:
; codeLenInByte = 0
; TotalNumSgprs: 0
; NumVgprs: 0
; ScratchSize: 0
; MemoryBound: 0
; FloatMode: 240
; IeeeMode: 1
; LDSByteSize: 0 bytes/workgroup (compile time only)
; SGPRBlocks: 0
; VGPRBlocks: 0
; NumSGPRsForWavesPerEU: 1
; NumVGPRsForWavesPerEU: 1
; NamedBarCnt: 0
; Occupancy: 16
; WaveLimiterHint : 0
; COMPUTE_PGM_RSRC2:SCRATCH_EN: 0
; COMPUTE_PGM_RSRC2:USER_SGPR: 2
; COMPUTE_PGM_RSRC2:TRAP_HANDLER: 0
; COMPUTE_PGM_RSRC2:TGID_X_EN: 1
; COMPUTE_PGM_RSRC2:TGID_Y_EN: 0
; COMPUTE_PGM_RSRC2:TGID_Z_EN: 0
; COMPUTE_PGM_RSRC2:TIDIG_COMP_CNT: 0
	.section	.text._ZN7rocprim17ROCPRIM_400000_NS6detail17trampoline_kernelINS0_14default_configENS1_27scan_by_key_config_selectorIiiEEZZNS1_16scan_by_key_implILNS1_25lookback_scan_determinismE0ELb1ES3_N6thrust23THRUST_200600_302600_NS6detail15normal_iteratorINS9_10device_ptrIiEEEENSB_INSC_IjEEEESE_iNS9_4plusIvEENS9_8equal_toIvEEiEE10hipError_tPvRmT2_T3_T4_T5_mT6_T7_P12ihipStream_tbENKUlT_T0_E_clISt17integral_constantIbLb1EES11_EEDaSW_SX_EUlSW_E_NS1_11comp_targetILNS1_3genE4ELNS1_11target_archE910ELNS1_3gpuE8ELNS1_3repE0EEENS1_30default_config_static_selectorELNS0_4arch9wavefront6targetE0EEEvT1_,"axG",@progbits,_ZN7rocprim17ROCPRIM_400000_NS6detail17trampoline_kernelINS0_14default_configENS1_27scan_by_key_config_selectorIiiEEZZNS1_16scan_by_key_implILNS1_25lookback_scan_determinismE0ELb1ES3_N6thrust23THRUST_200600_302600_NS6detail15normal_iteratorINS9_10device_ptrIiEEEENSB_INSC_IjEEEESE_iNS9_4plusIvEENS9_8equal_toIvEEiEE10hipError_tPvRmT2_T3_T4_T5_mT6_T7_P12ihipStream_tbENKUlT_T0_E_clISt17integral_constantIbLb1EES11_EEDaSW_SX_EUlSW_E_NS1_11comp_targetILNS1_3genE4ELNS1_11target_archE910ELNS1_3gpuE8ELNS1_3repE0EEENS1_30default_config_static_selectorELNS0_4arch9wavefront6targetE0EEEvT1_,comdat
	.protected	_ZN7rocprim17ROCPRIM_400000_NS6detail17trampoline_kernelINS0_14default_configENS1_27scan_by_key_config_selectorIiiEEZZNS1_16scan_by_key_implILNS1_25lookback_scan_determinismE0ELb1ES3_N6thrust23THRUST_200600_302600_NS6detail15normal_iteratorINS9_10device_ptrIiEEEENSB_INSC_IjEEEESE_iNS9_4plusIvEENS9_8equal_toIvEEiEE10hipError_tPvRmT2_T3_T4_T5_mT6_T7_P12ihipStream_tbENKUlT_T0_E_clISt17integral_constantIbLb1EES11_EEDaSW_SX_EUlSW_E_NS1_11comp_targetILNS1_3genE4ELNS1_11target_archE910ELNS1_3gpuE8ELNS1_3repE0EEENS1_30default_config_static_selectorELNS0_4arch9wavefront6targetE0EEEvT1_ ; -- Begin function _ZN7rocprim17ROCPRIM_400000_NS6detail17trampoline_kernelINS0_14default_configENS1_27scan_by_key_config_selectorIiiEEZZNS1_16scan_by_key_implILNS1_25lookback_scan_determinismE0ELb1ES3_N6thrust23THRUST_200600_302600_NS6detail15normal_iteratorINS9_10device_ptrIiEEEENSB_INSC_IjEEEESE_iNS9_4plusIvEENS9_8equal_toIvEEiEE10hipError_tPvRmT2_T3_T4_T5_mT6_T7_P12ihipStream_tbENKUlT_T0_E_clISt17integral_constantIbLb1EES11_EEDaSW_SX_EUlSW_E_NS1_11comp_targetILNS1_3genE4ELNS1_11target_archE910ELNS1_3gpuE8ELNS1_3repE0EEENS1_30default_config_static_selectorELNS0_4arch9wavefront6targetE0EEEvT1_
	.globl	_ZN7rocprim17ROCPRIM_400000_NS6detail17trampoline_kernelINS0_14default_configENS1_27scan_by_key_config_selectorIiiEEZZNS1_16scan_by_key_implILNS1_25lookback_scan_determinismE0ELb1ES3_N6thrust23THRUST_200600_302600_NS6detail15normal_iteratorINS9_10device_ptrIiEEEENSB_INSC_IjEEEESE_iNS9_4plusIvEENS9_8equal_toIvEEiEE10hipError_tPvRmT2_T3_T4_T5_mT6_T7_P12ihipStream_tbENKUlT_T0_E_clISt17integral_constantIbLb1EES11_EEDaSW_SX_EUlSW_E_NS1_11comp_targetILNS1_3genE4ELNS1_11target_archE910ELNS1_3gpuE8ELNS1_3repE0EEENS1_30default_config_static_selectorELNS0_4arch9wavefront6targetE0EEEvT1_
	.p2align	8
	.type	_ZN7rocprim17ROCPRIM_400000_NS6detail17trampoline_kernelINS0_14default_configENS1_27scan_by_key_config_selectorIiiEEZZNS1_16scan_by_key_implILNS1_25lookback_scan_determinismE0ELb1ES3_N6thrust23THRUST_200600_302600_NS6detail15normal_iteratorINS9_10device_ptrIiEEEENSB_INSC_IjEEEESE_iNS9_4plusIvEENS9_8equal_toIvEEiEE10hipError_tPvRmT2_T3_T4_T5_mT6_T7_P12ihipStream_tbENKUlT_T0_E_clISt17integral_constantIbLb1EES11_EEDaSW_SX_EUlSW_E_NS1_11comp_targetILNS1_3genE4ELNS1_11target_archE910ELNS1_3gpuE8ELNS1_3repE0EEENS1_30default_config_static_selectorELNS0_4arch9wavefront6targetE0EEEvT1_,@function
_ZN7rocprim17ROCPRIM_400000_NS6detail17trampoline_kernelINS0_14default_configENS1_27scan_by_key_config_selectorIiiEEZZNS1_16scan_by_key_implILNS1_25lookback_scan_determinismE0ELb1ES3_N6thrust23THRUST_200600_302600_NS6detail15normal_iteratorINS9_10device_ptrIiEEEENSB_INSC_IjEEEESE_iNS9_4plusIvEENS9_8equal_toIvEEiEE10hipError_tPvRmT2_T3_T4_T5_mT6_T7_P12ihipStream_tbENKUlT_T0_E_clISt17integral_constantIbLb1EES11_EEDaSW_SX_EUlSW_E_NS1_11comp_targetILNS1_3genE4ELNS1_11target_archE910ELNS1_3gpuE8ELNS1_3repE0EEENS1_30default_config_static_selectorELNS0_4arch9wavefront6targetE0EEEvT1_: ; @_ZN7rocprim17ROCPRIM_400000_NS6detail17trampoline_kernelINS0_14default_configENS1_27scan_by_key_config_selectorIiiEEZZNS1_16scan_by_key_implILNS1_25lookback_scan_determinismE0ELb1ES3_N6thrust23THRUST_200600_302600_NS6detail15normal_iteratorINS9_10device_ptrIiEEEENSB_INSC_IjEEEESE_iNS9_4plusIvEENS9_8equal_toIvEEiEE10hipError_tPvRmT2_T3_T4_T5_mT6_T7_P12ihipStream_tbENKUlT_T0_E_clISt17integral_constantIbLb1EES11_EEDaSW_SX_EUlSW_E_NS1_11comp_targetILNS1_3genE4ELNS1_11target_archE910ELNS1_3gpuE8ELNS1_3repE0EEENS1_30default_config_static_selectorELNS0_4arch9wavefront6targetE0EEEvT1_
; %bb.0:
	.section	.rodata,"a",@progbits
	.p2align	6, 0x0
	.amdhsa_kernel _ZN7rocprim17ROCPRIM_400000_NS6detail17trampoline_kernelINS0_14default_configENS1_27scan_by_key_config_selectorIiiEEZZNS1_16scan_by_key_implILNS1_25lookback_scan_determinismE0ELb1ES3_N6thrust23THRUST_200600_302600_NS6detail15normal_iteratorINS9_10device_ptrIiEEEENSB_INSC_IjEEEESE_iNS9_4plusIvEENS9_8equal_toIvEEiEE10hipError_tPvRmT2_T3_T4_T5_mT6_T7_P12ihipStream_tbENKUlT_T0_E_clISt17integral_constantIbLb1EES11_EEDaSW_SX_EUlSW_E_NS1_11comp_targetILNS1_3genE4ELNS1_11target_archE910ELNS1_3gpuE8ELNS1_3repE0EEENS1_30default_config_static_selectorELNS0_4arch9wavefront6targetE0EEEvT1_
		.amdhsa_group_segment_fixed_size 0
		.amdhsa_private_segment_fixed_size 0
		.amdhsa_kernarg_size 112
		.amdhsa_user_sgpr_count 2
		.amdhsa_user_sgpr_dispatch_ptr 0
		.amdhsa_user_sgpr_queue_ptr 0
		.amdhsa_user_sgpr_kernarg_segment_ptr 1
		.amdhsa_user_sgpr_dispatch_id 0
		.amdhsa_user_sgpr_kernarg_preload_length 0
		.amdhsa_user_sgpr_kernarg_preload_offset 0
		.amdhsa_user_sgpr_private_segment_size 0
		.amdhsa_wavefront_size32 1
		.amdhsa_uses_dynamic_stack 0
		.amdhsa_enable_private_segment 0
		.amdhsa_system_sgpr_workgroup_id_x 1
		.amdhsa_system_sgpr_workgroup_id_y 0
		.amdhsa_system_sgpr_workgroup_id_z 0
		.amdhsa_system_sgpr_workgroup_info 0
		.amdhsa_system_vgpr_workitem_id 0
		.amdhsa_next_free_vgpr 1
		.amdhsa_next_free_sgpr 1
		.amdhsa_named_barrier_count 0
		.amdhsa_reserve_vcc 0
		.amdhsa_float_round_mode_32 0
		.amdhsa_float_round_mode_16_64 0
		.amdhsa_float_denorm_mode_32 3
		.amdhsa_float_denorm_mode_16_64 3
		.amdhsa_fp16_overflow 0
		.amdhsa_memory_ordered 1
		.amdhsa_forward_progress 1
		.amdhsa_inst_pref_size 0
		.amdhsa_round_robin_scheduling 0
		.amdhsa_exception_fp_ieee_invalid_op 0
		.amdhsa_exception_fp_denorm_src 0
		.amdhsa_exception_fp_ieee_div_zero 0
		.amdhsa_exception_fp_ieee_overflow 0
		.amdhsa_exception_fp_ieee_underflow 0
		.amdhsa_exception_fp_ieee_inexact 0
		.amdhsa_exception_int_div_zero 0
	.end_amdhsa_kernel
	.section	.text._ZN7rocprim17ROCPRIM_400000_NS6detail17trampoline_kernelINS0_14default_configENS1_27scan_by_key_config_selectorIiiEEZZNS1_16scan_by_key_implILNS1_25lookback_scan_determinismE0ELb1ES3_N6thrust23THRUST_200600_302600_NS6detail15normal_iteratorINS9_10device_ptrIiEEEENSB_INSC_IjEEEESE_iNS9_4plusIvEENS9_8equal_toIvEEiEE10hipError_tPvRmT2_T3_T4_T5_mT6_T7_P12ihipStream_tbENKUlT_T0_E_clISt17integral_constantIbLb1EES11_EEDaSW_SX_EUlSW_E_NS1_11comp_targetILNS1_3genE4ELNS1_11target_archE910ELNS1_3gpuE8ELNS1_3repE0EEENS1_30default_config_static_selectorELNS0_4arch9wavefront6targetE0EEEvT1_,"axG",@progbits,_ZN7rocprim17ROCPRIM_400000_NS6detail17trampoline_kernelINS0_14default_configENS1_27scan_by_key_config_selectorIiiEEZZNS1_16scan_by_key_implILNS1_25lookback_scan_determinismE0ELb1ES3_N6thrust23THRUST_200600_302600_NS6detail15normal_iteratorINS9_10device_ptrIiEEEENSB_INSC_IjEEEESE_iNS9_4plusIvEENS9_8equal_toIvEEiEE10hipError_tPvRmT2_T3_T4_T5_mT6_T7_P12ihipStream_tbENKUlT_T0_E_clISt17integral_constantIbLb1EES11_EEDaSW_SX_EUlSW_E_NS1_11comp_targetILNS1_3genE4ELNS1_11target_archE910ELNS1_3gpuE8ELNS1_3repE0EEENS1_30default_config_static_selectorELNS0_4arch9wavefront6targetE0EEEvT1_,comdat
.Lfunc_end1764:
	.size	_ZN7rocprim17ROCPRIM_400000_NS6detail17trampoline_kernelINS0_14default_configENS1_27scan_by_key_config_selectorIiiEEZZNS1_16scan_by_key_implILNS1_25lookback_scan_determinismE0ELb1ES3_N6thrust23THRUST_200600_302600_NS6detail15normal_iteratorINS9_10device_ptrIiEEEENSB_INSC_IjEEEESE_iNS9_4plusIvEENS9_8equal_toIvEEiEE10hipError_tPvRmT2_T3_T4_T5_mT6_T7_P12ihipStream_tbENKUlT_T0_E_clISt17integral_constantIbLb1EES11_EEDaSW_SX_EUlSW_E_NS1_11comp_targetILNS1_3genE4ELNS1_11target_archE910ELNS1_3gpuE8ELNS1_3repE0EEENS1_30default_config_static_selectorELNS0_4arch9wavefront6targetE0EEEvT1_, .Lfunc_end1764-_ZN7rocprim17ROCPRIM_400000_NS6detail17trampoline_kernelINS0_14default_configENS1_27scan_by_key_config_selectorIiiEEZZNS1_16scan_by_key_implILNS1_25lookback_scan_determinismE0ELb1ES3_N6thrust23THRUST_200600_302600_NS6detail15normal_iteratorINS9_10device_ptrIiEEEENSB_INSC_IjEEEESE_iNS9_4plusIvEENS9_8equal_toIvEEiEE10hipError_tPvRmT2_T3_T4_T5_mT6_T7_P12ihipStream_tbENKUlT_T0_E_clISt17integral_constantIbLb1EES11_EEDaSW_SX_EUlSW_E_NS1_11comp_targetILNS1_3genE4ELNS1_11target_archE910ELNS1_3gpuE8ELNS1_3repE0EEENS1_30default_config_static_selectorELNS0_4arch9wavefront6targetE0EEEvT1_
                                        ; -- End function
	.set _ZN7rocprim17ROCPRIM_400000_NS6detail17trampoline_kernelINS0_14default_configENS1_27scan_by_key_config_selectorIiiEEZZNS1_16scan_by_key_implILNS1_25lookback_scan_determinismE0ELb1ES3_N6thrust23THRUST_200600_302600_NS6detail15normal_iteratorINS9_10device_ptrIiEEEENSB_INSC_IjEEEESE_iNS9_4plusIvEENS9_8equal_toIvEEiEE10hipError_tPvRmT2_T3_T4_T5_mT6_T7_P12ihipStream_tbENKUlT_T0_E_clISt17integral_constantIbLb1EES11_EEDaSW_SX_EUlSW_E_NS1_11comp_targetILNS1_3genE4ELNS1_11target_archE910ELNS1_3gpuE8ELNS1_3repE0EEENS1_30default_config_static_selectorELNS0_4arch9wavefront6targetE0EEEvT1_.num_vgpr, 0
	.set _ZN7rocprim17ROCPRIM_400000_NS6detail17trampoline_kernelINS0_14default_configENS1_27scan_by_key_config_selectorIiiEEZZNS1_16scan_by_key_implILNS1_25lookback_scan_determinismE0ELb1ES3_N6thrust23THRUST_200600_302600_NS6detail15normal_iteratorINS9_10device_ptrIiEEEENSB_INSC_IjEEEESE_iNS9_4plusIvEENS9_8equal_toIvEEiEE10hipError_tPvRmT2_T3_T4_T5_mT6_T7_P12ihipStream_tbENKUlT_T0_E_clISt17integral_constantIbLb1EES11_EEDaSW_SX_EUlSW_E_NS1_11comp_targetILNS1_3genE4ELNS1_11target_archE910ELNS1_3gpuE8ELNS1_3repE0EEENS1_30default_config_static_selectorELNS0_4arch9wavefront6targetE0EEEvT1_.num_agpr, 0
	.set _ZN7rocprim17ROCPRIM_400000_NS6detail17trampoline_kernelINS0_14default_configENS1_27scan_by_key_config_selectorIiiEEZZNS1_16scan_by_key_implILNS1_25lookback_scan_determinismE0ELb1ES3_N6thrust23THRUST_200600_302600_NS6detail15normal_iteratorINS9_10device_ptrIiEEEENSB_INSC_IjEEEESE_iNS9_4plusIvEENS9_8equal_toIvEEiEE10hipError_tPvRmT2_T3_T4_T5_mT6_T7_P12ihipStream_tbENKUlT_T0_E_clISt17integral_constantIbLb1EES11_EEDaSW_SX_EUlSW_E_NS1_11comp_targetILNS1_3genE4ELNS1_11target_archE910ELNS1_3gpuE8ELNS1_3repE0EEENS1_30default_config_static_selectorELNS0_4arch9wavefront6targetE0EEEvT1_.numbered_sgpr, 0
	.set _ZN7rocprim17ROCPRIM_400000_NS6detail17trampoline_kernelINS0_14default_configENS1_27scan_by_key_config_selectorIiiEEZZNS1_16scan_by_key_implILNS1_25lookback_scan_determinismE0ELb1ES3_N6thrust23THRUST_200600_302600_NS6detail15normal_iteratorINS9_10device_ptrIiEEEENSB_INSC_IjEEEESE_iNS9_4plusIvEENS9_8equal_toIvEEiEE10hipError_tPvRmT2_T3_T4_T5_mT6_T7_P12ihipStream_tbENKUlT_T0_E_clISt17integral_constantIbLb1EES11_EEDaSW_SX_EUlSW_E_NS1_11comp_targetILNS1_3genE4ELNS1_11target_archE910ELNS1_3gpuE8ELNS1_3repE0EEENS1_30default_config_static_selectorELNS0_4arch9wavefront6targetE0EEEvT1_.num_named_barrier, 0
	.set _ZN7rocprim17ROCPRIM_400000_NS6detail17trampoline_kernelINS0_14default_configENS1_27scan_by_key_config_selectorIiiEEZZNS1_16scan_by_key_implILNS1_25lookback_scan_determinismE0ELb1ES3_N6thrust23THRUST_200600_302600_NS6detail15normal_iteratorINS9_10device_ptrIiEEEENSB_INSC_IjEEEESE_iNS9_4plusIvEENS9_8equal_toIvEEiEE10hipError_tPvRmT2_T3_T4_T5_mT6_T7_P12ihipStream_tbENKUlT_T0_E_clISt17integral_constantIbLb1EES11_EEDaSW_SX_EUlSW_E_NS1_11comp_targetILNS1_3genE4ELNS1_11target_archE910ELNS1_3gpuE8ELNS1_3repE0EEENS1_30default_config_static_selectorELNS0_4arch9wavefront6targetE0EEEvT1_.private_seg_size, 0
	.set _ZN7rocprim17ROCPRIM_400000_NS6detail17trampoline_kernelINS0_14default_configENS1_27scan_by_key_config_selectorIiiEEZZNS1_16scan_by_key_implILNS1_25lookback_scan_determinismE0ELb1ES3_N6thrust23THRUST_200600_302600_NS6detail15normal_iteratorINS9_10device_ptrIiEEEENSB_INSC_IjEEEESE_iNS9_4plusIvEENS9_8equal_toIvEEiEE10hipError_tPvRmT2_T3_T4_T5_mT6_T7_P12ihipStream_tbENKUlT_T0_E_clISt17integral_constantIbLb1EES11_EEDaSW_SX_EUlSW_E_NS1_11comp_targetILNS1_3genE4ELNS1_11target_archE910ELNS1_3gpuE8ELNS1_3repE0EEENS1_30default_config_static_selectorELNS0_4arch9wavefront6targetE0EEEvT1_.uses_vcc, 0
	.set _ZN7rocprim17ROCPRIM_400000_NS6detail17trampoline_kernelINS0_14default_configENS1_27scan_by_key_config_selectorIiiEEZZNS1_16scan_by_key_implILNS1_25lookback_scan_determinismE0ELb1ES3_N6thrust23THRUST_200600_302600_NS6detail15normal_iteratorINS9_10device_ptrIiEEEENSB_INSC_IjEEEESE_iNS9_4plusIvEENS9_8equal_toIvEEiEE10hipError_tPvRmT2_T3_T4_T5_mT6_T7_P12ihipStream_tbENKUlT_T0_E_clISt17integral_constantIbLb1EES11_EEDaSW_SX_EUlSW_E_NS1_11comp_targetILNS1_3genE4ELNS1_11target_archE910ELNS1_3gpuE8ELNS1_3repE0EEENS1_30default_config_static_selectorELNS0_4arch9wavefront6targetE0EEEvT1_.uses_flat_scratch, 0
	.set _ZN7rocprim17ROCPRIM_400000_NS6detail17trampoline_kernelINS0_14default_configENS1_27scan_by_key_config_selectorIiiEEZZNS1_16scan_by_key_implILNS1_25lookback_scan_determinismE0ELb1ES3_N6thrust23THRUST_200600_302600_NS6detail15normal_iteratorINS9_10device_ptrIiEEEENSB_INSC_IjEEEESE_iNS9_4plusIvEENS9_8equal_toIvEEiEE10hipError_tPvRmT2_T3_T4_T5_mT6_T7_P12ihipStream_tbENKUlT_T0_E_clISt17integral_constantIbLb1EES11_EEDaSW_SX_EUlSW_E_NS1_11comp_targetILNS1_3genE4ELNS1_11target_archE910ELNS1_3gpuE8ELNS1_3repE0EEENS1_30default_config_static_selectorELNS0_4arch9wavefront6targetE0EEEvT1_.has_dyn_sized_stack, 0
	.set _ZN7rocprim17ROCPRIM_400000_NS6detail17trampoline_kernelINS0_14default_configENS1_27scan_by_key_config_selectorIiiEEZZNS1_16scan_by_key_implILNS1_25lookback_scan_determinismE0ELb1ES3_N6thrust23THRUST_200600_302600_NS6detail15normal_iteratorINS9_10device_ptrIiEEEENSB_INSC_IjEEEESE_iNS9_4plusIvEENS9_8equal_toIvEEiEE10hipError_tPvRmT2_T3_T4_T5_mT6_T7_P12ihipStream_tbENKUlT_T0_E_clISt17integral_constantIbLb1EES11_EEDaSW_SX_EUlSW_E_NS1_11comp_targetILNS1_3genE4ELNS1_11target_archE910ELNS1_3gpuE8ELNS1_3repE0EEENS1_30default_config_static_selectorELNS0_4arch9wavefront6targetE0EEEvT1_.has_recursion, 0
	.set _ZN7rocprim17ROCPRIM_400000_NS6detail17trampoline_kernelINS0_14default_configENS1_27scan_by_key_config_selectorIiiEEZZNS1_16scan_by_key_implILNS1_25lookback_scan_determinismE0ELb1ES3_N6thrust23THRUST_200600_302600_NS6detail15normal_iteratorINS9_10device_ptrIiEEEENSB_INSC_IjEEEESE_iNS9_4plusIvEENS9_8equal_toIvEEiEE10hipError_tPvRmT2_T3_T4_T5_mT6_T7_P12ihipStream_tbENKUlT_T0_E_clISt17integral_constantIbLb1EES11_EEDaSW_SX_EUlSW_E_NS1_11comp_targetILNS1_3genE4ELNS1_11target_archE910ELNS1_3gpuE8ELNS1_3repE0EEENS1_30default_config_static_selectorELNS0_4arch9wavefront6targetE0EEEvT1_.has_indirect_call, 0
	.section	.AMDGPU.csdata,"",@progbits
; Kernel info:
; codeLenInByte = 0
; TotalNumSgprs: 0
; NumVgprs: 0
; ScratchSize: 0
; MemoryBound: 0
; FloatMode: 240
; IeeeMode: 1
; LDSByteSize: 0 bytes/workgroup (compile time only)
; SGPRBlocks: 0
; VGPRBlocks: 0
; NumSGPRsForWavesPerEU: 1
; NumVGPRsForWavesPerEU: 1
; NamedBarCnt: 0
; Occupancy: 16
; WaveLimiterHint : 0
; COMPUTE_PGM_RSRC2:SCRATCH_EN: 0
; COMPUTE_PGM_RSRC2:USER_SGPR: 2
; COMPUTE_PGM_RSRC2:TRAP_HANDLER: 0
; COMPUTE_PGM_RSRC2:TGID_X_EN: 1
; COMPUTE_PGM_RSRC2:TGID_Y_EN: 0
; COMPUTE_PGM_RSRC2:TGID_Z_EN: 0
; COMPUTE_PGM_RSRC2:TIDIG_COMP_CNT: 0
	.section	.text._ZN7rocprim17ROCPRIM_400000_NS6detail17trampoline_kernelINS0_14default_configENS1_27scan_by_key_config_selectorIiiEEZZNS1_16scan_by_key_implILNS1_25lookback_scan_determinismE0ELb1ES3_N6thrust23THRUST_200600_302600_NS6detail15normal_iteratorINS9_10device_ptrIiEEEENSB_INSC_IjEEEESE_iNS9_4plusIvEENS9_8equal_toIvEEiEE10hipError_tPvRmT2_T3_T4_T5_mT6_T7_P12ihipStream_tbENKUlT_T0_E_clISt17integral_constantIbLb1EES11_EEDaSW_SX_EUlSW_E_NS1_11comp_targetILNS1_3genE3ELNS1_11target_archE908ELNS1_3gpuE7ELNS1_3repE0EEENS1_30default_config_static_selectorELNS0_4arch9wavefront6targetE0EEEvT1_,"axG",@progbits,_ZN7rocprim17ROCPRIM_400000_NS6detail17trampoline_kernelINS0_14default_configENS1_27scan_by_key_config_selectorIiiEEZZNS1_16scan_by_key_implILNS1_25lookback_scan_determinismE0ELb1ES3_N6thrust23THRUST_200600_302600_NS6detail15normal_iteratorINS9_10device_ptrIiEEEENSB_INSC_IjEEEESE_iNS9_4plusIvEENS9_8equal_toIvEEiEE10hipError_tPvRmT2_T3_T4_T5_mT6_T7_P12ihipStream_tbENKUlT_T0_E_clISt17integral_constantIbLb1EES11_EEDaSW_SX_EUlSW_E_NS1_11comp_targetILNS1_3genE3ELNS1_11target_archE908ELNS1_3gpuE7ELNS1_3repE0EEENS1_30default_config_static_selectorELNS0_4arch9wavefront6targetE0EEEvT1_,comdat
	.protected	_ZN7rocprim17ROCPRIM_400000_NS6detail17trampoline_kernelINS0_14default_configENS1_27scan_by_key_config_selectorIiiEEZZNS1_16scan_by_key_implILNS1_25lookback_scan_determinismE0ELb1ES3_N6thrust23THRUST_200600_302600_NS6detail15normal_iteratorINS9_10device_ptrIiEEEENSB_INSC_IjEEEESE_iNS9_4plusIvEENS9_8equal_toIvEEiEE10hipError_tPvRmT2_T3_T4_T5_mT6_T7_P12ihipStream_tbENKUlT_T0_E_clISt17integral_constantIbLb1EES11_EEDaSW_SX_EUlSW_E_NS1_11comp_targetILNS1_3genE3ELNS1_11target_archE908ELNS1_3gpuE7ELNS1_3repE0EEENS1_30default_config_static_selectorELNS0_4arch9wavefront6targetE0EEEvT1_ ; -- Begin function _ZN7rocprim17ROCPRIM_400000_NS6detail17trampoline_kernelINS0_14default_configENS1_27scan_by_key_config_selectorIiiEEZZNS1_16scan_by_key_implILNS1_25lookback_scan_determinismE0ELb1ES3_N6thrust23THRUST_200600_302600_NS6detail15normal_iteratorINS9_10device_ptrIiEEEENSB_INSC_IjEEEESE_iNS9_4plusIvEENS9_8equal_toIvEEiEE10hipError_tPvRmT2_T3_T4_T5_mT6_T7_P12ihipStream_tbENKUlT_T0_E_clISt17integral_constantIbLb1EES11_EEDaSW_SX_EUlSW_E_NS1_11comp_targetILNS1_3genE3ELNS1_11target_archE908ELNS1_3gpuE7ELNS1_3repE0EEENS1_30default_config_static_selectorELNS0_4arch9wavefront6targetE0EEEvT1_
	.globl	_ZN7rocprim17ROCPRIM_400000_NS6detail17trampoline_kernelINS0_14default_configENS1_27scan_by_key_config_selectorIiiEEZZNS1_16scan_by_key_implILNS1_25lookback_scan_determinismE0ELb1ES3_N6thrust23THRUST_200600_302600_NS6detail15normal_iteratorINS9_10device_ptrIiEEEENSB_INSC_IjEEEESE_iNS9_4plusIvEENS9_8equal_toIvEEiEE10hipError_tPvRmT2_T3_T4_T5_mT6_T7_P12ihipStream_tbENKUlT_T0_E_clISt17integral_constantIbLb1EES11_EEDaSW_SX_EUlSW_E_NS1_11comp_targetILNS1_3genE3ELNS1_11target_archE908ELNS1_3gpuE7ELNS1_3repE0EEENS1_30default_config_static_selectorELNS0_4arch9wavefront6targetE0EEEvT1_
	.p2align	8
	.type	_ZN7rocprim17ROCPRIM_400000_NS6detail17trampoline_kernelINS0_14default_configENS1_27scan_by_key_config_selectorIiiEEZZNS1_16scan_by_key_implILNS1_25lookback_scan_determinismE0ELb1ES3_N6thrust23THRUST_200600_302600_NS6detail15normal_iteratorINS9_10device_ptrIiEEEENSB_INSC_IjEEEESE_iNS9_4plusIvEENS9_8equal_toIvEEiEE10hipError_tPvRmT2_T3_T4_T5_mT6_T7_P12ihipStream_tbENKUlT_T0_E_clISt17integral_constantIbLb1EES11_EEDaSW_SX_EUlSW_E_NS1_11comp_targetILNS1_3genE3ELNS1_11target_archE908ELNS1_3gpuE7ELNS1_3repE0EEENS1_30default_config_static_selectorELNS0_4arch9wavefront6targetE0EEEvT1_,@function
_ZN7rocprim17ROCPRIM_400000_NS6detail17trampoline_kernelINS0_14default_configENS1_27scan_by_key_config_selectorIiiEEZZNS1_16scan_by_key_implILNS1_25lookback_scan_determinismE0ELb1ES3_N6thrust23THRUST_200600_302600_NS6detail15normal_iteratorINS9_10device_ptrIiEEEENSB_INSC_IjEEEESE_iNS9_4plusIvEENS9_8equal_toIvEEiEE10hipError_tPvRmT2_T3_T4_T5_mT6_T7_P12ihipStream_tbENKUlT_T0_E_clISt17integral_constantIbLb1EES11_EEDaSW_SX_EUlSW_E_NS1_11comp_targetILNS1_3genE3ELNS1_11target_archE908ELNS1_3gpuE7ELNS1_3repE0EEENS1_30default_config_static_selectorELNS0_4arch9wavefront6targetE0EEEvT1_: ; @_ZN7rocprim17ROCPRIM_400000_NS6detail17trampoline_kernelINS0_14default_configENS1_27scan_by_key_config_selectorIiiEEZZNS1_16scan_by_key_implILNS1_25lookback_scan_determinismE0ELb1ES3_N6thrust23THRUST_200600_302600_NS6detail15normal_iteratorINS9_10device_ptrIiEEEENSB_INSC_IjEEEESE_iNS9_4plusIvEENS9_8equal_toIvEEiEE10hipError_tPvRmT2_T3_T4_T5_mT6_T7_P12ihipStream_tbENKUlT_T0_E_clISt17integral_constantIbLb1EES11_EEDaSW_SX_EUlSW_E_NS1_11comp_targetILNS1_3genE3ELNS1_11target_archE908ELNS1_3gpuE7ELNS1_3repE0EEENS1_30default_config_static_selectorELNS0_4arch9wavefront6targetE0EEEvT1_
; %bb.0:
	.section	.rodata,"a",@progbits
	.p2align	6, 0x0
	.amdhsa_kernel _ZN7rocprim17ROCPRIM_400000_NS6detail17trampoline_kernelINS0_14default_configENS1_27scan_by_key_config_selectorIiiEEZZNS1_16scan_by_key_implILNS1_25lookback_scan_determinismE0ELb1ES3_N6thrust23THRUST_200600_302600_NS6detail15normal_iteratorINS9_10device_ptrIiEEEENSB_INSC_IjEEEESE_iNS9_4plusIvEENS9_8equal_toIvEEiEE10hipError_tPvRmT2_T3_T4_T5_mT6_T7_P12ihipStream_tbENKUlT_T0_E_clISt17integral_constantIbLb1EES11_EEDaSW_SX_EUlSW_E_NS1_11comp_targetILNS1_3genE3ELNS1_11target_archE908ELNS1_3gpuE7ELNS1_3repE0EEENS1_30default_config_static_selectorELNS0_4arch9wavefront6targetE0EEEvT1_
		.amdhsa_group_segment_fixed_size 0
		.amdhsa_private_segment_fixed_size 0
		.amdhsa_kernarg_size 112
		.amdhsa_user_sgpr_count 2
		.amdhsa_user_sgpr_dispatch_ptr 0
		.amdhsa_user_sgpr_queue_ptr 0
		.amdhsa_user_sgpr_kernarg_segment_ptr 1
		.amdhsa_user_sgpr_dispatch_id 0
		.amdhsa_user_sgpr_kernarg_preload_length 0
		.amdhsa_user_sgpr_kernarg_preload_offset 0
		.amdhsa_user_sgpr_private_segment_size 0
		.amdhsa_wavefront_size32 1
		.amdhsa_uses_dynamic_stack 0
		.amdhsa_enable_private_segment 0
		.amdhsa_system_sgpr_workgroup_id_x 1
		.amdhsa_system_sgpr_workgroup_id_y 0
		.amdhsa_system_sgpr_workgroup_id_z 0
		.amdhsa_system_sgpr_workgroup_info 0
		.amdhsa_system_vgpr_workitem_id 0
		.amdhsa_next_free_vgpr 1
		.amdhsa_next_free_sgpr 1
		.amdhsa_named_barrier_count 0
		.amdhsa_reserve_vcc 0
		.amdhsa_float_round_mode_32 0
		.amdhsa_float_round_mode_16_64 0
		.amdhsa_float_denorm_mode_32 3
		.amdhsa_float_denorm_mode_16_64 3
		.amdhsa_fp16_overflow 0
		.amdhsa_memory_ordered 1
		.amdhsa_forward_progress 1
		.amdhsa_inst_pref_size 0
		.amdhsa_round_robin_scheduling 0
		.amdhsa_exception_fp_ieee_invalid_op 0
		.amdhsa_exception_fp_denorm_src 0
		.amdhsa_exception_fp_ieee_div_zero 0
		.amdhsa_exception_fp_ieee_overflow 0
		.amdhsa_exception_fp_ieee_underflow 0
		.amdhsa_exception_fp_ieee_inexact 0
		.amdhsa_exception_int_div_zero 0
	.end_amdhsa_kernel
	.section	.text._ZN7rocprim17ROCPRIM_400000_NS6detail17trampoline_kernelINS0_14default_configENS1_27scan_by_key_config_selectorIiiEEZZNS1_16scan_by_key_implILNS1_25lookback_scan_determinismE0ELb1ES3_N6thrust23THRUST_200600_302600_NS6detail15normal_iteratorINS9_10device_ptrIiEEEENSB_INSC_IjEEEESE_iNS9_4plusIvEENS9_8equal_toIvEEiEE10hipError_tPvRmT2_T3_T4_T5_mT6_T7_P12ihipStream_tbENKUlT_T0_E_clISt17integral_constantIbLb1EES11_EEDaSW_SX_EUlSW_E_NS1_11comp_targetILNS1_3genE3ELNS1_11target_archE908ELNS1_3gpuE7ELNS1_3repE0EEENS1_30default_config_static_selectorELNS0_4arch9wavefront6targetE0EEEvT1_,"axG",@progbits,_ZN7rocprim17ROCPRIM_400000_NS6detail17trampoline_kernelINS0_14default_configENS1_27scan_by_key_config_selectorIiiEEZZNS1_16scan_by_key_implILNS1_25lookback_scan_determinismE0ELb1ES3_N6thrust23THRUST_200600_302600_NS6detail15normal_iteratorINS9_10device_ptrIiEEEENSB_INSC_IjEEEESE_iNS9_4plusIvEENS9_8equal_toIvEEiEE10hipError_tPvRmT2_T3_T4_T5_mT6_T7_P12ihipStream_tbENKUlT_T0_E_clISt17integral_constantIbLb1EES11_EEDaSW_SX_EUlSW_E_NS1_11comp_targetILNS1_3genE3ELNS1_11target_archE908ELNS1_3gpuE7ELNS1_3repE0EEENS1_30default_config_static_selectorELNS0_4arch9wavefront6targetE0EEEvT1_,comdat
.Lfunc_end1765:
	.size	_ZN7rocprim17ROCPRIM_400000_NS6detail17trampoline_kernelINS0_14default_configENS1_27scan_by_key_config_selectorIiiEEZZNS1_16scan_by_key_implILNS1_25lookback_scan_determinismE0ELb1ES3_N6thrust23THRUST_200600_302600_NS6detail15normal_iteratorINS9_10device_ptrIiEEEENSB_INSC_IjEEEESE_iNS9_4plusIvEENS9_8equal_toIvEEiEE10hipError_tPvRmT2_T3_T4_T5_mT6_T7_P12ihipStream_tbENKUlT_T0_E_clISt17integral_constantIbLb1EES11_EEDaSW_SX_EUlSW_E_NS1_11comp_targetILNS1_3genE3ELNS1_11target_archE908ELNS1_3gpuE7ELNS1_3repE0EEENS1_30default_config_static_selectorELNS0_4arch9wavefront6targetE0EEEvT1_, .Lfunc_end1765-_ZN7rocprim17ROCPRIM_400000_NS6detail17trampoline_kernelINS0_14default_configENS1_27scan_by_key_config_selectorIiiEEZZNS1_16scan_by_key_implILNS1_25lookback_scan_determinismE0ELb1ES3_N6thrust23THRUST_200600_302600_NS6detail15normal_iteratorINS9_10device_ptrIiEEEENSB_INSC_IjEEEESE_iNS9_4plusIvEENS9_8equal_toIvEEiEE10hipError_tPvRmT2_T3_T4_T5_mT6_T7_P12ihipStream_tbENKUlT_T0_E_clISt17integral_constantIbLb1EES11_EEDaSW_SX_EUlSW_E_NS1_11comp_targetILNS1_3genE3ELNS1_11target_archE908ELNS1_3gpuE7ELNS1_3repE0EEENS1_30default_config_static_selectorELNS0_4arch9wavefront6targetE0EEEvT1_
                                        ; -- End function
	.set _ZN7rocprim17ROCPRIM_400000_NS6detail17trampoline_kernelINS0_14default_configENS1_27scan_by_key_config_selectorIiiEEZZNS1_16scan_by_key_implILNS1_25lookback_scan_determinismE0ELb1ES3_N6thrust23THRUST_200600_302600_NS6detail15normal_iteratorINS9_10device_ptrIiEEEENSB_INSC_IjEEEESE_iNS9_4plusIvEENS9_8equal_toIvEEiEE10hipError_tPvRmT2_T3_T4_T5_mT6_T7_P12ihipStream_tbENKUlT_T0_E_clISt17integral_constantIbLb1EES11_EEDaSW_SX_EUlSW_E_NS1_11comp_targetILNS1_3genE3ELNS1_11target_archE908ELNS1_3gpuE7ELNS1_3repE0EEENS1_30default_config_static_selectorELNS0_4arch9wavefront6targetE0EEEvT1_.num_vgpr, 0
	.set _ZN7rocprim17ROCPRIM_400000_NS6detail17trampoline_kernelINS0_14default_configENS1_27scan_by_key_config_selectorIiiEEZZNS1_16scan_by_key_implILNS1_25lookback_scan_determinismE0ELb1ES3_N6thrust23THRUST_200600_302600_NS6detail15normal_iteratorINS9_10device_ptrIiEEEENSB_INSC_IjEEEESE_iNS9_4plusIvEENS9_8equal_toIvEEiEE10hipError_tPvRmT2_T3_T4_T5_mT6_T7_P12ihipStream_tbENKUlT_T0_E_clISt17integral_constantIbLb1EES11_EEDaSW_SX_EUlSW_E_NS1_11comp_targetILNS1_3genE3ELNS1_11target_archE908ELNS1_3gpuE7ELNS1_3repE0EEENS1_30default_config_static_selectorELNS0_4arch9wavefront6targetE0EEEvT1_.num_agpr, 0
	.set _ZN7rocprim17ROCPRIM_400000_NS6detail17trampoline_kernelINS0_14default_configENS1_27scan_by_key_config_selectorIiiEEZZNS1_16scan_by_key_implILNS1_25lookback_scan_determinismE0ELb1ES3_N6thrust23THRUST_200600_302600_NS6detail15normal_iteratorINS9_10device_ptrIiEEEENSB_INSC_IjEEEESE_iNS9_4plusIvEENS9_8equal_toIvEEiEE10hipError_tPvRmT2_T3_T4_T5_mT6_T7_P12ihipStream_tbENKUlT_T0_E_clISt17integral_constantIbLb1EES11_EEDaSW_SX_EUlSW_E_NS1_11comp_targetILNS1_3genE3ELNS1_11target_archE908ELNS1_3gpuE7ELNS1_3repE0EEENS1_30default_config_static_selectorELNS0_4arch9wavefront6targetE0EEEvT1_.numbered_sgpr, 0
	.set _ZN7rocprim17ROCPRIM_400000_NS6detail17trampoline_kernelINS0_14default_configENS1_27scan_by_key_config_selectorIiiEEZZNS1_16scan_by_key_implILNS1_25lookback_scan_determinismE0ELb1ES3_N6thrust23THRUST_200600_302600_NS6detail15normal_iteratorINS9_10device_ptrIiEEEENSB_INSC_IjEEEESE_iNS9_4plusIvEENS9_8equal_toIvEEiEE10hipError_tPvRmT2_T3_T4_T5_mT6_T7_P12ihipStream_tbENKUlT_T0_E_clISt17integral_constantIbLb1EES11_EEDaSW_SX_EUlSW_E_NS1_11comp_targetILNS1_3genE3ELNS1_11target_archE908ELNS1_3gpuE7ELNS1_3repE0EEENS1_30default_config_static_selectorELNS0_4arch9wavefront6targetE0EEEvT1_.num_named_barrier, 0
	.set _ZN7rocprim17ROCPRIM_400000_NS6detail17trampoline_kernelINS0_14default_configENS1_27scan_by_key_config_selectorIiiEEZZNS1_16scan_by_key_implILNS1_25lookback_scan_determinismE0ELb1ES3_N6thrust23THRUST_200600_302600_NS6detail15normal_iteratorINS9_10device_ptrIiEEEENSB_INSC_IjEEEESE_iNS9_4plusIvEENS9_8equal_toIvEEiEE10hipError_tPvRmT2_T3_T4_T5_mT6_T7_P12ihipStream_tbENKUlT_T0_E_clISt17integral_constantIbLb1EES11_EEDaSW_SX_EUlSW_E_NS1_11comp_targetILNS1_3genE3ELNS1_11target_archE908ELNS1_3gpuE7ELNS1_3repE0EEENS1_30default_config_static_selectorELNS0_4arch9wavefront6targetE0EEEvT1_.private_seg_size, 0
	.set _ZN7rocprim17ROCPRIM_400000_NS6detail17trampoline_kernelINS0_14default_configENS1_27scan_by_key_config_selectorIiiEEZZNS1_16scan_by_key_implILNS1_25lookback_scan_determinismE0ELb1ES3_N6thrust23THRUST_200600_302600_NS6detail15normal_iteratorINS9_10device_ptrIiEEEENSB_INSC_IjEEEESE_iNS9_4plusIvEENS9_8equal_toIvEEiEE10hipError_tPvRmT2_T3_T4_T5_mT6_T7_P12ihipStream_tbENKUlT_T0_E_clISt17integral_constantIbLb1EES11_EEDaSW_SX_EUlSW_E_NS1_11comp_targetILNS1_3genE3ELNS1_11target_archE908ELNS1_3gpuE7ELNS1_3repE0EEENS1_30default_config_static_selectorELNS0_4arch9wavefront6targetE0EEEvT1_.uses_vcc, 0
	.set _ZN7rocprim17ROCPRIM_400000_NS6detail17trampoline_kernelINS0_14default_configENS1_27scan_by_key_config_selectorIiiEEZZNS1_16scan_by_key_implILNS1_25lookback_scan_determinismE0ELb1ES3_N6thrust23THRUST_200600_302600_NS6detail15normal_iteratorINS9_10device_ptrIiEEEENSB_INSC_IjEEEESE_iNS9_4plusIvEENS9_8equal_toIvEEiEE10hipError_tPvRmT2_T3_T4_T5_mT6_T7_P12ihipStream_tbENKUlT_T0_E_clISt17integral_constantIbLb1EES11_EEDaSW_SX_EUlSW_E_NS1_11comp_targetILNS1_3genE3ELNS1_11target_archE908ELNS1_3gpuE7ELNS1_3repE0EEENS1_30default_config_static_selectorELNS0_4arch9wavefront6targetE0EEEvT1_.uses_flat_scratch, 0
	.set _ZN7rocprim17ROCPRIM_400000_NS6detail17trampoline_kernelINS0_14default_configENS1_27scan_by_key_config_selectorIiiEEZZNS1_16scan_by_key_implILNS1_25lookback_scan_determinismE0ELb1ES3_N6thrust23THRUST_200600_302600_NS6detail15normal_iteratorINS9_10device_ptrIiEEEENSB_INSC_IjEEEESE_iNS9_4plusIvEENS9_8equal_toIvEEiEE10hipError_tPvRmT2_T3_T4_T5_mT6_T7_P12ihipStream_tbENKUlT_T0_E_clISt17integral_constantIbLb1EES11_EEDaSW_SX_EUlSW_E_NS1_11comp_targetILNS1_3genE3ELNS1_11target_archE908ELNS1_3gpuE7ELNS1_3repE0EEENS1_30default_config_static_selectorELNS0_4arch9wavefront6targetE0EEEvT1_.has_dyn_sized_stack, 0
	.set _ZN7rocprim17ROCPRIM_400000_NS6detail17trampoline_kernelINS0_14default_configENS1_27scan_by_key_config_selectorIiiEEZZNS1_16scan_by_key_implILNS1_25lookback_scan_determinismE0ELb1ES3_N6thrust23THRUST_200600_302600_NS6detail15normal_iteratorINS9_10device_ptrIiEEEENSB_INSC_IjEEEESE_iNS9_4plusIvEENS9_8equal_toIvEEiEE10hipError_tPvRmT2_T3_T4_T5_mT6_T7_P12ihipStream_tbENKUlT_T0_E_clISt17integral_constantIbLb1EES11_EEDaSW_SX_EUlSW_E_NS1_11comp_targetILNS1_3genE3ELNS1_11target_archE908ELNS1_3gpuE7ELNS1_3repE0EEENS1_30default_config_static_selectorELNS0_4arch9wavefront6targetE0EEEvT1_.has_recursion, 0
	.set _ZN7rocprim17ROCPRIM_400000_NS6detail17trampoline_kernelINS0_14default_configENS1_27scan_by_key_config_selectorIiiEEZZNS1_16scan_by_key_implILNS1_25lookback_scan_determinismE0ELb1ES3_N6thrust23THRUST_200600_302600_NS6detail15normal_iteratorINS9_10device_ptrIiEEEENSB_INSC_IjEEEESE_iNS9_4plusIvEENS9_8equal_toIvEEiEE10hipError_tPvRmT2_T3_T4_T5_mT6_T7_P12ihipStream_tbENKUlT_T0_E_clISt17integral_constantIbLb1EES11_EEDaSW_SX_EUlSW_E_NS1_11comp_targetILNS1_3genE3ELNS1_11target_archE908ELNS1_3gpuE7ELNS1_3repE0EEENS1_30default_config_static_selectorELNS0_4arch9wavefront6targetE0EEEvT1_.has_indirect_call, 0
	.section	.AMDGPU.csdata,"",@progbits
; Kernel info:
; codeLenInByte = 0
; TotalNumSgprs: 0
; NumVgprs: 0
; ScratchSize: 0
; MemoryBound: 0
; FloatMode: 240
; IeeeMode: 1
; LDSByteSize: 0 bytes/workgroup (compile time only)
; SGPRBlocks: 0
; VGPRBlocks: 0
; NumSGPRsForWavesPerEU: 1
; NumVGPRsForWavesPerEU: 1
; NamedBarCnt: 0
; Occupancy: 16
; WaveLimiterHint : 0
; COMPUTE_PGM_RSRC2:SCRATCH_EN: 0
; COMPUTE_PGM_RSRC2:USER_SGPR: 2
; COMPUTE_PGM_RSRC2:TRAP_HANDLER: 0
; COMPUTE_PGM_RSRC2:TGID_X_EN: 1
; COMPUTE_PGM_RSRC2:TGID_Y_EN: 0
; COMPUTE_PGM_RSRC2:TGID_Z_EN: 0
; COMPUTE_PGM_RSRC2:TIDIG_COMP_CNT: 0
	.section	.text._ZN7rocprim17ROCPRIM_400000_NS6detail17trampoline_kernelINS0_14default_configENS1_27scan_by_key_config_selectorIiiEEZZNS1_16scan_by_key_implILNS1_25lookback_scan_determinismE0ELb1ES3_N6thrust23THRUST_200600_302600_NS6detail15normal_iteratorINS9_10device_ptrIiEEEENSB_INSC_IjEEEESE_iNS9_4plusIvEENS9_8equal_toIvEEiEE10hipError_tPvRmT2_T3_T4_T5_mT6_T7_P12ihipStream_tbENKUlT_T0_E_clISt17integral_constantIbLb1EES11_EEDaSW_SX_EUlSW_E_NS1_11comp_targetILNS1_3genE2ELNS1_11target_archE906ELNS1_3gpuE6ELNS1_3repE0EEENS1_30default_config_static_selectorELNS0_4arch9wavefront6targetE0EEEvT1_,"axG",@progbits,_ZN7rocprim17ROCPRIM_400000_NS6detail17trampoline_kernelINS0_14default_configENS1_27scan_by_key_config_selectorIiiEEZZNS1_16scan_by_key_implILNS1_25lookback_scan_determinismE0ELb1ES3_N6thrust23THRUST_200600_302600_NS6detail15normal_iteratorINS9_10device_ptrIiEEEENSB_INSC_IjEEEESE_iNS9_4plusIvEENS9_8equal_toIvEEiEE10hipError_tPvRmT2_T3_T4_T5_mT6_T7_P12ihipStream_tbENKUlT_T0_E_clISt17integral_constantIbLb1EES11_EEDaSW_SX_EUlSW_E_NS1_11comp_targetILNS1_3genE2ELNS1_11target_archE906ELNS1_3gpuE6ELNS1_3repE0EEENS1_30default_config_static_selectorELNS0_4arch9wavefront6targetE0EEEvT1_,comdat
	.protected	_ZN7rocprim17ROCPRIM_400000_NS6detail17trampoline_kernelINS0_14default_configENS1_27scan_by_key_config_selectorIiiEEZZNS1_16scan_by_key_implILNS1_25lookback_scan_determinismE0ELb1ES3_N6thrust23THRUST_200600_302600_NS6detail15normal_iteratorINS9_10device_ptrIiEEEENSB_INSC_IjEEEESE_iNS9_4plusIvEENS9_8equal_toIvEEiEE10hipError_tPvRmT2_T3_T4_T5_mT6_T7_P12ihipStream_tbENKUlT_T0_E_clISt17integral_constantIbLb1EES11_EEDaSW_SX_EUlSW_E_NS1_11comp_targetILNS1_3genE2ELNS1_11target_archE906ELNS1_3gpuE6ELNS1_3repE0EEENS1_30default_config_static_selectorELNS0_4arch9wavefront6targetE0EEEvT1_ ; -- Begin function _ZN7rocprim17ROCPRIM_400000_NS6detail17trampoline_kernelINS0_14default_configENS1_27scan_by_key_config_selectorIiiEEZZNS1_16scan_by_key_implILNS1_25lookback_scan_determinismE0ELb1ES3_N6thrust23THRUST_200600_302600_NS6detail15normal_iteratorINS9_10device_ptrIiEEEENSB_INSC_IjEEEESE_iNS9_4plusIvEENS9_8equal_toIvEEiEE10hipError_tPvRmT2_T3_T4_T5_mT6_T7_P12ihipStream_tbENKUlT_T0_E_clISt17integral_constantIbLb1EES11_EEDaSW_SX_EUlSW_E_NS1_11comp_targetILNS1_3genE2ELNS1_11target_archE906ELNS1_3gpuE6ELNS1_3repE0EEENS1_30default_config_static_selectorELNS0_4arch9wavefront6targetE0EEEvT1_
	.globl	_ZN7rocprim17ROCPRIM_400000_NS6detail17trampoline_kernelINS0_14default_configENS1_27scan_by_key_config_selectorIiiEEZZNS1_16scan_by_key_implILNS1_25lookback_scan_determinismE0ELb1ES3_N6thrust23THRUST_200600_302600_NS6detail15normal_iteratorINS9_10device_ptrIiEEEENSB_INSC_IjEEEESE_iNS9_4plusIvEENS9_8equal_toIvEEiEE10hipError_tPvRmT2_T3_T4_T5_mT6_T7_P12ihipStream_tbENKUlT_T0_E_clISt17integral_constantIbLb1EES11_EEDaSW_SX_EUlSW_E_NS1_11comp_targetILNS1_3genE2ELNS1_11target_archE906ELNS1_3gpuE6ELNS1_3repE0EEENS1_30default_config_static_selectorELNS0_4arch9wavefront6targetE0EEEvT1_
	.p2align	8
	.type	_ZN7rocprim17ROCPRIM_400000_NS6detail17trampoline_kernelINS0_14default_configENS1_27scan_by_key_config_selectorIiiEEZZNS1_16scan_by_key_implILNS1_25lookback_scan_determinismE0ELb1ES3_N6thrust23THRUST_200600_302600_NS6detail15normal_iteratorINS9_10device_ptrIiEEEENSB_INSC_IjEEEESE_iNS9_4plusIvEENS9_8equal_toIvEEiEE10hipError_tPvRmT2_T3_T4_T5_mT6_T7_P12ihipStream_tbENKUlT_T0_E_clISt17integral_constantIbLb1EES11_EEDaSW_SX_EUlSW_E_NS1_11comp_targetILNS1_3genE2ELNS1_11target_archE906ELNS1_3gpuE6ELNS1_3repE0EEENS1_30default_config_static_selectorELNS0_4arch9wavefront6targetE0EEEvT1_,@function
_ZN7rocprim17ROCPRIM_400000_NS6detail17trampoline_kernelINS0_14default_configENS1_27scan_by_key_config_selectorIiiEEZZNS1_16scan_by_key_implILNS1_25lookback_scan_determinismE0ELb1ES3_N6thrust23THRUST_200600_302600_NS6detail15normal_iteratorINS9_10device_ptrIiEEEENSB_INSC_IjEEEESE_iNS9_4plusIvEENS9_8equal_toIvEEiEE10hipError_tPvRmT2_T3_T4_T5_mT6_T7_P12ihipStream_tbENKUlT_T0_E_clISt17integral_constantIbLb1EES11_EEDaSW_SX_EUlSW_E_NS1_11comp_targetILNS1_3genE2ELNS1_11target_archE906ELNS1_3gpuE6ELNS1_3repE0EEENS1_30default_config_static_selectorELNS0_4arch9wavefront6targetE0EEEvT1_: ; @_ZN7rocprim17ROCPRIM_400000_NS6detail17trampoline_kernelINS0_14default_configENS1_27scan_by_key_config_selectorIiiEEZZNS1_16scan_by_key_implILNS1_25lookback_scan_determinismE0ELb1ES3_N6thrust23THRUST_200600_302600_NS6detail15normal_iteratorINS9_10device_ptrIiEEEENSB_INSC_IjEEEESE_iNS9_4plusIvEENS9_8equal_toIvEEiEE10hipError_tPvRmT2_T3_T4_T5_mT6_T7_P12ihipStream_tbENKUlT_T0_E_clISt17integral_constantIbLb1EES11_EEDaSW_SX_EUlSW_E_NS1_11comp_targetILNS1_3genE2ELNS1_11target_archE906ELNS1_3gpuE6ELNS1_3repE0EEENS1_30default_config_static_selectorELNS0_4arch9wavefront6targetE0EEEvT1_
; %bb.0:
	.section	.rodata,"a",@progbits
	.p2align	6, 0x0
	.amdhsa_kernel _ZN7rocprim17ROCPRIM_400000_NS6detail17trampoline_kernelINS0_14default_configENS1_27scan_by_key_config_selectorIiiEEZZNS1_16scan_by_key_implILNS1_25lookback_scan_determinismE0ELb1ES3_N6thrust23THRUST_200600_302600_NS6detail15normal_iteratorINS9_10device_ptrIiEEEENSB_INSC_IjEEEESE_iNS9_4plusIvEENS9_8equal_toIvEEiEE10hipError_tPvRmT2_T3_T4_T5_mT6_T7_P12ihipStream_tbENKUlT_T0_E_clISt17integral_constantIbLb1EES11_EEDaSW_SX_EUlSW_E_NS1_11comp_targetILNS1_3genE2ELNS1_11target_archE906ELNS1_3gpuE6ELNS1_3repE0EEENS1_30default_config_static_selectorELNS0_4arch9wavefront6targetE0EEEvT1_
		.amdhsa_group_segment_fixed_size 0
		.amdhsa_private_segment_fixed_size 0
		.amdhsa_kernarg_size 112
		.amdhsa_user_sgpr_count 2
		.amdhsa_user_sgpr_dispatch_ptr 0
		.amdhsa_user_sgpr_queue_ptr 0
		.amdhsa_user_sgpr_kernarg_segment_ptr 1
		.amdhsa_user_sgpr_dispatch_id 0
		.amdhsa_user_sgpr_kernarg_preload_length 0
		.amdhsa_user_sgpr_kernarg_preload_offset 0
		.amdhsa_user_sgpr_private_segment_size 0
		.amdhsa_wavefront_size32 1
		.amdhsa_uses_dynamic_stack 0
		.amdhsa_enable_private_segment 0
		.amdhsa_system_sgpr_workgroup_id_x 1
		.amdhsa_system_sgpr_workgroup_id_y 0
		.amdhsa_system_sgpr_workgroup_id_z 0
		.amdhsa_system_sgpr_workgroup_info 0
		.amdhsa_system_vgpr_workitem_id 0
		.amdhsa_next_free_vgpr 1
		.amdhsa_next_free_sgpr 1
		.amdhsa_named_barrier_count 0
		.amdhsa_reserve_vcc 0
		.amdhsa_float_round_mode_32 0
		.amdhsa_float_round_mode_16_64 0
		.amdhsa_float_denorm_mode_32 3
		.amdhsa_float_denorm_mode_16_64 3
		.amdhsa_fp16_overflow 0
		.amdhsa_memory_ordered 1
		.amdhsa_forward_progress 1
		.amdhsa_inst_pref_size 0
		.amdhsa_round_robin_scheduling 0
		.amdhsa_exception_fp_ieee_invalid_op 0
		.amdhsa_exception_fp_denorm_src 0
		.amdhsa_exception_fp_ieee_div_zero 0
		.amdhsa_exception_fp_ieee_overflow 0
		.amdhsa_exception_fp_ieee_underflow 0
		.amdhsa_exception_fp_ieee_inexact 0
		.amdhsa_exception_int_div_zero 0
	.end_amdhsa_kernel
	.section	.text._ZN7rocprim17ROCPRIM_400000_NS6detail17trampoline_kernelINS0_14default_configENS1_27scan_by_key_config_selectorIiiEEZZNS1_16scan_by_key_implILNS1_25lookback_scan_determinismE0ELb1ES3_N6thrust23THRUST_200600_302600_NS6detail15normal_iteratorINS9_10device_ptrIiEEEENSB_INSC_IjEEEESE_iNS9_4plusIvEENS9_8equal_toIvEEiEE10hipError_tPvRmT2_T3_T4_T5_mT6_T7_P12ihipStream_tbENKUlT_T0_E_clISt17integral_constantIbLb1EES11_EEDaSW_SX_EUlSW_E_NS1_11comp_targetILNS1_3genE2ELNS1_11target_archE906ELNS1_3gpuE6ELNS1_3repE0EEENS1_30default_config_static_selectorELNS0_4arch9wavefront6targetE0EEEvT1_,"axG",@progbits,_ZN7rocprim17ROCPRIM_400000_NS6detail17trampoline_kernelINS0_14default_configENS1_27scan_by_key_config_selectorIiiEEZZNS1_16scan_by_key_implILNS1_25lookback_scan_determinismE0ELb1ES3_N6thrust23THRUST_200600_302600_NS6detail15normal_iteratorINS9_10device_ptrIiEEEENSB_INSC_IjEEEESE_iNS9_4plusIvEENS9_8equal_toIvEEiEE10hipError_tPvRmT2_T3_T4_T5_mT6_T7_P12ihipStream_tbENKUlT_T0_E_clISt17integral_constantIbLb1EES11_EEDaSW_SX_EUlSW_E_NS1_11comp_targetILNS1_3genE2ELNS1_11target_archE906ELNS1_3gpuE6ELNS1_3repE0EEENS1_30default_config_static_selectorELNS0_4arch9wavefront6targetE0EEEvT1_,comdat
.Lfunc_end1766:
	.size	_ZN7rocprim17ROCPRIM_400000_NS6detail17trampoline_kernelINS0_14default_configENS1_27scan_by_key_config_selectorIiiEEZZNS1_16scan_by_key_implILNS1_25lookback_scan_determinismE0ELb1ES3_N6thrust23THRUST_200600_302600_NS6detail15normal_iteratorINS9_10device_ptrIiEEEENSB_INSC_IjEEEESE_iNS9_4plusIvEENS9_8equal_toIvEEiEE10hipError_tPvRmT2_T3_T4_T5_mT6_T7_P12ihipStream_tbENKUlT_T0_E_clISt17integral_constantIbLb1EES11_EEDaSW_SX_EUlSW_E_NS1_11comp_targetILNS1_3genE2ELNS1_11target_archE906ELNS1_3gpuE6ELNS1_3repE0EEENS1_30default_config_static_selectorELNS0_4arch9wavefront6targetE0EEEvT1_, .Lfunc_end1766-_ZN7rocprim17ROCPRIM_400000_NS6detail17trampoline_kernelINS0_14default_configENS1_27scan_by_key_config_selectorIiiEEZZNS1_16scan_by_key_implILNS1_25lookback_scan_determinismE0ELb1ES3_N6thrust23THRUST_200600_302600_NS6detail15normal_iteratorINS9_10device_ptrIiEEEENSB_INSC_IjEEEESE_iNS9_4plusIvEENS9_8equal_toIvEEiEE10hipError_tPvRmT2_T3_T4_T5_mT6_T7_P12ihipStream_tbENKUlT_T0_E_clISt17integral_constantIbLb1EES11_EEDaSW_SX_EUlSW_E_NS1_11comp_targetILNS1_3genE2ELNS1_11target_archE906ELNS1_3gpuE6ELNS1_3repE0EEENS1_30default_config_static_selectorELNS0_4arch9wavefront6targetE0EEEvT1_
                                        ; -- End function
	.set _ZN7rocprim17ROCPRIM_400000_NS6detail17trampoline_kernelINS0_14default_configENS1_27scan_by_key_config_selectorIiiEEZZNS1_16scan_by_key_implILNS1_25lookback_scan_determinismE0ELb1ES3_N6thrust23THRUST_200600_302600_NS6detail15normal_iteratorINS9_10device_ptrIiEEEENSB_INSC_IjEEEESE_iNS9_4plusIvEENS9_8equal_toIvEEiEE10hipError_tPvRmT2_T3_T4_T5_mT6_T7_P12ihipStream_tbENKUlT_T0_E_clISt17integral_constantIbLb1EES11_EEDaSW_SX_EUlSW_E_NS1_11comp_targetILNS1_3genE2ELNS1_11target_archE906ELNS1_3gpuE6ELNS1_3repE0EEENS1_30default_config_static_selectorELNS0_4arch9wavefront6targetE0EEEvT1_.num_vgpr, 0
	.set _ZN7rocprim17ROCPRIM_400000_NS6detail17trampoline_kernelINS0_14default_configENS1_27scan_by_key_config_selectorIiiEEZZNS1_16scan_by_key_implILNS1_25lookback_scan_determinismE0ELb1ES3_N6thrust23THRUST_200600_302600_NS6detail15normal_iteratorINS9_10device_ptrIiEEEENSB_INSC_IjEEEESE_iNS9_4plusIvEENS9_8equal_toIvEEiEE10hipError_tPvRmT2_T3_T4_T5_mT6_T7_P12ihipStream_tbENKUlT_T0_E_clISt17integral_constantIbLb1EES11_EEDaSW_SX_EUlSW_E_NS1_11comp_targetILNS1_3genE2ELNS1_11target_archE906ELNS1_3gpuE6ELNS1_3repE0EEENS1_30default_config_static_selectorELNS0_4arch9wavefront6targetE0EEEvT1_.num_agpr, 0
	.set _ZN7rocprim17ROCPRIM_400000_NS6detail17trampoline_kernelINS0_14default_configENS1_27scan_by_key_config_selectorIiiEEZZNS1_16scan_by_key_implILNS1_25lookback_scan_determinismE0ELb1ES3_N6thrust23THRUST_200600_302600_NS6detail15normal_iteratorINS9_10device_ptrIiEEEENSB_INSC_IjEEEESE_iNS9_4plusIvEENS9_8equal_toIvEEiEE10hipError_tPvRmT2_T3_T4_T5_mT6_T7_P12ihipStream_tbENKUlT_T0_E_clISt17integral_constantIbLb1EES11_EEDaSW_SX_EUlSW_E_NS1_11comp_targetILNS1_3genE2ELNS1_11target_archE906ELNS1_3gpuE6ELNS1_3repE0EEENS1_30default_config_static_selectorELNS0_4arch9wavefront6targetE0EEEvT1_.numbered_sgpr, 0
	.set _ZN7rocprim17ROCPRIM_400000_NS6detail17trampoline_kernelINS0_14default_configENS1_27scan_by_key_config_selectorIiiEEZZNS1_16scan_by_key_implILNS1_25lookback_scan_determinismE0ELb1ES3_N6thrust23THRUST_200600_302600_NS6detail15normal_iteratorINS9_10device_ptrIiEEEENSB_INSC_IjEEEESE_iNS9_4plusIvEENS9_8equal_toIvEEiEE10hipError_tPvRmT2_T3_T4_T5_mT6_T7_P12ihipStream_tbENKUlT_T0_E_clISt17integral_constantIbLb1EES11_EEDaSW_SX_EUlSW_E_NS1_11comp_targetILNS1_3genE2ELNS1_11target_archE906ELNS1_3gpuE6ELNS1_3repE0EEENS1_30default_config_static_selectorELNS0_4arch9wavefront6targetE0EEEvT1_.num_named_barrier, 0
	.set _ZN7rocprim17ROCPRIM_400000_NS6detail17trampoline_kernelINS0_14default_configENS1_27scan_by_key_config_selectorIiiEEZZNS1_16scan_by_key_implILNS1_25lookback_scan_determinismE0ELb1ES3_N6thrust23THRUST_200600_302600_NS6detail15normal_iteratorINS9_10device_ptrIiEEEENSB_INSC_IjEEEESE_iNS9_4plusIvEENS9_8equal_toIvEEiEE10hipError_tPvRmT2_T3_T4_T5_mT6_T7_P12ihipStream_tbENKUlT_T0_E_clISt17integral_constantIbLb1EES11_EEDaSW_SX_EUlSW_E_NS1_11comp_targetILNS1_3genE2ELNS1_11target_archE906ELNS1_3gpuE6ELNS1_3repE0EEENS1_30default_config_static_selectorELNS0_4arch9wavefront6targetE0EEEvT1_.private_seg_size, 0
	.set _ZN7rocprim17ROCPRIM_400000_NS6detail17trampoline_kernelINS0_14default_configENS1_27scan_by_key_config_selectorIiiEEZZNS1_16scan_by_key_implILNS1_25lookback_scan_determinismE0ELb1ES3_N6thrust23THRUST_200600_302600_NS6detail15normal_iteratorINS9_10device_ptrIiEEEENSB_INSC_IjEEEESE_iNS9_4plusIvEENS9_8equal_toIvEEiEE10hipError_tPvRmT2_T3_T4_T5_mT6_T7_P12ihipStream_tbENKUlT_T0_E_clISt17integral_constantIbLb1EES11_EEDaSW_SX_EUlSW_E_NS1_11comp_targetILNS1_3genE2ELNS1_11target_archE906ELNS1_3gpuE6ELNS1_3repE0EEENS1_30default_config_static_selectorELNS0_4arch9wavefront6targetE0EEEvT1_.uses_vcc, 0
	.set _ZN7rocprim17ROCPRIM_400000_NS6detail17trampoline_kernelINS0_14default_configENS1_27scan_by_key_config_selectorIiiEEZZNS1_16scan_by_key_implILNS1_25lookback_scan_determinismE0ELb1ES3_N6thrust23THRUST_200600_302600_NS6detail15normal_iteratorINS9_10device_ptrIiEEEENSB_INSC_IjEEEESE_iNS9_4plusIvEENS9_8equal_toIvEEiEE10hipError_tPvRmT2_T3_T4_T5_mT6_T7_P12ihipStream_tbENKUlT_T0_E_clISt17integral_constantIbLb1EES11_EEDaSW_SX_EUlSW_E_NS1_11comp_targetILNS1_3genE2ELNS1_11target_archE906ELNS1_3gpuE6ELNS1_3repE0EEENS1_30default_config_static_selectorELNS0_4arch9wavefront6targetE0EEEvT1_.uses_flat_scratch, 0
	.set _ZN7rocprim17ROCPRIM_400000_NS6detail17trampoline_kernelINS0_14default_configENS1_27scan_by_key_config_selectorIiiEEZZNS1_16scan_by_key_implILNS1_25lookback_scan_determinismE0ELb1ES3_N6thrust23THRUST_200600_302600_NS6detail15normal_iteratorINS9_10device_ptrIiEEEENSB_INSC_IjEEEESE_iNS9_4plusIvEENS9_8equal_toIvEEiEE10hipError_tPvRmT2_T3_T4_T5_mT6_T7_P12ihipStream_tbENKUlT_T0_E_clISt17integral_constantIbLb1EES11_EEDaSW_SX_EUlSW_E_NS1_11comp_targetILNS1_3genE2ELNS1_11target_archE906ELNS1_3gpuE6ELNS1_3repE0EEENS1_30default_config_static_selectorELNS0_4arch9wavefront6targetE0EEEvT1_.has_dyn_sized_stack, 0
	.set _ZN7rocprim17ROCPRIM_400000_NS6detail17trampoline_kernelINS0_14default_configENS1_27scan_by_key_config_selectorIiiEEZZNS1_16scan_by_key_implILNS1_25lookback_scan_determinismE0ELb1ES3_N6thrust23THRUST_200600_302600_NS6detail15normal_iteratorINS9_10device_ptrIiEEEENSB_INSC_IjEEEESE_iNS9_4plusIvEENS9_8equal_toIvEEiEE10hipError_tPvRmT2_T3_T4_T5_mT6_T7_P12ihipStream_tbENKUlT_T0_E_clISt17integral_constantIbLb1EES11_EEDaSW_SX_EUlSW_E_NS1_11comp_targetILNS1_3genE2ELNS1_11target_archE906ELNS1_3gpuE6ELNS1_3repE0EEENS1_30default_config_static_selectorELNS0_4arch9wavefront6targetE0EEEvT1_.has_recursion, 0
	.set _ZN7rocprim17ROCPRIM_400000_NS6detail17trampoline_kernelINS0_14default_configENS1_27scan_by_key_config_selectorIiiEEZZNS1_16scan_by_key_implILNS1_25lookback_scan_determinismE0ELb1ES3_N6thrust23THRUST_200600_302600_NS6detail15normal_iteratorINS9_10device_ptrIiEEEENSB_INSC_IjEEEESE_iNS9_4plusIvEENS9_8equal_toIvEEiEE10hipError_tPvRmT2_T3_T4_T5_mT6_T7_P12ihipStream_tbENKUlT_T0_E_clISt17integral_constantIbLb1EES11_EEDaSW_SX_EUlSW_E_NS1_11comp_targetILNS1_3genE2ELNS1_11target_archE906ELNS1_3gpuE6ELNS1_3repE0EEENS1_30default_config_static_selectorELNS0_4arch9wavefront6targetE0EEEvT1_.has_indirect_call, 0
	.section	.AMDGPU.csdata,"",@progbits
; Kernel info:
; codeLenInByte = 0
; TotalNumSgprs: 0
; NumVgprs: 0
; ScratchSize: 0
; MemoryBound: 0
; FloatMode: 240
; IeeeMode: 1
; LDSByteSize: 0 bytes/workgroup (compile time only)
; SGPRBlocks: 0
; VGPRBlocks: 0
; NumSGPRsForWavesPerEU: 1
; NumVGPRsForWavesPerEU: 1
; NamedBarCnt: 0
; Occupancy: 16
; WaveLimiterHint : 0
; COMPUTE_PGM_RSRC2:SCRATCH_EN: 0
; COMPUTE_PGM_RSRC2:USER_SGPR: 2
; COMPUTE_PGM_RSRC2:TRAP_HANDLER: 0
; COMPUTE_PGM_RSRC2:TGID_X_EN: 1
; COMPUTE_PGM_RSRC2:TGID_Y_EN: 0
; COMPUTE_PGM_RSRC2:TGID_Z_EN: 0
; COMPUTE_PGM_RSRC2:TIDIG_COMP_CNT: 0
	.section	.text._ZN7rocprim17ROCPRIM_400000_NS6detail17trampoline_kernelINS0_14default_configENS1_27scan_by_key_config_selectorIiiEEZZNS1_16scan_by_key_implILNS1_25lookback_scan_determinismE0ELb1ES3_N6thrust23THRUST_200600_302600_NS6detail15normal_iteratorINS9_10device_ptrIiEEEENSB_INSC_IjEEEESE_iNS9_4plusIvEENS9_8equal_toIvEEiEE10hipError_tPvRmT2_T3_T4_T5_mT6_T7_P12ihipStream_tbENKUlT_T0_E_clISt17integral_constantIbLb1EES11_EEDaSW_SX_EUlSW_E_NS1_11comp_targetILNS1_3genE10ELNS1_11target_archE1200ELNS1_3gpuE4ELNS1_3repE0EEENS1_30default_config_static_selectorELNS0_4arch9wavefront6targetE0EEEvT1_,"axG",@progbits,_ZN7rocprim17ROCPRIM_400000_NS6detail17trampoline_kernelINS0_14default_configENS1_27scan_by_key_config_selectorIiiEEZZNS1_16scan_by_key_implILNS1_25lookback_scan_determinismE0ELb1ES3_N6thrust23THRUST_200600_302600_NS6detail15normal_iteratorINS9_10device_ptrIiEEEENSB_INSC_IjEEEESE_iNS9_4plusIvEENS9_8equal_toIvEEiEE10hipError_tPvRmT2_T3_T4_T5_mT6_T7_P12ihipStream_tbENKUlT_T0_E_clISt17integral_constantIbLb1EES11_EEDaSW_SX_EUlSW_E_NS1_11comp_targetILNS1_3genE10ELNS1_11target_archE1200ELNS1_3gpuE4ELNS1_3repE0EEENS1_30default_config_static_selectorELNS0_4arch9wavefront6targetE0EEEvT1_,comdat
	.protected	_ZN7rocprim17ROCPRIM_400000_NS6detail17trampoline_kernelINS0_14default_configENS1_27scan_by_key_config_selectorIiiEEZZNS1_16scan_by_key_implILNS1_25lookback_scan_determinismE0ELb1ES3_N6thrust23THRUST_200600_302600_NS6detail15normal_iteratorINS9_10device_ptrIiEEEENSB_INSC_IjEEEESE_iNS9_4plusIvEENS9_8equal_toIvEEiEE10hipError_tPvRmT2_T3_T4_T5_mT6_T7_P12ihipStream_tbENKUlT_T0_E_clISt17integral_constantIbLb1EES11_EEDaSW_SX_EUlSW_E_NS1_11comp_targetILNS1_3genE10ELNS1_11target_archE1200ELNS1_3gpuE4ELNS1_3repE0EEENS1_30default_config_static_selectorELNS0_4arch9wavefront6targetE0EEEvT1_ ; -- Begin function _ZN7rocprim17ROCPRIM_400000_NS6detail17trampoline_kernelINS0_14default_configENS1_27scan_by_key_config_selectorIiiEEZZNS1_16scan_by_key_implILNS1_25lookback_scan_determinismE0ELb1ES3_N6thrust23THRUST_200600_302600_NS6detail15normal_iteratorINS9_10device_ptrIiEEEENSB_INSC_IjEEEESE_iNS9_4plusIvEENS9_8equal_toIvEEiEE10hipError_tPvRmT2_T3_T4_T5_mT6_T7_P12ihipStream_tbENKUlT_T0_E_clISt17integral_constantIbLb1EES11_EEDaSW_SX_EUlSW_E_NS1_11comp_targetILNS1_3genE10ELNS1_11target_archE1200ELNS1_3gpuE4ELNS1_3repE0EEENS1_30default_config_static_selectorELNS0_4arch9wavefront6targetE0EEEvT1_
	.globl	_ZN7rocprim17ROCPRIM_400000_NS6detail17trampoline_kernelINS0_14default_configENS1_27scan_by_key_config_selectorIiiEEZZNS1_16scan_by_key_implILNS1_25lookback_scan_determinismE0ELb1ES3_N6thrust23THRUST_200600_302600_NS6detail15normal_iteratorINS9_10device_ptrIiEEEENSB_INSC_IjEEEESE_iNS9_4plusIvEENS9_8equal_toIvEEiEE10hipError_tPvRmT2_T3_T4_T5_mT6_T7_P12ihipStream_tbENKUlT_T0_E_clISt17integral_constantIbLb1EES11_EEDaSW_SX_EUlSW_E_NS1_11comp_targetILNS1_3genE10ELNS1_11target_archE1200ELNS1_3gpuE4ELNS1_3repE0EEENS1_30default_config_static_selectorELNS0_4arch9wavefront6targetE0EEEvT1_
	.p2align	8
	.type	_ZN7rocprim17ROCPRIM_400000_NS6detail17trampoline_kernelINS0_14default_configENS1_27scan_by_key_config_selectorIiiEEZZNS1_16scan_by_key_implILNS1_25lookback_scan_determinismE0ELb1ES3_N6thrust23THRUST_200600_302600_NS6detail15normal_iteratorINS9_10device_ptrIiEEEENSB_INSC_IjEEEESE_iNS9_4plusIvEENS9_8equal_toIvEEiEE10hipError_tPvRmT2_T3_T4_T5_mT6_T7_P12ihipStream_tbENKUlT_T0_E_clISt17integral_constantIbLb1EES11_EEDaSW_SX_EUlSW_E_NS1_11comp_targetILNS1_3genE10ELNS1_11target_archE1200ELNS1_3gpuE4ELNS1_3repE0EEENS1_30default_config_static_selectorELNS0_4arch9wavefront6targetE0EEEvT1_,@function
_ZN7rocprim17ROCPRIM_400000_NS6detail17trampoline_kernelINS0_14default_configENS1_27scan_by_key_config_selectorIiiEEZZNS1_16scan_by_key_implILNS1_25lookback_scan_determinismE0ELb1ES3_N6thrust23THRUST_200600_302600_NS6detail15normal_iteratorINS9_10device_ptrIiEEEENSB_INSC_IjEEEESE_iNS9_4plusIvEENS9_8equal_toIvEEiEE10hipError_tPvRmT2_T3_T4_T5_mT6_T7_P12ihipStream_tbENKUlT_T0_E_clISt17integral_constantIbLb1EES11_EEDaSW_SX_EUlSW_E_NS1_11comp_targetILNS1_3genE10ELNS1_11target_archE1200ELNS1_3gpuE4ELNS1_3repE0EEENS1_30default_config_static_selectorELNS0_4arch9wavefront6targetE0EEEvT1_: ; @_ZN7rocprim17ROCPRIM_400000_NS6detail17trampoline_kernelINS0_14default_configENS1_27scan_by_key_config_selectorIiiEEZZNS1_16scan_by_key_implILNS1_25lookback_scan_determinismE0ELb1ES3_N6thrust23THRUST_200600_302600_NS6detail15normal_iteratorINS9_10device_ptrIiEEEENSB_INSC_IjEEEESE_iNS9_4plusIvEENS9_8equal_toIvEEiEE10hipError_tPvRmT2_T3_T4_T5_mT6_T7_P12ihipStream_tbENKUlT_T0_E_clISt17integral_constantIbLb1EES11_EEDaSW_SX_EUlSW_E_NS1_11comp_targetILNS1_3genE10ELNS1_11target_archE1200ELNS1_3gpuE4ELNS1_3repE0EEENS1_30default_config_static_selectorELNS0_4arch9wavefront6targetE0EEEvT1_
; %bb.0:
	.section	.rodata,"a",@progbits
	.p2align	6, 0x0
	.amdhsa_kernel _ZN7rocprim17ROCPRIM_400000_NS6detail17trampoline_kernelINS0_14default_configENS1_27scan_by_key_config_selectorIiiEEZZNS1_16scan_by_key_implILNS1_25lookback_scan_determinismE0ELb1ES3_N6thrust23THRUST_200600_302600_NS6detail15normal_iteratorINS9_10device_ptrIiEEEENSB_INSC_IjEEEESE_iNS9_4plusIvEENS9_8equal_toIvEEiEE10hipError_tPvRmT2_T3_T4_T5_mT6_T7_P12ihipStream_tbENKUlT_T0_E_clISt17integral_constantIbLb1EES11_EEDaSW_SX_EUlSW_E_NS1_11comp_targetILNS1_3genE10ELNS1_11target_archE1200ELNS1_3gpuE4ELNS1_3repE0EEENS1_30default_config_static_selectorELNS0_4arch9wavefront6targetE0EEEvT1_
		.amdhsa_group_segment_fixed_size 0
		.amdhsa_private_segment_fixed_size 0
		.amdhsa_kernarg_size 112
		.amdhsa_user_sgpr_count 2
		.amdhsa_user_sgpr_dispatch_ptr 0
		.amdhsa_user_sgpr_queue_ptr 0
		.amdhsa_user_sgpr_kernarg_segment_ptr 1
		.amdhsa_user_sgpr_dispatch_id 0
		.amdhsa_user_sgpr_kernarg_preload_length 0
		.amdhsa_user_sgpr_kernarg_preload_offset 0
		.amdhsa_user_sgpr_private_segment_size 0
		.amdhsa_wavefront_size32 1
		.amdhsa_uses_dynamic_stack 0
		.amdhsa_enable_private_segment 0
		.amdhsa_system_sgpr_workgroup_id_x 1
		.amdhsa_system_sgpr_workgroup_id_y 0
		.amdhsa_system_sgpr_workgroup_id_z 0
		.amdhsa_system_sgpr_workgroup_info 0
		.amdhsa_system_vgpr_workitem_id 0
		.amdhsa_next_free_vgpr 1
		.amdhsa_next_free_sgpr 1
		.amdhsa_named_barrier_count 0
		.amdhsa_reserve_vcc 0
		.amdhsa_float_round_mode_32 0
		.amdhsa_float_round_mode_16_64 0
		.amdhsa_float_denorm_mode_32 3
		.amdhsa_float_denorm_mode_16_64 3
		.amdhsa_fp16_overflow 0
		.amdhsa_memory_ordered 1
		.amdhsa_forward_progress 1
		.amdhsa_inst_pref_size 0
		.amdhsa_round_robin_scheduling 0
		.amdhsa_exception_fp_ieee_invalid_op 0
		.amdhsa_exception_fp_denorm_src 0
		.amdhsa_exception_fp_ieee_div_zero 0
		.amdhsa_exception_fp_ieee_overflow 0
		.amdhsa_exception_fp_ieee_underflow 0
		.amdhsa_exception_fp_ieee_inexact 0
		.amdhsa_exception_int_div_zero 0
	.end_amdhsa_kernel
	.section	.text._ZN7rocprim17ROCPRIM_400000_NS6detail17trampoline_kernelINS0_14default_configENS1_27scan_by_key_config_selectorIiiEEZZNS1_16scan_by_key_implILNS1_25lookback_scan_determinismE0ELb1ES3_N6thrust23THRUST_200600_302600_NS6detail15normal_iteratorINS9_10device_ptrIiEEEENSB_INSC_IjEEEESE_iNS9_4plusIvEENS9_8equal_toIvEEiEE10hipError_tPvRmT2_T3_T4_T5_mT6_T7_P12ihipStream_tbENKUlT_T0_E_clISt17integral_constantIbLb1EES11_EEDaSW_SX_EUlSW_E_NS1_11comp_targetILNS1_3genE10ELNS1_11target_archE1200ELNS1_3gpuE4ELNS1_3repE0EEENS1_30default_config_static_selectorELNS0_4arch9wavefront6targetE0EEEvT1_,"axG",@progbits,_ZN7rocprim17ROCPRIM_400000_NS6detail17trampoline_kernelINS0_14default_configENS1_27scan_by_key_config_selectorIiiEEZZNS1_16scan_by_key_implILNS1_25lookback_scan_determinismE0ELb1ES3_N6thrust23THRUST_200600_302600_NS6detail15normal_iteratorINS9_10device_ptrIiEEEENSB_INSC_IjEEEESE_iNS9_4plusIvEENS9_8equal_toIvEEiEE10hipError_tPvRmT2_T3_T4_T5_mT6_T7_P12ihipStream_tbENKUlT_T0_E_clISt17integral_constantIbLb1EES11_EEDaSW_SX_EUlSW_E_NS1_11comp_targetILNS1_3genE10ELNS1_11target_archE1200ELNS1_3gpuE4ELNS1_3repE0EEENS1_30default_config_static_selectorELNS0_4arch9wavefront6targetE0EEEvT1_,comdat
.Lfunc_end1767:
	.size	_ZN7rocprim17ROCPRIM_400000_NS6detail17trampoline_kernelINS0_14default_configENS1_27scan_by_key_config_selectorIiiEEZZNS1_16scan_by_key_implILNS1_25lookback_scan_determinismE0ELb1ES3_N6thrust23THRUST_200600_302600_NS6detail15normal_iteratorINS9_10device_ptrIiEEEENSB_INSC_IjEEEESE_iNS9_4plusIvEENS9_8equal_toIvEEiEE10hipError_tPvRmT2_T3_T4_T5_mT6_T7_P12ihipStream_tbENKUlT_T0_E_clISt17integral_constantIbLb1EES11_EEDaSW_SX_EUlSW_E_NS1_11comp_targetILNS1_3genE10ELNS1_11target_archE1200ELNS1_3gpuE4ELNS1_3repE0EEENS1_30default_config_static_selectorELNS0_4arch9wavefront6targetE0EEEvT1_, .Lfunc_end1767-_ZN7rocprim17ROCPRIM_400000_NS6detail17trampoline_kernelINS0_14default_configENS1_27scan_by_key_config_selectorIiiEEZZNS1_16scan_by_key_implILNS1_25lookback_scan_determinismE0ELb1ES3_N6thrust23THRUST_200600_302600_NS6detail15normal_iteratorINS9_10device_ptrIiEEEENSB_INSC_IjEEEESE_iNS9_4plusIvEENS9_8equal_toIvEEiEE10hipError_tPvRmT2_T3_T4_T5_mT6_T7_P12ihipStream_tbENKUlT_T0_E_clISt17integral_constantIbLb1EES11_EEDaSW_SX_EUlSW_E_NS1_11comp_targetILNS1_3genE10ELNS1_11target_archE1200ELNS1_3gpuE4ELNS1_3repE0EEENS1_30default_config_static_selectorELNS0_4arch9wavefront6targetE0EEEvT1_
                                        ; -- End function
	.set _ZN7rocprim17ROCPRIM_400000_NS6detail17trampoline_kernelINS0_14default_configENS1_27scan_by_key_config_selectorIiiEEZZNS1_16scan_by_key_implILNS1_25lookback_scan_determinismE0ELb1ES3_N6thrust23THRUST_200600_302600_NS6detail15normal_iteratorINS9_10device_ptrIiEEEENSB_INSC_IjEEEESE_iNS9_4plusIvEENS9_8equal_toIvEEiEE10hipError_tPvRmT2_T3_T4_T5_mT6_T7_P12ihipStream_tbENKUlT_T0_E_clISt17integral_constantIbLb1EES11_EEDaSW_SX_EUlSW_E_NS1_11comp_targetILNS1_3genE10ELNS1_11target_archE1200ELNS1_3gpuE4ELNS1_3repE0EEENS1_30default_config_static_selectorELNS0_4arch9wavefront6targetE0EEEvT1_.num_vgpr, 0
	.set _ZN7rocprim17ROCPRIM_400000_NS6detail17trampoline_kernelINS0_14default_configENS1_27scan_by_key_config_selectorIiiEEZZNS1_16scan_by_key_implILNS1_25lookback_scan_determinismE0ELb1ES3_N6thrust23THRUST_200600_302600_NS6detail15normal_iteratorINS9_10device_ptrIiEEEENSB_INSC_IjEEEESE_iNS9_4plusIvEENS9_8equal_toIvEEiEE10hipError_tPvRmT2_T3_T4_T5_mT6_T7_P12ihipStream_tbENKUlT_T0_E_clISt17integral_constantIbLb1EES11_EEDaSW_SX_EUlSW_E_NS1_11comp_targetILNS1_3genE10ELNS1_11target_archE1200ELNS1_3gpuE4ELNS1_3repE0EEENS1_30default_config_static_selectorELNS0_4arch9wavefront6targetE0EEEvT1_.num_agpr, 0
	.set _ZN7rocprim17ROCPRIM_400000_NS6detail17trampoline_kernelINS0_14default_configENS1_27scan_by_key_config_selectorIiiEEZZNS1_16scan_by_key_implILNS1_25lookback_scan_determinismE0ELb1ES3_N6thrust23THRUST_200600_302600_NS6detail15normal_iteratorINS9_10device_ptrIiEEEENSB_INSC_IjEEEESE_iNS9_4plusIvEENS9_8equal_toIvEEiEE10hipError_tPvRmT2_T3_T4_T5_mT6_T7_P12ihipStream_tbENKUlT_T0_E_clISt17integral_constantIbLb1EES11_EEDaSW_SX_EUlSW_E_NS1_11comp_targetILNS1_3genE10ELNS1_11target_archE1200ELNS1_3gpuE4ELNS1_3repE0EEENS1_30default_config_static_selectorELNS0_4arch9wavefront6targetE0EEEvT1_.numbered_sgpr, 0
	.set _ZN7rocprim17ROCPRIM_400000_NS6detail17trampoline_kernelINS0_14default_configENS1_27scan_by_key_config_selectorIiiEEZZNS1_16scan_by_key_implILNS1_25lookback_scan_determinismE0ELb1ES3_N6thrust23THRUST_200600_302600_NS6detail15normal_iteratorINS9_10device_ptrIiEEEENSB_INSC_IjEEEESE_iNS9_4plusIvEENS9_8equal_toIvEEiEE10hipError_tPvRmT2_T3_T4_T5_mT6_T7_P12ihipStream_tbENKUlT_T0_E_clISt17integral_constantIbLb1EES11_EEDaSW_SX_EUlSW_E_NS1_11comp_targetILNS1_3genE10ELNS1_11target_archE1200ELNS1_3gpuE4ELNS1_3repE0EEENS1_30default_config_static_selectorELNS0_4arch9wavefront6targetE0EEEvT1_.num_named_barrier, 0
	.set _ZN7rocprim17ROCPRIM_400000_NS6detail17trampoline_kernelINS0_14default_configENS1_27scan_by_key_config_selectorIiiEEZZNS1_16scan_by_key_implILNS1_25lookback_scan_determinismE0ELb1ES3_N6thrust23THRUST_200600_302600_NS6detail15normal_iteratorINS9_10device_ptrIiEEEENSB_INSC_IjEEEESE_iNS9_4plusIvEENS9_8equal_toIvEEiEE10hipError_tPvRmT2_T3_T4_T5_mT6_T7_P12ihipStream_tbENKUlT_T0_E_clISt17integral_constantIbLb1EES11_EEDaSW_SX_EUlSW_E_NS1_11comp_targetILNS1_3genE10ELNS1_11target_archE1200ELNS1_3gpuE4ELNS1_3repE0EEENS1_30default_config_static_selectorELNS0_4arch9wavefront6targetE0EEEvT1_.private_seg_size, 0
	.set _ZN7rocprim17ROCPRIM_400000_NS6detail17trampoline_kernelINS0_14default_configENS1_27scan_by_key_config_selectorIiiEEZZNS1_16scan_by_key_implILNS1_25lookback_scan_determinismE0ELb1ES3_N6thrust23THRUST_200600_302600_NS6detail15normal_iteratorINS9_10device_ptrIiEEEENSB_INSC_IjEEEESE_iNS9_4plusIvEENS9_8equal_toIvEEiEE10hipError_tPvRmT2_T3_T4_T5_mT6_T7_P12ihipStream_tbENKUlT_T0_E_clISt17integral_constantIbLb1EES11_EEDaSW_SX_EUlSW_E_NS1_11comp_targetILNS1_3genE10ELNS1_11target_archE1200ELNS1_3gpuE4ELNS1_3repE0EEENS1_30default_config_static_selectorELNS0_4arch9wavefront6targetE0EEEvT1_.uses_vcc, 0
	.set _ZN7rocprim17ROCPRIM_400000_NS6detail17trampoline_kernelINS0_14default_configENS1_27scan_by_key_config_selectorIiiEEZZNS1_16scan_by_key_implILNS1_25lookback_scan_determinismE0ELb1ES3_N6thrust23THRUST_200600_302600_NS6detail15normal_iteratorINS9_10device_ptrIiEEEENSB_INSC_IjEEEESE_iNS9_4plusIvEENS9_8equal_toIvEEiEE10hipError_tPvRmT2_T3_T4_T5_mT6_T7_P12ihipStream_tbENKUlT_T0_E_clISt17integral_constantIbLb1EES11_EEDaSW_SX_EUlSW_E_NS1_11comp_targetILNS1_3genE10ELNS1_11target_archE1200ELNS1_3gpuE4ELNS1_3repE0EEENS1_30default_config_static_selectorELNS0_4arch9wavefront6targetE0EEEvT1_.uses_flat_scratch, 0
	.set _ZN7rocprim17ROCPRIM_400000_NS6detail17trampoline_kernelINS0_14default_configENS1_27scan_by_key_config_selectorIiiEEZZNS1_16scan_by_key_implILNS1_25lookback_scan_determinismE0ELb1ES3_N6thrust23THRUST_200600_302600_NS6detail15normal_iteratorINS9_10device_ptrIiEEEENSB_INSC_IjEEEESE_iNS9_4plusIvEENS9_8equal_toIvEEiEE10hipError_tPvRmT2_T3_T4_T5_mT6_T7_P12ihipStream_tbENKUlT_T0_E_clISt17integral_constantIbLb1EES11_EEDaSW_SX_EUlSW_E_NS1_11comp_targetILNS1_3genE10ELNS1_11target_archE1200ELNS1_3gpuE4ELNS1_3repE0EEENS1_30default_config_static_selectorELNS0_4arch9wavefront6targetE0EEEvT1_.has_dyn_sized_stack, 0
	.set _ZN7rocprim17ROCPRIM_400000_NS6detail17trampoline_kernelINS0_14default_configENS1_27scan_by_key_config_selectorIiiEEZZNS1_16scan_by_key_implILNS1_25lookback_scan_determinismE0ELb1ES3_N6thrust23THRUST_200600_302600_NS6detail15normal_iteratorINS9_10device_ptrIiEEEENSB_INSC_IjEEEESE_iNS9_4plusIvEENS9_8equal_toIvEEiEE10hipError_tPvRmT2_T3_T4_T5_mT6_T7_P12ihipStream_tbENKUlT_T0_E_clISt17integral_constantIbLb1EES11_EEDaSW_SX_EUlSW_E_NS1_11comp_targetILNS1_3genE10ELNS1_11target_archE1200ELNS1_3gpuE4ELNS1_3repE0EEENS1_30default_config_static_selectorELNS0_4arch9wavefront6targetE0EEEvT1_.has_recursion, 0
	.set _ZN7rocprim17ROCPRIM_400000_NS6detail17trampoline_kernelINS0_14default_configENS1_27scan_by_key_config_selectorIiiEEZZNS1_16scan_by_key_implILNS1_25lookback_scan_determinismE0ELb1ES3_N6thrust23THRUST_200600_302600_NS6detail15normal_iteratorINS9_10device_ptrIiEEEENSB_INSC_IjEEEESE_iNS9_4plusIvEENS9_8equal_toIvEEiEE10hipError_tPvRmT2_T3_T4_T5_mT6_T7_P12ihipStream_tbENKUlT_T0_E_clISt17integral_constantIbLb1EES11_EEDaSW_SX_EUlSW_E_NS1_11comp_targetILNS1_3genE10ELNS1_11target_archE1200ELNS1_3gpuE4ELNS1_3repE0EEENS1_30default_config_static_selectorELNS0_4arch9wavefront6targetE0EEEvT1_.has_indirect_call, 0
	.section	.AMDGPU.csdata,"",@progbits
; Kernel info:
; codeLenInByte = 0
; TotalNumSgprs: 0
; NumVgprs: 0
; ScratchSize: 0
; MemoryBound: 0
; FloatMode: 240
; IeeeMode: 1
; LDSByteSize: 0 bytes/workgroup (compile time only)
; SGPRBlocks: 0
; VGPRBlocks: 0
; NumSGPRsForWavesPerEU: 1
; NumVGPRsForWavesPerEU: 1
; NamedBarCnt: 0
; Occupancy: 16
; WaveLimiterHint : 0
; COMPUTE_PGM_RSRC2:SCRATCH_EN: 0
; COMPUTE_PGM_RSRC2:USER_SGPR: 2
; COMPUTE_PGM_RSRC2:TRAP_HANDLER: 0
; COMPUTE_PGM_RSRC2:TGID_X_EN: 1
; COMPUTE_PGM_RSRC2:TGID_Y_EN: 0
; COMPUTE_PGM_RSRC2:TGID_Z_EN: 0
; COMPUTE_PGM_RSRC2:TIDIG_COMP_CNT: 0
	.section	.text._ZN7rocprim17ROCPRIM_400000_NS6detail17trampoline_kernelINS0_14default_configENS1_27scan_by_key_config_selectorIiiEEZZNS1_16scan_by_key_implILNS1_25lookback_scan_determinismE0ELb1ES3_N6thrust23THRUST_200600_302600_NS6detail15normal_iteratorINS9_10device_ptrIiEEEENSB_INSC_IjEEEESE_iNS9_4plusIvEENS9_8equal_toIvEEiEE10hipError_tPvRmT2_T3_T4_T5_mT6_T7_P12ihipStream_tbENKUlT_T0_E_clISt17integral_constantIbLb1EES11_EEDaSW_SX_EUlSW_E_NS1_11comp_targetILNS1_3genE9ELNS1_11target_archE1100ELNS1_3gpuE3ELNS1_3repE0EEENS1_30default_config_static_selectorELNS0_4arch9wavefront6targetE0EEEvT1_,"axG",@progbits,_ZN7rocprim17ROCPRIM_400000_NS6detail17trampoline_kernelINS0_14default_configENS1_27scan_by_key_config_selectorIiiEEZZNS1_16scan_by_key_implILNS1_25lookback_scan_determinismE0ELb1ES3_N6thrust23THRUST_200600_302600_NS6detail15normal_iteratorINS9_10device_ptrIiEEEENSB_INSC_IjEEEESE_iNS9_4plusIvEENS9_8equal_toIvEEiEE10hipError_tPvRmT2_T3_T4_T5_mT6_T7_P12ihipStream_tbENKUlT_T0_E_clISt17integral_constantIbLb1EES11_EEDaSW_SX_EUlSW_E_NS1_11comp_targetILNS1_3genE9ELNS1_11target_archE1100ELNS1_3gpuE3ELNS1_3repE0EEENS1_30default_config_static_selectorELNS0_4arch9wavefront6targetE0EEEvT1_,comdat
	.protected	_ZN7rocprim17ROCPRIM_400000_NS6detail17trampoline_kernelINS0_14default_configENS1_27scan_by_key_config_selectorIiiEEZZNS1_16scan_by_key_implILNS1_25lookback_scan_determinismE0ELb1ES3_N6thrust23THRUST_200600_302600_NS6detail15normal_iteratorINS9_10device_ptrIiEEEENSB_INSC_IjEEEESE_iNS9_4plusIvEENS9_8equal_toIvEEiEE10hipError_tPvRmT2_T3_T4_T5_mT6_T7_P12ihipStream_tbENKUlT_T0_E_clISt17integral_constantIbLb1EES11_EEDaSW_SX_EUlSW_E_NS1_11comp_targetILNS1_3genE9ELNS1_11target_archE1100ELNS1_3gpuE3ELNS1_3repE0EEENS1_30default_config_static_selectorELNS0_4arch9wavefront6targetE0EEEvT1_ ; -- Begin function _ZN7rocprim17ROCPRIM_400000_NS6detail17trampoline_kernelINS0_14default_configENS1_27scan_by_key_config_selectorIiiEEZZNS1_16scan_by_key_implILNS1_25lookback_scan_determinismE0ELb1ES3_N6thrust23THRUST_200600_302600_NS6detail15normal_iteratorINS9_10device_ptrIiEEEENSB_INSC_IjEEEESE_iNS9_4plusIvEENS9_8equal_toIvEEiEE10hipError_tPvRmT2_T3_T4_T5_mT6_T7_P12ihipStream_tbENKUlT_T0_E_clISt17integral_constantIbLb1EES11_EEDaSW_SX_EUlSW_E_NS1_11comp_targetILNS1_3genE9ELNS1_11target_archE1100ELNS1_3gpuE3ELNS1_3repE0EEENS1_30default_config_static_selectorELNS0_4arch9wavefront6targetE0EEEvT1_
	.globl	_ZN7rocprim17ROCPRIM_400000_NS6detail17trampoline_kernelINS0_14default_configENS1_27scan_by_key_config_selectorIiiEEZZNS1_16scan_by_key_implILNS1_25lookback_scan_determinismE0ELb1ES3_N6thrust23THRUST_200600_302600_NS6detail15normal_iteratorINS9_10device_ptrIiEEEENSB_INSC_IjEEEESE_iNS9_4plusIvEENS9_8equal_toIvEEiEE10hipError_tPvRmT2_T3_T4_T5_mT6_T7_P12ihipStream_tbENKUlT_T0_E_clISt17integral_constantIbLb1EES11_EEDaSW_SX_EUlSW_E_NS1_11comp_targetILNS1_3genE9ELNS1_11target_archE1100ELNS1_3gpuE3ELNS1_3repE0EEENS1_30default_config_static_selectorELNS0_4arch9wavefront6targetE0EEEvT1_
	.p2align	8
	.type	_ZN7rocprim17ROCPRIM_400000_NS6detail17trampoline_kernelINS0_14default_configENS1_27scan_by_key_config_selectorIiiEEZZNS1_16scan_by_key_implILNS1_25lookback_scan_determinismE0ELb1ES3_N6thrust23THRUST_200600_302600_NS6detail15normal_iteratorINS9_10device_ptrIiEEEENSB_INSC_IjEEEESE_iNS9_4plusIvEENS9_8equal_toIvEEiEE10hipError_tPvRmT2_T3_T4_T5_mT6_T7_P12ihipStream_tbENKUlT_T0_E_clISt17integral_constantIbLb1EES11_EEDaSW_SX_EUlSW_E_NS1_11comp_targetILNS1_3genE9ELNS1_11target_archE1100ELNS1_3gpuE3ELNS1_3repE0EEENS1_30default_config_static_selectorELNS0_4arch9wavefront6targetE0EEEvT1_,@function
_ZN7rocprim17ROCPRIM_400000_NS6detail17trampoline_kernelINS0_14default_configENS1_27scan_by_key_config_selectorIiiEEZZNS1_16scan_by_key_implILNS1_25lookback_scan_determinismE0ELb1ES3_N6thrust23THRUST_200600_302600_NS6detail15normal_iteratorINS9_10device_ptrIiEEEENSB_INSC_IjEEEESE_iNS9_4plusIvEENS9_8equal_toIvEEiEE10hipError_tPvRmT2_T3_T4_T5_mT6_T7_P12ihipStream_tbENKUlT_T0_E_clISt17integral_constantIbLb1EES11_EEDaSW_SX_EUlSW_E_NS1_11comp_targetILNS1_3genE9ELNS1_11target_archE1100ELNS1_3gpuE3ELNS1_3repE0EEENS1_30default_config_static_selectorELNS0_4arch9wavefront6targetE0EEEvT1_: ; @_ZN7rocprim17ROCPRIM_400000_NS6detail17trampoline_kernelINS0_14default_configENS1_27scan_by_key_config_selectorIiiEEZZNS1_16scan_by_key_implILNS1_25lookback_scan_determinismE0ELb1ES3_N6thrust23THRUST_200600_302600_NS6detail15normal_iteratorINS9_10device_ptrIiEEEENSB_INSC_IjEEEESE_iNS9_4plusIvEENS9_8equal_toIvEEiEE10hipError_tPvRmT2_T3_T4_T5_mT6_T7_P12ihipStream_tbENKUlT_T0_E_clISt17integral_constantIbLb1EES11_EEDaSW_SX_EUlSW_E_NS1_11comp_targetILNS1_3genE9ELNS1_11target_archE1100ELNS1_3gpuE3ELNS1_3repE0EEENS1_30default_config_static_selectorELNS0_4arch9wavefront6targetE0EEEvT1_
; %bb.0:
	.section	.rodata,"a",@progbits
	.p2align	6, 0x0
	.amdhsa_kernel _ZN7rocprim17ROCPRIM_400000_NS6detail17trampoline_kernelINS0_14default_configENS1_27scan_by_key_config_selectorIiiEEZZNS1_16scan_by_key_implILNS1_25lookback_scan_determinismE0ELb1ES3_N6thrust23THRUST_200600_302600_NS6detail15normal_iteratorINS9_10device_ptrIiEEEENSB_INSC_IjEEEESE_iNS9_4plusIvEENS9_8equal_toIvEEiEE10hipError_tPvRmT2_T3_T4_T5_mT6_T7_P12ihipStream_tbENKUlT_T0_E_clISt17integral_constantIbLb1EES11_EEDaSW_SX_EUlSW_E_NS1_11comp_targetILNS1_3genE9ELNS1_11target_archE1100ELNS1_3gpuE3ELNS1_3repE0EEENS1_30default_config_static_selectorELNS0_4arch9wavefront6targetE0EEEvT1_
		.amdhsa_group_segment_fixed_size 0
		.amdhsa_private_segment_fixed_size 0
		.amdhsa_kernarg_size 112
		.amdhsa_user_sgpr_count 2
		.amdhsa_user_sgpr_dispatch_ptr 0
		.amdhsa_user_sgpr_queue_ptr 0
		.amdhsa_user_sgpr_kernarg_segment_ptr 1
		.amdhsa_user_sgpr_dispatch_id 0
		.amdhsa_user_sgpr_kernarg_preload_length 0
		.amdhsa_user_sgpr_kernarg_preload_offset 0
		.amdhsa_user_sgpr_private_segment_size 0
		.amdhsa_wavefront_size32 1
		.amdhsa_uses_dynamic_stack 0
		.amdhsa_enable_private_segment 0
		.amdhsa_system_sgpr_workgroup_id_x 1
		.amdhsa_system_sgpr_workgroup_id_y 0
		.amdhsa_system_sgpr_workgroup_id_z 0
		.amdhsa_system_sgpr_workgroup_info 0
		.amdhsa_system_vgpr_workitem_id 0
		.amdhsa_next_free_vgpr 1
		.amdhsa_next_free_sgpr 1
		.amdhsa_named_barrier_count 0
		.amdhsa_reserve_vcc 0
		.amdhsa_float_round_mode_32 0
		.amdhsa_float_round_mode_16_64 0
		.amdhsa_float_denorm_mode_32 3
		.amdhsa_float_denorm_mode_16_64 3
		.amdhsa_fp16_overflow 0
		.amdhsa_memory_ordered 1
		.amdhsa_forward_progress 1
		.amdhsa_inst_pref_size 0
		.amdhsa_round_robin_scheduling 0
		.amdhsa_exception_fp_ieee_invalid_op 0
		.amdhsa_exception_fp_denorm_src 0
		.amdhsa_exception_fp_ieee_div_zero 0
		.amdhsa_exception_fp_ieee_overflow 0
		.amdhsa_exception_fp_ieee_underflow 0
		.amdhsa_exception_fp_ieee_inexact 0
		.amdhsa_exception_int_div_zero 0
	.end_amdhsa_kernel
	.section	.text._ZN7rocprim17ROCPRIM_400000_NS6detail17trampoline_kernelINS0_14default_configENS1_27scan_by_key_config_selectorIiiEEZZNS1_16scan_by_key_implILNS1_25lookback_scan_determinismE0ELb1ES3_N6thrust23THRUST_200600_302600_NS6detail15normal_iteratorINS9_10device_ptrIiEEEENSB_INSC_IjEEEESE_iNS9_4plusIvEENS9_8equal_toIvEEiEE10hipError_tPvRmT2_T3_T4_T5_mT6_T7_P12ihipStream_tbENKUlT_T0_E_clISt17integral_constantIbLb1EES11_EEDaSW_SX_EUlSW_E_NS1_11comp_targetILNS1_3genE9ELNS1_11target_archE1100ELNS1_3gpuE3ELNS1_3repE0EEENS1_30default_config_static_selectorELNS0_4arch9wavefront6targetE0EEEvT1_,"axG",@progbits,_ZN7rocprim17ROCPRIM_400000_NS6detail17trampoline_kernelINS0_14default_configENS1_27scan_by_key_config_selectorIiiEEZZNS1_16scan_by_key_implILNS1_25lookback_scan_determinismE0ELb1ES3_N6thrust23THRUST_200600_302600_NS6detail15normal_iteratorINS9_10device_ptrIiEEEENSB_INSC_IjEEEESE_iNS9_4plusIvEENS9_8equal_toIvEEiEE10hipError_tPvRmT2_T3_T4_T5_mT6_T7_P12ihipStream_tbENKUlT_T0_E_clISt17integral_constantIbLb1EES11_EEDaSW_SX_EUlSW_E_NS1_11comp_targetILNS1_3genE9ELNS1_11target_archE1100ELNS1_3gpuE3ELNS1_3repE0EEENS1_30default_config_static_selectorELNS0_4arch9wavefront6targetE0EEEvT1_,comdat
.Lfunc_end1768:
	.size	_ZN7rocprim17ROCPRIM_400000_NS6detail17trampoline_kernelINS0_14default_configENS1_27scan_by_key_config_selectorIiiEEZZNS1_16scan_by_key_implILNS1_25lookback_scan_determinismE0ELb1ES3_N6thrust23THRUST_200600_302600_NS6detail15normal_iteratorINS9_10device_ptrIiEEEENSB_INSC_IjEEEESE_iNS9_4plusIvEENS9_8equal_toIvEEiEE10hipError_tPvRmT2_T3_T4_T5_mT6_T7_P12ihipStream_tbENKUlT_T0_E_clISt17integral_constantIbLb1EES11_EEDaSW_SX_EUlSW_E_NS1_11comp_targetILNS1_3genE9ELNS1_11target_archE1100ELNS1_3gpuE3ELNS1_3repE0EEENS1_30default_config_static_selectorELNS0_4arch9wavefront6targetE0EEEvT1_, .Lfunc_end1768-_ZN7rocprim17ROCPRIM_400000_NS6detail17trampoline_kernelINS0_14default_configENS1_27scan_by_key_config_selectorIiiEEZZNS1_16scan_by_key_implILNS1_25lookback_scan_determinismE0ELb1ES3_N6thrust23THRUST_200600_302600_NS6detail15normal_iteratorINS9_10device_ptrIiEEEENSB_INSC_IjEEEESE_iNS9_4plusIvEENS9_8equal_toIvEEiEE10hipError_tPvRmT2_T3_T4_T5_mT6_T7_P12ihipStream_tbENKUlT_T0_E_clISt17integral_constantIbLb1EES11_EEDaSW_SX_EUlSW_E_NS1_11comp_targetILNS1_3genE9ELNS1_11target_archE1100ELNS1_3gpuE3ELNS1_3repE0EEENS1_30default_config_static_selectorELNS0_4arch9wavefront6targetE0EEEvT1_
                                        ; -- End function
	.set _ZN7rocprim17ROCPRIM_400000_NS6detail17trampoline_kernelINS0_14default_configENS1_27scan_by_key_config_selectorIiiEEZZNS1_16scan_by_key_implILNS1_25lookback_scan_determinismE0ELb1ES3_N6thrust23THRUST_200600_302600_NS6detail15normal_iteratorINS9_10device_ptrIiEEEENSB_INSC_IjEEEESE_iNS9_4plusIvEENS9_8equal_toIvEEiEE10hipError_tPvRmT2_T3_T4_T5_mT6_T7_P12ihipStream_tbENKUlT_T0_E_clISt17integral_constantIbLb1EES11_EEDaSW_SX_EUlSW_E_NS1_11comp_targetILNS1_3genE9ELNS1_11target_archE1100ELNS1_3gpuE3ELNS1_3repE0EEENS1_30default_config_static_selectorELNS0_4arch9wavefront6targetE0EEEvT1_.num_vgpr, 0
	.set _ZN7rocprim17ROCPRIM_400000_NS6detail17trampoline_kernelINS0_14default_configENS1_27scan_by_key_config_selectorIiiEEZZNS1_16scan_by_key_implILNS1_25lookback_scan_determinismE0ELb1ES3_N6thrust23THRUST_200600_302600_NS6detail15normal_iteratorINS9_10device_ptrIiEEEENSB_INSC_IjEEEESE_iNS9_4plusIvEENS9_8equal_toIvEEiEE10hipError_tPvRmT2_T3_T4_T5_mT6_T7_P12ihipStream_tbENKUlT_T0_E_clISt17integral_constantIbLb1EES11_EEDaSW_SX_EUlSW_E_NS1_11comp_targetILNS1_3genE9ELNS1_11target_archE1100ELNS1_3gpuE3ELNS1_3repE0EEENS1_30default_config_static_selectorELNS0_4arch9wavefront6targetE0EEEvT1_.num_agpr, 0
	.set _ZN7rocprim17ROCPRIM_400000_NS6detail17trampoline_kernelINS0_14default_configENS1_27scan_by_key_config_selectorIiiEEZZNS1_16scan_by_key_implILNS1_25lookback_scan_determinismE0ELb1ES3_N6thrust23THRUST_200600_302600_NS6detail15normal_iteratorINS9_10device_ptrIiEEEENSB_INSC_IjEEEESE_iNS9_4plusIvEENS9_8equal_toIvEEiEE10hipError_tPvRmT2_T3_T4_T5_mT6_T7_P12ihipStream_tbENKUlT_T0_E_clISt17integral_constantIbLb1EES11_EEDaSW_SX_EUlSW_E_NS1_11comp_targetILNS1_3genE9ELNS1_11target_archE1100ELNS1_3gpuE3ELNS1_3repE0EEENS1_30default_config_static_selectorELNS0_4arch9wavefront6targetE0EEEvT1_.numbered_sgpr, 0
	.set _ZN7rocprim17ROCPRIM_400000_NS6detail17trampoline_kernelINS0_14default_configENS1_27scan_by_key_config_selectorIiiEEZZNS1_16scan_by_key_implILNS1_25lookback_scan_determinismE0ELb1ES3_N6thrust23THRUST_200600_302600_NS6detail15normal_iteratorINS9_10device_ptrIiEEEENSB_INSC_IjEEEESE_iNS9_4plusIvEENS9_8equal_toIvEEiEE10hipError_tPvRmT2_T3_T4_T5_mT6_T7_P12ihipStream_tbENKUlT_T0_E_clISt17integral_constantIbLb1EES11_EEDaSW_SX_EUlSW_E_NS1_11comp_targetILNS1_3genE9ELNS1_11target_archE1100ELNS1_3gpuE3ELNS1_3repE0EEENS1_30default_config_static_selectorELNS0_4arch9wavefront6targetE0EEEvT1_.num_named_barrier, 0
	.set _ZN7rocprim17ROCPRIM_400000_NS6detail17trampoline_kernelINS0_14default_configENS1_27scan_by_key_config_selectorIiiEEZZNS1_16scan_by_key_implILNS1_25lookback_scan_determinismE0ELb1ES3_N6thrust23THRUST_200600_302600_NS6detail15normal_iteratorINS9_10device_ptrIiEEEENSB_INSC_IjEEEESE_iNS9_4plusIvEENS9_8equal_toIvEEiEE10hipError_tPvRmT2_T3_T4_T5_mT6_T7_P12ihipStream_tbENKUlT_T0_E_clISt17integral_constantIbLb1EES11_EEDaSW_SX_EUlSW_E_NS1_11comp_targetILNS1_3genE9ELNS1_11target_archE1100ELNS1_3gpuE3ELNS1_3repE0EEENS1_30default_config_static_selectorELNS0_4arch9wavefront6targetE0EEEvT1_.private_seg_size, 0
	.set _ZN7rocprim17ROCPRIM_400000_NS6detail17trampoline_kernelINS0_14default_configENS1_27scan_by_key_config_selectorIiiEEZZNS1_16scan_by_key_implILNS1_25lookback_scan_determinismE0ELb1ES3_N6thrust23THRUST_200600_302600_NS6detail15normal_iteratorINS9_10device_ptrIiEEEENSB_INSC_IjEEEESE_iNS9_4plusIvEENS9_8equal_toIvEEiEE10hipError_tPvRmT2_T3_T4_T5_mT6_T7_P12ihipStream_tbENKUlT_T0_E_clISt17integral_constantIbLb1EES11_EEDaSW_SX_EUlSW_E_NS1_11comp_targetILNS1_3genE9ELNS1_11target_archE1100ELNS1_3gpuE3ELNS1_3repE0EEENS1_30default_config_static_selectorELNS0_4arch9wavefront6targetE0EEEvT1_.uses_vcc, 0
	.set _ZN7rocprim17ROCPRIM_400000_NS6detail17trampoline_kernelINS0_14default_configENS1_27scan_by_key_config_selectorIiiEEZZNS1_16scan_by_key_implILNS1_25lookback_scan_determinismE0ELb1ES3_N6thrust23THRUST_200600_302600_NS6detail15normal_iteratorINS9_10device_ptrIiEEEENSB_INSC_IjEEEESE_iNS9_4plusIvEENS9_8equal_toIvEEiEE10hipError_tPvRmT2_T3_T4_T5_mT6_T7_P12ihipStream_tbENKUlT_T0_E_clISt17integral_constantIbLb1EES11_EEDaSW_SX_EUlSW_E_NS1_11comp_targetILNS1_3genE9ELNS1_11target_archE1100ELNS1_3gpuE3ELNS1_3repE0EEENS1_30default_config_static_selectorELNS0_4arch9wavefront6targetE0EEEvT1_.uses_flat_scratch, 0
	.set _ZN7rocprim17ROCPRIM_400000_NS6detail17trampoline_kernelINS0_14default_configENS1_27scan_by_key_config_selectorIiiEEZZNS1_16scan_by_key_implILNS1_25lookback_scan_determinismE0ELb1ES3_N6thrust23THRUST_200600_302600_NS6detail15normal_iteratorINS9_10device_ptrIiEEEENSB_INSC_IjEEEESE_iNS9_4plusIvEENS9_8equal_toIvEEiEE10hipError_tPvRmT2_T3_T4_T5_mT6_T7_P12ihipStream_tbENKUlT_T0_E_clISt17integral_constantIbLb1EES11_EEDaSW_SX_EUlSW_E_NS1_11comp_targetILNS1_3genE9ELNS1_11target_archE1100ELNS1_3gpuE3ELNS1_3repE0EEENS1_30default_config_static_selectorELNS0_4arch9wavefront6targetE0EEEvT1_.has_dyn_sized_stack, 0
	.set _ZN7rocprim17ROCPRIM_400000_NS6detail17trampoline_kernelINS0_14default_configENS1_27scan_by_key_config_selectorIiiEEZZNS1_16scan_by_key_implILNS1_25lookback_scan_determinismE0ELb1ES3_N6thrust23THRUST_200600_302600_NS6detail15normal_iteratorINS9_10device_ptrIiEEEENSB_INSC_IjEEEESE_iNS9_4plusIvEENS9_8equal_toIvEEiEE10hipError_tPvRmT2_T3_T4_T5_mT6_T7_P12ihipStream_tbENKUlT_T0_E_clISt17integral_constantIbLb1EES11_EEDaSW_SX_EUlSW_E_NS1_11comp_targetILNS1_3genE9ELNS1_11target_archE1100ELNS1_3gpuE3ELNS1_3repE0EEENS1_30default_config_static_selectorELNS0_4arch9wavefront6targetE0EEEvT1_.has_recursion, 0
	.set _ZN7rocprim17ROCPRIM_400000_NS6detail17trampoline_kernelINS0_14default_configENS1_27scan_by_key_config_selectorIiiEEZZNS1_16scan_by_key_implILNS1_25lookback_scan_determinismE0ELb1ES3_N6thrust23THRUST_200600_302600_NS6detail15normal_iteratorINS9_10device_ptrIiEEEENSB_INSC_IjEEEESE_iNS9_4plusIvEENS9_8equal_toIvEEiEE10hipError_tPvRmT2_T3_T4_T5_mT6_T7_P12ihipStream_tbENKUlT_T0_E_clISt17integral_constantIbLb1EES11_EEDaSW_SX_EUlSW_E_NS1_11comp_targetILNS1_3genE9ELNS1_11target_archE1100ELNS1_3gpuE3ELNS1_3repE0EEENS1_30default_config_static_selectorELNS0_4arch9wavefront6targetE0EEEvT1_.has_indirect_call, 0
	.section	.AMDGPU.csdata,"",@progbits
; Kernel info:
; codeLenInByte = 0
; TotalNumSgprs: 0
; NumVgprs: 0
; ScratchSize: 0
; MemoryBound: 0
; FloatMode: 240
; IeeeMode: 1
; LDSByteSize: 0 bytes/workgroup (compile time only)
; SGPRBlocks: 0
; VGPRBlocks: 0
; NumSGPRsForWavesPerEU: 1
; NumVGPRsForWavesPerEU: 1
; NamedBarCnt: 0
; Occupancy: 16
; WaveLimiterHint : 0
; COMPUTE_PGM_RSRC2:SCRATCH_EN: 0
; COMPUTE_PGM_RSRC2:USER_SGPR: 2
; COMPUTE_PGM_RSRC2:TRAP_HANDLER: 0
; COMPUTE_PGM_RSRC2:TGID_X_EN: 1
; COMPUTE_PGM_RSRC2:TGID_Y_EN: 0
; COMPUTE_PGM_RSRC2:TGID_Z_EN: 0
; COMPUTE_PGM_RSRC2:TIDIG_COMP_CNT: 0
	.section	.text._ZN7rocprim17ROCPRIM_400000_NS6detail17trampoline_kernelINS0_14default_configENS1_27scan_by_key_config_selectorIiiEEZZNS1_16scan_by_key_implILNS1_25lookback_scan_determinismE0ELb1ES3_N6thrust23THRUST_200600_302600_NS6detail15normal_iteratorINS9_10device_ptrIiEEEENSB_INSC_IjEEEESE_iNS9_4plusIvEENS9_8equal_toIvEEiEE10hipError_tPvRmT2_T3_T4_T5_mT6_T7_P12ihipStream_tbENKUlT_T0_E_clISt17integral_constantIbLb1EES11_EEDaSW_SX_EUlSW_E_NS1_11comp_targetILNS1_3genE8ELNS1_11target_archE1030ELNS1_3gpuE2ELNS1_3repE0EEENS1_30default_config_static_selectorELNS0_4arch9wavefront6targetE0EEEvT1_,"axG",@progbits,_ZN7rocprim17ROCPRIM_400000_NS6detail17trampoline_kernelINS0_14default_configENS1_27scan_by_key_config_selectorIiiEEZZNS1_16scan_by_key_implILNS1_25lookback_scan_determinismE0ELb1ES3_N6thrust23THRUST_200600_302600_NS6detail15normal_iteratorINS9_10device_ptrIiEEEENSB_INSC_IjEEEESE_iNS9_4plusIvEENS9_8equal_toIvEEiEE10hipError_tPvRmT2_T3_T4_T5_mT6_T7_P12ihipStream_tbENKUlT_T0_E_clISt17integral_constantIbLb1EES11_EEDaSW_SX_EUlSW_E_NS1_11comp_targetILNS1_3genE8ELNS1_11target_archE1030ELNS1_3gpuE2ELNS1_3repE0EEENS1_30default_config_static_selectorELNS0_4arch9wavefront6targetE0EEEvT1_,comdat
	.protected	_ZN7rocprim17ROCPRIM_400000_NS6detail17trampoline_kernelINS0_14default_configENS1_27scan_by_key_config_selectorIiiEEZZNS1_16scan_by_key_implILNS1_25lookback_scan_determinismE0ELb1ES3_N6thrust23THRUST_200600_302600_NS6detail15normal_iteratorINS9_10device_ptrIiEEEENSB_INSC_IjEEEESE_iNS9_4plusIvEENS9_8equal_toIvEEiEE10hipError_tPvRmT2_T3_T4_T5_mT6_T7_P12ihipStream_tbENKUlT_T0_E_clISt17integral_constantIbLb1EES11_EEDaSW_SX_EUlSW_E_NS1_11comp_targetILNS1_3genE8ELNS1_11target_archE1030ELNS1_3gpuE2ELNS1_3repE0EEENS1_30default_config_static_selectorELNS0_4arch9wavefront6targetE0EEEvT1_ ; -- Begin function _ZN7rocprim17ROCPRIM_400000_NS6detail17trampoline_kernelINS0_14default_configENS1_27scan_by_key_config_selectorIiiEEZZNS1_16scan_by_key_implILNS1_25lookback_scan_determinismE0ELb1ES3_N6thrust23THRUST_200600_302600_NS6detail15normal_iteratorINS9_10device_ptrIiEEEENSB_INSC_IjEEEESE_iNS9_4plusIvEENS9_8equal_toIvEEiEE10hipError_tPvRmT2_T3_T4_T5_mT6_T7_P12ihipStream_tbENKUlT_T0_E_clISt17integral_constantIbLb1EES11_EEDaSW_SX_EUlSW_E_NS1_11comp_targetILNS1_3genE8ELNS1_11target_archE1030ELNS1_3gpuE2ELNS1_3repE0EEENS1_30default_config_static_selectorELNS0_4arch9wavefront6targetE0EEEvT1_
	.globl	_ZN7rocprim17ROCPRIM_400000_NS6detail17trampoline_kernelINS0_14default_configENS1_27scan_by_key_config_selectorIiiEEZZNS1_16scan_by_key_implILNS1_25lookback_scan_determinismE0ELb1ES3_N6thrust23THRUST_200600_302600_NS6detail15normal_iteratorINS9_10device_ptrIiEEEENSB_INSC_IjEEEESE_iNS9_4plusIvEENS9_8equal_toIvEEiEE10hipError_tPvRmT2_T3_T4_T5_mT6_T7_P12ihipStream_tbENKUlT_T0_E_clISt17integral_constantIbLb1EES11_EEDaSW_SX_EUlSW_E_NS1_11comp_targetILNS1_3genE8ELNS1_11target_archE1030ELNS1_3gpuE2ELNS1_3repE0EEENS1_30default_config_static_selectorELNS0_4arch9wavefront6targetE0EEEvT1_
	.p2align	8
	.type	_ZN7rocprim17ROCPRIM_400000_NS6detail17trampoline_kernelINS0_14default_configENS1_27scan_by_key_config_selectorIiiEEZZNS1_16scan_by_key_implILNS1_25lookback_scan_determinismE0ELb1ES3_N6thrust23THRUST_200600_302600_NS6detail15normal_iteratorINS9_10device_ptrIiEEEENSB_INSC_IjEEEESE_iNS9_4plusIvEENS9_8equal_toIvEEiEE10hipError_tPvRmT2_T3_T4_T5_mT6_T7_P12ihipStream_tbENKUlT_T0_E_clISt17integral_constantIbLb1EES11_EEDaSW_SX_EUlSW_E_NS1_11comp_targetILNS1_3genE8ELNS1_11target_archE1030ELNS1_3gpuE2ELNS1_3repE0EEENS1_30default_config_static_selectorELNS0_4arch9wavefront6targetE0EEEvT1_,@function
_ZN7rocprim17ROCPRIM_400000_NS6detail17trampoline_kernelINS0_14default_configENS1_27scan_by_key_config_selectorIiiEEZZNS1_16scan_by_key_implILNS1_25lookback_scan_determinismE0ELb1ES3_N6thrust23THRUST_200600_302600_NS6detail15normal_iteratorINS9_10device_ptrIiEEEENSB_INSC_IjEEEESE_iNS9_4plusIvEENS9_8equal_toIvEEiEE10hipError_tPvRmT2_T3_T4_T5_mT6_T7_P12ihipStream_tbENKUlT_T0_E_clISt17integral_constantIbLb1EES11_EEDaSW_SX_EUlSW_E_NS1_11comp_targetILNS1_3genE8ELNS1_11target_archE1030ELNS1_3gpuE2ELNS1_3repE0EEENS1_30default_config_static_selectorELNS0_4arch9wavefront6targetE0EEEvT1_: ; @_ZN7rocprim17ROCPRIM_400000_NS6detail17trampoline_kernelINS0_14default_configENS1_27scan_by_key_config_selectorIiiEEZZNS1_16scan_by_key_implILNS1_25lookback_scan_determinismE0ELb1ES3_N6thrust23THRUST_200600_302600_NS6detail15normal_iteratorINS9_10device_ptrIiEEEENSB_INSC_IjEEEESE_iNS9_4plusIvEENS9_8equal_toIvEEiEE10hipError_tPvRmT2_T3_T4_T5_mT6_T7_P12ihipStream_tbENKUlT_T0_E_clISt17integral_constantIbLb1EES11_EEDaSW_SX_EUlSW_E_NS1_11comp_targetILNS1_3genE8ELNS1_11target_archE1030ELNS1_3gpuE2ELNS1_3repE0EEENS1_30default_config_static_selectorELNS0_4arch9wavefront6targetE0EEEvT1_
; %bb.0:
	.section	.rodata,"a",@progbits
	.p2align	6, 0x0
	.amdhsa_kernel _ZN7rocprim17ROCPRIM_400000_NS6detail17trampoline_kernelINS0_14default_configENS1_27scan_by_key_config_selectorIiiEEZZNS1_16scan_by_key_implILNS1_25lookback_scan_determinismE0ELb1ES3_N6thrust23THRUST_200600_302600_NS6detail15normal_iteratorINS9_10device_ptrIiEEEENSB_INSC_IjEEEESE_iNS9_4plusIvEENS9_8equal_toIvEEiEE10hipError_tPvRmT2_T3_T4_T5_mT6_T7_P12ihipStream_tbENKUlT_T0_E_clISt17integral_constantIbLb1EES11_EEDaSW_SX_EUlSW_E_NS1_11comp_targetILNS1_3genE8ELNS1_11target_archE1030ELNS1_3gpuE2ELNS1_3repE0EEENS1_30default_config_static_selectorELNS0_4arch9wavefront6targetE0EEEvT1_
		.amdhsa_group_segment_fixed_size 0
		.amdhsa_private_segment_fixed_size 0
		.amdhsa_kernarg_size 112
		.amdhsa_user_sgpr_count 2
		.amdhsa_user_sgpr_dispatch_ptr 0
		.amdhsa_user_sgpr_queue_ptr 0
		.amdhsa_user_sgpr_kernarg_segment_ptr 1
		.amdhsa_user_sgpr_dispatch_id 0
		.amdhsa_user_sgpr_kernarg_preload_length 0
		.amdhsa_user_sgpr_kernarg_preload_offset 0
		.amdhsa_user_sgpr_private_segment_size 0
		.amdhsa_wavefront_size32 1
		.amdhsa_uses_dynamic_stack 0
		.amdhsa_enable_private_segment 0
		.amdhsa_system_sgpr_workgroup_id_x 1
		.amdhsa_system_sgpr_workgroup_id_y 0
		.amdhsa_system_sgpr_workgroup_id_z 0
		.amdhsa_system_sgpr_workgroup_info 0
		.amdhsa_system_vgpr_workitem_id 0
		.amdhsa_next_free_vgpr 1
		.amdhsa_next_free_sgpr 1
		.amdhsa_named_barrier_count 0
		.amdhsa_reserve_vcc 0
		.amdhsa_float_round_mode_32 0
		.amdhsa_float_round_mode_16_64 0
		.amdhsa_float_denorm_mode_32 3
		.amdhsa_float_denorm_mode_16_64 3
		.amdhsa_fp16_overflow 0
		.amdhsa_memory_ordered 1
		.amdhsa_forward_progress 1
		.amdhsa_inst_pref_size 0
		.amdhsa_round_robin_scheduling 0
		.amdhsa_exception_fp_ieee_invalid_op 0
		.amdhsa_exception_fp_denorm_src 0
		.amdhsa_exception_fp_ieee_div_zero 0
		.amdhsa_exception_fp_ieee_overflow 0
		.amdhsa_exception_fp_ieee_underflow 0
		.amdhsa_exception_fp_ieee_inexact 0
		.amdhsa_exception_int_div_zero 0
	.end_amdhsa_kernel
	.section	.text._ZN7rocprim17ROCPRIM_400000_NS6detail17trampoline_kernelINS0_14default_configENS1_27scan_by_key_config_selectorIiiEEZZNS1_16scan_by_key_implILNS1_25lookback_scan_determinismE0ELb1ES3_N6thrust23THRUST_200600_302600_NS6detail15normal_iteratorINS9_10device_ptrIiEEEENSB_INSC_IjEEEESE_iNS9_4plusIvEENS9_8equal_toIvEEiEE10hipError_tPvRmT2_T3_T4_T5_mT6_T7_P12ihipStream_tbENKUlT_T0_E_clISt17integral_constantIbLb1EES11_EEDaSW_SX_EUlSW_E_NS1_11comp_targetILNS1_3genE8ELNS1_11target_archE1030ELNS1_3gpuE2ELNS1_3repE0EEENS1_30default_config_static_selectorELNS0_4arch9wavefront6targetE0EEEvT1_,"axG",@progbits,_ZN7rocprim17ROCPRIM_400000_NS6detail17trampoline_kernelINS0_14default_configENS1_27scan_by_key_config_selectorIiiEEZZNS1_16scan_by_key_implILNS1_25lookback_scan_determinismE0ELb1ES3_N6thrust23THRUST_200600_302600_NS6detail15normal_iteratorINS9_10device_ptrIiEEEENSB_INSC_IjEEEESE_iNS9_4plusIvEENS9_8equal_toIvEEiEE10hipError_tPvRmT2_T3_T4_T5_mT6_T7_P12ihipStream_tbENKUlT_T0_E_clISt17integral_constantIbLb1EES11_EEDaSW_SX_EUlSW_E_NS1_11comp_targetILNS1_3genE8ELNS1_11target_archE1030ELNS1_3gpuE2ELNS1_3repE0EEENS1_30default_config_static_selectorELNS0_4arch9wavefront6targetE0EEEvT1_,comdat
.Lfunc_end1769:
	.size	_ZN7rocprim17ROCPRIM_400000_NS6detail17trampoline_kernelINS0_14default_configENS1_27scan_by_key_config_selectorIiiEEZZNS1_16scan_by_key_implILNS1_25lookback_scan_determinismE0ELb1ES3_N6thrust23THRUST_200600_302600_NS6detail15normal_iteratorINS9_10device_ptrIiEEEENSB_INSC_IjEEEESE_iNS9_4plusIvEENS9_8equal_toIvEEiEE10hipError_tPvRmT2_T3_T4_T5_mT6_T7_P12ihipStream_tbENKUlT_T0_E_clISt17integral_constantIbLb1EES11_EEDaSW_SX_EUlSW_E_NS1_11comp_targetILNS1_3genE8ELNS1_11target_archE1030ELNS1_3gpuE2ELNS1_3repE0EEENS1_30default_config_static_selectorELNS0_4arch9wavefront6targetE0EEEvT1_, .Lfunc_end1769-_ZN7rocprim17ROCPRIM_400000_NS6detail17trampoline_kernelINS0_14default_configENS1_27scan_by_key_config_selectorIiiEEZZNS1_16scan_by_key_implILNS1_25lookback_scan_determinismE0ELb1ES3_N6thrust23THRUST_200600_302600_NS6detail15normal_iteratorINS9_10device_ptrIiEEEENSB_INSC_IjEEEESE_iNS9_4plusIvEENS9_8equal_toIvEEiEE10hipError_tPvRmT2_T3_T4_T5_mT6_T7_P12ihipStream_tbENKUlT_T0_E_clISt17integral_constantIbLb1EES11_EEDaSW_SX_EUlSW_E_NS1_11comp_targetILNS1_3genE8ELNS1_11target_archE1030ELNS1_3gpuE2ELNS1_3repE0EEENS1_30default_config_static_selectorELNS0_4arch9wavefront6targetE0EEEvT1_
                                        ; -- End function
	.set _ZN7rocprim17ROCPRIM_400000_NS6detail17trampoline_kernelINS0_14default_configENS1_27scan_by_key_config_selectorIiiEEZZNS1_16scan_by_key_implILNS1_25lookback_scan_determinismE0ELb1ES3_N6thrust23THRUST_200600_302600_NS6detail15normal_iteratorINS9_10device_ptrIiEEEENSB_INSC_IjEEEESE_iNS9_4plusIvEENS9_8equal_toIvEEiEE10hipError_tPvRmT2_T3_T4_T5_mT6_T7_P12ihipStream_tbENKUlT_T0_E_clISt17integral_constantIbLb1EES11_EEDaSW_SX_EUlSW_E_NS1_11comp_targetILNS1_3genE8ELNS1_11target_archE1030ELNS1_3gpuE2ELNS1_3repE0EEENS1_30default_config_static_selectorELNS0_4arch9wavefront6targetE0EEEvT1_.num_vgpr, 0
	.set _ZN7rocprim17ROCPRIM_400000_NS6detail17trampoline_kernelINS0_14default_configENS1_27scan_by_key_config_selectorIiiEEZZNS1_16scan_by_key_implILNS1_25lookback_scan_determinismE0ELb1ES3_N6thrust23THRUST_200600_302600_NS6detail15normal_iteratorINS9_10device_ptrIiEEEENSB_INSC_IjEEEESE_iNS9_4plusIvEENS9_8equal_toIvEEiEE10hipError_tPvRmT2_T3_T4_T5_mT6_T7_P12ihipStream_tbENKUlT_T0_E_clISt17integral_constantIbLb1EES11_EEDaSW_SX_EUlSW_E_NS1_11comp_targetILNS1_3genE8ELNS1_11target_archE1030ELNS1_3gpuE2ELNS1_3repE0EEENS1_30default_config_static_selectorELNS0_4arch9wavefront6targetE0EEEvT1_.num_agpr, 0
	.set _ZN7rocprim17ROCPRIM_400000_NS6detail17trampoline_kernelINS0_14default_configENS1_27scan_by_key_config_selectorIiiEEZZNS1_16scan_by_key_implILNS1_25lookback_scan_determinismE0ELb1ES3_N6thrust23THRUST_200600_302600_NS6detail15normal_iteratorINS9_10device_ptrIiEEEENSB_INSC_IjEEEESE_iNS9_4plusIvEENS9_8equal_toIvEEiEE10hipError_tPvRmT2_T3_T4_T5_mT6_T7_P12ihipStream_tbENKUlT_T0_E_clISt17integral_constantIbLb1EES11_EEDaSW_SX_EUlSW_E_NS1_11comp_targetILNS1_3genE8ELNS1_11target_archE1030ELNS1_3gpuE2ELNS1_3repE0EEENS1_30default_config_static_selectorELNS0_4arch9wavefront6targetE0EEEvT1_.numbered_sgpr, 0
	.set _ZN7rocprim17ROCPRIM_400000_NS6detail17trampoline_kernelINS0_14default_configENS1_27scan_by_key_config_selectorIiiEEZZNS1_16scan_by_key_implILNS1_25lookback_scan_determinismE0ELb1ES3_N6thrust23THRUST_200600_302600_NS6detail15normal_iteratorINS9_10device_ptrIiEEEENSB_INSC_IjEEEESE_iNS9_4plusIvEENS9_8equal_toIvEEiEE10hipError_tPvRmT2_T3_T4_T5_mT6_T7_P12ihipStream_tbENKUlT_T0_E_clISt17integral_constantIbLb1EES11_EEDaSW_SX_EUlSW_E_NS1_11comp_targetILNS1_3genE8ELNS1_11target_archE1030ELNS1_3gpuE2ELNS1_3repE0EEENS1_30default_config_static_selectorELNS0_4arch9wavefront6targetE0EEEvT1_.num_named_barrier, 0
	.set _ZN7rocprim17ROCPRIM_400000_NS6detail17trampoline_kernelINS0_14default_configENS1_27scan_by_key_config_selectorIiiEEZZNS1_16scan_by_key_implILNS1_25lookback_scan_determinismE0ELb1ES3_N6thrust23THRUST_200600_302600_NS6detail15normal_iteratorINS9_10device_ptrIiEEEENSB_INSC_IjEEEESE_iNS9_4plusIvEENS9_8equal_toIvEEiEE10hipError_tPvRmT2_T3_T4_T5_mT6_T7_P12ihipStream_tbENKUlT_T0_E_clISt17integral_constantIbLb1EES11_EEDaSW_SX_EUlSW_E_NS1_11comp_targetILNS1_3genE8ELNS1_11target_archE1030ELNS1_3gpuE2ELNS1_3repE0EEENS1_30default_config_static_selectorELNS0_4arch9wavefront6targetE0EEEvT1_.private_seg_size, 0
	.set _ZN7rocprim17ROCPRIM_400000_NS6detail17trampoline_kernelINS0_14default_configENS1_27scan_by_key_config_selectorIiiEEZZNS1_16scan_by_key_implILNS1_25lookback_scan_determinismE0ELb1ES3_N6thrust23THRUST_200600_302600_NS6detail15normal_iteratorINS9_10device_ptrIiEEEENSB_INSC_IjEEEESE_iNS9_4plusIvEENS9_8equal_toIvEEiEE10hipError_tPvRmT2_T3_T4_T5_mT6_T7_P12ihipStream_tbENKUlT_T0_E_clISt17integral_constantIbLb1EES11_EEDaSW_SX_EUlSW_E_NS1_11comp_targetILNS1_3genE8ELNS1_11target_archE1030ELNS1_3gpuE2ELNS1_3repE0EEENS1_30default_config_static_selectorELNS0_4arch9wavefront6targetE0EEEvT1_.uses_vcc, 0
	.set _ZN7rocprim17ROCPRIM_400000_NS6detail17trampoline_kernelINS0_14default_configENS1_27scan_by_key_config_selectorIiiEEZZNS1_16scan_by_key_implILNS1_25lookback_scan_determinismE0ELb1ES3_N6thrust23THRUST_200600_302600_NS6detail15normal_iteratorINS9_10device_ptrIiEEEENSB_INSC_IjEEEESE_iNS9_4plusIvEENS9_8equal_toIvEEiEE10hipError_tPvRmT2_T3_T4_T5_mT6_T7_P12ihipStream_tbENKUlT_T0_E_clISt17integral_constantIbLb1EES11_EEDaSW_SX_EUlSW_E_NS1_11comp_targetILNS1_3genE8ELNS1_11target_archE1030ELNS1_3gpuE2ELNS1_3repE0EEENS1_30default_config_static_selectorELNS0_4arch9wavefront6targetE0EEEvT1_.uses_flat_scratch, 0
	.set _ZN7rocprim17ROCPRIM_400000_NS6detail17trampoline_kernelINS0_14default_configENS1_27scan_by_key_config_selectorIiiEEZZNS1_16scan_by_key_implILNS1_25lookback_scan_determinismE0ELb1ES3_N6thrust23THRUST_200600_302600_NS6detail15normal_iteratorINS9_10device_ptrIiEEEENSB_INSC_IjEEEESE_iNS9_4plusIvEENS9_8equal_toIvEEiEE10hipError_tPvRmT2_T3_T4_T5_mT6_T7_P12ihipStream_tbENKUlT_T0_E_clISt17integral_constantIbLb1EES11_EEDaSW_SX_EUlSW_E_NS1_11comp_targetILNS1_3genE8ELNS1_11target_archE1030ELNS1_3gpuE2ELNS1_3repE0EEENS1_30default_config_static_selectorELNS0_4arch9wavefront6targetE0EEEvT1_.has_dyn_sized_stack, 0
	.set _ZN7rocprim17ROCPRIM_400000_NS6detail17trampoline_kernelINS0_14default_configENS1_27scan_by_key_config_selectorIiiEEZZNS1_16scan_by_key_implILNS1_25lookback_scan_determinismE0ELb1ES3_N6thrust23THRUST_200600_302600_NS6detail15normal_iteratorINS9_10device_ptrIiEEEENSB_INSC_IjEEEESE_iNS9_4plusIvEENS9_8equal_toIvEEiEE10hipError_tPvRmT2_T3_T4_T5_mT6_T7_P12ihipStream_tbENKUlT_T0_E_clISt17integral_constantIbLb1EES11_EEDaSW_SX_EUlSW_E_NS1_11comp_targetILNS1_3genE8ELNS1_11target_archE1030ELNS1_3gpuE2ELNS1_3repE0EEENS1_30default_config_static_selectorELNS0_4arch9wavefront6targetE0EEEvT1_.has_recursion, 0
	.set _ZN7rocprim17ROCPRIM_400000_NS6detail17trampoline_kernelINS0_14default_configENS1_27scan_by_key_config_selectorIiiEEZZNS1_16scan_by_key_implILNS1_25lookback_scan_determinismE0ELb1ES3_N6thrust23THRUST_200600_302600_NS6detail15normal_iteratorINS9_10device_ptrIiEEEENSB_INSC_IjEEEESE_iNS9_4plusIvEENS9_8equal_toIvEEiEE10hipError_tPvRmT2_T3_T4_T5_mT6_T7_P12ihipStream_tbENKUlT_T0_E_clISt17integral_constantIbLb1EES11_EEDaSW_SX_EUlSW_E_NS1_11comp_targetILNS1_3genE8ELNS1_11target_archE1030ELNS1_3gpuE2ELNS1_3repE0EEENS1_30default_config_static_selectorELNS0_4arch9wavefront6targetE0EEEvT1_.has_indirect_call, 0
	.section	.AMDGPU.csdata,"",@progbits
; Kernel info:
; codeLenInByte = 0
; TotalNumSgprs: 0
; NumVgprs: 0
; ScratchSize: 0
; MemoryBound: 0
; FloatMode: 240
; IeeeMode: 1
; LDSByteSize: 0 bytes/workgroup (compile time only)
; SGPRBlocks: 0
; VGPRBlocks: 0
; NumSGPRsForWavesPerEU: 1
; NumVGPRsForWavesPerEU: 1
; NamedBarCnt: 0
; Occupancy: 16
; WaveLimiterHint : 0
; COMPUTE_PGM_RSRC2:SCRATCH_EN: 0
; COMPUTE_PGM_RSRC2:USER_SGPR: 2
; COMPUTE_PGM_RSRC2:TRAP_HANDLER: 0
; COMPUTE_PGM_RSRC2:TGID_X_EN: 1
; COMPUTE_PGM_RSRC2:TGID_Y_EN: 0
; COMPUTE_PGM_RSRC2:TGID_Z_EN: 0
; COMPUTE_PGM_RSRC2:TIDIG_COMP_CNT: 0
	.section	.text._ZN7rocprim17ROCPRIM_400000_NS6detail17trampoline_kernelINS0_14default_configENS1_27scan_by_key_config_selectorIiiEEZZNS1_16scan_by_key_implILNS1_25lookback_scan_determinismE0ELb1ES3_N6thrust23THRUST_200600_302600_NS6detail15normal_iteratorINS9_10device_ptrIiEEEENSB_INSC_IjEEEESE_iNS9_4plusIvEENS9_8equal_toIvEEiEE10hipError_tPvRmT2_T3_T4_T5_mT6_T7_P12ihipStream_tbENKUlT_T0_E_clISt17integral_constantIbLb1EES10_IbLb0EEEEDaSW_SX_EUlSW_E_NS1_11comp_targetILNS1_3genE0ELNS1_11target_archE4294967295ELNS1_3gpuE0ELNS1_3repE0EEENS1_30default_config_static_selectorELNS0_4arch9wavefront6targetE0EEEvT1_,"axG",@progbits,_ZN7rocprim17ROCPRIM_400000_NS6detail17trampoline_kernelINS0_14default_configENS1_27scan_by_key_config_selectorIiiEEZZNS1_16scan_by_key_implILNS1_25lookback_scan_determinismE0ELb1ES3_N6thrust23THRUST_200600_302600_NS6detail15normal_iteratorINS9_10device_ptrIiEEEENSB_INSC_IjEEEESE_iNS9_4plusIvEENS9_8equal_toIvEEiEE10hipError_tPvRmT2_T3_T4_T5_mT6_T7_P12ihipStream_tbENKUlT_T0_E_clISt17integral_constantIbLb1EES10_IbLb0EEEEDaSW_SX_EUlSW_E_NS1_11comp_targetILNS1_3genE0ELNS1_11target_archE4294967295ELNS1_3gpuE0ELNS1_3repE0EEENS1_30default_config_static_selectorELNS0_4arch9wavefront6targetE0EEEvT1_,comdat
	.protected	_ZN7rocprim17ROCPRIM_400000_NS6detail17trampoline_kernelINS0_14default_configENS1_27scan_by_key_config_selectorIiiEEZZNS1_16scan_by_key_implILNS1_25lookback_scan_determinismE0ELb1ES3_N6thrust23THRUST_200600_302600_NS6detail15normal_iteratorINS9_10device_ptrIiEEEENSB_INSC_IjEEEESE_iNS9_4plusIvEENS9_8equal_toIvEEiEE10hipError_tPvRmT2_T3_T4_T5_mT6_T7_P12ihipStream_tbENKUlT_T0_E_clISt17integral_constantIbLb1EES10_IbLb0EEEEDaSW_SX_EUlSW_E_NS1_11comp_targetILNS1_3genE0ELNS1_11target_archE4294967295ELNS1_3gpuE0ELNS1_3repE0EEENS1_30default_config_static_selectorELNS0_4arch9wavefront6targetE0EEEvT1_ ; -- Begin function _ZN7rocprim17ROCPRIM_400000_NS6detail17trampoline_kernelINS0_14default_configENS1_27scan_by_key_config_selectorIiiEEZZNS1_16scan_by_key_implILNS1_25lookback_scan_determinismE0ELb1ES3_N6thrust23THRUST_200600_302600_NS6detail15normal_iteratorINS9_10device_ptrIiEEEENSB_INSC_IjEEEESE_iNS9_4plusIvEENS9_8equal_toIvEEiEE10hipError_tPvRmT2_T3_T4_T5_mT6_T7_P12ihipStream_tbENKUlT_T0_E_clISt17integral_constantIbLb1EES10_IbLb0EEEEDaSW_SX_EUlSW_E_NS1_11comp_targetILNS1_3genE0ELNS1_11target_archE4294967295ELNS1_3gpuE0ELNS1_3repE0EEENS1_30default_config_static_selectorELNS0_4arch9wavefront6targetE0EEEvT1_
	.globl	_ZN7rocprim17ROCPRIM_400000_NS6detail17trampoline_kernelINS0_14default_configENS1_27scan_by_key_config_selectorIiiEEZZNS1_16scan_by_key_implILNS1_25lookback_scan_determinismE0ELb1ES3_N6thrust23THRUST_200600_302600_NS6detail15normal_iteratorINS9_10device_ptrIiEEEENSB_INSC_IjEEEESE_iNS9_4plusIvEENS9_8equal_toIvEEiEE10hipError_tPvRmT2_T3_T4_T5_mT6_T7_P12ihipStream_tbENKUlT_T0_E_clISt17integral_constantIbLb1EES10_IbLb0EEEEDaSW_SX_EUlSW_E_NS1_11comp_targetILNS1_3genE0ELNS1_11target_archE4294967295ELNS1_3gpuE0ELNS1_3repE0EEENS1_30default_config_static_selectorELNS0_4arch9wavefront6targetE0EEEvT1_
	.p2align	8
	.type	_ZN7rocprim17ROCPRIM_400000_NS6detail17trampoline_kernelINS0_14default_configENS1_27scan_by_key_config_selectorIiiEEZZNS1_16scan_by_key_implILNS1_25lookback_scan_determinismE0ELb1ES3_N6thrust23THRUST_200600_302600_NS6detail15normal_iteratorINS9_10device_ptrIiEEEENSB_INSC_IjEEEESE_iNS9_4plusIvEENS9_8equal_toIvEEiEE10hipError_tPvRmT2_T3_T4_T5_mT6_T7_P12ihipStream_tbENKUlT_T0_E_clISt17integral_constantIbLb1EES10_IbLb0EEEEDaSW_SX_EUlSW_E_NS1_11comp_targetILNS1_3genE0ELNS1_11target_archE4294967295ELNS1_3gpuE0ELNS1_3repE0EEENS1_30default_config_static_selectorELNS0_4arch9wavefront6targetE0EEEvT1_,@function
_ZN7rocprim17ROCPRIM_400000_NS6detail17trampoline_kernelINS0_14default_configENS1_27scan_by_key_config_selectorIiiEEZZNS1_16scan_by_key_implILNS1_25lookback_scan_determinismE0ELb1ES3_N6thrust23THRUST_200600_302600_NS6detail15normal_iteratorINS9_10device_ptrIiEEEENSB_INSC_IjEEEESE_iNS9_4plusIvEENS9_8equal_toIvEEiEE10hipError_tPvRmT2_T3_T4_T5_mT6_T7_P12ihipStream_tbENKUlT_T0_E_clISt17integral_constantIbLb1EES10_IbLb0EEEEDaSW_SX_EUlSW_E_NS1_11comp_targetILNS1_3genE0ELNS1_11target_archE4294967295ELNS1_3gpuE0ELNS1_3repE0EEENS1_30default_config_static_selectorELNS0_4arch9wavefront6targetE0EEEvT1_: ; @_ZN7rocprim17ROCPRIM_400000_NS6detail17trampoline_kernelINS0_14default_configENS1_27scan_by_key_config_selectorIiiEEZZNS1_16scan_by_key_implILNS1_25lookback_scan_determinismE0ELb1ES3_N6thrust23THRUST_200600_302600_NS6detail15normal_iteratorINS9_10device_ptrIiEEEENSB_INSC_IjEEEESE_iNS9_4plusIvEENS9_8equal_toIvEEiEE10hipError_tPvRmT2_T3_T4_T5_mT6_T7_P12ihipStream_tbENKUlT_T0_E_clISt17integral_constantIbLb1EES10_IbLb0EEEEDaSW_SX_EUlSW_E_NS1_11comp_targetILNS1_3genE0ELNS1_11target_archE4294967295ELNS1_3gpuE0ELNS1_3repE0EEENS1_30default_config_static_selectorELNS0_4arch9wavefront6targetE0EEEvT1_
; %bb.0:
	s_endpgm
	.section	.rodata,"a",@progbits
	.p2align	6, 0x0
	.amdhsa_kernel _ZN7rocprim17ROCPRIM_400000_NS6detail17trampoline_kernelINS0_14default_configENS1_27scan_by_key_config_selectorIiiEEZZNS1_16scan_by_key_implILNS1_25lookback_scan_determinismE0ELb1ES3_N6thrust23THRUST_200600_302600_NS6detail15normal_iteratorINS9_10device_ptrIiEEEENSB_INSC_IjEEEESE_iNS9_4plusIvEENS9_8equal_toIvEEiEE10hipError_tPvRmT2_T3_T4_T5_mT6_T7_P12ihipStream_tbENKUlT_T0_E_clISt17integral_constantIbLb1EES10_IbLb0EEEEDaSW_SX_EUlSW_E_NS1_11comp_targetILNS1_3genE0ELNS1_11target_archE4294967295ELNS1_3gpuE0ELNS1_3repE0EEENS1_30default_config_static_selectorELNS0_4arch9wavefront6targetE0EEEvT1_
		.amdhsa_group_segment_fixed_size 0
		.amdhsa_private_segment_fixed_size 0
		.amdhsa_kernarg_size 112
		.amdhsa_user_sgpr_count 2
		.amdhsa_user_sgpr_dispatch_ptr 0
		.amdhsa_user_sgpr_queue_ptr 0
		.amdhsa_user_sgpr_kernarg_segment_ptr 1
		.amdhsa_user_sgpr_dispatch_id 0
		.amdhsa_user_sgpr_kernarg_preload_length 0
		.amdhsa_user_sgpr_kernarg_preload_offset 0
		.amdhsa_user_sgpr_private_segment_size 0
		.amdhsa_wavefront_size32 1
		.amdhsa_uses_dynamic_stack 0
		.amdhsa_enable_private_segment 0
		.amdhsa_system_sgpr_workgroup_id_x 1
		.amdhsa_system_sgpr_workgroup_id_y 0
		.amdhsa_system_sgpr_workgroup_id_z 0
		.amdhsa_system_sgpr_workgroup_info 0
		.amdhsa_system_vgpr_workitem_id 0
		.amdhsa_next_free_vgpr 1
		.amdhsa_next_free_sgpr 1
		.amdhsa_named_barrier_count 0
		.amdhsa_reserve_vcc 0
		.amdhsa_float_round_mode_32 0
		.amdhsa_float_round_mode_16_64 0
		.amdhsa_float_denorm_mode_32 3
		.amdhsa_float_denorm_mode_16_64 3
		.amdhsa_fp16_overflow 0
		.amdhsa_memory_ordered 1
		.amdhsa_forward_progress 1
		.amdhsa_inst_pref_size 1
		.amdhsa_round_robin_scheduling 0
		.amdhsa_exception_fp_ieee_invalid_op 0
		.amdhsa_exception_fp_denorm_src 0
		.amdhsa_exception_fp_ieee_div_zero 0
		.amdhsa_exception_fp_ieee_overflow 0
		.amdhsa_exception_fp_ieee_underflow 0
		.amdhsa_exception_fp_ieee_inexact 0
		.amdhsa_exception_int_div_zero 0
	.end_amdhsa_kernel
	.section	.text._ZN7rocprim17ROCPRIM_400000_NS6detail17trampoline_kernelINS0_14default_configENS1_27scan_by_key_config_selectorIiiEEZZNS1_16scan_by_key_implILNS1_25lookback_scan_determinismE0ELb1ES3_N6thrust23THRUST_200600_302600_NS6detail15normal_iteratorINS9_10device_ptrIiEEEENSB_INSC_IjEEEESE_iNS9_4plusIvEENS9_8equal_toIvEEiEE10hipError_tPvRmT2_T3_T4_T5_mT6_T7_P12ihipStream_tbENKUlT_T0_E_clISt17integral_constantIbLb1EES10_IbLb0EEEEDaSW_SX_EUlSW_E_NS1_11comp_targetILNS1_3genE0ELNS1_11target_archE4294967295ELNS1_3gpuE0ELNS1_3repE0EEENS1_30default_config_static_selectorELNS0_4arch9wavefront6targetE0EEEvT1_,"axG",@progbits,_ZN7rocprim17ROCPRIM_400000_NS6detail17trampoline_kernelINS0_14default_configENS1_27scan_by_key_config_selectorIiiEEZZNS1_16scan_by_key_implILNS1_25lookback_scan_determinismE0ELb1ES3_N6thrust23THRUST_200600_302600_NS6detail15normal_iteratorINS9_10device_ptrIiEEEENSB_INSC_IjEEEESE_iNS9_4plusIvEENS9_8equal_toIvEEiEE10hipError_tPvRmT2_T3_T4_T5_mT6_T7_P12ihipStream_tbENKUlT_T0_E_clISt17integral_constantIbLb1EES10_IbLb0EEEEDaSW_SX_EUlSW_E_NS1_11comp_targetILNS1_3genE0ELNS1_11target_archE4294967295ELNS1_3gpuE0ELNS1_3repE0EEENS1_30default_config_static_selectorELNS0_4arch9wavefront6targetE0EEEvT1_,comdat
.Lfunc_end1770:
	.size	_ZN7rocprim17ROCPRIM_400000_NS6detail17trampoline_kernelINS0_14default_configENS1_27scan_by_key_config_selectorIiiEEZZNS1_16scan_by_key_implILNS1_25lookback_scan_determinismE0ELb1ES3_N6thrust23THRUST_200600_302600_NS6detail15normal_iteratorINS9_10device_ptrIiEEEENSB_INSC_IjEEEESE_iNS9_4plusIvEENS9_8equal_toIvEEiEE10hipError_tPvRmT2_T3_T4_T5_mT6_T7_P12ihipStream_tbENKUlT_T0_E_clISt17integral_constantIbLb1EES10_IbLb0EEEEDaSW_SX_EUlSW_E_NS1_11comp_targetILNS1_3genE0ELNS1_11target_archE4294967295ELNS1_3gpuE0ELNS1_3repE0EEENS1_30default_config_static_selectorELNS0_4arch9wavefront6targetE0EEEvT1_, .Lfunc_end1770-_ZN7rocprim17ROCPRIM_400000_NS6detail17trampoline_kernelINS0_14default_configENS1_27scan_by_key_config_selectorIiiEEZZNS1_16scan_by_key_implILNS1_25lookback_scan_determinismE0ELb1ES3_N6thrust23THRUST_200600_302600_NS6detail15normal_iteratorINS9_10device_ptrIiEEEENSB_INSC_IjEEEESE_iNS9_4plusIvEENS9_8equal_toIvEEiEE10hipError_tPvRmT2_T3_T4_T5_mT6_T7_P12ihipStream_tbENKUlT_T0_E_clISt17integral_constantIbLb1EES10_IbLb0EEEEDaSW_SX_EUlSW_E_NS1_11comp_targetILNS1_3genE0ELNS1_11target_archE4294967295ELNS1_3gpuE0ELNS1_3repE0EEENS1_30default_config_static_selectorELNS0_4arch9wavefront6targetE0EEEvT1_
                                        ; -- End function
	.set _ZN7rocprim17ROCPRIM_400000_NS6detail17trampoline_kernelINS0_14default_configENS1_27scan_by_key_config_selectorIiiEEZZNS1_16scan_by_key_implILNS1_25lookback_scan_determinismE0ELb1ES3_N6thrust23THRUST_200600_302600_NS6detail15normal_iteratorINS9_10device_ptrIiEEEENSB_INSC_IjEEEESE_iNS9_4plusIvEENS9_8equal_toIvEEiEE10hipError_tPvRmT2_T3_T4_T5_mT6_T7_P12ihipStream_tbENKUlT_T0_E_clISt17integral_constantIbLb1EES10_IbLb0EEEEDaSW_SX_EUlSW_E_NS1_11comp_targetILNS1_3genE0ELNS1_11target_archE4294967295ELNS1_3gpuE0ELNS1_3repE0EEENS1_30default_config_static_selectorELNS0_4arch9wavefront6targetE0EEEvT1_.num_vgpr, 0
	.set _ZN7rocprim17ROCPRIM_400000_NS6detail17trampoline_kernelINS0_14default_configENS1_27scan_by_key_config_selectorIiiEEZZNS1_16scan_by_key_implILNS1_25lookback_scan_determinismE0ELb1ES3_N6thrust23THRUST_200600_302600_NS6detail15normal_iteratorINS9_10device_ptrIiEEEENSB_INSC_IjEEEESE_iNS9_4plusIvEENS9_8equal_toIvEEiEE10hipError_tPvRmT2_T3_T4_T5_mT6_T7_P12ihipStream_tbENKUlT_T0_E_clISt17integral_constantIbLb1EES10_IbLb0EEEEDaSW_SX_EUlSW_E_NS1_11comp_targetILNS1_3genE0ELNS1_11target_archE4294967295ELNS1_3gpuE0ELNS1_3repE0EEENS1_30default_config_static_selectorELNS0_4arch9wavefront6targetE0EEEvT1_.num_agpr, 0
	.set _ZN7rocprim17ROCPRIM_400000_NS6detail17trampoline_kernelINS0_14default_configENS1_27scan_by_key_config_selectorIiiEEZZNS1_16scan_by_key_implILNS1_25lookback_scan_determinismE0ELb1ES3_N6thrust23THRUST_200600_302600_NS6detail15normal_iteratorINS9_10device_ptrIiEEEENSB_INSC_IjEEEESE_iNS9_4plusIvEENS9_8equal_toIvEEiEE10hipError_tPvRmT2_T3_T4_T5_mT6_T7_P12ihipStream_tbENKUlT_T0_E_clISt17integral_constantIbLb1EES10_IbLb0EEEEDaSW_SX_EUlSW_E_NS1_11comp_targetILNS1_3genE0ELNS1_11target_archE4294967295ELNS1_3gpuE0ELNS1_3repE0EEENS1_30default_config_static_selectorELNS0_4arch9wavefront6targetE0EEEvT1_.numbered_sgpr, 0
	.set _ZN7rocprim17ROCPRIM_400000_NS6detail17trampoline_kernelINS0_14default_configENS1_27scan_by_key_config_selectorIiiEEZZNS1_16scan_by_key_implILNS1_25lookback_scan_determinismE0ELb1ES3_N6thrust23THRUST_200600_302600_NS6detail15normal_iteratorINS9_10device_ptrIiEEEENSB_INSC_IjEEEESE_iNS9_4plusIvEENS9_8equal_toIvEEiEE10hipError_tPvRmT2_T3_T4_T5_mT6_T7_P12ihipStream_tbENKUlT_T0_E_clISt17integral_constantIbLb1EES10_IbLb0EEEEDaSW_SX_EUlSW_E_NS1_11comp_targetILNS1_3genE0ELNS1_11target_archE4294967295ELNS1_3gpuE0ELNS1_3repE0EEENS1_30default_config_static_selectorELNS0_4arch9wavefront6targetE0EEEvT1_.num_named_barrier, 0
	.set _ZN7rocprim17ROCPRIM_400000_NS6detail17trampoline_kernelINS0_14default_configENS1_27scan_by_key_config_selectorIiiEEZZNS1_16scan_by_key_implILNS1_25lookback_scan_determinismE0ELb1ES3_N6thrust23THRUST_200600_302600_NS6detail15normal_iteratorINS9_10device_ptrIiEEEENSB_INSC_IjEEEESE_iNS9_4plusIvEENS9_8equal_toIvEEiEE10hipError_tPvRmT2_T3_T4_T5_mT6_T7_P12ihipStream_tbENKUlT_T0_E_clISt17integral_constantIbLb1EES10_IbLb0EEEEDaSW_SX_EUlSW_E_NS1_11comp_targetILNS1_3genE0ELNS1_11target_archE4294967295ELNS1_3gpuE0ELNS1_3repE0EEENS1_30default_config_static_selectorELNS0_4arch9wavefront6targetE0EEEvT1_.private_seg_size, 0
	.set _ZN7rocprim17ROCPRIM_400000_NS6detail17trampoline_kernelINS0_14default_configENS1_27scan_by_key_config_selectorIiiEEZZNS1_16scan_by_key_implILNS1_25lookback_scan_determinismE0ELb1ES3_N6thrust23THRUST_200600_302600_NS6detail15normal_iteratorINS9_10device_ptrIiEEEENSB_INSC_IjEEEESE_iNS9_4plusIvEENS9_8equal_toIvEEiEE10hipError_tPvRmT2_T3_T4_T5_mT6_T7_P12ihipStream_tbENKUlT_T0_E_clISt17integral_constantIbLb1EES10_IbLb0EEEEDaSW_SX_EUlSW_E_NS1_11comp_targetILNS1_3genE0ELNS1_11target_archE4294967295ELNS1_3gpuE0ELNS1_3repE0EEENS1_30default_config_static_selectorELNS0_4arch9wavefront6targetE0EEEvT1_.uses_vcc, 0
	.set _ZN7rocprim17ROCPRIM_400000_NS6detail17trampoline_kernelINS0_14default_configENS1_27scan_by_key_config_selectorIiiEEZZNS1_16scan_by_key_implILNS1_25lookback_scan_determinismE0ELb1ES3_N6thrust23THRUST_200600_302600_NS6detail15normal_iteratorINS9_10device_ptrIiEEEENSB_INSC_IjEEEESE_iNS9_4plusIvEENS9_8equal_toIvEEiEE10hipError_tPvRmT2_T3_T4_T5_mT6_T7_P12ihipStream_tbENKUlT_T0_E_clISt17integral_constantIbLb1EES10_IbLb0EEEEDaSW_SX_EUlSW_E_NS1_11comp_targetILNS1_3genE0ELNS1_11target_archE4294967295ELNS1_3gpuE0ELNS1_3repE0EEENS1_30default_config_static_selectorELNS0_4arch9wavefront6targetE0EEEvT1_.uses_flat_scratch, 0
	.set _ZN7rocprim17ROCPRIM_400000_NS6detail17trampoline_kernelINS0_14default_configENS1_27scan_by_key_config_selectorIiiEEZZNS1_16scan_by_key_implILNS1_25lookback_scan_determinismE0ELb1ES3_N6thrust23THRUST_200600_302600_NS6detail15normal_iteratorINS9_10device_ptrIiEEEENSB_INSC_IjEEEESE_iNS9_4plusIvEENS9_8equal_toIvEEiEE10hipError_tPvRmT2_T3_T4_T5_mT6_T7_P12ihipStream_tbENKUlT_T0_E_clISt17integral_constantIbLb1EES10_IbLb0EEEEDaSW_SX_EUlSW_E_NS1_11comp_targetILNS1_3genE0ELNS1_11target_archE4294967295ELNS1_3gpuE0ELNS1_3repE0EEENS1_30default_config_static_selectorELNS0_4arch9wavefront6targetE0EEEvT1_.has_dyn_sized_stack, 0
	.set _ZN7rocprim17ROCPRIM_400000_NS6detail17trampoline_kernelINS0_14default_configENS1_27scan_by_key_config_selectorIiiEEZZNS1_16scan_by_key_implILNS1_25lookback_scan_determinismE0ELb1ES3_N6thrust23THRUST_200600_302600_NS6detail15normal_iteratorINS9_10device_ptrIiEEEENSB_INSC_IjEEEESE_iNS9_4plusIvEENS9_8equal_toIvEEiEE10hipError_tPvRmT2_T3_T4_T5_mT6_T7_P12ihipStream_tbENKUlT_T0_E_clISt17integral_constantIbLb1EES10_IbLb0EEEEDaSW_SX_EUlSW_E_NS1_11comp_targetILNS1_3genE0ELNS1_11target_archE4294967295ELNS1_3gpuE0ELNS1_3repE0EEENS1_30default_config_static_selectorELNS0_4arch9wavefront6targetE0EEEvT1_.has_recursion, 0
	.set _ZN7rocprim17ROCPRIM_400000_NS6detail17trampoline_kernelINS0_14default_configENS1_27scan_by_key_config_selectorIiiEEZZNS1_16scan_by_key_implILNS1_25lookback_scan_determinismE0ELb1ES3_N6thrust23THRUST_200600_302600_NS6detail15normal_iteratorINS9_10device_ptrIiEEEENSB_INSC_IjEEEESE_iNS9_4plusIvEENS9_8equal_toIvEEiEE10hipError_tPvRmT2_T3_T4_T5_mT6_T7_P12ihipStream_tbENKUlT_T0_E_clISt17integral_constantIbLb1EES10_IbLb0EEEEDaSW_SX_EUlSW_E_NS1_11comp_targetILNS1_3genE0ELNS1_11target_archE4294967295ELNS1_3gpuE0ELNS1_3repE0EEENS1_30default_config_static_selectorELNS0_4arch9wavefront6targetE0EEEvT1_.has_indirect_call, 0
	.section	.AMDGPU.csdata,"",@progbits
; Kernel info:
; codeLenInByte = 4
; TotalNumSgprs: 0
; NumVgprs: 0
; ScratchSize: 0
; MemoryBound: 0
; FloatMode: 240
; IeeeMode: 1
; LDSByteSize: 0 bytes/workgroup (compile time only)
; SGPRBlocks: 0
; VGPRBlocks: 0
; NumSGPRsForWavesPerEU: 1
; NumVGPRsForWavesPerEU: 1
; NamedBarCnt: 0
; Occupancy: 16
; WaveLimiterHint : 0
; COMPUTE_PGM_RSRC2:SCRATCH_EN: 0
; COMPUTE_PGM_RSRC2:USER_SGPR: 2
; COMPUTE_PGM_RSRC2:TRAP_HANDLER: 0
; COMPUTE_PGM_RSRC2:TGID_X_EN: 1
; COMPUTE_PGM_RSRC2:TGID_Y_EN: 0
; COMPUTE_PGM_RSRC2:TGID_Z_EN: 0
; COMPUTE_PGM_RSRC2:TIDIG_COMP_CNT: 0
	.section	.text._ZN7rocprim17ROCPRIM_400000_NS6detail17trampoline_kernelINS0_14default_configENS1_27scan_by_key_config_selectorIiiEEZZNS1_16scan_by_key_implILNS1_25lookback_scan_determinismE0ELb1ES3_N6thrust23THRUST_200600_302600_NS6detail15normal_iteratorINS9_10device_ptrIiEEEENSB_INSC_IjEEEESE_iNS9_4plusIvEENS9_8equal_toIvEEiEE10hipError_tPvRmT2_T3_T4_T5_mT6_T7_P12ihipStream_tbENKUlT_T0_E_clISt17integral_constantIbLb1EES10_IbLb0EEEEDaSW_SX_EUlSW_E_NS1_11comp_targetILNS1_3genE10ELNS1_11target_archE1201ELNS1_3gpuE5ELNS1_3repE0EEENS1_30default_config_static_selectorELNS0_4arch9wavefront6targetE0EEEvT1_,"axG",@progbits,_ZN7rocprim17ROCPRIM_400000_NS6detail17trampoline_kernelINS0_14default_configENS1_27scan_by_key_config_selectorIiiEEZZNS1_16scan_by_key_implILNS1_25lookback_scan_determinismE0ELb1ES3_N6thrust23THRUST_200600_302600_NS6detail15normal_iteratorINS9_10device_ptrIiEEEENSB_INSC_IjEEEESE_iNS9_4plusIvEENS9_8equal_toIvEEiEE10hipError_tPvRmT2_T3_T4_T5_mT6_T7_P12ihipStream_tbENKUlT_T0_E_clISt17integral_constantIbLb1EES10_IbLb0EEEEDaSW_SX_EUlSW_E_NS1_11comp_targetILNS1_3genE10ELNS1_11target_archE1201ELNS1_3gpuE5ELNS1_3repE0EEENS1_30default_config_static_selectorELNS0_4arch9wavefront6targetE0EEEvT1_,comdat
	.protected	_ZN7rocprim17ROCPRIM_400000_NS6detail17trampoline_kernelINS0_14default_configENS1_27scan_by_key_config_selectorIiiEEZZNS1_16scan_by_key_implILNS1_25lookback_scan_determinismE0ELb1ES3_N6thrust23THRUST_200600_302600_NS6detail15normal_iteratorINS9_10device_ptrIiEEEENSB_INSC_IjEEEESE_iNS9_4plusIvEENS9_8equal_toIvEEiEE10hipError_tPvRmT2_T3_T4_T5_mT6_T7_P12ihipStream_tbENKUlT_T0_E_clISt17integral_constantIbLb1EES10_IbLb0EEEEDaSW_SX_EUlSW_E_NS1_11comp_targetILNS1_3genE10ELNS1_11target_archE1201ELNS1_3gpuE5ELNS1_3repE0EEENS1_30default_config_static_selectorELNS0_4arch9wavefront6targetE0EEEvT1_ ; -- Begin function _ZN7rocprim17ROCPRIM_400000_NS6detail17trampoline_kernelINS0_14default_configENS1_27scan_by_key_config_selectorIiiEEZZNS1_16scan_by_key_implILNS1_25lookback_scan_determinismE0ELb1ES3_N6thrust23THRUST_200600_302600_NS6detail15normal_iteratorINS9_10device_ptrIiEEEENSB_INSC_IjEEEESE_iNS9_4plusIvEENS9_8equal_toIvEEiEE10hipError_tPvRmT2_T3_T4_T5_mT6_T7_P12ihipStream_tbENKUlT_T0_E_clISt17integral_constantIbLb1EES10_IbLb0EEEEDaSW_SX_EUlSW_E_NS1_11comp_targetILNS1_3genE10ELNS1_11target_archE1201ELNS1_3gpuE5ELNS1_3repE0EEENS1_30default_config_static_selectorELNS0_4arch9wavefront6targetE0EEEvT1_
	.globl	_ZN7rocprim17ROCPRIM_400000_NS6detail17trampoline_kernelINS0_14default_configENS1_27scan_by_key_config_selectorIiiEEZZNS1_16scan_by_key_implILNS1_25lookback_scan_determinismE0ELb1ES3_N6thrust23THRUST_200600_302600_NS6detail15normal_iteratorINS9_10device_ptrIiEEEENSB_INSC_IjEEEESE_iNS9_4plusIvEENS9_8equal_toIvEEiEE10hipError_tPvRmT2_T3_T4_T5_mT6_T7_P12ihipStream_tbENKUlT_T0_E_clISt17integral_constantIbLb1EES10_IbLb0EEEEDaSW_SX_EUlSW_E_NS1_11comp_targetILNS1_3genE10ELNS1_11target_archE1201ELNS1_3gpuE5ELNS1_3repE0EEENS1_30default_config_static_selectorELNS0_4arch9wavefront6targetE0EEEvT1_
	.p2align	8
	.type	_ZN7rocprim17ROCPRIM_400000_NS6detail17trampoline_kernelINS0_14default_configENS1_27scan_by_key_config_selectorIiiEEZZNS1_16scan_by_key_implILNS1_25lookback_scan_determinismE0ELb1ES3_N6thrust23THRUST_200600_302600_NS6detail15normal_iteratorINS9_10device_ptrIiEEEENSB_INSC_IjEEEESE_iNS9_4plusIvEENS9_8equal_toIvEEiEE10hipError_tPvRmT2_T3_T4_T5_mT6_T7_P12ihipStream_tbENKUlT_T0_E_clISt17integral_constantIbLb1EES10_IbLb0EEEEDaSW_SX_EUlSW_E_NS1_11comp_targetILNS1_3genE10ELNS1_11target_archE1201ELNS1_3gpuE5ELNS1_3repE0EEENS1_30default_config_static_selectorELNS0_4arch9wavefront6targetE0EEEvT1_,@function
_ZN7rocprim17ROCPRIM_400000_NS6detail17trampoline_kernelINS0_14default_configENS1_27scan_by_key_config_selectorIiiEEZZNS1_16scan_by_key_implILNS1_25lookback_scan_determinismE0ELb1ES3_N6thrust23THRUST_200600_302600_NS6detail15normal_iteratorINS9_10device_ptrIiEEEENSB_INSC_IjEEEESE_iNS9_4plusIvEENS9_8equal_toIvEEiEE10hipError_tPvRmT2_T3_T4_T5_mT6_T7_P12ihipStream_tbENKUlT_T0_E_clISt17integral_constantIbLb1EES10_IbLb0EEEEDaSW_SX_EUlSW_E_NS1_11comp_targetILNS1_3genE10ELNS1_11target_archE1201ELNS1_3gpuE5ELNS1_3repE0EEENS1_30default_config_static_selectorELNS0_4arch9wavefront6targetE0EEEvT1_: ; @_ZN7rocprim17ROCPRIM_400000_NS6detail17trampoline_kernelINS0_14default_configENS1_27scan_by_key_config_selectorIiiEEZZNS1_16scan_by_key_implILNS1_25lookback_scan_determinismE0ELb1ES3_N6thrust23THRUST_200600_302600_NS6detail15normal_iteratorINS9_10device_ptrIiEEEENSB_INSC_IjEEEESE_iNS9_4plusIvEENS9_8equal_toIvEEiEE10hipError_tPvRmT2_T3_T4_T5_mT6_T7_P12ihipStream_tbENKUlT_T0_E_clISt17integral_constantIbLb1EES10_IbLb0EEEEDaSW_SX_EUlSW_E_NS1_11comp_targetILNS1_3genE10ELNS1_11target_archE1201ELNS1_3gpuE5ELNS1_3repE0EEENS1_30default_config_static_selectorELNS0_4arch9wavefront6targetE0EEEvT1_
; %bb.0:
	.section	.rodata,"a",@progbits
	.p2align	6, 0x0
	.amdhsa_kernel _ZN7rocprim17ROCPRIM_400000_NS6detail17trampoline_kernelINS0_14default_configENS1_27scan_by_key_config_selectorIiiEEZZNS1_16scan_by_key_implILNS1_25lookback_scan_determinismE0ELb1ES3_N6thrust23THRUST_200600_302600_NS6detail15normal_iteratorINS9_10device_ptrIiEEEENSB_INSC_IjEEEESE_iNS9_4plusIvEENS9_8equal_toIvEEiEE10hipError_tPvRmT2_T3_T4_T5_mT6_T7_P12ihipStream_tbENKUlT_T0_E_clISt17integral_constantIbLb1EES10_IbLb0EEEEDaSW_SX_EUlSW_E_NS1_11comp_targetILNS1_3genE10ELNS1_11target_archE1201ELNS1_3gpuE5ELNS1_3repE0EEENS1_30default_config_static_selectorELNS0_4arch9wavefront6targetE0EEEvT1_
		.amdhsa_group_segment_fixed_size 0
		.amdhsa_private_segment_fixed_size 0
		.amdhsa_kernarg_size 112
		.amdhsa_user_sgpr_count 2
		.amdhsa_user_sgpr_dispatch_ptr 0
		.amdhsa_user_sgpr_queue_ptr 0
		.amdhsa_user_sgpr_kernarg_segment_ptr 1
		.amdhsa_user_sgpr_dispatch_id 0
		.amdhsa_user_sgpr_kernarg_preload_length 0
		.amdhsa_user_sgpr_kernarg_preload_offset 0
		.amdhsa_user_sgpr_private_segment_size 0
		.amdhsa_wavefront_size32 1
		.amdhsa_uses_dynamic_stack 0
		.amdhsa_enable_private_segment 0
		.amdhsa_system_sgpr_workgroup_id_x 1
		.amdhsa_system_sgpr_workgroup_id_y 0
		.amdhsa_system_sgpr_workgroup_id_z 0
		.amdhsa_system_sgpr_workgroup_info 0
		.amdhsa_system_vgpr_workitem_id 0
		.amdhsa_next_free_vgpr 1
		.amdhsa_next_free_sgpr 1
		.amdhsa_named_barrier_count 0
		.amdhsa_reserve_vcc 0
		.amdhsa_float_round_mode_32 0
		.amdhsa_float_round_mode_16_64 0
		.amdhsa_float_denorm_mode_32 3
		.amdhsa_float_denorm_mode_16_64 3
		.amdhsa_fp16_overflow 0
		.amdhsa_memory_ordered 1
		.amdhsa_forward_progress 1
		.amdhsa_inst_pref_size 0
		.amdhsa_round_robin_scheduling 0
		.amdhsa_exception_fp_ieee_invalid_op 0
		.amdhsa_exception_fp_denorm_src 0
		.amdhsa_exception_fp_ieee_div_zero 0
		.amdhsa_exception_fp_ieee_overflow 0
		.amdhsa_exception_fp_ieee_underflow 0
		.amdhsa_exception_fp_ieee_inexact 0
		.amdhsa_exception_int_div_zero 0
	.end_amdhsa_kernel
	.section	.text._ZN7rocprim17ROCPRIM_400000_NS6detail17trampoline_kernelINS0_14default_configENS1_27scan_by_key_config_selectorIiiEEZZNS1_16scan_by_key_implILNS1_25lookback_scan_determinismE0ELb1ES3_N6thrust23THRUST_200600_302600_NS6detail15normal_iteratorINS9_10device_ptrIiEEEENSB_INSC_IjEEEESE_iNS9_4plusIvEENS9_8equal_toIvEEiEE10hipError_tPvRmT2_T3_T4_T5_mT6_T7_P12ihipStream_tbENKUlT_T0_E_clISt17integral_constantIbLb1EES10_IbLb0EEEEDaSW_SX_EUlSW_E_NS1_11comp_targetILNS1_3genE10ELNS1_11target_archE1201ELNS1_3gpuE5ELNS1_3repE0EEENS1_30default_config_static_selectorELNS0_4arch9wavefront6targetE0EEEvT1_,"axG",@progbits,_ZN7rocprim17ROCPRIM_400000_NS6detail17trampoline_kernelINS0_14default_configENS1_27scan_by_key_config_selectorIiiEEZZNS1_16scan_by_key_implILNS1_25lookback_scan_determinismE0ELb1ES3_N6thrust23THRUST_200600_302600_NS6detail15normal_iteratorINS9_10device_ptrIiEEEENSB_INSC_IjEEEESE_iNS9_4plusIvEENS9_8equal_toIvEEiEE10hipError_tPvRmT2_T3_T4_T5_mT6_T7_P12ihipStream_tbENKUlT_T0_E_clISt17integral_constantIbLb1EES10_IbLb0EEEEDaSW_SX_EUlSW_E_NS1_11comp_targetILNS1_3genE10ELNS1_11target_archE1201ELNS1_3gpuE5ELNS1_3repE0EEENS1_30default_config_static_selectorELNS0_4arch9wavefront6targetE0EEEvT1_,comdat
.Lfunc_end1771:
	.size	_ZN7rocprim17ROCPRIM_400000_NS6detail17trampoline_kernelINS0_14default_configENS1_27scan_by_key_config_selectorIiiEEZZNS1_16scan_by_key_implILNS1_25lookback_scan_determinismE0ELb1ES3_N6thrust23THRUST_200600_302600_NS6detail15normal_iteratorINS9_10device_ptrIiEEEENSB_INSC_IjEEEESE_iNS9_4plusIvEENS9_8equal_toIvEEiEE10hipError_tPvRmT2_T3_T4_T5_mT6_T7_P12ihipStream_tbENKUlT_T0_E_clISt17integral_constantIbLb1EES10_IbLb0EEEEDaSW_SX_EUlSW_E_NS1_11comp_targetILNS1_3genE10ELNS1_11target_archE1201ELNS1_3gpuE5ELNS1_3repE0EEENS1_30default_config_static_selectorELNS0_4arch9wavefront6targetE0EEEvT1_, .Lfunc_end1771-_ZN7rocprim17ROCPRIM_400000_NS6detail17trampoline_kernelINS0_14default_configENS1_27scan_by_key_config_selectorIiiEEZZNS1_16scan_by_key_implILNS1_25lookback_scan_determinismE0ELb1ES3_N6thrust23THRUST_200600_302600_NS6detail15normal_iteratorINS9_10device_ptrIiEEEENSB_INSC_IjEEEESE_iNS9_4plusIvEENS9_8equal_toIvEEiEE10hipError_tPvRmT2_T3_T4_T5_mT6_T7_P12ihipStream_tbENKUlT_T0_E_clISt17integral_constantIbLb1EES10_IbLb0EEEEDaSW_SX_EUlSW_E_NS1_11comp_targetILNS1_3genE10ELNS1_11target_archE1201ELNS1_3gpuE5ELNS1_3repE0EEENS1_30default_config_static_selectorELNS0_4arch9wavefront6targetE0EEEvT1_
                                        ; -- End function
	.set _ZN7rocprim17ROCPRIM_400000_NS6detail17trampoline_kernelINS0_14default_configENS1_27scan_by_key_config_selectorIiiEEZZNS1_16scan_by_key_implILNS1_25lookback_scan_determinismE0ELb1ES3_N6thrust23THRUST_200600_302600_NS6detail15normal_iteratorINS9_10device_ptrIiEEEENSB_INSC_IjEEEESE_iNS9_4plusIvEENS9_8equal_toIvEEiEE10hipError_tPvRmT2_T3_T4_T5_mT6_T7_P12ihipStream_tbENKUlT_T0_E_clISt17integral_constantIbLb1EES10_IbLb0EEEEDaSW_SX_EUlSW_E_NS1_11comp_targetILNS1_3genE10ELNS1_11target_archE1201ELNS1_3gpuE5ELNS1_3repE0EEENS1_30default_config_static_selectorELNS0_4arch9wavefront6targetE0EEEvT1_.num_vgpr, 0
	.set _ZN7rocprim17ROCPRIM_400000_NS6detail17trampoline_kernelINS0_14default_configENS1_27scan_by_key_config_selectorIiiEEZZNS1_16scan_by_key_implILNS1_25lookback_scan_determinismE0ELb1ES3_N6thrust23THRUST_200600_302600_NS6detail15normal_iteratorINS9_10device_ptrIiEEEENSB_INSC_IjEEEESE_iNS9_4plusIvEENS9_8equal_toIvEEiEE10hipError_tPvRmT2_T3_T4_T5_mT6_T7_P12ihipStream_tbENKUlT_T0_E_clISt17integral_constantIbLb1EES10_IbLb0EEEEDaSW_SX_EUlSW_E_NS1_11comp_targetILNS1_3genE10ELNS1_11target_archE1201ELNS1_3gpuE5ELNS1_3repE0EEENS1_30default_config_static_selectorELNS0_4arch9wavefront6targetE0EEEvT1_.num_agpr, 0
	.set _ZN7rocprim17ROCPRIM_400000_NS6detail17trampoline_kernelINS0_14default_configENS1_27scan_by_key_config_selectorIiiEEZZNS1_16scan_by_key_implILNS1_25lookback_scan_determinismE0ELb1ES3_N6thrust23THRUST_200600_302600_NS6detail15normal_iteratorINS9_10device_ptrIiEEEENSB_INSC_IjEEEESE_iNS9_4plusIvEENS9_8equal_toIvEEiEE10hipError_tPvRmT2_T3_T4_T5_mT6_T7_P12ihipStream_tbENKUlT_T0_E_clISt17integral_constantIbLb1EES10_IbLb0EEEEDaSW_SX_EUlSW_E_NS1_11comp_targetILNS1_3genE10ELNS1_11target_archE1201ELNS1_3gpuE5ELNS1_3repE0EEENS1_30default_config_static_selectorELNS0_4arch9wavefront6targetE0EEEvT1_.numbered_sgpr, 0
	.set _ZN7rocprim17ROCPRIM_400000_NS6detail17trampoline_kernelINS0_14default_configENS1_27scan_by_key_config_selectorIiiEEZZNS1_16scan_by_key_implILNS1_25lookback_scan_determinismE0ELb1ES3_N6thrust23THRUST_200600_302600_NS6detail15normal_iteratorINS9_10device_ptrIiEEEENSB_INSC_IjEEEESE_iNS9_4plusIvEENS9_8equal_toIvEEiEE10hipError_tPvRmT2_T3_T4_T5_mT6_T7_P12ihipStream_tbENKUlT_T0_E_clISt17integral_constantIbLb1EES10_IbLb0EEEEDaSW_SX_EUlSW_E_NS1_11comp_targetILNS1_3genE10ELNS1_11target_archE1201ELNS1_3gpuE5ELNS1_3repE0EEENS1_30default_config_static_selectorELNS0_4arch9wavefront6targetE0EEEvT1_.num_named_barrier, 0
	.set _ZN7rocprim17ROCPRIM_400000_NS6detail17trampoline_kernelINS0_14default_configENS1_27scan_by_key_config_selectorIiiEEZZNS1_16scan_by_key_implILNS1_25lookback_scan_determinismE0ELb1ES3_N6thrust23THRUST_200600_302600_NS6detail15normal_iteratorINS9_10device_ptrIiEEEENSB_INSC_IjEEEESE_iNS9_4plusIvEENS9_8equal_toIvEEiEE10hipError_tPvRmT2_T3_T4_T5_mT6_T7_P12ihipStream_tbENKUlT_T0_E_clISt17integral_constantIbLb1EES10_IbLb0EEEEDaSW_SX_EUlSW_E_NS1_11comp_targetILNS1_3genE10ELNS1_11target_archE1201ELNS1_3gpuE5ELNS1_3repE0EEENS1_30default_config_static_selectorELNS0_4arch9wavefront6targetE0EEEvT1_.private_seg_size, 0
	.set _ZN7rocprim17ROCPRIM_400000_NS6detail17trampoline_kernelINS0_14default_configENS1_27scan_by_key_config_selectorIiiEEZZNS1_16scan_by_key_implILNS1_25lookback_scan_determinismE0ELb1ES3_N6thrust23THRUST_200600_302600_NS6detail15normal_iteratorINS9_10device_ptrIiEEEENSB_INSC_IjEEEESE_iNS9_4plusIvEENS9_8equal_toIvEEiEE10hipError_tPvRmT2_T3_T4_T5_mT6_T7_P12ihipStream_tbENKUlT_T0_E_clISt17integral_constantIbLb1EES10_IbLb0EEEEDaSW_SX_EUlSW_E_NS1_11comp_targetILNS1_3genE10ELNS1_11target_archE1201ELNS1_3gpuE5ELNS1_3repE0EEENS1_30default_config_static_selectorELNS0_4arch9wavefront6targetE0EEEvT1_.uses_vcc, 0
	.set _ZN7rocprim17ROCPRIM_400000_NS6detail17trampoline_kernelINS0_14default_configENS1_27scan_by_key_config_selectorIiiEEZZNS1_16scan_by_key_implILNS1_25lookback_scan_determinismE0ELb1ES3_N6thrust23THRUST_200600_302600_NS6detail15normal_iteratorINS9_10device_ptrIiEEEENSB_INSC_IjEEEESE_iNS9_4plusIvEENS9_8equal_toIvEEiEE10hipError_tPvRmT2_T3_T4_T5_mT6_T7_P12ihipStream_tbENKUlT_T0_E_clISt17integral_constantIbLb1EES10_IbLb0EEEEDaSW_SX_EUlSW_E_NS1_11comp_targetILNS1_3genE10ELNS1_11target_archE1201ELNS1_3gpuE5ELNS1_3repE0EEENS1_30default_config_static_selectorELNS0_4arch9wavefront6targetE0EEEvT1_.uses_flat_scratch, 0
	.set _ZN7rocprim17ROCPRIM_400000_NS6detail17trampoline_kernelINS0_14default_configENS1_27scan_by_key_config_selectorIiiEEZZNS1_16scan_by_key_implILNS1_25lookback_scan_determinismE0ELb1ES3_N6thrust23THRUST_200600_302600_NS6detail15normal_iteratorINS9_10device_ptrIiEEEENSB_INSC_IjEEEESE_iNS9_4plusIvEENS9_8equal_toIvEEiEE10hipError_tPvRmT2_T3_T4_T5_mT6_T7_P12ihipStream_tbENKUlT_T0_E_clISt17integral_constantIbLb1EES10_IbLb0EEEEDaSW_SX_EUlSW_E_NS1_11comp_targetILNS1_3genE10ELNS1_11target_archE1201ELNS1_3gpuE5ELNS1_3repE0EEENS1_30default_config_static_selectorELNS0_4arch9wavefront6targetE0EEEvT1_.has_dyn_sized_stack, 0
	.set _ZN7rocprim17ROCPRIM_400000_NS6detail17trampoline_kernelINS0_14default_configENS1_27scan_by_key_config_selectorIiiEEZZNS1_16scan_by_key_implILNS1_25lookback_scan_determinismE0ELb1ES3_N6thrust23THRUST_200600_302600_NS6detail15normal_iteratorINS9_10device_ptrIiEEEENSB_INSC_IjEEEESE_iNS9_4plusIvEENS9_8equal_toIvEEiEE10hipError_tPvRmT2_T3_T4_T5_mT6_T7_P12ihipStream_tbENKUlT_T0_E_clISt17integral_constantIbLb1EES10_IbLb0EEEEDaSW_SX_EUlSW_E_NS1_11comp_targetILNS1_3genE10ELNS1_11target_archE1201ELNS1_3gpuE5ELNS1_3repE0EEENS1_30default_config_static_selectorELNS0_4arch9wavefront6targetE0EEEvT1_.has_recursion, 0
	.set _ZN7rocprim17ROCPRIM_400000_NS6detail17trampoline_kernelINS0_14default_configENS1_27scan_by_key_config_selectorIiiEEZZNS1_16scan_by_key_implILNS1_25lookback_scan_determinismE0ELb1ES3_N6thrust23THRUST_200600_302600_NS6detail15normal_iteratorINS9_10device_ptrIiEEEENSB_INSC_IjEEEESE_iNS9_4plusIvEENS9_8equal_toIvEEiEE10hipError_tPvRmT2_T3_T4_T5_mT6_T7_P12ihipStream_tbENKUlT_T0_E_clISt17integral_constantIbLb1EES10_IbLb0EEEEDaSW_SX_EUlSW_E_NS1_11comp_targetILNS1_3genE10ELNS1_11target_archE1201ELNS1_3gpuE5ELNS1_3repE0EEENS1_30default_config_static_selectorELNS0_4arch9wavefront6targetE0EEEvT1_.has_indirect_call, 0
	.section	.AMDGPU.csdata,"",@progbits
; Kernel info:
; codeLenInByte = 0
; TotalNumSgprs: 0
; NumVgprs: 0
; ScratchSize: 0
; MemoryBound: 0
; FloatMode: 240
; IeeeMode: 1
; LDSByteSize: 0 bytes/workgroup (compile time only)
; SGPRBlocks: 0
; VGPRBlocks: 0
; NumSGPRsForWavesPerEU: 1
; NumVGPRsForWavesPerEU: 1
; NamedBarCnt: 0
; Occupancy: 16
; WaveLimiterHint : 0
; COMPUTE_PGM_RSRC2:SCRATCH_EN: 0
; COMPUTE_PGM_RSRC2:USER_SGPR: 2
; COMPUTE_PGM_RSRC2:TRAP_HANDLER: 0
; COMPUTE_PGM_RSRC2:TGID_X_EN: 1
; COMPUTE_PGM_RSRC2:TGID_Y_EN: 0
; COMPUTE_PGM_RSRC2:TGID_Z_EN: 0
; COMPUTE_PGM_RSRC2:TIDIG_COMP_CNT: 0
	.section	.text._ZN7rocprim17ROCPRIM_400000_NS6detail17trampoline_kernelINS0_14default_configENS1_27scan_by_key_config_selectorIiiEEZZNS1_16scan_by_key_implILNS1_25lookback_scan_determinismE0ELb1ES3_N6thrust23THRUST_200600_302600_NS6detail15normal_iteratorINS9_10device_ptrIiEEEENSB_INSC_IjEEEESE_iNS9_4plusIvEENS9_8equal_toIvEEiEE10hipError_tPvRmT2_T3_T4_T5_mT6_T7_P12ihipStream_tbENKUlT_T0_E_clISt17integral_constantIbLb1EES10_IbLb0EEEEDaSW_SX_EUlSW_E_NS1_11comp_targetILNS1_3genE5ELNS1_11target_archE942ELNS1_3gpuE9ELNS1_3repE0EEENS1_30default_config_static_selectorELNS0_4arch9wavefront6targetE0EEEvT1_,"axG",@progbits,_ZN7rocprim17ROCPRIM_400000_NS6detail17trampoline_kernelINS0_14default_configENS1_27scan_by_key_config_selectorIiiEEZZNS1_16scan_by_key_implILNS1_25lookback_scan_determinismE0ELb1ES3_N6thrust23THRUST_200600_302600_NS6detail15normal_iteratorINS9_10device_ptrIiEEEENSB_INSC_IjEEEESE_iNS9_4plusIvEENS9_8equal_toIvEEiEE10hipError_tPvRmT2_T3_T4_T5_mT6_T7_P12ihipStream_tbENKUlT_T0_E_clISt17integral_constantIbLb1EES10_IbLb0EEEEDaSW_SX_EUlSW_E_NS1_11comp_targetILNS1_3genE5ELNS1_11target_archE942ELNS1_3gpuE9ELNS1_3repE0EEENS1_30default_config_static_selectorELNS0_4arch9wavefront6targetE0EEEvT1_,comdat
	.protected	_ZN7rocprim17ROCPRIM_400000_NS6detail17trampoline_kernelINS0_14default_configENS1_27scan_by_key_config_selectorIiiEEZZNS1_16scan_by_key_implILNS1_25lookback_scan_determinismE0ELb1ES3_N6thrust23THRUST_200600_302600_NS6detail15normal_iteratorINS9_10device_ptrIiEEEENSB_INSC_IjEEEESE_iNS9_4plusIvEENS9_8equal_toIvEEiEE10hipError_tPvRmT2_T3_T4_T5_mT6_T7_P12ihipStream_tbENKUlT_T0_E_clISt17integral_constantIbLb1EES10_IbLb0EEEEDaSW_SX_EUlSW_E_NS1_11comp_targetILNS1_3genE5ELNS1_11target_archE942ELNS1_3gpuE9ELNS1_3repE0EEENS1_30default_config_static_selectorELNS0_4arch9wavefront6targetE0EEEvT1_ ; -- Begin function _ZN7rocprim17ROCPRIM_400000_NS6detail17trampoline_kernelINS0_14default_configENS1_27scan_by_key_config_selectorIiiEEZZNS1_16scan_by_key_implILNS1_25lookback_scan_determinismE0ELb1ES3_N6thrust23THRUST_200600_302600_NS6detail15normal_iteratorINS9_10device_ptrIiEEEENSB_INSC_IjEEEESE_iNS9_4plusIvEENS9_8equal_toIvEEiEE10hipError_tPvRmT2_T3_T4_T5_mT6_T7_P12ihipStream_tbENKUlT_T0_E_clISt17integral_constantIbLb1EES10_IbLb0EEEEDaSW_SX_EUlSW_E_NS1_11comp_targetILNS1_3genE5ELNS1_11target_archE942ELNS1_3gpuE9ELNS1_3repE0EEENS1_30default_config_static_selectorELNS0_4arch9wavefront6targetE0EEEvT1_
	.globl	_ZN7rocprim17ROCPRIM_400000_NS6detail17trampoline_kernelINS0_14default_configENS1_27scan_by_key_config_selectorIiiEEZZNS1_16scan_by_key_implILNS1_25lookback_scan_determinismE0ELb1ES3_N6thrust23THRUST_200600_302600_NS6detail15normal_iteratorINS9_10device_ptrIiEEEENSB_INSC_IjEEEESE_iNS9_4plusIvEENS9_8equal_toIvEEiEE10hipError_tPvRmT2_T3_T4_T5_mT6_T7_P12ihipStream_tbENKUlT_T0_E_clISt17integral_constantIbLb1EES10_IbLb0EEEEDaSW_SX_EUlSW_E_NS1_11comp_targetILNS1_3genE5ELNS1_11target_archE942ELNS1_3gpuE9ELNS1_3repE0EEENS1_30default_config_static_selectorELNS0_4arch9wavefront6targetE0EEEvT1_
	.p2align	8
	.type	_ZN7rocprim17ROCPRIM_400000_NS6detail17trampoline_kernelINS0_14default_configENS1_27scan_by_key_config_selectorIiiEEZZNS1_16scan_by_key_implILNS1_25lookback_scan_determinismE0ELb1ES3_N6thrust23THRUST_200600_302600_NS6detail15normal_iteratorINS9_10device_ptrIiEEEENSB_INSC_IjEEEESE_iNS9_4plusIvEENS9_8equal_toIvEEiEE10hipError_tPvRmT2_T3_T4_T5_mT6_T7_P12ihipStream_tbENKUlT_T0_E_clISt17integral_constantIbLb1EES10_IbLb0EEEEDaSW_SX_EUlSW_E_NS1_11comp_targetILNS1_3genE5ELNS1_11target_archE942ELNS1_3gpuE9ELNS1_3repE0EEENS1_30default_config_static_selectorELNS0_4arch9wavefront6targetE0EEEvT1_,@function
_ZN7rocprim17ROCPRIM_400000_NS6detail17trampoline_kernelINS0_14default_configENS1_27scan_by_key_config_selectorIiiEEZZNS1_16scan_by_key_implILNS1_25lookback_scan_determinismE0ELb1ES3_N6thrust23THRUST_200600_302600_NS6detail15normal_iteratorINS9_10device_ptrIiEEEENSB_INSC_IjEEEESE_iNS9_4plusIvEENS9_8equal_toIvEEiEE10hipError_tPvRmT2_T3_T4_T5_mT6_T7_P12ihipStream_tbENKUlT_T0_E_clISt17integral_constantIbLb1EES10_IbLb0EEEEDaSW_SX_EUlSW_E_NS1_11comp_targetILNS1_3genE5ELNS1_11target_archE942ELNS1_3gpuE9ELNS1_3repE0EEENS1_30default_config_static_selectorELNS0_4arch9wavefront6targetE0EEEvT1_: ; @_ZN7rocprim17ROCPRIM_400000_NS6detail17trampoline_kernelINS0_14default_configENS1_27scan_by_key_config_selectorIiiEEZZNS1_16scan_by_key_implILNS1_25lookback_scan_determinismE0ELb1ES3_N6thrust23THRUST_200600_302600_NS6detail15normal_iteratorINS9_10device_ptrIiEEEENSB_INSC_IjEEEESE_iNS9_4plusIvEENS9_8equal_toIvEEiEE10hipError_tPvRmT2_T3_T4_T5_mT6_T7_P12ihipStream_tbENKUlT_T0_E_clISt17integral_constantIbLb1EES10_IbLb0EEEEDaSW_SX_EUlSW_E_NS1_11comp_targetILNS1_3genE5ELNS1_11target_archE942ELNS1_3gpuE9ELNS1_3repE0EEENS1_30default_config_static_selectorELNS0_4arch9wavefront6targetE0EEEvT1_
; %bb.0:
	.section	.rodata,"a",@progbits
	.p2align	6, 0x0
	.amdhsa_kernel _ZN7rocprim17ROCPRIM_400000_NS6detail17trampoline_kernelINS0_14default_configENS1_27scan_by_key_config_selectorIiiEEZZNS1_16scan_by_key_implILNS1_25lookback_scan_determinismE0ELb1ES3_N6thrust23THRUST_200600_302600_NS6detail15normal_iteratorINS9_10device_ptrIiEEEENSB_INSC_IjEEEESE_iNS9_4plusIvEENS9_8equal_toIvEEiEE10hipError_tPvRmT2_T3_T4_T5_mT6_T7_P12ihipStream_tbENKUlT_T0_E_clISt17integral_constantIbLb1EES10_IbLb0EEEEDaSW_SX_EUlSW_E_NS1_11comp_targetILNS1_3genE5ELNS1_11target_archE942ELNS1_3gpuE9ELNS1_3repE0EEENS1_30default_config_static_selectorELNS0_4arch9wavefront6targetE0EEEvT1_
		.amdhsa_group_segment_fixed_size 0
		.amdhsa_private_segment_fixed_size 0
		.amdhsa_kernarg_size 112
		.amdhsa_user_sgpr_count 2
		.amdhsa_user_sgpr_dispatch_ptr 0
		.amdhsa_user_sgpr_queue_ptr 0
		.amdhsa_user_sgpr_kernarg_segment_ptr 1
		.amdhsa_user_sgpr_dispatch_id 0
		.amdhsa_user_sgpr_kernarg_preload_length 0
		.amdhsa_user_sgpr_kernarg_preload_offset 0
		.amdhsa_user_sgpr_private_segment_size 0
		.amdhsa_wavefront_size32 1
		.amdhsa_uses_dynamic_stack 0
		.amdhsa_enable_private_segment 0
		.amdhsa_system_sgpr_workgroup_id_x 1
		.amdhsa_system_sgpr_workgroup_id_y 0
		.amdhsa_system_sgpr_workgroup_id_z 0
		.amdhsa_system_sgpr_workgroup_info 0
		.amdhsa_system_vgpr_workitem_id 0
		.amdhsa_next_free_vgpr 1
		.amdhsa_next_free_sgpr 1
		.amdhsa_named_barrier_count 0
		.amdhsa_reserve_vcc 0
		.amdhsa_float_round_mode_32 0
		.amdhsa_float_round_mode_16_64 0
		.amdhsa_float_denorm_mode_32 3
		.amdhsa_float_denorm_mode_16_64 3
		.amdhsa_fp16_overflow 0
		.amdhsa_memory_ordered 1
		.amdhsa_forward_progress 1
		.amdhsa_inst_pref_size 0
		.amdhsa_round_robin_scheduling 0
		.amdhsa_exception_fp_ieee_invalid_op 0
		.amdhsa_exception_fp_denorm_src 0
		.amdhsa_exception_fp_ieee_div_zero 0
		.amdhsa_exception_fp_ieee_overflow 0
		.amdhsa_exception_fp_ieee_underflow 0
		.amdhsa_exception_fp_ieee_inexact 0
		.amdhsa_exception_int_div_zero 0
	.end_amdhsa_kernel
	.section	.text._ZN7rocprim17ROCPRIM_400000_NS6detail17trampoline_kernelINS0_14default_configENS1_27scan_by_key_config_selectorIiiEEZZNS1_16scan_by_key_implILNS1_25lookback_scan_determinismE0ELb1ES3_N6thrust23THRUST_200600_302600_NS6detail15normal_iteratorINS9_10device_ptrIiEEEENSB_INSC_IjEEEESE_iNS9_4plusIvEENS9_8equal_toIvEEiEE10hipError_tPvRmT2_T3_T4_T5_mT6_T7_P12ihipStream_tbENKUlT_T0_E_clISt17integral_constantIbLb1EES10_IbLb0EEEEDaSW_SX_EUlSW_E_NS1_11comp_targetILNS1_3genE5ELNS1_11target_archE942ELNS1_3gpuE9ELNS1_3repE0EEENS1_30default_config_static_selectorELNS0_4arch9wavefront6targetE0EEEvT1_,"axG",@progbits,_ZN7rocprim17ROCPRIM_400000_NS6detail17trampoline_kernelINS0_14default_configENS1_27scan_by_key_config_selectorIiiEEZZNS1_16scan_by_key_implILNS1_25lookback_scan_determinismE0ELb1ES3_N6thrust23THRUST_200600_302600_NS6detail15normal_iteratorINS9_10device_ptrIiEEEENSB_INSC_IjEEEESE_iNS9_4plusIvEENS9_8equal_toIvEEiEE10hipError_tPvRmT2_T3_T4_T5_mT6_T7_P12ihipStream_tbENKUlT_T0_E_clISt17integral_constantIbLb1EES10_IbLb0EEEEDaSW_SX_EUlSW_E_NS1_11comp_targetILNS1_3genE5ELNS1_11target_archE942ELNS1_3gpuE9ELNS1_3repE0EEENS1_30default_config_static_selectorELNS0_4arch9wavefront6targetE0EEEvT1_,comdat
.Lfunc_end1772:
	.size	_ZN7rocprim17ROCPRIM_400000_NS6detail17trampoline_kernelINS0_14default_configENS1_27scan_by_key_config_selectorIiiEEZZNS1_16scan_by_key_implILNS1_25lookback_scan_determinismE0ELb1ES3_N6thrust23THRUST_200600_302600_NS6detail15normal_iteratorINS9_10device_ptrIiEEEENSB_INSC_IjEEEESE_iNS9_4plusIvEENS9_8equal_toIvEEiEE10hipError_tPvRmT2_T3_T4_T5_mT6_T7_P12ihipStream_tbENKUlT_T0_E_clISt17integral_constantIbLb1EES10_IbLb0EEEEDaSW_SX_EUlSW_E_NS1_11comp_targetILNS1_3genE5ELNS1_11target_archE942ELNS1_3gpuE9ELNS1_3repE0EEENS1_30default_config_static_selectorELNS0_4arch9wavefront6targetE0EEEvT1_, .Lfunc_end1772-_ZN7rocprim17ROCPRIM_400000_NS6detail17trampoline_kernelINS0_14default_configENS1_27scan_by_key_config_selectorIiiEEZZNS1_16scan_by_key_implILNS1_25lookback_scan_determinismE0ELb1ES3_N6thrust23THRUST_200600_302600_NS6detail15normal_iteratorINS9_10device_ptrIiEEEENSB_INSC_IjEEEESE_iNS9_4plusIvEENS9_8equal_toIvEEiEE10hipError_tPvRmT2_T3_T4_T5_mT6_T7_P12ihipStream_tbENKUlT_T0_E_clISt17integral_constantIbLb1EES10_IbLb0EEEEDaSW_SX_EUlSW_E_NS1_11comp_targetILNS1_3genE5ELNS1_11target_archE942ELNS1_3gpuE9ELNS1_3repE0EEENS1_30default_config_static_selectorELNS0_4arch9wavefront6targetE0EEEvT1_
                                        ; -- End function
	.set _ZN7rocprim17ROCPRIM_400000_NS6detail17trampoline_kernelINS0_14default_configENS1_27scan_by_key_config_selectorIiiEEZZNS1_16scan_by_key_implILNS1_25lookback_scan_determinismE0ELb1ES3_N6thrust23THRUST_200600_302600_NS6detail15normal_iteratorINS9_10device_ptrIiEEEENSB_INSC_IjEEEESE_iNS9_4plusIvEENS9_8equal_toIvEEiEE10hipError_tPvRmT2_T3_T4_T5_mT6_T7_P12ihipStream_tbENKUlT_T0_E_clISt17integral_constantIbLb1EES10_IbLb0EEEEDaSW_SX_EUlSW_E_NS1_11comp_targetILNS1_3genE5ELNS1_11target_archE942ELNS1_3gpuE9ELNS1_3repE0EEENS1_30default_config_static_selectorELNS0_4arch9wavefront6targetE0EEEvT1_.num_vgpr, 0
	.set _ZN7rocprim17ROCPRIM_400000_NS6detail17trampoline_kernelINS0_14default_configENS1_27scan_by_key_config_selectorIiiEEZZNS1_16scan_by_key_implILNS1_25lookback_scan_determinismE0ELb1ES3_N6thrust23THRUST_200600_302600_NS6detail15normal_iteratorINS9_10device_ptrIiEEEENSB_INSC_IjEEEESE_iNS9_4plusIvEENS9_8equal_toIvEEiEE10hipError_tPvRmT2_T3_T4_T5_mT6_T7_P12ihipStream_tbENKUlT_T0_E_clISt17integral_constantIbLb1EES10_IbLb0EEEEDaSW_SX_EUlSW_E_NS1_11comp_targetILNS1_3genE5ELNS1_11target_archE942ELNS1_3gpuE9ELNS1_3repE0EEENS1_30default_config_static_selectorELNS0_4arch9wavefront6targetE0EEEvT1_.num_agpr, 0
	.set _ZN7rocprim17ROCPRIM_400000_NS6detail17trampoline_kernelINS0_14default_configENS1_27scan_by_key_config_selectorIiiEEZZNS1_16scan_by_key_implILNS1_25lookback_scan_determinismE0ELb1ES3_N6thrust23THRUST_200600_302600_NS6detail15normal_iteratorINS9_10device_ptrIiEEEENSB_INSC_IjEEEESE_iNS9_4plusIvEENS9_8equal_toIvEEiEE10hipError_tPvRmT2_T3_T4_T5_mT6_T7_P12ihipStream_tbENKUlT_T0_E_clISt17integral_constantIbLb1EES10_IbLb0EEEEDaSW_SX_EUlSW_E_NS1_11comp_targetILNS1_3genE5ELNS1_11target_archE942ELNS1_3gpuE9ELNS1_3repE0EEENS1_30default_config_static_selectorELNS0_4arch9wavefront6targetE0EEEvT1_.numbered_sgpr, 0
	.set _ZN7rocprim17ROCPRIM_400000_NS6detail17trampoline_kernelINS0_14default_configENS1_27scan_by_key_config_selectorIiiEEZZNS1_16scan_by_key_implILNS1_25lookback_scan_determinismE0ELb1ES3_N6thrust23THRUST_200600_302600_NS6detail15normal_iteratorINS9_10device_ptrIiEEEENSB_INSC_IjEEEESE_iNS9_4plusIvEENS9_8equal_toIvEEiEE10hipError_tPvRmT2_T3_T4_T5_mT6_T7_P12ihipStream_tbENKUlT_T0_E_clISt17integral_constantIbLb1EES10_IbLb0EEEEDaSW_SX_EUlSW_E_NS1_11comp_targetILNS1_3genE5ELNS1_11target_archE942ELNS1_3gpuE9ELNS1_3repE0EEENS1_30default_config_static_selectorELNS0_4arch9wavefront6targetE0EEEvT1_.num_named_barrier, 0
	.set _ZN7rocprim17ROCPRIM_400000_NS6detail17trampoline_kernelINS0_14default_configENS1_27scan_by_key_config_selectorIiiEEZZNS1_16scan_by_key_implILNS1_25lookback_scan_determinismE0ELb1ES3_N6thrust23THRUST_200600_302600_NS6detail15normal_iteratorINS9_10device_ptrIiEEEENSB_INSC_IjEEEESE_iNS9_4plusIvEENS9_8equal_toIvEEiEE10hipError_tPvRmT2_T3_T4_T5_mT6_T7_P12ihipStream_tbENKUlT_T0_E_clISt17integral_constantIbLb1EES10_IbLb0EEEEDaSW_SX_EUlSW_E_NS1_11comp_targetILNS1_3genE5ELNS1_11target_archE942ELNS1_3gpuE9ELNS1_3repE0EEENS1_30default_config_static_selectorELNS0_4arch9wavefront6targetE0EEEvT1_.private_seg_size, 0
	.set _ZN7rocprim17ROCPRIM_400000_NS6detail17trampoline_kernelINS0_14default_configENS1_27scan_by_key_config_selectorIiiEEZZNS1_16scan_by_key_implILNS1_25lookback_scan_determinismE0ELb1ES3_N6thrust23THRUST_200600_302600_NS6detail15normal_iteratorINS9_10device_ptrIiEEEENSB_INSC_IjEEEESE_iNS9_4plusIvEENS9_8equal_toIvEEiEE10hipError_tPvRmT2_T3_T4_T5_mT6_T7_P12ihipStream_tbENKUlT_T0_E_clISt17integral_constantIbLb1EES10_IbLb0EEEEDaSW_SX_EUlSW_E_NS1_11comp_targetILNS1_3genE5ELNS1_11target_archE942ELNS1_3gpuE9ELNS1_3repE0EEENS1_30default_config_static_selectorELNS0_4arch9wavefront6targetE0EEEvT1_.uses_vcc, 0
	.set _ZN7rocprim17ROCPRIM_400000_NS6detail17trampoline_kernelINS0_14default_configENS1_27scan_by_key_config_selectorIiiEEZZNS1_16scan_by_key_implILNS1_25lookback_scan_determinismE0ELb1ES3_N6thrust23THRUST_200600_302600_NS6detail15normal_iteratorINS9_10device_ptrIiEEEENSB_INSC_IjEEEESE_iNS9_4plusIvEENS9_8equal_toIvEEiEE10hipError_tPvRmT2_T3_T4_T5_mT6_T7_P12ihipStream_tbENKUlT_T0_E_clISt17integral_constantIbLb1EES10_IbLb0EEEEDaSW_SX_EUlSW_E_NS1_11comp_targetILNS1_3genE5ELNS1_11target_archE942ELNS1_3gpuE9ELNS1_3repE0EEENS1_30default_config_static_selectorELNS0_4arch9wavefront6targetE0EEEvT1_.uses_flat_scratch, 0
	.set _ZN7rocprim17ROCPRIM_400000_NS6detail17trampoline_kernelINS0_14default_configENS1_27scan_by_key_config_selectorIiiEEZZNS1_16scan_by_key_implILNS1_25lookback_scan_determinismE0ELb1ES3_N6thrust23THRUST_200600_302600_NS6detail15normal_iteratorINS9_10device_ptrIiEEEENSB_INSC_IjEEEESE_iNS9_4plusIvEENS9_8equal_toIvEEiEE10hipError_tPvRmT2_T3_T4_T5_mT6_T7_P12ihipStream_tbENKUlT_T0_E_clISt17integral_constantIbLb1EES10_IbLb0EEEEDaSW_SX_EUlSW_E_NS1_11comp_targetILNS1_3genE5ELNS1_11target_archE942ELNS1_3gpuE9ELNS1_3repE0EEENS1_30default_config_static_selectorELNS0_4arch9wavefront6targetE0EEEvT1_.has_dyn_sized_stack, 0
	.set _ZN7rocprim17ROCPRIM_400000_NS6detail17trampoline_kernelINS0_14default_configENS1_27scan_by_key_config_selectorIiiEEZZNS1_16scan_by_key_implILNS1_25lookback_scan_determinismE0ELb1ES3_N6thrust23THRUST_200600_302600_NS6detail15normal_iteratorINS9_10device_ptrIiEEEENSB_INSC_IjEEEESE_iNS9_4plusIvEENS9_8equal_toIvEEiEE10hipError_tPvRmT2_T3_T4_T5_mT6_T7_P12ihipStream_tbENKUlT_T0_E_clISt17integral_constantIbLb1EES10_IbLb0EEEEDaSW_SX_EUlSW_E_NS1_11comp_targetILNS1_3genE5ELNS1_11target_archE942ELNS1_3gpuE9ELNS1_3repE0EEENS1_30default_config_static_selectorELNS0_4arch9wavefront6targetE0EEEvT1_.has_recursion, 0
	.set _ZN7rocprim17ROCPRIM_400000_NS6detail17trampoline_kernelINS0_14default_configENS1_27scan_by_key_config_selectorIiiEEZZNS1_16scan_by_key_implILNS1_25lookback_scan_determinismE0ELb1ES3_N6thrust23THRUST_200600_302600_NS6detail15normal_iteratorINS9_10device_ptrIiEEEENSB_INSC_IjEEEESE_iNS9_4plusIvEENS9_8equal_toIvEEiEE10hipError_tPvRmT2_T3_T4_T5_mT6_T7_P12ihipStream_tbENKUlT_T0_E_clISt17integral_constantIbLb1EES10_IbLb0EEEEDaSW_SX_EUlSW_E_NS1_11comp_targetILNS1_3genE5ELNS1_11target_archE942ELNS1_3gpuE9ELNS1_3repE0EEENS1_30default_config_static_selectorELNS0_4arch9wavefront6targetE0EEEvT1_.has_indirect_call, 0
	.section	.AMDGPU.csdata,"",@progbits
; Kernel info:
; codeLenInByte = 0
; TotalNumSgprs: 0
; NumVgprs: 0
; ScratchSize: 0
; MemoryBound: 0
; FloatMode: 240
; IeeeMode: 1
; LDSByteSize: 0 bytes/workgroup (compile time only)
; SGPRBlocks: 0
; VGPRBlocks: 0
; NumSGPRsForWavesPerEU: 1
; NumVGPRsForWavesPerEU: 1
; NamedBarCnt: 0
; Occupancy: 16
; WaveLimiterHint : 0
; COMPUTE_PGM_RSRC2:SCRATCH_EN: 0
; COMPUTE_PGM_RSRC2:USER_SGPR: 2
; COMPUTE_PGM_RSRC2:TRAP_HANDLER: 0
; COMPUTE_PGM_RSRC2:TGID_X_EN: 1
; COMPUTE_PGM_RSRC2:TGID_Y_EN: 0
; COMPUTE_PGM_RSRC2:TGID_Z_EN: 0
; COMPUTE_PGM_RSRC2:TIDIG_COMP_CNT: 0
	.section	.text._ZN7rocprim17ROCPRIM_400000_NS6detail17trampoline_kernelINS0_14default_configENS1_27scan_by_key_config_selectorIiiEEZZNS1_16scan_by_key_implILNS1_25lookback_scan_determinismE0ELb1ES3_N6thrust23THRUST_200600_302600_NS6detail15normal_iteratorINS9_10device_ptrIiEEEENSB_INSC_IjEEEESE_iNS9_4plusIvEENS9_8equal_toIvEEiEE10hipError_tPvRmT2_T3_T4_T5_mT6_T7_P12ihipStream_tbENKUlT_T0_E_clISt17integral_constantIbLb1EES10_IbLb0EEEEDaSW_SX_EUlSW_E_NS1_11comp_targetILNS1_3genE4ELNS1_11target_archE910ELNS1_3gpuE8ELNS1_3repE0EEENS1_30default_config_static_selectorELNS0_4arch9wavefront6targetE0EEEvT1_,"axG",@progbits,_ZN7rocprim17ROCPRIM_400000_NS6detail17trampoline_kernelINS0_14default_configENS1_27scan_by_key_config_selectorIiiEEZZNS1_16scan_by_key_implILNS1_25lookback_scan_determinismE0ELb1ES3_N6thrust23THRUST_200600_302600_NS6detail15normal_iteratorINS9_10device_ptrIiEEEENSB_INSC_IjEEEESE_iNS9_4plusIvEENS9_8equal_toIvEEiEE10hipError_tPvRmT2_T3_T4_T5_mT6_T7_P12ihipStream_tbENKUlT_T0_E_clISt17integral_constantIbLb1EES10_IbLb0EEEEDaSW_SX_EUlSW_E_NS1_11comp_targetILNS1_3genE4ELNS1_11target_archE910ELNS1_3gpuE8ELNS1_3repE0EEENS1_30default_config_static_selectorELNS0_4arch9wavefront6targetE0EEEvT1_,comdat
	.protected	_ZN7rocprim17ROCPRIM_400000_NS6detail17trampoline_kernelINS0_14default_configENS1_27scan_by_key_config_selectorIiiEEZZNS1_16scan_by_key_implILNS1_25lookback_scan_determinismE0ELb1ES3_N6thrust23THRUST_200600_302600_NS6detail15normal_iteratorINS9_10device_ptrIiEEEENSB_INSC_IjEEEESE_iNS9_4plusIvEENS9_8equal_toIvEEiEE10hipError_tPvRmT2_T3_T4_T5_mT6_T7_P12ihipStream_tbENKUlT_T0_E_clISt17integral_constantIbLb1EES10_IbLb0EEEEDaSW_SX_EUlSW_E_NS1_11comp_targetILNS1_3genE4ELNS1_11target_archE910ELNS1_3gpuE8ELNS1_3repE0EEENS1_30default_config_static_selectorELNS0_4arch9wavefront6targetE0EEEvT1_ ; -- Begin function _ZN7rocprim17ROCPRIM_400000_NS6detail17trampoline_kernelINS0_14default_configENS1_27scan_by_key_config_selectorIiiEEZZNS1_16scan_by_key_implILNS1_25lookback_scan_determinismE0ELb1ES3_N6thrust23THRUST_200600_302600_NS6detail15normal_iteratorINS9_10device_ptrIiEEEENSB_INSC_IjEEEESE_iNS9_4plusIvEENS9_8equal_toIvEEiEE10hipError_tPvRmT2_T3_T4_T5_mT6_T7_P12ihipStream_tbENKUlT_T0_E_clISt17integral_constantIbLb1EES10_IbLb0EEEEDaSW_SX_EUlSW_E_NS1_11comp_targetILNS1_3genE4ELNS1_11target_archE910ELNS1_3gpuE8ELNS1_3repE0EEENS1_30default_config_static_selectorELNS0_4arch9wavefront6targetE0EEEvT1_
	.globl	_ZN7rocprim17ROCPRIM_400000_NS6detail17trampoline_kernelINS0_14default_configENS1_27scan_by_key_config_selectorIiiEEZZNS1_16scan_by_key_implILNS1_25lookback_scan_determinismE0ELb1ES3_N6thrust23THRUST_200600_302600_NS6detail15normal_iteratorINS9_10device_ptrIiEEEENSB_INSC_IjEEEESE_iNS9_4plusIvEENS9_8equal_toIvEEiEE10hipError_tPvRmT2_T3_T4_T5_mT6_T7_P12ihipStream_tbENKUlT_T0_E_clISt17integral_constantIbLb1EES10_IbLb0EEEEDaSW_SX_EUlSW_E_NS1_11comp_targetILNS1_3genE4ELNS1_11target_archE910ELNS1_3gpuE8ELNS1_3repE0EEENS1_30default_config_static_selectorELNS0_4arch9wavefront6targetE0EEEvT1_
	.p2align	8
	.type	_ZN7rocprim17ROCPRIM_400000_NS6detail17trampoline_kernelINS0_14default_configENS1_27scan_by_key_config_selectorIiiEEZZNS1_16scan_by_key_implILNS1_25lookback_scan_determinismE0ELb1ES3_N6thrust23THRUST_200600_302600_NS6detail15normal_iteratorINS9_10device_ptrIiEEEENSB_INSC_IjEEEESE_iNS9_4plusIvEENS9_8equal_toIvEEiEE10hipError_tPvRmT2_T3_T4_T5_mT6_T7_P12ihipStream_tbENKUlT_T0_E_clISt17integral_constantIbLb1EES10_IbLb0EEEEDaSW_SX_EUlSW_E_NS1_11comp_targetILNS1_3genE4ELNS1_11target_archE910ELNS1_3gpuE8ELNS1_3repE0EEENS1_30default_config_static_selectorELNS0_4arch9wavefront6targetE0EEEvT1_,@function
_ZN7rocprim17ROCPRIM_400000_NS6detail17trampoline_kernelINS0_14default_configENS1_27scan_by_key_config_selectorIiiEEZZNS1_16scan_by_key_implILNS1_25lookback_scan_determinismE0ELb1ES3_N6thrust23THRUST_200600_302600_NS6detail15normal_iteratorINS9_10device_ptrIiEEEENSB_INSC_IjEEEESE_iNS9_4plusIvEENS9_8equal_toIvEEiEE10hipError_tPvRmT2_T3_T4_T5_mT6_T7_P12ihipStream_tbENKUlT_T0_E_clISt17integral_constantIbLb1EES10_IbLb0EEEEDaSW_SX_EUlSW_E_NS1_11comp_targetILNS1_3genE4ELNS1_11target_archE910ELNS1_3gpuE8ELNS1_3repE0EEENS1_30default_config_static_selectorELNS0_4arch9wavefront6targetE0EEEvT1_: ; @_ZN7rocprim17ROCPRIM_400000_NS6detail17trampoline_kernelINS0_14default_configENS1_27scan_by_key_config_selectorIiiEEZZNS1_16scan_by_key_implILNS1_25lookback_scan_determinismE0ELb1ES3_N6thrust23THRUST_200600_302600_NS6detail15normal_iteratorINS9_10device_ptrIiEEEENSB_INSC_IjEEEESE_iNS9_4plusIvEENS9_8equal_toIvEEiEE10hipError_tPvRmT2_T3_T4_T5_mT6_T7_P12ihipStream_tbENKUlT_T0_E_clISt17integral_constantIbLb1EES10_IbLb0EEEEDaSW_SX_EUlSW_E_NS1_11comp_targetILNS1_3genE4ELNS1_11target_archE910ELNS1_3gpuE8ELNS1_3repE0EEENS1_30default_config_static_selectorELNS0_4arch9wavefront6targetE0EEEvT1_
; %bb.0:
	.section	.rodata,"a",@progbits
	.p2align	6, 0x0
	.amdhsa_kernel _ZN7rocprim17ROCPRIM_400000_NS6detail17trampoline_kernelINS0_14default_configENS1_27scan_by_key_config_selectorIiiEEZZNS1_16scan_by_key_implILNS1_25lookback_scan_determinismE0ELb1ES3_N6thrust23THRUST_200600_302600_NS6detail15normal_iteratorINS9_10device_ptrIiEEEENSB_INSC_IjEEEESE_iNS9_4plusIvEENS9_8equal_toIvEEiEE10hipError_tPvRmT2_T3_T4_T5_mT6_T7_P12ihipStream_tbENKUlT_T0_E_clISt17integral_constantIbLb1EES10_IbLb0EEEEDaSW_SX_EUlSW_E_NS1_11comp_targetILNS1_3genE4ELNS1_11target_archE910ELNS1_3gpuE8ELNS1_3repE0EEENS1_30default_config_static_selectorELNS0_4arch9wavefront6targetE0EEEvT1_
		.amdhsa_group_segment_fixed_size 0
		.amdhsa_private_segment_fixed_size 0
		.amdhsa_kernarg_size 112
		.amdhsa_user_sgpr_count 2
		.amdhsa_user_sgpr_dispatch_ptr 0
		.amdhsa_user_sgpr_queue_ptr 0
		.amdhsa_user_sgpr_kernarg_segment_ptr 1
		.amdhsa_user_sgpr_dispatch_id 0
		.amdhsa_user_sgpr_kernarg_preload_length 0
		.amdhsa_user_sgpr_kernarg_preload_offset 0
		.amdhsa_user_sgpr_private_segment_size 0
		.amdhsa_wavefront_size32 1
		.amdhsa_uses_dynamic_stack 0
		.amdhsa_enable_private_segment 0
		.amdhsa_system_sgpr_workgroup_id_x 1
		.amdhsa_system_sgpr_workgroup_id_y 0
		.amdhsa_system_sgpr_workgroup_id_z 0
		.amdhsa_system_sgpr_workgroup_info 0
		.amdhsa_system_vgpr_workitem_id 0
		.amdhsa_next_free_vgpr 1
		.amdhsa_next_free_sgpr 1
		.amdhsa_named_barrier_count 0
		.amdhsa_reserve_vcc 0
		.amdhsa_float_round_mode_32 0
		.amdhsa_float_round_mode_16_64 0
		.amdhsa_float_denorm_mode_32 3
		.amdhsa_float_denorm_mode_16_64 3
		.amdhsa_fp16_overflow 0
		.amdhsa_memory_ordered 1
		.amdhsa_forward_progress 1
		.amdhsa_inst_pref_size 0
		.amdhsa_round_robin_scheduling 0
		.amdhsa_exception_fp_ieee_invalid_op 0
		.amdhsa_exception_fp_denorm_src 0
		.amdhsa_exception_fp_ieee_div_zero 0
		.amdhsa_exception_fp_ieee_overflow 0
		.amdhsa_exception_fp_ieee_underflow 0
		.amdhsa_exception_fp_ieee_inexact 0
		.amdhsa_exception_int_div_zero 0
	.end_amdhsa_kernel
	.section	.text._ZN7rocprim17ROCPRIM_400000_NS6detail17trampoline_kernelINS0_14default_configENS1_27scan_by_key_config_selectorIiiEEZZNS1_16scan_by_key_implILNS1_25lookback_scan_determinismE0ELb1ES3_N6thrust23THRUST_200600_302600_NS6detail15normal_iteratorINS9_10device_ptrIiEEEENSB_INSC_IjEEEESE_iNS9_4plusIvEENS9_8equal_toIvEEiEE10hipError_tPvRmT2_T3_T4_T5_mT6_T7_P12ihipStream_tbENKUlT_T0_E_clISt17integral_constantIbLb1EES10_IbLb0EEEEDaSW_SX_EUlSW_E_NS1_11comp_targetILNS1_3genE4ELNS1_11target_archE910ELNS1_3gpuE8ELNS1_3repE0EEENS1_30default_config_static_selectorELNS0_4arch9wavefront6targetE0EEEvT1_,"axG",@progbits,_ZN7rocprim17ROCPRIM_400000_NS6detail17trampoline_kernelINS0_14default_configENS1_27scan_by_key_config_selectorIiiEEZZNS1_16scan_by_key_implILNS1_25lookback_scan_determinismE0ELb1ES3_N6thrust23THRUST_200600_302600_NS6detail15normal_iteratorINS9_10device_ptrIiEEEENSB_INSC_IjEEEESE_iNS9_4plusIvEENS9_8equal_toIvEEiEE10hipError_tPvRmT2_T3_T4_T5_mT6_T7_P12ihipStream_tbENKUlT_T0_E_clISt17integral_constantIbLb1EES10_IbLb0EEEEDaSW_SX_EUlSW_E_NS1_11comp_targetILNS1_3genE4ELNS1_11target_archE910ELNS1_3gpuE8ELNS1_3repE0EEENS1_30default_config_static_selectorELNS0_4arch9wavefront6targetE0EEEvT1_,comdat
.Lfunc_end1773:
	.size	_ZN7rocprim17ROCPRIM_400000_NS6detail17trampoline_kernelINS0_14default_configENS1_27scan_by_key_config_selectorIiiEEZZNS1_16scan_by_key_implILNS1_25lookback_scan_determinismE0ELb1ES3_N6thrust23THRUST_200600_302600_NS6detail15normal_iteratorINS9_10device_ptrIiEEEENSB_INSC_IjEEEESE_iNS9_4plusIvEENS9_8equal_toIvEEiEE10hipError_tPvRmT2_T3_T4_T5_mT6_T7_P12ihipStream_tbENKUlT_T0_E_clISt17integral_constantIbLb1EES10_IbLb0EEEEDaSW_SX_EUlSW_E_NS1_11comp_targetILNS1_3genE4ELNS1_11target_archE910ELNS1_3gpuE8ELNS1_3repE0EEENS1_30default_config_static_selectorELNS0_4arch9wavefront6targetE0EEEvT1_, .Lfunc_end1773-_ZN7rocprim17ROCPRIM_400000_NS6detail17trampoline_kernelINS0_14default_configENS1_27scan_by_key_config_selectorIiiEEZZNS1_16scan_by_key_implILNS1_25lookback_scan_determinismE0ELb1ES3_N6thrust23THRUST_200600_302600_NS6detail15normal_iteratorINS9_10device_ptrIiEEEENSB_INSC_IjEEEESE_iNS9_4plusIvEENS9_8equal_toIvEEiEE10hipError_tPvRmT2_T3_T4_T5_mT6_T7_P12ihipStream_tbENKUlT_T0_E_clISt17integral_constantIbLb1EES10_IbLb0EEEEDaSW_SX_EUlSW_E_NS1_11comp_targetILNS1_3genE4ELNS1_11target_archE910ELNS1_3gpuE8ELNS1_3repE0EEENS1_30default_config_static_selectorELNS0_4arch9wavefront6targetE0EEEvT1_
                                        ; -- End function
	.set _ZN7rocprim17ROCPRIM_400000_NS6detail17trampoline_kernelINS0_14default_configENS1_27scan_by_key_config_selectorIiiEEZZNS1_16scan_by_key_implILNS1_25lookback_scan_determinismE0ELb1ES3_N6thrust23THRUST_200600_302600_NS6detail15normal_iteratorINS9_10device_ptrIiEEEENSB_INSC_IjEEEESE_iNS9_4plusIvEENS9_8equal_toIvEEiEE10hipError_tPvRmT2_T3_T4_T5_mT6_T7_P12ihipStream_tbENKUlT_T0_E_clISt17integral_constantIbLb1EES10_IbLb0EEEEDaSW_SX_EUlSW_E_NS1_11comp_targetILNS1_3genE4ELNS1_11target_archE910ELNS1_3gpuE8ELNS1_3repE0EEENS1_30default_config_static_selectorELNS0_4arch9wavefront6targetE0EEEvT1_.num_vgpr, 0
	.set _ZN7rocprim17ROCPRIM_400000_NS6detail17trampoline_kernelINS0_14default_configENS1_27scan_by_key_config_selectorIiiEEZZNS1_16scan_by_key_implILNS1_25lookback_scan_determinismE0ELb1ES3_N6thrust23THRUST_200600_302600_NS6detail15normal_iteratorINS9_10device_ptrIiEEEENSB_INSC_IjEEEESE_iNS9_4plusIvEENS9_8equal_toIvEEiEE10hipError_tPvRmT2_T3_T4_T5_mT6_T7_P12ihipStream_tbENKUlT_T0_E_clISt17integral_constantIbLb1EES10_IbLb0EEEEDaSW_SX_EUlSW_E_NS1_11comp_targetILNS1_3genE4ELNS1_11target_archE910ELNS1_3gpuE8ELNS1_3repE0EEENS1_30default_config_static_selectorELNS0_4arch9wavefront6targetE0EEEvT1_.num_agpr, 0
	.set _ZN7rocprim17ROCPRIM_400000_NS6detail17trampoline_kernelINS0_14default_configENS1_27scan_by_key_config_selectorIiiEEZZNS1_16scan_by_key_implILNS1_25lookback_scan_determinismE0ELb1ES3_N6thrust23THRUST_200600_302600_NS6detail15normal_iteratorINS9_10device_ptrIiEEEENSB_INSC_IjEEEESE_iNS9_4plusIvEENS9_8equal_toIvEEiEE10hipError_tPvRmT2_T3_T4_T5_mT6_T7_P12ihipStream_tbENKUlT_T0_E_clISt17integral_constantIbLb1EES10_IbLb0EEEEDaSW_SX_EUlSW_E_NS1_11comp_targetILNS1_3genE4ELNS1_11target_archE910ELNS1_3gpuE8ELNS1_3repE0EEENS1_30default_config_static_selectorELNS0_4arch9wavefront6targetE0EEEvT1_.numbered_sgpr, 0
	.set _ZN7rocprim17ROCPRIM_400000_NS6detail17trampoline_kernelINS0_14default_configENS1_27scan_by_key_config_selectorIiiEEZZNS1_16scan_by_key_implILNS1_25lookback_scan_determinismE0ELb1ES3_N6thrust23THRUST_200600_302600_NS6detail15normal_iteratorINS9_10device_ptrIiEEEENSB_INSC_IjEEEESE_iNS9_4plusIvEENS9_8equal_toIvEEiEE10hipError_tPvRmT2_T3_T4_T5_mT6_T7_P12ihipStream_tbENKUlT_T0_E_clISt17integral_constantIbLb1EES10_IbLb0EEEEDaSW_SX_EUlSW_E_NS1_11comp_targetILNS1_3genE4ELNS1_11target_archE910ELNS1_3gpuE8ELNS1_3repE0EEENS1_30default_config_static_selectorELNS0_4arch9wavefront6targetE0EEEvT1_.num_named_barrier, 0
	.set _ZN7rocprim17ROCPRIM_400000_NS6detail17trampoline_kernelINS0_14default_configENS1_27scan_by_key_config_selectorIiiEEZZNS1_16scan_by_key_implILNS1_25lookback_scan_determinismE0ELb1ES3_N6thrust23THRUST_200600_302600_NS6detail15normal_iteratorINS9_10device_ptrIiEEEENSB_INSC_IjEEEESE_iNS9_4plusIvEENS9_8equal_toIvEEiEE10hipError_tPvRmT2_T3_T4_T5_mT6_T7_P12ihipStream_tbENKUlT_T0_E_clISt17integral_constantIbLb1EES10_IbLb0EEEEDaSW_SX_EUlSW_E_NS1_11comp_targetILNS1_3genE4ELNS1_11target_archE910ELNS1_3gpuE8ELNS1_3repE0EEENS1_30default_config_static_selectorELNS0_4arch9wavefront6targetE0EEEvT1_.private_seg_size, 0
	.set _ZN7rocprim17ROCPRIM_400000_NS6detail17trampoline_kernelINS0_14default_configENS1_27scan_by_key_config_selectorIiiEEZZNS1_16scan_by_key_implILNS1_25lookback_scan_determinismE0ELb1ES3_N6thrust23THRUST_200600_302600_NS6detail15normal_iteratorINS9_10device_ptrIiEEEENSB_INSC_IjEEEESE_iNS9_4plusIvEENS9_8equal_toIvEEiEE10hipError_tPvRmT2_T3_T4_T5_mT6_T7_P12ihipStream_tbENKUlT_T0_E_clISt17integral_constantIbLb1EES10_IbLb0EEEEDaSW_SX_EUlSW_E_NS1_11comp_targetILNS1_3genE4ELNS1_11target_archE910ELNS1_3gpuE8ELNS1_3repE0EEENS1_30default_config_static_selectorELNS0_4arch9wavefront6targetE0EEEvT1_.uses_vcc, 0
	.set _ZN7rocprim17ROCPRIM_400000_NS6detail17trampoline_kernelINS0_14default_configENS1_27scan_by_key_config_selectorIiiEEZZNS1_16scan_by_key_implILNS1_25lookback_scan_determinismE0ELb1ES3_N6thrust23THRUST_200600_302600_NS6detail15normal_iteratorINS9_10device_ptrIiEEEENSB_INSC_IjEEEESE_iNS9_4plusIvEENS9_8equal_toIvEEiEE10hipError_tPvRmT2_T3_T4_T5_mT6_T7_P12ihipStream_tbENKUlT_T0_E_clISt17integral_constantIbLb1EES10_IbLb0EEEEDaSW_SX_EUlSW_E_NS1_11comp_targetILNS1_3genE4ELNS1_11target_archE910ELNS1_3gpuE8ELNS1_3repE0EEENS1_30default_config_static_selectorELNS0_4arch9wavefront6targetE0EEEvT1_.uses_flat_scratch, 0
	.set _ZN7rocprim17ROCPRIM_400000_NS6detail17trampoline_kernelINS0_14default_configENS1_27scan_by_key_config_selectorIiiEEZZNS1_16scan_by_key_implILNS1_25lookback_scan_determinismE0ELb1ES3_N6thrust23THRUST_200600_302600_NS6detail15normal_iteratorINS9_10device_ptrIiEEEENSB_INSC_IjEEEESE_iNS9_4plusIvEENS9_8equal_toIvEEiEE10hipError_tPvRmT2_T3_T4_T5_mT6_T7_P12ihipStream_tbENKUlT_T0_E_clISt17integral_constantIbLb1EES10_IbLb0EEEEDaSW_SX_EUlSW_E_NS1_11comp_targetILNS1_3genE4ELNS1_11target_archE910ELNS1_3gpuE8ELNS1_3repE0EEENS1_30default_config_static_selectorELNS0_4arch9wavefront6targetE0EEEvT1_.has_dyn_sized_stack, 0
	.set _ZN7rocprim17ROCPRIM_400000_NS6detail17trampoline_kernelINS0_14default_configENS1_27scan_by_key_config_selectorIiiEEZZNS1_16scan_by_key_implILNS1_25lookback_scan_determinismE0ELb1ES3_N6thrust23THRUST_200600_302600_NS6detail15normal_iteratorINS9_10device_ptrIiEEEENSB_INSC_IjEEEESE_iNS9_4plusIvEENS9_8equal_toIvEEiEE10hipError_tPvRmT2_T3_T4_T5_mT6_T7_P12ihipStream_tbENKUlT_T0_E_clISt17integral_constantIbLb1EES10_IbLb0EEEEDaSW_SX_EUlSW_E_NS1_11comp_targetILNS1_3genE4ELNS1_11target_archE910ELNS1_3gpuE8ELNS1_3repE0EEENS1_30default_config_static_selectorELNS0_4arch9wavefront6targetE0EEEvT1_.has_recursion, 0
	.set _ZN7rocprim17ROCPRIM_400000_NS6detail17trampoline_kernelINS0_14default_configENS1_27scan_by_key_config_selectorIiiEEZZNS1_16scan_by_key_implILNS1_25lookback_scan_determinismE0ELb1ES3_N6thrust23THRUST_200600_302600_NS6detail15normal_iteratorINS9_10device_ptrIiEEEENSB_INSC_IjEEEESE_iNS9_4plusIvEENS9_8equal_toIvEEiEE10hipError_tPvRmT2_T3_T4_T5_mT6_T7_P12ihipStream_tbENKUlT_T0_E_clISt17integral_constantIbLb1EES10_IbLb0EEEEDaSW_SX_EUlSW_E_NS1_11comp_targetILNS1_3genE4ELNS1_11target_archE910ELNS1_3gpuE8ELNS1_3repE0EEENS1_30default_config_static_selectorELNS0_4arch9wavefront6targetE0EEEvT1_.has_indirect_call, 0
	.section	.AMDGPU.csdata,"",@progbits
; Kernel info:
; codeLenInByte = 0
; TotalNumSgprs: 0
; NumVgprs: 0
; ScratchSize: 0
; MemoryBound: 0
; FloatMode: 240
; IeeeMode: 1
; LDSByteSize: 0 bytes/workgroup (compile time only)
; SGPRBlocks: 0
; VGPRBlocks: 0
; NumSGPRsForWavesPerEU: 1
; NumVGPRsForWavesPerEU: 1
; NamedBarCnt: 0
; Occupancy: 16
; WaveLimiterHint : 0
; COMPUTE_PGM_RSRC2:SCRATCH_EN: 0
; COMPUTE_PGM_RSRC2:USER_SGPR: 2
; COMPUTE_PGM_RSRC2:TRAP_HANDLER: 0
; COMPUTE_PGM_RSRC2:TGID_X_EN: 1
; COMPUTE_PGM_RSRC2:TGID_Y_EN: 0
; COMPUTE_PGM_RSRC2:TGID_Z_EN: 0
; COMPUTE_PGM_RSRC2:TIDIG_COMP_CNT: 0
	.section	.text._ZN7rocprim17ROCPRIM_400000_NS6detail17trampoline_kernelINS0_14default_configENS1_27scan_by_key_config_selectorIiiEEZZNS1_16scan_by_key_implILNS1_25lookback_scan_determinismE0ELb1ES3_N6thrust23THRUST_200600_302600_NS6detail15normal_iteratorINS9_10device_ptrIiEEEENSB_INSC_IjEEEESE_iNS9_4plusIvEENS9_8equal_toIvEEiEE10hipError_tPvRmT2_T3_T4_T5_mT6_T7_P12ihipStream_tbENKUlT_T0_E_clISt17integral_constantIbLb1EES10_IbLb0EEEEDaSW_SX_EUlSW_E_NS1_11comp_targetILNS1_3genE3ELNS1_11target_archE908ELNS1_3gpuE7ELNS1_3repE0EEENS1_30default_config_static_selectorELNS0_4arch9wavefront6targetE0EEEvT1_,"axG",@progbits,_ZN7rocprim17ROCPRIM_400000_NS6detail17trampoline_kernelINS0_14default_configENS1_27scan_by_key_config_selectorIiiEEZZNS1_16scan_by_key_implILNS1_25lookback_scan_determinismE0ELb1ES3_N6thrust23THRUST_200600_302600_NS6detail15normal_iteratorINS9_10device_ptrIiEEEENSB_INSC_IjEEEESE_iNS9_4plusIvEENS9_8equal_toIvEEiEE10hipError_tPvRmT2_T3_T4_T5_mT6_T7_P12ihipStream_tbENKUlT_T0_E_clISt17integral_constantIbLb1EES10_IbLb0EEEEDaSW_SX_EUlSW_E_NS1_11comp_targetILNS1_3genE3ELNS1_11target_archE908ELNS1_3gpuE7ELNS1_3repE0EEENS1_30default_config_static_selectorELNS0_4arch9wavefront6targetE0EEEvT1_,comdat
	.protected	_ZN7rocprim17ROCPRIM_400000_NS6detail17trampoline_kernelINS0_14default_configENS1_27scan_by_key_config_selectorIiiEEZZNS1_16scan_by_key_implILNS1_25lookback_scan_determinismE0ELb1ES3_N6thrust23THRUST_200600_302600_NS6detail15normal_iteratorINS9_10device_ptrIiEEEENSB_INSC_IjEEEESE_iNS9_4plusIvEENS9_8equal_toIvEEiEE10hipError_tPvRmT2_T3_T4_T5_mT6_T7_P12ihipStream_tbENKUlT_T0_E_clISt17integral_constantIbLb1EES10_IbLb0EEEEDaSW_SX_EUlSW_E_NS1_11comp_targetILNS1_3genE3ELNS1_11target_archE908ELNS1_3gpuE7ELNS1_3repE0EEENS1_30default_config_static_selectorELNS0_4arch9wavefront6targetE0EEEvT1_ ; -- Begin function _ZN7rocprim17ROCPRIM_400000_NS6detail17trampoline_kernelINS0_14default_configENS1_27scan_by_key_config_selectorIiiEEZZNS1_16scan_by_key_implILNS1_25lookback_scan_determinismE0ELb1ES3_N6thrust23THRUST_200600_302600_NS6detail15normal_iteratorINS9_10device_ptrIiEEEENSB_INSC_IjEEEESE_iNS9_4plusIvEENS9_8equal_toIvEEiEE10hipError_tPvRmT2_T3_T4_T5_mT6_T7_P12ihipStream_tbENKUlT_T0_E_clISt17integral_constantIbLb1EES10_IbLb0EEEEDaSW_SX_EUlSW_E_NS1_11comp_targetILNS1_3genE3ELNS1_11target_archE908ELNS1_3gpuE7ELNS1_3repE0EEENS1_30default_config_static_selectorELNS0_4arch9wavefront6targetE0EEEvT1_
	.globl	_ZN7rocprim17ROCPRIM_400000_NS6detail17trampoline_kernelINS0_14default_configENS1_27scan_by_key_config_selectorIiiEEZZNS1_16scan_by_key_implILNS1_25lookback_scan_determinismE0ELb1ES3_N6thrust23THRUST_200600_302600_NS6detail15normal_iteratorINS9_10device_ptrIiEEEENSB_INSC_IjEEEESE_iNS9_4plusIvEENS9_8equal_toIvEEiEE10hipError_tPvRmT2_T3_T4_T5_mT6_T7_P12ihipStream_tbENKUlT_T0_E_clISt17integral_constantIbLb1EES10_IbLb0EEEEDaSW_SX_EUlSW_E_NS1_11comp_targetILNS1_3genE3ELNS1_11target_archE908ELNS1_3gpuE7ELNS1_3repE0EEENS1_30default_config_static_selectorELNS0_4arch9wavefront6targetE0EEEvT1_
	.p2align	8
	.type	_ZN7rocprim17ROCPRIM_400000_NS6detail17trampoline_kernelINS0_14default_configENS1_27scan_by_key_config_selectorIiiEEZZNS1_16scan_by_key_implILNS1_25lookback_scan_determinismE0ELb1ES3_N6thrust23THRUST_200600_302600_NS6detail15normal_iteratorINS9_10device_ptrIiEEEENSB_INSC_IjEEEESE_iNS9_4plusIvEENS9_8equal_toIvEEiEE10hipError_tPvRmT2_T3_T4_T5_mT6_T7_P12ihipStream_tbENKUlT_T0_E_clISt17integral_constantIbLb1EES10_IbLb0EEEEDaSW_SX_EUlSW_E_NS1_11comp_targetILNS1_3genE3ELNS1_11target_archE908ELNS1_3gpuE7ELNS1_3repE0EEENS1_30default_config_static_selectorELNS0_4arch9wavefront6targetE0EEEvT1_,@function
_ZN7rocprim17ROCPRIM_400000_NS6detail17trampoline_kernelINS0_14default_configENS1_27scan_by_key_config_selectorIiiEEZZNS1_16scan_by_key_implILNS1_25lookback_scan_determinismE0ELb1ES3_N6thrust23THRUST_200600_302600_NS6detail15normal_iteratorINS9_10device_ptrIiEEEENSB_INSC_IjEEEESE_iNS9_4plusIvEENS9_8equal_toIvEEiEE10hipError_tPvRmT2_T3_T4_T5_mT6_T7_P12ihipStream_tbENKUlT_T0_E_clISt17integral_constantIbLb1EES10_IbLb0EEEEDaSW_SX_EUlSW_E_NS1_11comp_targetILNS1_3genE3ELNS1_11target_archE908ELNS1_3gpuE7ELNS1_3repE0EEENS1_30default_config_static_selectorELNS0_4arch9wavefront6targetE0EEEvT1_: ; @_ZN7rocprim17ROCPRIM_400000_NS6detail17trampoline_kernelINS0_14default_configENS1_27scan_by_key_config_selectorIiiEEZZNS1_16scan_by_key_implILNS1_25lookback_scan_determinismE0ELb1ES3_N6thrust23THRUST_200600_302600_NS6detail15normal_iteratorINS9_10device_ptrIiEEEENSB_INSC_IjEEEESE_iNS9_4plusIvEENS9_8equal_toIvEEiEE10hipError_tPvRmT2_T3_T4_T5_mT6_T7_P12ihipStream_tbENKUlT_T0_E_clISt17integral_constantIbLb1EES10_IbLb0EEEEDaSW_SX_EUlSW_E_NS1_11comp_targetILNS1_3genE3ELNS1_11target_archE908ELNS1_3gpuE7ELNS1_3repE0EEENS1_30default_config_static_selectorELNS0_4arch9wavefront6targetE0EEEvT1_
; %bb.0:
	.section	.rodata,"a",@progbits
	.p2align	6, 0x0
	.amdhsa_kernel _ZN7rocprim17ROCPRIM_400000_NS6detail17trampoline_kernelINS0_14default_configENS1_27scan_by_key_config_selectorIiiEEZZNS1_16scan_by_key_implILNS1_25lookback_scan_determinismE0ELb1ES3_N6thrust23THRUST_200600_302600_NS6detail15normal_iteratorINS9_10device_ptrIiEEEENSB_INSC_IjEEEESE_iNS9_4plusIvEENS9_8equal_toIvEEiEE10hipError_tPvRmT2_T3_T4_T5_mT6_T7_P12ihipStream_tbENKUlT_T0_E_clISt17integral_constantIbLb1EES10_IbLb0EEEEDaSW_SX_EUlSW_E_NS1_11comp_targetILNS1_3genE3ELNS1_11target_archE908ELNS1_3gpuE7ELNS1_3repE0EEENS1_30default_config_static_selectorELNS0_4arch9wavefront6targetE0EEEvT1_
		.amdhsa_group_segment_fixed_size 0
		.amdhsa_private_segment_fixed_size 0
		.amdhsa_kernarg_size 112
		.amdhsa_user_sgpr_count 2
		.amdhsa_user_sgpr_dispatch_ptr 0
		.amdhsa_user_sgpr_queue_ptr 0
		.amdhsa_user_sgpr_kernarg_segment_ptr 1
		.amdhsa_user_sgpr_dispatch_id 0
		.amdhsa_user_sgpr_kernarg_preload_length 0
		.amdhsa_user_sgpr_kernarg_preload_offset 0
		.amdhsa_user_sgpr_private_segment_size 0
		.amdhsa_wavefront_size32 1
		.amdhsa_uses_dynamic_stack 0
		.amdhsa_enable_private_segment 0
		.amdhsa_system_sgpr_workgroup_id_x 1
		.amdhsa_system_sgpr_workgroup_id_y 0
		.amdhsa_system_sgpr_workgroup_id_z 0
		.amdhsa_system_sgpr_workgroup_info 0
		.amdhsa_system_vgpr_workitem_id 0
		.amdhsa_next_free_vgpr 1
		.amdhsa_next_free_sgpr 1
		.amdhsa_named_barrier_count 0
		.amdhsa_reserve_vcc 0
		.amdhsa_float_round_mode_32 0
		.amdhsa_float_round_mode_16_64 0
		.amdhsa_float_denorm_mode_32 3
		.amdhsa_float_denorm_mode_16_64 3
		.amdhsa_fp16_overflow 0
		.amdhsa_memory_ordered 1
		.amdhsa_forward_progress 1
		.amdhsa_inst_pref_size 0
		.amdhsa_round_robin_scheduling 0
		.amdhsa_exception_fp_ieee_invalid_op 0
		.amdhsa_exception_fp_denorm_src 0
		.amdhsa_exception_fp_ieee_div_zero 0
		.amdhsa_exception_fp_ieee_overflow 0
		.amdhsa_exception_fp_ieee_underflow 0
		.amdhsa_exception_fp_ieee_inexact 0
		.amdhsa_exception_int_div_zero 0
	.end_amdhsa_kernel
	.section	.text._ZN7rocprim17ROCPRIM_400000_NS6detail17trampoline_kernelINS0_14default_configENS1_27scan_by_key_config_selectorIiiEEZZNS1_16scan_by_key_implILNS1_25lookback_scan_determinismE0ELb1ES3_N6thrust23THRUST_200600_302600_NS6detail15normal_iteratorINS9_10device_ptrIiEEEENSB_INSC_IjEEEESE_iNS9_4plusIvEENS9_8equal_toIvEEiEE10hipError_tPvRmT2_T3_T4_T5_mT6_T7_P12ihipStream_tbENKUlT_T0_E_clISt17integral_constantIbLb1EES10_IbLb0EEEEDaSW_SX_EUlSW_E_NS1_11comp_targetILNS1_3genE3ELNS1_11target_archE908ELNS1_3gpuE7ELNS1_3repE0EEENS1_30default_config_static_selectorELNS0_4arch9wavefront6targetE0EEEvT1_,"axG",@progbits,_ZN7rocprim17ROCPRIM_400000_NS6detail17trampoline_kernelINS0_14default_configENS1_27scan_by_key_config_selectorIiiEEZZNS1_16scan_by_key_implILNS1_25lookback_scan_determinismE0ELb1ES3_N6thrust23THRUST_200600_302600_NS6detail15normal_iteratorINS9_10device_ptrIiEEEENSB_INSC_IjEEEESE_iNS9_4plusIvEENS9_8equal_toIvEEiEE10hipError_tPvRmT2_T3_T4_T5_mT6_T7_P12ihipStream_tbENKUlT_T0_E_clISt17integral_constantIbLb1EES10_IbLb0EEEEDaSW_SX_EUlSW_E_NS1_11comp_targetILNS1_3genE3ELNS1_11target_archE908ELNS1_3gpuE7ELNS1_3repE0EEENS1_30default_config_static_selectorELNS0_4arch9wavefront6targetE0EEEvT1_,comdat
.Lfunc_end1774:
	.size	_ZN7rocprim17ROCPRIM_400000_NS6detail17trampoline_kernelINS0_14default_configENS1_27scan_by_key_config_selectorIiiEEZZNS1_16scan_by_key_implILNS1_25lookback_scan_determinismE0ELb1ES3_N6thrust23THRUST_200600_302600_NS6detail15normal_iteratorINS9_10device_ptrIiEEEENSB_INSC_IjEEEESE_iNS9_4plusIvEENS9_8equal_toIvEEiEE10hipError_tPvRmT2_T3_T4_T5_mT6_T7_P12ihipStream_tbENKUlT_T0_E_clISt17integral_constantIbLb1EES10_IbLb0EEEEDaSW_SX_EUlSW_E_NS1_11comp_targetILNS1_3genE3ELNS1_11target_archE908ELNS1_3gpuE7ELNS1_3repE0EEENS1_30default_config_static_selectorELNS0_4arch9wavefront6targetE0EEEvT1_, .Lfunc_end1774-_ZN7rocprim17ROCPRIM_400000_NS6detail17trampoline_kernelINS0_14default_configENS1_27scan_by_key_config_selectorIiiEEZZNS1_16scan_by_key_implILNS1_25lookback_scan_determinismE0ELb1ES3_N6thrust23THRUST_200600_302600_NS6detail15normal_iteratorINS9_10device_ptrIiEEEENSB_INSC_IjEEEESE_iNS9_4plusIvEENS9_8equal_toIvEEiEE10hipError_tPvRmT2_T3_T4_T5_mT6_T7_P12ihipStream_tbENKUlT_T0_E_clISt17integral_constantIbLb1EES10_IbLb0EEEEDaSW_SX_EUlSW_E_NS1_11comp_targetILNS1_3genE3ELNS1_11target_archE908ELNS1_3gpuE7ELNS1_3repE0EEENS1_30default_config_static_selectorELNS0_4arch9wavefront6targetE0EEEvT1_
                                        ; -- End function
	.set _ZN7rocprim17ROCPRIM_400000_NS6detail17trampoline_kernelINS0_14default_configENS1_27scan_by_key_config_selectorIiiEEZZNS1_16scan_by_key_implILNS1_25lookback_scan_determinismE0ELb1ES3_N6thrust23THRUST_200600_302600_NS6detail15normal_iteratorINS9_10device_ptrIiEEEENSB_INSC_IjEEEESE_iNS9_4plusIvEENS9_8equal_toIvEEiEE10hipError_tPvRmT2_T3_T4_T5_mT6_T7_P12ihipStream_tbENKUlT_T0_E_clISt17integral_constantIbLb1EES10_IbLb0EEEEDaSW_SX_EUlSW_E_NS1_11comp_targetILNS1_3genE3ELNS1_11target_archE908ELNS1_3gpuE7ELNS1_3repE0EEENS1_30default_config_static_selectorELNS0_4arch9wavefront6targetE0EEEvT1_.num_vgpr, 0
	.set _ZN7rocprim17ROCPRIM_400000_NS6detail17trampoline_kernelINS0_14default_configENS1_27scan_by_key_config_selectorIiiEEZZNS1_16scan_by_key_implILNS1_25lookback_scan_determinismE0ELb1ES3_N6thrust23THRUST_200600_302600_NS6detail15normal_iteratorINS9_10device_ptrIiEEEENSB_INSC_IjEEEESE_iNS9_4plusIvEENS9_8equal_toIvEEiEE10hipError_tPvRmT2_T3_T4_T5_mT6_T7_P12ihipStream_tbENKUlT_T0_E_clISt17integral_constantIbLb1EES10_IbLb0EEEEDaSW_SX_EUlSW_E_NS1_11comp_targetILNS1_3genE3ELNS1_11target_archE908ELNS1_3gpuE7ELNS1_3repE0EEENS1_30default_config_static_selectorELNS0_4arch9wavefront6targetE0EEEvT1_.num_agpr, 0
	.set _ZN7rocprim17ROCPRIM_400000_NS6detail17trampoline_kernelINS0_14default_configENS1_27scan_by_key_config_selectorIiiEEZZNS1_16scan_by_key_implILNS1_25lookback_scan_determinismE0ELb1ES3_N6thrust23THRUST_200600_302600_NS6detail15normal_iteratorINS9_10device_ptrIiEEEENSB_INSC_IjEEEESE_iNS9_4plusIvEENS9_8equal_toIvEEiEE10hipError_tPvRmT2_T3_T4_T5_mT6_T7_P12ihipStream_tbENKUlT_T0_E_clISt17integral_constantIbLb1EES10_IbLb0EEEEDaSW_SX_EUlSW_E_NS1_11comp_targetILNS1_3genE3ELNS1_11target_archE908ELNS1_3gpuE7ELNS1_3repE0EEENS1_30default_config_static_selectorELNS0_4arch9wavefront6targetE0EEEvT1_.numbered_sgpr, 0
	.set _ZN7rocprim17ROCPRIM_400000_NS6detail17trampoline_kernelINS0_14default_configENS1_27scan_by_key_config_selectorIiiEEZZNS1_16scan_by_key_implILNS1_25lookback_scan_determinismE0ELb1ES3_N6thrust23THRUST_200600_302600_NS6detail15normal_iteratorINS9_10device_ptrIiEEEENSB_INSC_IjEEEESE_iNS9_4plusIvEENS9_8equal_toIvEEiEE10hipError_tPvRmT2_T3_T4_T5_mT6_T7_P12ihipStream_tbENKUlT_T0_E_clISt17integral_constantIbLb1EES10_IbLb0EEEEDaSW_SX_EUlSW_E_NS1_11comp_targetILNS1_3genE3ELNS1_11target_archE908ELNS1_3gpuE7ELNS1_3repE0EEENS1_30default_config_static_selectorELNS0_4arch9wavefront6targetE0EEEvT1_.num_named_barrier, 0
	.set _ZN7rocprim17ROCPRIM_400000_NS6detail17trampoline_kernelINS0_14default_configENS1_27scan_by_key_config_selectorIiiEEZZNS1_16scan_by_key_implILNS1_25lookback_scan_determinismE0ELb1ES3_N6thrust23THRUST_200600_302600_NS6detail15normal_iteratorINS9_10device_ptrIiEEEENSB_INSC_IjEEEESE_iNS9_4plusIvEENS9_8equal_toIvEEiEE10hipError_tPvRmT2_T3_T4_T5_mT6_T7_P12ihipStream_tbENKUlT_T0_E_clISt17integral_constantIbLb1EES10_IbLb0EEEEDaSW_SX_EUlSW_E_NS1_11comp_targetILNS1_3genE3ELNS1_11target_archE908ELNS1_3gpuE7ELNS1_3repE0EEENS1_30default_config_static_selectorELNS0_4arch9wavefront6targetE0EEEvT1_.private_seg_size, 0
	.set _ZN7rocprim17ROCPRIM_400000_NS6detail17trampoline_kernelINS0_14default_configENS1_27scan_by_key_config_selectorIiiEEZZNS1_16scan_by_key_implILNS1_25lookback_scan_determinismE0ELb1ES3_N6thrust23THRUST_200600_302600_NS6detail15normal_iteratorINS9_10device_ptrIiEEEENSB_INSC_IjEEEESE_iNS9_4plusIvEENS9_8equal_toIvEEiEE10hipError_tPvRmT2_T3_T4_T5_mT6_T7_P12ihipStream_tbENKUlT_T0_E_clISt17integral_constantIbLb1EES10_IbLb0EEEEDaSW_SX_EUlSW_E_NS1_11comp_targetILNS1_3genE3ELNS1_11target_archE908ELNS1_3gpuE7ELNS1_3repE0EEENS1_30default_config_static_selectorELNS0_4arch9wavefront6targetE0EEEvT1_.uses_vcc, 0
	.set _ZN7rocprim17ROCPRIM_400000_NS6detail17trampoline_kernelINS0_14default_configENS1_27scan_by_key_config_selectorIiiEEZZNS1_16scan_by_key_implILNS1_25lookback_scan_determinismE0ELb1ES3_N6thrust23THRUST_200600_302600_NS6detail15normal_iteratorINS9_10device_ptrIiEEEENSB_INSC_IjEEEESE_iNS9_4plusIvEENS9_8equal_toIvEEiEE10hipError_tPvRmT2_T3_T4_T5_mT6_T7_P12ihipStream_tbENKUlT_T0_E_clISt17integral_constantIbLb1EES10_IbLb0EEEEDaSW_SX_EUlSW_E_NS1_11comp_targetILNS1_3genE3ELNS1_11target_archE908ELNS1_3gpuE7ELNS1_3repE0EEENS1_30default_config_static_selectorELNS0_4arch9wavefront6targetE0EEEvT1_.uses_flat_scratch, 0
	.set _ZN7rocprim17ROCPRIM_400000_NS6detail17trampoline_kernelINS0_14default_configENS1_27scan_by_key_config_selectorIiiEEZZNS1_16scan_by_key_implILNS1_25lookback_scan_determinismE0ELb1ES3_N6thrust23THRUST_200600_302600_NS6detail15normal_iteratorINS9_10device_ptrIiEEEENSB_INSC_IjEEEESE_iNS9_4plusIvEENS9_8equal_toIvEEiEE10hipError_tPvRmT2_T3_T4_T5_mT6_T7_P12ihipStream_tbENKUlT_T0_E_clISt17integral_constantIbLb1EES10_IbLb0EEEEDaSW_SX_EUlSW_E_NS1_11comp_targetILNS1_3genE3ELNS1_11target_archE908ELNS1_3gpuE7ELNS1_3repE0EEENS1_30default_config_static_selectorELNS0_4arch9wavefront6targetE0EEEvT1_.has_dyn_sized_stack, 0
	.set _ZN7rocprim17ROCPRIM_400000_NS6detail17trampoline_kernelINS0_14default_configENS1_27scan_by_key_config_selectorIiiEEZZNS1_16scan_by_key_implILNS1_25lookback_scan_determinismE0ELb1ES3_N6thrust23THRUST_200600_302600_NS6detail15normal_iteratorINS9_10device_ptrIiEEEENSB_INSC_IjEEEESE_iNS9_4plusIvEENS9_8equal_toIvEEiEE10hipError_tPvRmT2_T3_T4_T5_mT6_T7_P12ihipStream_tbENKUlT_T0_E_clISt17integral_constantIbLb1EES10_IbLb0EEEEDaSW_SX_EUlSW_E_NS1_11comp_targetILNS1_3genE3ELNS1_11target_archE908ELNS1_3gpuE7ELNS1_3repE0EEENS1_30default_config_static_selectorELNS0_4arch9wavefront6targetE0EEEvT1_.has_recursion, 0
	.set _ZN7rocprim17ROCPRIM_400000_NS6detail17trampoline_kernelINS0_14default_configENS1_27scan_by_key_config_selectorIiiEEZZNS1_16scan_by_key_implILNS1_25lookback_scan_determinismE0ELb1ES3_N6thrust23THRUST_200600_302600_NS6detail15normal_iteratorINS9_10device_ptrIiEEEENSB_INSC_IjEEEESE_iNS9_4plusIvEENS9_8equal_toIvEEiEE10hipError_tPvRmT2_T3_T4_T5_mT6_T7_P12ihipStream_tbENKUlT_T0_E_clISt17integral_constantIbLb1EES10_IbLb0EEEEDaSW_SX_EUlSW_E_NS1_11comp_targetILNS1_3genE3ELNS1_11target_archE908ELNS1_3gpuE7ELNS1_3repE0EEENS1_30default_config_static_selectorELNS0_4arch9wavefront6targetE0EEEvT1_.has_indirect_call, 0
	.section	.AMDGPU.csdata,"",@progbits
; Kernel info:
; codeLenInByte = 0
; TotalNumSgprs: 0
; NumVgprs: 0
; ScratchSize: 0
; MemoryBound: 0
; FloatMode: 240
; IeeeMode: 1
; LDSByteSize: 0 bytes/workgroup (compile time only)
; SGPRBlocks: 0
; VGPRBlocks: 0
; NumSGPRsForWavesPerEU: 1
; NumVGPRsForWavesPerEU: 1
; NamedBarCnt: 0
; Occupancy: 16
; WaveLimiterHint : 0
; COMPUTE_PGM_RSRC2:SCRATCH_EN: 0
; COMPUTE_PGM_RSRC2:USER_SGPR: 2
; COMPUTE_PGM_RSRC2:TRAP_HANDLER: 0
; COMPUTE_PGM_RSRC2:TGID_X_EN: 1
; COMPUTE_PGM_RSRC2:TGID_Y_EN: 0
; COMPUTE_PGM_RSRC2:TGID_Z_EN: 0
; COMPUTE_PGM_RSRC2:TIDIG_COMP_CNT: 0
	.section	.text._ZN7rocprim17ROCPRIM_400000_NS6detail17trampoline_kernelINS0_14default_configENS1_27scan_by_key_config_selectorIiiEEZZNS1_16scan_by_key_implILNS1_25lookback_scan_determinismE0ELb1ES3_N6thrust23THRUST_200600_302600_NS6detail15normal_iteratorINS9_10device_ptrIiEEEENSB_INSC_IjEEEESE_iNS9_4plusIvEENS9_8equal_toIvEEiEE10hipError_tPvRmT2_T3_T4_T5_mT6_T7_P12ihipStream_tbENKUlT_T0_E_clISt17integral_constantIbLb1EES10_IbLb0EEEEDaSW_SX_EUlSW_E_NS1_11comp_targetILNS1_3genE2ELNS1_11target_archE906ELNS1_3gpuE6ELNS1_3repE0EEENS1_30default_config_static_selectorELNS0_4arch9wavefront6targetE0EEEvT1_,"axG",@progbits,_ZN7rocprim17ROCPRIM_400000_NS6detail17trampoline_kernelINS0_14default_configENS1_27scan_by_key_config_selectorIiiEEZZNS1_16scan_by_key_implILNS1_25lookback_scan_determinismE0ELb1ES3_N6thrust23THRUST_200600_302600_NS6detail15normal_iteratorINS9_10device_ptrIiEEEENSB_INSC_IjEEEESE_iNS9_4plusIvEENS9_8equal_toIvEEiEE10hipError_tPvRmT2_T3_T4_T5_mT6_T7_P12ihipStream_tbENKUlT_T0_E_clISt17integral_constantIbLb1EES10_IbLb0EEEEDaSW_SX_EUlSW_E_NS1_11comp_targetILNS1_3genE2ELNS1_11target_archE906ELNS1_3gpuE6ELNS1_3repE0EEENS1_30default_config_static_selectorELNS0_4arch9wavefront6targetE0EEEvT1_,comdat
	.protected	_ZN7rocprim17ROCPRIM_400000_NS6detail17trampoline_kernelINS0_14default_configENS1_27scan_by_key_config_selectorIiiEEZZNS1_16scan_by_key_implILNS1_25lookback_scan_determinismE0ELb1ES3_N6thrust23THRUST_200600_302600_NS6detail15normal_iteratorINS9_10device_ptrIiEEEENSB_INSC_IjEEEESE_iNS9_4plusIvEENS9_8equal_toIvEEiEE10hipError_tPvRmT2_T3_T4_T5_mT6_T7_P12ihipStream_tbENKUlT_T0_E_clISt17integral_constantIbLb1EES10_IbLb0EEEEDaSW_SX_EUlSW_E_NS1_11comp_targetILNS1_3genE2ELNS1_11target_archE906ELNS1_3gpuE6ELNS1_3repE0EEENS1_30default_config_static_selectorELNS0_4arch9wavefront6targetE0EEEvT1_ ; -- Begin function _ZN7rocprim17ROCPRIM_400000_NS6detail17trampoline_kernelINS0_14default_configENS1_27scan_by_key_config_selectorIiiEEZZNS1_16scan_by_key_implILNS1_25lookback_scan_determinismE0ELb1ES3_N6thrust23THRUST_200600_302600_NS6detail15normal_iteratorINS9_10device_ptrIiEEEENSB_INSC_IjEEEESE_iNS9_4plusIvEENS9_8equal_toIvEEiEE10hipError_tPvRmT2_T3_T4_T5_mT6_T7_P12ihipStream_tbENKUlT_T0_E_clISt17integral_constantIbLb1EES10_IbLb0EEEEDaSW_SX_EUlSW_E_NS1_11comp_targetILNS1_3genE2ELNS1_11target_archE906ELNS1_3gpuE6ELNS1_3repE0EEENS1_30default_config_static_selectorELNS0_4arch9wavefront6targetE0EEEvT1_
	.globl	_ZN7rocprim17ROCPRIM_400000_NS6detail17trampoline_kernelINS0_14default_configENS1_27scan_by_key_config_selectorIiiEEZZNS1_16scan_by_key_implILNS1_25lookback_scan_determinismE0ELb1ES3_N6thrust23THRUST_200600_302600_NS6detail15normal_iteratorINS9_10device_ptrIiEEEENSB_INSC_IjEEEESE_iNS9_4plusIvEENS9_8equal_toIvEEiEE10hipError_tPvRmT2_T3_T4_T5_mT6_T7_P12ihipStream_tbENKUlT_T0_E_clISt17integral_constantIbLb1EES10_IbLb0EEEEDaSW_SX_EUlSW_E_NS1_11comp_targetILNS1_3genE2ELNS1_11target_archE906ELNS1_3gpuE6ELNS1_3repE0EEENS1_30default_config_static_selectorELNS0_4arch9wavefront6targetE0EEEvT1_
	.p2align	8
	.type	_ZN7rocprim17ROCPRIM_400000_NS6detail17trampoline_kernelINS0_14default_configENS1_27scan_by_key_config_selectorIiiEEZZNS1_16scan_by_key_implILNS1_25lookback_scan_determinismE0ELb1ES3_N6thrust23THRUST_200600_302600_NS6detail15normal_iteratorINS9_10device_ptrIiEEEENSB_INSC_IjEEEESE_iNS9_4plusIvEENS9_8equal_toIvEEiEE10hipError_tPvRmT2_T3_T4_T5_mT6_T7_P12ihipStream_tbENKUlT_T0_E_clISt17integral_constantIbLb1EES10_IbLb0EEEEDaSW_SX_EUlSW_E_NS1_11comp_targetILNS1_3genE2ELNS1_11target_archE906ELNS1_3gpuE6ELNS1_3repE0EEENS1_30default_config_static_selectorELNS0_4arch9wavefront6targetE0EEEvT1_,@function
_ZN7rocprim17ROCPRIM_400000_NS6detail17trampoline_kernelINS0_14default_configENS1_27scan_by_key_config_selectorIiiEEZZNS1_16scan_by_key_implILNS1_25lookback_scan_determinismE0ELb1ES3_N6thrust23THRUST_200600_302600_NS6detail15normal_iteratorINS9_10device_ptrIiEEEENSB_INSC_IjEEEESE_iNS9_4plusIvEENS9_8equal_toIvEEiEE10hipError_tPvRmT2_T3_T4_T5_mT6_T7_P12ihipStream_tbENKUlT_T0_E_clISt17integral_constantIbLb1EES10_IbLb0EEEEDaSW_SX_EUlSW_E_NS1_11comp_targetILNS1_3genE2ELNS1_11target_archE906ELNS1_3gpuE6ELNS1_3repE0EEENS1_30default_config_static_selectorELNS0_4arch9wavefront6targetE0EEEvT1_: ; @_ZN7rocprim17ROCPRIM_400000_NS6detail17trampoline_kernelINS0_14default_configENS1_27scan_by_key_config_selectorIiiEEZZNS1_16scan_by_key_implILNS1_25lookback_scan_determinismE0ELb1ES3_N6thrust23THRUST_200600_302600_NS6detail15normal_iteratorINS9_10device_ptrIiEEEENSB_INSC_IjEEEESE_iNS9_4plusIvEENS9_8equal_toIvEEiEE10hipError_tPvRmT2_T3_T4_T5_mT6_T7_P12ihipStream_tbENKUlT_T0_E_clISt17integral_constantIbLb1EES10_IbLb0EEEEDaSW_SX_EUlSW_E_NS1_11comp_targetILNS1_3genE2ELNS1_11target_archE906ELNS1_3gpuE6ELNS1_3repE0EEENS1_30default_config_static_selectorELNS0_4arch9wavefront6targetE0EEEvT1_
; %bb.0:
	.section	.rodata,"a",@progbits
	.p2align	6, 0x0
	.amdhsa_kernel _ZN7rocprim17ROCPRIM_400000_NS6detail17trampoline_kernelINS0_14default_configENS1_27scan_by_key_config_selectorIiiEEZZNS1_16scan_by_key_implILNS1_25lookback_scan_determinismE0ELb1ES3_N6thrust23THRUST_200600_302600_NS6detail15normal_iteratorINS9_10device_ptrIiEEEENSB_INSC_IjEEEESE_iNS9_4plusIvEENS9_8equal_toIvEEiEE10hipError_tPvRmT2_T3_T4_T5_mT6_T7_P12ihipStream_tbENKUlT_T0_E_clISt17integral_constantIbLb1EES10_IbLb0EEEEDaSW_SX_EUlSW_E_NS1_11comp_targetILNS1_3genE2ELNS1_11target_archE906ELNS1_3gpuE6ELNS1_3repE0EEENS1_30default_config_static_selectorELNS0_4arch9wavefront6targetE0EEEvT1_
		.amdhsa_group_segment_fixed_size 0
		.amdhsa_private_segment_fixed_size 0
		.amdhsa_kernarg_size 112
		.amdhsa_user_sgpr_count 2
		.amdhsa_user_sgpr_dispatch_ptr 0
		.amdhsa_user_sgpr_queue_ptr 0
		.amdhsa_user_sgpr_kernarg_segment_ptr 1
		.amdhsa_user_sgpr_dispatch_id 0
		.amdhsa_user_sgpr_kernarg_preload_length 0
		.amdhsa_user_sgpr_kernarg_preload_offset 0
		.amdhsa_user_sgpr_private_segment_size 0
		.amdhsa_wavefront_size32 1
		.amdhsa_uses_dynamic_stack 0
		.amdhsa_enable_private_segment 0
		.amdhsa_system_sgpr_workgroup_id_x 1
		.amdhsa_system_sgpr_workgroup_id_y 0
		.amdhsa_system_sgpr_workgroup_id_z 0
		.amdhsa_system_sgpr_workgroup_info 0
		.amdhsa_system_vgpr_workitem_id 0
		.amdhsa_next_free_vgpr 1
		.amdhsa_next_free_sgpr 1
		.amdhsa_named_barrier_count 0
		.amdhsa_reserve_vcc 0
		.amdhsa_float_round_mode_32 0
		.amdhsa_float_round_mode_16_64 0
		.amdhsa_float_denorm_mode_32 3
		.amdhsa_float_denorm_mode_16_64 3
		.amdhsa_fp16_overflow 0
		.amdhsa_memory_ordered 1
		.amdhsa_forward_progress 1
		.amdhsa_inst_pref_size 0
		.amdhsa_round_robin_scheduling 0
		.amdhsa_exception_fp_ieee_invalid_op 0
		.amdhsa_exception_fp_denorm_src 0
		.amdhsa_exception_fp_ieee_div_zero 0
		.amdhsa_exception_fp_ieee_overflow 0
		.amdhsa_exception_fp_ieee_underflow 0
		.amdhsa_exception_fp_ieee_inexact 0
		.amdhsa_exception_int_div_zero 0
	.end_amdhsa_kernel
	.section	.text._ZN7rocprim17ROCPRIM_400000_NS6detail17trampoline_kernelINS0_14default_configENS1_27scan_by_key_config_selectorIiiEEZZNS1_16scan_by_key_implILNS1_25lookback_scan_determinismE0ELb1ES3_N6thrust23THRUST_200600_302600_NS6detail15normal_iteratorINS9_10device_ptrIiEEEENSB_INSC_IjEEEESE_iNS9_4plusIvEENS9_8equal_toIvEEiEE10hipError_tPvRmT2_T3_T4_T5_mT6_T7_P12ihipStream_tbENKUlT_T0_E_clISt17integral_constantIbLb1EES10_IbLb0EEEEDaSW_SX_EUlSW_E_NS1_11comp_targetILNS1_3genE2ELNS1_11target_archE906ELNS1_3gpuE6ELNS1_3repE0EEENS1_30default_config_static_selectorELNS0_4arch9wavefront6targetE0EEEvT1_,"axG",@progbits,_ZN7rocprim17ROCPRIM_400000_NS6detail17trampoline_kernelINS0_14default_configENS1_27scan_by_key_config_selectorIiiEEZZNS1_16scan_by_key_implILNS1_25lookback_scan_determinismE0ELb1ES3_N6thrust23THRUST_200600_302600_NS6detail15normal_iteratorINS9_10device_ptrIiEEEENSB_INSC_IjEEEESE_iNS9_4plusIvEENS9_8equal_toIvEEiEE10hipError_tPvRmT2_T3_T4_T5_mT6_T7_P12ihipStream_tbENKUlT_T0_E_clISt17integral_constantIbLb1EES10_IbLb0EEEEDaSW_SX_EUlSW_E_NS1_11comp_targetILNS1_3genE2ELNS1_11target_archE906ELNS1_3gpuE6ELNS1_3repE0EEENS1_30default_config_static_selectorELNS0_4arch9wavefront6targetE0EEEvT1_,comdat
.Lfunc_end1775:
	.size	_ZN7rocprim17ROCPRIM_400000_NS6detail17trampoline_kernelINS0_14default_configENS1_27scan_by_key_config_selectorIiiEEZZNS1_16scan_by_key_implILNS1_25lookback_scan_determinismE0ELb1ES3_N6thrust23THRUST_200600_302600_NS6detail15normal_iteratorINS9_10device_ptrIiEEEENSB_INSC_IjEEEESE_iNS9_4plusIvEENS9_8equal_toIvEEiEE10hipError_tPvRmT2_T3_T4_T5_mT6_T7_P12ihipStream_tbENKUlT_T0_E_clISt17integral_constantIbLb1EES10_IbLb0EEEEDaSW_SX_EUlSW_E_NS1_11comp_targetILNS1_3genE2ELNS1_11target_archE906ELNS1_3gpuE6ELNS1_3repE0EEENS1_30default_config_static_selectorELNS0_4arch9wavefront6targetE0EEEvT1_, .Lfunc_end1775-_ZN7rocprim17ROCPRIM_400000_NS6detail17trampoline_kernelINS0_14default_configENS1_27scan_by_key_config_selectorIiiEEZZNS1_16scan_by_key_implILNS1_25lookback_scan_determinismE0ELb1ES3_N6thrust23THRUST_200600_302600_NS6detail15normal_iteratorINS9_10device_ptrIiEEEENSB_INSC_IjEEEESE_iNS9_4plusIvEENS9_8equal_toIvEEiEE10hipError_tPvRmT2_T3_T4_T5_mT6_T7_P12ihipStream_tbENKUlT_T0_E_clISt17integral_constantIbLb1EES10_IbLb0EEEEDaSW_SX_EUlSW_E_NS1_11comp_targetILNS1_3genE2ELNS1_11target_archE906ELNS1_3gpuE6ELNS1_3repE0EEENS1_30default_config_static_selectorELNS0_4arch9wavefront6targetE0EEEvT1_
                                        ; -- End function
	.set _ZN7rocprim17ROCPRIM_400000_NS6detail17trampoline_kernelINS0_14default_configENS1_27scan_by_key_config_selectorIiiEEZZNS1_16scan_by_key_implILNS1_25lookback_scan_determinismE0ELb1ES3_N6thrust23THRUST_200600_302600_NS6detail15normal_iteratorINS9_10device_ptrIiEEEENSB_INSC_IjEEEESE_iNS9_4plusIvEENS9_8equal_toIvEEiEE10hipError_tPvRmT2_T3_T4_T5_mT6_T7_P12ihipStream_tbENKUlT_T0_E_clISt17integral_constantIbLb1EES10_IbLb0EEEEDaSW_SX_EUlSW_E_NS1_11comp_targetILNS1_3genE2ELNS1_11target_archE906ELNS1_3gpuE6ELNS1_3repE0EEENS1_30default_config_static_selectorELNS0_4arch9wavefront6targetE0EEEvT1_.num_vgpr, 0
	.set _ZN7rocprim17ROCPRIM_400000_NS6detail17trampoline_kernelINS0_14default_configENS1_27scan_by_key_config_selectorIiiEEZZNS1_16scan_by_key_implILNS1_25lookback_scan_determinismE0ELb1ES3_N6thrust23THRUST_200600_302600_NS6detail15normal_iteratorINS9_10device_ptrIiEEEENSB_INSC_IjEEEESE_iNS9_4plusIvEENS9_8equal_toIvEEiEE10hipError_tPvRmT2_T3_T4_T5_mT6_T7_P12ihipStream_tbENKUlT_T0_E_clISt17integral_constantIbLb1EES10_IbLb0EEEEDaSW_SX_EUlSW_E_NS1_11comp_targetILNS1_3genE2ELNS1_11target_archE906ELNS1_3gpuE6ELNS1_3repE0EEENS1_30default_config_static_selectorELNS0_4arch9wavefront6targetE0EEEvT1_.num_agpr, 0
	.set _ZN7rocprim17ROCPRIM_400000_NS6detail17trampoline_kernelINS0_14default_configENS1_27scan_by_key_config_selectorIiiEEZZNS1_16scan_by_key_implILNS1_25lookback_scan_determinismE0ELb1ES3_N6thrust23THRUST_200600_302600_NS6detail15normal_iteratorINS9_10device_ptrIiEEEENSB_INSC_IjEEEESE_iNS9_4plusIvEENS9_8equal_toIvEEiEE10hipError_tPvRmT2_T3_T4_T5_mT6_T7_P12ihipStream_tbENKUlT_T0_E_clISt17integral_constantIbLb1EES10_IbLb0EEEEDaSW_SX_EUlSW_E_NS1_11comp_targetILNS1_3genE2ELNS1_11target_archE906ELNS1_3gpuE6ELNS1_3repE0EEENS1_30default_config_static_selectorELNS0_4arch9wavefront6targetE0EEEvT1_.numbered_sgpr, 0
	.set _ZN7rocprim17ROCPRIM_400000_NS6detail17trampoline_kernelINS0_14default_configENS1_27scan_by_key_config_selectorIiiEEZZNS1_16scan_by_key_implILNS1_25lookback_scan_determinismE0ELb1ES3_N6thrust23THRUST_200600_302600_NS6detail15normal_iteratorINS9_10device_ptrIiEEEENSB_INSC_IjEEEESE_iNS9_4plusIvEENS9_8equal_toIvEEiEE10hipError_tPvRmT2_T3_T4_T5_mT6_T7_P12ihipStream_tbENKUlT_T0_E_clISt17integral_constantIbLb1EES10_IbLb0EEEEDaSW_SX_EUlSW_E_NS1_11comp_targetILNS1_3genE2ELNS1_11target_archE906ELNS1_3gpuE6ELNS1_3repE0EEENS1_30default_config_static_selectorELNS0_4arch9wavefront6targetE0EEEvT1_.num_named_barrier, 0
	.set _ZN7rocprim17ROCPRIM_400000_NS6detail17trampoline_kernelINS0_14default_configENS1_27scan_by_key_config_selectorIiiEEZZNS1_16scan_by_key_implILNS1_25lookback_scan_determinismE0ELb1ES3_N6thrust23THRUST_200600_302600_NS6detail15normal_iteratorINS9_10device_ptrIiEEEENSB_INSC_IjEEEESE_iNS9_4plusIvEENS9_8equal_toIvEEiEE10hipError_tPvRmT2_T3_T4_T5_mT6_T7_P12ihipStream_tbENKUlT_T0_E_clISt17integral_constantIbLb1EES10_IbLb0EEEEDaSW_SX_EUlSW_E_NS1_11comp_targetILNS1_3genE2ELNS1_11target_archE906ELNS1_3gpuE6ELNS1_3repE0EEENS1_30default_config_static_selectorELNS0_4arch9wavefront6targetE0EEEvT1_.private_seg_size, 0
	.set _ZN7rocprim17ROCPRIM_400000_NS6detail17trampoline_kernelINS0_14default_configENS1_27scan_by_key_config_selectorIiiEEZZNS1_16scan_by_key_implILNS1_25lookback_scan_determinismE0ELb1ES3_N6thrust23THRUST_200600_302600_NS6detail15normal_iteratorINS9_10device_ptrIiEEEENSB_INSC_IjEEEESE_iNS9_4plusIvEENS9_8equal_toIvEEiEE10hipError_tPvRmT2_T3_T4_T5_mT6_T7_P12ihipStream_tbENKUlT_T0_E_clISt17integral_constantIbLb1EES10_IbLb0EEEEDaSW_SX_EUlSW_E_NS1_11comp_targetILNS1_3genE2ELNS1_11target_archE906ELNS1_3gpuE6ELNS1_3repE0EEENS1_30default_config_static_selectorELNS0_4arch9wavefront6targetE0EEEvT1_.uses_vcc, 0
	.set _ZN7rocprim17ROCPRIM_400000_NS6detail17trampoline_kernelINS0_14default_configENS1_27scan_by_key_config_selectorIiiEEZZNS1_16scan_by_key_implILNS1_25lookback_scan_determinismE0ELb1ES3_N6thrust23THRUST_200600_302600_NS6detail15normal_iteratorINS9_10device_ptrIiEEEENSB_INSC_IjEEEESE_iNS9_4plusIvEENS9_8equal_toIvEEiEE10hipError_tPvRmT2_T3_T4_T5_mT6_T7_P12ihipStream_tbENKUlT_T0_E_clISt17integral_constantIbLb1EES10_IbLb0EEEEDaSW_SX_EUlSW_E_NS1_11comp_targetILNS1_3genE2ELNS1_11target_archE906ELNS1_3gpuE6ELNS1_3repE0EEENS1_30default_config_static_selectorELNS0_4arch9wavefront6targetE0EEEvT1_.uses_flat_scratch, 0
	.set _ZN7rocprim17ROCPRIM_400000_NS6detail17trampoline_kernelINS0_14default_configENS1_27scan_by_key_config_selectorIiiEEZZNS1_16scan_by_key_implILNS1_25lookback_scan_determinismE0ELb1ES3_N6thrust23THRUST_200600_302600_NS6detail15normal_iteratorINS9_10device_ptrIiEEEENSB_INSC_IjEEEESE_iNS9_4plusIvEENS9_8equal_toIvEEiEE10hipError_tPvRmT2_T3_T4_T5_mT6_T7_P12ihipStream_tbENKUlT_T0_E_clISt17integral_constantIbLb1EES10_IbLb0EEEEDaSW_SX_EUlSW_E_NS1_11comp_targetILNS1_3genE2ELNS1_11target_archE906ELNS1_3gpuE6ELNS1_3repE0EEENS1_30default_config_static_selectorELNS0_4arch9wavefront6targetE0EEEvT1_.has_dyn_sized_stack, 0
	.set _ZN7rocprim17ROCPRIM_400000_NS6detail17trampoline_kernelINS0_14default_configENS1_27scan_by_key_config_selectorIiiEEZZNS1_16scan_by_key_implILNS1_25lookback_scan_determinismE0ELb1ES3_N6thrust23THRUST_200600_302600_NS6detail15normal_iteratorINS9_10device_ptrIiEEEENSB_INSC_IjEEEESE_iNS9_4plusIvEENS9_8equal_toIvEEiEE10hipError_tPvRmT2_T3_T4_T5_mT6_T7_P12ihipStream_tbENKUlT_T0_E_clISt17integral_constantIbLb1EES10_IbLb0EEEEDaSW_SX_EUlSW_E_NS1_11comp_targetILNS1_3genE2ELNS1_11target_archE906ELNS1_3gpuE6ELNS1_3repE0EEENS1_30default_config_static_selectorELNS0_4arch9wavefront6targetE0EEEvT1_.has_recursion, 0
	.set _ZN7rocprim17ROCPRIM_400000_NS6detail17trampoline_kernelINS0_14default_configENS1_27scan_by_key_config_selectorIiiEEZZNS1_16scan_by_key_implILNS1_25lookback_scan_determinismE0ELb1ES3_N6thrust23THRUST_200600_302600_NS6detail15normal_iteratorINS9_10device_ptrIiEEEENSB_INSC_IjEEEESE_iNS9_4plusIvEENS9_8equal_toIvEEiEE10hipError_tPvRmT2_T3_T4_T5_mT6_T7_P12ihipStream_tbENKUlT_T0_E_clISt17integral_constantIbLb1EES10_IbLb0EEEEDaSW_SX_EUlSW_E_NS1_11comp_targetILNS1_3genE2ELNS1_11target_archE906ELNS1_3gpuE6ELNS1_3repE0EEENS1_30default_config_static_selectorELNS0_4arch9wavefront6targetE0EEEvT1_.has_indirect_call, 0
	.section	.AMDGPU.csdata,"",@progbits
; Kernel info:
; codeLenInByte = 0
; TotalNumSgprs: 0
; NumVgprs: 0
; ScratchSize: 0
; MemoryBound: 0
; FloatMode: 240
; IeeeMode: 1
; LDSByteSize: 0 bytes/workgroup (compile time only)
; SGPRBlocks: 0
; VGPRBlocks: 0
; NumSGPRsForWavesPerEU: 1
; NumVGPRsForWavesPerEU: 1
; NamedBarCnt: 0
; Occupancy: 16
; WaveLimiterHint : 0
; COMPUTE_PGM_RSRC2:SCRATCH_EN: 0
; COMPUTE_PGM_RSRC2:USER_SGPR: 2
; COMPUTE_PGM_RSRC2:TRAP_HANDLER: 0
; COMPUTE_PGM_RSRC2:TGID_X_EN: 1
; COMPUTE_PGM_RSRC2:TGID_Y_EN: 0
; COMPUTE_PGM_RSRC2:TGID_Z_EN: 0
; COMPUTE_PGM_RSRC2:TIDIG_COMP_CNT: 0
	.section	.text._ZN7rocprim17ROCPRIM_400000_NS6detail17trampoline_kernelINS0_14default_configENS1_27scan_by_key_config_selectorIiiEEZZNS1_16scan_by_key_implILNS1_25lookback_scan_determinismE0ELb1ES3_N6thrust23THRUST_200600_302600_NS6detail15normal_iteratorINS9_10device_ptrIiEEEENSB_INSC_IjEEEESE_iNS9_4plusIvEENS9_8equal_toIvEEiEE10hipError_tPvRmT2_T3_T4_T5_mT6_T7_P12ihipStream_tbENKUlT_T0_E_clISt17integral_constantIbLb1EES10_IbLb0EEEEDaSW_SX_EUlSW_E_NS1_11comp_targetILNS1_3genE10ELNS1_11target_archE1200ELNS1_3gpuE4ELNS1_3repE0EEENS1_30default_config_static_selectorELNS0_4arch9wavefront6targetE0EEEvT1_,"axG",@progbits,_ZN7rocprim17ROCPRIM_400000_NS6detail17trampoline_kernelINS0_14default_configENS1_27scan_by_key_config_selectorIiiEEZZNS1_16scan_by_key_implILNS1_25lookback_scan_determinismE0ELb1ES3_N6thrust23THRUST_200600_302600_NS6detail15normal_iteratorINS9_10device_ptrIiEEEENSB_INSC_IjEEEESE_iNS9_4plusIvEENS9_8equal_toIvEEiEE10hipError_tPvRmT2_T3_T4_T5_mT6_T7_P12ihipStream_tbENKUlT_T0_E_clISt17integral_constantIbLb1EES10_IbLb0EEEEDaSW_SX_EUlSW_E_NS1_11comp_targetILNS1_3genE10ELNS1_11target_archE1200ELNS1_3gpuE4ELNS1_3repE0EEENS1_30default_config_static_selectorELNS0_4arch9wavefront6targetE0EEEvT1_,comdat
	.protected	_ZN7rocprim17ROCPRIM_400000_NS6detail17trampoline_kernelINS0_14default_configENS1_27scan_by_key_config_selectorIiiEEZZNS1_16scan_by_key_implILNS1_25lookback_scan_determinismE0ELb1ES3_N6thrust23THRUST_200600_302600_NS6detail15normal_iteratorINS9_10device_ptrIiEEEENSB_INSC_IjEEEESE_iNS9_4plusIvEENS9_8equal_toIvEEiEE10hipError_tPvRmT2_T3_T4_T5_mT6_T7_P12ihipStream_tbENKUlT_T0_E_clISt17integral_constantIbLb1EES10_IbLb0EEEEDaSW_SX_EUlSW_E_NS1_11comp_targetILNS1_3genE10ELNS1_11target_archE1200ELNS1_3gpuE4ELNS1_3repE0EEENS1_30default_config_static_selectorELNS0_4arch9wavefront6targetE0EEEvT1_ ; -- Begin function _ZN7rocprim17ROCPRIM_400000_NS6detail17trampoline_kernelINS0_14default_configENS1_27scan_by_key_config_selectorIiiEEZZNS1_16scan_by_key_implILNS1_25lookback_scan_determinismE0ELb1ES3_N6thrust23THRUST_200600_302600_NS6detail15normal_iteratorINS9_10device_ptrIiEEEENSB_INSC_IjEEEESE_iNS9_4plusIvEENS9_8equal_toIvEEiEE10hipError_tPvRmT2_T3_T4_T5_mT6_T7_P12ihipStream_tbENKUlT_T0_E_clISt17integral_constantIbLb1EES10_IbLb0EEEEDaSW_SX_EUlSW_E_NS1_11comp_targetILNS1_3genE10ELNS1_11target_archE1200ELNS1_3gpuE4ELNS1_3repE0EEENS1_30default_config_static_selectorELNS0_4arch9wavefront6targetE0EEEvT1_
	.globl	_ZN7rocprim17ROCPRIM_400000_NS6detail17trampoline_kernelINS0_14default_configENS1_27scan_by_key_config_selectorIiiEEZZNS1_16scan_by_key_implILNS1_25lookback_scan_determinismE0ELb1ES3_N6thrust23THRUST_200600_302600_NS6detail15normal_iteratorINS9_10device_ptrIiEEEENSB_INSC_IjEEEESE_iNS9_4plusIvEENS9_8equal_toIvEEiEE10hipError_tPvRmT2_T3_T4_T5_mT6_T7_P12ihipStream_tbENKUlT_T0_E_clISt17integral_constantIbLb1EES10_IbLb0EEEEDaSW_SX_EUlSW_E_NS1_11comp_targetILNS1_3genE10ELNS1_11target_archE1200ELNS1_3gpuE4ELNS1_3repE0EEENS1_30default_config_static_selectorELNS0_4arch9wavefront6targetE0EEEvT1_
	.p2align	8
	.type	_ZN7rocprim17ROCPRIM_400000_NS6detail17trampoline_kernelINS0_14default_configENS1_27scan_by_key_config_selectorIiiEEZZNS1_16scan_by_key_implILNS1_25lookback_scan_determinismE0ELb1ES3_N6thrust23THRUST_200600_302600_NS6detail15normal_iteratorINS9_10device_ptrIiEEEENSB_INSC_IjEEEESE_iNS9_4plusIvEENS9_8equal_toIvEEiEE10hipError_tPvRmT2_T3_T4_T5_mT6_T7_P12ihipStream_tbENKUlT_T0_E_clISt17integral_constantIbLb1EES10_IbLb0EEEEDaSW_SX_EUlSW_E_NS1_11comp_targetILNS1_3genE10ELNS1_11target_archE1200ELNS1_3gpuE4ELNS1_3repE0EEENS1_30default_config_static_selectorELNS0_4arch9wavefront6targetE0EEEvT1_,@function
_ZN7rocprim17ROCPRIM_400000_NS6detail17trampoline_kernelINS0_14default_configENS1_27scan_by_key_config_selectorIiiEEZZNS1_16scan_by_key_implILNS1_25lookback_scan_determinismE0ELb1ES3_N6thrust23THRUST_200600_302600_NS6detail15normal_iteratorINS9_10device_ptrIiEEEENSB_INSC_IjEEEESE_iNS9_4plusIvEENS9_8equal_toIvEEiEE10hipError_tPvRmT2_T3_T4_T5_mT6_T7_P12ihipStream_tbENKUlT_T0_E_clISt17integral_constantIbLb1EES10_IbLb0EEEEDaSW_SX_EUlSW_E_NS1_11comp_targetILNS1_3genE10ELNS1_11target_archE1200ELNS1_3gpuE4ELNS1_3repE0EEENS1_30default_config_static_selectorELNS0_4arch9wavefront6targetE0EEEvT1_: ; @_ZN7rocprim17ROCPRIM_400000_NS6detail17trampoline_kernelINS0_14default_configENS1_27scan_by_key_config_selectorIiiEEZZNS1_16scan_by_key_implILNS1_25lookback_scan_determinismE0ELb1ES3_N6thrust23THRUST_200600_302600_NS6detail15normal_iteratorINS9_10device_ptrIiEEEENSB_INSC_IjEEEESE_iNS9_4plusIvEENS9_8equal_toIvEEiEE10hipError_tPvRmT2_T3_T4_T5_mT6_T7_P12ihipStream_tbENKUlT_T0_E_clISt17integral_constantIbLb1EES10_IbLb0EEEEDaSW_SX_EUlSW_E_NS1_11comp_targetILNS1_3genE10ELNS1_11target_archE1200ELNS1_3gpuE4ELNS1_3repE0EEENS1_30default_config_static_selectorELNS0_4arch9wavefront6targetE0EEEvT1_
; %bb.0:
	.section	.rodata,"a",@progbits
	.p2align	6, 0x0
	.amdhsa_kernel _ZN7rocprim17ROCPRIM_400000_NS6detail17trampoline_kernelINS0_14default_configENS1_27scan_by_key_config_selectorIiiEEZZNS1_16scan_by_key_implILNS1_25lookback_scan_determinismE0ELb1ES3_N6thrust23THRUST_200600_302600_NS6detail15normal_iteratorINS9_10device_ptrIiEEEENSB_INSC_IjEEEESE_iNS9_4plusIvEENS9_8equal_toIvEEiEE10hipError_tPvRmT2_T3_T4_T5_mT6_T7_P12ihipStream_tbENKUlT_T0_E_clISt17integral_constantIbLb1EES10_IbLb0EEEEDaSW_SX_EUlSW_E_NS1_11comp_targetILNS1_3genE10ELNS1_11target_archE1200ELNS1_3gpuE4ELNS1_3repE0EEENS1_30default_config_static_selectorELNS0_4arch9wavefront6targetE0EEEvT1_
		.amdhsa_group_segment_fixed_size 0
		.amdhsa_private_segment_fixed_size 0
		.amdhsa_kernarg_size 112
		.amdhsa_user_sgpr_count 2
		.amdhsa_user_sgpr_dispatch_ptr 0
		.amdhsa_user_sgpr_queue_ptr 0
		.amdhsa_user_sgpr_kernarg_segment_ptr 1
		.amdhsa_user_sgpr_dispatch_id 0
		.amdhsa_user_sgpr_kernarg_preload_length 0
		.amdhsa_user_sgpr_kernarg_preload_offset 0
		.amdhsa_user_sgpr_private_segment_size 0
		.amdhsa_wavefront_size32 1
		.amdhsa_uses_dynamic_stack 0
		.amdhsa_enable_private_segment 0
		.amdhsa_system_sgpr_workgroup_id_x 1
		.amdhsa_system_sgpr_workgroup_id_y 0
		.amdhsa_system_sgpr_workgroup_id_z 0
		.amdhsa_system_sgpr_workgroup_info 0
		.amdhsa_system_vgpr_workitem_id 0
		.amdhsa_next_free_vgpr 1
		.amdhsa_next_free_sgpr 1
		.amdhsa_named_barrier_count 0
		.amdhsa_reserve_vcc 0
		.amdhsa_float_round_mode_32 0
		.amdhsa_float_round_mode_16_64 0
		.amdhsa_float_denorm_mode_32 3
		.amdhsa_float_denorm_mode_16_64 3
		.amdhsa_fp16_overflow 0
		.amdhsa_memory_ordered 1
		.amdhsa_forward_progress 1
		.amdhsa_inst_pref_size 0
		.amdhsa_round_robin_scheduling 0
		.amdhsa_exception_fp_ieee_invalid_op 0
		.amdhsa_exception_fp_denorm_src 0
		.amdhsa_exception_fp_ieee_div_zero 0
		.amdhsa_exception_fp_ieee_overflow 0
		.amdhsa_exception_fp_ieee_underflow 0
		.amdhsa_exception_fp_ieee_inexact 0
		.amdhsa_exception_int_div_zero 0
	.end_amdhsa_kernel
	.section	.text._ZN7rocprim17ROCPRIM_400000_NS6detail17trampoline_kernelINS0_14default_configENS1_27scan_by_key_config_selectorIiiEEZZNS1_16scan_by_key_implILNS1_25lookback_scan_determinismE0ELb1ES3_N6thrust23THRUST_200600_302600_NS6detail15normal_iteratorINS9_10device_ptrIiEEEENSB_INSC_IjEEEESE_iNS9_4plusIvEENS9_8equal_toIvEEiEE10hipError_tPvRmT2_T3_T4_T5_mT6_T7_P12ihipStream_tbENKUlT_T0_E_clISt17integral_constantIbLb1EES10_IbLb0EEEEDaSW_SX_EUlSW_E_NS1_11comp_targetILNS1_3genE10ELNS1_11target_archE1200ELNS1_3gpuE4ELNS1_3repE0EEENS1_30default_config_static_selectorELNS0_4arch9wavefront6targetE0EEEvT1_,"axG",@progbits,_ZN7rocprim17ROCPRIM_400000_NS6detail17trampoline_kernelINS0_14default_configENS1_27scan_by_key_config_selectorIiiEEZZNS1_16scan_by_key_implILNS1_25lookback_scan_determinismE0ELb1ES3_N6thrust23THRUST_200600_302600_NS6detail15normal_iteratorINS9_10device_ptrIiEEEENSB_INSC_IjEEEESE_iNS9_4plusIvEENS9_8equal_toIvEEiEE10hipError_tPvRmT2_T3_T4_T5_mT6_T7_P12ihipStream_tbENKUlT_T0_E_clISt17integral_constantIbLb1EES10_IbLb0EEEEDaSW_SX_EUlSW_E_NS1_11comp_targetILNS1_3genE10ELNS1_11target_archE1200ELNS1_3gpuE4ELNS1_3repE0EEENS1_30default_config_static_selectorELNS0_4arch9wavefront6targetE0EEEvT1_,comdat
.Lfunc_end1776:
	.size	_ZN7rocprim17ROCPRIM_400000_NS6detail17trampoline_kernelINS0_14default_configENS1_27scan_by_key_config_selectorIiiEEZZNS1_16scan_by_key_implILNS1_25lookback_scan_determinismE0ELb1ES3_N6thrust23THRUST_200600_302600_NS6detail15normal_iteratorINS9_10device_ptrIiEEEENSB_INSC_IjEEEESE_iNS9_4plusIvEENS9_8equal_toIvEEiEE10hipError_tPvRmT2_T3_T4_T5_mT6_T7_P12ihipStream_tbENKUlT_T0_E_clISt17integral_constantIbLb1EES10_IbLb0EEEEDaSW_SX_EUlSW_E_NS1_11comp_targetILNS1_3genE10ELNS1_11target_archE1200ELNS1_3gpuE4ELNS1_3repE0EEENS1_30default_config_static_selectorELNS0_4arch9wavefront6targetE0EEEvT1_, .Lfunc_end1776-_ZN7rocprim17ROCPRIM_400000_NS6detail17trampoline_kernelINS0_14default_configENS1_27scan_by_key_config_selectorIiiEEZZNS1_16scan_by_key_implILNS1_25lookback_scan_determinismE0ELb1ES3_N6thrust23THRUST_200600_302600_NS6detail15normal_iteratorINS9_10device_ptrIiEEEENSB_INSC_IjEEEESE_iNS9_4plusIvEENS9_8equal_toIvEEiEE10hipError_tPvRmT2_T3_T4_T5_mT6_T7_P12ihipStream_tbENKUlT_T0_E_clISt17integral_constantIbLb1EES10_IbLb0EEEEDaSW_SX_EUlSW_E_NS1_11comp_targetILNS1_3genE10ELNS1_11target_archE1200ELNS1_3gpuE4ELNS1_3repE0EEENS1_30default_config_static_selectorELNS0_4arch9wavefront6targetE0EEEvT1_
                                        ; -- End function
	.set _ZN7rocprim17ROCPRIM_400000_NS6detail17trampoline_kernelINS0_14default_configENS1_27scan_by_key_config_selectorIiiEEZZNS1_16scan_by_key_implILNS1_25lookback_scan_determinismE0ELb1ES3_N6thrust23THRUST_200600_302600_NS6detail15normal_iteratorINS9_10device_ptrIiEEEENSB_INSC_IjEEEESE_iNS9_4plusIvEENS9_8equal_toIvEEiEE10hipError_tPvRmT2_T3_T4_T5_mT6_T7_P12ihipStream_tbENKUlT_T0_E_clISt17integral_constantIbLb1EES10_IbLb0EEEEDaSW_SX_EUlSW_E_NS1_11comp_targetILNS1_3genE10ELNS1_11target_archE1200ELNS1_3gpuE4ELNS1_3repE0EEENS1_30default_config_static_selectorELNS0_4arch9wavefront6targetE0EEEvT1_.num_vgpr, 0
	.set _ZN7rocprim17ROCPRIM_400000_NS6detail17trampoline_kernelINS0_14default_configENS1_27scan_by_key_config_selectorIiiEEZZNS1_16scan_by_key_implILNS1_25lookback_scan_determinismE0ELb1ES3_N6thrust23THRUST_200600_302600_NS6detail15normal_iteratorINS9_10device_ptrIiEEEENSB_INSC_IjEEEESE_iNS9_4plusIvEENS9_8equal_toIvEEiEE10hipError_tPvRmT2_T3_T4_T5_mT6_T7_P12ihipStream_tbENKUlT_T0_E_clISt17integral_constantIbLb1EES10_IbLb0EEEEDaSW_SX_EUlSW_E_NS1_11comp_targetILNS1_3genE10ELNS1_11target_archE1200ELNS1_3gpuE4ELNS1_3repE0EEENS1_30default_config_static_selectorELNS0_4arch9wavefront6targetE0EEEvT1_.num_agpr, 0
	.set _ZN7rocprim17ROCPRIM_400000_NS6detail17trampoline_kernelINS0_14default_configENS1_27scan_by_key_config_selectorIiiEEZZNS1_16scan_by_key_implILNS1_25lookback_scan_determinismE0ELb1ES3_N6thrust23THRUST_200600_302600_NS6detail15normal_iteratorINS9_10device_ptrIiEEEENSB_INSC_IjEEEESE_iNS9_4plusIvEENS9_8equal_toIvEEiEE10hipError_tPvRmT2_T3_T4_T5_mT6_T7_P12ihipStream_tbENKUlT_T0_E_clISt17integral_constantIbLb1EES10_IbLb0EEEEDaSW_SX_EUlSW_E_NS1_11comp_targetILNS1_3genE10ELNS1_11target_archE1200ELNS1_3gpuE4ELNS1_3repE0EEENS1_30default_config_static_selectorELNS0_4arch9wavefront6targetE0EEEvT1_.numbered_sgpr, 0
	.set _ZN7rocprim17ROCPRIM_400000_NS6detail17trampoline_kernelINS0_14default_configENS1_27scan_by_key_config_selectorIiiEEZZNS1_16scan_by_key_implILNS1_25lookback_scan_determinismE0ELb1ES3_N6thrust23THRUST_200600_302600_NS6detail15normal_iteratorINS9_10device_ptrIiEEEENSB_INSC_IjEEEESE_iNS9_4plusIvEENS9_8equal_toIvEEiEE10hipError_tPvRmT2_T3_T4_T5_mT6_T7_P12ihipStream_tbENKUlT_T0_E_clISt17integral_constantIbLb1EES10_IbLb0EEEEDaSW_SX_EUlSW_E_NS1_11comp_targetILNS1_3genE10ELNS1_11target_archE1200ELNS1_3gpuE4ELNS1_3repE0EEENS1_30default_config_static_selectorELNS0_4arch9wavefront6targetE0EEEvT1_.num_named_barrier, 0
	.set _ZN7rocprim17ROCPRIM_400000_NS6detail17trampoline_kernelINS0_14default_configENS1_27scan_by_key_config_selectorIiiEEZZNS1_16scan_by_key_implILNS1_25lookback_scan_determinismE0ELb1ES3_N6thrust23THRUST_200600_302600_NS6detail15normal_iteratorINS9_10device_ptrIiEEEENSB_INSC_IjEEEESE_iNS9_4plusIvEENS9_8equal_toIvEEiEE10hipError_tPvRmT2_T3_T4_T5_mT6_T7_P12ihipStream_tbENKUlT_T0_E_clISt17integral_constantIbLb1EES10_IbLb0EEEEDaSW_SX_EUlSW_E_NS1_11comp_targetILNS1_3genE10ELNS1_11target_archE1200ELNS1_3gpuE4ELNS1_3repE0EEENS1_30default_config_static_selectorELNS0_4arch9wavefront6targetE0EEEvT1_.private_seg_size, 0
	.set _ZN7rocprim17ROCPRIM_400000_NS6detail17trampoline_kernelINS0_14default_configENS1_27scan_by_key_config_selectorIiiEEZZNS1_16scan_by_key_implILNS1_25lookback_scan_determinismE0ELb1ES3_N6thrust23THRUST_200600_302600_NS6detail15normal_iteratorINS9_10device_ptrIiEEEENSB_INSC_IjEEEESE_iNS9_4plusIvEENS9_8equal_toIvEEiEE10hipError_tPvRmT2_T3_T4_T5_mT6_T7_P12ihipStream_tbENKUlT_T0_E_clISt17integral_constantIbLb1EES10_IbLb0EEEEDaSW_SX_EUlSW_E_NS1_11comp_targetILNS1_3genE10ELNS1_11target_archE1200ELNS1_3gpuE4ELNS1_3repE0EEENS1_30default_config_static_selectorELNS0_4arch9wavefront6targetE0EEEvT1_.uses_vcc, 0
	.set _ZN7rocprim17ROCPRIM_400000_NS6detail17trampoline_kernelINS0_14default_configENS1_27scan_by_key_config_selectorIiiEEZZNS1_16scan_by_key_implILNS1_25lookback_scan_determinismE0ELb1ES3_N6thrust23THRUST_200600_302600_NS6detail15normal_iteratorINS9_10device_ptrIiEEEENSB_INSC_IjEEEESE_iNS9_4plusIvEENS9_8equal_toIvEEiEE10hipError_tPvRmT2_T3_T4_T5_mT6_T7_P12ihipStream_tbENKUlT_T0_E_clISt17integral_constantIbLb1EES10_IbLb0EEEEDaSW_SX_EUlSW_E_NS1_11comp_targetILNS1_3genE10ELNS1_11target_archE1200ELNS1_3gpuE4ELNS1_3repE0EEENS1_30default_config_static_selectorELNS0_4arch9wavefront6targetE0EEEvT1_.uses_flat_scratch, 0
	.set _ZN7rocprim17ROCPRIM_400000_NS6detail17trampoline_kernelINS0_14default_configENS1_27scan_by_key_config_selectorIiiEEZZNS1_16scan_by_key_implILNS1_25lookback_scan_determinismE0ELb1ES3_N6thrust23THRUST_200600_302600_NS6detail15normal_iteratorINS9_10device_ptrIiEEEENSB_INSC_IjEEEESE_iNS9_4plusIvEENS9_8equal_toIvEEiEE10hipError_tPvRmT2_T3_T4_T5_mT6_T7_P12ihipStream_tbENKUlT_T0_E_clISt17integral_constantIbLb1EES10_IbLb0EEEEDaSW_SX_EUlSW_E_NS1_11comp_targetILNS1_3genE10ELNS1_11target_archE1200ELNS1_3gpuE4ELNS1_3repE0EEENS1_30default_config_static_selectorELNS0_4arch9wavefront6targetE0EEEvT1_.has_dyn_sized_stack, 0
	.set _ZN7rocprim17ROCPRIM_400000_NS6detail17trampoline_kernelINS0_14default_configENS1_27scan_by_key_config_selectorIiiEEZZNS1_16scan_by_key_implILNS1_25lookback_scan_determinismE0ELb1ES3_N6thrust23THRUST_200600_302600_NS6detail15normal_iteratorINS9_10device_ptrIiEEEENSB_INSC_IjEEEESE_iNS9_4plusIvEENS9_8equal_toIvEEiEE10hipError_tPvRmT2_T3_T4_T5_mT6_T7_P12ihipStream_tbENKUlT_T0_E_clISt17integral_constantIbLb1EES10_IbLb0EEEEDaSW_SX_EUlSW_E_NS1_11comp_targetILNS1_3genE10ELNS1_11target_archE1200ELNS1_3gpuE4ELNS1_3repE0EEENS1_30default_config_static_selectorELNS0_4arch9wavefront6targetE0EEEvT1_.has_recursion, 0
	.set _ZN7rocprim17ROCPRIM_400000_NS6detail17trampoline_kernelINS0_14default_configENS1_27scan_by_key_config_selectorIiiEEZZNS1_16scan_by_key_implILNS1_25lookback_scan_determinismE0ELb1ES3_N6thrust23THRUST_200600_302600_NS6detail15normal_iteratorINS9_10device_ptrIiEEEENSB_INSC_IjEEEESE_iNS9_4plusIvEENS9_8equal_toIvEEiEE10hipError_tPvRmT2_T3_T4_T5_mT6_T7_P12ihipStream_tbENKUlT_T0_E_clISt17integral_constantIbLb1EES10_IbLb0EEEEDaSW_SX_EUlSW_E_NS1_11comp_targetILNS1_3genE10ELNS1_11target_archE1200ELNS1_3gpuE4ELNS1_3repE0EEENS1_30default_config_static_selectorELNS0_4arch9wavefront6targetE0EEEvT1_.has_indirect_call, 0
	.section	.AMDGPU.csdata,"",@progbits
; Kernel info:
; codeLenInByte = 0
; TotalNumSgprs: 0
; NumVgprs: 0
; ScratchSize: 0
; MemoryBound: 0
; FloatMode: 240
; IeeeMode: 1
; LDSByteSize: 0 bytes/workgroup (compile time only)
; SGPRBlocks: 0
; VGPRBlocks: 0
; NumSGPRsForWavesPerEU: 1
; NumVGPRsForWavesPerEU: 1
; NamedBarCnt: 0
; Occupancy: 16
; WaveLimiterHint : 0
; COMPUTE_PGM_RSRC2:SCRATCH_EN: 0
; COMPUTE_PGM_RSRC2:USER_SGPR: 2
; COMPUTE_PGM_RSRC2:TRAP_HANDLER: 0
; COMPUTE_PGM_RSRC2:TGID_X_EN: 1
; COMPUTE_PGM_RSRC2:TGID_Y_EN: 0
; COMPUTE_PGM_RSRC2:TGID_Z_EN: 0
; COMPUTE_PGM_RSRC2:TIDIG_COMP_CNT: 0
	.section	.text._ZN7rocprim17ROCPRIM_400000_NS6detail17trampoline_kernelINS0_14default_configENS1_27scan_by_key_config_selectorIiiEEZZNS1_16scan_by_key_implILNS1_25lookback_scan_determinismE0ELb1ES3_N6thrust23THRUST_200600_302600_NS6detail15normal_iteratorINS9_10device_ptrIiEEEENSB_INSC_IjEEEESE_iNS9_4plusIvEENS9_8equal_toIvEEiEE10hipError_tPvRmT2_T3_T4_T5_mT6_T7_P12ihipStream_tbENKUlT_T0_E_clISt17integral_constantIbLb1EES10_IbLb0EEEEDaSW_SX_EUlSW_E_NS1_11comp_targetILNS1_3genE9ELNS1_11target_archE1100ELNS1_3gpuE3ELNS1_3repE0EEENS1_30default_config_static_selectorELNS0_4arch9wavefront6targetE0EEEvT1_,"axG",@progbits,_ZN7rocprim17ROCPRIM_400000_NS6detail17trampoline_kernelINS0_14default_configENS1_27scan_by_key_config_selectorIiiEEZZNS1_16scan_by_key_implILNS1_25lookback_scan_determinismE0ELb1ES3_N6thrust23THRUST_200600_302600_NS6detail15normal_iteratorINS9_10device_ptrIiEEEENSB_INSC_IjEEEESE_iNS9_4plusIvEENS9_8equal_toIvEEiEE10hipError_tPvRmT2_T3_T4_T5_mT6_T7_P12ihipStream_tbENKUlT_T0_E_clISt17integral_constantIbLb1EES10_IbLb0EEEEDaSW_SX_EUlSW_E_NS1_11comp_targetILNS1_3genE9ELNS1_11target_archE1100ELNS1_3gpuE3ELNS1_3repE0EEENS1_30default_config_static_selectorELNS0_4arch9wavefront6targetE0EEEvT1_,comdat
	.protected	_ZN7rocprim17ROCPRIM_400000_NS6detail17trampoline_kernelINS0_14default_configENS1_27scan_by_key_config_selectorIiiEEZZNS1_16scan_by_key_implILNS1_25lookback_scan_determinismE0ELb1ES3_N6thrust23THRUST_200600_302600_NS6detail15normal_iteratorINS9_10device_ptrIiEEEENSB_INSC_IjEEEESE_iNS9_4plusIvEENS9_8equal_toIvEEiEE10hipError_tPvRmT2_T3_T4_T5_mT6_T7_P12ihipStream_tbENKUlT_T0_E_clISt17integral_constantIbLb1EES10_IbLb0EEEEDaSW_SX_EUlSW_E_NS1_11comp_targetILNS1_3genE9ELNS1_11target_archE1100ELNS1_3gpuE3ELNS1_3repE0EEENS1_30default_config_static_selectorELNS0_4arch9wavefront6targetE0EEEvT1_ ; -- Begin function _ZN7rocprim17ROCPRIM_400000_NS6detail17trampoline_kernelINS0_14default_configENS1_27scan_by_key_config_selectorIiiEEZZNS1_16scan_by_key_implILNS1_25lookback_scan_determinismE0ELb1ES3_N6thrust23THRUST_200600_302600_NS6detail15normal_iteratorINS9_10device_ptrIiEEEENSB_INSC_IjEEEESE_iNS9_4plusIvEENS9_8equal_toIvEEiEE10hipError_tPvRmT2_T3_T4_T5_mT6_T7_P12ihipStream_tbENKUlT_T0_E_clISt17integral_constantIbLb1EES10_IbLb0EEEEDaSW_SX_EUlSW_E_NS1_11comp_targetILNS1_3genE9ELNS1_11target_archE1100ELNS1_3gpuE3ELNS1_3repE0EEENS1_30default_config_static_selectorELNS0_4arch9wavefront6targetE0EEEvT1_
	.globl	_ZN7rocprim17ROCPRIM_400000_NS6detail17trampoline_kernelINS0_14default_configENS1_27scan_by_key_config_selectorIiiEEZZNS1_16scan_by_key_implILNS1_25lookback_scan_determinismE0ELb1ES3_N6thrust23THRUST_200600_302600_NS6detail15normal_iteratorINS9_10device_ptrIiEEEENSB_INSC_IjEEEESE_iNS9_4plusIvEENS9_8equal_toIvEEiEE10hipError_tPvRmT2_T3_T4_T5_mT6_T7_P12ihipStream_tbENKUlT_T0_E_clISt17integral_constantIbLb1EES10_IbLb0EEEEDaSW_SX_EUlSW_E_NS1_11comp_targetILNS1_3genE9ELNS1_11target_archE1100ELNS1_3gpuE3ELNS1_3repE0EEENS1_30default_config_static_selectorELNS0_4arch9wavefront6targetE0EEEvT1_
	.p2align	8
	.type	_ZN7rocprim17ROCPRIM_400000_NS6detail17trampoline_kernelINS0_14default_configENS1_27scan_by_key_config_selectorIiiEEZZNS1_16scan_by_key_implILNS1_25lookback_scan_determinismE0ELb1ES3_N6thrust23THRUST_200600_302600_NS6detail15normal_iteratorINS9_10device_ptrIiEEEENSB_INSC_IjEEEESE_iNS9_4plusIvEENS9_8equal_toIvEEiEE10hipError_tPvRmT2_T3_T4_T5_mT6_T7_P12ihipStream_tbENKUlT_T0_E_clISt17integral_constantIbLb1EES10_IbLb0EEEEDaSW_SX_EUlSW_E_NS1_11comp_targetILNS1_3genE9ELNS1_11target_archE1100ELNS1_3gpuE3ELNS1_3repE0EEENS1_30default_config_static_selectorELNS0_4arch9wavefront6targetE0EEEvT1_,@function
_ZN7rocprim17ROCPRIM_400000_NS6detail17trampoline_kernelINS0_14default_configENS1_27scan_by_key_config_selectorIiiEEZZNS1_16scan_by_key_implILNS1_25lookback_scan_determinismE0ELb1ES3_N6thrust23THRUST_200600_302600_NS6detail15normal_iteratorINS9_10device_ptrIiEEEENSB_INSC_IjEEEESE_iNS9_4plusIvEENS9_8equal_toIvEEiEE10hipError_tPvRmT2_T3_T4_T5_mT6_T7_P12ihipStream_tbENKUlT_T0_E_clISt17integral_constantIbLb1EES10_IbLb0EEEEDaSW_SX_EUlSW_E_NS1_11comp_targetILNS1_3genE9ELNS1_11target_archE1100ELNS1_3gpuE3ELNS1_3repE0EEENS1_30default_config_static_selectorELNS0_4arch9wavefront6targetE0EEEvT1_: ; @_ZN7rocprim17ROCPRIM_400000_NS6detail17trampoline_kernelINS0_14default_configENS1_27scan_by_key_config_selectorIiiEEZZNS1_16scan_by_key_implILNS1_25lookback_scan_determinismE0ELb1ES3_N6thrust23THRUST_200600_302600_NS6detail15normal_iteratorINS9_10device_ptrIiEEEENSB_INSC_IjEEEESE_iNS9_4plusIvEENS9_8equal_toIvEEiEE10hipError_tPvRmT2_T3_T4_T5_mT6_T7_P12ihipStream_tbENKUlT_T0_E_clISt17integral_constantIbLb1EES10_IbLb0EEEEDaSW_SX_EUlSW_E_NS1_11comp_targetILNS1_3genE9ELNS1_11target_archE1100ELNS1_3gpuE3ELNS1_3repE0EEENS1_30default_config_static_selectorELNS0_4arch9wavefront6targetE0EEEvT1_
; %bb.0:
	.section	.rodata,"a",@progbits
	.p2align	6, 0x0
	.amdhsa_kernel _ZN7rocprim17ROCPRIM_400000_NS6detail17trampoline_kernelINS0_14default_configENS1_27scan_by_key_config_selectorIiiEEZZNS1_16scan_by_key_implILNS1_25lookback_scan_determinismE0ELb1ES3_N6thrust23THRUST_200600_302600_NS6detail15normal_iteratorINS9_10device_ptrIiEEEENSB_INSC_IjEEEESE_iNS9_4plusIvEENS9_8equal_toIvEEiEE10hipError_tPvRmT2_T3_T4_T5_mT6_T7_P12ihipStream_tbENKUlT_T0_E_clISt17integral_constantIbLb1EES10_IbLb0EEEEDaSW_SX_EUlSW_E_NS1_11comp_targetILNS1_3genE9ELNS1_11target_archE1100ELNS1_3gpuE3ELNS1_3repE0EEENS1_30default_config_static_selectorELNS0_4arch9wavefront6targetE0EEEvT1_
		.amdhsa_group_segment_fixed_size 0
		.amdhsa_private_segment_fixed_size 0
		.amdhsa_kernarg_size 112
		.amdhsa_user_sgpr_count 2
		.amdhsa_user_sgpr_dispatch_ptr 0
		.amdhsa_user_sgpr_queue_ptr 0
		.amdhsa_user_sgpr_kernarg_segment_ptr 1
		.amdhsa_user_sgpr_dispatch_id 0
		.amdhsa_user_sgpr_kernarg_preload_length 0
		.amdhsa_user_sgpr_kernarg_preload_offset 0
		.amdhsa_user_sgpr_private_segment_size 0
		.amdhsa_wavefront_size32 1
		.amdhsa_uses_dynamic_stack 0
		.amdhsa_enable_private_segment 0
		.amdhsa_system_sgpr_workgroup_id_x 1
		.amdhsa_system_sgpr_workgroup_id_y 0
		.amdhsa_system_sgpr_workgroup_id_z 0
		.amdhsa_system_sgpr_workgroup_info 0
		.amdhsa_system_vgpr_workitem_id 0
		.amdhsa_next_free_vgpr 1
		.amdhsa_next_free_sgpr 1
		.amdhsa_named_barrier_count 0
		.amdhsa_reserve_vcc 0
		.amdhsa_float_round_mode_32 0
		.amdhsa_float_round_mode_16_64 0
		.amdhsa_float_denorm_mode_32 3
		.amdhsa_float_denorm_mode_16_64 3
		.amdhsa_fp16_overflow 0
		.amdhsa_memory_ordered 1
		.amdhsa_forward_progress 1
		.amdhsa_inst_pref_size 0
		.amdhsa_round_robin_scheduling 0
		.amdhsa_exception_fp_ieee_invalid_op 0
		.amdhsa_exception_fp_denorm_src 0
		.amdhsa_exception_fp_ieee_div_zero 0
		.amdhsa_exception_fp_ieee_overflow 0
		.amdhsa_exception_fp_ieee_underflow 0
		.amdhsa_exception_fp_ieee_inexact 0
		.amdhsa_exception_int_div_zero 0
	.end_amdhsa_kernel
	.section	.text._ZN7rocprim17ROCPRIM_400000_NS6detail17trampoline_kernelINS0_14default_configENS1_27scan_by_key_config_selectorIiiEEZZNS1_16scan_by_key_implILNS1_25lookback_scan_determinismE0ELb1ES3_N6thrust23THRUST_200600_302600_NS6detail15normal_iteratorINS9_10device_ptrIiEEEENSB_INSC_IjEEEESE_iNS9_4plusIvEENS9_8equal_toIvEEiEE10hipError_tPvRmT2_T3_T4_T5_mT6_T7_P12ihipStream_tbENKUlT_T0_E_clISt17integral_constantIbLb1EES10_IbLb0EEEEDaSW_SX_EUlSW_E_NS1_11comp_targetILNS1_3genE9ELNS1_11target_archE1100ELNS1_3gpuE3ELNS1_3repE0EEENS1_30default_config_static_selectorELNS0_4arch9wavefront6targetE0EEEvT1_,"axG",@progbits,_ZN7rocprim17ROCPRIM_400000_NS6detail17trampoline_kernelINS0_14default_configENS1_27scan_by_key_config_selectorIiiEEZZNS1_16scan_by_key_implILNS1_25lookback_scan_determinismE0ELb1ES3_N6thrust23THRUST_200600_302600_NS6detail15normal_iteratorINS9_10device_ptrIiEEEENSB_INSC_IjEEEESE_iNS9_4plusIvEENS9_8equal_toIvEEiEE10hipError_tPvRmT2_T3_T4_T5_mT6_T7_P12ihipStream_tbENKUlT_T0_E_clISt17integral_constantIbLb1EES10_IbLb0EEEEDaSW_SX_EUlSW_E_NS1_11comp_targetILNS1_3genE9ELNS1_11target_archE1100ELNS1_3gpuE3ELNS1_3repE0EEENS1_30default_config_static_selectorELNS0_4arch9wavefront6targetE0EEEvT1_,comdat
.Lfunc_end1777:
	.size	_ZN7rocprim17ROCPRIM_400000_NS6detail17trampoline_kernelINS0_14default_configENS1_27scan_by_key_config_selectorIiiEEZZNS1_16scan_by_key_implILNS1_25lookback_scan_determinismE0ELb1ES3_N6thrust23THRUST_200600_302600_NS6detail15normal_iteratorINS9_10device_ptrIiEEEENSB_INSC_IjEEEESE_iNS9_4plusIvEENS9_8equal_toIvEEiEE10hipError_tPvRmT2_T3_T4_T5_mT6_T7_P12ihipStream_tbENKUlT_T0_E_clISt17integral_constantIbLb1EES10_IbLb0EEEEDaSW_SX_EUlSW_E_NS1_11comp_targetILNS1_3genE9ELNS1_11target_archE1100ELNS1_3gpuE3ELNS1_3repE0EEENS1_30default_config_static_selectorELNS0_4arch9wavefront6targetE0EEEvT1_, .Lfunc_end1777-_ZN7rocprim17ROCPRIM_400000_NS6detail17trampoline_kernelINS0_14default_configENS1_27scan_by_key_config_selectorIiiEEZZNS1_16scan_by_key_implILNS1_25lookback_scan_determinismE0ELb1ES3_N6thrust23THRUST_200600_302600_NS6detail15normal_iteratorINS9_10device_ptrIiEEEENSB_INSC_IjEEEESE_iNS9_4plusIvEENS9_8equal_toIvEEiEE10hipError_tPvRmT2_T3_T4_T5_mT6_T7_P12ihipStream_tbENKUlT_T0_E_clISt17integral_constantIbLb1EES10_IbLb0EEEEDaSW_SX_EUlSW_E_NS1_11comp_targetILNS1_3genE9ELNS1_11target_archE1100ELNS1_3gpuE3ELNS1_3repE0EEENS1_30default_config_static_selectorELNS0_4arch9wavefront6targetE0EEEvT1_
                                        ; -- End function
	.set _ZN7rocprim17ROCPRIM_400000_NS6detail17trampoline_kernelINS0_14default_configENS1_27scan_by_key_config_selectorIiiEEZZNS1_16scan_by_key_implILNS1_25lookback_scan_determinismE0ELb1ES3_N6thrust23THRUST_200600_302600_NS6detail15normal_iteratorINS9_10device_ptrIiEEEENSB_INSC_IjEEEESE_iNS9_4plusIvEENS9_8equal_toIvEEiEE10hipError_tPvRmT2_T3_T4_T5_mT6_T7_P12ihipStream_tbENKUlT_T0_E_clISt17integral_constantIbLb1EES10_IbLb0EEEEDaSW_SX_EUlSW_E_NS1_11comp_targetILNS1_3genE9ELNS1_11target_archE1100ELNS1_3gpuE3ELNS1_3repE0EEENS1_30default_config_static_selectorELNS0_4arch9wavefront6targetE0EEEvT1_.num_vgpr, 0
	.set _ZN7rocprim17ROCPRIM_400000_NS6detail17trampoline_kernelINS0_14default_configENS1_27scan_by_key_config_selectorIiiEEZZNS1_16scan_by_key_implILNS1_25lookback_scan_determinismE0ELb1ES3_N6thrust23THRUST_200600_302600_NS6detail15normal_iteratorINS9_10device_ptrIiEEEENSB_INSC_IjEEEESE_iNS9_4plusIvEENS9_8equal_toIvEEiEE10hipError_tPvRmT2_T3_T4_T5_mT6_T7_P12ihipStream_tbENKUlT_T0_E_clISt17integral_constantIbLb1EES10_IbLb0EEEEDaSW_SX_EUlSW_E_NS1_11comp_targetILNS1_3genE9ELNS1_11target_archE1100ELNS1_3gpuE3ELNS1_3repE0EEENS1_30default_config_static_selectorELNS0_4arch9wavefront6targetE0EEEvT1_.num_agpr, 0
	.set _ZN7rocprim17ROCPRIM_400000_NS6detail17trampoline_kernelINS0_14default_configENS1_27scan_by_key_config_selectorIiiEEZZNS1_16scan_by_key_implILNS1_25lookback_scan_determinismE0ELb1ES3_N6thrust23THRUST_200600_302600_NS6detail15normal_iteratorINS9_10device_ptrIiEEEENSB_INSC_IjEEEESE_iNS9_4plusIvEENS9_8equal_toIvEEiEE10hipError_tPvRmT2_T3_T4_T5_mT6_T7_P12ihipStream_tbENKUlT_T0_E_clISt17integral_constantIbLb1EES10_IbLb0EEEEDaSW_SX_EUlSW_E_NS1_11comp_targetILNS1_3genE9ELNS1_11target_archE1100ELNS1_3gpuE3ELNS1_3repE0EEENS1_30default_config_static_selectorELNS0_4arch9wavefront6targetE0EEEvT1_.numbered_sgpr, 0
	.set _ZN7rocprim17ROCPRIM_400000_NS6detail17trampoline_kernelINS0_14default_configENS1_27scan_by_key_config_selectorIiiEEZZNS1_16scan_by_key_implILNS1_25lookback_scan_determinismE0ELb1ES3_N6thrust23THRUST_200600_302600_NS6detail15normal_iteratorINS9_10device_ptrIiEEEENSB_INSC_IjEEEESE_iNS9_4plusIvEENS9_8equal_toIvEEiEE10hipError_tPvRmT2_T3_T4_T5_mT6_T7_P12ihipStream_tbENKUlT_T0_E_clISt17integral_constantIbLb1EES10_IbLb0EEEEDaSW_SX_EUlSW_E_NS1_11comp_targetILNS1_3genE9ELNS1_11target_archE1100ELNS1_3gpuE3ELNS1_3repE0EEENS1_30default_config_static_selectorELNS0_4arch9wavefront6targetE0EEEvT1_.num_named_barrier, 0
	.set _ZN7rocprim17ROCPRIM_400000_NS6detail17trampoline_kernelINS0_14default_configENS1_27scan_by_key_config_selectorIiiEEZZNS1_16scan_by_key_implILNS1_25lookback_scan_determinismE0ELb1ES3_N6thrust23THRUST_200600_302600_NS6detail15normal_iteratorINS9_10device_ptrIiEEEENSB_INSC_IjEEEESE_iNS9_4plusIvEENS9_8equal_toIvEEiEE10hipError_tPvRmT2_T3_T4_T5_mT6_T7_P12ihipStream_tbENKUlT_T0_E_clISt17integral_constantIbLb1EES10_IbLb0EEEEDaSW_SX_EUlSW_E_NS1_11comp_targetILNS1_3genE9ELNS1_11target_archE1100ELNS1_3gpuE3ELNS1_3repE0EEENS1_30default_config_static_selectorELNS0_4arch9wavefront6targetE0EEEvT1_.private_seg_size, 0
	.set _ZN7rocprim17ROCPRIM_400000_NS6detail17trampoline_kernelINS0_14default_configENS1_27scan_by_key_config_selectorIiiEEZZNS1_16scan_by_key_implILNS1_25lookback_scan_determinismE0ELb1ES3_N6thrust23THRUST_200600_302600_NS6detail15normal_iteratorINS9_10device_ptrIiEEEENSB_INSC_IjEEEESE_iNS9_4plusIvEENS9_8equal_toIvEEiEE10hipError_tPvRmT2_T3_T4_T5_mT6_T7_P12ihipStream_tbENKUlT_T0_E_clISt17integral_constantIbLb1EES10_IbLb0EEEEDaSW_SX_EUlSW_E_NS1_11comp_targetILNS1_3genE9ELNS1_11target_archE1100ELNS1_3gpuE3ELNS1_3repE0EEENS1_30default_config_static_selectorELNS0_4arch9wavefront6targetE0EEEvT1_.uses_vcc, 0
	.set _ZN7rocprim17ROCPRIM_400000_NS6detail17trampoline_kernelINS0_14default_configENS1_27scan_by_key_config_selectorIiiEEZZNS1_16scan_by_key_implILNS1_25lookback_scan_determinismE0ELb1ES3_N6thrust23THRUST_200600_302600_NS6detail15normal_iteratorINS9_10device_ptrIiEEEENSB_INSC_IjEEEESE_iNS9_4plusIvEENS9_8equal_toIvEEiEE10hipError_tPvRmT2_T3_T4_T5_mT6_T7_P12ihipStream_tbENKUlT_T0_E_clISt17integral_constantIbLb1EES10_IbLb0EEEEDaSW_SX_EUlSW_E_NS1_11comp_targetILNS1_3genE9ELNS1_11target_archE1100ELNS1_3gpuE3ELNS1_3repE0EEENS1_30default_config_static_selectorELNS0_4arch9wavefront6targetE0EEEvT1_.uses_flat_scratch, 0
	.set _ZN7rocprim17ROCPRIM_400000_NS6detail17trampoline_kernelINS0_14default_configENS1_27scan_by_key_config_selectorIiiEEZZNS1_16scan_by_key_implILNS1_25lookback_scan_determinismE0ELb1ES3_N6thrust23THRUST_200600_302600_NS6detail15normal_iteratorINS9_10device_ptrIiEEEENSB_INSC_IjEEEESE_iNS9_4plusIvEENS9_8equal_toIvEEiEE10hipError_tPvRmT2_T3_T4_T5_mT6_T7_P12ihipStream_tbENKUlT_T0_E_clISt17integral_constantIbLb1EES10_IbLb0EEEEDaSW_SX_EUlSW_E_NS1_11comp_targetILNS1_3genE9ELNS1_11target_archE1100ELNS1_3gpuE3ELNS1_3repE0EEENS1_30default_config_static_selectorELNS0_4arch9wavefront6targetE0EEEvT1_.has_dyn_sized_stack, 0
	.set _ZN7rocprim17ROCPRIM_400000_NS6detail17trampoline_kernelINS0_14default_configENS1_27scan_by_key_config_selectorIiiEEZZNS1_16scan_by_key_implILNS1_25lookback_scan_determinismE0ELb1ES3_N6thrust23THRUST_200600_302600_NS6detail15normal_iteratorINS9_10device_ptrIiEEEENSB_INSC_IjEEEESE_iNS9_4plusIvEENS9_8equal_toIvEEiEE10hipError_tPvRmT2_T3_T4_T5_mT6_T7_P12ihipStream_tbENKUlT_T0_E_clISt17integral_constantIbLb1EES10_IbLb0EEEEDaSW_SX_EUlSW_E_NS1_11comp_targetILNS1_3genE9ELNS1_11target_archE1100ELNS1_3gpuE3ELNS1_3repE0EEENS1_30default_config_static_selectorELNS0_4arch9wavefront6targetE0EEEvT1_.has_recursion, 0
	.set _ZN7rocprim17ROCPRIM_400000_NS6detail17trampoline_kernelINS0_14default_configENS1_27scan_by_key_config_selectorIiiEEZZNS1_16scan_by_key_implILNS1_25lookback_scan_determinismE0ELb1ES3_N6thrust23THRUST_200600_302600_NS6detail15normal_iteratorINS9_10device_ptrIiEEEENSB_INSC_IjEEEESE_iNS9_4plusIvEENS9_8equal_toIvEEiEE10hipError_tPvRmT2_T3_T4_T5_mT6_T7_P12ihipStream_tbENKUlT_T0_E_clISt17integral_constantIbLb1EES10_IbLb0EEEEDaSW_SX_EUlSW_E_NS1_11comp_targetILNS1_3genE9ELNS1_11target_archE1100ELNS1_3gpuE3ELNS1_3repE0EEENS1_30default_config_static_selectorELNS0_4arch9wavefront6targetE0EEEvT1_.has_indirect_call, 0
	.section	.AMDGPU.csdata,"",@progbits
; Kernel info:
; codeLenInByte = 0
; TotalNumSgprs: 0
; NumVgprs: 0
; ScratchSize: 0
; MemoryBound: 0
; FloatMode: 240
; IeeeMode: 1
; LDSByteSize: 0 bytes/workgroup (compile time only)
; SGPRBlocks: 0
; VGPRBlocks: 0
; NumSGPRsForWavesPerEU: 1
; NumVGPRsForWavesPerEU: 1
; NamedBarCnt: 0
; Occupancy: 16
; WaveLimiterHint : 0
; COMPUTE_PGM_RSRC2:SCRATCH_EN: 0
; COMPUTE_PGM_RSRC2:USER_SGPR: 2
; COMPUTE_PGM_RSRC2:TRAP_HANDLER: 0
; COMPUTE_PGM_RSRC2:TGID_X_EN: 1
; COMPUTE_PGM_RSRC2:TGID_Y_EN: 0
; COMPUTE_PGM_RSRC2:TGID_Z_EN: 0
; COMPUTE_PGM_RSRC2:TIDIG_COMP_CNT: 0
	.section	.text._ZN7rocprim17ROCPRIM_400000_NS6detail17trampoline_kernelINS0_14default_configENS1_27scan_by_key_config_selectorIiiEEZZNS1_16scan_by_key_implILNS1_25lookback_scan_determinismE0ELb1ES3_N6thrust23THRUST_200600_302600_NS6detail15normal_iteratorINS9_10device_ptrIiEEEENSB_INSC_IjEEEESE_iNS9_4plusIvEENS9_8equal_toIvEEiEE10hipError_tPvRmT2_T3_T4_T5_mT6_T7_P12ihipStream_tbENKUlT_T0_E_clISt17integral_constantIbLb1EES10_IbLb0EEEEDaSW_SX_EUlSW_E_NS1_11comp_targetILNS1_3genE8ELNS1_11target_archE1030ELNS1_3gpuE2ELNS1_3repE0EEENS1_30default_config_static_selectorELNS0_4arch9wavefront6targetE0EEEvT1_,"axG",@progbits,_ZN7rocprim17ROCPRIM_400000_NS6detail17trampoline_kernelINS0_14default_configENS1_27scan_by_key_config_selectorIiiEEZZNS1_16scan_by_key_implILNS1_25lookback_scan_determinismE0ELb1ES3_N6thrust23THRUST_200600_302600_NS6detail15normal_iteratorINS9_10device_ptrIiEEEENSB_INSC_IjEEEESE_iNS9_4plusIvEENS9_8equal_toIvEEiEE10hipError_tPvRmT2_T3_T4_T5_mT6_T7_P12ihipStream_tbENKUlT_T0_E_clISt17integral_constantIbLb1EES10_IbLb0EEEEDaSW_SX_EUlSW_E_NS1_11comp_targetILNS1_3genE8ELNS1_11target_archE1030ELNS1_3gpuE2ELNS1_3repE0EEENS1_30default_config_static_selectorELNS0_4arch9wavefront6targetE0EEEvT1_,comdat
	.protected	_ZN7rocprim17ROCPRIM_400000_NS6detail17trampoline_kernelINS0_14default_configENS1_27scan_by_key_config_selectorIiiEEZZNS1_16scan_by_key_implILNS1_25lookback_scan_determinismE0ELb1ES3_N6thrust23THRUST_200600_302600_NS6detail15normal_iteratorINS9_10device_ptrIiEEEENSB_INSC_IjEEEESE_iNS9_4plusIvEENS9_8equal_toIvEEiEE10hipError_tPvRmT2_T3_T4_T5_mT6_T7_P12ihipStream_tbENKUlT_T0_E_clISt17integral_constantIbLb1EES10_IbLb0EEEEDaSW_SX_EUlSW_E_NS1_11comp_targetILNS1_3genE8ELNS1_11target_archE1030ELNS1_3gpuE2ELNS1_3repE0EEENS1_30default_config_static_selectorELNS0_4arch9wavefront6targetE0EEEvT1_ ; -- Begin function _ZN7rocprim17ROCPRIM_400000_NS6detail17trampoline_kernelINS0_14default_configENS1_27scan_by_key_config_selectorIiiEEZZNS1_16scan_by_key_implILNS1_25lookback_scan_determinismE0ELb1ES3_N6thrust23THRUST_200600_302600_NS6detail15normal_iteratorINS9_10device_ptrIiEEEENSB_INSC_IjEEEESE_iNS9_4plusIvEENS9_8equal_toIvEEiEE10hipError_tPvRmT2_T3_T4_T5_mT6_T7_P12ihipStream_tbENKUlT_T0_E_clISt17integral_constantIbLb1EES10_IbLb0EEEEDaSW_SX_EUlSW_E_NS1_11comp_targetILNS1_3genE8ELNS1_11target_archE1030ELNS1_3gpuE2ELNS1_3repE0EEENS1_30default_config_static_selectorELNS0_4arch9wavefront6targetE0EEEvT1_
	.globl	_ZN7rocprim17ROCPRIM_400000_NS6detail17trampoline_kernelINS0_14default_configENS1_27scan_by_key_config_selectorIiiEEZZNS1_16scan_by_key_implILNS1_25lookback_scan_determinismE0ELb1ES3_N6thrust23THRUST_200600_302600_NS6detail15normal_iteratorINS9_10device_ptrIiEEEENSB_INSC_IjEEEESE_iNS9_4plusIvEENS9_8equal_toIvEEiEE10hipError_tPvRmT2_T3_T4_T5_mT6_T7_P12ihipStream_tbENKUlT_T0_E_clISt17integral_constantIbLb1EES10_IbLb0EEEEDaSW_SX_EUlSW_E_NS1_11comp_targetILNS1_3genE8ELNS1_11target_archE1030ELNS1_3gpuE2ELNS1_3repE0EEENS1_30default_config_static_selectorELNS0_4arch9wavefront6targetE0EEEvT1_
	.p2align	8
	.type	_ZN7rocprim17ROCPRIM_400000_NS6detail17trampoline_kernelINS0_14default_configENS1_27scan_by_key_config_selectorIiiEEZZNS1_16scan_by_key_implILNS1_25lookback_scan_determinismE0ELb1ES3_N6thrust23THRUST_200600_302600_NS6detail15normal_iteratorINS9_10device_ptrIiEEEENSB_INSC_IjEEEESE_iNS9_4plusIvEENS9_8equal_toIvEEiEE10hipError_tPvRmT2_T3_T4_T5_mT6_T7_P12ihipStream_tbENKUlT_T0_E_clISt17integral_constantIbLb1EES10_IbLb0EEEEDaSW_SX_EUlSW_E_NS1_11comp_targetILNS1_3genE8ELNS1_11target_archE1030ELNS1_3gpuE2ELNS1_3repE0EEENS1_30default_config_static_selectorELNS0_4arch9wavefront6targetE0EEEvT1_,@function
_ZN7rocprim17ROCPRIM_400000_NS6detail17trampoline_kernelINS0_14default_configENS1_27scan_by_key_config_selectorIiiEEZZNS1_16scan_by_key_implILNS1_25lookback_scan_determinismE0ELb1ES3_N6thrust23THRUST_200600_302600_NS6detail15normal_iteratorINS9_10device_ptrIiEEEENSB_INSC_IjEEEESE_iNS9_4plusIvEENS9_8equal_toIvEEiEE10hipError_tPvRmT2_T3_T4_T5_mT6_T7_P12ihipStream_tbENKUlT_T0_E_clISt17integral_constantIbLb1EES10_IbLb0EEEEDaSW_SX_EUlSW_E_NS1_11comp_targetILNS1_3genE8ELNS1_11target_archE1030ELNS1_3gpuE2ELNS1_3repE0EEENS1_30default_config_static_selectorELNS0_4arch9wavefront6targetE0EEEvT1_: ; @_ZN7rocprim17ROCPRIM_400000_NS6detail17trampoline_kernelINS0_14default_configENS1_27scan_by_key_config_selectorIiiEEZZNS1_16scan_by_key_implILNS1_25lookback_scan_determinismE0ELb1ES3_N6thrust23THRUST_200600_302600_NS6detail15normal_iteratorINS9_10device_ptrIiEEEENSB_INSC_IjEEEESE_iNS9_4plusIvEENS9_8equal_toIvEEiEE10hipError_tPvRmT2_T3_T4_T5_mT6_T7_P12ihipStream_tbENKUlT_T0_E_clISt17integral_constantIbLb1EES10_IbLb0EEEEDaSW_SX_EUlSW_E_NS1_11comp_targetILNS1_3genE8ELNS1_11target_archE1030ELNS1_3gpuE2ELNS1_3repE0EEENS1_30default_config_static_selectorELNS0_4arch9wavefront6targetE0EEEvT1_
; %bb.0:
	.section	.rodata,"a",@progbits
	.p2align	6, 0x0
	.amdhsa_kernel _ZN7rocprim17ROCPRIM_400000_NS6detail17trampoline_kernelINS0_14default_configENS1_27scan_by_key_config_selectorIiiEEZZNS1_16scan_by_key_implILNS1_25lookback_scan_determinismE0ELb1ES3_N6thrust23THRUST_200600_302600_NS6detail15normal_iteratorINS9_10device_ptrIiEEEENSB_INSC_IjEEEESE_iNS9_4plusIvEENS9_8equal_toIvEEiEE10hipError_tPvRmT2_T3_T4_T5_mT6_T7_P12ihipStream_tbENKUlT_T0_E_clISt17integral_constantIbLb1EES10_IbLb0EEEEDaSW_SX_EUlSW_E_NS1_11comp_targetILNS1_3genE8ELNS1_11target_archE1030ELNS1_3gpuE2ELNS1_3repE0EEENS1_30default_config_static_selectorELNS0_4arch9wavefront6targetE0EEEvT1_
		.amdhsa_group_segment_fixed_size 0
		.amdhsa_private_segment_fixed_size 0
		.amdhsa_kernarg_size 112
		.amdhsa_user_sgpr_count 2
		.amdhsa_user_sgpr_dispatch_ptr 0
		.amdhsa_user_sgpr_queue_ptr 0
		.amdhsa_user_sgpr_kernarg_segment_ptr 1
		.amdhsa_user_sgpr_dispatch_id 0
		.amdhsa_user_sgpr_kernarg_preload_length 0
		.amdhsa_user_sgpr_kernarg_preload_offset 0
		.amdhsa_user_sgpr_private_segment_size 0
		.amdhsa_wavefront_size32 1
		.amdhsa_uses_dynamic_stack 0
		.amdhsa_enable_private_segment 0
		.amdhsa_system_sgpr_workgroup_id_x 1
		.amdhsa_system_sgpr_workgroup_id_y 0
		.amdhsa_system_sgpr_workgroup_id_z 0
		.amdhsa_system_sgpr_workgroup_info 0
		.amdhsa_system_vgpr_workitem_id 0
		.amdhsa_next_free_vgpr 1
		.amdhsa_next_free_sgpr 1
		.amdhsa_named_barrier_count 0
		.amdhsa_reserve_vcc 0
		.amdhsa_float_round_mode_32 0
		.amdhsa_float_round_mode_16_64 0
		.amdhsa_float_denorm_mode_32 3
		.amdhsa_float_denorm_mode_16_64 3
		.amdhsa_fp16_overflow 0
		.amdhsa_memory_ordered 1
		.amdhsa_forward_progress 1
		.amdhsa_inst_pref_size 0
		.amdhsa_round_robin_scheduling 0
		.amdhsa_exception_fp_ieee_invalid_op 0
		.amdhsa_exception_fp_denorm_src 0
		.amdhsa_exception_fp_ieee_div_zero 0
		.amdhsa_exception_fp_ieee_overflow 0
		.amdhsa_exception_fp_ieee_underflow 0
		.amdhsa_exception_fp_ieee_inexact 0
		.amdhsa_exception_int_div_zero 0
	.end_amdhsa_kernel
	.section	.text._ZN7rocprim17ROCPRIM_400000_NS6detail17trampoline_kernelINS0_14default_configENS1_27scan_by_key_config_selectorIiiEEZZNS1_16scan_by_key_implILNS1_25lookback_scan_determinismE0ELb1ES3_N6thrust23THRUST_200600_302600_NS6detail15normal_iteratorINS9_10device_ptrIiEEEENSB_INSC_IjEEEESE_iNS9_4plusIvEENS9_8equal_toIvEEiEE10hipError_tPvRmT2_T3_T4_T5_mT6_T7_P12ihipStream_tbENKUlT_T0_E_clISt17integral_constantIbLb1EES10_IbLb0EEEEDaSW_SX_EUlSW_E_NS1_11comp_targetILNS1_3genE8ELNS1_11target_archE1030ELNS1_3gpuE2ELNS1_3repE0EEENS1_30default_config_static_selectorELNS0_4arch9wavefront6targetE0EEEvT1_,"axG",@progbits,_ZN7rocprim17ROCPRIM_400000_NS6detail17trampoline_kernelINS0_14default_configENS1_27scan_by_key_config_selectorIiiEEZZNS1_16scan_by_key_implILNS1_25lookback_scan_determinismE0ELb1ES3_N6thrust23THRUST_200600_302600_NS6detail15normal_iteratorINS9_10device_ptrIiEEEENSB_INSC_IjEEEESE_iNS9_4plusIvEENS9_8equal_toIvEEiEE10hipError_tPvRmT2_T3_T4_T5_mT6_T7_P12ihipStream_tbENKUlT_T0_E_clISt17integral_constantIbLb1EES10_IbLb0EEEEDaSW_SX_EUlSW_E_NS1_11comp_targetILNS1_3genE8ELNS1_11target_archE1030ELNS1_3gpuE2ELNS1_3repE0EEENS1_30default_config_static_selectorELNS0_4arch9wavefront6targetE0EEEvT1_,comdat
.Lfunc_end1778:
	.size	_ZN7rocprim17ROCPRIM_400000_NS6detail17trampoline_kernelINS0_14default_configENS1_27scan_by_key_config_selectorIiiEEZZNS1_16scan_by_key_implILNS1_25lookback_scan_determinismE0ELb1ES3_N6thrust23THRUST_200600_302600_NS6detail15normal_iteratorINS9_10device_ptrIiEEEENSB_INSC_IjEEEESE_iNS9_4plusIvEENS9_8equal_toIvEEiEE10hipError_tPvRmT2_T3_T4_T5_mT6_T7_P12ihipStream_tbENKUlT_T0_E_clISt17integral_constantIbLb1EES10_IbLb0EEEEDaSW_SX_EUlSW_E_NS1_11comp_targetILNS1_3genE8ELNS1_11target_archE1030ELNS1_3gpuE2ELNS1_3repE0EEENS1_30default_config_static_selectorELNS0_4arch9wavefront6targetE0EEEvT1_, .Lfunc_end1778-_ZN7rocprim17ROCPRIM_400000_NS6detail17trampoline_kernelINS0_14default_configENS1_27scan_by_key_config_selectorIiiEEZZNS1_16scan_by_key_implILNS1_25lookback_scan_determinismE0ELb1ES3_N6thrust23THRUST_200600_302600_NS6detail15normal_iteratorINS9_10device_ptrIiEEEENSB_INSC_IjEEEESE_iNS9_4plusIvEENS9_8equal_toIvEEiEE10hipError_tPvRmT2_T3_T4_T5_mT6_T7_P12ihipStream_tbENKUlT_T0_E_clISt17integral_constantIbLb1EES10_IbLb0EEEEDaSW_SX_EUlSW_E_NS1_11comp_targetILNS1_3genE8ELNS1_11target_archE1030ELNS1_3gpuE2ELNS1_3repE0EEENS1_30default_config_static_selectorELNS0_4arch9wavefront6targetE0EEEvT1_
                                        ; -- End function
	.set _ZN7rocprim17ROCPRIM_400000_NS6detail17trampoline_kernelINS0_14default_configENS1_27scan_by_key_config_selectorIiiEEZZNS1_16scan_by_key_implILNS1_25lookback_scan_determinismE0ELb1ES3_N6thrust23THRUST_200600_302600_NS6detail15normal_iteratorINS9_10device_ptrIiEEEENSB_INSC_IjEEEESE_iNS9_4plusIvEENS9_8equal_toIvEEiEE10hipError_tPvRmT2_T3_T4_T5_mT6_T7_P12ihipStream_tbENKUlT_T0_E_clISt17integral_constantIbLb1EES10_IbLb0EEEEDaSW_SX_EUlSW_E_NS1_11comp_targetILNS1_3genE8ELNS1_11target_archE1030ELNS1_3gpuE2ELNS1_3repE0EEENS1_30default_config_static_selectorELNS0_4arch9wavefront6targetE0EEEvT1_.num_vgpr, 0
	.set _ZN7rocprim17ROCPRIM_400000_NS6detail17trampoline_kernelINS0_14default_configENS1_27scan_by_key_config_selectorIiiEEZZNS1_16scan_by_key_implILNS1_25lookback_scan_determinismE0ELb1ES3_N6thrust23THRUST_200600_302600_NS6detail15normal_iteratorINS9_10device_ptrIiEEEENSB_INSC_IjEEEESE_iNS9_4plusIvEENS9_8equal_toIvEEiEE10hipError_tPvRmT2_T3_T4_T5_mT6_T7_P12ihipStream_tbENKUlT_T0_E_clISt17integral_constantIbLb1EES10_IbLb0EEEEDaSW_SX_EUlSW_E_NS1_11comp_targetILNS1_3genE8ELNS1_11target_archE1030ELNS1_3gpuE2ELNS1_3repE0EEENS1_30default_config_static_selectorELNS0_4arch9wavefront6targetE0EEEvT1_.num_agpr, 0
	.set _ZN7rocprim17ROCPRIM_400000_NS6detail17trampoline_kernelINS0_14default_configENS1_27scan_by_key_config_selectorIiiEEZZNS1_16scan_by_key_implILNS1_25lookback_scan_determinismE0ELb1ES3_N6thrust23THRUST_200600_302600_NS6detail15normal_iteratorINS9_10device_ptrIiEEEENSB_INSC_IjEEEESE_iNS9_4plusIvEENS9_8equal_toIvEEiEE10hipError_tPvRmT2_T3_T4_T5_mT6_T7_P12ihipStream_tbENKUlT_T0_E_clISt17integral_constantIbLb1EES10_IbLb0EEEEDaSW_SX_EUlSW_E_NS1_11comp_targetILNS1_3genE8ELNS1_11target_archE1030ELNS1_3gpuE2ELNS1_3repE0EEENS1_30default_config_static_selectorELNS0_4arch9wavefront6targetE0EEEvT1_.numbered_sgpr, 0
	.set _ZN7rocprim17ROCPRIM_400000_NS6detail17trampoline_kernelINS0_14default_configENS1_27scan_by_key_config_selectorIiiEEZZNS1_16scan_by_key_implILNS1_25lookback_scan_determinismE0ELb1ES3_N6thrust23THRUST_200600_302600_NS6detail15normal_iteratorINS9_10device_ptrIiEEEENSB_INSC_IjEEEESE_iNS9_4plusIvEENS9_8equal_toIvEEiEE10hipError_tPvRmT2_T3_T4_T5_mT6_T7_P12ihipStream_tbENKUlT_T0_E_clISt17integral_constantIbLb1EES10_IbLb0EEEEDaSW_SX_EUlSW_E_NS1_11comp_targetILNS1_3genE8ELNS1_11target_archE1030ELNS1_3gpuE2ELNS1_3repE0EEENS1_30default_config_static_selectorELNS0_4arch9wavefront6targetE0EEEvT1_.num_named_barrier, 0
	.set _ZN7rocprim17ROCPRIM_400000_NS6detail17trampoline_kernelINS0_14default_configENS1_27scan_by_key_config_selectorIiiEEZZNS1_16scan_by_key_implILNS1_25lookback_scan_determinismE0ELb1ES3_N6thrust23THRUST_200600_302600_NS6detail15normal_iteratorINS9_10device_ptrIiEEEENSB_INSC_IjEEEESE_iNS9_4plusIvEENS9_8equal_toIvEEiEE10hipError_tPvRmT2_T3_T4_T5_mT6_T7_P12ihipStream_tbENKUlT_T0_E_clISt17integral_constantIbLb1EES10_IbLb0EEEEDaSW_SX_EUlSW_E_NS1_11comp_targetILNS1_3genE8ELNS1_11target_archE1030ELNS1_3gpuE2ELNS1_3repE0EEENS1_30default_config_static_selectorELNS0_4arch9wavefront6targetE0EEEvT1_.private_seg_size, 0
	.set _ZN7rocprim17ROCPRIM_400000_NS6detail17trampoline_kernelINS0_14default_configENS1_27scan_by_key_config_selectorIiiEEZZNS1_16scan_by_key_implILNS1_25lookback_scan_determinismE0ELb1ES3_N6thrust23THRUST_200600_302600_NS6detail15normal_iteratorINS9_10device_ptrIiEEEENSB_INSC_IjEEEESE_iNS9_4plusIvEENS9_8equal_toIvEEiEE10hipError_tPvRmT2_T3_T4_T5_mT6_T7_P12ihipStream_tbENKUlT_T0_E_clISt17integral_constantIbLb1EES10_IbLb0EEEEDaSW_SX_EUlSW_E_NS1_11comp_targetILNS1_3genE8ELNS1_11target_archE1030ELNS1_3gpuE2ELNS1_3repE0EEENS1_30default_config_static_selectorELNS0_4arch9wavefront6targetE0EEEvT1_.uses_vcc, 0
	.set _ZN7rocprim17ROCPRIM_400000_NS6detail17trampoline_kernelINS0_14default_configENS1_27scan_by_key_config_selectorIiiEEZZNS1_16scan_by_key_implILNS1_25lookback_scan_determinismE0ELb1ES3_N6thrust23THRUST_200600_302600_NS6detail15normal_iteratorINS9_10device_ptrIiEEEENSB_INSC_IjEEEESE_iNS9_4plusIvEENS9_8equal_toIvEEiEE10hipError_tPvRmT2_T3_T4_T5_mT6_T7_P12ihipStream_tbENKUlT_T0_E_clISt17integral_constantIbLb1EES10_IbLb0EEEEDaSW_SX_EUlSW_E_NS1_11comp_targetILNS1_3genE8ELNS1_11target_archE1030ELNS1_3gpuE2ELNS1_3repE0EEENS1_30default_config_static_selectorELNS0_4arch9wavefront6targetE0EEEvT1_.uses_flat_scratch, 0
	.set _ZN7rocprim17ROCPRIM_400000_NS6detail17trampoline_kernelINS0_14default_configENS1_27scan_by_key_config_selectorIiiEEZZNS1_16scan_by_key_implILNS1_25lookback_scan_determinismE0ELb1ES3_N6thrust23THRUST_200600_302600_NS6detail15normal_iteratorINS9_10device_ptrIiEEEENSB_INSC_IjEEEESE_iNS9_4plusIvEENS9_8equal_toIvEEiEE10hipError_tPvRmT2_T3_T4_T5_mT6_T7_P12ihipStream_tbENKUlT_T0_E_clISt17integral_constantIbLb1EES10_IbLb0EEEEDaSW_SX_EUlSW_E_NS1_11comp_targetILNS1_3genE8ELNS1_11target_archE1030ELNS1_3gpuE2ELNS1_3repE0EEENS1_30default_config_static_selectorELNS0_4arch9wavefront6targetE0EEEvT1_.has_dyn_sized_stack, 0
	.set _ZN7rocprim17ROCPRIM_400000_NS6detail17trampoline_kernelINS0_14default_configENS1_27scan_by_key_config_selectorIiiEEZZNS1_16scan_by_key_implILNS1_25lookback_scan_determinismE0ELb1ES3_N6thrust23THRUST_200600_302600_NS6detail15normal_iteratorINS9_10device_ptrIiEEEENSB_INSC_IjEEEESE_iNS9_4plusIvEENS9_8equal_toIvEEiEE10hipError_tPvRmT2_T3_T4_T5_mT6_T7_P12ihipStream_tbENKUlT_T0_E_clISt17integral_constantIbLb1EES10_IbLb0EEEEDaSW_SX_EUlSW_E_NS1_11comp_targetILNS1_3genE8ELNS1_11target_archE1030ELNS1_3gpuE2ELNS1_3repE0EEENS1_30default_config_static_selectorELNS0_4arch9wavefront6targetE0EEEvT1_.has_recursion, 0
	.set _ZN7rocprim17ROCPRIM_400000_NS6detail17trampoline_kernelINS0_14default_configENS1_27scan_by_key_config_selectorIiiEEZZNS1_16scan_by_key_implILNS1_25lookback_scan_determinismE0ELb1ES3_N6thrust23THRUST_200600_302600_NS6detail15normal_iteratorINS9_10device_ptrIiEEEENSB_INSC_IjEEEESE_iNS9_4plusIvEENS9_8equal_toIvEEiEE10hipError_tPvRmT2_T3_T4_T5_mT6_T7_P12ihipStream_tbENKUlT_T0_E_clISt17integral_constantIbLb1EES10_IbLb0EEEEDaSW_SX_EUlSW_E_NS1_11comp_targetILNS1_3genE8ELNS1_11target_archE1030ELNS1_3gpuE2ELNS1_3repE0EEENS1_30default_config_static_selectorELNS0_4arch9wavefront6targetE0EEEvT1_.has_indirect_call, 0
	.section	.AMDGPU.csdata,"",@progbits
; Kernel info:
; codeLenInByte = 0
; TotalNumSgprs: 0
; NumVgprs: 0
; ScratchSize: 0
; MemoryBound: 0
; FloatMode: 240
; IeeeMode: 1
; LDSByteSize: 0 bytes/workgroup (compile time only)
; SGPRBlocks: 0
; VGPRBlocks: 0
; NumSGPRsForWavesPerEU: 1
; NumVGPRsForWavesPerEU: 1
; NamedBarCnt: 0
; Occupancy: 16
; WaveLimiterHint : 0
; COMPUTE_PGM_RSRC2:SCRATCH_EN: 0
; COMPUTE_PGM_RSRC2:USER_SGPR: 2
; COMPUTE_PGM_RSRC2:TRAP_HANDLER: 0
; COMPUTE_PGM_RSRC2:TGID_X_EN: 1
; COMPUTE_PGM_RSRC2:TGID_Y_EN: 0
; COMPUTE_PGM_RSRC2:TGID_Z_EN: 0
; COMPUTE_PGM_RSRC2:TIDIG_COMP_CNT: 0
	.section	.text._ZN7rocprim17ROCPRIM_400000_NS6detail17trampoline_kernelINS0_14default_configENS1_27scan_by_key_config_selectorIiiEEZZNS1_16scan_by_key_implILNS1_25lookback_scan_determinismE0ELb1ES3_N6thrust23THRUST_200600_302600_NS6detail15normal_iteratorINS9_10device_ptrIiEEEENSB_INSC_IjEEEESE_iNS9_4plusIvEENS9_8equal_toIvEEiEE10hipError_tPvRmT2_T3_T4_T5_mT6_T7_P12ihipStream_tbENKUlT_T0_E_clISt17integral_constantIbLb0EES10_IbLb1EEEEDaSW_SX_EUlSW_E_NS1_11comp_targetILNS1_3genE0ELNS1_11target_archE4294967295ELNS1_3gpuE0ELNS1_3repE0EEENS1_30default_config_static_selectorELNS0_4arch9wavefront6targetE0EEEvT1_,"axG",@progbits,_ZN7rocprim17ROCPRIM_400000_NS6detail17trampoline_kernelINS0_14default_configENS1_27scan_by_key_config_selectorIiiEEZZNS1_16scan_by_key_implILNS1_25lookback_scan_determinismE0ELb1ES3_N6thrust23THRUST_200600_302600_NS6detail15normal_iteratorINS9_10device_ptrIiEEEENSB_INSC_IjEEEESE_iNS9_4plusIvEENS9_8equal_toIvEEiEE10hipError_tPvRmT2_T3_T4_T5_mT6_T7_P12ihipStream_tbENKUlT_T0_E_clISt17integral_constantIbLb0EES10_IbLb1EEEEDaSW_SX_EUlSW_E_NS1_11comp_targetILNS1_3genE0ELNS1_11target_archE4294967295ELNS1_3gpuE0ELNS1_3repE0EEENS1_30default_config_static_selectorELNS0_4arch9wavefront6targetE0EEEvT1_,comdat
	.protected	_ZN7rocprim17ROCPRIM_400000_NS6detail17trampoline_kernelINS0_14default_configENS1_27scan_by_key_config_selectorIiiEEZZNS1_16scan_by_key_implILNS1_25lookback_scan_determinismE0ELb1ES3_N6thrust23THRUST_200600_302600_NS6detail15normal_iteratorINS9_10device_ptrIiEEEENSB_INSC_IjEEEESE_iNS9_4plusIvEENS9_8equal_toIvEEiEE10hipError_tPvRmT2_T3_T4_T5_mT6_T7_P12ihipStream_tbENKUlT_T0_E_clISt17integral_constantIbLb0EES10_IbLb1EEEEDaSW_SX_EUlSW_E_NS1_11comp_targetILNS1_3genE0ELNS1_11target_archE4294967295ELNS1_3gpuE0ELNS1_3repE0EEENS1_30default_config_static_selectorELNS0_4arch9wavefront6targetE0EEEvT1_ ; -- Begin function _ZN7rocprim17ROCPRIM_400000_NS6detail17trampoline_kernelINS0_14default_configENS1_27scan_by_key_config_selectorIiiEEZZNS1_16scan_by_key_implILNS1_25lookback_scan_determinismE0ELb1ES3_N6thrust23THRUST_200600_302600_NS6detail15normal_iteratorINS9_10device_ptrIiEEEENSB_INSC_IjEEEESE_iNS9_4plusIvEENS9_8equal_toIvEEiEE10hipError_tPvRmT2_T3_T4_T5_mT6_T7_P12ihipStream_tbENKUlT_T0_E_clISt17integral_constantIbLb0EES10_IbLb1EEEEDaSW_SX_EUlSW_E_NS1_11comp_targetILNS1_3genE0ELNS1_11target_archE4294967295ELNS1_3gpuE0ELNS1_3repE0EEENS1_30default_config_static_selectorELNS0_4arch9wavefront6targetE0EEEvT1_
	.globl	_ZN7rocprim17ROCPRIM_400000_NS6detail17trampoline_kernelINS0_14default_configENS1_27scan_by_key_config_selectorIiiEEZZNS1_16scan_by_key_implILNS1_25lookback_scan_determinismE0ELb1ES3_N6thrust23THRUST_200600_302600_NS6detail15normal_iteratorINS9_10device_ptrIiEEEENSB_INSC_IjEEEESE_iNS9_4plusIvEENS9_8equal_toIvEEiEE10hipError_tPvRmT2_T3_T4_T5_mT6_T7_P12ihipStream_tbENKUlT_T0_E_clISt17integral_constantIbLb0EES10_IbLb1EEEEDaSW_SX_EUlSW_E_NS1_11comp_targetILNS1_3genE0ELNS1_11target_archE4294967295ELNS1_3gpuE0ELNS1_3repE0EEENS1_30default_config_static_selectorELNS0_4arch9wavefront6targetE0EEEvT1_
	.p2align	8
	.type	_ZN7rocprim17ROCPRIM_400000_NS6detail17trampoline_kernelINS0_14default_configENS1_27scan_by_key_config_selectorIiiEEZZNS1_16scan_by_key_implILNS1_25lookback_scan_determinismE0ELb1ES3_N6thrust23THRUST_200600_302600_NS6detail15normal_iteratorINS9_10device_ptrIiEEEENSB_INSC_IjEEEESE_iNS9_4plusIvEENS9_8equal_toIvEEiEE10hipError_tPvRmT2_T3_T4_T5_mT6_T7_P12ihipStream_tbENKUlT_T0_E_clISt17integral_constantIbLb0EES10_IbLb1EEEEDaSW_SX_EUlSW_E_NS1_11comp_targetILNS1_3genE0ELNS1_11target_archE4294967295ELNS1_3gpuE0ELNS1_3repE0EEENS1_30default_config_static_selectorELNS0_4arch9wavefront6targetE0EEEvT1_,@function
_ZN7rocprim17ROCPRIM_400000_NS6detail17trampoline_kernelINS0_14default_configENS1_27scan_by_key_config_selectorIiiEEZZNS1_16scan_by_key_implILNS1_25lookback_scan_determinismE0ELb1ES3_N6thrust23THRUST_200600_302600_NS6detail15normal_iteratorINS9_10device_ptrIiEEEENSB_INSC_IjEEEESE_iNS9_4plusIvEENS9_8equal_toIvEEiEE10hipError_tPvRmT2_T3_T4_T5_mT6_T7_P12ihipStream_tbENKUlT_T0_E_clISt17integral_constantIbLb0EES10_IbLb1EEEEDaSW_SX_EUlSW_E_NS1_11comp_targetILNS1_3genE0ELNS1_11target_archE4294967295ELNS1_3gpuE0ELNS1_3repE0EEENS1_30default_config_static_selectorELNS0_4arch9wavefront6targetE0EEEvT1_: ; @_ZN7rocprim17ROCPRIM_400000_NS6detail17trampoline_kernelINS0_14default_configENS1_27scan_by_key_config_selectorIiiEEZZNS1_16scan_by_key_implILNS1_25lookback_scan_determinismE0ELb1ES3_N6thrust23THRUST_200600_302600_NS6detail15normal_iteratorINS9_10device_ptrIiEEEENSB_INSC_IjEEEESE_iNS9_4plusIvEENS9_8equal_toIvEEiEE10hipError_tPvRmT2_T3_T4_T5_mT6_T7_P12ihipStream_tbENKUlT_T0_E_clISt17integral_constantIbLb0EES10_IbLb1EEEEDaSW_SX_EUlSW_E_NS1_11comp_targetILNS1_3genE0ELNS1_11target_archE4294967295ELNS1_3gpuE0ELNS1_3repE0EEENS1_30default_config_static_selectorELNS0_4arch9wavefront6targetE0EEEvT1_
; %bb.0:
	s_clause 0x2
	s_load_b32 s33, s[0:1], 0x20
	s_load_b128 s[20:23], s[0:1], 0x28
	s_load_b64 s[30:31], s[0:1], 0x38
	v_cmp_ne_u32_e64 s3, 0, v0
	v_cmp_eq_u32_e64 s2, 0, v0
	s_and_saveexec_b32 s4, s2
	s_cbranch_execz .LBB1779_4
; %bb.1:
	s_mov_b32 s6, exec_lo
	s_mov_b32 s5, exec_lo
	v_mbcnt_lo_u32_b32 v1, s6, 0
                                        ; implicit-def: $vgpr2
	s_delay_alu instid0(VALU_DEP_1)
	v_cmpx_eq_u32_e32 0, v1
	s_cbranch_execz .LBB1779_3
; %bb.2:
	s_load_b64 s[8:9], s[0:1], 0x68
	s_bcnt1_i32_b32 s6, s6
	s_delay_alu instid0(SALU_CYCLE_1)
	v_dual_mov_b32 v2, 0 :: v_dual_mov_b32 v3, s6
	s_wait_xcnt 0x0
	s_wait_kmcnt 0x0
	global_atomic_add_u32 v2, v2, v3, s[8:9] th:TH_ATOMIC_RETURN scope:SCOPE_DEV
.LBB1779_3:
	s_wait_xcnt 0x0
	s_or_b32 exec_lo, exec_lo, s5
	s_wait_loadcnt 0x0
	v_readfirstlane_b32 s5, v2
	s_delay_alu instid0(VALU_DEP_1)
	v_dual_mov_b32 v2, 0 :: v_dual_add_nc_u32 v1, s5, v1
	ds_store_b32 v2, v1
.LBB1779_4:
	s_or_b32 exec_lo, exec_lo, s4
	v_mov_b32_e32 v3, 0
	s_clause 0x2
	s_load_b256 s[12:19], s[0:1], 0x0
	s_load_b32 s4, s[0:1], 0x40
	s_load_b128 s[24:27], s[0:1], 0x48
	s_wait_dscnt 0x0
	s_barrier_signal -1
	s_barrier_wait -1
	ds_load_b32 v2, v3
	s_mov_b32 s5, 0
	s_wait_dscnt 0x0
	s_barrier_signal -1
	s_barrier_wait -1
	s_barrier_signal -1
	s_barrier_wait -1
	s_wait_kmcnt 0x0
	s_lshl_b64 s[28:29], s[14:15], 2
	s_mul_u64 s[0:1], s[30:31], s[4:5]
	s_add_nc_u64 s[10:11], s[24:25], -1
	s_add_nc_u64 s[6:7], s[12:13], s[28:29]
	s_add_nc_u64 s[8:9], s[16:17], s[28:29]
	s_mul_i32 s23, s10, 0xfffff400
	v_add_nc_u64_e32 v[4:5], s[0:1], v[2:3]
	v_readfirstlane_b32 s36, v2
	s_mul_i32 s4, s36, 0xc00
	v_cmp_le_u64_e64 s0, s[10:11], v[4:5]
	s_lshl_b64 s[16:17], s[4:5], 2
	s_delay_alu instid0(SALU_CYCLE_1)
	s_add_nc_u64 s[34:35], s[6:7], s[16:17]
	s_add_nc_u64 s[24:25], s[8:9], s[16:17]
	s_and_b32 vcc_lo, exec_lo, s0
	s_cbranch_vccz .LBB1779_70
; %bb.5:
	flat_load_b32 v1, v3, s[34:35]
	s_add_co_i32 s15, s23, s22
	s_delay_alu instid0(SALU_CYCLE_1)
	v_cmp_gt_u32_e32 vcc_lo, s15, v0
	s_wait_loadcnt_dscnt 0x0
	v_mov_b32_e32 v2, v1
	s_and_saveexec_b32 s1, vcc_lo
	s_cbranch_execz .LBB1779_7
; %bb.6:
	flat_load_b32 v2, v0, s[34:35] scale_offset
.LBB1779_7:
	s_wait_xcnt 0x0
	s_or_b32 exec_lo, exec_lo, s1
	v_or_b32_e32 v3, 0x100, v0
	s_delay_alu instid0(VALU_DEP_1)
	v_cmp_gt_u32_e64 s1, s15, v3
	v_mov_b32_e32 v3, v1
	s_and_saveexec_b32 s4, s1
	s_cbranch_execz .LBB1779_9
; %bb.8:
	flat_load_b32 v3, v0, s[34:35] offset:1024 scale_offset
.LBB1779_9:
	s_wait_xcnt 0x0
	s_or_b32 exec_lo, exec_lo, s4
	v_or_b32_e32 v4, 0x200, v0
	s_delay_alu instid0(VALU_DEP_1)
	v_cmp_gt_u32_e64 s4, s15, v4
	v_mov_b32_e32 v4, v1
	s_and_saveexec_b32 s5, s4
	s_cbranch_execz .LBB1779_11
; %bb.10:
	flat_load_b32 v4, v0, s[34:35] offset:2048 scale_offset
.LBB1779_11:
	;; [unrolled: 11-line block ×10, first 2 shown]
	s_wait_xcnt 0x0
	s_or_b32 exec_lo, exec_lo, s13
	v_or_b32_e32 v13, 0xb00, v0
	s_delay_alu instid0(VALU_DEP_1) | instskip(SKIP_2) | instid1(SALU_CYCLE_1)
	v_cmp_gt_u32_e64 s13, s15, v13
	v_cmp_le_u32_e64 s14, s15, v13
	s_and_saveexec_b32 s37, s14
	s_xor_b32 s14, exec_lo, s37
	s_delay_alu instid0(SALU_CYCLE_1)
	s_and_not1_saveexec_b32 s14, s14
	s_cbranch_execz .LBB1779_29
; %bb.28:
	flat_load_b32 v1, v0, s[34:35] offset:11264 scale_offset
.LBB1779_29:
	s_wait_xcnt 0x0
	s_or_b32 exec_lo, exec_lo, s14
	v_lshlrev_b32_e32 v14, 2, v0
	s_mov_b32 s37, exec_lo
	s_wait_loadcnt_dscnt 0x0
	ds_store_2addr_stride64_b32 v14, v2, v3 offset1:4
	ds_store_2addr_stride64_b32 v14, v4, v5 offset0:8 offset1:12
	ds_store_2addr_stride64_b32 v14, v6, v7 offset0:16 offset1:20
	;; [unrolled: 1-line block ×5, first 2 shown]
	v_mov_b32_e32 v1, 0
	s_wait_dscnt 0x0
	s_barrier_signal -1
	s_barrier_wait -1
	flat_load_b32 v38, v1, s[34:35]
	s_wait_xcnt 0x0
	v_mad_u32_u24 v1, v0, 44, v14
	ds_load_b128 v[10:13], v1
	ds_load_b128 v[6:9], v1 offset:16
	ds_load_b128 v[2:5], v1 offset:32
	v_mad_i32_i24 v15, 0xffffffd4, v0, v1
	s_wait_dscnt 0x2
	ds_store_b32 v15, v10 offset:13312
	s_wait_loadcnt_dscnt 0x0
	s_barrier_signal -1
	s_barrier_wait -1
	v_cmpx_ne_u32_e32 0xff, v0
; %bb.30:
	v_mul_i32_i24_e32 v15, 0xffffffd4, v0
	s_delay_alu instid0(VALU_DEP_1)
	v_add_nc_u32_e32 v15, v1, v15
	ds_load_b32 v38, v15 offset:13316
; %bb.31:
	s_or_b32 exec_lo, exec_lo, s37
	s_wait_dscnt 0x0
	s_barrier_signal -1
	s_barrier_wait -1
                                        ; implicit-def: $vgpr15
	s_and_saveexec_b32 s14, vcc_lo
	s_cbranch_execz .LBB1779_106
; %bb.32:
	flat_load_b32 v15, v0, s[24:25] scale_offset
	s_wait_xcnt 0x0
	s_or_b32 exec_lo, exec_lo, s14
                                        ; implicit-def: $vgpr16
	s_and_saveexec_b32 s14, s1
	s_cbranch_execnz .LBB1779_107
.LBB1779_33:
	s_or_b32 exec_lo, exec_lo, s14
                                        ; implicit-def: $vgpr17
	s_and_saveexec_b32 s1, s4
	s_cbranch_execz .LBB1779_108
.LBB1779_34:
	flat_load_b32 v17, v0, s[24:25] offset:2048 scale_offset
	s_wait_xcnt 0x0
	s_or_b32 exec_lo, exec_lo, s1
                                        ; implicit-def: $vgpr18
	s_and_saveexec_b32 s1, s5
	s_cbranch_execnz .LBB1779_109
.LBB1779_35:
	s_or_b32 exec_lo, exec_lo, s1
                                        ; implicit-def: $vgpr19
	s_and_saveexec_b32 s1, s6
	s_cbranch_execz .LBB1779_110
.LBB1779_36:
	flat_load_b32 v19, v0, s[24:25] offset:4096 scale_offset
	s_wait_xcnt 0x0
	s_or_b32 exec_lo, exec_lo, s1
                                        ; implicit-def: $vgpr20
	s_and_saveexec_b32 s1, s7
	s_cbranch_execnz .LBB1779_111
.LBB1779_37:
	s_or_b32 exec_lo, exec_lo, s1
                                        ; implicit-def: $vgpr21
	s_and_saveexec_b32 s1, s8
	s_cbranch_execz .LBB1779_112
.LBB1779_38:
	flat_load_b32 v21, v0, s[24:25] offset:6144 scale_offset
	s_wait_xcnt 0x0
	s_or_b32 exec_lo, exec_lo, s1
                                        ; implicit-def: $vgpr22
	s_and_saveexec_b32 s1, s9
	s_cbranch_execnz .LBB1779_113
.LBB1779_39:
	s_or_b32 exec_lo, exec_lo, s1
                                        ; implicit-def: $vgpr23
	s_and_saveexec_b32 s1, s10
	s_cbranch_execz .LBB1779_114
.LBB1779_40:
	flat_load_b32 v23, v0, s[24:25] offset:8192 scale_offset
	s_wait_xcnt 0x0
	s_or_b32 exec_lo, exec_lo, s1
                                        ; implicit-def: $vgpr24
	s_and_saveexec_b32 s1, s11
	s_cbranch_execnz .LBB1779_115
.LBB1779_41:
	s_or_b32 exec_lo, exec_lo, s1
                                        ; implicit-def: $vgpr25
	s_and_saveexec_b32 s1, s12
	s_cbranch_execz .LBB1779_43
.LBB1779_42:
	flat_load_b32 v25, v0, s[24:25] offset:10240 scale_offset
.LBB1779_43:
	s_wait_xcnt 0x0
	s_or_b32 exec_lo, exec_lo, s1
	v_mul_u32_u24_e32 v39, 12, v0
                                        ; implicit-def: $vgpr26
	s_and_saveexec_b32 s1, s13
	s_cbranch_execz .LBB1779_45
; %bb.44:
	flat_load_b32 v26, v0, s[24:25] offset:11264 scale_offset
.LBB1779_45:
	s_wait_xcnt 0x0
	s_or_b32 exec_lo, exec_lo, s1
	s_wait_loadcnt_dscnt 0x0
	ds_store_2addr_stride64_b32 v14, v15, v16 offset1:4
	ds_store_2addr_stride64_b32 v14, v17, v18 offset0:8 offset1:12
	ds_store_2addr_stride64_b32 v14, v19, v20 offset0:16 offset1:20
	;; [unrolled: 1-line block ×5, first 2 shown]
	v_mov_b64_e32 v[14:15], 0
	v_mov_b64_e32 v[42:43], 0
	;; [unrolled: 1-line block ×21, first 2 shown]
	s_mov_b32 s1, 0
	s_mov_b32 s5, 0
	s_mov_b32 s4, exec_lo
	s_wait_dscnt 0x0
	s_barrier_signal -1
	s_barrier_wait -1
                                        ; implicit-def: $sgpr6
                                        ; implicit-def: $vgpr60
	v_cmpx_gt_u32_e64 s15, v39
	s_cbranch_execz .LBB1779_69
; %bb.46:
	ds_load_b32 v14, v1
	v_cmp_eq_u32_e32 vcc_lo, v10, v11
	v_or_b32_e32 v16, 1, v39
	v_mov_b64_e32 v[42:43], 0
	v_mov_b64_e32 v[40:41], 0
	v_mov_b64_e32 v[44:45], 0
	v_mov_b64_e32 v[46:47], 0
	v_mov_b64_e32 v[48:49], 0
	v_mov_b64_e32 v[50:51], 0
	v_mov_b64_e32 v[52:53], 0
	v_mov_b64_e32 v[54:55], 0
	v_mov_b64_e32 v[56:57], 0
	v_mov_b64_e32 v[58:59], 0
	v_mov_b64_e32 v[34:35], 0
	v_mov_b64_e32 v[32:33], 0
	v_mov_b64_e32 v[30:31], 0
	v_mov_b64_e32 v[28:29], 0
	v_mov_b64_e32 v[26:27], 0
	v_mov_b64_e32 v[24:25], 0
	v_mov_b64_e32 v[22:23], 0
	s_wait_dscnt 0x0
	v_cndmask_b32_e32 v14, s33, v14, vcc_lo
	v_cmp_ne_u32_e32 vcc_lo, v10, v11
	v_mov_b64_e32 v[20:21], 0
	v_mov_b64_e32 v[18:19], 0
	s_mov_b32 s7, 0
	s_mov_b32 s5, exec_lo
	v_cndmask_b32_e64 v15, 0, 1, vcc_lo
                                        ; implicit-def: $sgpr6
                                        ; implicit-def: $vgpr60
	v_cmpx_gt_u32_e64 s15, v16
	s_cbranch_execz .LBB1779_68
; %bb.47:
	ds_load_2addr_b32 v[16:17], v1 offset0:1 offset1:2
	v_cmp_eq_u32_e32 vcc_lo, v11, v12
	v_or_b32_e32 v10, 2, v39
	v_mov_b64_e32 v[40:41], 0
	v_mov_b64_e32 v[44:45], 0
	;; [unrolled: 1-line block ×17, first 2 shown]
	s_wait_dscnt 0x0
	v_cndmask_b32_e32 v42, s33, v16, vcc_lo
	v_cmp_ne_u32_e32 vcc_lo, v11, v12
	s_mov_b32 s8, 0
	s_mov_b32 s7, exec_lo
                                        ; implicit-def: $sgpr6
                                        ; implicit-def: $vgpr60
	v_cndmask_b32_e64 v43, 0, 1, vcc_lo
	v_cmpx_gt_u32_e64 s15, v10
	s_cbranch_execz .LBB1779_67
; %bb.48:
	v_cmp_eq_u32_e32 vcc_lo, v12, v13
	v_mov_b64_e32 v[44:45], 0
	v_mov_b64_e32 v[46:47], 0
	;; [unrolled: 1-line block ×4, first 2 shown]
	v_dual_cndmask_b32 v40, s33, v17, vcc_lo :: v_dual_bitop2_b32 v10, 3, v39 bitop3:0x54
	v_cmp_ne_u32_e32 vcc_lo, v12, v13
	v_mov_b64_e32 v[52:53], 0
	v_mov_b64_e32 v[54:55], 0
	;; [unrolled: 1-line block ×11, first 2 shown]
	v_cndmask_b32_e64 v41, 0, 1, vcc_lo
	s_mov_b32 s9, 0
	s_mov_b32 s8, exec_lo
                                        ; implicit-def: $sgpr6
                                        ; implicit-def: $vgpr60
	v_cmpx_gt_u32_e64 s15, v10
	s_cbranch_execz .LBB1779_66
; %bb.49:
	ds_load_2addr_b32 v[10:11], v1 offset0:3 offset1:4
	v_cmp_ne_u32_e32 vcc_lo, v13, v6
	v_mov_b64_e32 v[46:47], 0
	v_mov_b64_e32 v[48:49], 0
	;; [unrolled: 1-line block ×4, first 2 shown]
	v_cndmask_b32_e64 v45, 0, 1, vcc_lo
	v_cmp_eq_u32_e32 vcc_lo, v13, v6
	v_mov_b64_e32 v[54:55], 0
	v_mov_b64_e32 v[56:57], 0
	;; [unrolled: 1-line block ×9, first 2 shown]
	v_add_nc_u32_e32 v12, 4, v39
	s_mov_b32 s10, 0
	s_mov_b32 s9, exec_lo
	s_wait_dscnt 0x0
	v_cndmask_b32_e32 v44, s33, v10, vcc_lo
                                        ; implicit-def: $sgpr6
                                        ; implicit-def: $vgpr60
	v_cmpx_gt_u32_e64 s15, v12
	s_cbranch_execz .LBB1779_65
; %bb.50:
	v_cmp_eq_u32_e32 vcc_lo, v6, v7
	v_mov_b64_e32 v[48:49], 0
	v_mov_b64_e32 v[50:51], 0
	v_mov_b64_e32 v[52:53], 0
	v_mov_b64_e32 v[54:55], 0
	v_cndmask_b32_e32 v46, s33, v11, vcc_lo
	v_cmp_ne_u32_e32 vcc_lo, v6, v7
	v_mov_b64_e32 v[56:57], 0
	v_mov_b64_e32 v[58:59], 0
	;; [unrolled: 1-line block ×7, first 2 shown]
	v_add_nc_u32_e32 v10, 5, v39
	v_cndmask_b32_e64 v47, 0, 1, vcc_lo
	s_mov_b32 s11, 0
	s_mov_b32 s10, exec_lo
                                        ; implicit-def: $sgpr6
                                        ; implicit-def: $vgpr60
	s_delay_alu instid0(VALU_DEP_2)
	v_cmpx_gt_u32_e64 s15, v10
	s_cbranch_execz .LBB1779_64
; %bb.51:
	ds_load_2addr_b32 v[10:11], v1 offset0:5 offset1:6
	v_cmp_ne_u32_e32 vcc_lo, v7, v8
	v_mov_b64_e32 v[50:51], 0
	v_mov_b64_e32 v[52:53], 0
	v_mov_b64_e32 v[54:55], 0
	v_mov_b64_e32 v[56:57], 0
	v_cndmask_b32_e64 v49, 0, 1, vcc_lo
	v_cmp_eq_u32_e32 vcc_lo, v7, v8
	v_mov_b64_e32 v[58:59], 0
	v_mov_b64_e32 v[24:25], 0
	;; [unrolled: 1-line block ×5, first 2 shown]
	v_add_nc_u32_e32 v6, 6, v39
	s_mov_b32 s12, 0
	s_mov_b32 s11, exec_lo
                                        ; implicit-def: $sgpr6
                                        ; implicit-def: $vgpr60
	s_wait_dscnt 0x0
	v_cndmask_b32_e32 v48, s33, v10, vcc_lo
	v_cmpx_gt_u32_e64 s15, v6
	s_cbranch_execz .LBB1779_63
; %bb.52:
	v_cmp_eq_u32_e32 vcc_lo, v8, v9
	v_mov_b64_e32 v[52:53], 0
	v_mov_b64_e32 v[54:55], 0
	;; [unrolled: 1-line block ×4, first 2 shown]
	v_cndmask_b32_e32 v50, s33, v11, vcc_lo
	v_cmp_ne_u32_e32 vcc_lo, v8, v9
	v_mov_b64_e32 v[22:23], 0
	v_mov_b64_e32 v[20:21], 0
	;; [unrolled: 1-line block ×3, first 2 shown]
	v_add_nc_u32_e32 v6, 7, v39
	v_cndmask_b32_e64 v51, 0, 1, vcc_lo
	s_mov_b32 s13, 0
	s_mov_b32 s12, exec_lo
                                        ; implicit-def: $sgpr6
                                        ; implicit-def: $vgpr60
	s_delay_alu instid0(VALU_DEP_2)
	v_cmpx_gt_u32_e64 s15, v6
	s_cbranch_execz .LBB1779_62
; %bb.53:
	ds_load_2addr_b32 v[6:7], v1 offset0:7 offset1:8
	v_cmp_ne_u32_e32 vcc_lo, v9, v2
	v_mov_b64_e32 v[54:55], 0
	v_mov_b64_e32 v[56:57], 0
	;; [unrolled: 1-line block ×4, first 2 shown]
	v_cndmask_b32_e64 v53, 0, 1, vcc_lo
	v_cmp_eq_u32_e32 vcc_lo, v9, v2
	v_mov_b64_e32 v[18:19], 0
	v_add_nc_u32_e32 v8, 8, v39
	s_mov_b32 s14, 0
	s_mov_b32 s13, exec_lo
                                        ; implicit-def: $sgpr6
                                        ; implicit-def: $vgpr60
	s_wait_dscnt 0x0
	v_cndmask_b32_e32 v52, s33, v6, vcc_lo
	v_cmpx_gt_u32_e64 s15, v8
	s_cbranch_execz .LBB1779_61
; %bb.54:
	v_cmp_eq_u32_e32 vcc_lo, v2, v3
	v_mov_b64_e32 v[56:57], 0
	v_mov_b64_e32 v[58:59], 0
	;; [unrolled: 1-line block ×3, first 2 shown]
	v_add_nc_u32_e32 v6, 9, v39
	v_cndmask_b32_e32 v54, s33, v7, vcc_lo
	v_cmp_ne_u32_e32 vcc_lo, v2, v3
	s_mov_b32 s37, 0
	s_mov_b32 s14, exec_lo
                                        ; implicit-def: $sgpr6
                                        ; implicit-def: $vgpr60
	v_cndmask_b32_e64 v55, 0, 1, vcc_lo
	v_cmpx_gt_u32_e64 s15, v6
	s_cbranch_execz .LBB1779_60
; %bb.55:
	ds_load_2addr_b32 v[6:7], v1 offset0:9 offset1:10
	v_cmp_ne_u32_e32 vcc_lo, v3, v4
	v_mov_b64_e32 v[58:59], 0
	s_mov_b32 s38, 0
	s_mov_b32 s37, exec_lo
                                        ; implicit-def: $sgpr6
                                        ; implicit-def: $vgpr60
	v_cndmask_b32_e64 v57, 0, 1, vcc_lo
	v_cmp_eq_u32_e32 vcc_lo, v3, v4
	s_wait_dscnt 0x0
	v_dual_add_nc_u32 v2, 10, v39 :: v_dual_cndmask_b32 v56, s33, v6, vcc_lo
	s_delay_alu instid0(VALU_DEP_1)
	v_cmpx_gt_u32_e64 s15, v2
	s_cbranch_execz .LBB1779_59
; %bb.56:
	v_cmp_eq_u32_e32 vcc_lo, v4, v5
	v_add_nc_u32_e32 v2, 11, v39
                                        ; implicit-def: $sgpr6
                                        ; implicit-def: $vgpr60
	v_cndmask_b32_e32 v58, s33, v7, vcc_lo
	v_cmp_ne_u32_e32 vcc_lo, v4, v5
	v_cndmask_b32_e64 v59, 0, 1, vcc_lo
	s_delay_alu instid0(VALU_DEP_4) | instskip(SKIP_2) | instid1(SALU_CYCLE_1)
	v_cmp_gt_u32_e32 vcc_lo, s15, v2
	s_mov_b32 s15, 0
	s_and_saveexec_b32 s38, vcc_lo
	s_xor_b32 s38, exec_lo, s38
	s_cbranch_execz .LBB1779_58
; %bb.57:
	ds_load_b32 v1, v1 offset:44
	v_cmp_ne_u32_e64 s6, v5, v38
	s_mov_b32 s15, exec_lo
	s_wait_dscnt 0x0
	v_cndmask_b32_e64 v60, v1, s33, s6
.LBB1779_58:
	s_or_b32 exec_lo, exec_lo, s38
	s_delay_alu instid0(SALU_CYCLE_1)
	s_and_b32 s38, s15, exec_lo
.LBB1779_59:
	s_or_b32 exec_lo, exec_lo, s37
	v_mov_b64_e32 v[18:19], v[58:59]
	s_and_b32 s37, s38, exec_lo
.LBB1779_60:
	s_or_b32 exec_lo, exec_lo, s14
	v_mov_b64_e32 v[20:21], v[56:57]
	s_and_b32 s14, s37, exec_lo
.LBB1779_61:
	s_or_b32 exec_lo, exec_lo, s13
	v_mov_b64_e32 v[22:23], v[54:55]
	s_and_b32 s13, s14, exec_lo
.LBB1779_62:
	s_or_b32 exec_lo, exec_lo, s12
	v_mov_b64_e32 v[24:25], v[52:53]
	s_and_b32 s12, s13, exec_lo
.LBB1779_63:
	s_or_b32 exec_lo, exec_lo, s11
	v_mov_b64_e32 v[26:27], v[50:51]
	s_and_b32 s11, s12, exec_lo
.LBB1779_64:
	s_or_b32 exec_lo, exec_lo, s10
	v_mov_b64_e32 v[28:29], v[48:49]
	s_and_b32 s10, s11, exec_lo
.LBB1779_65:
	s_or_b32 exec_lo, exec_lo, s9
	v_mov_b64_e32 v[30:31], v[46:47]
	s_and_b32 s9, s10, exec_lo
.LBB1779_66:
	s_or_b32 exec_lo, exec_lo, s8
	v_mov_b64_e32 v[32:33], v[44:45]
	s_and_b32 s8, s9, exec_lo
.LBB1779_67:
	s_or_b32 exec_lo, exec_lo, s7
	v_mov_b64_e32 v[34:35], v[40:41]
	s_and_b32 s7, s8, exec_lo
.LBB1779_68:
	s_or_b32 exec_lo, exec_lo, s5
	v_mov_b64_e32 v[36:37], v[42:43]
	s_and_b32 s5, s7, exec_lo
.LBB1779_69:
	s_or_b32 exec_lo, exec_lo, s4
	v_lshlrev_b32_e32 v16, 2, v0
	s_and_b32 vcc_lo, exec_lo, s1
	s_cbranch_vccnz .LBB1779_71
	s_branch .LBB1779_76
.LBB1779_70:
                                        ; implicit-def: $sgpr6
                                        ; implicit-def: $vgpr60
                                        ; implicit-def: $vgpr14_vgpr15
                                        ; implicit-def: $vgpr42_vgpr43
                                        ; implicit-def: $vgpr40_vgpr41
                                        ; implicit-def: $vgpr44_vgpr45
                                        ; implicit-def: $vgpr46_vgpr47
                                        ; implicit-def: $vgpr48_vgpr49
                                        ; implicit-def: $vgpr50_vgpr51
                                        ; implicit-def: $vgpr52_vgpr53
                                        ; implicit-def: $vgpr54_vgpr55
                                        ; implicit-def: $vgpr56_vgpr57
                                        ; implicit-def: $vgpr58_vgpr59
                                        ; implicit-def: $vgpr36_vgpr37
                                        ; implicit-def: $vgpr34_vgpr35
                                        ; implicit-def: $vgpr32_vgpr33
                                        ; implicit-def: $vgpr30_vgpr31
                                        ; implicit-def: $vgpr28_vgpr29
                                        ; implicit-def: $vgpr26_vgpr27
                                        ; implicit-def: $vgpr24_vgpr25
                                        ; implicit-def: $vgpr22_vgpr23
                                        ; implicit-def: $vgpr20_vgpr21
                                        ; implicit-def: $vgpr18_vgpr19
	v_lshlrev_b32_e32 v16, 2, v0
	s_cbranch_execz .LBB1779_76
.LBB1779_71:
	s_clause 0xb
	flat_load_b32 v1, v0, s[34:35] scale_offset
	flat_load_b32 v2, v0, s[34:35] offset:1024 scale_offset
	flat_load_b32 v3, v0, s[34:35] offset:2048 scale_offset
	;; [unrolled: 1-line block ×11, first 2 shown]
	v_mov_b32_e32 v13, 0
	v_mad_u32_u24 v28, v0, 44, v16
	s_mov_b32 s1, exec_lo
	s_wait_loadcnt_dscnt 0xa0a
	ds_store_2addr_stride64_b32 v16, v1, v2 offset1:4
	s_wait_loadcnt_dscnt 0x809
	ds_store_2addr_stride64_b32 v16, v3, v4 offset0:8 offset1:12
	s_wait_loadcnt_dscnt 0x608
	ds_store_2addr_stride64_b32 v16, v5, v6 offset0:16 offset1:20
	;; [unrolled: 2-line block ×5, first 2 shown]
	s_wait_dscnt 0x0
	s_barrier_signal -1
	s_barrier_wait -1
	flat_load_b32 v1, v13, s[34:35] offset:12288
	s_wait_xcnt 0x0
	ds_load_b128 v[10:13], v28
	ds_load_b128 v[6:9], v28 offset:16
	ds_load_b128 v[2:5], v28 offset:32
	v_mad_i32_i24 v14, 0xffffffd4, v0, v28
	s_wait_dscnt 0x2
	ds_store_b32 v14, v10 offset:13312
	s_wait_loadcnt_dscnt 0x0
	s_barrier_signal -1
	s_barrier_wait -1
	v_cmpx_ne_u32_e32 0xff, v0
; %bb.72:
	v_mul_i32_i24_e32 v1, 0xffffffd4, v0
	s_delay_alu instid0(VALU_DEP_1)
	v_add_nc_u32_e32 v1, v28, v1
	ds_load_b32 v1, v1 offset:13316
; %bb.73:
	s_or_b32 exec_lo, exec_lo, s1
	s_wait_dscnt 0x0
	s_barrier_signal -1
	s_barrier_wait -1
	s_clause 0xb
	flat_load_b32 v14, v0, s[24:25] scale_offset
	flat_load_b32 v15, v0, s[24:25] offset:1024 scale_offset
	flat_load_b32 v17, v0, s[24:25] offset:2048 scale_offset
	;; [unrolled: 1-line block ×11, first 2 shown]
	v_cmp_eq_u32_e32 vcc_lo, v10, v11
	v_mov_b32_e32 v10, s33
	s_wait_loadcnt_dscnt 0xa0a
	ds_store_2addr_stride64_b32 v16, v14, v15 offset1:4
	s_wait_loadcnt_dscnt 0x809
	ds_store_2addr_stride64_b32 v16, v17, v18 offset0:8 offset1:12
	s_wait_loadcnt_dscnt 0x608
	ds_store_2addr_stride64_b32 v16, v19, v20 offset0:16 offset1:20
	;; [unrolled: 2-line block ×5, first 2 shown]
	s_wait_dscnt 0x0
	s_barrier_signal -1
	s_barrier_wait -1
	ds_load_2addr_b32 v[26:27], v28 offset0:1 offset1:2
	ds_load_2addr_b32 v[24:25], v28 offset0:3 offset1:4
	;; [unrolled: 1-line block ×5, first 2 shown]
	ds_load_b32 v17, v28 offset:44
	v_mov_b64_e32 v[14:15], 0x100000000
	s_and_saveexec_b32 s1, vcc_lo
; %bb.74:
	ds_load_b32 v10, v28
	v_mov_b64_e32 v[14:15], 0
; %bb.75:
	s_or_b32 exec_lo, exec_lo, s1
	v_cmp_eq_u32_e32 vcc_lo, v11, v12
	v_cmp_ne_u32_e64 s6, v5, v1
	s_mov_b32 s5, -1
	s_wait_dscnt 0x5
	v_cndmask_b32_e32 v42, s33, v26, vcc_lo
	v_cmp_ne_u32_e32 vcc_lo, v11, v12
	s_wait_dscnt 0x0
	v_cndmask_b32_e64 v60, v17, s33, s6
	v_cndmask_b32_e64 v43, 0, 1, vcc_lo
	v_cmp_eq_u32_e32 vcc_lo, v12, v13
	v_or_b32_e32 v14, v14, v10
	s_delay_alu instid0(VALU_DEP_3) | instskip(SKIP_4) | instid1(VALU_DEP_2)
	v_mov_b64_e32 v[36:37], v[42:43]
	v_cndmask_b32_e32 v40, s33, v27, vcc_lo
	v_cmp_ne_u32_e32 vcc_lo, v12, v13
	v_cndmask_b32_e64 v41, 0, 1, vcc_lo
	v_cmp_eq_u32_e32 vcc_lo, v13, v6
	v_mov_b64_e32 v[34:35], v[40:41]
	v_cndmask_b32_e32 v44, s33, v24, vcc_lo
	v_cmp_ne_u32_e32 vcc_lo, v13, v6
	v_cndmask_b32_e64 v45, 0, 1, vcc_lo
	v_cmp_eq_u32_e32 vcc_lo, v6, v7
	s_delay_alu instid0(VALU_DEP_2) | instskip(SKIP_4) | instid1(VALU_DEP_2)
	v_mov_b64_e32 v[32:33], v[44:45]
	v_cndmask_b32_e32 v46, s33, v25, vcc_lo
	v_cmp_ne_u32_e32 vcc_lo, v6, v7
	v_cndmask_b32_e64 v47, 0, 1, vcc_lo
	v_cmp_eq_u32_e32 vcc_lo, v7, v8
	v_mov_b64_e32 v[30:31], v[46:47]
	v_cndmask_b32_e32 v48, s33, v22, vcc_lo
	v_cmp_ne_u32_e32 vcc_lo, v7, v8
	v_cndmask_b32_e64 v49, 0, 1, vcc_lo
	v_cmp_eq_u32_e32 vcc_lo, v8, v9
	s_delay_alu instid0(VALU_DEP_2) | instskip(SKIP_4) | instid1(VALU_DEP_2)
	;; [unrolled: 11-line block ×3, first 2 shown]
	v_mov_b64_e32 v[24:25], v[52:53]
	v_cndmask_b32_e32 v54, s33, v21, vcc_lo
	v_cmp_ne_u32_e32 vcc_lo, v2, v3
	v_cndmask_b32_e64 v55, 0, 1, vcc_lo
	v_cmp_eq_u32_e32 vcc_lo, v3, v4
	v_mov_b64_e32 v[22:23], v[54:55]
	v_cndmask_b32_e32 v56, s33, v18, vcc_lo
	v_cmp_ne_u32_e32 vcc_lo, v3, v4
	v_cndmask_b32_e64 v57, 0, 1, vcc_lo
	v_cmp_eq_u32_e32 vcc_lo, v4, v5
	s_delay_alu instid0(VALU_DEP_2) | instskip(SKIP_3) | instid1(VALU_DEP_1)
	v_mov_b64_e32 v[20:21], v[56:57]
	v_cndmask_b32_e32 v58, s33, v19, vcc_lo
	v_cmp_ne_u32_e32 vcc_lo, v4, v5
	v_cndmask_b32_e64 v59, 0, 1, vcc_lo
	v_mov_b64_e32 v[18:19], v[58:59]
.LBB1779_76:
	v_mov_b64_e32 v[38:39], 0
	s_and_saveexec_b32 s1, s5
	s_cbranch_execz .LBB1779_78
; %bb.77:
	v_cndmask_b32_e64 v61, 0, 1, s6
	v_mov_b64_e32 v[18:19], v[58:59]
	v_mov_b64_e32 v[20:21], v[56:57]
	;; [unrolled: 1-line block ×11, first 2 shown]
.LBB1779_78:
	s_or_b32 exec_lo, exec_lo, s1
	v_dual_lshrrev_b32 v1, 2, v0 :: v_dual_bitop2_b32 v40, v25, v23 bitop3:0x54
	s_delay_alu instid0(VALU_DEP_3)
	v_or_b32_e32 v17, v21, v19
	s_cmp_lg_u32 s36, 0
	v_cmp_gt_u32_e32 vcc_lo, 32, v0
	s_barrier_signal -1
	s_barrier_wait -1
	s_cbranch_scc0 .LBB1779_116
; %bb.79:
	s_mov_b64 s[14:15], 0x100000000
	v_or3_b32 v3, v40, v27, v29
	v_cmp_gt_u64_e64 s1, s[14:15], v[36:37]
	v_cmp_gt_u64_e64 s4, s[14:15], v[34:35]
	;; [unrolled: 1-line block ×7, first 2 shown]
	v_dual_cndmask_b32 v2, 0, v14, s1 :: v_dual_bitop2_b32 v5, 56, v1 bitop3:0x40
	v_cmp_gt_u64_e64 s9, s[14:15], v[24:25]
	v_cmp_gt_u64_e64 s10, s[14:15], v[22:23]
	;; [unrolled: 1-line block ×3, first 2 shown]
	s_delay_alu instid0(VALU_DEP_4) | instskip(SKIP_3) | instid1(VALU_DEP_4)
	v_add_nc_u32_e32 v2, v2, v36
	v_or3_b32 v3, v3, v31, v33
	v_cmp_gt_u64_e64 s12, s[14:15], v[18:19]
	v_lshl_add_u32 v5, v0, 3, v5
	v_cndmask_b32_e64 v2, 0, v2, s4
	s_delay_alu instid0(VALU_DEP_4) | instskip(NEXT) | instid1(VALU_DEP_2)
	v_or3_b32 v3, v3, v35, v37
	v_add_nc_u32_e32 v2, v2, v34
	s_delay_alu instid0(VALU_DEP_2) | instskip(NEXT) | instid1(VALU_DEP_2)
	v_or3_b32 v3, v39, v17, v3
	v_cndmask_b32_e64 v2, 0, v2, s5
	s_delay_alu instid0(VALU_DEP_2) | instskip(NEXT) | instid1(VALU_DEP_2)
	v_and_b32_e32 v3, 0xff, v3
	v_add_nc_u32_e32 v2, v2, v32
	s_delay_alu instid0(VALU_DEP_1) | instskip(NEXT) | instid1(VALU_DEP_1)
	v_cndmask_b32_e64 v2, 0, v2, s6
	v_add_nc_u32_e32 v2, v2, v30
	s_delay_alu instid0(VALU_DEP_1) | instskip(NEXT) | instid1(VALU_DEP_1)
	v_cndmask_b32_e64 v2, 0, v2, s7
	;; [unrolled: 3-line block ×7, first 2 shown]
	v_dual_add_nc_u32 v4, v2, v18 :: v_dual_mov_b32 v2, 0
	s_delay_alu instid0(VALU_DEP_1) | instskip(NEXT) | instid1(VALU_DEP_2)
	v_cndmask_b32_e64 v4, 0, v4, s13
	v_cmp_eq_u64_e64 s13, 0, v[2:3]
	s_delay_alu instid0(VALU_DEP_1)
	v_dual_add_nc_u32 v12, v4, v38 :: v_dual_cndmask_b32 v13, 1, v15, s13
	ds_store_b32 v5, v12
	ds_store_b8 v5, v13 offset:4
	s_wait_dscnt 0x0
	s_barrier_signal -1
	s_barrier_wait -1
	s_and_saveexec_b32 s14, vcc_lo
	s_cbranch_execz .LBB1779_89
; %bb.80:
	v_dual_lshlrev_b32 v2, 1, v0 :: v_dual_lshlrev_b32 v3, 6, v0
	s_mov_b32 s15, exec_lo
	s_delay_alu instid0(VALU_DEP_1) | instskip(NEXT) | instid1(VALU_DEP_1)
	v_and_b32_e32 v2, 0x1f8, v2
	v_add_nc_u32_e32 v4, v2, v3
	ds_load_u8 v5, v4 offset:12
	ds_load_b64 v[2:3], v4
	ds_load_2addr_b32 v[6:7], v4 offset0:2 offset1:4
	ds_load_u8 v10, v4 offset:20
	ds_load_u8 v11, v4 offset:28
	;; [unrolled: 1-line block ×5, first 2 shown]
	ds_load_b32 v44, v4 offset:56
	s_wait_dscnt 0x8
	v_cmp_eq_u16_e64 s13, 0, v5
	s_wait_dscnt 0x5
	s_delay_alu instid0(VALU_DEP_1)
	v_dual_cndmask_b32 v45, 0, v2, s13 :: v_dual_bitop2_b32 v5, v10, v5 bitop3:0x54
	ds_load_2addr_b32 v[8:9], v4 offset0:6 offset1:8
	v_cmp_eq_u16_e64 s13, 0, v10
	s_wait_dscnt 0x4
	v_bitop3_b16 v5, v5, v41, v11 bitop3:0xfe
	v_add_nc_u32_e32 v6, v45, v6
	s_delay_alu instid0(VALU_DEP_1) | instskip(SKIP_1) | instid1(VALU_DEP_2)
	v_cndmask_b32_e64 v6, 0, v6, s13
	v_cmp_eq_u16_e64 s13, 0, v11
	v_add_nc_u32_e32 v6, v6, v7
	s_delay_alu instid0(VALU_DEP_1)
	v_cndmask_b32_e64 v45, 0, v6, s13
	ds_load_2addr_b32 v[6:7], v4 offset0:10 offset1:12
	v_cmp_eq_u16_e64 s13, 0, v41
	s_wait_dscnt 0x1
	v_add_nc_u32_e32 v8, v45, v8
	ds_load_u8 v45, v4 offset:60
	v_cndmask_b32_e64 v8, 0, v8, s13
	v_cmp_eq_u16_e64 s13, 0, v42
	s_delay_alu instid0(VALU_DEP_2) | instskip(SKIP_1) | instid1(VALU_DEP_2)
	v_add_nc_u32_e32 v8, v8, v9
	v_bitop3_b16 v9, v5, v43, v42 bitop3:0xfe
	v_dual_cndmask_b32 v8, 0, v8, s13 :: v_dual_bitop2_b32 v5, 1, v3 bitop3:0x40
	s_delay_alu instid0(VALU_DEP_2) | instskip(SKIP_1) | instid1(VALU_DEP_2)
	v_cmp_eq_u16_e64 s13, 0, v9
	s_wait_dscnt 0x0
	v_dual_add_nc_u32 v6, v8, v6 :: v_dual_bitop2_b32 v8, 1, v45 bitop3:0x40
	s_delay_alu instid0(VALU_DEP_2) | instskip(SKIP_1) | instid1(VALU_DEP_1)
	v_cndmask_b32_e64 v9, 1, v5, s13
	v_cmp_eq_u16_e64 s13, 0, v43
	v_cndmask_b32_e64 v6, 0, v6, s13
	s_delay_alu instid0(VALU_DEP_4) | instskip(SKIP_1) | instid1(VALU_DEP_2)
	v_cmp_eq_u32_e64 s13, 1, v8
	v_mbcnt_lo_u32_b32 v8, -1, 0
	v_cndmask_b32_e64 v9, v9, 1, s13
	v_cmp_eq_u16_e64 s13, 0, v45
	s_delay_alu instid0(VALU_DEP_2) | instskip(SKIP_2) | instid1(VALU_DEP_1)
	v_and_b32_e32 v10, 0xffff, v9
	v_add_nc_u32_e32 v7, v6, v7
	v_and_b32_e32 v6, 0xffffff00, v3
	v_dual_cndmask_b32 v7, 0, v7, s13 :: v_dual_bitop2_b32 v11, v6, v10 bitop3:0x54
	v_and_b32_e32 v10, 15, v8
	s_delay_alu instid0(VALU_DEP_2) | instskip(NEXT) | instid1(VALU_DEP_3)
	v_mov_b32_dpp v42, v11 row_shr:1 row_mask:0xf bank_mask:0xf
	v_add_nc_u32_e32 v7, v7, v44
	s_delay_alu instid0(VALU_DEP_1) | instskip(NEXT) | instid1(VALU_DEP_4)
	v_mov_b32_dpp v41, v7 row_shr:1 row_mask:0xf bank_mask:0xf
	v_cmpx_ne_u32_e32 0, v10
	s_cbranch_execz .LBB1779_82
; %bb.81:
	v_and_b32_e32 v11, 1, v9
	v_and_b32_e32 v42, 1, v42
	s_delay_alu instid0(VALU_DEP_2) | instskip(NEXT) | instid1(VALU_DEP_1)
	v_cmp_eq_u32_e64 s13, 1, v11
	v_cndmask_b32_e64 v42, v42, 1, s13
	v_cmp_eq_u16_e64 s13, 0, v9
	s_delay_alu instid0(VALU_DEP_2) | instskip(NEXT) | instid1(VALU_DEP_1)
	v_and_b32_e32 v11, 0xffff, v42
	v_dual_cndmask_b32 v9, 0, v41, s13 :: v_dual_bitop2_b32 v11, v6, v11 bitop3:0x54
	s_delay_alu instid0(VALU_DEP_1)
	v_dual_add_nc_u32 v7, v9, v7 :: v_dual_mov_b32 v9, v42
.LBB1779_82:
	s_or_b32 exec_lo, exec_lo, s15
	s_delay_alu instid0(VALU_DEP_1) | instskip(NEXT) | instid1(VALU_DEP_3)
	v_mov_b32_dpp v41, v7 row_shr:2 row_mask:0xf bank_mask:0xf
	v_mov_b32_dpp v42, v11 row_shr:2 row_mask:0xf bank_mask:0xf
	s_mov_b32 s15, exec_lo
	v_cmpx_lt_u32_e32 1, v10
	s_cbranch_execz .LBB1779_84
; %bb.83:
	v_and_b32_e32 v11, 1, v9
	v_and_b32_e32 v42, 1, v42
	s_delay_alu instid0(VALU_DEP_2) | instskip(NEXT) | instid1(VALU_DEP_1)
	v_cmp_eq_u32_e64 s13, 1, v11
	v_cndmask_b32_e64 v42, v42, 1, s13
	v_cmp_eq_u16_e64 s13, 0, v9
	s_delay_alu instid0(VALU_DEP_2) | instskip(NEXT) | instid1(VALU_DEP_1)
	v_and_b32_e32 v11, 0xffff, v42
	v_dual_cndmask_b32 v9, 0, v41, s13 :: v_dual_bitop2_b32 v11, v6, v11 bitop3:0x54
	s_delay_alu instid0(VALU_DEP_1)
	v_dual_add_nc_u32 v7, v9, v7 :: v_dual_mov_b32 v9, v42
.LBB1779_84:
	s_or_b32 exec_lo, exec_lo, s15
	s_delay_alu instid0(VALU_DEP_1) | instskip(NEXT) | instid1(VALU_DEP_3)
	v_mov_b32_dpp v41, v7 row_shr:4 row_mask:0xf bank_mask:0xf
	v_mov_b32_dpp v42, v11 row_shr:4 row_mask:0xf bank_mask:0xf
	s_mov_b32 s15, exec_lo
	v_cmpx_lt_u32_e32 3, v10
	;; [unrolled: 20-line block ×3, first 2 shown]
	s_cbranch_execz .LBB1779_88
; %bb.87:
	v_and_b32_e32 v10, 1, v9
	v_and_b32_e32 v11, 1, v42
	s_delay_alu instid0(VALU_DEP_2) | instskip(NEXT) | instid1(VALU_DEP_1)
	v_cmp_eq_u32_e64 s13, 1, v10
	v_cndmask_b32_e64 v10, v11, 1, s13
	v_cmp_eq_u16_e64 s13, 0, v9
	s_delay_alu instid0(VALU_DEP_2) | instskip(NEXT) | instid1(VALU_DEP_1)
	v_and_b32_e32 v11, 0xffff, v10
	v_dual_cndmask_b32 v9, 0, v41, s13 :: v_dual_bitop2_b32 v11, v6, v11 bitop3:0x54
	s_delay_alu instid0(VALU_DEP_1)
	v_dual_add_nc_u32 v7, v9, v7 :: v_dual_mov_b32 v9, v10
.LBB1779_88:
	s_or_b32 exec_lo, exec_lo, s15
	ds_swizzle_b32 v10, v11 offset:swizzle(BROADCAST,32,15)
	ds_swizzle_b32 v11, v7 offset:swizzle(BROADCAST,32,15)
	v_and_b32_e32 v41, 1, v9
	v_bfe_i32 v43, v8, 4, 1
	v_and_b32_e32 v3, 0xff, v3
	; wave barrier
	s_delay_alu instid0(VALU_DEP_3) | instskip(SKIP_2) | instid1(VALU_DEP_1)
	v_cmp_eq_u32_e64 s13, 1, v41
	s_wait_dscnt 0x1
	v_dual_add_nc_u32 v41, -1, v8 :: v_dual_bitop2_b32 v10, 1, v10 bitop3:0x40
	v_cndmask_b32_e64 v10, v10, 1, s13
	v_and_b32_e32 v42, 16, v8
	v_cmp_eq_u16_e64 s13, 0, v9
	s_wait_dscnt 0x0
	s_delay_alu instid0(VALU_DEP_1) | instskip(NEXT) | instid1(VALU_DEP_3)
	v_cndmask_b32_e64 v11, 0, v11, s13
	v_cmp_eq_u32_e64 s13, 0, v42
	s_delay_alu instid0(VALU_DEP_1) | instskip(SKIP_1) | instid1(VALU_DEP_4)
	v_cndmask_b32_e64 v9, v10, v9, s13
	v_cmp_gt_i32_e64 s13, 0, v41
	v_and_b32_e32 v10, v43, v11
	s_delay_alu instid0(VALU_DEP_3) | instskip(NEXT) | instid1(VALU_DEP_2)
	v_and_b32_e32 v9, 0xffff, v9
	v_dual_cndmask_b32 v8, v41, v8, s13 :: v_dual_add_nc_u32 v7, v10, v7
	v_cmp_eq_u16_e64 s13, 0, v3
	s_delay_alu instid0(VALU_DEP_2)
	v_lshlrev_b32_e32 v8, 2, v8
	ds_bpermute_b32 v7, v8, v7
	s_wait_dscnt 0x0
	v_dual_cndmask_b32 v3, 0, v7, s13 :: v_dual_bitop2_b32 v6, v6, v9 bitop3:0x54
	ds_bpermute_b32 v6, v8, v6
	v_cmp_eq_u32_e64 s13, 1, v5
	v_add_nc_u32_e32 v2, v3, v2
	s_wait_dscnt 0x0
	s_delay_alu instid0(VALU_DEP_1) | instskip(NEXT) | instid1(VALU_DEP_1)
	v_dual_cndmask_b32 v5, v2, v12, s2 :: v_dual_bitop2_b32 v6, 1, v6 bitop3:0x40
	v_cndmask_b32_e64 v3, v6, 1, s13
	s_delay_alu instid0(VALU_DEP_1)
	v_cndmask_b32_e64 v8, v3, v13, s2
	ds_store_b32 v4, v5
	ds_store_b8 v4, v8 offset:4
	; wave barrier
	ds_load_u8 v9, v4 offset:12
	ds_load_2addr_b32 v[2:3], v4 offset0:2 offset1:4
	ds_load_u8 v10, v4 offset:20
	ds_load_u8 v11, v4 offset:28
	;; [unrolled: 1-line block ×5, first 2 shown]
	ds_load_b32 v44, v4 offset:56
	ds_load_u8 v45, v4 offset:60
	ds_load_2addr_b32 v[6:7], v4 offset0:6 offset1:8
	s_wait_dscnt 0x9
	v_cmp_eq_u16_e64 s13, 0, v9
	v_and_b32_e32 v9, 1, v9
	s_delay_alu instid0(VALU_DEP_2) | instskip(SKIP_2) | instid1(VALU_DEP_2)
	v_cndmask_b32_e64 v5, 0, v5, s13
	s_wait_dscnt 0x7
	v_cmp_eq_u16_e64 s13, 0, v10
	v_add_nc_u32_e32 v5, v5, v2
	s_delay_alu instid0(VALU_DEP_1) | instskip(SKIP_2) | instid1(VALU_DEP_2)
	v_cndmask_b32_e64 v2, 0, v5, s13
	s_wait_dscnt 0x6
	v_cmp_eq_u16_e64 s13, 0, v11
	v_add_nc_u32_e32 v46, v2, v3
	ds_load_2addr_b32 v[2:3], v4 offset0:10 offset1:12
	v_cndmask_b32_e64 v47, 0, v46, s13
	s_wait_dscnt 0x6
	v_cmp_eq_u16_e64 s13, 0, v41
	ds_store_2addr_b32 v4, v5, v46 offset0:2 offset1:4
	s_wait_dscnt 0x2
	v_add_nc_u32_e32 v6, v47, v6
	s_delay_alu instid0(VALU_DEP_1) | instskip(SKIP_3) | instid1(VALU_DEP_4)
	v_cndmask_b32_e64 v47, 0, v6, s13
	v_cmp_eq_u32_e64 s13, 1, v9
	v_and_b32_e32 v9, 1, v11
	v_and_b32_e32 v11, 1, v41
	v_dual_add_nc_u32 v7, v47, v7 :: v_dual_bitop2_b32 v10, 1, v10 bitop3:0x40
	s_delay_alu instid0(VALU_DEP_4) | instskip(SKIP_1) | instid1(VALU_DEP_3)
	v_cndmask_b32_e64 v8, v8, 1, s13
	v_and_b32_e32 v47, 1, v45
	v_cmp_eq_u32_e64 s13, 1, v10
	s_delay_alu instid0(VALU_DEP_1) | instskip(SKIP_1) | instid1(VALU_DEP_1)
	v_cndmask_b32_e64 v10, v8, 1, s13
	v_cmp_eq_u16_e64 s13, 0, v42
	v_dual_cndmask_b32 v41, 0, v7, s13 :: v_dual_bitop2_b32 v42, 1, v42 bitop3:0x40
	v_cmp_eq_u32_e64 s13, 1, v9
	s_wait_dscnt 0x1
	s_delay_alu instid0(VALU_DEP_2) | instskip(NEXT) | instid1(VALU_DEP_2)
	v_dual_add_nc_u32 v2, v41, v2 :: v_dual_bitop2_b32 v41, 1, v43 bitop3:0x40
	v_cndmask_b32_e64 v9, v10, 1, s13
	v_cmp_eq_u32_e64 s13, 1, v11
	s_delay_alu instid0(VALU_DEP_1) | instskip(SKIP_1) | instid1(VALU_DEP_1)
	v_cndmask_b32_e64 v11, v9, 1, s13
	v_cmp_eq_u16_e64 s13, 0, v43
	v_cndmask_b32_e64 v43, 0, v2, s13
	v_cmp_eq_u32_e64 s13, 1, v42
	s_delay_alu instid0(VALU_DEP_2) | instskip(NEXT) | instid1(VALU_DEP_2)
	v_add_nc_u32_e32 v3, v43, v3
	v_cndmask_b32_e64 v42, v11, 1, s13
	v_cmp_eq_u32_e64 s13, 1, v41
	ds_store_2addr_b32 v4, v6, v7 offset0:6 offset1:8
	ds_store_2addr_b32 v4, v2, v3 offset0:10 offset1:12
	v_cndmask_b32_e64 v41, v42, 1, s13
	v_cmp_eq_u16_e64 s13, 0, v45
	s_delay_alu instid0(VALU_DEP_1) | instskip(SKIP_1) | instid1(VALU_DEP_2)
	v_cndmask_b32_e64 v5, 0, v3, s13
	v_cmp_eq_u32_e64 s13, 1, v47
	v_add_nc_u32_e32 v2, v5, v44
	s_delay_alu instid0(VALU_DEP_2)
	v_cndmask_b32_e64 v43, v41, 1, s13
	ds_store_b8 v4, v8 offset:12
	ds_store_b8 v4, v10 offset:20
	;; [unrolled: 1-line block ×6, first 2 shown]
	ds_store_b32 v4, v2 offset:56
	ds_store_b8 v4, v43 offset:60
.LBB1779_89:
	s_or_b32 exec_lo, exec_lo, s14
	s_wait_dscnt 0x0
	s_barrier_signal -1
	s_barrier_wait -1
	s_and_saveexec_b32 s13, s3
	s_cbranch_execz .LBB1779_91
; %bb.90:
	v_add_nc_u32_e32 v2, -1, v0
	s_delay_alu instid0(VALU_DEP_1) | instskip(NEXT) | instid1(VALU_DEP_1)
	v_lshrrev_b32_e32 v3, 2, v2
	v_and_b32_e32 v3, 0x3ffffff8, v3
	s_delay_alu instid0(VALU_DEP_1)
	v_lshl_add_u32 v2, v2, 3, v3
	ds_load_b32 v12, v2
	ds_load_u8 v13, v2 offset:4
.LBB1779_91:
	s_or_b32 exec_lo, exec_lo, s13
	s_and_saveexec_b32 s34, vcc_lo
	s_cbranch_execz .LBB1779_161
; %bb.92:
	v_mov_b32_e32 v5, 0
	v_mbcnt_lo_u32_b32 v41, -1, 0
	s_mov_b32 s15, 0
	ds_load_b64 v[2:3], v5 offset:2096
	v_cmp_eq_u32_e64 s13, 0, v41
	s_and_saveexec_b32 s24, s13
	s_cbranch_execz .LBB1779_94
; %bb.93:
	s_add_co_i32 s14, s36, 32
	v_mov_b32_e32 v4, 1
	s_lshl_b64 s[14:15], s[14:15], 4
	s_delay_alu instid0(SALU_CYCLE_1) | instskip(NEXT) | instid1(SALU_CYCLE_1)
	s_add_nc_u64 s[14:15], s[20:21], s[14:15]
	v_mov_b64_e32 v[6:7], s[14:15]
	s_wait_dscnt 0x0
	;;#ASMSTART
	global_store_b128 v[6:7], v[2:5] off scope:SCOPE_DEV	
s_wait_storecnt 0x0
	;;#ASMEND
.LBB1779_94:
	s_or_b32 exec_lo, exec_lo, s24
	v_xad_u32 v8, v41, -1, s36
	s_mov_b32 s14, exec_lo
	s_delay_alu instid0(VALU_DEP_1) | instskip(NEXT) | instid1(VALU_DEP_1)
	v_add_nc_u32_e32 v4, 32, v8
	v_lshl_add_u64 v[10:11], v[4:5], 4, s[20:21]
	;;#ASMSTART
	global_load_b128 v[4:7], v[10:11] off scope:SCOPE_DEV	
s_wait_loadcnt 0x0
	;;#ASMEND
	v_and_b32_e32 v7, 0xff, v6
	v_and_b32_e32 v5, 0xff, v5
	s_delay_alu instid0(VALU_DEP_2)
	v_cmpx_eq_u16_e32 0, v7
	s_cbranch_execz .LBB1779_98
; %bb.95:
	s_mov_b32 s15, 0
.LBB1779_96:                            ; =>This Inner Loop Header: Depth=1
	;;#ASMSTART
	global_load_b128 v[4:7], v[10:11] off scope:SCOPE_DEV	
s_wait_loadcnt 0x0
	;;#ASMEND
	v_and_b32_e32 v7, 0xff, v6
	s_delay_alu instid0(VALU_DEP_1) | instskip(SKIP_1) | instid1(SALU_CYCLE_1)
	v_cmp_ne_u16_e32 vcc_lo, 0, v7
	s_or_b32 s15, vcc_lo, s15
	s_and_not1_b32 exec_lo, exec_lo, s15
	s_cbranch_execnz .LBB1779_96
; %bb.97:
	s_or_b32 exec_lo, exec_lo, s15
	v_and_b32_e32 v5, 0xff, v5
.LBB1779_98:
	s_or_b32 exec_lo, exec_lo, s14
	v_cmp_ne_u32_e32 vcc_lo, 31, v41
	v_and_b32_e32 v9, 0xff, v6
	v_lshlrev_b32_e64 v43, v41, -1
	s_mov_b64 s[24:25], 0x100000000
	v_lshl_or_b32 v52, v41, 2, 64
	v_add_co_ci_u32_e64 v7, null, 0, v41, vcc_lo
	v_cmp_eq_u16_e32 vcc_lo, 2, v9
	v_cmp_gt_u64_e64 s14, s[24:25], v[4:5]
	s_delay_alu instid0(VALU_DEP_3) | instskip(SKIP_1) | instid1(VALU_DEP_2)
	v_dual_lshlrev_b32 v42, 2, v7 :: v_dual_bitop2_b32 v10, 1, v5 bitop3:0x40
	v_and_or_b32 v9, vcc_lo, v43, 0x80000000
	v_cmp_eq_u32_e32 vcc_lo, 1, v10
	ds_bpermute_b32 v7, v42, v5
	ds_bpermute_b32 v10, v42, v4
	v_ctz_i32_b32_e32 v9, v9
	s_wait_dscnt 0x1
	v_and_b32_e32 v7, 1, v7
	s_delay_alu instid0(VALU_DEP_1) | instskip(SKIP_1) | instid1(VALU_DEP_2)
	v_cndmask_b32_e64 v7, v7, 1, vcc_lo
	v_cmp_gt_u32_e32 vcc_lo, 30, v41
	v_and_b32_e32 v45, 0xffff, v7
	v_cndmask_b32_e64 v11, 0, 2, vcc_lo
	v_cmp_lt_u32_e32 vcc_lo, v41, v9
	s_delay_alu instid0(VALU_DEP_2) | instskip(NEXT) | instid1(VALU_DEP_4)
	v_add_lshl_u32 v44, v11, v41, 2
	v_dual_cndmask_b32 v11, v5, v45, vcc_lo :: v_dual_cndmask_b32 v7, v5, v7, vcc_lo
	s_and_b32 vcc_lo, vcc_lo, s14
	s_wait_dscnt 0x0
	v_cndmask_b32_e32 v10, 0, v10, vcc_lo
	ds_bpermute_b32 v5, v44, v11
	v_and_b32_e32 v46, 1, v7
	v_and_b32_e32 v48, 0xff, v7
	v_add_nc_u32_e32 v4, v10, v4
	s_delay_alu instid0(VALU_DEP_3) | instskip(NEXT) | instid1(VALU_DEP_3)
	v_cmp_eq_u32_e32 vcc_lo, 1, v46
	v_cmp_eq_u16_e64 s14, 0, v48
	ds_bpermute_b32 v10, v44, v4
	s_wait_dscnt 0x1
	v_and_b32_e32 v5, 1, v5
	s_delay_alu instid0(VALU_DEP_1) | instskip(SKIP_2) | instid1(VALU_DEP_3)
	v_cndmask_b32_e64 v5, v5, 1, vcc_lo
	v_add_nc_u32_e32 v45, 2, v41
	v_cmp_gt_u32_e32 vcc_lo, 28, v41
	v_and_b32_e32 v47, 0xffff, v5
	v_cndmask_b32_e64 v46, 0, 4, vcc_lo
	s_delay_alu instid0(VALU_DEP_4) | instskip(NEXT) | instid1(VALU_DEP_2)
	v_cmp_gt_u32_e32 vcc_lo, v45, v9
	v_add_lshl_u32 v46, v46, v41, 2
	v_cndmask_b32_e32 v5, v5, v7, vcc_lo
	s_wait_dscnt 0x0
	v_dual_cndmask_b32 v7, v47, v11, vcc_lo :: v_dual_cndmask_b32 v10, 0, v10, s14
	s_delay_alu instid0(VALU_DEP_2) | instskip(SKIP_4) | instid1(VALU_DEP_3)
	v_and_b32_e32 v48, 1, v5
	ds_bpermute_b32 v11, v46, v7
	v_cndmask_b32_e64 v10, v10, 0, vcc_lo
	v_cmp_eq_u32_e32 vcc_lo, 1, v48
	v_and_b32_e32 v48, 0xff, v5
	v_add_nc_u32_e32 v4, v10, v4
	s_delay_alu instid0(VALU_DEP_2)
	v_cmp_eq_u16_e64 s14, 0, v48
	s_wait_dscnt 0x0
	v_and_b32_e32 v11, 1, v11
	ds_bpermute_b32 v10, v46, v4
	v_add_nc_u32_e32 v47, 4, v41
	v_cndmask_b32_e64 v11, v11, 1, vcc_lo
	v_cmp_gt_u32_e32 vcc_lo, 24, v41
	s_delay_alu instid0(VALU_DEP_2) | instskip(SKIP_1) | instid1(VALU_DEP_1)
	v_and_b32_e32 v50, 0xffff, v11
	v_cndmask_b32_e64 v49, 0, 8, vcc_lo
	v_add_lshl_u32 v48, v49, v41, 2
	s_wait_dscnt 0x0
	v_dual_add_nc_u32 v49, 8, v41 :: v_dual_cndmask_b32 v10, 0, v10, s14
	v_cmp_gt_u32_e32 vcc_lo, v47, v9
	v_dual_cndmask_b32 v5, v11, v5, vcc_lo :: v_dual_cndmask_b32 v7, v50, v7, vcc_lo
	s_delay_alu instid0(VALU_DEP_3) | instskip(NEXT) | instid1(VALU_DEP_2)
	v_cndmask_b32_e64 v10, v10, 0, vcc_lo
	v_and_b32_e32 v50, 1, v5
	ds_bpermute_b32 v11, v48, v7
	v_add_nc_u32_e32 v4, v10, v4
	v_and_b32_e32 v51, 0xff, v5
	v_cmp_eq_u32_e32 vcc_lo, 1, v50
	ds_bpermute_b32 v10, v48, v4
	s_wait_dscnt 0x1
	v_and_b32_e32 v11, 1, v11
	s_delay_alu instid0(VALU_DEP_1) | instskip(SKIP_1) | instid1(VALU_DEP_2)
	v_cndmask_b32_e64 v11, v11, 1, vcc_lo
	v_cmp_eq_u16_e32 vcc_lo, 0, v51
	v_and_b32_e32 v50, 0xffff, v11
	s_wait_dscnt 0x0
	v_cndmask_b32_e32 v10, 0, v10, vcc_lo
	v_cmp_gt_u32_e32 vcc_lo, v49, v9
	s_delay_alu instid0(VALU_DEP_3) | instskip(NEXT) | instid1(VALU_DEP_3)
	v_dual_cndmask_b32 v5, v11, v5, vcc_lo :: v_dual_cndmask_b32 v7, v50, v7, vcc_lo
	v_cndmask_b32_e64 v10, v10, 0, vcc_lo
	s_delay_alu instid0(VALU_DEP_2) | instskip(SKIP_3) | instid1(VALU_DEP_1)
	v_and_b32_e32 v50, 1, v5
	ds_bpermute_b32 v7, v52, v7
	v_add_nc_u32_e32 v4, v10, v4
	v_and_b32_e32 v11, 0xff, v5
	v_cmp_eq_u16_e32 vcc_lo, 0, v11
	s_wait_dscnt 0x0
	v_and_b32_e32 v7, 1, v7
	ds_bpermute_b32 v10, v52, v4
	s_wait_dscnt 0x0
	v_dual_cndmask_b32 v10, 0, v10 :: v_dual_add_nc_u32 v53, 16, v41
	v_cmp_eq_u32_e32 vcc_lo, 1, v50
	v_cndmask_b32_e64 v7, v7, 1, vcc_lo
	s_delay_alu instid0(VALU_DEP_3) | instskip(NEXT) | instid1(VALU_DEP_2)
	v_cmp_gt_u32_e32 vcc_lo, v53, v9
	v_dual_mov_b32 v9, 0 :: v_dual_cndmask_b32 v5, v7, v5, vcc_lo
	v_cndmask_b32_e64 v7, v10, 0, vcc_lo
	s_delay_alu instid0(VALU_DEP_1)
	v_add_nc_u32_e32 v4, v7, v4
	s_branch .LBB1779_102
.LBB1779_99:                            ;   in Loop: Header=BB1779_102 Depth=1
	s_or_b32 exec_lo, exec_lo, s15
	v_and_b32_e32 v5, 0xff, v5
.LBB1779_100:                           ;   in Loop: Header=BB1779_102 Depth=1
	s_or_b32 exec_lo, exec_lo, s14
	ds_bpermute_b32 v7, v42, v5
	v_and_b32_e32 v10, 0xff, v6
	v_cmp_gt_u64_e64 s14, s[24:25], v[4:5]
	v_subrev_nc_u32_e32 v8, 32, v8
	s_delay_alu instid0(VALU_DEP_3) | instskip(SKIP_2) | instid1(VALU_DEP_2)
	v_cmp_eq_u16_e32 vcc_lo, 2, v10
	v_and_b32_e32 v10, 1, v5
	v_and_or_b32 v11, vcc_lo, v43, 0x80000000
	v_cmp_eq_u32_e32 vcc_lo, 1, v10
	s_delay_alu instid0(VALU_DEP_2) | instskip(SKIP_3) | instid1(VALU_DEP_1)
	v_ctz_i32_b32_e32 v10, v11
	ds_bpermute_b32 v11, v42, v4
	s_wait_dscnt 0x1
	v_and_b32_e32 v7, 1, v7
	v_cndmask_b32_e64 v7, v7, 1, vcc_lo
	v_cmp_lt_u32_e32 vcc_lo, v41, v10
	s_delay_alu instid0(VALU_DEP_2) | instskip(NEXT) | instid1(VALU_DEP_1)
	v_and_b32_e32 v54, 0xffff, v7
	v_dual_cndmask_b32 v7, v5, v7 :: v_dual_cndmask_b32 v54, v5, v54
	s_and_b32 vcc_lo, vcc_lo, s14
	s_delay_alu instid0(VALU_DEP_1)
	v_and_b32_e32 v56, 0xff, v7
	v_and_b32_e32 v55, 1, v7
	ds_bpermute_b32 v5, v44, v54
	s_wait_dscnt 0x1
	v_cndmask_b32_e32 v11, 0, v11, vcc_lo
	v_cmp_eq_u16_e64 s14, 0, v56
	v_cmp_eq_u32_e32 vcc_lo, 1, v55
	s_wait_dscnt 0x0
	s_delay_alu instid0(VALU_DEP_3) | instskip(NEXT) | instid1(VALU_DEP_1)
	v_dual_add_nc_u32 v4, v11, v4 :: v_dual_bitop2_b32 v5, 1, v5 bitop3:0x40
	v_cndmask_b32_e64 v5, v5, 1, vcc_lo
	ds_bpermute_b32 v11, v44, v4
	v_cmp_gt_u32_e32 vcc_lo, v45, v10
	v_and_b32_e32 v55, 0xffff, v5
	s_delay_alu instid0(VALU_DEP_1) | instskip(NEXT) | instid1(VALU_DEP_1)
	v_dual_cndmask_b32 v5, v5, v7, vcc_lo :: v_dual_cndmask_b32 v7, v55, v54, vcc_lo
	v_and_b32_e32 v55, 1, v5
	ds_bpermute_b32 v54, v46, v7
	s_wait_dscnt 0x1
	v_cndmask_b32_e64 v11, 0, v11, s14
	s_delay_alu instid0(VALU_DEP_1) | instskip(SKIP_2) | instid1(VALU_DEP_3)
	v_cndmask_b32_e64 v11, v11, 0, vcc_lo
	v_cmp_eq_u32_e32 vcc_lo, 1, v55
	v_and_b32_e32 v55, 0xff, v5
	v_add_nc_u32_e32 v4, v11, v4
	s_delay_alu instid0(VALU_DEP_2)
	v_cmp_eq_u16_e64 s14, 0, v55
	s_wait_dscnt 0x0
	v_and_b32_e32 v54, 1, v54
	ds_bpermute_b32 v11, v46, v4
	v_cndmask_b32_e64 v54, v54, 1, vcc_lo
	v_cmp_gt_u32_e32 vcc_lo, v47, v10
	s_delay_alu instid0(VALU_DEP_2) | instskip(SKIP_3) | instid1(VALU_DEP_1)
	v_and_b32_e32 v56, 0xffff, v54
	s_wait_dscnt 0x0
	v_dual_cndmask_b32 v5, v54, v5, vcc_lo :: v_dual_cndmask_b32 v11, 0, v11, s14
	s_mov_b32 s14, 0
	v_cndmask_b32_e64 v11, v11, 0, vcc_lo
	v_cndmask_b32_e32 v7, v56, v7, vcc_lo
	s_delay_alu instid0(VALU_DEP_3) | instskip(NEXT) | instid1(VALU_DEP_3)
	v_and_b32_e32 v56, 0xff, v5
	v_add_nc_u32_e32 v4, v11, v4
	ds_bpermute_b32 v54, v48, v7
	ds_bpermute_b32 v11, v48, v4
	v_and_b32_e32 v55, 1, v5
	s_delay_alu instid0(VALU_DEP_1) | instskip(SKIP_2) | instid1(VALU_DEP_1)
	v_cmp_eq_u32_e32 vcc_lo, 1, v55
	s_wait_dscnt 0x1
	v_and_b32_e32 v54, 1, v54
	v_cndmask_b32_e64 v54, v54, 1, vcc_lo
	v_cmp_eq_u16_e32 vcc_lo, 0, v56
	s_delay_alu instid0(VALU_DEP_2) | instskip(SKIP_3) | instid1(VALU_DEP_2)
	v_and_b32_e32 v55, 0xffff, v54
	s_wait_dscnt 0x0
	v_cndmask_b32_e32 v11, 0, v11, vcc_lo
	v_cmp_gt_u32_e32 vcc_lo, v49, v10
	v_cndmask_b32_e64 v11, v11, 0, vcc_lo
	v_dual_cndmask_b32 v7, v55, v7, vcc_lo :: v_dual_cndmask_b32 v5, v54, v5, vcc_lo
	s_delay_alu instid0(VALU_DEP_2) | instskip(SKIP_4) | instid1(VALU_DEP_1)
	v_add_nc_u32_e32 v4, v11, v4
	ds_bpermute_b32 v7, v52, v7
	v_and_b32_e32 v55, 0xff, v5
	ds_bpermute_b32 v11, v52, v4
	v_and_b32_e32 v54, 1, v5
	v_cmp_eq_u32_e32 vcc_lo, 1, v54
	s_wait_dscnt 0x1
	v_cndmask_b32_e64 v7, v7, 1, vcc_lo
	v_cmp_eq_u16_e32 vcc_lo, 0, v55
	s_wait_dscnt 0x0
	v_cndmask_b32_e32 v11, 0, v11, vcc_lo
	v_cmp_gt_u32_e32 vcc_lo, v53, v10
	v_and_b32_e32 v10, 0xff, v50
	v_cndmask_b32_e32 v5, v7, v5, vcc_lo
	s_delay_alu instid0(VALU_DEP_4) | instskip(NEXT) | instid1(VALU_DEP_3)
	v_cndmask_b32_e64 v7, v11, 0, vcc_lo
	v_cmp_eq_u16_e32 vcc_lo, 0, v10
	s_delay_alu instid0(VALU_DEP_2) | instskip(NEXT) | instid1(VALU_DEP_1)
	v_dual_add_nc_u32 v4, v7, v4 :: v_dual_bitop2_b32 v7, 1, v50 bitop3:0x40
	v_dual_cndmask_b32 v4, 0, v4, vcc_lo :: v_dual_bitop2_b32 v5, 1, v5 bitop3:0x40
	s_delay_alu instid0(VALU_DEP_2) | instskip(NEXT) | instid1(VALU_DEP_2)
	v_cmp_eq_u32_e32 vcc_lo, 1, v7
	v_add_nc_u32_e32 v4, v4, v51
	s_delay_alu instid0(VALU_DEP_3)
	v_cndmask_b32_e64 v5, v5, 1, vcc_lo
.LBB1779_101:                           ;   in Loop: Header=BB1779_102 Depth=1
	s_and_b32 vcc_lo, exec_lo, s14
	s_cbranch_vccnz .LBB1779_157
.LBB1779_102:                           ; =>This Loop Header: Depth=1
                                        ;     Child Loop BB1779_105 Depth 2
	v_and_b32_e32 v6, 0xff, v6
	s_delay_alu instid0(VALU_DEP_2) | instskip(SKIP_1) | instid1(VALU_DEP_2)
	v_dual_mov_b32 v50, v5 :: v_dual_mov_b32 v51, v4
	s_mov_b32 s14, -1
                                        ; implicit-def: $vgpr5
                                        ; implicit-def: $vgpr4
	v_cmp_ne_u16_e32 vcc_lo, 2, v6
                                        ; implicit-def: $vgpr6
	s_cmp_lg_u32 vcc_lo, exec_lo
	s_cbranch_scc1 .LBB1779_101
; %bb.103:                              ;   in Loop: Header=BB1779_102 Depth=1
	v_lshl_add_u64 v[10:11], v[8:9], 4, s[20:21]
	;;#ASMSTART
	global_load_b128 v[4:7], v[10:11] off scope:SCOPE_DEV	
s_wait_loadcnt 0x0
	;;#ASMEND
	v_and_b32_e32 v7, 0xff, v6
	v_and_b32_e32 v5, 0xff, v5
	s_mov_b32 s14, exec_lo
	s_delay_alu instid0(VALU_DEP_2)
	v_cmpx_eq_u16_e32 0, v7
	s_cbranch_execz .LBB1779_100
; %bb.104:                              ;   in Loop: Header=BB1779_102 Depth=1
	s_mov_b32 s15, 0
.LBB1779_105:                           ;   Parent Loop BB1779_102 Depth=1
                                        ; =>  This Inner Loop Header: Depth=2
	;;#ASMSTART
	global_load_b128 v[4:7], v[10:11] off scope:SCOPE_DEV	
s_wait_loadcnt 0x0
	;;#ASMEND
	v_and_b32_e32 v7, 0xff, v6
	s_delay_alu instid0(VALU_DEP_1) | instskip(SKIP_1) | instid1(SALU_CYCLE_1)
	v_cmp_ne_u16_e32 vcc_lo, 0, v7
	s_or_b32 s15, vcc_lo, s15
	s_and_not1_b32 exec_lo, exec_lo, s15
	s_cbranch_execnz .LBB1779_105
	s_branch .LBB1779_99
.LBB1779_106:
	s_or_b32 exec_lo, exec_lo, s14
                                        ; implicit-def: $vgpr16
	s_and_saveexec_b32 s14, s1
	s_cbranch_execz .LBB1779_33
.LBB1779_107:
	flat_load_b32 v16, v0, s[24:25] offset:1024 scale_offset
	s_wait_xcnt 0x0
	s_or_b32 exec_lo, exec_lo, s14
                                        ; implicit-def: $vgpr17
	s_and_saveexec_b32 s1, s4
	s_cbranch_execnz .LBB1779_34
.LBB1779_108:
	s_or_b32 exec_lo, exec_lo, s1
                                        ; implicit-def: $vgpr18
	s_and_saveexec_b32 s1, s5
	s_cbranch_execz .LBB1779_35
.LBB1779_109:
	flat_load_b32 v18, v0, s[24:25] offset:3072 scale_offset
	s_wait_xcnt 0x0
	s_or_b32 exec_lo, exec_lo, s1
                                        ; implicit-def: $vgpr19
	s_and_saveexec_b32 s1, s6
	s_cbranch_execnz .LBB1779_36
.LBB1779_110:
	s_or_b32 exec_lo, exec_lo, s1
                                        ; implicit-def: $vgpr20
	s_and_saveexec_b32 s1, s7
	s_cbranch_execz .LBB1779_37
.LBB1779_111:
	flat_load_b32 v20, v0, s[24:25] offset:5120 scale_offset
	s_wait_xcnt 0x0
	s_or_b32 exec_lo, exec_lo, s1
                                        ; implicit-def: $vgpr21
	s_and_saveexec_b32 s1, s8
	s_cbranch_execnz .LBB1779_38
.LBB1779_112:
	s_or_b32 exec_lo, exec_lo, s1
                                        ; implicit-def: $vgpr22
	s_and_saveexec_b32 s1, s9
	s_cbranch_execz .LBB1779_39
.LBB1779_113:
	flat_load_b32 v22, v0, s[24:25] offset:7168 scale_offset
	s_wait_xcnt 0x0
	s_or_b32 exec_lo, exec_lo, s1
                                        ; implicit-def: $vgpr23
	s_and_saveexec_b32 s1, s10
	s_cbranch_execnz .LBB1779_40
.LBB1779_114:
	s_or_b32 exec_lo, exec_lo, s1
                                        ; implicit-def: $vgpr24
	s_and_saveexec_b32 s1, s11
	s_cbranch_execz .LBB1779_41
.LBB1779_115:
	flat_load_b32 v24, v0, s[24:25] offset:9216 scale_offset
	s_wait_xcnt 0x0
	s_or_b32 exec_lo, exec_lo, s1
                                        ; implicit-def: $vgpr25
	s_and_saveexec_b32 s1, s12
	s_cbranch_execz .LBB1779_43
	s_branch .LBB1779_42
.LBB1779_116:
                                        ; implicit-def: $vgpr13
                                        ; implicit-def: $vgpr9
                                        ; implicit-def: $vgpr5
	s_cbranch_execnz .LBB1779_162
.LBB1779_117:
	s_add_nc_u64 s[2:3], s[18:19], s[28:29]
	s_and_b32 vcc_lo, exec_lo, s0
	s_add_nc_u64 s[0:1], s[2:3], s[16:17]
	s_cbranch_vccz .LBB1779_179
.LBB1779_118:
	v_mul_u32_u24_e32 v1, 12, v0
	s_add_co_i32 s23, s23, s22
	s_mov_b32 s2, exec_lo
	s_delay_alu instid0(VALU_DEP_1)
	v_cmpx_gt_u32_e64 s23, v1
	s_cbranch_execz .LBB1779_134
; %bb.119:
	v_or_b32_e32 v14, 1, v1
	s_mov_b32 s3, exec_lo
	s_delay_alu instid0(VALU_DEP_1)
	v_cmpx_gt_u32_e64 s23, v14
	s_cbranch_execz .LBB1779_133
; %bb.120:
	v_or_b32_e32 v14, 2, v1
	;; [unrolled: 6-line block ×3, first 2 shown]
	s_mov_b32 s5, exec_lo
	s_delay_alu instid0(VALU_DEP_1)
	v_cmpx_gt_u32_e64 s23, v14
	s_cbranch_execz .LBB1779_131
; %bb.122:
	v_add_nc_u32_e32 v14, 4, v1
	s_mov_b32 s6, exec_lo
	s_delay_alu instid0(VALU_DEP_1)
	v_cmpx_gt_u32_e64 s23, v14
	s_cbranch_execz .LBB1779_130
; %bb.123:
	v_add_nc_u32_e32 v14, 5, v1
	;; [unrolled: 6-line block ×4, first 2 shown]
	s_mov_b32 s9, exec_lo
	s_delay_alu instid0(VALU_DEP_1)
	v_cmpx_gt_u32_e64 s23, v14
; %bb.126:
	v_add_nc_u32_e32 v14, 8, v1
	s_mov_b32 s10, exec_lo
	s_delay_alu instid0(VALU_DEP_1)
	v_cmpx_gt_u32_e64 s23, v14
	s_or_b32 exec_lo, exec_lo, s10
; %bb.127:
	s_delay_alu instid0(SALU_CYCLE_1)
	s_or_b32 exec_lo, exec_lo, s9
.LBB1779_128:
	s_delay_alu instid0(SALU_CYCLE_1)
	s_or_b32 exec_lo, exec_lo, s8
.LBB1779_129:
	s_delay_alu instid0(SALU_CYCLE_1)
	s_or_b32 exec_lo, exec_lo, s7
.LBB1779_130:
	s_delay_alu instid0(SALU_CYCLE_1)
	s_or_b32 exec_lo, exec_lo, s6
.LBB1779_131:
	s_delay_alu instid0(SALU_CYCLE_1)
	s_or_b32 exec_lo, exec_lo, s5
.LBB1779_132:
	s_delay_alu instid0(SALU_CYCLE_1)
	s_or_b32 exec_lo, exec_lo, s4
.LBB1779_133:
	s_delay_alu instid0(SALU_CYCLE_1)
	s_or_b32 exec_lo, exec_lo, s3
.LBB1779_134:
	s_delay_alu instid0(SALU_CYCLE_1) | instskip(SKIP_3) | instid1(VALU_DEP_1)
	s_or_b32 exec_lo, exec_lo, s2
	v_dual_lshlrev_b32 v1, 2, v1 :: v_dual_mov_b32 v17, 0
	s_barrier_signal -1
	s_barrier_wait -1
	v_mad_i32_i24 v14, 0xffffffd4, v0, v1
	ds_store_b128 v1, v[2:5]
	ds_store_b128 v1, v[6:9] offset:16
	ds_store_b128 v1, v[10:13] offset:32
	s_wait_dscnt 0x0
	s_barrier_signal -1
	s_barrier_wait -1
	ds_load_2addr_stride64_b32 v[26:27], v14 offset0:4 offset1:8
	ds_load_2addr_stride64_b32 v[24:25], v14 offset0:12 offset1:16
	;; [unrolled: 1-line block ×5, first 2 shown]
	ds_load_b32 v15, v14 offset:11264
	v_add_nc_u64_e32 v[16:17], s[0:1], v[16:17]
	s_mov_b32 s2, exec_lo
	v_cmpx_gt_u32_e64 s23, v0
	s_cbranch_execz .LBB1779_136
; %bb.135:
	v_mul_i32_i24_e32 v14, 0xffffffd4, v0
	s_delay_alu instid0(VALU_DEP_1)
	v_add_nc_u32_e32 v1, v1, v14
	ds_load_b32 v1, v1
	s_wait_dscnt 0x0
	flat_store_b32 v[16:17], v1
.LBB1779_136:
	s_wait_xcnt 0x0
	s_or_b32 exec_lo, exec_lo, s2
	v_or_b32_e32 v1, 0x100, v0
	s_mov_b32 s2, exec_lo
	s_delay_alu instid0(VALU_DEP_1)
	v_cmpx_gt_u32_e64 s23, v1
	s_cbranch_execz .LBB1779_138
; %bb.137:
	s_wait_dscnt 0x5
	flat_store_b32 v[16:17], v26 offset:1024
.LBB1779_138:
	s_wait_xcnt 0x0
	s_or_b32 exec_lo, exec_lo, s2
	v_or_b32_e32 v1, 0x200, v0
	s_mov_b32 s2, exec_lo
	s_delay_alu instid0(VALU_DEP_1)
	v_cmpx_gt_u32_e64 s23, v1
	s_cbranch_execz .LBB1779_140
; %bb.139:
	s_wait_dscnt 0x5
	flat_store_b32 v[16:17], v27 offset:2048
.LBB1779_140:
	;; [unrolled: 11-line block ×10, first 2 shown]
	s_wait_xcnt 0x0
	s_or_b32 exec_lo, exec_lo, s2
	v_or_b32_e32 v1, 0xb00, v0
	s_delay_alu instid0(VALU_DEP_1)
	v_cmp_gt_u32_e64 s2, s23, v1
	s_branch .LBB1779_181
.LBB1779_157:
	s_and_saveexec_b32 s14, s13
	s_cbranch_execz .LBB1779_159
; %bb.158:
	v_and_b32_e32 v4, 0xff, v3
	s_mov_b32 s25, 0
	s_add_co_i32 s24, s36, 32
	v_and_b32_e32 v5, 1, v50
	s_lshl_b64 s[24:25], s[24:25], 4
	v_cmp_eq_u32_e32 vcc_lo, 0, v4
	s_add_nc_u64 s[24:25], s[20:21], s[24:25]
	s_delay_alu instid0(SALU_CYCLE_1) | instskip(SKIP_1) | instid1(VALU_DEP_1)
	v_mov_b64_e32 v[6:7], s[24:25]
	v_cndmask_b32_e32 v4, 0, v51, vcc_lo
	v_dual_add_nc_u32 v2, v4, v2 :: v_dual_bitop2_b32 v3, 1, v3 bitop3:0x40
	s_delay_alu instid0(VALU_DEP_1)
	v_cmp_eq_u32_e32 vcc_lo, 1, v3
	v_mov_b32_e32 v4, 2
	v_cndmask_b32_e64 v3, v5, 1, vcc_lo
	v_mov_b32_e32 v5, 0
	;;#ASMSTART
	global_store_b128 v[6:7], v[2:5] off scope:SCOPE_DEV	
s_wait_storecnt 0x0
	;;#ASMEND
.LBB1779_159:
	s_or_b32 exec_lo, exec_lo, s14
	s_delay_alu instid0(SALU_CYCLE_1)
	s_and_b32 exec_lo, exec_lo, s2
	s_cbranch_execz .LBB1779_161
; %bb.160:
	v_mov_b32_e32 v2, 0
	ds_store_b32 v2, v51
	ds_store_b8 v2, v50 offset:4
.LBB1779_161:
	s_or_b32 exec_lo, exec_lo, s34
	s_wait_dscnt 0x0
	v_and_b32_e32 v3, 0xff, v13
	s_barrier_signal -1
	s_barrier_wait -1
	s_delay_alu instid0(VALU_DEP_1)
	v_cmp_eq_u16_e32 vcc_lo, 0, v3
	v_mov_b32_e32 v4, 0
	v_and_b32_e32 v5, 0xff, v15
	ds_load_b32 v2, v4
	s_wait_dscnt 0x0
	v_cndmask_b32_e32 v3, 0, v2, vcc_lo
	v_cmp_eq_u64_e32 vcc_lo, 0, v[4:5]
	s_delay_alu instid0(VALU_DEP_2) | instskip(NEXT) | instid1(VALU_DEP_1)
	v_add_nc_u32_e32 v3, v3, v12
	v_cndmask_b32_e64 v2, v3, v2, s2
	s_delay_alu instid0(VALU_DEP_1) | instskip(NEXT) | instid1(VALU_DEP_1)
	v_cndmask_b32_e32 v3, 0, v2, vcc_lo
	v_add_nc_u32_e32 v3, v3, v14
	s_delay_alu instid0(VALU_DEP_1) | instskip(NEXT) | instid1(VALU_DEP_1)
	v_cndmask_b32_e64 v4, 0, v3, s1
	v_add_nc_u32_e32 v4, v4, v36
	s_delay_alu instid0(VALU_DEP_1) | instskip(NEXT) | instid1(VALU_DEP_1)
	v_cndmask_b32_e64 v5, 0, v4, s4
	;; [unrolled: 3-line block ×10, first 2 shown]
	v_add_nc_u32_e32 v13, v13, v18
	s_branch .LBB1779_117
.LBB1779_162:
	s_cmp_eq_u64 s[30:31], 0
	v_mov_b32_e32 v41, s33
	s_cselect_b32 s1, -1, 0
	s_cmp_eq_u64 s[26:27], 0
	s_cselect_b32 s4, -1, 0
	s_delay_alu instid0(SALU_CYCLE_1) | instskip(NEXT) | instid1(SALU_CYCLE_1)
	s_or_b32 s1, s1, s4
	s_and_b32 vcc_lo, exec_lo, s1
	s_cbranch_vccnz .LBB1779_164
; %bb.163:
	v_mov_b32_e32 v2, 0
	global_load_b32 v41, v2, s[26:27]
.LBB1779_164:
	s_mov_b64 s[12:13], 0x100000000
	v_or3_b32 v3, v40, v27, v29
	v_cmp_gt_u64_e32 vcc_lo, s[12:13], v[36:37]
	v_cmp_gt_u64_e64 s1, s[12:13], v[34:35]
	v_cmp_gt_u64_e64 s4, s[12:13], v[32:33]
	;; [unrolled: 1-line block ×6, first 2 shown]
	s_wait_xcnt 0x0
	v_dual_cndmask_b32 v2, 0, v14, vcc_lo :: v_dual_bitop2_b32 v1, 56, v1 bitop3:0x40
	v_cmp_gt_u64_e64 s9, s[12:13], v[22:23]
	v_cmp_gt_u64_e64 s10, s[12:13], v[20:21]
	;; [unrolled: 1-line block ×3, first 2 shown]
	s_delay_alu instid0(VALU_DEP_4)
	v_add_nc_u32_e32 v2, v2, v36
	v_cmp_gt_u64_e64 s12, s[12:13], v[38:39]
	v_or3_b32 v3, v3, v31, v33
	v_lshl_add_u32 v1, v0, 3, v1
	s_mov_b32 s13, exec_lo
	v_cndmask_b32_e64 v2, 0, v2, s1
	s_delay_alu instid0(VALU_DEP_3) | instskip(NEXT) | instid1(VALU_DEP_2)
	v_or3_b32 v3, v3, v35, v37
	v_add_nc_u32_e32 v2, v2, v34
	s_delay_alu instid0(VALU_DEP_2) | instskip(NEXT) | instid1(VALU_DEP_2)
	v_or3_b32 v3, v39, v17, v3
	v_cndmask_b32_e64 v2, 0, v2, s4
	s_delay_alu instid0(VALU_DEP_2) | instskip(NEXT) | instid1(VALU_DEP_2)
	v_and_b32_e32 v3, 0xff, v3
	v_add_nc_u32_e32 v2, v2, v32
	s_delay_alu instid0(VALU_DEP_1) | instskip(NEXT) | instid1(VALU_DEP_1)
	v_cndmask_b32_e64 v2, 0, v2, s5
	v_add_nc_u32_e32 v2, v2, v30
	s_delay_alu instid0(VALU_DEP_1) | instskip(NEXT) | instid1(VALU_DEP_1)
	v_cndmask_b32_e64 v2, 0, v2, s6
	;; [unrolled: 3-line block ×7, first 2 shown]
	v_dual_add_nc_u32 v4, v2, v18 :: v_dual_mov_b32 v2, 0
	s_delay_alu instid0(VALU_DEP_1) | instskip(NEXT) | instid1(VALU_DEP_2)
	v_cndmask_b32_e64 v4, 0, v4, s12
	v_cmp_eq_u64_e64 s12, 0, v[2:3]
	s_delay_alu instid0(VALU_DEP_1)
	v_dual_add_nc_u32 v4, v4, v38 :: v_dual_cndmask_b32 v5, 1, v15, s12
	ds_store_b32 v1, v4
	ds_store_b8 v1, v5 offset:4
	s_wait_loadcnt_dscnt 0x0
	s_barrier_signal -1
	s_barrier_wait -1
	v_cmpx_gt_u32_e32 32, v0
	s_cbranch_execz .LBB1779_174
; %bb.165:
	v_dual_lshlrev_b32 v1, 1, v0 :: v_dual_lshlrev_b32 v2, 6, v0
	s_mov_b32 s14, exec_lo
	s_delay_alu instid0(VALU_DEP_1) | instskip(NEXT) | instid1(VALU_DEP_1)
	v_and_b32_e32 v1, 0x1f8, v1
	v_add_nc_u32_e32 v1, v1, v2
	ds_load_u8 v12, v1 offset:12
	ds_load_b64 v[2:3], v1
	ds_load_2addr_b32 v[6:7], v1 offset0:2 offset1:4
	ds_load_u8 v13, v1 offset:20
	ds_load_u8 v17, v1 offset:28
	;; [unrolled: 1-line block ×5, first 2 shown]
	ds_load_b32 v25, v1 offset:56
	s_wait_dscnt 0x8
	v_cmp_eq_u16_e64 s12, 0, v12
	s_wait_dscnt 0x7
	s_delay_alu instid0(VALU_DEP_1)
	v_cndmask_b32_e64 v10, 0, v2, s12
	ds_load_2addr_b32 v[8:9], v1 offset0:6 offset1:8
	s_wait_dscnt 0x6
	v_cmp_eq_u16_e64 s12, 0, v13
	v_add_nc_u32_e32 v6, v10, v6
	ds_load_2addr_b32 v[10:11], v1 offset0:10 offset1:12
	v_cndmask_b32_e64 v6, 0, v6, s12
	s_wait_dscnt 0x6
	v_cmp_eq_u16_e64 s12, 0, v17
	s_delay_alu instid0(VALU_DEP_2) | instskip(NEXT) | instid1(VALU_DEP_1)
	v_dual_add_nc_u32 v6, v6, v7 :: v_dual_bitop2_b32 v7, v13, v12 bitop3:0x54
	v_cndmask_b32_e64 v6, 0, v6, s12
	s_wait_dscnt 0x5
	v_cmp_eq_u16_e64 s12, 0, v19
	s_delay_alu instid0(VALU_DEP_3)
	v_bitop3_b16 v7, v7, v19, v17 bitop3:0xfe
	s_wait_dscnt 0x1
	v_add_nc_u32_e32 v6, v6, v8
	ds_load_u8 v8, v1 offset:60
	v_bitop3_b16 v7, v7, v23, v21 bitop3:0xfe
	v_cndmask_b32_e64 v6, 0, v6, s12
	v_cmp_eq_u16_e64 s12, 0, v21
	s_delay_alu instid0(VALU_DEP_2) | instskip(NEXT) | instid1(VALU_DEP_1)
	v_add_nc_u32_e32 v6, v6, v9
	v_dual_cndmask_b32 v9, 0, v6, s12 :: v_dual_bitop2_b32 v6, 1, v3 bitop3:0x40
	v_cmp_eq_u16_e64 s12, 0, v7
	s_wait_dscnt 0x0
	s_delay_alu instid0(VALU_DEP_2) | instskip(NEXT) | instid1(VALU_DEP_2)
	v_dual_add_nc_u32 v9, v9, v10 :: v_dual_bitop2_b32 v10, 1, v8 bitop3:0x40
	v_cndmask_b32_e64 v7, 1, v6, s12
	v_cmp_eq_u16_e64 s12, 0, v23
	s_delay_alu instid0(VALU_DEP_1) | instskip(NEXT) | instid1(VALU_DEP_4)
	v_cndmask_b32_e64 v9, 0, v9, s12
	v_cmp_eq_u32_e64 s12, 1, v10
	s_delay_alu instid0(VALU_DEP_2) | instskip(NEXT) | instid1(VALU_DEP_2)
	v_add_nc_u32_e32 v9, v9, v11
	v_cndmask_b32_e64 v10, v7, 1, s12
	v_cmp_eq_u16_e64 s12, 0, v8
	v_and_b32_e32 v7, 0xffffff00, v3
	s_delay_alu instid0(VALU_DEP_3) | instskip(NEXT) | instid1(VALU_DEP_3)
	v_and_b32_e32 v11, 0xffff, v10
	v_cndmask_b32_e64 v8, 0, v9, s12
	v_mbcnt_lo_u32_b32 v9, -1, 0
	s_delay_alu instid0(VALU_DEP_2) | instskip(NEXT) | instid1(VALU_DEP_2)
	v_dual_add_nc_u32 v8, v8, v25 :: v_dual_bitop2_b32 v12, v7, v11 bitop3:0x54
	v_and_b32_e32 v11, 15, v9
	s_delay_alu instid0(VALU_DEP_2) | instskip(NEXT) | instid1(VALU_DEP_3)
	v_mov_b32_dpp v17, v12 row_shr:1 row_mask:0xf bank_mask:0xf
	v_mov_b32_dpp v13, v8 row_shr:1 row_mask:0xf bank_mask:0xf
	s_delay_alu instid0(VALU_DEP_3)
	v_cmpx_ne_u32_e32 0, v11
	s_cbranch_execz .LBB1779_167
; %bb.166:
	v_and_b32_e32 v12, 1, v10
	v_and_b32_e32 v17, 1, v17
	s_delay_alu instid0(VALU_DEP_2) | instskip(NEXT) | instid1(VALU_DEP_1)
	v_cmp_eq_u32_e64 s12, 1, v12
	v_cndmask_b32_e64 v17, v17, 1, s12
	v_cmp_eq_u16_e64 s12, 0, v10
	s_delay_alu instid0(VALU_DEP_2) | instskip(NEXT) | instid1(VALU_DEP_1)
	v_and_b32_e32 v12, 0xffff, v17
	v_dual_cndmask_b32 v10, 0, v13, s12 :: v_dual_bitop2_b32 v12, v7, v12 bitop3:0x54
	s_delay_alu instid0(VALU_DEP_1)
	v_dual_add_nc_u32 v8, v10, v8 :: v_dual_mov_b32 v10, v17
.LBB1779_167:
	s_or_b32 exec_lo, exec_lo, s14
	s_delay_alu instid0(VALU_DEP_1) | instskip(NEXT) | instid1(VALU_DEP_3)
	v_mov_b32_dpp v13, v8 row_shr:2 row_mask:0xf bank_mask:0xf
	v_mov_b32_dpp v17, v12 row_shr:2 row_mask:0xf bank_mask:0xf
	s_mov_b32 s14, exec_lo
	v_cmpx_lt_u32_e32 1, v11
	s_cbranch_execz .LBB1779_169
; %bb.168:
	v_and_b32_e32 v12, 1, v10
	v_and_b32_e32 v17, 1, v17
	s_delay_alu instid0(VALU_DEP_2) | instskip(NEXT) | instid1(VALU_DEP_1)
	v_cmp_eq_u32_e64 s12, 1, v12
	v_cndmask_b32_e64 v17, v17, 1, s12
	v_cmp_eq_u16_e64 s12, 0, v10
	s_delay_alu instid0(VALU_DEP_2) | instskip(NEXT) | instid1(VALU_DEP_1)
	v_and_b32_e32 v12, 0xffff, v17
	v_dual_cndmask_b32 v10, 0, v13, s12 :: v_dual_bitop2_b32 v12, v7, v12 bitop3:0x54
	s_delay_alu instid0(VALU_DEP_1)
	v_dual_add_nc_u32 v8, v10, v8 :: v_dual_mov_b32 v10, v17
.LBB1779_169:
	s_or_b32 exec_lo, exec_lo, s14
	s_delay_alu instid0(VALU_DEP_1) | instskip(NEXT) | instid1(VALU_DEP_3)
	v_mov_b32_dpp v13, v8 row_shr:4 row_mask:0xf bank_mask:0xf
	v_mov_b32_dpp v17, v12 row_shr:4 row_mask:0xf bank_mask:0xf
	s_mov_b32 s14, exec_lo
	v_cmpx_lt_u32_e32 3, v11
	;; [unrolled: 20-line block ×3, first 2 shown]
	s_cbranch_execz .LBB1779_173
; %bb.172:
	v_and_b32_e32 v11, 1, v10
	v_and_b32_e32 v12, 1, v17
	s_delay_alu instid0(VALU_DEP_2) | instskip(NEXT) | instid1(VALU_DEP_1)
	v_cmp_eq_u32_e64 s12, 1, v11
	v_cndmask_b32_e64 v11, v12, 1, s12
	v_cmp_eq_u16_e64 s12, 0, v10
	s_delay_alu instid0(VALU_DEP_2) | instskip(NEXT) | instid1(VALU_DEP_1)
	v_and_b32_e32 v12, 0xffff, v11
	v_dual_cndmask_b32 v10, 0, v13, s12 :: v_dual_bitop2_b32 v12, v7, v12 bitop3:0x54
	s_delay_alu instid0(VALU_DEP_1)
	v_dual_add_nc_u32 v8, v10, v8 :: v_dual_mov_b32 v10, v11
.LBB1779_173:
	s_or_b32 exec_lo, exec_lo, s14
	ds_swizzle_b32 v11, v12 offset:swizzle(BROADCAST,32,15)
	ds_swizzle_b32 v12, v8 offset:swizzle(BROADCAST,32,15)
	v_and_b32_e32 v13, 1, v10
	v_bfe_i32 v19, v9, 4, 1
	v_and_b32_e32 v3, 0xff, v3
	; wave barrier
	s_delay_alu instid0(VALU_DEP_3) | instskip(SKIP_2) | instid1(VALU_DEP_1)
	v_cmp_eq_u32_e64 s12, 1, v13
	s_wait_dscnt 0x1
	v_dual_add_nc_u32 v13, -1, v9 :: v_dual_bitop2_b32 v11, 1, v11 bitop3:0x40
	v_cndmask_b32_e64 v11, v11, 1, s12
	v_and_b32_e32 v17, 16, v9
	v_cmp_eq_u16_e64 s12, 0, v10
	s_wait_dscnt 0x0
	s_delay_alu instid0(VALU_DEP_1) | instskip(NEXT) | instid1(VALU_DEP_3)
	v_cndmask_b32_e64 v12, 0, v12, s12
	v_cmp_eq_u32_e64 s12, 0, v17
	s_delay_alu instid0(VALU_DEP_1) | instskip(SKIP_1) | instid1(VALU_DEP_4)
	v_cndmask_b32_e64 v10, v11, v10, s12
	v_cmp_gt_i32_e64 s12, 0, v13
	v_and_b32_e32 v11, v19, v12
	s_delay_alu instid0(VALU_DEP_3) | instskip(NEXT) | instid1(VALU_DEP_2)
	v_and_b32_e32 v10, 0xffff, v10
	v_dual_cndmask_b32 v9, v13, v9, s12 :: v_dual_add_nc_u32 v8, v11, v8
	v_cmp_eq_u16_e64 s12, 0, v3
	s_delay_alu instid0(VALU_DEP_2)
	v_lshlrev_b32_e32 v9, 2, v9
	ds_bpermute_b32 v8, v9, v8
	s_wait_dscnt 0x0
	v_dual_cndmask_b32 v3, 0, v8, s12 :: v_dual_bitop2_b32 v7, v7, v10 bitop3:0x54
	ds_bpermute_b32 v7, v9, v7
	v_cmp_eq_u32_e64 s12, 1, v6
	s_wait_dscnt 0x0
	v_dual_add_nc_u32 v2, v3, v2 :: v_dual_bitop2_b32 v7, 1, v7 bitop3:0x40
	s_delay_alu instid0(VALU_DEP_1) | instskip(NEXT) | instid1(VALU_DEP_1)
	v_cndmask_b32_e64 v3, v7, 1, s12
	v_dual_cndmask_b32 v4, v2, v4, s2 :: v_dual_cndmask_b32 v6, v3, v5, s2
	ds_store_b32 v1, v4
	ds_store_b8 v1, v6 offset:4
	; wave barrier
	ds_load_u8 v7, v1 offset:12
	ds_load_2addr_b32 v[2:3], v1 offset0:2 offset1:4
	ds_load_u8 v8, v1 offset:20
	ds_load_u8 v9, v1 offset:28
	;; [unrolled: 1-line block ×5, first 2 shown]
	ds_load_b32 v13, v1 offset:56
	ds_load_u8 v17, v1 offset:60
	s_wait_dscnt 0x8
	v_cmp_eq_u16_e64 s12, 0, v7
	s_delay_alu instid0(VALU_DEP_1) | instskip(SKIP_4) | instid1(VALU_DEP_1)
	v_cndmask_b32_e64 v19, 0, v4, s12
	ds_load_2addr_b32 v[4:5], v1 offset0:6 offset1:8
	s_wait_dscnt 0x7
	v_cmp_eq_u16_e64 s12, 0, v8
	v_add_nc_u32_e32 v19, v19, v2
	v_cndmask_b32_e64 v2, 0, v19, s12
	s_wait_dscnt 0x6
	v_cmp_eq_u16_e64 s12, 0, v9
	s_delay_alu instid0(VALU_DEP_2)
	v_add_nc_u32_e32 v21, v2, v3
	ds_load_2addr_b32 v[2:3], v1 offset0:10 offset1:12
	v_cndmask_b32_e64 v23, 0, v21, s12
	s_wait_dscnt 0x6
	v_cmp_eq_u16_e64 s12, 0, v10
	ds_store_2addr_b32 v1, v19, v21 offset0:2 offset1:4
	s_wait_dscnt 0x2
	v_dual_add_nc_u32 v4, v23, v4 :: v_dual_bitop2_b32 v7, 1, v7 bitop3:0x40
	s_delay_alu instid0(VALU_DEP_1) | instskip(SKIP_1) | instid1(VALU_DEP_3)
	v_cndmask_b32_e64 v23, 0, v4, s12
	v_and_b32_e32 v8, 1, v8
	v_cmp_eq_u32_e64 s12, 1, v7
	v_and_b32_e32 v7, 1, v9
	s_delay_alu instid0(VALU_DEP_4) | instskip(NEXT) | instid1(VALU_DEP_3)
	v_add_nc_u32_e32 v5, v23, v5
	v_cndmask_b32_e64 v6, v6, 1, s12
	v_cmp_eq_u32_e64 s12, 1, v8
	s_delay_alu instid0(VALU_DEP_1) | instskip(SKIP_1) | instid1(VALU_DEP_1)
	v_cndmask_b32_e64 v8, v6, 1, s12
	v_cmp_eq_u16_e64 s12, 0, v11
	v_dual_cndmask_b32 v10, 0, v5, s12 :: v_dual_bitop2_b32 v9, 1, v10 bitop3:0x40
	s_wait_dscnt 0x1
	s_delay_alu instid0(VALU_DEP_1) | instskip(SKIP_2) | instid1(VALU_DEP_2)
	v_add_nc_u32_e32 v2, v10, v2
	v_cmp_eq_u32_e64 s12, 1, v7
	v_and_b32_e32 v10, 1, v12
	v_cndmask_b32_e64 v7, v8, 1, s12
	v_cmp_eq_u32_e64 s12, 1, v9
	s_delay_alu instid0(VALU_DEP_1) | instskip(SKIP_1) | instid1(VALU_DEP_1)
	v_cndmask_b32_e64 v9, v7, 1, s12
	v_cmp_eq_u16_e64 s12, 0, v12
	v_dual_cndmask_b32 v12, 0, v2, s12 :: v_dual_bitop2_b32 v11, 1, v11 bitop3:0x40
	s_delay_alu instid0(VALU_DEP_1) | instskip(NEXT) | instid1(VALU_DEP_2)
	v_cmp_eq_u32_e64 s12, 1, v11
	v_add_nc_u32_e32 v3, v12, v3
	s_delay_alu instid0(VALU_DEP_2)
	v_cndmask_b32_e64 v11, v9, 1, s12
	v_cmp_eq_u32_e64 s12, 1, v10
	ds_store_2addr_b32 v1, v4, v5 offset0:6 offset1:8
	ds_store_2addr_b32 v1, v2, v3 offset0:10 offset1:12
	v_cndmask_b32_e64 v10, v11, 1, s12
	v_cmp_eq_u16_e64 s12, 0, v17
	s_delay_alu instid0(VALU_DEP_1) | instskip(NEXT) | instid1(VALU_DEP_1)
	v_dual_cndmask_b32 v12, 0, v3, s12 :: v_dual_bitop2_b32 v23, 1, v17 bitop3:0x40
	v_cmp_eq_u32_e64 s12, 1, v23
	s_delay_alu instid0(VALU_DEP_2) | instskip(NEXT) | instid1(VALU_DEP_2)
	v_add_nc_u32_e32 v2, v12, v13
	v_cndmask_b32_e64 v17, v10, 1, s12
	ds_store_b8 v1, v6 offset:12
	ds_store_b8 v1, v8 offset:20
	;; [unrolled: 1-line block ×6, first 2 shown]
	ds_store_b32 v1, v2 offset:56
	ds_store_b8 v1, v17 offset:60
.LBB1779_174:
	s_or_b32 exec_lo, exec_lo, s13
	v_mov_b32_e32 v2, v41
	s_wait_dscnt 0x0
	s_barrier_signal -1
	s_barrier_wait -1
	s_and_saveexec_b32 s12, s3
	s_cbranch_execz .LBB1779_176
; %bb.175:
	v_add_nc_u32_e32 v1, -1, v0
	s_delay_alu instid0(VALU_DEP_1) | instskip(NEXT) | instid1(VALU_DEP_1)
	v_lshrrev_b32_e32 v2, 2, v1
	v_and_b32_e32 v2, 0x3ffffff8, v2
	s_delay_alu instid0(VALU_DEP_1) | instskip(SKIP_4) | instid1(VALU_DEP_1)
	v_lshl_add_u32 v1, v1, 3, v2
	ds_load_u8 v2, v1 offset:4
	ds_load_b32 v1, v1
	s_wait_dscnt 0x1
	v_cmp_eq_u16_e64 s3, 0, v2
	v_cndmask_b32_e64 v2, 0, v41, s3
	s_wait_dscnt 0x0
	s_delay_alu instid0(VALU_DEP_1)
	v_add_nc_u32_e32 v2, v2, v1
.LBB1779_176:
	s_or_b32 exec_lo, exec_lo, s12
	v_and_b32_e32 v39, 0xff, v15
	v_mov_b32_e32 v38, 0
	s_delay_alu instid0(VALU_DEP_1) | instskip(NEXT) | instid1(VALU_DEP_1)
	v_cmp_eq_u64_e64 s3, 0, v[38:39]
	v_cndmask_b32_e64 v1, 0, v2, s3
	s_delay_alu instid0(VALU_DEP_1) | instskip(NEXT) | instid1(VALU_DEP_1)
	v_add_nc_u32_e32 v3, v1, v14
	v_cndmask_b32_e32 v1, 0, v3, vcc_lo
	s_delay_alu instid0(VALU_DEP_1) | instskip(NEXT) | instid1(VALU_DEP_1)
	v_add_nc_u32_e32 v4, v1, v36
	v_cndmask_b32_e64 v1, 0, v4, s1
	s_delay_alu instid0(VALU_DEP_1) | instskip(NEXT) | instid1(VALU_DEP_1)
	v_add_nc_u32_e32 v5, v1, v34
	v_cndmask_b32_e64 v1, 0, v5, s4
	;; [unrolled: 3-line block ×9, first 2 shown]
	s_delay_alu instid0(VALU_DEP_1)
	v_add_nc_u32_e32 v13, v1, v18
	s_and_saveexec_b32 s1, s2
	s_cbranch_execz .LBB1779_178
; %bb.177:
	ds_load_u8 v1, v38 offset:2100
	ds_load_b32 v17, v38 offset:2096
	v_mov_b32_e32 v15, v38
	s_add_nc_u64 s[2:3], s[20:21], 0x200
	v_dual_mov_b32 v20, 2 :: v_dual_mov_b32 v21, v38
	s_wait_dscnt 0x1
	v_and_b32_e32 v14, 0xffff, v1
	s_delay_alu instid0(VALU_DEP_1) | instskip(SKIP_3) | instid1(VALU_DEP_2)
	v_cmp_eq_u64_e32 vcc_lo, 0, v[14:15]
	v_dual_cndmask_b32 v1, 0, v41, vcc_lo :: v_dual_mov_b32 v19, v14
	v_mov_b64_e32 v[14:15], s[2:3]
	s_wait_dscnt 0x0
	v_add_nc_u32_e32 v18, v1, v17
	;;#ASMSTART
	global_store_b128 v[14:15], v[18:21] off scope:SCOPE_DEV	
s_wait_storecnt 0x0
	;;#ASMEND
.LBB1779_178:
	s_or_b32 exec_lo, exec_lo, s1
	s_add_nc_u64 s[2:3], s[18:19], s[28:29]
	s_and_b32 vcc_lo, exec_lo, s0
	s_add_nc_u64 s[0:1], s[2:3], s[16:17]
	s_cbranch_vccnz .LBB1779_118
.LBB1779_179:
	s_mov_b32 s2, 0
                                        ; implicit-def: $vgpr15
	s_cbranch_execz .LBB1779_181
; %bb.180:
	v_mul_u32_u24_e32 v1, 48, v0
	v_mul_i32_i24_e32 v14, 0xffffffd4, v0
	s_wait_storecnt_dscnt 0x0
	s_barrier_signal -1
	s_barrier_wait -1
	ds_store_b128 v1, v[2:5]
	ds_store_b128 v1, v[6:9] offset:16
	ds_store_b128 v1, v[10:13] offset:32
	v_mad_u32_u24 v1, v0, 48, v14
	s_wait_dscnt 0x0
	s_barrier_signal -1
	s_barrier_wait -1
	ds_load_2addr_stride64_b32 v[2:3], v1 offset1:4
	ds_load_2addr_stride64_b32 v[4:5], v1 offset0:8 offset1:12
	ds_load_2addr_stride64_b32 v[6:7], v1 offset0:16 offset1:20
	;; [unrolled: 1-line block ×5, first 2 shown]
	s_or_b32 s2, s2, exec_lo
	s_wait_dscnt 0x5
	s_clause 0x1
	flat_store_b32 v0, v2, s[0:1] scale_offset
	flat_store_b32 v0, v3, s[0:1] offset:1024 scale_offset
	s_wait_dscnt 0x6
	s_clause 0x1
	flat_store_b32 v0, v4, s[0:1] offset:2048 scale_offset
	flat_store_b32 v0, v5, s[0:1] offset:3072 scale_offset
	s_wait_dscnt 0x7
	s_clause 0x1
	flat_store_b32 v0, v6, s[0:1] offset:4096 scale_offset
	;; [unrolled: 4-line block ×4, first 2 shown]
	flat_store_b32 v0, v11, s[0:1] offset:9216 scale_offset
	s_wait_dscnt 0xa
	flat_store_b32 v0, v14, s[0:1] offset:10240 scale_offset
.LBB1779_181:
	s_wait_xcnt 0x0
	s_delay_alu instid0(VALU_DEP_1)
	s_and_saveexec_b32 s3, s2
	s_cbranch_execz .LBB1779_183
; %bb.182:
	s_wait_dscnt 0x0
	flat_store_b32 v0, v15, s[0:1] offset:11264 scale_offset
	s_endpgm
.LBB1779_183:
	s_endpgm
	.section	.rodata,"a",@progbits
	.p2align	6, 0x0
	.amdhsa_kernel _ZN7rocprim17ROCPRIM_400000_NS6detail17trampoline_kernelINS0_14default_configENS1_27scan_by_key_config_selectorIiiEEZZNS1_16scan_by_key_implILNS1_25lookback_scan_determinismE0ELb1ES3_N6thrust23THRUST_200600_302600_NS6detail15normal_iteratorINS9_10device_ptrIiEEEENSB_INSC_IjEEEESE_iNS9_4plusIvEENS9_8equal_toIvEEiEE10hipError_tPvRmT2_T3_T4_T5_mT6_T7_P12ihipStream_tbENKUlT_T0_E_clISt17integral_constantIbLb0EES10_IbLb1EEEEDaSW_SX_EUlSW_E_NS1_11comp_targetILNS1_3genE0ELNS1_11target_archE4294967295ELNS1_3gpuE0ELNS1_3repE0EEENS1_30default_config_static_selectorELNS0_4arch9wavefront6targetE0EEEvT1_
		.amdhsa_group_segment_fixed_size 14336
		.amdhsa_private_segment_fixed_size 0
		.amdhsa_kernarg_size 112
		.amdhsa_user_sgpr_count 2
		.amdhsa_user_sgpr_dispatch_ptr 0
		.amdhsa_user_sgpr_queue_ptr 0
		.amdhsa_user_sgpr_kernarg_segment_ptr 1
		.amdhsa_user_sgpr_dispatch_id 0
		.amdhsa_user_sgpr_kernarg_preload_length 0
		.amdhsa_user_sgpr_kernarg_preload_offset 0
		.amdhsa_user_sgpr_private_segment_size 0
		.amdhsa_wavefront_size32 1
		.amdhsa_uses_dynamic_stack 0
		.amdhsa_enable_private_segment 0
		.amdhsa_system_sgpr_workgroup_id_x 1
		.amdhsa_system_sgpr_workgroup_id_y 0
		.amdhsa_system_sgpr_workgroup_id_z 0
		.amdhsa_system_sgpr_workgroup_info 0
		.amdhsa_system_vgpr_workitem_id 0
		.amdhsa_next_free_vgpr 62
		.amdhsa_next_free_sgpr 39
		.amdhsa_named_barrier_count 0
		.amdhsa_reserve_vcc 1
		.amdhsa_float_round_mode_32 0
		.amdhsa_float_round_mode_16_64 0
		.amdhsa_float_denorm_mode_32 3
		.amdhsa_float_denorm_mode_16_64 3
		.amdhsa_fp16_overflow 0
		.amdhsa_memory_ordered 1
		.amdhsa_forward_progress 1
		.amdhsa_inst_pref_size 95
		.amdhsa_round_robin_scheduling 0
		.amdhsa_exception_fp_ieee_invalid_op 0
		.amdhsa_exception_fp_denorm_src 0
		.amdhsa_exception_fp_ieee_div_zero 0
		.amdhsa_exception_fp_ieee_overflow 0
		.amdhsa_exception_fp_ieee_underflow 0
		.amdhsa_exception_fp_ieee_inexact 0
		.amdhsa_exception_int_div_zero 0
	.end_amdhsa_kernel
	.section	.text._ZN7rocprim17ROCPRIM_400000_NS6detail17trampoline_kernelINS0_14default_configENS1_27scan_by_key_config_selectorIiiEEZZNS1_16scan_by_key_implILNS1_25lookback_scan_determinismE0ELb1ES3_N6thrust23THRUST_200600_302600_NS6detail15normal_iteratorINS9_10device_ptrIiEEEENSB_INSC_IjEEEESE_iNS9_4plusIvEENS9_8equal_toIvEEiEE10hipError_tPvRmT2_T3_T4_T5_mT6_T7_P12ihipStream_tbENKUlT_T0_E_clISt17integral_constantIbLb0EES10_IbLb1EEEEDaSW_SX_EUlSW_E_NS1_11comp_targetILNS1_3genE0ELNS1_11target_archE4294967295ELNS1_3gpuE0ELNS1_3repE0EEENS1_30default_config_static_selectorELNS0_4arch9wavefront6targetE0EEEvT1_,"axG",@progbits,_ZN7rocprim17ROCPRIM_400000_NS6detail17trampoline_kernelINS0_14default_configENS1_27scan_by_key_config_selectorIiiEEZZNS1_16scan_by_key_implILNS1_25lookback_scan_determinismE0ELb1ES3_N6thrust23THRUST_200600_302600_NS6detail15normal_iteratorINS9_10device_ptrIiEEEENSB_INSC_IjEEEESE_iNS9_4plusIvEENS9_8equal_toIvEEiEE10hipError_tPvRmT2_T3_T4_T5_mT6_T7_P12ihipStream_tbENKUlT_T0_E_clISt17integral_constantIbLb0EES10_IbLb1EEEEDaSW_SX_EUlSW_E_NS1_11comp_targetILNS1_3genE0ELNS1_11target_archE4294967295ELNS1_3gpuE0ELNS1_3repE0EEENS1_30default_config_static_selectorELNS0_4arch9wavefront6targetE0EEEvT1_,comdat
.Lfunc_end1779:
	.size	_ZN7rocprim17ROCPRIM_400000_NS6detail17trampoline_kernelINS0_14default_configENS1_27scan_by_key_config_selectorIiiEEZZNS1_16scan_by_key_implILNS1_25lookback_scan_determinismE0ELb1ES3_N6thrust23THRUST_200600_302600_NS6detail15normal_iteratorINS9_10device_ptrIiEEEENSB_INSC_IjEEEESE_iNS9_4plusIvEENS9_8equal_toIvEEiEE10hipError_tPvRmT2_T3_T4_T5_mT6_T7_P12ihipStream_tbENKUlT_T0_E_clISt17integral_constantIbLb0EES10_IbLb1EEEEDaSW_SX_EUlSW_E_NS1_11comp_targetILNS1_3genE0ELNS1_11target_archE4294967295ELNS1_3gpuE0ELNS1_3repE0EEENS1_30default_config_static_selectorELNS0_4arch9wavefront6targetE0EEEvT1_, .Lfunc_end1779-_ZN7rocprim17ROCPRIM_400000_NS6detail17trampoline_kernelINS0_14default_configENS1_27scan_by_key_config_selectorIiiEEZZNS1_16scan_by_key_implILNS1_25lookback_scan_determinismE0ELb1ES3_N6thrust23THRUST_200600_302600_NS6detail15normal_iteratorINS9_10device_ptrIiEEEENSB_INSC_IjEEEESE_iNS9_4plusIvEENS9_8equal_toIvEEiEE10hipError_tPvRmT2_T3_T4_T5_mT6_T7_P12ihipStream_tbENKUlT_T0_E_clISt17integral_constantIbLb0EES10_IbLb1EEEEDaSW_SX_EUlSW_E_NS1_11comp_targetILNS1_3genE0ELNS1_11target_archE4294967295ELNS1_3gpuE0ELNS1_3repE0EEENS1_30default_config_static_selectorELNS0_4arch9wavefront6targetE0EEEvT1_
                                        ; -- End function
	.set _ZN7rocprim17ROCPRIM_400000_NS6detail17trampoline_kernelINS0_14default_configENS1_27scan_by_key_config_selectorIiiEEZZNS1_16scan_by_key_implILNS1_25lookback_scan_determinismE0ELb1ES3_N6thrust23THRUST_200600_302600_NS6detail15normal_iteratorINS9_10device_ptrIiEEEENSB_INSC_IjEEEESE_iNS9_4plusIvEENS9_8equal_toIvEEiEE10hipError_tPvRmT2_T3_T4_T5_mT6_T7_P12ihipStream_tbENKUlT_T0_E_clISt17integral_constantIbLb0EES10_IbLb1EEEEDaSW_SX_EUlSW_E_NS1_11comp_targetILNS1_3genE0ELNS1_11target_archE4294967295ELNS1_3gpuE0ELNS1_3repE0EEENS1_30default_config_static_selectorELNS0_4arch9wavefront6targetE0EEEvT1_.num_vgpr, 62
	.set _ZN7rocprim17ROCPRIM_400000_NS6detail17trampoline_kernelINS0_14default_configENS1_27scan_by_key_config_selectorIiiEEZZNS1_16scan_by_key_implILNS1_25lookback_scan_determinismE0ELb1ES3_N6thrust23THRUST_200600_302600_NS6detail15normal_iteratorINS9_10device_ptrIiEEEENSB_INSC_IjEEEESE_iNS9_4plusIvEENS9_8equal_toIvEEiEE10hipError_tPvRmT2_T3_T4_T5_mT6_T7_P12ihipStream_tbENKUlT_T0_E_clISt17integral_constantIbLb0EES10_IbLb1EEEEDaSW_SX_EUlSW_E_NS1_11comp_targetILNS1_3genE0ELNS1_11target_archE4294967295ELNS1_3gpuE0ELNS1_3repE0EEENS1_30default_config_static_selectorELNS0_4arch9wavefront6targetE0EEEvT1_.num_agpr, 0
	.set _ZN7rocprim17ROCPRIM_400000_NS6detail17trampoline_kernelINS0_14default_configENS1_27scan_by_key_config_selectorIiiEEZZNS1_16scan_by_key_implILNS1_25lookback_scan_determinismE0ELb1ES3_N6thrust23THRUST_200600_302600_NS6detail15normal_iteratorINS9_10device_ptrIiEEEENSB_INSC_IjEEEESE_iNS9_4plusIvEENS9_8equal_toIvEEiEE10hipError_tPvRmT2_T3_T4_T5_mT6_T7_P12ihipStream_tbENKUlT_T0_E_clISt17integral_constantIbLb0EES10_IbLb1EEEEDaSW_SX_EUlSW_E_NS1_11comp_targetILNS1_3genE0ELNS1_11target_archE4294967295ELNS1_3gpuE0ELNS1_3repE0EEENS1_30default_config_static_selectorELNS0_4arch9wavefront6targetE0EEEvT1_.numbered_sgpr, 39
	.set _ZN7rocprim17ROCPRIM_400000_NS6detail17trampoline_kernelINS0_14default_configENS1_27scan_by_key_config_selectorIiiEEZZNS1_16scan_by_key_implILNS1_25lookback_scan_determinismE0ELb1ES3_N6thrust23THRUST_200600_302600_NS6detail15normal_iteratorINS9_10device_ptrIiEEEENSB_INSC_IjEEEESE_iNS9_4plusIvEENS9_8equal_toIvEEiEE10hipError_tPvRmT2_T3_T4_T5_mT6_T7_P12ihipStream_tbENKUlT_T0_E_clISt17integral_constantIbLb0EES10_IbLb1EEEEDaSW_SX_EUlSW_E_NS1_11comp_targetILNS1_3genE0ELNS1_11target_archE4294967295ELNS1_3gpuE0ELNS1_3repE0EEENS1_30default_config_static_selectorELNS0_4arch9wavefront6targetE0EEEvT1_.num_named_barrier, 0
	.set _ZN7rocprim17ROCPRIM_400000_NS6detail17trampoline_kernelINS0_14default_configENS1_27scan_by_key_config_selectorIiiEEZZNS1_16scan_by_key_implILNS1_25lookback_scan_determinismE0ELb1ES3_N6thrust23THRUST_200600_302600_NS6detail15normal_iteratorINS9_10device_ptrIiEEEENSB_INSC_IjEEEESE_iNS9_4plusIvEENS9_8equal_toIvEEiEE10hipError_tPvRmT2_T3_T4_T5_mT6_T7_P12ihipStream_tbENKUlT_T0_E_clISt17integral_constantIbLb0EES10_IbLb1EEEEDaSW_SX_EUlSW_E_NS1_11comp_targetILNS1_3genE0ELNS1_11target_archE4294967295ELNS1_3gpuE0ELNS1_3repE0EEENS1_30default_config_static_selectorELNS0_4arch9wavefront6targetE0EEEvT1_.private_seg_size, 0
	.set _ZN7rocprim17ROCPRIM_400000_NS6detail17trampoline_kernelINS0_14default_configENS1_27scan_by_key_config_selectorIiiEEZZNS1_16scan_by_key_implILNS1_25lookback_scan_determinismE0ELb1ES3_N6thrust23THRUST_200600_302600_NS6detail15normal_iteratorINS9_10device_ptrIiEEEENSB_INSC_IjEEEESE_iNS9_4plusIvEENS9_8equal_toIvEEiEE10hipError_tPvRmT2_T3_T4_T5_mT6_T7_P12ihipStream_tbENKUlT_T0_E_clISt17integral_constantIbLb0EES10_IbLb1EEEEDaSW_SX_EUlSW_E_NS1_11comp_targetILNS1_3genE0ELNS1_11target_archE4294967295ELNS1_3gpuE0ELNS1_3repE0EEENS1_30default_config_static_selectorELNS0_4arch9wavefront6targetE0EEEvT1_.uses_vcc, 1
	.set _ZN7rocprim17ROCPRIM_400000_NS6detail17trampoline_kernelINS0_14default_configENS1_27scan_by_key_config_selectorIiiEEZZNS1_16scan_by_key_implILNS1_25lookback_scan_determinismE0ELb1ES3_N6thrust23THRUST_200600_302600_NS6detail15normal_iteratorINS9_10device_ptrIiEEEENSB_INSC_IjEEEESE_iNS9_4plusIvEENS9_8equal_toIvEEiEE10hipError_tPvRmT2_T3_T4_T5_mT6_T7_P12ihipStream_tbENKUlT_T0_E_clISt17integral_constantIbLb0EES10_IbLb1EEEEDaSW_SX_EUlSW_E_NS1_11comp_targetILNS1_3genE0ELNS1_11target_archE4294967295ELNS1_3gpuE0ELNS1_3repE0EEENS1_30default_config_static_selectorELNS0_4arch9wavefront6targetE0EEEvT1_.uses_flat_scratch, 1
	.set _ZN7rocprim17ROCPRIM_400000_NS6detail17trampoline_kernelINS0_14default_configENS1_27scan_by_key_config_selectorIiiEEZZNS1_16scan_by_key_implILNS1_25lookback_scan_determinismE0ELb1ES3_N6thrust23THRUST_200600_302600_NS6detail15normal_iteratorINS9_10device_ptrIiEEEENSB_INSC_IjEEEESE_iNS9_4plusIvEENS9_8equal_toIvEEiEE10hipError_tPvRmT2_T3_T4_T5_mT6_T7_P12ihipStream_tbENKUlT_T0_E_clISt17integral_constantIbLb0EES10_IbLb1EEEEDaSW_SX_EUlSW_E_NS1_11comp_targetILNS1_3genE0ELNS1_11target_archE4294967295ELNS1_3gpuE0ELNS1_3repE0EEENS1_30default_config_static_selectorELNS0_4arch9wavefront6targetE0EEEvT1_.has_dyn_sized_stack, 0
	.set _ZN7rocprim17ROCPRIM_400000_NS6detail17trampoline_kernelINS0_14default_configENS1_27scan_by_key_config_selectorIiiEEZZNS1_16scan_by_key_implILNS1_25lookback_scan_determinismE0ELb1ES3_N6thrust23THRUST_200600_302600_NS6detail15normal_iteratorINS9_10device_ptrIiEEEENSB_INSC_IjEEEESE_iNS9_4plusIvEENS9_8equal_toIvEEiEE10hipError_tPvRmT2_T3_T4_T5_mT6_T7_P12ihipStream_tbENKUlT_T0_E_clISt17integral_constantIbLb0EES10_IbLb1EEEEDaSW_SX_EUlSW_E_NS1_11comp_targetILNS1_3genE0ELNS1_11target_archE4294967295ELNS1_3gpuE0ELNS1_3repE0EEENS1_30default_config_static_selectorELNS0_4arch9wavefront6targetE0EEEvT1_.has_recursion, 0
	.set _ZN7rocprim17ROCPRIM_400000_NS6detail17trampoline_kernelINS0_14default_configENS1_27scan_by_key_config_selectorIiiEEZZNS1_16scan_by_key_implILNS1_25lookback_scan_determinismE0ELb1ES3_N6thrust23THRUST_200600_302600_NS6detail15normal_iteratorINS9_10device_ptrIiEEEENSB_INSC_IjEEEESE_iNS9_4plusIvEENS9_8equal_toIvEEiEE10hipError_tPvRmT2_T3_T4_T5_mT6_T7_P12ihipStream_tbENKUlT_T0_E_clISt17integral_constantIbLb0EES10_IbLb1EEEEDaSW_SX_EUlSW_E_NS1_11comp_targetILNS1_3genE0ELNS1_11target_archE4294967295ELNS1_3gpuE0ELNS1_3repE0EEENS1_30default_config_static_selectorELNS0_4arch9wavefront6targetE0EEEvT1_.has_indirect_call, 0
	.section	.AMDGPU.csdata,"",@progbits
; Kernel info:
; codeLenInByte = 12140
; TotalNumSgprs: 41
; NumVgprs: 62
; ScratchSize: 0
; MemoryBound: 0
; FloatMode: 240
; IeeeMode: 1
; LDSByteSize: 14336 bytes/workgroup (compile time only)
; SGPRBlocks: 0
; VGPRBlocks: 3
; NumSGPRsForWavesPerEU: 41
; NumVGPRsForWavesPerEU: 62
; NamedBarCnt: 0
; Occupancy: 16
; WaveLimiterHint : 1
; COMPUTE_PGM_RSRC2:SCRATCH_EN: 0
; COMPUTE_PGM_RSRC2:USER_SGPR: 2
; COMPUTE_PGM_RSRC2:TRAP_HANDLER: 0
; COMPUTE_PGM_RSRC2:TGID_X_EN: 1
; COMPUTE_PGM_RSRC2:TGID_Y_EN: 0
; COMPUTE_PGM_RSRC2:TGID_Z_EN: 0
; COMPUTE_PGM_RSRC2:TIDIG_COMP_CNT: 0
	.section	.text._ZN7rocprim17ROCPRIM_400000_NS6detail17trampoline_kernelINS0_14default_configENS1_27scan_by_key_config_selectorIiiEEZZNS1_16scan_by_key_implILNS1_25lookback_scan_determinismE0ELb1ES3_N6thrust23THRUST_200600_302600_NS6detail15normal_iteratorINS9_10device_ptrIiEEEENSB_INSC_IjEEEESE_iNS9_4plusIvEENS9_8equal_toIvEEiEE10hipError_tPvRmT2_T3_T4_T5_mT6_T7_P12ihipStream_tbENKUlT_T0_E_clISt17integral_constantIbLb0EES10_IbLb1EEEEDaSW_SX_EUlSW_E_NS1_11comp_targetILNS1_3genE10ELNS1_11target_archE1201ELNS1_3gpuE5ELNS1_3repE0EEENS1_30default_config_static_selectorELNS0_4arch9wavefront6targetE0EEEvT1_,"axG",@progbits,_ZN7rocprim17ROCPRIM_400000_NS6detail17trampoline_kernelINS0_14default_configENS1_27scan_by_key_config_selectorIiiEEZZNS1_16scan_by_key_implILNS1_25lookback_scan_determinismE0ELb1ES3_N6thrust23THRUST_200600_302600_NS6detail15normal_iteratorINS9_10device_ptrIiEEEENSB_INSC_IjEEEESE_iNS9_4plusIvEENS9_8equal_toIvEEiEE10hipError_tPvRmT2_T3_T4_T5_mT6_T7_P12ihipStream_tbENKUlT_T0_E_clISt17integral_constantIbLb0EES10_IbLb1EEEEDaSW_SX_EUlSW_E_NS1_11comp_targetILNS1_3genE10ELNS1_11target_archE1201ELNS1_3gpuE5ELNS1_3repE0EEENS1_30default_config_static_selectorELNS0_4arch9wavefront6targetE0EEEvT1_,comdat
	.protected	_ZN7rocprim17ROCPRIM_400000_NS6detail17trampoline_kernelINS0_14default_configENS1_27scan_by_key_config_selectorIiiEEZZNS1_16scan_by_key_implILNS1_25lookback_scan_determinismE0ELb1ES3_N6thrust23THRUST_200600_302600_NS6detail15normal_iteratorINS9_10device_ptrIiEEEENSB_INSC_IjEEEESE_iNS9_4plusIvEENS9_8equal_toIvEEiEE10hipError_tPvRmT2_T3_T4_T5_mT6_T7_P12ihipStream_tbENKUlT_T0_E_clISt17integral_constantIbLb0EES10_IbLb1EEEEDaSW_SX_EUlSW_E_NS1_11comp_targetILNS1_3genE10ELNS1_11target_archE1201ELNS1_3gpuE5ELNS1_3repE0EEENS1_30default_config_static_selectorELNS0_4arch9wavefront6targetE0EEEvT1_ ; -- Begin function _ZN7rocprim17ROCPRIM_400000_NS6detail17trampoline_kernelINS0_14default_configENS1_27scan_by_key_config_selectorIiiEEZZNS1_16scan_by_key_implILNS1_25lookback_scan_determinismE0ELb1ES3_N6thrust23THRUST_200600_302600_NS6detail15normal_iteratorINS9_10device_ptrIiEEEENSB_INSC_IjEEEESE_iNS9_4plusIvEENS9_8equal_toIvEEiEE10hipError_tPvRmT2_T3_T4_T5_mT6_T7_P12ihipStream_tbENKUlT_T0_E_clISt17integral_constantIbLb0EES10_IbLb1EEEEDaSW_SX_EUlSW_E_NS1_11comp_targetILNS1_3genE10ELNS1_11target_archE1201ELNS1_3gpuE5ELNS1_3repE0EEENS1_30default_config_static_selectorELNS0_4arch9wavefront6targetE0EEEvT1_
	.globl	_ZN7rocprim17ROCPRIM_400000_NS6detail17trampoline_kernelINS0_14default_configENS1_27scan_by_key_config_selectorIiiEEZZNS1_16scan_by_key_implILNS1_25lookback_scan_determinismE0ELb1ES3_N6thrust23THRUST_200600_302600_NS6detail15normal_iteratorINS9_10device_ptrIiEEEENSB_INSC_IjEEEESE_iNS9_4plusIvEENS9_8equal_toIvEEiEE10hipError_tPvRmT2_T3_T4_T5_mT6_T7_P12ihipStream_tbENKUlT_T0_E_clISt17integral_constantIbLb0EES10_IbLb1EEEEDaSW_SX_EUlSW_E_NS1_11comp_targetILNS1_3genE10ELNS1_11target_archE1201ELNS1_3gpuE5ELNS1_3repE0EEENS1_30default_config_static_selectorELNS0_4arch9wavefront6targetE0EEEvT1_
	.p2align	8
	.type	_ZN7rocprim17ROCPRIM_400000_NS6detail17trampoline_kernelINS0_14default_configENS1_27scan_by_key_config_selectorIiiEEZZNS1_16scan_by_key_implILNS1_25lookback_scan_determinismE0ELb1ES3_N6thrust23THRUST_200600_302600_NS6detail15normal_iteratorINS9_10device_ptrIiEEEENSB_INSC_IjEEEESE_iNS9_4plusIvEENS9_8equal_toIvEEiEE10hipError_tPvRmT2_T3_T4_T5_mT6_T7_P12ihipStream_tbENKUlT_T0_E_clISt17integral_constantIbLb0EES10_IbLb1EEEEDaSW_SX_EUlSW_E_NS1_11comp_targetILNS1_3genE10ELNS1_11target_archE1201ELNS1_3gpuE5ELNS1_3repE0EEENS1_30default_config_static_selectorELNS0_4arch9wavefront6targetE0EEEvT1_,@function
_ZN7rocprim17ROCPRIM_400000_NS6detail17trampoline_kernelINS0_14default_configENS1_27scan_by_key_config_selectorIiiEEZZNS1_16scan_by_key_implILNS1_25lookback_scan_determinismE0ELb1ES3_N6thrust23THRUST_200600_302600_NS6detail15normal_iteratorINS9_10device_ptrIiEEEENSB_INSC_IjEEEESE_iNS9_4plusIvEENS9_8equal_toIvEEiEE10hipError_tPvRmT2_T3_T4_T5_mT6_T7_P12ihipStream_tbENKUlT_T0_E_clISt17integral_constantIbLb0EES10_IbLb1EEEEDaSW_SX_EUlSW_E_NS1_11comp_targetILNS1_3genE10ELNS1_11target_archE1201ELNS1_3gpuE5ELNS1_3repE0EEENS1_30default_config_static_selectorELNS0_4arch9wavefront6targetE0EEEvT1_: ; @_ZN7rocprim17ROCPRIM_400000_NS6detail17trampoline_kernelINS0_14default_configENS1_27scan_by_key_config_selectorIiiEEZZNS1_16scan_by_key_implILNS1_25lookback_scan_determinismE0ELb1ES3_N6thrust23THRUST_200600_302600_NS6detail15normal_iteratorINS9_10device_ptrIiEEEENSB_INSC_IjEEEESE_iNS9_4plusIvEENS9_8equal_toIvEEiEE10hipError_tPvRmT2_T3_T4_T5_mT6_T7_P12ihipStream_tbENKUlT_T0_E_clISt17integral_constantIbLb0EES10_IbLb1EEEEDaSW_SX_EUlSW_E_NS1_11comp_targetILNS1_3genE10ELNS1_11target_archE1201ELNS1_3gpuE5ELNS1_3repE0EEENS1_30default_config_static_selectorELNS0_4arch9wavefront6targetE0EEEvT1_
; %bb.0:
	.section	.rodata,"a",@progbits
	.p2align	6, 0x0
	.amdhsa_kernel _ZN7rocprim17ROCPRIM_400000_NS6detail17trampoline_kernelINS0_14default_configENS1_27scan_by_key_config_selectorIiiEEZZNS1_16scan_by_key_implILNS1_25lookback_scan_determinismE0ELb1ES3_N6thrust23THRUST_200600_302600_NS6detail15normal_iteratorINS9_10device_ptrIiEEEENSB_INSC_IjEEEESE_iNS9_4plusIvEENS9_8equal_toIvEEiEE10hipError_tPvRmT2_T3_T4_T5_mT6_T7_P12ihipStream_tbENKUlT_T0_E_clISt17integral_constantIbLb0EES10_IbLb1EEEEDaSW_SX_EUlSW_E_NS1_11comp_targetILNS1_3genE10ELNS1_11target_archE1201ELNS1_3gpuE5ELNS1_3repE0EEENS1_30default_config_static_selectorELNS0_4arch9wavefront6targetE0EEEvT1_
		.amdhsa_group_segment_fixed_size 0
		.amdhsa_private_segment_fixed_size 0
		.amdhsa_kernarg_size 112
		.amdhsa_user_sgpr_count 2
		.amdhsa_user_sgpr_dispatch_ptr 0
		.amdhsa_user_sgpr_queue_ptr 0
		.amdhsa_user_sgpr_kernarg_segment_ptr 1
		.amdhsa_user_sgpr_dispatch_id 0
		.amdhsa_user_sgpr_kernarg_preload_length 0
		.amdhsa_user_sgpr_kernarg_preload_offset 0
		.amdhsa_user_sgpr_private_segment_size 0
		.amdhsa_wavefront_size32 1
		.amdhsa_uses_dynamic_stack 0
		.amdhsa_enable_private_segment 0
		.amdhsa_system_sgpr_workgroup_id_x 1
		.amdhsa_system_sgpr_workgroup_id_y 0
		.amdhsa_system_sgpr_workgroup_id_z 0
		.amdhsa_system_sgpr_workgroup_info 0
		.amdhsa_system_vgpr_workitem_id 0
		.amdhsa_next_free_vgpr 1
		.amdhsa_next_free_sgpr 1
		.amdhsa_named_barrier_count 0
		.amdhsa_reserve_vcc 0
		.amdhsa_float_round_mode_32 0
		.amdhsa_float_round_mode_16_64 0
		.amdhsa_float_denorm_mode_32 3
		.amdhsa_float_denorm_mode_16_64 3
		.amdhsa_fp16_overflow 0
		.amdhsa_memory_ordered 1
		.amdhsa_forward_progress 1
		.amdhsa_inst_pref_size 0
		.amdhsa_round_robin_scheduling 0
		.amdhsa_exception_fp_ieee_invalid_op 0
		.amdhsa_exception_fp_denorm_src 0
		.amdhsa_exception_fp_ieee_div_zero 0
		.amdhsa_exception_fp_ieee_overflow 0
		.amdhsa_exception_fp_ieee_underflow 0
		.amdhsa_exception_fp_ieee_inexact 0
		.amdhsa_exception_int_div_zero 0
	.end_amdhsa_kernel
	.section	.text._ZN7rocprim17ROCPRIM_400000_NS6detail17trampoline_kernelINS0_14default_configENS1_27scan_by_key_config_selectorIiiEEZZNS1_16scan_by_key_implILNS1_25lookback_scan_determinismE0ELb1ES3_N6thrust23THRUST_200600_302600_NS6detail15normal_iteratorINS9_10device_ptrIiEEEENSB_INSC_IjEEEESE_iNS9_4plusIvEENS9_8equal_toIvEEiEE10hipError_tPvRmT2_T3_T4_T5_mT6_T7_P12ihipStream_tbENKUlT_T0_E_clISt17integral_constantIbLb0EES10_IbLb1EEEEDaSW_SX_EUlSW_E_NS1_11comp_targetILNS1_3genE10ELNS1_11target_archE1201ELNS1_3gpuE5ELNS1_3repE0EEENS1_30default_config_static_selectorELNS0_4arch9wavefront6targetE0EEEvT1_,"axG",@progbits,_ZN7rocprim17ROCPRIM_400000_NS6detail17trampoline_kernelINS0_14default_configENS1_27scan_by_key_config_selectorIiiEEZZNS1_16scan_by_key_implILNS1_25lookback_scan_determinismE0ELb1ES3_N6thrust23THRUST_200600_302600_NS6detail15normal_iteratorINS9_10device_ptrIiEEEENSB_INSC_IjEEEESE_iNS9_4plusIvEENS9_8equal_toIvEEiEE10hipError_tPvRmT2_T3_T4_T5_mT6_T7_P12ihipStream_tbENKUlT_T0_E_clISt17integral_constantIbLb0EES10_IbLb1EEEEDaSW_SX_EUlSW_E_NS1_11comp_targetILNS1_3genE10ELNS1_11target_archE1201ELNS1_3gpuE5ELNS1_3repE0EEENS1_30default_config_static_selectorELNS0_4arch9wavefront6targetE0EEEvT1_,comdat
.Lfunc_end1780:
	.size	_ZN7rocprim17ROCPRIM_400000_NS6detail17trampoline_kernelINS0_14default_configENS1_27scan_by_key_config_selectorIiiEEZZNS1_16scan_by_key_implILNS1_25lookback_scan_determinismE0ELb1ES3_N6thrust23THRUST_200600_302600_NS6detail15normal_iteratorINS9_10device_ptrIiEEEENSB_INSC_IjEEEESE_iNS9_4plusIvEENS9_8equal_toIvEEiEE10hipError_tPvRmT2_T3_T4_T5_mT6_T7_P12ihipStream_tbENKUlT_T0_E_clISt17integral_constantIbLb0EES10_IbLb1EEEEDaSW_SX_EUlSW_E_NS1_11comp_targetILNS1_3genE10ELNS1_11target_archE1201ELNS1_3gpuE5ELNS1_3repE0EEENS1_30default_config_static_selectorELNS0_4arch9wavefront6targetE0EEEvT1_, .Lfunc_end1780-_ZN7rocprim17ROCPRIM_400000_NS6detail17trampoline_kernelINS0_14default_configENS1_27scan_by_key_config_selectorIiiEEZZNS1_16scan_by_key_implILNS1_25lookback_scan_determinismE0ELb1ES3_N6thrust23THRUST_200600_302600_NS6detail15normal_iteratorINS9_10device_ptrIiEEEENSB_INSC_IjEEEESE_iNS9_4plusIvEENS9_8equal_toIvEEiEE10hipError_tPvRmT2_T3_T4_T5_mT6_T7_P12ihipStream_tbENKUlT_T0_E_clISt17integral_constantIbLb0EES10_IbLb1EEEEDaSW_SX_EUlSW_E_NS1_11comp_targetILNS1_3genE10ELNS1_11target_archE1201ELNS1_3gpuE5ELNS1_3repE0EEENS1_30default_config_static_selectorELNS0_4arch9wavefront6targetE0EEEvT1_
                                        ; -- End function
	.set _ZN7rocprim17ROCPRIM_400000_NS6detail17trampoline_kernelINS0_14default_configENS1_27scan_by_key_config_selectorIiiEEZZNS1_16scan_by_key_implILNS1_25lookback_scan_determinismE0ELb1ES3_N6thrust23THRUST_200600_302600_NS6detail15normal_iteratorINS9_10device_ptrIiEEEENSB_INSC_IjEEEESE_iNS9_4plusIvEENS9_8equal_toIvEEiEE10hipError_tPvRmT2_T3_T4_T5_mT6_T7_P12ihipStream_tbENKUlT_T0_E_clISt17integral_constantIbLb0EES10_IbLb1EEEEDaSW_SX_EUlSW_E_NS1_11comp_targetILNS1_3genE10ELNS1_11target_archE1201ELNS1_3gpuE5ELNS1_3repE0EEENS1_30default_config_static_selectorELNS0_4arch9wavefront6targetE0EEEvT1_.num_vgpr, 0
	.set _ZN7rocprim17ROCPRIM_400000_NS6detail17trampoline_kernelINS0_14default_configENS1_27scan_by_key_config_selectorIiiEEZZNS1_16scan_by_key_implILNS1_25lookback_scan_determinismE0ELb1ES3_N6thrust23THRUST_200600_302600_NS6detail15normal_iteratorINS9_10device_ptrIiEEEENSB_INSC_IjEEEESE_iNS9_4plusIvEENS9_8equal_toIvEEiEE10hipError_tPvRmT2_T3_T4_T5_mT6_T7_P12ihipStream_tbENKUlT_T0_E_clISt17integral_constantIbLb0EES10_IbLb1EEEEDaSW_SX_EUlSW_E_NS1_11comp_targetILNS1_3genE10ELNS1_11target_archE1201ELNS1_3gpuE5ELNS1_3repE0EEENS1_30default_config_static_selectorELNS0_4arch9wavefront6targetE0EEEvT1_.num_agpr, 0
	.set _ZN7rocprim17ROCPRIM_400000_NS6detail17trampoline_kernelINS0_14default_configENS1_27scan_by_key_config_selectorIiiEEZZNS1_16scan_by_key_implILNS1_25lookback_scan_determinismE0ELb1ES3_N6thrust23THRUST_200600_302600_NS6detail15normal_iteratorINS9_10device_ptrIiEEEENSB_INSC_IjEEEESE_iNS9_4plusIvEENS9_8equal_toIvEEiEE10hipError_tPvRmT2_T3_T4_T5_mT6_T7_P12ihipStream_tbENKUlT_T0_E_clISt17integral_constantIbLb0EES10_IbLb1EEEEDaSW_SX_EUlSW_E_NS1_11comp_targetILNS1_3genE10ELNS1_11target_archE1201ELNS1_3gpuE5ELNS1_3repE0EEENS1_30default_config_static_selectorELNS0_4arch9wavefront6targetE0EEEvT1_.numbered_sgpr, 0
	.set _ZN7rocprim17ROCPRIM_400000_NS6detail17trampoline_kernelINS0_14default_configENS1_27scan_by_key_config_selectorIiiEEZZNS1_16scan_by_key_implILNS1_25lookback_scan_determinismE0ELb1ES3_N6thrust23THRUST_200600_302600_NS6detail15normal_iteratorINS9_10device_ptrIiEEEENSB_INSC_IjEEEESE_iNS9_4plusIvEENS9_8equal_toIvEEiEE10hipError_tPvRmT2_T3_T4_T5_mT6_T7_P12ihipStream_tbENKUlT_T0_E_clISt17integral_constantIbLb0EES10_IbLb1EEEEDaSW_SX_EUlSW_E_NS1_11comp_targetILNS1_3genE10ELNS1_11target_archE1201ELNS1_3gpuE5ELNS1_3repE0EEENS1_30default_config_static_selectorELNS0_4arch9wavefront6targetE0EEEvT1_.num_named_barrier, 0
	.set _ZN7rocprim17ROCPRIM_400000_NS6detail17trampoline_kernelINS0_14default_configENS1_27scan_by_key_config_selectorIiiEEZZNS1_16scan_by_key_implILNS1_25lookback_scan_determinismE0ELb1ES3_N6thrust23THRUST_200600_302600_NS6detail15normal_iteratorINS9_10device_ptrIiEEEENSB_INSC_IjEEEESE_iNS9_4plusIvEENS9_8equal_toIvEEiEE10hipError_tPvRmT2_T3_T4_T5_mT6_T7_P12ihipStream_tbENKUlT_T0_E_clISt17integral_constantIbLb0EES10_IbLb1EEEEDaSW_SX_EUlSW_E_NS1_11comp_targetILNS1_3genE10ELNS1_11target_archE1201ELNS1_3gpuE5ELNS1_3repE0EEENS1_30default_config_static_selectorELNS0_4arch9wavefront6targetE0EEEvT1_.private_seg_size, 0
	.set _ZN7rocprim17ROCPRIM_400000_NS6detail17trampoline_kernelINS0_14default_configENS1_27scan_by_key_config_selectorIiiEEZZNS1_16scan_by_key_implILNS1_25lookback_scan_determinismE0ELb1ES3_N6thrust23THRUST_200600_302600_NS6detail15normal_iteratorINS9_10device_ptrIiEEEENSB_INSC_IjEEEESE_iNS9_4plusIvEENS9_8equal_toIvEEiEE10hipError_tPvRmT2_T3_T4_T5_mT6_T7_P12ihipStream_tbENKUlT_T0_E_clISt17integral_constantIbLb0EES10_IbLb1EEEEDaSW_SX_EUlSW_E_NS1_11comp_targetILNS1_3genE10ELNS1_11target_archE1201ELNS1_3gpuE5ELNS1_3repE0EEENS1_30default_config_static_selectorELNS0_4arch9wavefront6targetE0EEEvT1_.uses_vcc, 0
	.set _ZN7rocprim17ROCPRIM_400000_NS6detail17trampoline_kernelINS0_14default_configENS1_27scan_by_key_config_selectorIiiEEZZNS1_16scan_by_key_implILNS1_25lookback_scan_determinismE0ELb1ES3_N6thrust23THRUST_200600_302600_NS6detail15normal_iteratorINS9_10device_ptrIiEEEENSB_INSC_IjEEEESE_iNS9_4plusIvEENS9_8equal_toIvEEiEE10hipError_tPvRmT2_T3_T4_T5_mT6_T7_P12ihipStream_tbENKUlT_T0_E_clISt17integral_constantIbLb0EES10_IbLb1EEEEDaSW_SX_EUlSW_E_NS1_11comp_targetILNS1_3genE10ELNS1_11target_archE1201ELNS1_3gpuE5ELNS1_3repE0EEENS1_30default_config_static_selectorELNS0_4arch9wavefront6targetE0EEEvT1_.uses_flat_scratch, 0
	.set _ZN7rocprim17ROCPRIM_400000_NS6detail17trampoline_kernelINS0_14default_configENS1_27scan_by_key_config_selectorIiiEEZZNS1_16scan_by_key_implILNS1_25lookback_scan_determinismE0ELb1ES3_N6thrust23THRUST_200600_302600_NS6detail15normal_iteratorINS9_10device_ptrIiEEEENSB_INSC_IjEEEESE_iNS9_4plusIvEENS9_8equal_toIvEEiEE10hipError_tPvRmT2_T3_T4_T5_mT6_T7_P12ihipStream_tbENKUlT_T0_E_clISt17integral_constantIbLb0EES10_IbLb1EEEEDaSW_SX_EUlSW_E_NS1_11comp_targetILNS1_3genE10ELNS1_11target_archE1201ELNS1_3gpuE5ELNS1_3repE0EEENS1_30default_config_static_selectorELNS0_4arch9wavefront6targetE0EEEvT1_.has_dyn_sized_stack, 0
	.set _ZN7rocprim17ROCPRIM_400000_NS6detail17trampoline_kernelINS0_14default_configENS1_27scan_by_key_config_selectorIiiEEZZNS1_16scan_by_key_implILNS1_25lookback_scan_determinismE0ELb1ES3_N6thrust23THRUST_200600_302600_NS6detail15normal_iteratorINS9_10device_ptrIiEEEENSB_INSC_IjEEEESE_iNS9_4plusIvEENS9_8equal_toIvEEiEE10hipError_tPvRmT2_T3_T4_T5_mT6_T7_P12ihipStream_tbENKUlT_T0_E_clISt17integral_constantIbLb0EES10_IbLb1EEEEDaSW_SX_EUlSW_E_NS1_11comp_targetILNS1_3genE10ELNS1_11target_archE1201ELNS1_3gpuE5ELNS1_3repE0EEENS1_30default_config_static_selectorELNS0_4arch9wavefront6targetE0EEEvT1_.has_recursion, 0
	.set _ZN7rocprim17ROCPRIM_400000_NS6detail17trampoline_kernelINS0_14default_configENS1_27scan_by_key_config_selectorIiiEEZZNS1_16scan_by_key_implILNS1_25lookback_scan_determinismE0ELb1ES3_N6thrust23THRUST_200600_302600_NS6detail15normal_iteratorINS9_10device_ptrIiEEEENSB_INSC_IjEEEESE_iNS9_4plusIvEENS9_8equal_toIvEEiEE10hipError_tPvRmT2_T3_T4_T5_mT6_T7_P12ihipStream_tbENKUlT_T0_E_clISt17integral_constantIbLb0EES10_IbLb1EEEEDaSW_SX_EUlSW_E_NS1_11comp_targetILNS1_3genE10ELNS1_11target_archE1201ELNS1_3gpuE5ELNS1_3repE0EEENS1_30default_config_static_selectorELNS0_4arch9wavefront6targetE0EEEvT1_.has_indirect_call, 0
	.section	.AMDGPU.csdata,"",@progbits
; Kernel info:
; codeLenInByte = 0
; TotalNumSgprs: 0
; NumVgprs: 0
; ScratchSize: 0
; MemoryBound: 0
; FloatMode: 240
; IeeeMode: 1
; LDSByteSize: 0 bytes/workgroup (compile time only)
; SGPRBlocks: 0
; VGPRBlocks: 0
; NumSGPRsForWavesPerEU: 1
; NumVGPRsForWavesPerEU: 1
; NamedBarCnt: 0
; Occupancy: 16
; WaveLimiterHint : 0
; COMPUTE_PGM_RSRC2:SCRATCH_EN: 0
; COMPUTE_PGM_RSRC2:USER_SGPR: 2
; COMPUTE_PGM_RSRC2:TRAP_HANDLER: 0
; COMPUTE_PGM_RSRC2:TGID_X_EN: 1
; COMPUTE_PGM_RSRC2:TGID_Y_EN: 0
; COMPUTE_PGM_RSRC2:TGID_Z_EN: 0
; COMPUTE_PGM_RSRC2:TIDIG_COMP_CNT: 0
	.section	.text._ZN7rocprim17ROCPRIM_400000_NS6detail17trampoline_kernelINS0_14default_configENS1_27scan_by_key_config_selectorIiiEEZZNS1_16scan_by_key_implILNS1_25lookback_scan_determinismE0ELb1ES3_N6thrust23THRUST_200600_302600_NS6detail15normal_iteratorINS9_10device_ptrIiEEEENSB_INSC_IjEEEESE_iNS9_4plusIvEENS9_8equal_toIvEEiEE10hipError_tPvRmT2_T3_T4_T5_mT6_T7_P12ihipStream_tbENKUlT_T0_E_clISt17integral_constantIbLb0EES10_IbLb1EEEEDaSW_SX_EUlSW_E_NS1_11comp_targetILNS1_3genE5ELNS1_11target_archE942ELNS1_3gpuE9ELNS1_3repE0EEENS1_30default_config_static_selectorELNS0_4arch9wavefront6targetE0EEEvT1_,"axG",@progbits,_ZN7rocprim17ROCPRIM_400000_NS6detail17trampoline_kernelINS0_14default_configENS1_27scan_by_key_config_selectorIiiEEZZNS1_16scan_by_key_implILNS1_25lookback_scan_determinismE0ELb1ES3_N6thrust23THRUST_200600_302600_NS6detail15normal_iteratorINS9_10device_ptrIiEEEENSB_INSC_IjEEEESE_iNS9_4plusIvEENS9_8equal_toIvEEiEE10hipError_tPvRmT2_T3_T4_T5_mT6_T7_P12ihipStream_tbENKUlT_T0_E_clISt17integral_constantIbLb0EES10_IbLb1EEEEDaSW_SX_EUlSW_E_NS1_11comp_targetILNS1_3genE5ELNS1_11target_archE942ELNS1_3gpuE9ELNS1_3repE0EEENS1_30default_config_static_selectorELNS0_4arch9wavefront6targetE0EEEvT1_,comdat
	.protected	_ZN7rocprim17ROCPRIM_400000_NS6detail17trampoline_kernelINS0_14default_configENS1_27scan_by_key_config_selectorIiiEEZZNS1_16scan_by_key_implILNS1_25lookback_scan_determinismE0ELb1ES3_N6thrust23THRUST_200600_302600_NS6detail15normal_iteratorINS9_10device_ptrIiEEEENSB_INSC_IjEEEESE_iNS9_4plusIvEENS9_8equal_toIvEEiEE10hipError_tPvRmT2_T3_T4_T5_mT6_T7_P12ihipStream_tbENKUlT_T0_E_clISt17integral_constantIbLb0EES10_IbLb1EEEEDaSW_SX_EUlSW_E_NS1_11comp_targetILNS1_3genE5ELNS1_11target_archE942ELNS1_3gpuE9ELNS1_3repE0EEENS1_30default_config_static_selectorELNS0_4arch9wavefront6targetE0EEEvT1_ ; -- Begin function _ZN7rocprim17ROCPRIM_400000_NS6detail17trampoline_kernelINS0_14default_configENS1_27scan_by_key_config_selectorIiiEEZZNS1_16scan_by_key_implILNS1_25lookback_scan_determinismE0ELb1ES3_N6thrust23THRUST_200600_302600_NS6detail15normal_iteratorINS9_10device_ptrIiEEEENSB_INSC_IjEEEESE_iNS9_4plusIvEENS9_8equal_toIvEEiEE10hipError_tPvRmT2_T3_T4_T5_mT6_T7_P12ihipStream_tbENKUlT_T0_E_clISt17integral_constantIbLb0EES10_IbLb1EEEEDaSW_SX_EUlSW_E_NS1_11comp_targetILNS1_3genE5ELNS1_11target_archE942ELNS1_3gpuE9ELNS1_3repE0EEENS1_30default_config_static_selectorELNS0_4arch9wavefront6targetE0EEEvT1_
	.globl	_ZN7rocprim17ROCPRIM_400000_NS6detail17trampoline_kernelINS0_14default_configENS1_27scan_by_key_config_selectorIiiEEZZNS1_16scan_by_key_implILNS1_25lookback_scan_determinismE0ELb1ES3_N6thrust23THRUST_200600_302600_NS6detail15normal_iteratorINS9_10device_ptrIiEEEENSB_INSC_IjEEEESE_iNS9_4plusIvEENS9_8equal_toIvEEiEE10hipError_tPvRmT2_T3_T4_T5_mT6_T7_P12ihipStream_tbENKUlT_T0_E_clISt17integral_constantIbLb0EES10_IbLb1EEEEDaSW_SX_EUlSW_E_NS1_11comp_targetILNS1_3genE5ELNS1_11target_archE942ELNS1_3gpuE9ELNS1_3repE0EEENS1_30default_config_static_selectorELNS0_4arch9wavefront6targetE0EEEvT1_
	.p2align	8
	.type	_ZN7rocprim17ROCPRIM_400000_NS6detail17trampoline_kernelINS0_14default_configENS1_27scan_by_key_config_selectorIiiEEZZNS1_16scan_by_key_implILNS1_25lookback_scan_determinismE0ELb1ES3_N6thrust23THRUST_200600_302600_NS6detail15normal_iteratorINS9_10device_ptrIiEEEENSB_INSC_IjEEEESE_iNS9_4plusIvEENS9_8equal_toIvEEiEE10hipError_tPvRmT2_T3_T4_T5_mT6_T7_P12ihipStream_tbENKUlT_T0_E_clISt17integral_constantIbLb0EES10_IbLb1EEEEDaSW_SX_EUlSW_E_NS1_11comp_targetILNS1_3genE5ELNS1_11target_archE942ELNS1_3gpuE9ELNS1_3repE0EEENS1_30default_config_static_selectorELNS0_4arch9wavefront6targetE0EEEvT1_,@function
_ZN7rocprim17ROCPRIM_400000_NS6detail17trampoline_kernelINS0_14default_configENS1_27scan_by_key_config_selectorIiiEEZZNS1_16scan_by_key_implILNS1_25lookback_scan_determinismE0ELb1ES3_N6thrust23THRUST_200600_302600_NS6detail15normal_iteratorINS9_10device_ptrIiEEEENSB_INSC_IjEEEESE_iNS9_4plusIvEENS9_8equal_toIvEEiEE10hipError_tPvRmT2_T3_T4_T5_mT6_T7_P12ihipStream_tbENKUlT_T0_E_clISt17integral_constantIbLb0EES10_IbLb1EEEEDaSW_SX_EUlSW_E_NS1_11comp_targetILNS1_3genE5ELNS1_11target_archE942ELNS1_3gpuE9ELNS1_3repE0EEENS1_30default_config_static_selectorELNS0_4arch9wavefront6targetE0EEEvT1_: ; @_ZN7rocprim17ROCPRIM_400000_NS6detail17trampoline_kernelINS0_14default_configENS1_27scan_by_key_config_selectorIiiEEZZNS1_16scan_by_key_implILNS1_25lookback_scan_determinismE0ELb1ES3_N6thrust23THRUST_200600_302600_NS6detail15normal_iteratorINS9_10device_ptrIiEEEENSB_INSC_IjEEEESE_iNS9_4plusIvEENS9_8equal_toIvEEiEE10hipError_tPvRmT2_T3_T4_T5_mT6_T7_P12ihipStream_tbENKUlT_T0_E_clISt17integral_constantIbLb0EES10_IbLb1EEEEDaSW_SX_EUlSW_E_NS1_11comp_targetILNS1_3genE5ELNS1_11target_archE942ELNS1_3gpuE9ELNS1_3repE0EEENS1_30default_config_static_selectorELNS0_4arch9wavefront6targetE0EEEvT1_
; %bb.0:
	.section	.rodata,"a",@progbits
	.p2align	6, 0x0
	.amdhsa_kernel _ZN7rocprim17ROCPRIM_400000_NS6detail17trampoline_kernelINS0_14default_configENS1_27scan_by_key_config_selectorIiiEEZZNS1_16scan_by_key_implILNS1_25lookback_scan_determinismE0ELb1ES3_N6thrust23THRUST_200600_302600_NS6detail15normal_iteratorINS9_10device_ptrIiEEEENSB_INSC_IjEEEESE_iNS9_4plusIvEENS9_8equal_toIvEEiEE10hipError_tPvRmT2_T3_T4_T5_mT6_T7_P12ihipStream_tbENKUlT_T0_E_clISt17integral_constantIbLb0EES10_IbLb1EEEEDaSW_SX_EUlSW_E_NS1_11comp_targetILNS1_3genE5ELNS1_11target_archE942ELNS1_3gpuE9ELNS1_3repE0EEENS1_30default_config_static_selectorELNS0_4arch9wavefront6targetE0EEEvT1_
		.amdhsa_group_segment_fixed_size 0
		.amdhsa_private_segment_fixed_size 0
		.amdhsa_kernarg_size 112
		.amdhsa_user_sgpr_count 2
		.amdhsa_user_sgpr_dispatch_ptr 0
		.amdhsa_user_sgpr_queue_ptr 0
		.amdhsa_user_sgpr_kernarg_segment_ptr 1
		.amdhsa_user_sgpr_dispatch_id 0
		.amdhsa_user_sgpr_kernarg_preload_length 0
		.amdhsa_user_sgpr_kernarg_preload_offset 0
		.amdhsa_user_sgpr_private_segment_size 0
		.amdhsa_wavefront_size32 1
		.amdhsa_uses_dynamic_stack 0
		.amdhsa_enable_private_segment 0
		.amdhsa_system_sgpr_workgroup_id_x 1
		.amdhsa_system_sgpr_workgroup_id_y 0
		.amdhsa_system_sgpr_workgroup_id_z 0
		.amdhsa_system_sgpr_workgroup_info 0
		.amdhsa_system_vgpr_workitem_id 0
		.amdhsa_next_free_vgpr 1
		.amdhsa_next_free_sgpr 1
		.amdhsa_named_barrier_count 0
		.amdhsa_reserve_vcc 0
		.amdhsa_float_round_mode_32 0
		.amdhsa_float_round_mode_16_64 0
		.amdhsa_float_denorm_mode_32 3
		.amdhsa_float_denorm_mode_16_64 3
		.amdhsa_fp16_overflow 0
		.amdhsa_memory_ordered 1
		.amdhsa_forward_progress 1
		.amdhsa_inst_pref_size 0
		.amdhsa_round_robin_scheduling 0
		.amdhsa_exception_fp_ieee_invalid_op 0
		.amdhsa_exception_fp_denorm_src 0
		.amdhsa_exception_fp_ieee_div_zero 0
		.amdhsa_exception_fp_ieee_overflow 0
		.amdhsa_exception_fp_ieee_underflow 0
		.amdhsa_exception_fp_ieee_inexact 0
		.amdhsa_exception_int_div_zero 0
	.end_amdhsa_kernel
	.section	.text._ZN7rocprim17ROCPRIM_400000_NS6detail17trampoline_kernelINS0_14default_configENS1_27scan_by_key_config_selectorIiiEEZZNS1_16scan_by_key_implILNS1_25lookback_scan_determinismE0ELb1ES3_N6thrust23THRUST_200600_302600_NS6detail15normal_iteratorINS9_10device_ptrIiEEEENSB_INSC_IjEEEESE_iNS9_4plusIvEENS9_8equal_toIvEEiEE10hipError_tPvRmT2_T3_T4_T5_mT6_T7_P12ihipStream_tbENKUlT_T0_E_clISt17integral_constantIbLb0EES10_IbLb1EEEEDaSW_SX_EUlSW_E_NS1_11comp_targetILNS1_3genE5ELNS1_11target_archE942ELNS1_3gpuE9ELNS1_3repE0EEENS1_30default_config_static_selectorELNS0_4arch9wavefront6targetE0EEEvT1_,"axG",@progbits,_ZN7rocprim17ROCPRIM_400000_NS6detail17trampoline_kernelINS0_14default_configENS1_27scan_by_key_config_selectorIiiEEZZNS1_16scan_by_key_implILNS1_25lookback_scan_determinismE0ELb1ES3_N6thrust23THRUST_200600_302600_NS6detail15normal_iteratorINS9_10device_ptrIiEEEENSB_INSC_IjEEEESE_iNS9_4plusIvEENS9_8equal_toIvEEiEE10hipError_tPvRmT2_T3_T4_T5_mT6_T7_P12ihipStream_tbENKUlT_T0_E_clISt17integral_constantIbLb0EES10_IbLb1EEEEDaSW_SX_EUlSW_E_NS1_11comp_targetILNS1_3genE5ELNS1_11target_archE942ELNS1_3gpuE9ELNS1_3repE0EEENS1_30default_config_static_selectorELNS0_4arch9wavefront6targetE0EEEvT1_,comdat
.Lfunc_end1781:
	.size	_ZN7rocprim17ROCPRIM_400000_NS6detail17trampoline_kernelINS0_14default_configENS1_27scan_by_key_config_selectorIiiEEZZNS1_16scan_by_key_implILNS1_25lookback_scan_determinismE0ELb1ES3_N6thrust23THRUST_200600_302600_NS6detail15normal_iteratorINS9_10device_ptrIiEEEENSB_INSC_IjEEEESE_iNS9_4plusIvEENS9_8equal_toIvEEiEE10hipError_tPvRmT2_T3_T4_T5_mT6_T7_P12ihipStream_tbENKUlT_T0_E_clISt17integral_constantIbLb0EES10_IbLb1EEEEDaSW_SX_EUlSW_E_NS1_11comp_targetILNS1_3genE5ELNS1_11target_archE942ELNS1_3gpuE9ELNS1_3repE0EEENS1_30default_config_static_selectorELNS0_4arch9wavefront6targetE0EEEvT1_, .Lfunc_end1781-_ZN7rocprim17ROCPRIM_400000_NS6detail17trampoline_kernelINS0_14default_configENS1_27scan_by_key_config_selectorIiiEEZZNS1_16scan_by_key_implILNS1_25lookback_scan_determinismE0ELb1ES3_N6thrust23THRUST_200600_302600_NS6detail15normal_iteratorINS9_10device_ptrIiEEEENSB_INSC_IjEEEESE_iNS9_4plusIvEENS9_8equal_toIvEEiEE10hipError_tPvRmT2_T3_T4_T5_mT6_T7_P12ihipStream_tbENKUlT_T0_E_clISt17integral_constantIbLb0EES10_IbLb1EEEEDaSW_SX_EUlSW_E_NS1_11comp_targetILNS1_3genE5ELNS1_11target_archE942ELNS1_3gpuE9ELNS1_3repE0EEENS1_30default_config_static_selectorELNS0_4arch9wavefront6targetE0EEEvT1_
                                        ; -- End function
	.set _ZN7rocprim17ROCPRIM_400000_NS6detail17trampoline_kernelINS0_14default_configENS1_27scan_by_key_config_selectorIiiEEZZNS1_16scan_by_key_implILNS1_25lookback_scan_determinismE0ELb1ES3_N6thrust23THRUST_200600_302600_NS6detail15normal_iteratorINS9_10device_ptrIiEEEENSB_INSC_IjEEEESE_iNS9_4plusIvEENS9_8equal_toIvEEiEE10hipError_tPvRmT2_T3_T4_T5_mT6_T7_P12ihipStream_tbENKUlT_T0_E_clISt17integral_constantIbLb0EES10_IbLb1EEEEDaSW_SX_EUlSW_E_NS1_11comp_targetILNS1_3genE5ELNS1_11target_archE942ELNS1_3gpuE9ELNS1_3repE0EEENS1_30default_config_static_selectorELNS0_4arch9wavefront6targetE0EEEvT1_.num_vgpr, 0
	.set _ZN7rocprim17ROCPRIM_400000_NS6detail17trampoline_kernelINS0_14default_configENS1_27scan_by_key_config_selectorIiiEEZZNS1_16scan_by_key_implILNS1_25lookback_scan_determinismE0ELb1ES3_N6thrust23THRUST_200600_302600_NS6detail15normal_iteratorINS9_10device_ptrIiEEEENSB_INSC_IjEEEESE_iNS9_4plusIvEENS9_8equal_toIvEEiEE10hipError_tPvRmT2_T3_T4_T5_mT6_T7_P12ihipStream_tbENKUlT_T0_E_clISt17integral_constantIbLb0EES10_IbLb1EEEEDaSW_SX_EUlSW_E_NS1_11comp_targetILNS1_3genE5ELNS1_11target_archE942ELNS1_3gpuE9ELNS1_3repE0EEENS1_30default_config_static_selectorELNS0_4arch9wavefront6targetE0EEEvT1_.num_agpr, 0
	.set _ZN7rocprim17ROCPRIM_400000_NS6detail17trampoline_kernelINS0_14default_configENS1_27scan_by_key_config_selectorIiiEEZZNS1_16scan_by_key_implILNS1_25lookback_scan_determinismE0ELb1ES3_N6thrust23THRUST_200600_302600_NS6detail15normal_iteratorINS9_10device_ptrIiEEEENSB_INSC_IjEEEESE_iNS9_4plusIvEENS9_8equal_toIvEEiEE10hipError_tPvRmT2_T3_T4_T5_mT6_T7_P12ihipStream_tbENKUlT_T0_E_clISt17integral_constantIbLb0EES10_IbLb1EEEEDaSW_SX_EUlSW_E_NS1_11comp_targetILNS1_3genE5ELNS1_11target_archE942ELNS1_3gpuE9ELNS1_3repE0EEENS1_30default_config_static_selectorELNS0_4arch9wavefront6targetE0EEEvT1_.numbered_sgpr, 0
	.set _ZN7rocprim17ROCPRIM_400000_NS6detail17trampoline_kernelINS0_14default_configENS1_27scan_by_key_config_selectorIiiEEZZNS1_16scan_by_key_implILNS1_25lookback_scan_determinismE0ELb1ES3_N6thrust23THRUST_200600_302600_NS6detail15normal_iteratorINS9_10device_ptrIiEEEENSB_INSC_IjEEEESE_iNS9_4plusIvEENS9_8equal_toIvEEiEE10hipError_tPvRmT2_T3_T4_T5_mT6_T7_P12ihipStream_tbENKUlT_T0_E_clISt17integral_constantIbLb0EES10_IbLb1EEEEDaSW_SX_EUlSW_E_NS1_11comp_targetILNS1_3genE5ELNS1_11target_archE942ELNS1_3gpuE9ELNS1_3repE0EEENS1_30default_config_static_selectorELNS0_4arch9wavefront6targetE0EEEvT1_.num_named_barrier, 0
	.set _ZN7rocprim17ROCPRIM_400000_NS6detail17trampoline_kernelINS0_14default_configENS1_27scan_by_key_config_selectorIiiEEZZNS1_16scan_by_key_implILNS1_25lookback_scan_determinismE0ELb1ES3_N6thrust23THRUST_200600_302600_NS6detail15normal_iteratorINS9_10device_ptrIiEEEENSB_INSC_IjEEEESE_iNS9_4plusIvEENS9_8equal_toIvEEiEE10hipError_tPvRmT2_T3_T4_T5_mT6_T7_P12ihipStream_tbENKUlT_T0_E_clISt17integral_constantIbLb0EES10_IbLb1EEEEDaSW_SX_EUlSW_E_NS1_11comp_targetILNS1_3genE5ELNS1_11target_archE942ELNS1_3gpuE9ELNS1_3repE0EEENS1_30default_config_static_selectorELNS0_4arch9wavefront6targetE0EEEvT1_.private_seg_size, 0
	.set _ZN7rocprim17ROCPRIM_400000_NS6detail17trampoline_kernelINS0_14default_configENS1_27scan_by_key_config_selectorIiiEEZZNS1_16scan_by_key_implILNS1_25lookback_scan_determinismE0ELb1ES3_N6thrust23THRUST_200600_302600_NS6detail15normal_iteratorINS9_10device_ptrIiEEEENSB_INSC_IjEEEESE_iNS9_4plusIvEENS9_8equal_toIvEEiEE10hipError_tPvRmT2_T3_T4_T5_mT6_T7_P12ihipStream_tbENKUlT_T0_E_clISt17integral_constantIbLb0EES10_IbLb1EEEEDaSW_SX_EUlSW_E_NS1_11comp_targetILNS1_3genE5ELNS1_11target_archE942ELNS1_3gpuE9ELNS1_3repE0EEENS1_30default_config_static_selectorELNS0_4arch9wavefront6targetE0EEEvT1_.uses_vcc, 0
	.set _ZN7rocprim17ROCPRIM_400000_NS6detail17trampoline_kernelINS0_14default_configENS1_27scan_by_key_config_selectorIiiEEZZNS1_16scan_by_key_implILNS1_25lookback_scan_determinismE0ELb1ES3_N6thrust23THRUST_200600_302600_NS6detail15normal_iteratorINS9_10device_ptrIiEEEENSB_INSC_IjEEEESE_iNS9_4plusIvEENS9_8equal_toIvEEiEE10hipError_tPvRmT2_T3_T4_T5_mT6_T7_P12ihipStream_tbENKUlT_T0_E_clISt17integral_constantIbLb0EES10_IbLb1EEEEDaSW_SX_EUlSW_E_NS1_11comp_targetILNS1_3genE5ELNS1_11target_archE942ELNS1_3gpuE9ELNS1_3repE0EEENS1_30default_config_static_selectorELNS0_4arch9wavefront6targetE0EEEvT1_.uses_flat_scratch, 0
	.set _ZN7rocprim17ROCPRIM_400000_NS6detail17trampoline_kernelINS0_14default_configENS1_27scan_by_key_config_selectorIiiEEZZNS1_16scan_by_key_implILNS1_25lookback_scan_determinismE0ELb1ES3_N6thrust23THRUST_200600_302600_NS6detail15normal_iteratorINS9_10device_ptrIiEEEENSB_INSC_IjEEEESE_iNS9_4plusIvEENS9_8equal_toIvEEiEE10hipError_tPvRmT2_T3_T4_T5_mT6_T7_P12ihipStream_tbENKUlT_T0_E_clISt17integral_constantIbLb0EES10_IbLb1EEEEDaSW_SX_EUlSW_E_NS1_11comp_targetILNS1_3genE5ELNS1_11target_archE942ELNS1_3gpuE9ELNS1_3repE0EEENS1_30default_config_static_selectorELNS0_4arch9wavefront6targetE0EEEvT1_.has_dyn_sized_stack, 0
	.set _ZN7rocprim17ROCPRIM_400000_NS6detail17trampoline_kernelINS0_14default_configENS1_27scan_by_key_config_selectorIiiEEZZNS1_16scan_by_key_implILNS1_25lookback_scan_determinismE0ELb1ES3_N6thrust23THRUST_200600_302600_NS6detail15normal_iteratorINS9_10device_ptrIiEEEENSB_INSC_IjEEEESE_iNS9_4plusIvEENS9_8equal_toIvEEiEE10hipError_tPvRmT2_T3_T4_T5_mT6_T7_P12ihipStream_tbENKUlT_T0_E_clISt17integral_constantIbLb0EES10_IbLb1EEEEDaSW_SX_EUlSW_E_NS1_11comp_targetILNS1_3genE5ELNS1_11target_archE942ELNS1_3gpuE9ELNS1_3repE0EEENS1_30default_config_static_selectorELNS0_4arch9wavefront6targetE0EEEvT1_.has_recursion, 0
	.set _ZN7rocprim17ROCPRIM_400000_NS6detail17trampoline_kernelINS0_14default_configENS1_27scan_by_key_config_selectorIiiEEZZNS1_16scan_by_key_implILNS1_25lookback_scan_determinismE0ELb1ES3_N6thrust23THRUST_200600_302600_NS6detail15normal_iteratorINS9_10device_ptrIiEEEENSB_INSC_IjEEEESE_iNS9_4plusIvEENS9_8equal_toIvEEiEE10hipError_tPvRmT2_T3_T4_T5_mT6_T7_P12ihipStream_tbENKUlT_T0_E_clISt17integral_constantIbLb0EES10_IbLb1EEEEDaSW_SX_EUlSW_E_NS1_11comp_targetILNS1_3genE5ELNS1_11target_archE942ELNS1_3gpuE9ELNS1_3repE0EEENS1_30default_config_static_selectorELNS0_4arch9wavefront6targetE0EEEvT1_.has_indirect_call, 0
	.section	.AMDGPU.csdata,"",@progbits
; Kernel info:
; codeLenInByte = 0
; TotalNumSgprs: 0
; NumVgprs: 0
; ScratchSize: 0
; MemoryBound: 0
; FloatMode: 240
; IeeeMode: 1
; LDSByteSize: 0 bytes/workgroup (compile time only)
; SGPRBlocks: 0
; VGPRBlocks: 0
; NumSGPRsForWavesPerEU: 1
; NumVGPRsForWavesPerEU: 1
; NamedBarCnt: 0
; Occupancy: 16
; WaveLimiterHint : 0
; COMPUTE_PGM_RSRC2:SCRATCH_EN: 0
; COMPUTE_PGM_RSRC2:USER_SGPR: 2
; COMPUTE_PGM_RSRC2:TRAP_HANDLER: 0
; COMPUTE_PGM_RSRC2:TGID_X_EN: 1
; COMPUTE_PGM_RSRC2:TGID_Y_EN: 0
; COMPUTE_PGM_RSRC2:TGID_Z_EN: 0
; COMPUTE_PGM_RSRC2:TIDIG_COMP_CNT: 0
	.section	.text._ZN7rocprim17ROCPRIM_400000_NS6detail17trampoline_kernelINS0_14default_configENS1_27scan_by_key_config_selectorIiiEEZZNS1_16scan_by_key_implILNS1_25lookback_scan_determinismE0ELb1ES3_N6thrust23THRUST_200600_302600_NS6detail15normal_iteratorINS9_10device_ptrIiEEEENSB_INSC_IjEEEESE_iNS9_4plusIvEENS9_8equal_toIvEEiEE10hipError_tPvRmT2_T3_T4_T5_mT6_T7_P12ihipStream_tbENKUlT_T0_E_clISt17integral_constantIbLb0EES10_IbLb1EEEEDaSW_SX_EUlSW_E_NS1_11comp_targetILNS1_3genE4ELNS1_11target_archE910ELNS1_3gpuE8ELNS1_3repE0EEENS1_30default_config_static_selectorELNS0_4arch9wavefront6targetE0EEEvT1_,"axG",@progbits,_ZN7rocprim17ROCPRIM_400000_NS6detail17trampoline_kernelINS0_14default_configENS1_27scan_by_key_config_selectorIiiEEZZNS1_16scan_by_key_implILNS1_25lookback_scan_determinismE0ELb1ES3_N6thrust23THRUST_200600_302600_NS6detail15normal_iteratorINS9_10device_ptrIiEEEENSB_INSC_IjEEEESE_iNS9_4plusIvEENS9_8equal_toIvEEiEE10hipError_tPvRmT2_T3_T4_T5_mT6_T7_P12ihipStream_tbENKUlT_T0_E_clISt17integral_constantIbLb0EES10_IbLb1EEEEDaSW_SX_EUlSW_E_NS1_11comp_targetILNS1_3genE4ELNS1_11target_archE910ELNS1_3gpuE8ELNS1_3repE0EEENS1_30default_config_static_selectorELNS0_4arch9wavefront6targetE0EEEvT1_,comdat
	.protected	_ZN7rocprim17ROCPRIM_400000_NS6detail17trampoline_kernelINS0_14default_configENS1_27scan_by_key_config_selectorIiiEEZZNS1_16scan_by_key_implILNS1_25lookback_scan_determinismE0ELb1ES3_N6thrust23THRUST_200600_302600_NS6detail15normal_iteratorINS9_10device_ptrIiEEEENSB_INSC_IjEEEESE_iNS9_4plusIvEENS9_8equal_toIvEEiEE10hipError_tPvRmT2_T3_T4_T5_mT6_T7_P12ihipStream_tbENKUlT_T0_E_clISt17integral_constantIbLb0EES10_IbLb1EEEEDaSW_SX_EUlSW_E_NS1_11comp_targetILNS1_3genE4ELNS1_11target_archE910ELNS1_3gpuE8ELNS1_3repE0EEENS1_30default_config_static_selectorELNS0_4arch9wavefront6targetE0EEEvT1_ ; -- Begin function _ZN7rocprim17ROCPRIM_400000_NS6detail17trampoline_kernelINS0_14default_configENS1_27scan_by_key_config_selectorIiiEEZZNS1_16scan_by_key_implILNS1_25lookback_scan_determinismE0ELb1ES3_N6thrust23THRUST_200600_302600_NS6detail15normal_iteratorINS9_10device_ptrIiEEEENSB_INSC_IjEEEESE_iNS9_4plusIvEENS9_8equal_toIvEEiEE10hipError_tPvRmT2_T3_T4_T5_mT6_T7_P12ihipStream_tbENKUlT_T0_E_clISt17integral_constantIbLb0EES10_IbLb1EEEEDaSW_SX_EUlSW_E_NS1_11comp_targetILNS1_3genE4ELNS1_11target_archE910ELNS1_3gpuE8ELNS1_3repE0EEENS1_30default_config_static_selectorELNS0_4arch9wavefront6targetE0EEEvT1_
	.globl	_ZN7rocprim17ROCPRIM_400000_NS6detail17trampoline_kernelINS0_14default_configENS1_27scan_by_key_config_selectorIiiEEZZNS1_16scan_by_key_implILNS1_25lookback_scan_determinismE0ELb1ES3_N6thrust23THRUST_200600_302600_NS6detail15normal_iteratorINS9_10device_ptrIiEEEENSB_INSC_IjEEEESE_iNS9_4plusIvEENS9_8equal_toIvEEiEE10hipError_tPvRmT2_T3_T4_T5_mT6_T7_P12ihipStream_tbENKUlT_T0_E_clISt17integral_constantIbLb0EES10_IbLb1EEEEDaSW_SX_EUlSW_E_NS1_11comp_targetILNS1_3genE4ELNS1_11target_archE910ELNS1_3gpuE8ELNS1_3repE0EEENS1_30default_config_static_selectorELNS0_4arch9wavefront6targetE0EEEvT1_
	.p2align	8
	.type	_ZN7rocprim17ROCPRIM_400000_NS6detail17trampoline_kernelINS0_14default_configENS1_27scan_by_key_config_selectorIiiEEZZNS1_16scan_by_key_implILNS1_25lookback_scan_determinismE0ELb1ES3_N6thrust23THRUST_200600_302600_NS6detail15normal_iteratorINS9_10device_ptrIiEEEENSB_INSC_IjEEEESE_iNS9_4plusIvEENS9_8equal_toIvEEiEE10hipError_tPvRmT2_T3_T4_T5_mT6_T7_P12ihipStream_tbENKUlT_T0_E_clISt17integral_constantIbLb0EES10_IbLb1EEEEDaSW_SX_EUlSW_E_NS1_11comp_targetILNS1_3genE4ELNS1_11target_archE910ELNS1_3gpuE8ELNS1_3repE0EEENS1_30default_config_static_selectorELNS0_4arch9wavefront6targetE0EEEvT1_,@function
_ZN7rocprim17ROCPRIM_400000_NS6detail17trampoline_kernelINS0_14default_configENS1_27scan_by_key_config_selectorIiiEEZZNS1_16scan_by_key_implILNS1_25lookback_scan_determinismE0ELb1ES3_N6thrust23THRUST_200600_302600_NS6detail15normal_iteratorINS9_10device_ptrIiEEEENSB_INSC_IjEEEESE_iNS9_4plusIvEENS9_8equal_toIvEEiEE10hipError_tPvRmT2_T3_T4_T5_mT6_T7_P12ihipStream_tbENKUlT_T0_E_clISt17integral_constantIbLb0EES10_IbLb1EEEEDaSW_SX_EUlSW_E_NS1_11comp_targetILNS1_3genE4ELNS1_11target_archE910ELNS1_3gpuE8ELNS1_3repE0EEENS1_30default_config_static_selectorELNS0_4arch9wavefront6targetE0EEEvT1_: ; @_ZN7rocprim17ROCPRIM_400000_NS6detail17trampoline_kernelINS0_14default_configENS1_27scan_by_key_config_selectorIiiEEZZNS1_16scan_by_key_implILNS1_25lookback_scan_determinismE0ELb1ES3_N6thrust23THRUST_200600_302600_NS6detail15normal_iteratorINS9_10device_ptrIiEEEENSB_INSC_IjEEEESE_iNS9_4plusIvEENS9_8equal_toIvEEiEE10hipError_tPvRmT2_T3_T4_T5_mT6_T7_P12ihipStream_tbENKUlT_T0_E_clISt17integral_constantIbLb0EES10_IbLb1EEEEDaSW_SX_EUlSW_E_NS1_11comp_targetILNS1_3genE4ELNS1_11target_archE910ELNS1_3gpuE8ELNS1_3repE0EEENS1_30default_config_static_selectorELNS0_4arch9wavefront6targetE0EEEvT1_
; %bb.0:
	.section	.rodata,"a",@progbits
	.p2align	6, 0x0
	.amdhsa_kernel _ZN7rocprim17ROCPRIM_400000_NS6detail17trampoline_kernelINS0_14default_configENS1_27scan_by_key_config_selectorIiiEEZZNS1_16scan_by_key_implILNS1_25lookback_scan_determinismE0ELb1ES3_N6thrust23THRUST_200600_302600_NS6detail15normal_iteratorINS9_10device_ptrIiEEEENSB_INSC_IjEEEESE_iNS9_4plusIvEENS9_8equal_toIvEEiEE10hipError_tPvRmT2_T3_T4_T5_mT6_T7_P12ihipStream_tbENKUlT_T0_E_clISt17integral_constantIbLb0EES10_IbLb1EEEEDaSW_SX_EUlSW_E_NS1_11comp_targetILNS1_3genE4ELNS1_11target_archE910ELNS1_3gpuE8ELNS1_3repE0EEENS1_30default_config_static_selectorELNS0_4arch9wavefront6targetE0EEEvT1_
		.amdhsa_group_segment_fixed_size 0
		.amdhsa_private_segment_fixed_size 0
		.amdhsa_kernarg_size 112
		.amdhsa_user_sgpr_count 2
		.amdhsa_user_sgpr_dispatch_ptr 0
		.amdhsa_user_sgpr_queue_ptr 0
		.amdhsa_user_sgpr_kernarg_segment_ptr 1
		.amdhsa_user_sgpr_dispatch_id 0
		.amdhsa_user_sgpr_kernarg_preload_length 0
		.amdhsa_user_sgpr_kernarg_preload_offset 0
		.amdhsa_user_sgpr_private_segment_size 0
		.amdhsa_wavefront_size32 1
		.amdhsa_uses_dynamic_stack 0
		.amdhsa_enable_private_segment 0
		.amdhsa_system_sgpr_workgroup_id_x 1
		.amdhsa_system_sgpr_workgroup_id_y 0
		.amdhsa_system_sgpr_workgroup_id_z 0
		.amdhsa_system_sgpr_workgroup_info 0
		.amdhsa_system_vgpr_workitem_id 0
		.amdhsa_next_free_vgpr 1
		.amdhsa_next_free_sgpr 1
		.amdhsa_named_barrier_count 0
		.amdhsa_reserve_vcc 0
		.amdhsa_float_round_mode_32 0
		.amdhsa_float_round_mode_16_64 0
		.amdhsa_float_denorm_mode_32 3
		.amdhsa_float_denorm_mode_16_64 3
		.amdhsa_fp16_overflow 0
		.amdhsa_memory_ordered 1
		.amdhsa_forward_progress 1
		.amdhsa_inst_pref_size 0
		.amdhsa_round_robin_scheduling 0
		.amdhsa_exception_fp_ieee_invalid_op 0
		.amdhsa_exception_fp_denorm_src 0
		.amdhsa_exception_fp_ieee_div_zero 0
		.amdhsa_exception_fp_ieee_overflow 0
		.amdhsa_exception_fp_ieee_underflow 0
		.amdhsa_exception_fp_ieee_inexact 0
		.amdhsa_exception_int_div_zero 0
	.end_amdhsa_kernel
	.section	.text._ZN7rocprim17ROCPRIM_400000_NS6detail17trampoline_kernelINS0_14default_configENS1_27scan_by_key_config_selectorIiiEEZZNS1_16scan_by_key_implILNS1_25lookback_scan_determinismE0ELb1ES3_N6thrust23THRUST_200600_302600_NS6detail15normal_iteratorINS9_10device_ptrIiEEEENSB_INSC_IjEEEESE_iNS9_4plusIvEENS9_8equal_toIvEEiEE10hipError_tPvRmT2_T3_T4_T5_mT6_T7_P12ihipStream_tbENKUlT_T0_E_clISt17integral_constantIbLb0EES10_IbLb1EEEEDaSW_SX_EUlSW_E_NS1_11comp_targetILNS1_3genE4ELNS1_11target_archE910ELNS1_3gpuE8ELNS1_3repE0EEENS1_30default_config_static_selectorELNS0_4arch9wavefront6targetE0EEEvT1_,"axG",@progbits,_ZN7rocprim17ROCPRIM_400000_NS6detail17trampoline_kernelINS0_14default_configENS1_27scan_by_key_config_selectorIiiEEZZNS1_16scan_by_key_implILNS1_25lookback_scan_determinismE0ELb1ES3_N6thrust23THRUST_200600_302600_NS6detail15normal_iteratorINS9_10device_ptrIiEEEENSB_INSC_IjEEEESE_iNS9_4plusIvEENS9_8equal_toIvEEiEE10hipError_tPvRmT2_T3_T4_T5_mT6_T7_P12ihipStream_tbENKUlT_T0_E_clISt17integral_constantIbLb0EES10_IbLb1EEEEDaSW_SX_EUlSW_E_NS1_11comp_targetILNS1_3genE4ELNS1_11target_archE910ELNS1_3gpuE8ELNS1_3repE0EEENS1_30default_config_static_selectorELNS0_4arch9wavefront6targetE0EEEvT1_,comdat
.Lfunc_end1782:
	.size	_ZN7rocprim17ROCPRIM_400000_NS6detail17trampoline_kernelINS0_14default_configENS1_27scan_by_key_config_selectorIiiEEZZNS1_16scan_by_key_implILNS1_25lookback_scan_determinismE0ELb1ES3_N6thrust23THRUST_200600_302600_NS6detail15normal_iteratorINS9_10device_ptrIiEEEENSB_INSC_IjEEEESE_iNS9_4plusIvEENS9_8equal_toIvEEiEE10hipError_tPvRmT2_T3_T4_T5_mT6_T7_P12ihipStream_tbENKUlT_T0_E_clISt17integral_constantIbLb0EES10_IbLb1EEEEDaSW_SX_EUlSW_E_NS1_11comp_targetILNS1_3genE4ELNS1_11target_archE910ELNS1_3gpuE8ELNS1_3repE0EEENS1_30default_config_static_selectorELNS0_4arch9wavefront6targetE0EEEvT1_, .Lfunc_end1782-_ZN7rocprim17ROCPRIM_400000_NS6detail17trampoline_kernelINS0_14default_configENS1_27scan_by_key_config_selectorIiiEEZZNS1_16scan_by_key_implILNS1_25lookback_scan_determinismE0ELb1ES3_N6thrust23THRUST_200600_302600_NS6detail15normal_iteratorINS9_10device_ptrIiEEEENSB_INSC_IjEEEESE_iNS9_4plusIvEENS9_8equal_toIvEEiEE10hipError_tPvRmT2_T3_T4_T5_mT6_T7_P12ihipStream_tbENKUlT_T0_E_clISt17integral_constantIbLb0EES10_IbLb1EEEEDaSW_SX_EUlSW_E_NS1_11comp_targetILNS1_3genE4ELNS1_11target_archE910ELNS1_3gpuE8ELNS1_3repE0EEENS1_30default_config_static_selectorELNS0_4arch9wavefront6targetE0EEEvT1_
                                        ; -- End function
	.set _ZN7rocprim17ROCPRIM_400000_NS6detail17trampoline_kernelINS0_14default_configENS1_27scan_by_key_config_selectorIiiEEZZNS1_16scan_by_key_implILNS1_25lookback_scan_determinismE0ELb1ES3_N6thrust23THRUST_200600_302600_NS6detail15normal_iteratorINS9_10device_ptrIiEEEENSB_INSC_IjEEEESE_iNS9_4plusIvEENS9_8equal_toIvEEiEE10hipError_tPvRmT2_T3_T4_T5_mT6_T7_P12ihipStream_tbENKUlT_T0_E_clISt17integral_constantIbLb0EES10_IbLb1EEEEDaSW_SX_EUlSW_E_NS1_11comp_targetILNS1_3genE4ELNS1_11target_archE910ELNS1_3gpuE8ELNS1_3repE0EEENS1_30default_config_static_selectorELNS0_4arch9wavefront6targetE0EEEvT1_.num_vgpr, 0
	.set _ZN7rocprim17ROCPRIM_400000_NS6detail17trampoline_kernelINS0_14default_configENS1_27scan_by_key_config_selectorIiiEEZZNS1_16scan_by_key_implILNS1_25lookback_scan_determinismE0ELb1ES3_N6thrust23THRUST_200600_302600_NS6detail15normal_iteratorINS9_10device_ptrIiEEEENSB_INSC_IjEEEESE_iNS9_4plusIvEENS9_8equal_toIvEEiEE10hipError_tPvRmT2_T3_T4_T5_mT6_T7_P12ihipStream_tbENKUlT_T0_E_clISt17integral_constantIbLb0EES10_IbLb1EEEEDaSW_SX_EUlSW_E_NS1_11comp_targetILNS1_3genE4ELNS1_11target_archE910ELNS1_3gpuE8ELNS1_3repE0EEENS1_30default_config_static_selectorELNS0_4arch9wavefront6targetE0EEEvT1_.num_agpr, 0
	.set _ZN7rocprim17ROCPRIM_400000_NS6detail17trampoline_kernelINS0_14default_configENS1_27scan_by_key_config_selectorIiiEEZZNS1_16scan_by_key_implILNS1_25lookback_scan_determinismE0ELb1ES3_N6thrust23THRUST_200600_302600_NS6detail15normal_iteratorINS9_10device_ptrIiEEEENSB_INSC_IjEEEESE_iNS9_4plusIvEENS9_8equal_toIvEEiEE10hipError_tPvRmT2_T3_T4_T5_mT6_T7_P12ihipStream_tbENKUlT_T0_E_clISt17integral_constantIbLb0EES10_IbLb1EEEEDaSW_SX_EUlSW_E_NS1_11comp_targetILNS1_3genE4ELNS1_11target_archE910ELNS1_3gpuE8ELNS1_3repE0EEENS1_30default_config_static_selectorELNS0_4arch9wavefront6targetE0EEEvT1_.numbered_sgpr, 0
	.set _ZN7rocprim17ROCPRIM_400000_NS6detail17trampoline_kernelINS0_14default_configENS1_27scan_by_key_config_selectorIiiEEZZNS1_16scan_by_key_implILNS1_25lookback_scan_determinismE0ELb1ES3_N6thrust23THRUST_200600_302600_NS6detail15normal_iteratorINS9_10device_ptrIiEEEENSB_INSC_IjEEEESE_iNS9_4plusIvEENS9_8equal_toIvEEiEE10hipError_tPvRmT2_T3_T4_T5_mT6_T7_P12ihipStream_tbENKUlT_T0_E_clISt17integral_constantIbLb0EES10_IbLb1EEEEDaSW_SX_EUlSW_E_NS1_11comp_targetILNS1_3genE4ELNS1_11target_archE910ELNS1_3gpuE8ELNS1_3repE0EEENS1_30default_config_static_selectorELNS0_4arch9wavefront6targetE0EEEvT1_.num_named_barrier, 0
	.set _ZN7rocprim17ROCPRIM_400000_NS6detail17trampoline_kernelINS0_14default_configENS1_27scan_by_key_config_selectorIiiEEZZNS1_16scan_by_key_implILNS1_25lookback_scan_determinismE0ELb1ES3_N6thrust23THRUST_200600_302600_NS6detail15normal_iteratorINS9_10device_ptrIiEEEENSB_INSC_IjEEEESE_iNS9_4plusIvEENS9_8equal_toIvEEiEE10hipError_tPvRmT2_T3_T4_T5_mT6_T7_P12ihipStream_tbENKUlT_T0_E_clISt17integral_constantIbLb0EES10_IbLb1EEEEDaSW_SX_EUlSW_E_NS1_11comp_targetILNS1_3genE4ELNS1_11target_archE910ELNS1_3gpuE8ELNS1_3repE0EEENS1_30default_config_static_selectorELNS0_4arch9wavefront6targetE0EEEvT1_.private_seg_size, 0
	.set _ZN7rocprim17ROCPRIM_400000_NS6detail17trampoline_kernelINS0_14default_configENS1_27scan_by_key_config_selectorIiiEEZZNS1_16scan_by_key_implILNS1_25lookback_scan_determinismE0ELb1ES3_N6thrust23THRUST_200600_302600_NS6detail15normal_iteratorINS9_10device_ptrIiEEEENSB_INSC_IjEEEESE_iNS9_4plusIvEENS9_8equal_toIvEEiEE10hipError_tPvRmT2_T3_T4_T5_mT6_T7_P12ihipStream_tbENKUlT_T0_E_clISt17integral_constantIbLb0EES10_IbLb1EEEEDaSW_SX_EUlSW_E_NS1_11comp_targetILNS1_3genE4ELNS1_11target_archE910ELNS1_3gpuE8ELNS1_3repE0EEENS1_30default_config_static_selectorELNS0_4arch9wavefront6targetE0EEEvT1_.uses_vcc, 0
	.set _ZN7rocprim17ROCPRIM_400000_NS6detail17trampoline_kernelINS0_14default_configENS1_27scan_by_key_config_selectorIiiEEZZNS1_16scan_by_key_implILNS1_25lookback_scan_determinismE0ELb1ES3_N6thrust23THRUST_200600_302600_NS6detail15normal_iteratorINS9_10device_ptrIiEEEENSB_INSC_IjEEEESE_iNS9_4plusIvEENS9_8equal_toIvEEiEE10hipError_tPvRmT2_T3_T4_T5_mT6_T7_P12ihipStream_tbENKUlT_T0_E_clISt17integral_constantIbLb0EES10_IbLb1EEEEDaSW_SX_EUlSW_E_NS1_11comp_targetILNS1_3genE4ELNS1_11target_archE910ELNS1_3gpuE8ELNS1_3repE0EEENS1_30default_config_static_selectorELNS0_4arch9wavefront6targetE0EEEvT1_.uses_flat_scratch, 0
	.set _ZN7rocprim17ROCPRIM_400000_NS6detail17trampoline_kernelINS0_14default_configENS1_27scan_by_key_config_selectorIiiEEZZNS1_16scan_by_key_implILNS1_25lookback_scan_determinismE0ELb1ES3_N6thrust23THRUST_200600_302600_NS6detail15normal_iteratorINS9_10device_ptrIiEEEENSB_INSC_IjEEEESE_iNS9_4plusIvEENS9_8equal_toIvEEiEE10hipError_tPvRmT2_T3_T4_T5_mT6_T7_P12ihipStream_tbENKUlT_T0_E_clISt17integral_constantIbLb0EES10_IbLb1EEEEDaSW_SX_EUlSW_E_NS1_11comp_targetILNS1_3genE4ELNS1_11target_archE910ELNS1_3gpuE8ELNS1_3repE0EEENS1_30default_config_static_selectorELNS0_4arch9wavefront6targetE0EEEvT1_.has_dyn_sized_stack, 0
	.set _ZN7rocprim17ROCPRIM_400000_NS6detail17trampoline_kernelINS0_14default_configENS1_27scan_by_key_config_selectorIiiEEZZNS1_16scan_by_key_implILNS1_25lookback_scan_determinismE0ELb1ES3_N6thrust23THRUST_200600_302600_NS6detail15normal_iteratorINS9_10device_ptrIiEEEENSB_INSC_IjEEEESE_iNS9_4plusIvEENS9_8equal_toIvEEiEE10hipError_tPvRmT2_T3_T4_T5_mT6_T7_P12ihipStream_tbENKUlT_T0_E_clISt17integral_constantIbLb0EES10_IbLb1EEEEDaSW_SX_EUlSW_E_NS1_11comp_targetILNS1_3genE4ELNS1_11target_archE910ELNS1_3gpuE8ELNS1_3repE0EEENS1_30default_config_static_selectorELNS0_4arch9wavefront6targetE0EEEvT1_.has_recursion, 0
	.set _ZN7rocprim17ROCPRIM_400000_NS6detail17trampoline_kernelINS0_14default_configENS1_27scan_by_key_config_selectorIiiEEZZNS1_16scan_by_key_implILNS1_25lookback_scan_determinismE0ELb1ES3_N6thrust23THRUST_200600_302600_NS6detail15normal_iteratorINS9_10device_ptrIiEEEENSB_INSC_IjEEEESE_iNS9_4plusIvEENS9_8equal_toIvEEiEE10hipError_tPvRmT2_T3_T4_T5_mT6_T7_P12ihipStream_tbENKUlT_T0_E_clISt17integral_constantIbLb0EES10_IbLb1EEEEDaSW_SX_EUlSW_E_NS1_11comp_targetILNS1_3genE4ELNS1_11target_archE910ELNS1_3gpuE8ELNS1_3repE0EEENS1_30default_config_static_selectorELNS0_4arch9wavefront6targetE0EEEvT1_.has_indirect_call, 0
	.section	.AMDGPU.csdata,"",@progbits
; Kernel info:
; codeLenInByte = 0
; TotalNumSgprs: 0
; NumVgprs: 0
; ScratchSize: 0
; MemoryBound: 0
; FloatMode: 240
; IeeeMode: 1
; LDSByteSize: 0 bytes/workgroup (compile time only)
; SGPRBlocks: 0
; VGPRBlocks: 0
; NumSGPRsForWavesPerEU: 1
; NumVGPRsForWavesPerEU: 1
; NamedBarCnt: 0
; Occupancy: 16
; WaveLimiterHint : 0
; COMPUTE_PGM_RSRC2:SCRATCH_EN: 0
; COMPUTE_PGM_RSRC2:USER_SGPR: 2
; COMPUTE_PGM_RSRC2:TRAP_HANDLER: 0
; COMPUTE_PGM_RSRC2:TGID_X_EN: 1
; COMPUTE_PGM_RSRC2:TGID_Y_EN: 0
; COMPUTE_PGM_RSRC2:TGID_Z_EN: 0
; COMPUTE_PGM_RSRC2:TIDIG_COMP_CNT: 0
	.section	.text._ZN7rocprim17ROCPRIM_400000_NS6detail17trampoline_kernelINS0_14default_configENS1_27scan_by_key_config_selectorIiiEEZZNS1_16scan_by_key_implILNS1_25lookback_scan_determinismE0ELb1ES3_N6thrust23THRUST_200600_302600_NS6detail15normal_iteratorINS9_10device_ptrIiEEEENSB_INSC_IjEEEESE_iNS9_4plusIvEENS9_8equal_toIvEEiEE10hipError_tPvRmT2_T3_T4_T5_mT6_T7_P12ihipStream_tbENKUlT_T0_E_clISt17integral_constantIbLb0EES10_IbLb1EEEEDaSW_SX_EUlSW_E_NS1_11comp_targetILNS1_3genE3ELNS1_11target_archE908ELNS1_3gpuE7ELNS1_3repE0EEENS1_30default_config_static_selectorELNS0_4arch9wavefront6targetE0EEEvT1_,"axG",@progbits,_ZN7rocprim17ROCPRIM_400000_NS6detail17trampoline_kernelINS0_14default_configENS1_27scan_by_key_config_selectorIiiEEZZNS1_16scan_by_key_implILNS1_25lookback_scan_determinismE0ELb1ES3_N6thrust23THRUST_200600_302600_NS6detail15normal_iteratorINS9_10device_ptrIiEEEENSB_INSC_IjEEEESE_iNS9_4plusIvEENS9_8equal_toIvEEiEE10hipError_tPvRmT2_T3_T4_T5_mT6_T7_P12ihipStream_tbENKUlT_T0_E_clISt17integral_constantIbLb0EES10_IbLb1EEEEDaSW_SX_EUlSW_E_NS1_11comp_targetILNS1_3genE3ELNS1_11target_archE908ELNS1_3gpuE7ELNS1_3repE0EEENS1_30default_config_static_selectorELNS0_4arch9wavefront6targetE0EEEvT1_,comdat
	.protected	_ZN7rocprim17ROCPRIM_400000_NS6detail17trampoline_kernelINS0_14default_configENS1_27scan_by_key_config_selectorIiiEEZZNS1_16scan_by_key_implILNS1_25lookback_scan_determinismE0ELb1ES3_N6thrust23THRUST_200600_302600_NS6detail15normal_iteratorINS9_10device_ptrIiEEEENSB_INSC_IjEEEESE_iNS9_4plusIvEENS9_8equal_toIvEEiEE10hipError_tPvRmT2_T3_T4_T5_mT6_T7_P12ihipStream_tbENKUlT_T0_E_clISt17integral_constantIbLb0EES10_IbLb1EEEEDaSW_SX_EUlSW_E_NS1_11comp_targetILNS1_3genE3ELNS1_11target_archE908ELNS1_3gpuE7ELNS1_3repE0EEENS1_30default_config_static_selectorELNS0_4arch9wavefront6targetE0EEEvT1_ ; -- Begin function _ZN7rocprim17ROCPRIM_400000_NS6detail17trampoline_kernelINS0_14default_configENS1_27scan_by_key_config_selectorIiiEEZZNS1_16scan_by_key_implILNS1_25lookback_scan_determinismE0ELb1ES3_N6thrust23THRUST_200600_302600_NS6detail15normal_iteratorINS9_10device_ptrIiEEEENSB_INSC_IjEEEESE_iNS9_4plusIvEENS9_8equal_toIvEEiEE10hipError_tPvRmT2_T3_T4_T5_mT6_T7_P12ihipStream_tbENKUlT_T0_E_clISt17integral_constantIbLb0EES10_IbLb1EEEEDaSW_SX_EUlSW_E_NS1_11comp_targetILNS1_3genE3ELNS1_11target_archE908ELNS1_3gpuE7ELNS1_3repE0EEENS1_30default_config_static_selectorELNS0_4arch9wavefront6targetE0EEEvT1_
	.globl	_ZN7rocprim17ROCPRIM_400000_NS6detail17trampoline_kernelINS0_14default_configENS1_27scan_by_key_config_selectorIiiEEZZNS1_16scan_by_key_implILNS1_25lookback_scan_determinismE0ELb1ES3_N6thrust23THRUST_200600_302600_NS6detail15normal_iteratorINS9_10device_ptrIiEEEENSB_INSC_IjEEEESE_iNS9_4plusIvEENS9_8equal_toIvEEiEE10hipError_tPvRmT2_T3_T4_T5_mT6_T7_P12ihipStream_tbENKUlT_T0_E_clISt17integral_constantIbLb0EES10_IbLb1EEEEDaSW_SX_EUlSW_E_NS1_11comp_targetILNS1_3genE3ELNS1_11target_archE908ELNS1_3gpuE7ELNS1_3repE0EEENS1_30default_config_static_selectorELNS0_4arch9wavefront6targetE0EEEvT1_
	.p2align	8
	.type	_ZN7rocprim17ROCPRIM_400000_NS6detail17trampoline_kernelINS0_14default_configENS1_27scan_by_key_config_selectorIiiEEZZNS1_16scan_by_key_implILNS1_25lookback_scan_determinismE0ELb1ES3_N6thrust23THRUST_200600_302600_NS6detail15normal_iteratorINS9_10device_ptrIiEEEENSB_INSC_IjEEEESE_iNS9_4plusIvEENS9_8equal_toIvEEiEE10hipError_tPvRmT2_T3_T4_T5_mT6_T7_P12ihipStream_tbENKUlT_T0_E_clISt17integral_constantIbLb0EES10_IbLb1EEEEDaSW_SX_EUlSW_E_NS1_11comp_targetILNS1_3genE3ELNS1_11target_archE908ELNS1_3gpuE7ELNS1_3repE0EEENS1_30default_config_static_selectorELNS0_4arch9wavefront6targetE0EEEvT1_,@function
_ZN7rocprim17ROCPRIM_400000_NS6detail17trampoline_kernelINS0_14default_configENS1_27scan_by_key_config_selectorIiiEEZZNS1_16scan_by_key_implILNS1_25lookback_scan_determinismE0ELb1ES3_N6thrust23THRUST_200600_302600_NS6detail15normal_iteratorINS9_10device_ptrIiEEEENSB_INSC_IjEEEESE_iNS9_4plusIvEENS9_8equal_toIvEEiEE10hipError_tPvRmT2_T3_T4_T5_mT6_T7_P12ihipStream_tbENKUlT_T0_E_clISt17integral_constantIbLb0EES10_IbLb1EEEEDaSW_SX_EUlSW_E_NS1_11comp_targetILNS1_3genE3ELNS1_11target_archE908ELNS1_3gpuE7ELNS1_3repE0EEENS1_30default_config_static_selectorELNS0_4arch9wavefront6targetE0EEEvT1_: ; @_ZN7rocprim17ROCPRIM_400000_NS6detail17trampoline_kernelINS0_14default_configENS1_27scan_by_key_config_selectorIiiEEZZNS1_16scan_by_key_implILNS1_25lookback_scan_determinismE0ELb1ES3_N6thrust23THRUST_200600_302600_NS6detail15normal_iteratorINS9_10device_ptrIiEEEENSB_INSC_IjEEEESE_iNS9_4plusIvEENS9_8equal_toIvEEiEE10hipError_tPvRmT2_T3_T4_T5_mT6_T7_P12ihipStream_tbENKUlT_T0_E_clISt17integral_constantIbLb0EES10_IbLb1EEEEDaSW_SX_EUlSW_E_NS1_11comp_targetILNS1_3genE3ELNS1_11target_archE908ELNS1_3gpuE7ELNS1_3repE0EEENS1_30default_config_static_selectorELNS0_4arch9wavefront6targetE0EEEvT1_
; %bb.0:
	.section	.rodata,"a",@progbits
	.p2align	6, 0x0
	.amdhsa_kernel _ZN7rocprim17ROCPRIM_400000_NS6detail17trampoline_kernelINS0_14default_configENS1_27scan_by_key_config_selectorIiiEEZZNS1_16scan_by_key_implILNS1_25lookback_scan_determinismE0ELb1ES3_N6thrust23THRUST_200600_302600_NS6detail15normal_iteratorINS9_10device_ptrIiEEEENSB_INSC_IjEEEESE_iNS9_4plusIvEENS9_8equal_toIvEEiEE10hipError_tPvRmT2_T3_T4_T5_mT6_T7_P12ihipStream_tbENKUlT_T0_E_clISt17integral_constantIbLb0EES10_IbLb1EEEEDaSW_SX_EUlSW_E_NS1_11comp_targetILNS1_3genE3ELNS1_11target_archE908ELNS1_3gpuE7ELNS1_3repE0EEENS1_30default_config_static_selectorELNS0_4arch9wavefront6targetE0EEEvT1_
		.amdhsa_group_segment_fixed_size 0
		.amdhsa_private_segment_fixed_size 0
		.amdhsa_kernarg_size 112
		.amdhsa_user_sgpr_count 2
		.amdhsa_user_sgpr_dispatch_ptr 0
		.amdhsa_user_sgpr_queue_ptr 0
		.amdhsa_user_sgpr_kernarg_segment_ptr 1
		.amdhsa_user_sgpr_dispatch_id 0
		.amdhsa_user_sgpr_kernarg_preload_length 0
		.amdhsa_user_sgpr_kernarg_preload_offset 0
		.amdhsa_user_sgpr_private_segment_size 0
		.amdhsa_wavefront_size32 1
		.amdhsa_uses_dynamic_stack 0
		.amdhsa_enable_private_segment 0
		.amdhsa_system_sgpr_workgroup_id_x 1
		.amdhsa_system_sgpr_workgroup_id_y 0
		.amdhsa_system_sgpr_workgroup_id_z 0
		.amdhsa_system_sgpr_workgroup_info 0
		.amdhsa_system_vgpr_workitem_id 0
		.amdhsa_next_free_vgpr 1
		.amdhsa_next_free_sgpr 1
		.amdhsa_named_barrier_count 0
		.amdhsa_reserve_vcc 0
		.amdhsa_float_round_mode_32 0
		.amdhsa_float_round_mode_16_64 0
		.amdhsa_float_denorm_mode_32 3
		.amdhsa_float_denorm_mode_16_64 3
		.amdhsa_fp16_overflow 0
		.amdhsa_memory_ordered 1
		.amdhsa_forward_progress 1
		.amdhsa_inst_pref_size 0
		.amdhsa_round_robin_scheduling 0
		.amdhsa_exception_fp_ieee_invalid_op 0
		.amdhsa_exception_fp_denorm_src 0
		.amdhsa_exception_fp_ieee_div_zero 0
		.amdhsa_exception_fp_ieee_overflow 0
		.amdhsa_exception_fp_ieee_underflow 0
		.amdhsa_exception_fp_ieee_inexact 0
		.amdhsa_exception_int_div_zero 0
	.end_amdhsa_kernel
	.section	.text._ZN7rocprim17ROCPRIM_400000_NS6detail17trampoline_kernelINS0_14default_configENS1_27scan_by_key_config_selectorIiiEEZZNS1_16scan_by_key_implILNS1_25lookback_scan_determinismE0ELb1ES3_N6thrust23THRUST_200600_302600_NS6detail15normal_iteratorINS9_10device_ptrIiEEEENSB_INSC_IjEEEESE_iNS9_4plusIvEENS9_8equal_toIvEEiEE10hipError_tPvRmT2_T3_T4_T5_mT6_T7_P12ihipStream_tbENKUlT_T0_E_clISt17integral_constantIbLb0EES10_IbLb1EEEEDaSW_SX_EUlSW_E_NS1_11comp_targetILNS1_3genE3ELNS1_11target_archE908ELNS1_3gpuE7ELNS1_3repE0EEENS1_30default_config_static_selectorELNS0_4arch9wavefront6targetE0EEEvT1_,"axG",@progbits,_ZN7rocprim17ROCPRIM_400000_NS6detail17trampoline_kernelINS0_14default_configENS1_27scan_by_key_config_selectorIiiEEZZNS1_16scan_by_key_implILNS1_25lookback_scan_determinismE0ELb1ES3_N6thrust23THRUST_200600_302600_NS6detail15normal_iteratorINS9_10device_ptrIiEEEENSB_INSC_IjEEEESE_iNS9_4plusIvEENS9_8equal_toIvEEiEE10hipError_tPvRmT2_T3_T4_T5_mT6_T7_P12ihipStream_tbENKUlT_T0_E_clISt17integral_constantIbLb0EES10_IbLb1EEEEDaSW_SX_EUlSW_E_NS1_11comp_targetILNS1_3genE3ELNS1_11target_archE908ELNS1_3gpuE7ELNS1_3repE0EEENS1_30default_config_static_selectorELNS0_4arch9wavefront6targetE0EEEvT1_,comdat
.Lfunc_end1783:
	.size	_ZN7rocprim17ROCPRIM_400000_NS6detail17trampoline_kernelINS0_14default_configENS1_27scan_by_key_config_selectorIiiEEZZNS1_16scan_by_key_implILNS1_25lookback_scan_determinismE0ELb1ES3_N6thrust23THRUST_200600_302600_NS6detail15normal_iteratorINS9_10device_ptrIiEEEENSB_INSC_IjEEEESE_iNS9_4plusIvEENS9_8equal_toIvEEiEE10hipError_tPvRmT2_T3_T4_T5_mT6_T7_P12ihipStream_tbENKUlT_T0_E_clISt17integral_constantIbLb0EES10_IbLb1EEEEDaSW_SX_EUlSW_E_NS1_11comp_targetILNS1_3genE3ELNS1_11target_archE908ELNS1_3gpuE7ELNS1_3repE0EEENS1_30default_config_static_selectorELNS0_4arch9wavefront6targetE0EEEvT1_, .Lfunc_end1783-_ZN7rocprim17ROCPRIM_400000_NS6detail17trampoline_kernelINS0_14default_configENS1_27scan_by_key_config_selectorIiiEEZZNS1_16scan_by_key_implILNS1_25lookback_scan_determinismE0ELb1ES3_N6thrust23THRUST_200600_302600_NS6detail15normal_iteratorINS9_10device_ptrIiEEEENSB_INSC_IjEEEESE_iNS9_4plusIvEENS9_8equal_toIvEEiEE10hipError_tPvRmT2_T3_T4_T5_mT6_T7_P12ihipStream_tbENKUlT_T0_E_clISt17integral_constantIbLb0EES10_IbLb1EEEEDaSW_SX_EUlSW_E_NS1_11comp_targetILNS1_3genE3ELNS1_11target_archE908ELNS1_3gpuE7ELNS1_3repE0EEENS1_30default_config_static_selectorELNS0_4arch9wavefront6targetE0EEEvT1_
                                        ; -- End function
	.set _ZN7rocprim17ROCPRIM_400000_NS6detail17trampoline_kernelINS0_14default_configENS1_27scan_by_key_config_selectorIiiEEZZNS1_16scan_by_key_implILNS1_25lookback_scan_determinismE0ELb1ES3_N6thrust23THRUST_200600_302600_NS6detail15normal_iteratorINS9_10device_ptrIiEEEENSB_INSC_IjEEEESE_iNS9_4plusIvEENS9_8equal_toIvEEiEE10hipError_tPvRmT2_T3_T4_T5_mT6_T7_P12ihipStream_tbENKUlT_T0_E_clISt17integral_constantIbLb0EES10_IbLb1EEEEDaSW_SX_EUlSW_E_NS1_11comp_targetILNS1_3genE3ELNS1_11target_archE908ELNS1_3gpuE7ELNS1_3repE0EEENS1_30default_config_static_selectorELNS0_4arch9wavefront6targetE0EEEvT1_.num_vgpr, 0
	.set _ZN7rocprim17ROCPRIM_400000_NS6detail17trampoline_kernelINS0_14default_configENS1_27scan_by_key_config_selectorIiiEEZZNS1_16scan_by_key_implILNS1_25lookback_scan_determinismE0ELb1ES3_N6thrust23THRUST_200600_302600_NS6detail15normal_iteratorINS9_10device_ptrIiEEEENSB_INSC_IjEEEESE_iNS9_4plusIvEENS9_8equal_toIvEEiEE10hipError_tPvRmT2_T3_T4_T5_mT6_T7_P12ihipStream_tbENKUlT_T0_E_clISt17integral_constantIbLb0EES10_IbLb1EEEEDaSW_SX_EUlSW_E_NS1_11comp_targetILNS1_3genE3ELNS1_11target_archE908ELNS1_3gpuE7ELNS1_3repE0EEENS1_30default_config_static_selectorELNS0_4arch9wavefront6targetE0EEEvT1_.num_agpr, 0
	.set _ZN7rocprim17ROCPRIM_400000_NS6detail17trampoline_kernelINS0_14default_configENS1_27scan_by_key_config_selectorIiiEEZZNS1_16scan_by_key_implILNS1_25lookback_scan_determinismE0ELb1ES3_N6thrust23THRUST_200600_302600_NS6detail15normal_iteratorINS9_10device_ptrIiEEEENSB_INSC_IjEEEESE_iNS9_4plusIvEENS9_8equal_toIvEEiEE10hipError_tPvRmT2_T3_T4_T5_mT6_T7_P12ihipStream_tbENKUlT_T0_E_clISt17integral_constantIbLb0EES10_IbLb1EEEEDaSW_SX_EUlSW_E_NS1_11comp_targetILNS1_3genE3ELNS1_11target_archE908ELNS1_3gpuE7ELNS1_3repE0EEENS1_30default_config_static_selectorELNS0_4arch9wavefront6targetE0EEEvT1_.numbered_sgpr, 0
	.set _ZN7rocprim17ROCPRIM_400000_NS6detail17trampoline_kernelINS0_14default_configENS1_27scan_by_key_config_selectorIiiEEZZNS1_16scan_by_key_implILNS1_25lookback_scan_determinismE0ELb1ES3_N6thrust23THRUST_200600_302600_NS6detail15normal_iteratorINS9_10device_ptrIiEEEENSB_INSC_IjEEEESE_iNS9_4plusIvEENS9_8equal_toIvEEiEE10hipError_tPvRmT2_T3_T4_T5_mT6_T7_P12ihipStream_tbENKUlT_T0_E_clISt17integral_constantIbLb0EES10_IbLb1EEEEDaSW_SX_EUlSW_E_NS1_11comp_targetILNS1_3genE3ELNS1_11target_archE908ELNS1_3gpuE7ELNS1_3repE0EEENS1_30default_config_static_selectorELNS0_4arch9wavefront6targetE0EEEvT1_.num_named_barrier, 0
	.set _ZN7rocprim17ROCPRIM_400000_NS6detail17trampoline_kernelINS0_14default_configENS1_27scan_by_key_config_selectorIiiEEZZNS1_16scan_by_key_implILNS1_25lookback_scan_determinismE0ELb1ES3_N6thrust23THRUST_200600_302600_NS6detail15normal_iteratorINS9_10device_ptrIiEEEENSB_INSC_IjEEEESE_iNS9_4plusIvEENS9_8equal_toIvEEiEE10hipError_tPvRmT2_T3_T4_T5_mT6_T7_P12ihipStream_tbENKUlT_T0_E_clISt17integral_constantIbLb0EES10_IbLb1EEEEDaSW_SX_EUlSW_E_NS1_11comp_targetILNS1_3genE3ELNS1_11target_archE908ELNS1_3gpuE7ELNS1_3repE0EEENS1_30default_config_static_selectorELNS0_4arch9wavefront6targetE0EEEvT1_.private_seg_size, 0
	.set _ZN7rocprim17ROCPRIM_400000_NS6detail17trampoline_kernelINS0_14default_configENS1_27scan_by_key_config_selectorIiiEEZZNS1_16scan_by_key_implILNS1_25lookback_scan_determinismE0ELb1ES3_N6thrust23THRUST_200600_302600_NS6detail15normal_iteratorINS9_10device_ptrIiEEEENSB_INSC_IjEEEESE_iNS9_4plusIvEENS9_8equal_toIvEEiEE10hipError_tPvRmT2_T3_T4_T5_mT6_T7_P12ihipStream_tbENKUlT_T0_E_clISt17integral_constantIbLb0EES10_IbLb1EEEEDaSW_SX_EUlSW_E_NS1_11comp_targetILNS1_3genE3ELNS1_11target_archE908ELNS1_3gpuE7ELNS1_3repE0EEENS1_30default_config_static_selectorELNS0_4arch9wavefront6targetE0EEEvT1_.uses_vcc, 0
	.set _ZN7rocprim17ROCPRIM_400000_NS6detail17trampoline_kernelINS0_14default_configENS1_27scan_by_key_config_selectorIiiEEZZNS1_16scan_by_key_implILNS1_25lookback_scan_determinismE0ELb1ES3_N6thrust23THRUST_200600_302600_NS6detail15normal_iteratorINS9_10device_ptrIiEEEENSB_INSC_IjEEEESE_iNS9_4plusIvEENS9_8equal_toIvEEiEE10hipError_tPvRmT2_T3_T4_T5_mT6_T7_P12ihipStream_tbENKUlT_T0_E_clISt17integral_constantIbLb0EES10_IbLb1EEEEDaSW_SX_EUlSW_E_NS1_11comp_targetILNS1_3genE3ELNS1_11target_archE908ELNS1_3gpuE7ELNS1_3repE0EEENS1_30default_config_static_selectorELNS0_4arch9wavefront6targetE0EEEvT1_.uses_flat_scratch, 0
	.set _ZN7rocprim17ROCPRIM_400000_NS6detail17trampoline_kernelINS0_14default_configENS1_27scan_by_key_config_selectorIiiEEZZNS1_16scan_by_key_implILNS1_25lookback_scan_determinismE0ELb1ES3_N6thrust23THRUST_200600_302600_NS6detail15normal_iteratorINS9_10device_ptrIiEEEENSB_INSC_IjEEEESE_iNS9_4plusIvEENS9_8equal_toIvEEiEE10hipError_tPvRmT2_T3_T4_T5_mT6_T7_P12ihipStream_tbENKUlT_T0_E_clISt17integral_constantIbLb0EES10_IbLb1EEEEDaSW_SX_EUlSW_E_NS1_11comp_targetILNS1_3genE3ELNS1_11target_archE908ELNS1_3gpuE7ELNS1_3repE0EEENS1_30default_config_static_selectorELNS0_4arch9wavefront6targetE0EEEvT1_.has_dyn_sized_stack, 0
	.set _ZN7rocprim17ROCPRIM_400000_NS6detail17trampoline_kernelINS0_14default_configENS1_27scan_by_key_config_selectorIiiEEZZNS1_16scan_by_key_implILNS1_25lookback_scan_determinismE0ELb1ES3_N6thrust23THRUST_200600_302600_NS6detail15normal_iteratorINS9_10device_ptrIiEEEENSB_INSC_IjEEEESE_iNS9_4plusIvEENS9_8equal_toIvEEiEE10hipError_tPvRmT2_T3_T4_T5_mT6_T7_P12ihipStream_tbENKUlT_T0_E_clISt17integral_constantIbLb0EES10_IbLb1EEEEDaSW_SX_EUlSW_E_NS1_11comp_targetILNS1_3genE3ELNS1_11target_archE908ELNS1_3gpuE7ELNS1_3repE0EEENS1_30default_config_static_selectorELNS0_4arch9wavefront6targetE0EEEvT1_.has_recursion, 0
	.set _ZN7rocprim17ROCPRIM_400000_NS6detail17trampoline_kernelINS0_14default_configENS1_27scan_by_key_config_selectorIiiEEZZNS1_16scan_by_key_implILNS1_25lookback_scan_determinismE0ELb1ES3_N6thrust23THRUST_200600_302600_NS6detail15normal_iteratorINS9_10device_ptrIiEEEENSB_INSC_IjEEEESE_iNS9_4plusIvEENS9_8equal_toIvEEiEE10hipError_tPvRmT2_T3_T4_T5_mT6_T7_P12ihipStream_tbENKUlT_T0_E_clISt17integral_constantIbLb0EES10_IbLb1EEEEDaSW_SX_EUlSW_E_NS1_11comp_targetILNS1_3genE3ELNS1_11target_archE908ELNS1_3gpuE7ELNS1_3repE0EEENS1_30default_config_static_selectorELNS0_4arch9wavefront6targetE0EEEvT1_.has_indirect_call, 0
	.section	.AMDGPU.csdata,"",@progbits
; Kernel info:
; codeLenInByte = 0
; TotalNumSgprs: 0
; NumVgprs: 0
; ScratchSize: 0
; MemoryBound: 0
; FloatMode: 240
; IeeeMode: 1
; LDSByteSize: 0 bytes/workgroup (compile time only)
; SGPRBlocks: 0
; VGPRBlocks: 0
; NumSGPRsForWavesPerEU: 1
; NumVGPRsForWavesPerEU: 1
; NamedBarCnt: 0
; Occupancy: 16
; WaveLimiterHint : 0
; COMPUTE_PGM_RSRC2:SCRATCH_EN: 0
; COMPUTE_PGM_RSRC2:USER_SGPR: 2
; COMPUTE_PGM_RSRC2:TRAP_HANDLER: 0
; COMPUTE_PGM_RSRC2:TGID_X_EN: 1
; COMPUTE_PGM_RSRC2:TGID_Y_EN: 0
; COMPUTE_PGM_RSRC2:TGID_Z_EN: 0
; COMPUTE_PGM_RSRC2:TIDIG_COMP_CNT: 0
	.section	.text._ZN7rocprim17ROCPRIM_400000_NS6detail17trampoline_kernelINS0_14default_configENS1_27scan_by_key_config_selectorIiiEEZZNS1_16scan_by_key_implILNS1_25lookback_scan_determinismE0ELb1ES3_N6thrust23THRUST_200600_302600_NS6detail15normal_iteratorINS9_10device_ptrIiEEEENSB_INSC_IjEEEESE_iNS9_4plusIvEENS9_8equal_toIvEEiEE10hipError_tPvRmT2_T3_T4_T5_mT6_T7_P12ihipStream_tbENKUlT_T0_E_clISt17integral_constantIbLb0EES10_IbLb1EEEEDaSW_SX_EUlSW_E_NS1_11comp_targetILNS1_3genE2ELNS1_11target_archE906ELNS1_3gpuE6ELNS1_3repE0EEENS1_30default_config_static_selectorELNS0_4arch9wavefront6targetE0EEEvT1_,"axG",@progbits,_ZN7rocprim17ROCPRIM_400000_NS6detail17trampoline_kernelINS0_14default_configENS1_27scan_by_key_config_selectorIiiEEZZNS1_16scan_by_key_implILNS1_25lookback_scan_determinismE0ELb1ES3_N6thrust23THRUST_200600_302600_NS6detail15normal_iteratorINS9_10device_ptrIiEEEENSB_INSC_IjEEEESE_iNS9_4plusIvEENS9_8equal_toIvEEiEE10hipError_tPvRmT2_T3_T4_T5_mT6_T7_P12ihipStream_tbENKUlT_T0_E_clISt17integral_constantIbLb0EES10_IbLb1EEEEDaSW_SX_EUlSW_E_NS1_11comp_targetILNS1_3genE2ELNS1_11target_archE906ELNS1_3gpuE6ELNS1_3repE0EEENS1_30default_config_static_selectorELNS0_4arch9wavefront6targetE0EEEvT1_,comdat
	.protected	_ZN7rocprim17ROCPRIM_400000_NS6detail17trampoline_kernelINS0_14default_configENS1_27scan_by_key_config_selectorIiiEEZZNS1_16scan_by_key_implILNS1_25lookback_scan_determinismE0ELb1ES3_N6thrust23THRUST_200600_302600_NS6detail15normal_iteratorINS9_10device_ptrIiEEEENSB_INSC_IjEEEESE_iNS9_4plusIvEENS9_8equal_toIvEEiEE10hipError_tPvRmT2_T3_T4_T5_mT6_T7_P12ihipStream_tbENKUlT_T0_E_clISt17integral_constantIbLb0EES10_IbLb1EEEEDaSW_SX_EUlSW_E_NS1_11comp_targetILNS1_3genE2ELNS1_11target_archE906ELNS1_3gpuE6ELNS1_3repE0EEENS1_30default_config_static_selectorELNS0_4arch9wavefront6targetE0EEEvT1_ ; -- Begin function _ZN7rocprim17ROCPRIM_400000_NS6detail17trampoline_kernelINS0_14default_configENS1_27scan_by_key_config_selectorIiiEEZZNS1_16scan_by_key_implILNS1_25lookback_scan_determinismE0ELb1ES3_N6thrust23THRUST_200600_302600_NS6detail15normal_iteratorINS9_10device_ptrIiEEEENSB_INSC_IjEEEESE_iNS9_4plusIvEENS9_8equal_toIvEEiEE10hipError_tPvRmT2_T3_T4_T5_mT6_T7_P12ihipStream_tbENKUlT_T0_E_clISt17integral_constantIbLb0EES10_IbLb1EEEEDaSW_SX_EUlSW_E_NS1_11comp_targetILNS1_3genE2ELNS1_11target_archE906ELNS1_3gpuE6ELNS1_3repE0EEENS1_30default_config_static_selectorELNS0_4arch9wavefront6targetE0EEEvT1_
	.globl	_ZN7rocprim17ROCPRIM_400000_NS6detail17trampoline_kernelINS0_14default_configENS1_27scan_by_key_config_selectorIiiEEZZNS1_16scan_by_key_implILNS1_25lookback_scan_determinismE0ELb1ES3_N6thrust23THRUST_200600_302600_NS6detail15normal_iteratorINS9_10device_ptrIiEEEENSB_INSC_IjEEEESE_iNS9_4plusIvEENS9_8equal_toIvEEiEE10hipError_tPvRmT2_T3_T4_T5_mT6_T7_P12ihipStream_tbENKUlT_T0_E_clISt17integral_constantIbLb0EES10_IbLb1EEEEDaSW_SX_EUlSW_E_NS1_11comp_targetILNS1_3genE2ELNS1_11target_archE906ELNS1_3gpuE6ELNS1_3repE0EEENS1_30default_config_static_selectorELNS0_4arch9wavefront6targetE0EEEvT1_
	.p2align	8
	.type	_ZN7rocprim17ROCPRIM_400000_NS6detail17trampoline_kernelINS0_14default_configENS1_27scan_by_key_config_selectorIiiEEZZNS1_16scan_by_key_implILNS1_25lookback_scan_determinismE0ELb1ES3_N6thrust23THRUST_200600_302600_NS6detail15normal_iteratorINS9_10device_ptrIiEEEENSB_INSC_IjEEEESE_iNS9_4plusIvEENS9_8equal_toIvEEiEE10hipError_tPvRmT2_T3_T4_T5_mT6_T7_P12ihipStream_tbENKUlT_T0_E_clISt17integral_constantIbLb0EES10_IbLb1EEEEDaSW_SX_EUlSW_E_NS1_11comp_targetILNS1_3genE2ELNS1_11target_archE906ELNS1_3gpuE6ELNS1_3repE0EEENS1_30default_config_static_selectorELNS0_4arch9wavefront6targetE0EEEvT1_,@function
_ZN7rocprim17ROCPRIM_400000_NS6detail17trampoline_kernelINS0_14default_configENS1_27scan_by_key_config_selectorIiiEEZZNS1_16scan_by_key_implILNS1_25lookback_scan_determinismE0ELb1ES3_N6thrust23THRUST_200600_302600_NS6detail15normal_iteratorINS9_10device_ptrIiEEEENSB_INSC_IjEEEESE_iNS9_4plusIvEENS9_8equal_toIvEEiEE10hipError_tPvRmT2_T3_T4_T5_mT6_T7_P12ihipStream_tbENKUlT_T0_E_clISt17integral_constantIbLb0EES10_IbLb1EEEEDaSW_SX_EUlSW_E_NS1_11comp_targetILNS1_3genE2ELNS1_11target_archE906ELNS1_3gpuE6ELNS1_3repE0EEENS1_30default_config_static_selectorELNS0_4arch9wavefront6targetE0EEEvT1_: ; @_ZN7rocprim17ROCPRIM_400000_NS6detail17trampoline_kernelINS0_14default_configENS1_27scan_by_key_config_selectorIiiEEZZNS1_16scan_by_key_implILNS1_25lookback_scan_determinismE0ELb1ES3_N6thrust23THRUST_200600_302600_NS6detail15normal_iteratorINS9_10device_ptrIiEEEENSB_INSC_IjEEEESE_iNS9_4plusIvEENS9_8equal_toIvEEiEE10hipError_tPvRmT2_T3_T4_T5_mT6_T7_P12ihipStream_tbENKUlT_T0_E_clISt17integral_constantIbLb0EES10_IbLb1EEEEDaSW_SX_EUlSW_E_NS1_11comp_targetILNS1_3genE2ELNS1_11target_archE906ELNS1_3gpuE6ELNS1_3repE0EEENS1_30default_config_static_selectorELNS0_4arch9wavefront6targetE0EEEvT1_
; %bb.0:
	.section	.rodata,"a",@progbits
	.p2align	6, 0x0
	.amdhsa_kernel _ZN7rocprim17ROCPRIM_400000_NS6detail17trampoline_kernelINS0_14default_configENS1_27scan_by_key_config_selectorIiiEEZZNS1_16scan_by_key_implILNS1_25lookback_scan_determinismE0ELb1ES3_N6thrust23THRUST_200600_302600_NS6detail15normal_iteratorINS9_10device_ptrIiEEEENSB_INSC_IjEEEESE_iNS9_4plusIvEENS9_8equal_toIvEEiEE10hipError_tPvRmT2_T3_T4_T5_mT6_T7_P12ihipStream_tbENKUlT_T0_E_clISt17integral_constantIbLb0EES10_IbLb1EEEEDaSW_SX_EUlSW_E_NS1_11comp_targetILNS1_3genE2ELNS1_11target_archE906ELNS1_3gpuE6ELNS1_3repE0EEENS1_30default_config_static_selectorELNS0_4arch9wavefront6targetE0EEEvT1_
		.amdhsa_group_segment_fixed_size 0
		.amdhsa_private_segment_fixed_size 0
		.amdhsa_kernarg_size 112
		.amdhsa_user_sgpr_count 2
		.amdhsa_user_sgpr_dispatch_ptr 0
		.amdhsa_user_sgpr_queue_ptr 0
		.amdhsa_user_sgpr_kernarg_segment_ptr 1
		.amdhsa_user_sgpr_dispatch_id 0
		.amdhsa_user_sgpr_kernarg_preload_length 0
		.amdhsa_user_sgpr_kernarg_preload_offset 0
		.amdhsa_user_sgpr_private_segment_size 0
		.amdhsa_wavefront_size32 1
		.amdhsa_uses_dynamic_stack 0
		.amdhsa_enable_private_segment 0
		.amdhsa_system_sgpr_workgroup_id_x 1
		.amdhsa_system_sgpr_workgroup_id_y 0
		.amdhsa_system_sgpr_workgroup_id_z 0
		.amdhsa_system_sgpr_workgroup_info 0
		.amdhsa_system_vgpr_workitem_id 0
		.amdhsa_next_free_vgpr 1
		.amdhsa_next_free_sgpr 1
		.amdhsa_named_barrier_count 0
		.amdhsa_reserve_vcc 0
		.amdhsa_float_round_mode_32 0
		.amdhsa_float_round_mode_16_64 0
		.amdhsa_float_denorm_mode_32 3
		.amdhsa_float_denorm_mode_16_64 3
		.amdhsa_fp16_overflow 0
		.amdhsa_memory_ordered 1
		.amdhsa_forward_progress 1
		.amdhsa_inst_pref_size 0
		.amdhsa_round_robin_scheduling 0
		.amdhsa_exception_fp_ieee_invalid_op 0
		.amdhsa_exception_fp_denorm_src 0
		.amdhsa_exception_fp_ieee_div_zero 0
		.amdhsa_exception_fp_ieee_overflow 0
		.amdhsa_exception_fp_ieee_underflow 0
		.amdhsa_exception_fp_ieee_inexact 0
		.amdhsa_exception_int_div_zero 0
	.end_amdhsa_kernel
	.section	.text._ZN7rocprim17ROCPRIM_400000_NS6detail17trampoline_kernelINS0_14default_configENS1_27scan_by_key_config_selectorIiiEEZZNS1_16scan_by_key_implILNS1_25lookback_scan_determinismE0ELb1ES3_N6thrust23THRUST_200600_302600_NS6detail15normal_iteratorINS9_10device_ptrIiEEEENSB_INSC_IjEEEESE_iNS9_4plusIvEENS9_8equal_toIvEEiEE10hipError_tPvRmT2_T3_T4_T5_mT6_T7_P12ihipStream_tbENKUlT_T0_E_clISt17integral_constantIbLb0EES10_IbLb1EEEEDaSW_SX_EUlSW_E_NS1_11comp_targetILNS1_3genE2ELNS1_11target_archE906ELNS1_3gpuE6ELNS1_3repE0EEENS1_30default_config_static_selectorELNS0_4arch9wavefront6targetE0EEEvT1_,"axG",@progbits,_ZN7rocprim17ROCPRIM_400000_NS6detail17trampoline_kernelINS0_14default_configENS1_27scan_by_key_config_selectorIiiEEZZNS1_16scan_by_key_implILNS1_25lookback_scan_determinismE0ELb1ES3_N6thrust23THRUST_200600_302600_NS6detail15normal_iteratorINS9_10device_ptrIiEEEENSB_INSC_IjEEEESE_iNS9_4plusIvEENS9_8equal_toIvEEiEE10hipError_tPvRmT2_T3_T4_T5_mT6_T7_P12ihipStream_tbENKUlT_T0_E_clISt17integral_constantIbLb0EES10_IbLb1EEEEDaSW_SX_EUlSW_E_NS1_11comp_targetILNS1_3genE2ELNS1_11target_archE906ELNS1_3gpuE6ELNS1_3repE0EEENS1_30default_config_static_selectorELNS0_4arch9wavefront6targetE0EEEvT1_,comdat
.Lfunc_end1784:
	.size	_ZN7rocprim17ROCPRIM_400000_NS6detail17trampoline_kernelINS0_14default_configENS1_27scan_by_key_config_selectorIiiEEZZNS1_16scan_by_key_implILNS1_25lookback_scan_determinismE0ELb1ES3_N6thrust23THRUST_200600_302600_NS6detail15normal_iteratorINS9_10device_ptrIiEEEENSB_INSC_IjEEEESE_iNS9_4plusIvEENS9_8equal_toIvEEiEE10hipError_tPvRmT2_T3_T4_T5_mT6_T7_P12ihipStream_tbENKUlT_T0_E_clISt17integral_constantIbLb0EES10_IbLb1EEEEDaSW_SX_EUlSW_E_NS1_11comp_targetILNS1_3genE2ELNS1_11target_archE906ELNS1_3gpuE6ELNS1_3repE0EEENS1_30default_config_static_selectorELNS0_4arch9wavefront6targetE0EEEvT1_, .Lfunc_end1784-_ZN7rocprim17ROCPRIM_400000_NS6detail17trampoline_kernelINS0_14default_configENS1_27scan_by_key_config_selectorIiiEEZZNS1_16scan_by_key_implILNS1_25lookback_scan_determinismE0ELb1ES3_N6thrust23THRUST_200600_302600_NS6detail15normal_iteratorINS9_10device_ptrIiEEEENSB_INSC_IjEEEESE_iNS9_4plusIvEENS9_8equal_toIvEEiEE10hipError_tPvRmT2_T3_T4_T5_mT6_T7_P12ihipStream_tbENKUlT_T0_E_clISt17integral_constantIbLb0EES10_IbLb1EEEEDaSW_SX_EUlSW_E_NS1_11comp_targetILNS1_3genE2ELNS1_11target_archE906ELNS1_3gpuE6ELNS1_3repE0EEENS1_30default_config_static_selectorELNS0_4arch9wavefront6targetE0EEEvT1_
                                        ; -- End function
	.set _ZN7rocprim17ROCPRIM_400000_NS6detail17trampoline_kernelINS0_14default_configENS1_27scan_by_key_config_selectorIiiEEZZNS1_16scan_by_key_implILNS1_25lookback_scan_determinismE0ELb1ES3_N6thrust23THRUST_200600_302600_NS6detail15normal_iteratorINS9_10device_ptrIiEEEENSB_INSC_IjEEEESE_iNS9_4plusIvEENS9_8equal_toIvEEiEE10hipError_tPvRmT2_T3_T4_T5_mT6_T7_P12ihipStream_tbENKUlT_T0_E_clISt17integral_constantIbLb0EES10_IbLb1EEEEDaSW_SX_EUlSW_E_NS1_11comp_targetILNS1_3genE2ELNS1_11target_archE906ELNS1_3gpuE6ELNS1_3repE0EEENS1_30default_config_static_selectorELNS0_4arch9wavefront6targetE0EEEvT1_.num_vgpr, 0
	.set _ZN7rocprim17ROCPRIM_400000_NS6detail17trampoline_kernelINS0_14default_configENS1_27scan_by_key_config_selectorIiiEEZZNS1_16scan_by_key_implILNS1_25lookback_scan_determinismE0ELb1ES3_N6thrust23THRUST_200600_302600_NS6detail15normal_iteratorINS9_10device_ptrIiEEEENSB_INSC_IjEEEESE_iNS9_4plusIvEENS9_8equal_toIvEEiEE10hipError_tPvRmT2_T3_T4_T5_mT6_T7_P12ihipStream_tbENKUlT_T0_E_clISt17integral_constantIbLb0EES10_IbLb1EEEEDaSW_SX_EUlSW_E_NS1_11comp_targetILNS1_3genE2ELNS1_11target_archE906ELNS1_3gpuE6ELNS1_3repE0EEENS1_30default_config_static_selectorELNS0_4arch9wavefront6targetE0EEEvT1_.num_agpr, 0
	.set _ZN7rocprim17ROCPRIM_400000_NS6detail17trampoline_kernelINS0_14default_configENS1_27scan_by_key_config_selectorIiiEEZZNS1_16scan_by_key_implILNS1_25lookback_scan_determinismE0ELb1ES3_N6thrust23THRUST_200600_302600_NS6detail15normal_iteratorINS9_10device_ptrIiEEEENSB_INSC_IjEEEESE_iNS9_4plusIvEENS9_8equal_toIvEEiEE10hipError_tPvRmT2_T3_T4_T5_mT6_T7_P12ihipStream_tbENKUlT_T0_E_clISt17integral_constantIbLb0EES10_IbLb1EEEEDaSW_SX_EUlSW_E_NS1_11comp_targetILNS1_3genE2ELNS1_11target_archE906ELNS1_3gpuE6ELNS1_3repE0EEENS1_30default_config_static_selectorELNS0_4arch9wavefront6targetE0EEEvT1_.numbered_sgpr, 0
	.set _ZN7rocprim17ROCPRIM_400000_NS6detail17trampoline_kernelINS0_14default_configENS1_27scan_by_key_config_selectorIiiEEZZNS1_16scan_by_key_implILNS1_25lookback_scan_determinismE0ELb1ES3_N6thrust23THRUST_200600_302600_NS6detail15normal_iteratorINS9_10device_ptrIiEEEENSB_INSC_IjEEEESE_iNS9_4plusIvEENS9_8equal_toIvEEiEE10hipError_tPvRmT2_T3_T4_T5_mT6_T7_P12ihipStream_tbENKUlT_T0_E_clISt17integral_constantIbLb0EES10_IbLb1EEEEDaSW_SX_EUlSW_E_NS1_11comp_targetILNS1_3genE2ELNS1_11target_archE906ELNS1_3gpuE6ELNS1_3repE0EEENS1_30default_config_static_selectorELNS0_4arch9wavefront6targetE0EEEvT1_.num_named_barrier, 0
	.set _ZN7rocprim17ROCPRIM_400000_NS6detail17trampoline_kernelINS0_14default_configENS1_27scan_by_key_config_selectorIiiEEZZNS1_16scan_by_key_implILNS1_25lookback_scan_determinismE0ELb1ES3_N6thrust23THRUST_200600_302600_NS6detail15normal_iteratorINS9_10device_ptrIiEEEENSB_INSC_IjEEEESE_iNS9_4plusIvEENS9_8equal_toIvEEiEE10hipError_tPvRmT2_T3_T4_T5_mT6_T7_P12ihipStream_tbENKUlT_T0_E_clISt17integral_constantIbLb0EES10_IbLb1EEEEDaSW_SX_EUlSW_E_NS1_11comp_targetILNS1_3genE2ELNS1_11target_archE906ELNS1_3gpuE6ELNS1_3repE0EEENS1_30default_config_static_selectorELNS0_4arch9wavefront6targetE0EEEvT1_.private_seg_size, 0
	.set _ZN7rocprim17ROCPRIM_400000_NS6detail17trampoline_kernelINS0_14default_configENS1_27scan_by_key_config_selectorIiiEEZZNS1_16scan_by_key_implILNS1_25lookback_scan_determinismE0ELb1ES3_N6thrust23THRUST_200600_302600_NS6detail15normal_iteratorINS9_10device_ptrIiEEEENSB_INSC_IjEEEESE_iNS9_4plusIvEENS9_8equal_toIvEEiEE10hipError_tPvRmT2_T3_T4_T5_mT6_T7_P12ihipStream_tbENKUlT_T0_E_clISt17integral_constantIbLb0EES10_IbLb1EEEEDaSW_SX_EUlSW_E_NS1_11comp_targetILNS1_3genE2ELNS1_11target_archE906ELNS1_3gpuE6ELNS1_3repE0EEENS1_30default_config_static_selectorELNS0_4arch9wavefront6targetE0EEEvT1_.uses_vcc, 0
	.set _ZN7rocprim17ROCPRIM_400000_NS6detail17trampoline_kernelINS0_14default_configENS1_27scan_by_key_config_selectorIiiEEZZNS1_16scan_by_key_implILNS1_25lookback_scan_determinismE0ELb1ES3_N6thrust23THRUST_200600_302600_NS6detail15normal_iteratorINS9_10device_ptrIiEEEENSB_INSC_IjEEEESE_iNS9_4plusIvEENS9_8equal_toIvEEiEE10hipError_tPvRmT2_T3_T4_T5_mT6_T7_P12ihipStream_tbENKUlT_T0_E_clISt17integral_constantIbLb0EES10_IbLb1EEEEDaSW_SX_EUlSW_E_NS1_11comp_targetILNS1_3genE2ELNS1_11target_archE906ELNS1_3gpuE6ELNS1_3repE0EEENS1_30default_config_static_selectorELNS0_4arch9wavefront6targetE0EEEvT1_.uses_flat_scratch, 0
	.set _ZN7rocprim17ROCPRIM_400000_NS6detail17trampoline_kernelINS0_14default_configENS1_27scan_by_key_config_selectorIiiEEZZNS1_16scan_by_key_implILNS1_25lookback_scan_determinismE0ELb1ES3_N6thrust23THRUST_200600_302600_NS6detail15normal_iteratorINS9_10device_ptrIiEEEENSB_INSC_IjEEEESE_iNS9_4plusIvEENS9_8equal_toIvEEiEE10hipError_tPvRmT2_T3_T4_T5_mT6_T7_P12ihipStream_tbENKUlT_T0_E_clISt17integral_constantIbLb0EES10_IbLb1EEEEDaSW_SX_EUlSW_E_NS1_11comp_targetILNS1_3genE2ELNS1_11target_archE906ELNS1_3gpuE6ELNS1_3repE0EEENS1_30default_config_static_selectorELNS0_4arch9wavefront6targetE0EEEvT1_.has_dyn_sized_stack, 0
	.set _ZN7rocprim17ROCPRIM_400000_NS6detail17trampoline_kernelINS0_14default_configENS1_27scan_by_key_config_selectorIiiEEZZNS1_16scan_by_key_implILNS1_25lookback_scan_determinismE0ELb1ES3_N6thrust23THRUST_200600_302600_NS6detail15normal_iteratorINS9_10device_ptrIiEEEENSB_INSC_IjEEEESE_iNS9_4plusIvEENS9_8equal_toIvEEiEE10hipError_tPvRmT2_T3_T4_T5_mT6_T7_P12ihipStream_tbENKUlT_T0_E_clISt17integral_constantIbLb0EES10_IbLb1EEEEDaSW_SX_EUlSW_E_NS1_11comp_targetILNS1_3genE2ELNS1_11target_archE906ELNS1_3gpuE6ELNS1_3repE0EEENS1_30default_config_static_selectorELNS0_4arch9wavefront6targetE0EEEvT1_.has_recursion, 0
	.set _ZN7rocprim17ROCPRIM_400000_NS6detail17trampoline_kernelINS0_14default_configENS1_27scan_by_key_config_selectorIiiEEZZNS1_16scan_by_key_implILNS1_25lookback_scan_determinismE0ELb1ES3_N6thrust23THRUST_200600_302600_NS6detail15normal_iteratorINS9_10device_ptrIiEEEENSB_INSC_IjEEEESE_iNS9_4plusIvEENS9_8equal_toIvEEiEE10hipError_tPvRmT2_T3_T4_T5_mT6_T7_P12ihipStream_tbENKUlT_T0_E_clISt17integral_constantIbLb0EES10_IbLb1EEEEDaSW_SX_EUlSW_E_NS1_11comp_targetILNS1_3genE2ELNS1_11target_archE906ELNS1_3gpuE6ELNS1_3repE0EEENS1_30default_config_static_selectorELNS0_4arch9wavefront6targetE0EEEvT1_.has_indirect_call, 0
	.section	.AMDGPU.csdata,"",@progbits
; Kernel info:
; codeLenInByte = 0
; TotalNumSgprs: 0
; NumVgprs: 0
; ScratchSize: 0
; MemoryBound: 0
; FloatMode: 240
; IeeeMode: 1
; LDSByteSize: 0 bytes/workgroup (compile time only)
; SGPRBlocks: 0
; VGPRBlocks: 0
; NumSGPRsForWavesPerEU: 1
; NumVGPRsForWavesPerEU: 1
; NamedBarCnt: 0
; Occupancy: 16
; WaveLimiterHint : 0
; COMPUTE_PGM_RSRC2:SCRATCH_EN: 0
; COMPUTE_PGM_RSRC2:USER_SGPR: 2
; COMPUTE_PGM_RSRC2:TRAP_HANDLER: 0
; COMPUTE_PGM_RSRC2:TGID_X_EN: 1
; COMPUTE_PGM_RSRC2:TGID_Y_EN: 0
; COMPUTE_PGM_RSRC2:TGID_Z_EN: 0
; COMPUTE_PGM_RSRC2:TIDIG_COMP_CNT: 0
	.section	.text._ZN7rocprim17ROCPRIM_400000_NS6detail17trampoline_kernelINS0_14default_configENS1_27scan_by_key_config_selectorIiiEEZZNS1_16scan_by_key_implILNS1_25lookback_scan_determinismE0ELb1ES3_N6thrust23THRUST_200600_302600_NS6detail15normal_iteratorINS9_10device_ptrIiEEEENSB_INSC_IjEEEESE_iNS9_4plusIvEENS9_8equal_toIvEEiEE10hipError_tPvRmT2_T3_T4_T5_mT6_T7_P12ihipStream_tbENKUlT_T0_E_clISt17integral_constantIbLb0EES10_IbLb1EEEEDaSW_SX_EUlSW_E_NS1_11comp_targetILNS1_3genE10ELNS1_11target_archE1200ELNS1_3gpuE4ELNS1_3repE0EEENS1_30default_config_static_selectorELNS0_4arch9wavefront6targetE0EEEvT1_,"axG",@progbits,_ZN7rocprim17ROCPRIM_400000_NS6detail17trampoline_kernelINS0_14default_configENS1_27scan_by_key_config_selectorIiiEEZZNS1_16scan_by_key_implILNS1_25lookback_scan_determinismE0ELb1ES3_N6thrust23THRUST_200600_302600_NS6detail15normal_iteratorINS9_10device_ptrIiEEEENSB_INSC_IjEEEESE_iNS9_4plusIvEENS9_8equal_toIvEEiEE10hipError_tPvRmT2_T3_T4_T5_mT6_T7_P12ihipStream_tbENKUlT_T0_E_clISt17integral_constantIbLb0EES10_IbLb1EEEEDaSW_SX_EUlSW_E_NS1_11comp_targetILNS1_3genE10ELNS1_11target_archE1200ELNS1_3gpuE4ELNS1_3repE0EEENS1_30default_config_static_selectorELNS0_4arch9wavefront6targetE0EEEvT1_,comdat
	.protected	_ZN7rocprim17ROCPRIM_400000_NS6detail17trampoline_kernelINS0_14default_configENS1_27scan_by_key_config_selectorIiiEEZZNS1_16scan_by_key_implILNS1_25lookback_scan_determinismE0ELb1ES3_N6thrust23THRUST_200600_302600_NS6detail15normal_iteratorINS9_10device_ptrIiEEEENSB_INSC_IjEEEESE_iNS9_4plusIvEENS9_8equal_toIvEEiEE10hipError_tPvRmT2_T3_T4_T5_mT6_T7_P12ihipStream_tbENKUlT_T0_E_clISt17integral_constantIbLb0EES10_IbLb1EEEEDaSW_SX_EUlSW_E_NS1_11comp_targetILNS1_3genE10ELNS1_11target_archE1200ELNS1_3gpuE4ELNS1_3repE0EEENS1_30default_config_static_selectorELNS0_4arch9wavefront6targetE0EEEvT1_ ; -- Begin function _ZN7rocprim17ROCPRIM_400000_NS6detail17trampoline_kernelINS0_14default_configENS1_27scan_by_key_config_selectorIiiEEZZNS1_16scan_by_key_implILNS1_25lookback_scan_determinismE0ELb1ES3_N6thrust23THRUST_200600_302600_NS6detail15normal_iteratorINS9_10device_ptrIiEEEENSB_INSC_IjEEEESE_iNS9_4plusIvEENS9_8equal_toIvEEiEE10hipError_tPvRmT2_T3_T4_T5_mT6_T7_P12ihipStream_tbENKUlT_T0_E_clISt17integral_constantIbLb0EES10_IbLb1EEEEDaSW_SX_EUlSW_E_NS1_11comp_targetILNS1_3genE10ELNS1_11target_archE1200ELNS1_3gpuE4ELNS1_3repE0EEENS1_30default_config_static_selectorELNS0_4arch9wavefront6targetE0EEEvT1_
	.globl	_ZN7rocprim17ROCPRIM_400000_NS6detail17trampoline_kernelINS0_14default_configENS1_27scan_by_key_config_selectorIiiEEZZNS1_16scan_by_key_implILNS1_25lookback_scan_determinismE0ELb1ES3_N6thrust23THRUST_200600_302600_NS6detail15normal_iteratorINS9_10device_ptrIiEEEENSB_INSC_IjEEEESE_iNS9_4plusIvEENS9_8equal_toIvEEiEE10hipError_tPvRmT2_T3_T4_T5_mT6_T7_P12ihipStream_tbENKUlT_T0_E_clISt17integral_constantIbLb0EES10_IbLb1EEEEDaSW_SX_EUlSW_E_NS1_11comp_targetILNS1_3genE10ELNS1_11target_archE1200ELNS1_3gpuE4ELNS1_3repE0EEENS1_30default_config_static_selectorELNS0_4arch9wavefront6targetE0EEEvT1_
	.p2align	8
	.type	_ZN7rocprim17ROCPRIM_400000_NS6detail17trampoline_kernelINS0_14default_configENS1_27scan_by_key_config_selectorIiiEEZZNS1_16scan_by_key_implILNS1_25lookback_scan_determinismE0ELb1ES3_N6thrust23THRUST_200600_302600_NS6detail15normal_iteratorINS9_10device_ptrIiEEEENSB_INSC_IjEEEESE_iNS9_4plusIvEENS9_8equal_toIvEEiEE10hipError_tPvRmT2_T3_T4_T5_mT6_T7_P12ihipStream_tbENKUlT_T0_E_clISt17integral_constantIbLb0EES10_IbLb1EEEEDaSW_SX_EUlSW_E_NS1_11comp_targetILNS1_3genE10ELNS1_11target_archE1200ELNS1_3gpuE4ELNS1_3repE0EEENS1_30default_config_static_selectorELNS0_4arch9wavefront6targetE0EEEvT1_,@function
_ZN7rocprim17ROCPRIM_400000_NS6detail17trampoline_kernelINS0_14default_configENS1_27scan_by_key_config_selectorIiiEEZZNS1_16scan_by_key_implILNS1_25lookback_scan_determinismE0ELb1ES3_N6thrust23THRUST_200600_302600_NS6detail15normal_iteratorINS9_10device_ptrIiEEEENSB_INSC_IjEEEESE_iNS9_4plusIvEENS9_8equal_toIvEEiEE10hipError_tPvRmT2_T3_T4_T5_mT6_T7_P12ihipStream_tbENKUlT_T0_E_clISt17integral_constantIbLb0EES10_IbLb1EEEEDaSW_SX_EUlSW_E_NS1_11comp_targetILNS1_3genE10ELNS1_11target_archE1200ELNS1_3gpuE4ELNS1_3repE0EEENS1_30default_config_static_selectorELNS0_4arch9wavefront6targetE0EEEvT1_: ; @_ZN7rocprim17ROCPRIM_400000_NS6detail17trampoline_kernelINS0_14default_configENS1_27scan_by_key_config_selectorIiiEEZZNS1_16scan_by_key_implILNS1_25lookback_scan_determinismE0ELb1ES3_N6thrust23THRUST_200600_302600_NS6detail15normal_iteratorINS9_10device_ptrIiEEEENSB_INSC_IjEEEESE_iNS9_4plusIvEENS9_8equal_toIvEEiEE10hipError_tPvRmT2_T3_T4_T5_mT6_T7_P12ihipStream_tbENKUlT_T0_E_clISt17integral_constantIbLb0EES10_IbLb1EEEEDaSW_SX_EUlSW_E_NS1_11comp_targetILNS1_3genE10ELNS1_11target_archE1200ELNS1_3gpuE4ELNS1_3repE0EEENS1_30default_config_static_selectorELNS0_4arch9wavefront6targetE0EEEvT1_
; %bb.0:
	.section	.rodata,"a",@progbits
	.p2align	6, 0x0
	.amdhsa_kernel _ZN7rocprim17ROCPRIM_400000_NS6detail17trampoline_kernelINS0_14default_configENS1_27scan_by_key_config_selectorIiiEEZZNS1_16scan_by_key_implILNS1_25lookback_scan_determinismE0ELb1ES3_N6thrust23THRUST_200600_302600_NS6detail15normal_iteratorINS9_10device_ptrIiEEEENSB_INSC_IjEEEESE_iNS9_4plusIvEENS9_8equal_toIvEEiEE10hipError_tPvRmT2_T3_T4_T5_mT6_T7_P12ihipStream_tbENKUlT_T0_E_clISt17integral_constantIbLb0EES10_IbLb1EEEEDaSW_SX_EUlSW_E_NS1_11comp_targetILNS1_3genE10ELNS1_11target_archE1200ELNS1_3gpuE4ELNS1_3repE0EEENS1_30default_config_static_selectorELNS0_4arch9wavefront6targetE0EEEvT1_
		.amdhsa_group_segment_fixed_size 0
		.amdhsa_private_segment_fixed_size 0
		.amdhsa_kernarg_size 112
		.amdhsa_user_sgpr_count 2
		.amdhsa_user_sgpr_dispatch_ptr 0
		.amdhsa_user_sgpr_queue_ptr 0
		.amdhsa_user_sgpr_kernarg_segment_ptr 1
		.amdhsa_user_sgpr_dispatch_id 0
		.amdhsa_user_sgpr_kernarg_preload_length 0
		.amdhsa_user_sgpr_kernarg_preload_offset 0
		.amdhsa_user_sgpr_private_segment_size 0
		.amdhsa_wavefront_size32 1
		.amdhsa_uses_dynamic_stack 0
		.amdhsa_enable_private_segment 0
		.amdhsa_system_sgpr_workgroup_id_x 1
		.amdhsa_system_sgpr_workgroup_id_y 0
		.amdhsa_system_sgpr_workgroup_id_z 0
		.amdhsa_system_sgpr_workgroup_info 0
		.amdhsa_system_vgpr_workitem_id 0
		.amdhsa_next_free_vgpr 1
		.amdhsa_next_free_sgpr 1
		.amdhsa_named_barrier_count 0
		.amdhsa_reserve_vcc 0
		.amdhsa_float_round_mode_32 0
		.amdhsa_float_round_mode_16_64 0
		.amdhsa_float_denorm_mode_32 3
		.amdhsa_float_denorm_mode_16_64 3
		.amdhsa_fp16_overflow 0
		.amdhsa_memory_ordered 1
		.amdhsa_forward_progress 1
		.amdhsa_inst_pref_size 0
		.amdhsa_round_robin_scheduling 0
		.amdhsa_exception_fp_ieee_invalid_op 0
		.amdhsa_exception_fp_denorm_src 0
		.amdhsa_exception_fp_ieee_div_zero 0
		.amdhsa_exception_fp_ieee_overflow 0
		.amdhsa_exception_fp_ieee_underflow 0
		.amdhsa_exception_fp_ieee_inexact 0
		.amdhsa_exception_int_div_zero 0
	.end_amdhsa_kernel
	.section	.text._ZN7rocprim17ROCPRIM_400000_NS6detail17trampoline_kernelINS0_14default_configENS1_27scan_by_key_config_selectorIiiEEZZNS1_16scan_by_key_implILNS1_25lookback_scan_determinismE0ELb1ES3_N6thrust23THRUST_200600_302600_NS6detail15normal_iteratorINS9_10device_ptrIiEEEENSB_INSC_IjEEEESE_iNS9_4plusIvEENS9_8equal_toIvEEiEE10hipError_tPvRmT2_T3_T4_T5_mT6_T7_P12ihipStream_tbENKUlT_T0_E_clISt17integral_constantIbLb0EES10_IbLb1EEEEDaSW_SX_EUlSW_E_NS1_11comp_targetILNS1_3genE10ELNS1_11target_archE1200ELNS1_3gpuE4ELNS1_3repE0EEENS1_30default_config_static_selectorELNS0_4arch9wavefront6targetE0EEEvT1_,"axG",@progbits,_ZN7rocprim17ROCPRIM_400000_NS6detail17trampoline_kernelINS0_14default_configENS1_27scan_by_key_config_selectorIiiEEZZNS1_16scan_by_key_implILNS1_25lookback_scan_determinismE0ELb1ES3_N6thrust23THRUST_200600_302600_NS6detail15normal_iteratorINS9_10device_ptrIiEEEENSB_INSC_IjEEEESE_iNS9_4plusIvEENS9_8equal_toIvEEiEE10hipError_tPvRmT2_T3_T4_T5_mT6_T7_P12ihipStream_tbENKUlT_T0_E_clISt17integral_constantIbLb0EES10_IbLb1EEEEDaSW_SX_EUlSW_E_NS1_11comp_targetILNS1_3genE10ELNS1_11target_archE1200ELNS1_3gpuE4ELNS1_3repE0EEENS1_30default_config_static_selectorELNS0_4arch9wavefront6targetE0EEEvT1_,comdat
.Lfunc_end1785:
	.size	_ZN7rocprim17ROCPRIM_400000_NS6detail17trampoline_kernelINS0_14default_configENS1_27scan_by_key_config_selectorIiiEEZZNS1_16scan_by_key_implILNS1_25lookback_scan_determinismE0ELb1ES3_N6thrust23THRUST_200600_302600_NS6detail15normal_iteratorINS9_10device_ptrIiEEEENSB_INSC_IjEEEESE_iNS9_4plusIvEENS9_8equal_toIvEEiEE10hipError_tPvRmT2_T3_T4_T5_mT6_T7_P12ihipStream_tbENKUlT_T0_E_clISt17integral_constantIbLb0EES10_IbLb1EEEEDaSW_SX_EUlSW_E_NS1_11comp_targetILNS1_3genE10ELNS1_11target_archE1200ELNS1_3gpuE4ELNS1_3repE0EEENS1_30default_config_static_selectorELNS0_4arch9wavefront6targetE0EEEvT1_, .Lfunc_end1785-_ZN7rocprim17ROCPRIM_400000_NS6detail17trampoline_kernelINS0_14default_configENS1_27scan_by_key_config_selectorIiiEEZZNS1_16scan_by_key_implILNS1_25lookback_scan_determinismE0ELb1ES3_N6thrust23THRUST_200600_302600_NS6detail15normal_iteratorINS9_10device_ptrIiEEEENSB_INSC_IjEEEESE_iNS9_4plusIvEENS9_8equal_toIvEEiEE10hipError_tPvRmT2_T3_T4_T5_mT6_T7_P12ihipStream_tbENKUlT_T0_E_clISt17integral_constantIbLb0EES10_IbLb1EEEEDaSW_SX_EUlSW_E_NS1_11comp_targetILNS1_3genE10ELNS1_11target_archE1200ELNS1_3gpuE4ELNS1_3repE0EEENS1_30default_config_static_selectorELNS0_4arch9wavefront6targetE0EEEvT1_
                                        ; -- End function
	.set _ZN7rocprim17ROCPRIM_400000_NS6detail17trampoline_kernelINS0_14default_configENS1_27scan_by_key_config_selectorIiiEEZZNS1_16scan_by_key_implILNS1_25lookback_scan_determinismE0ELb1ES3_N6thrust23THRUST_200600_302600_NS6detail15normal_iteratorINS9_10device_ptrIiEEEENSB_INSC_IjEEEESE_iNS9_4plusIvEENS9_8equal_toIvEEiEE10hipError_tPvRmT2_T3_T4_T5_mT6_T7_P12ihipStream_tbENKUlT_T0_E_clISt17integral_constantIbLb0EES10_IbLb1EEEEDaSW_SX_EUlSW_E_NS1_11comp_targetILNS1_3genE10ELNS1_11target_archE1200ELNS1_3gpuE4ELNS1_3repE0EEENS1_30default_config_static_selectorELNS0_4arch9wavefront6targetE0EEEvT1_.num_vgpr, 0
	.set _ZN7rocprim17ROCPRIM_400000_NS6detail17trampoline_kernelINS0_14default_configENS1_27scan_by_key_config_selectorIiiEEZZNS1_16scan_by_key_implILNS1_25lookback_scan_determinismE0ELb1ES3_N6thrust23THRUST_200600_302600_NS6detail15normal_iteratorINS9_10device_ptrIiEEEENSB_INSC_IjEEEESE_iNS9_4plusIvEENS9_8equal_toIvEEiEE10hipError_tPvRmT2_T3_T4_T5_mT6_T7_P12ihipStream_tbENKUlT_T0_E_clISt17integral_constantIbLb0EES10_IbLb1EEEEDaSW_SX_EUlSW_E_NS1_11comp_targetILNS1_3genE10ELNS1_11target_archE1200ELNS1_3gpuE4ELNS1_3repE0EEENS1_30default_config_static_selectorELNS0_4arch9wavefront6targetE0EEEvT1_.num_agpr, 0
	.set _ZN7rocprim17ROCPRIM_400000_NS6detail17trampoline_kernelINS0_14default_configENS1_27scan_by_key_config_selectorIiiEEZZNS1_16scan_by_key_implILNS1_25lookback_scan_determinismE0ELb1ES3_N6thrust23THRUST_200600_302600_NS6detail15normal_iteratorINS9_10device_ptrIiEEEENSB_INSC_IjEEEESE_iNS9_4plusIvEENS9_8equal_toIvEEiEE10hipError_tPvRmT2_T3_T4_T5_mT6_T7_P12ihipStream_tbENKUlT_T0_E_clISt17integral_constantIbLb0EES10_IbLb1EEEEDaSW_SX_EUlSW_E_NS1_11comp_targetILNS1_3genE10ELNS1_11target_archE1200ELNS1_3gpuE4ELNS1_3repE0EEENS1_30default_config_static_selectorELNS0_4arch9wavefront6targetE0EEEvT1_.numbered_sgpr, 0
	.set _ZN7rocprim17ROCPRIM_400000_NS6detail17trampoline_kernelINS0_14default_configENS1_27scan_by_key_config_selectorIiiEEZZNS1_16scan_by_key_implILNS1_25lookback_scan_determinismE0ELb1ES3_N6thrust23THRUST_200600_302600_NS6detail15normal_iteratorINS9_10device_ptrIiEEEENSB_INSC_IjEEEESE_iNS9_4plusIvEENS9_8equal_toIvEEiEE10hipError_tPvRmT2_T3_T4_T5_mT6_T7_P12ihipStream_tbENKUlT_T0_E_clISt17integral_constantIbLb0EES10_IbLb1EEEEDaSW_SX_EUlSW_E_NS1_11comp_targetILNS1_3genE10ELNS1_11target_archE1200ELNS1_3gpuE4ELNS1_3repE0EEENS1_30default_config_static_selectorELNS0_4arch9wavefront6targetE0EEEvT1_.num_named_barrier, 0
	.set _ZN7rocprim17ROCPRIM_400000_NS6detail17trampoline_kernelINS0_14default_configENS1_27scan_by_key_config_selectorIiiEEZZNS1_16scan_by_key_implILNS1_25lookback_scan_determinismE0ELb1ES3_N6thrust23THRUST_200600_302600_NS6detail15normal_iteratorINS9_10device_ptrIiEEEENSB_INSC_IjEEEESE_iNS9_4plusIvEENS9_8equal_toIvEEiEE10hipError_tPvRmT2_T3_T4_T5_mT6_T7_P12ihipStream_tbENKUlT_T0_E_clISt17integral_constantIbLb0EES10_IbLb1EEEEDaSW_SX_EUlSW_E_NS1_11comp_targetILNS1_3genE10ELNS1_11target_archE1200ELNS1_3gpuE4ELNS1_3repE0EEENS1_30default_config_static_selectorELNS0_4arch9wavefront6targetE0EEEvT1_.private_seg_size, 0
	.set _ZN7rocprim17ROCPRIM_400000_NS6detail17trampoline_kernelINS0_14default_configENS1_27scan_by_key_config_selectorIiiEEZZNS1_16scan_by_key_implILNS1_25lookback_scan_determinismE0ELb1ES3_N6thrust23THRUST_200600_302600_NS6detail15normal_iteratorINS9_10device_ptrIiEEEENSB_INSC_IjEEEESE_iNS9_4plusIvEENS9_8equal_toIvEEiEE10hipError_tPvRmT2_T3_T4_T5_mT6_T7_P12ihipStream_tbENKUlT_T0_E_clISt17integral_constantIbLb0EES10_IbLb1EEEEDaSW_SX_EUlSW_E_NS1_11comp_targetILNS1_3genE10ELNS1_11target_archE1200ELNS1_3gpuE4ELNS1_3repE0EEENS1_30default_config_static_selectorELNS0_4arch9wavefront6targetE0EEEvT1_.uses_vcc, 0
	.set _ZN7rocprim17ROCPRIM_400000_NS6detail17trampoline_kernelINS0_14default_configENS1_27scan_by_key_config_selectorIiiEEZZNS1_16scan_by_key_implILNS1_25lookback_scan_determinismE0ELb1ES3_N6thrust23THRUST_200600_302600_NS6detail15normal_iteratorINS9_10device_ptrIiEEEENSB_INSC_IjEEEESE_iNS9_4plusIvEENS9_8equal_toIvEEiEE10hipError_tPvRmT2_T3_T4_T5_mT6_T7_P12ihipStream_tbENKUlT_T0_E_clISt17integral_constantIbLb0EES10_IbLb1EEEEDaSW_SX_EUlSW_E_NS1_11comp_targetILNS1_3genE10ELNS1_11target_archE1200ELNS1_3gpuE4ELNS1_3repE0EEENS1_30default_config_static_selectorELNS0_4arch9wavefront6targetE0EEEvT1_.uses_flat_scratch, 0
	.set _ZN7rocprim17ROCPRIM_400000_NS6detail17trampoline_kernelINS0_14default_configENS1_27scan_by_key_config_selectorIiiEEZZNS1_16scan_by_key_implILNS1_25lookback_scan_determinismE0ELb1ES3_N6thrust23THRUST_200600_302600_NS6detail15normal_iteratorINS9_10device_ptrIiEEEENSB_INSC_IjEEEESE_iNS9_4plusIvEENS9_8equal_toIvEEiEE10hipError_tPvRmT2_T3_T4_T5_mT6_T7_P12ihipStream_tbENKUlT_T0_E_clISt17integral_constantIbLb0EES10_IbLb1EEEEDaSW_SX_EUlSW_E_NS1_11comp_targetILNS1_3genE10ELNS1_11target_archE1200ELNS1_3gpuE4ELNS1_3repE0EEENS1_30default_config_static_selectorELNS0_4arch9wavefront6targetE0EEEvT1_.has_dyn_sized_stack, 0
	.set _ZN7rocprim17ROCPRIM_400000_NS6detail17trampoline_kernelINS0_14default_configENS1_27scan_by_key_config_selectorIiiEEZZNS1_16scan_by_key_implILNS1_25lookback_scan_determinismE0ELb1ES3_N6thrust23THRUST_200600_302600_NS6detail15normal_iteratorINS9_10device_ptrIiEEEENSB_INSC_IjEEEESE_iNS9_4plusIvEENS9_8equal_toIvEEiEE10hipError_tPvRmT2_T3_T4_T5_mT6_T7_P12ihipStream_tbENKUlT_T0_E_clISt17integral_constantIbLb0EES10_IbLb1EEEEDaSW_SX_EUlSW_E_NS1_11comp_targetILNS1_3genE10ELNS1_11target_archE1200ELNS1_3gpuE4ELNS1_3repE0EEENS1_30default_config_static_selectorELNS0_4arch9wavefront6targetE0EEEvT1_.has_recursion, 0
	.set _ZN7rocprim17ROCPRIM_400000_NS6detail17trampoline_kernelINS0_14default_configENS1_27scan_by_key_config_selectorIiiEEZZNS1_16scan_by_key_implILNS1_25lookback_scan_determinismE0ELb1ES3_N6thrust23THRUST_200600_302600_NS6detail15normal_iteratorINS9_10device_ptrIiEEEENSB_INSC_IjEEEESE_iNS9_4plusIvEENS9_8equal_toIvEEiEE10hipError_tPvRmT2_T3_T4_T5_mT6_T7_P12ihipStream_tbENKUlT_T0_E_clISt17integral_constantIbLb0EES10_IbLb1EEEEDaSW_SX_EUlSW_E_NS1_11comp_targetILNS1_3genE10ELNS1_11target_archE1200ELNS1_3gpuE4ELNS1_3repE0EEENS1_30default_config_static_selectorELNS0_4arch9wavefront6targetE0EEEvT1_.has_indirect_call, 0
	.section	.AMDGPU.csdata,"",@progbits
; Kernel info:
; codeLenInByte = 0
; TotalNumSgprs: 0
; NumVgprs: 0
; ScratchSize: 0
; MemoryBound: 0
; FloatMode: 240
; IeeeMode: 1
; LDSByteSize: 0 bytes/workgroup (compile time only)
; SGPRBlocks: 0
; VGPRBlocks: 0
; NumSGPRsForWavesPerEU: 1
; NumVGPRsForWavesPerEU: 1
; NamedBarCnt: 0
; Occupancy: 16
; WaveLimiterHint : 0
; COMPUTE_PGM_RSRC2:SCRATCH_EN: 0
; COMPUTE_PGM_RSRC2:USER_SGPR: 2
; COMPUTE_PGM_RSRC2:TRAP_HANDLER: 0
; COMPUTE_PGM_RSRC2:TGID_X_EN: 1
; COMPUTE_PGM_RSRC2:TGID_Y_EN: 0
; COMPUTE_PGM_RSRC2:TGID_Z_EN: 0
; COMPUTE_PGM_RSRC2:TIDIG_COMP_CNT: 0
	.section	.text._ZN7rocprim17ROCPRIM_400000_NS6detail17trampoline_kernelINS0_14default_configENS1_27scan_by_key_config_selectorIiiEEZZNS1_16scan_by_key_implILNS1_25lookback_scan_determinismE0ELb1ES3_N6thrust23THRUST_200600_302600_NS6detail15normal_iteratorINS9_10device_ptrIiEEEENSB_INSC_IjEEEESE_iNS9_4plusIvEENS9_8equal_toIvEEiEE10hipError_tPvRmT2_T3_T4_T5_mT6_T7_P12ihipStream_tbENKUlT_T0_E_clISt17integral_constantIbLb0EES10_IbLb1EEEEDaSW_SX_EUlSW_E_NS1_11comp_targetILNS1_3genE9ELNS1_11target_archE1100ELNS1_3gpuE3ELNS1_3repE0EEENS1_30default_config_static_selectorELNS0_4arch9wavefront6targetE0EEEvT1_,"axG",@progbits,_ZN7rocprim17ROCPRIM_400000_NS6detail17trampoline_kernelINS0_14default_configENS1_27scan_by_key_config_selectorIiiEEZZNS1_16scan_by_key_implILNS1_25lookback_scan_determinismE0ELb1ES3_N6thrust23THRUST_200600_302600_NS6detail15normal_iteratorINS9_10device_ptrIiEEEENSB_INSC_IjEEEESE_iNS9_4plusIvEENS9_8equal_toIvEEiEE10hipError_tPvRmT2_T3_T4_T5_mT6_T7_P12ihipStream_tbENKUlT_T0_E_clISt17integral_constantIbLb0EES10_IbLb1EEEEDaSW_SX_EUlSW_E_NS1_11comp_targetILNS1_3genE9ELNS1_11target_archE1100ELNS1_3gpuE3ELNS1_3repE0EEENS1_30default_config_static_selectorELNS0_4arch9wavefront6targetE0EEEvT1_,comdat
	.protected	_ZN7rocprim17ROCPRIM_400000_NS6detail17trampoline_kernelINS0_14default_configENS1_27scan_by_key_config_selectorIiiEEZZNS1_16scan_by_key_implILNS1_25lookback_scan_determinismE0ELb1ES3_N6thrust23THRUST_200600_302600_NS6detail15normal_iteratorINS9_10device_ptrIiEEEENSB_INSC_IjEEEESE_iNS9_4plusIvEENS9_8equal_toIvEEiEE10hipError_tPvRmT2_T3_T4_T5_mT6_T7_P12ihipStream_tbENKUlT_T0_E_clISt17integral_constantIbLb0EES10_IbLb1EEEEDaSW_SX_EUlSW_E_NS1_11comp_targetILNS1_3genE9ELNS1_11target_archE1100ELNS1_3gpuE3ELNS1_3repE0EEENS1_30default_config_static_selectorELNS0_4arch9wavefront6targetE0EEEvT1_ ; -- Begin function _ZN7rocprim17ROCPRIM_400000_NS6detail17trampoline_kernelINS0_14default_configENS1_27scan_by_key_config_selectorIiiEEZZNS1_16scan_by_key_implILNS1_25lookback_scan_determinismE0ELb1ES3_N6thrust23THRUST_200600_302600_NS6detail15normal_iteratorINS9_10device_ptrIiEEEENSB_INSC_IjEEEESE_iNS9_4plusIvEENS9_8equal_toIvEEiEE10hipError_tPvRmT2_T3_T4_T5_mT6_T7_P12ihipStream_tbENKUlT_T0_E_clISt17integral_constantIbLb0EES10_IbLb1EEEEDaSW_SX_EUlSW_E_NS1_11comp_targetILNS1_3genE9ELNS1_11target_archE1100ELNS1_3gpuE3ELNS1_3repE0EEENS1_30default_config_static_selectorELNS0_4arch9wavefront6targetE0EEEvT1_
	.globl	_ZN7rocprim17ROCPRIM_400000_NS6detail17trampoline_kernelINS0_14default_configENS1_27scan_by_key_config_selectorIiiEEZZNS1_16scan_by_key_implILNS1_25lookback_scan_determinismE0ELb1ES3_N6thrust23THRUST_200600_302600_NS6detail15normal_iteratorINS9_10device_ptrIiEEEENSB_INSC_IjEEEESE_iNS9_4plusIvEENS9_8equal_toIvEEiEE10hipError_tPvRmT2_T3_T4_T5_mT6_T7_P12ihipStream_tbENKUlT_T0_E_clISt17integral_constantIbLb0EES10_IbLb1EEEEDaSW_SX_EUlSW_E_NS1_11comp_targetILNS1_3genE9ELNS1_11target_archE1100ELNS1_3gpuE3ELNS1_3repE0EEENS1_30default_config_static_selectorELNS0_4arch9wavefront6targetE0EEEvT1_
	.p2align	8
	.type	_ZN7rocprim17ROCPRIM_400000_NS6detail17trampoline_kernelINS0_14default_configENS1_27scan_by_key_config_selectorIiiEEZZNS1_16scan_by_key_implILNS1_25lookback_scan_determinismE0ELb1ES3_N6thrust23THRUST_200600_302600_NS6detail15normal_iteratorINS9_10device_ptrIiEEEENSB_INSC_IjEEEESE_iNS9_4plusIvEENS9_8equal_toIvEEiEE10hipError_tPvRmT2_T3_T4_T5_mT6_T7_P12ihipStream_tbENKUlT_T0_E_clISt17integral_constantIbLb0EES10_IbLb1EEEEDaSW_SX_EUlSW_E_NS1_11comp_targetILNS1_3genE9ELNS1_11target_archE1100ELNS1_3gpuE3ELNS1_3repE0EEENS1_30default_config_static_selectorELNS0_4arch9wavefront6targetE0EEEvT1_,@function
_ZN7rocprim17ROCPRIM_400000_NS6detail17trampoline_kernelINS0_14default_configENS1_27scan_by_key_config_selectorIiiEEZZNS1_16scan_by_key_implILNS1_25lookback_scan_determinismE0ELb1ES3_N6thrust23THRUST_200600_302600_NS6detail15normal_iteratorINS9_10device_ptrIiEEEENSB_INSC_IjEEEESE_iNS9_4plusIvEENS9_8equal_toIvEEiEE10hipError_tPvRmT2_T3_T4_T5_mT6_T7_P12ihipStream_tbENKUlT_T0_E_clISt17integral_constantIbLb0EES10_IbLb1EEEEDaSW_SX_EUlSW_E_NS1_11comp_targetILNS1_3genE9ELNS1_11target_archE1100ELNS1_3gpuE3ELNS1_3repE0EEENS1_30default_config_static_selectorELNS0_4arch9wavefront6targetE0EEEvT1_: ; @_ZN7rocprim17ROCPRIM_400000_NS6detail17trampoline_kernelINS0_14default_configENS1_27scan_by_key_config_selectorIiiEEZZNS1_16scan_by_key_implILNS1_25lookback_scan_determinismE0ELb1ES3_N6thrust23THRUST_200600_302600_NS6detail15normal_iteratorINS9_10device_ptrIiEEEENSB_INSC_IjEEEESE_iNS9_4plusIvEENS9_8equal_toIvEEiEE10hipError_tPvRmT2_T3_T4_T5_mT6_T7_P12ihipStream_tbENKUlT_T0_E_clISt17integral_constantIbLb0EES10_IbLb1EEEEDaSW_SX_EUlSW_E_NS1_11comp_targetILNS1_3genE9ELNS1_11target_archE1100ELNS1_3gpuE3ELNS1_3repE0EEENS1_30default_config_static_selectorELNS0_4arch9wavefront6targetE0EEEvT1_
; %bb.0:
	.section	.rodata,"a",@progbits
	.p2align	6, 0x0
	.amdhsa_kernel _ZN7rocprim17ROCPRIM_400000_NS6detail17trampoline_kernelINS0_14default_configENS1_27scan_by_key_config_selectorIiiEEZZNS1_16scan_by_key_implILNS1_25lookback_scan_determinismE0ELb1ES3_N6thrust23THRUST_200600_302600_NS6detail15normal_iteratorINS9_10device_ptrIiEEEENSB_INSC_IjEEEESE_iNS9_4plusIvEENS9_8equal_toIvEEiEE10hipError_tPvRmT2_T3_T4_T5_mT6_T7_P12ihipStream_tbENKUlT_T0_E_clISt17integral_constantIbLb0EES10_IbLb1EEEEDaSW_SX_EUlSW_E_NS1_11comp_targetILNS1_3genE9ELNS1_11target_archE1100ELNS1_3gpuE3ELNS1_3repE0EEENS1_30default_config_static_selectorELNS0_4arch9wavefront6targetE0EEEvT1_
		.amdhsa_group_segment_fixed_size 0
		.amdhsa_private_segment_fixed_size 0
		.amdhsa_kernarg_size 112
		.amdhsa_user_sgpr_count 2
		.amdhsa_user_sgpr_dispatch_ptr 0
		.amdhsa_user_sgpr_queue_ptr 0
		.amdhsa_user_sgpr_kernarg_segment_ptr 1
		.amdhsa_user_sgpr_dispatch_id 0
		.amdhsa_user_sgpr_kernarg_preload_length 0
		.amdhsa_user_sgpr_kernarg_preload_offset 0
		.amdhsa_user_sgpr_private_segment_size 0
		.amdhsa_wavefront_size32 1
		.amdhsa_uses_dynamic_stack 0
		.amdhsa_enable_private_segment 0
		.amdhsa_system_sgpr_workgroup_id_x 1
		.amdhsa_system_sgpr_workgroup_id_y 0
		.amdhsa_system_sgpr_workgroup_id_z 0
		.amdhsa_system_sgpr_workgroup_info 0
		.amdhsa_system_vgpr_workitem_id 0
		.amdhsa_next_free_vgpr 1
		.amdhsa_next_free_sgpr 1
		.amdhsa_named_barrier_count 0
		.amdhsa_reserve_vcc 0
		.amdhsa_float_round_mode_32 0
		.amdhsa_float_round_mode_16_64 0
		.amdhsa_float_denorm_mode_32 3
		.amdhsa_float_denorm_mode_16_64 3
		.amdhsa_fp16_overflow 0
		.amdhsa_memory_ordered 1
		.amdhsa_forward_progress 1
		.amdhsa_inst_pref_size 0
		.amdhsa_round_robin_scheduling 0
		.amdhsa_exception_fp_ieee_invalid_op 0
		.amdhsa_exception_fp_denorm_src 0
		.amdhsa_exception_fp_ieee_div_zero 0
		.amdhsa_exception_fp_ieee_overflow 0
		.amdhsa_exception_fp_ieee_underflow 0
		.amdhsa_exception_fp_ieee_inexact 0
		.amdhsa_exception_int_div_zero 0
	.end_amdhsa_kernel
	.section	.text._ZN7rocprim17ROCPRIM_400000_NS6detail17trampoline_kernelINS0_14default_configENS1_27scan_by_key_config_selectorIiiEEZZNS1_16scan_by_key_implILNS1_25lookback_scan_determinismE0ELb1ES3_N6thrust23THRUST_200600_302600_NS6detail15normal_iteratorINS9_10device_ptrIiEEEENSB_INSC_IjEEEESE_iNS9_4plusIvEENS9_8equal_toIvEEiEE10hipError_tPvRmT2_T3_T4_T5_mT6_T7_P12ihipStream_tbENKUlT_T0_E_clISt17integral_constantIbLb0EES10_IbLb1EEEEDaSW_SX_EUlSW_E_NS1_11comp_targetILNS1_3genE9ELNS1_11target_archE1100ELNS1_3gpuE3ELNS1_3repE0EEENS1_30default_config_static_selectorELNS0_4arch9wavefront6targetE0EEEvT1_,"axG",@progbits,_ZN7rocprim17ROCPRIM_400000_NS6detail17trampoline_kernelINS0_14default_configENS1_27scan_by_key_config_selectorIiiEEZZNS1_16scan_by_key_implILNS1_25lookback_scan_determinismE0ELb1ES3_N6thrust23THRUST_200600_302600_NS6detail15normal_iteratorINS9_10device_ptrIiEEEENSB_INSC_IjEEEESE_iNS9_4plusIvEENS9_8equal_toIvEEiEE10hipError_tPvRmT2_T3_T4_T5_mT6_T7_P12ihipStream_tbENKUlT_T0_E_clISt17integral_constantIbLb0EES10_IbLb1EEEEDaSW_SX_EUlSW_E_NS1_11comp_targetILNS1_3genE9ELNS1_11target_archE1100ELNS1_3gpuE3ELNS1_3repE0EEENS1_30default_config_static_selectorELNS0_4arch9wavefront6targetE0EEEvT1_,comdat
.Lfunc_end1786:
	.size	_ZN7rocprim17ROCPRIM_400000_NS6detail17trampoline_kernelINS0_14default_configENS1_27scan_by_key_config_selectorIiiEEZZNS1_16scan_by_key_implILNS1_25lookback_scan_determinismE0ELb1ES3_N6thrust23THRUST_200600_302600_NS6detail15normal_iteratorINS9_10device_ptrIiEEEENSB_INSC_IjEEEESE_iNS9_4plusIvEENS9_8equal_toIvEEiEE10hipError_tPvRmT2_T3_T4_T5_mT6_T7_P12ihipStream_tbENKUlT_T0_E_clISt17integral_constantIbLb0EES10_IbLb1EEEEDaSW_SX_EUlSW_E_NS1_11comp_targetILNS1_3genE9ELNS1_11target_archE1100ELNS1_3gpuE3ELNS1_3repE0EEENS1_30default_config_static_selectorELNS0_4arch9wavefront6targetE0EEEvT1_, .Lfunc_end1786-_ZN7rocprim17ROCPRIM_400000_NS6detail17trampoline_kernelINS0_14default_configENS1_27scan_by_key_config_selectorIiiEEZZNS1_16scan_by_key_implILNS1_25lookback_scan_determinismE0ELb1ES3_N6thrust23THRUST_200600_302600_NS6detail15normal_iteratorINS9_10device_ptrIiEEEENSB_INSC_IjEEEESE_iNS9_4plusIvEENS9_8equal_toIvEEiEE10hipError_tPvRmT2_T3_T4_T5_mT6_T7_P12ihipStream_tbENKUlT_T0_E_clISt17integral_constantIbLb0EES10_IbLb1EEEEDaSW_SX_EUlSW_E_NS1_11comp_targetILNS1_3genE9ELNS1_11target_archE1100ELNS1_3gpuE3ELNS1_3repE0EEENS1_30default_config_static_selectorELNS0_4arch9wavefront6targetE0EEEvT1_
                                        ; -- End function
	.set _ZN7rocprim17ROCPRIM_400000_NS6detail17trampoline_kernelINS0_14default_configENS1_27scan_by_key_config_selectorIiiEEZZNS1_16scan_by_key_implILNS1_25lookback_scan_determinismE0ELb1ES3_N6thrust23THRUST_200600_302600_NS6detail15normal_iteratorINS9_10device_ptrIiEEEENSB_INSC_IjEEEESE_iNS9_4plusIvEENS9_8equal_toIvEEiEE10hipError_tPvRmT2_T3_T4_T5_mT6_T7_P12ihipStream_tbENKUlT_T0_E_clISt17integral_constantIbLb0EES10_IbLb1EEEEDaSW_SX_EUlSW_E_NS1_11comp_targetILNS1_3genE9ELNS1_11target_archE1100ELNS1_3gpuE3ELNS1_3repE0EEENS1_30default_config_static_selectorELNS0_4arch9wavefront6targetE0EEEvT1_.num_vgpr, 0
	.set _ZN7rocprim17ROCPRIM_400000_NS6detail17trampoline_kernelINS0_14default_configENS1_27scan_by_key_config_selectorIiiEEZZNS1_16scan_by_key_implILNS1_25lookback_scan_determinismE0ELb1ES3_N6thrust23THRUST_200600_302600_NS6detail15normal_iteratorINS9_10device_ptrIiEEEENSB_INSC_IjEEEESE_iNS9_4plusIvEENS9_8equal_toIvEEiEE10hipError_tPvRmT2_T3_T4_T5_mT6_T7_P12ihipStream_tbENKUlT_T0_E_clISt17integral_constantIbLb0EES10_IbLb1EEEEDaSW_SX_EUlSW_E_NS1_11comp_targetILNS1_3genE9ELNS1_11target_archE1100ELNS1_3gpuE3ELNS1_3repE0EEENS1_30default_config_static_selectorELNS0_4arch9wavefront6targetE0EEEvT1_.num_agpr, 0
	.set _ZN7rocprim17ROCPRIM_400000_NS6detail17trampoline_kernelINS0_14default_configENS1_27scan_by_key_config_selectorIiiEEZZNS1_16scan_by_key_implILNS1_25lookback_scan_determinismE0ELb1ES3_N6thrust23THRUST_200600_302600_NS6detail15normal_iteratorINS9_10device_ptrIiEEEENSB_INSC_IjEEEESE_iNS9_4plusIvEENS9_8equal_toIvEEiEE10hipError_tPvRmT2_T3_T4_T5_mT6_T7_P12ihipStream_tbENKUlT_T0_E_clISt17integral_constantIbLb0EES10_IbLb1EEEEDaSW_SX_EUlSW_E_NS1_11comp_targetILNS1_3genE9ELNS1_11target_archE1100ELNS1_3gpuE3ELNS1_3repE0EEENS1_30default_config_static_selectorELNS0_4arch9wavefront6targetE0EEEvT1_.numbered_sgpr, 0
	.set _ZN7rocprim17ROCPRIM_400000_NS6detail17trampoline_kernelINS0_14default_configENS1_27scan_by_key_config_selectorIiiEEZZNS1_16scan_by_key_implILNS1_25lookback_scan_determinismE0ELb1ES3_N6thrust23THRUST_200600_302600_NS6detail15normal_iteratorINS9_10device_ptrIiEEEENSB_INSC_IjEEEESE_iNS9_4plusIvEENS9_8equal_toIvEEiEE10hipError_tPvRmT2_T3_T4_T5_mT6_T7_P12ihipStream_tbENKUlT_T0_E_clISt17integral_constantIbLb0EES10_IbLb1EEEEDaSW_SX_EUlSW_E_NS1_11comp_targetILNS1_3genE9ELNS1_11target_archE1100ELNS1_3gpuE3ELNS1_3repE0EEENS1_30default_config_static_selectorELNS0_4arch9wavefront6targetE0EEEvT1_.num_named_barrier, 0
	.set _ZN7rocprim17ROCPRIM_400000_NS6detail17trampoline_kernelINS0_14default_configENS1_27scan_by_key_config_selectorIiiEEZZNS1_16scan_by_key_implILNS1_25lookback_scan_determinismE0ELb1ES3_N6thrust23THRUST_200600_302600_NS6detail15normal_iteratorINS9_10device_ptrIiEEEENSB_INSC_IjEEEESE_iNS9_4plusIvEENS9_8equal_toIvEEiEE10hipError_tPvRmT2_T3_T4_T5_mT6_T7_P12ihipStream_tbENKUlT_T0_E_clISt17integral_constantIbLb0EES10_IbLb1EEEEDaSW_SX_EUlSW_E_NS1_11comp_targetILNS1_3genE9ELNS1_11target_archE1100ELNS1_3gpuE3ELNS1_3repE0EEENS1_30default_config_static_selectorELNS0_4arch9wavefront6targetE0EEEvT1_.private_seg_size, 0
	.set _ZN7rocprim17ROCPRIM_400000_NS6detail17trampoline_kernelINS0_14default_configENS1_27scan_by_key_config_selectorIiiEEZZNS1_16scan_by_key_implILNS1_25lookback_scan_determinismE0ELb1ES3_N6thrust23THRUST_200600_302600_NS6detail15normal_iteratorINS9_10device_ptrIiEEEENSB_INSC_IjEEEESE_iNS9_4plusIvEENS9_8equal_toIvEEiEE10hipError_tPvRmT2_T3_T4_T5_mT6_T7_P12ihipStream_tbENKUlT_T0_E_clISt17integral_constantIbLb0EES10_IbLb1EEEEDaSW_SX_EUlSW_E_NS1_11comp_targetILNS1_3genE9ELNS1_11target_archE1100ELNS1_3gpuE3ELNS1_3repE0EEENS1_30default_config_static_selectorELNS0_4arch9wavefront6targetE0EEEvT1_.uses_vcc, 0
	.set _ZN7rocprim17ROCPRIM_400000_NS6detail17trampoline_kernelINS0_14default_configENS1_27scan_by_key_config_selectorIiiEEZZNS1_16scan_by_key_implILNS1_25lookback_scan_determinismE0ELb1ES3_N6thrust23THRUST_200600_302600_NS6detail15normal_iteratorINS9_10device_ptrIiEEEENSB_INSC_IjEEEESE_iNS9_4plusIvEENS9_8equal_toIvEEiEE10hipError_tPvRmT2_T3_T4_T5_mT6_T7_P12ihipStream_tbENKUlT_T0_E_clISt17integral_constantIbLb0EES10_IbLb1EEEEDaSW_SX_EUlSW_E_NS1_11comp_targetILNS1_3genE9ELNS1_11target_archE1100ELNS1_3gpuE3ELNS1_3repE0EEENS1_30default_config_static_selectorELNS0_4arch9wavefront6targetE0EEEvT1_.uses_flat_scratch, 0
	.set _ZN7rocprim17ROCPRIM_400000_NS6detail17trampoline_kernelINS0_14default_configENS1_27scan_by_key_config_selectorIiiEEZZNS1_16scan_by_key_implILNS1_25lookback_scan_determinismE0ELb1ES3_N6thrust23THRUST_200600_302600_NS6detail15normal_iteratorINS9_10device_ptrIiEEEENSB_INSC_IjEEEESE_iNS9_4plusIvEENS9_8equal_toIvEEiEE10hipError_tPvRmT2_T3_T4_T5_mT6_T7_P12ihipStream_tbENKUlT_T0_E_clISt17integral_constantIbLb0EES10_IbLb1EEEEDaSW_SX_EUlSW_E_NS1_11comp_targetILNS1_3genE9ELNS1_11target_archE1100ELNS1_3gpuE3ELNS1_3repE0EEENS1_30default_config_static_selectorELNS0_4arch9wavefront6targetE0EEEvT1_.has_dyn_sized_stack, 0
	.set _ZN7rocprim17ROCPRIM_400000_NS6detail17trampoline_kernelINS0_14default_configENS1_27scan_by_key_config_selectorIiiEEZZNS1_16scan_by_key_implILNS1_25lookback_scan_determinismE0ELb1ES3_N6thrust23THRUST_200600_302600_NS6detail15normal_iteratorINS9_10device_ptrIiEEEENSB_INSC_IjEEEESE_iNS9_4plusIvEENS9_8equal_toIvEEiEE10hipError_tPvRmT2_T3_T4_T5_mT6_T7_P12ihipStream_tbENKUlT_T0_E_clISt17integral_constantIbLb0EES10_IbLb1EEEEDaSW_SX_EUlSW_E_NS1_11comp_targetILNS1_3genE9ELNS1_11target_archE1100ELNS1_3gpuE3ELNS1_3repE0EEENS1_30default_config_static_selectorELNS0_4arch9wavefront6targetE0EEEvT1_.has_recursion, 0
	.set _ZN7rocprim17ROCPRIM_400000_NS6detail17trampoline_kernelINS0_14default_configENS1_27scan_by_key_config_selectorIiiEEZZNS1_16scan_by_key_implILNS1_25lookback_scan_determinismE0ELb1ES3_N6thrust23THRUST_200600_302600_NS6detail15normal_iteratorINS9_10device_ptrIiEEEENSB_INSC_IjEEEESE_iNS9_4plusIvEENS9_8equal_toIvEEiEE10hipError_tPvRmT2_T3_T4_T5_mT6_T7_P12ihipStream_tbENKUlT_T0_E_clISt17integral_constantIbLb0EES10_IbLb1EEEEDaSW_SX_EUlSW_E_NS1_11comp_targetILNS1_3genE9ELNS1_11target_archE1100ELNS1_3gpuE3ELNS1_3repE0EEENS1_30default_config_static_selectorELNS0_4arch9wavefront6targetE0EEEvT1_.has_indirect_call, 0
	.section	.AMDGPU.csdata,"",@progbits
; Kernel info:
; codeLenInByte = 0
; TotalNumSgprs: 0
; NumVgprs: 0
; ScratchSize: 0
; MemoryBound: 0
; FloatMode: 240
; IeeeMode: 1
; LDSByteSize: 0 bytes/workgroup (compile time only)
; SGPRBlocks: 0
; VGPRBlocks: 0
; NumSGPRsForWavesPerEU: 1
; NumVGPRsForWavesPerEU: 1
; NamedBarCnt: 0
; Occupancy: 16
; WaveLimiterHint : 0
; COMPUTE_PGM_RSRC2:SCRATCH_EN: 0
; COMPUTE_PGM_RSRC2:USER_SGPR: 2
; COMPUTE_PGM_RSRC2:TRAP_HANDLER: 0
; COMPUTE_PGM_RSRC2:TGID_X_EN: 1
; COMPUTE_PGM_RSRC2:TGID_Y_EN: 0
; COMPUTE_PGM_RSRC2:TGID_Z_EN: 0
; COMPUTE_PGM_RSRC2:TIDIG_COMP_CNT: 0
	.section	.text._ZN7rocprim17ROCPRIM_400000_NS6detail17trampoline_kernelINS0_14default_configENS1_27scan_by_key_config_selectorIiiEEZZNS1_16scan_by_key_implILNS1_25lookback_scan_determinismE0ELb1ES3_N6thrust23THRUST_200600_302600_NS6detail15normal_iteratorINS9_10device_ptrIiEEEENSB_INSC_IjEEEESE_iNS9_4plusIvEENS9_8equal_toIvEEiEE10hipError_tPvRmT2_T3_T4_T5_mT6_T7_P12ihipStream_tbENKUlT_T0_E_clISt17integral_constantIbLb0EES10_IbLb1EEEEDaSW_SX_EUlSW_E_NS1_11comp_targetILNS1_3genE8ELNS1_11target_archE1030ELNS1_3gpuE2ELNS1_3repE0EEENS1_30default_config_static_selectorELNS0_4arch9wavefront6targetE0EEEvT1_,"axG",@progbits,_ZN7rocprim17ROCPRIM_400000_NS6detail17trampoline_kernelINS0_14default_configENS1_27scan_by_key_config_selectorIiiEEZZNS1_16scan_by_key_implILNS1_25lookback_scan_determinismE0ELb1ES3_N6thrust23THRUST_200600_302600_NS6detail15normal_iteratorINS9_10device_ptrIiEEEENSB_INSC_IjEEEESE_iNS9_4plusIvEENS9_8equal_toIvEEiEE10hipError_tPvRmT2_T3_T4_T5_mT6_T7_P12ihipStream_tbENKUlT_T0_E_clISt17integral_constantIbLb0EES10_IbLb1EEEEDaSW_SX_EUlSW_E_NS1_11comp_targetILNS1_3genE8ELNS1_11target_archE1030ELNS1_3gpuE2ELNS1_3repE0EEENS1_30default_config_static_selectorELNS0_4arch9wavefront6targetE0EEEvT1_,comdat
	.protected	_ZN7rocprim17ROCPRIM_400000_NS6detail17trampoline_kernelINS0_14default_configENS1_27scan_by_key_config_selectorIiiEEZZNS1_16scan_by_key_implILNS1_25lookback_scan_determinismE0ELb1ES3_N6thrust23THRUST_200600_302600_NS6detail15normal_iteratorINS9_10device_ptrIiEEEENSB_INSC_IjEEEESE_iNS9_4plusIvEENS9_8equal_toIvEEiEE10hipError_tPvRmT2_T3_T4_T5_mT6_T7_P12ihipStream_tbENKUlT_T0_E_clISt17integral_constantIbLb0EES10_IbLb1EEEEDaSW_SX_EUlSW_E_NS1_11comp_targetILNS1_3genE8ELNS1_11target_archE1030ELNS1_3gpuE2ELNS1_3repE0EEENS1_30default_config_static_selectorELNS0_4arch9wavefront6targetE0EEEvT1_ ; -- Begin function _ZN7rocprim17ROCPRIM_400000_NS6detail17trampoline_kernelINS0_14default_configENS1_27scan_by_key_config_selectorIiiEEZZNS1_16scan_by_key_implILNS1_25lookback_scan_determinismE0ELb1ES3_N6thrust23THRUST_200600_302600_NS6detail15normal_iteratorINS9_10device_ptrIiEEEENSB_INSC_IjEEEESE_iNS9_4plusIvEENS9_8equal_toIvEEiEE10hipError_tPvRmT2_T3_T4_T5_mT6_T7_P12ihipStream_tbENKUlT_T0_E_clISt17integral_constantIbLb0EES10_IbLb1EEEEDaSW_SX_EUlSW_E_NS1_11comp_targetILNS1_3genE8ELNS1_11target_archE1030ELNS1_3gpuE2ELNS1_3repE0EEENS1_30default_config_static_selectorELNS0_4arch9wavefront6targetE0EEEvT1_
	.globl	_ZN7rocprim17ROCPRIM_400000_NS6detail17trampoline_kernelINS0_14default_configENS1_27scan_by_key_config_selectorIiiEEZZNS1_16scan_by_key_implILNS1_25lookback_scan_determinismE0ELb1ES3_N6thrust23THRUST_200600_302600_NS6detail15normal_iteratorINS9_10device_ptrIiEEEENSB_INSC_IjEEEESE_iNS9_4plusIvEENS9_8equal_toIvEEiEE10hipError_tPvRmT2_T3_T4_T5_mT6_T7_P12ihipStream_tbENKUlT_T0_E_clISt17integral_constantIbLb0EES10_IbLb1EEEEDaSW_SX_EUlSW_E_NS1_11comp_targetILNS1_3genE8ELNS1_11target_archE1030ELNS1_3gpuE2ELNS1_3repE0EEENS1_30default_config_static_selectorELNS0_4arch9wavefront6targetE0EEEvT1_
	.p2align	8
	.type	_ZN7rocprim17ROCPRIM_400000_NS6detail17trampoline_kernelINS0_14default_configENS1_27scan_by_key_config_selectorIiiEEZZNS1_16scan_by_key_implILNS1_25lookback_scan_determinismE0ELb1ES3_N6thrust23THRUST_200600_302600_NS6detail15normal_iteratorINS9_10device_ptrIiEEEENSB_INSC_IjEEEESE_iNS9_4plusIvEENS9_8equal_toIvEEiEE10hipError_tPvRmT2_T3_T4_T5_mT6_T7_P12ihipStream_tbENKUlT_T0_E_clISt17integral_constantIbLb0EES10_IbLb1EEEEDaSW_SX_EUlSW_E_NS1_11comp_targetILNS1_3genE8ELNS1_11target_archE1030ELNS1_3gpuE2ELNS1_3repE0EEENS1_30default_config_static_selectorELNS0_4arch9wavefront6targetE0EEEvT1_,@function
_ZN7rocprim17ROCPRIM_400000_NS6detail17trampoline_kernelINS0_14default_configENS1_27scan_by_key_config_selectorIiiEEZZNS1_16scan_by_key_implILNS1_25lookback_scan_determinismE0ELb1ES3_N6thrust23THRUST_200600_302600_NS6detail15normal_iteratorINS9_10device_ptrIiEEEENSB_INSC_IjEEEESE_iNS9_4plusIvEENS9_8equal_toIvEEiEE10hipError_tPvRmT2_T3_T4_T5_mT6_T7_P12ihipStream_tbENKUlT_T0_E_clISt17integral_constantIbLb0EES10_IbLb1EEEEDaSW_SX_EUlSW_E_NS1_11comp_targetILNS1_3genE8ELNS1_11target_archE1030ELNS1_3gpuE2ELNS1_3repE0EEENS1_30default_config_static_selectorELNS0_4arch9wavefront6targetE0EEEvT1_: ; @_ZN7rocprim17ROCPRIM_400000_NS6detail17trampoline_kernelINS0_14default_configENS1_27scan_by_key_config_selectorIiiEEZZNS1_16scan_by_key_implILNS1_25lookback_scan_determinismE0ELb1ES3_N6thrust23THRUST_200600_302600_NS6detail15normal_iteratorINS9_10device_ptrIiEEEENSB_INSC_IjEEEESE_iNS9_4plusIvEENS9_8equal_toIvEEiEE10hipError_tPvRmT2_T3_T4_T5_mT6_T7_P12ihipStream_tbENKUlT_T0_E_clISt17integral_constantIbLb0EES10_IbLb1EEEEDaSW_SX_EUlSW_E_NS1_11comp_targetILNS1_3genE8ELNS1_11target_archE1030ELNS1_3gpuE2ELNS1_3repE0EEENS1_30default_config_static_selectorELNS0_4arch9wavefront6targetE0EEEvT1_
; %bb.0:
	.section	.rodata,"a",@progbits
	.p2align	6, 0x0
	.amdhsa_kernel _ZN7rocprim17ROCPRIM_400000_NS6detail17trampoline_kernelINS0_14default_configENS1_27scan_by_key_config_selectorIiiEEZZNS1_16scan_by_key_implILNS1_25lookback_scan_determinismE0ELb1ES3_N6thrust23THRUST_200600_302600_NS6detail15normal_iteratorINS9_10device_ptrIiEEEENSB_INSC_IjEEEESE_iNS9_4plusIvEENS9_8equal_toIvEEiEE10hipError_tPvRmT2_T3_T4_T5_mT6_T7_P12ihipStream_tbENKUlT_T0_E_clISt17integral_constantIbLb0EES10_IbLb1EEEEDaSW_SX_EUlSW_E_NS1_11comp_targetILNS1_3genE8ELNS1_11target_archE1030ELNS1_3gpuE2ELNS1_3repE0EEENS1_30default_config_static_selectorELNS0_4arch9wavefront6targetE0EEEvT1_
		.amdhsa_group_segment_fixed_size 0
		.amdhsa_private_segment_fixed_size 0
		.amdhsa_kernarg_size 112
		.amdhsa_user_sgpr_count 2
		.amdhsa_user_sgpr_dispatch_ptr 0
		.amdhsa_user_sgpr_queue_ptr 0
		.amdhsa_user_sgpr_kernarg_segment_ptr 1
		.amdhsa_user_sgpr_dispatch_id 0
		.amdhsa_user_sgpr_kernarg_preload_length 0
		.amdhsa_user_sgpr_kernarg_preload_offset 0
		.amdhsa_user_sgpr_private_segment_size 0
		.amdhsa_wavefront_size32 1
		.amdhsa_uses_dynamic_stack 0
		.amdhsa_enable_private_segment 0
		.amdhsa_system_sgpr_workgroup_id_x 1
		.amdhsa_system_sgpr_workgroup_id_y 0
		.amdhsa_system_sgpr_workgroup_id_z 0
		.amdhsa_system_sgpr_workgroup_info 0
		.amdhsa_system_vgpr_workitem_id 0
		.amdhsa_next_free_vgpr 1
		.amdhsa_next_free_sgpr 1
		.amdhsa_named_barrier_count 0
		.amdhsa_reserve_vcc 0
		.amdhsa_float_round_mode_32 0
		.amdhsa_float_round_mode_16_64 0
		.amdhsa_float_denorm_mode_32 3
		.amdhsa_float_denorm_mode_16_64 3
		.amdhsa_fp16_overflow 0
		.amdhsa_memory_ordered 1
		.amdhsa_forward_progress 1
		.amdhsa_inst_pref_size 0
		.amdhsa_round_robin_scheduling 0
		.amdhsa_exception_fp_ieee_invalid_op 0
		.amdhsa_exception_fp_denorm_src 0
		.amdhsa_exception_fp_ieee_div_zero 0
		.amdhsa_exception_fp_ieee_overflow 0
		.amdhsa_exception_fp_ieee_underflow 0
		.amdhsa_exception_fp_ieee_inexact 0
		.amdhsa_exception_int_div_zero 0
	.end_amdhsa_kernel
	.section	.text._ZN7rocprim17ROCPRIM_400000_NS6detail17trampoline_kernelINS0_14default_configENS1_27scan_by_key_config_selectorIiiEEZZNS1_16scan_by_key_implILNS1_25lookback_scan_determinismE0ELb1ES3_N6thrust23THRUST_200600_302600_NS6detail15normal_iteratorINS9_10device_ptrIiEEEENSB_INSC_IjEEEESE_iNS9_4plusIvEENS9_8equal_toIvEEiEE10hipError_tPvRmT2_T3_T4_T5_mT6_T7_P12ihipStream_tbENKUlT_T0_E_clISt17integral_constantIbLb0EES10_IbLb1EEEEDaSW_SX_EUlSW_E_NS1_11comp_targetILNS1_3genE8ELNS1_11target_archE1030ELNS1_3gpuE2ELNS1_3repE0EEENS1_30default_config_static_selectorELNS0_4arch9wavefront6targetE0EEEvT1_,"axG",@progbits,_ZN7rocprim17ROCPRIM_400000_NS6detail17trampoline_kernelINS0_14default_configENS1_27scan_by_key_config_selectorIiiEEZZNS1_16scan_by_key_implILNS1_25lookback_scan_determinismE0ELb1ES3_N6thrust23THRUST_200600_302600_NS6detail15normal_iteratorINS9_10device_ptrIiEEEENSB_INSC_IjEEEESE_iNS9_4plusIvEENS9_8equal_toIvEEiEE10hipError_tPvRmT2_T3_T4_T5_mT6_T7_P12ihipStream_tbENKUlT_T0_E_clISt17integral_constantIbLb0EES10_IbLb1EEEEDaSW_SX_EUlSW_E_NS1_11comp_targetILNS1_3genE8ELNS1_11target_archE1030ELNS1_3gpuE2ELNS1_3repE0EEENS1_30default_config_static_selectorELNS0_4arch9wavefront6targetE0EEEvT1_,comdat
.Lfunc_end1787:
	.size	_ZN7rocprim17ROCPRIM_400000_NS6detail17trampoline_kernelINS0_14default_configENS1_27scan_by_key_config_selectorIiiEEZZNS1_16scan_by_key_implILNS1_25lookback_scan_determinismE0ELb1ES3_N6thrust23THRUST_200600_302600_NS6detail15normal_iteratorINS9_10device_ptrIiEEEENSB_INSC_IjEEEESE_iNS9_4plusIvEENS9_8equal_toIvEEiEE10hipError_tPvRmT2_T3_T4_T5_mT6_T7_P12ihipStream_tbENKUlT_T0_E_clISt17integral_constantIbLb0EES10_IbLb1EEEEDaSW_SX_EUlSW_E_NS1_11comp_targetILNS1_3genE8ELNS1_11target_archE1030ELNS1_3gpuE2ELNS1_3repE0EEENS1_30default_config_static_selectorELNS0_4arch9wavefront6targetE0EEEvT1_, .Lfunc_end1787-_ZN7rocprim17ROCPRIM_400000_NS6detail17trampoline_kernelINS0_14default_configENS1_27scan_by_key_config_selectorIiiEEZZNS1_16scan_by_key_implILNS1_25lookback_scan_determinismE0ELb1ES3_N6thrust23THRUST_200600_302600_NS6detail15normal_iteratorINS9_10device_ptrIiEEEENSB_INSC_IjEEEESE_iNS9_4plusIvEENS9_8equal_toIvEEiEE10hipError_tPvRmT2_T3_T4_T5_mT6_T7_P12ihipStream_tbENKUlT_T0_E_clISt17integral_constantIbLb0EES10_IbLb1EEEEDaSW_SX_EUlSW_E_NS1_11comp_targetILNS1_3genE8ELNS1_11target_archE1030ELNS1_3gpuE2ELNS1_3repE0EEENS1_30default_config_static_selectorELNS0_4arch9wavefront6targetE0EEEvT1_
                                        ; -- End function
	.set _ZN7rocprim17ROCPRIM_400000_NS6detail17trampoline_kernelINS0_14default_configENS1_27scan_by_key_config_selectorIiiEEZZNS1_16scan_by_key_implILNS1_25lookback_scan_determinismE0ELb1ES3_N6thrust23THRUST_200600_302600_NS6detail15normal_iteratorINS9_10device_ptrIiEEEENSB_INSC_IjEEEESE_iNS9_4plusIvEENS9_8equal_toIvEEiEE10hipError_tPvRmT2_T3_T4_T5_mT6_T7_P12ihipStream_tbENKUlT_T0_E_clISt17integral_constantIbLb0EES10_IbLb1EEEEDaSW_SX_EUlSW_E_NS1_11comp_targetILNS1_3genE8ELNS1_11target_archE1030ELNS1_3gpuE2ELNS1_3repE0EEENS1_30default_config_static_selectorELNS0_4arch9wavefront6targetE0EEEvT1_.num_vgpr, 0
	.set _ZN7rocprim17ROCPRIM_400000_NS6detail17trampoline_kernelINS0_14default_configENS1_27scan_by_key_config_selectorIiiEEZZNS1_16scan_by_key_implILNS1_25lookback_scan_determinismE0ELb1ES3_N6thrust23THRUST_200600_302600_NS6detail15normal_iteratorINS9_10device_ptrIiEEEENSB_INSC_IjEEEESE_iNS9_4plusIvEENS9_8equal_toIvEEiEE10hipError_tPvRmT2_T3_T4_T5_mT6_T7_P12ihipStream_tbENKUlT_T0_E_clISt17integral_constantIbLb0EES10_IbLb1EEEEDaSW_SX_EUlSW_E_NS1_11comp_targetILNS1_3genE8ELNS1_11target_archE1030ELNS1_3gpuE2ELNS1_3repE0EEENS1_30default_config_static_selectorELNS0_4arch9wavefront6targetE0EEEvT1_.num_agpr, 0
	.set _ZN7rocprim17ROCPRIM_400000_NS6detail17trampoline_kernelINS0_14default_configENS1_27scan_by_key_config_selectorIiiEEZZNS1_16scan_by_key_implILNS1_25lookback_scan_determinismE0ELb1ES3_N6thrust23THRUST_200600_302600_NS6detail15normal_iteratorINS9_10device_ptrIiEEEENSB_INSC_IjEEEESE_iNS9_4plusIvEENS9_8equal_toIvEEiEE10hipError_tPvRmT2_T3_T4_T5_mT6_T7_P12ihipStream_tbENKUlT_T0_E_clISt17integral_constantIbLb0EES10_IbLb1EEEEDaSW_SX_EUlSW_E_NS1_11comp_targetILNS1_3genE8ELNS1_11target_archE1030ELNS1_3gpuE2ELNS1_3repE0EEENS1_30default_config_static_selectorELNS0_4arch9wavefront6targetE0EEEvT1_.numbered_sgpr, 0
	.set _ZN7rocprim17ROCPRIM_400000_NS6detail17trampoline_kernelINS0_14default_configENS1_27scan_by_key_config_selectorIiiEEZZNS1_16scan_by_key_implILNS1_25lookback_scan_determinismE0ELb1ES3_N6thrust23THRUST_200600_302600_NS6detail15normal_iteratorINS9_10device_ptrIiEEEENSB_INSC_IjEEEESE_iNS9_4plusIvEENS9_8equal_toIvEEiEE10hipError_tPvRmT2_T3_T4_T5_mT6_T7_P12ihipStream_tbENKUlT_T0_E_clISt17integral_constantIbLb0EES10_IbLb1EEEEDaSW_SX_EUlSW_E_NS1_11comp_targetILNS1_3genE8ELNS1_11target_archE1030ELNS1_3gpuE2ELNS1_3repE0EEENS1_30default_config_static_selectorELNS0_4arch9wavefront6targetE0EEEvT1_.num_named_barrier, 0
	.set _ZN7rocprim17ROCPRIM_400000_NS6detail17trampoline_kernelINS0_14default_configENS1_27scan_by_key_config_selectorIiiEEZZNS1_16scan_by_key_implILNS1_25lookback_scan_determinismE0ELb1ES3_N6thrust23THRUST_200600_302600_NS6detail15normal_iteratorINS9_10device_ptrIiEEEENSB_INSC_IjEEEESE_iNS9_4plusIvEENS9_8equal_toIvEEiEE10hipError_tPvRmT2_T3_T4_T5_mT6_T7_P12ihipStream_tbENKUlT_T0_E_clISt17integral_constantIbLb0EES10_IbLb1EEEEDaSW_SX_EUlSW_E_NS1_11comp_targetILNS1_3genE8ELNS1_11target_archE1030ELNS1_3gpuE2ELNS1_3repE0EEENS1_30default_config_static_selectorELNS0_4arch9wavefront6targetE0EEEvT1_.private_seg_size, 0
	.set _ZN7rocprim17ROCPRIM_400000_NS6detail17trampoline_kernelINS0_14default_configENS1_27scan_by_key_config_selectorIiiEEZZNS1_16scan_by_key_implILNS1_25lookback_scan_determinismE0ELb1ES3_N6thrust23THRUST_200600_302600_NS6detail15normal_iteratorINS9_10device_ptrIiEEEENSB_INSC_IjEEEESE_iNS9_4plusIvEENS9_8equal_toIvEEiEE10hipError_tPvRmT2_T3_T4_T5_mT6_T7_P12ihipStream_tbENKUlT_T0_E_clISt17integral_constantIbLb0EES10_IbLb1EEEEDaSW_SX_EUlSW_E_NS1_11comp_targetILNS1_3genE8ELNS1_11target_archE1030ELNS1_3gpuE2ELNS1_3repE0EEENS1_30default_config_static_selectorELNS0_4arch9wavefront6targetE0EEEvT1_.uses_vcc, 0
	.set _ZN7rocprim17ROCPRIM_400000_NS6detail17trampoline_kernelINS0_14default_configENS1_27scan_by_key_config_selectorIiiEEZZNS1_16scan_by_key_implILNS1_25lookback_scan_determinismE0ELb1ES3_N6thrust23THRUST_200600_302600_NS6detail15normal_iteratorINS9_10device_ptrIiEEEENSB_INSC_IjEEEESE_iNS9_4plusIvEENS9_8equal_toIvEEiEE10hipError_tPvRmT2_T3_T4_T5_mT6_T7_P12ihipStream_tbENKUlT_T0_E_clISt17integral_constantIbLb0EES10_IbLb1EEEEDaSW_SX_EUlSW_E_NS1_11comp_targetILNS1_3genE8ELNS1_11target_archE1030ELNS1_3gpuE2ELNS1_3repE0EEENS1_30default_config_static_selectorELNS0_4arch9wavefront6targetE0EEEvT1_.uses_flat_scratch, 0
	.set _ZN7rocprim17ROCPRIM_400000_NS6detail17trampoline_kernelINS0_14default_configENS1_27scan_by_key_config_selectorIiiEEZZNS1_16scan_by_key_implILNS1_25lookback_scan_determinismE0ELb1ES3_N6thrust23THRUST_200600_302600_NS6detail15normal_iteratorINS9_10device_ptrIiEEEENSB_INSC_IjEEEESE_iNS9_4plusIvEENS9_8equal_toIvEEiEE10hipError_tPvRmT2_T3_T4_T5_mT6_T7_P12ihipStream_tbENKUlT_T0_E_clISt17integral_constantIbLb0EES10_IbLb1EEEEDaSW_SX_EUlSW_E_NS1_11comp_targetILNS1_3genE8ELNS1_11target_archE1030ELNS1_3gpuE2ELNS1_3repE0EEENS1_30default_config_static_selectorELNS0_4arch9wavefront6targetE0EEEvT1_.has_dyn_sized_stack, 0
	.set _ZN7rocprim17ROCPRIM_400000_NS6detail17trampoline_kernelINS0_14default_configENS1_27scan_by_key_config_selectorIiiEEZZNS1_16scan_by_key_implILNS1_25lookback_scan_determinismE0ELb1ES3_N6thrust23THRUST_200600_302600_NS6detail15normal_iteratorINS9_10device_ptrIiEEEENSB_INSC_IjEEEESE_iNS9_4plusIvEENS9_8equal_toIvEEiEE10hipError_tPvRmT2_T3_T4_T5_mT6_T7_P12ihipStream_tbENKUlT_T0_E_clISt17integral_constantIbLb0EES10_IbLb1EEEEDaSW_SX_EUlSW_E_NS1_11comp_targetILNS1_3genE8ELNS1_11target_archE1030ELNS1_3gpuE2ELNS1_3repE0EEENS1_30default_config_static_selectorELNS0_4arch9wavefront6targetE0EEEvT1_.has_recursion, 0
	.set _ZN7rocprim17ROCPRIM_400000_NS6detail17trampoline_kernelINS0_14default_configENS1_27scan_by_key_config_selectorIiiEEZZNS1_16scan_by_key_implILNS1_25lookback_scan_determinismE0ELb1ES3_N6thrust23THRUST_200600_302600_NS6detail15normal_iteratorINS9_10device_ptrIiEEEENSB_INSC_IjEEEESE_iNS9_4plusIvEENS9_8equal_toIvEEiEE10hipError_tPvRmT2_T3_T4_T5_mT6_T7_P12ihipStream_tbENKUlT_T0_E_clISt17integral_constantIbLb0EES10_IbLb1EEEEDaSW_SX_EUlSW_E_NS1_11comp_targetILNS1_3genE8ELNS1_11target_archE1030ELNS1_3gpuE2ELNS1_3repE0EEENS1_30default_config_static_selectorELNS0_4arch9wavefront6targetE0EEEvT1_.has_indirect_call, 0
	.section	.AMDGPU.csdata,"",@progbits
; Kernel info:
; codeLenInByte = 0
; TotalNumSgprs: 0
; NumVgprs: 0
; ScratchSize: 0
; MemoryBound: 0
; FloatMode: 240
; IeeeMode: 1
; LDSByteSize: 0 bytes/workgroup (compile time only)
; SGPRBlocks: 0
; VGPRBlocks: 0
; NumSGPRsForWavesPerEU: 1
; NumVGPRsForWavesPerEU: 1
; NamedBarCnt: 0
; Occupancy: 16
; WaveLimiterHint : 0
; COMPUTE_PGM_RSRC2:SCRATCH_EN: 0
; COMPUTE_PGM_RSRC2:USER_SGPR: 2
; COMPUTE_PGM_RSRC2:TRAP_HANDLER: 0
; COMPUTE_PGM_RSRC2:TGID_X_EN: 1
; COMPUTE_PGM_RSRC2:TGID_Y_EN: 0
; COMPUTE_PGM_RSRC2:TGID_Z_EN: 0
; COMPUTE_PGM_RSRC2:TIDIG_COMP_CNT: 0
	.section	.text._ZN7rocprim17ROCPRIM_400000_NS6detail17trampoline_kernelINS0_14default_configENS1_27scan_by_key_config_selectorIifEEZZNS1_16scan_by_key_implILNS1_25lookback_scan_determinismE0ELb1ES3_N6thrust23THRUST_200600_302600_NS6detail15normal_iteratorINS9_10device_ptrIiEEEENSB_INSC_IjEEEESE_fNS9_4plusIvEENS9_8equal_toIvEEfEE10hipError_tPvRmT2_T3_T4_T5_mT6_T7_P12ihipStream_tbENKUlT_T0_E_clISt17integral_constantIbLb0EES11_EEDaSW_SX_EUlSW_E_NS1_11comp_targetILNS1_3genE0ELNS1_11target_archE4294967295ELNS1_3gpuE0ELNS1_3repE0EEENS1_30default_config_static_selectorELNS0_4arch9wavefront6targetE0EEEvT1_,"axG",@progbits,_ZN7rocprim17ROCPRIM_400000_NS6detail17trampoline_kernelINS0_14default_configENS1_27scan_by_key_config_selectorIifEEZZNS1_16scan_by_key_implILNS1_25lookback_scan_determinismE0ELb1ES3_N6thrust23THRUST_200600_302600_NS6detail15normal_iteratorINS9_10device_ptrIiEEEENSB_INSC_IjEEEESE_fNS9_4plusIvEENS9_8equal_toIvEEfEE10hipError_tPvRmT2_T3_T4_T5_mT6_T7_P12ihipStream_tbENKUlT_T0_E_clISt17integral_constantIbLb0EES11_EEDaSW_SX_EUlSW_E_NS1_11comp_targetILNS1_3genE0ELNS1_11target_archE4294967295ELNS1_3gpuE0ELNS1_3repE0EEENS1_30default_config_static_selectorELNS0_4arch9wavefront6targetE0EEEvT1_,comdat
	.protected	_ZN7rocprim17ROCPRIM_400000_NS6detail17trampoline_kernelINS0_14default_configENS1_27scan_by_key_config_selectorIifEEZZNS1_16scan_by_key_implILNS1_25lookback_scan_determinismE0ELb1ES3_N6thrust23THRUST_200600_302600_NS6detail15normal_iteratorINS9_10device_ptrIiEEEENSB_INSC_IjEEEESE_fNS9_4plusIvEENS9_8equal_toIvEEfEE10hipError_tPvRmT2_T3_T4_T5_mT6_T7_P12ihipStream_tbENKUlT_T0_E_clISt17integral_constantIbLb0EES11_EEDaSW_SX_EUlSW_E_NS1_11comp_targetILNS1_3genE0ELNS1_11target_archE4294967295ELNS1_3gpuE0ELNS1_3repE0EEENS1_30default_config_static_selectorELNS0_4arch9wavefront6targetE0EEEvT1_ ; -- Begin function _ZN7rocprim17ROCPRIM_400000_NS6detail17trampoline_kernelINS0_14default_configENS1_27scan_by_key_config_selectorIifEEZZNS1_16scan_by_key_implILNS1_25lookback_scan_determinismE0ELb1ES3_N6thrust23THRUST_200600_302600_NS6detail15normal_iteratorINS9_10device_ptrIiEEEENSB_INSC_IjEEEESE_fNS9_4plusIvEENS9_8equal_toIvEEfEE10hipError_tPvRmT2_T3_T4_T5_mT6_T7_P12ihipStream_tbENKUlT_T0_E_clISt17integral_constantIbLb0EES11_EEDaSW_SX_EUlSW_E_NS1_11comp_targetILNS1_3genE0ELNS1_11target_archE4294967295ELNS1_3gpuE0ELNS1_3repE0EEENS1_30default_config_static_selectorELNS0_4arch9wavefront6targetE0EEEvT1_
	.globl	_ZN7rocprim17ROCPRIM_400000_NS6detail17trampoline_kernelINS0_14default_configENS1_27scan_by_key_config_selectorIifEEZZNS1_16scan_by_key_implILNS1_25lookback_scan_determinismE0ELb1ES3_N6thrust23THRUST_200600_302600_NS6detail15normal_iteratorINS9_10device_ptrIiEEEENSB_INSC_IjEEEESE_fNS9_4plusIvEENS9_8equal_toIvEEfEE10hipError_tPvRmT2_T3_T4_T5_mT6_T7_P12ihipStream_tbENKUlT_T0_E_clISt17integral_constantIbLb0EES11_EEDaSW_SX_EUlSW_E_NS1_11comp_targetILNS1_3genE0ELNS1_11target_archE4294967295ELNS1_3gpuE0ELNS1_3repE0EEENS1_30default_config_static_selectorELNS0_4arch9wavefront6targetE0EEEvT1_
	.p2align	8
	.type	_ZN7rocprim17ROCPRIM_400000_NS6detail17trampoline_kernelINS0_14default_configENS1_27scan_by_key_config_selectorIifEEZZNS1_16scan_by_key_implILNS1_25lookback_scan_determinismE0ELb1ES3_N6thrust23THRUST_200600_302600_NS6detail15normal_iteratorINS9_10device_ptrIiEEEENSB_INSC_IjEEEESE_fNS9_4plusIvEENS9_8equal_toIvEEfEE10hipError_tPvRmT2_T3_T4_T5_mT6_T7_P12ihipStream_tbENKUlT_T0_E_clISt17integral_constantIbLb0EES11_EEDaSW_SX_EUlSW_E_NS1_11comp_targetILNS1_3genE0ELNS1_11target_archE4294967295ELNS1_3gpuE0ELNS1_3repE0EEENS1_30default_config_static_selectorELNS0_4arch9wavefront6targetE0EEEvT1_,@function
_ZN7rocprim17ROCPRIM_400000_NS6detail17trampoline_kernelINS0_14default_configENS1_27scan_by_key_config_selectorIifEEZZNS1_16scan_by_key_implILNS1_25lookback_scan_determinismE0ELb1ES3_N6thrust23THRUST_200600_302600_NS6detail15normal_iteratorINS9_10device_ptrIiEEEENSB_INSC_IjEEEESE_fNS9_4plusIvEENS9_8equal_toIvEEfEE10hipError_tPvRmT2_T3_T4_T5_mT6_T7_P12ihipStream_tbENKUlT_T0_E_clISt17integral_constantIbLb0EES11_EEDaSW_SX_EUlSW_E_NS1_11comp_targetILNS1_3genE0ELNS1_11target_archE4294967295ELNS1_3gpuE0ELNS1_3repE0EEENS1_30default_config_static_selectorELNS0_4arch9wavefront6targetE0EEEvT1_: ; @_ZN7rocprim17ROCPRIM_400000_NS6detail17trampoline_kernelINS0_14default_configENS1_27scan_by_key_config_selectorIifEEZZNS1_16scan_by_key_implILNS1_25lookback_scan_determinismE0ELb1ES3_N6thrust23THRUST_200600_302600_NS6detail15normal_iteratorINS9_10device_ptrIiEEEENSB_INSC_IjEEEESE_fNS9_4plusIvEENS9_8equal_toIvEEfEE10hipError_tPvRmT2_T3_T4_T5_mT6_T7_P12ihipStream_tbENKUlT_T0_E_clISt17integral_constantIbLb0EES11_EEDaSW_SX_EUlSW_E_NS1_11comp_targetILNS1_3genE0ELNS1_11target_archE4294967295ELNS1_3gpuE0ELNS1_3repE0EEENS1_30default_config_static_selectorELNS0_4arch9wavefront6targetE0EEEvT1_
; %bb.0:
	s_clause 0x2
	s_load_b96 s[24:26], s[0:1], 0x38
	s_load_b256 s[8:15], s[0:1], 0x0
	s_load_b128 s[20:23], s[0:1], 0x48
	s_bfe_u32 s4, ttmp6, 0x4000c
	s_delay_alu instid0(SALU_CYCLE_1)
	s_add_co_i32 s4, s4, 1
	s_clause 0x1
	s_load_b32 s33, s[0:1], 0x20
	s_load_b128 s[16:19], s[0:1], 0x28
	s_and_b32 s2, ttmp6, 15
	s_wait_xcnt 0x0
	s_mul_i32 s0, ttmp9, s4
	s_getreg_b32 s5, hwreg(HW_REG_IB_STS2, 6, 4)
	s_add_co_i32 s6, s2, s0
	s_mov_b32 s3, 0
	s_barrier_signal -1
	s_mov_b32 s29, s3
	s_barrier_wait -1
	s_wait_kmcnt 0x0
	s_mov_b32 s2, s26
	s_lshl_b64 s[26:27], s[10:11], 2
	s_cmp_eq_u32 s5, 0
	s_mul_u64 s[4:5], s[24:25], s[2:3]
	s_cselect_b32 s28, ttmp9, s6
	s_add_nc_u64 s[0:1], s[8:9], s[26:27]
	s_add_nc_u64 s[4:5], s[4:5], s[28:29]
	s_add_nc_u64 s[8:9], s[20:21], -1
	s_mul_i32 s2, s28, 0xc00
	v_cmp_ge_u64_e64 s19, s[4:5], s[8:9]
	s_add_nc_u64 s[6:7], s[12:13], s[26:27]
	s_lshl_b64 s[20:21], s[2:3], 2
	s_mul_i32 s29, s8, 0xfffff400
	s_add_nc_u64 s[30:31], s[0:1], s[20:21]
	s_add_nc_u64 s[12:13], s[6:7], s[20:21]
	s_and_b32 vcc_lo, exec_lo, s19
	s_cbranch_vccz .LBB1788_66
; %bb.1:
	v_mov_b32_e32 v1, 0
	s_add_co_i32 s37, s29, s18
	s_delay_alu instid0(SALU_CYCLE_1)
	v_cmp_gt_u32_e32 vcc_lo, s37, v0
	flat_load_b32 v2, v1, s[30:31]
	s_wait_loadcnt_dscnt 0x0
	v_mov_b32_e32 v3, v2
	s_and_saveexec_b32 s0, vcc_lo
	s_cbranch_execz .LBB1788_3
; %bb.2:
	flat_load_b32 v3, v0, s[30:31] scale_offset
.LBB1788_3:
	s_wait_xcnt 0x0
	s_or_b32 exec_lo, exec_lo, s0
	v_or_b32_e32 v1, 0x100, v0
	v_mov_b32_e32 v4, v2
	s_delay_alu instid0(VALU_DEP_2)
	v_cmp_gt_u32_e64 s0, s37, v1
	s_and_saveexec_b32 s1, s0
	s_cbranch_execz .LBB1788_5
; %bb.4:
	flat_load_b32 v4, v0, s[30:31] offset:1024 scale_offset
.LBB1788_5:
	s_wait_xcnt 0x0
	s_or_b32 exec_lo, exec_lo, s1
	v_or_b32_e32 v1, 0x200, v0
	v_mov_b32_e32 v5, v2
	s_delay_alu instid0(VALU_DEP_2)
	v_cmp_gt_u32_e64 s1, s37, v1
	s_and_saveexec_b32 s2, s1
	s_cbranch_execz .LBB1788_7
; %bb.6:
	flat_load_b32 v5, v0, s[30:31] offset:2048 scale_offset
.LBB1788_7:
	;; [unrolled: 11-line block ×10, first 2 shown]
	s_wait_xcnt 0x0
	s_or_b32 exec_lo, exec_lo, s10
	v_or_b32_e32 v1, 0xb00, v0
	s_delay_alu instid0(VALU_DEP_1) | instskip(SKIP_2) | instid1(SALU_CYCLE_1)
	v_cmp_gt_u32_e64 s10, s37, v1
	v_cmp_le_u32_e64 s11, s37, v1
	s_and_saveexec_b32 s34, s11
	s_xor_b32 s11, exec_lo, s34
	s_delay_alu instid0(SALU_CYCLE_1)
	s_and_not1_saveexec_b32 s11, s11
	s_cbranch_execz .LBB1788_25
; %bb.24:
	flat_load_b32 v2, v0, s[30:31] offset:11264 scale_offset
.LBB1788_25:
	s_wait_xcnt 0x0
	s_or_b32 exec_lo, exec_lo, s11
	v_lshlrev_b32_e32 v1, 2, v0
	s_mov_b32 s34, exec_lo
	s_wait_loadcnt_dscnt 0x0
	ds_store_2addr_stride64_b32 v1, v3, v4 offset1:4
	ds_store_2addr_stride64_b32 v1, v5, v6 offset0:8 offset1:12
	ds_store_2addr_stride64_b32 v1, v7, v8 offset0:16 offset1:20
	ds_store_2addr_stride64_b32 v1, v9, v10 offset0:24 offset1:28
	ds_store_2addr_stride64_b32 v1, v11, v12 offset0:32 offset1:36
	ds_store_2addr_stride64_b32 v1, v13, v2 offset0:40 offset1:44
	v_mov_b32_e32 v2, 0
	s_wait_dscnt 0x0
	s_barrier_signal -1
	s_barrier_wait -1
	flat_load_b32 v54, v2, s[30:31]
	v_mad_u32_u24 v31, v0, 44, v1
	ds_load_b128 v[10:13], v31
	ds_load_b128 v[6:9], v31 offset:16
	s_wait_xcnt 0x0
	ds_load_b128 v[2:5], v31 offset:32
	v_mad_i32_i24 v14, 0xffffffd4, v0, v31
	s_wait_dscnt 0x2
	ds_store_b32 v14, v10 offset:13312
	s_wait_loadcnt_dscnt 0x0
	s_barrier_signal -1
	s_barrier_wait -1
	v_cmpx_ne_u32_e32 0xff, v0
; %bb.26:
	v_mul_i32_i24_e32 v14, 0xffffffd4, v0
	s_delay_alu instid0(VALU_DEP_1)
	v_add_nc_u32_e32 v14, v31, v14
	ds_load_b32 v54, v14 offset:13316
; %bb.27:
	s_or_b32 exec_lo, exec_lo, s34
	s_wait_dscnt 0x0
	s_barrier_signal -1
	s_barrier_wait -1
                                        ; implicit-def: $vgpr14
	s_and_saveexec_b32 s11, vcc_lo
	s_cbranch_execz .LBB1788_122
; %bb.28:
	flat_load_b32 v14, v0, s[12:13] scale_offset
	s_wait_loadcnt_dscnt 0x0
	v_cvt_f32_u32_e32 v14, v14
	s_or_b32 exec_lo, exec_lo, s11
                                        ; implicit-def: $vgpr15
	s_and_saveexec_b32 s11, s0
	s_cbranch_execnz .LBB1788_123
.LBB1788_29:
	s_or_b32 exec_lo, exec_lo, s11
                                        ; implicit-def: $vgpr16
	s_and_saveexec_b32 s0, s1
	s_cbranch_execz .LBB1788_124
.LBB1788_30:
	flat_load_b32 v16, v0, s[12:13] offset:2048 scale_offset
	s_wait_loadcnt_dscnt 0x0
	v_cvt_f32_u32_e32 v16, v16
	s_or_b32 exec_lo, exec_lo, s0
                                        ; implicit-def: $vgpr17
	s_and_saveexec_b32 s0, s2
	s_cbranch_execnz .LBB1788_125
.LBB1788_31:
	s_or_b32 exec_lo, exec_lo, s0
                                        ; implicit-def: $vgpr18
	s_and_saveexec_b32 s0, s3
	s_cbranch_execz .LBB1788_126
.LBB1788_32:
	flat_load_b32 v18, v0, s[12:13] offset:4096 scale_offset
	s_wait_loadcnt_dscnt 0x0
	v_cvt_f32_u32_e32 v18, v18
	s_or_b32 exec_lo, exec_lo, s0
                                        ; implicit-def: $vgpr19
	s_and_saveexec_b32 s0, s4
	s_cbranch_execnz .LBB1788_127
.LBB1788_33:
	s_or_b32 exec_lo, exec_lo, s0
                                        ; implicit-def: $vgpr20
	s_and_saveexec_b32 s0, s5
	s_cbranch_execz .LBB1788_128
.LBB1788_34:
	flat_load_b32 v20, v0, s[12:13] offset:6144 scale_offset
	s_wait_loadcnt_dscnt 0x0
	v_cvt_f32_u32_e32 v20, v20
	s_or_b32 exec_lo, exec_lo, s0
                                        ; implicit-def: $vgpr21
	s_and_saveexec_b32 s0, s6
	s_cbranch_execnz .LBB1788_129
.LBB1788_35:
	s_or_b32 exec_lo, exec_lo, s0
                                        ; implicit-def: $vgpr22
	s_and_saveexec_b32 s0, s7
	s_cbranch_execz .LBB1788_130
.LBB1788_36:
	flat_load_b32 v22, v0, s[12:13] offset:8192 scale_offset
	s_wait_loadcnt_dscnt 0x0
	v_cvt_f32_u32_e32 v22, v22
	s_or_b32 exec_lo, exec_lo, s0
                                        ; implicit-def: $vgpr23
	s_and_saveexec_b32 s0, s8
	s_cbranch_execnz .LBB1788_131
.LBB1788_37:
	s_or_b32 exec_lo, exec_lo, s0
                                        ; implicit-def: $vgpr24
	s_and_saveexec_b32 s0, s9
	s_cbranch_execz .LBB1788_39
.LBB1788_38:
	flat_load_b32 v24, v0, s[12:13] offset:10240 scale_offset
	s_wait_loadcnt_dscnt 0x0
	v_cvt_f32_u32_e32 v24, v24
.LBB1788_39:
	s_or_b32 exec_lo, exec_lo, s0
	v_mul_u32_u24_e32 v60, 12, v0
                                        ; implicit-def: $vgpr25
	s_and_saveexec_b32 s0, s10
	s_cbranch_execz .LBB1788_41
; %bb.40:
	flat_load_b32 v25, v0, s[12:13] offset:11264 scale_offset
	s_wait_loadcnt_dscnt 0x0
	v_cvt_f32_u32_e32 v25, v25
.LBB1788_41:
	s_or_b32 exec_lo, exec_lo, s0
	ds_store_2addr_stride64_b32 v1, v14, v15 offset1:4
	ds_store_2addr_stride64_b32 v1, v16, v17 offset0:8 offset1:12
	ds_store_2addr_stride64_b32 v1, v18, v19 offset0:16 offset1:20
	;; [unrolled: 1-line block ×5, first 2 shown]
	v_cmp_gt_u32_e32 vcc_lo, s37, v60
	v_dual_mov_b32 v32, 0 :: v_dual_mov_b32 v58, 0
	v_dual_mov_b32 v30, 0 :: v_dual_mov_b32 v59, 0
	v_dual_mov_b32 v33, 0 :: v_dual_mov_b32 v34, 0
	v_dual_mov_b32 v56, 0 :: v_dual_mov_b32 v36, 0
	v_dual_mov_b32 v35, 0 :: v_dual_mov_b32 v57, 0
	v_dual_mov_b32 v38, 0 :: v_dual_mov_b32 v37, 0
	v_dual_mov_b32 v51, 0 :: v_dual_mov_b32 v40, 0
	v_dual_mov_b32 v39, 0 :: v_dual_mov_b32 v53, 0
	v_dual_mov_b32 v42, 0 :: v_dual_mov_b32 v41, 0
	v_dual_mov_b32 v45, 0 :: v_dual_mov_b32 v44, 0
	v_dual_mov_b32 v43, 0 :: v_dual_mov_b32 v46, 0
	v_dual_mov_b32 v21, 0 :: v_dual_mov_b32 v16, 0
	v_dual_mov_b32 v48, 0 :: v_dual_mov_b32 v27, 0
	v_dual_mov_b32 v1, 0 :: v_dual_mov_b32 v47, 0
	v_dual_mov_b32 v29, 0 :: v_dual_mov_b32 v17, 0
	v_dual_mov_b32 v24, 0 :: v_dual_mov_b32 v15, 0
	v_dual_mov_b32 v18, 0 :: v_dual_mov_b32 v26, 0
	v_dual_mov_b32 v28, 0 :: v_dual_mov_b32 v19, 0
	v_dual_mov_b32 v49, 0 :: v_dual_mov_b32 v25, 0
	v_dual_mov_b32 v20, 0 :: v_dual_mov_b32 v50, 0
	v_dual_mov_b32 v55, 0 :: v_dual_mov_b32 v22, 0
	v_dual_mov_b32 v52, 0 :: v_dual_mov_b32 v23, 0
	s_mov_b32 s11, 0
	s_mov_b32 s3, 0
	s_wait_dscnt 0x0
	s_barrier_signal -1
	s_barrier_wait -1
                                        ; implicit-def: $sgpr34
	s_and_saveexec_b32 s35, vcc_lo
	s_cbranch_execz .LBB1788_65
; %bb.42:
	ds_load_b32 v27, v31
	v_dual_mov_b32 v30, 0 :: v_dual_bitop2_b32 v1, 1, v60 bitop3:0x54
	v_dual_mov_b32 v32, 0 :: v_dual_mov_b32 v33, 0
	v_dual_mov_b32 v34, 0 :: v_dual_mov_b32 v56, 0
	s_delay_alu instid0(VALU_DEP_3)
	v_cmp_gt_u32_e64 s0, s37, v1
	v_dual_mov_b32 v36, 0 :: v_dual_mov_b32 v35, 0
	v_dual_mov_b32 v57, 0 :: v_dual_mov_b32 v38, 0
	v_dual_mov_b32 v37, 0 :: v_dual_mov_b32 v51, 0
	v_dual_mov_b32 v40, 0 :: v_dual_mov_b32 v39, 0
	v_dual_mov_b32 v53, 0 :: v_dual_mov_b32 v42, 0
	v_dual_mov_b32 v41, 0 :: v_dual_mov_b32 v45, 0
	v_dual_mov_b32 v44, 0 :: v_dual_mov_b32 v43, 0
	v_dual_mov_b32 v46, 0 :: v_dual_mov_b32 v21, 0
	v_dual_mov_b32 v16, 0 :: v_dual_mov_b32 v48, 0
	v_dual_mov_b32 v1, 0 :: v_dual_mov_b32 v47, 0
	v_dual_mov_b32 v29, 0 :: v_dual_mov_b32 v17, 0
	v_dual_mov_b32 v24, 0 :: v_dual_mov_b32 v15, 0
	v_dual_mov_b32 v18, 0 :: v_dual_mov_b32 v26, 0
	v_dual_mov_b32 v28, 0 :: v_dual_mov_b32 v19, 0
	v_dual_mov_b32 v49, 0 :: v_dual_mov_b32 v25, 0
	v_dual_mov_b32 v20, 0 :: v_dual_mov_b32 v50, 0
	v_dual_mov_b32 v55, 0 :: v_dual_mov_b32 v22, 0
	v_dual_mov_b32 v52, 0 :: v_dual_mov_b32 v23, 0
	s_mov_b32 s1, 0
	v_cmp_ne_u32_e32 vcc_lo, v10, v11
                                        ; implicit-def: $sgpr34
	s_and_saveexec_b32 s36, s0
	s_cbranch_execz .LBB1788_64
; %bb.43:
	ds_load_2addr_b32 v[14:15], v31 offset0:1 offset1:2
	v_dual_mov_b32 v30, 0 :: v_dual_bitop2_b32 v1, 2, v60 bitop3:0x54
	v_cmp_ne_u32_e64 s0, v11, v12
	v_dual_mov_b32 v32, 0 :: v_dual_mov_b32 v33, 0
	s_delay_alu instid0(VALU_DEP_3)
	v_cmp_gt_u32_e64 s1, s37, v1
	v_dual_mov_b32 v34, 0 :: v_dual_mov_b32 v36, 0
	v_dual_mov_b32 v35, 0 :: v_dual_mov_b32 v38, 0
	v_dual_mov_b32 v37, 0 :: v_dual_mov_b32 v51, 0
	v_dual_mov_b32 v40, 0 :: v_dual_mov_b32 v39, 0
	v_dual_mov_b32 v53, 0 :: v_dual_mov_b32 v42, 0
	v_dual_mov_b32 v41, 0 :: v_dual_mov_b32 v45, 0
	v_dual_mov_b32 v44, 0 :: v_dual_mov_b32 v43, 0
	v_dual_mov_b32 v46, 0 :: v_dual_mov_b32 v21, 0
	v_dual_mov_b32 v16, 0 :: v_dual_mov_b32 v48, 0
	v_dual_mov_b32 v1, 0 :: v_dual_mov_b32 v47, 0
	v_dual_mov_b32 v17, 0 :: v_dual_mov_b32 v24, 0
	v_dual_mov_b32 v18, 0 :: v_dual_mov_b32 v26, 0
	v_dual_mov_b32 v28, 0 :: v_dual_mov_b32 v19, 0
	v_dual_mov_b32 v49, 0 :: v_dual_mov_b32 v25, 0
	v_dual_mov_b32 v20, 0 :: v_dual_mov_b32 v50, 0
	v_dual_mov_b32 v55, 0 :: v_dual_mov_b32 v22, 0
	v_dual_mov_b32 v52, 0 :: v_dual_mov_b32 v23, 0
	s_mov_b32 s2, 0
                                        ; implicit-def: $sgpr34
	s_and_saveexec_b32 s38, s1
	s_cbranch_execz .LBB1788_63
; %bb.44:
	v_dual_mov_b32 v30, 0 :: v_dual_bitop2_b32 v1, 3, v60 bitop3:0x54
	v_cmp_ne_u32_e64 s1, v12, v13
	v_dual_mov_b32 v32, 0 :: v_dual_mov_b32 v33, 0
	s_delay_alu instid0(VALU_DEP_3)
	v_cmp_gt_u32_e64 s2, s37, v1
	v_dual_mov_b32 v34, 0 :: v_dual_mov_b32 v36, 0
	v_dual_mov_b32 v35, 0 :: v_dual_mov_b32 v38, 0
	v_dual_mov_b32 v37, 0 :: v_dual_mov_b32 v40, 0
	v_dual_mov_b32 v39, 0 :: v_dual_mov_b32 v42, 0
	v_dual_mov_b32 v41, 0 :: v_dual_mov_b32 v45, 0
	v_dual_mov_b32 v44, 0 :: v_dual_mov_b32 v43, 0
	v_dual_mov_b32 v46, 0 :: v_dual_mov_b32 v21, 0
	v_dual_mov_b32 v16, 0 :: v_dual_mov_b32 v48, 0
	v_dual_mov_b32 v1, 0 :: v_dual_mov_b32 v47, 0
	v_dual_mov_b32 v17, 0 :: v_dual_mov_b32 v24, 0
	v_dual_mov_b32 v18, 0 :: v_dual_mov_b32 v26, 0
	v_dual_mov_b32 v19, 0 :: v_dual_mov_b32 v49, 0
	v_dual_mov_b32 v20, 0 :: v_dual_mov_b32 v50, 0
	v_dual_mov_b32 v55, 0 :: v_dual_mov_b32 v22, 0
	v_dual_mov_b32 v52, 0 :: v_dual_mov_b32 v23, 0
                                        ; implicit-def: $sgpr34
	s_and_saveexec_b32 s39, s2
	s_cbranch_execz .LBB1788_62
; %bb.45:
	ds_load_2addr_b32 v[10:11], v31 offset0:3 offset1:4
	v_dual_mov_b32 v30, 0 :: v_dual_add_nc_u32 v1, 4, v60
	v_cmp_ne_u32_e64 s2, v13, v6
	v_dual_mov_b32 v32, 0 :: v_dual_mov_b32 v33, 0
	s_delay_alu instid0(VALU_DEP_3)
	v_cmp_gt_u32_e64 s3, s37, v1
	v_dual_mov_b32 v34, 0 :: v_dual_mov_b32 v36, 0
	v_dual_mov_b32 v35, 0 :: v_dual_mov_b32 v38, 0
	;; [unrolled: 1-line block ×13, first 2 shown]
	s_mov_b32 s4, 0
                                        ; implicit-def: $sgpr34
	s_and_saveexec_b32 s40, s3
	s_cbranch_execz .LBB1788_61
; %bb.46:
	v_dual_mov_b32 v30, 0 :: v_dual_add_nc_u32 v1, 5, v60
	v_cmp_ne_u32_e64 s3, v6, v7
	v_dual_mov_b32 v32, 0 :: v_dual_mov_b32 v33, 0
	s_delay_alu instid0(VALU_DEP_3)
	v_cmp_gt_u32_e64 s4, s37, v1
	v_dual_mov_b32 v34, 0 :: v_dual_mov_b32 v36, 0
	v_dual_mov_b32 v35, 0 :: v_dual_mov_b32 v38, 0
	;; [unrolled: 1-line block ×11, first 2 shown]
	s_mov_b32 s5, 0
                                        ; implicit-def: $sgpr34
	s_and_saveexec_b32 s41, s4
	s_cbranch_execz .LBB1788_60
; %bb.47:
	ds_load_2addr_b32 v[12:13], v31 offset0:5 offset1:6
	v_dual_mov_b32 v30, 0 :: v_dual_add_nc_u32 v1, 6, v60
	v_cmp_ne_u32_e64 s4, v7, v8
	v_dual_mov_b32 v32, 0 :: v_dual_mov_b32 v33, 0
	s_delay_alu instid0(VALU_DEP_3)
	v_cmp_gt_u32_e64 s5, s37, v1
	v_dual_mov_b32 v34, 0 :: v_dual_mov_b32 v36, 0
	v_dual_mov_b32 v35, 0 :: v_dual_mov_b32 v38, 0
	;; [unrolled: 1-line block ×9, first 2 shown]
	s_mov_b32 s6, 0
                                        ; implicit-def: $sgpr34
	s_and_saveexec_b32 s42, s5
	s_cbranch_execz .LBB1788_59
; %bb.48:
	v_dual_mov_b32 v30, 0 :: v_dual_add_nc_u32 v1, 7, v60
	v_cmp_ne_u32_e64 s5, v8, v9
	v_dual_mov_b32 v32, 0 :: v_dual_mov_b32 v33, 0
	s_delay_alu instid0(VALU_DEP_3)
	v_cmp_gt_u32_e64 s6, s37, v1
	v_dual_mov_b32 v34, 0 :: v_dual_mov_b32 v36, 0
	v_dual_mov_b32 v35, 0 :: v_dual_mov_b32 v38, 0
	;; [unrolled: 1-line block ×7, first 2 shown]
	s_mov_b32 s7, 0
                                        ; implicit-def: $sgpr34
	s_and_saveexec_b32 s43, s6
	s_cbranch_execz .LBB1788_58
; %bb.49:
	ds_load_2addr_b32 v[6:7], v31 offset0:7 offset1:8
	v_dual_mov_b32 v30, 0 :: v_dual_add_nc_u32 v1, 8, v60
	v_cmp_ne_u32_e64 s6, v9, v2
	v_dual_mov_b32 v32, 0 :: v_dual_mov_b32 v33, 0
	s_delay_alu instid0(VALU_DEP_3)
	v_cmp_gt_u32_e64 s7, s37, v1
	v_dual_mov_b32 v34, 0 :: v_dual_mov_b32 v36, 0
	v_dual_mov_b32 v35, 0 :: v_dual_mov_b32 v21, 0
	;; [unrolled: 1-line block ×5, first 2 shown]
	s_mov_b32 s8, 0
                                        ; implicit-def: $sgpr34
	s_and_saveexec_b32 s44, s7
	s_cbranch_execz .LBB1788_57
; %bb.50:
	v_dual_mov_b32 v30, 0 :: v_dual_add_nc_u32 v1, 9, v60
	v_cmp_ne_u32_e64 s7, v2, v3
	v_dual_mov_b32 v32, 0 :: v_dual_mov_b32 v33, 0
	s_delay_alu instid0(VALU_DEP_3)
	v_cmp_gt_u32_e64 s8, s37, v1
	v_dual_mov_b32 v34, 0 :: v_dual_mov_b32 v21, 0
	v_dual_mov_b32 v1, 0 :: v_dual_mov_b32 v47, 0
	s_mov_b32 s9, 0
                                        ; implicit-def: $sgpr34
	s_and_saveexec_b32 s45, s8
	s_cbranch_execz .LBB1788_56
; %bb.51:
	ds_load_2addr_b32 v[8:9], v31 offset0:9 offset1:10
	v_dual_mov_b32 v30, 0 :: v_dual_add_nc_u32 v1, 10, v60
	v_cmp_ne_u32_e64 s8, v3, v4
	v_dual_mov_b32 v32, 0 :: v_dual_mov_b32 v21, 0
	s_mov_b32 s10, 0
	s_mov_b32 s46, exec_lo
                                        ; implicit-def: $sgpr34
	v_cmpx_gt_u32_e64 s37, v1
	s_cbranch_execz .LBB1788_55
; %bb.52:
	v_dual_add_nc_u32 v1, 11, v60 :: v_dual_mov_b32 v21, 0
	v_cmp_ne_u32_e64 s9, v4, v5
                                        ; implicit-def: $sgpr34
	s_delay_alu instid0(VALU_DEP_2) | instskip(SKIP_2) | instid1(SALU_CYCLE_1)
	v_cmp_gt_u32_e64 s10, s37, v1
	s_mov_b32 s37, 0
	s_and_saveexec_b32 s47, s10
	s_xor_b32 s10, exec_lo, s47
	s_cbranch_execz .LBB1788_54
; %bb.53:
	ds_load_b32 v1, v31 offset:44
	v_cmp_ne_u32_e64 s34, v5, v54
	s_mov_b32 s37, exec_lo
	s_wait_dscnt 0x0
	v_cndmask_b32_e64 v21, v1, s33, s34
.LBB1788_54:
	s_or_b32 exec_lo, exec_lo, s10
	v_cndmask_b32_e64 v30, 0, 1, s9
	s_wait_dscnt 0x0
	v_cndmask_b32_e64 v32, v9, s33, s9
	s_and_b32 s10, s37, exec_lo
.LBB1788_55:
	s_or_b32 exec_lo, exec_lo, s46
	s_wait_dscnt 0x0
	v_cndmask_b32_e64 v33, v8, s33, s8
	v_cndmask_b32_e64 v34, 0, 1, s8
	s_and_b32 s9, s10, exec_lo
	s_delay_alu instid0(VALU_DEP_1)
	v_dual_mov_b32 v1, v33 :: v_dual_mov_b32 v47, v34
.LBB1788_56:
	s_or_b32 exec_lo, exec_lo, s45
	s_wait_dscnt 0x0
	v_cndmask_b32_e64 v36, v7, s33, s7
	v_cndmask_b32_e64 v35, 0, 1, s7
	v_dual_mov_b32 v16, v32 :: v_dual_mov_b32 v48, v30
	s_and_b32 s8, s9, exec_lo
	s_delay_alu instid0(VALU_DEP_2)
	v_dual_mov_b32 v17, v36 :: v_dual_mov_b32 v24, v35
.LBB1788_57:
	s_or_b32 exec_lo, exec_lo, s44
	s_wait_dscnt 0x0
	v_cndmask_b32_e64 v38, v6, s33, s6
	v_cndmask_b32_e64 v37, 0, 1, s6
	s_and_b32 s7, s8, exec_lo
	s_delay_alu instid0(VALU_DEP_1)
	v_dual_mov_b32 v18, v38 :: v_dual_mov_b32 v26, v37
.LBB1788_58:
	s_or_b32 exec_lo, exec_lo, s43
	s_wait_dscnt 0x0
	v_cndmask_b32_e64 v40, v13, s33, s5
	v_cndmask_b32_e64 v39, 0, 1, s5
	s_and_b32 s6, s7, exec_lo
	s_delay_alu instid0(VALU_DEP_1)
	v_dual_mov_b32 v19, v40 :: v_dual_mov_b32 v49, v39
.LBB1788_59:
	s_or_b32 exec_lo, exec_lo, s42
	s_wait_dscnt 0x0
	v_cndmask_b32_e64 v42, v12, s33, s4
	v_cndmask_b32_e64 v41, 0, 1, s4
	s_and_b32 s5, s6, exec_lo
	s_delay_alu instid0(VALU_DEP_1)
	v_dual_mov_b32 v20, v42 :: v_dual_mov_b32 v50, v41
.LBB1788_60:
	s_or_b32 exec_lo, exec_lo, s41
	s_wait_dscnt 0x0
	v_cndmask_b32_e64 v44, v11, s33, s3
	v_cndmask_b32_e64 v43, 0, 1, s3
	s_and_b32 s4, s5, exec_lo
	s_delay_alu instid0(VALU_DEP_1)
	v_dual_mov_b32 v22, v44 :: v_dual_mov_b32 v52, v43
.LBB1788_61:
	s_or_b32 exec_lo, exec_lo, s40
	v_cndmask_b32_e64 v45, 0, 1, s2
	s_wait_dscnt 0x0
	v_cndmask_b32_e64 v46, v10, s33, s2
	s_and_b32 s3, s4, exec_lo
	s_delay_alu instid0(VALU_DEP_1)
	v_dual_mov_b32 v55, v45 :: v_dual_mov_b32 v23, v46
.LBB1788_62:
	s_or_b32 exec_lo, exec_lo, s39
	v_cndmask_b32_e64 v51, 0, 1, s1
	s_wait_dscnt 0x0
	v_cndmask_b32_e64 v53, v15, s33, s1
	s_and_b32 s2, s3, exec_lo
	s_delay_alu instid0(VALU_DEP_1)
	v_dual_mov_b32 v28, v51 :: v_dual_mov_b32 v25, v53
.LBB1788_63:
	s_or_b32 exec_lo, exec_lo, s38
	v_cndmask_b32_e64 v56, 0, 1, s0
	s_wait_dscnt 0x0
	v_cndmask_b32_e64 v57, v14, s33, s0
	s_and_b32 s1, s2, exec_lo
	s_delay_alu instid0(VALU_DEP_1)
	v_dual_mov_b32 v29, v56 :: v_dual_mov_b32 v15, v57
.LBB1788_64:
	s_or_b32 exec_lo, exec_lo, s36
	s_wait_dscnt 0x0
	v_cndmask_b32_e64 v59, v27, s33, vcc_lo
	v_cndmask_b32_e64 v58, 0, 1, vcc_lo
	s_and_b32 s3, s1, exec_lo
	s_delay_alu instid0(VALU_DEP_2)
	v_mov_b32_e32 v27, v59
.LBB1788_65:
	s_or_b32 exec_lo, exec_lo, s35
	v_lshlrev_b32_e32 v14, 2, v0
	s_and_b32 vcc_lo, exec_lo, s11
	s_cbranch_vccnz .LBB1788_67
	s_branch .LBB1788_72
.LBB1788_66:
                                        ; implicit-def: $sgpr34
                                        ; implicit-def: $vgpr58
                                        ; implicit-def: $vgpr32
                                        ; implicit-def: $vgpr30
                                        ; implicit-def: $vgpr59
                                        ; implicit-def: $vgpr33
                                        ; implicit-def: $vgpr34
                                        ; implicit-def: $vgpr56
                                        ; implicit-def: $vgpr36
                                        ; implicit-def: $vgpr35
                                        ; implicit-def: $vgpr57
                                        ; implicit-def: $vgpr38
                                        ; implicit-def: $vgpr37
                                        ; implicit-def: $vgpr51
                                        ; implicit-def: $vgpr40
                                        ; implicit-def: $vgpr39
                                        ; implicit-def: $vgpr53
                                        ; implicit-def: $vgpr42
                                        ; implicit-def: $vgpr41
                                        ; implicit-def: $vgpr45
                                        ; implicit-def: $vgpr44
                                        ; implicit-def: $vgpr43
                                        ; implicit-def: $vgpr46
                                        ; implicit-def: $vgpr21
                                        ; implicit-def: $vgpr16
                                        ; implicit-def: $vgpr48
                                        ; implicit-def: $vgpr27
                                        ; implicit-def: $vgpr1
                                        ; implicit-def: $vgpr47
                                        ; implicit-def: $vgpr29
                                        ; implicit-def: $vgpr17
                                        ; implicit-def: $vgpr24
                                        ; implicit-def: $vgpr15
                                        ; implicit-def: $vgpr18
                                        ; implicit-def: $vgpr26
                                        ; implicit-def: $vgpr28
                                        ; implicit-def: $vgpr19
                                        ; implicit-def: $vgpr49
                                        ; implicit-def: $vgpr25
                                        ; implicit-def: $vgpr20
                                        ; implicit-def: $vgpr50
                                        ; implicit-def: $vgpr55
                                        ; implicit-def: $vgpr22
                                        ; implicit-def: $vgpr52
                                        ; implicit-def: $vgpr23
	v_lshlrev_b32_e32 v14, 2, v0
	s_cbranch_execz .LBB1788_72
.LBB1788_67:
	s_clause 0xb
	flat_load_b32 v1, v0, s[30:31] scale_offset
	flat_load_b32 v2, v0, s[30:31] offset:1024 scale_offset
	flat_load_b32 v3, v0, s[30:31] offset:2048 scale_offset
	;; [unrolled: 1-line block ×11, first 2 shown]
	v_mov_b32_e32 v13, 0
	v_mad_u32_u24 v15, v0, 44, v14
	s_mov_b32 s0, exec_lo
	s_wait_loadcnt_dscnt 0xa0a
	ds_store_2addr_stride64_b32 v14, v1, v2 offset1:4
	s_wait_loadcnt_dscnt 0x809
	ds_store_2addr_stride64_b32 v14, v3, v4 offset0:8 offset1:12
	s_wait_loadcnt_dscnt 0x608
	ds_store_2addr_stride64_b32 v14, v5, v6 offset0:16 offset1:20
	s_wait_loadcnt_dscnt 0x407
	ds_store_2addr_stride64_b32 v14, v7, v8 offset0:24 offset1:28
	s_wait_loadcnt_dscnt 0x206
	ds_store_2addr_stride64_b32 v14, v9, v10 offset0:32 offset1:36
	s_wait_loadcnt_dscnt 0x5
	ds_store_2addr_stride64_b32 v14, v11, v12 offset0:40 offset1:44
	s_wait_dscnt 0x0
	s_barrier_signal -1
	s_barrier_wait -1
	flat_load_b32 v1, v13, s[30:31] offset:12288
	s_wait_xcnt 0x0
	ds_load_b128 v[10:13], v15
	ds_load_b128 v[6:9], v15 offset:16
	ds_load_b128 v[2:5], v15 offset:32
	v_mad_i32_i24 v16, 0xffffffd4, v0, v15
	s_wait_dscnt 0x2
	ds_store_b32 v16, v10 offset:13312
	s_wait_loadcnt_dscnt 0x0
	s_barrier_signal -1
	s_barrier_wait -1
	v_cmpx_ne_u32_e32 0xff, v0
; %bb.68:
	v_mul_i32_i24_e32 v1, 0xffffffd4, v0
	s_delay_alu instid0(VALU_DEP_1)
	v_add_nc_u32_e32 v1, v15, v1
	ds_load_b32 v1, v1 offset:13316
; %bb.69:
	s_or_b32 exec_lo, exec_lo, s0
	s_wait_dscnt 0x0
	s_barrier_signal -1
	s_barrier_wait -1
	s_clause 0xb
	flat_load_b32 v16, v0, s[12:13] scale_offset
	flat_load_b32 v17, v0, s[12:13] offset:1024 scale_offset
	flat_load_b32 v18, v0, s[12:13] offset:2048 scale_offset
	;; [unrolled: 1-line block ×11, first 2 shown]
	v_mov_b32_e32 v59, s33
	s_mov_b32 s1, exec_lo
	v_cmp_ne_u32_e32 vcc_lo, v10, v11
	s_wait_loadcnt_dscnt 0xb0b
	v_cvt_f32_u32_e32 v16, v16
	s_wait_loadcnt_dscnt 0xa0a
	v_cvt_f32_u32_e32 v17, v17
	;; [unrolled: 2-line block ×12, first 2 shown]
	ds_store_2addr_stride64_b32 v14, v16, v17 offset1:4
	ds_store_2addr_stride64_b32 v14, v18, v19 offset0:8 offset1:12
	ds_store_2addr_stride64_b32 v14, v20, v21 offset0:16 offset1:20
	;; [unrolled: 1-line block ×5, first 2 shown]
	s_wait_dscnt 0x0
	s_barrier_signal -1
	s_barrier_wait -1
	ds_load_2addr_b32 v[24:25], v15 offset0:1 offset1:2
	ds_load_2addr_b32 v[22:23], v15 offset0:3 offset1:4
	;; [unrolled: 1-line block ×5, first 2 shown]
	ds_load_b32 v26, v15 offset:44
	v_cmpx_eq_u32_e64 v10, v11
; %bb.70:
	ds_load_b32 v59, v15
; %bb.71:
	s_or_b32 exec_lo, exec_lo, s1
	v_cndmask_b32_e64 v58, 0, 1, vcc_lo
	v_cmp_ne_u32_e32 vcc_lo, v11, v12
	v_cmp_ne_u32_e64 s0, v12, v13
	v_cmp_ne_u32_e64 s1, v13, v6
	;; [unrolled: 1-line block ×9, first 2 shown]
	v_cndmask_b32_e64 v56, 0, 1, vcc_lo
	v_cndmask_b32_e64 v51, 0, 1, s0
	v_cndmask_b32_e64 v45, 0, 1, s1
	;; [unrolled: 1-line block ×9, first 2 shown]
	s_wait_dscnt 0x5
	v_cndmask_b32_e64 v57, v24, s33, vcc_lo
	v_cndmask_b32_e64 v53, v25, s33, s0
	s_wait_dscnt 0x4
	v_cndmask_b32_e64 v46, v22, s33, s1
	v_cndmask_b32_e64 v44, v23, s33, s2
	s_wait_dscnt 0x3
	v_cndmask_b32_e64 v42, v20, s33, s3
	;; [unrolled: 3-line block ×3, first 2 shown]
	s_wait_dscnt 0x1
	v_cndmask_b32_e64 v32, v19, s33, s8
	v_cndmask_b32_e64 v36, v17, s33, s6
	;; [unrolled: 1-line block ×3, first 2 shown]
	v_cmp_ne_u32_e64 s34, v5, v1
	s_delay_alu instid0(VALU_DEP_4) | instskip(SKIP_1) | instid1(VALU_DEP_3)
	v_dual_mov_b32 v48, v30 :: v_dual_mov_b32 v16, v32
	s_wait_dscnt 0x0
	v_dual_mov_b32 v27, v59 :: v_dual_mov_b32 v1, v33
	s_delay_alu instid0(VALU_DEP_3)
	v_cndmask_b32_e64 v21, v26, s33, s34
	v_dual_mov_b32 v47, v34 :: v_dual_mov_b32 v29, v56
	v_dual_mov_b32 v17, v36 :: v_dual_mov_b32 v24, v35
	;; [unrolled: 1-line block ×8, first 2 shown]
	v_mov_b32_e32 v23, v46
	s_mov_b32 s3, -1
.LBB1788_72:
	v_mov_b32_e32 v31, 0
	s_and_saveexec_b32 s0, s3
	s_cbranch_execz .LBB1788_74
; %bb.73:
	v_cndmask_b32_e64 v31, 0, 1, s34
	v_dual_mov_b32 v23, v46 :: v_dual_mov_b32 v52, v43
	v_dual_mov_b32 v22, v44 :: v_dual_mov_b32 v55, v45
	;; [unrolled: 1-line block ×10, first 2 shown]
	v_mov_b32_e32 v16, v32
.LBB1788_74:
	s_or_b32 exec_lo, exec_lo, s0
	v_or_b32_e32 v2, v55, v52
	v_and_b32_e32 v32, 1, v31
	v_dual_add_f32 v43, v15, v27 :: v_dual_lshrrev_b32 v34, 2, v0
	v_or_b32_e32 v33, v48, v47
	v_and_b32_e32 v30, 0xff, v58
	v_and_b32_e32 v46, 0xff, v29
	;; [unrolled: 1-line block ×9, first 2 shown]
	v_bitop3_b16 v36, v2, v49, v50 bitop3:0xfe
	v_and_b32_e32 v37, 0xff, v47
	v_and_b32_e32 v35, 0xff, v48
	v_cmp_eq_u16_e64 s10, 0, v31
	v_cmp_eq_u32_e64 s11, 1, v32
	s_cmp_lg_u32 s28, 0
	v_cmp_gt_u32_e32 vcc_lo, 32, v0
	s_barrier_signal -1
	s_barrier_wait -1
	s_cbranch_scc0 .LBB1788_132
; %bb.75:
	v_cmp_eq_u16_e64 s0, 0, v46
	v_cmp_eq_u16_e64 s1, 0, v45
	;; [unrolled: 1-line block ×5, first 2 shown]
	v_dual_cndmask_b32 v2, v15, v43, s0 :: v_dual_bitop2_b32 v4, 56, v34 bitop3:0x40
	v_cmp_eq_u16_e64 s5, 0, v40
	v_cmp_eq_u16_e64 s6, 0, v39
	;; [unrolled: 1-line block ×3, first 2 shown]
	s_delay_alu instid0(VALU_DEP_4)
	v_add_f32_e32 v2, v25, v2
	v_cmp_eq_u16_e64 s8, 0, v37
	v_bitop3_b16 v3, v36, v26, v28 bitop3:0xfe
	v_cmp_eq_u16_e64 s9, 0, v35
	v_lshl_add_u32 v4, v0, 3, v4
	v_cndmask_b32_e64 v2, v25, v2, s1
	s_delay_alu instid0(VALU_DEP_4) | instskip(NEXT) | instid1(VALU_DEP_2)
	v_bitop3_b16 v3, v3, v29, v24 bitop3:0xfe
	v_add_f32_e32 v2, v23, v2
	s_delay_alu instid0(VALU_DEP_2) | instskip(NEXT) | instid1(VALU_DEP_2)
	v_bitop3_b16 v3, v33, 0xff, v3 bitop3:0xc8
	v_cndmask_b32_e64 v2, v23, v2, s2
	s_delay_alu instid0(VALU_DEP_2) | instskip(NEXT) | instid1(VALU_DEP_2)
	v_cmp_eq_u16_e64 s12, 0, v3
	v_add_f32_e32 v2, v22, v2
	s_delay_alu instid0(VALU_DEP_2) | instskip(NEXT) | instid1(VALU_DEP_2)
	v_cndmask_b32_e64 v3, 1, v30, s12
	v_cndmask_b32_e64 v2, v22, v2, s3
	s_delay_alu instid0(VALU_DEP_2) | instskip(NEXT) | instid1(VALU_DEP_2)
	v_cndmask_b32_e64 v13, v3, 1, s11
	v_add_f32_e32 v2, v20, v2
	s_delay_alu instid0(VALU_DEP_1) | instskip(NEXT) | instid1(VALU_DEP_1)
	v_cndmask_b32_e64 v2, v20, v2, s4
	v_add_f32_e32 v2, v19, v2
	s_delay_alu instid0(VALU_DEP_1) | instskip(NEXT) | instid1(VALU_DEP_1)
	;; [unrolled: 3-line block ×6, first 2 shown]
	v_cndmask_b32_e64 v2, v16, v2, s9
	v_add_f32_e32 v2, v21, v2
	s_delay_alu instid0(VALU_DEP_1)
	v_cndmask_b32_e64 v12, v21, v2, s10
	ds_store_b32 v4, v12
	ds_store_b8 v4, v13 offset:4
	s_wait_dscnt 0x0
	s_barrier_signal -1
	s_barrier_wait -1
	s_and_saveexec_b32 s12, vcc_lo
	s_cbranch_execz .LBB1788_87
; %bb.76:
	v_dual_lshlrev_b32 v2, 1, v0 :: v_dual_lshlrev_b32 v3, 6, v0
	s_mov_b32 s13, exec_lo
	s_delay_alu instid0(VALU_DEP_1) | instskip(NEXT) | instid1(VALU_DEP_1)
	v_and_b32_e32 v2, 0x1f8, v2
	v_add_nc_u32_e32 v4, v2, v3
	ds_load_2addr_b32 v[6:7], v4 offset0:2 offset1:4
	ds_load_b64 v[2:3], v4
	ds_load_u8 v5, v4 offset:12
	ds_load_2addr_b32 v[8:9], v4 offset0:6 offset1:8
	ds_load_u8 v10, v4 offset:20
	ds_load_u8 v11, v4 offset:28
	;; [unrolled: 1-line block ×5, first 2 shown]
	ds_load_b32 v50, v4 offset:56
	s_wait_dscnt 0x8
	v_add_f32_e32 v51, v2, v6
	s_wait_dscnt 0x7
	v_cmp_eq_u16_e64 s10, 0, v5
	s_wait_dscnt 0x5
	v_or_b32_e32 v5, v10, v5
	s_delay_alu instid0(VALU_DEP_2) | instskip(SKIP_2) | instid1(VALU_DEP_3)
	v_cndmask_b32_e64 v6, v6, v51, s10
	v_cmp_eq_u16_e64 s10, 0, v10
	s_wait_dscnt 0x3
	v_bitop3_b16 v5, v5, v47, v11 bitop3:0xfe
	s_delay_alu instid0(VALU_DEP_3) | instskip(NEXT) | instid1(VALU_DEP_1)
	v_add_f32_e32 v6, v7, v6
	v_cndmask_b32_e64 v51, v7, v6, s10
	ds_load_2addr_b32 v[6:7], v4 offset0:10 offset1:12
	v_cmp_eq_u16_e64 s10, 0, v11
	v_and_b32_e32 v11, 0xffffff00, v3
	v_add_f32_e32 v51, v8, v51
	s_delay_alu instid0(VALU_DEP_1) | instskip(SKIP_3) | instid1(VALU_DEP_1)
	v_cndmask_b32_e64 v8, v8, v51, s10
	v_cmp_eq_u16_e64 s10, 0, v47
	ds_load_u8 v51, v4 offset:60
	v_add_f32_e32 v8, v9, v8
	v_cndmask_b32_e64 v8, v9, v8, s10
	s_wait_dscnt 0x4
	v_cmp_eq_u16_e64 s10, 0, v48
	s_wait_dscnt 0x1
	s_delay_alu instid0(VALU_DEP_2) | instskip(NEXT) | instid1(VALU_DEP_1)
	v_add_f32_e32 v8, v6, v8
	v_cndmask_b32_e64 v6, v6, v8, s10
	v_bitop3_b16 v8, v5, v49, v48 bitop3:0xfe
	v_and_b32_e32 v5, 1, v3
	s_wait_dscnt 0x0
	v_and_b32_e32 v9, 1, v51
	s_delay_alu instid0(VALU_DEP_3) | instskip(NEXT) | instid1(VALU_DEP_1)
	v_cmp_eq_u16_e64 s10, 0, v8
	v_dual_add_f32 v6, v7, v6 :: v_dual_cndmask_b32 v8, 1, v5, s10
	v_cmp_eq_u16_e64 s10, 0, v49
	s_delay_alu instid0(VALU_DEP_1) | instskip(SKIP_1) | instid1(VALU_DEP_1)
	v_cndmask_b32_e64 v6, v7, v6, s10
	v_cmp_eq_u32_e64 s10, 1, v9
	v_cndmask_b32_e64 v9, v8, 1, s10
	v_cmp_eq_u16_e64 s10, 0, v51
	s_delay_alu instid0(VALU_DEP_2) | instskip(SKIP_1) | instid1(VALU_DEP_2)
	v_dual_add_f32 v7, v50, v6 :: v_dual_bitop2_b32 v8, v9, v11 bitop3:0x54
	v_mbcnt_lo_u32_b32 v6, -1, 0
	v_mov_b32_dpp v48, v8 row_shr:1 row_mask:0xf bank_mask:0xf
	s_delay_alu instid0(VALU_DEP_2) | instskip(NEXT) | instid1(VALU_DEP_1)
	v_dual_cndmask_b32 v7, v50, v7, s10 :: v_dual_bitop2_b32 v10, 15, v6 bitop3:0x40
	v_mov_b32_dpp v47, v7 row_shr:1 row_mask:0xf bank_mask:0xf
	s_delay_alu instid0(VALU_DEP_2)
	v_cmpx_ne_u32_e32 0, v10
	s_cbranch_execz .LBB1788_78
; %bb.77:
	s_delay_alu instid0(VALU_DEP_2) | instskip(SKIP_2) | instid1(VALU_DEP_3)
	v_dual_add_f32 v47, v7, v47 :: v_dual_bitop2_b32 v8, 1, v9 bitop3:0x40
	v_cmp_eq_u32_e64 s10, 0, v9
	v_and_b32_e32 v48, 1, v48
	v_cmp_eq_u32_e64 s11, 1, v8
	s_delay_alu instid0(VALU_DEP_3) | instskip(NEXT) | instid1(VALU_DEP_2)
	v_cndmask_b32_e64 v7, v7, v47, s10
	v_cndmask_b32_e64 v9, v48, 1, s11
	s_delay_alu instid0(VALU_DEP_1)
	v_or_b32_e32 v8, v9, v11
.LBB1788_78:
	s_or_b32 exec_lo, exec_lo, s13
	s_delay_alu instid0(VALU_DEP_3) | instskip(NEXT) | instid1(VALU_DEP_2)
	v_mov_b32_dpp v11, v7 row_shr:2 row_mask:0xf bank_mask:0xf
	v_mov_b32_dpp v47, v8 row_shr:2 row_mask:0xf bank_mask:0xf
	s_mov_b32 s13, exec_lo
	v_cmpx_lt_u32_e32 1, v10
	s_cbranch_execz .LBB1788_80
; %bb.79:
	v_dual_add_f32 v11, v7, v11 :: v_dual_bitop2_b32 v48, 1, v9 bitop3:0x40
	v_and_b32_e32 v47, 1, v47
	v_cmp_eq_u32_e64 s10, 0, v9
	s_delay_alu instid0(VALU_DEP_3) | instskip(NEXT) | instid1(VALU_DEP_2)
	v_cmp_eq_u32_e64 s11, 1, v48
	v_cndmask_b32_e64 v7, v7, v11, s10
	s_delay_alu instid0(VALU_DEP_2) | instskip(NEXT) | instid1(VALU_DEP_1)
	v_cndmask_b32_e64 v9, v47, 1, s11
	v_and_or_b32 v8, 0xffffff00, v8, v9
.LBB1788_80:
	s_or_b32 exec_lo, exec_lo, s13
	s_delay_alu instid0(VALU_DEP_3) | instskip(NEXT) | instid1(VALU_DEP_2)
	v_mov_b32_dpp v11, v7 row_shr:4 row_mask:0xf bank_mask:0xf
	v_mov_b32_dpp v47, v8 row_shr:4 row_mask:0xf bank_mask:0xf
	s_mov_b32 s13, exec_lo
	v_cmpx_lt_u32_e32 3, v10
	s_cbranch_execz .LBB1788_82
; %bb.81:
	v_dual_add_f32 v11, v7, v11 :: v_dual_bitop2_b32 v48, 1, v9 bitop3:0x40
	v_and_b32_e32 v47, 1, v47
	v_cmp_eq_u32_e64 s10, 0, v9
	s_delay_alu instid0(VALU_DEP_3) | instskip(NEXT) | instid1(VALU_DEP_2)
	v_cmp_eq_u32_e64 s11, 1, v48
	v_cndmask_b32_e64 v7, v7, v11, s10
	s_delay_alu instid0(VALU_DEP_2) | instskip(NEXT) | instid1(VALU_DEP_1)
	v_cndmask_b32_e64 v9, v47, 1, s11
	v_and_or_b32 v8, 0xffffff00, v8, v9
.LBB1788_82:
	s_or_b32 exec_lo, exec_lo, s13
	s_delay_alu instid0(VALU_DEP_3) | instskip(NEXT) | instid1(VALU_DEP_2)
	v_mov_b32_dpp v11, v7 row_shr:8 row_mask:0xf bank_mask:0xf
	v_mov_b32_dpp v47, v8 row_shr:8 row_mask:0xf bank_mask:0xf
	s_mov_b32 s13, exec_lo
	v_cmpx_lt_u32_e32 7, v10
	s_cbranch_execz .LBB1788_84
; %bb.83:
	v_dual_add_f32 v11, v7, v11 :: v_dual_bitop2_b32 v10, 1, v9 bitop3:0x40
	v_and_b32_e32 v47, 1, v47
	v_cmp_eq_u32_e64 s10, 0, v9
	s_delay_alu instid0(VALU_DEP_3) | instskip(NEXT) | instid1(VALU_DEP_2)
	v_cmp_eq_u32_e64 s11, 1, v10
	v_cndmask_b32_e64 v7, v7, v11, s10
	s_delay_alu instid0(VALU_DEP_2) | instskip(NEXT) | instid1(VALU_DEP_1)
	v_cndmask_b32_e64 v9, v47, 1, s11
	v_and_or_b32 v8, 0xffffff00, v8, v9
.LBB1788_84:
	s_or_b32 exec_lo, exec_lo, s13
	ds_swizzle_b32 v10, v7 offset:swizzle(BROADCAST,32,15)
	ds_swizzle_b32 v11, v8 offset:swizzle(BROADCAST,32,15)
	v_and_b32_e32 v47, 16, v6
	s_mov_b32 s11, exec_lo
	s_delay_alu instid0(VALU_DEP_1)
	v_cmpx_ne_u32_e32 0, v47
	s_cbranch_execz .LBB1788_86
; %bb.85:
	s_wait_dscnt 0x1
	v_dual_add_f32 v10, v7, v10 :: v_dual_bitop2_b32 v47, 1, v9 bitop3:0x40
	s_wait_dscnt 0x0
	v_and_b32_e32 v11, 1, v11
	s_delay_alu instid0(VALU_DEP_2) | instskip(NEXT) | instid1(VALU_DEP_1)
	v_cmp_eq_u32_e64 s10, 1, v47
	v_cndmask_b32_e64 v11, v11, 1, s10
	v_cmp_eq_u32_e64 s10, 0, v9
	s_delay_alu instid0(VALU_DEP_2) | instskip(NEXT) | instid1(VALU_DEP_2)
	v_and_or_b32 v8, 0xffffff00, v8, v11
	v_cndmask_b32_e64 v7, v7, v10, s10
.LBB1788_86:
	s_or_b32 exec_lo, exec_lo, s11
	v_add_nc_u32_e32 v9, -1, v6
	v_and_b32_e32 v3, 0xff, v3
	; wave barrier
	s_delay_alu instid0(VALU_DEP_2) | instskip(NEXT) | instid1(VALU_DEP_1)
	v_cmp_gt_i32_e64 s10, 0, v9
	v_cndmask_b32_e64 v6, v9, v6, s10
	s_delay_alu instid0(VALU_DEP_3) | instskip(NEXT) | instid1(VALU_DEP_2)
	v_cmp_eq_u32_e64 s10, 0, v3
	v_lshlrev_b32_e32 v6, 2, v6
	ds_bpermute_b32 v7, v6, v7
	ds_bpermute_b32 v6, v6, v8
	s_wait_dscnt 0x0
	v_dual_add_f32 v7, v2, v7 :: v_dual_bitop2_b32 v6, 1, v6 bitop3:0x40
	s_delay_alu instid0(VALU_DEP_1) | instskip(SKIP_1) | instid1(VALU_DEP_1)
	v_cndmask_b32_e64 v2, v2, v7, s10
	v_cmp_eq_u32_e64 s10, 1, v5
	v_cndmask_b32_e64 v3, v6, 1, s10
	v_cmp_eq_u32_e64 s10, 0, v0
	s_delay_alu instid0(VALU_DEP_1)
	v_dual_cndmask_b32 v5, v2, v12, s10 :: v_dual_cndmask_b32 v8, v3, v13, s10
	ds_store_b32 v4, v5
	ds_store_b8 v4, v8 offset:4
	; wave barrier
	ds_load_2addr_b32 v[2:3], v4 offset0:2 offset1:4
	ds_load_u8 v9, v4 offset:12
	ds_load_u8 v10, v4 offset:20
	ds_load_2addr_b32 v[6:7], v4 offset0:6 offset1:8
	ds_load_u8 v11, v4 offset:28
	ds_load_u8 v47, v4 offset:36
	;; [unrolled: 1-line block ×4, first 2 shown]
	ds_load_b32 v50, v4 offset:56
	ds_load_u8 v51, v4 offset:60
	s_wait_dscnt 0x9
	v_add_f32_e32 v5, v5, v2
	s_wait_dscnt 0x8
	v_cmp_eq_u16_e64 s10, 0, v9
	s_delay_alu instid0(VALU_DEP_1) | instskip(SKIP_2) | instid1(VALU_DEP_2)
	v_cndmask_b32_e64 v5, v2, v5, s10
	s_wait_dscnt 0x7
	v_cmp_eq_u16_e64 s10, 0, v10
	v_add_f32_e32 v2, v5, v3
	s_delay_alu instid0(VALU_DEP_1)
	v_cndmask_b32_e64 v52, v3, v2, s10
	s_wait_dscnt 0x5
	v_cmp_eq_u16_e64 s10, 0, v11
	ds_load_2addr_b32 v[2:3], v4 offset0:10 offset1:12
	v_add_f32_e32 v53, v52, v6
	ds_store_2addr_b32 v4, v5, v52 offset0:2 offset1:4
	v_cndmask_b32_e64 v6, v6, v53, s10
	s_delay_alu instid0(VALU_DEP_1) | instskip(NEXT) | instid1(VALU_DEP_1)
	v_dual_add_f32 v53, v6, v7 :: v_dual_bitop2_b32 v9, 1, v9 bitop3:0x40
	v_cmp_eq_u32_e64 s10, 1, v9
	s_delay_alu instid0(VALU_DEP_1) | instskip(SKIP_2) | instid1(VALU_DEP_1)
	v_cndmask_b32_e64 v8, v8, 1, s10
	s_wait_dscnt 0x6
	v_cmp_eq_u16_e64 s10, 0, v47
	v_dual_cndmask_b32 v7, v7, v53, s10 :: v_dual_bitop2_b32 v10, 1, v10 bitop3:0x40
	v_and_b32_e32 v9, 1, v11
	s_delay_alu instid0(VALU_DEP_2) | instskip(SKIP_1) | instid1(VALU_DEP_3)
	v_cmp_eq_u32_e64 s10, 1, v10
	s_wait_dscnt 0x1
	v_dual_add_f32 v47, v7, v2 :: v_dual_bitop2_b32 v11, 1, v47 bitop3:0x40
	s_delay_alu instid0(VALU_DEP_2) | instskip(SKIP_1) | instid1(VALU_DEP_1)
	v_cndmask_b32_e64 v10, v8, 1, s10
	v_cmp_eq_u32_e64 s10, 1, v9
	v_cndmask_b32_e64 v9, v10, 1, s10
	v_cmp_eq_u16_e64 s10, 0, v48
	s_delay_alu instid0(VALU_DEP_1) | instskip(SKIP_1) | instid1(VALU_DEP_2)
	v_dual_cndmask_b32 v2, v2, v47, s10 :: v_dual_bitop2_b32 v53, 1, v48 bitop3:0x40
	v_cmp_eq_u32_e64 s10, 1, v11
	v_add_f32_e32 v48, v2, v3
	s_delay_alu instid0(VALU_DEP_2) | instskip(NEXT) | instid1(VALU_DEP_4)
	v_cndmask_b32_e64 v11, v9, 1, s10
	v_cmp_eq_u32_e64 s10, 1, v53
	s_delay_alu instid0(VALU_DEP_1) | instskip(SKIP_1) | instid1(VALU_DEP_1)
	v_cndmask_b32_e64 v53, v11, 1, s10
	v_cmp_eq_u16_e64 s10, 0, v49
	v_dual_cndmask_b32 v3, v3, v48, s10 :: v_dual_bitop2_b32 v47, 1, v49 bitop3:0x40
	v_and_b32_e32 v54, 1, v51
	s_delay_alu instid0(VALU_DEP_2)
	v_cmp_eq_u32_e64 s10, 1, v47
	ds_store_2addr_b32 v4, v6, v7 offset0:6 offset1:8
	ds_store_2addr_b32 v4, v2, v3 offset0:10 offset1:12
	v_add_f32_e32 v5, v3, v50
	v_cndmask_b32_e64 v47, v53, 1, s10
	v_cmp_eq_u32_e64 s10, 1, v54
	s_delay_alu instid0(VALU_DEP_1) | instskip(SKIP_1) | instid1(VALU_DEP_1)
	v_cndmask_b32_e64 v48, v47, 1, s10
	v_cmp_eq_u16_e64 s10, 0, v51
	v_cndmask_b32_e64 v2, v50, v5, s10
	ds_store_b8 v4, v8 offset:12
	ds_store_b8 v4, v10 offset:20
	;; [unrolled: 1-line block ×6, first 2 shown]
	ds_store_b32 v4, v2 offset:56
	ds_store_b8 v4, v48 offset:60
.LBB1788_87:
	s_or_b32 exec_lo, exec_lo, s12
	v_cmp_eq_u32_e64 s10, 0, v0
	s_mov_b32 s12, exec_lo
	s_wait_dscnt 0x0
	s_barrier_signal -1
	s_barrier_wait -1
	v_cmpx_ne_u32_e32 0, v0
	s_cbranch_execz .LBB1788_89
; %bb.88:
	v_add_nc_u32_e32 v2, -1, v0
	s_delay_alu instid0(VALU_DEP_1) | instskip(NEXT) | instid1(VALU_DEP_1)
	v_lshrrev_b32_e32 v3, 2, v2
	v_and_b32_e32 v3, 0x3ffffff8, v3
	s_delay_alu instid0(VALU_DEP_1)
	v_lshl_add_u32 v2, v2, 3, v3
	ds_load_b32 v12, v2
	ds_load_u8 v13, v2 offset:4
.LBB1788_89:
	s_or_b32 exec_lo, exec_lo, s12
	s_and_saveexec_b32 s30, vcc_lo
	s_cbranch_execz .LBB1788_177
; %bb.90:
	v_mov_b32_e32 v5, 0
	v_mbcnt_lo_u32_b32 v47, -1, 0
	s_mov_b32 s13, 0
	ds_load_b64 v[2:3], v5 offset:2096
	v_cmp_eq_u32_e64 s11, 0, v47
	s_and_saveexec_b32 s31, s11
	s_cbranch_execz .LBB1788_92
; %bb.91:
	s_add_co_i32 s12, s28, 32
	v_mov_b32_e32 v4, 1
	s_lshl_b64 s[12:13], s[12:13], 4
	s_delay_alu instid0(SALU_CYCLE_1) | instskip(NEXT) | instid1(SALU_CYCLE_1)
	s_add_nc_u64 s[12:13], s[16:17], s[12:13]
	v_mov_b64_e32 v[6:7], s[12:13]
	s_wait_dscnt 0x0
	;;#ASMSTART
	global_store_b128 v[6:7], v[2:5] off scope:SCOPE_DEV	
s_wait_storecnt 0x0
	;;#ASMEND
.LBB1788_92:
	s_or_b32 exec_lo, exec_lo, s31
	v_xad_u32 v8, v47, -1, s28
	s_mov_b32 s12, exec_lo
	s_delay_alu instid0(VALU_DEP_1) | instskip(NEXT) | instid1(VALU_DEP_1)
	v_add_nc_u32_e32 v4, 32, v8
	v_lshl_add_u64 v[10:11], v[4:5], 4, s[16:17]
	;;#ASMSTART
	global_load_b128 v[4:7], v[10:11] off scope:SCOPE_DEV	
s_wait_loadcnt 0x0
	;;#ASMEND
	v_and_b32_e32 v7, 0xff, v6
	s_delay_alu instid0(VALU_DEP_1)
	v_cmpx_eq_u16_e32 0, v7
	s_cbranch_execz .LBB1788_96
; %bb.93:
	s_mov_b32 s13, 0
.LBB1788_94:                            ; =>This Inner Loop Header: Depth=1
	;;#ASMSTART
	global_load_b128 v[4:7], v[10:11] off scope:SCOPE_DEV	
s_wait_loadcnt 0x0
	;;#ASMEND
	v_and_b32_e32 v7, 0xff, v6
	s_delay_alu instid0(VALU_DEP_1) | instskip(SKIP_1) | instid1(SALU_CYCLE_1)
	v_cmp_ne_u16_e32 vcc_lo, 0, v7
	s_or_b32 s13, vcc_lo, s13
	s_and_not1_b32 exec_lo, exec_lo, s13
	s_cbranch_execnz .LBB1788_94
; %bb.95:
	s_or_b32 exec_lo, exec_lo, s13
.LBB1788_96:
	s_delay_alu instid0(SALU_CYCLE_1)
	s_or_b32 exec_lo, exec_lo, s12
	v_cmp_ne_u32_e32 vcc_lo, 31, v47
	v_and_b32_e32 v10, 0xff, v6
	v_and_b32_e32 v9, 0xff, v5
	v_lshlrev_b32_e64 v49, v47, -1
	s_mov_b32 s12, exec_lo
	v_add_co_ci_u32_e64 v7, null, 0, v47, vcc_lo
	v_cmp_eq_u16_e32 vcc_lo, 2, v10
	s_delay_alu instid0(VALU_DEP_2) | instskip(SKIP_4) | instid1(VALU_DEP_1)
	v_lshlrev_b32_e32 v48, 2, v7
	v_and_or_b32 v7, vcc_lo, v49, 0x80000000
	ds_bpermute_b32 v10, v48, v4
	ds_bpermute_b32 v11, v48, v9
	v_ctz_i32_b32_e32 v7, v7
	v_cmpx_lt_u32_e64 v47, v7
	s_cbranch_execz .LBB1788_98
; %bb.97:
	s_wait_dscnt 0x1
	v_dual_add_f32 v10, v4, v10 :: v_dual_bitop2_b32 v9, 1, v5 bitop3:0x40
	s_wait_dscnt 0x0
	v_and_b32_e32 v11, 1, v11
	v_and_b32_e32 v50, 0xff, v5
	s_delay_alu instid0(VALU_DEP_3) | instskip(NEXT) | instid1(VALU_DEP_3)
	v_cmp_eq_u32_e32 vcc_lo, 1, v9
	v_cndmask_b32_e64 v5, v11, 1, vcc_lo
	s_delay_alu instid0(VALU_DEP_3) | instskip(NEXT) | instid1(VALU_DEP_2)
	v_cmp_eq_u16_e32 vcc_lo, 0, v50
	v_and_b32_e32 v9, 0xffff, v5
	v_cndmask_b32_e32 v4, v4, v10, vcc_lo
.LBB1788_98:
	s_or_b32 exec_lo, exec_lo, s12
	v_cmp_gt_u32_e32 vcc_lo, 30, v47
	v_add_nc_u32_e32 v51, 2, v47
	s_mov_b32 s12, exec_lo
	s_wait_dscnt 0x1
	v_cndmask_b32_e64 v10, 0, 2, vcc_lo
	s_delay_alu instid0(VALU_DEP_1)
	v_add_lshl_u32 v50, v10, v47, 2
	ds_bpermute_b32 v10, v50, v4
	s_wait_dscnt 0x1
	ds_bpermute_b32 v11, v50, v9
	v_cmpx_le_u32_e64 v51, v7
	s_cbranch_execz .LBB1788_100
; %bb.99:
	s_wait_dscnt 0x1
	v_dual_add_f32 v10, v4, v10 :: v_dual_bitop2_b32 v9, 1, v5 bitop3:0x40
	s_wait_dscnt 0x0
	v_and_b32_e32 v11, 1, v11
	v_and_b32_e32 v52, 0xff, v5
	s_delay_alu instid0(VALU_DEP_3) | instskip(NEXT) | instid1(VALU_DEP_3)
	v_cmp_eq_u32_e32 vcc_lo, 1, v9
	v_cndmask_b32_e64 v5, v11, 1, vcc_lo
	s_delay_alu instid0(VALU_DEP_3) | instskip(NEXT) | instid1(VALU_DEP_2)
	v_cmp_eq_u16_e32 vcc_lo, 0, v52
	v_and_b32_e32 v9, 0xffff, v5
	v_cndmask_b32_e32 v4, v4, v10, vcc_lo
.LBB1788_100:
	s_or_b32 exec_lo, exec_lo, s12
	v_cmp_gt_u32_e32 vcc_lo, 28, v47
	v_add_nc_u32_e32 v53, 4, v47
	s_mov_b32 s12, exec_lo
	s_wait_dscnt 0x1
	v_cndmask_b32_e64 v10, 0, 4, vcc_lo
	s_delay_alu instid0(VALU_DEP_1)
	v_add_lshl_u32 v52, v10, v47, 2
	ds_bpermute_b32 v10, v52, v4
	s_wait_dscnt 0x1
	ds_bpermute_b32 v11, v52, v9
	v_cmpx_le_u32_e64 v53, v7
	;; [unrolled: 27-line block ×3, first 2 shown]
	s_cbranch_execz .LBB1788_104
; %bb.103:
	s_wait_dscnt 0x1
	v_dual_add_f32 v10, v4, v10 :: v_dual_bitop2_b32 v9, 1, v5 bitop3:0x40
	s_wait_dscnt 0x0
	v_and_b32_e32 v11, 1, v11
	v_and_b32_e32 v56, 0xff, v5
	s_delay_alu instid0(VALU_DEP_3) | instskip(NEXT) | instid1(VALU_DEP_3)
	v_cmp_eq_u32_e32 vcc_lo, 1, v9
	v_cndmask_b32_e64 v5, v11, 1, vcc_lo
	s_delay_alu instid0(VALU_DEP_3) | instskip(NEXT) | instid1(VALU_DEP_2)
	v_cmp_eq_u16_e32 vcc_lo, 0, v56
	v_and_b32_e32 v9, 0xffff, v5
	v_cndmask_b32_e32 v4, v4, v10, vcc_lo
.LBB1788_104:
	s_or_b32 exec_lo, exec_lo, s12
	v_lshl_or_b32 v58, v47, 2, 64
	v_add_nc_u32_e32 v59, 16, v47
	s_mov_b32 s12, exec_lo
	s_wait_dscnt 0x1
	ds_bpermute_b32 v10, v58, v4
	ds_bpermute_b32 v9, v58, v9
	v_cmpx_le_u32_e64 v59, v7
	s_cbranch_execz .LBB1788_106
; %bb.105:
	v_and_b32_e32 v7, 0xff, v5
	s_wait_dscnt 0x1
	v_dual_add_f32 v10, v4, v10 :: v_dual_bitop2_b32 v5, 1, v5 bitop3:0x40
	s_delay_alu instid0(VALU_DEP_2) | instskip(SKIP_1) | instid1(VALU_DEP_2)
	v_cmp_eq_u16_e32 vcc_lo, 0, v7
	s_wait_dscnt 0x0
	v_dual_cndmask_b32 v4, v4, v10, vcc_lo :: v_dual_bitop2_b32 v9, 1, v9 bitop3:0x40
	s_delay_alu instid0(VALU_DEP_3) | instskip(NEXT) | instid1(VALU_DEP_2)
	v_cmp_eq_u32_e32 vcc_lo, 1, v5
	v_cndmask_b32_e64 v5, v9, 1, vcc_lo
.LBB1788_106:
	s_or_b32 exec_lo, exec_lo, s12
	s_wait_dscnt 0x0
	v_mov_b32_e32 v9, 0
	s_branch .LBB1788_109
.LBB1788_107:                           ;   in Loop: Header=BB1788_109 Depth=1
	s_or_b32 exec_lo, exec_lo, s12
	s_wait_dscnt 0x1
	ds_bpermute_b32 v11, v58, v4
	ds_bpermute_b32 v10, v58, v10
	s_wait_dscnt 0x2
	v_and_b32_e32 v60, 1, v5
	v_and_b32_e32 v61, 0xff, v5
	v_subrev_nc_u32_e32 v8, 32, v8
	s_mov_b32 s12, 0
	s_wait_dscnt 0x1
	v_add_f32_e32 v11, v4, v11
	v_cmp_eq_u32_e32 vcc_lo, 1, v60
	s_wait_dscnt 0x0
	v_cndmask_b32_e64 v10, v10, 1, vcc_lo
	v_cmp_eq_u16_e32 vcc_lo, 0, v61
	v_cndmask_b32_e32 v11, v4, v11, vcc_lo
	v_cmp_gt_u32_e32 vcc_lo, v59, v7
	v_and_b32_e32 v7, 0xff, v56
	s_delay_alu instid0(VALU_DEP_3) | instskip(SKIP_1) | instid1(VALU_DEP_3)
	v_dual_cndmask_b32 v5, v10, v5 :: v_dual_cndmask_b32 v4, v11, v4
	v_and_b32_e32 v10, 1, v56
	v_cmp_eq_u16_e32 vcc_lo, 0, v7
	s_delay_alu instid0(VALU_DEP_3) | instskip(NEXT) | instid1(VALU_DEP_1)
	v_dual_add_f32 v4, v57, v4 :: v_dual_bitop2_b32 v5, 1, v5 bitop3:0x40
	v_cndmask_b32_e32 v4, v57, v4, vcc_lo
	s_delay_alu instid0(VALU_DEP_4) | instskip(NEXT) | instid1(VALU_DEP_3)
	v_cmp_eq_u32_e32 vcc_lo, 1, v10
	v_cndmask_b32_e64 v5, v5, 1, vcc_lo
.LBB1788_108:                           ;   in Loop: Header=BB1788_109 Depth=1
	s_and_b32 vcc_lo, exec_lo, s12
	s_cbranch_vccnz .LBB1788_173
.LBB1788_109:                           ; =>This Loop Header: Depth=1
                                        ;     Child Loop BB1788_112 Depth 2
	v_and_b32_e32 v6, 0xff, v6
	s_delay_alu instid0(VALU_DEP_2) | instskip(SKIP_1) | instid1(VALU_DEP_2)
	v_dual_mov_b32 v56, v5 :: v_dual_mov_b32 v57, v4
	s_mov_b32 s12, -1
	v_cmp_ne_u16_e32 vcc_lo, 2, v6
                                        ; implicit-def: $vgpr5
	s_cmp_lg_u32 vcc_lo, exec_lo
	s_cbranch_scc1 .LBB1788_108
; %bb.110:                              ;   in Loop: Header=BB1788_109 Depth=1
	v_lshl_add_u64 v[10:11], v[8:9], 4, s[16:17]
	;;#ASMSTART
	global_load_b128 v[4:7], v[10:11] off scope:SCOPE_DEV	
s_wait_loadcnt 0x0
	;;#ASMEND
	v_and_b32_e32 v7, 0xff, v6
	s_mov_b32 s12, exec_lo
	s_delay_alu instid0(VALU_DEP_1)
	v_cmpx_eq_u16_e32 0, v7
	s_cbranch_execz .LBB1788_114
; %bb.111:                              ;   in Loop: Header=BB1788_109 Depth=1
	s_mov_b32 s13, 0
.LBB1788_112:                           ;   Parent Loop BB1788_109 Depth=1
                                        ; =>  This Inner Loop Header: Depth=2
	;;#ASMSTART
	global_load_b128 v[4:7], v[10:11] off scope:SCOPE_DEV	
s_wait_loadcnt 0x0
	;;#ASMEND
	v_and_b32_e32 v7, 0xff, v6
	s_delay_alu instid0(VALU_DEP_1) | instskip(SKIP_1) | instid1(SALU_CYCLE_1)
	v_cmp_ne_u16_e32 vcc_lo, 0, v7
	s_or_b32 s13, vcc_lo, s13
	s_and_not1_b32 exec_lo, exec_lo, s13
	s_cbranch_execnz .LBB1788_112
; %bb.113:                              ;   in Loop: Header=BB1788_109 Depth=1
	s_or_b32 exec_lo, exec_lo, s13
.LBB1788_114:                           ;   in Loop: Header=BB1788_109 Depth=1
	s_delay_alu instid0(SALU_CYCLE_1)
	s_or_b32 exec_lo, exec_lo, s12
	v_and_b32_e32 v10, 0xff, v5
	v_and_b32_e32 v7, 0xff, v6
	ds_bpermute_b32 v11, v48, v4
	s_mov_b32 s12, exec_lo
	ds_bpermute_b32 v60, v48, v10
	v_cmp_eq_u16_e32 vcc_lo, 2, v7
	v_and_or_b32 v7, vcc_lo, v49, 0x80000000
	s_delay_alu instid0(VALU_DEP_1) | instskip(NEXT) | instid1(VALU_DEP_1)
	v_ctz_i32_b32_e32 v7, v7
	v_cmpx_lt_u32_e64 v47, v7
	s_cbranch_execz .LBB1788_116
; %bb.115:                              ;   in Loop: Header=BB1788_109 Depth=1
	s_wait_dscnt 0x1
	v_dual_add_f32 v11, v4, v11 :: v_dual_bitop2_b32 v10, 1, v5 bitop3:0x40
	s_wait_dscnt 0x0
	v_and_b32_e32 v60, 1, v60
	v_and_b32_e32 v61, 0xff, v5
	s_delay_alu instid0(VALU_DEP_3) | instskip(NEXT) | instid1(VALU_DEP_3)
	v_cmp_eq_u32_e32 vcc_lo, 1, v10
	v_cndmask_b32_e64 v5, v60, 1, vcc_lo
	s_delay_alu instid0(VALU_DEP_3) | instskip(NEXT) | instid1(VALU_DEP_2)
	v_cmp_eq_u16_e32 vcc_lo, 0, v61
	v_and_b32_e32 v10, 0xffff, v5
	v_cndmask_b32_e32 v4, v4, v11, vcc_lo
.LBB1788_116:                           ;   in Loop: Header=BB1788_109 Depth=1
	s_or_b32 exec_lo, exec_lo, s12
	s_wait_dscnt 0x1
	ds_bpermute_b32 v11, v50, v4
	s_wait_dscnt 0x1
	ds_bpermute_b32 v60, v50, v10
	s_mov_b32 s12, exec_lo
	v_cmpx_le_u32_e64 v51, v7
	s_cbranch_execz .LBB1788_118
; %bb.117:                              ;   in Loop: Header=BB1788_109 Depth=1
	s_wait_dscnt 0x1
	v_dual_add_f32 v11, v4, v11 :: v_dual_bitop2_b32 v10, 1, v5 bitop3:0x40
	s_wait_dscnt 0x0
	v_and_b32_e32 v60, 1, v60
	v_and_b32_e32 v61, 0xff, v5
	s_delay_alu instid0(VALU_DEP_3) | instskip(NEXT) | instid1(VALU_DEP_3)
	v_cmp_eq_u32_e32 vcc_lo, 1, v10
	v_cndmask_b32_e64 v5, v60, 1, vcc_lo
	s_delay_alu instid0(VALU_DEP_3) | instskip(NEXT) | instid1(VALU_DEP_2)
	v_cmp_eq_u16_e32 vcc_lo, 0, v61
	v_and_b32_e32 v10, 0xffff, v5
	v_cndmask_b32_e32 v4, v4, v11, vcc_lo
.LBB1788_118:                           ;   in Loop: Header=BB1788_109 Depth=1
	s_or_b32 exec_lo, exec_lo, s12
	s_wait_dscnt 0x1
	ds_bpermute_b32 v11, v52, v4
	s_wait_dscnt 0x1
	ds_bpermute_b32 v60, v52, v10
	s_mov_b32 s12, exec_lo
	v_cmpx_le_u32_e64 v53, v7
	;; [unrolled: 22-line block ×3, first 2 shown]
	s_cbranch_execz .LBB1788_107
; %bb.121:                              ;   in Loop: Header=BB1788_109 Depth=1
	s_wait_dscnt 0x1
	v_dual_add_f32 v11, v4, v11 :: v_dual_bitop2_b32 v10, 1, v5 bitop3:0x40
	s_wait_dscnt 0x0
	v_and_b32_e32 v60, 1, v60
	v_and_b32_e32 v61, 0xff, v5
	s_delay_alu instid0(VALU_DEP_3) | instskip(NEXT) | instid1(VALU_DEP_3)
	v_cmp_eq_u32_e32 vcc_lo, 1, v10
	v_cndmask_b32_e64 v5, v60, 1, vcc_lo
	s_delay_alu instid0(VALU_DEP_3) | instskip(NEXT) | instid1(VALU_DEP_2)
	v_cmp_eq_u16_e32 vcc_lo, 0, v61
	v_and_b32_e32 v10, 0xffff, v5
	v_cndmask_b32_e32 v4, v4, v11, vcc_lo
	s_branch .LBB1788_107
.LBB1788_122:
	s_or_b32 exec_lo, exec_lo, s11
                                        ; implicit-def: $vgpr15
	s_and_saveexec_b32 s11, s0
	s_cbranch_execz .LBB1788_29
.LBB1788_123:
	flat_load_b32 v15, v0, s[12:13] offset:1024 scale_offset
	s_wait_loadcnt_dscnt 0x0
	v_cvt_f32_u32_e32 v15, v15
	s_or_b32 exec_lo, exec_lo, s11
                                        ; implicit-def: $vgpr16
	s_and_saveexec_b32 s0, s1
	s_cbranch_execnz .LBB1788_30
.LBB1788_124:
	s_or_b32 exec_lo, exec_lo, s0
                                        ; implicit-def: $vgpr17
	s_and_saveexec_b32 s0, s2
	s_cbranch_execz .LBB1788_31
.LBB1788_125:
	flat_load_b32 v17, v0, s[12:13] offset:3072 scale_offset
	s_wait_loadcnt_dscnt 0x0
	v_cvt_f32_u32_e32 v17, v17
	s_or_b32 exec_lo, exec_lo, s0
                                        ; implicit-def: $vgpr18
	s_and_saveexec_b32 s0, s3
	s_cbranch_execnz .LBB1788_32
.LBB1788_126:
	s_or_b32 exec_lo, exec_lo, s0
                                        ; implicit-def: $vgpr19
	s_and_saveexec_b32 s0, s4
	s_cbranch_execz .LBB1788_33
.LBB1788_127:
	flat_load_b32 v19, v0, s[12:13] offset:5120 scale_offset
	s_wait_loadcnt_dscnt 0x0
	v_cvt_f32_u32_e32 v19, v19
	s_or_b32 exec_lo, exec_lo, s0
                                        ; implicit-def: $vgpr20
	s_and_saveexec_b32 s0, s5
	s_cbranch_execnz .LBB1788_34
.LBB1788_128:
	s_or_b32 exec_lo, exec_lo, s0
                                        ; implicit-def: $vgpr21
	s_and_saveexec_b32 s0, s6
	s_cbranch_execz .LBB1788_35
.LBB1788_129:
	flat_load_b32 v21, v0, s[12:13] offset:7168 scale_offset
	s_wait_loadcnt_dscnt 0x0
	v_cvt_f32_u32_e32 v21, v21
	s_or_b32 exec_lo, exec_lo, s0
                                        ; implicit-def: $vgpr22
	s_and_saveexec_b32 s0, s7
	s_cbranch_execnz .LBB1788_36
.LBB1788_130:
	s_or_b32 exec_lo, exec_lo, s0
                                        ; implicit-def: $vgpr23
	s_and_saveexec_b32 s0, s8
	s_cbranch_execz .LBB1788_37
.LBB1788_131:
	flat_load_b32 v23, v0, s[12:13] offset:9216 scale_offset
	s_wait_loadcnt_dscnt 0x0
	v_cvt_f32_u32_e32 v23, v23
	s_or_b32 exec_lo, exec_lo, s0
                                        ; implicit-def: $vgpr24
	s_and_saveexec_b32 s0, s9
	s_cbranch_execz .LBB1788_39
	s_branch .LBB1788_38
.LBB1788_132:
                                        ; implicit-def: $vgpr13
                                        ; implicit-def: $vgpr9
                                        ; implicit-def: $vgpr5
	s_cbranch_execnz .LBB1788_178
.LBB1788_133:
	s_add_nc_u64 s[0:1], s[14:15], s[26:27]
	s_and_b32 vcc_lo, exec_lo, s19
	s_add_nc_u64 s[0:1], s[0:1], s[20:21]
	s_cbranch_vccz .LBB1788_197
.LBB1788_134:
	v_mul_u32_u24_e32 v1, 12, v0
	s_add_co_i32 s29, s29, s18
	s_mov_b32 s2, exec_lo
	s_delay_alu instid0(VALU_DEP_1)
	v_cmpx_gt_u32_e64 s29, v1
	s_cbranch_execz .LBB1788_150
; %bb.135:
	v_or_b32_e32 v15, 1, v1
	s_mov_b32 s3, exec_lo
	s_delay_alu instid0(VALU_DEP_1)
	v_cmpx_gt_u32_e64 s29, v15
	s_cbranch_execz .LBB1788_149
; %bb.136:
	v_or_b32_e32 v15, 2, v1
	;; [unrolled: 6-line block ×3, first 2 shown]
	s_mov_b32 s5, exec_lo
	s_delay_alu instid0(VALU_DEP_1)
	v_cmpx_gt_u32_e64 s29, v15
	s_cbranch_execz .LBB1788_147
; %bb.138:
	v_add_nc_u32_e32 v15, 4, v1
	s_mov_b32 s6, exec_lo
	s_delay_alu instid0(VALU_DEP_1)
	v_cmpx_gt_u32_e64 s29, v15
	s_cbranch_execz .LBB1788_146
; %bb.139:
	v_add_nc_u32_e32 v15, 5, v1
	;; [unrolled: 6-line block ×4, first 2 shown]
	s_mov_b32 s9, exec_lo
	s_delay_alu instid0(VALU_DEP_1)
	v_cmpx_gt_u32_e64 s29, v15
; %bb.142:
	v_add_nc_u32_e32 v15, 8, v1
	s_mov_b32 s10, exec_lo
	s_delay_alu instid0(VALU_DEP_1)
	v_cmpx_gt_u32_e64 s29, v15
	s_or_b32 exec_lo, exec_lo, s10
; %bb.143:
	s_delay_alu instid0(SALU_CYCLE_1)
	s_or_b32 exec_lo, exec_lo, s9
.LBB1788_144:
	s_delay_alu instid0(SALU_CYCLE_1)
	s_or_b32 exec_lo, exec_lo, s8
.LBB1788_145:
	s_delay_alu instid0(SALU_CYCLE_1)
	s_or_b32 exec_lo, exec_lo, s7
.LBB1788_146:
	s_delay_alu instid0(SALU_CYCLE_1)
	s_or_b32 exec_lo, exec_lo, s6
.LBB1788_147:
	s_delay_alu instid0(SALU_CYCLE_1)
	s_or_b32 exec_lo, exec_lo, s5
.LBB1788_148:
	s_delay_alu instid0(SALU_CYCLE_1)
	s_or_b32 exec_lo, exec_lo, s4
.LBB1788_149:
	s_delay_alu instid0(SALU_CYCLE_1)
	s_or_b32 exec_lo, exec_lo, s3
.LBB1788_150:
	s_delay_alu instid0(SALU_CYCLE_1) | instskip(SKIP_3) | instid1(VALU_DEP_1)
	s_or_b32 exec_lo, exec_lo, s2
	v_lshlrev_b32_e32 v1, 2, v1
	s_barrier_signal -1
	s_barrier_wait -1
	v_mad_i32_i24 v15, 0xffffffd4, v0, v1
	ds_store_b128 v1, v[2:5]
	ds_store_b128 v1, v[6:9] offset:16
	ds_store_b128 v1, v[10:13] offset:32
	s_wait_dscnt 0x0
	s_barrier_signal -1
	s_barrier_wait -1
	ds_load_2addr_stride64_b32 v[26:27], v15 offset0:4 offset1:8
	ds_load_2addr_stride64_b32 v[24:25], v15 offset0:12 offset1:16
	;; [unrolled: 1-line block ×5, first 2 shown]
	ds_load_b32 v17, v15 offset:11264
	v_mov_b32_e32 v15, 0
	s_mov_b32 s2, exec_lo
	s_delay_alu instid0(VALU_DEP_1)
	v_add_nc_u64_e32 v[14:15], s[0:1], v[14:15]
	v_cmpx_gt_u32_e64 s29, v0
	s_cbranch_execz .LBB1788_152
; %bb.151:
	v_mul_i32_i24_e32 v16, 0xffffffd4, v0
	s_delay_alu instid0(VALU_DEP_1)
	v_add_nc_u32_e32 v1, v1, v16
	ds_load_b32 v1, v1
	s_wait_dscnt 0x0
	v_cvt_i32_f32_e32 v1, v1
	flat_store_b32 v[14:15], v1
.LBB1788_152:
	s_wait_xcnt 0x0
	s_or_b32 exec_lo, exec_lo, s2
	v_or_b32_e32 v1, 0x100, v0
	s_mov_b32 s2, exec_lo
	s_delay_alu instid0(VALU_DEP_1)
	v_cmpx_gt_u32_e64 s29, v1
	s_cbranch_execz .LBB1788_154
; %bb.153:
	s_wait_dscnt 0x5
	v_cvt_i32_f32_e32 v1, v26
	flat_store_b32 v[14:15], v1 offset:1024
.LBB1788_154:
	s_wait_xcnt 0x0
	s_or_b32 exec_lo, exec_lo, s2
	v_or_b32_e32 v1, 0x200, v0
	s_mov_b32 s2, exec_lo
	s_delay_alu instid0(VALU_DEP_1)
	v_cmpx_gt_u32_e64 s29, v1
	s_cbranch_execz .LBB1788_156
; %bb.155:
	s_wait_dscnt 0x5
	v_cvt_i32_f32_e32 v1, v27
	flat_store_b32 v[14:15], v1 offset:2048
.LBB1788_156:
	;; [unrolled: 12-line block ×10, first 2 shown]
	s_wait_xcnt 0x0
	s_or_b32 exec_lo, exec_lo, s2
	v_or_b32_e32 v1, 0xb00, v0
	s_delay_alu instid0(VALU_DEP_1)
	v_cmp_gt_u32_e64 s2, s29, v1
	s_branch .LBB1788_199
.LBB1788_173:
	s_and_saveexec_b32 s12, s11
	s_cbranch_execz .LBB1788_175
; %bb.174:
	v_and_b32_e32 v4, 0xff, v3
	v_dual_add_f32 v5, v57, v2 :: v_dual_bitop2_b32 v3, 1, v3 bitop3:0x40
	s_mov_b32 s35, 0
	s_add_co_i32 s34, s28, 32
	s_delay_alu instid0(VALU_DEP_2)
	v_cmp_eq_u32_e32 vcc_lo, 0, v4
	v_and_b32_e32 v6, 1, v56
	s_lshl_b64 s[34:35], s[34:35], 4
	v_mov_b32_e32 v4, 2
	s_add_nc_u64 s[34:35], s[16:17], s[34:35]
	v_cndmask_b32_e32 v2, v2, v5, vcc_lo
	v_cmp_eq_u32_e32 vcc_lo, 1, v3
	v_mov_b32_e32 v5, 0
	v_cndmask_b32_e64 v3, v6, 1, vcc_lo
	v_mov_b64_e32 v[6:7], s[34:35]
	;;#ASMSTART
	global_store_b128 v[6:7], v[2:5] off scope:SCOPE_DEV	
s_wait_storecnt 0x0
	;;#ASMEND
.LBB1788_175:
	s_or_b32 exec_lo, exec_lo, s12
	s_delay_alu instid0(SALU_CYCLE_1)
	s_and_b32 exec_lo, exec_lo, s10
	s_cbranch_execz .LBB1788_177
; %bb.176:
	v_mov_b32_e32 v2, 0
	ds_store_b32 v2, v57
	ds_store_b8 v2, v56 offset:4
.LBB1788_177:
	s_or_b32 exec_lo, exec_lo, s30
	s_wait_dscnt 0x0
	v_cmp_eq_u32_e32 vcc_lo, 0, v13
	v_mov_b32_e32 v2, 0
	s_barrier_signal -1
	s_barrier_wait -1
	ds_load_b32 v2, v2
	s_wait_dscnt 0x0
	v_add_f32_e32 v3, v12, v2
	s_delay_alu instid0(VALU_DEP_1) | instskip(SKIP_1) | instid1(VALU_DEP_2)
	v_cndmask_b32_e32 v3, v12, v3, vcc_lo
	v_cmp_eq_u16_e32 vcc_lo, 0, v30
	v_cndmask_b32_e64 v2, v3, v2, s10
	s_delay_alu instid0(VALU_DEP_1) | instskip(NEXT) | instid1(VALU_DEP_1)
	v_add_f32_e32 v3, v27, v2
	v_cndmask_b32_e32 v3, v27, v3, vcc_lo
	s_delay_alu instid0(VALU_DEP_1) | instskip(NEXT) | instid1(VALU_DEP_1)
	v_add_f32_e32 v4, v15, v3
	v_cndmask_b32_e64 v4, v15, v4, s0
	s_delay_alu instid0(VALU_DEP_1) | instskip(NEXT) | instid1(VALU_DEP_1)
	v_add_f32_e32 v5, v25, v4
	v_cndmask_b32_e64 v5, v25, v5, s1
	;; [unrolled: 3-line block ×10, first 2 shown]
	s_branch .LBB1788_133
.LBB1788_178:
	s_cmp_eq_u64 s[24:25], 0
	v_mov_b32_e32 v47, s33
	s_cselect_b32 s0, -1, 0
	s_cmp_eq_u64 s[22:23], 0
	s_cselect_b32 s1, -1, 0
	s_delay_alu instid0(SALU_CYCLE_1) | instskip(NEXT) | instid1(SALU_CYCLE_1)
	s_or_b32 s0, s0, s1
	s_and_b32 vcc_lo, exec_lo, s0
	s_cbranch_vccnz .LBB1788_180
; %bb.179:
	v_mov_b32_e32 v2, 0
	global_load_b32 v47, v2, s[22:23]
.LBB1788_180:
	v_cmp_eq_u16_e32 vcc_lo, 0, v46
	v_cmp_eq_u16_e64 s0, 0, v45
	v_cmp_eq_u16_e64 s1, 0, v44
	;; [unrolled: 1-line block ×4, first 2 shown]
	s_wait_xcnt 0x0
	v_dual_cndmask_b32 v2, v15, v43, vcc_lo :: v_dual_bitop2_b32 v4, 56, v34 bitop3:0x40
	v_cmp_eq_u16_e64 s4, 0, v40
	v_cmp_eq_u16_e64 s5, 0, v39
	;; [unrolled: 1-line block ×3, first 2 shown]
	s_delay_alu instid0(VALU_DEP_4)
	v_add_f32_e32 v2, v25, v2
	v_cmp_eq_u16_e64 s7, 0, v37
	v_bitop3_b16 v3, v36, v26, v28 bitop3:0xfe
	v_cmp_eq_u16_e64 s8, 0, v35
	v_lshl_add_u32 v4, v0, 3, v4
	v_cndmask_b32_e64 v2, v25, v2, s0
	s_mov_b32 s11, exec_lo
	v_bitop3_b16 v3, v3, v29, v24 bitop3:0xfe
	s_delay_alu instid0(VALU_DEP_2) | instskip(NEXT) | instid1(VALU_DEP_2)
	v_add_f32_e32 v2, v23, v2
	v_bitop3_b16 v3, v33, 0xff, v3 bitop3:0xc8
	s_delay_alu instid0(VALU_DEP_2) | instskip(NEXT) | instid1(VALU_DEP_2)
	v_cndmask_b32_e64 v2, v23, v2, s1
	v_cmp_eq_u16_e64 s9, 0, v3
	s_delay_alu instid0(VALU_DEP_2) | instskip(NEXT) | instid1(VALU_DEP_2)
	v_add_f32_e32 v2, v22, v2
	v_cndmask_b32_e64 v3, 1, v30, s9
	v_cmp_eq_u16_e64 s9, 0, v31
	s_delay_alu instid0(VALU_DEP_3) | instskip(NEXT) | instid1(VALU_DEP_1)
	v_cndmask_b32_e64 v2, v22, v2, s2
	v_add_f32_e32 v2, v20, v2
	s_delay_alu instid0(VALU_DEP_1) | instskip(NEXT) | instid1(VALU_DEP_1)
	v_cndmask_b32_e64 v2, v20, v2, s3
	v_add_f32_e32 v2, v19, v2
	s_delay_alu instid0(VALU_DEP_1) | instskip(NEXT) | instid1(VALU_DEP_1)
	;; [unrolled: 3-line block ×6, first 2 shown]
	v_cndmask_b32_e64 v2, v16, v2, s8
	v_add_f32_e32 v2, v21, v2
	s_delay_alu instid0(VALU_DEP_1) | instskip(SKIP_1) | instid1(VALU_DEP_1)
	v_cndmask_b32_e64 v5, v21, v2, s9
	v_cmp_eq_u32_e64 s9, 1, v32
	v_cndmask_b32_e64 v6, v3, 1, s9
	ds_store_b32 v4, v5
	ds_store_b8 v4, v6 offset:4
	s_wait_loadcnt_dscnt 0x0
	s_barrier_signal -1
	s_barrier_wait -1
	v_cmpx_gt_u32_e32 32, v0
	s_cbranch_execz .LBB1788_192
; %bb.181:
	v_dual_lshlrev_b32 v2, 1, v0 :: v_dual_lshlrev_b32 v3, 6, v0
	s_mov_b32 s12, exec_lo
	s_delay_alu instid0(VALU_DEP_1) | instskip(NEXT) | instid1(VALU_DEP_1)
	v_and_b32_e32 v2, 0x1f8, v2
	v_add_nc_u32_e32 v4, v2, v3
	ds_load_2addr_b32 v[8:9], v4 offset0:2 offset1:4
	ds_load_b64 v[2:3], v4
	ds_load_u8 v7, v4 offset:12
	ds_load_2addr_b32 v[10:11], v4 offset0:6 offset1:8
	ds_load_u8 v12, v4 offset:20
	ds_load_u8 v13, v4 offset:28
	;; [unrolled: 1-line block ×5, first 2 shown]
	ds_load_b32 v28, v4 offset:56
	s_wait_dscnt 0x8
	v_add_f32_e32 v29, v2, v8
	s_wait_dscnt 0x7
	v_cmp_eq_u16_e64 s9, 0, v7
	s_wait_dscnt 0x5
	v_or_b32_e32 v7, v12, v7
	s_delay_alu instid0(VALU_DEP_2) | instskip(SKIP_2) | instid1(VALU_DEP_3)
	v_cndmask_b32_e64 v8, v8, v29, s9
	v_cmp_eq_u16_e64 s9, 0, v12
	s_wait_dscnt 0x3
	v_bitop3_b16 v7, v7, v21, v13 bitop3:0xfe
	s_delay_alu instid0(VALU_DEP_3) | instskip(NEXT) | instid1(VALU_DEP_1)
	v_add_f32_e32 v8, v9, v8
	v_cndmask_b32_e64 v29, v9, v8, s9
	ds_load_2addr_b32 v[8:9], v4 offset0:10 offset1:12
	v_cmp_eq_u16_e64 s9, 0, v13
	v_and_b32_e32 v13, 0xffffff00, v3
	v_add_f32_e32 v29, v10, v29
	s_delay_alu instid0(VALU_DEP_1) | instskip(SKIP_3) | instid1(VALU_DEP_1)
	v_cndmask_b32_e64 v10, v10, v29, s9
	v_cmp_eq_u16_e64 s9, 0, v21
	ds_load_u8 v29, v4 offset:60
	v_add_f32_e32 v10, v11, v10
	v_cndmask_b32_e64 v10, v11, v10, s9
	s_wait_dscnt 0x4
	v_cmp_eq_u16_e64 s9, 0, v24
	s_wait_dscnt 0x1
	s_delay_alu instid0(VALU_DEP_2) | instskip(NEXT) | instid1(VALU_DEP_1)
	v_add_f32_e32 v10, v8, v10
	v_cndmask_b32_e64 v8, v8, v10, s9
	v_bitop3_b16 v10, v7, v26, v24 bitop3:0xfe
	v_and_b32_e32 v7, 1, v3
	s_wait_dscnt 0x0
	v_and_b32_e32 v11, 1, v29
	s_delay_alu instid0(VALU_DEP_3) | instskip(NEXT) | instid1(VALU_DEP_1)
	v_cmp_eq_u16_e64 s9, 0, v10
	v_dual_add_f32 v8, v9, v8 :: v_dual_cndmask_b32 v10, 1, v7, s9
	v_cmp_eq_u16_e64 s9, 0, v26
	s_delay_alu instid0(VALU_DEP_1) | instskip(SKIP_1) | instid1(VALU_DEP_1)
	v_cndmask_b32_e64 v8, v9, v8, s9
	v_cmp_eq_u32_e64 s9, 1, v11
	v_cndmask_b32_e64 v11, v10, 1, s9
	v_cmp_eq_u16_e64 s9, 0, v29
	s_delay_alu instid0(VALU_DEP_2) | instskip(SKIP_1) | instid1(VALU_DEP_2)
	v_dual_add_f32 v9, v28, v8 :: v_dual_bitop2_b32 v10, v11, v13 bitop3:0x54
	v_mbcnt_lo_u32_b32 v8, -1, 0
	v_mov_b32_dpp v24, v10 row_shr:1 row_mask:0xf bank_mask:0xf
	s_delay_alu instid0(VALU_DEP_2) | instskip(NEXT) | instid1(VALU_DEP_1)
	v_dual_cndmask_b32 v9, v28, v9, s9 :: v_dual_bitop2_b32 v12, 15, v8 bitop3:0x40
	v_mov_b32_dpp v21, v9 row_shr:1 row_mask:0xf bank_mask:0xf
	s_delay_alu instid0(VALU_DEP_2)
	v_cmpx_ne_u32_e32 0, v12
	s_cbranch_execz .LBB1788_183
; %bb.182:
	s_delay_alu instid0(VALU_DEP_2) | instskip(SKIP_2) | instid1(VALU_DEP_3)
	v_dual_add_f32 v21, v9, v21 :: v_dual_bitop2_b32 v10, 1, v11 bitop3:0x40
	v_cmp_eq_u32_e64 s9, 0, v11
	v_and_b32_e32 v24, 1, v24
	v_cmp_eq_u32_e64 s10, 1, v10
	s_delay_alu instid0(VALU_DEP_3) | instskip(NEXT) | instid1(VALU_DEP_2)
	v_cndmask_b32_e64 v9, v9, v21, s9
	v_cndmask_b32_e64 v11, v24, 1, s10
	s_delay_alu instid0(VALU_DEP_1)
	v_or_b32_e32 v10, v11, v13
.LBB1788_183:
	s_or_b32 exec_lo, exec_lo, s12
	s_delay_alu instid0(VALU_DEP_3) | instskip(NEXT) | instid1(VALU_DEP_2)
	v_mov_b32_dpp v13, v9 row_shr:2 row_mask:0xf bank_mask:0xf
	v_mov_b32_dpp v21, v10 row_shr:2 row_mask:0xf bank_mask:0xf
	s_mov_b32 s12, exec_lo
	v_cmpx_lt_u32_e32 1, v12
	s_cbranch_execz .LBB1788_185
; %bb.184:
	v_dual_add_f32 v13, v9, v13 :: v_dual_bitop2_b32 v24, 1, v11 bitop3:0x40
	v_and_b32_e32 v21, 1, v21
	v_cmp_eq_u32_e64 s9, 0, v11
	s_delay_alu instid0(VALU_DEP_3) | instskip(NEXT) | instid1(VALU_DEP_2)
	v_cmp_eq_u32_e64 s10, 1, v24
	v_cndmask_b32_e64 v9, v9, v13, s9
	s_delay_alu instid0(VALU_DEP_2) | instskip(NEXT) | instid1(VALU_DEP_1)
	v_cndmask_b32_e64 v11, v21, 1, s10
	v_and_or_b32 v10, 0xffffff00, v10, v11
.LBB1788_185:
	s_or_b32 exec_lo, exec_lo, s12
	s_delay_alu instid0(VALU_DEP_3) | instskip(NEXT) | instid1(VALU_DEP_2)
	v_mov_b32_dpp v13, v9 row_shr:4 row_mask:0xf bank_mask:0xf
	v_mov_b32_dpp v21, v10 row_shr:4 row_mask:0xf bank_mask:0xf
	s_mov_b32 s12, exec_lo
	v_cmpx_lt_u32_e32 3, v12
	s_cbranch_execz .LBB1788_187
; %bb.186:
	v_dual_add_f32 v13, v9, v13 :: v_dual_bitop2_b32 v24, 1, v11 bitop3:0x40
	v_and_b32_e32 v21, 1, v21
	v_cmp_eq_u32_e64 s9, 0, v11
	s_delay_alu instid0(VALU_DEP_3) | instskip(NEXT) | instid1(VALU_DEP_2)
	v_cmp_eq_u32_e64 s10, 1, v24
	v_cndmask_b32_e64 v9, v9, v13, s9
	s_delay_alu instid0(VALU_DEP_2) | instskip(NEXT) | instid1(VALU_DEP_1)
	v_cndmask_b32_e64 v11, v21, 1, s10
	v_and_or_b32 v10, 0xffffff00, v10, v11
.LBB1788_187:
	;; [unrolled: 18-line block ×3, first 2 shown]
	s_or_b32 exec_lo, exec_lo, s12
	ds_swizzle_b32 v12, v9 offset:swizzle(BROADCAST,32,15)
	ds_swizzle_b32 v13, v10 offset:swizzle(BROADCAST,32,15)
	v_and_b32_e32 v21, 16, v8
	s_mov_b32 s10, exec_lo
	s_delay_alu instid0(VALU_DEP_1)
	v_cmpx_ne_u32_e32 0, v21
	s_cbranch_execz .LBB1788_191
; %bb.190:
	s_wait_dscnt 0x1
	v_dual_add_f32 v12, v9, v12 :: v_dual_bitop2_b32 v21, 1, v11 bitop3:0x40
	s_wait_dscnt 0x0
	v_and_b32_e32 v13, 1, v13
	s_delay_alu instid0(VALU_DEP_2) | instskip(NEXT) | instid1(VALU_DEP_1)
	v_cmp_eq_u32_e64 s9, 1, v21
	v_cndmask_b32_e64 v13, v13, 1, s9
	v_cmp_eq_u32_e64 s9, 0, v11
	s_delay_alu instid0(VALU_DEP_2) | instskip(NEXT) | instid1(VALU_DEP_2)
	v_and_or_b32 v10, 0xffffff00, v10, v13
	v_cndmask_b32_e64 v9, v9, v12, s9
.LBB1788_191:
	s_or_b32 exec_lo, exec_lo, s10
	v_add_nc_u32_e32 v11, -1, v8
	v_and_b32_e32 v3, 0xff, v3
	; wave barrier
	s_delay_alu instid0(VALU_DEP_2) | instskip(NEXT) | instid1(VALU_DEP_1)
	v_cmp_gt_i32_e64 s9, 0, v11
	v_cndmask_b32_e64 v8, v11, v8, s9
	s_delay_alu instid0(VALU_DEP_3) | instskip(NEXT) | instid1(VALU_DEP_2)
	v_cmp_eq_u32_e64 s9, 0, v3
	v_lshlrev_b32_e32 v8, 2, v8
	ds_bpermute_b32 v9, v8, v9
	ds_bpermute_b32 v8, v8, v10
	s_wait_dscnt 0x0
	v_dual_add_f32 v9, v2, v9 :: v_dual_bitop2_b32 v8, 1, v8 bitop3:0x40
	s_delay_alu instid0(VALU_DEP_1) | instskip(SKIP_1) | instid1(VALU_DEP_1)
	v_cndmask_b32_e64 v2, v2, v9, s9
	v_cmp_eq_u32_e64 s9, 1, v7
	v_cndmask_b32_e64 v3, v8, 1, s9
	v_cmp_eq_u32_e64 s9, 0, v0
	s_delay_alu instid0(VALU_DEP_1)
	v_dual_cndmask_b32 v5, v2, v5, s9 :: v_dual_cndmask_b32 v8, v3, v6, s9
	ds_store_b32 v4, v5
	ds_store_b8 v4, v8 offset:4
	; wave barrier
	ds_load_2addr_b32 v[2:3], v4 offset0:2 offset1:4
	ds_load_u8 v9, v4 offset:12
	ds_load_u8 v10, v4 offset:20
	ds_load_2addr_b32 v[6:7], v4 offset0:6 offset1:8
	ds_load_u8 v11, v4 offset:28
	ds_load_u8 v12, v4 offset:36
	ds_load_u8 v13, v4 offset:44
	ds_load_u8 v21, v4 offset:52
	ds_load_b32 v24, v4 offset:56
	ds_load_u8 v26, v4 offset:60
	s_wait_dscnt 0x9
	v_add_f32_e32 v5, v5, v2
	s_wait_dscnt 0x8
	v_cmp_eq_u16_e64 s9, 0, v9
	s_delay_alu instid0(VALU_DEP_1) | instskip(SKIP_2) | instid1(VALU_DEP_2)
	v_cndmask_b32_e64 v5, v2, v5, s9
	s_wait_dscnt 0x7
	v_cmp_eq_u16_e64 s9, 0, v10
	v_add_f32_e32 v2, v5, v3
	s_delay_alu instid0(VALU_DEP_1)
	v_cndmask_b32_e64 v28, v3, v2, s9
	s_wait_dscnt 0x5
	v_cmp_eq_u16_e64 s9, 0, v11
	ds_load_2addr_b32 v[2:3], v4 offset0:10 offset1:12
	v_add_f32_e32 v29, v28, v6
	ds_store_2addr_b32 v4, v5, v28 offset0:2 offset1:4
	v_cndmask_b32_e64 v6, v6, v29, s9
	s_delay_alu instid0(VALU_DEP_1) | instskip(NEXT) | instid1(VALU_DEP_1)
	v_dual_add_f32 v29, v6, v7 :: v_dual_bitop2_b32 v9, 1, v9 bitop3:0x40
	v_cmp_eq_u32_e64 s9, 1, v9
	s_delay_alu instid0(VALU_DEP_1) | instskip(SKIP_2) | instid1(VALU_DEP_1)
	v_cndmask_b32_e64 v8, v8, 1, s9
	s_wait_dscnt 0x6
	v_cmp_eq_u16_e64 s9, 0, v12
	v_dual_cndmask_b32 v7, v7, v29, s9 :: v_dual_bitop2_b32 v10, 1, v10 bitop3:0x40
	v_and_b32_e32 v9, 1, v11
	s_delay_alu instid0(VALU_DEP_2) | instskip(SKIP_1) | instid1(VALU_DEP_3)
	v_cmp_eq_u32_e64 s9, 1, v10
	s_wait_dscnt 0x1
	v_dual_add_f32 v12, v7, v2 :: v_dual_bitop2_b32 v11, 1, v12 bitop3:0x40
	s_delay_alu instid0(VALU_DEP_2) | instskip(SKIP_1) | instid1(VALU_DEP_1)
	v_cndmask_b32_e64 v10, v8, 1, s9
	v_cmp_eq_u32_e64 s9, 1, v9
	v_cndmask_b32_e64 v9, v10, 1, s9
	v_cmp_eq_u16_e64 s9, 0, v13
	s_delay_alu instid0(VALU_DEP_1) | instskip(SKIP_1) | instid1(VALU_DEP_2)
	v_dual_cndmask_b32 v2, v2, v12, s9 :: v_dual_bitop2_b32 v29, 1, v13 bitop3:0x40
	v_cmp_eq_u32_e64 s9, 1, v11
	v_add_f32_e32 v13, v2, v3
	s_delay_alu instid0(VALU_DEP_2) | instskip(NEXT) | instid1(VALU_DEP_4)
	v_cndmask_b32_e64 v11, v9, 1, s9
	v_cmp_eq_u32_e64 s9, 1, v29
	s_delay_alu instid0(VALU_DEP_1) | instskip(SKIP_1) | instid1(VALU_DEP_1)
	v_cndmask_b32_e64 v29, v11, 1, s9
	v_cmp_eq_u16_e64 s9, 0, v21
	v_dual_cndmask_b32 v3, v3, v13, s9 :: v_dual_bitop2_b32 v31, 1, v26 bitop3:0x40
	v_and_b32_e32 v12, 1, v21
	ds_store_2addr_b32 v4, v6, v7 offset0:6 offset1:8
	ds_store_2addr_b32 v4, v2, v3 offset0:10 offset1:12
	v_add_f32_e32 v5, v3, v24
	v_cmp_eq_u32_e64 s9, 1, v12
	s_delay_alu instid0(VALU_DEP_1) | instskip(SKIP_1) | instid1(VALU_DEP_1)
	v_cndmask_b32_e64 v12, v29, 1, s9
	v_cmp_eq_u32_e64 s9, 1, v31
	v_cndmask_b32_e64 v13, v12, 1, s9
	v_cmp_eq_u16_e64 s9, 0, v26
	s_delay_alu instid0(VALU_DEP_1)
	v_cndmask_b32_e64 v2, v24, v5, s9
	ds_store_b8 v4, v8 offset:12
	ds_store_b8 v4, v10 offset:20
	;; [unrolled: 1-line block ×6, first 2 shown]
	ds_store_b32 v4, v2 offset:56
	ds_store_b8 v4, v13 offset:60
.LBB1788_192:
	s_or_b32 exec_lo, exec_lo, s11
	v_cmp_eq_u32_e64 s9, 0, v0
	v_mov_b32_e32 v2, v47
	s_mov_b32 s11, exec_lo
	s_wait_dscnt 0x0
	s_barrier_signal -1
	s_barrier_wait -1
	v_cmpx_ne_u32_e32 0, v0
	s_cbranch_execz .LBB1788_194
; %bb.193:
	v_add_nc_u32_e32 v2, -1, v0
	s_delay_alu instid0(VALU_DEP_1) | instskip(NEXT) | instid1(VALU_DEP_1)
	v_lshrrev_b32_e32 v3, 2, v2
	v_and_b32_e32 v3, 0x3ffffff8, v3
	s_delay_alu instid0(VALU_DEP_1)
	v_lshl_add_u32 v2, v2, 3, v3
	ds_load_b32 v3, v2
	ds_load_u8 v2, v2 offset:4
	s_wait_dscnt 0x1
	v_add_f32_e32 v4, v47, v3
	s_wait_dscnt 0x0
	v_cmp_eq_u16_e64 s10, 0, v2
	s_delay_alu instid0(VALU_DEP_1)
	v_cndmask_b32_e64 v2, v3, v4, s10
.LBB1788_194:
	s_or_b32 exec_lo, exec_lo, s11
	s_delay_alu instid0(VALU_DEP_1) | instskip(SKIP_1) | instid1(VALU_DEP_1)
	v_add_f32_e32 v3, v27, v2
	v_cmp_eq_u16_e64 s10, 0, v30
	v_cndmask_b32_e64 v3, v27, v3, s10
	s_delay_alu instid0(VALU_DEP_1) | instskip(NEXT) | instid1(VALU_DEP_1)
	v_add_f32_e32 v4, v15, v3
	v_cndmask_b32_e32 v4, v15, v4, vcc_lo
	s_delay_alu instid0(VALU_DEP_1) | instskip(NEXT) | instid1(VALU_DEP_1)
	v_add_f32_e32 v5, v25, v4
	v_cndmask_b32_e64 v5, v25, v5, s0
	s_delay_alu instid0(VALU_DEP_1) | instskip(NEXT) | instid1(VALU_DEP_1)
	v_add_f32_e32 v6, v23, v5
	v_cndmask_b32_e64 v6, v23, v6, s1
	s_delay_alu instid0(VALU_DEP_1) | instskip(NEXT) | instid1(VALU_DEP_1)
	v_add_f32_e32 v7, v22, v6
	v_cndmask_b32_e64 v7, v22, v7, s2
	s_delay_alu instid0(VALU_DEP_1) | instskip(NEXT) | instid1(VALU_DEP_1)
	v_add_f32_e32 v8, v20, v7
	v_cndmask_b32_e64 v8, v20, v8, s3
	s_delay_alu instid0(VALU_DEP_1) | instskip(NEXT) | instid1(VALU_DEP_1)
	v_add_f32_e32 v9, v19, v8
	v_cndmask_b32_e64 v9, v19, v9, s4
	s_delay_alu instid0(VALU_DEP_1) | instskip(NEXT) | instid1(VALU_DEP_1)
	v_add_f32_e32 v10, v18, v9
	v_cndmask_b32_e64 v10, v18, v10, s5
	s_delay_alu instid0(VALU_DEP_1) | instskip(NEXT) | instid1(VALU_DEP_1)
	v_add_f32_e32 v11, v17, v10
	v_cndmask_b32_e64 v11, v17, v11, s6
	s_delay_alu instid0(VALU_DEP_1) | instskip(NEXT) | instid1(VALU_DEP_1)
	v_add_f32_e32 v12, v1, v11
	v_cndmask_b32_e64 v12, v1, v12, s7
	s_delay_alu instid0(VALU_DEP_1) | instskip(NEXT) | instid1(VALU_DEP_1)
	v_add_f32_e32 v1, v16, v12
	v_cndmask_b32_e64 v13, v16, v1, s8
	s_and_saveexec_b32 s0, s9
	s_cbranch_execz .LBB1788_196
; %bb.195:
	v_mov_b32_e32 v21, 0
	s_add_nc_u64 s[2:3], s[16:17], 0x200
	ds_load_u8 v1, v21 offset:2100
	ds_load_b32 v15, v21 offset:2096
	s_wait_dscnt 0x1
	v_and_b32_e32 v20, 0xffff, v1
	s_wait_dscnt 0x0
	v_dual_add_f32 v1, v47, v15 :: v_dual_mov_b32 v18, 2
	v_mov_b32_e32 v19, v21
	s_delay_alu instid0(VALU_DEP_3)
	v_cmp_eq_u64_e32 vcc_lo, 0, v[20:21]
	v_mov_b32_e32 v17, v20
	v_mov_b64_e32 v[20:21], s[2:3]
	v_cndmask_b32_e32 v16, v15, v1, vcc_lo
	;;#ASMSTART
	global_store_b128 v[20:21], v[16:19] off scope:SCOPE_DEV	
s_wait_storecnt 0x0
	;;#ASMEND
.LBB1788_196:
	s_or_b32 exec_lo, exec_lo, s0
	s_add_nc_u64 s[0:1], s[14:15], s[26:27]
	s_and_b32 vcc_lo, exec_lo, s19
	s_add_nc_u64 s[0:1], s[0:1], s[20:21]
	s_cbranch_vccnz .LBB1788_134
.LBB1788_197:
	s_mov_b32 s2, 0
                                        ; implicit-def: $vgpr17
	s_cbranch_execz .LBB1788_199
; %bb.198:
	v_mul_u32_u24_e32 v1, 48, v0
	v_mul_i32_i24_e32 v14, 0xffffffd4, v0
	s_wait_storecnt_dscnt 0x0
	s_barrier_signal -1
	s_barrier_wait -1
	ds_store_b128 v1, v[2:5]
	ds_store_b128 v1, v[6:9] offset:16
	ds_store_b128 v1, v[10:13] offset:32
	v_mad_u32_u24 v1, v0, 48, v14
	s_wait_dscnt 0x0
	s_barrier_signal -1
	s_barrier_wait -1
	ds_load_2addr_stride64_b32 v[2:3], v1 offset1:4
	ds_load_2addr_stride64_b32 v[4:5], v1 offset0:8 offset1:12
	ds_load_2addr_stride64_b32 v[6:7], v1 offset0:16 offset1:20
	;; [unrolled: 1-line block ×5, first 2 shown]
	s_or_b32 s2, s2, exec_lo
	s_wait_dscnt 0x5
	v_cvt_i32_f32_e32 v1, v2
	v_cvt_i32_f32_e32 v2, v3
	s_wait_dscnt 0x4
	v_cvt_i32_f32_e32 v3, v4
	v_cvt_i32_f32_e32 v4, v5
	s_wait_dscnt 0x3
	v_cvt_i32_f32_e32 v5, v6
	v_cvt_i32_f32_e32 v6, v7
	s_wait_dscnt 0x2
	v_cvt_i32_f32_e32 v7, v8
	v_cvt_i32_f32_e32 v8, v9
	s_wait_dscnt 0x1
	v_cvt_i32_f32_e32 v9, v10
	v_cvt_i32_f32_e32 v10, v11
	s_wait_dscnt 0x0
	v_cvt_i32_f32_e32 v11, v16
	s_clause 0xa
	flat_store_b32 v0, v1, s[0:1] scale_offset
	flat_store_b32 v0, v2, s[0:1] offset:1024 scale_offset
	flat_store_b32 v0, v3, s[0:1] offset:2048 scale_offset
	;; [unrolled: 1-line block ×10, first 2 shown]
.LBB1788_199:
	s_wait_xcnt 0x0
	s_delay_alu instid0(VALU_DEP_1)
	s_and_saveexec_b32 s3, s2
	s_cbranch_execz .LBB1788_201
; %bb.200:
	s_wait_dscnt 0x0
	v_cvt_i32_f32_e32 v1, v17
	flat_store_b32 v0, v1, s[0:1] offset:11264 scale_offset
	s_endpgm
.LBB1788_201:
	s_endpgm
	.section	.rodata,"a",@progbits
	.p2align	6, 0x0
	.amdhsa_kernel _ZN7rocprim17ROCPRIM_400000_NS6detail17trampoline_kernelINS0_14default_configENS1_27scan_by_key_config_selectorIifEEZZNS1_16scan_by_key_implILNS1_25lookback_scan_determinismE0ELb1ES3_N6thrust23THRUST_200600_302600_NS6detail15normal_iteratorINS9_10device_ptrIiEEEENSB_INSC_IjEEEESE_fNS9_4plusIvEENS9_8equal_toIvEEfEE10hipError_tPvRmT2_T3_T4_T5_mT6_T7_P12ihipStream_tbENKUlT_T0_E_clISt17integral_constantIbLb0EES11_EEDaSW_SX_EUlSW_E_NS1_11comp_targetILNS1_3genE0ELNS1_11target_archE4294967295ELNS1_3gpuE0ELNS1_3repE0EEENS1_30default_config_static_selectorELNS0_4arch9wavefront6targetE0EEEvT1_
		.amdhsa_group_segment_fixed_size 14336
		.amdhsa_private_segment_fixed_size 0
		.amdhsa_kernarg_size 112
		.amdhsa_user_sgpr_count 2
		.amdhsa_user_sgpr_dispatch_ptr 0
		.amdhsa_user_sgpr_queue_ptr 0
		.amdhsa_user_sgpr_kernarg_segment_ptr 1
		.amdhsa_user_sgpr_dispatch_id 0
		.amdhsa_user_sgpr_kernarg_preload_length 0
		.amdhsa_user_sgpr_kernarg_preload_offset 0
		.amdhsa_user_sgpr_private_segment_size 0
		.amdhsa_wavefront_size32 1
		.amdhsa_uses_dynamic_stack 0
		.amdhsa_enable_private_segment 0
		.amdhsa_system_sgpr_workgroup_id_x 1
		.amdhsa_system_sgpr_workgroup_id_y 0
		.amdhsa_system_sgpr_workgroup_id_z 0
		.amdhsa_system_sgpr_workgroup_info 0
		.amdhsa_system_vgpr_workitem_id 0
		.amdhsa_next_free_vgpr 62
		.amdhsa_next_free_sgpr 48
		.amdhsa_named_barrier_count 0
		.amdhsa_reserve_vcc 1
		.amdhsa_float_round_mode_32 0
		.amdhsa_float_round_mode_16_64 0
		.amdhsa_float_denorm_mode_32 3
		.amdhsa_float_denorm_mode_16_64 3
		.amdhsa_fp16_overflow 0
		.amdhsa_memory_ordered 1
		.amdhsa_forward_progress 1
		.amdhsa_inst_pref_size 105
		.amdhsa_round_robin_scheduling 0
		.amdhsa_exception_fp_ieee_invalid_op 0
		.amdhsa_exception_fp_denorm_src 0
		.amdhsa_exception_fp_ieee_div_zero 0
		.amdhsa_exception_fp_ieee_overflow 0
		.amdhsa_exception_fp_ieee_underflow 0
		.amdhsa_exception_fp_ieee_inexact 0
		.amdhsa_exception_int_div_zero 0
	.end_amdhsa_kernel
	.section	.text._ZN7rocprim17ROCPRIM_400000_NS6detail17trampoline_kernelINS0_14default_configENS1_27scan_by_key_config_selectorIifEEZZNS1_16scan_by_key_implILNS1_25lookback_scan_determinismE0ELb1ES3_N6thrust23THRUST_200600_302600_NS6detail15normal_iteratorINS9_10device_ptrIiEEEENSB_INSC_IjEEEESE_fNS9_4plusIvEENS9_8equal_toIvEEfEE10hipError_tPvRmT2_T3_T4_T5_mT6_T7_P12ihipStream_tbENKUlT_T0_E_clISt17integral_constantIbLb0EES11_EEDaSW_SX_EUlSW_E_NS1_11comp_targetILNS1_3genE0ELNS1_11target_archE4294967295ELNS1_3gpuE0ELNS1_3repE0EEENS1_30default_config_static_selectorELNS0_4arch9wavefront6targetE0EEEvT1_,"axG",@progbits,_ZN7rocprim17ROCPRIM_400000_NS6detail17trampoline_kernelINS0_14default_configENS1_27scan_by_key_config_selectorIifEEZZNS1_16scan_by_key_implILNS1_25lookback_scan_determinismE0ELb1ES3_N6thrust23THRUST_200600_302600_NS6detail15normal_iteratorINS9_10device_ptrIiEEEENSB_INSC_IjEEEESE_fNS9_4plusIvEENS9_8equal_toIvEEfEE10hipError_tPvRmT2_T3_T4_T5_mT6_T7_P12ihipStream_tbENKUlT_T0_E_clISt17integral_constantIbLb0EES11_EEDaSW_SX_EUlSW_E_NS1_11comp_targetILNS1_3genE0ELNS1_11target_archE4294967295ELNS1_3gpuE0ELNS1_3repE0EEENS1_30default_config_static_selectorELNS0_4arch9wavefront6targetE0EEEvT1_,comdat
.Lfunc_end1788:
	.size	_ZN7rocprim17ROCPRIM_400000_NS6detail17trampoline_kernelINS0_14default_configENS1_27scan_by_key_config_selectorIifEEZZNS1_16scan_by_key_implILNS1_25lookback_scan_determinismE0ELb1ES3_N6thrust23THRUST_200600_302600_NS6detail15normal_iteratorINS9_10device_ptrIiEEEENSB_INSC_IjEEEESE_fNS9_4plusIvEENS9_8equal_toIvEEfEE10hipError_tPvRmT2_T3_T4_T5_mT6_T7_P12ihipStream_tbENKUlT_T0_E_clISt17integral_constantIbLb0EES11_EEDaSW_SX_EUlSW_E_NS1_11comp_targetILNS1_3genE0ELNS1_11target_archE4294967295ELNS1_3gpuE0ELNS1_3repE0EEENS1_30default_config_static_selectorELNS0_4arch9wavefront6targetE0EEEvT1_, .Lfunc_end1788-_ZN7rocprim17ROCPRIM_400000_NS6detail17trampoline_kernelINS0_14default_configENS1_27scan_by_key_config_selectorIifEEZZNS1_16scan_by_key_implILNS1_25lookback_scan_determinismE0ELb1ES3_N6thrust23THRUST_200600_302600_NS6detail15normal_iteratorINS9_10device_ptrIiEEEENSB_INSC_IjEEEESE_fNS9_4plusIvEENS9_8equal_toIvEEfEE10hipError_tPvRmT2_T3_T4_T5_mT6_T7_P12ihipStream_tbENKUlT_T0_E_clISt17integral_constantIbLb0EES11_EEDaSW_SX_EUlSW_E_NS1_11comp_targetILNS1_3genE0ELNS1_11target_archE4294967295ELNS1_3gpuE0ELNS1_3repE0EEENS1_30default_config_static_selectorELNS0_4arch9wavefront6targetE0EEEvT1_
                                        ; -- End function
	.set _ZN7rocprim17ROCPRIM_400000_NS6detail17trampoline_kernelINS0_14default_configENS1_27scan_by_key_config_selectorIifEEZZNS1_16scan_by_key_implILNS1_25lookback_scan_determinismE0ELb1ES3_N6thrust23THRUST_200600_302600_NS6detail15normal_iteratorINS9_10device_ptrIiEEEENSB_INSC_IjEEEESE_fNS9_4plusIvEENS9_8equal_toIvEEfEE10hipError_tPvRmT2_T3_T4_T5_mT6_T7_P12ihipStream_tbENKUlT_T0_E_clISt17integral_constantIbLb0EES11_EEDaSW_SX_EUlSW_E_NS1_11comp_targetILNS1_3genE0ELNS1_11target_archE4294967295ELNS1_3gpuE0ELNS1_3repE0EEENS1_30default_config_static_selectorELNS0_4arch9wavefront6targetE0EEEvT1_.num_vgpr, 62
	.set _ZN7rocprim17ROCPRIM_400000_NS6detail17trampoline_kernelINS0_14default_configENS1_27scan_by_key_config_selectorIifEEZZNS1_16scan_by_key_implILNS1_25lookback_scan_determinismE0ELb1ES3_N6thrust23THRUST_200600_302600_NS6detail15normal_iteratorINS9_10device_ptrIiEEEENSB_INSC_IjEEEESE_fNS9_4plusIvEENS9_8equal_toIvEEfEE10hipError_tPvRmT2_T3_T4_T5_mT6_T7_P12ihipStream_tbENKUlT_T0_E_clISt17integral_constantIbLb0EES11_EEDaSW_SX_EUlSW_E_NS1_11comp_targetILNS1_3genE0ELNS1_11target_archE4294967295ELNS1_3gpuE0ELNS1_3repE0EEENS1_30default_config_static_selectorELNS0_4arch9wavefront6targetE0EEEvT1_.num_agpr, 0
	.set _ZN7rocprim17ROCPRIM_400000_NS6detail17trampoline_kernelINS0_14default_configENS1_27scan_by_key_config_selectorIifEEZZNS1_16scan_by_key_implILNS1_25lookback_scan_determinismE0ELb1ES3_N6thrust23THRUST_200600_302600_NS6detail15normal_iteratorINS9_10device_ptrIiEEEENSB_INSC_IjEEEESE_fNS9_4plusIvEENS9_8equal_toIvEEfEE10hipError_tPvRmT2_T3_T4_T5_mT6_T7_P12ihipStream_tbENKUlT_T0_E_clISt17integral_constantIbLb0EES11_EEDaSW_SX_EUlSW_E_NS1_11comp_targetILNS1_3genE0ELNS1_11target_archE4294967295ELNS1_3gpuE0ELNS1_3repE0EEENS1_30default_config_static_selectorELNS0_4arch9wavefront6targetE0EEEvT1_.numbered_sgpr, 48
	.set _ZN7rocprim17ROCPRIM_400000_NS6detail17trampoline_kernelINS0_14default_configENS1_27scan_by_key_config_selectorIifEEZZNS1_16scan_by_key_implILNS1_25lookback_scan_determinismE0ELb1ES3_N6thrust23THRUST_200600_302600_NS6detail15normal_iteratorINS9_10device_ptrIiEEEENSB_INSC_IjEEEESE_fNS9_4plusIvEENS9_8equal_toIvEEfEE10hipError_tPvRmT2_T3_T4_T5_mT6_T7_P12ihipStream_tbENKUlT_T0_E_clISt17integral_constantIbLb0EES11_EEDaSW_SX_EUlSW_E_NS1_11comp_targetILNS1_3genE0ELNS1_11target_archE4294967295ELNS1_3gpuE0ELNS1_3repE0EEENS1_30default_config_static_selectorELNS0_4arch9wavefront6targetE0EEEvT1_.num_named_barrier, 0
	.set _ZN7rocprim17ROCPRIM_400000_NS6detail17trampoline_kernelINS0_14default_configENS1_27scan_by_key_config_selectorIifEEZZNS1_16scan_by_key_implILNS1_25lookback_scan_determinismE0ELb1ES3_N6thrust23THRUST_200600_302600_NS6detail15normal_iteratorINS9_10device_ptrIiEEEENSB_INSC_IjEEEESE_fNS9_4plusIvEENS9_8equal_toIvEEfEE10hipError_tPvRmT2_T3_T4_T5_mT6_T7_P12ihipStream_tbENKUlT_T0_E_clISt17integral_constantIbLb0EES11_EEDaSW_SX_EUlSW_E_NS1_11comp_targetILNS1_3genE0ELNS1_11target_archE4294967295ELNS1_3gpuE0ELNS1_3repE0EEENS1_30default_config_static_selectorELNS0_4arch9wavefront6targetE0EEEvT1_.private_seg_size, 0
	.set _ZN7rocprim17ROCPRIM_400000_NS6detail17trampoline_kernelINS0_14default_configENS1_27scan_by_key_config_selectorIifEEZZNS1_16scan_by_key_implILNS1_25lookback_scan_determinismE0ELb1ES3_N6thrust23THRUST_200600_302600_NS6detail15normal_iteratorINS9_10device_ptrIiEEEENSB_INSC_IjEEEESE_fNS9_4plusIvEENS9_8equal_toIvEEfEE10hipError_tPvRmT2_T3_T4_T5_mT6_T7_P12ihipStream_tbENKUlT_T0_E_clISt17integral_constantIbLb0EES11_EEDaSW_SX_EUlSW_E_NS1_11comp_targetILNS1_3genE0ELNS1_11target_archE4294967295ELNS1_3gpuE0ELNS1_3repE0EEENS1_30default_config_static_selectorELNS0_4arch9wavefront6targetE0EEEvT1_.uses_vcc, 1
	.set _ZN7rocprim17ROCPRIM_400000_NS6detail17trampoline_kernelINS0_14default_configENS1_27scan_by_key_config_selectorIifEEZZNS1_16scan_by_key_implILNS1_25lookback_scan_determinismE0ELb1ES3_N6thrust23THRUST_200600_302600_NS6detail15normal_iteratorINS9_10device_ptrIiEEEENSB_INSC_IjEEEESE_fNS9_4plusIvEENS9_8equal_toIvEEfEE10hipError_tPvRmT2_T3_T4_T5_mT6_T7_P12ihipStream_tbENKUlT_T0_E_clISt17integral_constantIbLb0EES11_EEDaSW_SX_EUlSW_E_NS1_11comp_targetILNS1_3genE0ELNS1_11target_archE4294967295ELNS1_3gpuE0ELNS1_3repE0EEENS1_30default_config_static_selectorELNS0_4arch9wavefront6targetE0EEEvT1_.uses_flat_scratch, 1
	.set _ZN7rocprim17ROCPRIM_400000_NS6detail17trampoline_kernelINS0_14default_configENS1_27scan_by_key_config_selectorIifEEZZNS1_16scan_by_key_implILNS1_25lookback_scan_determinismE0ELb1ES3_N6thrust23THRUST_200600_302600_NS6detail15normal_iteratorINS9_10device_ptrIiEEEENSB_INSC_IjEEEESE_fNS9_4plusIvEENS9_8equal_toIvEEfEE10hipError_tPvRmT2_T3_T4_T5_mT6_T7_P12ihipStream_tbENKUlT_T0_E_clISt17integral_constantIbLb0EES11_EEDaSW_SX_EUlSW_E_NS1_11comp_targetILNS1_3genE0ELNS1_11target_archE4294967295ELNS1_3gpuE0ELNS1_3repE0EEENS1_30default_config_static_selectorELNS0_4arch9wavefront6targetE0EEEvT1_.has_dyn_sized_stack, 0
	.set _ZN7rocprim17ROCPRIM_400000_NS6detail17trampoline_kernelINS0_14default_configENS1_27scan_by_key_config_selectorIifEEZZNS1_16scan_by_key_implILNS1_25lookback_scan_determinismE0ELb1ES3_N6thrust23THRUST_200600_302600_NS6detail15normal_iteratorINS9_10device_ptrIiEEEENSB_INSC_IjEEEESE_fNS9_4plusIvEENS9_8equal_toIvEEfEE10hipError_tPvRmT2_T3_T4_T5_mT6_T7_P12ihipStream_tbENKUlT_T0_E_clISt17integral_constantIbLb0EES11_EEDaSW_SX_EUlSW_E_NS1_11comp_targetILNS1_3genE0ELNS1_11target_archE4294967295ELNS1_3gpuE0ELNS1_3repE0EEENS1_30default_config_static_selectorELNS0_4arch9wavefront6targetE0EEEvT1_.has_recursion, 0
	.set _ZN7rocprim17ROCPRIM_400000_NS6detail17trampoline_kernelINS0_14default_configENS1_27scan_by_key_config_selectorIifEEZZNS1_16scan_by_key_implILNS1_25lookback_scan_determinismE0ELb1ES3_N6thrust23THRUST_200600_302600_NS6detail15normal_iteratorINS9_10device_ptrIiEEEENSB_INSC_IjEEEESE_fNS9_4plusIvEENS9_8equal_toIvEEfEE10hipError_tPvRmT2_T3_T4_T5_mT6_T7_P12ihipStream_tbENKUlT_T0_E_clISt17integral_constantIbLb0EES11_EEDaSW_SX_EUlSW_E_NS1_11comp_targetILNS1_3genE0ELNS1_11target_archE4294967295ELNS1_3gpuE0ELNS1_3repE0EEENS1_30default_config_static_selectorELNS0_4arch9wavefront6targetE0EEEvT1_.has_indirect_call, 0
	.section	.AMDGPU.csdata,"",@progbits
; Kernel info:
; codeLenInByte = 13356
; TotalNumSgprs: 50
; NumVgprs: 62
; ScratchSize: 0
; MemoryBound: 0
; FloatMode: 240
; IeeeMode: 1
; LDSByteSize: 14336 bytes/workgroup (compile time only)
; SGPRBlocks: 0
; VGPRBlocks: 3
; NumSGPRsForWavesPerEU: 50
; NumVGPRsForWavesPerEU: 62
; NamedBarCnt: 0
; Occupancy: 16
; WaveLimiterHint : 1
; COMPUTE_PGM_RSRC2:SCRATCH_EN: 0
; COMPUTE_PGM_RSRC2:USER_SGPR: 2
; COMPUTE_PGM_RSRC2:TRAP_HANDLER: 0
; COMPUTE_PGM_RSRC2:TGID_X_EN: 1
; COMPUTE_PGM_RSRC2:TGID_Y_EN: 0
; COMPUTE_PGM_RSRC2:TGID_Z_EN: 0
; COMPUTE_PGM_RSRC2:TIDIG_COMP_CNT: 0
	.section	.text._ZN7rocprim17ROCPRIM_400000_NS6detail17trampoline_kernelINS0_14default_configENS1_27scan_by_key_config_selectorIifEEZZNS1_16scan_by_key_implILNS1_25lookback_scan_determinismE0ELb1ES3_N6thrust23THRUST_200600_302600_NS6detail15normal_iteratorINS9_10device_ptrIiEEEENSB_INSC_IjEEEESE_fNS9_4plusIvEENS9_8equal_toIvEEfEE10hipError_tPvRmT2_T3_T4_T5_mT6_T7_P12ihipStream_tbENKUlT_T0_E_clISt17integral_constantIbLb0EES11_EEDaSW_SX_EUlSW_E_NS1_11comp_targetILNS1_3genE10ELNS1_11target_archE1201ELNS1_3gpuE5ELNS1_3repE0EEENS1_30default_config_static_selectorELNS0_4arch9wavefront6targetE0EEEvT1_,"axG",@progbits,_ZN7rocprim17ROCPRIM_400000_NS6detail17trampoline_kernelINS0_14default_configENS1_27scan_by_key_config_selectorIifEEZZNS1_16scan_by_key_implILNS1_25lookback_scan_determinismE0ELb1ES3_N6thrust23THRUST_200600_302600_NS6detail15normal_iteratorINS9_10device_ptrIiEEEENSB_INSC_IjEEEESE_fNS9_4plusIvEENS9_8equal_toIvEEfEE10hipError_tPvRmT2_T3_T4_T5_mT6_T7_P12ihipStream_tbENKUlT_T0_E_clISt17integral_constantIbLb0EES11_EEDaSW_SX_EUlSW_E_NS1_11comp_targetILNS1_3genE10ELNS1_11target_archE1201ELNS1_3gpuE5ELNS1_3repE0EEENS1_30default_config_static_selectorELNS0_4arch9wavefront6targetE0EEEvT1_,comdat
	.protected	_ZN7rocprim17ROCPRIM_400000_NS6detail17trampoline_kernelINS0_14default_configENS1_27scan_by_key_config_selectorIifEEZZNS1_16scan_by_key_implILNS1_25lookback_scan_determinismE0ELb1ES3_N6thrust23THRUST_200600_302600_NS6detail15normal_iteratorINS9_10device_ptrIiEEEENSB_INSC_IjEEEESE_fNS9_4plusIvEENS9_8equal_toIvEEfEE10hipError_tPvRmT2_T3_T4_T5_mT6_T7_P12ihipStream_tbENKUlT_T0_E_clISt17integral_constantIbLb0EES11_EEDaSW_SX_EUlSW_E_NS1_11comp_targetILNS1_3genE10ELNS1_11target_archE1201ELNS1_3gpuE5ELNS1_3repE0EEENS1_30default_config_static_selectorELNS0_4arch9wavefront6targetE0EEEvT1_ ; -- Begin function _ZN7rocprim17ROCPRIM_400000_NS6detail17trampoline_kernelINS0_14default_configENS1_27scan_by_key_config_selectorIifEEZZNS1_16scan_by_key_implILNS1_25lookback_scan_determinismE0ELb1ES3_N6thrust23THRUST_200600_302600_NS6detail15normal_iteratorINS9_10device_ptrIiEEEENSB_INSC_IjEEEESE_fNS9_4plusIvEENS9_8equal_toIvEEfEE10hipError_tPvRmT2_T3_T4_T5_mT6_T7_P12ihipStream_tbENKUlT_T0_E_clISt17integral_constantIbLb0EES11_EEDaSW_SX_EUlSW_E_NS1_11comp_targetILNS1_3genE10ELNS1_11target_archE1201ELNS1_3gpuE5ELNS1_3repE0EEENS1_30default_config_static_selectorELNS0_4arch9wavefront6targetE0EEEvT1_
	.globl	_ZN7rocprim17ROCPRIM_400000_NS6detail17trampoline_kernelINS0_14default_configENS1_27scan_by_key_config_selectorIifEEZZNS1_16scan_by_key_implILNS1_25lookback_scan_determinismE0ELb1ES3_N6thrust23THRUST_200600_302600_NS6detail15normal_iteratorINS9_10device_ptrIiEEEENSB_INSC_IjEEEESE_fNS9_4plusIvEENS9_8equal_toIvEEfEE10hipError_tPvRmT2_T3_T4_T5_mT6_T7_P12ihipStream_tbENKUlT_T0_E_clISt17integral_constantIbLb0EES11_EEDaSW_SX_EUlSW_E_NS1_11comp_targetILNS1_3genE10ELNS1_11target_archE1201ELNS1_3gpuE5ELNS1_3repE0EEENS1_30default_config_static_selectorELNS0_4arch9wavefront6targetE0EEEvT1_
	.p2align	8
	.type	_ZN7rocprim17ROCPRIM_400000_NS6detail17trampoline_kernelINS0_14default_configENS1_27scan_by_key_config_selectorIifEEZZNS1_16scan_by_key_implILNS1_25lookback_scan_determinismE0ELb1ES3_N6thrust23THRUST_200600_302600_NS6detail15normal_iteratorINS9_10device_ptrIiEEEENSB_INSC_IjEEEESE_fNS9_4plusIvEENS9_8equal_toIvEEfEE10hipError_tPvRmT2_T3_T4_T5_mT6_T7_P12ihipStream_tbENKUlT_T0_E_clISt17integral_constantIbLb0EES11_EEDaSW_SX_EUlSW_E_NS1_11comp_targetILNS1_3genE10ELNS1_11target_archE1201ELNS1_3gpuE5ELNS1_3repE0EEENS1_30default_config_static_selectorELNS0_4arch9wavefront6targetE0EEEvT1_,@function
_ZN7rocprim17ROCPRIM_400000_NS6detail17trampoline_kernelINS0_14default_configENS1_27scan_by_key_config_selectorIifEEZZNS1_16scan_by_key_implILNS1_25lookback_scan_determinismE0ELb1ES3_N6thrust23THRUST_200600_302600_NS6detail15normal_iteratorINS9_10device_ptrIiEEEENSB_INSC_IjEEEESE_fNS9_4plusIvEENS9_8equal_toIvEEfEE10hipError_tPvRmT2_T3_T4_T5_mT6_T7_P12ihipStream_tbENKUlT_T0_E_clISt17integral_constantIbLb0EES11_EEDaSW_SX_EUlSW_E_NS1_11comp_targetILNS1_3genE10ELNS1_11target_archE1201ELNS1_3gpuE5ELNS1_3repE0EEENS1_30default_config_static_selectorELNS0_4arch9wavefront6targetE0EEEvT1_: ; @_ZN7rocprim17ROCPRIM_400000_NS6detail17trampoline_kernelINS0_14default_configENS1_27scan_by_key_config_selectorIifEEZZNS1_16scan_by_key_implILNS1_25lookback_scan_determinismE0ELb1ES3_N6thrust23THRUST_200600_302600_NS6detail15normal_iteratorINS9_10device_ptrIiEEEENSB_INSC_IjEEEESE_fNS9_4plusIvEENS9_8equal_toIvEEfEE10hipError_tPvRmT2_T3_T4_T5_mT6_T7_P12ihipStream_tbENKUlT_T0_E_clISt17integral_constantIbLb0EES11_EEDaSW_SX_EUlSW_E_NS1_11comp_targetILNS1_3genE10ELNS1_11target_archE1201ELNS1_3gpuE5ELNS1_3repE0EEENS1_30default_config_static_selectorELNS0_4arch9wavefront6targetE0EEEvT1_
; %bb.0:
	.section	.rodata,"a",@progbits
	.p2align	6, 0x0
	.amdhsa_kernel _ZN7rocprim17ROCPRIM_400000_NS6detail17trampoline_kernelINS0_14default_configENS1_27scan_by_key_config_selectorIifEEZZNS1_16scan_by_key_implILNS1_25lookback_scan_determinismE0ELb1ES3_N6thrust23THRUST_200600_302600_NS6detail15normal_iteratorINS9_10device_ptrIiEEEENSB_INSC_IjEEEESE_fNS9_4plusIvEENS9_8equal_toIvEEfEE10hipError_tPvRmT2_T3_T4_T5_mT6_T7_P12ihipStream_tbENKUlT_T0_E_clISt17integral_constantIbLb0EES11_EEDaSW_SX_EUlSW_E_NS1_11comp_targetILNS1_3genE10ELNS1_11target_archE1201ELNS1_3gpuE5ELNS1_3repE0EEENS1_30default_config_static_selectorELNS0_4arch9wavefront6targetE0EEEvT1_
		.amdhsa_group_segment_fixed_size 0
		.amdhsa_private_segment_fixed_size 0
		.amdhsa_kernarg_size 112
		.amdhsa_user_sgpr_count 2
		.amdhsa_user_sgpr_dispatch_ptr 0
		.amdhsa_user_sgpr_queue_ptr 0
		.amdhsa_user_sgpr_kernarg_segment_ptr 1
		.amdhsa_user_sgpr_dispatch_id 0
		.amdhsa_user_sgpr_kernarg_preload_length 0
		.amdhsa_user_sgpr_kernarg_preload_offset 0
		.amdhsa_user_sgpr_private_segment_size 0
		.amdhsa_wavefront_size32 1
		.amdhsa_uses_dynamic_stack 0
		.amdhsa_enable_private_segment 0
		.amdhsa_system_sgpr_workgroup_id_x 1
		.amdhsa_system_sgpr_workgroup_id_y 0
		.amdhsa_system_sgpr_workgroup_id_z 0
		.amdhsa_system_sgpr_workgroup_info 0
		.amdhsa_system_vgpr_workitem_id 0
		.amdhsa_next_free_vgpr 1
		.amdhsa_next_free_sgpr 1
		.amdhsa_named_barrier_count 0
		.amdhsa_reserve_vcc 0
		.amdhsa_float_round_mode_32 0
		.amdhsa_float_round_mode_16_64 0
		.amdhsa_float_denorm_mode_32 3
		.amdhsa_float_denorm_mode_16_64 3
		.amdhsa_fp16_overflow 0
		.amdhsa_memory_ordered 1
		.amdhsa_forward_progress 1
		.amdhsa_inst_pref_size 0
		.amdhsa_round_robin_scheduling 0
		.amdhsa_exception_fp_ieee_invalid_op 0
		.amdhsa_exception_fp_denorm_src 0
		.amdhsa_exception_fp_ieee_div_zero 0
		.amdhsa_exception_fp_ieee_overflow 0
		.amdhsa_exception_fp_ieee_underflow 0
		.amdhsa_exception_fp_ieee_inexact 0
		.amdhsa_exception_int_div_zero 0
	.end_amdhsa_kernel
	.section	.text._ZN7rocprim17ROCPRIM_400000_NS6detail17trampoline_kernelINS0_14default_configENS1_27scan_by_key_config_selectorIifEEZZNS1_16scan_by_key_implILNS1_25lookback_scan_determinismE0ELb1ES3_N6thrust23THRUST_200600_302600_NS6detail15normal_iteratorINS9_10device_ptrIiEEEENSB_INSC_IjEEEESE_fNS9_4plusIvEENS9_8equal_toIvEEfEE10hipError_tPvRmT2_T3_T4_T5_mT6_T7_P12ihipStream_tbENKUlT_T0_E_clISt17integral_constantIbLb0EES11_EEDaSW_SX_EUlSW_E_NS1_11comp_targetILNS1_3genE10ELNS1_11target_archE1201ELNS1_3gpuE5ELNS1_3repE0EEENS1_30default_config_static_selectorELNS0_4arch9wavefront6targetE0EEEvT1_,"axG",@progbits,_ZN7rocprim17ROCPRIM_400000_NS6detail17trampoline_kernelINS0_14default_configENS1_27scan_by_key_config_selectorIifEEZZNS1_16scan_by_key_implILNS1_25lookback_scan_determinismE0ELb1ES3_N6thrust23THRUST_200600_302600_NS6detail15normal_iteratorINS9_10device_ptrIiEEEENSB_INSC_IjEEEESE_fNS9_4plusIvEENS9_8equal_toIvEEfEE10hipError_tPvRmT2_T3_T4_T5_mT6_T7_P12ihipStream_tbENKUlT_T0_E_clISt17integral_constantIbLb0EES11_EEDaSW_SX_EUlSW_E_NS1_11comp_targetILNS1_3genE10ELNS1_11target_archE1201ELNS1_3gpuE5ELNS1_3repE0EEENS1_30default_config_static_selectorELNS0_4arch9wavefront6targetE0EEEvT1_,comdat
.Lfunc_end1789:
	.size	_ZN7rocprim17ROCPRIM_400000_NS6detail17trampoline_kernelINS0_14default_configENS1_27scan_by_key_config_selectorIifEEZZNS1_16scan_by_key_implILNS1_25lookback_scan_determinismE0ELb1ES3_N6thrust23THRUST_200600_302600_NS6detail15normal_iteratorINS9_10device_ptrIiEEEENSB_INSC_IjEEEESE_fNS9_4plusIvEENS9_8equal_toIvEEfEE10hipError_tPvRmT2_T3_T4_T5_mT6_T7_P12ihipStream_tbENKUlT_T0_E_clISt17integral_constantIbLb0EES11_EEDaSW_SX_EUlSW_E_NS1_11comp_targetILNS1_3genE10ELNS1_11target_archE1201ELNS1_3gpuE5ELNS1_3repE0EEENS1_30default_config_static_selectorELNS0_4arch9wavefront6targetE0EEEvT1_, .Lfunc_end1789-_ZN7rocprim17ROCPRIM_400000_NS6detail17trampoline_kernelINS0_14default_configENS1_27scan_by_key_config_selectorIifEEZZNS1_16scan_by_key_implILNS1_25lookback_scan_determinismE0ELb1ES3_N6thrust23THRUST_200600_302600_NS6detail15normal_iteratorINS9_10device_ptrIiEEEENSB_INSC_IjEEEESE_fNS9_4plusIvEENS9_8equal_toIvEEfEE10hipError_tPvRmT2_T3_T4_T5_mT6_T7_P12ihipStream_tbENKUlT_T0_E_clISt17integral_constantIbLb0EES11_EEDaSW_SX_EUlSW_E_NS1_11comp_targetILNS1_3genE10ELNS1_11target_archE1201ELNS1_3gpuE5ELNS1_3repE0EEENS1_30default_config_static_selectorELNS0_4arch9wavefront6targetE0EEEvT1_
                                        ; -- End function
	.set _ZN7rocprim17ROCPRIM_400000_NS6detail17trampoline_kernelINS0_14default_configENS1_27scan_by_key_config_selectorIifEEZZNS1_16scan_by_key_implILNS1_25lookback_scan_determinismE0ELb1ES3_N6thrust23THRUST_200600_302600_NS6detail15normal_iteratorINS9_10device_ptrIiEEEENSB_INSC_IjEEEESE_fNS9_4plusIvEENS9_8equal_toIvEEfEE10hipError_tPvRmT2_T3_T4_T5_mT6_T7_P12ihipStream_tbENKUlT_T0_E_clISt17integral_constantIbLb0EES11_EEDaSW_SX_EUlSW_E_NS1_11comp_targetILNS1_3genE10ELNS1_11target_archE1201ELNS1_3gpuE5ELNS1_3repE0EEENS1_30default_config_static_selectorELNS0_4arch9wavefront6targetE0EEEvT1_.num_vgpr, 0
	.set _ZN7rocprim17ROCPRIM_400000_NS6detail17trampoline_kernelINS0_14default_configENS1_27scan_by_key_config_selectorIifEEZZNS1_16scan_by_key_implILNS1_25lookback_scan_determinismE0ELb1ES3_N6thrust23THRUST_200600_302600_NS6detail15normal_iteratorINS9_10device_ptrIiEEEENSB_INSC_IjEEEESE_fNS9_4plusIvEENS9_8equal_toIvEEfEE10hipError_tPvRmT2_T3_T4_T5_mT6_T7_P12ihipStream_tbENKUlT_T0_E_clISt17integral_constantIbLb0EES11_EEDaSW_SX_EUlSW_E_NS1_11comp_targetILNS1_3genE10ELNS1_11target_archE1201ELNS1_3gpuE5ELNS1_3repE0EEENS1_30default_config_static_selectorELNS0_4arch9wavefront6targetE0EEEvT1_.num_agpr, 0
	.set _ZN7rocprim17ROCPRIM_400000_NS6detail17trampoline_kernelINS0_14default_configENS1_27scan_by_key_config_selectorIifEEZZNS1_16scan_by_key_implILNS1_25lookback_scan_determinismE0ELb1ES3_N6thrust23THRUST_200600_302600_NS6detail15normal_iteratorINS9_10device_ptrIiEEEENSB_INSC_IjEEEESE_fNS9_4plusIvEENS9_8equal_toIvEEfEE10hipError_tPvRmT2_T3_T4_T5_mT6_T7_P12ihipStream_tbENKUlT_T0_E_clISt17integral_constantIbLb0EES11_EEDaSW_SX_EUlSW_E_NS1_11comp_targetILNS1_3genE10ELNS1_11target_archE1201ELNS1_3gpuE5ELNS1_3repE0EEENS1_30default_config_static_selectorELNS0_4arch9wavefront6targetE0EEEvT1_.numbered_sgpr, 0
	.set _ZN7rocprim17ROCPRIM_400000_NS6detail17trampoline_kernelINS0_14default_configENS1_27scan_by_key_config_selectorIifEEZZNS1_16scan_by_key_implILNS1_25lookback_scan_determinismE0ELb1ES3_N6thrust23THRUST_200600_302600_NS6detail15normal_iteratorINS9_10device_ptrIiEEEENSB_INSC_IjEEEESE_fNS9_4plusIvEENS9_8equal_toIvEEfEE10hipError_tPvRmT2_T3_T4_T5_mT6_T7_P12ihipStream_tbENKUlT_T0_E_clISt17integral_constantIbLb0EES11_EEDaSW_SX_EUlSW_E_NS1_11comp_targetILNS1_3genE10ELNS1_11target_archE1201ELNS1_3gpuE5ELNS1_3repE0EEENS1_30default_config_static_selectorELNS0_4arch9wavefront6targetE0EEEvT1_.num_named_barrier, 0
	.set _ZN7rocprim17ROCPRIM_400000_NS6detail17trampoline_kernelINS0_14default_configENS1_27scan_by_key_config_selectorIifEEZZNS1_16scan_by_key_implILNS1_25lookback_scan_determinismE0ELb1ES3_N6thrust23THRUST_200600_302600_NS6detail15normal_iteratorINS9_10device_ptrIiEEEENSB_INSC_IjEEEESE_fNS9_4plusIvEENS9_8equal_toIvEEfEE10hipError_tPvRmT2_T3_T4_T5_mT6_T7_P12ihipStream_tbENKUlT_T0_E_clISt17integral_constantIbLb0EES11_EEDaSW_SX_EUlSW_E_NS1_11comp_targetILNS1_3genE10ELNS1_11target_archE1201ELNS1_3gpuE5ELNS1_3repE0EEENS1_30default_config_static_selectorELNS0_4arch9wavefront6targetE0EEEvT1_.private_seg_size, 0
	.set _ZN7rocprim17ROCPRIM_400000_NS6detail17trampoline_kernelINS0_14default_configENS1_27scan_by_key_config_selectorIifEEZZNS1_16scan_by_key_implILNS1_25lookback_scan_determinismE0ELb1ES3_N6thrust23THRUST_200600_302600_NS6detail15normal_iteratorINS9_10device_ptrIiEEEENSB_INSC_IjEEEESE_fNS9_4plusIvEENS9_8equal_toIvEEfEE10hipError_tPvRmT2_T3_T4_T5_mT6_T7_P12ihipStream_tbENKUlT_T0_E_clISt17integral_constantIbLb0EES11_EEDaSW_SX_EUlSW_E_NS1_11comp_targetILNS1_3genE10ELNS1_11target_archE1201ELNS1_3gpuE5ELNS1_3repE0EEENS1_30default_config_static_selectorELNS0_4arch9wavefront6targetE0EEEvT1_.uses_vcc, 0
	.set _ZN7rocprim17ROCPRIM_400000_NS6detail17trampoline_kernelINS0_14default_configENS1_27scan_by_key_config_selectorIifEEZZNS1_16scan_by_key_implILNS1_25lookback_scan_determinismE0ELb1ES3_N6thrust23THRUST_200600_302600_NS6detail15normal_iteratorINS9_10device_ptrIiEEEENSB_INSC_IjEEEESE_fNS9_4plusIvEENS9_8equal_toIvEEfEE10hipError_tPvRmT2_T3_T4_T5_mT6_T7_P12ihipStream_tbENKUlT_T0_E_clISt17integral_constantIbLb0EES11_EEDaSW_SX_EUlSW_E_NS1_11comp_targetILNS1_3genE10ELNS1_11target_archE1201ELNS1_3gpuE5ELNS1_3repE0EEENS1_30default_config_static_selectorELNS0_4arch9wavefront6targetE0EEEvT1_.uses_flat_scratch, 0
	.set _ZN7rocprim17ROCPRIM_400000_NS6detail17trampoline_kernelINS0_14default_configENS1_27scan_by_key_config_selectorIifEEZZNS1_16scan_by_key_implILNS1_25lookback_scan_determinismE0ELb1ES3_N6thrust23THRUST_200600_302600_NS6detail15normal_iteratorINS9_10device_ptrIiEEEENSB_INSC_IjEEEESE_fNS9_4plusIvEENS9_8equal_toIvEEfEE10hipError_tPvRmT2_T3_T4_T5_mT6_T7_P12ihipStream_tbENKUlT_T0_E_clISt17integral_constantIbLb0EES11_EEDaSW_SX_EUlSW_E_NS1_11comp_targetILNS1_3genE10ELNS1_11target_archE1201ELNS1_3gpuE5ELNS1_3repE0EEENS1_30default_config_static_selectorELNS0_4arch9wavefront6targetE0EEEvT1_.has_dyn_sized_stack, 0
	.set _ZN7rocprim17ROCPRIM_400000_NS6detail17trampoline_kernelINS0_14default_configENS1_27scan_by_key_config_selectorIifEEZZNS1_16scan_by_key_implILNS1_25lookback_scan_determinismE0ELb1ES3_N6thrust23THRUST_200600_302600_NS6detail15normal_iteratorINS9_10device_ptrIiEEEENSB_INSC_IjEEEESE_fNS9_4plusIvEENS9_8equal_toIvEEfEE10hipError_tPvRmT2_T3_T4_T5_mT6_T7_P12ihipStream_tbENKUlT_T0_E_clISt17integral_constantIbLb0EES11_EEDaSW_SX_EUlSW_E_NS1_11comp_targetILNS1_3genE10ELNS1_11target_archE1201ELNS1_3gpuE5ELNS1_3repE0EEENS1_30default_config_static_selectorELNS0_4arch9wavefront6targetE0EEEvT1_.has_recursion, 0
	.set _ZN7rocprim17ROCPRIM_400000_NS6detail17trampoline_kernelINS0_14default_configENS1_27scan_by_key_config_selectorIifEEZZNS1_16scan_by_key_implILNS1_25lookback_scan_determinismE0ELb1ES3_N6thrust23THRUST_200600_302600_NS6detail15normal_iteratorINS9_10device_ptrIiEEEENSB_INSC_IjEEEESE_fNS9_4plusIvEENS9_8equal_toIvEEfEE10hipError_tPvRmT2_T3_T4_T5_mT6_T7_P12ihipStream_tbENKUlT_T0_E_clISt17integral_constantIbLb0EES11_EEDaSW_SX_EUlSW_E_NS1_11comp_targetILNS1_3genE10ELNS1_11target_archE1201ELNS1_3gpuE5ELNS1_3repE0EEENS1_30default_config_static_selectorELNS0_4arch9wavefront6targetE0EEEvT1_.has_indirect_call, 0
	.section	.AMDGPU.csdata,"",@progbits
; Kernel info:
; codeLenInByte = 0
; TotalNumSgprs: 0
; NumVgprs: 0
; ScratchSize: 0
; MemoryBound: 0
; FloatMode: 240
; IeeeMode: 1
; LDSByteSize: 0 bytes/workgroup (compile time only)
; SGPRBlocks: 0
; VGPRBlocks: 0
; NumSGPRsForWavesPerEU: 1
; NumVGPRsForWavesPerEU: 1
; NamedBarCnt: 0
; Occupancy: 16
; WaveLimiterHint : 0
; COMPUTE_PGM_RSRC2:SCRATCH_EN: 0
; COMPUTE_PGM_RSRC2:USER_SGPR: 2
; COMPUTE_PGM_RSRC2:TRAP_HANDLER: 0
; COMPUTE_PGM_RSRC2:TGID_X_EN: 1
; COMPUTE_PGM_RSRC2:TGID_Y_EN: 0
; COMPUTE_PGM_RSRC2:TGID_Z_EN: 0
; COMPUTE_PGM_RSRC2:TIDIG_COMP_CNT: 0
	.section	.text._ZN7rocprim17ROCPRIM_400000_NS6detail17trampoline_kernelINS0_14default_configENS1_27scan_by_key_config_selectorIifEEZZNS1_16scan_by_key_implILNS1_25lookback_scan_determinismE0ELb1ES3_N6thrust23THRUST_200600_302600_NS6detail15normal_iteratorINS9_10device_ptrIiEEEENSB_INSC_IjEEEESE_fNS9_4plusIvEENS9_8equal_toIvEEfEE10hipError_tPvRmT2_T3_T4_T5_mT6_T7_P12ihipStream_tbENKUlT_T0_E_clISt17integral_constantIbLb0EES11_EEDaSW_SX_EUlSW_E_NS1_11comp_targetILNS1_3genE5ELNS1_11target_archE942ELNS1_3gpuE9ELNS1_3repE0EEENS1_30default_config_static_selectorELNS0_4arch9wavefront6targetE0EEEvT1_,"axG",@progbits,_ZN7rocprim17ROCPRIM_400000_NS6detail17trampoline_kernelINS0_14default_configENS1_27scan_by_key_config_selectorIifEEZZNS1_16scan_by_key_implILNS1_25lookback_scan_determinismE0ELb1ES3_N6thrust23THRUST_200600_302600_NS6detail15normal_iteratorINS9_10device_ptrIiEEEENSB_INSC_IjEEEESE_fNS9_4plusIvEENS9_8equal_toIvEEfEE10hipError_tPvRmT2_T3_T4_T5_mT6_T7_P12ihipStream_tbENKUlT_T0_E_clISt17integral_constantIbLb0EES11_EEDaSW_SX_EUlSW_E_NS1_11comp_targetILNS1_3genE5ELNS1_11target_archE942ELNS1_3gpuE9ELNS1_3repE0EEENS1_30default_config_static_selectorELNS0_4arch9wavefront6targetE0EEEvT1_,comdat
	.protected	_ZN7rocprim17ROCPRIM_400000_NS6detail17trampoline_kernelINS0_14default_configENS1_27scan_by_key_config_selectorIifEEZZNS1_16scan_by_key_implILNS1_25lookback_scan_determinismE0ELb1ES3_N6thrust23THRUST_200600_302600_NS6detail15normal_iteratorINS9_10device_ptrIiEEEENSB_INSC_IjEEEESE_fNS9_4plusIvEENS9_8equal_toIvEEfEE10hipError_tPvRmT2_T3_T4_T5_mT6_T7_P12ihipStream_tbENKUlT_T0_E_clISt17integral_constantIbLb0EES11_EEDaSW_SX_EUlSW_E_NS1_11comp_targetILNS1_3genE5ELNS1_11target_archE942ELNS1_3gpuE9ELNS1_3repE0EEENS1_30default_config_static_selectorELNS0_4arch9wavefront6targetE0EEEvT1_ ; -- Begin function _ZN7rocprim17ROCPRIM_400000_NS6detail17trampoline_kernelINS0_14default_configENS1_27scan_by_key_config_selectorIifEEZZNS1_16scan_by_key_implILNS1_25lookback_scan_determinismE0ELb1ES3_N6thrust23THRUST_200600_302600_NS6detail15normal_iteratorINS9_10device_ptrIiEEEENSB_INSC_IjEEEESE_fNS9_4plusIvEENS9_8equal_toIvEEfEE10hipError_tPvRmT2_T3_T4_T5_mT6_T7_P12ihipStream_tbENKUlT_T0_E_clISt17integral_constantIbLb0EES11_EEDaSW_SX_EUlSW_E_NS1_11comp_targetILNS1_3genE5ELNS1_11target_archE942ELNS1_3gpuE9ELNS1_3repE0EEENS1_30default_config_static_selectorELNS0_4arch9wavefront6targetE0EEEvT1_
	.globl	_ZN7rocprim17ROCPRIM_400000_NS6detail17trampoline_kernelINS0_14default_configENS1_27scan_by_key_config_selectorIifEEZZNS1_16scan_by_key_implILNS1_25lookback_scan_determinismE0ELb1ES3_N6thrust23THRUST_200600_302600_NS6detail15normal_iteratorINS9_10device_ptrIiEEEENSB_INSC_IjEEEESE_fNS9_4plusIvEENS9_8equal_toIvEEfEE10hipError_tPvRmT2_T3_T4_T5_mT6_T7_P12ihipStream_tbENKUlT_T0_E_clISt17integral_constantIbLb0EES11_EEDaSW_SX_EUlSW_E_NS1_11comp_targetILNS1_3genE5ELNS1_11target_archE942ELNS1_3gpuE9ELNS1_3repE0EEENS1_30default_config_static_selectorELNS0_4arch9wavefront6targetE0EEEvT1_
	.p2align	8
	.type	_ZN7rocprim17ROCPRIM_400000_NS6detail17trampoline_kernelINS0_14default_configENS1_27scan_by_key_config_selectorIifEEZZNS1_16scan_by_key_implILNS1_25lookback_scan_determinismE0ELb1ES3_N6thrust23THRUST_200600_302600_NS6detail15normal_iteratorINS9_10device_ptrIiEEEENSB_INSC_IjEEEESE_fNS9_4plusIvEENS9_8equal_toIvEEfEE10hipError_tPvRmT2_T3_T4_T5_mT6_T7_P12ihipStream_tbENKUlT_T0_E_clISt17integral_constantIbLb0EES11_EEDaSW_SX_EUlSW_E_NS1_11comp_targetILNS1_3genE5ELNS1_11target_archE942ELNS1_3gpuE9ELNS1_3repE0EEENS1_30default_config_static_selectorELNS0_4arch9wavefront6targetE0EEEvT1_,@function
_ZN7rocprim17ROCPRIM_400000_NS6detail17trampoline_kernelINS0_14default_configENS1_27scan_by_key_config_selectorIifEEZZNS1_16scan_by_key_implILNS1_25lookback_scan_determinismE0ELb1ES3_N6thrust23THRUST_200600_302600_NS6detail15normal_iteratorINS9_10device_ptrIiEEEENSB_INSC_IjEEEESE_fNS9_4plusIvEENS9_8equal_toIvEEfEE10hipError_tPvRmT2_T3_T4_T5_mT6_T7_P12ihipStream_tbENKUlT_T0_E_clISt17integral_constantIbLb0EES11_EEDaSW_SX_EUlSW_E_NS1_11comp_targetILNS1_3genE5ELNS1_11target_archE942ELNS1_3gpuE9ELNS1_3repE0EEENS1_30default_config_static_selectorELNS0_4arch9wavefront6targetE0EEEvT1_: ; @_ZN7rocprim17ROCPRIM_400000_NS6detail17trampoline_kernelINS0_14default_configENS1_27scan_by_key_config_selectorIifEEZZNS1_16scan_by_key_implILNS1_25lookback_scan_determinismE0ELb1ES3_N6thrust23THRUST_200600_302600_NS6detail15normal_iteratorINS9_10device_ptrIiEEEENSB_INSC_IjEEEESE_fNS9_4plusIvEENS9_8equal_toIvEEfEE10hipError_tPvRmT2_T3_T4_T5_mT6_T7_P12ihipStream_tbENKUlT_T0_E_clISt17integral_constantIbLb0EES11_EEDaSW_SX_EUlSW_E_NS1_11comp_targetILNS1_3genE5ELNS1_11target_archE942ELNS1_3gpuE9ELNS1_3repE0EEENS1_30default_config_static_selectorELNS0_4arch9wavefront6targetE0EEEvT1_
; %bb.0:
	.section	.rodata,"a",@progbits
	.p2align	6, 0x0
	.amdhsa_kernel _ZN7rocprim17ROCPRIM_400000_NS6detail17trampoline_kernelINS0_14default_configENS1_27scan_by_key_config_selectorIifEEZZNS1_16scan_by_key_implILNS1_25lookback_scan_determinismE0ELb1ES3_N6thrust23THRUST_200600_302600_NS6detail15normal_iteratorINS9_10device_ptrIiEEEENSB_INSC_IjEEEESE_fNS9_4plusIvEENS9_8equal_toIvEEfEE10hipError_tPvRmT2_T3_T4_T5_mT6_T7_P12ihipStream_tbENKUlT_T0_E_clISt17integral_constantIbLb0EES11_EEDaSW_SX_EUlSW_E_NS1_11comp_targetILNS1_3genE5ELNS1_11target_archE942ELNS1_3gpuE9ELNS1_3repE0EEENS1_30default_config_static_selectorELNS0_4arch9wavefront6targetE0EEEvT1_
		.amdhsa_group_segment_fixed_size 0
		.amdhsa_private_segment_fixed_size 0
		.amdhsa_kernarg_size 112
		.amdhsa_user_sgpr_count 2
		.amdhsa_user_sgpr_dispatch_ptr 0
		.amdhsa_user_sgpr_queue_ptr 0
		.amdhsa_user_sgpr_kernarg_segment_ptr 1
		.amdhsa_user_sgpr_dispatch_id 0
		.amdhsa_user_sgpr_kernarg_preload_length 0
		.amdhsa_user_sgpr_kernarg_preload_offset 0
		.amdhsa_user_sgpr_private_segment_size 0
		.amdhsa_wavefront_size32 1
		.amdhsa_uses_dynamic_stack 0
		.amdhsa_enable_private_segment 0
		.amdhsa_system_sgpr_workgroup_id_x 1
		.amdhsa_system_sgpr_workgroup_id_y 0
		.amdhsa_system_sgpr_workgroup_id_z 0
		.amdhsa_system_sgpr_workgroup_info 0
		.amdhsa_system_vgpr_workitem_id 0
		.amdhsa_next_free_vgpr 1
		.amdhsa_next_free_sgpr 1
		.amdhsa_named_barrier_count 0
		.amdhsa_reserve_vcc 0
		.amdhsa_float_round_mode_32 0
		.amdhsa_float_round_mode_16_64 0
		.amdhsa_float_denorm_mode_32 3
		.amdhsa_float_denorm_mode_16_64 3
		.amdhsa_fp16_overflow 0
		.amdhsa_memory_ordered 1
		.amdhsa_forward_progress 1
		.amdhsa_inst_pref_size 0
		.amdhsa_round_robin_scheduling 0
		.amdhsa_exception_fp_ieee_invalid_op 0
		.amdhsa_exception_fp_denorm_src 0
		.amdhsa_exception_fp_ieee_div_zero 0
		.amdhsa_exception_fp_ieee_overflow 0
		.amdhsa_exception_fp_ieee_underflow 0
		.amdhsa_exception_fp_ieee_inexact 0
		.amdhsa_exception_int_div_zero 0
	.end_amdhsa_kernel
	.section	.text._ZN7rocprim17ROCPRIM_400000_NS6detail17trampoline_kernelINS0_14default_configENS1_27scan_by_key_config_selectorIifEEZZNS1_16scan_by_key_implILNS1_25lookback_scan_determinismE0ELb1ES3_N6thrust23THRUST_200600_302600_NS6detail15normal_iteratorINS9_10device_ptrIiEEEENSB_INSC_IjEEEESE_fNS9_4plusIvEENS9_8equal_toIvEEfEE10hipError_tPvRmT2_T3_T4_T5_mT6_T7_P12ihipStream_tbENKUlT_T0_E_clISt17integral_constantIbLb0EES11_EEDaSW_SX_EUlSW_E_NS1_11comp_targetILNS1_3genE5ELNS1_11target_archE942ELNS1_3gpuE9ELNS1_3repE0EEENS1_30default_config_static_selectorELNS0_4arch9wavefront6targetE0EEEvT1_,"axG",@progbits,_ZN7rocprim17ROCPRIM_400000_NS6detail17trampoline_kernelINS0_14default_configENS1_27scan_by_key_config_selectorIifEEZZNS1_16scan_by_key_implILNS1_25lookback_scan_determinismE0ELb1ES3_N6thrust23THRUST_200600_302600_NS6detail15normal_iteratorINS9_10device_ptrIiEEEENSB_INSC_IjEEEESE_fNS9_4plusIvEENS9_8equal_toIvEEfEE10hipError_tPvRmT2_T3_T4_T5_mT6_T7_P12ihipStream_tbENKUlT_T0_E_clISt17integral_constantIbLb0EES11_EEDaSW_SX_EUlSW_E_NS1_11comp_targetILNS1_3genE5ELNS1_11target_archE942ELNS1_3gpuE9ELNS1_3repE0EEENS1_30default_config_static_selectorELNS0_4arch9wavefront6targetE0EEEvT1_,comdat
.Lfunc_end1790:
	.size	_ZN7rocprim17ROCPRIM_400000_NS6detail17trampoline_kernelINS0_14default_configENS1_27scan_by_key_config_selectorIifEEZZNS1_16scan_by_key_implILNS1_25lookback_scan_determinismE0ELb1ES3_N6thrust23THRUST_200600_302600_NS6detail15normal_iteratorINS9_10device_ptrIiEEEENSB_INSC_IjEEEESE_fNS9_4plusIvEENS9_8equal_toIvEEfEE10hipError_tPvRmT2_T3_T4_T5_mT6_T7_P12ihipStream_tbENKUlT_T0_E_clISt17integral_constantIbLb0EES11_EEDaSW_SX_EUlSW_E_NS1_11comp_targetILNS1_3genE5ELNS1_11target_archE942ELNS1_3gpuE9ELNS1_3repE0EEENS1_30default_config_static_selectorELNS0_4arch9wavefront6targetE0EEEvT1_, .Lfunc_end1790-_ZN7rocprim17ROCPRIM_400000_NS6detail17trampoline_kernelINS0_14default_configENS1_27scan_by_key_config_selectorIifEEZZNS1_16scan_by_key_implILNS1_25lookback_scan_determinismE0ELb1ES3_N6thrust23THRUST_200600_302600_NS6detail15normal_iteratorINS9_10device_ptrIiEEEENSB_INSC_IjEEEESE_fNS9_4plusIvEENS9_8equal_toIvEEfEE10hipError_tPvRmT2_T3_T4_T5_mT6_T7_P12ihipStream_tbENKUlT_T0_E_clISt17integral_constantIbLb0EES11_EEDaSW_SX_EUlSW_E_NS1_11comp_targetILNS1_3genE5ELNS1_11target_archE942ELNS1_3gpuE9ELNS1_3repE0EEENS1_30default_config_static_selectorELNS0_4arch9wavefront6targetE0EEEvT1_
                                        ; -- End function
	.set _ZN7rocprim17ROCPRIM_400000_NS6detail17trampoline_kernelINS0_14default_configENS1_27scan_by_key_config_selectorIifEEZZNS1_16scan_by_key_implILNS1_25lookback_scan_determinismE0ELb1ES3_N6thrust23THRUST_200600_302600_NS6detail15normal_iteratorINS9_10device_ptrIiEEEENSB_INSC_IjEEEESE_fNS9_4plusIvEENS9_8equal_toIvEEfEE10hipError_tPvRmT2_T3_T4_T5_mT6_T7_P12ihipStream_tbENKUlT_T0_E_clISt17integral_constantIbLb0EES11_EEDaSW_SX_EUlSW_E_NS1_11comp_targetILNS1_3genE5ELNS1_11target_archE942ELNS1_3gpuE9ELNS1_3repE0EEENS1_30default_config_static_selectorELNS0_4arch9wavefront6targetE0EEEvT1_.num_vgpr, 0
	.set _ZN7rocprim17ROCPRIM_400000_NS6detail17trampoline_kernelINS0_14default_configENS1_27scan_by_key_config_selectorIifEEZZNS1_16scan_by_key_implILNS1_25lookback_scan_determinismE0ELb1ES3_N6thrust23THRUST_200600_302600_NS6detail15normal_iteratorINS9_10device_ptrIiEEEENSB_INSC_IjEEEESE_fNS9_4plusIvEENS9_8equal_toIvEEfEE10hipError_tPvRmT2_T3_T4_T5_mT6_T7_P12ihipStream_tbENKUlT_T0_E_clISt17integral_constantIbLb0EES11_EEDaSW_SX_EUlSW_E_NS1_11comp_targetILNS1_3genE5ELNS1_11target_archE942ELNS1_3gpuE9ELNS1_3repE0EEENS1_30default_config_static_selectorELNS0_4arch9wavefront6targetE0EEEvT1_.num_agpr, 0
	.set _ZN7rocprim17ROCPRIM_400000_NS6detail17trampoline_kernelINS0_14default_configENS1_27scan_by_key_config_selectorIifEEZZNS1_16scan_by_key_implILNS1_25lookback_scan_determinismE0ELb1ES3_N6thrust23THRUST_200600_302600_NS6detail15normal_iteratorINS9_10device_ptrIiEEEENSB_INSC_IjEEEESE_fNS9_4plusIvEENS9_8equal_toIvEEfEE10hipError_tPvRmT2_T3_T4_T5_mT6_T7_P12ihipStream_tbENKUlT_T0_E_clISt17integral_constantIbLb0EES11_EEDaSW_SX_EUlSW_E_NS1_11comp_targetILNS1_3genE5ELNS1_11target_archE942ELNS1_3gpuE9ELNS1_3repE0EEENS1_30default_config_static_selectorELNS0_4arch9wavefront6targetE0EEEvT1_.numbered_sgpr, 0
	.set _ZN7rocprim17ROCPRIM_400000_NS6detail17trampoline_kernelINS0_14default_configENS1_27scan_by_key_config_selectorIifEEZZNS1_16scan_by_key_implILNS1_25lookback_scan_determinismE0ELb1ES3_N6thrust23THRUST_200600_302600_NS6detail15normal_iteratorINS9_10device_ptrIiEEEENSB_INSC_IjEEEESE_fNS9_4plusIvEENS9_8equal_toIvEEfEE10hipError_tPvRmT2_T3_T4_T5_mT6_T7_P12ihipStream_tbENKUlT_T0_E_clISt17integral_constantIbLb0EES11_EEDaSW_SX_EUlSW_E_NS1_11comp_targetILNS1_3genE5ELNS1_11target_archE942ELNS1_3gpuE9ELNS1_3repE0EEENS1_30default_config_static_selectorELNS0_4arch9wavefront6targetE0EEEvT1_.num_named_barrier, 0
	.set _ZN7rocprim17ROCPRIM_400000_NS6detail17trampoline_kernelINS0_14default_configENS1_27scan_by_key_config_selectorIifEEZZNS1_16scan_by_key_implILNS1_25lookback_scan_determinismE0ELb1ES3_N6thrust23THRUST_200600_302600_NS6detail15normal_iteratorINS9_10device_ptrIiEEEENSB_INSC_IjEEEESE_fNS9_4plusIvEENS9_8equal_toIvEEfEE10hipError_tPvRmT2_T3_T4_T5_mT6_T7_P12ihipStream_tbENKUlT_T0_E_clISt17integral_constantIbLb0EES11_EEDaSW_SX_EUlSW_E_NS1_11comp_targetILNS1_3genE5ELNS1_11target_archE942ELNS1_3gpuE9ELNS1_3repE0EEENS1_30default_config_static_selectorELNS0_4arch9wavefront6targetE0EEEvT1_.private_seg_size, 0
	.set _ZN7rocprim17ROCPRIM_400000_NS6detail17trampoline_kernelINS0_14default_configENS1_27scan_by_key_config_selectorIifEEZZNS1_16scan_by_key_implILNS1_25lookback_scan_determinismE0ELb1ES3_N6thrust23THRUST_200600_302600_NS6detail15normal_iteratorINS9_10device_ptrIiEEEENSB_INSC_IjEEEESE_fNS9_4plusIvEENS9_8equal_toIvEEfEE10hipError_tPvRmT2_T3_T4_T5_mT6_T7_P12ihipStream_tbENKUlT_T0_E_clISt17integral_constantIbLb0EES11_EEDaSW_SX_EUlSW_E_NS1_11comp_targetILNS1_3genE5ELNS1_11target_archE942ELNS1_3gpuE9ELNS1_3repE0EEENS1_30default_config_static_selectorELNS0_4arch9wavefront6targetE0EEEvT1_.uses_vcc, 0
	.set _ZN7rocprim17ROCPRIM_400000_NS6detail17trampoline_kernelINS0_14default_configENS1_27scan_by_key_config_selectorIifEEZZNS1_16scan_by_key_implILNS1_25lookback_scan_determinismE0ELb1ES3_N6thrust23THRUST_200600_302600_NS6detail15normal_iteratorINS9_10device_ptrIiEEEENSB_INSC_IjEEEESE_fNS9_4plusIvEENS9_8equal_toIvEEfEE10hipError_tPvRmT2_T3_T4_T5_mT6_T7_P12ihipStream_tbENKUlT_T0_E_clISt17integral_constantIbLb0EES11_EEDaSW_SX_EUlSW_E_NS1_11comp_targetILNS1_3genE5ELNS1_11target_archE942ELNS1_3gpuE9ELNS1_3repE0EEENS1_30default_config_static_selectorELNS0_4arch9wavefront6targetE0EEEvT1_.uses_flat_scratch, 0
	.set _ZN7rocprim17ROCPRIM_400000_NS6detail17trampoline_kernelINS0_14default_configENS1_27scan_by_key_config_selectorIifEEZZNS1_16scan_by_key_implILNS1_25lookback_scan_determinismE0ELb1ES3_N6thrust23THRUST_200600_302600_NS6detail15normal_iteratorINS9_10device_ptrIiEEEENSB_INSC_IjEEEESE_fNS9_4plusIvEENS9_8equal_toIvEEfEE10hipError_tPvRmT2_T3_T4_T5_mT6_T7_P12ihipStream_tbENKUlT_T0_E_clISt17integral_constantIbLb0EES11_EEDaSW_SX_EUlSW_E_NS1_11comp_targetILNS1_3genE5ELNS1_11target_archE942ELNS1_3gpuE9ELNS1_3repE0EEENS1_30default_config_static_selectorELNS0_4arch9wavefront6targetE0EEEvT1_.has_dyn_sized_stack, 0
	.set _ZN7rocprim17ROCPRIM_400000_NS6detail17trampoline_kernelINS0_14default_configENS1_27scan_by_key_config_selectorIifEEZZNS1_16scan_by_key_implILNS1_25lookback_scan_determinismE0ELb1ES3_N6thrust23THRUST_200600_302600_NS6detail15normal_iteratorINS9_10device_ptrIiEEEENSB_INSC_IjEEEESE_fNS9_4plusIvEENS9_8equal_toIvEEfEE10hipError_tPvRmT2_T3_T4_T5_mT6_T7_P12ihipStream_tbENKUlT_T0_E_clISt17integral_constantIbLb0EES11_EEDaSW_SX_EUlSW_E_NS1_11comp_targetILNS1_3genE5ELNS1_11target_archE942ELNS1_3gpuE9ELNS1_3repE0EEENS1_30default_config_static_selectorELNS0_4arch9wavefront6targetE0EEEvT1_.has_recursion, 0
	.set _ZN7rocprim17ROCPRIM_400000_NS6detail17trampoline_kernelINS0_14default_configENS1_27scan_by_key_config_selectorIifEEZZNS1_16scan_by_key_implILNS1_25lookback_scan_determinismE0ELb1ES3_N6thrust23THRUST_200600_302600_NS6detail15normal_iteratorINS9_10device_ptrIiEEEENSB_INSC_IjEEEESE_fNS9_4plusIvEENS9_8equal_toIvEEfEE10hipError_tPvRmT2_T3_T4_T5_mT6_T7_P12ihipStream_tbENKUlT_T0_E_clISt17integral_constantIbLb0EES11_EEDaSW_SX_EUlSW_E_NS1_11comp_targetILNS1_3genE5ELNS1_11target_archE942ELNS1_3gpuE9ELNS1_3repE0EEENS1_30default_config_static_selectorELNS0_4arch9wavefront6targetE0EEEvT1_.has_indirect_call, 0
	.section	.AMDGPU.csdata,"",@progbits
; Kernel info:
; codeLenInByte = 0
; TotalNumSgprs: 0
; NumVgprs: 0
; ScratchSize: 0
; MemoryBound: 0
; FloatMode: 240
; IeeeMode: 1
; LDSByteSize: 0 bytes/workgroup (compile time only)
; SGPRBlocks: 0
; VGPRBlocks: 0
; NumSGPRsForWavesPerEU: 1
; NumVGPRsForWavesPerEU: 1
; NamedBarCnt: 0
; Occupancy: 16
; WaveLimiterHint : 0
; COMPUTE_PGM_RSRC2:SCRATCH_EN: 0
; COMPUTE_PGM_RSRC2:USER_SGPR: 2
; COMPUTE_PGM_RSRC2:TRAP_HANDLER: 0
; COMPUTE_PGM_RSRC2:TGID_X_EN: 1
; COMPUTE_PGM_RSRC2:TGID_Y_EN: 0
; COMPUTE_PGM_RSRC2:TGID_Z_EN: 0
; COMPUTE_PGM_RSRC2:TIDIG_COMP_CNT: 0
	.section	.text._ZN7rocprim17ROCPRIM_400000_NS6detail17trampoline_kernelINS0_14default_configENS1_27scan_by_key_config_selectorIifEEZZNS1_16scan_by_key_implILNS1_25lookback_scan_determinismE0ELb1ES3_N6thrust23THRUST_200600_302600_NS6detail15normal_iteratorINS9_10device_ptrIiEEEENSB_INSC_IjEEEESE_fNS9_4plusIvEENS9_8equal_toIvEEfEE10hipError_tPvRmT2_T3_T4_T5_mT6_T7_P12ihipStream_tbENKUlT_T0_E_clISt17integral_constantIbLb0EES11_EEDaSW_SX_EUlSW_E_NS1_11comp_targetILNS1_3genE4ELNS1_11target_archE910ELNS1_3gpuE8ELNS1_3repE0EEENS1_30default_config_static_selectorELNS0_4arch9wavefront6targetE0EEEvT1_,"axG",@progbits,_ZN7rocprim17ROCPRIM_400000_NS6detail17trampoline_kernelINS0_14default_configENS1_27scan_by_key_config_selectorIifEEZZNS1_16scan_by_key_implILNS1_25lookback_scan_determinismE0ELb1ES3_N6thrust23THRUST_200600_302600_NS6detail15normal_iteratorINS9_10device_ptrIiEEEENSB_INSC_IjEEEESE_fNS9_4plusIvEENS9_8equal_toIvEEfEE10hipError_tPvRmT2_T3_T4_T5_mT6_T7_P12ihipStream_tbENKUlT_T0_E_clISt17integral_constantIbLb0EES11_EEDaSW_SX_EUlSW_E_NS1_11comp_targetILNS1_3genE4ELNS1_11target_archE910ELNS1_3gpuE8ELNS1_3repE0EEENS1_30default_config_static_selectorELNS0_4arch9wavefront6targetE0EEEvT1_,comdat
	.protected	_ZN7rocprim17ROCPRIM_400000_NS6detail17trampoline_kernelINS0_14default_configENS1_27scan_by_key_config_selectorIifEEZZNS1_16scan_by_key_implILNS1_25lookback_scan_determinismE0ELb1ES3_N6thrust23THRUST_200600_302600_NS6detail15normal_iteratorINS9_10device_ptrIiEEEENSB_INSC_IjEEEESE_fNS9_4plusIvEENS9_8equal_toIvEEfEE10hipError_tPvRmT2_T3_T4_T5_mT6_T7_P12ihipStream_tbENKUlT_T0_E_clISt17integral_constantIbLb0EES11_EEDaSW_SX_EUlSW_E_NS1_11comp_targetILNS1_3genE4ELNS1_11target_archE910ELNS1_3gpuE8ELNS1_3repE0EEENS1_30default_config_static_selectorELNS0_4arch9wavefront6targetE0EEEvT1_ ; -- Begin function _ZN7rocprim17ROCPRIM_400000_NS6detail17trampoline_kernelINS0_14default_configENS1_27scan_by_key_config_selectorIifEEZZNS1_16scan_by_key_implILNS1_25lookback_scan_determinismE0ELb1ES3_N6thrust23THRUST_200600_302600_NS6detail15normal_iteratorINS9_10device_ptrIiEEEENSB_INSC_IjEEEESE_fNS9_4plusIvEENS9_8equal_toIvEEfEE10hipError_tPvRmT2_T3_T4_T5_mT6_T7_P12ihipStream_tbENKUlT_T0_E_clISt17integral_constantIbLb0EES11_EEDaSW_SX_EUlSW_E_NS1_11comp_targetILNS1_3genE4ELNS1_11target_archE910ELNS1_3gpuE8ELNS1_3repE0EEENS1_30default_config_static_selectorELNS0_4arch9wavefront6targetE0EEEvT1_
	.globl	_ZN7rocprim17ROCPRIM_400000_NS6detail17trampoline_kernelINS0_14default_configENS1_27scan_by_key_config_selectorIifEEZZNS1_16scan_by_key_implILNS1_25lookback_scan_determinismE0ELb1ES3_N6thrust23THRUST_200600_302600_NS6detail15normal_iteratorINS9_10device_ptrIiEEEENSB_INSC_IjEEEESE_fNS9_4plusIvEENS9_8equal_toIvEEfEE10hipError_tPvRmT2_T3_T4_T5_mT6_T7_P12ihipStream_tbENKUlT_T0_E_clISt17integral_constantIbLb0EES11_EEDaSW_SX_EUlSW_E_NS1_11comp_targetILNS1_3genE4ELNS1_11target_archE910ELNS1_3gpuE8ELNS1_3repE0EEENS1_30default_config_static_selectorELNS0_4arch9wavefront6targetE0EEEvT1_
	.p2align	8
	.type	_ZN7rocprim17ROCPRIM_400000_NS6detail17trampoline_kernelINS0_14default_configENS1_27scan_by_key_config_selectorIifEEZZNS1_16scan_by_key_implILNS1_25lookback_scan_determinismE0ELb1ES3_N6thrust23THRUST_200600_302600_NS6detail15normal_iteratorINS9_10device_ptrIiEEEENSB_INSC_IjEEEESE_fNS9_4plusIvEENS9_8equal_toIvEEfEE10hipError_tPvRmT2_T3_T4_T5_mT6_T7_P12ihipStream_tbENKUlT_T0_E_clISt17integral_constantIbLb0EES11_EEDaSW_SX_EUlSW_E_NS1_11comp_targetILNS1_3genE4ELNS1_11target_archE910ELNS1_3gpuE8ELNS1_3repE0EEENS1_30default_config_static_selectorELNS0_4arch9wavefront6targetE0EEEvT1_,@function
_ZN7rocprim17ROCPRIM_400000_NS6detail17trampoline_kernelINS0_14default_configENS1_27scan_by_key_config_selectorIifEEZZNS1_16scan_by_key_implILNS1_25lookback_scan_determinismE0ELb1ES3_N6thrust23THRUST_200600_302600_NS6detail15normal_iteratorINS9_10device_ptrIiEEEENSB_INSC_IjEEEESE_fNS9_4plusIvEENS9_8equal_toIvEEfEE10hipError_tPvRmT2_T3_T4_T5_mT6_T7_P12ihipStream_tbENKUlT_T0_E_clISt17integral_constantIbLb0EES11_EEDaSW_SX_EUlSW_E_NS1_11comp_targetILNS1_3genE4ELNS1_11target_archE910ELNS1_3gpuE8ELNS1_3repE0EEENS1_30default_config_static_selectorELNS0_4arch9wavefront6targetE0EEEvT1_: ; @_ZN7rocprim17ROCPRIM_400000_NS6detail17trampoline_kernelINS0_14default_configENS1_27scan_by_key_config_selectorIifEEZZNS1_16scan_by_key_implILNS1_25lookback_scan_determinismE0ELb1ES3_N6thrust23THRUST_200600_302600_NS6detail15normal_iteratorINS9_10device_ptrIiEEEENSB_INSC_IjEEEESE_fNS9_4plusIvEENS9_8equal_toIvEEfEE10hipError_tPvRmT2_T3_T4_T5_mT6_T7_P12ihipStream_tbENKUlT_T0_E_clISt17integral_constantIbLb0EES11_EEDaSW_SX_EUlSW_E_NS1_11comp_targetILNS1_3genE4ELNS1_11target_archE910ELNS1_3gpuE8ELNS1_3repE0EEENS1_30default_config_static_selectorELNS0_4arch9wavefront6targetE0EEEvT1_
; %bb.0:
	.section	.rodata,"a",@progbits
	.p2align	6, 0x0
	.amdhsa_kernel _ZN7rocprim17ROCPRIM_400000_NS6detail17trampoline_kernelINS0_14default_configENS1_27scan_by_key_config_selectorIifEEZZNS1_16scan_by_key_implILNS1_25lookback_scan_determinismE0ELb1ES3_N6thrust23THRUST_200600_302600_NS6detail15normal_iteratorINS9_10device_ptrIiEEEENSB_INSC_IjEEEESE_fNS9_4plusIvEENS9_8equal_toIvEEfEE10hipError_tPvRmT2_T3_T4_T5_mT6_T7_P12ihipStream_tbENKUlT_T0_E_clISt17integral_constantIbLb0EES11_EEDaSW_SX_EUlSW_E_NS1_11comp_targetILNS1_3genE4ELNS1_11target_archE910ELNS1_3gpuE8ELNS1_3repE0EEENS1_30default_config_static_selectorELNS0_4arch9wavefront6targetE0EEEvT1_
		.amdhsa_group_segment_fixed_size 0
		.amdhsa_private_segment_fixed_size 0
		.amdhsa_kernarg_size 112
		.amdhsa_user_sgpr_count 2
		.amdhsa_user_sgpr_dispatch_ptr 0
		.amdhsa_user_sgpr_queue_ptr 0
		.amdhsa_user_sgpr_kernarg_segment_ptr 1
		.amdhsa_user_sgpr_dispatch_id 0
		.amdhsa_user_sgpr_kernarg_preload_length 0
		.amdhsa_user_sgpr_kernarg_preload_offset 0
		.amdhsa_user_sgpr_private_segment_size 0
		.amdhsa_wavefront_size32 1
		.amdhsa_uses_dynamic_stack 0
		.amdhsa_enable_private_segment 0
		.amdhsa_system_sgpr_workgroup_id_x 1
		.amdhsa_system_sgpr_workgroup_id_y 0
		.amdhsa_system_sgpr_workgroup_id_z 0
		.amdhsa_system_sgpr_workgroup_info 0
		.amdhsa_system_vgpr_workitem_id 0
		.amdhsa_next_free_vgpr 1
		.amdhsa_next_free_sgpr 1
		.amdhsa_named_barrier_count 0
		.amdhsa_reserve_vcc 0
		.amdhsa_float_round_mode_32 0
		.amdhsa_float_round_mode_16_64 0
		.amdhsa_float_denorm_mode_32 3
		.amdhsa_float_denorm_mode_16_64 3
		.amdhsa_fp16_overflow 0
		.amdhsa_memory_ordered 1
		.amdhsa_forward_progress 1
		.amdhsa_inst_pref_size 0
		.amdhsa_round_robin_scheduling 0
		.amdhsa_exception_fp_ieee_invalid_op 0
		.amdhsa_exception_fp_denorm_src 0
		.amdhsa_exception_fp_ieee_div_zero 0
		.amdhsa_exception_fp_ieee_overflow 0
		.amdhsa_exception_fp_ieee_underflow 0
		.amdhsa_exception_fp_ieee_inexact 0
		.amdhsa_exception_int_div_zero 0
	.end_amdhsa_kernel
	.section	.text._ZN7rocprim17ROCPRIM_400000_NS6detail17trampoline_kernelINS0_14default_configENS1_27scan_by_key_config_selectorIifEEZZNS1_16scan_by_key_implILNS1_25lookback_scan_determinismE0ELb1ES3_N6thrust23THRUST_200600_302600_NS6detail15normal_iteratorINS9_10device_ptrIiEEEENSB_INSC_IjEEEESE_fNS9_4plusIvEENS9_8equal_toIvEEfEE10hipError_tPvRmT2_T3_T4_T5_mT6_T7_P12ihipStream_tbENKUlT_T0_E_clISt17integral_constantIbLb0EES11_EEDaSW_SX_EUlSW_E_NS1_11comp_targetILNS1_3genE4ELNS1_11target_archE910ELNS1_3gpuE8ELNS1_3repE0EEENS1_30default_config_static_selectorELNS0_4arch9wavefront6targetE0EEEvT1_,"axG",@progbits,_ZN7rocprim17ROCPRIM_400000_NS6detail17trampoline_kernelINS0_14default_configENS1_27scan_by_key_config_selectorIifEEZZNS1_16scan_by_key_implILNS1_25lookback_scan_determinismE0ELb1ES3_N6thrust23THRUST_200600_302600_NS6detail15normal_iteratorINS9_10device_ptrIiEEEENSB_INSC_IjEEEESE_fNS9_4plusIvEENS9_8equal_toIvEEfEE10hipError_tPvRmT2_T3_T4_T5_mT6_T7_P12ihipStream_tbENKUlT_T0_E_clISt17integral_constantIbLb0EES11_EEDaSW_SX_EUlSW_E_NS1_11comp_targetILNS1_3genE4ELNS1_11target_archE910ELNS1_3gpuE8ELNS1_3repE0EEENS1_30default_config_static_selectorELNS0_4arch9wavefront6targetE0EEEvT1_,comdat
.Lfunc_end1791:
	.size	_ZN7rocprim17ROCPRIM_400000_NS6detail17trampoline_kernelINS0_14default_configENS1_27scan_by_key_config_selectorIifEEZZNS1_16scan_by_key_implILNS1_25lookback_scan_determinismE0ELb1ES3_N6thrust23THRUST_200600_302600_NS6detail15normal_iteratorINS9_10device_ptrIiEEEENSB_INSC_IjEEEESE_fNS9_4plusIvEENS9_8equal_toIvEEfEE10hipError_tPvRmT2_T3_T4_T5_mT6_T7_P12ihipStream_tbENKUlT_T0_E_clISt17integral_constantIbLb0EES11_EEDaSW_SX_EUlSW_E_NS1_11comp_targetILNS1_3genE4ELNS1_11target_archE910ELNS1_3gpuE8ELNS1_3repE0EEENS1_30default_config_static_selectorELNS0_4arch9wavefront6targetE0EEEvT1_, .Lfunc_end1791-_ZN7rocprim17ROCPRIM_400000_NS6detail17trampoline_kernelINS0_14default_configENS1_27scan_by_key_config_selectorIifEEZZNS1_16scan_by_key_implILNS1_25lookback_scan_determinismE0ELb1ES3_N6thrust23THRUST_200600_302600_NS6detail15normal_iteratorINS9_10device_ptrIiEEEENSB_INSC_IjEEEESE_fNS9_4plusIvEENS9_8equal_toIvEEfEE10hipError_tPvRmT2_T3_T4_T5_mT6_T7_P12ihipStream_tbENKUlT_T0_E_clISt17integral_constantIbLb0EES11_EEDaSW_SX_EUlSW_E_NS1_11comp_targetILNS1_3genE4ELNS1_11target_archE910ELNS1_3gpuE8ELNS1_3repE0EEENS1_30default_config_static_selectorELNS0_4arch9wavefront6targetE0EEEvT1_
                                        ; -- End function
	.set _ZN7rocprim17ROCPRIM_400000_NS6detail17trampoline_kernelINS0_14default_configENS1_27scan_by_key_config_selectorIifEEZZNS1_16scan_by_key_implILNS1_25lookback_scan_determinismE0ELb1ES3_N6thrust23THRUST_200600_302600_NS6detail15normal_iteratorINS9_10device_ptrIiEEEENSB_INSC_IjEEEESE_fNS9_4plusIvEENS9_8equal_toIvEEfEE10hipError_tPvRmT2_T3_T4_T5_mT6_T7_P12ihipStream_tbENKUlT_T0_E_clISt17integral_constantIbLb0EES11_EEDaSW_SX_EUlSW_E_NS1_11comp_targetILNS1_3genE4ELNS1_11target_archE910ELNS1_3gpuE8ELNS1_3repE0EEENS1_30default_config_static_selectorELNS0_4arch9wavefront6targetE0EEEvT1_.num_vgpr, 0
	.set _ZN7rocprim17ROCPRIM_400000_NS6detail17trampoline_kernelINS0_14default_configENS1_27scan_by_key_config_selectorIifEEZZNS1_16scan_by_key_implILNS1_25lookback_scan_determinismE0ELb1ES3_N6thrust23THRUST_200600_302600_NS6detail15normal_iteratorINS9_10device_ptrIiEEEENSB_INSC_IjEEEESE_fNS9_4plusIvEENS9_8equal_toIvEEfEE10hipError_tPvRmT2_T3_T4_T5_mT6_T7_P12ihipStream_tbENKUlT_T0_E_clISt17integral_constantIbLb0EES11_EEDaSW_SX_EUlSW_E_NS1_11comp_targetILNS1_3genE4ELNS1_11target_archE910ELNS1_3gpuE8ELNS1_3repE0EEENS1_30default_config_static_selectorELNS0_4arch9wavefront6targetE0EEEvT1_.num_agpr, 0
	.set _ZN7rocprim17ROCPRIM_400000_NS6detail17trampoline_kernelINS0_14default_configENS1_27scan_by_key_config_selectorIifEEZZNS1_16scan_by_key_implILNS1_25lookback_scan_determinismE0ELb1ES3_N6thrust23THRUST_200600_302600_NS6detail15normal_iteratorINS9_10device_ptrIiEEEENSB_INSC_IjEEEESE_fNS9_4plusIvEENS9_8equal_toIvEEfEE10hipError_tPvRmT2_T3_T4_T5_mT6_T7_P12ihipStream_tbENKUlT_T0_E_clISt17integral_constantIbLb0EES11_EEDaSW_SX_EUlSW_E_NS1_11comp_targetILNS1_3genE4ELNS1_11target_archE910ELNS1_3gpuE8ELNS1_3repE0EEENS1_30default_config_static_selectorELNS0_4arch9wavefront6targetE0EEEvT1_.numbered_sgpr, 0
	.set _ZN7rocprim17ROCPRIM_400000_NS6detail17trampoline_kernelINS0_14default_configENS1_27scan_by_key_config_selectorIifEEZZNS1_16scan_by_key_implILNS1_25lookback_scan_determinismE0ELb1ES3_N6thrust23THRUST_200600_302600_NS6detail15normal_iteratorINS9_10device_ptrIiEEEENSB_INSC_IjEEEESE_fNS9_4plusIvEENS9_8equal_toIvEEfEE10hipError_tPvRmT2_T3_T4_T5_mT6_T7_P12ihipStream_tbENKUlT_T0_E_clISt17integral_constantIbLb0EES11_EEDaSW_SX_EUlSW_E_NS1_11comp_targetILNS1_3genE4ELNS1_11target_archE910ELNS1_3gpuE8ELNS1_3repE0EEENS1_30default_config_static_selectorELNS0_4arch9wavefront6targetE0EEEvT1_.num_named_barrier, 0
	.set _ZN7rocprim17ROCPRIM_400000_NS6detail17trampoline_kernelINS0_14default_configENS1_27scan_by_key_config_selectorIifEEZZNS1_16scan_by_key_implILNS1_25lookback_scan_determinismE0ELb1ES3_N6thrust23THRUST_200600_302600_NS6detail15normal_iteratorINS9_10device_ptrIiEEEENSB_INSC_IjEEEESE_fNS9_4plusIvEENS9_8equal_toIvEEfEE10hipError_tPvRmT2_T3_T4_T5_mT6_T7_P12ihipStream_tbENKUlT_T0_E_clISt17integral_constantIbLb0EES11_EEDaSW_SX_EUlSW_E_NS1_11comp_targetILNS1_3genE4ELNS1_11target_archE910ELNS1_3gpuE8ELNS1_3repE0EEENS1_30default_config_static_selectorELNS0_4arch9wavefront6targetE0EEEvT1_.private_seg_size, 0
	.set _ZN7rocprim17ROCPRIM_400000_NS6detail17trampoline_kernelINS0_14default_configENS1_27scan_by_key_config_selectorIifEEZZNS1_16scan_by_key_implILNS1_25lookback_scan_determinismE0ELb1ES3_N6thrust23THRUST_200600_302600_NS6detail15normal_iteratorINS9_10device_ptrIiEEEENSB_INSC_IjEEEESE_fNS9_4plusIvEENS9_8equal_toIvEEfEE10hipError_tPvRmT2_T3_T4_T5_mT6_T7_P12ihipStream_tbENKUlT_T0_E_clISt17integral_constantIbLb0EES11_EEDaSW_SX_EUlSW_E_NS1_11comp_targetILNS1_3genE4ELNS1_11target_archE910ELNS1_3gpuE8ELNS1_3repE0EEENS1_30default_config_static_selectorELNS0_4arch9wavefront6targetE0EEEvT1_.uses_vcc, 0
	.set _ZN7rocprim17ROCPRIM_400000_NS6detail17trampoline_kernelINS0_14default_configENS1_27scan_by_key_config_selectorIifEEZZNS1_16scan_by_key_implILNS1_25lookback_scan_determinismE0ELb1ES3_N6thrust23THRUST_200600_302600_NS6detail15normal_iteratorINS9_10device_ptrIiEEEENSB_INSC_IjEEEESE_fNS9_4plusIvEENS9_8equal_toIvEEfEE10hipError_tPvRmT2_T3_T4_T5_mT6_T7_P12ihipStream_tbENKUlT_T0_E_clISt17integral_constantIbLb0EES11_EEDaSW_SX_EUlSW_E_NS1_11comp_targetILNS1_3genE4ELNS1_11target_archE910ELNS1_3gpuE8ELNS1_3repE0EEENS1_30default_config_static_selectorELNS0_4arch9wavefront6targetE0EEEvT1_.uses_flat_scratch, 0
	.set _ZN7rocprim17ROCPRIM_400000_NS6detail17trampoline_kernelINS0_14default_configENS1_27scan_by_key_config_selectorIifEEZZNS1_16scan_by_key_implILNS1_25lookback_scan_determinismE0ELb1ES3_N6thrust23THRUST_200600_302600_NS6detail15normal_iteratorINS9_10device_ptrIiEEEENSB_INSC_IjEEEESE_fNS9_4plusIvEENS9_8equal_toIvEEfEE10hipError_tPvRmT2_T3_T4_T5_mT6_T7_P12ihipStream_tbENKUlT_T0_E_clISt17integral_constantIbLb0EES11_EEDaSW_SX_EUlSW_E_NS1_11comp_targetILNS1_3genE4ELNS1_11target_archE910ELNS1_3gpuE8ELNS1_3repE0EEENS1_30default_config_static_selectorELNS0_4arch9wavefront6targetE0EEEvT1_.has_dyn_sized_stack, 0
	.set _ZN7rocprim17ROCPRIM_400000_NS6detail17trampoline_kernelINS0_14default_configENS1_27scan_by_key_config_selectorIifEEZZNS1_16scan_by_key_implILNS1_25lookback_scan_determinismE0ELb1ES3_N6thrust23THRUST_200600_302600_NS6detail15normal_iteratorINS9_10device_ptrIiEEEENSB_INSC_IjEEEESE_fNS9_4plusIvEENS9_8equal_toIvEEfEE10hipError_tPvRmT2_T3_T4_T5_mT6_T7_P12ihipStream_tbENKUlT_T0_E_clISt17integral_constantIbLb0EES11_EEDaSW_SX_EUlSW_E_NS1_11comp_targetILNS1_3genE4ELNS1_11target_archE910ELNS1_3gpuE8ELNS1_3repE0EEENS1_30default_config_static_selectorELNS0_4arch9wavefront6targetE0EEEvT1_.has_recursion, 0
	.set _ZN7rocprim17ROCPRIM_400000_NS6detail17trampoline_kernelINS0_14default_configENS1_27scan_by_key_config_selectorIifEEZZNS1_16scan_by_key_implILNS1_25lookback_scan_determinismE0ELb1ES3_N6thrust23THRUST_200600_302600_NS6detail15normal_iteratorINS9_10device_ptrIiEEEENSB_INSC_IjEEEESE_fNS9_4plusIvEENS9_8equal_toIvEEfEE10hipError_tPvRmT2_T3_T4_T5_mT6_T7_P12ihipStream_tbENKUlT_T0_E_clISt17integral_constantIbLb0EES11_EEDaSW_SX_EUlSW_E_NS1_11comp_targetILNS1_3genE4ELNS1_11target_archE910ELNS1_3gpuE8ELNS1_3repE0EEENS1_30default_config_static_selectorELNS0_4arch9wavefront6targetE0EEEvT1_.has_indirect_call, 0
	.section	.AMDGPU.csdata,"",@progbits
; Kernel info:
; codeLenInByte = 0
; TotalNumSgprs: 0
; NumVgprs: 0
; ScratchSize: 0
; MemoryBound: 0
; FloatMode: 240
; IeeeMode: 1
; LDSByteSize: 0 bytes/workgroup (compile time only)
; SGPRBlocks: 0
; VGPRBlocks: 0
; NumSGPRsForWavesPerEU: 1
; NumVGPRsForWavesPerEU: 1
; NamedBarCnt: 0
; Occupancy: 16
; WaveLimiterHint : 0
; COMPUTE_PGM_RSRC2:SCRATCH_EN: 0
; COMPUTE_PGM_RSRC2:USER_SGPR: 2
; COMPUTE_PGM_RSRC2:TRAP_HANDLER: 0
; COMPUTE_PGM_RSRC2:TGID_X_EN: 1
; COMPUTE_PGM_RSRC2:TGID_Y_EN: 0
; COMPUTE_PGM_RSRC2:TGID_Z_EN: 0
; COMPUTE_PGM_RSRC2:TIDIG_COMP_CNT: 0
	.section	.text._ZN7rocprim17ROCPRIM_400000_NS6detail17trampoline_kernelINS0_14default_configENS1_27scan_by_key_config_selectorIifEEZZNS1_16scan_by_key_implILNS1_25lookback_scan_determinismE0ELb1ES3_N6thrust23THRUST_200600_302600_NS6detail15normal_iteratorINS9_10device_ptrIiEEEENSB_INSC_IjEEEESE_fNS9_4plusIvEENS9_8equal_toIvEEfEE10hipError_tPvRmT2_T3_T4_T5_mT6_T7_P12ihipStream_tbENKUlT_T0_E_clISt17integral_constantIbLb0EES11_EEDaSW_SX_EUlSW_E_NS1_11comp_targetILNS1_3genE3ELNS1_11target_archE908ELNS1_3gpuE7ELNS1_3repE0EEENS1_30default_config_static_selectorELNS0_4arch9wavefront6targetE0EEEvT1_,"axG",@progbits,_ZN7rocprim17ROCPRIM_400000_NS6detail17trampoline_kernelINS0_14default_configENS1_27scan_by_key_config_selectorIifEEZZNS1_16scan_by_key_implILNS1_25lookback_scan_determinismE0ELb1ES3_N6thrust23THRUST_200600_302600_NS6detail15normal_iteratorINS9_10device_ptrIiEEEENSB_INSC_IjEEEESE_fNS9_4plusIvEENS9_8equal_toIvEEfEE10hipError_tPvRmT2_T3_T4_T5_mT6_T7_P12ihipStream_tbENKUlT_T0_E_clISt17integral_constantIbLb0EES11_EEDaSW_SX_EUlSW_E_NS1_11comp_targetILNS1_3genE3ELNS1_11target_archE908ELNS1_3gpuE7ELNS1_3repE0EEENS1_30default_config_static_selectorELNS0_4arch9wavefront6targetE0EEEvT1_,comdat
	.protected	_ZN7rocprim17ROCPRIM_400000_NS6detail17trampoline_kernelINS0_14default_configENS1_27scan_by_key_config_selectorIifEEZZNS1_16scan_by_key_implILNS1_25lookback_scan_determinismE0ELb1ES3_N6thrust23THRUST_200600_302600_NS6detail15normal_iteratorINS9_10device_ptrIiEEEENSB_INSC_IjEEEESE_fNS9_4plusIvEENS9_8equal_toIvEEfEE10hipError_tPvRmT2_T3_T4_T5_mT6_T7_P12ihipStream_tbENKUlT_T0_E_clISt17integral_constantIbLb0EES11_EEDaSW_SX_EUlSW_E_NS1_11comp_targetILNS1_3genE3ELNS1_11target_archE908ELNS1_3gpuE7ELNS1_3repE0EEENS1_30default_config_static_selectorELNS0_4arch9wavefront6targetE0EEEvT1_ ; -- Begin function _ZN7rocprim17ROCPRIM_400000_NS6detail17trampoline_kernelINS0_14default_configENS1_27scan_by_key_config_selectorIifEEZZNS1_16scan_by_key_implILNS1_25lookback_scan_determinismE0ELb1ES3_N6thrust23THRUST_200600_302600_NS6detail15normal_iteratorINS9_10device_ptrIiEEEENSB_INSC_IjEEEESE_fNS9_4plusIvEENS9_8equal_toIvEEfEE10hipError_tPvRmT2_T3_T4_T5_mT6_T7_P12ihipStream_tbENKUlT_T0_E_clISt17integral_constantIbLb0EES11_EEDaSW_SX_EUlSW_E_NS1_11comp_targetILNS1_3genE3ELNS1_11target_archE908ELNS1_3gpuE7ELNS1_3repE0EEENS1_30default_config_static_selectorELNS0_4arch9wavefront6targetE0EEEvT1_
	.globl	_ZN7rocprim17ROCPRIM_400000_NS6detail17trampoline_kernelINS0_14default_configENS1_27scan_by_key_config_selectorIifEEZZNS1_16scan_by_key_implILNS1_25lookback_scan_determinismE0ELb1ES3_N6thrust23THRUST_200600_302600_NS6detail15normal_iteratorINS9_10device_ptrIiEEEENSB_INSC_IjEEEESE_fNS9_4plusIvEENS9_8equal_toIvEEfEE10hipError_tPvRmT2_T3_T4_T5_mT6_T7_P12ihipStream_tbENKUlT_T0_E_clISt17integral_constantIbLb0EES11_EEDaSW_SX_EUlSW_E_NS1_11comp_targetILNS1_3genE3ELNS1_11target_archE908ELNS1_3gpuE7ELNS1_3repE0EEENS1_30default_config_static_selectorELNS0_4arch9wavefront6targetE0EEEvT1_
	.p2align	8
	.type	_ZN7rocprim17ROCPRIM_400000_NS6detail17trampoline_kernelINS0_14default_configENS1_27scan_by_key_config_selectorIifEEZZNS1_16scan_by_key_implILNS1_25lookback_scan_determinismE0ELb1ES3_N6thrust23THRUST_200600_302600_NS6detail15normal_iteratorINS9_10device_ptrIiEEEENSB_INSC_IjEEEESE_fNS9_4plusIvEENS9_8equal_toIvEEfEE10hipError_tPvRmT2_T3_T4_T5_mT6_T7_P12ihipStream_tbENKUlT_T0_E_clISt17integral_constantIbLb0EES11_EEDaSW_SX_EUlSW_E_NS1_11comp_targetILNS1_3genE3ELNS1_11target_archE908ELNS1_3gpuE7ELNS1_3repE0EEENS1_30default_config_static_selectorELNS0_4arch9wavefront6targetE0EEEvT1_,@function
_ZN7rocprim17ROCPRIM_400000_NS6detail17trampoline_kernelINS0_14default_configENS1_27scan_by_key_config_selectorIifEEZZNS1_16scan_by_key_implILNS1_25lookback_scan_determinismE0ELb1ES3_N6thrust23THRUST_200600_302600_NS6detail15normal_iteratorINS9_10device_ptrIiEEEENSB_INSC_IjEEEESE_fNS9_4plusIvEENS9_8equal_toIvEEfEE10hipError_tPvRmT2_T3_T4_T5_mT6_T7_P12ihipStream_tbENKUlT_T0_E_clISt17integral_constantIbLb0EES11_EEDaSW_SX_EUlSW_E_NS1_11comp_targetILNS1_3genE3ELNS1_11target_archE908ELNS1_3gpuE7ELNS1_3repE0EEENS1_30default_config_static_selectorELNS0_4arch9wavefront6targetE0EEEvT1_: ; @_ZN7rocprim17ROCPRIM_400000_NS6detail17trampoline_kernelINS0_14default_configENS1_27scan_by_key_config_selectorIifEEZZNS1_16scan_by_key_implILNS1_25lookback_scan_determinismE0ELb1ES3_N6thrust23THRUST_200600_302600_NS6detail15normal_iteratorINS9_10device_ptrIiEEEENSB_INSC_IjEEEESE_fNS9_4plusIvEENS9_8equal_toIvEEfEE10hipError_tPvRmT2_T3_T4_T5_mT6_T7_P12ihipStream_tbENKUlT_T0_E_clISt17integral_constantIbLb0EES11_EEDaSW_SX_EUlSW_E_NS1_11comp_targetILNS1_3genE3ELNS1_11target_archE908ELNS1_3gpuE7ELNS1_3repE0EEENS1_30default_config_static_selectorELNS0_4arch9wavefront6targetE0EEEvT1_
; %bb.0:
	.section	.rodata,"a",@progbits
	.p2align	6, 0x0
	.amdhsa_kernel _ZN7rocprim17ROCPRIM_400000_NS6detail17trampoline_kernelINS0_14default_configENS1_27scan_by_key_config_selectorIifEEZZNS1_16scan_by_key_implILNS1_25lookback_scan_determinismE0ELb1ES3_N6thrust23THRUST_200600_302600_NS6detail15normal_iteratorINS9_10device_ptrIiEEEENSB_INSC_IjEEEESE_fNS9_4plusIvEENS9_8equal_toIvEEfEE10hipError_tPvRmT2_T3_T4_T5_mT6_T7_P12ihipStream_tbENKUlT_T0_E_clISt17integral_constantIbLb0EES11_EEDaSW_SX_EUlSW_E_NS1_11comp_targetILNS1_3genE3ELNS1_11target_archE908ELNS1_3gpuE7ELNS1_3repE0EEENS1_30default_config_static_selectorELNS0_4arch9wavefront6targetE0EEEvT1_
		.amdhsa_group_segment_fixed_size 0
		.amdhsa_private_segment_fixed_size 0
		.amdhsa_kernarg_size 112
		.amdhsa_user_sgpr_count 2
		.amdhsa_user_sgpr_dispatch_ptr 0
		.amdhsa_user_sgpr_queue_ptr 0
		.amdhsa_user_sgpr_kernarg_segment_ptr 1
		.amdhsa_user_sgpr_dispatch_id 0
		.amdhsa_user_sgpr_kernarg_preload_length 0
		.amdhsa_user_sgpr_kernarg_preload_offset 0
		.amdhsa_user_sgpr_private_segment_size 0
		.amdhsa_wavefront_size32 1
		.amdhsa_uses_dynamic_stack 0
		.amdhsa_enable_private_segment 0
		.amdhsa_system_sgpr_workgroup_id_x 1
		.amdhsa_system_sgpr_workgroup_id_y 0
		.amdhsa_system_sgpr_workgroup_id_z 0
		.amdhsa_system_sgpr_workgroup_info 0
		.amdhsa_system_vgpr_workitem_id 0
		.amdhsa_next_free_vgpr 1
		.amdhsa_next_free_sgpr 1
		.amdhsa_named_barrier_count 0
		.amdhsa_reserve_vcc 0
		.amdhsa_float_round_mode_32 0
		.amdhsa_float_round_mode_16_64 0
		.amdhsa_float_denorm_mode_32 3
		.amdhsa_float_denorm_mode_16_64 3
		.amdhsa_fp16_overflow 0
		.amdhsa_memory_ordered 1
		.amdhsa_forward_progress 1
		.amdhsa_inst_pref_size 0
		.amdhsa_round_robin_scheduling 0
		.amdhsa_exception_fp_ieee_invalid_op 0
		.amdhsa_exception_fp_denorm_src 0
		.amdhsa_exception_fp_ieee_div_zero 0
		.amdhsa_exception_fp_ieee_overflow 0
		.amdhsa_exception_fp_ieee_underflow 0
		.amdhsa_exception_fp_ieee_inexact 0
		.amdhsa_exception_int_div_zero 0
	.end_amdhsa_kernel
	.section	.text._ZN7rocprim17ROCPRIM_400000_NS6detail17trampoline_kernelINS0_14default_configENS1_27scan_by_key_config_selectorIifEEZZNS1_16scan_by_key_implILNS1_25lookback_scan_determinismE0ELb1ES3_N6thrust23THRUST_200600_302600_NS6detail15normal_iteratorINS9_10device_ptrIiEEEENSB_INSC_IjEEEESE_fNS9_4plusIvEENS9_8equal_toIvEEfEE10hipError_tPvRmT2_T3_T4_T5_mT6_T7_P12ihipStream_tbENKUlT_T0_E_clISt17integral_constantIbLb0EES11_EEDaSW_SX_EUlSW_E_NS1_11comp_targetILNS1_3genE3ELNS1_11target_archE908ELNS1_3gpuE7ELNS1_3repE0EEENS1_30default_config_static_selectorELNS0_4arch9wavefront6targetE0EEEvT1_,"axG",@progbits,_ZN7rocprim17ROCPRIM_400000_NS6detail17trampoline_kernelINS0_14default_configENS1_27scan_by_key_config_selectorIifEEZZNS1_16scan_by_key_implILNS1_25lookback_scan_determinismE0ELb1ES3_N6thrust23THRUST_200600_302600_NS6detail15normal_iteratorINS9_10device_ptrIiEEEENSB_INSC_IjEEEESE_fNS9_4plusIvEENS9_8equal_toIvEEfEE10hipError_tPvRmT2_T3_T4_T5_mT6_T7_P12ihipStream_tbENKUlT_T0_E_clISt17integral_constantIbLb0EES11_EEDaSW_SX_EUlSW_E_NS1_11comp_targetILNS1_3genE3ELNS1_11target_archE908ELNS1_3gpuE7ELNS1_3repE0EEENS1_30default_config_static_selectorELNS0_4arch9wavefront6targetE0EEEvT1_,comdat
.Lfunc_end1792:
	.size	_ZN7rocprim17ROCPRIM_400000_NS6detail17trampoline_kernelINS0_14default_configENS1_27scan_by_key_config_selectorIifEEZZNS1_16scan_by_key_implILNS1_25lookback_scan_determinismE0ELb1ES3_N6thrust23THRUST_200600_302600_NS6detail15normal_iteratorINS9_10device_ptrIiEEEENSB_INSC_IjEEEESE_fNS9_4plusIvEENS9_8equal_toIvEEfEE10hipError_tPvRmT2_T3_T4_T5_mT6_T7_P12ihipStream_tbENKUlT_T0_E_clISt17integral_constantIbLb0EES11_EEDaSW_SX_EUlSW_E_NS1_11comp_targetILNS1_3genE3ELNS1_11target_archE908ELNS1_3gpuE7ELNS1_3repE0EEENS1_30default_config_static_selectorELNS0_4arch9wavefront6targetE0EEEvT1_, .Lfunc_end1792-_ZN7rocprim17ROCPRIM_400000_NS6detail17trampoline_kernelINS0_14default_configENS1_27scan_by_key_config_selectorIifEEZZNS1_16scan_by_key_implILNS1_25lookback_scan_determinismE0ELb1ES3_N6thrust23THRUST_200600_302600_NS6detail15normal_iteratorINS9_10device_ptrIiEEEENSB_INSC_IjEEEESE_fNS9_4plusIvEENS9_8equal_toIvEEfEE10hipError_tPvRmT2_T3_T4_T5_mT6_T7_P12ihipStream_tbENKUlT_T0_E_clISt17integral_constantIbLb0EES11_EEDaSW_SX_EUlSW_E_NS1_11comp_targetILNS1_3genE3ELNS1_11target_archE908ELNS1_3gpuE7ELNS1_3repE0EEENS1_30default_config_static_selectorELNS0_4arch9wavefront6targetE0EEEvT1_
                                        ; -- End function
	.set _ZN7rocprim17ROCPRIM_400000_NS6detail17trampoline_kernelINS0_14default_configENS1_27scan_by_key_config_selectorIifEEZZNS1_16scan_by_key_implILNS1_25lookback_scan_determinismE0ELb1ES3_N6thrust23THRUST_200600_302600_NS6detail15normal_iteratorINS9_10device_ptrIiEEEENSB_INSC_IjEEEESE_fNS9_4plusIvEENS9_8equal_toIvEEfEE10hipError_tPvRmT2_T3_T4_T5_mT6_T7_P12ihipStream_tbENKUlT_T0_E_clISt17integral_constantIbLb0EES11_EEDaSW_SX_EUlSW_E_NS1_11comp_targetILNS1_3genE3ELNS1_11target_archE908ELNS1_3gpuE7ELNS1_3repE0EEENS1_30default_config_static_selectorELNS0_4arch9wavefront6targetE0EEEvT1_.num_vgpr, 0
	.set _ZN7rocprim17ROCPRIM_400000_NS6detail17trampoline_kernelINS0_14default_configENS1_27scan_by_key_config_selectorIifEEZZNS1_16scan_by_key_implILNS1_25lookback_scan_determinismE0ELb1ES3_N6thrust23THRUST_200600_302600_NS6detail15normal_iteratorINS9_10device_ptrIiEEEENSB_INSC_IjEEEESE_fNS9_4plusIvEENS9_8equal_toIvEEfEE10hipError_tPvRmT2_T3_T4_T5_mT6_T7_P12ihipStream_tbENKUlT_T0_E_clISt17integral_constantIbLb0EES11_EEDaSW_SX_EUlSW_E_NS1_11comp_targetILNS1_3genE3ELNS1_11target_archE908ELNS1_3gpuE7ELNS1_3repE0EEENS1_30default_config_static_selectorELNS0_4arch9wavefront6targetE0EEEvT1_.num_agpr, 0
	.set _ZN7rocprim17ROCPRIM_400000_NS6detail17trampoline_kernelINS0_14default_configENS1_27scan_by_key_config_selectorIifEEZZNS1_16scan_by_key_implILNS1_25lookback_scan_determinismE0ELb1ES3_N6thrust23THRUST_200600_302600_NS6detail15normal_iteratorINS9_10device_ptrIiEEEENSB_INSC_IjEEEESE_fNS9_4plusIvEENS9_8equal_toIvEEfEE10hipError_tPvRmT2_T3_T4_T5_mT6_T7_P12ihipStream_tbENKUlT_T0_E_clISt17integral_constantIbLb0EES11_EEDaSW_SX_EUlSW_E_NS1_11comp_targetILNS1_3genE3ELNS1_11target_archE908ELNS1_3gpuE7ELNS1_3repE0EEENS1_30default_config_static_selectorELNS0_4arch9wavefront6targetE0EEEvT1_.numbered_sgpr, 0
	.set _ZN7rocprim17ROCPRIM_400000_NS6detail17trampoline_kernelINS0_14default_configENS1_27scan_by_key_config_selectorIifEEZZNS1_16scan_by_key_implILNS1_25lookback_scan_determinismE0ELb1ES3_N6thrust23THRUST_200600_302600_NS6detail15normal_iteratorINS9_10device_ptrIiEEEENSB_INSC_IjEEEESE_fNS9_4plusIvEENS9_8equal_toIvEEfEE10hipError_tPvRmT2_T3_T4_T5_mT6_T7_P12ihipStream_tbENKUlT_T0_E_clISt17integral_constantIbLb0EES11_EEDaSW_SX_EUlSW_E_NS1_11comp_targetILNS1_3genE3ELNS1_11target_archE908ELNS1_3gpuE7ELNS1_3repE0EEENS1_30default_config_static_selectorELNS0_4arch9wavefront6targetE0EEEvT1_.num_named_barrier, 0
	.set _ZN7rocprim17ROCPRIM_400000_NS6detail17trampoline_kernelINS0_14default_configENS1_27scan_by_key_config_selectorIifEEZZNS1_16scan_by_key_implILNS1_25lookback_scan_determinismE0ELb1ES3_N6thrust23THRUST_200600_302600_NS6detail15normal_iteratorINS9_10device_ptrIiEEEENSB_INSC_IjEEEESE_fNS9_4plusIvEENS9_8equal_toIvEEfEE10hipError_tPvRmT2_T3_T4_T5_mT6_T7_P12ihipStream_tbENKUlT_T0_E_clISt17integral_constantIbLb0EES11_EEDaSW_SX_EUlSW_E_NS1_11comp_targetILNS1_3genE3ELNS1_11target_archE908ELNS1_3gpuE7ELNS1_3repE0EEENS1_30default_config_static_selectorELNS0_4arch9wavefront6targetE0EEEvT1_.private_seg_size, 0
	.set _ZN7rocprim17ROCPRIM_400000_NS6detail17trampoline_kernelINS0_14default_configENS1_27scan_by_key_config_selectorIifEEZZNS1_16scan_by_key_implILNS1_25lookback_scan_determinismE0ELb1ES3_N6thrust23THRUST_200600_302600_NS6detail15normal_iteratorINS9_10device_ptrIiEEEENSB_INSC_IjEEEESE_fNS9_4plusIvEENS9_8equal_toIvEEfEE10hipError_tPvRmT2_T3_T4_T5_mT6_T7_P12ihipStream_tbENKUlT_T0_E_clISt17integral_constantIbLb0EES11_EEDaSW_SX_EUlSW_E_NS1_11comp_targetILNS1_3genE3ELNS1_11target_archE908ELNS1_3gpuE7ELNS1_3repE0EEENS1_30default_config_static_selectorELNS0_4arch9wavefront6targetE0EEEvT1_.uses_vcc, 0
	.set _ZN7rocprim17ROCPRIM_400000_NS6detail17trampoline_kernelINS0_14default_configENS1_27scan_by_key_config_selectorIifEEZZNS1_16scan_by_key_implILNS1_25lookback_scan_determinismE0ELb1ES3_N6thrust23THRUST_200600_302600_NS6detail15normal_iteratorINS9_10device_ptrIiEEEENSB_INSC_IjEEEESE_fNS9_4plusIvEENS9_8equal_toIvEEfEE10hipError_tPvRmT2_T3_T4_T5_mT6_T7_P12ihipStream_tbENKUlT_T0_E_clISt17integral_constantIbLb0EES11_EEDaSW_SX_EUlSW_E_NS1_11comp_targetILNS1_3genE3ELNS1_11target_archE908ELNS1_3gpuE7ELNS1_3repE0EEENS1_30default_config_static_selectorELNS0_4arch9wavefront6targetE0EEEvT1_.uses_flat_scratch, 0
	.set _ZN7rocprim17ROCPRIM_400000_NS6detail17trampoline_kernelINS0_14default_configENS1_27scan_by_key_config_selectorIifEEZZNS1_16scan_by_key_implILNS1_25lookback_scan_determinismE0ELb1ES3_N6thrust23THRUST_200600_302600_NS6detail15normal_iteratorINS9_10device_ptrIiEEEENSB_INSC_IjEEEESE_fNS9_4plusIvEENS9_8equal_toIvEEfEE10hipError_tPvRmT2_T3_T4_T5_mT6_T7_P12ihipStream_tbENKUlT_T0_E_clISt17integral_constantIbLb0EES11_EEDaSW_SX_EUlSW_E_NS1_11comp_targetILNS1_3genE3ELNS1_11target_archE908ELNS1_3gpuE7ELNS1_3repE0EEENS1_30default_config_static_selectorELNS0_4arch9wavefront6targetE0EEEvT1_.has_dyn_sized_stack, 0
	.set _ZN7rocprim17ROCPRIM_400000_NS6detail17trampoline_kernelINS0_14default_configENS1_27scan_by_key_config_selectorIifEEZZNS1_16scan_by_key_implILNS1_25lookback_scan_determinismE0ELb1ES3_N6thrust23THRUST_200600_302600_NS6detail15normal_iteratorINS9_10device_ptrIiEEEENSB_INSC_IjEEEESE_fNS9_4plusIvEENS9_8equal_toIvEEfEE10hipError_tPvRmT2_T3_T4_T5_mT6_T7_P12ihipStream_tbENKUlT_T0_E_clISt17integral_constantIbLb0EES11_EEDaSW_SX_EUlSW_E_NS1_11comp_targetILNS1_3genE3ELNS1_11target_archE908ELNS1_3gpuE7ELNS1_3repE0EEENS1_30default_config_static_selectorELNS0_4arch9wavefront6targetE0EEEvT1_.has_recursion, 0
	.set _ZN7rocprim17ROCPRIM_400000_NS6detail17trampoline_kernelINS0_14default_configENS1_27scan_by_key_config_selectorIifEEZZNS1_16scan_by_key_implILNS1_25lookback_scan_determinismE0ELb1ES3_N6thrust23THRUST_200600_302600_NS6detail15normal_iteratorINS9_10device_ptrIiEEEENSB_INSC_IjEEEESE_fNS9_4plusIvEENS9_8equal_toIvEEfEE10hipError_tPvRmT2_T3_T4_T5_mT6_T7_P12ihipStream_tbENKUlT_T0_E_clISt17integral_constantIbLb0EES11_EEDaSW_SX_EUlSW_E_NS1_11comp_targetILNS1_3genE3ELNS1_11target_archE908ELNS1_3gpuE7ELNS1_3repE0EEENS1_30default_config_static_selectorELNS0_4arch9wavefront6targetE0EEEvT1_.has_indirect_call, 0
	.section	.AMDGPU.csdata,"",@progbits
; Kernel info:
; codeLenInByte = 0
; TotalNumSgprs: 0
; NumVgprs: 0
; ScratchSize: 0
; MemoryBound: 0
; FloatMode: 240
; IeeeMode: 1
; LDSByteSize: 0 bytes/workgroup (compile time only)
; SGPRBlocks: 0
; VGPRBlocks: 0
; NumSGPRsForWavesPerEU: 1
; NumVGPRsForWavesPerEU: 1
; NamedBarCnt: 0
; Occupancy: 16
; WaveLimiterHint : 0
; COMPUTE_PGM_RSRC2:SCRATCH_EN: 0
; COMPUTE_PGM_RSRC2:USER_SGPR: 2
; COMPUTE_PGM_RSRC2:TRAP_HANDLER: 0
; COMPUTE_PGM_RSRC2:TGID_X_EN: 1
; COMPUTE_PGM_RSRC2:TGID_Y_EN: 0
; COMPUTE_PGM_RSRC2:TGID_Z_EN: 0
; COMPUTE_PGM_RSRC2:TIDIG_COMP_CNT: 0
	.section	.text._ZN7rocprim17ROCPRIM_400000_NS6detail17trampoline_kernelINS0_14default_configENS1_27scan_by_key_config_selectorIifEEZZNS1_16scan_by_key_implILNS1_25lookback_scan_determinismE0ELb1ES3_N6thrust23THRUST_200600_302600_NS6detail15normal_iteratorINS9_10device_ptrIiEEEENSB_INSC_IjEEEESE_fNS9_4plusIvEENS9_8equal_toIvEEfEE10hipError_tPvRmT2_T3_T4_T5_mT6_T7_P12ihipStream_tbENKUlT_T0_E_clISt17integral_constantIbLb0EES11_EEDaSW_SX_EUlSW_E_NS1_11comp_targetILNS1_3genE2ELNS1_11target_archE906ELNS1_3gpuE6ELNS1_3repE0EEENS1_30default_config_static_selectorELNS0_4arch9wavefront6targetE0EEEvT1_,"axG",@progbits,_ZN7rocprim17ROCPRIM_400000_NS6detail17trampoline_kernelINS0_14default_configENS1_27scan_by_key_config_selectorIifEEZZNS1_16scan_by_key_implILNS1_25lookback_scan_determinismE0ELb1ES3_N6thrust23THRUST_200600_302600_NS6detail15normal_iteratorINS9_10device_ptrIiEEEENSB_INSC_IjEEEESE_fNS9_4plusIvEENS9_8equal_toIvEEfEE10hipError_tPvRmT2_T3_T4_T5_mT6_T7_P12ihipStream_tbENKUlT_T0_E_clISt17integral_constantIbLb0EES11_EEDaSW_SX_EUlSW_E_NS1_11comp_targetILNS1_3genE2ELNS1_11target_archE906ELNS1_3gpuE6ELNS1_3repE0EEENS1_30default_config_static_selectorELNS0_4arch9wavefront6targetE0EEEvT1_,comdat
	.protected	_ZN7rocprim17ROCPRIM_400000_NS6detail17trampoline_kernelINS0_14default_configENS1_27scan_by_key_config_selectorIifEEZZNS1_16scan_by_key_implILNS1_25lookback_scan_determinismE0ELb1ES3_N6thrust23THRUST_200600_302600_NS6detail15normal_iteratorINS9_10device_ptrIiEEEENSB_INSC_IjEEEESE_fNS9_4plusIvEENS9_8equal_toIvEEfEE10hipError_tPvRmT2_T3_T4_T5_mT6_T7_P12ihipStream_tbENKUlT_T0_E_clISt17integral_constantIbLb0EES11_EEDaSW_SX_EUlSW_E_NS1_11comp_targetILNS1_3genE2ELNS1_11target_archE906ELNS1_3gpuE6ELNS1_3repE0EEENS1_30default_config_static_selectorELNS0_4arch9wavefront6targetE0EEEvT1_ ; -- Begin function _ZN7rocprim17ROCPRIM_400000_NS6detail17trampoline_kernelINS0_14default_configENS1_27scan_by_key_config_selectorIifEEZZNS1_16scan_by_key_implILNS1_25lookback_scan_determinismE0ELb1ES3_N6thrust23THRUST_200600_302600_NS6detail15normal_iteratorINS9_10device_ptrIiEEEENSB_INSC_IjEEEESE_fNS9_4plusIvEENS9_8equal_toIvEEfEE10hipError_tPvRmT2_T3_T4_T5_mT6_T7_P12ihipStream_tbENKUlT_T0_E_clISt17integral_constantIbLb0EES11_EEDaSW_SX_EUlSW_E_NS1_11comp_targetILNS1_3genE2ELNS1_11target_archE906ELNS1_3gpuE6ELNS1_3repE0EEENS1_30default_config_static_selectorELNS0_4arch9wavefront6targetE0EEEvT1_
	.globl	_ZN7rocprim17ROCPRIM_400000_NS6detail17trampoline_kernelINS0_14default_configENS1_27scan_by_key_config_selectorIifEEZZNS1_16scan_by_key_implILNS1_25lookback_scan_determinismE0ELb1ES3_N6thrust23THRUST_200600_302600_NS6detail15normal_iteratorINS9_10device_ptrIiEEEENSB_INSC_IjEEEESE_fNS9_4plusIvEENS9_8equal_toIvEEfEE10hipError_tPvRmT2_T3_T4_T5_mT6_T7_P12ihipStream_tbENKUlT_T0_E_clISt17integral_constantIbLb0EES11_EEDaSW_SX_EUlSW_E_NS1_11comp_targetILNS1_3genE2ELNS1_11target_archE906ELNS1_3gpuE6ELNS1_3repE0EEENS1_30default_config_static_selectorELNS0_4arch9wavefront6targetE0EEEvT1_
	.p2align	8
	.type	_ZN7rocprim17ROCPRIM_400000_NS6detail17trampoline_kernelINS0_14default_configENS1_27scan_by_key_config_selectorIifEEZZNS1_16scan_by_key_implILNS1_25lookback_scan_determinismE0ELb1ES3_N6thrust23THRUST_200600_302600_NS6detail15normal_iteratorINS9_10device_ptrIiEEEENSB_INSC_IjEEEESE_fNS9_4plusIvEENS9_8equal_toIvEEfEE10hipError_tPvRmT2_T3_T4_T5_mT6_T7_P12ihipStream_tbENKUlT_T0_E_clISt17integral_constantIbLb0EES11_EEDaSW_SX_EUlSW_E_NS1_11comp_targetILNS1_3genE2ELNS1_11target_archE906ELNS1_3gpuE6ELNS1_3repE0EEENS1_30default_config_static_selectorELNS0_4arch9wavefront6targetE0EEEvT1_,@function
_ZN7rocprim17ROCPRIM_400000_NS6detail17trampoline_kernelINS0_14default_configENS1_27scan_by_key_config_selectorIifEEZZNS1_16scan_by_key_implILNS1_25lookback_scan_determinismE0ELb1ES3_N6thrust23THRUST_200600_302600_NS6detail15normal_iteratorINS9_10device_ptrIiEEEENSB_INSC_IjEEEESE_fNS9_4plusIvEENS9_8equal_toIvEEfEE10hipError_tPvRmT2_T3_T4_T5_mT6_T7_P12ihipStream_tbENKUlT_T0_E_clISt17integral_constantIbLb0EES11_EEDaSW_SX_EUlSW_E_NS1_11comp_targetILNS1_3genE2ELNS1_11target_archE906ELNS1_3gpuE6ELNS1_3repE0EEENS1_30default_config_static_selectorELNS0_4arch9wavefront6targetE0EEEvT1_: ; @_ZN7rocprim17ROCPRIM_400000_NS6detail17trampoline_kernelINS0_14default_configENS1_27scan_by_key_config_selectorIifEEZZNS1_16scan_by_key_implILNS1_25lookback_scan_determinismE0ELb1ES3_N6thrust23THRUST_200600_302600_NS6detail15normal_iteratorINS9_10device_ptrIiEEEENSB_INSC_IjEEEESE_fNS9_4plusIvEENS9_8equal_toIvEEfEE10hipError_tPvRmT2_T3_T4_T5_mT6_T7_P12ihipStream_tbENKUlT_T0_E_clISt17integral_constantIbLb0EES11_EEDaSW_SX_EUlSW_E_NS1_11comp_targetILNS1_3genE2ELNS1_11target_archE906ELNS1_3gpuE6ELNS1_3repE0EEENS1_30default_config_static_selectorELNS0_4arch9wavefront6targetE0EEEvT1_
; %bb.0:
	.section	.rodata,"a",@progbits
	.p2align	6, 0x0
	.amdhsa_kernel _ZN7rocprim17ROCPRIM_400000_NS6detail17trampoline_kernelINS0_14default_configENS1_27scan_by_key_config_selectorIifEEZZNS1_16scan_by_key_implILNS1_25lookback_scan_determinismE0ELb1ES3_N6thrust23THRUST_200600_302600_NS6detail15normal_iteratorINS9_10device_ptrIiEEEENSB_INSC_IjEEEESE_fNS9_4plusIvEENS9_8equal_toIvEEfEE10hipError_tPvRmT2_T3_T4_T5_mT6_T7_P12ihipStream_tbENKUlT_T0_E_clISt17integral_constantIbLb0EES11_EEDaSW_SX_EUlSW_E_NS1_11comp_targetILNS1_3genE2ELNS1_11target_archE906ELNS1_3gpuE6ELNS1_3repE0EEENS1_30default_config_static_selectorELNS0_4arch9wavefront6targetE0EEEvT1_
		.amdhsa_group_segment_fixed_size 0
		.amdhsa_private_segment_fixed_size 0
		.amdhsa_kernarg_size 112
		.amdhsa_user_sgpr_count 2
		.amdhsa_user_sgpr_dispatch_ptr 0
		.amdhsa_user_sgpr_queue_ptr 0
		.amdhsa_user_sgpr_kernarg_segment_ptr 1
		.amdhsa_user_sgpr_dispatch_id 0
		.amdhsa_user_sgpr_kernarg_preload_length 0
		.amdhsa_user_sgpr_kernarg_preload_offset 0
		.amdhsa_user_sgpr_private_segment_size 0
		.amdhsa_wavefront_size32 1
		.amdhsa_uses_dynamic_stack 0
		.amdhsa_enable_private_segment 0
		.amdhsa_system_sgpr_workgroup_id_x 1
		.amdhsa_system_sgpr_workgroup_id_y 0
		.amdhsa_system_sgpr_workgroup_id_z 0
		.amdhsa_system_sgpr_workgroup_info 0
		.amdhsa_system_vgpr_workitem_id 0
		.amdhsa_next_free_vgpr 1
		.amdhsa_next_free_sgpr 1
		.amdhsa_named_barrier_count 0
		.amdhsa_reserve_vcc 0
		.amdhsa_float_round_mode_32 0
		.amdhsa_float_round_mode_16_64 0
		.amdhsa_float_denorm_mode_32 3
		.amdhsa_float_denorm_mode_16_64 3
		.amdhsa_fp16_overflow 0
		.amdhsa_memory_ordered 1
		.amdhsa_forward_progress 1
		.amdhsa_inst_pref_size 0
		.amdhsa_round_robin_scheduling 0
		.amdhsa_exception_fp_ieee_invalid_op 0
		.amdhsa_exception_fp_denorm_src 0
		.amdhsa_exception_fp_ieee_div_zero 0
		.amdhsa_exception_fp_ieee_overflow 0
		.amdhsa_exception_fp_ieee_underflow 0
		.amdhsa_exception_fp_ieee_inexact 0
		.amdhsa_exception_int_div_zero 0
	.end_amdhsa_kernel
	.section	.text._ZN7rocprim17ROCPRIM_400000_NS6detail17trampoline_kernelINS0_14default_configENS1_27scan_by_key_config_selectorIifEEZZNS1_16scan_by_key_implILNS1_25lookback_scan_determinismE0ELb1ES3_N6thrust23THRUST_200600_302600_NS6detail15normal_iteratorINS9_10device_ptrIiEEEENSB_INSC_IjEEEESE_fNS9_4plusIvEENS9_8equal_toIvEEfEE10hipError_tPvRmT2_T3_T4_T5_mT6_T7_P12ihipStream_tbENKUlT_T0_E_clISt17integral_constantIbLb0EES11_EEDaSW_SX_EUlSW_E_NS1_11comp_targetILNS1_3genE2ELNS1_11target_archE906ELNS1_3gpuE6ELNS1_3repE0EEENS1_30default_config_static_selectorELNS0_4arch9wavefront6targetE0EEEvT1_,"axG",@progbits,_ZN7rocprim17ROCPRIM_400000_NS6detail17trampoline_kernelINS0_14default_configENS1_27scan_by_key_config_selectorIifEEZZNS1_16scan_by_key_implILNS1_25lookback_scan_determinismE0ELb1ES3_N6thrust23THRUST_200600_302600_NS6detail15normal_iteratorINS9_10device_ptrIiEEEENSB_INSC_IjEEEESE_fNS9_4plusIvEENS9_8equal_toIvEEfEE10hipError_tPvRmT2_T3_T4_T5_mT6_T7_P12ihipStream_tbENKUlT_T0_E_clISt17integral_constantIbLb0EES11_EEDaSW_SX_EUlSW_E_NS1_11comp_targetILNS1_3genE2ELNS1_11target_archE906ELNS1_3gpuE6ELNS1_3repE0EEENS1_30default_config_static_selectorELNS0_4arch9wavefront6targetE0EEEvT1_,comdat
.Lfunc_end1793:
	.size	_ZN7rocprim17ROCPRIM_400000_NS6detail17trampoline_kernelINS0_14default_configENS1_27scan_by_key_config_selectorIifEEZZNS1_16scan_by_key_implILNS1_25lookback_scan_determinismE0ELb1ES3_N6thrust23THRUST_200600_302600_NS6detail15normal_iteratorINS9_10device_ptrIiEEEENSB_INSC_IjEEEESE_fNS9_4plusIvEENS9_8equal_toIvEEfEE10hipError_tPvRmT2_T3_T4_T5_mT6_T7_P12ihipStream_tbENKUlT_T0_E_clISt17integral_constantIbLb0EES11_EEDaSW_SX_EUlSW_E_NS1_11comp_targetILNS1_3genE2ELNS1_11target_archE906ELNS1_3gpuE6ELNS1_3repE0EEENS1_30default_config_static_selectorELNS0_4arch9wavefront6targetE0EEEvT1_, .Lfunc_end1793-_ZN7rocprim17ROCPRIM_400000_NS6detail17trampoline_kernelINS0_14default_configENS1_27scan_by_key_config_selectorIifEEZZNS1_16scan_by_key_implILNS1_25lookback_scan_determinismE0ELb1ES3_N6thrust23THRUST_200600_302600_NS6detail15normal_iteratorINS9_10device_ptrIiEEEENSB_INSC_IjEEEESE_fNS9_4plusIvEENS9_8equal_toIvEEfEE10hipError_tPvRmT2_T3_T4_T5_mT6_T7_P12ihipStream_tbENKUlT_T0_E_clISt17integral_constantIbLb0EES11_EEDaSW_SX_EUlSW_E_NS1_11comp_targetILNS1_3genE2ELNS1_11target_archE906ELNS1_3gpuE6ELNS1_3repE0EEENS1_30default_config_static_selectorELNS0_4arch9wavefront6targetE0EEEvT1_
                                        ; -- End function
	.set _ZN7rocprim17ROCPRIM_400000_NS6detail17trampoline_kernelINS0_14default_configENS1_27scan_by_key_config_selectorIifEEZZNS1_16scan_by_key_implILNS1_25lookback_scan_determinismE0ELb1ES3_N6thrust23THRUST_200600_302600_NS6detail15normal_iteratorINS9_10device_ptrIiEEEENSB_INSC_IjEEEESE_fNS9_4plusIvEENS9_8equal_toIvEEfEE10hipError_tPvRmT2_T3_T4_T5_mT6_T7_P12ihipStream_tbENKUlT_T0_E_clISt17integral_constantIbLb0EES11_EEDaSW_SX_EUlSW_E_NS1_11comp_targetILNS1_3genE2ELNS1_11target_archE906ELNS1_3gpuE6ELNS1_3repE0EEENS1_30default_config_static_selectorELNS0_4arch9wavefront6targetE0EEEvT1_.num_vgpr, 0
	.set _ZN7rocprim17ROCPRIM_400000_NS6detail17trampoline_kernelINS0_14default_configENS1_27scan_by_key_config_selectorIifEEZZNS1_16scan_by_key_implILNS1_25lookback_scan_determinismE0ELb1ES3_N6thrust23THRUST_200600_302600_NS6detail15normal_iteratorINS9_10device_ptrIiEEEENSB_INSC_IjEEEESE_fNS9_4plusIvEENS9_8equal_toIvEEfEE10hipError_tPvRmT2_T3_T4_T5_mT6_T7_P12ihipStream_tbENKUlT_T0_E_clISt17integral_constantIbLb0EES11_EEDaSW_SX_EUlSW_E_NS1_11comp_targetILNS1_3genE2ELNS1_11target_archE906ELNS1_3gpuE6ELNS1_3repE0EEENS1_30default_config_static_selectorELNS0_4arch9wavefront6targetE0EEEvT1_.num_agpr, 0
	.set _ZN7rocprim17ROCPRIM_400000_NS6detail17trampoline_kernelINS0_14default_configENS1_27scan_by_key_config_selectorIifEEZZNS1_16scan_by_key_implILNS1_25lookback_scan_determinismE0ELb1ES3_N6thrust23THRUST_200600_302600_NS6detail15normal_iteratorINS9_10device_ptrIiEEEENSB_INSC_IjEEEESE_fNS9_4plusIvEENS9_8equal_toIvEEfEE10hipError_tPvRmT2_T3_T4_T5_mT6_T7_P12ihipStream_tbENKUlT_T0_E_clISt17integral_constantIbLb0EES11_EEDaSW_SX_EUlSW_E_NS1_11comp_targetILNS1_3genE2ELNS1_11target_archE906ELNS1_3gpuE6ELNS1_3repE0EEENS1_30default_config_static_selectorELNS0_4arch9wavefront6targetE0EEEvT1_.numbered_sgpr, 0
	.set _ZN7rocprim17ROCPRIM_400000_NS6detail17trampoline_kernelINS0_14default_configENS1_27scan_by_key_config_selectorIifEEZZNS1_16scan_by_key_implILNS1_25lookback_scan_determinismE0ELb1ES3_N6thrust23THRUST_200600_302600_NS6detail15normal_iteratorINS9_10device_ptrIiEEEENSB_INSC_IjEEEESE_fNS9_4plusIvEENS9_8equal_toIvEEfEE10hipError_tPvRmT2_T3_T4_T5_mT6_T7_P12ihipStream_tbENKUlT_T0_E_clISt17integral_constantIbLb0EES11_EEDaSW_SX_EUlSW_E_NS1_11comp_targetILNS1_3genE2ELNS1_11target_archE906ELNS1_3gpuE6ELNS1_3repE0EEENS1_30default_config_static_selectorELNS0_4arch9wavefront6targetE0EEEvT1_.num_named_barrier, 0
	.set _ZN7rocprim17ROCPRIM_400000_NS6detail17trampoline_kernelINS0_14default_configENS1_27scan_by_key_config_selectorIifEEZZNS1_16scan_by_key_implILNS1_25lookback_scan_determinismE0ELb1ES3_N6thrust23THRUST_200600_302600_NS6detail15normal_iteratorINS9_10device_ptrIiEEEENSB_INSC_IjEEEESE_fNS9_4plusIvEENS9_8equal_toIvEEfEE10hipError_tPvRmT2_T3_T4_T5_mT6_T7_P12ihipStream_tbENKUlT_T0_E_clISt17integral_constantIbLb0EES11_EEDaSW_SX_EUlSW_E_NS1_11comp_targetILNS1_3genE2ELNS1_11target_archE906ELNS1_3gpuE6ELNS1_3repE0EEENS1_30default_config_static_selectorELNS0_4arch9wavefront6targetE0EEEvT1_.private_seg_size, 0
	.set _ZN7rocprim17ROCPRIM_400000_NS6detail17trampoline_kernelINS0_14default_configENS1_27scan_by_key_config_selectorIifEEZZNS1_16scan_by_key_implILNS1_25lookback_scan_determinismE0ELb1ES3_N6thrust23THRUST_200600_302600_NS6detail15normal_iteratorINS9_10device_ptrIiEEEENSB_INSC_IjEEEESE_fNS9_4plusIvEENS9_8equal_toIvEEfEE10hipError_tPvRmT2_T3_T4_T5_mT6_T7_P12ihipStream_tbENKUlT_T0_E_clISt17integral_constantIbLb0EES11_EEDaSW_SX_EUlSW_E_NS1_11comp_targetILNS1_3genE2ELNS1_11target_archE906ELNS1_3gpuE6ELNS1_3repE0EEENS1_30default_config_static_selectorELNS0_4arch9wavefront6targetE0EEEvT1_.uses_vcc, 0
	.set _ZN7rocprim17ROCPRIM_400000_NS6detail17trampoline_kernelINS0_14default_configENS1_27scan_by_key_config_selectorIifEEZZNS1_16scan_by_key_implILNS1_25lookback_scan_determinismE0ELb1ES3_N6thrust23THRUST_200600_302600_NS6detail15normal_iteratorINS9_10device_ptrIiEEEENSB_INSC_IjEEEESE_fNS9_4plusIvEENS9_8equal_toIvEEfEE10hipError_tPvRmT2_T3_T4_T5_mT6_T7_P12ihipStream_tbENKUlT_T0_E_clISt17integral_constantIbLb0EES11_EEDaSW_SX_EUlSW_E_NS1_11comp_targetILNS1_3genE2ELNS1_11target_archE906ELNS1_3gpuE6ELNS1_3repE0EEENS1_30default_config_static_selectorELNS0_4arch9wavefront6targetE0EEEvT1_.uses_flat_scratch, 0
	.set _ZN7rocprim17ROCPRIM_400000_NS6detail17trampoline_kernelINS0_14default_configENS1_27scan_by_key_config_selectorIifEEZZNS1_16scan_by_key_implILNS1_25lookback_scan_determinismE0ELb1ES3_N6thrust23THRUST_200600_302600_NS6detail15normal_iteratorINS9_10device_ptrIiEEEENSB_INSC_IjEEEESE_fNS9_4plusIvEENS9_8equal_toIvEEfEE10hipError_tPvRmT2_T3_T4_T5_mT6_T7_P12ihipStream_tbENKUlT_T0_E_clISt17integral_constantIbLb0EES11_EEDaSW_SX_EUlSW_E_NS1_11comp_targetILNS1_3genE2ELNS1_11target_archE906ELNS1_3gpuE6ELNS1_3repE0EEENS1_30default_config_static_selectorELNS0_4arch9wavefront6targetE0EEEvT1_.has_dyn_sized_stack, 0
	.set _ZN7rocprim17ROCPRIM_400000_NS6detail17trampoline_kernelINS0_14default_configENS1_27scan_by_key_config_selectorIifEEZZNS1_16scan_by_key_implILNS1_25lookback_scan_determinismE0ELb1ES3_N6thrust23THRUST_200600_302600_NS6detail15normal_iteratorINS9_10device_ptrIiEEEENSB_INSC_IjEEEESE_fNS9_4plusIvEENS9_8equal_toIvEEfEE10hipError_tPvRmT2_T3_T4_T5_mT6_T7_P12ihipStream_tbENKUlT_T0_E_clISt17integral_constantIbLb0EES11_EEDaSW_SX_EUlSW_E_NS1_11comp_targetILNS1_3genE2ELNS1_11target_archE906ELNS1_3gpuE6ELNS1_3repE0EEENS1_30default_config_static_selectorELNS0_4arch9wavefront6targetE0EEEvT1_.has_recursion, 0
	.set _ZN7rocprim17ROCPRIM_400000_NS6detail17trampoline_kernelINS0_14default_configENS1_27scan_by_key_config_selectorIifEEZZNS1_16scan_by_key_implILNS1_25lookback_scan_determinismE0ELb1ES3_N6thrust23THRUST_200600_302600_NS6detail15normal_iteratorINS9_10device_ptrIiEEEENSB_INSC_IjEEEESE_fNS9_4plusIvEENS9_8equal_toIvEEfEE10hipError_tPvRmT2_T3_T4_T5_mT6_T7_P12ihipStream_tbENKUlT_T0_E_clISt17integral_constantIbLb0EES11_EEDaSW_SX_EUlSW_E_NS1_11comp_targetILNS1_3genE2ELNS1_11target_archE906ELNS1_3gpuE6ELNS1_3repE0EEENS1_30default_config_static_selectorELNS0_4arch9wavefront6targetE0EEEvT1_.has_indirect_call, 0
	.section	.AMDGPU.csdata,"",@progbits
; Kernel info:
; codeLenInByte = 0
; TotalNumSgprs: 0
; NumVgprs: 0
; ScratchSize: 0
; MemoryBound: 0
; FloatMode: 240
; IeeeMode: 1
; LDSByteSize: 0 bytes/workgroup (compile time only)
; SGPRBlocks: 0
; VGPRBlocks: 0
; NumSGPRsForWavesPerEU: 1
; NumVGPRsForWavesPerEU: 1
; NamedBarCnt: 0
; Occupancy: 16
; WaveLimiterHint : 0
; COMPUTE_PGM_RSRC2:SCRATCH_EN: 0
; COMPUTE_PGM_RSRC2:USER_SGPR: 2
; COMPUTE_PGM_RSRC2:TRAP_HANDLER: 0
; COMPUTE_PGM_RSRC2:TGID_X_EN: 1
; COMPUTE_PGM_RSRC2:TGID_Y_EN: 0
; COMPUTE_PGM_RSRC2:TGID_Z_EN: 0
; COMPUTE_PGM_RSRC2:TIDIG_COMP_CNT: 0
	.section	.text._ZN7rocprim17ROCPRIM_400000_NS6detail17trampoline_kernelINS0_14default_configENS1_27scan_by_key_config_selectorIifEEZZNS1_16scan_by_key_implILNS1_25lookback_scan_determinismE0ELb1ES3_N6thrust23THRUST_200600_302600_NS6detail15normal_iteratorINS9_10device_ptrIiEEEENSB_INSC_IjEEEESE_fNS9_4plusIvEENS9_8equal_toIvEEfEE10hipError_tPvRmT2_T3_T4_T5_mT6_T7_P12ihipStream_tbENKUlT_T0_E_clISt17integral_constantIbLb0EES11_EEDaSW_SX_EUlSW_E_NS1_11comp_targetILNS1_3genE10ELNS1_11target_archE1200ELNS1_3gpuE4ELNS1_3repE0EEENS1_30default_config_static_selectorELNS0_4arch9wavefront6targetE0EEEvT1_,"axG",@progbits,_ZN7rocprim17ROCPRIM_400000_NS6detail17trampoline_kernelINS0_14default_configENS1_27scan_by_key_config_selectorIifEEZZNS1_16scan_by_key_implILNS1_25lookback_scan_determinismE0ELb1ES3_N6thrust23THRUST_200600_302600_NS6detail15normal_iteratorINS9_10device_ptrIiEEEENSB_INSC_IjEEEESE_fNS9_4plusIvEENS9_8equal_toIvEEfEE10hipError_tPvRmT2_T3_T4_T5_mT6_T7_P12ihipStream_tbENKUlT_T0_E_clISt17integral_constantIbLb0EES11_EEDaSW_SX_EUlSW_E_NS1_11comp_targetILNS1_3genE10ELNS1_11target_archE1200ELNS1_3gpuE4ELNS1_3repE0EEENS1_30default_config_static_selectorELNS0_4arch9wavefront6targetE0EEEvT1_,comdat
	.protected	_ZN7rocprim17ROCPRIM_400000_NS6detail17trampoline_kernelINS0_14default_configENS1_27scan_by_key_config_selectorIifEEZZNS1_16scan_by_key_implILNS1_25lookback_scan_determinismE0ELb1ES3_N6thrust23THRUST_200600_302600_NS6detail15normal_iteratorINS9_10device_ptrIiEEEENSB_INSC_IjEEEESE_fNS9_4plusIvEENS9_8equal_toIvEEfEE10hipError_tPvRmT2_T3_T4_T5_mT6_T7_P12ihipStream_tbENKUlT_T0_E_clISt17integral_constantIbLb0EES11_EEDaSW_SX_EUlSW_E_NS1_11comp_targetILNS1_3genE10ELNS1_11target_archE1200ELNS1_3gpuE4ELNS1_3repE0EEENS1_30default_config_static_selectorELNS0_4arch9wavefront6targetE0EEEvT1_ ; -- Begin function _ZN7rocprim17ROCPRIM_400000_NS6detail17trampoline_kernelINS0_14default_configENS1_27scan_by_key_config_selectorIifEEZZNS1_16scan_by_key_implILNS1_25lookback_scan_determinismE0ELb1ES3_N6thrust23THRUST_200600_302600_NS6detail15normal_iteratorINS9_10device_ptrIiEEEENSB_INSC_IjEEEESE_fNS9_4plusIvEENS9_8equal_toIvEEfEE10hipError_tPvRmT2_T3_T4_T5_mT6_T7_P12ihipStream_tbENKUlT_T0_E_clISt17integral_constantIbLb0EES11_EEDaSW_SX_EUlSW_E_NS1_11comp_targetILNS1_3genE10ELNS1_11target_archE1200ELNS1_3gpuE4ELNS1_3repE0EEENS1_30default_config_static_selectorELNS0_4arch9wavefront6targetE0EEEvT1_
	.globl	_ZN7rocprim17ROCPRIM_400000_NS6detail17trampoline_kernelINS0_14default_configENS1_27scan_by_key_config_selectorIifEEZZNS1_16scan_by_key_implILNS1_25lookback_scan_determinismE0ELb1ES3_N6thrust23THRUST_200600_302600_NS6detail15normal_iteratorINS9_10device_ptrIiEEEENSB_INSC_IjEEEESE_fNS9_4plusIvEENS9_8equal_toIvEEfEE10hipError_tPvRmT2_T3_T4_T5_mT6_T7_P12ihipStream_tbENKUlT_T0_E_clISt17integral_constantIbLb0EES11_EEDaSW_SX_EUlSW_E_NS1_11comp_targetILNS1_3genE10ELNS1_11target_archE1200ELNS1_3gpuE4ELNS1_3repE0EEENS1_30default_config_static_selectorELNS0_4arch9wavefront6targetE0EEEvT1_
	.p2align	8
	.type	_ZN7rocprim17ROCPRIM_400000_NS6detail17trampoline_kernelINS0_14default_configENS1_27scan_by_key_config_selectorIifEEZZNS1_16scan_by_key_implILNS1_25lookback_scan_determinismE0ELb1ES3_N6thrust23THRUST_200600_302600_NS6detail15normal_iteratorINS9_10device_ptrIiEEEENSB_INSC_IjEEEESE_fNS9_4plusIvEENS9_8equal_toIvEEfEE10hipError_tPvRmT2_T3_T4_T5_mT6_T7_P12ihipStream_tbENKUlT_T0_E_clISt17integral_constantIbLb0EES11_EEDaSW_SX_EUlSW_E_NS1_11comp_targetILNS1_3genE10ELNS1_11target_archE1200ELNS1_3gpuE4ELNS1_3repE0EEENS1_30default_config_static_selectorELNS0_4arch9wavefront6targetE0EEEvT1_,@function
_ZN7rocprim17ROCPRIM_400000_NS6detail17trampoline_kernelINS0_14default_configENS1_27scan_by_key_config_selectorIifEEZZNS1_16scan_by_key_implILNS1_25lookback_scan_determinismE0ELb1ES3_N6thrust23THRUST_200600_302600_NS6detail15normal_iteratorINS9_10device_ptrIiEEEENSB_INSC_IjEEEESE_fNS9_4plusIvEENS9_8equal_toIvEEfEE10hipError_tPvRmT2_T3_T4_T5_mT6_T7_P12ihipStream_tbENKUlT_T0_E_clISt17integral_constantIbLb0EES11_EEDaSW_SX_EUlSW_E_NS1_11comp_targetILNS1_3genE10ELNS1_11target_archE1200ELNS1_3gpuE4ELNS1_3repE0EEENS1_30default_config_static_selectorELNS0_4arch9wavefront6targetE0EEEvT1_: ; @_ZN7rocprim17ROCPRIM_400000_NS6detail17trampoline_kernelINS0_14default_configENS1_27scan_by_key_config_selectorIifEEZZNS1_16scan_by_key_implILNS1_25lookback_scan_determinismE0ELb1ES3_N6thrust23THRUST_200600_302600_NS6detail15normal_iteratorINS9_10device_ptrIiEEEENSB_INSC_IjEEEESE_fNS9_4plusIvEENS9_8equal_toIvEEfEE10hipError_tPvRmT2_T3_T4_T5_mT6_T7_P12ihipStream_tbENKUlT_T0_E_clISt17integral_constantIbLb0EES11_EEDaSW_SX_EUlSW_E_NS1_11comp_targetILNS1_3genE10ELNS1_11target_archE1200ELNS1_3gpuE4ELNS1_3repE0EEENS1_30default_config_static_selectorELNS0_4arch9wavefront6targetE0EEEvT1_
; %bb.0:
	.section	.rodata,"a",@progbits
	.p2align	6, 0x0
	.amdhsa_kernel _ZN7rocprim17ROCPRIM_400000_NS6detail17trampoline_kernelINS0_14default_configENS1_27scan_by_key_config_selectorIifEEZZNS1_16scan_by_key_implILNS1_25lookback_scan_determinismE0ELb1ES3_N6thrust23THRUST_200600_302600_NS6detail15normal_iteratorINS9_10device_ptrIiEEEENSB_INSC_IjEEEESE_fNS9_4plusIvEENS9_8equal_toIvEEfEE10hipError_tPvRmT2_T3_T4_T5_mT6_T7_P12ihipStream_tbENKUlT_T0_E_clISt17integral_constantIbLb0EES11_EEDaSW_SX_EUlSW_E_NS1_11comp_targetILNS1_3genE10ELNS1_11target_archE1200ELNS1_3gpuE4ELNS1_3repE0EEENS1_30default_config_static_selectorELNS0_4arch9wavefront6targetE0EEEvT1_
		.amdhsa_group_segment_fixed_size 0
		.amdhsa_private_segment_fixed_size 0
		.amdhsa_kernarg_size 112
		.amdhsa_user_sgpr_count 2
		.amdhsa_user_sgpr_dispatch_ptr 0
		.amdhsa_user_sgpr_queue_ptr 0
		.amdhsa_user_sgpr_kernarg_segment_ptr 1
		.amdhsa_user_sgpr_dispatch_id 0
		.amdhsa_user_sgpr_kernarg_preload_length 0
		.amdhsa_user_sgpr_kernarg_preload_offset 0
		.amdhsa_user_sgpr_private_segment_size 0
		.amdhsa_wavefront_size32 1
		.amdhsa_uses_dynamic_stack 0
		.amdhsa_enable_private_segment 0
		.amdhsa_system_sgpr_workgroup_id_x 1
		.amdhsa_system_sgpr_workgroup_id_y 0
		.amdhsa_system_sgpr_workgroup_id_z 0
		.amdhsa_system_sgpr_workgroup_info 0
		.amdhsa_system_vgpr_workitem_id 0
		.amdhsa_next_free_vgpr 1
		.amdhsa_next_free_sgpr 1
		.amdhsa_named_barrier_count 0
		.amdhsa_reserve_vcc 0
		.amdhsa_float_round_mode_32 0
		.amdhsa_float_round_mode_16_64 0
		.amdhsa_float_denorm_mode_32 3
		.amdhsa_float_denorm_mode_16_64 3
		.amdhsa_fp16_overflow 0
		.amdhsa_memory_ordered 1
		.amdhsa_forward_progress 1
		.amdhsa_inst_pref_size 0
		.amdhsa_round_robin_scheduling 0
		.amdhsa_exception_fp_ieee_invalid_op 0
		.amdhsa_exception_fp_denorm_src 0
		.amdhsa_exception_fp_ieee_div_zero 0
		.amdhsa_exception_fp_ieee_overflow 0
		.amdhsa_exception_fp_ieee_underflow 0
		.amdhsa_exception_fp_ieee_inexact 0
		.amdhsa_exception_int_div_zero 0
	.end_amdhsa_kernel
	.section	.text._ZN7rocprim17ROCPRIM_400000_NS6detail17trampoline_kernelINS0_14default_configENS1_27scan_by_key_config_selectorIifEEZZNS1_16scan_by_key_implILNS1_25lookback_scan_determinismE0ELb1ES3_N6thrust23THRUST_200600_302600_NS6detail15normal_iteratorINS9_10device_ptrIiEEEENSB_INSC_IjEEEESE_fNS9_4plusIvEENS9_8equal_toIvEEfEE10hipError_tPvRmT2_T3_T4_T5_mT6_T7_P12ihipStream_tbENKUlT_T0_E_clISt17integral_constantIbLb0EES11_EEDaSW_SX_EUlSW_E_NS1_11comp_targetILNS1_3genE10ELNS1_11target_archE1200ELNS1_3gpuE4ELNS1_3repE0EEENS1_30default_config_static_selectorELNS0_4arch9wavefront6targetE0EEEvT1_,"axG",@progbits,_ZN7rocprim17ROCPRIM_400000_NS6detail17trampoline_kernelINS0_14default_configENS1_27scan_by_key_config_selectorIifEEZZNS1_16scan_by_key_implILNS1_25lookback_scan_determinismE0ELb1ES3_N6thrust23THRUST_200600_302600_NS6detail15normal_iteratorINS9_10device_ptrIiEEEENSB_INSC_IjEEEESE_fNS9_4plusIvEENS9_8equal_toIvEEfEE10hipError_tPvRmT2_T3_T4_T5_mT6_T7_P12ihipStream_tbENKUlT_T0_E_clISt17integral_constantIbLb0EES11_EEDaSW_SX_EUlSW_E_NS1_11comp_targetILNS1_3genE10ELNS1_11target_archE1200ELNS1_3gpuE4ELNS1_3repE0EEENS1_30default_config_static_selectorELNS0_4arch9wavefront6targetE0EEEvT1_,comdat
.Lfunc_end1794:
	.size	_ZN7rocprim17ROCPRIM_400000_NS6detail17trampoline_kernelINS0_14default_configENS1_27scan_by_key_config_selectorIifEEZZNS1_16scan_by_key_implILNS1_25lookback_scan_determinismE0ELb1ES3_N6thrust23THRUST_200600_302600_NS6detail15normal_iteratorINS9_10device_ptrIiEEEENSB_INSC_IjEEEESE_fNS9_4plusIvEENS9_8equal_toIvEEfEE10hipError_tPvRmT2_T3_T4_T5_mT6_T7_P12ihipStream_tbENKUlT_T0_E_clISt17integral_constantIbLb0EES11_EEDaSW_SX_EUlSW_E_NS1_11comp_targetILNS1_3genE10ELNS1_11target_archE1200ELNS1_3gpuE4ELNS1_3repE0EEENS1_30default_config_static_selectorELNS0_4arch9wavefront6targetE0EEEvT1_, .Lfunc_end1794-_ZN7rocprim17ROCPRIM_400000_NS6detail17trampoline_kernelINS0_14default_configENS1_27scan_by_key_config_selectorIifEEZZNS1_16scan_by_key_implILNS1_25lookback_scan_determinismE0ELb1ES3_N6thrust23THRUST_200600_302600_NS6detail15normal_iteratorINS9_10device_ptrIiEEEENSB_INSC_IjEEEESE_fNS9_4plusIvEENS9_8equal_toIvEEfEE10hipError_tPvRmT2_T3_T4_T5_mT6_T7_P12ihipStream_tbENKUlT_T0_E_clISt17integral_constantIbLb0EES11_EEDaSW_SX_EUlSW_E_NS1_11comp_targetILNS1_3genE10ELNS1_11target_archE1200ELNS1_3gpuE4ELNS1_3repE0EEENS1_30default_config_static_selectorELNS0_4arch9wavefront6targetE0EEEvT1_
                                        ; -- End function
	.set _ZN7rocprim17ROCPRIM_400000_NS6detail17trampoline_kernelINS0_14default_configENS1_27scan_by_key_config_selectorIifEEZZNS1_16scan_by_key_implILNS1_25lookback_scan_determinismE0ELb1ES3_N6thrust23THRUST_200600_302600_NS6detail15normal_iteratorINS9_10device_ptrIiEEEENSB_INSC_IjEEEESE_fNS9_4plusIvEENS9_8equal_toIvEEfEE10hipError_tPvRmT2_T3_T4_T5_mT6_T7_P12ihipStream_tbENKUlT_T0_E_clISt17integral_constantIbLb0EES11_EEDaSW_SX_EUlSW_E_NS1_11comp_targetILNS1_3genE10ELNS1_11target_archE1200ELNS1_3gpuE4ELNS1_3repE0EEENS1_30default_config_static_selectorELNS0_4arch9wavefront6targetE0EEEvT1_.num_vgpr, 0
	.set _ZN7rocprim17ROCPRIM_400000_NS6detail17trampoline_kernelINS0_14default_configENS1_27scan_by_key_config_selectorIifEEZZNS1_16scan_by_key_implILNS1_25lookback_scan_determinismE0ELb1ES3_N6thrust23THRUST_200600_302600_NS6detail15normal_iteratorINS9_10device_ptrIiEEEENSB_INSC_IjEEEESE_fNS9_4plusIvEENS9_8equal_toIvEEfEE10hipError_tPvRmT2_T3_T4_T5_mT6_T7_P12ihipStream_tbENKUlT_T0_E_clISt17integral_constantIbLb0EES11_EEDaSW_SX_EUlSW_E_NS1_11comp_targetILNS1_3genE10ELNS1_11target_archE1200ELNS1_3gpuE4ELNS1_3repE0EEENS1_30default_config_static_selectorELNS0_4arch9wavefront6targetE0EEEvT1_.num_agpr, 0
	.set _ZN7rocprim17ROCPRIM_400000_NS6detail17trampoline_kernelINS0_14default_configENS1_27scan_by_key_config_selectorIifEEZZNS1_16scan_by_key_implILNS1_25lookback_scan_determinismE0ELb1ES3_N6thrust23THRUST_200600_302600_NS6detail15normal_iteratorINS9_10device_ptrIiEEEENSB_INSC_IjEEEESE_fNS9_4plusIvEENS9_8equal_toIvEEfEE10hipError_tPvRmT2_T3_T4_T5_mT6_T7_P12ihipStream_tbENKUlT_T0_E_clISt17integral_constantIbLb0EES11_EEDaSW_SX_EUlSW_E_NS1_11comp_targetILNS1_3genE10ELNS1_11target_archE1200ELNS1_3gpuE4ELNS1_3repE0EEENS1_30default_config_static_selectorELNS0_4arch9wavefront6targetE0EEEvT1_.numbered_sgpr, 0
	.set _ZN7rocprim17ROCPRIM_400000_NS6detail17trampoline_kernelINS0_14default_configENS1_27scan_by_key_config_selectorIifEEZZNS1_16scan_by_key_implILNS1_25lookback_scan_determinismE0ELb1ES3_N6thrust23THRUST_200600_302600_NS6detail15normal_iteratorINS9_10device_ptrIiEEEENSB_INSC_IjEEEESE_fNS9_4plusIvEENS9_8equal_toIvEEfEE10hipError_tPvRmT2_T3_T4_T5_mT6_T7_P12ihipStream_tbENKUlT_T0_E_clISt17integral_constantIbLb0EES11_EEDaSW_SX_EUlSW_E_NS1_11comp_targetILNS1_3genE10ELNS1_11target_archE1200ELNS1_3gpuE4ELNS1_3repE0EEENS1_30default_config_static_selectorELNS0_4arch9wavefront6targetE0EEEvT1_.num_named_barrier, 0
	.set _ZN7rocprim17ROCPRIM_400000_NS6detail17trampoline_kernelINS0_14default_configENS1_27scan_by_key_config_selectorIifEEZZNS1_16scan_by_key_implILNS1_25lookback_scan_determinismE0ELb1ES3_N6thrust23THRUST_200600_302600_NS6detail15normal_iteratorINS9_10device_ptrIiEEEENSB_INSC_IjEEEESE_fNS9_4plusIvEENS9_8equal_toIvEEfEE10hipError_tPvRmT2_T3_T4_T5_mT6_T7_P12ihipStream_tbENKUlT_T0_E_clISt17integral_constantIbLb0EES11_EEDaSW_SX_EUlSW_E_NS1_11comp_targetILNS1_3genE10ELNS1_11target_archE1200ELNS1_3gpuE4ELNS1_3repE0EEENS1_30default_config_static_selectorELNS0_4arch9wavefront6targetE0EEEvT1_.private_seg_size, 0
	.set _ZN7rocprim17ROCPRIM_400000_NS6detail17trampoline_kernelINS0_14default_configENS1_27scan_by_key_config_selectorIifEEZZNS1_16scan_by_key_implILNS1_25lookback_scan_determinismE0ELb1ES3_N6thrust23THRUST_200600_302600_NS6detail15normal_iteratorINS9_10device_ptrIiEEEENSB_INSC_IjEEEESE_fNS9_4plusIvEENS9_8equal_toIvEEfEE10hipError_tPvRmT2_T3_T4_T5_mT6_T7_P12ihipStream_tbENKUlT_T0_E_clISt17integral_constantIbLb0EES11_EEDaSW_SX_EUlSW_E_NS1_11comp_targetILNS1_3genE10ELNS1_11target_archE1200ELNS1_3gpuE4ELNS1_3repE0EEENS1_30default_config_static_selectorELNS0_4arch9wavefront6targetE0EEEvT1_.uses_vcc, 0
	.set _ZN7rocprim17ROCPRIM_400000_NS6detail17trampoline_kernelINS0_14default_configENS1_27scan_by_key_config_selectorIifEEZZNS1_16scan_by_key_implILNS1_25lookback_scan_determinismE0ELb1ES3_N6thrust23THRUST_200600_302600_NS6detail15normal_iteratorINS9_10device_ptrIiEEEENSB_INSC_IjEEEESE_fNS9_4plusIvEENS9_8equal_toIvEEfEE10hipError_tPvRmT2_T3_T4_T5_mT6_T7_P12ihipStream_tbENKUlT_T0_E_clISt17integral_constantIbLb0EES11_EEDaSW_SX_EUlSW_E_NS1_11comp_targetILNS1_3genE10ELNS1_11target_archE1200ELNS1_3gpuE4ELNS1_3repE0EEENS1_30default_config_static_selectorELNS0_4arch9wavefront6targetE0EEEvT1_.uses_flat_scratch, 0
	.set _ZN7rocprim17ROCPRIM_400000_NS6detail17trampoline_kernelINS0_14default_configENS1_27scan_by_key_config_selectorIifEEZZNS1_16scan_by_key_implILNS1_25lookback_scan_determinismE0ELb1ES3_N6thrust23THRUST_200600_302600_NS6detail15normal_iteratorINS9_10device_ptrIiEEEENSB_INSC_IjEEEESE_fNS9_4plusIvEENS9_8equal_toIvEEfEE10hipError_tPvRmT2_T3_T4_T5_mT6_T7_P12ihipStream_tbENKUlT_T0_E_clISt17integral_constantIbLb0EES11_EEDaSW_SX_EUlSW_E_NS1_11comp_targetILNS1_3genE10ELNS1_11target_archE1200ELNS1_3gpuE4ELNS1_3repE0EEENS1_30default_config_static_selectorELNS0_4arch9wavefront6targetE0EEEvT1_.has_dyn_sized_stack, 0
	.set _ZN7rocprim17ROCPRIM_400000_NS6detail17trampoline_kernelINS0_14default_configENS1_27scan_by_key_config_selectorIifEEZZNS1_16scan_by_key_implILNS1_25lookback_scan_determinismE0ELb1ES3_N6thrust23THRUST_200600_302600_NS6detail15normal_iteratorINS9_10device_ptrIiEEEENSB_INSC_IjEEEESE_fNS9_4plusIvEENS9_8equal_toIvEEfEE10hipError_tPvRmT2_T3_T4_T5_mT6_T7_P12ihipStream_tbENKUlT_T0_E_clISt17integral_constantIbLb0EES11_EEDaSW_SX_EUlSW_E_NS1_11comp_targetILNS1_3genE10ELNS1_11target_archE1200ELNS1_3gpuE4ELNS1_3repE0EEENS1_30default_config_static_selectorELNS0_4arch9wavefront6targetE0EEEvT1_.has_recursion, 0
	.set _ZN7rocprim17ROCPRIM_400000_NS6detail17trampoline_kernelINS0_14default_configENS1_27scan_by_key_config_selectorIifEEZZNS1_16scan_by_key_implILNS1_25lookback_scan_determinismE0ELb1ES3_N6thrust23THRUST_200600_302600_NS6detail15normal_iteratorINS9_10device_ptrIiEEEENSB_INSC_IjEEEESE_fNS9_4plusIvEENS9_8equal_toIvEEfEE10hipError_tPvRmT2_T3_T4_T5_mT6_T7_P12ihipStream_tbENKUlT_T0_E_clISt17integral_constantIbLb0EES11_EEDaSW_SX_EUlSW_E_NS1_11comp_targetILNS1_3genE10ELNS1_11target_archE1200ELNS1_3gpuE4ELNS1_3repE0EEENS1_30default_config_static_selectorELNS0_4arch9wavefront6targetE0EEEvT1_.has_indirect_call, 0
	.section	.AMDGPU.csdata,"",@progbits
; Kernel info:
; codeLenInByte = 0
; TotalNumSgprs: 0
; NumVgprs: 0
; ScratchSize: 0
; MemoryBound: 0
; FloatMode: 240
; IeeeMode: 1
; LDSByteSize: 0 bytes/workgroup (compile time only)
; SGPRBlocks: 0
; VGPRBlocks: 0
; NumSGPRsForWavesPerEU: 1
; NumVGPRsForWavesPerEU: 1
; NamedBarCnt: 0
; Occupancy: 16
; WaveLimiterHint : 0
; COMPUTE_PGM_RSRC2:SCRATCH_EN: 0
; COMPUTE_PGM_RSRC2:USER_SGPR: 2
; COMPUTE_PGM_RSRC2:TRAP_HANDLER: 0
; COMPUTE_PGM_RSRC2:TGID_X_EN: 1
; COMPUTE_PGM_RSRC2:TGID_Y_EN: 0
; COMPUTE_PGM_RSRC2:TGID_Z_EN: 0
; COMPUTE_PGM_RSRC2:TIDIG_COMP_CNT: 0
	.section	.text._ZN7rocprim17ROCPRIM_400000_NS6detail17trampoline_kernelINS0_14default_configENS1_27scan_by_key_config_selectorIifEEZZNS1_16scan_by_key_implILNS1_25lookback_scan_determinismE0ELb1ES3_N6thrust23THRUST_200600_302600_NS6detail15normal_iteratorINS9_10device_ptrIiEEEENSB_INSC_IjEEEESE_fNS9_4plusIvEENS9_8equal_toIvEEfEE10hipError_tPvRmT2_T3_T4_T5_mT6_T7_P12ihipStream_tbENKUlT_T0_E_clISt17integral_constantIbLb0EES11_EEDaSW_SX_EUlSW_E_NS1_11comp_targetILNS1_3genE9ELNS1_11target_archE1100ELNS1_3gpuE3ELNS1_3repE0EEENS1_30default_config_static_selectorELNS0_4arch9wavefront6targetE0EEEvT1_,"axG",@progbits,_ZN7rocprim17ROCPRIM_400000_NS6detail17trampoline_kernelINS0_14default_configENS1_27scan_by_key_config_selectorIifEEZZNS1_16scan_by_key_implILNS1_25lookback_scan_determinismE0ELb1ES3_N6thrust23THRUST_200600_302600_NS6detail15normal_iteratorINS9_10device_ptrIiEEEENSB_INSC_IjEEEESE_fNS9_4plusIvEENS9_8equal_toIvEEfEE10hipError_tPvRmT2_T3_T4_T5_mT6_T7_P12ihipStream_tbENKUlT_T0_E_clISt17integral_constantIbLb0EES11_EEDaSW_SX_EUlSW_E_NS1_11comp_targetILNS1_3genE9ELNS1_11target_archE1100ELNS1_3gpuE3ELNS1_3repE0EEENS1_30default_config_static_selectorELNS0_4arch9wavefront6targetE0EEEvT1_,comdat
	.protected	_ZN7rocprim17ROCPRIM_400000_NS6detail17trampoline_kernelINS0_14default_configENS1_27scan_by_key_config_selectorIifEEZZNS1_16scan_by_key_implILNS1_25lookback_scan_determinismE0ELb1ES3_N6thrust23THRUST_200600_302600_NS6detail15normal_iteratorINS9_10device_ptrIiEEEENSB_INSC_IjEEEESE_fNS9_4plusIvEENS9_8equal_toIvEEfEE10hipError_tPvRmT2_T3_T4_T5_mT6_T7_P12ihipStream_tbENKUlT_T0_E_clISt17integral_constantIbLb0EES11_EEDaSW_SX_EUlSW_E_NS1_11comp_targetILNS1_3genE9ELNS1_11target_archE1100ELNS1_3gpuE3ELNS1_3repE0EEENS1_30default_config_static_selectorELNS0_4arch9wavefront6targetE0EEEvT1_ ; -- Begin function _ZN7rocprim17ROCPRIM_400000_NS6detail17trampoline_kernelINS0_14default_configENS1_27scan_by_key_config_selectorIifEEZZNS1_16scan_by_key_implILNS1_25lookback_scan_determinismE0ELb1ES3_N6thrust23THRUST_200600_302600_NS6detail15normal_iteratorINS9_10device_ptrIiEEEENSB_INSC_IjEEEESE_fNS9_4plusIvEENS9_8equal_toIvEEfEE10hipError_tPvRmT2_T3_T4_T5_mT6_T7_P12ihipStream_tbENKUlT_T0_E_clISt17integral_constantIbLb0EES11_EEDaSW_SX_EUlSW_E_NS1_11comp_targetILNS1_3genE9ELNS1_11target_archE1100ELNS1_3gpuE3ELNS1_3repE0EEENS1_30default_config_static_selectorELNS0_4arch9wavefront6targetE0EEEvT1_
	.globl	_ZN7rocprim17ROCPRIM_400000_NS6detail17trampoline_kernelINS0_14default_configENS1_27scan_by_key_config_selectorIifEEZZNS1_16scan_by_key_implILNS1_25lookback_scan_determinismE0ELb1ES3_N6thrust23THRUST_200600_302600_NS6detail15normal_iteratorINS9_10device_ptrIiEEEENSB_INSC_IjEEEESE_fNS9_4plusIvEENS9_8equal_toIvEEfEE10hipError_tPvRmT2_T3_T4_T5_mT6_T7_P12ihipStream_tbENKUlT_T0_E_clISt17integral_constantIbLb0EES11_EEDaSW_SX_EUlSW_E_NS1_11comp_targetILNS1_3genE9ELNS1_11target_archE1100ELNS1_3gpuE3ELNS1_3repE0EEENS1_30default_config_static_selectorELNS0_4arch9wavefront6targetE0EEEvT1_
	.p2align	8
	.type	_ZN7rocprim17ROCPRIM_400000_NS6detail17trampoline_kernelINS0_14default_configENS1_27scan_by_key_config_selectorIifEEZZNS1_16scan_by_key_implILNS1_25lookback_scan_determinismE0ELb1ES3_N6thrust23THRUST_200600_302600_NS6detail15normal_iteratorINS9_10device_ptrIiEEEENSB_INSC_IjEEEESE_fNS9_4plusIvEENS9_8equal_toIvEEfEE10hipError_tPvRmT2_T3_T4_T5_mT6_T7_P12ihipStream_tbENKUlT_T0_E_clISt17integral_constantIbLb0EES11_EEDaSW_SX_EUlSW_E_NS1_11comp_targetILNS1_3genE9ELNS1_11target_archE1100ELNS1_3gpuE3ELNS1_3repE0EEENS1_30default_config_static_selectorELNS0_4arch9wavefront6targetE0EEEvT1_,@function
_ZN7rocprim17ROCPRIM_400000_NS6detail17trampoline_kernelINS0_14default_configENS1_27scan_by_key_config_selectorIifEEZZNS1_16scan_by_key_implILNS1_25lookback_scan_determinismE0ELb1ES3_N6thrust23THRUST_200600_302600_NS6detail15normal_iteratorINS9_10device_ptrIiEEEENSB_INSC_IjEEEESE_fNS9_4plusIvEENS9_8equal_toIvEEfEE10hipError_tPvRmT2_T3_T4_T5_mT6_T7_P12ihipStream_tbENKUlT_T0_E_clISt17integral_constantIbLb0EES11_EEDaSW_SX_EUlSW_E_NS1_11comp_targetILNS1_3genE9ELNS1_11target_archE1100ELNS1_3gpuE3ELNS1_3repE0EEENS1_30default_config_static_selectorELNS0_4arch9wavefront6targetE0EEEvT1_: ; @_ZN7rocprim17ROCPRIM_400000_NS6detail17trampoline_kernelINS0_14default_configENS1_27scan_by_key_config_selectorIifEEZZNS1_16scan_by_key_implILNS1_25lookback_scan_determinismE0ELb1ES3_N6thrust23THRUST_200600_302600_NS6detail15normal_iteratorINS9_10device_ptrIiEEEENSB_INSC_IjEEEESE_fNS9_4plusIvEENS9_8equal_toIvEEfEE10hipError_tPvRmT2_T3_T4_T5_mT6_T7_P12ihipStream_tbENKUlT_T0_E_clISt17integral_constantIbLb0EES11_EEDaSW_SX_EUlSW_E_NS1_11comp_targetILNS1_3genE9ELNS1_11target_archE1100ELNS1_3gpuE3ELNS1_3repE0EEENS1_30default_config_static_selectorELNS0_4arch9wavefront6targetE0EEEvT1_
; %bb.0:
	.section	.rodata,"a",@progbits
	.p2align	6, 0x0
	.amdhsa_kernel _ZN7rocprim17ROCPRIM_400000_NS6detail17trampoline_kernelINS0_14default_configENS1_27scan_by_key_config_selectorIifEEZZNS1_16scan_by_key_implILNS1_25lookback_scan_determinismE0ELb1ES3_N6thrust23THRUST_200600_302600_NS6detail15normal_iteratorINS9_10device_ptrIiEEEENSB_INSC_IjEEEESE_fNS9_4plusIvEENS9_8equal_toIvEEfEE10hipError_tPvRmT2_T3_T4_T5_mT6_T7_P12ihipStream_tbENKUlT_T0_E_clISt17integral_constantIbLb0EES11_EEDaSW_SX_EUlSW_E_NS1_11comp_targetILNS1_3genE9ELNS1_11target_archE1100ELNS1_3gpuE3ELNS1_3repE0EEENS1_30default_config_static_selectorELNS0_4arch9wavefront6targetE0EEEvT1_
		.amdhsa_group_segment_fixed_size 0
		.amdhsa_private_segment_fixed_size 0
		.amdhsa_kernarg_size 112
		.amdhsa_user_sgpr_count 2
		.amdhsa_user_sgpr_dispatch_ptr 0
		.amdhsa_user_sgpr_queue_ptr 0
		.amdhsa_user_sgpr_kernarg_segment_ptr 1
		.amdhsa_user_sgpr_dispatch_id 0
		.amdhsa_user_sgpr_kernarg_preload_length 0
		.amdhsa_user_sgpr_kernarg_preload_offset 0
		.amdhsa_user_sgpr_private_segment_size 0
		.amdhsa_wavefront_size32 1
		.amdhsa_uses_dynamic_stack 0
		.amdhsa_enable_private_segment 0
		.amdhsa_system_sgpr_workgroup_id_x 1
		.amdhsa_system_sgpr_workgroup_id_y 0
		.amdhsa_system_sgpr_workgroup_id_z 0
		.amdhsa_system_sgpr_workgroup_info 0
		.amdhsa_system_vgpr_workitem_id 0
		.amdhsa_next_free_vgpr 1
		.amdhsa_next_free_sgpr 1
		.amdhsa_named_barrier_count 0
		.amdhsa_reserve_vcc 0
		.amdhsa_float_round_mode_32 0
		.amdhsa_float_round_mode_16_64 0
		.amdhsa_float_denorm_mode_32 3
		.amdhsa_float_denorm_mode_16_64 3
		.amdhsa_fp16_overflow 0
		.amdhsa_memory_ordered 1
		.amdhsa_forward_progress 1
		.amdhsa_inst_pref_size 0
		.amdhsa_round_robin_scheduling 0
		.amdhsa_exception_fp_ieee_invalid_op 0
		.amdhsa_exception_fp_denorm_src 0
		.amdhsa_exception_fp_ieee_div_zero 0
		.amdhsa_exception_fp_ieee_overflow 0
		.amdhsa_exception_fp_ieee_underflow 0
		.amdhsa_exception_fp_ieee_inexact 0
		.amdhsa_exception_int_div_zero 0
	.end_amdhsa_kernel
	.section	.text._ZN7rocprim17ROCPRIM_400000_NS6detail17trampoline_kernelINS0_14default_configENS1_27scan_by_key_config_selectorIifEEZZNS1_16scan_by_key_implILNS1_25lookback_scan_determinismE0ELb1ES3_N6thrust23THRUST_200600_302600_NS6detail15normal_iteratorINS9_10device_ptrIiEEEENSB_INSC_IjEEEESE_fNS9_4plusIvEENS9_8equal_toIvEEfEE10hipError_tPvRmT2_T3_T4_T5_mT6_T7_P12ihipStream_tbENKUlT_T0_E_clISt17integral_constantIbLb0EES11_EEDaSW_SX_EUlSW_E_NS1_11comp_targetILNS1_3genE9ELNS1_11target_archE1100ELNS1_3gpuE3ELNS1_3repE0EEENS1_30default_config_static_selectorELNS0_4arch9wavefront6targetE0EEEvT1_,"axG",@progbits,_ZN7rocprim17ROCPRIM_400000_NS6detail17trampoline_kernelINS0_14default_configENS1_27scan_by_key_config_selectorIifEEZZNS1_16scan_by_key_implILNS1_25lookback_scan_determinismE0ELb1ES3_N6thrust23THRUST_200600_302600_NS6detail15normal_iteratorINS9_10device_ptrIiEEEENSB_INSC_IjEEEESE_fNS9_4plusIvEENS9_8equal_toIvEEfEE10hipError_tPvRmT2_T3_T4_T5_mT6_T7_P12ihipStream_tbENKUlT_T0_E_clISt17integral_constantIbLb0EES11_EEDaSW_SX_EUlSW_E_NS1_11comp_targetILNS1_3genE9ELNS1_11target_archE1100ELNS1_3gpuE3ELNS1_3repE0EEENS1_30default_config_static_selectorELNS0_4arch9wavefront6targetE0EEEvT1_,comdat
.Lfunc_end1795:
	.size	_ZN7rocprim17ROCPRIM_400000_NS6detail17trampoline_kernelINS0_14default_configENS1_27scan_by_key_config_selectorIifEEZZNS1_16scan_by_key_implILNS1_25lookback_scan_determinismE0ELb1ES3_N6thrust23THRUST_200600_302600_NS6detail15normal_iteratorINS9_10device_ptrIiEEEENSB_INSC_IjEEEESE_fNS9_4plusIvEENS9_8equal_toIvEEfEE10hipError_tPvRmT2_T3_T4_T5_mT6_T7_P12ihipStream_tbENKUlT_T0_E_clISt17integral_constantIbLb0EES11_EEDaSW_SX_EUlSW_E_NS1_11comp_targetILNS1_3genE9ELNS1_11target_archE1100ELNS1_3gpuE3ELNS1_3repE0EEENS1_30default_config_static_selectorELNS0_4arch9wavefront6targetE0EEEvT1_, .Lfunc_end1795-_ZN7rocprim17ROCPRIM_400000_NS6detail17trampoline_kernelINS0_14default_configENS1_27scan_by_key_config_selectorIifEEZZNS1_16scan_by_key_implILNS1_25lookback_scan_determinismE0ELb1ES3_N6thrust23THRUST_200600_302600_NS6detail15normal_iteratorINS9_10device_ptrIiEEEENSB_INSC_IjEEEESE_fNS9_4plusIvEENS9_8equal_toIvEEfEE10hipError_tPvRmT2_T3_T4_T5_mT6_T7_P12ihipStream_tbENKUlT_T0_E_clISt17integral_constantIbLb0EES11_EEDaSW_SX_EUlSW_E_NS1_11comp_targetILNS1_3genE9ELNS1_11target_archE1100ELNS1_3gpuE3ELNS1_3repE0EEENS1_30default_config_static_selectorELNS0_4arch9wavefront6targetE0EEEvT1_
                                        ; -- End function
	.set _ZN7rocprim17ROCPRIM_400000_NS6detail17trampoline_kernelINS0_14default_configENS1_27scan_by_key_config_selectorIifEEZZNS1_16scan_by_key_implILNS1_25lookback_scan_determinismE0ELb1ES3_N6thrust23THRUST_200600_302600_NS6detail15normal_iteratorINS9_10device_ptrIiEEEENSB_INSC_IjEEEESE_fNS9_4plusIvEENS9_8equal_toIvEEfEE10hipError_tPvRmT2_T3_T4_T5_mT6_T7_P12ihipStream_tbENKUlT_T0_E_clISt17integral_constantIbLb0EES11_EEDaSW_SX_EUlSW_E_NS1_11comp_targetILNS1_3genE9ELNS1_11target_archE1100ELNS1_3gpuE3ELNS1_3repE0EEENS1_30default_config_static_selectorELNS0_4arch9wavefront6targetE0EEEvT1_.num_vgpr, 0
	.set _ZN7rocprim17ROCPRIM_400000_NS6detail17trampoline_kernelINS0_14default_configENS1_27scan_by_key_config_selectorIifEEZZNS1_16scan_by_key_implILNS1_25lookback_scan_determinismE0ELb1ES3_N6thrust23THRUST_200600_302600_NS6detail15normal_iteratorINS9_10device_ptrIiEEEENSB_INSC_IjEEEESE_fNS9_4plusIvEENS9_8equal_toIvEEfEE10hipError_tPvRmT2_T3_T4_T5_mT6_T7_P12ihipStream_tbENKUlT_T0_E_clISt17integral_constantIbLb0EES11_EEDaSW_SX_EUlSW_E_NS1_11comp_targetILNS1_3genE9ELNS1_11target_archE1100ELNS1_3gpuE3ELNS1_3repE0EEENS1_30default_config_static_selectorELNS0_4arch9wavefront6targetE0EEEvT1_.num_agpr, 0
	.set _ZN7rocprim17ROCPRIM_400000_NS6detail17trampoline_kernelINS0_14default_configENS1_27scan_by_key_config_selectorIifEEZZNS1_16scan_by_key_implILNS1_25lookback_scan_determinismE0ELb1ES3_N6thrust23THRUST_200600_302600_NS6detail15normal_iteratorINS9_10device_ptrIiEEEENSB_INSC_IjEEEESE_fNS9_4plusIvEENS9_8equal_toIvEEfEE10hipError_tPvRmT2_T3_T4_T5_mT6_T7_P12ihipStream_tbENKUlT_T0_E_clISt17integral_constantIbLb0EES11_EEDaSW_SX_EUlSW_E_NS1_11comp_targetILNS1_3genE9ELNS1_11target_archE1100ELNS1_3gpuE3ELNS1_3repE0EEENS1_30default_config_static_selectorELNS0_4arch9wavefront6targetE0EEEvT1_.numbered_sgpr, 0
	.set _ZN7rocprim17ROCPRIM_400000_NS6detail17trampoline_kernelINS0_14default_configENS1_27scan_by_key_config_selectorIifEEZZNS1_16scan_by_key_implILNS1_25lookback_scan_determinismE0ELb1ES3_N6thrust23THRUST_200600_302600_NS6detail15normal_iteratorINS9_10device_ptrIiEEEENSB_INSC_IjEEEESE_fNS9_4plusIvEENS9_8equal_toIvEEfEE10hipError_tPvRmT2_T3_T4_T5_mT6_T7_P12ihipStream_tbENKUlT_T0_E_clISt17integral_constantIbLb0EES11_EEDaSW_SX_EUlSW_E_NS1_11comp_targetILNS1_3genE9ELNS1_11target_archE1100ELNS1_3gpuE3ELNS1_3repE0EEENS1_30default_config_static_selectorELNS0_4arch9wavefront6targetE0EEEvT1_.num_named_barrier, 0
	.set _ZN7rocprim17ROCPRIM_400000_NS6detail17trampoline_kernelINS0_14default_configENS1_27scan_by_key_config_selectorIifEEZZNS1_16scan_by_key_implILNS1_25lookback_scan_determinismE0ELb1ES3_N6thrust23THRUST_200600_302600_NS6detail15normal_iteratorINS9_10device_ptrIiEEEENSB_INSC_IjEEEESE_fNS9_4plusIvEENS9_8equal_toIvEEfEE10hipError_tPvRmT2_T3_T4_T5_mT6_T7_P12ihipStream_tbENKUlT_T0_E_clISt17integral_constantIbLb0EES11_EEDaSW_SX_EUlSW_E_NS1_11comp_targetILNS1_3genE9ELNS1_11target_archE1100ELNS1_3gpuE3ELNS1_3repE0EEENS1_30default_config_static_selectorELNS0_4arch9wavefront6targetE0EEEvT1_.private_seg_size, 0
	.set _ZN7rocprim17ROCPRIM_400000_NS6detail17trampoline_kernelINS0_14default_configENS1_27scan_by_key_config_selectorIifEEZZNS1_16scan_by_key_implILNS1_25lookback_scan_determinismE0ELb1ES3_N6thrust23THRUST_200600_302600_NS6detail15normal_iteratorINS9_10device_ptrIiEEEENSB_INSC_IjEEEESE_fNS9_4plusIvEENS9_8equal_toIvEEfEE10hipError_tPvRmT2_T3_T4_T5_mT6_T7_P12ihipStream_tbENKUlT_T0_E_clISt17integral_constantIbLb0EES11_EEDaSW_SX_EUlSW_E_NS1_11comp_targetILNS1_3genE9ELNS1_11target_archE1100ELNS1_3gpuE3ELNS1_3repE0EEENS1_30default_config_static_selectorELNS0_4arch9wavefront6targetE0EEEvT1_.uses_vcc, 0
	.set _ZN7rocprim17ROCPRIM_400000_NS6detail17trampoline_kernelINS0_14default_configENS1_27scan_by_key_config_selectorIifEEZZNS1_16scan_by_key_implILNS1_25lookback_scan_determinismE0ELb1ES3_N6thrust23THRUST_200600_302600_NS6detail15normal_iteratorINS9_10device_ptrIiEEEENSB_INSC_IjEEEESE_fNS9_4plusIvEENS9_8equal_toIvEEfEE10hipError_tPvRmT2_T3_T4_T5_mT6_T7_P12ihipStream_tbENKUlT_T0_E_clISt17integral_constantIbLb0EES11_EEDaSW_SX_EUlSW_E_NS1_11comp_targetILNS1_3genE9ELNS1_11target_archE1100ELNS1_3gpuE3ELNS1_3repE0EEENS1_30default_config_static_selectorELNS0_4arch9wavefront6targetE0EEEvT1_.uses_flat_scratch, 0
	.set _ZN7rocprim17ROCPRIM_400000_NS6detail17trampoline_kernelINS0_14default_configENS1_27scan_by_key_config_selectorIifEEZZNS1_16scan_by_key_implILNS1_25lookback_scan_determinismE0ELb1ES3_N6thrust23THRUST_200600_302600_NS6detail15normal_iteratorINS9_10device_ptrIiEEEENSB_INSC_IjEEEESE_fNS9_4plusIvEENS9_8equal_toIvEEfEE10hipError_tPvRmT2_T3_T4_T5_mT6_T7_P12ihipStream_tbENKUlT_T0_E_clISt17integral_constantIbLb0EES11_EEDaSW_SX_EUlSW_E_NS1_11comp_targetILNS1_3genE9ELNS1_11target_archE1100ELNS1_3gpuE3ELNS1_3repE0EEENS1_30default_config_static_selectorELNS0_4arch9wavefront6targetE0EEEvT1_.has_dyn_sized_stack, 0
	.set _ZN7rocprim17ROCPRIM_400000_NS6detail17trampoline_kernelINS0_14default_configENS1_27scan_by_key_config_selectorIifEEZZNS1_16scan_by_key_implILNS1_25lookback_scan_determinismE0ELb1ES3_N6thrust23THRUST_200600_302600_NS6detail15normal_iteratorINS9_10device_ptrIiEEEENSB_INSC_IjEEEESE_fNS9_4plusIvEENS9_8equal_toIvEEfEE10hipError_tPvRmT2_T3_T4_T5_mT6_T7_P12ihipStream_tbENKUlT_T0_E_clISt17integral_constantIbLb0EES11_EEDaSW_SX_EUlSW_E_NS1_11comp_targetILNS1_3genE9ELNS1_11target_archE1100ELNS1_3gpuE3ELNS1_3repE0EEENS1_30default_config_static_selectorELNS0_4arch9wavefront6targetE0EEEvT1_.has_recursion, 0
	.set _ZN7rocprim17ROCPRIM_400000_NS6detail17trampoline_kernelINS0_14default_configENS1_27scan_by_key_config_selectorIifEEZZNS1_16scan_by_key_implILNS1_25lookback_scan_determinismE0ELb1ES3_N6thrust23THRUST_200600_302600_NS6detail15normal_iteratorINS9_10device_ptrIiEEEENSB_INSC_IjEEEESE_fNS9_4plusIvEENS9_8equal_toIvEEfEE10hipError_tPvRmT2_T3_T4_T5_mT6_T7_P12ihipStream_tbENKUlT_T0_E_clISt17integral_constantIbLb0EES11_EEDaSW_SX_EUlSW_E_NS1_11comp_targetILNS1_3genE9ELNS1_11target_archE1100ELNS1_3gpuE3ELNS1_3repE0EEENS1_30default_config_static_selectorELNS0_4arch9wavefront6targetE0EEEvT1_.has_indirect_call, 0
	.section	.AMDGPU.csdata,"",@progbits
; Kernel info:
; codeLenInByte = 0
; TotalNumSgprs: 0
; NumVgprs: 0
; ScratchSize: 0
; MemoryBound: 0
; FloatMode: 240
; IeeeMode: 1
; LDSByteSize: 0 bytes/workgroup (compile time only)
; SGPRBlocks: 0
; VGPRBlocks: 0
; NumSGPRsForWavesPerEU: 1
; NumVGPRsForWavesPerEU: 1
; NamedBarCnt: 0
; Occupancy: 16
; WaveLimiterHint : 0
; COMPUTE_PGM_RSRC2:SCRATCH_EN: 0
; COMPUTE_PGM_RSRC2:USER_SGPR: 2
; COMPUTE_PGM_RSRC2:TRAP_HANDLER: 0
; COMPUTE_PGM_RSRC2:TGID_X_EN: 1
; COMPUTE_PGM_RSRC2:TGID_Y_EN: 0
; COMPUTE_PGM_RSRC2:TGID_Z_EN: 0
; COMPUTE_PGM_RSRC2:TIDIG_COMP_CNT: 0
	.section	.text._ZN7rocprim17ROCPRIM_400000_NS6detail17trampoline_kernelINS0_14default_configENS1_27scan_by_key_config_selectorIifEEZZNS1_16scan_by_key_implILNS1_25lookback_scan_determinismE0ELb1ES3_N6thrust23THRUST_200600_302600_NS6detail15normal_iteratorINS9_10device_ptrIiEEEENSB_INSC_IjEEEESE_fNS9_4plusIvEENS9_8equal_toIvEEfEE10hipError_tPvRmT2_T3_T4_T5_mT6_T7_P12ihipStream_tbENKUlT_T0_E_clISt17integral_constantIbLb0EES11_EEDaSW_SX_EUlSW_E_NS1_11comp_targetILNS1_3genE8ELNS1_11target_archE1030ELNS1_3gpuE2ELNS1_3repE0EEENS1_30default_config_static_selectorELNS0_4arch9wavefront6targetE0EEEvT1_,"axG",@progbits,_ZN7rocprim17ROCPRIM_400000_NS6detail17trampoline_kernelINS0_14default_configENS1_27scan_by_key_config_selectorIifEEZZNS1_16scan_by_key_implILNS1_25lookback_scan_determinismE0ELb1ES3_N6thrust23THRUST_200600_302600_NS6detail15normal_iteratorINS9_10device_ptrIiEEEENSB_INSC_IjEEEESE_fNS9_4plusIvEENS9_8equal_toIvEEfEE10hipError_tPvRmT2_T3_T4_T5_mT6_T7_P12ihipStream_tbENKUlT_T0_E_clISt17integral_constantIbLb0EES11_EEDaSW_SX_EUlSW_E_NS1_11comp_targetILNS1_3genE8ELNS1_11target_archE1030ELNS1_3gpuE2ELNS1_3repE0EEENS1_30default_config_static_selectorELNS0_4arch9wavefront6targetE0EEEvT1_,comdat
	.protected	_ZN7rocprim17ROCPRIM_400000_NS6detail17trampoline_kernelINS0_14default_configENS1_27scan_by_key_config_selectorIifEEZZNS1_16scan_by_key_implILNS1_25lookback_scan_determinismE0ELb1ES3_N6thrust23THRUST_200600_302600_NS6detail15normal_iteratorINS9_10device_ptrIiEEEENSB_INSC_IjEEEESE_fNS9_4plusIvEENS9_8equal_toIvEEfEE10hipError_tPvRmT2_T3_T4_T5_mT6_T7_P12ihipStream_tbENKUlT_T0_E_clISt17integral_constantIbLb0EES11_EEDaSW_SX_EUlSW_E_NS1_11comp_targetILNS1_3genE8ELNS1_11target_archE1030ELNS1_3gpuE2ELNS1_3repE0EEENS1_30default_config_static_selectorELNS0_4arch9wavefront6targetE0EEEvT1_ ; -- Begin function _ZN7rocprim17ROCPRIM_400000_NS6detail17trampoline_kernelINS0_14default_configENS1_27scan_by_key_config_selectorIifEEZZNS1_16scan_by_key_implILNS1_25lookback_scan_determinismE0ELb1ES3_N6thrust23THRUST_200600_302600_NS6detail15normal_iteratorINS9_10device_ptrIiEEEENSB_INSC_IjEEEESE_fNS9_4plusIvEENS9_8equal_toIvEEfEE10hipError_tPvRmT2_T3_T4_T5_mT6_T7_P12ihipStream_tbENKUlT_T0_E_clISt17integral_constantIbLb0EES11_EEDaSW_SX_EUlSW_E_NS1_11comp_targetILNS1_3genE8ELNS1_11target_archE1030ELNS1_3gpuE2ELNS1_3repE0EEENS1_30default_config_static_selectorELNS0_4arch9wavefront6targetE0EEEvT1_
	.globl	_ZN7rocprim17ROCPRIM_400000_NS6detail17trampoline_kernelINS0_14default_configENS1_27scan_by_key_config_selectorIifEEZZNS1_16scan_by_key_implILNS1_25lookback_scan_determinismE0ELb1ES3_N6thrust23THRUST_200600_302600_NS6detail15normal_iteratorINS9_10device_ptrIiEEEENSB_INSC_IjEEEESE_fNS9_4plusIvEENS9_8equal_toIvEEfEE10hipError_tPvRmT2_T3_T4_T5_mT6_T7_P12ihipStream_tbENKUlT_T0_E_clISt17integral_constantIbLb0EES11_EEDaSW_SX_EUlSW_E_NS1_11comp_targetILNS1_3genE8ELNS1_11target_archE1030ELNS1_3gpuE2ELNS1_3repE0EEENS1_30default_config_static_selectorELNS0_4arch9wavefront6targetE0EEEvT1_
	.p2align	8
	.type	_ZN7rocprim17ROCPRIM_400000_NS6detail17trampoline_kernelINS0_14default_configENS1_27scan_by_key_config_selectorIifEEZZNS1_16scan_by_key_implILNS1_25lookback_scan_determinismE0ELb1ES3_N6thrust23THRUST_200600_302600_NS6detail15normal_iteratorINS9_10device_ptrIiEEEENSB_INSC_IjEEEESE_fNS9_4plusIvEENS9_8equal_toIvEEfEE10hipError_tPvRmT2_T3_T4_T5_mT6_T7_P12ihipStream_tbENKUlT_T0_E_clISt17integral_constantIbLb0EES11_EEDaSW_SX_EUlSW_E_NS1_11comp_targetILNS1_3genE8ELNS1_11target_archE1030ELNS1_3gpuE2ELNS1_3repE0EEENS1_30default_config_static_selectorELNS0_4arch9wavefront6targetE0EEEvT1_,@function
_ZN7rocprim17ROCPRIM_400000_NS6detail17trampoline_kernelINS0_14default_configENS1_27scan_by_key_config_selectorIifEEZZNS1_16scan_by_key_implILNS1_25lookback_scan_determinismE0ELb1ES3_N6thrust23THRUST_200600_302600_NS6detail15normal_iteratorINS9_10device_ptrIiEEEENSB_INSC_IjEEEESE_fNS9_4plusIvEENS9_8equal_toIvEEfEE10hipError_tPvRmT2_T3_T4_T5_mT6_T7_P12ihipStream_tbENKUlT_T0_E_clISt17integral_constantIbLb0EES11_EEDaSW_SX_EUlSW_E_NS1_11comp_targetILNS1_3genE8ELNS1_11target_archE1030ELNS1_3gpuE2ELNS1_3repE0EEENS1_30default_config_static_selectorELNS0_4arch9wavefront6targetE0EEEvT1_: ; @_ZN7rocprim17ROCPRIM_400000_NS6detail17trampoline_kernelINS0_14default_configENS1_27scan_by_key_config_selectorIifEEZZNS1_16scan_by_key_implILNS1_25lookback_scan_determinismE0ELb1ES3_N6thrust23THRUST_200600_302600_NS6detail15normal_iteratorINS9_10device_ptrIiEEEENSB_INSC_IjEEEESE_fNS9_4plusIvEENS9_8equal_toIvEEfEE10hipError_tPvRmT2_T3_T4_T5_mT6_T7_P12ihipStream_tbENKUlT_T0_E_clISt17integral_constantIbLb0EES11_EEDaSW_SX_EUlSW_E_NS1_11comp_targetILNS1_3genE8ELNS1_11target_archE1030ELNS1_3gpuE2ELNS1_3repE0EEENS1_30default_config_static_selectorELNS0_4arch9wavefront6targetE0EEEvT1_
; %bb.0:
	.section	.rodata,"a",@progbits
	.p2align	6, 0x0
	.amdhsa_kernel _ZN7rocprim17ROCPRIM_400000_NS6detail17trampoline_kernelINS0_14default_configENS1_27scan_by_key_config_selectorIifEEZZNS1_16scan_by_key_implILNS1_25lookback_scan_determinismE0ELb1ES3_N6thrust23THRUST_200600_302600_NS6detail15normal_iteratorINS9_10device_ptrIiEEEENSB_INSC_IjEEEESE_fNS9_4plusIvEENS9_8equal_toIvEEfEE10hipError_tPvRmT2_T3_T4_T5_mT6_T7_P12ihipStream_tbENKUlT_T0_E_clISt17integral_constantIbLb0EES11_EEDaSW_SX_EUlSW_E_NS1_11comp_targetILNS1_3genE8ELNS1_11target_archE1030ELNS1_3gpuE2ELNS1_3repE0EEENS1_30default_config_static_selectorELNS0_4arch9wavefront6targetE0EEEvT1_
		.amdhsa_group_segment_fixed_size 0
		.amdhsa_private_segment_fixed_size 0
		.amdhsa_kernarg_size 112
		.amdhsa_user_sgpr_count 2
		.amdhsa_user_sgpr_dispatch_ptr 0
		.amdhsa_user_sgpr_queue_ptr 0
		.amdhsa_user_sgpr_kernarg_segment_ptr 1
		.amdhsa_user_sgpr_dispatch_id 0
		.amdhsa_user_sgpr_kernarg_preload_length 0
		.amdhsa_user_sgpr_kernarg_preload_offset 0
		.amdhsa_user_sgpr_private_segment_size 0
		.amdhsa_wavefront_size32 1
		.amdhsa_uses_dynamic_stack 0
		.amdhsa_enable_private_segment 0
		.amdhsa_system_sgpr_workgroup_id_x 1
		.amdhsa_system_sgpr_workgroup_id_y 0
		.amdhsa_system_sgpr_workgroup_id_z 0
		.amdhsa_system_sgpr_workgroup_info 0
		.amdhsa_system_vgpr_workitem_id 0
		.amdhsa_next_free_vgpr 1
		.amdhsa_next_free_sgpr 1
		.amdhsa_named_barrier_count 0
		.amdhsa_reserve_vcc 0
		.amdhsa_float_round_mode_32 0
		.amdhsa_float_round_mode_16_64 0
		.amdhsa_float_denorm_mode_32 3
		.amdhsa_float_denorm_mode_16_64 3
		.amdhsa_fp16_overflow 0
		.amdhsa_memory_ordered 1
		.amdhsa_forward_progress 1
		.amdhsa_inst_pref_size 0
		.amdhsa_round_robin_scheduling 0
		.amdhsa_exception_fp_ieee_invalid_op 0
		.amdhsa_exception_fp_denorm_src 0
		.amdhsa_exception_fp_ieee_div_zero 0
		.amdhsa_exception_fp_ieee_overflow 0
		.amdhsa_exception_fp_ieee_underflow 0
		.amdhsa_exception_fp_ieee_inexact 0
		.amdhsa_exception_int_div_zero 0
	.end_amdhsa_kernel
	.section	.text._ZN7rocprim17ROCPRIM_400000_NS6detail17trampoline_kernelINS0_14default_configENS1_27scan_by_key_config_selectorIifEEZZNS1_16scan_by_key_implILNS1_25lookback_scan_determinismE0ELb1ES3_N6thrust23THRUST_200600_302600_NS6detail15normal_iteratorINS9_10device_ptrIiEEEENSB_INSC_IjEEEESE_fNS9_4plusIvEENS9_8equal_toIvEEfEE10hipError_tPvRmT2_T3_T4_T5_mT6_T7_P12ihipStream_tbENKUlT_T0_E_clISt17integral_constantIbLb0EES11_EEDaSW_SX_EUlSW_E_NS1_11comp_targetILNS1_3genE8ELNS1_11target_archE1030ELNS1_3gpuE2ELNS1_3repE0EEENS1_30default_config_static_selectorELNS0_4arch9wavefront6targetE0EEEvT1_,"axG",@progbits,_ZN7rocprim17ROCPRIM_400000_NS6detail17trampoline_kernelINS0_14default_configENS1_27scan_by_key_config_selectorIifEEZZNS1_16scan_by_key_implILNS1_25lookback_scan_determinismE0ELb1ES3_N6thrust23THRUST_200600_302600_NS6detail15normal_iteratorINS9_10device_ptrIiEEEENSB_INSC_IjEEEESE_fNS9_4plusIvEENS9_8equal_toIvEEfEE10hipError_tPvRmT2_T3_T4_T5_mT6_T7_P12ihipStream_tbENKUlT_T0_E_clISt17integral_constantIbLb0EES11_EEDaSW_SX_EUlSW_E_NS1_11comp_targetILNS1_3genE8ELNS1_11target_archE1030ELNS1_3gpuE2ELNS1_3repE0EEENS1_30default_config_static_selectorELNS0_4arch9wavefront6targetE0EEEvT1_,comdat
.Lfunc_end1796:
	.size	_ZN7rocprim17ROCPRIM_400000_NS6detail17trampoline_kernelINS0_14default_configENS1_27scan_by_key_config_selectorIifEEZZNS1_16scan_by_key_implILNS1_25lookback_scan_determinismE0ELb1ES3_N6thrust23THRUST_200600_302600_NS6detail15normal_iteratorINS9_10device_ptrIiEEEENSB_INSC_IjEEEESE_fNS9_4plusIvEENS9_8equal_toIvEEfEE10hipError_tPvRmT2_T3_T4_T5_mT6_T7_P12ihipStream_tbENKUlT_T0_E_clISt17integral_constantIbLb0EES11_EEDaSW_SX_EUlSW_E_NS1_11comp_targetILNS1_3genE8ELNS1_11target_archE1030ELNS1_3gpuE2ELNS1_3repE0EEENS1_30default_config_static_selectorELNS0_4arch9wavefront6targetE0EEEvT1_, .Lfunc_end1796-_ZN7rocprim17ROCPRIM_400000_NS6detail17trampoline_kernelINS0_14default_configENS1_27scan_by_key_config_selectorIifEEZZNS1_16scan_by_key_implILNS1_25lookback_scan_determinismE0ELb1ES3_N6thrust23THRUST_200600_302600_NS6detail15normal_iteratorINS9_10device_ptrIiEEEENSB_INSC_IjEEEESE_fNS9_4plusIvEENS9_8equal_toIvEEfEE10hipError_tPvRmT2_T3_T4_T5_mT6_T7_P12ihipStream_tbENKUlT_T0_E_clISt17integral_constantIbLb0EES11_EEDaSW_SX_EUlSW_E_NS1_11comp_targetILNS1_3genE8ELNS1_11target_archE1030ELNS1_3gpuE2ELNS1_3repE0EEENS1_30default_config_static_selectorELNS0_4arch9wavefront6targetE0EEEvT1_
                                        ; -- End function
	.set _ZN7rocprim17ROCPRIM_400000_NS6detail17trampoline_kernelINS0_14default_configENS1_27scan_by_key_config_selectorIifEEZZNS1_16scan_by_key_implILNS1_25lookback_scan_determinismE0ELb1ES3_N6thrust23THRUST_200600_302600_NS6detail15normal_iteratorINS9_10device_ptrIiEEEENSB_INSC_IjEEEESE_fNS9_4plusIvEENS9_8equal_toIvEEfEE10hipError_tPvRmT2_T3_T4_T5_mT6_T7_P12ihipStream_tbENKUlT_T0_E_clISt17integral_constantIbLb0EES11_EEDaSW_SX_EUlSW_E_NS1_11comp_targetILNS1_3genE8ELNS1_11target_archE1030ELNS1_3gpuE2ELNS1_3repE0EEENS1_30default_config_static_selectorELNS0_4arch9wavefront6targetE0EEEvT1_.num_vgpr, 0
	.set _ZN7rocprim17ROCPRIM_400000_NS6detail17trampoline_kernelINS0_14default_configENS1_27scan_by_key_config_selectorIifEEZZNS1_16scan_by_key_implILNS1_25lookback_scan_determinismE0ELb1ES3_N6thrust23THRUST_200600_302600_NS6detail15normal_iteratorINS9_10device_ptrIiEEEENSB_INSC_IjEEEESE_fNS9_4plusIvEENS9_8equal_toIvEEfEE10hipError_tPvRmT2_T3_T4_T5_mT6_T7_P12ihipStream_tbENKUlT_T0_E_clISt17integral_constantIbLb0EES11_EEDaSW_SX_EUlSW_E_NS1_11comp_targetILNS1_3genE8ELNS1_11target_archE1030ELNS1_3gpuE2ELNS1_3repE0EEENS1_30default_config_static_selectorELNS0_4arch9wavefront6targetE0EEEvT1_.num_agpr, 0
	.set _ZN7rocprim17ROCPRIM_400000_NS6detail17trampoline_kernelINS0_14default_configENS1_27scan_by_key_config_selectorIifEEZZNS1_16scan_by_key_implILNS1_25lookback_scan_determinismE0ELb1ES3_N6thrust23THRUST_200600_302600_NS6detail15normal_iteratorINS9_10device_ptrIiEEEENSB_INSC_IjEEEESE_fNS9_4plusIvEENS9_8equal_toIvEEfEE10hipError_tPvRmT2_T3_T4_T5_mT6_T7_P12ihipStream_tbENKUlT_T0_E_clISt17integral_constantIbLb0EES11_EEDaSW_SX_EUlSW_E_NS1_11comp_targetILNS1_3genE8ELNS1_11target_archE1030ELNS1_3gpuE2ELNS1_3repE0EEENS1_30default_config_static_selectorELNS0_4arch9wavefront6targetE0EEEvT1_.numbered_sgpr, 0
	.set _ZN7rocprim17ROCPRIM_400000_NS6detail17trampoline_kernelINS0_14default_configENS1_27scan_by_key_config_selectorIifEEZZNS1_16scan_by_key_implILNS1_25lookback_scan_determinismE0ELb1ES3_N6thrust23THRUST_200600_302600_NS6detail15normal_iteratorINS9_10device_ptrIiEEEENSB_INSC_IjEEEESE_fNS9_4plusIvEENS9_8equal_toIvEEfEE10hipError_tPvRmT2_T3_T4_T5_mT6_T7_P12ihipStream_tbENKUlT_T0_E_clISt17integral_constantIbLb0EES11_EEDaSW_SX_EUlSW_E_NS1_11comp_targetILNS1_3genE8ELNS1_11target_archE1030ELNS1_3gpuE2ELNS1_3repE0EEENS1_30default_config_static_selectorELNS0_4arch9wavefront6targetE0EEEvT1_.num_named_barrier, 0
	.set _ZN7rocprim17ROCPRIM_400000_NS6detail17trampoline_kernelINS0_14default_configENS1_27scan_by_key_config_selectorIifEEZZNS1_16scan_by_key_implILNS1_25lookback_scan_determinismE0ELb1ES3_N6thrust23THRUST_200600_302600_NS6detail15normal_iteratorINS9_10device_ptrIiEEEENSB_INSC_IjEEEESE_fNS9_4plusIvEENS9_8equal_toIvEEfEE10hipError_tPvRmT2_T3_T4_T5_mT6_T7_P12ihipStream_tbENKUlT_T0_E_clISt17integral_constantIbLb0EES11_EEDaSW_SX_EUlSW_E_NS1_11comp_targetILNS1_3genE8ELNS1_11target_archE1030ELNS1_3gpuE2ELNS1_3repE0EEENS1_30default_config_static_selectorELNS0_4arch9wavefront6targetE0EEEvT1_.private_seg_size, 0
	.set _ZN7rocprim17ROCPRIM_400000_NS6detail17trampoline_kernelINS0_14default_configENS1_27scan_by_key_config_selectorIifEEZZNS1_16scan_by_key_implILNS1_25lookback_scan_determinismE0ELb1ES3_N6thrust23THRUST_200600_302600_NS6detail15normal_iteratorINS9_10device_ptrIiEEEENSB_INSC_IjEEEESE_fNS9_4plusIvEENS9_8equal_toIvEEfEE10hipError_tPvRmT2_T3_T4_T5_mT6_T7_P12ihipStream_tbENKUlT_T0_E_clISt17integral_constantIbLb0EES11_EEDaSW_SX_EUlSW_E_NS1_11comp_targetILNS1_3genE8ELNS1_11target_archE1030ELNS1_3gpuE2ELNS1_3repE0EEENS1_30default_config_static_selectorELNS0_4arch9wavefront6targetE0EEEvT1_.uses_vcc, 0
	.set _ZN7rocprim17ROCPRIM_400000_NS6detail17trampoline_kernelINS0_14default_configENS1_27scan_by_key_config_selectorIifEEZZNS1_16scan_by_key_implILNS1_25lookback_scan_determinismE0ELb1ES3_N6thrust23THRUST_200600_302600_NS6detail15normal_iteratorINS9_10device_ptrIiEEEENSB_INSC_IjEEEESE_fNS9_4plusIvEENS9_8equal_toIvEEfEE10hipError_tPvRmT2_T3_T4_T5_mT6_T7_P12ihipStream_tbENKUlT_T0_E_clISt17integral_constantIbLb0EES11_EEDaSW_SX_EUlSW_E_NS1_11comp_targetILNS1_3genE8ELNS1_11target_archE1030ELNS1_3gpuE2ELNS1_3repE0EEENS1_30default_config_static_selectorELNS0_4arch9wavefront6targetE0EEEvT1_.uses_flat_scratch, 0
	.set _ZN7rocprim17ROCPRIM_400000_NS6detail17trampoline_kernelINS0_14default_configENS1_27scan_by_key_config_selectorIifEEZZNS1_16scan_by_key_implILNS1_25lookback_scan_determinismE0ELb1ES3_N6thrust23THRUST_200600_302600_NS6detail15normal_iteratorINS9_10device_ptrIiEEEENSB_INSC_IjEEEESE_fNS9_4plusIvEENS9_8equal_toIvEEfEE10hipError_tPvRmT2_T3_T4_T5_mT6_T7_P12ihipStream_tbENKUlT_T0_E_clISt17integral_constantIbLb0EES11_EEDaSW_SX_EUlSW_E_NS1_11comp_targetILNS1_3genE8ELNS1_11target_archE1030ELNS1_3gpuE2ELNS1_3repE0EEENS1_30default_config_static_selectorELNS0_4arch9wavefront6targetE0EEEvT1_.has_dyn_sized_stack, 0
	.set _ZN7rocprim17ROCPRIM_400000_NS6detail17trampoline_kernelINS0_14default_configENS1_27scan_by_key_config_selectorIifEEZZNS1_16scan_by_key_implILNS1_25lookback_scan_determinismE0ELb1ES3_N6thrust23THRUST_200600_302600_NS6detail15normal_iteratorINS9_10device_ptrIiEEEENSB_INSC_IjEEEESE_fNS9_4plusIvEENS9_8equal_toIvEEfEE10hipError_tPvRmT2_T3_T4_T5_mT6_T7_P12ihipStream_tbENKUlT_T0_E_clISt17integral_constantIbLb0EES11_EEDaSW_SX_EUlSW_E_NS1_11comp_targetILNS1_3genE8ELNS1_11target_archE1030ELNS1_3gpuE2ELNS1_3repE0EEENS1_30default_config_static_selectorELNS0_4arch9wavefront6targetE0EEEvT1_.has_recursion, 0
	.set _ZN7rocprim17ROCPRIM_400000_NS6detail17trampoline_kernelINS0_14default_configENS1_27scan_by_key_config_selectorIifEEZZNS1_16scan_by_key_implILNS1_25lookback_scan_determinismE0ELb1ES3_N6thrust23THRUST_200600_302600_NS6detail15normal_iteratorINS9_10device_ptrIiEEEENSB_INSC_IjEEEESE_fNS9_4plusIvEENS9_8equal_toIvEEfEE10hipError_tPvRmT2_T3_T4_T5_mT6_T7_P12ihipStream_tbENKUlT_T0_E_clISt17integral_constantIbLb0EES11_EEDaSW_SX_EUlSW_E_NS1_11comp_targetILNS1_3genE8ELNS1_11target_archE1030ELNS1_3gpuE2ELNS1_3repE0EEENS1_30default_config_static_selectorELNS0_4arch9wavefront6targetE0EEEvT1_.has_indirect_call, 0
	.section	.AMDGPU.csdata,"",@progbits
; Kernel info:
; codeLenInByte = 0
; TotalNumSgprs: 0
; NumVgprs: 0
; ScratchSize: 0
; MemoryBound: 0
; FloatMode: 240
; IeeeMode: 1
; LDSByteSize: 0 bytes/workgroup (compile time only)
; SGPRBlocks: 0
; VGPRBlocks: 0
; NumSGPRsForWavesPerEU: 1
; NumVGPRsForWavesPerEU: 1
; NamedBarCnt: 0
; Occupancy: 16
; WaveLimiterHint : 0
; COMPUTE_PGM_RSRC2:SCRATCH_EN: 0
; COMPUTE_PGM_RSRC2:USER_SGPR: 2
; COMPUTE_PGM_RSRC2:TRAP_HANDLER: 0
; COMPUTE_PGM_RSRC2:TGID_X_EN: 1
; COMPUTE_PGM_RSRC2:TGID_Y_EN: 0
; COMPUTE_PGM_RSRC2:TGID_Z_EN: 0
; COMPUTE_PGM_RSRC2:TIDIG_COMP_CNT: 0
	.section	.text._ZN7rocprim17ROCPRIM_400000_NS6detail17trampoline_kernelINS0_14default_configENS1_27scan_by_key_config_selectorIifEEZZNS1_16scan_by_key_implILNS1_25lookback_scan_determinismE0ELb1ES3_N6thrust23THRUST_200600_302600_NS6detail15normal_iteratorINS9_10device_ptrIiEEEENSB_INSC_IjEEEESE_fNS9_4plusIvEENS9_8equal_toIvEEfEE10hipError_tPvRmT2_T3_T4_T5_mT6_T7_P12ihipStream_tbENKUlT_T0_E_clISt17integral_constantIbLb1EES11_EEDaSW_SX_EUlSW_E_NS1_11comp_targetILNS1_3genE0ELNS1_11target_archE4294967295ELNS1_3gpuE0ELNS1_3repE0EEENS1_30default_config_static_selectorELNS0_4arch9wavefront6targetE0EEEvT1_,"axG",@progbits,_ZN7rocprim17ROCPRIM_400000_NS6detail17trampoline_kernelINS0_14default_configENS1_27scan_by_key_config_selectorIifEEZZNS1_16scan_by_key_implILNS1_25lookback_scan_determinismE0ELb1ES3_N6thrust23THRUST_200600_302600_NS6detail15normal_iteratorINS9_10device_ptrIiEEEENSB_INSC_IjEEEESE_fNS9_4plusIvEENS9_8equal_toIvEEfEE10hipError_tPvRmT2_T3_T4_T5_mT6_T7_P12ihipStream_tbENKUlT_T0_E_clISt17integral_constantIbLb1EES11_EEDaSW_SX_EUlSW_E_NS1_11comp_targetILNS1_3genE0ELNS1_11target_archE4294967295ELNS1_3gpuE0ELNS1_3repE0EEENS1_30default_config_static_selectorELNS0_4arch9wavefront6targetE0EEEvT1_,comdat
	.protected	_ZN7rocprim17ROCPRIM_400000_NS6detail17trampoline_kernelINS0_14default_configENS1_27scan_by_key_config_selectorIifEEZZNS1_16scan_by_key_implILNS1_25lookback_scan_determinismE0ELb1ES3_N6thrust23THRUST_200600_302600_NS6detail15normal_iteratorINS9_10device_ptrIiEEEENSB_INSC_IjEEEESE_fNS9_4plusIvEENS9_8equal_toIvEEfEE10hipError_tPvRmT2_T3_T4_T5_mT6_T7_P12ihipStream_tbENKUlT_T0_E_clISt17integral_constantIbLb1EES11_EEDaSW_SX_EUlSW_E_NS1_11comp_targetILNS1_3genE0ELNS1_11target_archE4294967295ELNS1_3gpuE0ELNS1_3repE0EEENS1_30default_config_static_selectorELNS0_4arch9wavefront6targetE0EEEvT1_ ; -- Begin function _ZN7rocprim17ROCPRIM_400000_NS6detail17trampoline_kernelINS0_14default_configENS1_27scan_by_key_config_selectorIifEEZZNS1_16scan_by_key_implILNS1_25lookback_scan_determinismE0ELb1ES3_N6thrust23THRUST_200600_302600_NS6detail15normal_iteratorINS9_10device_ptrIiEEEENSB_INSC_IjEEEESE_fNS9_4plusIvEENS9_8equal_toIvEEfEE10hipError_tPvRmT2_T3_T4_T5_mT6_T7_P12ihipStream_tbENKUlT_T0_E_clISt17integral_constantIbLb1EES11_EEDaSW_SX_EUlSW_E_NS1_11comp_targetILNS1_3genE0ELNS1_11target_archE4294967295ELNS1_3gpuE0ELNS1_3repE0EEENS1_30default_config_static_selectorELNS0_4arch9wavefront6targetE0EEEvT1_
	.globl	_ZN7rocprim17ROCPRIM_400000_NS6detail17trampoline_kernelINS0_14default_configENS1_27scan_by_key_config_selectorIifEEZZNS1_16scan_by_key_implILNS1_25lookback_scan_determinismE0ELb1ES3_N6thrust23THRUST_200600_302600_NS6detail15normal_iteratorINS9_10device_ptrIiEEEENSB_INSC_IjEEEESE_fNS9_4plusIvEENS9_8equal_toIvEEfEE10hipError_tPvRmT2_T3_T4_T5_mT6_T7_P12ihipStream_tbENKUlT_T0_E_clISt17integral_constantIbLb1EES11_EEDaSW_SX_EUlSW_E_NS1_11comp_targetILNS1_3genE0ELNS1_11target_archE4294967295ELNS1_3gpuE0ELNS1_3repE0EEENS1_30default_config_static_selectorELNS0_4arch9wavefront6targetE0EEEvT1_
	.p2align	8
	.type	_ZN7rocprim17ROCPRIM_400000_NS6detail17trampoline_kernelINS0_14default_configENS1_27scan_by_key_config_selectorIifEEZZNS1_16scan_by_key_implILNS1_25lookback_scan_determinismE0ELb1ES3_N6thrust23THRUST_200600_302600_NS6detail15normal_iteratorINS9_10device_ptrIiEEEENSB_INSC_IjEEEESE_fNS9_4plusIvEENS9_8equal_toIvEEfEE10hipError_tPvRmT2_T3_T4_T5_mT6_T7_P12ihipStream_tbENKUlT_T0_E_clISt17integral_constantIbLb1EES11_EEDaSW_SX_EUlSW_E_NS1_11comp_targetILNS1_3genE0ELNS1_11target_archE4294967295ELNS1_3gpuE0ELNS1_3repE0EEENS1_30default_config_static_selectorELNS0_4arch9wavefront6targetE0EEEvT1_,@function
_ZN7rocprim17ROCPRIM_400000_NS6detail17trampoline_kernelINS0_14default_configENS1_27scan_by_key_config_selectorIifEEZZNS1_16scan_by_key_implILNS1_25lookback_scan_determinismE0ELb1ES3_N6thrust23THRUST_200600_302600_NS6detail15normal_iteratorINS9_10device_ptrIiEEEENSB_INSC_IjEEEESE_fNS9_4plusIvEENS9_8equal_toIvEEfEE10hipError_tPvRmT2_T3_T4_T5_mT6_T7_P12ihipStream_tbENKUlT_T0_E_clISt17integral_constantIbLb1EES11_EEDaSW_SX_EUlSW_E_NS1_11comp_targetILNS1_3genE0ELNS1_11target_archE4294967295ELNS1_3gpuE0ELNS1_3repE0EEENS1_30default_config_static_selectorELNS0_4arch9wavefront6targetE0EEEvT1_: ; @_ZN7rocprim17ROCPRIM_400000_NS6detail17trampoline_kernelINS0_14default_configENS1_27scan_by_key_config_selectorIifEEZZNS1_16scan_by_key_implILNS1_25lookback_scan_determinismE0ELb1ES3_N6thrust23THRUST_200600_302600_NS6detail15normal_iteratorINS9_10device_ptrIiEEEENSB_INSC_IjEEEESE_fNS9_4plusIvEENS9_8equal_toIvEEfEE10hipError_tPvRmT2_T3_T4_T5_mT6_T7_P12ihipStream_tbENKUlT_T0_E_clISt17integral_constantIbLb1EES11_EEDaSW_SX_EUlSW_E_NS1_11comp_targetILNS1_3genE0ELNS1_11target_archE4294967295ELNS1_3gpuE0ELNS1_3repE0EEENS1_30default_config_static_selectorELNS0_4arch9wavefront6targetE0EEEvT1_
; %bb.0:
	s_endpgm
	.section	.rodata,"a",@progbits
	.p2align	6, 0x0
	.amdhsa_kernel _ZN7rocprim17ROCPRIM_400000_NS6detail17trampoline_kernelINS0_14default_configENS1_27scan_by_key_config_selectorIifEEZZNS1_16scan_by_key_implILNS1_25lookback_scan_determinismE0ELb1ES3_N6thrust23THRUST_200600_302600_NS6detail15normal_iteratorINS9_10device_ptrIiEEEENSB_INSC_IjEEEESE_fNS9_4plusIvEENS9_8equal_toIvEEfEE10hipError_tPvRmT2_T3_T4_T5_mT6_T7_P12ihipStream_tbENKUlT_T0_E_clISt17integral_constantIbLb1EES11_EEDaSW_SX_EUlSW_E_NS1_11comp_targetILNS1_3genE0ELNS1_11target_archE4294967295ELNS1_3gpuE0ELNS1_3repE0EEENS1_30default_config_static_selectorELNS0_4arch9wavefront6targetE0EEEvT1_
		.amdhsa_group_segment_fixed_size 0
		.amdhsa_private_segment_fixed_size 0
		.amdhsa_kernarg_size 112
		.amdhsa_user_sgpr_count 2
		.amdhsa_user_sgpr_dispatch_ptr 0
		.amdhsa_user_sgpr_queue_ptr 0
		.amdhsa_user_sgpr_kernarg_segment_ptr 1
		.amdhsa_user_sgpr_dispatch_id 0
		.amdhsa_user_sgpr_kernarg_preload_length 0
		.amdhsa_user_sgpr_kernarg_preload_offset 0
		.amdhsa_user_sgpr_private_segment_size 0
		.amdhsa_wavefront_size32 1
		.amdhsa_uses_dynamic_stack 0
		.amdhsa_enable_private_segment 0
		.amdhsa_system_sgpr_workgroup_id_x 1
		.amdhsa_system_sgpr_workgroup_id_y 0
		.amdhsa_system_sgpr_workgroup_id_z 0
		.amdhsa_system_sgpr_workgroup_info 0
		.amdhsa_system_vgpr_workitem_id 0
		.amdhsa_next_free_vgpr 1
		.amdhsa_next_free_sgpr 1
		.amdhsa_named_barrier_count 0
		.amdhsa_reserve_vcc 0
		.amdhsa_float_round_mode_32 0
		.amdhsa_float_round_mode_16_64 0
		.amdhsa_float_denorm_mode_32 3
		.amdhsa_float_denorm_mode_16_64 3
		.amdhsa_fp16_overflow 0
		.amdhsa_memory_ordered 1
		.amdhsa_forward_progress 1
		.amdhsa_inst_pref_size 1
		.amdhsa_round_robin_scheduling 0
		.amdhsa_exception_fp_ieee_invalid_op 0
		.amdhsa_exception_fp_denorm_src 0
		.amdhsa_exception_fp_ieee_div_zero 0
		.amdhsa_exception_fp_ieee_overflow 0
		.amdhsa_exception_fp_ieee_underflow 0
		.amdhsa_exception_fp_ieee_inexact 0
		.amdhsa_exception_int_div_zero 0
	.end_amdhsa_kernel
	.section	.text._ZN7rocprim17ROCPRIM_400000_NS6detail17trampoline_kernelINS0_14default_configENS1_27scan_by_key_config_selectorIifEEZZNS1_16scan_by_key_implILNS1_25lookback_scan_determinismE0ELb1ES3_N6thrust23THRUST_200600_302600_NS6detail15normal_iteratorINS9_10device_ptrIiEEEENSB_INSC_IjEEEESE_fNS9_4plusIvEENS9_8equal_toIvEEfEE10hipError_tPvRmT2_T3_T4_T5_mT6_T7_P12ihipStream_tbENKUlT_T0_E_clISt17integral_constantIbLb1EES11_EEDaSW_SX_EUlSW_E_NS1_11comp_targetILNS1_3genE0ELNS1_11target_archE4294967295ELNS1_3gpuE0ELNS1_3repE0EEENS1_30default_config_static_selectorELNS0_4arch9wavefront6targetE0EEEvT1_,"axG",@progbits,_ZN7rocprim17ROCPRIM_400000_NS6detail17trampoline_kernelINS0_14default_configENS1_27scan_by_key_config_selectorIifEEZZNS1_16scan_by_key_implILNS1_25lookback_scan_determinismE0ELb1ES3_N6thrust23THRUST_200600_302600_NS6detail15normal_iteratorINS9_10device_ptrIiEEEENSB_INSC_IjEEEESE_fNS9_4plusIvEENS9_8equal_toIvEEfEE10hipError_tPvRmT2_T3_T4_T5_mT6_T7_P12ihipStream_tbENKUlT_T0_E_clISt17integral_constantIbLb1EES11_EEDaSW_SX_EUlSW_E_NS1_11comp_targetILNS1_3genE0ELNS1_11target_archE4294967295ELNS1_3gpuE0ELNS1_3repE0EEENS1_30default_config_static_selectorELNS0_4arch9wavefront6targetE0EEEvT1_,comdat
.Lfunc_end1797:
	.size	_ZN7rocprim17ROCPRIM_400000_NS6detail17trampoline_kernelINS0_14default_configENS1_27scan_by_key_config_selectorIifEEZZNS1_16scan_by_key_implILNS1_25lookback_scan_determinismE0ELb1ES3_N6thrust23THRUST_200600_302600_NS6detail15normal_iteratorINS9_10device_ptrIiEEEENSB_INSC_IjEEEESE_fNS9_4plusIvEENS9_8equal_toIvEEfEE10hipError_tPvRmT2_T3_T4_T5_mT6_T7_P12ihipStream_tbENKUlT_T0_E_clISt17integral_constantIbLb1EES11_EEDaSW_SX_EUlSW_E_NS1_11comp_targetILNS1_3genE0ELNS1_11target_archE4294967295ELNS1_3gpuE0ELNS1_3repE0EEENS1_30default_config_static_selectorELNS0_4arch9wavefront6targetE0EEEvT1_, .Lfunc_end1797-_ZN7rocprim17ROCPRIM_400000_NS6detail17trampoline_kernelINS0_14default_configENS1_27scan_by_key_config_selectorIifEEZZNS1_16scan_by_key_implILNS1_25lookback_scan_determinismE0ELb1ES3_N6thrust23THRUST_200600_302600_NS6detail15normal_iteratorINS9_10device_ptrIiEEEENSB_INSC_IjEEEESE_fNS9_4plusIvEENS9_8equal_toIvEEfEE10hipError_tPvRmT2_T3_T4_T5_mT6_T7_P12ihipStream_tbENKUlT_T0_E_clISt17integral_constantIbLb1EES11_EEDaSW_SX_EUlSW_E_NS1_11comp_targetILNS1_3genE0ELNS1_11target_archE4294967295ELNS1_3gpuE0ELNS1_3repE0EEENS1_30default_config_static_selectorELNS0_4arch9wavefront6targetE0EEEvT1_
                                        ; -- End function
	.set _ZN7rocprim17ROCPRIM_400000_NS6detail17trampoline_kernelINS0_14default_configENS1_27scan_by_key_config_selectorIifEEZZNS1_16scan_by_key_implILNS1_25lookback_scan_determinismE0ELb1ES3_N6thrust23THRUST_200600_302600_NS6detail15normal_iteratorINS9_10device_ptrIiEEEENSB_INSC_IjEEEESE_fNS9_4plusIvEENS9_8equal_toIvEEfEE10hipError_tPvRmT2_T3_T4_T5_mT6_T7_P12ihipStream_tbENKUlT_T0_E_clISt17integral_constantIbLb1EES11_EEDaSW_SX_EUlSW_E_NS1_11comp_targetILNS1_3genE0ELNS1_11target_archE4294967295ELNS1_3gpuE0ELNS1_3repE0EEENS1_30default_config_static_selectorELNS0_4arch9wavefront6targetE0EEEvT1_.num_vgpr, 0
	.set _ZN7rocprim17ROCPRIM_400000_NS6detail17trampoline_kernelINS0_14default_configENS1_27scan_by_key_config_selectorIifEEZZNS1_16scan_by_key_implILNS1_25lookback_scan_determinismE0ELb1ES3_N6thrust23THRUST_200600_302600_NS6detail15normal_iteratorINS9_10device_ptrIiEEEENSB_INSC_IjEEEESE_fNS9_4plusIvEENS9_8equal_toIvEEfEE10hipError_tPvRmT2_T3_T4_T5_mT6_T7_P12ihipStream_tbENKUlT_T0_E_clISt17integral_constantIbLb1EES11_EEDaSW_SX_EUlSW_E_NS1_11comp_targetILNS1_3genE0ELNS1_11target_archE4294967295ELNS1_3gpuE0ELNS1_3repE0EEENS1_30default_config_static_selectorELNS0_4arch9wavefront6targetE0EEEvT1_.num_agpr, 0
	.set _ZN7rocprim17ROCPRIM_400000_NS6detail17trampoline_kernelINS0_14default_configENS1_27scan_by_key_config_selectorIifEEZZNS1_16scan_by_key_implILNS1_25lookback_scan_determinismE0ELb1ES3_N6thrust23THRUST_200600_302600_NS6detail15normal_iteratorINS9_10device_ptrIiEEEENSB_INSC_IjEEEESE_fNS9_4plusIvEENS9_8equal_toIvEEfEE10hipError_tPvRmT2_T3_T4_T5_mT6_T7_P12ihipStream_tbENKUlT_T0_E_clISt17integral_constantIbLb1EES11_EEDaSW_SX_EUlSW_E_NS1_11comp_targetILNS1_3genE0ELNS1_11target_archE4294967295ELNS1_3gpuE0ELNS1_3repE0EEENS1_30default_config_static_selectorELNS0_4arch9wavefront6targetE0EEEvT1_.numbered_sgpr, 0
	.set _ZN7rocprim17ROCPRIM_400000_NS6detail17trampoline_kernelINS0_14default_configENS1_27scan_by_key_config_selectorIifEEZZNS1_16scan_by_key_implILNS1_25lookback_scan_determinismE0ELb1ES3_N6thrust23THRUST_200600_302600_NS6detail15normal_iteratorINS9_10device_ptrIiEEEENSB_INSC_IjEEEESE_fNS9_4plusIvEENS9_8equal_toIvEEfEE10hipError_tPvRmT2_T3_T4_T5_mT6_T7_P12ihipStream_tbENKUlT_T0_E_clISt17integral_constantIbLb1EES11_EEDaSW_SX_EUlSW_E_NS1_11comp_targetILNS1_3genE0ELNS1_11target_archE4294967295ELNS1_3gpuE0ELNS1_3repE0EEENS1_30default_config_static_selectorELNS0_4arch9wavefront6targetE0EEEvT1_.num_named_barrier, 0
	.set _ZN7rocprim17ROCPRIM_400000_NS6detail17trampoline_kernelINS0_14default_configENS1_27scan_by_key_config_selectorIifEEZZNS1_16scan_by_key_implILNS1_25lookback_scan_determinismE0ELb1ES3_N6thrust23THRUST_200600_302600_NS6detail15normal_iteratorINS9_10device_ptrIiEEEENSB_INSC_IjEEEESE_fNS9_4plusIvEENS9_8equal_toIvEEfEE10hipError_tPvRmT2_T3_T4_T5_mT6_T7_P12ihipStream_tbENKUlT_T0_E_clISt17integral_constantIbLb1EES11_EEDaSW_SX_EUlSW_E_NS1_11comp_targetILNS1_3genE0ELNS1_11target_archE4294967295ELNS1_3gpuE0ELNS1_3repE0EEENS1_30default_config_static_selectorELNS0_4arch9wavefront6targetE0EEEvT1_.private_seg_size, 0
	.set _ZN7rocprim17ROCPRIM_400000_NS6detail17trampoline_kernelINS0_14default_configENS1_27scan_by_key_config_selectorIifEEZZNS1_16scan_by_key_implILNS1_25lookback_scan_determinismE0ELb1ES3_N6thrust23THRUST_200600_302600_NS6detail15normal_iteratorINS9_10device_ptrIiEEEENSB_INSC_IjEEEESE_fNS9_4plusIvEENS9_8equal_toIvEEfEE10hipError_tPvRmT2_T3_T4_T5_mT6_T7_P12ihipStream_tbENKUlT_T0_E_clISt17integral_constantIbLb1EES11_EEDaSW_SX_EUlSW_E_NS1_11comp_targetILNS1_3genE0ELNS1_11target_archE4294967295ELNS1_3gpuE0ELNS1_3repE0EEENS1_30default_config_static_selectorELNS0_4arch9wavefront6targetE0EEEvT1_.uses_vcc, 0
	.set _ZN7rocprim17ROCPRIM_400000_NS6detail17trampoline_kernelINS0_14default_configENS1_27scan_by_key_config_selectorIifEEZZNS1_16scan_by_key_implILNS1_25lookback_scan_determinismE0ELb1ES3_N6thrust23THRUST_200600_302600_NS6detail15normal_iteratorINS9_10device_ptrIiEEEENSB_INSC_IjEEEESE_fNS9_4plusIvEENS9_8equal_toIvEEfEE10hipError_tPvRmT2_T3_T4_T5_mT6_T7_P12ihipStream_tbENKUlT_T0_E_clISt17integral_constantIbLb1EES11_EEDaSW_SX_EUlSW_E_NS1_11comp_targetILNS1_3genE0ELNS1_11target_archE4294967295ELNS1_3gpuE0ELNS1_3repE0EEENS1_30default_config_static_selectorELNS0_4arch9wavefront6targetE0EEEvT1_.uses_flat_scratch, 0
	.set _ZN7rocprim17ROCPRIM_400000_NS6detail17trampoline_kernelINS0_14default_configENS1_27scan_by_key_config_selectorIifEEZZNS1_16scan_by_key_implILNS1_25lookback_scan_determinismE0ELb1ES3_N6thrust23THRUST_200600_302600_NS6detail15normal_iteratorINS9_10device_ptrIiEEEENSB_INSC_IjEEEESE_fNS9_4plusIvEENS9_8equal_toIvEEfEE10hipError_tPvRmT2_T3_T4_T5_mT6_T7_P12ihipStream_tbENKUlT_T0_E_clISt17integral_constantIbLb1EES11_EEDaSW_SX_EUlSW_E_NS1_11comp_targetILNS1_3genE0ELNS1_11target_archE4294967295ELNS1_3gpuE0ELNS1_3repE0EEENS1_30default_config_static_selectorELNS0_4arch9wavefront6targetE0EEEvT1_.has_dyn_sized_stack, 0
	.set _ZN7rocprim17ROCPRIM_400000_NS6detail17trampoline_kernelINS0_14default_configENS1_27scan_by_key_config_selectorIifEEZZNS1_16scan_by_key_implILNS1_25lookback_scan_determinismE0ELb1ES3_N6thrust23THRUST_200600_302600_NS6detail15normal_iteratorINS9_10device_ptrIiEEEENSB_INSC_IjEEEESE_fNS9_4plusIvEENS9_8equal_toIvEEfEE10hipError_tPvRmT2_T3_T4_T5_mT6_T7_P12ihipStream_tbENKUlT_T0_E_clISt17integral_constantIbLb1EES11_EEDaSW_SX_EUlSW_E_NS1_11comp_targetILNS1_3genE0ELNS1_11target_archE4294967295ELNS1_3gpuE0ELNS1_3repE0EEENS1_30default_config_static_selectorELNS0_4arch9wavefront6targetE0EEEvT1_.has_recursion, 0
	.set _ZN7rocprim17ROCPRIM_400000_NS6detail17trampoline_kernelINS0_14default_configENS1_27scan_by_key_config_selectorIifEEZZNS1_16scan_by_key_implILNS1_25lookback_scan_determinismE0ELb1ES3_N6thrust23THRUST_200600_302600_NS6detail15normal_iteratorINS9_10device_ptrIiEEEENSB_INSC_IjEEEESE_fNS9_4plusIvEENS9_8equal_toIvEEfEE10hipError_tPvRmT2_T3_T4_T5_mT6_T7_P12ihipStream_tbENKUlT_T0_E_clISt17integral_constantIbLb1EES11_EEDaSW_SX_EUlSW_E_NS1_11comp_targetILNS1_3genE0ELNS1_11target_archE4294967295ELNS1_3gpuE0ELNS1_3repE0EEENS1_30default_config_static_selectorELNS0_4arch9wavefront6targetE0EEEvT1_.has_indirect_call, 0
	.section	.AMDGPU.csdata,"",@progbits
; Kernel info:
; codeLenInByte = 4
; TotalNumSgprs: 0
; NumVgprs: 0
; ScratchSize: 0
; MemoryBound: 0
; FloatMode: 240
; IeeeMode: 1
; LDSByteSize: 0 bytes/workgroup (compile time only)
; SGPRBlocks: 0
; VGPRBlocks: 0
; NumSGPRsForWavesPerEU: 1
; NumVGPRsForWavesPerEU: 1
; NamedBarCnt: 0
; Occupancy: 16
; WaveLimiterHint : 0
; COMPUTE_PGM_RSRC2:SCRATCH_EN: 0
; COMPUTE_PGM_RSRC2:USER_SGPR: 2
; COMPUTE_PGM_RSRC2:TRAP_HANDLER: 0
; COMPUTE_PGM_RSRC2:TGID_X_EN: 1
; COMPUTE_PGM_RSRC2:TGID_Y_EN: 0
; COMPUTE_PGM_RSRC2:TGID_Z_EN: 0
; COMPUTE_PGM_RSRC2:TIDIG_COMP_CNT: 0
	.section	.text._ZN7rocprim17ROCPRIM_400000_NS6detail17trampoline_kernelINS0_14default_configENS1_27scan_by_key_config_selectorIifEEZZNS1_16scan_by_key_implILNS1_25lookback_scan_determinismE0ELb1ES3_N6thrust23THRUST_200600_302600_NS6detail15normal_iteratorINS9_10device_ptrIiEEEENSB_INSC_IjEEEESE_fNS9_4plusIvEENS9_8equal_toIvEEfEE10hipError_tPvRmT2_T3_T4_T5_mT6_T7_P12ihipStream_tbENKUlT_T0_E_clISt17integral_constantIbLb1EES11_EEDaSW_SX_EUlSW_E_NS1_11comp_targetILNS1_3genE10ELNS1_11target_archE1201ELNS1_3gpuE5ELNS1_3repE0EEENS1_30default_config_static_selectorELNS0_4arch9wavefront6targetE0EEEvT1_,"axG",@progbits,_ZN7rocprim17ROCPRIM_400000_NS6detail17trampoline_kernelINS0_14default_configENS1_27scan_by_key_config_selectorIifEEZZNS1_16scan_by_key_implILNS1_25lookback_scan_determinismE0ELb1ES3_N6thrust23THRUST_200600_302600_NS6detail15normal_iteratorINS9_10device_ptrIiEEEENSB_INSC_IjEEEESE_fNS9_4plusIvEENS9_8equal_toIvEEfEE10hipError_tPvRmT2_T3_T4_T5_mT6_T7_P12ihipStream_tbENKUlT_T0_E_clISt17integral_constantIbLb1EES11_EEDaSW_SX_EUlSW_E_NS1_11comp_targetILNS1_3genE10ELNS1_11target_archE1201ELNS1_3gpuE5ELNS1_3repE0EEENS1_30default_config_static_selectorELNS0_4arch9wavefront6targetE0EEEvT1_,comdat
	.protected	_ZN7rocprim17ROCPRIM_400000_NS6detail17trampoline_kernelINS0_14default_configENS1_27scan_by_key_config_selectorIifEEZZNS1_16scan_by_key_implILNS1_25lookback_scan_determinismE0ELb1ES3_N6thrust23THRUST_200600_302600_NS6detail15normal_iteratorINS9_10device_ptrIiEEEENSB_INSC_IjEEEESE_fNS9_4plusIvEENS9_8equal_toIvEEfEE10hipError_tPvRmT2_T3_T4_T5_mT6_T7_P12ihipStream_tbENKUlT_T0_E_clISt17integral_constantIbLb1EES11_EEDaSW_SX_EUlSW_E_NS1_11comp_targetILNS1_3genE10ELNS1_11target_archE1201ELNS1_3gpuE5ELNS1_3repE0EEENS1_30default_config_static_selectorELNS0_4arch9wavefront6targetE0EEEvT1_ ; -- Begin function _ZN7rocprim17ROCPRIM_400000_NS6detail17trampoline_kernelINS0_14default_configENS1_27scan_by_key_config_selectorIifEEZZNS1_16scan_by_key_implILNS1_25lookback_scan_determinismE0ELb1ES3_N6thrust23THRUST_200600_302600_NS6detail15normal_iteratorINS9_10device_ptrIiEEEENSB_INSC_IjEEEESE_fNS9_4plusIvEENS9_8equal_toIvEEfEE10hipError_tPvRmT2_T3_T4_T5_mT6_T7_P12ihipStream_tbENKUlT_T0_E_clISt17integral_constantIbLb1EES11_EEDaSW_SX_EUlSW_E_NS1_11comp_targetILNS1_3genE10ELNS1_11target_archE1201ELNS1_3gpuE5ELNS1_3repE0EEENS1_30default_config_static_selectorELNS0_4arch9wavefront6targetE0EEEvT1_
	.globl	_ZN7rocprim17ROCPRIM_400000_NS6detail17trampoline_kernelINS0_14default_configENS1_27scan_by_key_config_selectorIifEEZZNS1_16scan_by_key_implILNS1_25lookback_scan_determinismE0ELb1ES3_N6thrust23THRUST_200600_302600_NS6detail15normal_iteratorINS9_10device_ptrIiEEEENSB_INSC_IjEEEESE_fNS9_4plusIvEENS9_8equal_toIvEEfEE10hipError_tPvRmT2_T3_T4_T5_mT6_T7_P12ihipStream_tbENKUlT_T0_E_clISt17integral_constantIbLb1EES11_EEDaSW_SX_EUlSW_E_NS1_11comp_targetILNS1_3genE10ELNS1_11target_archE1201ELNS1_3gpuE5ELNS1_3repE0EEENS1_30default_config_static_selectorELNS0_4arch9wavefront6targetE0EEEvT1_
	.p2align	8
	.type	_ZN7rocprim17ROCPRIM_400000_NS6detail17trampoline_kernelINS0_14default_configENS1_27scan_by_key_config_selectorIifEEZZNS1_16scan_by_key_implILNS1_25lookback_scan_determinismE0ELb1ES3_N6thrust23THRUST_200600_302600_NS6detail15normal_iteratorINS9_10device_ptrIiEEEENSB_INSC_IjEEEESE_fNS9_4plusIvEENS9_8equal_toIvEEfEE10hipError_tPvRmT2_T3_T4_T5_mT6_T7_P12ihipStream_tbENKUlT_T0_E_clISt17integral_constantIbLb1EES11_EEDaSW_SX_EUlSW_E_NS1_11comp_targetILNS1_3genE10ELNS1_11target_archE1201ELNS1_3gpuE5ELNS1_3repE0EEENS1_30default_config_static_selectorELNS0_4arch9wavefront6targetE0EEEvT1_,@function
_ZN7rocprim17ROCPRIM_400000_NS6detail17trampoline_kernelINS0_14default_configENS1_27scan_by_key_config_selectorIifEEZZNS1_16scan_by_key_implILNS1_25lookback_scan_determinismE0ELb1ES3_N6thrust23THRUST_200600_302600_NS6detail15normal_iteratorINS9_10device_ptrIiEEEENSB_INSC_IjEEEESE_fNS9_4plusIvEENS9_8equal_toIvEEfEE10hipError_tPvRmT2_T3_T4_T5_mT6_T7_P12ihipStream_tbENKUlT_T0_E_clISt17integral_constantIbLb1EES11_EEDaSW_SX_EUlSW_E_NS1_11comp_targetILNS1_3genE10ELNS1_11target_archE1201ELNS1_3gpuE5ELNS1_3repE0EEENS1_30default_config_static_selectorELNS0_4arch9wavefront6targetE0EEEvT1_: ; @_ZN7rocprim17ROCPRIM_400000_NS6detail17trampoline_kernelINS0_14default_configENS1_27scan_by_key_config_selectorIifEEZZNS1_16scan_by_key_implILNS1_25lookback_scan_determinismE0ELb1ES3_N6thrust23THRUST_200600_302600_NS6detail15normal_iteratorINS9_10device_ptrIiEEEENSB_INSC_IjEEEESE_fNS9_4plusIvEENS9_8equal_toIvEEfEE10hipError_tPvRmT2_T3_T4_T5_mT6_T7_P12ihipStream_tbENKUlT_T0_E_clISt17integral_constantIbLb1EES11_EEDaSW_SX_EUlSW_E_NS1_11comp_targetILNS1_3genE10ELNS1_11target_archE1201ELNS1_3gpuE5ELNS1_3repE0EEENS1_30default_config_static_selectorELNS0_4arch9wavefront6targetE0EEEvT1_
; %bb.0:
	.section	.rodata,"a",@progbits
	.p2align	6, 0x0
	.amdhsa_kernel _ZN7rocprim17ROCPRIM_400000_NS6detail17trampoline_kernelINS0_14default_configENS1_27scan_by_key_config_selectorIifEEZZNS1_16scan_by_key_implILNS1_25lookback_scan_determinismE0ELb1ES3_N6thrust23THRUST_200600_302600_NS6detail15normal_iteratorINS9_10device_ptrIiEEEENSB_INSC_IjEEEESE_fNS9_4plusIvEENS9_8equal_toIvEEfEE10hipError_tPvRmT2_T3_T4_T5_mT6_T7_P12ihipStream_tbENKUlT_T0_E_clISt17integral_constantIbLb1EES11_EEDaSW_SX_EUlSW_E_NS1_11comp_targetILNS1_3genE10ELNS1_11target_archE1201ELNS1_3gpuE5ELNS1_3repE0EEENS1_30default_config_static_selectorELNS0_4arch9wavefront6targetE0EEEvT1_
		.amdhsa_group_segment_fixed_size 0
		.amdhsa_private_segment_fixed_size 0
		.amdhsa_kernarg_size 112
		.amdhsa_user_sgpr_count 2
		.amdhsa_user_sgpr_dispatch_ptr 0
		.amdhsa_user_sgpr_queue_ptr 0
		.amdhsa_user_sgpr_kernarg_segment_ptr 1
		.amdhsa_user_sgpr_dispatch_id 0
		.amdhsa_user_sgpr_kernarg_preload_length 0
		.amdhsa_user_sgpr_kernarg_preload_offset 0
		.amdhsa_user_sgpr_private_segment_size 0
		.amdhsa_wavefront_size32 1
		.amdhsa_uses_dynamic_stack 0
		.amdhsa_enable_private_segment 0
		.amdhsa_system_sgpr_workgroup_id_x 1
		.amdhsa_system_sgpr_workgroup_id_y 0
		.amdhsa_system_sgpr_workgroup_id_z 0
		.amdhsa_system_sgpr_workgroup_info 0
		.amdhsa_system_vgpr_workitem_id 0
		.amdhsa_next_free_vgpr 1
		.amdhsa_next_free_sgpr 1
		.amdhsa_named_barrier_count 0
		.amdhsa_reserve_vcc 0
		.amdhsa_float_round_mode_32 0
		.amdhsa_float_round_mode_16_64 0
		.amdhsa_float_denorm_mode_32 3
		.amdhsa_float_denorm_mode_16_64 3
		.amdhsa_fp16_overflow 0
		.amdhsa_memory_ordered 1
		.amdhsa_forward_progress 1
		.amdhsa_inst_pref_size 0
		.amdhsa_round_robin_scheduling 0
		.amdhsa_exception_fp_ieee_invalid_op 0
		.amdhsa_exception_fp_denorm_src 0
		.amdhsa_exception_fp_ieee_div_zero 0
		.amdhsa_exception_fp_ieee_overflow 0
		.amdhsa_exception_fp_ieee_underflow 0
		.amdhsa_exception_fp_ieee_inexact 0
		.amdhsa_exception_int_div_zero 0
	.end_amdhsa_kernel
	.section	.text._ZN7rocprim17ROCPRIM_400000_NS6detail17trampoline_kernelINS0_14default_configENS1_27scan_by_key_config_selectorIifEEZZNS1_16scan_by_key_implILNS1_25lookback_scan_determinismE0ELb1ES3_N6thrust23THRUST_200600_302600_NS6detail15normal_iteratorINS9_10device_ptrIiEEEENSB_INSC_IjEEEESE_fNS9_4plusIvEENS9_8equal_toIvEEfEE10hipError_tPvRmT2_T3_T4_T5_mT6_T7_P12ihipStream_tbENKUlT_T0_E_clISt17integral_constantIbLb1EES11_EEDaSW_SX_EUlSW_E_NS1_11comp_targetILNS1_3genE10ELNS1_11target_archE1201ELNS1_3gpuE5ELNS1_3repE0EEENS1_30default_config_static_selectorELNS0_4arch9wavefront6targetE0EEEvT1_,"axG",@progbits,_ZN7rocprim17ROCPRIM_400000_NS6detail17trampoline_kernelINS0_14default_configENS1_27scan_by_key_config_selectorIifEEZZNS1_16scan_by_key_implILNS1_25lookback_scan_determinismE0ELb1ES3_N6thrust23THRUST_200600_302600_NS6detail15normal_iteratorINS9_10device_ptrIiEEEENSB_INSC_IjEEEESE_fNS9_4plusIvEENS9_8equal_toIvEEfEE10hipError_tPvRmT2_T3_T4_T5_mT6_T7_P12ihipStream_tbENKUlT_T0_E_clISt17integral_constantIbLb1EES11_EEDaSW_SX_EUlSW_E_NS1_11comp_targetILNS1_3genE10ELNS1_11target_archE1201ELNS1_3gpuE5ELNS1_3repE0EEENS1_30default_config_static_selectorELNS0_4arch9wavefront6targetE0EEEvT1_,comdat
.Lfunc_end1798:
	.size	_ZN7rocprim17ROCPRIM_400000_NS6detail17trampoline_kernelINS0_14default_configENS1_27scan_by_key_config_selectorIifEEZZNS1_16scan_by_key_implILNS1_25lookback_scan_determinismE0ELb1ES3_N6thrust23THRUST_200600_302600_NS6detail15normal_iteratorINS9_10device_ptrIiEEEENSB_INSC_IjEEEESE_fNS9_4plusIvEENS9_8equal_toIvEEfEE10hipError_tPvRmT2_T3_T4_T5_mT6_T7_P12ihipStream_tbENKUlT_T0_E_clISt17integral_constantIbLb1EES11_EEDaSW_SX_EUlSW_E_NS1_11comp_targetILNS1_3genE10ELNS1_11target_archE1201ELNS1_3gpuE5ELNS1_3repE0EEENS1_30default_config_static_selectorELNS0_4arch9wavefront6targetE0EEEvT1_, .Lfunc_end1798-_ZN7rocprim17ROCPRIM_400000_NS6detail17trampoline_kernelINS0_14default_configENS1_27scan_by_key_config_selectorIifEEZZNS1_16scan_by_key_implILNS1_25lookback_scan_determinismE0ELb1ES3_N6thrust23THRUST_200600_302600_NS6detail15normal_iteratorINS9_10device_ptrIiEEEENSB_INSC_IjEEEESE_fNS9_4plusIvEENS9_8equal_toIvEEfEE10hipError_tPvRmT2_T3_T4_T5_mT6_T7_P12ihipStream_tbENKUlT_T0_E_clISt17integral_constantIbLb1EES11_EEDaSW_SX_EUlSW_E_NS1_11comp_targetILNS1_3genE10ELNS1_11target_archE1201ELNS1_3gpuE5ELNS1_3repE0EEENS1_30default_config_static_selectorELNS0_4arch9wavefront6targetE0EEEvT1_
                                        ; -- End function
	.set _ZN7rocprim17ROCPRIM_400000_NS6detail17trampoline_kernelINS0_14default_configENS1_27scan_by_key_config_selectorIifEEZZNS1_16scan_by_key_implILNS1_25lookback_scan_determinismE0ELb1ES3_N6thrust23THRUST_200600_302600_NS6detail15normal_iteratorINS9_10device_ptrIiEEEENSB_INSC_IjEEEESE_fNS9_4plusIvEENS9_8equal_toIvEEfEE10hipError_tPvRmT2_T3_T4_T5_mT6_T7_P12ihipStream_tbENKUlT_T0_E_clISt17integral_constantIbLb1EES11_EEDaSW_SX_EUlSW_E_NS1_11comp_targetILNS1_3genE10ELNS1_11target_archE1201ELNS1_3gpuE5ELNS1_3repE0EEENS1_30default_config_static_selectorELNS0_4arch9wavefront6targetE0EEEvT1_.num_vgpr, 0
	.set _ZN7rocprim17ROCPRIM_400000_NS6detail17trampoline_kernelINS0_14default_configENS1_27scan_by_key_config_selectorIifEEZZNS1_16scan_by_key_implILNS1_25lookback_scan_determinismE0ELb1ES3_N6thrust23THRUST_200600_302600_NS6detail15normal_iteratorINS9_10device_ptrIiEEEENSB_INSC_IjEEEESE_fNS9_4plusIvEENS9_8equal_toIvEEfEE10hipError_tPvRmT2_T3_T4_T5_mT6_T7_P12ihipStream_tbENKUlT_T0_E_clISt17integral_constantIbLb1EES11_EEDaSW_SX_EUlSW_E_NS1_11comp_targetILNS1_3genE10ELNS1_11target_archE1201ELNS1_3gpuE5ELNS1_3repE0EEENS1_30default_config_static_selectorELNS0_4arch9wavefront6targetE0EEEvT1_.num_agpr, 0
	.set _ZN7rocprim17ROCPRIM_400000_NS6detail17trampoline_kernelINS0_14default_configENS1_27scan_by_key_config_selectorIifEEZZNS1_16scan_by_key_implILNS1_25lookback_scan_determinismE0ELb1ES3_N6thrust23THRUST_200600_302600_NS6detail15normal_iteratorINS9_10device_ptrIiEEEENSB_INSC_IjEEEESE_fNS9_4plusIvEENS9_8equal_toIvEEfEE10hipError_tPvRmT2_T3_T4_T5_mT6_T7_P12ihipStream_tbENKUlT_T0_E_clISt17integral_constantIbLb1EES11_EEDaSW_SX_EUlSW_E_NS1_11comp_targetILNS1_3genE10ELNS1_11target_archE1201ELNS1_3gpuE5ELNS1_3repE0EEENS1_30default_config_static_selectorELNS0_4arch9wavefront6targetE0EEEvT1_.numbered_sgpr, 0
	.set _ZN7rocprim17ROCPRIM_400000_NS6detail17trampoline_kernelINS0_14default_configENS1_27scan_by_key_config_selectorIifEEZZNS1_16scan_by_key_implILNS1_25lookback_scan_determinismE0ELb1ES3_N6thrust23THRUST_200600_302600_NS6detail15normal_iteratorINS9_10device_ptrIiEEEENSB_INSC_IjEEEESE_fNS9_4plusIvEENS9_8equal_toIvEEfEE10hipError_tPvRmT2_T3_T4_T5_mT6_T7_P12ihipStream_tbENKUlT_T0_E_clISt17integral_constantIbLb1EES11_EEDaSW_SX_EUlSW_E_NS1_11comp_targetILNS1_3genE10ELNS1_11target_archE1201ELNS1_3gpuE5ELNS1_3repE0EEENS1_30default_config_static_selectorELNS0_4arch9wavefront6targetE0EEEvT1_.num_named_barrier, 0
	.set _ZN7rocprim17ROCPRIM_400000_NS6detail17trampoline_kernelINS0_14default_configENS1_27scan_by_key_config_selectorIifEEZZNS1_16scan_by_key_implILNS1_25lookback_scan_determinismE0ELb1ES3_N6thrust23THRUST_200600_302600_NS6detail15normal_iteratorINS9_10device_ptrIiEEEENSB_INSC_IjEEEESE_fNS9_4plusIvEENS9_8equal_toIvEEfEE10hipError_tPvRmT2_T3_T4_T5_mT6_T7_P12ihipStream_tbENKUlT_T0_E_clISt17integral_constantIbLb1EES11_EEDaSW_SX_EUlSW_E_NS1_11comp_targetILNS1_3genE10ELNS1_11target_archE1201ELNS1_3gpuE5ELNS1_3repE0EEENS1_30default_config_static_selectorELNS0_4arch9wavefront6targetE0EEEvT1_.private_seg_size, 0
	.set _ZN7rocprim17ROCPRIM_400000_NS6detail17trampoline_kernelINS0_14default_configENS1_27scan_by_key_config_selectorIifEEZZNS1_16scan_by_key_implILNS1_25lookback_scan_determinismE0ELb1ES3_N6thrust23THRUST_200600_302600_NS6detail15normal_iteratorINS9_10device_ptrIiEEEENSB_INSC_IjEEEESE_fNS9_4plusIvEENS9_8equal_toIvEEfEE10hipError_tPvRmT2_T3_T4_T5_mT6_T7_P12ihipStream_tbENKUlT_T0_E_clISt17integral_constantIbLb1EES11_EEDaSW_SX_EUlSW_E_NS1_11comp_targetILNS1_3genE10ELNS1_11target_archE1201ELNS1_3gpuE5ELNS1_3repE0EEENS1_30default_config_static_selectorELNS0_4arch9wavefront6targetE0EEEvT1_.uses_vcc, 0
	.set _ZN7rocprim17ROCPRIM_400000_NS6detail17trampoline_kernelINS0_14default_configENS1_27scan_by_key_config_selectorIifEEZZNS1_16scan_by_key_implILNS1_25lookback_scan_determinismE0ELb1ES3_N6thrust23THRUST_200600_302600_NS6detail15normal_iteratorINS9_10device_ptrIiEEEENSB_INSC_IjEEEESE_fNS9_4plusIvEENS9_8equal_toIvEEfEE10hipError_tPvRmT2_T3_T4_T5_mT6_T7_P12ihipStream_tbENKUlT_T0_E_clISt17integral_constantIbLb1EES11_EEDaSW_SX_EUlSW_E_NS1_11comp_targetILNS1_3genE10ELNS1_11target_archE1201ELNS1_3gpuE5ELNS1_3repE0EEENS1_30default_config_static_selectorELNS0_4arch9wavefront6targetE0EEEvT1_.uses_flat_scratch, 0
	.set _ZN7rocprim17ROCPRIM_400000_NS6detail17trampoline_kernelINS0_14default_configENS1_27scan_by_key_config_selectorIifEEZZNS1_16scan_by_key_implILNS1_25lookback_scan_determinismE0ELb1ES3_N6thrust23THRUST_200600_302600_NS6detail15normal_iteratorINS9_10device_ptrIiEEEENSB_INSC_IjEEEESE_fNS9_4plusIvEENS9_8equal_toIvEEfEE10hipError_tPvRmT2_T3_T4_T5_mT6_T7_P12ihipStream_tbENKUlT_T0_E_clISt17integral_constantIbLb1EES11_EEDaSW_SX_EUlSW_E_NS1_11comp_targetILNS1_3genE10ELNS1_11target_archE1201ELNS1_3gpuE5ELNS1_3repE0EEENS1_30default_config_static_selectorELNS0_4arch9wavefront6targetE0EEEvT1_.has_dyn_sized_stack, 0
	.set _ZN7rocprim17ROCPRIM_400000_NS6detail17trampoline_kernelINS0_14default_configENS1_27scan_by_key_config_selectorIifEEZZNS1_16scan_by_key_implILNS1_25lookback_scan_determinismE0ELb1ES3_N6thrust23THRUST_200600_302600_NS6detail15normal_iteratorINS9_10device_ptrIiEEEENSB_INSC_IjEEEESE_fNS9_4plusIvEENS9_8equal_toIvEEfEE10hipError_tPvRmT2_T3_T4_T5_mT6_T7_P12ihipStream_tbENKUlT_T0_E_clISt17integral_constantIbLb1EES11_EEDaSW_SX_EUlSW_E_NS1_11comp_targetILNS1_3genE10ELNS1_11target_archE1201ELNS1_3gpuE5ELNS1_3repE0EEENS1_30default_config_static_selectorELNS0_4arch9wavefront6targetE0EEEvT1_.has_recursion, 0
	.set _ZN7rocprim17ROCPRIM_400000_NS6detail17trampoline_kernelINS0_14default_configENS1_27scan_by_key_config_selectorIifEEZZNS1_16scan_by_key_implILNS1_25lookback_scan_determinismE0ELb1ES3_N6thrust23THRUST_200600_302600_NS6detail15normal_iteratorINS9_10device_ptrIiEEEENSB_INSC_IjEEEESE_fNS9_4plusIvEENS9_8equal_toIvEEfEE10hipError_tPvRmT2_T3_T4_T5_mT6_T7_P12ihipStream_tbENKUlT_T0_E_clISt17integral_constantIbLb1EES11_EEDaSW_SX_EUlSW_E_NS1_11comp_targetILNS1_3genE10ELNS1_11target_archE1201ELNS1_3gpuE5ELNS1_3repE0EEENS1_30default_config_static_selectorELNS0_4arch9wavefront6targetE0EEEvT1_.has_indirect_call, 0
	.section	.AMDGPU.csdata,"",@progbits
; Kernel info:
; codeLenInByte = 0
; TotalNumSgprs: 0
; NumVgprs: 0
; ScratchSize: 0
; MemoryBound: 0
; FloatMode: 240
; IeeeMode: 1
; LDSByteSize: 0 bytes/workgroup (compile time only)
; SGPRBlocks: 0
; VGPRBlocks: 0
; NumSGPRsForWavesPerEU: 1
; NumVGPRsForWavesPerEU: 1
; NamedBarCnt: 0
; Occupancy: 16
; WaveLimiterHint : 0
; COMPUTE_PGM_RSRC2:SCRATCH_EN: 0
; COMPUTE_PGM_RSRC2:USER_SGPR: 2
; COMPUTE_PGM_RSRC2:TRAP_HANDLER: 0
; COMPUTE_PGM_RSRC2:TGID_X_EN: 1
; COMPUTE_PGM_RSRC2:TGID_Y_EN: 0
; COMPUTE_PGM_RSRC2:TGID_Z_EN: 0
; COMPUTE_PGM_RSRC2:TIDIG_COMP_CNT: 0
	.section	.text._ZN7rocprim17ROCPRIM_400000_NS6detail17trampoline_kernelINS0_14default_configENS1_27scan_by_key_config_selectorIifEEZZNS1_16scan_by_key_implILNS1_25lookback_scan_determinismE0ELb1ES3_N6thrust23THRUST_200600_302600_NS6detail15normal_iteratorINS9_10device_ptrIiEEEENSB_INSC_IjEEEESE_fNS9_4plusIvEENS9_8equal_toIvEEfEE10hipError_tPvRmT2_T3_T4_T5_mT6_T7_P12ihipStream_tbENKUlT_T0_E_clISt17integral_constantIbLb1EES11_EEDaSW_SX_EUlSW_E_NS1_11comp_targetILNS1_3genE5ELNS1_11target_archE942ELNS1_3gpuE9ELNS1_3repE0EEENS1_30default_config_static_selectorELNS0_4arch9wavefront6targetE0EEEvT1_,"axG",@progbits,_ZN7rocprim17ROCPRIM_400000_NS6detail17trampoline_kernelINS0_14default_configENS1_27scan_by_key_config_selectorIifEEZZNS1_16scan_by_key_implILNS1_25lookback_scan_determinismE0ELb1ES3_N6thrust23THRUST_200600_302600_NS6detail15normal_iteratorINS9_10device_ptrIiEEEENSB_INSC_IjEEEESE_fNS9_4plusIvEENS9_8equal_toIvEEfEE10hipError_tPvRmT2_T3_T4_T5_mT6_T7_P12ihipStream_tbENKUlT_T0_E_clISt17integral_constantIbLb1EES11_EEDaSW_SX_EUlSW_E_NS1_11comp_targetILNS1_3genE5ELNS1_11target_archE942ELNS1_3gpuE9ELNS1_3repE0EEENS1_30default_config_static_selectorELNS0_4arch9wavefront6targetE0EEEvT1_,comdat
	.protected	_ZN7rocprim17ROCPRIM_400000_NS6detail17trampoline_kernelINS0_14default_configENS1_27scan_by_key_config_selectorIifEEZZNS1_16scan_by_key_implILNS1_25lookback_scan_determinismE0ELb1ES3_N6thrust23THRUST_200600_302600_NS6detail15normal_iteratorINS9_10device_ptrIiEEEENSB_INSC_IjEEEESE_fNS9_4plusIvEENS9_8equal_toIvEEfEE10hipError_tPvRmT2_T3_T4_T5_mT6_T7_P12ihipStream_tbENKUlT_T0_E_clISt17integral_constantIbLb1EES11_EEDaSW_SX_EUlSW_E_NS1_11comp_targetILNS1_3genE5ELNS1_11target_archE942ELNS1_3gpuE9ELNS1_3repE0EEENS1_30default_config_static_selectorELNS0_4arch9wavefront6targetE0EEEvT1_ ; -- Begin function _ZN7rocprim17ROCPRIM_400000_NS6detail17trampoline_kernelINS0_14default_configENS1_27scan_by_key_config_selectorIifEEZZNS1_16scan_by_key_implILNS1_25lookback_scan_determinismE0ELb1ES3_N6thrust23THRUST_200600_302600_NS6detail15normal_iteratorINS9_10device_ptrIiEEEENSB_INSC_IjEEEESE_fNS9_4plusIvEENS9_8equal_toIvEEfEE10hipError_tPvRmT2_T3_T4_T5_mT6_T7_P12ihipStream_tbENKUlT_T0_E_clISt17integral_constantIbLb1EES11_EEDaSW_SX_EUlSW_E_NS1_11comp_targetILNS1_3genE5ELNS1_11target_archE942ELNS1_3gpuE9ELNS1_3repE0EEENS1_30default_config_static_selectorELNS0_4arch9wavefront6targetE0EEEvT1_
	.globl	_ZN7rocprim17ROCPRIM_400000_NS6detail17trampoline_kernelINS0_14default_configENS1_27scan_by_key_config_selectorIifEEZZNS1_16scan_by_key_implILNS1_25lookback_scan_determinismE0ELb1ES3_N6thrust23THRUST_200600_302600_NS6detail15normal_iteratorINS9_10device_ptrIiEEEENSB_INSC_IjEEEESE_fNS9_4plusIvEENS9_8equal_toIvEEfEE10hipError_tPvRmT2_T3_T4_T5_mT6_T7_P12ihipStream_tbENKUlT_T0_E_clISt17integral_constantIbLb1EES11_EEDaSW_SX_EUlSW_E_NS1_11comp_targetILNS1_3genE5ELNS1_11target_archE942ELNS1_3gpuE9ELNS1_3repE0EEENS1_30default_config_static_selectorELNS0_4arch9wavefront6targetE0EEEvT1_
	.p2align	8
	.type	_ZN7rocprim17ROCPRIM_400000_NS6detail17trampoline_kernelINS0_14default_configENS1_27scan_by_key_config_selectorIifEEZZNS1_16scan_by_key_implILNS1_25lookback_scan_determinismE0ELb1ES3_N6thrust23THRUST_200600_302600_NS6detail15normal_iteratorINS9_10device_ptrIiEEEENSB_INSC_IjEEEESE_fNS9_4plusIvEENS9_8equal_toIvEEfEE10hipError_tPvRmT2_T3_T4_T5_mT6_T7_P12ihipStream_tbENKUlT_T0_E_clISt17integral_constantIbLb1EES11_EEDaSW_SX_EUlSW_E_NS1_11comp_targetILNS1_3genE5ELNS1_11target_archE942ELNS1_3gpuE9ELNS1_3repE0EEENS1_30default_config_static_selectorELNS0_4arch9wavefront6targetE0EEEvT1_,@function
_ZN7rocprim17ROCPRIM_400000_NS6detail17trampoline_kernelINS0_14default_configENS1_27scan_by_key_config_selectorIifEEZZNS1_16scan_by_key_implILNS1_25lookback_scan_determinismE0ELb1ES3_N6thrust23THRUST_200600_302600_NS6detail15normal_iteratorINS9_10device_ptrIiEEEENSB_INSC_IjEEEESE_fNS9_4plusIvEENS9_8equal_toIvEEfEE10hipError_tPvRmT2_T3_T4_T5_mT6_T7_P12ihipStream_tbENKUlT_T0_E_clISt17integral_constantIbLb1EES11_EEDaSW_SX_EUlSW_E_NS1_11comp_targetILNS1_3genE5ELNS1_11target_archE942ELNS1_3gpuE9ELNS1_3repE0EEENS1_30default_config_static_selectorELNS0_4arch9wavefront6targetE0EEEvT1_: ; @_ZN7rocprim17ROCPRIM_400000_NS6detail17trampoline_kernelINS0_14default_configENS1_27scan_by_key_config_selectorIifEEZZNS1_16scan_by_key_implILNS1_25lookback_scan_determinismE0ELb1ES3_N6thrust23THRUST_200600_302600_NS6detail15normal_iteratorINS9_10device_ptrIiEEEENSB_INSC_IjEEEESE_fNS9_4plusIvEENS9_8equal_toIvEEfEE10hipError_tPvRmT2_T3_T4_T5_mT6_T7_P12ihipStream_tbENKUlT_T0_E_clISt17integral_constantIbLb1EES11_EEDaSW_SX_EUlSW_E_NS1_11comp_targetILNS1_3genE5ELNS1_11target_archE942ELNS1_3gpuE9ELNS1_3repE0EEENS1_30default_config_static_selectorELNS0_4arch9wavefront6targetE0EEEvT1_
; %bb.0:
	.section	.rodata,"a",@progbits
	.p2align	6, 0x0
	.amdhsa_kernel _ZN7rocprim17ROCPRIM_400000_NS6detail17trampoline_kernelINS0_14default_configENS1_27scan_by_key_config_selectorIifEEZZNS1_16scan_by_key_implILNS1_25lookback_scan_determinismE0ELb1ES3_N6thrust23THRUST_200600_302600_NS6detail15normal_iteratorINS9_10device_ptrIiEEEENSB_INSC_IjEEEESE_fNS9_4plusIvEENS9_8equal_toIvEEfEE10hipError_tPvRmT2_T3_T4_T5_mT6_T7_P12ihipStream_tbENKUlT_T0_E_clISt17integral_constantIbLb1EES11_EEDaSW_SX_EUlSW_E_NS1_11comp_targetILNS1_3genE5ELNS1_11target_archE942ELNS1_3gpuE9ELNS1_3repE0EEENS1_30default_config_static_selectorELNS0_4arch9wavefront6targetE0EEEvT1_
		.amdhsa_group_segment_fixed_size 0
		.amdhsa_private_segment_fixed_size 0
		.amdhsa_kernarg_size 112
		.amdhsa_user_sgpr_count 2
		.amdhsa_user_sgpr_dispatch_ptr 0
		.amdhsa_user_sgpr_queue_ptr 0
		.amdhsa_user_sgpr_kernarg_segment_ptr 1
		.amdhsa_user_sgpr_dispatch_id 0
		.amdhsa_user_sgpr_kernarg_preload_length 0
		.amdhsa_user_sgpr_kernarg_preload_offset 0
		.amdhsa_user_sgpr_private_segment_size 0
		.amdhsa_wavefront_size32 1
		.amdhsa_uses_dynamic_stack 0
		.amdhsa_enable_private_segment 0
		.amdhsa_system_sgpr_workgroup_id_x 1
		.amdhsa_system_sgpr_workgroup_id_y 0
		.amdhsa_system_sgpr_workgroup_id_z 0
		.amdhsa_system_sgpr_workgroup_info 0
		.amdhsa_system_vgpr_workitem_id 0
		.amdhsa_next_free_vgpr 1
		.amdhsa_next_free_sgpr 1
		.amdhsa_named_barrier_count 0
		.amdhsa_reserve_vcc 0
		.amdhsa_float_round_mode_32 0
		.amdhsa_float_round_mode_16_64 0
		.amdhsa_float_denorm_mode_32 3
		.amdhsa_float_denorm_mode_16_64 3
		.amdhsa_fp16_overflow 0
		.amdhsa_memory_ordered 1
		.amdhsa_forward_progress 1
		.amdhsa_inst_pref_size 0
		.amdhsa_round_robin_scheduling 0
		.amdhsa_exception_fp_ieee_invalid_op 0
		.amdhsa_exception_fp_denorm_src 0
		.amdhsa_exception_fp_ieee_div_zero 0
		.amdhsa_exception_fp_ieee_overflow 0
		.amdhsa_exception_fp_ieee_underflow 0
		.amdhsa_exception_fp_ieee_inexact 0
		.amdhsa_exception_int_div_zero 0
	.end_amdhsa_kernel
	.section	.text._ZN7rocprim17ROCPRIM_400000_NS6detail17trampoline_kernelINS0_14default_configENS1_27scan_by_key_config_selectorIifEEZZNS1_16scan_by_key_implILNS1_25lookback_scan_determinismE0ELb1ES3_N6thrust23THRUST_200600_302600_NS6detail15normal_iteratorINS9_10device_ptrIiEEEENSB_INSC_IjEEEESE_fNS9_4plusIvEENS9_8equal_toIvEEfEE10hipError_tPvRmT2_T3_T4_T5_mT6_T7_P12ihipStream_tbENKUlT_T0_E_clISt17integral_constantIbLb1EES11_EEDaSW_SX_EUlSW_E_NS1_11comp_targetILNS1_3genE5ELNS1_11target_archE942ELNS1_3gpuE9ELNS1_3repE0EEENS1_30default_config_static_selectorELNS0_4arch9wavefront6targetE0EEEvT1_,"axG",@progbits,_ZN7rocprim17ROCPRIM_400000_NS6detail17trampoline_kernelINS0_14default_configENS1_27scan_by_key_config_selectorIifEEZZNS1_16scan_by_key_implILNS1_25lookback_scan_determinismE0ELb1ES3_N6thrust23THRUST_200600_302600_NS6detail15normal_iteratorINS9_10device_ptrIiEEEENSB_INSC_IjEEEESE_fNS9_4plusIvEENS9_8equal_toIvEEfEE10hipError_tPvRmT2_T3_T4_T5_mT6_T7_P12ihipStream_tbENKUlT_T0_E_clISt17integral_constantIbLb1EES11_EEDaSW_SX_EUlSW_E_NS1_11comp_targetILNS1_3genE5ELNS1_11target_archE942ELNS1_3gpuE9ELNS1_3repE0EEENS1_30default_config_static_selectorELNS0_4arch9wavefront6targetE0EEEvT1_,comdat
.Lfunc_end1799:
	.size	_ZN7rocprim17ROCPRIM_400000_NS6detail17trampoline_kernelINS0_14default_configENS1_27scan_by_key_config_selectorIifEEZZNS1_16scan_by_key_implILNS1_25lookback_scan_determinismE0ELb1ES3_N6thrust23THRUST_200600_302600_NS6detail15normal_iteratorINS9_10device_ptrIiEEEENSB_INSC_IjEEEESE_fNS9_4plusIvEENS9_8equal_toIvEEfEE10hipError_tPvRmT2_T3_T4_T5_mT6_T7_P12ihipStream_tbENKUlT_T0_E_clISt17integral_constantIbLb1EES11_EEDaSW_SX_EUlSW_E_NS1_11comp_targetILNS1_3genE5ELNS1_11target_archE942ELNS1_3gpuE9ELNS1_3repE0EEENS1_30default_config_static_selectorELNS0_4arch9wavefront6targetE0EEEvT1_, .Lfunc_end1799-_ZN7rocprim17ROCPRIM_400000_NS6detail17trampoline_kernelINS0_14default_configENS1_27scan_by_key_config_selectorIifEEZZNS1_16scan_by_key_implILNS1_25lookback_scan_determinismE0ELb1ES3_N6thrust23THRUST_200600_302600_NS6detail15normal_iteratorINS9_10device_ptrIiEEEENSB_INSC_IjEEEESE_fNS9_4plusIvEENS9_8equal_toIvEEfEE10hipError_tPvRmT2_T3_T4_T5_mT6_T7_P12ihipStream_tbENKUlT_T0_E_clISt17integral_constantIbLb1EES11_EEDaSW_SX_EUlSW_E_NS1_11comp_targetILNS1_3genE5ELNS1_11target_archE942ELNS1_3gpuE9ELNS1_3repE0EEENS1_30default_config_static_selectorELNS0_4arch9wavefront6targetE0EEEvT1_
                                        ; -- End function
	.set _ZN7rocprim17ROCPRIM_400000_NS6detail17trampoline_kernelINS0_14default_configENS1_27scan_by_key_config_selectorIifEEZZNS1_16scan_by_key_implILNS1_25lookback_scan_determinismE0ELb1ES3_N6thrust23THRUST_200600_302600_NS6detail15normal_iteratorINS9_10device_ptrIiEEEENSB_INSC_IjEEEESE_fNS9_4plusIvEENS9_8equal_toIvEEfEE10hipError_tPvRmT2_T3_T4_T5_mT6_T7_P12ihipStream_tbENKUlT_T0_E_clISt17integral_constantIbLb1EES11_EEDaSW_SX_EUlSW_E_NS1_11comp_targetILNS1_3genE5ELNS1_11target_archE942ELNS1_3gpuE9ELNS1_3repE0EEENS1_30default_config_static_selectorELNS0_4arch9wavefront6targetE0EEEvT1_.num_vgpr, 0
	.set _ZN7rocprim17ROCPRIM_400000_NS6detail17trampoline_kernelINS0_14default_configENS1_27scan_by_key_config_selectorIifEEZZNS1_16scan_by_key_implILNS1_25lookback_scan_determinismE0ELb1ES3_N6thrust23THRUST_200600_302600_NS6detail15normal_iteratorINS9_10device_ptrIiEEEENSB_INSC_IjEEEESE_fNS9_4plusIvEENS9_8equal_toIvEEfEE10hipError_tPvRmT2_T3_T4_T5_mT6_T7_P12ihipStream_tbENKUlT_T0_E_clISt17integral_constantIbLb1EES11_EEDaSW_SX_EUlSW_E_NS1_11comp_targetILNS1_3genE5ELNS1_11target_archE942ELNS1_3gpuE9ELNS1_3repE0EEENS1_30default_config_static_selectorELNS0_4arch9wavefront6targetE0EEEvT1_.num_agpr, 0
	.set _ZN7rocprim17ROCPRIM_400000_NS6detail17trampoline_kernelINS0_14default_configENS1_27scan_by_key_config_selectorIifEEZZNS1_16scan_by_key_implILNS1_25lookback_scan_determinismE0ELb1ES3_N6thrust23THRUST_200600_302600_NS6detail15normal_iteratorINS9_10device_ptrIiEEEENSB_INSC_IjEEEESE_fNS9_4plusIvEENS9_8equal_toIvEEfEE10hipError_tPvRmT2_T3_T4_T5_mT6_T7_P12ihipStream_tbENKUlT_T0_E_clISt17integral_constantIbLb1EES11_EEDaSW_SX_EUlSW_E_NS1_11comp_targetILNS1_3genE5ELNS1_11target_archE942ELNS1_3gpuE9ELNS1_3repE0EEENS1_30default_config_static_selectorELNS0_4arch9wavefront6targetE0EEEvT1_.numbered_sgpr, 0
	.set _ZN7rocprim17ROCPRIM_400000_NS6detail17trampoline_kernelINS0_14default_configENS1_27scan_by_key_config_selectorIifEEZZNS1_16scan_by_key_implILNS1_25lookback_scan_determinismE0ELb1ES3_N6thrust23THRUST_200600_302600_NS6detail15normal_iteratorINS9_10device_ptrIiEEEENSB_INSC_IjEEEESE_fNS9_4plusIvEENS9_8equal_toIvEEfEE10hipError_tPvRmT2_T3_T4_T5_mT6_T7_P12ihipStream_tbENKUlT_T0_E_clISt17integral_constantIbLb1EES11_EEDaSW_SX_EUlSW_E_NS1_11comp_targetILNS1_3genE5ELNS1_11target_archE942ELNS1_3gpuE9ELNS1_3repE0EEENS1_30default_config_static_selectorELNS0_4arch9wavefront6targetE0EEEvT1_.num_named_barrier, 0
	.set _ZN7rocprim17ROCPRIM_400000_NS6detail17trampoline_kernelINS0_14default_configENS1_27scan_by_key_config_selectorIifEEZZNS1_16scan_by_key_implILNS1_25lookback_scan_determinismE0ELb1ES3_N6thrust23THRUST_200600_302600_NS6detail15normal_iteratorINS9_10device_ptrIiEEEENSB_INSC_IjEEEESE_fNS9_4plusIvEENS9_8equal_toIvEEfEE10hipError_tPvRmT2_T3_T4_T5_mT6_T7_P12ihipStream_tbENKUlT_T0_E_clISt17integral_constantIbLb1EES11_EEDaSW_SX_EUlSW_E_NS1_11comp_targetILNS1_3genE5ELNS1_11target_archE942ELNS1_3gpuE9ELNS1_3repE0EEENS1_30default_config_static_selectorELNS0_4arch9wavefront6targetE0EEEvT1_.private_seg_size, 0
	.set _ZN7rocprim17ROCPRIM_400000_NS6detail17trampoline_kernelINS0_14default_configENS1_27scan_by_key_config_selectorIifEEZZNS1_16scan_by_key_implILNS1_25lookback_scan_determinismE0ELb1ES3_N6thrust23THRUST_200600_302600_NS6detail15normal_iteratorINS9_10device_ptrIiEEEENSB_INSC_IjEEEESE_fNS9_4plusIvEENS9_8equal_toIvEEfEE10hipError_tPvRmT2_T3_T4_T5_mT6_T7_P12ihipStream_tbENKUlT_T0_E_clISt17integral_constantIbLb1EES11_EEDaSW_SX_EUlSW_E_NS1_11comp_targetILNS1_3genE5ELNS1_11target_archE942ELNS1_3gpuE9ELNS1_3repE0EEENS1_30default_config_static_selectorELNS0_4arch9wavefront6targetE0EEEvT1_.uses_vcc, 0
	.set _ZN7rocprim17ROCPRIM_400000_NS6detail17trampoline_kernelINS0_14default_configENS1_27scan_by_key_config_selectorIifEEZZNS1_16scan_by_key_implILNS1_25lookback_scan_determinismE0ELb1ES3_N6thrust23THRUST_200600_302600_NS6detail15normal_iteratorINS9_10device_ptrIiEEEENSB_INSC_IjEEEESE_fNS9_4plusIvEENS9_8equal_toIvEEfEE10hipError_tPvRmT2_T3_T4_T5_mT6_T7_P12ihipStream_tbENKUlT_T0_E_clISt17integral_constantIbLb1EES11_EEDaSW_SX_EUlSW_E_NS1_11comp_targetILNS1_3genE5ELNS1_11target_archE942ELNS1_3gpuE9ELNS1_3repE0EEENS1_30default_config_static_selectorELNS0_4arch9wavefront6targetE0EEEvT1_.uses_flat_scratch, 0
	.set _ZN7rocprim17ROCPRIM_400000_NS6detail17trampoline_kernelINS0_14default_configENS1_27scan_by_key_config_selectorIifEEZZNS1_16scan_by_key_implILNS1_25lookback_scan_determinismE0ELb1ES3_N6thrust23THRUST_200600_302600_NS6detail15normal_iteratorINS9_10device_ptrIiEEEENSB_INSC_IjEEEESE_fNS9_4plusIvEENS9_8equal_toIvEEfEE10hipError_tPvRmT2_T3_T4_T5_mT6_T7_P12ihipStream_tbENKUlT_T0_E_clISt17integral_constantIbLb1EES11_EEDaSW_SX_EUlSW_E_NS1_11comp_targetILNS1_3genE5ELNS1_11target_archE942ELNS1_3gpuE9ELNS1_3repE0EEENS1_30default_config_static_selectorELNS0_4arch9wavefront6targetE0EEEvT1_.has_dyn_sized_stack, 0
	.set _ZN7rocprim17ROCPRIM_400000_NS6detail17trampoline_kernelINS0_14default_configENS1_27scan_by_key_config_selectorIifEEZZNS1_16scan_by_key_implILNS1_25lookback_scan_determinismE0ELb1ES3_N6thrust23THRUST_200600_302600_NS6detail15normal_iteratorINS9_10device_ptrIiEEEENSB_INSC_IjEEEESE_fNS9_4plusIvEENS9_8equal_toIvEEfEE10hipError_tPvRmT2_T3_T4_T5_mT6_T7_P12ihipStream_tbENKUlT_T0_E_clISt17integral_constantIbLb1EES11_EEDaSW_SX_EUlSW_E_NS1_11comp_targetILNS1_3genE5ELNS1_11target_archE942ELNS1_3gpuE9ELNS1_3repE0EEENS1_30default_config_static_selectorELNS0_4arch9wavefront6targetE0EEEvT1_.has_recursion, 0
	.set _ZN7rocprim17ROCPRIM_400000_NS6detail17trampoline_kernelINS0_14default_configENS1_27scan_by_key_config_selectorIifEEZZNS1_16scan_by_key_implILNS1_25lookback_scan_determinismE0ELb1ES3_N6thrust23THRUST_200600_302600_NS6detail15normal_iteratorINS9_10device_ptrIiEEEENSB_INSC_IjEEEESE_fNS9_4plusIvEENS9_8equal_toIvEEfEE10hipError_tPvRmT2_T3_T4_T5_mT6_T7_P12ihipStream_tbENKUlT_T0_E_clISt17integral_constantIbLb1EES11_EEDaSW_SX_EUlSW_E_NS1_11comp_targetILNS1_3genE5ELNS1_11target_archE942ELNS1_3gpuE9ELNS1_3repE0EEENS1_30default_config_static_selectorELNS0_4arch9wavefront6targetE0EEEvT1_.has_indirect_call, 0
	.section	.AMDGPU.csdata,"",@progbits
; Kernel info:
; codeLenInByte = 0
; TotalNumSgprs: 0
; NumVgprs: 0
; ScratchSize: 0
; MemoryBound: 0
; FloatMode: 240
; IeeeMode: 1
; LDSByteSize: 0 bytes/workgroup (compile time only)
; SGPRBlocks: 0
; VGPRBlocks: 0
; NumSGPRsForWavesPerEU: 1
; NumVGPRsForWavesPerEU: 1
; NamedBarCnt: 0
; Occupancy: 16
; WaveLimiterHint : 0
; COMPUTE_PGM_RSRC2:SCRATCH_EN: 0
; COMPUTE_PGM_RSRC2:USER_SGPR: 2
; COMPUTE_PGM_RSRC2:TRAP_HANDLER: 0
; COMPUTE_PGM_RSRC2:TGID_X_EN: 1
; COMPUTE_PGM_RSRC2:TGID_Y_EN: 0
; COMPUTE_PGM_RSRC2:TGID_Z_EN: 0
; COMPUTE_PGM_RSRC2:TIDIG_COMP_CNT: 0
	.section	.text._ZN7rocprim17ROCPRIM_400000_NS6detail17trampoline_kernelINS0_14default_configENS1_27scan_by_key_config_selectorIifEEZZNS1_16scan_by_key_implILNS1_25lookback_scan_determinismE0ELb1ES3_N6thrust23THRUST_200600_302600_NS6detail15normal_iteratorINS9_10device_ptrIiEEEENSB_INSC_IjEEEESE_fNS9_4plusIvEENS9_8equal_toIvEEfEE10hipError_tPvRmT2_T3_T4_T5_mT6_T7_P12ihipStream_tbENKUlT_T0_E_clISt17integral_constantIbLb1EES11_EEDaSW_SX_EUlSW_E_NS1_11comp_targetILNS1_3genE4ELNS1_11target_archE910ELNS1_3gpuE8ELNS1_3repE0EEENS1_30default_config_static_selectorELNS0_4arch9wavefront6targetE0EEEvT1_,"axG",@progbits,_ZN7rocprim17ROCPRIM_400000_NS6detail17trampoline_kernelINS0_14default_configENS1_27scan_by_key_config_selectorIifEEZZNS1_16scan_by_key_implILNS1_25lookback_scan_determinismE0ELb1ES3_N6thrust23THRUST_200600_302600_NS6detail15normal_iteratorINS9_10device_ptrIiEEEENSB_INSC_IjEEEESE_fNS9_4plusIvEENS9_8equal_toIvEEfEE10hipError_tPvRmT2_T3_T4_T5_mT6_T7_P12ihipStream_tbENKUlT_T0_E_clISt17integral_constantIbLb1EES11_EEDaSW_SX_EUlSW_E_NS1_11comp_targetILNS1_3genE4ELNS1_11target_archE910ELNS1_3gpuE8ELNS1_3repE0EEENS1_30default_config_static_selectorELNS0_4arch9wavefront6targetE0EEEvT1_,comdat
	.protected	_ZN7rocprim17ROCPRIM_400000_NS6detail17trampoline_kernelINS0_14default_configENS1_27scan_by_key_config_selectorIifEEZZNS1_16scan_by_key_implILNS1_25lookback_scan_determinismE0ELb1ES3_N6thrust23THRUST_200600_302600_NS6detail15normal_iteratorINS9_10device_ptrIiEEEENSB_INSC_IjEEEESE_fNS9_4plusIvEENS9_8equal_toIvEEfEE10hipError_tPvRmT2_T3_T4_T5_mT6_T7_P12ihipStream_tbENKUlT_T0_E_clISt17integral_constantIbLb1EES11_EEDaSW_SX_EUlSW_E_NS1_11comp_targetILNS1_3genE4ELNS1_11target_archE910ELNS1_3gpuE8ELNS1_3repE0EEENS1_30default_config_static_selectorELNS0_4arch9wavefront6targetE0EEEvT1_ ; -- Begin function _ZN7rocprim17ROCPRIM_400000_NS6detail17trampoline_kernelINS0_14default_configENS1_27scan_by_key_config_selectorIifEEZZNS1_16scan_by_key_implILNS1_25lookback_scan_determinismE0ELb1ES3_N6thrust23THRUST_200600_302600_NS6detail15normal_iteratorINS9_10device_ptrIiEEEENSB_INSC_IjEEEESE_fNS9_4plusIvEENS9_8equal_toIvEEfEE10hipError_tPvRmT2_T3_T4_T5_mT6_T7_P12ihipStream_tbENKUlT_T0_E_clISt17integral_constantIbLb1EES11_EEDaSW_SX_EUlSW_E_NS1_11comp_targetILNS1_3genE4ELNS1_11target_archE910ELNS1_3gpuE8ELNS1_3repE0EEENS1_30default_config_static_selectorELNS0_4arch9wavefront6targetE0EEEvT1_
	.globl	_ZN7rocprim17ROCPRIM_400000_NS6detail17trampoline_kernelINS0_14default_configENS1_27scan_by_key_config_selectorIifEEZZNS1_16scan_by_key_implILNS1_25lookback_scan_determinismE0ELb1ES3_N6thrust23THRUST_200600_302600_NS6detail15normal_iteratorINS9_10device_ptrIiEEEENSB_INSC_IjEEEESE_fNS9_4plusIvEENS9_8equal_toIvEEfEE10hipError_tPvRmT2_T3_T4_T5_mT6_T7_P12ihipStream_tbENKUlT_T0_E_clISt17integral_constantIbLb1EES11_EEDaSW_SX_EUlSW_E_NS1_11comp_targetILNS1_3genE4ELNS1_11target_archE910ELNS1_3gpuE8ELNS1_3repE0EEENS1_30default_config_static_selectorELNS0_4arch9wavefront6targetE0EEEvT1_
	.p2align	8
	.type	_ZN7rocprim17ROCPRIM_400000_NS6detail17trampoline_kernelINS0_14default_configENS1_27scan_by_key_config_selectorIifEEZZNS1_16scan_by_key_implILNS1_25lookback_scan_determinismE0ELb1ES3_N6thrust23THRUST_200600_302600_NS6detail15normal_iteratorINS9_10device_ptrIiEEEENSB_INSC_IjEEEESE_fNS9_4plusIvEENS9_8equal_toIvEEfEE10hipError_tPvRmT2_T3_T4_T5_mT6_T7_P12ihipStream_tbENKUlT_T0_E_clISt17integral_constantIbLb1EES11_EEDaSW_SX_EUlSW_E_NS1_11comp_targetILNS1_3genE4ELNS1_11target_archE910ELNS1_3gpuE8ELNS1_3repE0EEENS1_30default_config_static_selectorELNS0_4arch9wavefront6targetE0EEEvT1_,@function
_ZN7rocprim17ROCPRIM_400000_NS6detail17trampoline_kernelINS0_14default_configENS1_27scan_by_key_config_selectorIifEEZZNS1_16scan_by_key_implILNS1_25lookback_scan_determinismE0ELb1ES3_N6thrust23THRUST_200600_302600_NS6detail15normal_iteratorINS9_10device_ptrIiEEEENSB_INSC_IjEEEESE_fNS9_4plusIvEENS9_8equal_toIvEEfEE10hipError_tPvRmT2_T3_T4_T5_mT6_T7_P12ihipStream_tbENKUlT_T0_E_clISt17integral_constantIbLb1EES11_EEDaSW_SX_EUlSW_E_NS1_11comp_targetILNS1_3genE4ELNS1_11target_archE910ELNS1_3gpuE8ELNS1_3repE0EEENS1_30default_config_static_selectorELNS0_4arch9wavefront6targetE0EEEvT1_: ; @_ZN7rocprim17ROCPRIM_400000_NS6detail17trampoline_kernelINS0_14default_configENS1_27scan_by_key_config_selectorIifEEZZNS1_16scan_by_key_implILNS1_25lookback_scan_determinismE0ELb1ES3_N6thrust23THRUST_200600_302600_NS6detail15normal_iteratorINS9_10device_ptrIiEEEENSB_INSC_IjEEEESE_fNS9_4plusIvEENS9_8equal_toIvEEfEE10hipError_tPvRmT2_T3_T4_T5_mT6_T7_P12ihipStream_tbENKUlT_T0_E_clISt17integral_constantIbLb1EES11_EEDaSW_SX_EUlSW_E_NS1_11comp_targetILNS1_3genE4ELNS1_11target_archE910ELNS1_3gpuE8ELNS1_3repE0EEENS1_30default_config_static_selectorELNS0_4arch9wavefront6targetE0EEEvT1_
; %bb.0:
	.section	.rodata,"a",@progbits
	.p2align	6, 0x0
	.amdhsa_kernel _ZN7rocprim17ROCPRIM_400000_NS6detail17trampoline_kernelINS0_14default_configENS1_27scan_by_key_config_selectorIifEEZZNS1_16scan_by_key_implILNS1_25lookback_scan_determinismE0ELb1ES3_N6thrust23THRUST_200600_302600_NS6detail15normal_iteratorINS9_10device_ptrIiEEEENSB_INSC_IjEEEESE_fNS9_4plusIvEENS9_8equal_toIvEEfEE10hipError_tPvRmT2_T3_T4_T5_mT6_T7_P12ihipStream_tbENKUlT_T0_E_clISt17integral_constantIbLb1EES11_EEDaSW_SX_EUlSW_E_NS1_11comp_targetILNS1_3genE4ELNS1_11target_archE910ELNS1_3gpuE8ELNS1_3repE0EEENS1_30default_config_static_selectorELNS0_4arch9wavefront6targetE0EEEvT1_
		.amdhsa_group_segment_fixed_size 0
		.amdhsa_private_segment_fixed_size 0
		.amdhsa_kernarg_size 112
		.amdhsa_user_sgpr_count 2
		.amdhsa_user_sgpr_dispatch_ptr 0
		.amdhsa_user_sgpr_queue_ptr 0
		.amdhsa_user_sgpr_kernarg_segment_ptr 1
		.amdhsa_user_sgpr_dispatch_id 0
		.amdhsa_user_sgpr_kernarg_preload_length 0
		.amdhsa_user_sgpr_kernarg_preload_offset 0
		.amdhsa_user_sgpr_private_segment_size 0
		.amdhsa_wavefront_size32 1
		.amdhsa_uses_dynamic_stack 0
		.amdhsa_enable_private_segment 0
		.amdhsa_system_sgpr_workgroup_id_x 1
		.amdhsa_system_sgpr_workgroup_id_y 0
		.amdhsa_system_sgpr_workgroup_id_z 0
		.amdhsa_system_sgpr_workgroup_info 0
		.amdhsa_system_vgpr_workitem_id 0
		.amdhsa_next_free_vgpr 1
		.amdhsa_next_free_sgpr 1
		.amdhsa_named_barrier_count 0
		.amdhsa_reserve_vcc 0
		.amdhsa_float_round_mode_32 0
		.amdhsa_float_round_mode_16_64 0
		.amdhsa_float_denorm_mode_32 3
		.amdhsa_float_denorm_mode_16_64 3
		.amdhsa_fp16_overflow 0
		.amdhsa_memory_ordered 1
		.amdhsa_forward_progress 1
		.amdhsa_inst_pref_size 0
		.amdhsa_round_robin_scheduling 0
		.amdhsa_exception_fp_ieee_invalid_op 0
		.amdhsa_exception_fp_denorm_src 0
		.amdhsa_exception_fp_ieee_div_zero 0
		.amdhsa_exception_fp_ieee_overflow 0
		.amdhsa_exception_fp_ieee_underflow 0
		.amdhsa_exception_fp_ieee_inexact 0
		.amdhsa_exception_int_div_zero 0
	.end_amdhsa_kernel
	.section	.text._ZN7rocprim17ROCPRIM_400000_NS6detail17trampoline_kernelINS0_14default_configENS1_27scan_by_key_config_selectorIifEEZZNS1_16scan_by_key_implILNS1_25lookback_scan_determinismE0ELb1ES3_N6thrust23THRUST_200600_302600_NS6detail15normal_iteratorINS9_10device_ptrIiEEEENSB_INSC_IjEEEESE_fNS9_4plusIvEENS9_8equal_toIvEEfEE10hipError_tPvRmT2_T3_T4_T5_mT6_T7_P12ihipStream_tbENKUlT_T0_E_clISt17integral_constantIbLb1EES11_EEDaSW_SX_EUlSW_E_NS1_11comp_targetILNS1_3genE4ELNS1_11target_archE910ELNS1_3gpuE8ELNS1_3repE0EEENS1_30default_config_static_selectorELNS0_4arch9wavefront6targetE0EEEvT1_,"axG",@progbits,_ZN7rocprim17ROCPRIM_400000_NS6detail17trampoline_kernelINS0_14default_configENS1_27scan_by_key_config_selectorIifEEZZNS1_16scan_by_key_implILNS1_25lookback_scan_determinismE0ELb1ES3_N6thrust23THRUST_200600_302600_NS6detail15normal_iteratorINS9_10device_ptrIiEEEENSB_INSC_IjEEEESE_fNS9_4plusIvEENS9_8equal_toIvEEfEE10hipError_tPvRmT2_T3_T4_T5_mT6_T7_P12ihipStream_tbENKUlT_T0_E_clISt17integral_constantIbLb1EES11_EEDaSW_SX_EUlSW_E_NS1_11comp_targetILNS1_3genE4ELNS1_11target_archE910ELNS1_3gpuE8ELNS1_3repE0EEENS1_30default_config_static_selectorELNS0_4arch9wavefront6targetE0EEEvT1_,comdat
.Lfunc_end1800:
	.size	_ZN7rocprim17ROCPRIM_400000_NS6detail17trampoline_kernelINS0_14default_configENS1_27scan_by_key_config_selectorIifEEZZNS1_16scan_by_key_implILNS1_25lookback_scan_determinismE0ELb1ES3_N6thrust23THRUST_200600_302600_NS6detail15normal_iteratorINS9_10device_ptrIiEEEENSB_INSC_IjEEEESE_fNS9_4plusIvEENS9_8equal_toIvEEfEE10hipError_tPvRmT2_T3_T4_T5_mT6_T7_P12ihipStream_tbENKUlT_T0_E_clISt17integral_constantIbLb1EES11_EEDaSW_SX_EUlSW_E_NS1_11comp_targetILNS1_3genE4ELNS1_11target_archE910ELNS1_3gpuE8ELNS1_3repE0EEENS1_30default_config_static_selectorELNS0_4arch9wavefront6targetE0EEEvT1_, .Lfunc_end1800-_ZN7rocprim17ROCPRIM_400000_NS6detail17trampoline_kernelINS0_14default_configENS1_27scan_by_key_config_selectorIifEEZZNS1_16scan_by_key_implILNS1_25lookback_scan_determinismE0ELb1ES3_N6thrust23THRUST_200600_302600_NS6detail15normal_iteratorINS9_10device_ptrIiEEEENSB_INSC_IjEEEESE_fNS9_4plusIvEENS9_8equal_toIvEEfEE10hipError_tPvRmT2_T3_T4_T5_mT6_T7_P12ihipStream_tbENKUlT_T0_E_clISt17integral_constantIbLb1EES11_EEDaSW_SX_EUlSW_E_NS1_11comp_targetILNS1_3genE4ELNS1_11target_archE910ELNS1_3gpuE8ELNS1_3repE0EEENS1_30default_config_static_selectorELNS0_4arch9wavefront6targetE0EEEvT1_
                                        ; -- End function
	.set _ZN7rocprim17ROCPRIM_400000_NS6detail17trampoline_kernelINS0_14default_configENS1_27scan_by_key_config_selectorIifEEZZNS1_16scan_by_key_implILNS1_25lookback_scan_determinismE0ELb1ES3_N6thrust23THRUST_200600_302600_NS6detail15normal_iteratorINS9_10device_ptrIiEEEENSB_INSC_IjEEEESE_fNS9_4plusIvEENS9_8equal_toIvEEfEE10hipError_tPvRmT2_T3_T4_T5_mT6_T7_P12ihipStream_tbENKUlT_T0_E_clISt17integral_constantIbLb1EES11_EEDaSW_SX_EUlSW_E_NS1_11comp_targetILNS1_3genE4ELNS1_11target_archE910ELNS1_3gpuE8ELNS1_3repE0EEENS1_30default_config_static_selectorELNS0_4arch9wavefront6targetE0EEEvT1_.num_vgpr, 0
	.set _ZN7rocprim17ROCPRIM_400000_NS6detail17trampoline_kernelINS0_14default_configENS1_27scan_by_key_config_selectorIifEEZZNS1_16scan_by_key_implILNS1_25lookback_scan_determinismE0ELb1ES3_N6thrust23THRUST_200600_302600_NS6detail15normal_iteratorINS9_10device_ptrIiEEEENSB_INSC_IjEEEESE_fNS9_4plusIvEENS9_8equal_toIvEEfEE10hipError_tPvRmT2_T3_T4_T5_mT6_T7_P12ihipStream_tbENKUlT_T0_E_clISt17integral_constantIbLb1EES11_EEDaSW_SX_EUlSW_E_NS1_11comp_targetILNS1_3genE4ELNS1_11target_archE910ELNS1_3gpuE8ELNS1_3repE0EEENS1_30default_config_static_selectorELNS0_4arch9wavefront6targetE0EEEvT1_.num_agpr, 0
	.set _ZN7rocprim17ROCPRIM_400000_NS6detail17trampoline_kernelINS0_14default_configENS1_27scan_by_key_config_selectorIifEEZZNS1_16scan_by_key_implILNS1_25lookback_scan_determinismE0ELb1ES3_N6thrust23THRUST_200600_302600_NS6detail15normal_iteratorINS9_10device_ptrIiEEEENSB_INSC_IjEEEESE_fNS9_4plusIvEENS9_8equal_toIvEEfEE10hipError_tPvRmT2_T3_T4_T5_mT6_T7_P12ihipStream_tbENKUlT_T0_E_clISt17integral_constantIbLb1EES11_EEDaSW_SX_EUlSW_E_NS1_11comp_targetILNS1_3genE4ELNS1_11target_archE910ELNS1_3gpuE8ELNS1_3repE0EEENS1_30default_config_static_selectorELNS0_4arch9wavefront6targetE0EEEvT1_.numbered_sgpr, 0
	.set _ZN7rocprim17ROCPRIM_400000_NS6detail17trampoline_kernelINS0_14default_configENS1_27scan_by_key_config_selectorIifEEZZNS1_16scan_by_key_implILNS1_25lookback_scan_determinismE0ELb1ES3_N6thrust23THRUST_200600_302600_NS6detail15normal_iteratorINS9_10device_ptrIiEEEENSB_INSC_IjEEEESE_fNS9_4plusIvEENS9_8equal_toIvEEfEE10hipError_tPvRmT2_T3_T4_T5_mT6_T7_P12ihipStream_tbENKUlT_T0_E_clISt17integral_constantIbLb1EES11_EEDaSW_SX_EUlSW_E_NS1_11comp_targetILNS1_3genE4ELNS1_11target_archE910ELNS1_3gpuE8ELNS1_3repE0EEENS1_30default_config_static_selectorELNS0_4arch9wavefront6targetE0EEEvT1_.num_named_barrier, 0
	.set _ZN7rocprim17ROCPRIM_400000_NS6detail17trampoline_kernelINS0_14default_configENS1_27scan_by_key_config_selectorIifEEZZNS1_16scan_by_key_implILNS1_25lookback_scan_determinismE0ELb1ES3_N6thrust23THRUST_200600_302600_NS6detail15normal_iteratorINS9_10device_ptrIiEEEENSB_INSC_IjEEEESE_fNS9_4plusIvEENS9_8equal_toIvEEfEE10hipError_tPvRmT2_T3_T4_T5_mT6_T7_P12ihipStream_tbENKUlT_T0_E_clISt17integral_constantIbLb1EES11_EEDaSW_SX_EUlSW_E_NS1_11comp_targetILNS1_3genE4ELNS1_11target_archE910ELNS1_3gpuE8ELNS1_3repE0EEENS1_30default_config_static_selectorELNS0_4arch9wavefront6targetE0EEEvT1_.private_seg_size, 0
	.set _ZN7rocprim17ROCPRIM_400000_NS6detail17trampoline_kernelINS0_14default_configENS1_27scan_by_key_config_selectorIifEEZZNS1_16scan_by_key_implILNS1_25lookback_scan_determinismE0ELb1ES3_N6thrust23THRUST_200600_302600_NS6detail15normal_iteratorINS9_10device_ptrIiEEEENSB_INSC_IjEEEESE_fNS9_4plusIvEENS9_8equal_toIvEEfEE10hipError_tPvRmT2_T3_T4_T5_mT6_T7_P12ihipStream_tbENKUlT_T0_E_clISt17integral_constantIbLb1EES11_EEDaSW_SX_EUlSW_E_NS1_11comp_targetILNS1_3genE4ELNS1_11target_archE910ELNS1_3gpuE8ELNS1_3repE0EEENS1_30default_config_static_selectorELNS0_4arch9wavefront6targetE0EEEvT1_.uses_vcc, 0
	.set _ZN7rocprim17ROCPRIM_400000_NS6detail17trampoline_kernelINS0_14default_configENS1_27scan_by_key_config_selectorIifEEZZNS1_16scan_by_key_implILNS1_25lookback_scan_determinismE0ELb1ES3_N6thrust23THRUST_200600_302600_NS6detail15normal_iteratorINS9_10device_ptrIiEEEENSB_INSC_IjEEEESE_fNS9_4plusIvEENS9_8equal_toIvEEfEE10hipError_tPvRmT2_T3_T4_T5_mT6_T7_P12ihipStream_tbENKUlT_T0_E_clISt17integral_constantIbLb1EES11_EEDaSW_SX_EUlSW_E_NS1_11comp_targetILNS1_3genE4ELNS1_11target_archE910ELNS1_3gpuE8ELNS1_3repE0EEENS1_30default_config_static_selectorELNS0_4arch9wavefront6targetE0EEEvT1_.uses_flat_scratch, 0
	.set _ZN7rocprim17ROCPRIM_400000_NS6detail17trampoline_kernelINS0_14default_configENS1_27scan_by_key_config_selectorIifEEZZNS1_16scan_by_key_implILNS1_25lookback_scan_determinismE0ELb1ES3_N6thrust23THRUST_200600_302600_NS6detail15normal_iteratorINS9_10device_ptrIiEEEENSB_INSC_IjEEEESE_fNS9_4plusIvEENS9_8equal_toIvEEfEE10hipError_tPvRmT2_T3_T4_T5_mT6_T7_P12ihipStream_tbENKUlT_T0_E_clISt17integral_constantIbLb1EES11_EEDaSW_SX_EUlSW_E_NS1_11comp_targetILNS1_3genE4ELNS1_11target_archE910ELNS1_3gpuE8ELNS1_3repE0EEENS1_30default_config_static_selectorELNS0_4arch9wavefront6targetE0EEEvT1_.has_dyn_sized_stack, 0
	.set _ZN7rocprim17ROCPRIM_400000_NS6detail17trampoline_kernelINS0_14default_configENS1_27scan_by_key_config_selectorIifEEZZNS1_16scan_by_key_implILNS1_25lookback_scan_determinismE0ELb1ES3_N6thrust23THRUST_200600_302600_NS6detail15normal_iteratorINS9_10device_ptrIiEEEENSB_INSC_IjEEEESE_fNS9_4plusIvEENS9_8equal_toIvEEfEE10hipError_tPvRmT2_T3_T4_T5_mT6_T7_P12ihipStream_tbENKUlT_T0_E_clISt17integral_constantIbLb1EES11_EEDaSW_SX_EUlSW_E_NS1_11comp_targetILNS1_3genE4ELNS1_11target_archE910ELNS1_3gpuE8ELNS1_3repE0EEENS1_30default_config_static_selectorELNS0_4arch9wavefront6targetE0EEEvT1_.has_recursion, 0
	.set _ZN7rocprim17ROCPRIM_400000_NS6detail17trampoline_kernelINS0_14default_configENS1_27scan_by_key_config_selectorIifEEZZNS1_16scan_by_key_implILNS1_25lookback_scan_determinismE0ELb1ES3_N6thrust23THRUST_200600_302600_NS6detail15normal_iteratorINS9_10device_ptrIiEEEENSB_INSC_IjEEEESE_fNS9_4plusIvEENS9_8equal_toIvEEfEE10hipError_tPvRmT2_T3_T4_T5_mT6_T7_P12ihipStream_tbENKUlT_T0_E_clISt17integral_constantIbLb1EES11_EEDaSW_SX_EUlSW_E_NS1_11comp_targetILNS1_3genE4ELNS1_11target_archE910ELNS1_3gpuE8ELNS1_3repE0EEENS1_30default_config_static_selectorELNS0_4arch9wavefront6targetE0EEEvT1_.has_indirect_call, 0
	.section	.AMDGPU.csdata,"",@progbits
; Kernel info:
; codeLenInByte = 0
; TotalNumSgprs: 0
; NumVgprs: 0
; ScratchSize: 0
; MemoryBound: 0
; FloatMode: 240
; IeeeMode: 1
; LDSByteSize: 0 bytes/workgroup (compile time only)
; SGPRBlocks: 0
; VGPRBlocks: 0
; NumSGPRsForWavesPerEU: 1
; NumVGPRsForWavesPerEU: 1
; NamedBarCnt: 0
; Occupancy: 16
; WaveLimiterHint : 0
; COMPUTE_PGM_RSRC2:SCRATCH_EN: 0
; COMPUTE_PGM_RSRC2:USER_SGPR: 2
; COMPUTE_PGM_RSRC2:TRAP_HANDLER: 0
; COMPUTE_PGM_RSRC2:TGID_X_EN: 1
; COMPUTE_PGM_RSRC2:TGID_Y_EN: 0
; COMPUTE_PGM_RSRC2:TGID_Z_EN: 0
; COMPUTE_PGM_RSRC2:TIDIG_COMP_CNT: 0
	.section	.text._ZN7rocprim17ROCPRIM_400000_NS6detail17trampoline_kernelINS0_14default_configENS1_27scan_by_key_config_selectorIifEEZZNS1_16scan_by_key_implILNS1_25lookback_scan_determinismE0ELb1ES3_N6thrust23THRUST_200600_302600_NS6detail15normal_iteratorINS9_10device_ptrIiEEEENSB_INSC_IjEEEESE_fNS9_4plusIvEENS9_8equal_toIvEEfEE10hipError_tPvRmT2_T3_T4_T5_mT6_T7_P12ihipStream_tbENKUlT_T0_E_clISt17integral_constantIbLb1EES11_EEDaSW_SX_EUlSW_E_NS1_11comp_targetILNS1_3genE3ELNS1_11target_archE908ELNS1_3gpuE7ELNS1_3repE0EEENS1_30default_config_static_selectorELNS0_4arch9wavefront6targetE0EEEvT1_,"axG",@progbits,_ZN7rocprim17ROCPRIM_400000_NS6detail17trampoline_kernelINS0_14default_configENS1_27scan_by_key_config_selectorIifEEZZNS1_16scan_by_key_implILNS1_25lookback_scan_determinismE0ELb1ES3_N6thrust23THRUST_200600_302600_NS6detail15normal_iteratorINS9_10device_ptrIiEEEENSB_INSC_IjEEEESE_fNS9_4plusIvEENS9_8equal_toIvEEfEE10hipError_tPvRmT2_T3_T4_T5_mT6_T7_P12ihipStream_tbENKUlT_T0_E_clISt17integral_constantIbLb1EES11_EEDaSW_SX_EUlSW_E_NS1_11comp_targetILNS1_3genE3ELNS1_11target_archE908ELNS1_3gpuE7ELNS1_3repE0EEENS1_30default_config_static_selectorELNS0_4arch9wavefront6targetE0EEEvT1_,comdat
	.protected	_ZN7rocprim17ROCPRIM_400000_NS6detail17trampoline_kernelINS0_14default_configENS1_27scan_by_key_config_selectorIifEEZZNS1_16scan_by_key_implILNS1_25lookback_scan_determinismE0ELb1ES3_N6thrust23THRUST_200600_302600_NS6detail15normal_iteratorINS9_10device_ptrIiEEEENSB_INSC_IjEEEESE_fNS9_4plusIvEENS9_8equal_toIvEEfEE10hipError_tPvRmT2_T3_T4_T5_mT6_T7_P12ihipStream_tbENKUlT_T0_E_clISt17integral_constantIbLb1EES11_EEDaSW_SX_EUlSW_E_NS1_11comp_targetILNS1_3genE3ELNS1_11target_archE908ELNS1_3gpuE7ELNS1_3repE0EEENS1_30default_config_static_selectorELNS0_4arch9wavefront6targetE0EEEvT1_ ; -- Begin function _ZN7rocprim17ROCPRIM_400000_NS6detail17trampoline_kernelINS0_14default_configENS1_27scan_by_key_config_selectorIifEEZZNS1_16scan_by_key_implILNS1_25lookback_scan_determinismE0ELb1ES3_N6thrust23THRUST_200600_302600_NS6detail15normal_iteratorINS9_10device_ptrIiEEEENSB_INSC_IjEEEESE_fNS9_4plusIvEENS9_8equal_toIvEEfEE10hipError_tPvRmT2_T3_T4_T5_mT6_T7_P12ihipStream_tbENKUlT_T0_E_clISt17integral_constantIbLb1EES11_EEDaSW_SX_EUlSW_E_NS1_11comp_targetILNS1_3genE3ELNS1_11target_archE908ELNS1_3gpuE7ELNS1_3repE0EEENS1_30default_config_static_selectorELNS0_4arch9wavefront6targetE0EEEvT1_
	.globl	_ZN7rocprim17ROCPRIM_400000_NS6detail17trampoline_kernelINS0_14default_configENS1_27scan_by_key_config_selectorIifEEZZNS1_16scan_by_key_implILNS1_25lookback_scan_determinismE0ELb1ES3_N6thrust23THRUST_200600_302600_NS6detail15normal_iteratorINS9_10device_ptrIiEEEENSB_INSC_IjEEEESE_fNS9_4plusIvEENS9_8equal_toIvEEfEE10hipError_tPvRmT2_T3_T4_T5_mT6_T7_P12ihipStream_tbENKUlT_T0_E_clISt17integral_constantIbLb1EES11_EEDaSW_SX_EUlSW_E_NS1_11comp_targetILNS1_3genE3ELNS1_11target_archE908ELNS1_3gpuE7ELNS1_3repE0EEENS1_30default_config_static_selectorELNS0_4arch9wavefront6targetE0EEEvT1_
	.p2align	8
	.type	_ZN7rocprim17ROCPRIM_400000_NS6detail17trampoline_kernelINS0_14default_configENS1_27scan_by_key_config_selectorIifEEZZNS1_16scan_by_key_implILNS1_25lookback_scan_determinismE0ELb1ES3_N6thrust23THRUST_200600_302600_NS6detail15normal_iteratorINS9_10device_ptrIiEEEENSB_INSC_IjEEEESE_fNS9_4plusIvEENS9_8equal_toIvEEfEE10hipError_tPvRmT2_T3_T4_T5_mT6_T7_P12ihipStream_tbENKUlT_T0_E_clISt17integral_constantIbLb1EES11_EEDaSW_SX_EUlSW_E_NS1_11comp_targetILNS1_3genE3ELNS1_11target_archE908ELNS1_3gpuE7ELNS1_3repE0EEENS1_30default_config_static_selectorELNS0_4arch9wavefront6targetE0EEEvT1_,@function
_ZN7rocprim17ROCPRIM_400000_NS6detail17trampoline_kernelINS0_14default_configENS1_27scan_by_key_config_selectorIifEEZZNS1_16scan_by_key_implILNS1_25lookback_scan_determinismE0ELb1ES3_N6thrust23THRUST_200600_302600_NS6detail15normal_iteratorINS9_10device_ptrIiEEEENSB_INSC_IjEEEESE_fNS9_4plusIvEENS9_8equal_toIvEEfEE10hipError_tPvRmT2_T3_T4_T5_mT6_T7_P12ihipStream_tbENKUlT_T0_E_clISt17integral_constantIbLb1EES11_EEDaSW_SX_EUlSW_E_NS1_11comp_targetILNS1_3genE3ELNS1_11target_archE908ELNS1_3gpuE7ELNS1_3repE0EEENS1_30default_config_static_selectorELNS0_4arch9wavefront6targetE0EEEvT1_: ; @_ZN7rocprim17ROCPRIM_400000_NS6detail17trampoline_kernelINS0_14default_configENS1_27scan_by_key_config_selectorIifEEZZNS1_16scan_by_key_implILNS1_25lookback_scan_determinismE0ELb1ES3_N6thrust23THRUST_200600_302600_NS6detail15normal_iteratorINS9_10device_ptrIiEEEENSB_INSC_IjEEEESE_fNS9_4plusIvEENS9_8equal_toIvEEfEE10hipError_tPvRmT2_T3_T4_T5_mT6_T7_P12ihipStream_tbENKUlT_T0_E_clISt17integral_constantIbLb1EES11_EEDaSW_SX_EUlSW_E_NS1_11comp_targetILNS1_3genE3ELNS1_11target_archE908ELNS1_3gpuE7ELNS1_3repE0EEENS1_30default_config_static_selectorELNS0_4arch9wavefront6targetE0EEEvT1_
; %bb.0:
	.section	.rodata,"a",@progbits
	.p2align	6, 0x0
	.amdhsa_kernel _ZN7rocprim17ROCPRIM_400000_NS6detail17trampoline_kernelINS0_14default_configENS1_27scan_by_key_config_selectorIifEEZZNS1_16scan_by_key_implILNS1_25lookback_scan_determinismE0ELb1ES3_N6thrust23THRUST_200600_302600_NS6detail15normal_iteratorINS9_10device_ptrIiEEEENSB_INSC_IjEEEESE_fNS9_4plusIvEENS9_8equal_toIvEEfEE10hipError_tPvRmT2_T3_T4_T5_mT6_T7_P12ihipStream_tbENKUlT_T0_E_clISt17integral_constantIbLb1EES11_EEDaSW_SX_EUlSW_E_NS1_11comp_targetILNS1_3genE3ELNS1_11target_archE908ELNS1_3gpuE7ELNS1_3repE0EEENS1_30default_config_static_selectorELNS0_4arch9wavefront6targetE0EEEvT1_
		.amdhsa_group_segment_fixed_size 0
		.amdhsa_private_segment_fixed_size 0
		.amdhsa_kernarg_size 112
		.amdhsa_user_sgpr_count 2
		.amdhsa_user_sgpr_dispatch_ptr 0
		.amdhsa_user_sgpr_queue_ptr 0
		.amdhsa_user_sgpr_kernarg_segment_ptr 1
		.amdhsa_user_sgpr_dispatch_id 0
		.amdhsa_user_sgpr_kernarg_preload_length 0
		.amdhsa_user_sgpr_kernarg_preload_offset 0
		.amdhsa_user_sgpr_private_segment_size 0
		.amdhsa_wavefront_size32 1
		.amdhsa_uses_dynamic_stack 0
		.amdhsa_enable_private_segment 0
		.amdhsa_system_sgpr_workgroup_id_x 1
		.amdhsa_system_sgpr_workgroup_id_y 0
		.amdhsa_system_sgpr_workgroup_id_z 0
		.amdhsa_system_sgpr_workgroup_info 0
		.amdhsa_system_vgpr_workitem_id 0
		.amdhsa_next_free_vgpr 1
		.amdhsa_next_free_sgpr 1
		.amdhsa_named_barrier_count 0
		.amdhsa_reserve_vcc 0
		.amdhsa_float_round_mode_32 0
		.amdhsa_float_round_mode_16_64 0
		.amdhsa_float_denorm_mode_32 3
		.amdhsa_float_denorm_mode_16_64 3
		.amdhsa_fp16_overflow 0
		.amdhsa_memory_ordered 1
		.amdhsa_forward_progress 1
		.amdhsa_inst_pref_size 0
		.amdhsa_round_robin_scheduling 0
		.amdhsa_exception_fp_ieee_invalid_op 0
		.amdhsa_exception_fp_denorm_src 0
		.amdhsa_exception_fp_ieee_div_zero 0
		.amdhsa_exception_fp_ieee_overflow 0
		.amdhsa_exception_fp_ieee_underflow 0
		.amdhsa_exception_fp_ieee_inexact 0
		.amdhsa_exception_int_div_zero 0
	.end_amdhsa_kernel
	.section	.text._ZN7rocprim17ROCPRIM_400000_NS6detail17trampoline_kernelINS0_14default_configENS1_27scan_by_key_config_selectorIifEEZZNS1_16scan_by_key_implILNS1_25lookback_scan_determinismE0ELb1ES3_N6thrust23THRUST_200600_302600_NS6detail15normal_iteratorINS9_10device_ptrIiEEEENSB_INSC_IjEEEESE_fNS9_4plusIvEENS9_8equal_toIvEEfEE10hipError_tPvRmT2_T3_T4_T5_mT6_T7_P12ihipStream_tbENKUlT_T0_E_clISt17integral_constantIbLb1EES11_EEDaSW_SX_EUlSW_E_NS1_11comp_targetILNS1_3genE3ELNS1_11target_archE908ELNS1_3gpuE7ELNS1_3repE0EEENS1_30default_config_static_selectorELNS0_4arch9wavefront6targetE0EEEvT1_,"axG",@progbits,_ZN7rocprim17ROCPRIM_400000_NS6detail17trampoline_kernelINS0_14default_configENS1_27scan_by_key_config_selectorIifEEZZNS1_16scan_by_key_implILNS1_25lookback_scan_determinismE0ELb1ES3_N6thrust23THRUST_200600_302600_NS6detail15normal_iteratorINS9_10device_ptrIiEEEENSB_INSC_IjEEEESE_fNS9_4plusIvEENS9_8equal_toIvEEfEE10hipError_tPvRmT2_T3_T4_T5_mT6_T7_P12ihipStream_tbENKUlT_T0_E_clISt17integral_constantIbLb1EES11_EEDaSW_SX_EUlSW_E_NS1_11comp_targetILNS1_3genE3ELNS1_11target_archE908ELNS1_3gpuE7ELNS1_3repE0EEENS1_30default_config_static_selectorELNS0_4arch9wavefront6targetE0EEEvT1_,comdat
.Lfunc_end1801:
	.size	_ZN7rocprim17ROCPRIM_400000_NS6detail17trampoline_kernelINS0_14default_configENS1_27scan_by_key_config_selectorIifEEZZNS1_16scan_by_key_implILNS1_25lookback_scan_determinismE0ELb1ES3_N6thrust23THRUST_200600_302600_NS6detail15normal_iteratorINS9_10device_ptrIiEEEENSB_INSC_IjEEEESE_fNS9_4plusIvEENS9_8equal_toIvEEfEE10hipError_tPvRmT2_T3_T4_T5_mT6_T7_P12ihipStream_tbENKUlT_T0_E_clISt17integral_constantIbLb1EES11_EEDaSW_SX_EUlSW_E_NS1_11comp_targetILNS1_3genE3ELNS1_11target_archE908ELNS1_3gpuE7ELNS1_3repE0EEENS1_30default_config_static_selectorELNS0_4arch9wavefront6targetE0EEEvT1_, .Lfunc_end1801-_ZN7rocprim17ROCPRIM_400000_NS6detail17trampoline_kernelINS0_14default_configENS1_27scan_by_key_config_selectorIifEEZZNS1_16scan_by_key_implILNS1_25lookback_scan_determinismE0ELb1ES3_N6thrust23THRUST_200600_302600_NS6detail15normal_iteratorINS9_10device_ptrIiEEEENSB_INSC_IjEEEESE_fNS9_4plusIvEENS9_8equal_toIvEEfEE10hipError_tPvRmT2_T3_T4_T5_mT6_T7_P12ihipStream_tbENKUlT_T0_E_clISt17integral_constantIbLb1EES11_EEDaSW_SX_EUlSW_E_NS1_11comp_targetILNS1_3genE3ELNS1_11target_archE908ELNS1_3gpuE7ELNS1_3repE0EEENS1_30default_config_static_selectorELNS0_4arch9wavefront6targetE0EEEvT1_
                                        ; -- End function
	.set _ZN7rocprim17ROCPRIM_400000_NS6detail17trampoline_kernelINS0_14default_configENS1_27scan_by_key_config_selectorIifEEZZNS1_16scan_by_key_implILNS1_25lookback_scan_determinismE0ELb1ES3_N6thrust23THRUST_200600_302600_NS6detail15normal_iteratorINS9_10device_ptrIiEEEENSB_INSC_IjEEEESE_fNS9_4plusIvEENS9_8equal_toIvEEfEE10hipError_tPvRmT2_T3_T4_T5_mT6_T7_P12ihipStream_tbENKUlT_T0_E_clISt17integral_constantIbLb1EES11_EEDaSW_SX_EUlSW_E_NS1_11comp_targetILNS1_3genE3ELNS1_11target_archE908ELNS1_3gpuE7ELNS1_3repE0EEENS1_30default_config_static_selectorELNS0_4arch9wavefront6targetE0EEEvT1_.num_vgpr, 0
	.set _ZN7rocprim17ROCPRIM_400000_NS6detail17trampoline_kernelINS0_14default_configENS1_27scan_by_key_config_selectorIifEEZZNS1_16scan_by_key_implILNS1_25lookback_scan_determinismE0ELb1ES3_N6thrust23THRUST_200600_302600_NS6detail15normal_iteratorINS9_10device_ptrIiEEEENSB_INSC_IjEEEESE_fNS9_4plusIvEENS9_8equal_toIvEEfEE10hipError_tPvRmT2_T3_T4_T5_mT6_T7_P12ihipStream_tbENKUlT_T0_E_clISt17integral_constantIbLb1EES11_EEDaSW_SX_EUlSW_E_NS1_11comp_targetILNS1_3genE3ELNS1_11target_archE908ELNS1_3gpuE7ELNS1_3repE0EEENS1_30default_config_static_selectorELNS0_4arch9wavefront6targetE0EEEvT1_.num_agpr, 0
	.set _ZN7rocprim17ROCPRIM_400000_NS6detail17trampoline_kernelINS0_14default_configENS1_27scan_by_key_config_selectorIifEEZZNS1_16scan_by_key_implILNS1_25lookback_scan_determinismE0ELb1ES3_N6thrust23THRUST_200600_302600_NS6detail15normal_iteratorINS9_10device_ptrIiEEEENSB_INSC_IjEEEESE_fNS9_4plusIvEENS9_8equal_toIvEEfEE10hipError_tPvRmT2_T3_T4_T5_mT6_T7_P12ihipStream_tbENKUlT_T0_E_clISt17integral_constantIbLb1EES11_EEDaSW_SX_EUlSW_E_NS1_11comp_targetILNS1_3genE3ELNS1_11target_archE908ELNS1_3gpuE7ELNS1_3repE0EEENS1_30default_config_static_selectorELNS0_4arch9wavefront6targetE0EEEvT1_.numbered_sgpr, 0
	.set _ZN7rocprim17ROCPRIM_400000_NS6detail17trampoline_kernelINS0_14default_configENS1_27scan_by_key_config_selectorIifEEZZNS1_16scan_by_key_implILNS1_25lookback_scan_determinismE0ELb1ES3_N6thrust23THRUST_200600_302600_NS6detail15normal_iteratorINS9_10device_ptrIiEEEENSB_INSC_IjEEEESE_fNS9_4plusIvEENS9_8equal_toIvEEfEE10hipError_tPvRmT2_T3_T4_T5_mT6_T7_P12ihipStream_tbENKUlT_T0_E_clISt17integral_constantIbLb1EES11_EEDaSW_SX_EUlSW_E_NS1_11comp_targetILNS1_3genE3ELNS1_11target_archE908ELNS1_3gpuE7ELNS1_3repE0EEENS1_30default_config_static_selectorELNS0_4arch9wavefront6targetE0EEEvT1_.num_named_barrier, 0
	.set _ZN7rocprim17ROCPRIM_400000_NS6detail17trampoline_kernelINS0_14default_configENS1_27scan_by_key_config_selectorIifEEZZNS1_16scan_by_key_implILNS1_25lookback_scan_determinismE0ELb1ES3_N6thrust23THRUST_200600_302600_NS6detail15normal_iteratorINS9_10device_ptrIiEEEENSB_INSC_IjEEEESE_fNS9_4plusIvEENS9_8equal_toIvEEfEE10hipError_tPvRmT2_T3_T4_T5_mT6_T7_P12ihipStream_tbENKUlT_T0_E_clISt17integral_constantIbLb1EES11_EEDaSW_SX_EUlSW_E_NS1_11comp_targetILNS1_3genE3ELNS1_11target_archE908ELNS1_3gpuE7ELNS1_3repE0EEENS1_30default_config_static_selectorELNS0_4arch9wavefront6targetE0EEEvT1_.private_seg_size, 0
	.set _ZN7rocprim17ROCPRIM_400000_NS6detail17trampoline_kernelINS0_14default_configENS1_27scan_by_key_config_selectorIifEEZZNS1_16scan_by_key_implILNS1_25lookback_scan_determinismE0ELb1ES3_N6thrust23THRUST_200600_302600_NS6detail15normal_iteratorINS9_10device_ptrIiEEEENSB_INSC_IjEEEESE_fNS9_4plusIvEENS9_8equal_toIvEEfEE10hipError_tPvRmT2_T3_T4_T5_mT6_T7_P12ihipStream_tbENKUlT_T0_E_clISt17integral_constantIbLb1EES11_EEDaSW_SX_EUlSW_E_NS1_11comp_targetILNS1_3genE3ELNS1_11target_archE908ELNS1_3gpuE7ELNS1_3repE0EEENS1_30default_config_static_selectorELNS0_4arch9wavefront6targetE0EEEvT1_.uses_vcc, 0
	.set _ZN7rocprim17ROCPRIM_400000_NS6detail17trampoline_kernelINS0_14default_configENS1_27scan_by_key_config_selectorIifEEZZNS1_16scan_by_key_implILNS1_25lookback_scan_determinismE0ELb1ES3_N6thrust23THRUST_200600_302600_NS6detail15normal_iteratorINS9_10device_ptrIiEEEENSB_INSC_IjEEEESE_fNS9_4plusIvEENS9_8equal_toIvEEfEE10hipError_tPvRmT2_T3_T4_T5_mT6_T7_P12ihipStream_tbENKUlT_T0_E_clISt17integral_constantIbLb1EES11_EEDaSW_SX_EUlSW_E_NS1_11comp_targetILNS1_3genE3ELNS1_11target_archE908ELNS1_3gpuE7ELNS1_3repE0EEENS1_30default_config_static_selectorELNS0_4arch9wavefront6targetE0EEEvT1_.uses_flat_scratch, 0
	.set _ZN7rocprim17ROCPRIM_400000_NS6detail17trampoline_kernelINS0_14default_configENS1_27scan_by_key_config_selectorIifEEZZNS1_16scan_by_key_implILNS1_25lookback_scan_determinismE0ELb1ES3_N6thrust23THRUST_200600_302600_NS6detail15normal_iteratorINS9_10device_ptrIiEEEENSB_INSC_IjEEEESE_fNS9_4plusIvEENS9_8equal_toIvEEfEE10hipError_tPvRmT2_T3_T4_T5_mT6_T7_P12ihipStream_tbENKUlT_T0_E_clISt17integral_constantIbLb1EES11_EEDaSW_SX_EUlSW_E_NS1_11comp_targetILNS1_3genE3ELNS1_11target_archE908ELNS1_3gpuE7ELNS1_3repE0EEENS1_30default_config_static_selectorELNS0_4arch9wavefront6targetE0EEEvT1_.has_dyn_sized_stack, 0
	.set _ZN7rocprim17ROCPRIM_400000_NS6detail17trampoline_kernelINS0_14default_configENS1_27scan_by_key_config_selectorIifEEZZNS1_16scan_by_key_implILNS1_25lookback_scan_determinismE0ELb1ES3_N6thrust23THRUST_200600_302600_NS6detail15normal_iteratorINS9_10device_ptrIiEEEENSB_INSC_IjEEEESE_fNS9_4plusIvEENS9_8equal_toIvEEfEE10hipError_tPvRmT2_T3_T4_T5_mT6_T7_P12ihipStream_tbENKUlT_T0_E_clISt17integral_constantIbLb1EES11_EEDaSW_SX_EUlSW_E_NS1_11comp_targetILNS1_3genE3ELNS1_11target_archE908ELNS1_3gpuE7ELNS1_3repE0EEENS1_30default_config_static_selectorELNS0_4arch9wavefront6targetE0EEEvT1_.has_recursion, 0
	.set _ZN7rocprim17ROCPRIM_400000_NS6detail17trampoline_kernelINS0_14default_configENS1_27scan_by_key_config_selectorIifEEZZNS1_16scan_by_key_implILNS1_25lookback_scan_determinismE0ELb1ES3_N6thrust23THRUST_200600_302600_NS6detail15normal_iteratorINS9_10device_ptrIiEEEENSB_INSC_IjEEEESE_fNS9_4plusIvEENS9_8equal_toIvEEfEE10hipError_tPvRmT2_T3_T4_T5_mT6_T7_P12ihipStream_tbENKUlT_T0_E_clISt17integral_constantIbLb1EES11_EEDaSW_SX_EUlSW_E_NS1_11comp_targetILNS1_3genE3ELNS1_11target_archE908ELNS1_3gpuE7ELNS1_3repE0EEENS1_30default_config_static_selectorELNS0_4arch9wavefront6targetE0EEEvT1_.has_indirect_call, 0
	.section	.AMDGPU.csdata,"",@progbits
; Kernel info:
; codeLenInByte = 0
; TotalNumSgprs: 0
; NumVgprs: 0
; ScratchSize: 0
; MemoryBound: 0
; FloatMode: 240
; IeeeMode: 1
; LDSByteSize: 0 bytes/workgroup (compile time only)
; SGPRBlocks: 0
; VGPRBlocks: 0
; NumSGPRsForWavesPerEU: 1
; NumVGPRsForWavesPerEU: 1
; NamedBarCnt: 0
; Occupancy: 16
; WaveLimiterHint : 0
; COMPUTE_PGM_RSRC2:SCRATCH_EN: 0
; COMPUTE_PGM_RSRC2:USER_SGPR: 2
; COMPUTE_PGM_RSRC2:TRAP_HANDLER: 0
; COMPUTE_PGM_RSRC2:TGID_X_EN: 1
; COMPUTE_PGM_RSRC2:TGID_Y_EN: 0
; COMPUTE_PGM_RSRC2:TGID_Z_EN: 0
; COMPUTE_PGM_RSRC2:TIDIG_COMP_CNT: 0
	.section	.text._ZN7rocprim17ROCPRIM_400000_NS6detail17trampoline_kernelINS0_14default_configENS1_27scan_by_key_config_selectorIifEEZZNS1_16scan_by_key_implILNS1_25lookback_scan_determinismE0ELb1ES3_N6thrust23THRUST_200600_302600_NS6detail15normal_iteratorINS9_10device_ptrIiEEEENSB_INSC_IjEEEESE_fNS9_4plusIvEENS9_8equal_toIvEEfEE10hipError_tPvRmT2_T3_T4_T5_mT6_T7_P12ihipStream_tbENKUlT_T0_E_clISt17integral_constantIbLb1EES11_EEDaSW_SX_EUlSW_E_NS1_11comp_targetILNS1_3genE2ELNS1_11target_archE906ELNS1_3gpuE6ELNS1_3repE0EEENS1_30default_config_static_selectorELNS0_4arch9wavefront6targetE0EEEvT1_,"axG",@progbits,_ZN7rocprim17ROCPRIM_400000_NS6detail17trampoline_kernelINS0_14default_configENS1_27scan_by_key_config_selectorIifEEZZNS1_16scan_by_key_implILNS1_25lookback_scan_determinismE0ELb1ES3_N6thrust23THRUST_200600_302600_NS6detail15normal_iteratorINS9_10device_ptrIiEEEENSB_INSC_IjEEEESE_fNS9_4plusIvEENS9_8equal_toIvEEfEE10hipError_tPvRmT2_T3_T4_T5_mT6_T7_P12ihipStream_tbENKUlT_T0_E_clISt17integral_constantIbLb1EES11_EEDaSW_SX_EUlSW_E_NS1_11comp_targetILNS1_3genE2ELNS1_11target_archE906ELNS1_3gpuE6ELNS1_3repE0EEENS1_30default_config_static_selectorELNS0_4arch9wavefront6targetE0EEEvT1_,comdat
	.protected	_ZN7rocprim17ROCPRIM_400000_NS6detail17trampoline_kernelINS0_14default_configENS1_27scan_by_key_config_selectorIifEEZZNS1_16scan_by_key_implILNS1_25lookback_scan_determinismE0ELb1ES3_N6thrust23THRUST_200600_302600_NS6detail15normal_iteratorINS9_10device_ptrIiEEEENSB_INSC_IjEEEESE_fNS9_4plusIvEENS9_8equal_toIvEEfEE10hipError_tPvRmT2_T3_T4_T5_mT6_T7_P12ihipStream_tbENKUlT_T0_E_clISt17integral_constantIbLb1EES11_EEDaSW_SX_EUlSW_E_NS1_11comp_targetILNS1_3genE2ELNS1_11target_archE906ELNS1_3gpuE6ELNS1_3repE0EEENS1_30default_config_static_selectorELNS0_4arch9wavefront6targetE0EEEvT1_ ; -- Begin function _ZN7rocprim17ROCPRIM_400000_NS6detail17trampoline_kernelINS0_14default_configENS1_27scan_by_key_config_selectorIifEEZZNS1_16scan_by_key_implILNS1_25lookback_scan_determinismE0ELb1ES3_N6thrust23THRUST_200600_302600_NS6detail15normal_iteratorINS9_10device_ptrIiEEEENSB_INSC_IjEEEESE_fNS9_4plusIvEENS9_8equal_toIvEEfEE10hipError_tPvRmT2_T3_T4_T5_mT6_T7_P12ihipStream_tbENKUlT_T0_E_clISt17integral_constantIbLb1EES11_EEDaSW_SX_EUlSW_E_NS1_11comp_targetILNS1_3genE2ELNS1_11target_archE906ELNS1_3gpuE6ELNS1_3repE0EEENS1_30default_config_static_selectorELNS0_4arch9wavefront6targetE0EEEvT1_
	.globl	_ZN7rocprim17ROCPRIM_400000_NS6detail17trampoline_kernelINS0_14default_configENS1_27scan_by_key_config_selectorIifEEZZNS1_16scan_by_key_implILNS1_25lookback_scan_determinismE0ELb1ES3_N6thrust23THRUST_200600_302600_NS6detail15normal_iteratorINS9_10device_ptrIiEEEENSB_INSC_IjEEEESE_fNS9_4plusIvEENS9_8equal_toIvEEfEE10hipError_tPvRmT2_T3_T4_T5_mT6_T7_P12ihipStream_tbENKUlT_T0_E_clISt17integral_constantIbLb1EES11_EEDaSW_SX_EUlSW_E_NS1_11comp_targetILNS1_3genE2ELNS1_11target_archE906ELNS1_3gpuE6ELNS1_3repE0EEENS1_30default_config_static_selectorELNS0_4arch9wavefront6targetE0EEEvT1_
	.p2align	8
	.type	_ZN7rocprim17ROCPRIM_400000_NS6detail17trampoline_kernelINS0_14default_configENS1_27scan_by_key_config_selectorIifEEZZNS1_16scan_by_key_implILNS1_25lookback_scan_determinismE0ELb1ES3_N6thrust23THRUST_200600_302600_NS6detail15normal_iteratorINS9_10device_ptrIiEEEENSB_INSC_IjEEEESE_fNS9_4plusIvEENS9_8equal_toIvEEfEE10hipError_tPvRmT2_T3_T4_T5_mT6_T7_P12ihipStream_tbENKUlT_T0_E_clISt17integral_constantIbLb1EES11_EEDaSW_SX_EUlSW_E_NS1_11comp_targetILNS1_3genE2ELNS1_11target_archE906ELNS1_3gpuE6ELNS1_3repE0EEENS1_30default_config_static_selectorELNS0_4arch9wavefront6targetE0EEEvT1_,@function
_ZN7rocprim17ROCPRIM_400000_NS6detail17trampoline_kernelINS0_14default_configENS1_27scan_by_key_config_selectorIifEEZZNS1_16scan_by_key_implILNS1_25lookback_scan_determinismE0ELb1ES3_N6thrust23THRUST_200600_302600_NS6detail15normal_iteratorINS9_10device_ptrIiEEEENSB_INSC_IjEEEESE_fNS9_4plusIvEENS9_8equal_toIvEEfEE10hipError_tPvRmT2_T3_T4_T5_mT6_T7_P12ihipStream_tbENKUlT_T0_E_clISt17integral_constantIbLb1EES11_EEDaSW_SX_EUlSW_E_NS1_11comp_targetILNS1_3genE2ELNS1_11target_archE906ELNS1_3gpuE6ELNS1_3repE0EEENS1_30default_config_static_selectorELNS0_4arch9wavefront6targetE0EEEvT1_: ; @_ZN7rocprim17ROCPRIM_400000_NS6detail17trampoline_kernelINS0_14default_configENS1_27scan_by_key_config_selectorIifEEZZNS1_16scan_by_key_implILNS1_25lookback_scan_determinismE0ELb1ES3_N6thrust23THRUST_200600_302600_NS6detail15normal_iteratorINS9_10device_ptrIiEEEENSB_INSC_IjEEEESE_fNS9_4plusIvEENS9_8equal_toIvEEfEE10hipError_tPvRmT2_T3_T4_T5_mT6_T7_P12ihipStream_tbENKUlT_T0_E_clISt17integral_constantIbLb1EES11_EEDaSW_SX_EUlSW_E_NS1_11comp_targetILNS1_3genE2ELNS1_11target_archE906ELNS1_3gpuE6ELNS1_3repE0EEENS1_30default_config_static_selectorELNS0_4arch9wavefront6targetE0EEEvT1_
; %bb.0:
	.section	.rodata,"a",@progbits
	.p2align	6, 0x0
	.amdhsa_kernel _ZN7rocprim17ROCPRIM_400000_NS6detail17trampoline_kernelINS0_14default_configENS1_27scan_by_key_config_selectorIifEEZZNS1_16scan_by_key_implILNS1_25lookback_scan_determinismE0ELb1ES3_N6thrust23THRUST_200600_302600_NS6detail15normal_iteratorINS9_10device_ptrIiEEEENSB_INSC_IjEEEESE_fNS9_4plusIvEENS9_8equal_toIvEEfEE10hipError_tPvRmT2_T3_T4_T5_mT6_T7_P12ihipStream_tbENKUlT_T0_E_clISt17integral_constantIbLb1EES11_EEDaSW_SX_EUlSW_E_NS1_11comp_targetILNS1_3genE2ELNS1_11target_archE906ELNS1_3gpuE6ELNS1_3repE0EEENS1_30default_config_static_selectorELNS0_4arch9wavefront6targetE0EEEvT1_
		.amdhsa_group_segment_fixed_size 0
		.amdhsa_private_segment_fixed_size 0
		.amdhsa_kernarg_size 112
		.amdhsa_user_sgpr_count 2
		.amdhsa_user_sgpr_dispatch_ptr 0
		.amdhsa_user_sgpr_queue_ptr 0
		.amdhsa_user_sgpr_kernarg_segment_ptr 1
		.amdhsa_user_sgpr_dispatch_id 0
		.amdhsa_user_sgpr_kernarg_preload_length 0
		.amdhsa_user_sgpr_kernarg_preload_offset 0
		.amdhsa_user_sgpr_private_segment_size 0
		.amdhsa_wavefront_size32 1
		.amdhsa_uses_dynamic_stack 0
		.amdhsa_enable_private_segment 0
		.amdhsa_system_sgpr_workgroup_id_x 1
		.amdhsa_system_sgpr_workgroup_id_y 0
		.amdhsa_system_sgpr_workgroup_id_z 0
		.amdhsa_system_sgpr_workgroup_info 0
		.amdhsa_system_vgpr_workitem_id 0
		.amdhsa_next_free_vgpr 1
		.amdhsa_next_free_sgpr 1
		.amdhsa_named_barrier_count 0
		.amdhsa_reserve_vcc 0
		.amdhsa_float_round_mode_32 0
		.amdhsa_float_round_mode_16_64 0
		.amdhsa_float_denorm_mode_32 3
		.amdhsa_float_denorm_mode_16_64 3
		.amdhsa_fp16_overflow 0
		.amdhsa_memory_ordered 1
		.amdhsa_forward_progress 1
		.amdhsa_inst_pref_size 0
		.amdhsa_round_robin_scheduling 0
		.amdhsa_exception_fp_ieee_invalid_op 0
		.amdhsa_exception_fp_denorm_src 0
		.amdhsa_exception_fp_ieee_div_zero 0
		.amdhsa_exception_fp_ieee_overflow 0
		.amdhsa_exception_fp_ieee_underflow 0
		.amdhsa_exception_fp_ieee_inexact 0
		.amdhsa_exception_int_div_zero 0
	.end_amdhsa_kernel
	.section	.text._ZN7rocprim17ROCPRIM_400000_NS6detail17trampoline_kernelINS0_14default_configENS1_27scan_by_key_config_selectorIifEEZZNS1_16scan_by_key_implILNS1_25lookback_scan_determinismE0ELb1ES3_N6thrust23THRUST_200600_302600_NS6detail15normal_iteratorINS9_10device_ptrIiEEEENSB_INSC_IjEEEESE_fNS9_4plusIvEENS9_8equal_toIvEEfEE10hipError_tPvRmT2_T3_T4_T5_mT6_T7_P12ihipStream_tbENKUlT_T0_E_clISt17integral_constantIbLb1EES11_EEDaSW_SX_EUlSW_E_NS1_11comp_targetILNS1_3genE2ELNS1_11target_archE906ELNS1_3gpuE6ELNS1_3repE0EEENS1_30default_config_static_selectorELNS0_4arch9wavefront6targetE0EEEvT1_,"axG",@progbits,_ZN7rocprim17ROCPRIM_400000_NS6detail17trampoline_kernelINS0_14default_configENS1_27scan_by_key_config_selectorIifEEZZNS1_16scan_by_key_implILNS1_25lookback_scan_determinismE0ELb1ES3_N6thrust23THRUST_200600_302600_NS6detail15normal_iteratorINS9_10device_ptrIiEEEENSB_INSC_IjEEEESE_fNS9_4plusIvEENS9_8equal_toIvEEfEE10hipError_tPvRmT2_T3_T4_T5_mT6_T7_P12ihipStream_tbENKUlT_T0_E_clISt17integral_constantIbLb1EES11_EEDaSW_SX_EUlSW_E_NS1_11comp_targetILNS1_3genE2ELNS1_11target_archE906ELNS1_3gpuE6ELNS1_3repE0EEENS1_30default_config_static_selectorELNS0_4arch9wavefront6targetE0EEEvT1_,comdat
.Lfunc_end1802:
	.size	_ZN7rocprim17ROCPRIM_400000_NS6detail17trampoline_kernelINS0_14default_configENS1_27scan_by_key_config_selectorIifEEZZNS1_16scan_by_key_implILNS1_25lookback_scan_determinismE0ELb1ES3_N6thrust23THRUST_200600_302600_NS6detail15normal_iteratorINS9_10device_ptrIiEEEENSB_INSC_IjEEEESE_fNS9_4plusIvEENS9_8equal_toIvEEfEE10hipError_tPvRmT2_T3_T4_T5_mT6_T7_P12ihipStream_tbENKUlT_T0_E_clISt17integral_constantIbLb1EES11_EEDaSW_SX_EUlSW_E_NS1_11comp_targetILNS1_3genE2ELNS1_11target_archE906ELNS1_3gpuE6ELNS1_3repE0EEENS1_30default_config_static_selectorELNS0_4arch9wavefront6targetE0EEEvT1_, .Lfunc_end1802-_ZN7rocprim17ROCPRIM_400000_NS6detail17trampoline_kernelINS0_14default_configENS1_27scan_by_key_config_selectorIifEEZZNS1_16scan_by_key_implILNS1_25lookback_scan_determinismE0ELb1ES3_N6thrust23THRUST_200600_302600_NS6detail15normal_iteratorINS9_10device_ptrIiEEEENSB_INSC_IjEEEESE_fNS9_4plusIvEENS9_8equal_toIvEEfEE10hipError_tPvRmT2_T3_T4_T5_mT6_T7_P12ihipStream_tbENKUlT_T0_E_clISt17integral_constantIbLb1EES11_EEDaSW_SX_EUlSW_E_NS1_11comp_targetILNS1_3genE2ELNS1_11target_archE906ELNS1_3gpuE6ELNS1_3repE0EEENS1_30default_config_static_selectorELNS0_4arch9wavefront6targetE0EEEvT1_
                                        ; -- End function
	.set _ZN7rocprim17ROCPRIM_400000_NS6detail17trampoline_kernelINS0_14default_configENS1_27scan_by_key_config_selectorIifEEZZNS1_16scan_by_key_implILNS1_25lookback_scan_determinismE0ELb1ES3_N6thrust23THRUST_200600_302600_NS6detail15normal_iteratorINS9_10device_ptrIiEEEENSB_INSC_IjEEEESE_fNS9_4plusIvEENS9_8equal_toIvEEfEE10hipError_tPvRmT2_T3_T4_T5_mT6_T7_P12ihipStream_tbENKUlT_T0_E_clISt17integral_constantIbLb1EES11_EEDaSW_SX_EUlSW_E_NS1_11comp_targetILNS1_3genE2ELNS1_11target_archE906ELNS1_3gpuE6ELNS1_3repE0EEENS1_30default_config_static_selectorELNS0_4arch9wavefront6targetE0EEEvT1_.num_vgpr, 0
	.set _ZN7rocprim17ROCPRIM_400000_NS6detail17trampoline_kernelINS0_14default_configENS1_27scan_by_key_config_selectorIifEEZZNS1_16scan_by_key_implILNS1_25lookback_scan_determinismE0ELb1ES3_N6thrust23THRUST_200600_302600_NS6detail15normal_iteratorINS9_10device_ptrIiEEEENSB_INSC_IjEEEESE_fNS9_4plusIvEENS9_8equal_toIvEEfEE10hipError_tPvRmT2_T3_T4_T5_mT6_T7_P12ihipStream_tbENKUlT_T0_E_clISt17integral_constantIbLb1EES11_EEDaSW_SX_EUlSW_E_NS1_11comp_targetILNS1_3genE2ELNS1_11target_archE906ELNS1_3gpuE6ELNS1_3repE0EEENS1_30default_config_static_selectorELNS0_4arch9wavefront6targetE0EEEvT1_.num_agpr, 0
	.set _ZN7rocprim17ROCPRIM_400000_NS6detail17trampoline_kernelINS0_14default_configENS1_27scan_by_key_config_selectorIifEEZZNS1_16scan_by_key_implILNS1_25lookback_scan_determinismE0ELb1ES3_N6thrust23THRUST_200600_302600_NS6detail15normal_iteratorINS9_10device_ptrIiEEEENSB_INSC_IjEEEESE_fNS9_4plusIvEENS9_8equal_toIvEEfEE10hipError_tPvRmT2_T3_T4_T5_mT6_T7_P12ihipStream_tbENKUlT_T0_E_clISt17integral_constantIbLb1EES11_EEDaSW_SX_EUlSW_E_NS1_11comp_targetILNS1_3genE2ELNS1_11target_archE906ELNS1_3gpuE6ELNS1_3repE0EEENS1_30default_config_static_selectorELNS0_4arch9wavefront6targetE0EEEvT1_.numbered_sgpr, 0
	.set _ZN7rocprim17ROCPRIM_400000_NS6detail17trampoline_kernelINS0_14default_configENS1_27scan_by_key_config_selectorIifEEZZNS1_16scan_by_key_implILNS1_25lookback_scan_determinismE0ELb1ES3_N6thrust23THRUST_200600_302600_NS6detail15normal_iteratorINS9_10device_ptrIiEEEENSB_INSC_IjEEEESE_fNS9_4plusIvEENS9_8equal_toIvEEfEE10hipError_tPvRmT2_T3_T4_T5_mT6_T7_P12ihipStream_tbENKUlT_T0_E_clISt17integral_constantIbLb1EES11_EEDaSW_SX_EUlSW_E_NS1_11comp_targetILNS1_3genE2ELNS1_11target_archE906ELNS1_3gpuE6ELNS1_3repE0EEENS1_30default_config_static_selectorELNS0_4arch9wavefront6targetE0EEEvT1_.num_named_barrier, 0
	.set _ZN7rocprim17ROCPRIM_400000_NS6detail17trampoline_kernelINS0_14default_configENS1_27scan_by_key_config_selectorIifEEZZNS1_16scan_by_key_implILNS1_25lookback_scan_determinismE0ELb1ES3_N6thrust23THRUST_200600_302600_NS6detail15normal_iteratorINS9_10device_ptrIiEEEENSB_INSC_IjEEEESE_fNS9_4plusIvEENS9_8equal_toIvEEfEE10hipError_tPvRmT2_T3_T4_T5_mT6_T7_P12ihipStream_tbENKUlT_T0_E_clISt17integral_constantIbLb1EES11_EEDaSW_SX_EUlSW_E_NS1_11comp_targetILNS1_3genE2ELNS1_11target_archE906ELNS1_3gpuE6ELNS1_3repE0EEENS1_30default_config_static_selectorELNS0_4arch9wavefront6targetE0EEEvT1_.private_seg_size, 0
	.set _ZN7rocprim17ROCPRIM_400000_NS6detail17trampoline_kernelINS0_14default_configENS1_27scan_by_key_config_selectorIifEEZZNS1_16scan_by_key_implILNS1_25lookback_scan_determinismE0ELb1ES3_N6thrust23THRUST_200600_302600_NS6detail15normal_iteratorINS9_10device_ptrIiEEEENSB_INSC_IjEEEESE_fNS9_4plusIvEENS9_8equal_toIvEEfEE10hipError_tPvRmT2_T3_T4_T5_mT6_T7_P12ihipStream_tbENKUlT_T0_E_clISt17integral_constantIbLb1EES11_EEDaSW_SX_EUlSW_E_NS1_11comp_targetILNS1_3genE2ELNS1_11target_archE906ELNS1_3gpuE6ELNS1_3repE0EEENS1_30default_config_static_selectorELNS0_4arch9wavefront6targetE0EEEvT1_.uses_vcc, 0
	.set _ZN7rocprim17ROCPRIM_400000_NS6detail17trampoline_kernelINS0_14default_configENS1_27scan_by_key_config_selectorIifEEZZNS1_16scan_by_key_implILNS1_25lookback_scan_determinismE0ELb1ES3_N6thrust23THRUST_200600_302600_NS6detail15normal_iteratorINS9_10device_ptrIiEEEENSB_INSC_IjEEEESE_fNS9_4plusIvEENS9_8equal_toIvEEfEE10hipError_tPvRmT2_T3_T4_T5_mT6_T7_P12ihipStream_tbENKUlT_T0_E_clISt17integral_constantIbLb1EES11_EEDaSW_SX_EUlSW_E_NS1_11comp_targetILNS1_3genE2ELNS1_11target_archE906ELNS1_3gpuE6ELNS1_3repE0EEENS1_30default_config_static_selectorELNS0_4arch9wavefront6targetE0EEEvT1_.uses_flat_scratch, 0
	.set _ZN7rocprim17ROCPRIM_400000_NS6detail17trampoline_kernelINS0_14default_configENS1_27scan_by_key_config_selectorIifEEZZNS1_16scan_by_key_implILNS1_25lookback_scan_determinismE0ELb1ES3_N6thrust23THRUST_200600_302600_NS6detail15normal_iteratorINS9_10device_ptrIiEEEENSB_INSC_IjEEEESE_fNS9_4plusIvEENS9_8equal_toIvEEfEE10hipError_tPvRmT2_T3_T4_T5_mT6_T7_P12ihipStream_tbENKUlT_T0_E_clISt17integral_constantIbLb1EES11_EEDaSW_SX_EUlSW_E_NS1_11comp_targetILNS1_3genE2ELNS1_11target_archE906ELNS1_3gpuE6ELNS1_3repE0EEENS1_30default_config_static_selectorELNS0_4arch9wavefront6targetE0EEEvT1_.has_dyn_sized_stack, 0
	.set _ZN7rocprim17ROCPRIM_400000_NS6detail17trampoline_kernelINS0_14default_configENS1_27scan_by_key_config_selectorIifEEZZNS1_16scan_by_key_implILNS1_25lookback_scan_determinismE0ELb1ES3_N6thrust23THRUST_200600_302600_NS6detail15normal_iteratorINS9_10device_ptrIiEEEENSB_INSC_IjEEEESE_fNS9_4plusIvEENS9_8equal_toIvEEfEE10hipError_tPvRmT2_T3_T4_T5_mT6_T7_P12ihipStream_tbENKUlT_T0_E_clISt17integral_constantIbLb1EES11_EEDaSW_SX_EUlSW_E_NS1_11comp_targetILNS1_3genE2ELNS1_11target_archE906ELNS1_3gpuE6ELNS1_3repE0EEENS1_30default_config_static_selectorELNS0_4arch9wavefront6targetE0EEEvT1_.has_recursion, 0
	.set _ZN7rocprim17ROCPRIM_400000_NS6detail17trampoline_kernelINS0_14default_configENS1_27scan_by_key_config_selectorIifEEZZNS1_16scan_by_key_implILNS1_25lookback_scan_determinismE0ELb1ES3_N6thrust23THRUST_200600_302600_NS6detail15normal_iteratorINS9_10device_ptrIiEEEENSB_INSC_IjEEEESE_fNS9_4plusIvEENS9_8equal_toIvEEfEE10hipError_tPvRmT2_T3_T4_T5_mT6_T7_P12ihipStream_tbENKUlT_T0_E_clISt17integral_constantIbLb1EES11_EEDaSW_SX_EUlSW_E_NS1_11comp_targetILNS1_3genE2ELNS1_11target_archE906ELNS1_3gpuE6ELNS1_3repE0EEENS1_30default_config_static_selectorELNS0_4arch9wavefront6targetE0EEEvT1_.has_indirect_call, 0
	.section	.AMDGPU.csdata,"",@progbits
; Kernel info:
; codeLenInByte = 0
; TotalNumSgprs: 0
; NumVgprs: 0
; ScratchSize: 0
; MemoryBound: 0
; FloatMode: 240
; IeeeMode: 1
; LDSByteSize: 0 bytes/workgroup (compile time only)
; SGPRBlocks: 0
; VGPRBlocks: 0
; NumSGPRsForWavesPerEU: 1
; NumVGPRsForWavesPerEU: 1
; NamedBarCnt: 0
; Occupancy: 16
; WaveLimiterHint : 0
; COMPUTE_PGM_RSRC2:SCRATCH_EN: 0
; COMPUTE_PGM_RSRC2:USER_SGPR: 2
; COMPUTE_PGM_RSRC2:TRAP_HANDLER: 0
; COMPUTE_PGM_RSRC2:TGID_X_EN: 1
; COMPUTE_PGM_RSRC2:TGID_Y_EN: 0
; COMPUTE_PGM_RSRC2:TGID_Z_EN: 0
; COMPUTE_PGM_RSRC2:TIDIG_COMP_CNT: 0
	.section	.text._ZN7rocprim17ROCPRIM_400000_NS6detail17trampoline_kernelINS0_14default_configENS1_27scan_by_key_config_selectorIifEEZZNS1_16scan_by_key_implILNS1_25lookback_scan_determinismE0ELb1ES3_N6thrust23THRUST_200600_302600_NS6detail15normal_iteratorINS9_10device_ptrIiEEEENSB_INSC_IjEEEESE_fNS9_4plusIvEENS9_8equal_toIvEEfEE10hipError_tPvRmT2_T3_T4_T5_mT6_T7_P12ihipStream_tbENKUlT_T0_E_clISt17integral_constantIbLb1EES11_EEDaSW_SX_EUlSW_E_NS1_11comp_targetILNS1_3genE10ELNS1_11target_archE1200ELNS1_3gpuE4ELNS1_3repE0EEENS1_30default_config_static_selectorELNS0_4arch9wavefront6targetE0EEEvT1_,"axG",@progbits,_ZN7rocprim17ROCPRIM_400000_NS6detail17trampoline_kernelINS0_14default_configENS1_27scan_by_key_config_selectorIifEEZZNS1_16scan_by_key_implILNS1_25lookback_scan_determinismE0ELb1ES3_N6thrust23THRUST_200600_302600_NS6detail15normal_iteratorINS9_10device_ptrIiEEEENSB_INSC_IjEEEESE_fNS9_4plusIvEENS9_8equal_toIvEEfEE10hipError_tPvRmT2_T3_T4_T5_mT6_T7_P12ihipStream_tbENKUlT_T0_E_clISt17integral_constantIbLb1EES11_EEDaSW_SX_EUlSW_E_NS1_11comp_targetILNS1_3genE10ELNS1_11target_archE1200ELNS1_3gpuE4ELNS1_3repE0EEENS1_30default_config_static_selectorELNS0_4arch9wavefront6targetE0EEEvT1_,comdat
	.protected	_ZN7rocprim17ROCPRIM_400000_NS6detail17trampoline_kernelINS0_14default_configENS1_27scan_by_key_config_selectorIifEEZZNS1_16scan_by_key_implILNS1_25lookback_scan_determinismE0ELb1ES3_N6thrust23THRUST_200600_302600_NS6detail15normal_iteratorINS9_10device_ptrIiEEEENSB_INSC_IjEEEESE_fNS9_4plusIvEENS9_8equal_toIvEEfEE10hipError_tPvRmT2_T3_T4_T5_mT6_T7_P12ihipStream_tbENKUlT_T0_E_clISt17integral_constantIbLb1EES11_EEDaSW_SX_EUlSW_E_NS1_11comp_targetILNS1_3genE10ELNS1_11target_archE1200ELNS1_3gpuE4ELNS1_3repE0EEENS1_30default_config_static_selectorELNS0_4arch9wavefront6targetE0EEEvT1_ ; -- Begin function _ZN7rocprim17ROCPRIM_400000_NS6detail17trampoline_kernelINS0_14default_configENS1_27scan_by_key_config_selectorIifEEZZNS1_16scan_by_key_implILNS1_25lookback_scan_determinismE0ELb1ES3_N6thrust23THRUST_200600_302600_NS6detail15normal_iteratorINS9_10device_ptrIiEEEENSB_INSC_IjEEEESE_fNS9_4plusIvEENS9_8equal_toIvEEfEE10hipError_tPvRmT2_T3_T4_T5_mT6_T7_P12ihipStream_tbENKUlT_T0_E_clISt17integral_constantIbLb1EES11_EEDaSW_SX_EUlSW_E_NS1_11comp_targetILNS1_3genE10ELNS1_11target_archE1200ELNS1_3gpuE4ELNS1_3repE0EEENS1_30default_config_static_selectorELNS0_4arch9wavefront6targetE0EEEvT1_
	.globl	_ZN7rocprim17ROCPRIM_400000_NS6detail17trampoline_kernelINS0_14default_configENS1_27scan_by_key_config_selectorIifEEZZNS1_16scan_by_key_implILNS1_25lookback_scan_determinismE0ELb1ES3_N6thrust23THRUST_200600_302600_NS6detail15normal_iteratorINS9_10device_ptrIiEEEENSB_INSC_IjEEEESE_fNS9_4plusIvEENS9_8equal_toIvEEfEE10hipError_tPvRmT2_T3_T4_T5_mT6_T7_P12ihipStream_tbENKUlT_T0_E_clISt17integral_constantIbLb1EES11_EEDaSW_SX_EUlSW_E_NS1_11comp_targetILNS1_3genE10ELNS1_11target_archE1200ELNS1_3gpuE4ELNS1_3repE0EEENS1_30default_config_static_selectorELNS0_4arch9wavefront6targetE0EEEvT1_
	.p2align	8
	.type	_ZN7rocprim17ROCPRIM_400000_NS6detail17trampoline_kernelINS0_14default_configENS1_27scan_by_key_config_selectorIifEEZZNS1_16scan_by_key_implILNS1_25lookback_scan_determinismE0ELb1ES3_N6thrust23THRUST_200600_302600_NS6detail15normal_iteratorINS9_10device_ptrIiEEEENSB_INSC_IjEEEESE_fNS9_4plusIvEENS9_8equal_toIvEEfEE10hipError_tPvRmT2_T3_T4_T5_mT6_T7_P12ihipStream_tbENKUlT_T0_E_clISt17integral_constantIbLb1EES11_EEDaSW_SX_EUlSW_E_NS1_11comp_targetILNS1_3genE10ELNS1_11target_archE1200ELNS1_3gpuE4ELNS1_3repE0EEENS1_30default_config_static_selectorELNS0_4arch9wavefront6targetE0EEEvT1_,@function
_ZN7rocprim17ROCPRIM_400000_NS6detail17trampoline_kernelINS0_14default_configENS1_27scan_by_key_config_selectorIifEEZZNS1_16scan_by_key_implILNS1_25lookback_scan_determinismE0ELb1ES3_N6thrust23THRUST_200600_302600_NS6detail15normal_iteratorINS9_10device_ptrIiEEEENSB_INSC_IjEEEESE_fNS9_4plusIvEENS9_8equal_toIvEEfEE10hipError_tPvRmT2_T3_T4_T5_mT6_T7_P12ihipStream_tbENKUlT_T0_E_clISt17integral_constantIbLb1EES11_EEDaSW_SX_EUlSW_E_NS1_11comp_targetILNS1_3genE10ELNS1_11target_archE1200ELNS1_3gpuE4ELNS1_3repE0EEENS1_30default_config_static_selectorELNS0_4arch9wavefront6targetE0EEEvT1_: ; @_ZN7rocprim17ROCPRIM_400000_NS6detail17trampoline_kernelINS0_14default_configENS1_27scan_by_key_config_selectorIifEEZZNS1_16scan_by_key_implILNS1_25lookback_scan_determinismE0ELb1ES3_N6thrust23THRUST_200600_302600_NS6detail15normal_iteratorINS9_10device_ptrIiEEEENSB_INSC_IjEEEESE_fNS9_4plusIvEENS9_8equal_toIvEEfEE10hipError_tPvRmT2_T3_T4_T5_mT6_T7_P12ihipStream_tbENKUlT_T0_E_clISt17integral_constantIbLb1EES11_EEDaSW_SX_EUlSW_E_NS1_11comp_targetILNS1_3genE10ELNS1_11target_archE1200ELNS1_3gpuE4ELNS1_3repE0EEENS1_30default_config_static_selectorELNS0_4arch9wavefront6targetE0EEEvT1_
; %bb.0:
	.section	.rodata,"a",@progbits
	.p2align	6, 0x0
	.amdhsa_kernel _ZN7rocprim17ROCPRIM_400000_NS6detail17trampoline_kernelINS0_14default_configENS1_27scan_by_key_config_selectorIifEEZZNS1_16scan_by_key_implILNS1_25lookback_scan_determinismE0ELb1ES3_N6thrust23THRUST_200600_302600_NS6detail15normal_iteratorINS9_10device_ptrIiEEEENSB_INSC_IjEEEESE_fNS9_4plusIvEENS9_8equal_toIvEEfEE10hipError_tPvRmT2_T3_T4_T5_mT6_T7_P12ihipStream_tbENKUlT_T0_E_clISt17integral_constantIbLb1EES11_EEDaSW_SX_EUlSW_E_NS1_11comp_targetILNS1_3genE10ELNS1_11target_archE1200ELNS1_3gpuE4ELNS1_3repE0EEENS1_30default_config_static_selectorELNS0_4arch9wavefront6targetE0EEEvT1_
		.amdhsa_group_segment_fixed_size 0
		.amdhsa_private_segment_fixed_size 0
		.amdhsa_kernarg_size 112
		.amdhsa_user_sgpr_count 2
		.amdhsa_user_sgpr_dispatch_ptr 0
		.amdhsa_user_sgpr_queue_ptr 0
		.amdhsa_user_sgpr_kernarg_segment_ptr 1
		.amdhsa_user_sgpr_dispatch_id 0
		.amdhsa_user_sgpr_kernarg_preload_length 0
		.amdhsa_user_sgpr_kernarg_preload_offset 0
		.amdhsa_user_sgpr_private_segment_size 0
		.amdhsa_wavefront_size32 1
		.amdhsa_uses_dynamic_stack 0
		.amdhsa_enable_private_segment 0
		.amdhsa_system_sgpr_workgroup_id_x 1
		.amdhsa_system_sgpr_workgroup_id_y 0
		.amdhsa_system_sgpr_workgroup_id_z 0
		.amdhsa_system_sgpr_workgroup_info 0
		.amdhsa_system_vgpr_workitem_id 0
		.amdhsa_next_free_vgpr 1
		.amdhsa_next_free_sgpr 1
		.amdhsa_named_barrier_count 0
		.amdhsa_reserve_vcc 0
		.amdhsa_float_round_mode_32 0
		.amdhsa_float_round_mode_16_64 0
		.amdhsa_float_denorm_mode_32 3
		.amdhsa_float_denorm_mode_16_64 3
		.amdhsa_fp16_overflow 0
		.amdhsa_memory_ordered 1
		.amdhsa_forward_progress 1
		.amdhsa_inst_pref_size 0
		.amdhsa_round_robin_scheduling 0
		.amdhsa_exception_fp_ieee_invalid_op 0
		.amdhsa_exception_fp_denorm_src 0
		.amdhsa_exception_fp_ieee_div_zero 0
		.amdhsa_exception_fp_ieee_overflow 0
		.amdhsa_exception_fp_ieee_underflow 0
		.amdhsa_exception_fp_ieee_inexact 0
		.amdhsa_exception_int_div_zero 0
	.end_amdhsa_kernel
	.section	.text._ZN7rocprim17ROCPRIM_400000_NS6detail17trampoline_kernelINS0_14default_configENS1_27scan_by_key_config_selectorIifEEZZNS1_16scan_by_key_implILNS1_25lookback_scan_determinismE0ELb1ES3_N6thrust23THRUST_200600_302600_NS6detail15normal_iteratorINS9_10device_ptrIiEEEENSB_INSC_IjEEEESE_fNS9_4plusIvEENS9_8equal_toIvEEfEE10hipError_tPvRmT2_T3_T4_T5_mT6_T7_P12ihipStream_tbENKUlT_T0_E_clISt17integral_constantIbLb1EES11_EEDaSW_SX_EUlSW_E_NS1_11comp_targetILNS1_3genE10ELNS1_11target_archE1200ELNS1_3gpuE4ELNS1_3repE0EEENS1_30default_config_static_selectorELNS0_4arch9wavefront6targetE0EEEvT1_,"axG",@progbits,_ZN7rocprim17ROCPRIM_400000_NS6detail17trampoline_kernelINS0_14default_configENS1_27scan_by_key_config_selectorIifEEZZNS1_16scan_by_key_implILNS1_25lookback_scan_determinismE0ELb1ES3_N6thrust23THRUST_200600_302600_NS6detail15normal_iteratorINS9_10device_ptrIiEEEENSB_INSC_IjEEEESE_fNS9_4plusIvEENS9_8equal_toIvEEfEE10hipError_tPvRmT2_T3_T4_T5_mT6_T7_P12ihipStream_tbENKUlT_T0_E_clISt17integral_constantIbLb1EES11_EEDaSW_SX_EUlSW_E_NS1_11comp_targetILNS1_3genE10ELNS1_11target_archE1200ELNS1_3gpuE4ELNS1_3repE0EEENS1_30default_config_static_selectorELNS0_4arch9wavefront6targetE0EEEvT1_,comdat
.Lfunc_end1803:
	.size	_ZN7rocprim17ROCPRIM_400000_NS6detail17trampoline_kernelINS0_14default_configENS1_27scan_by_key_config_selectorIifEEZZNS1_16scan_by_key_implILNS1_25lookback_scan_determinismE0ELb1ES3_N6thrust23THRUST_200600_302600_NS6detail15normal_iteratorINS9_10device_ptrIiEEEENSB_INSC_IjEEEESE_fNS9_4plusIvEENS9_8equal_toIvEEfEE10hipError_tPvRmT2_T3_T4_T5_mT6_T7_P12ihipStream_tbENKUlT_T0_E_clISt17integral_constantIbLb1EES11_EEDaSW_SX_EUlSW_E_NS1_11comp_targetILNS1_3genE10ELNS1_11target_archE1200ELNS1_3gpuE4ELNS1_3repE0EEENS1_30default_config_static_selectorELNS0_4arch9wavefront6targetE0EEEvT1_, .Lfunc_end1803-_ZN7rocprim17ROCPRIM_400000_NS6detail17trampoline_kernelINS0_14default_configENS1_27scan_by_key_config_selectorIifEEZZNS1_16scan_by_key_implILNS1_25lookback_scan_determinismE0ELb1ES3_N6thrust23THRUST_200600_302600_NS6detail15normal_iteratorINS9_10device_ptrIiEEEENSB_INSC_IjEEEESE_fNS9_4plusIvEENS9_8equal_toIvEEfEE10hipError_tPvRmT2_T3_T4_T5_mT6_T7_P12ihipStream_tbENKUlT_T0_E_clISt17integral_constantIbLb1EES11_EEDaSW_SX_EUlSW_E_NS1_11comp_targetILNS1_3genE10ELNS1_11target_archE1200ELNS1_3gpuE4ELNS1_3repE0EEENS1_30default_config_static_selectorELNS0_4arch9wavefront6targetE0EEEvT1_
                                        ; -- End function
	.set _ZN7rocprim17ROCPRIM_400000_NS6detail17trampoline_kernelINS0_14default_configENS1_27scan_by_key_config_selectorIifEEZZNS1_16scan_by_key_implILNS1_25lookback_scan_determinismE0ELb1ES3_N6thrust23THRUST_200600_302600_NS6detail15normal_iteratorINS9_10device_ptrIiEEEENSB_INSC_IjEEEESE_fNS9_4plusIvEENS9_8equal_toIvEEfEE10hipError_tPvRmT2_T3_T4_T5_mT6_T7_P12ihipStream_tbENKUlT_T0_E_clISt17integral_constantIbLb1EES11_EEDaSW_SX_EUlSW_E_NS1_11comp_targetILNS1_3genE10ELNS1_11target_archE1200ELNS1_3gpuE4ELNS1_3repE0EEENS1_30default_config_static_selectorELNS0_4arch9wavefront6targetE0EEEvT1_.num_vgpr, 0
	.set _ZN7rocprim17ROCPRIM_400000_NS6detail17trampoline_kernelINS0_14default_configENS1_27scan_by_key_config_selectorIifEEZZNS1_16scan_by_key_implILNS1_25lookback_scan_determinismE0ELb1ES3_N6thrust23THRUST_200600_302600_NS6detail15normal_iteratorINS9_10device_ptrIiEEEENSB_INSC_IjEEEESE_fNS9_4plusIvEENS9_8equal_toIvEEfEE10hipError_tPvRmT2_T3_T4_T5_mT6_T7_P12ihipStream_tbENKUlT_T0_E_clISt17integral_constantIbLb1EES11_EEDaSW_SX_EUlSW_E_NS1_11comp_targetILNS1_3genE10ELNS1_11target_archE1200ELNS1_3gpuE4ELNS1_3repE0EEENS1_30default_config_static_selectorELNS0_4arch9wavefront6targetE0EEEvT1_.num_agpr, 0
	.set _ZN7rocprim17ROCPRIM_400000_NS6detail17trampoline_kernelINS0_14default_configENS1_27scan_by_key_config_selectorIifEEZZNS1_16scan_by_key_implILNS1_25lookback_scan_determinismE0ELb1ES3_N6thrust23THRUST_200600_302600_NS6detail15normal_iteratorINS9_10device_ptrIiEEEENSB_INSC_IjEEEESE_fNS9_4plusIvEENS9_8equal_toIvEEfEE10hipError_tPvRmT2_T3_T4_T5_mT6_T7_P12ihipStream_tbENKUlT_T0_E_clISt17integral_constantIbLb1EES11_EEDaSW_SX_EUlSW_E_NS1_11comp_targetILNS1_3genE10ELNS1_11target_archE1200ELNS1_3gpuE4ELNS1_3repE0EEENS1_30default_config_static_selectorELNS0_4arch9wavefront6targetE0EEEvT1_.numbered_sgpr, 0
	.set _ZN7rocprim17ROCPRIM_400000_NS6detail17trampoline_kernelINS0_14default_configENS1_27scan_by_key_config_selectorIifEEZZNS1_16scan_by_key_implILNS1_25lookback_scan_determinismE0ELb1ES3_N6thrust23THRUST_200600_302600_NS6detail15normal_iteratorINS9_10device_ptrIiEEEENSB_INSC_IjEEEESE_fNS9_4plusIvEENS9_8equal_toIvEEfEE10hipError_tPvRmT2_T3_T4_T5_mT6_T7_P12ihipStream_tbENKUlT_T0_E_clISt17integral_constantIbLb1EES11_EEDaSW_SX_EUlSW_E_NS1_11comp_targetILNS1_3genE10ELNS1_11target_archE1200ELNS1_3gpuE4ELNS1_3repE0EEENS1_30default_config_static_selectorELNS0_4arch9wavefront6targetE0EEEvT1_.num_named_barrier, 0
	.set _ZN7rocprim17ROCPRIM_400000_NS6detail17trampoline_kernelINS0_14default_configENS1_27scan_by_key_config_selectorIifEEZZNS1_16scan_by_key_implILNS1_25lookback_scan_determinismE0ELb1ES3_N6thrust23THRUST_200600_302600_NS6detail15normal_iteratorINS9_10device_ptrIiEEEENSB_INSC_IjEEEESE_fNS9_4plusIvEENS9_8equal_toIvEEfEE10hipError_tPvRmT2_T3_T4_T5_mT6_T7_P12ihipStream_tbENKUlT_T0_E_clISt17integral_constantIbLb1EES11_EEDaSW_SX_EUlSW_E_NS1_11comp_targetILNS1_3genE10ELNS1_11target_archE1200ELNS1_3gpuE4ELNS1_3repE0EEENS1_30default_config_static_selectorELNS0_4arch9wavefront6targetE0EEEvT1_.private_seg_size, 0
	.set _ZN7rocprim17ROCPRIM_400000_NS6detail17trampoline_kernelINS0_14default_configENS1_27scan_by_key_config_selectorIifEEZZNS1_16scan_by_key_implILNS1_25lookback_scan_determinismE0ELb1ES3_N6thrust23THRUST_200600_302600_NS6detail15normal_iteratorINS9_10device_ptrIiEEEENSB_INSC_IjEEEESE_fNS9_4plusIvEENS9_8equal_toIvEEfEE10hipError_tPvRmT2_T3_T4_T5_mT6_T7_P12ihipStream_tbENKUlT_T0_E_clISt17integral_constantIbLb1EES11_EEDaSW_SX_EUlSW_E_NS1_11comp_targetILNS1_3genE10ELNS1_11target_archE1200ELNS1_3gpuE4ELNS1_3repE0EEENS1_30default_config_static_selectorELNS0_4arch9wavefront6targetE0EEEvT1_.uses_vcc, 0
	.set _ZN7rocprim17ROCPRIM_400000_NS6detail17trampoline_kernelINS0_14default_configENS1_27scan_by_key_config_selectorIifEEZZNS1_16scan_by_key_implILNS1_25lookback_scan_determinismE0ELb1ES3_N6thrust23THRUST_200600_302600_NS6detail15normal_iteratorINS9_10device_ptrIiEEEENSB_INSC_IjEEEESE_fNS9_4plusIvEENS9_8equal_toIvEEfEE10hipError_tPvRmT2_T3_T4_T5_mT6_T7_P12ihipStream_tbENKUlT_T0_E_clISt17integral_constantIbLb1EES11_EEDaSW_SX_EUlSW_E_NS1_11comp_targetILNS1_3genE10ELNS1_11target_archE1200ELNS1_3gpuE4ELNS1_3repE0EEENS1_30default_config_static_selectorELNS0_4arch9wavefront6targetE0EEEvT1_.uses_flat_scratch, 0
	.set _ZN7rocprim17ROCPRIM_400000_NS6detail17trampoline_kernelINS0_14default_configENS1_27scan_by_key_config_selectorIifEEZZNS1_16scan_by_key_implILNS1_25lookback_scan_determinismE0ELb1ES3_N6thrust23THRUST_200600_302600_NS6detail15normal_iteratorINS9_10device_ptrIiEEEENSB_INSC_IjEEEESE_fNS9_4plusIvEENS9_8equal_toIvEEfEE10hipError_tPvRmT2_T3_T4_T5_mT6_T7_P12ihipStream_tbENKUlT_T0_E_clISt17integral_constantIbLb1EES11_EEDaSW_SX_EUlSW_E_NS1_11comp_targetILNS1_3genE10ELNS1_11target_archE1200ELNS1_3gpuE4ELNS1_3repE0EEENS1_30default_config_static_selectorELNS0_4arch9wavefront6targetE0EEEvT1_.has_dyn_sized_stack, 0
	.set _ZN7rocprim17ROCPRIM_400000_NS6detail17trampoline_kernelINS0_14default_configENS1_27scan_by_key_config_selectorIifEEZZNS1_16scan_by_key_implILNS1_25lookback_scan_determinismE0ELb1ES3_N6thrust23THRUST_200600_302600_NS6detail15normal_iteratorINS9_10device_ptrIiEEEENSB_INSC_IjEEEESE_fNS9_4plusIvEENS9_8equal_toIvEEfEE10hipError_tPvRmT2_T3_T4_T5_mT6_T7_P12ihipStream_tbENKUlT_T0_E_clISt17integral_constantIbLb1EES11_EEDaSW_SX_EUlSW_E_NS1_11comp_targetILNS1_3genE10ELNS1_11target_archE1200ELNS1_3gpuE4ELNS1_3repE0EEENS1_30default_config_static_selectorELNS0_4arch9wavefront6targetE0EEEvT1_.has_recursion, 0
	.set _ZN7rocprim17ROCPRIM_400000_NS6detail17trampoline_kernelINS0_14default_configENS1_27scan_by_key_config_selectorIifEEZZNS1_16scan_by_key_implILNS1_25lookback_scan_determinismE0ELb1ES3_N6thrust23THRUST_200600_302600_NS6detail15normal_iteratorINS9_10device_ptrIiEEEENSB_INSC_IjEEEESE_fNS9_4plusIvEENS9_8equal_toIvEEfEE10hipError_tPvRmT2_T3_T4_T5_mT6_T7_P12ihipStream_tbENKUlT_T0_E_clISt17integral_constantIbLb1EES11_EEDaSW_SX_EUlSW_E_NS1_11comp_targetILNS1_3genE10ELNS1_11target_archE1200ELNS1_3gpuE4ELNS1_3repE0EEENS1_30default_config_static_selectorELNS0_4arch9wavefront6targetE0EEEvT1_.has_indirect_call, 0
	.section	.AMDGPU.csdata,"",@progbits
; Kernel info:
; codeLenInByte = 0
; TotalNumSgprs: 0
; NumVgprs: 0
; ScratchSize: 0
; MemoryBound: 0
; FloatMode: 240
; IeeeMode: 1
; LDSByteSize: 0 bytes/workgroup (compile time only)
; SGPRBlocks: 0
; VGPRBlocks: 0
; NumSGPRsForWavesPerEU: 1
; NumVGPRsForWavesPerEU: 1
; NamedBarCnt: 0
; Occupancy: 16
; WaveLimiterHint : 0
; COMPUTE_PGM_RSRC2:SCRATCH_EN: 0
; COMPUTE_PGM_RSRC2:USER_SGPR: 2
; COMPUTE_PGM_RSRC2:TRAP_HANDLER: 0
; COMPUTE_PGM_RSRC2:TGID_X_EN: 1
; COMPUTE_PGM_RSRC2:TGID_Y_EN: 0
; COMPUTE_PGM_RSRC2:TGID_Z_EN: 0
; COMPUTE_PGM_RSRC2:TIDIG_COMP_CNT: 0
	.section	.text._ZN7rocprim17ROCPRIM_400000_NS6detail17trampoline_kernelINS0_14default_configENS1_27scan_by_key_config_selectorIifEEZZNS1_16scan_by_key_implILNS1_25lookback_scan_determinismE0ELb1ES3_N6thrust23THRUST_200600_302600_NS6detail15normal_iteratorINS9_10device_ptrIiEEEENSB_INSC_IjEEEESE_fNS9_4plusIvEENS9_8equal_toIvEEfEE10hipError_tPvRmT2_T3_T4_T5_mT6_T7_P12ihipStream_tbENKUlT_T0_E_clISt17integral_constantIbLb1EES11_EEDaSW_SX_EUlSW_E_NS1_11comp_targetILNS1_3genE9ELNS1_11target_archE1100ELNS1_3gpuE3ELNS1_3repE0EEENS1_30default_config_static_selectorELNS0_4arch9wavefront6targetE0EEEvT1_,"axG",@progbits,_ZN7rocprim17ROCPRIM_400000_NS6detail17trampoline_kernelINS0_14default_configENS1_27scan_by_key_config_selectorIifEEZZNS1_16scan_by_key_implILNS1_25lookback_scan_determinismE0ELb1ES3_N6thrust23THRUST_200600_302600_NS6detail15normal_iteratorINS9_10device_ptrIiEEEENSB_INSC_IjEEEESE_fNS9_4plusIvEENS9_8equal_toIvEEfEE10hipError_tPvRmT2_T3_T4_T5_mT6_T7_P12ihipStream_tbENKUlT_T0_E_clISt17integral_constantIbLb1EES11_EEDaSW_SX_EUlSW_E_NS1_11comp_targetILNS1_3genE9ELNS1_11target_archE1100ELNS1_3gpuE3ELNS1_3repE0EEENS1_30default_config_static_selectorELNS0_4arch9wavefront6targetE0EEEvT1_,comdat
	.protected	_ZN7rocprim17ROCPRIM_400000_NS6detail17trampoline_kernelINS0_14default_configENS1_27scan_by_key_config_selectorIifEEZZNS1_16scan_by_key_implILNS1_25lookback_scan_determinismE0ELb1ES3_N6thrust23THRUST_200600_302600_NS6detail15normal_iteratorINS9_10device_ptrIiEEEENSB_INSC_IjEEEESE_fNS9_4plusIvEENS9_8equal_toIvEEfEE10hipError_tPvRmT2_T3_T4_T5_mT6_T7_P12ihipStream_tbENKUlT_T0_E_clISt17integral_constantIbLb1EES11_EEDaSW_SX_EUlSW_E_NS1_11comp_targetILNS1_3genE9ELNS1_11target_archE1100ELNS1_3gpuE3ELNS1_3repE0EEENS1_30default_config_static_selectorELNS0_4arch9wavefront6targetE0EEEvT1_ ; -- Begin function _ZN7rocprim17ROCPRIM_400000_NS6detail17trampoline_kernelINS0_14default_configENS1_27scan_by_key_config_selectorIifEEZZNS1_16scan_by_key_implILNS1_25lookback_scan_determinismE0ELb1ES3_N6thrust23THRUST_200600_302600_NS6detail15normal_iteratorINS9_10device_ptrIiEEEENSB_INSC_IjEEEESE_fNS9_4plusIvEENS9_8equal_toIvEEfEE10hipError_tPvRmT2_T3_T4_T5_mT6_T7_P12ihipStream_tbENKUlT_T0_E_clISt17integral_constantIbLb1EES11_EEDaSW_SX_EUlSW_E_NS1_11comp_targetILNS1_3genE9ELNS1_11target_archE1100ELNS1_3gpuE3ELNS1_3repE0EEENS1_30default_config_static_selectorELNS0_4arch9wavefront6targetE0EEEvT1_
	.globl	_ZN7rocprim17ROCPRIM_400000_NS6detail17trampoline_kernelINS0_14default_configENS1_27scan_by_key_config_selectorIifEEZZNS1_16scan_by_key_implILNS1_25lookback_scan_determinismE0ELb1ES3_N6thrust23THRUST_200600_302600_NS6detail15normal_iteratorINS9_10device_ptrIiEEEENSB_INSC_IjEEEESE_fNS9_4plusIvEENS9_8equal_toIvEEfEE10hipError_tPvRmT2_T3_T4_T5_mT6_T7_P12ihipStream_tbENKUlT_T0_E_clISt17integral_constantIbLb1EES11_EEDaSW_SX_EUlSW_E_NS1_11comp_targetILNS1_3genE9ELNS1_11target_archE1100ELNS1_3gpuE3ELNS1_3repE0EEENS1_30default_config_static_selectorELNS0_4arch9wavefront6targetE0EEEvT1_
	.p2align	8
	.type	_ZN7rocprim17ROCPRIM_400000_NS6detail17trampoline_kernelINS0_14default_configENS1_27scan_by_key_config_selectorIifEEZZNS1_16scan_by_key_implILNS1_25lookback_scan_determinismE0ELb1ES3_N6thrust23THRUST_200600_302600_NS6detail15normal_iteratorINS9_10device_ptrIiEEEENSB_INSC_IjEEEESE_fNS9_4plusIvEENS9_8equal_toIvEEfEE10hipError_tPvRmT2_T3_T4_T5_mT6_T7_P12ihipStream_tbENKUlT_T0_E_clISt17integral_constantIbLb1EES11_EEDaSW_SX_EUlSW_E_NS1_11comp_targetILNS1_3genE9ELNS1_11target_archE1100ELNS1_3gpuE3ELNS1_3repE0EEENS1_30default_config_static_selectorELNS0_4arch9wavefront6targetE0EEEvT1_,@function
_ZN7rocprim17ROCPRIM_400000_NS6detail17trampoline_kernelINS0_14default_configENS1_27scan_by_key_config_selectorIifEEZZNS1_16scan_by_key_implILNS1_25lookback_scan_determinismE0ELb1ES3_N6thrust23THRUST_200600_302600_NS6detail15normal_iteratorINS9_10device_ptrIiEEEENSB_INSC_IjEEEESE_fNS9_4plusIvEENS9_8equal_toIvEEfEE10hipError_tPvRmT2_T3_T4_T5_mT6_T7_P12ihipStream_tbENKUlT_T0_E_clISt17integral_constantIbLb1EES11_EEDaSW_SX_EUlSW_E_NS1_11comp_targetILNS1_3genE9ELNS1_11target_archE1100ELNS1_3gpuE3ELNS1_3repE0EEENS1_30default_config_static_selectorELNS0_4arch9wavefront6targetE0EEEvT1_: ; @_ZN7rocprim17ROCPRIM_400000_NS6detail17trampoline_kernelINS0_14default_configENS1_27scan_by_key_config_selectorIifEEZZNS1_16scan_by_key_implILNS1_25lookback_scan_determinismE0ELb1ES3_N6thrust23THRUST_200600_302600_NS6detail15normal_iteratorINS9_10device_ptrIiEEEENSB_INSC_IjEEEESE_fNS9_4plusIvEENS9_8equal_toIvEEfEE10hipError_tPvRmT2_T3_T4_T5_mT6_T7_P12ihipStream_tbENKUlT_T0_E_clISt17integral_constantIbLb1EES11_EEDaSW_SX_EUlSW_E_NS1_11comp_targetILNS1_3genE9ELNS1_11target_archE1100ELNS1_3gpuE3ELNS1_3repE0EEENS1_30default_config_static_selectorELNS0_4arch9wavefront6targetE0EEEvT1_
; %bb.0:
	.section	.rodata,"a",@progbits
	.p2align	6, 0x0
	.amdhsa_kernel _ZN7rocprim17ROCPRIM_400000_NS6detail17trampoline_kernelINS0_14default_configENS1_27scan_by_key_config_selectorIifEEZZNS1_16scan_by_key_implILNS1_25lookback_scan_determinismE0ELb1ES3_N6thrust23THRUST_200600_302600_NS6detail15normal_iteratorINS9_10device_ptrIiEEEENSB_INSC_IjEEEESE_fNS9_4plusIvEENS9_8equal_toIvEEfEE10hipError_tPvRmT2_T3_T4_T5_mT6_T7_P12ihipStream_tbENKUlT_T0_E_clISt17integral_constantIbLb1EES11_EEDaSW_SX_EUlSW_E_NS1_11comp_targetILNS1_3genE9ELNS1_11target_archE1100ELNS1_3gpuE3ELNS1_3repE0EEENS1_30default_config_static_selectorELNS0_4arch9wavefront6targetE0EEEvT1_
		.amdhsa_group_segment_fixed_size 0
		.amdhsa_private_segment_fixed_size 0
		.amdhsa_kernarg_size 112
		.amdhsa_user_sgpr_count 2
		.amdhsa_user_sgpr_dispatch_ptr 0
		.amdhsa_user_sgpr_queue_ptr 0
		.amdhsa_user_sgpr_kernarg_segment_ptr 1
		.amdhsa_user_sgpr_dispatch_id 0
		.amdhsa_user_sgpr_kernarg_preload_length 0
		.amdhsa_user_sgpr_kernarg_preload_offset 0
		.amdhsa_user_sgpr_private_segment_size 0
		.amdhsa_wavefront_size32 1
		.amdhsa_uses_dynamic_stack 0
		.amdhsa_enable_private_segment 0
		.amdhsa_system_sgpr_workgroup_id_x 1
		.amdhsa_system_sgpr_workgroup_id_y 0
		.amdhsa_system_sgpr_workgroup_id_z 0
		.amdhsa_system_sgpr_workgroup_info 0
		.amdhsa_system_vgpr_workitem_id 0
		.amdhsa_next_free_vgpr 1
		.amdhsa_next_free_sgpr 1
		.amdhsa_named_barrier_count 0
		.amdhsa_reserve_vcc 0
		.amdhsa_float_round_mode_32 0
		.amdhsa_float_round_mode_16_64 0
		.amdhsa_float_denorm_mode_32 3
		.amdhsa_float_denorm_mode_16_64 3
		.amdhsa_fp16_overflow 0
		.amdhsa_memory_ordered 1
		.amdhsa_forward_progress 1
		.amdhsa_inst_pref_size 0
		.amdhsa_round_robin_scheduling 0
		.amdhsa_exception_fp_ieee_invalid_op 0
		.amdhsa_exception_fp_denorm_src 0
		.amdhsa_exception_fp_ieee_div_zero 0
		.amdhsa_exception_fp_ieee_overflow 0
		.amdhsa_exception_fp_ieee_underflow 0
		.amdhsa_exception_fp_ieee_inexact 0
		.amdhsa_exception_int_div_zero 0
	.end_amdhsa_kernel
	.section	.text._ZN7rocprim17ROCPRIM_400000_NS6detail17trampoline_kernelINS0_14default_configENS1_27scan_by_key_config_selectorIifEEZZNS1_16scan_by_key_implILNS1_25lookback_scan_determinismE0ELb1ES3_N6thrust23THRUST_200600_302600_NS6detail15normal_iteratorINS9_10device_ptrIiEEEENSB_INSC_IjEEEESE_fNS9_4plusIvEENS9_8equal_toIvEEfEE10hipError_tPvRmT2_T3_T4_T5_mT6_T7_P12ihipStream_tbENKUlT_T0_E_clISt17integral_constantIbLb1EES11_EEDaSW_SX_EUlSW_E_NS1_11comp_targetILNS1_3genE9ELNS1_11target_archE1100ELNS1_3gpuE3ELNS1_3repE0EEENS1_30default_config_static_selectorELNS0_4arch9wavefront6targetE0EEEvT1_,"axG",@progbits,_ZN7rocprim17ROCPRIM_400000_NS6detail17trampoline_kernelINS0_14default_configENS1_27scan_by_key_config_selectorIifEEZZNS1_16scan_by_key_implILNS1_25lookback_scan_determinismE0ELb1ES3_N6thrust23THRUST_200600_302600_NS6detail15normal_iteratorINS9_10device_ptrIiEEEENSB_INSC_IjEEEESE_fNS9_4plusIvEENS9_8equal_toIvEEfEE10hipError_tPvRmT2_T3_T4_T5_mT6_T7_P12ihipStream_tbENKUlT_T0_E_clISt17integral_constantIbLb1EES11_EEDaSW_SX_EUlSW_E_NS1_11comp_targetILNS1_3genE9ELNS1_11target_archE1100ELNS1_3gpuE3ELNS1_3repE0EEENS1_30default_config_static_selectorELNS0_4arch9wavefront6targetE0EEEvT1_,comdat
.Lfunc_end1804:
	.size	_ZN7rocprim17ROCPRIM_400000_NS6detail17trampoline_kernelINS0_14default_configENS1_27scan_by_key_config_selectorIifEEZZNS1_16scan_by_key_implILNS1_25lookback_scan_determinismE0ELb1ES3_N6thrust23THRUST_200600_302600_NS6detail15normal_iteratorINS9_10device_ptrIiEEEENSB_INSC_IjEEEESE_fNS9_4plusIvEENS9_8equal_toIvEEfEE10hipError_tPvRmT2_T3_T4_T5_mT6_T7_P12ihipStream_tbENKUlT_T0_E_clISt17integral_constantIbLb1EES11_EEDaSW_SX_EUlSW_E_NS1_11comp_targetILNS1_3genE9ELNS1_11target_archE1100ELNS1_3gpuE3ELNS1_3repE0EEENS1_30default_config_static_selectorELNS0_4arch9wavefront6targetE0EEEvT1_, .Lfunc_end1804-_ZN7rocprim17ROCPRIM_400000_NS6detail17trampoline_kernelINS0_14default_configENS1_27scan_by_key_config_selectorIifEEZZNS1_16scan_by_key_implILNS1_25lookback_scan_determinismE0ELb1ES3_N6thrust23THRUST_200600_302600_NS6detail15normal_iteratorINS9_10device_ptrIiEEEENSB_INSC_IjEEEESE_fNS9_4plusIvEENS9_8equal_toIvEEfEE10hipError_tPvRmT2_T3_T4_T5_mT6_T7_P12ihipStream_tbENKUlT_T0_E_clISt17integral_constantIbLb1EES11_EEDaSW_SX_EUlSW_E_NS1_11comp_targetILNS1_3genE9ELNS1_11target_archE1100ELNS1_3gpuE3ELNS1_3repE0EEENS1_30default_config_static_selectorELNS0_4arch9wavefront6targetE0EEEvT1_
                                        ; -- End function
	.set _ZN7rocprim17ROCPRIM_400000_NS6detail17trampoline_kernelINS0_14default_configENS1_27scan_by_key_config_selectorIifEEZZNS1_16scan_by_key_implILNS1_25lookback_scan_determinismE0ELb1ES3_N6thrust23THRUST_200600_302600_NS6detail15normal_iteratorINS9_10device_ptrIiEEEENSB_INSC_IjEEEESE_fNS9_4plusIvEENS9_8equal_toIvEEfEE10hipError_tPvRmT2_T3_T4_T5_mT6_T7_P12ihipStream_tbENKUlT_T0_E_clISt17integral_constantIbLb1EES11_EEDaSW_SX_EUlSW_E_NS1_11comp_targetILNS1_3genE9ELNS1_11target_archE1100ELNS1_3gpuE3ELNS1_3repE0EEENS1_30default_config_static_selectorELNS0_4arch9wavefront6targetE0EEEvT1_.num_vgpr, 0
	.set _ZN7rocprim17ROCPRIM_400000_NS6detail17trampoline_kernelINS0_14default_configENS1_27scan_by_key_config_selectorIifEEZZNS1_16scan_by_key_implILNS1_25lookback_scan_determinismE0ELb1ES3_N6thrust23THRUST_200600_302600_NS6detail15normal_iteratorINS9_10device_ptrIiEEEENSB_INSC_IjEEEESE_fNS9_4plusIvEENS9_8equal_toIvEEfEE10hipError_tPvRmT2_T3_T4_T5_mT6_T7_P12ihipStream_tbENKUlT_T0_E_clISt17integral_constantIbLb1EES11_EEDaSW_SX_EUlSW_E_NS1_11comp_targetILNS1_3genE9ELNS1_11target_archE1100ELNS1_3gpuE3ELNS1_3repE0EEENS1_30default_config_static_selectorELNS0_4arch9wavefront6targetE0EEEvT1_.num_agpr, 0
	.set _ZN7rocprim17ROCPRIM_400000_NS6detail17trampoline_kernelINS0_14default_configENS1_27scan_by_key_config_selectorIifEEZZNS1_16scan_by_key_implILNS1_25lookback_scan_determinismE0ELb1ES3_N6thrust23THRUST_200600_302600_NS6detail15normal_iteratorINS9_10device_ptrIiEEEENSB_INSC_IjEEEESE_fNS9_4plusIvEENS9_8equal_toIvEEfEE10hipError_tPvRmT2_T3_T4_T5_mT6_T7_P12ihipStream_tbENKUlT_T0_E_clISt17integral_constantIbLb1EES11_EEDaSW_SX_EUlSW_E_NS1_11comp_targetILNS1_3genE9ELNS1_11target_archE1100ELNS1_3gpuE3ELNS1_3repE0EEENS1_30default_config_static_selectorELNS0_4arch9wavefront6targetE0EEEvT1_.numbered_sgpr, 0
	.set _ZN7rocprim17ROCPRIM_400000_NS6detail17trampoline_kernelINS0_14default_configENS1_27scan_by_key_config_selectorIifEEZZNS1_16scan_by_key_implILNS1_25lookback_scan_determinismE0ELb1ES3_N6thrust23THRUST_200600_302600_NS6detail15normal_iteratorINS9_10device_ptrIiEEEENSB_INSC_IjEEEESE_fNS9_4plusIvEENS9_8equal_toIvEEfEE10hipError_tPvRmT2_T3_T4_T5_mT6_T7_P12ihipStream_tbENKUlT_T0_E_clISt17integral_constantIbLb1EES11_EEDaSW_SX_EUlSW_E_NS1_11comp_targetILNS1_3genE9ELNS1_11target_archE1100ELNS1_3gpuE3ELNS1_3repE0EEENS1_30default_config_static_selectorELNS0_4arch9wavefront6targetE0EEEvT1_.num_named_barrier, 0
	.set _ZN7rocprim17ROCPRIM_400000_NS6detail17trampoline_kernelINS0_14default_configENS1_27scan_by_key_config_selectorIifEEZZNS1_16scan_by_key_implILNS1_25lookback_scan_determinismE0ELb1ES3_N6thrust23THRUST_200600_302600_NS6detail15normal_iteratorINS9_10device_ptrIiEEEENSB_INSC_IjEEEESE_fNS9_4plusIvEENS9_8equal_toIvEEfEE10hipError_tPvRmT2_T3_T4_T5_mT6_T7_P12ihipStream_tbENKUlT_T0_E_clISt17integral_constantIbLb1EES11_EEDaSW_SX_EUlSW_E_NS1_11comp_targetILNS1_3genE9ELNS1_11target_archE1100ELNS1_3gpuE3ELNS1_3repE0EEENS1_30default_config_static_selectorELNS0_4arch9wavefront6targetE0EEEvT1_.private_seg_size, 0
	.set _ZN7rocprim17ROCPRIM_400000_NS6detail17trampoline_kernelINS0_14default_configENS1_27scan_by_key_config_selectorIifEEZZNS1_16scan_by_key_implILNS1_25lookback_scan_determinismE0ELb1ES3_N6thrust23THRUST_200600_302600_NS6detail15normal_iteratorINS9_10device_ptrIiEEEENSB_INSC_IjEEEESE_fNS9_4plusIvEENS9_8equal_toIvEEfEE10hipError_tPvRmT2_T3_T4_T5_mT6_T7_P12ihipStream_tbENKUlT_T0_E_clISt17integral_constantIbLb1EES11_EEDaSW_SX_EUlSW_E_NS1_11comp_targetILNS1_3genE9ELNS1_11target_archE1100ELNS1_3gpuE3ELNS1_3repE0EEENS1_30default_config_static_selectorELNS0_4arch9wavefront6targetE0EEEvT1_.uses_vcc, 0
	.set _ZN7rocprim17ROCPRIM_400000_NS6detail17trampoline_kernelINS0_14default_configENS1_27scan_by_key_config_selectorIifEEZZNS1_16scan_by_key_implILNS1_25lookback_scan_determinismE0ELb1ES3_N6thrust23THRUST_200600_302600_NS6detail15normal_iteratorINS9_10device_ptrIiEEEENSB_INSC_IjEEEESE_fNS9_4plusIvEENS9_8equal_toIvEEfEE10hipError_tPvRmT2_T3_T4_T5_mT6_T7_P12ihipStream_tbENKUlT_T0_E_clISt17integral_constantIbLb1EES11_EEDaSW_SX_EUlSW_E_NS1_11comp_targetILNS1_3genE9ELNS1_11target_archE1100ELNS1_3gpuE3ELNS1_3repE0EEENS1_30default_config_static_selectorELNS0_4arch9wavefront6targetE0EEEvT1_.uses_flat_scratch, 0
	.set _ZN7rocprim17ROCPRIM_400000_NS6detail17trampoline_kernelINS0_14default_configENS1_27scan_by_key_config_selectorIifEEZZNS1_16scan_by_key_implILNS1_25lookback_scan_determinismE0ELb1ES3_N6thrust23THRUST_200600_302600_NS6detail15normal_iteratorINS9_10device_ptrIiEEEENSB_INSC_IjEEEESE_fNS9_4plusIvEENS9_8equal_toIvEEfEE10hipError_tPvRmT2_T3_T4_T5_mT6_T7_P12ihipStream_tbENKUlT_T0_E_clISt17integral_constantIbLb1EES11_EEDaSW_SX_EUlSW_E_NS1_11comp_targetILNS1_3genE9ELNS1_11target_archE1100ELNS1_3gpuE3ELNS1_3repE0EEENS1_30default_config_static_selectorELNS0_4arch9wavefront6targetE0EEEvT1_.has_dyn_sized_stack, 0
	.set _ZN7rocprim17ROCPRIM_400000_NS6detail17trampoline_kernelINS0_14default_configENS1_27scan_by_key_config_selectorIifEEZZNS1_16scan_by_key_implILNS1_25lookback_scan_determinismE0ELb1ES3_N6thrust23THRUST_200600_302600_NS6detail15normal_iteratorINS9_10device_ptrIiEEEENSB_INSC_IjEEEESE_fNS9_4plusIvEENS9_8equal_toIvEEfEE10hipError_tPvRmT2_T3_T4_T5_mT6_T7_P12ihipStream_tbENKUlT_T0_E_clISt17integral_constantIbLb1EES11_EEDaSW_SX_EUlSW_E_NS1_11comp_targetILNS1_3genE9ELNS1_11target_archE1100ELNS1_3gpuE3ELNS1_3repE0EEENS1_30default_config_static_selectorELNS0_4arch9wavefront6targetE0EEEvT1_.has_recursion, 0
	.set _ZN7rocprim17ROCPRIM_400000_NS6detail17trampoline_kernelINS0_14default_configENS1_27scan_by_key_config_selectorIifEEZZNS1_16scan_by_key_implILNS1_25lookback_scan_determinismE0ELb1ES3_N6thrust23THRUST_200600_302600_NS6detail15normal_iteratorINS9_10device_ptrIiEEEENSB_INSC_IjEEEESE_fNS9_4plusIvEENS9_8equal_toIvEEfEE10hipError_tPvRmT2_T3_T4_T5_mT6_T7_P12ihipStream_tbENKUlT_T0_E_clISt17integral_constantIbLb1EES11_EEDaSW_SX_EUlSW_E_NS1_11comp_targetILNS1_3genE9ELNS1_11target_archE1100ELNS1_3gpuE3ELNS1_3repE0EEENS1_30default_config_static_selectorELNS0_4arch9wavefront6targetE0EEEvT1_.has_indirect_call, 0
	.section	.AMDGPU.csdata,"",@progbits
; Kernel info:
; codeLenInByte = 0
; TotalNumSgprs: 0
; NumVgprs: 0
; ScratchSize: 0
; MemoryBound: 0
; FloatMode: 240
; IeeeMode: 1
; LDSByteSize: 0 bytes/workgroup (compile time only)
; SGPRBlocks: 0
; VGPRBlocks: 0
; NumSGPRsForWavesPerEU: 1
; NumVGPRsForWavesPerEU: 1
; NamedBarCnt: 0
; Occupancy: 16
; WaveLimiterHint : 0
; COMPUTE_PGM_RSRC2:SCRATCH_EN: 0
; COMPUTE_PGM_RSRC2:USER_SGPR: 2
; COMPUTE_PGM_RSRC2:TRAP_HANDLER: 0
; COMPUTE_PGM_RSRC2:TGID_X_EN: 1
; COMPUTE_PGM_RSRC2:TGID_Y_EN: 0
; COMPUTE_PGM_RSRC2:TGID_Z_EN: 0
; COMPUTE_PGM_RSRC2:TIDIG_COMP_CNT: 0
	.section	.text._ZN7rocprim17ROCPRIM_400000_NS6detail17trampoline_kernelINS0_14default_configENS1_27scan_by_key_config_selectorIifEEZZNS1_16scan_by_key_implILNS1_25lookback_scan_determinismE0ELb1ES3_N6thrust23THRUST_200600_302600_NS6detail15normal_iteratorINS9_10device_ptrIiEEEENSB_INSC_IjEEEESE_fNS9_4plusIvEENS9_8equal_toIvEEfEE10hipError_tPvRmT2_T3_T4_T5_mT6_T7_P12ihipStream_tbENKUlT_T0_E_clISt17integral_constantIbLb1EES11_EEDaSW_SX_EUlSW_E_NS1_11comp_targetILNS1_3genE8ELNS1_11target_archE1030ELNS1_3gpuE2ELNS1_3repE0EEENS1_30default_config_static_selectorELNS0_4arch9wavefront6targetE0EEEvT1_,"axG",@progbits,_ZN7rocprim17ROCPRIM_400000_NS6detail17trampoline_kernelINS0_14default_configENS1_27scan_by_key_config_selectorIifEEZZNS1_16scan_by_key_implILNS1_25lookback_scan_determinismE0ELb1ES3_N6thrust23THRUST_200600_302600_NS6detail15normal_iteratorINS9_10device_ptrIiEEEENSB_INSC_IjEEEESE_fNS9_4plusIvEENS9_8equal_toIvEEfEE10hipError_tPvRmT2_T3_T4_T5_mT6_T7_P12ihipStream_tbENKUlT_T0_E_clISt17integral_constantIbLb1EES11_EEDaSW_SX_EUlSW_E_NS1_11comp_targetILNS1_3genE8ELNS1_11target_archE1030ELNS1_3gpuE2ELNS1_3repE0EEENS1_30default_config_static_selectorELNS0_4arch9wavefront6targetE0EEEvT1_,comdat
	.protected	_ZN7rocprim17ROCPRIM_400000_NS6detail17trampoline_kernelINS0_14default_configENS1_27scan_by_key_config_selectorIifEEZZNS1_16scan_by_key_implILNS1_25lookback_scan_determinismE0ELb1ES3_N6thrust23THRUST_200600_302600_NS6detail15normal_iteratorINS9_10device_ptrIiEEEENSB_INSC_IjEEEESE_fNS9_4plusIvEENS9_8equal_toIvEEfEE10hipError_tPvRmT2_T3_T4_T5_mT6_T7_P12ihipStream_tbENKUlT_T0_E_clISt17integral_constantIbLb1EES11_EEDaSW_SX_EUlSW_E_NS1_11comp_targetILNS1_3genE8ELNS1_11target_archE1030ELNS1_3gpuE2ELNS1_3repE0EEENS1_30default_config_static_selectorELNS0_4arch9wavefront6targetE0EEEvT1_ ; -- Begin function _ZN7rocprim17ROCPRIM_400000_NS6detail17trampoline_kernelINS0_14default_configENS1_27scan_by_key_config_selectorIifEEZZNS1_16scan_by_key_implILNS1_25lookback_scan_determinismE0ELb1ES3_N6thrust23THRUST_200600_302600_NS6detail15normal_iteratorINS9_10device_ptrIiEEEENSB_INSC_IjEEEESE_fNS9_4plusIvEENS9_8equal_toIvEEfEE10hipError_tPvRmT2_T3_T4_T5_mT6_T7_P12ihipStream_tbENKUlT_T0_E_clISt17integral_constantIbLb1EES11_EEDaSW_SX_EUlSW_E_NS1_11comp_targetILNS1_3genE8ELNS1_11target_archE1030ELNS1_3gpuE2ELNS1_3repE0EEENS1_30default_config_static_selectorELNS0_4arch9wavefront6targetE0EEEvT1_
	.globl	_ZN7rocprim17ROCPRIM_400000_NS6detail17trampoline_kernelINS0_14default_configENS1_27scan_by_key_config_selectorIifEEZZNS1_16scan_by_key_implILNS1_25lookback_scan_determinismE0ELb1ES3_N6thrust23THRUST_200600_302600_NS6detail15normal_iteratorINS9_10device_ptrIiEEEENSB_INSC_IjEEEESE_fNS9_4plusIvEENS9_8equal_toIvEEfEE10hipError_tPvRmT2_T3_T4_T5_mT6_T7_P12ihipStream_tbENKUlT_T0_E_clISt17integral_constantIbLb1EES11_EEDaSW_SX_EUlSW_E_NS1_11comp_targetILNS1_3genE8ELNS1_11target_archE1030ELNS1_3gpuE2ELNS1_3repE0EEENS1_30default_config_static_selectorELNS0_4arch9wavefront6targetE0EEEvT1_
	.p2align	8
	.type	_ZN7rocprim17ROCPRIM_400000_NS6detail17trampoline_kernelINS0_14default_configENS1_27scan_by_key_config_selectorIifEEZZNS1_16scan_by_key_implILNS1_25lookback_scan_determinismE0ELb1ES3_N6thrust23THRUST_200600_302600_NS6detail15normal_iteratorINS9_10device_ptrIiEEEENSB_INSC_IjEEEESE_fNS9_4plusIvEENS9_8equal_toIvEEfEE10hipError_tPvRmT2_T3_T4_T5_mT6_T7_P12ihipStream_tbENKUlT_T0_E_clISt17integral_constantIbLb1EES11_EEDaSW_SX_EUlSW_E_NS1_11comp_targetILNS1_3genE8ELNS1_11target_archE1030ELNS1_3gpuE2ELNS1_3repE0EEENS1_30default_config_static_selectorELNS0_4arch9wavefront6targetE0EEEvT1_,@function
_ZN7rocprim17ROCPRIM_400000_NS6detail17trampoline_kernelINS0_14default_configENS1_27scan_by_key_config_selectorIifEEZZNS1_16scan_by_key_implILNS1_25lookback_scan_determinismE0ELb1ES3_N6thrust23THRUST_200600_302600_NS6detail15normal_iteratorINS9_10device_ptrIiEEEENSB_INSC_IjEEEESE_fNS9_4plusIvEENS9_8equal_toIvEEfEE10hipError_tPvRmT2_T3_T4_T5_mT6_T7_P12ihipStream_tbENKUlT_T0_E_clISt17integral_constantIbLb1EES11_EEDaSW_SX_EUlSW_E_NS1_11comp_targetILNS1_3genE8ELNS1_11target_archE1030ELNS1_3gpuE2ELNS1_3repE0EEENS1_30default_config_static_selectorELNS0_4arch9wavefront6targetE0EEEvT1_: ; @_ZN7rocprim17ROCPRIM_400000_NS6detail17trampoline_kernelINS0_14default_configENS1_27scan_by_key_config_selectorIifEEZZNS1_16scan_by_key_implILNS1_25lookback_scan_determinismE0ELb1ES3_N6thrust23THRUST_200600_302600_NS6detail15normal_iteratorINS9_10device_ptrIiEEEENSB_INSC_IjEEEESE_fNS9_4plusIvEENS9_8equal_toIvEEfEE10hipError_tPvRmT2_T3_T4_T5_mT6_T7_P12ihipStream_tbENKUlT_T0_E_clISt17integral_constantIbLb1EES11_EEDaSW_SX_EUlSW_E_NS1_11comp_targetILNS1_3genE8ELNS1_11target_archE1030ELNS1_3gpuE2ELNS1_3repE0EEENS1_30default_config_static_selectorELNS0_4arch9wavefront6targetE0EEEvT1_
; %bb.0:
	.section	.rodata,"a",@progbits
	.p2align	6, 0x0
	.amdhsa_kernel _ZN7rocprim17ROCPRIM_400000_NS6detail17trampoline_kernelINS0_14default_configENS1_27scan_by_key_config_selectorIifEEZZNS1_16scan_by_key_implILNS1_25lookback_scan_determinismE0ELb1ES3_N6thrust23THRUST_200600_302600_NS6detail15normal_iteratorINS9_10device_ptrIiEEEENSB_INSC_IjEEEESE_fNS9_4plusIvEENS9_8equal_toIvEEfEE10hipError_tPvRmT2_T3_T4_T5_mT6_T7_P12ihipStream_tbENKUlT_T0_E_clISt17integral_constantIbLb1EES11_EEDaSW_SX_EUlSW_E_NS1_11comp_targetILNS1_3genE8ELNS1_11target_archE1030ELNS1_3gpuE2ELNS1_3repE0EEENS1_30default_config_static_selectorELNS0_4arch9wavefront6targetE0EEEvT1_
		.amdhsa_group_segment_fixed_size 0
		.amdhsa_private_segment_fixed_size 0
		.amdhsa_kernarg_size 112
		.amdhsa_user_sgpr_count 2
		.amdhsa_user_sgpr_dispatch_ptr 0
		.amdhsa_user_sgpr_queue_ptr 0
		.amdhsa_user_sgpr_kernarg_segment_ptr 1
		.amdhsa_user_sgpr_dispatch_id 0
		.amdhsa_user_sgpr_kernarg_preload_length 0
		.amdhsa_user_sgpr_kernarg_preload_offset 0
		.amdhsa_user_sgpr_private_segment_size 0
		.amdhsa_wavefront_size32 1
		.amdhsa_uses_dynamic_stack 0
		.amdhsa_enable_private_segment 0
		.amdhsa_system_sgpr_workgroup_id_x 1
		.amdhsa_system_sgpr_workgroup_id_y 0
		.amdhsa_system_sgpr_workgroup_id_z 0
		.amdhsa_system_sgpr_workgroup_info 0
		.amdhsa_system_vgpr_workitem_id 0
		.amdhsa_next_free_vgpr 1
		.amdhsa_next_free_sgpr 1
		.amdhsa_named_barrier_count 0
		.amdhsa_reserve_vcc 0
		.amdhsa_float_round_mode_32 0
		.amdhsa_float_round_mode_16_64 0
		.amdhsa_float_denorm_mode_32 3
		.amdhsa_float_denorm_mode_16_64 3
		.amdhsa_fp16_overflow 0
		.amdhsa_memory_ordered 1
		.amdhsa_forward_progress 1
		.amdhsa_inst_pref_size 0
		.amdhsa_round_robin_scheduling 0
		.amdhsa_exception_fp_ieee_invalid_op 0
		.amdhsa_exception_fp_denorm_src 0
		.amdhsa_exception_fp_ieee_div_zero 0
		.amdhsa_exception_fp_ieee_overflow 0
		.amdhsa_exception_fp_ieee_underflow 0
		.amdhsa_exception_fp_ieee_inexact 0
		.amdhsa_exception_int_div_zero 0
	.end_amdhsa_kernel
	.section	.text._ZN7rocprim17ROCPRIM_400000_NS6detail17trampoline_kernelINS0_14default_configENS1_27scan_by_key_config_selectorIifEEZZNS1_16scan_by_key_implILNS1_25lookback_scan_determinismE0ELb1ES3_N6thrust23THRUST_200600_302600_NS6detail15normal_iteratorINS9_10device_ptrIiEEEENSB_INSC_IjEEEESE_fNS9_4plusIvEENS9_8equal_toIvEEfEE10hipError_tPvRmT2_T3_T4_T5_mT6_T7_P12ihipStream_tbENKUlT_T0_E_clISt17integral_constantIbLb1EES11_EEDaSW_SX_EUlSW_E_NS1_11comp_targetILNS1_3genE8ELNS1_11target_archE1030ELNS1_3gpuE2ELNS1_3repE0EEENS1_30default_config_static_selectorELNS0_4arch9wavefront6targetE0EEEvT1_,"axG",@progbits,_ZN7rocprim17ROCPRIM_400000_NS6detail17trampoline_kernelINS0_14default_configENS1_27scan_by_key_config_selectorIifEEZZNS1_16scan_by_key_implILNS1_25lookback_scan_determinismE0ELb1ES3_N6thrust23THRUST_200600_302600_NS6detail15normal_iteratorINS9_10device_ptrIiEEEENSB_INSC_IjEEEESE_fNS9_4plusIvEENS9_8equal_toIvEEfEE10hipError_tPvRmT2_T3_T4_T5_mT6_T7_P12ihipStream_tbENKUlT_T0_E_clISt17integral_constantIbLb1EES11_EEDaSW_SX_EUlSW_E_NS1_11comp_targetILNS1_3genE8ELNS1_11target_archE1030ELNS1_3gpuE2ELNS1_3repE0EEENS1_30default_config_static_selectorELNS0_4arch9wavefront6targetE0EEEvT1_,comdat
.Lfunc_end1805:
	.size	_ZN7rocprim17ROCPRIM_400000_NS6detail17trampoline_kernelINS0_14default_configENS1_27scan_by_key_config_selectorIifEEZZNS1_16scan_by_key_implILNS1_25lookback_scan_determinismE0ELb1ES3_N6thrust23THRUST_200600_302600_NS6detail15normal_iteratorINS9_10device_ptrIiEEEENSB_INSC_IjEEEESE_fNS9_4plusIvEENS9_8equal_toIvEEfEE10hipError_tPvRmT2_T3_T4_T5_mT6_T7_P12ihipStream_tbENKUlT_T0_E_clISt17integral_constantIbLb1EES11_EEDaSW_SX_EUlSW_E_NS1_11comp_targetILNS1_3genE8ELNS1_11target_archE1030ELNS1_3gpuE2ELNS1_3repE0EEENS1_30default_config_static_selectorELNS0_4arch9wavefront6targetE0EEEvT1_, .Lfunc_end1805-_ZN7rocprim17ROCPRIM_400000_NS6detail17trampoline_kernelINS0_14default_configENS1_27scan_by_key_config_selectorIifEEZZNS1_16scan_by_key_implILNS1_25lookback_scan_determinismE0ELb1ES3_N6thrust23THRUST_200600_302600_NS6detail15normal_iteratorINS9_10device_ptrIiEEEENSB_INSC_IjEEEESE_fNS9_4plusIvEENS9_8equal_toIvEEfEE10hipError_tPvRmT2_T3_T4_T5_mT6_T7_P12ihipStream_tbENKUlT_T0_E_clISt17integral_constantIbLb1EES11_EEDaSW_SX_EUlSW_E_NS1_11comp_targetILNS1_3genE8ELNS1_11target_archE1030ELNS1_3gpuE2ELNS1_3repE0EEENS1_30default_config_static_selectorELNS0_4arch9wavefront6targetE0EEEvT1_
                                        ; -- End function
	.set _ZN7rocprim17ROCPRIM_400000_NS6detail17trampoline_kernelINS0_14default_configENS1_27scan_by_key_config_selectorIifEEZZNS1_16scan_by_key_implILNS1_25lookback_scan_determinismE0ELb1ES3_N6thrust23THRUST_200600_302600_NS6detail15normal_iteratorINS9_10device_ptrIiEEEENSB_INSC_IjEEEESE_fNS9_4plusIvEENS9_8equal_toIvEEfEE10hipError_tPvRmT2_T3_T4_T5_mT6_T7_P12ihipStream_tbENKUlT_T0_E_clISt17integral_constantIbLb1EES11_EEDaSW_SX_EUlSW_E_NS1_11comp_targetILNS1_3genE8ELNS1_11target_archE1030ELNS1_3gpuE2ELNS1_3repE0EEENS1_30default_config_static_selectorELNS0_4arch9wavefront6targetE0EEEvT1_.num_vgpr, 0
	.set _ZN7rocprim17ROCPRIM_400000_NS6detail17trampoline_kernelINS0_14default_configENS1_27scan_by_key_config_selectorIifEEZZNS1_16scan_by_key_implILNS1_25lookback_scan_determinismE0ELb1ES3_N6thrust23THRUST_200600_302600_NS6detail15normal_iteratorINS9_10device_ptrIiEEEENSB_INSC_IjEEEESE_fNS9_4plusIvEENS9_8equal_toIvEEfEE10hipError_tPvRmT2_T3_T4_T5_mT6_T7_P12ihipStream_tbENKUlT_T0_E_clISt17integral_constantIbLb1EES11_EEDaSW_SX_EUlSW_E_NS1_11comp_targetILNS1_3genE8ELNS1_11target_archE1030ELNS1_3gpuE2ELNS1_3repE0EEENS1_30default_config_static_selectorELNS0_4arch9wavefront6targetE0EEEvT1_.num_agpr, 0
	.set _ZN7rocprim17ROCPRIM_400000_NS6detail17trampoline_kernelINS0_14default_configENS1_27scan_by_key_config_selectorIifEEZZNS1_16scan_by_key_implILNS1_25lookback_scan_determinismE0ELb1ES3_N6thrust23THRUST_200600_302600_NS6detail15normal_iteratorINS9_10device_ptrIiEEEENSB_INSC_IjEEEESE_fNS9_4plusIvEENS9_8equal_toIvEEfEE10hipError_tPvRmT2_T3_T4_T5_mT6_T7_P12ihipStream_tbENKUlT_T0_E_clISt17integral_constantIbLb1EES11_EEDaSW_SX_EUlSW_E_NS1_11comp_targetILNS1_3genE8ELNS1_11target_archE1030ELNS1_3gpuE2ELNS1_3repE0EEENS1_30default_config_static_selectorELNS0_4arch9wavefront6targetE0EEEvT1_.numbered_sgpr, 0
	.set _ZN7rocprim17ROCPRIM_400000_NS6detail17trampoline_kernelINS0_14default_configENS1_27scan_by_key_config_selectorIifEEZZNS1_16scan_by_key_implILNS1_25lookback_scan_determinismE0ELb1ES3_N6thrust23THRUST_200600_302600_NS6detail15normal_iteratorINS9_10device_ptrIiEEEENSB_INSC_IjEEEESE_fNS9_4plusIvEENS9_8equal_toIvEEfEE10hipError_tPvRmT2_T3_T4_T5_mT6_T7_P12ihipStream_tbENKUlT_T0_E_clISt17integral_constantIbLb1EES11_EEDaSW_SX_EUlSW_E_NS1_11comp_targetILNS1_3genE8ELNS1_11target_archE1030ELNS1_3gpuE2ELNS1_3repE0EEENS1_30default_config_static_selectorELNS0_4arch9wavefront6targetE0EEEvT1_.num_named_barrier, 0
	.set _ZN7rocprim17ROCPRIM_400000_NS6detail17trampoline_kernelINS0_14default_configENS1_27scan_by_key_config_selectorIifEEZZNS1_16scan_by_key_implILNS1_25lookback_scan_determinismE0ELb1ES3_N6thrust23THRUST_200600_302600_NS6detail15normal_iteratorINS9_10device_ptrIiEEEENSB_INSC_IjEEEESE_fNS9_4plusIvEENS9_8equal_toIvEEfEE10hipError_tPvRmT2_T3_T4_T5_mT6_T7_P12ihipStream_tbENKUlT_T0_E_clISt17integral_constantIbLb1EES11_EEDaSW_SX_EUlSW_E_NS1_11comp_targetILNS1_3genE8ELNS1_11target_archE1030ELNS1_3gpuE2ELNS1_3repE0EEENS1_30default_config_static_selectorELNS0_4arch9wavefront6targetE0EEEvT1_.private_seg_size, 0
	.set _ZN7rocprim17ROCPRIM_400000_NS6detail17trampoline_kernelINS0_14default_configENS1_27scan_by_key_config_selectorIifEEZZNS1_16scan_by_key_implILNS1_25lookback_scan_determinismE0ELb1ES3_N6thrust23THRUST_200600_302600_NS6detail15normal_iteratorINS9_10device_ptrIiEEEENSB_INSC_IjEEEESE_fNS9_4plusIvEENS9_8equal_toIvEEfEE10hipError_tPvRmT2_T3_T4_T5_mT6_T7_P12ihipStream_tbENKUlT_T0_E_clISt17integral_constantIbLb1EES11_EEDaSW_SX_EUlSW_E_NS1_11comp_targetILNS1_3genE8ELNS1_11target_archE1030ELNS1_3gpuE2ELNS1_3repE0EEENS1_30default_config_static_selectorELNS0_4arch9wavefront6targetE0EEEvT1_.uses_vcc, 0
	.set _ZN7rocprim17ROCPRIM_400000_NS6detail17trampoline_kernelINS0_14default_configENS1_27scan_by_key_config_selectorIifEEZZNS1_16scan_by_key_implILNS1_25lookback_scan_determinismE0ELb1ES3_N6thrust23THRUST_200600_302600_NS6detail15normal_iteratorINS9_10device_ptrIiEEEENSB_INSC_IjEEEESE_fNS9_4plusIvEENS9_8equal_toIvEEfEE10hipError_tPvRmT2_T3_T4_T5_mT6_T7_P12ihipStream_tbENKUlT_T0_E_clISt17integral_constantIbLb1EES11_EEDaSW_SX_EUlSW_E_NS1_11comp_targetILNS1_3genE8ELNS1_11target_archE1030ELNS1_3gpuE2ELNS1_3repE0EEENS1_30default_config_static_selectorELNS0_4arch9wavefront6targetE0EEEvT1_.uses_flat_scratch, 0
	.set _ZN7rocprim17ROCPRIM_400000_NS6detail17trampoline_kernelINS0_14default_configENS1_27scan_by_key_config_selectorIifEEZZNS1_16scan_by_key_implILNS1_25lookback_scan_determinismE0ELb1ES3_N6thrust23THRUST_200600_302600_NS6detail15normal_iteratorINS9_10device_ptrIiEEEENSB_INSC_IjEEEESE_fNS9_4plusIvEENS9_8equal_toIvEEfEE10hipError_tPvRmT2_T3_T4_T5_mT6_T7_P12ihipStream_tbENKUlT_T0_E_clISt17integral_constantIbLb1EES11_EEDaSW_SX_EUlSW_E_NS1_11comp_targetILNS1_3genE8ELNS1_11target_archE1030ELNS1_3gpuE2ELNS1_3repE0EEENS1_30default_config_static_selectorELNS0_4arch9wavefront6targetE0EEEvT1_.has_dyn_sized_stack, 0
	.set _ZN7rocprim17ROCPRIM_400000_NS6detail17trampoline_kernelINS0_14default_configENS1_27scan_by_key_config_selectorIifEEZZNS1_16scan_by_key_implILNS1_25lookback_scan_determinismE0ELb1ES3_N6thrust23THRUST_200600_302600_NS6detail15normal_iteratorINS9_10device_ptrIiEEEENSB_INSC_IjEEEESE_fNS9_4plusIvEENS9_8equal_toIvEEfEE10hipError_tPvRmT2_T3_T4_T5_mT6_T7_P12ihipStream_tbENKUlT_T0_E_clISt17integral_constantIbLb1EES11_EEDaSW_SX_EUlSW_E_NS1_11comp_targetILNS1_3genE8ELNS1_11target_archE1030ELNS1_3gpuE2ELNS1_3repE0EEENS1_30default_config_static_selectorELNS0_4arch9wavefront6targetE0EEEvT1_.has_recursion, 0
	.set _ZN7rocprim17ROCPRIM_400000_NS6detail17trampoline_kernelINS0_14default_configENS1_27scan_by_key_config_selectorIifEEZZNS1_16scan_by_key_implILNS1_25lookback_scan_determinismE0ELb1ES3_N6thrust23THRUST_200600_302600_NS6detail15normal_iteratorINS9_10device_ptrIiEEEENSB_INSC_IjEEEESE_fNS9_4plusIvEENS9_8equal_toIvEEfEE10hipError_tPvRmT2_T3_T4_T5_mT6_T7_P12ihipStream_tbENKUlT_T0_E_clISt17integral_constantIbLb1EES11_EEDaSW_SX_EUlSW_E_NS1_11comp_targetILNS1_3genE8ELNS1_11target_archE1030ELNS1_3gpuE2ELNS1_3repE0EEENS1_30default_config_static_selectorELNS0_4arch9wavefront6targetE0EEEvT1_.has_indirect_call, 0
	.section	.AMDGPU.csdata,"",@progbits
; Kernel info:
; codeLenInByte = 0
; TotalNumSgprs: 0
; NumVgprs: 0
; ScratchSize: 0
; MemoryBound: 0
; FloatMode: 240
; IeeeMode: 1
; LDSByteSize: 0 bytes/workgroup (compile time only)
; SGPRBlocks: 0
; VGPRBlocks: 0
; NumSGPRsForWavesPerEU: 1
; NumVGPRsForWavesPerEU: 1
; NamedBarCnt: 0
; Occupancy: 16
; WaveLimiterHint : 0
; COMPUTE_PGM_RSRC2:SCRATCH_EN: 0
; COMPUTE_PGM_RSRC2:USER_SGPR: 2
; COMPUTE_PGM_RSRC2:TRAP_HANDLER: 0
; COMPUTE_PGM_RSRC2:TGID_X_EN: 1
; COMPUTE_PGM_RSRC2:TGID_Y_EN: 0
; COMPUTE_PGM_RSRC2:TGID_Z_EN: 0
; COMPUTE_PGM_RSRC2:TIDIG_COMP_CNT: 0
	.section	.text._ZN7rocprim17ROCPRIM_400000_NS6detail17trampoline_kernelINS0_14default_configENS1_27scan_by_key_config_selectorIifEEZZNS1_16scan_by_key_implILNS1_25lookback_scan_determinismE0ELb1ES3_N6thrust23THRUST_200600_302600_NS6detail15normal_iteratorINS9_10device_ptrIiEEEENSB_INSC_IjEEEESE_fNS9_4plusIvEENS9_8equal_toIvEEfEE10hipError_tPvRmT2_T3_T4_T5_mT6_T7_P12ihipStream_tbENKUlT_T0_E_clISt17integral_constantIbLb1EES10_IbLb0EEEEDaSW_SX_EUlSW_E_NS1_11comp_targetILNS1_3genE0ELNS1_11target_archE4294967295ELNS1_3gpuE0ELNS1_3repE0EEENS1_30default_config_static_selectorELNS0_4arch9wavefront6targetE0EEEvT1_,"axG",@progbits,_ZN7rocprim17ROCPRIM_400000_NS6detail17trampoline_kernelINS0_14default_configENS1_27scan_by_key_config_selectorIifEEZZNS1_16scan_by_key_implILNS1_25lookback_scan_determinismE0ELb1ES3_N6thrust23THRUST_200600_302600_NS6detail15normal_iteratorINS9_10device_ptrIiEEEENSB_INSC_IjEEEESE_fNS9_4plusIvEENS9_8equal_toIvEEfEE10hipError_tPvRmT2_T3_T4_T5_mT6_T7_P12ihipStream_tbENKUlT_T0_E_clISt17integral_constantIbLb1EES10_IbLb0EEEEDaSW_SX_EUlSW_E_NS1_11comp_targetILNS1_3genE0ELNS1_11target_archE4294967295ELNS1_3gpuE0ELNS1_3repE0EEENS1_30default_config_static_selectorELNS0_4arch9wavefront6targetE0EEEvT1_,comdat
	.protected	_ZN7rocprim17ROCPRIM_400000_NS6detail17trampoline_kernelINS0_14default_configENS1_27scan_by_key_config_selectorIifEEZZNS1_16scan_by_key_implILNS1_25lookback_scan_determinismE0ELb1ES3_N6thrust23THRUST_200600_302600_NS6detail15normal_iteratorINS9_10device_ptrIiEEEENSB_INSC_IjEEEESE_fNS9_4plusIvEENS9_8equal_toIvEEfEE10hipError_tPvRmT2_T3_T4_T5_mT6_T7_P12ihipStream_tbENKUlT_T0_E_clISt17integral_constantIbLb1EES10_IbLb0EEEEDaSW_SX_EUlSW_E_NS1_11comp_targetILNS1_3genE0ELNS1_11target_archE4294967295ELNS1_3gpuE0ELNS1_3repE0EEENS1_30default_config_static_selectorELNS0_4arch9wavefront6targetE0EEEvT1_ ; -- Begin function _ZN7rocprim17ROCPRIM_400000_NS6detail17trampoline_kernelINS0_14default_configENS1_27scan_by_key_config_selectorIifEEZZNS1_16scan_by_key_implILNS1_25lookback_scan_determinismE0ELb1ES3_N6thrust23THRUST_200600_302600_NS6detail15normal_iteratorINS9_10device_ptrIiEEEENSB_INSC_IjEEEESE_fNS9_4plusIvEENS9_8equal_toIvEEfEE10hipError_tPvRmT2_T3_T4_T5_mT6_T7_P12ihipStream_tbENKUlT_T0_E_clISt17integral_constantIbLb1EES10_IbLb0EEEEDaSW_SX_EUlSW_E_NS1_11comp_targetILNS1_3genE0ELNS1_11target_archE4294967295ELNS1_3gpuE0ELNS1_3repE0EEENS1_30default_config_static_selectorELNS0_4arch9wavefront6targetE0EEEvT1_
	.globl	_ZN7rocprim17ROCPRIM_400000_NS6detail17trampoline_kernelINS0_14default_configENS1_27scan_by_key_config_selectorIifEEZZNS1_16scan_by_key_implILNS1_25lookback_scan_determinismE0ELb1ES3_N6thrust23THRUST_200600_302600_NS6detail15normal_iteratorINS9_10device_ptrIiEEEENSB_INSC_IjEEEESE_fNS9_4plusIvEENS9_8equal_toIvEEfEE10hipError_tPvRmT2_T3_T4_T5_mT6_T7_P12ihipStream_tbENKUlT_T0_E_clISt17integral_constantIbLb1EES10_IbLb0EEEEDaSW_SX_EUlSW_E_NS1_11comp_targetILNS1_3genE0ELNS1_11target_archE4294967295ELNS1_3gpuE0ELNS1_3repE0EEENS1_30default_config_static_selectorELNS0_4arch9wavefront6targetE0EEEvT1_
	.p2align	8
	.type	_ZN7rocprim17ROCPRIM_400000_NS6detail17trampoline_kernelINS0_14default_configENS1_27scan_by_key_config_selectorIifEEZZNS1_16scan_by_key_implILNS1_25lookback_scan_determinismE0ELb1ES3_N6thrust23THRUST_200600_302600_NS6detail15normal_iteratorINS9_10device_ptrIiEEEENSB_INSC_IjEEEESE_fNS9_4plusIvEENS9_8equal_toIvEEfEE10hipError_tPvRmT2_T3_T4_T5_mT6_T7_P12ihipStream_tbENKUlT_T0_E_clISt17integral_constantIbLb1EES10_IbLb0EEEEDaSW_SX_EUlSW_E_NS1_11comp_targetILNS1_3genE0ELNS1_11target_archE4294967295ELNS1_3gpuE0ELNS1_3repE0EEENS1_30default_config_static_selectorELNS0_4arch9wavefront6targetE0EEEvT1_,@function
_ZN7rocprim17ROCPRIM_400000_NS6detail17trampoline_kernelINS0_14default_configENS1_27scan_by_key_config_selectorIifEEZZNS1_16scan_by_key_implILNS1_25lookback_scan_determinismE0ELb1ES3_N6thrust23THRUST_200600_302600_NS6detail15normal_iteratorINS9_10device_ptrIiEEEENSB_INSC_IjEEEESE_fNS9_4plusIvEENS9_8equal_toIvEEfEE10hipError_tPvRmT2_T3_T4_T5_mT6_T7_P12ihipStream_tbENKUlT_T0_E_clISt17integral_constantIbLb1EES10_IbLb0EEEEDaSW_SX_EUlSW_E_NS1_11comp_targetILNS1_3genE0ELNS1_11target_archE4294967295ELNS1_3gpuE0ELNS1_3repE0EEENS1_30default_config_static_selectorELNS0_4arch9wavefront6targetE0EEEvT1_: ; @_ZN7rocprim17ROCPRIM_400000_NS6detail17trampoline_kernelINS0_14default_configENS1_27scan_by_key_config_selectorIifEEZZNS1_16scan_by_key_implILNS1_25lookback_scan_determinismE0ELb1ES3_N6thrust23THRUST_200600_302600_NS6detail15normal_iteratorINS9_10device_ptrIiEEEENSB_INSC_IjEEEESE_fNS9_4plusIvEENS9_8equal_toIvEEfEE10hipError_tPvRmT2_T3_T4_T5_mT6_T7_P12ihipStream_tbENKUlT_T0_E_clISt17integral_constantIbLb1EES10_IbLb0EEEEDaSW_SX_EUlSW_E_NS1_11comp_targetILNS1_3genE0ELNS1_11target_archE4294967295ELNS1_3gpuE0ELNS1_3repE0EEENS1_30default_config_static_selectorELNS0_4arch9wavefront6targetE0EEEvT1_
; %bb.0:
	s_endpgm
	.section	.rodata,"a",@progbits
	.p2align	6, 0x0
	.amdhsa_kernel _ZN7rocprim17ROCPRIM_400000_NS6detail17trampoline_kernelINS0_14default_configENS1_27scan_by_key_config_selectorIifEEZZNS1_16scan_by_key_implILNS1_25lookback_scan_determinismE0ELb1ES3_N6thrust23THRUST_200600_302600_NS6detail15normal_iteratorINS9_10device_ptrIiEEEENSB_INSC_IjEEEESE_fNS9_4plusIvEENS9_8equal_toIvEEfEE10hipError_tPvRmT2_T3_T4_T5_mT6_T7_P12ihipStream_tbENKUlT_T0_E_clISt17integral_constantIbLb1EES10_IbLb0EEEEDaSW_SX_EUlSW_E_NS1_11comp_targetILNS1_3genE0ELNS1_11target_archE4294967295ELNS1_3gpuE0ELNS1_3repE0EEENS1_30default_config_static_selectorELNS0_4arch9wavefront6targetE0EEEvT1_
		.amdhsa_group_segment_fixed_size 0
		.amdhsa_private_segment_fixed_size 0
		.amdhsa_kernarg_size 112
		.amdhsa_user_sgpr_count 2
		.amdhsa_user_sgpr_dispatch_ptr 0
		.amdhsa_user_sgpr_queue_ptr 0
		.amdhsa_user_sgpr_kernarg_segment_ptr 1
		.amdhsa_user_sgpr_dispatch_id 0
		.amdhsa_user_sgpr_kernarg_preload_length 0
		.amdhsa_user_sgpr_kernarg_preload_offset 0
		.amdhsa_user_sgpr_private_segment_size 0
		.amdhsa_wavefront_size32 1
		.amdhsa_uses_dynamic_stack 0
		.amdhsa_enable_private_segment 0
		.amdhsa_system_sgpr_workgroup_id_x 1
		.amdhsa_system_sgpr_workgroup_id_y 0
		.amdhsa_system_sgpr_workgroup_id_z 0
		.amdhsa_system_sgpr_workgroup_info 0
		.amdhsa_system_vgpr_workitem_id 0
		.amdhsa_next_free_vgpr 1
		.amdhsa_next_free_sgpr 1
		.amdhsa_named_barrier_count 0
		.amdhsa_reserve_vcc 0
		.amdhsa_float_round_mode_32 0
		.amdhsa_float_round_mode_16_64 0
		.amdhsa_float_denorm_mode_32 3
		.amdhsa_float_denorm_mode_16_64 3
		.amdhsa_fp16_overflow 0
		.amdhsa_memory_ordered 1
		.amdhsa_forward_progress 1
		.amdhsa_inst_pref_size 1
		.amdhsa_round_robin_scheduling 0
		.amdhsa_exception_fp_ieee_invalid_op 0
		.amdhsa_exception_fp_denorm_src 0
		.amdhsa_exception_fp_ieee_div_zero 0
		.amdhsa_exception_fp_ieee_overflow 0
		.amdhsa_exception_fp_ieee_underflow 0
		.amdhsa_exception_fp_ieee_inexact 0
		.amdhsa_exception_int_div_zero 0
	.end_amdhsa_kernel
	.section	.text._ZN7rocprim17ROCPRIM_400000_NS6detail17trampoline_kernelINS0_14default_configENS1_27scan_by_key_config_selectorIifEEZZNS1_16scan_by_key_implILNS1_25lookback_scan_determinismE0ELb1ES3_N6thrust23THRUST_200600_302600_NS6detail15normal_iteratorINS9_10device_ptrIiEEEENSB_INSC_IjEEEESE_fNS9_4plusIvEENS9_8equal_toIvEEfEE10hipError_tPvRmT2_T3_T4_T5_mT6_T7_P12ihipStream_tbENKUlT_T0_E_clISt17integral_constantIbLb1EES10_IbLb0EEEEDaSW_SX_EUlSW_E_NS1_11comp_targetILNS1_3genE0ELNS1_11target_archE4294967295ELNS1_3gpuE0ELNS1_3repE0EEENS1_30default_config_static_selectorELNS0_4arch9wavefront6targetE0EEEvT1_,"axG",@progbits,_ZN7rocprim17ROCPRIM_400000_NS6detail17trampoline_kernelINS0_14default_configENS1_27scan_by_key_config_selectorIifEEZZNS1_16scan_by_key_implILNS1_25lookback_scan_determinismE0ELb1ES3_N6thrust23THRUST_200600_302600_NS6detail15normal_iteratorINS9_10device_ptrIiEEEENSB_INSC_IjEEEESE_fNS9_4plusIvEENS9_8equal_toIvEEfEE10hipError_tPvRmT2_T3_T4_T5_mT6_T7_P12ihipStream_tbENKUlT_T0_E_clISt17integral_constantIbLb1EES10_IbLb0EEEEDaSW_SX_EUlSW_E_NS1_11comp_targetILNS1_3genE0ELNS1_11target_archE4294967295ELNS1_3gpuE0ELNS1_3repE0EEENS1_30default_config_static_selectorELNS0_4arch9wavefront6targetE0EEEvT1_,comdat
.Lfunc_end1806:
	.size	_ZN7rocprim17ROCPRIM_400000_NS6detail17trampoline_kernelINS0_14default_configENS1_27scan_by_key_config_selectorIifEEZZNS1_16scan_by_key_implILNS1_25lookback_scan_determinismE0ELb1ES3_N6thrust23THRUST_200600_302600_NS6detail15normal_iteratorINS9_10device_ptrIiEEEENSB_INSC_IjEEEESE_fNS9_4plusIvEENS9_8equal_toIvEEfEE10hipError_tPvRmT2_T3_T4_T5_mT6_T7_P12ihipStream_tbENKUlT_T0_E_clISt17integral_constantIbLb1EES10_IbLb0EEEEDaSW_SX_EUlSW_E_NS1_11comp_targetILNS1_3genE0ELNS1_11target_archE4294967295ELNS1_3gpuE0ELNS1_3repE0EEENS1_30default_config_static_selectorELNS0_4arch9wavefront6targetE0EEEvT1_, .Lfunc_end1806-_ZN7rocprim17ROCPRIM_400000_NS6detail17trampoline_kernelINS0_14default_configENS1_27scan_by_key_config_selectorIifEEZZNS1_16scan_by_key_implILNS1_25lookback_scan_determinismE0ELb1ES3_N6thrust23THRUST_200600_302600_NS6detail15normal_iteratorINS9_10device_ptrIiEEEENSB_INSC_IjEEEESE_fNS9_4plusIvEENS9_8equal_toIvEEfEE10hipError_tPvRmT2_T3_T4_T5_mT6_T7_P12ihipStream_tbENKUlT_T0_E_clISt17integral_constantIbLb1EES10_IbLb0EEEEDaSW_SX_EUlSW_E_NS1_11comp_targetILNS1_3genE0ELNS1_11target_archE4294967295ELNS1_3gpuE0ELNS1_3repE0EEENS1_30default_config_static_selectorELNS0_4arch9wavefront6targetE0EEEvT1_
                                        ; -- End function
	.set _ZN7rocprim17ROCPRIM_400000_NS6detail17trampoline_kernelINS0_14default_configENS1_27scan_by_key_config_selectorIifEEZZNS1_16scan_by_key_implILNS1_25lookback_scan_determinismE0ELb1ES3_N6thrust23THRUST_200600_302600_NS6detail15normal_iteratorINS9_10device_ptrIiEEEENSB_INSC_IjEEEESE_fNS9_4plusIvEENS9_8equal_toIvEEfEE10hipError_tPvRmT2_T3_T4_T5_mT6_T7_P12ihipStream_tbENKUlT_T0_E_clISt17integral_constantIbLb1EES10_IbLb0EEEEDaSW_SX_EUlSW_E_NS1_11comp_targetILNS1_3genE0ELNS1_11target_archE4294967295ELNS1_3gpuE0ELNS1_3repE0EEENS1_30default_config_static_selectorELNS0_4arch9wavefront6targetE0EEEvT1_.num_vgpr, 0
	.set _ZN7rocprim17ROCPRIM_400000_NS6detail17trampoline_kernelINS0_14default_configENS1_27scan_by_key_config_selectorIifEEZZNS1_16scan_by_key_implILNS1_25lookback_scan_determinismE0ELb1ES3_N6thrust23THRUST_200600_302600_NS6detail15normal_iteratorINS9_10device_ptrIiEEEENSB_INSC_IjEEEESE_fNS9_4plusIvEENS9_8equal_toIvEEfEE10hipError_tPvRmT2_T3_T4_T5_mT6_T7_P12ihipStream_tbENKUlT_T0_E_clISt17integral_constantIbLb1EES10_IbLb0EEEEDaSW_SX_EUlSW_E_NS1_11comp_targetILNS1_3genE0ELNS1_11target_archE4294967295ELNS1_3gpuE0ELNS1_3repE0EEENS1_30default_config_static_selectorELNS0_4arch9wavefront6targetE0EEEvT1_.num_agpr, 0
	.set _ZN7rocprim17ROCPRIM_400000_NS6detail17trampoline_kernelINS0_14default_configENS1_27scan_by_key_config_selectorIifEEZZNS1_16scan_by_key_implILNS1_25lookback_scan_determinismE0ELb1ES3_N6thrust23THRUST_200600_302600_NS6detail15normal_iteratorINS9_10device_ptrIiEEEENSB_INSC_IjEEEESE_fNS9_4plusIvEENS9_8equal_toIvEEfEE10hipError_tPvRmT2_T3_T4_T5_mT6_T7_P12ihipStream_tbENKUlT_T0_E_clISt17integral_constantIbLb1EES10_IbLb0EEEEDaSW_SX_EUlSW_E_NS1_11comp_targetILNS1_3genE0ELNS1_11target_archE4294967295ELNS1_3gpuE0ELNS1_3repE0EEENS1_30default_config_static_selectorELNS0_4arch9wavefront6targetE0EEEvT1_.numbered_sgpr, 0
	.set _ZN7rocprim17ROCPRIM_400000_NS6detail17trampoline_kernelINS0_14default_configENS1_27scan_by_key_config_selectorIifEEZZNS1_16scan_by_key_implILNS1_25lookback_scan_determinismE0ELb1ES3_N6thrust23THRUST_200600_302600_NS6detail15normal_iteratorINS9_10device_ptrIiEEEENSB_INSC_IjEEEESE_fNS9_4plusIvEENS9_8equal_toIvEEfEE10hipError_tPvRmT2_T3_T4_T5_mT6_T7_P12ihipStream_tbENKUlT_T0_E_clISt17integral_constantIbLb1EES10_IbLb0EEEEDaSW_SX_EUlSW_E_NS1_11comp_targetILNS1_3genE0ELNS1_11target_archE4294967295ELNS1_3gpuE0ELNS1_3repE0EEENS1_30default_config_static_selectorELNS0_4arch9wavefront6targetE0EEEvT1_.num_named_barrier, 0
	.set _ZN7rocprim17ROCPRIM_400000_NS6detail17trampoline_kernelINS0_14default_configENS1_27scan_by_key_config_selectorIifEEZZNS1_16scan_by_key_implILNS1_25lookback_scan_determinismE0ELb1ES3_N6thrust23THRUST_200600_302600_NS6detail15normal_iteratorINS9_10device_ptrIiEEEENSB_INSC_IjEEEESE_fNS9_4plusIvEENS9_8equal_toIvEEfEE10hipError_tPvRmT2_T3_T4_T5_mT6_T7_P12ihipStream_tbENKUlT_T0_E_clISt17integral_constantIbLb1EES10_IbLb0EEEEDaSW_SX_EUlSW_E_NS1_11comp_targetILNS1_3genE0ELNS1_11target_archE4294967295ELNS1_3gpuE0ELNS1_3repE0EEENS1_30default_config_static_selectorELNS0_4arch9wavefront6targetE0EEEvT1_.private_seg_size, 0
	.set _ZN7rocprim17ROCPRIM_400000_NS6detail17trampoline_kernelINS0_14default_configENS1_27scan_by_key_config_selectorIifEEZZNS1_16scan_by_key_implILNS1_25lookback_scan_determinismE0ELb1ES3_N6thrust23THRUST_200600_302600_NS6detail15normal_iteratorINS9_10device_ptrIiEEEENSB_INSC_IjEEEESE_fNS9_4plusIvEENS9_8equal_toIvEEfEE10hipError_tPvRmT2_T3_T4_T5_mT6_T7_P12ihipStream_tbENKUlT_T0_E_clISt17integral_constantIbLb1EES10_IbLb0EEEEDaSW_SX_EUlSW_E_NS1_11comp_targetILNS1_3genE0ELNS1_11target_archE4294967295ELNS1_3gpuE0ELNS1_3repE0EEENS1_30default_config_static_selectorELNS0_4arch9wavefront6targetE0EEEvT1_.uses_vcc, 0
	.set _ZN7rocprim17ROCPRIM_400000_NS6detail17trampoline_kernelINS0_14default_configENS1_27scan_by_key_config_selectorIifEEZZNS1_16scan_by_key_implILNS1_25lookback_scan_determinismE0ELb1ES3_N6thrust23THRUST_200600_302600_NS6detail15normal_iteratorINS9_10device_ptrIiEEEENSB_INSC_IjEEEESE_fNS9_4plusIvEENS9_8equal_toIvEEfEE10hipError_tPvRmT2_T3_T4_T5_mT6_T7_P12ihipStream_tbENKUlT_T0_E_clISt17integral_constantIbLb1EES10_IbLb0EEEEDaSW_SX_EUlSW_E_NS1_11comp_targetILNS1_3genE0ELNS1_11target_archE4294967295ELNS1_3gpuE0ELNS1_3repE0EEENS1_30default_config_static_selectorELNS0_4arch9wavefront6targetE0EEEvT1_.uses_flat_scratch, 0
	.set _ZN7rocprim17ROCPRIM_400000_NS6detail17trampoline_kernelINS0_14default_configENS1_27scan_by_key_config_selectorIifEEZZNS1_16scan_by_key_implILNS1_25lookback_scan_determinismE0ELb1ES3_N6thrust23THRUST_200600_302600_NS6detail15normal_iteratorINS9_10device_ptrIiEEEENSB_INSC_IjEEEESE_fNS9_4plusIvEENS9_8equal_toIvEEfEE10hipError_tPvRmT2_T3_T4_T5_mT6_T7_P12ihipStream_tbENKUlT_T0_E_clISt17integral_constantIbLb1EES10_IbLb0EEEEDaSW_SX_EUlSW_E_NS1_11comp_targetILNS1_3genE0ELNS1_11target_archE4294967295ELNS1_3gpuE0ELNS1_3repE0EEENS1_30default_config_static_selectorELNS0_4arch9wavefront6targetE0EEEvT1_.has_dyn_sized_stack, 0
	.set _ZN7rocprim17ROCPRIM_400000_NS6detail17trampoline_kernelINS0_14default_configENS1_27scan_by_key_config_selectorIifEEZZNS1_16scan_by_key_implILNS1_25lookback_scan_determinismE0ELb1ES3_N6thrust23THRUST_200600_302600_NS6detail15normal_iteratorINS9_10device_ptrIiEEEENSB_INSC_IjEEEESE_fNS9_4plusIvEENS9_8equal_toIvEEfEE10hipError_tPvRmT2_T3_T4_T5_mT6_T7_P12ihipStream_tbENKUlT_T0_E_clISt17integral_constantIbLb1EES10_IbLb0EEEEDaSW_SX_EUlSW_E_NS1_11comp_targetILNS1_3genE0ELNS1_11target_archE4294967295ELNS1_3gpuE0ELNS1_3repE0EEENS1_30default_config_static_selectorELNS0_4arch9wavefront6targetE0EEEvT1_.has_recursion, 0
	.set _ZN7rocprim17ROCPRIM_400000_NS6detail17trampoline_kernelINS0_14default_configENS1_27scan_by_key_config_selectorIifEEZZNS1_16scan_by_key_implILNS1_25lookback_scan_determinismE0ELb1ES3_N6thrust23THRUST_200600_302600_NS6detail15normal_iteratorINS9_10device_ptrIiEEEENSB_INSC_IjEEEESE_fNS9_4plusIvEENS9_8equal_toIvEEfEE10hipError_tPvRmT2_T3_T4_T5_mT6_T7_P12ihipStream_tbENKUlT_T0_E_clISt17integral_constantIbLb1EES10_IbLb0EEEEDaSW_SX_EUlSW_E_NS1_11comp_targetILNS1_3genE0ELNS1_11target_archE4294967295ELNS1_3gpuE0ELNS1_3repE0EEENS1_30default_config_static_selectorELNS0_4arch9wavefront6targetE0EEEvT1_.has_indirect_call, 0
	.section	.AMDGPU.csdata,"",@progbits
; Kernel info:
; codeLenInByte = 4
; TotalNumSgprs: 0
; NumVgprs: 0
; ScratchSize: 0
; MemoryBound: 0
; FloatMode: 240
; IeeeMode: 1
; LDSByteSize: 0 bytes/workgroup (compile time only)
; SGPRBlocks: 0
; VGPRBlocks: 0
; NumSGPRsForWavesPerEU: 1
; NumVGPRsForWavesPerEU: 1
; NamedBarCnt: 0
; Occupancy: 16
; WaveLimiterHint : 0
; COMPUTE_PGM_RSRC2:SCRATCH_EN: 0
; COMPUTE_PGM_RSRC2:USER_SGPR: 2
; COMPUTE_PGM_RSRC2:TRAP_HANDLER: 0
; COMPUTE_PGM_RSRC2:TGID_X_EN: 1
; COMPUTE_PGM_RSRC2:TGID_Y_EN: 0
; COMPUTE_PGM_RSRC2:TGID_Z_EN: 0
; COMPUTE_PGM_RSRC2:TIDIG_COMP_CNT: 0
	.section	.text._ZN7rocprim17ROCPRIM_400000_NS6detail17trampoline_kernelINS0_14default_configENS1_27scan_by_key_config_selectorIifEEZZNS1_16scan_by_key_implILNS1_25lookback_scan_determinismE0ELb1ES3_N6thrust23THRUST_200600_302600_NS6detail15normal_iteratorINS9_10device_ptrIiEEEENSB_INSC_IjEEEESE_fNS9_4plusIvEENS9_8equal_toIvEEfEE10hipError_tPvRmT2_T3_T4_T5_mT6_T7_P12ihipStream_tbENKUlT_T0_E_clISt17integral_constantIbLb1EES10_IbLb0EEEEDaSW_SX_EUlSW_E_NS1_11comp_targetILNS1_3genE10ELNS1_11target_archE1201ELNS1_3gpuE5ELNS1_3repE0EEENS1_30default_config_static_selectorELNS0_4arch9wavefront6targetE0EEEvT1_,"axG",@progbits,_ZN7rocprim17ROCPRIM_400000_NS6detail17trampoline_kernelINS0_14default_configENS1_27scan_by_key_config_selectorIifEEZZNS1_16scan_by_key_implILNS1_25lookback_scan_determinismE0ELb1ES3_N6thrust23THRUST_200600_302600_NS6detail15normal_iteratorINS9_10device_ptrIiEEEENSB_INSC_IjEEEESE_fNS9_4plusIvEENS9_8equal_toIvEEfEE10hipError_tPvRmT2_T3_T4_T5_mT6_T7_P12ihipStream_tbENKUlT_T0_E_clISt17integral_constantIbLb1EES10_IbLb0EEEEDaSW_SX_EUlSW_E_NS1_11comp_targetILNS1_3genE10ELNS1_11target_archE1201ELNS1_3gpuE5ELNS1_3repE0EEENS1_30default_config_static_selectorELNS0_4arch9wavefront6targetE0EEEvT1_,comdat
	.protected	_ZN7rocprim17ROCPRIM_400000_NS6detail17trampoline_kernelINS0_14default_configENS1_27scan_by_key_config_selectorIifEEZZNS1_16scan_by_key_implILNS1_25lookback_scan_determinismE0ELb1ES3_N6thrust23THRUST_200600_302600_NS6detail15normal_iteratorINS9_10device_ptrIiEEEENSB_INSC_IjEEEESE_fNS9_4plusIvEENS9_8equal_toIvEEfEE10hipError_tPvRmT2_T3_T4_T5_mT6_T7_P12ihipStream_tbENKUlT_T0_E_clISt17integral_constantIbLb1EES10_IbLb0EEEEDaSW_SX_EUlSW_E_NS1_11comp_targetILNS1_3genE10ELNS1_11target_archE1201ELNS1_3gpuE5ELNS1_3repE0EEENS1_30default_config_static_selectorELNS0_4arch9wavefront6targetE0EEEvT1_ ; -- Begin function _ZN7rocprim17ROCPRIM_400000_NS6detail17trampoline_kernelINS0_14default_configENS1_27scan_by_key_config_selectorIifEEZZNS1_16scan_by_key_implILNS1_25lookback_scan_determinismE0ELb1ES3_N6thrust23THRUST_200600_302600_NS6detail15normal_iteratorINS9_10device_ptrIiEEEENSB_INSC_IjEEEESE_fNS9_4plusIvEENS9_8equal_toIvEEfEE10hipError_tPvRmT2_T3_T4_T5_mT6_T7_P12ihipStream_tbENKUlT_T0_E_clISt17integral_constantIbLb1EES10_IbLb0EEEEDaSW_SX_EUlSW_E_NS1_11comp_targetILNS1_3genE10ELNS1_11target_archE1201ELNS1_3gpuE5ELNS1_3repE0EEENS1_30default_config_static_selectorELNS0_4arch9wavefront6targetE0EEEvT1_
	.globl	_ZN7rocprim17ROCPRIM_400000_NS6detail17trampoline_kernelINS0_14default_configENS1_27scan_by_key_config_selectorIifEEZZNS1_16scan_by_key_implILNS1_25lookback_scan_determinismE0ELb1ES3_N6thrust23THRUST_200600_302600_NS6detail15normal_iteratorINS9_10device_ptrIiEEEENSB_INSC_IjEEEESE_fNS9_4plusIvEENS9_8equal_toIvEEfEE10hipError_tPvRmT2_T3_T4_T5_mT6_T7_P12ihipStream_tbENKUlT_T0_E_clISt17integral_constantIbLb1EES10_IbLb0EEEEDaSW_SX_EUlSW_E_NS1_11comp_targetILNS1_3genE10ELNS1_11target_archE1201ELNS1_3gpuE5ELNS1_3repE0EEENS1_30default_config_static_selectorELNS0_4arch9wavefront6targetE0EEEvT1_
	.p2align	8
	.type	_ZN7rocprim17ROCPRIM_400000_NS6detail17trampoline_kernelINS0_14default_configENS1_27scan_by_key_config_selectorIifEEZZNS1_16scan_by_key_implILNS1_25lookback_scan_determinismE0ELb1ES3_N6thrust23THRUST_200600_302600_NS6detail15normal_iteratorINS9_10device_ptrIiEEEENSB_INSC_IjEEEESE_fNS9_4plusIvEENS9_8equal_toIvEEfEE10hipError_tPvRmT2_T3_T4_T5_mT6_T7_P12ihipStream_tbENKUlT_T0_E_clISt17integral_constantIbLb1EES10_IbLb0EEEEDaSW_SX_EUlSW_E_NS1_11comp_targetILNS1_3genE10ELNS1_11target_archE1201ELNS1_3gpuE5ELNS1_3repE0EEENS1_30default_config_static_selectorELNS0_4arch9wavefront6targetE0EEEvT1_,@function
_ZN7rocprim17ROCPRIM_400000_NS6detail17trampoline_kernelINS0_14default_configENS1_27scan_by_key_config_selectorIifEEZZNS1_16scan_by_key_implILNS1_25lookback_scan_determinismE0ELb1ES3_N6thrust23THRUST_200600_302600_NS6detail15normal_iteratorINS9_10device_ptrIiEEEENSB_INSC_IjEEEESE_fNS9_4plusIvEENS9_8equal_toIvEEfEE10hipError_tPvRmT2_T3_T4_T5_mT6_T7_P12ihipStream_tbENKUlT_T0_E_clISt17integral_constantIbLb1EES10_IbLb0EEEEDaSW_SX_EUlSW_E_NS1_11comp_targetILNS1_3genE10ELNS1_11target_archE1201ELNS1_3gpuE5ELNS1_3repE0EEENS1_30default_config_static_selectorELNS0_4arch9wavefront6targetE0EEEvT1_: ; @_ZN7rocprim17ROCPRIM_400000_NS6detail17trampoline_kernelINS0_14default_configENS1_27scan_by_key_config_selectorIifEEZZNS1_16scan_by_key_implILNS1_25lookback_scan_determinismE0ELb1ES3_N6thrust23THRUST_200600_302600_NS6detail15normal_iteratorINS9_10device_ptrIiEEEENSB_INSC_IjEEEESE_fNS9_4plusIvEENS9_8equal_toIvEEfEE10hipError_tPvRmT2_T3_T4_T5_mT6_T7_P12ihipStream_tbENKUlT_T0_E_clISt17integral_constantIbLb1EES10_IbLb0EEEEDaSW_SX_EUlSW_E_NS1_11comp_targetILNS1_3genE10ELNS1_11target_archE1201ELNS1_3gpuE5ELNS1_3repE0EEENS1_30default_config_static_selectorELNS0_4arch9wavefront6targetE0EEEvT1_
; %bb.0:
	.section	.rodata,"a",@progbits
	.p2align	6, 0x0
	.amdhsa_kernel _ZN7rocprim17ROCPRIM_400000_NS6detail17trampoline_kernelINS0_14default_configENS1_27scan_by_key_config_selectorIifEEZZNS1_16scan_by_key_implILNS1_25lookback_scan_determinismE0ELb1ES3_N6thrust23THRUST_200600_302600_NS6detail15normal_iteratorINS9_10device_ptrIiEEEENSB_INSC_IjEEEESE_fNS9_4plusIvEENS9_8equal_toIvEEfEE10hipError_tPvRmT2_T3_T4_T5_mT6_T7_P12ihipStream_tbENKUlT_T0_E_clISt17integral_constantIbLb1EES10_IbLb0EEEEDaSW_SX_EUlSW_E_NS1_11comp_targetILNS1_3genE10ELNS1_11target_archE1201ELNS1_3gpuE5ELNS1_3repE0EEENS1_30default_config_static_selectorELNS0_4arch9wavefront6targetE0EEEvT1_
		.amdhsa_group_segment_fixed_size 0
		.amdhsa_private_segment_fixed_size 0
		.amdhsa_kernarg_size 112
		.amdhsa_user_sgpr_count 2
		.amdhsa_user_sgpr_dispatch_ptr 0
		.amdhsa_user_sgpr_queue_ptr 0
		.amdhsa_user_sgpr_kernarg_segment_ptr 1
		.amdhsa_user_sgpr_dispatch_id 0
		.amdhsa_user_sgpr_kernarg_preload_length 0
		.amdhsa_user_sgpr_kernarg_preload_offset 0
		.amdhsa_user_sgpr_private_segment_size 0
		.amdhsa_wavefront_size32 1
		.amdhsa_uses_dynamic_stack 0
		.amdhsa_enable_private_segment 0
		.amdhsa_system_sgpr_workgroup_id_x 1
		.amdhsa_system_sgpr_workgroup_id_y 0
		.amdhsa_system_sgpr_workgroup_id_z 0
		.amdhsa_system_sgpr_workgroup_info 0
		.amdhsa_system_vgpr_workitem_id 0
		.amdhsa_next_free_vgpr 1
		.amdhsa_next_free_sgpr 1
		.amdhsa_named_barrier_count 0
		.amdhsa_reserve_vcc 0
		.amdhsa_float_round_mode_32 0
		.amdhsa_float_round_mode_16_64 0
		.amdhsa_float_denorm_mode_32 3
		.amdhsa_float_denorm_mode_16_64 3
		.amdhsa_fp16_overflow 0
		.amdhsa_memory_ordered 1
		.amdhsa_forward_progress 1
		.amdhsa_inst_pref_size 0
		.amdhsa_round_robin_scheduling 0
		.amdhsa_exception_fp_ieee_invalid_op 0
		.amdhsa_exception_fp_denorm_src 0
		.amdhsa_exception_fp_ieee_div_zero 0
		.amdhsa_exception_fp_ieee_overflow 0
		.amdhsa_exception_fp_ieee_underflow 0
		.amdhsa_exception_fp_ieee_inexact 0
		.amdhsa_exception_int_div_zero 0
	.end_amdhsa_kernel
	.section	.text._ZN7rocprim17ROCPRIM_400000_NS6detail17trampoline_kernelINS0_14default_configENS1_27scan_by_key_config_selectorIifEEZZNS1_16scan_by_key_implILNS1_25lookback_scan_determinismE0ELb1ES3_N6thrust23THRUST_200600_302600_NS6detail15normal_iteratorINS9_10device_ptrIiEEEENSB_INSC_IjEEEESE_fNS9_4plusIvEENS9_8equal_toIvEEfEE10hipError_tPvRmT2_T3_T4_T5_mT6_T7_P12ihipStream_tbENKUlT_T0_E_clISt17integral_constantIbLb1EES10_IbLb0EEEEDaSW_SX_EUlSW_E_NS1_11comp_targetILNS1_3genE10ELNS1_11target_archE1201ELNS1_3gpuE5ELNS1_3repE0EEENS1_30default_config_static_selectorELNS0_4arch9wavefront6targetE0EEEvT1_,"axG",@progbits,_ZN7rocprim17ROCPRIM_400000_NS6detail17trampoline_kernelINS0_14default_configENS1_27scan_by_key_config_selectorIifEEZZNS1_16scan_by_key_implILNS1_25lookback_scan_determinismE0ELb1ES3_N6thrust23THRUST_200600_302600_NS6detail15normal_iteratorINS9_10device_ptrIiEEEENSB_INSC_IjEEEESE_fNS9_4plusIvEENS9_8equal_toIvEEfEE10hipError_tPvRmT2_T3_T4_T5_mT6_T7_P12ihipStream_tbENKUlT_T0_E_clISt17integral_constantIbLb1EES10_IbLb0EEEEDaSW_SX_EUlSW_E_NS1_11comp_targetILNS1_3genE10ELNS1_11target_archE1201ELNS1_3gpuE5ELNS1_3repE0EEENS1_30default_config_static_selectorELNS0_4arch9wavefront6targetE0EEEvT1_,comdat
.Lfunc_end1807:
	.size	_ZN7rocprim17ROCPRIM_400000_NS6detail17trampoline_kernelINS0_14default_configENS1_27scan_by_key_config_selectorIifEEZZNS1_16scan_by_key_implILNS1_25lookback_scan_determinismE0ELb1ES3_N6thrust23THRUST_200600_302600_NS6detail15normal_iteratorINS9_10device_ptrIiEEEENSB_INSC_IjEEEESE_fNS9_4plusIvEENS9_8equal_toIvEEfEE10hipError_tPvRmT2_T3_T4_T5_mT6_T7_P12ihipStream_tbENKUlT_T0_E_clISt17integral_constantIbLb1EES10_IbLb0EEEEDaSW_SX_EUlSW_E_NS1_11comp_targetILNS1_3genE10ELNS1_11target_archE1201ELNS1_3gpuE5ELNS1_3repE0EEENS1_30default_config_static_selectorELNS0_4arch9wavefront6targetE0EEEvT1_, .Lfunc_end1807-_ZN7rocprim17ROCPRIM_400000_NS6detail17trampoline_kernelINS0_14default_configENS1_27scan_by_key_config_selectorIifEEZZNS1_16scan_by_key_implILNS1_25lookback_scan_determinismE0ELb1ES3_N6thrust23THRUST_200600_302600_NS6detail15normal_iteratorINS9_10device_ptrIiEEEENSB_INSC_IjEEEESE_fNS9_4plusIvEENS9_8equal_toIvEEfEE10hipError_tPvRmT2_T3_T4_T5_mT6_T7_P12ihipStream_tbENKUlT_T0_E_clISt17integral_constantIbLb1EES10_IbLb0EEEEDaSW_SX_EUlSW_E_NS1_11comp_targetILNS1_3genE10ELNS1_11target_archE1201ELNS1_3gpuE5ELNS1_3repE0EEENS1_30default_config_static_selectorELNS0_4arch9wavefront6targetE0EEEvT1_
                                        ; -- End function
	.set _ZN7rocprim17ROCPRIM_400000_NS6detail17trampoline_kernelINS0_14default_configENS1_27scan_by_key_config_selectorIifEEZZNS1_16scan_by_key_implILNS1_25lookback_scan_determinismE0ELb1ES3_N6thrust23THRUST_200600_302600_NS6detail15normal_iteratorINS9_10device_ptrIiEEEENSB_INSC_IjEEEESE_fNS9_4plusIvEENS9_8equal_toIvEEfEE10hipError_tPvRmT2_T3_T4_T5_mT6_T7_P12ihipStream_tbENKUlT_T0_E_clISt17integral_constantIbLb1EES10_IbLb0EEEEDaSW_SX_EUlSW_E_NS1_11comp_targetILNS1_3genE10ELNS1_11target_archE1201ELNS1_3gpuE5ELNS1_3repE0EEENS1_30default_config_static_selectorELNS0_4arch9wavefront6targetE0EEEvT1_.num_vgpr, 0
	.set _ZN7rocprim17ROCPRIM_400000_NS6detail17trampoline_kernelINS0_14default_configENS1_27scan_by_key_config_selectorIifEEZZNS1_16scan_by_key_implILNS1_25lookback_scan_determinismE0ELb1ES3_N6thrust23THRUST_200600_302600_NS6detail15normal_iteratorINS9_10device_ptrIiEEEENSB_INSC_IjEEEESE_fNS9_4plusIvEENS9_8equal_toIvEEfEE10hipError_tPvRmT2_T3_T4_T5_mT6_T7_P12ihipStream_tbENKUlT_T0_E_clISt17integral_constantIbLb1EES10_IbLb0EEEEDaSW_SX_EUlSW_E_NS1_11comp_targetILNS1_3genE10ELNS1_11target_archE1201ELNS1_3gpuE5ELNS1_3repE0EEENS1_30default_config_static_selectorELNS0_4arch9wavefront6targetE0EEEvT1_.num_agpr, 0
	.set _ZN7rocprim17ROCPRIM_400000_NS6detail17trampoline_kernelINS0_14default_configENS1_27scan_by_key_config_selectorIifEEZZNS1_16scan_by_key_implILNS1_25lookback_scan_determinismE0ELb1ES3_N6thrust23THRUST_200600_302600_NS6detail15normal_iteratorINS9_10device_ptrIiEEEENSB_INSC_IjEEEESE_fNS9_4plusIvEENS9_8equal_toIvEEfEE10hipError_tPvRmT2_T3_T4_T5_mT6_T7_P12ihipStream_tbENKUlT_T0_E_clISt17integral_constantIbLb1EES10_IbLb0EEEEDaSW_SX_EUlSW_E_NS1_11comp_targetILNS1_3genE10ELNS1_11target_archE1201ELNS1_3gpuE5ELNS1_3repE0EEENS1_30default_config_static_selectorELNS0_4arch9wavefront6targetE0EEEvT1_.numbered_sgpr, 0
	.set _ZN7rocprim17ROCPRIM_400000_NS6detail17trampoline_kernelINS0_14default_configENS1_27scan_by_key_config_selectorIifEEZZNS1_16scan_by_key_implILNS1_25lookback_scan_determinismE0ELb1ES3_N6thrust23THRUST_200600_302600_NS6detail15normal_iteratorINS9_10device_ptrIiEEEENSB_INSC_IjEEEESE_fNS9_4plusIvEENS9_8equal_toIvEEfEE10hipError_tPvRmT2_T3_T4_T5_mT6_T7_P12ihipStream_tbENKUlT_T0_E_clISt17integral_constantIbLb1EES10_IbLb0EEEEDaSW_SX_EUlSW_E_NS1_11comp_targetILNS1_3genE10ELNS1_11target_archE1201ELNS1_3gpuE5ELNS1_3repE0EEENS1_30default_config_static_selectorELNS0_4arch9wavefront6targetE0EEEvT1_.num_named_barrier, 0
	.set _ZN7rocprim17ROCPRIM_400000_NS6detail17trampoline_kernelINS0_14default_configENS1_27scan_by_key_config_selectorIifEEZZNS1_16scan_by_key_implILNS1_25lookback_scan_determinismE0ELb1ES3_N6thrust23THRUST_200600_302600_NS6detail15normal_iteratorINS9_10device_ptrIiEEEENSB_INSC_IjEEEESE_fNS9_4plusIvEENS9_8equal_toIvEEfEE10hipError_tPvRmT2_T3_T4_T5_mT6_T7_P12ihipStream_tbENKUlT_T0_E_clISt17integral_constantIbLb1EES10_IbLb0EEEEDaSW_SX_EUlSW_E_NS1_11comp_targetILNS1_3genE10ELNS1_11target_archE1201ELNS1_3gpuE5ELNS1_3repE0EEENS1_30default_config_static_selectorELNS0_4arch9wavefront6targetE0EEEvT1_.private_seg_size, 0
	.set _ZN7rocprim17ROCPRIM_400000_NS6detail17trampoline_kernelINS0_14default_configENS1_27scan_by_key_config_selectorIifEEZZNS1_16scan_by_key_implILNS1_25lookback_scan_determinismE0ELb1ES3_N6thrust23THRUST_200600_302600_NS6detail15normal_iteratorINS9_10device_ptrIiEEEENSB_INSC_IjEEEESE_fNS9_4plusIvEENS9_8equal_toIvEEfEE10hipError_tPvRmT2_T3_T4_T5_mT6_T7_P12ihipStream_tbENKUlT_T0_E_clISt17integral_constantIbLb1EES10_IbLb0EEEEDaSW_SX_EUlSW_E_NS1_11comp_targetILNS1_3genE10ELNS1_11target_archE1201ELNS1_3gpuE5ELNS1_3repE0EEENS1_30default_config_static_selectorELNS0_4arch9wavefront6targetE0EEEvT1_.uses_vcc, 0
	.set _ZN7rocprim17ROCPRIM_400000_NS6detail17trampoline_kernelINS0_14default_configENS1_27scan_by_key_config_selectorIifEEZZNS1_16scan_by_key_implILNS1_25lookback_scan_determinismE0ELb1ES3_N6thrust23THRUST_200600_302600_NS6detail15normal_iteratorINS9_10device_ptrIiEEEENSB_INSC_IjEEEESE_fNS9_4plusIvEENS9_8equal_toIvEEfEE10hipError_tPvRmT2_T3_T4_T5_mT6_T7_P12ihipStream_tbENKUlT_T0_E_clISt17integral_constantIbLb1EES10_IbLb0EEEEDaSW_SX_EUlSW_E_NS1_11comp_targetILNS1_3genE10ELNS1_11target_archE1201ELNS1_3gpuE5ELNS1_3repE0EEENS1_30default_config_static_selectorELNS0_4arch9wavefront6targetE0EEEvT1_.uses_flat_scratch, 0
	.set _ZN7rocprim17ROCPRIM_400000_NS6detail17trampoline_kernelINS0_14default_configENS1_27scan_by_key_config_selectorIifEEZZNS1_16scan_by_key_implILNS1_25lookback_scan_determinismE0ELb1ES3_N6thrust23THRUST_200600_302600_NS6detail15normal_iteratorINS9_10device_ptrIiEEEENSB_INSC_IjEEEESE_fNS9_4plusIvEENS9_8equal_toIvEEfEE10hipError_tPvRmT2_T3_T4_T5_mT6_T7_P12ihipStream_tbENKUlT_T0_E_clISt17integral_constantIbLb1EES10_IbLb0EEEEDaSW_SX_EUlSW_E_NS1_11comp_targetILNS1_3genE10ELNS1_11target_archE1201ELNS1_3gpuE5ELNS1_3repE0EEENS1_30default_config_static_selectorELNS0_4arch9wavefront6targetE0EEEvT1_.has_dyn_sized_stack, 0
	.set _ZN7rocprim17ROCPRIM_400000_NS6detail17trampoline_kernelINS0_14default_configENS1_27scan_by_key_config_selectorIifEEZZNS1_16scan_by_key_implILNS1_25lookback_scan_determinismE0ELb1ES3_N6thrust23THRUST_200600_302600_NS6detail15normal_iteratorINS9_10device_ptrIiEEEENSB_INSC_IjEEEESE_fNS9_4plusIvEENS9_8equal_toIvEEfEE10hipError_tPvRmT2_T3_T4_T5_mT6_T7_P12ihipStream_tbENKUlT_T0_E_clISt17integral_constantIbLb1EES10_IbLb0EEEEDaSW_SX_EUlSW_E_NS1_11comp_targetILNS1_3genE10ELNS1_11target_archE1201ELNS1_3gpuE5ELNS1_3repE0EEENS1_30default_config_static_selectorELNS0_4arch9wavefront6targetE0EEEvT1_.has_recursion, 0
	.set _ZN7rocprim17ROCPRIM_400000_NS6detail17trampoline_kernelINS0_14default_configENS1_27scan_by_key_config_selectorIifEEZZNS1_16scan_by_key_implILNS1_25lookback_scan_determinismE0ELb1ES3_N6thrust23THRUST_200600_302600_NS6detail15normal_iteratorINS9_10device_ptrIiEEEENSB_INSC_IjEEEESE_fNS9_4plusIvEENS9_8equal_toIvEEfEE10hipError_tPvRmT2_T3_T4_T5_mT6_T7_P12ihipStream_tbENKUlT_T0_E_clISt17integral_constantIbLb1EES10_IbLb0EEEEDaSW_SX_EUlSW_E_NS1_11comp_targetILNS1_3genE10ELNS1_11target_archE1201ELNS1_3gpuE5ELNS1_3repE0EEENS1_30default_config_static_selectorELNS0_4arch9wavefront6targetE0EEEvT1_.has_indirect_call, 0
	.section	.AMDGPU.csdata,"",@progbits
; Kernel info:
; codeLenInByte = 0
; TotalNumSgprs: 0
; NumVgprs: 0
; ScratchSize: 0
; MemoryBound: 0
; FloatMode: 240
; IeeeMode: 1
; LDSByteSize: 0 bytes/workgroup (compile time only)
; SGPRBlocks: 0
; VGPRBlocks: 0
; NumSGPRsForWavesPerEU: 1
; NumVGPRsForWavesPerEU: 1
; NamedBarCnt: 0
; Occupancy: 16
; WaveLimiterHint : 0
; COMPUTE_PGM_RSRC2:SCRATCH_EN: 0
; COMPUTE_PGM_RSRC2:USER_SGPR: 2
; COMPUTE_PGM_RSRC2:TRAP_HANDLER: 0
; COMPUTE_PGM_RSRC2:TGID_X_EN: 1
; COMPUTE_PGM_RSRC2:TGID_Y_EN: 0
; COMPUTE_PGM_RSRC2:TGID_Z_EN: 0
; COMPUTE_PGM_RSRC2:TIDIG_COMP_CNT: 0
	.section	.text._ZN7rocprim17ROCPRIM_400000_NS6detail17trampoline_kernelINS0_14default_configENS1_27scan_by_key_config_selectorIifEEZZNS1_16scan_by_key_implILNS1_25lookback_scan_determinismE0ELb1ES3_N6thrust23THRUST_200600_302600_NS6detail15normal_iteratorINS9_10device_ptrIiEEEENSB_INSC_IjEEEESE_fNS9_4plusIvEENS9_8equal_toIvEEfEE10hipError_tPvRmT2_T3_T4_T5_mT6_T7_P12ihipStream_tbENKUlT_T0_E_clISt17integral_constantIbLb1EES10_IbLb0EEEEDaSW_SX_EUlSW_E_NS1_11comp_targetILNS1_3genE5ELNS1_11target_archE942ELNS1_3gpuE9ELNS1_3repE0EEENS1_30default_config_static_selectorELNS0_4arch9wavefront6targetE0EEEvT1_,"axG",@progbits,_ZN7rocprim17ROCPRIM_400000_NS6detail17trampoline_kernelINS0_14default_configENS1_27scan_by_key_config_selectorIifEEZZNS1_16scan_by_key_implILNS1_25lookback_scan_determinismE0ELb1ES3_N6thrust23THRUST_200600_302600_NS6detail15normal_iteratorINS9_10device_ptrIiEEEENSB_INSC_IjEEEESE_fNS9_4plusIvEENS9_8equal_toIvEEfEE10hipError_tPvRmT2_T3_T4_T5_mT6_T7_P12ihipStream_tbENKUlT_T0_E_clISt17integral_constantIbLb1EES10_IbLb0EEEEDaSW_SX_EUlSW_E_NS1_11comp_targetILNS1_3genE5ELNS1_11target_archE942ELNS1_3gpuE9ELNS1_3repE0EEENS1_30default_config_static_selectorELNS0_4arch9wavefront6targetE0EEEvT1_,comdat
	.protected	_ZN7rocprim17ROCPRIM_400000_NS6detail17trampoline_kernelINS0_14default_configENS1_27scan_by_key_config_selectorIifEEZZNS1_16scan_by_key_implILNS1_25lookback_scan_determinismE0ELb1ES3_N6thrust23THRUST_200600_302600_NS6detail15normal_iteratorINS9_10device_ptrIiEEEENSB_INSC_IjEEEESE_fNS9_4plusIvEENS9_8equal_toIvEEfEE10hipError_tPvRmT2_T3_T4_T5_mT6_T7_P12ihipStream_tbENKUlT_T0_E_clISt17integral_constantIbLb1EES10_IbLb0EEEEDaSW_SX_EUlSW_E_NS1_11comp_targetILNS1_3genE5ELNS1_11target_archE942ELNS1_3gpuE9ELNS1_3repE0EEENS1_30default_config_static_selectorELNS0_4arch9wavefront6targetE0EEEvT1_ ; -- Begin function _ZN7rocprim17ROCPRIM_400000_NS6detail17trampoline_kernelINS0_14default_configENS1_27scan_by_key_config_selectorIifEEZZNS1_16scan_by_key_implILNS1_25lookback_scan_determinismE0ELb1ES3_N6thrust23THRUST_200600_302600_NS6detail15normal_iteratorINS9_10device_ptrIiEEEENSB_INSC_IjEEEESE_fNS9_4plusIvEENS9_8equal_toIvEEfEE10hipError_tPvRmT2_T3_T4_T5_mT6_T7_P12ihipStream_tbENKUlT_T0_E_clISt17integral_constantIbLb1EES10_IbLb0EEEEDaSW_SX_EUlSW_E_NS1_11comp_targetILNS1_3genE5ELNS1_11target_archE942ELNS1_3gpuE9ELNS1_3repE0EEENS1_30default_config_static_selectorELNS0_4arch9wavefront6targetE0EEEvT1_
	.globl	_ZN7rocprim17ROCPRIM_400000_NS6detail17trampoline_kernelINS0_14default_configENS1_27scan_by_key_config_selectorIifEEZZNS1_16scan_by_key_implILNS1_25lookback_scan_determinismE0ELb1ES3_N6thrust23THRUST_200600_302600_NS6detail15normal_iteratorINS9_10device_ptrIiEEEENSB_INSC_IjEEEESE_fNS9_4plusIvEENS9_8equal_toIvEEfEE10hipError_tPvRmT2_T3_T4_T5_mT6_T7_P12ihipStream_tbENKUlT_T0_E_clISt17integral_constantIbLb1EES10_IbLb0EEEEDaSW_SX_EUlSW_E_NS1_11comp_targetILNS1_3genE5ELNS1_11target_archE942ELNS1_3gpuE9ELNS1_3repE0EEENS1_30default_config_static_selectorELNS0_4arch9wavefront6targetE0EEEvT1_
	.p2align	8
	.type	_ZN7rocprim17ROCPRIM_400000_NS6detail17trampoline_kernelINS0_14default_configENS1_27scan_by_key_config_selectorIifEEZZNS1_16scan_by_key_implILNS1_25lookback_scan_determinismE0ELb1ES3_N6thrust23THRUST_200600_302600_NS6detail15normal_iteratorINS9_10device_ptrIiEEEENSB_INSC_IjEEEESE_fNS9_4plusIvEENS9_8equal_toIvEEfEE10hipError_tPvRmT2_T3_T4_T5_mT6_T7_P12ihipStream_tbENKUlT_T0_E_clISt17integral_constantIbLb1EES10_IbLb0EEEEDaSW_SX_EUlSW_E_NS1_11comp_targetILNS1_3genE5ELNS1_11target_archE942ELNS1_3gpuE9ELNS1_3repE0EEENS1_30default_config_static_selectorELNS0_4arch9wavefront6targetE0EEEvT1_,@function
_ZN7rocprim17ROCPRIM_400000_NS6detail17trampoline_kernelINS0_14default_configENS1_27scan_by_key_config_selectorIifEEZZNS1_16scan_by_key_implILNS1_25lookback_scan_determinismE0ELb1ES3_N6thrust23THRUST_200600_302600_NS6detail15normal_iteratorINS9_10device_ptrIiEEEENSB_INSC_IjEEEESE_fNS9_4plusIvEENS9_8equal_toIvEEfEE10hipError_tPvRmT2_T3_T4_T5_mT6_T7_P12ihipStream_tbENKUlT_T0_E_clISt17integral_constantIbLb1EES10_IbLb0EEEEDaSW_SX_EUlSW_E_NS1_11comp_targetILNS1_3genE5ELNS1_11target_archE942ELNS1_3gpuE9ELNS1_3repE0EEENS1_30default_config_static_selectorELNS0_4arch9wavefront6targetE0EEEvT1_: ; @_ZN7rocprim17ROCPRIM_400000_NS6detail17trampoline_kernelINS0_14default_configENS1_27scan_by_key_config_selectorIifEEZZNS1_16scan_by_key_implILNS1_25lookback_scan_determinismE0ELb1ES3_N6thrust23THRUST_200600_302600_NS6detail15normal_iteratorINS9_10device_ptrIiEEEENSB_INSC_IjEEEESE_fNS9_4plusIvEENS9_8equal_toIvEEfEE10hipError_tPvRmT2_T3_T4_T5_mT6_T7_P12ihipStream_tbENKUlT_T0_E_clISt17integral_constantIbLb1EES10_IbLb0EEEEDaSW_SX_EUlSW_E_NS1_11comp_targetILNS1_3genE5ELNS1_11target_archE942ELNS1_3gpuE9ELNS1_3repE0EEENS1_30default_config_static_selectorELNS0_4arch9wavefront6targetE0EEEvT1_
; %bb.0:
	.section	.rodata,"a",@progbits
	.p2align	6, 0x0
	.amdhsa_kernel _ZN7rocprim17ROCPRIM_400000_NS6detail17trampoline_kernelINS0_14default_configENS1_27scan_by_key_config_selectorIifEEZZNS1_16scan_by_key_implILNS1_25lookback_scan_determinismE0ELb1ES3_N6thrust23THRUST_200600_302600_NS6detail15normal_iteratorINS9_10device_ptrIiEEEENSB_INSC_IjEEEESE_fNS9_4plusIvEENS9_8equal_toIvEEfEE10hipError_tPvRmT2_T3_T4_T5_mT6_T7_P12ihipStream_tbENKUlT_T0_E_clISt17integral_constantIbLb1EES10_IbLb0EEEEDaSW_SX_EUlSW_E_NS1_11comp_targetILNS1_3genE5ELNS1_11target_archE942ELNS1_3gpuE9ELNS1_3repE0EEENS1_30default_config_static_selectorELNS0_4arch9wavefront6targetE0EEEvT1_
		.amdhsa_group_segment_fixed_size 0
		.amdhsa_private_segment_fixed_size 0
		.amdhsa_kernarg_size 112
		.amdhsa_user_sgpr_count 2
		.amdhsa_user_sgpr_dispatch_ptr 0
		.amdhsa_user_sgpr_queue_ptr 0
		.amdhsa_user_sgpr_kernarg_segment_ptr 1
		.amdhsa_user_sgpr_dispatch_id 0
		.amdhsa_user_sgpr_kernarg_preload_length 0
		.amdhsa_user_sgpr_kernarg_preload_offset 0
		.amdhsa_user_sgpr_private_segment_size 0
		.amdhsa_wavefront_size32 1
		.amdhsa_uses_dynamic_stack 0
		.amdhsa_enable_private_segment 0
		.amdhsa_system_sgpr_workgroup_id_x 1
		.amdhsa_system_sgpr_workgroup_id_y 0
		.amdhsa_system_sgpr_workgroup_id_z 0
		.amdhsa_system_sgpr_workgroup_info 0
		.amdhsa_system_vgpr_workitem_id 0
		.amdhsa_next_free_vgpr 1
		.amdhsa_next_free_sgpr 1
		.amdhsa_named_barrier_count 0
		.amdhsa_reserve_vcc 0
		.amdhsa_float_round_mode_32 0
		.amdhsa_float_round_mode_16_64 0
		.amdhsa_float_denorm_mode_32 3
		.amdhsa_float_denorm_mode_16_64 3
		.amdhsa_fp16_overflow 0
		.amdhsa_memory_ordered 1
		.amdhsa_forward_progress 1
		.amdhsa_inst_pref_size 0
		.amdhsa_round_robin_scheduling 0
		.amdhsa_exception_fp_ieee_invalid_op 0
		.amdhsa_exception_fp_denorm_src 0
		.amdhsa_exception_fp_ieee_div_zero 0
		.amdhsa_exception_fp_ieee_overflow 0
		.amdhsa_exception_fp_ieee_underflow 0
		.amdhsa_exception_fp_ieee_inexact 0
		.amdhsa_exception_int_div_zero 0
	.end_amdhsa_kernel
	.section	.text._ZN7rocprim17ROCPRIM_400000_NS6detail17trampoline_kernelINS0_14default_configENS1_27scan_by_key_config_selectorIifEEZZNS1_16scan_by_key_implILNS1_25lookback_scan_determinismE0ELb1ES3_N6thrust23THRUST_200600_302600_NS6detail15normal_iteratorINS9_10device_ptrIiEEEENSB_INSC_IjEEEESE_fNS9_4plusIvEENS9_8equal_toIvEEfEE10hipError_tPvRmT2_T3_T4_T5_mT6_T7_P12ihipStream_tbENKUlT_T0_E_clISt17integral_constantIbLb1EES10_IbLb0EEEEDaSW_SX_EUlSW_E_NS1_11comp_targetILNS1_3genE5ELNS1_11target_archE942ELNS1_3gpuE9ELNS1_3repE0EEENS1_30default_config_static_selectorELNS0_4arch9wavefront6targetE0EEEvT1_,"axG",@progbits,_ZN7rocprim17ROCPRIM_400000_NS6detail17trampoline_kernelINS0_14default_configENS1_27scan_by_key_config_selectorIifEEZZNS1_16scan_by_key_implILNS1_25lookback_scan_determinismE0ELb1ES3_N6thrust23THRUST_200600_302600_NS6detail15normal_iteratorINS9_10device_ptrIiEEEENSB_INSC_IjEEEESE_fNS9_4plusIvEENS9_8equal_toIvEEfEE10hipError_tPvRmT2_T3_T4_T5_mT6_T7_P12ihipStream_tbENKUlT_T0_E_clISt17integral_constantIbLb1EES10_IbLb0EEEEDaSW_SX_EUlSW_E_NS1_11comp_targetILNS1_3genE5ELNS1_11target_archE942ELNS1_3gpuE9ELNS1_3repE0EEENS1_30default_config_static_selectorELNS0_4arch9wavefront6targetE0EEEvT1_,comdat
.Lfunc_end1808:
	.size	_ZN7rocprim17ROCPRIM_400000_NS6detail17trampoline_kernelINS0_14default_configENS1_27scan_by_key_config_selectorIifEEZZNS1_16scan_by_key_implILNS1_25lookback_scan_determinismE0ELb1ES3_N6thrust23THRUST_200600_302600_NS6detail15normal_iteratorINS9_10device_ptrIiEEEENSB_INSC_IjEEEESE_fNS9_4plusIvEENS9_8equal_toIvEEfEE10hipError_tPvRmT2_T3_T4_T5_mT6_T7_P12ihipStream_tbENKUlT_T0_E_clISt17integral_constantIbLb1EES10_IbLb0EEEEDaSW_SX_EUlSW_E_NS1_11comp_targetILNS1_3genE5ELNS1_11target_archE942ELNS1_3gpuE9ELNS1_3repE0EEENS1_30default_config_static_selectorELNS0_4arch9wavefront6targetE0EEEvT1_, .Lfunc_end1808-_ZN7rocprim17ROCPRIM_400000_NS6detail17trampoline_kernelINS0_14default_configENS1_27scan_by_key_config_selectorIifEEZZNS1_16scan_by_key_implILNS1_25lookback_scan_determinismE0ELb1ES3_N6thrust23THRUST_200600_302600_NS6detail15normal_iteratorINS9_10device_ptrIiEEEENSB_INSC_IjEEEESE_fNS9_4plusIvEENS9_8equal_toIvEEfEE10hipError_tPvRmT2_T3_T4_T5_mT6_T7_P12ihipStream_tbENKUlT_T0_E_clISt17integral_constantIbLb1EES10_IbLb0EEEEDaSW_SX_EUlSW_E_NS1_11comp_targetILNS1_3genE5ELNS1_11target_archE942ELNS1_3gpuE9ELNS1_3repE0EEENS1_30default_config_static_selectorELNS0_4arch9wavefront6targetE0EEEvT1_
                                        ; -- End function
	.set _ZN7rocprim17ROCPRIM_400000_NS6detail17trampoline_kernelINS0_14default_configENS1_27scan_by_key_config_selectorIifEEZZNS1_16scan_by_key_implILNS1_25lookback_scan_determinismE0ELb1ES3_N6thrust23THRUST_200600_302600_NS6detail15normal_iteratorINS9_10device_ptrIiEEEENSB_INSC_IjEEEESE_fNS9_4plusIvEENS9_8equal_toIvEEfEE10hipError_tPvRmT2_T3_T4_T5_mT6_T7_P12ihipStream_tbENKUlT_T0_E_clISt17integral_constantIbLb1EES10_IbLb0EEEEDaSW_SX_EUlSW_E_NS1_11comp_targetILNS1_3genE5ELNS1_11target_archE942ELNS1_3gpuE9ELNS1_3repE0EEENS1_30default_config_static_selectorELNS0_4arch9wavefront6targetE0EEEvT1_.num_vgpr, 0
	.set _ZN7rocprim17ROCPRIM_400000_NS6detail17trampoline_kernelINS0_14default_configENS1_27scan_by_key_config_selectorIifEEZZNS1_16scan_by_key_implILNS1_25lookback_scan_determinismE0ELb1ES3_N6thrust23THRUST_200600_302600_NS6detail15normal_iteratorINS9_10device_ptrIiEEEENSB_INSC_IjEEEESE_fNS9_4plusIvEENS9_8equal_toIvEEfEE10hipError_tPvRmT2_T3_T4_T5_mT6_T7_P12ihipStream_tbENKUlT_T0_E_clISt17integral_constantIbLb1EES10_IbLb0EEEEDaSW_SX_EUlSW_E_NS1_11comp_targetILNS1_3genE5ELNS1_11target_archE942ELNS1_3gpuE9ELNS1_3repE0EEENS1_30default_config_static_selectorELNS0_4arch9wavefront6targetE0EEEvT1_.num_agpr, 0
	.set _ZN7rocprim17ROCPRIM_400000_NS6detail17trampoline_kernelINS0_14default_configENS1_27scan_by_key_config_selectorIifEEZZNS1_16scan_by_key_implILNS1_25lookback_scan_determinismE0ELb1ES3_N6thrust23THRUST_200600_302600_NS6detail15normal_iteratorINS9_10device_ptrIiEEEENSB_INSC_IjEEEESE_fNS9_4plusIvEENS9_8equal_toIvEEfEE10hipError_tPvRmT2_T3_T4_T5_mT6_T7_P12ihipStream_tbENKUlT_T0_E_clISt17integral_constantIbLb1EES10_IbLb0EEEEDaSW_SX_EUlSW_E_NS1_11comp_targetILNS1_3genE5ELNS1_11target_archE942ELNS1_3gpuE9ELNS1_3repE0EEENS1_30default_config_static_selectorELNS0_4arch9wavefront6targetE0EEEvT1_.numbered_sgpr, 0
	.set _ZN7rocprim17ROCPRIM_400000_NS6detail17trampoline_kernelINS0_14default_configENS1_27scan_by_key_config_selectorIifEEZZNS1_16scan_by_key_implILNS1_25lookback_scan_determinismE0ELb1ES3_N6thrust23THRUST_200600_302600_NS6detail15normal_iteratorINS9_10device_ptrIiEEEENSB_INSC_IjEEEESE_fNS9_4plusIvEENS9_8equal_toIvEEfEE10hipError_tPvRmT2_T3_T4_T5_mT6_T7_P12ihipStream_tbENKUlT_T0_E_clISt17integral_constantIbLb1EES10_IbLb0EEEEDaSW_SX_EUlSW_E_NS1_11comp_targetILNS1_3genE5ELNS1_11target_archE942ELNS1_3gpuE9ELNS1_3repE0EEENS1_30default_config_static_selectorELNS0_4arch9wavefront6targetE0EEEvT1_.num_named_barrier, 0
	.set _ZN7rocprim17ROCPRIM_400000_NS6detail17trampoline_kernelINS0_14default_configENS1_27scan_by_key_config_selectorIifEEZZNS1_16scan_by_key_implILNS1_25lookback_scan_determinismE0ELb1ES3_N6thrust23THRUST_200600_302600_NS6detail15normal_iteratorINS9_10device_ptrIiEEEENSB_INSC_IjEEEESE_fNS9_4plusIvEENS9_8equal_toIvEEfEE10hipError_tPvRmT2_T3_T4_T5_mT6_T7_P12ihipStream_tbENKUlT_T0_E_clISt17integral_constantIbLb1EES10_IbLb0EEEEDaSW_SX_EUlSW_E_NS1_11comp_targetILNS1_3genE5ELNS1_11target_archE942ELNS1_3gpuE9ELNS1_3repE0EEENS1_30default_config_static_selectorELNS0_4arch9wavefront6targetE0EEEvT1_.private_seg_size, 0
	.set _ZN7rocprim17ROCPRIM_400000_NS6detail17trampoline_kernelINS0_14default_configENS1_27scan_by_key_config_selectorIifEEZZNS1_16scan_by_key_implILNS1_25lookback_scan_determinismE0ELb1ES3_N6thrust23THRUST_200600_302600_NS6detail15normal_iteratorINS9_10device_ptrIiEEEENSB_INSC_IjEEEESE_fNS9_4plusIvEENS9_8equal_toIvEEfEE10hipError_tPvRmT2_T3_T4_T5_mT6_T7_P12ihipStream_tbENKUlT_T0_E_clISt17integral_constantIbLb1EES10_IbLb0EEEEDaSW_SX_EUlSW_E_NS1_11comp_targetILNS1_3genE5ELNS1_11target_archE942ELNS1_3gpuE9ELNS1_3repE0EEENS1_30default_config_static_selectorELNS0_4arch9wavefront6targetE0EEEvT1_.uses_vcc, 0
	.set _ZN7rocprim17ROCPRIM_400000_NS6detail17trampoline_kernelINS0_14default_configENS1_27scan_by_key_config_selectorIifEEZZNS1_16scan_by_key_implILNS1_25lookback_scan_determinismE0ELb1ES3_N6thrust23THRUST_200600_302600_NS6detail15normal_iteratorINS9_10device_ptrIiEEEENSB_INSC_IjEEEESE_fNS9_4plusIvEENS9_8equal_toIvEEfEE10hipError_tPvRmT2_T3_T4_T5_mT6_T7_P12ihipStream_tbENKUlT_T0_E_clISt17integral_constantIbLb1EES10_IbLb0EEEEDaSW_SX_EUlSW_E_NS1_11comp_targetILNS1_3genE5ELNS1_11target_archE942ELNS1_3gpuE9ELNS1_3repE0EEENS1_30default_config_static_selectorELNS0_4arch9wavefront6targetE0EEEvT1_.uses_flat_scratch, 0
	.set _ZN7rocprim17ROCPRIM_400000_NS6detail17trampoline_kernelINS0_14default_configENS1_27scan_by_key_config_selectorIifEEZZNS1_16scan_by_key_implILNS1_25lookback_scan_determinismE0ELb1ES3_N6thrust23THRUST_200600_302600_NS6detail15normal_iteratorINS9_10device_ptrIiEEEENSB_INSC_IjEEEESE_fNS9_4plusIvEENS9_8equal_toIvEEfEE10hipError_tPvRmT2_T3_T4_T5_mT6_T7_P12ihipStream_tbENKUlT_T0_E_clISt17integral_constantIbLb1EES10_IbLb0EEEEDaSW_SX_EUlSW_E_NS1_11comp_targetILNS1_3genE5ELNS1_11target_archE942ELNS1_3gpuE9ELNS1_3repE0EEENS1_30default_config_static_selectorELNS0_4arch9wavefront6targetE0EEEvT1_.has_dyn_sized_stack, 0
	.set _ZN7rocprim17ROCPRIM_400000_NS6detail17trampoline_kernelINS0_14default_configENS1_27scan_by_key_config_selectorIifEEZZNS1_16scan_by_key_implILNS1_25lookback_scan_determinismE0ELb1ES3_N6thrust23THRUST_200600_302600_NS6detail15normal_iteratorINS9_10device_ptrIiEEEENSB_INSC_IjEEEESE_fNS9_4plusIvEENS9_8equal_toIvEEfEE10hipError_tPvRmT2_T3_T4_T5_mT6_T7_P12ihipStream_tbENKUlT_T0_E_clISt17integral_constantIbLb1EES10_IbLb0EEEEDaSW_SX_EUlSW_E_NS1_11comp_targetILNS1_3genE5ELNS1_11target_archE942ELNS1_3gpuE9ELNS1_3repE0EEENS1_30default_config_static_selectorELNS0_4arch9wavefront6targetE0EEEvT1_.has_recursion, 0
	.set _ZN7rocprim17ROCPRIM_400000_NS6detail17trampoline_kernelINS0_14default_configENS1_27scan_by_key_config_selectorIifEEZZNS1_16scan_by_key_implILNS1_25lookback_scan_determinismE0ELb1ES3_N6thrust23THRUST_200600_302600_NS6detail15normal_iteratorINS9_10device_ptrIiEEEENSB_INSC_IjEEEESE_fNS9_4plusIvEENS9_8equal_toIvEEfEE10hipError_tPvRmT2_T3_T4_T5_mT6_T7_P12ihipStream_tbENKUlT_T0_E_clISt17integral_constantIbLb1EES10_IbLb0EEEEDaSW_SX_EUlSW_E_NS1_11comp_targetILNS1_3genE5ELNS1_11target_archE942ELNS1_3gpuE9ELNS1_3repE0EEENS1_30default_config_static_selectorELNS0_4arch9wavefront6targetE0EEEvT1_.has_indirect_call, 0
	.section	.AMDGPU.csdata,"",@progbits
; Kernel info:
; codeLenInByte = 0
; TotalNumSgprs: 0
; NumVgprs: 0
; ScratchSize: 0
; MemoryBound: 0
; FloatMode: 240
; IeeeMode: 1
; LDSByteSize: 0 bytes/workgroup (compile time only)
; SGPRBlocks: 0
; VGPRBlocks: 0
; NumSGPRsForWavesPerEU: 1
; NumVGPRsForWavesPerEU: 1
; NamedBarCnt: 0
; Occupancy: 16
; WaveLimiterHint : 0
; COMPUTE_PGM_RSRC2:SCRATCH_EN: 0
; COMPUTE_PGM_RSRC2:USER_SGPR: 2
; COMPUTE_PGM_RSRC2:TRAP_HANDLER: 0
; COMPUTE_PGM_RSRC2:TGID_X_EN: 1
; COMPUTE_PGM_RSRC2:TGID_Y_EN: 0
; COMPUTE_PGM_RSRC2:TGID_Z_EN: 0
; COMPUTE_PGM_RSRC2:TIDIG_COMP_CNT: 0
	.section	.text._ZN7rocprim17ROCPRIM_400000_NS6detail17trampoline_kernelINS0_14default_configENS1_27scan_by_key_config_selectorIifEEZZNS1_16scan_by_key_implILNS1_25lookback_scan_determinismE0ELb1ES3_N6thrust23THRUST_200600_302600_NS6detail15normal_iteratorINS9_10device_ptrIiEEEENSB_INSC_IjEEEESE_fNS9_4plusIvEENS9_8equal_toIvEEfEE10hipError_tPvRmT2_T3_T4_T5_mT6_T7_P12ihipStream_tbENKUlT_T0_E_clISt17integral_constantIbLb1EES10_IbLb0EEEEDaSW_SX_EUlSW_E_NS1_11comp_targetILNS1_3genE4ELNS1_11target_archE910ELNS1_3gpuE8ELNS1_3repE0EEENS1_30default_config_static_selectorELNS0_4arch9wavefront6targetE0EEEvT1_,"axG",@progbits,_ZN7rocprim17ROCPRIM_400000_NS6detail17trampoline_kernelINS0_14default_configENS1_27scan_by_key_config_selectorIifEEZZNS1_16scan_by_key_implILNS1_25lookback_scan_determinismE0ELb1ES3_N6thrust23THRUST_200600_302600_NS6detail15normal_iteratorINS9_10device_ptrIiEEEENSB_INSC_IjEEEESE_fNS9_4plusIvEENS9_8equal_toIvEEfEE10hipError_tPvRmT2_T3_T4_T5_mT6_T7_P12ihipStream_tbENKUlT_T0_E_clISt17integral_constantIbLb1EES10_IbLb0EEEEDaSW_SX_EUlSW_E_NS1_11comp_targetILNS1_3genE4ELNS1_11target_archE910ELNS1_3gpuE8ELNS1_3repE0EEENS1_30default_config_static_selectorELNS0_4arch9wavefront6targetE0EEEvT1_,comdat
	.protected	_ZN7rocprim17ROCPRIM_400000_NS6detail17trampoline_kernelINS0_14default_configENS1_27scan_by_key_config_selectorIifEEZZNS1_16scan_by_key_implILNS1_25lookback_scan_determinismE0ELb1ES3_N6thrust23THRUST_200600_302600_NS6detail15normal_iteratorINS9_10device_ptrIiEEEENSB_INSC_IjEEEESE_fNS9_4plusIvEENS9_8equal_toIvEEfEE10hipError_tPvRmT2_T3_T4_T5_mT6_T7_P12ihipStream_tbENKUlT_T0_E_clISt17integral_constantIbLb1EES10_IbLb0EEEEDaSW_SX_EUlSW_E_NS1_11comp_targetILNS1_3genE4ELNS1_11target_archE910ELNS1_3gpuE8ELNS1_3repE0EEENS1_30default_config_static_selectorELNS0_4arch9wavefront6targetE0EEEvT1_ ; -- Begin function _ZN7rocprim17ROCPRIM_400000_NS6detail17trampoline_kernelINS0_14default_configENS1_27scan_by_key_config_selectorIifEEZZNS1_16scan_by_key_implILNS1_25lookback_scan_determinismE0ELb1ES3_N6thrust23THRUST_200600_302600_NS6detail15normal_iteratorINS9_10device_ptrIiEEEENSB_INSC_IjEEEESE_fNS9_4plusIvEENS9_8equal_toIvEEfEE10hipError_tPvRmT2_T3_T4_T5_mT6_T7_P12ihipStream_tbENKUlT_T0_E_clISt17integral_constantIbLb1EES10_IbLb0EEEEDaSW_SX_EUlSW_E_NS1_11comp_targetILNS1_3genE4ELNS1_11target_archE910ELNS1_3gpuE8ELNS1_3repE0EEENS1_30default_config_static_selectorELNS0_4arch9wavefront6targetE0EEEvT1_
	.globl	_ZN7rocprim17ROCPRIM_400000_NS6detail17trampoline_kernelINS0_14default_configENS1_27scan_by_key_config_selectorIifEEZZNS1_16scan_by_key_implILNS1_25lookback_scan_determinismE0ELb1ES3_N6thrust23THRUST_200600_302600_NS6detail15normal_iteratorINS9_10device_ptrIiEEEENSB_INSC_IjEEEESE_fNS9_4plusIvEENS9_8equal_toIvEEfEE10hipError_tPvRmT2_T3_T4_T5_mT6_T7_P12ihipStream_tbENKUlT_T0_E_clISt17integral_constantIbLb1EES10_IbLb0EEEEDaSW_SX_EUlSW_E_NS1_11comp_targetILNS1_3genE4ELNS1_11target_archE910ELNS1_3gpuE8ELNS1_3repE0EEENS1_30default_config_static_selectorELNS0_4arch9wavefront6targetE0EEEvT1_
	.p2align	8
	.type	_ZN7rocprim17ROCPRIM_400000_NS6detail17trampoline_kernelINS0_14default_configENS1_27scan_by_key_config_selectorIifEEZZNS1_16scan_by_key_implILNS1_25lookback_scan_determinismE0ELb1ES3_N6thrust23THRUST_200600_302600_NS6detail15normal_iteratorINS9_10device_ptrIiEEEENSB_INSC_IjEEEESE_fNS9_4plusIvEENS9_8equal_toIvEEfEE10hipError_tPvRmT2_T3_T4_T5_mT6_T7_P12ihipStream_tbENKUlT_T0_E_clISt17integral_constantIbLb1EES10_IbLb0EEEEDaSW_SX_EUlSW_E_NS1_11comp_targetILNS1_3genE4ELNS1_11target_archE910ELNS1_3gpuE8ELNS1_3repE0EEENS1_30default_config_static_selectorELNS0_4arch9wavefront6targetE0EEEvT1_,@function
_ZN7rocprim17ROCPRIM_400000_NS6detail17trampoline_kernelINS0_14default_configENS1_27scan_by_key_config_selectorIifEEZZNS1_16scan_by_key_implILNS1_25lookback_scan_determinismE0ELb1ES3_N6thrust23THRUST_200600_302600_NS6detail15normal_iteratorINS9_10device_ptrIiEEEENSB_INSC_IjEEEESE_fNS9_4plusIvEENS9_8equal_toIvEEfEE10hipError_tPvRmT2_T3_T4_T5_mT6_T7_P12ihipStream_tbENKUlT_T0_E_clISt17integral_constantIbLb1EES10_IbLb0EEEEDaSW_SX_EUlSW_E_NS1_11comp_targetILNS1_3genE4ELNS1_11target_archE910ELNS1_3gpuE8ELNS1_3repE0EEENS1_30default_config_static_selectorELNS0_4arch9wavefront6targetE0EEEvT1_: ; @_ZN7rocprim17ROCPRIM_400000_NS6detail17trampoline_kernelINS0_14default_configENS1_27scan_by_key_config_selectorIifEEZZNS1_16scan_by_key_implILNS1_25lookback_scan_determinismE0ELb1ES3_N6thrust23THRUST_200600_302600_NS6detail15normal_iteratorINS9_10device_ptrIiEEEENSB_INSC_IjEEEESE_fNS9_4plusIvEENS9_8equal_toIvEEfEE10hipError_tPvRmT2_T3_T4_T5_mT6_T7_P12ihipStream_tbENKUlT_T0_E_clISt17integral_constantIbLb1EES10_IbLb0EEEEDaSW_SX_EUlSW_E_NS1_11comp_targetILNS1_3genE4ELNS1_11target_archE910ELNS1_3gpuE8ELNS1_3repE0EEENS1_30default_config_static_selectorELNS0_4arch9wavefront6targetE0EEEvT1_
; %bb.0:
	.section	.rodata,"a",@progbits
	.p2align	6, 0x0
	.amdhsa_kernel _ZN7rocprim17ROCPRIM_400000_NS6detail17trampoline_kernelINS0_14default_configENS1_27scan_by_key_config_selectorIifEEZZNS1_16scan_by_key_implILNS1_25lookback_scan_determinismE0ELb1ES3_N6thrust23THRUST_200600_302600_NS6detail15normal_iteratorINS9_10device_ptrIiEEEENSB_INSC_IjEEEESE_fNS9_4plusIvEENS9_8equal_toIvEEfEE10hipError_tPvRmT2_T3_T4_T5_mT6_T7_P12ihipStream_tbENKUlT_T0_E_clISt17integral_constantIbLb1EES10_IbLb0EEEEDaSW_SX_EUlSW_E_NS1_11comp_targetILNS1_3genE4ELNS1_11target_archE910ELNS1_3gpuE8ELNS1_3repE0EEENS1_30default_config_static_selectorELNS0_4arch9wavefront6targetE0EEEvT1_
		.amdhsa_group_segment_fixed_size 0
		.amdhsa_private_segment_fixed_size 0
		.amdhsa_kernarg_size 112
		.amdhsa_user_sgpr_count 2
		.amdhsa_user_sgpr_dispatch_ptr 0
		.amdhsa_user_sgpr_queue_ptr 0
		.amdhsa_user_sgpr_kernarg_segment_ptr 1
		.amdhsa_user_sgpr_dispatch_id 0
		.amdhsa_user_sgpr_kernarg_preload_length 0
		.amdhsa_user_sgpr_kernarg_preload_offset 0
		.amdhsa_user_sgpr_private_segment_size 0
		.amdhsa_wavefront_size32 1
		.amdhsa_uses_dynamic_stack 0
		.amdhsa_enable_private_segment 0
		.amdhsa_system_sgpr_workgroup_id_x 1
		.amdhsa_system_sgpr_workgroup_id_y 0
		.amdhsa_system_sgpr_workgroup_id_z 0
		.amdhsa_system_sgpr_workgroup_info 0
		.amdhsa_system_vgpr_workitem_id 0
		.amdhsa_next_free_vgpr 1
		.amdhsa_next_free_sgpr 1
		.amdhsa_named_barrier_count 0
		.amdhsa_reserve_vcc 0
		.amdhsa_float_round_mode_32 0
		.amdhsa_float_round_mode_16_64 0
		.amdhsa_float_denorm_mode_32 3
		.amdhsa_float_denorm_mode_16_64 3
		.amdhsa_fp16_overflow 0
		.amdhsa_memory_ordered 1
		.amdhsa_forward_progress 1
		.amdhsa_inst_pref_size 0
		.amdhsa_round_robin_scheduling 0
		.amdhsa_exception_fp_ieee_invalid_op 0
		.amdhsa_exception_fp_denorm_src 0
		.amdhsa_exception_fp_ieee_div_zero 0
		.amdhsa_exception_fp_ieee_overflow 0
		.amdhsa_exception_fp_ieee_underflow 0
		.amdhsa_exception_fp_ieee_inexact 0
		.amdhsa_exception_int_div_zero 0
	.end_amdhsa_kernel
	.section	.text._ZN7rocprim17ROCPRIM_400000_NS6detail17trampoline_kernelINS0_14default_configENS1_27scan_by_key_config_selectorIifEEZZNS1_16scan_by_key_implILNS1_25lookback_scan_determinismE0ELb1ES3_N6thrust23THRUST_200600_302600_NS6detail15normal_iteratorINS9_10device_ptrIiEEEENSB_INSC_IjEEEESE_fNS9_4plusIvEENS9_8equal_toIvEEfEE10hipError_tPvRmT2_T3_T4_T5_mT6_T7_P12ihipStream_tbENKUlT_T0_E_clISt17integral_constantIbLb1EES10_IbLb0EEEEDaSW_SX_EUlSW_E_NS1_11comp_targetILNS1_3genE4ELNS1_11target_archE910ELNS1_3gpuE8ELNS1_3repE0EEENS1_30default_config_static_selectorELNS0_4arch9wavefront6targetE0EEEvT1_,"axG",@progbits,_ZN7rocprim17ROCPRIM_400000_NS6detail17trampoline_kernelINS0_14default_configENS1_27scan_by_key_config_selectorIifEEZZNS1_16scan_by_key_implILNS1_25lookback_scan_determinismE0ELb1ES3_N6thrust23THRUST_200600_302600_NS6detail15normal_iteratorINS9_10device_ptrIiEEEENSB_INSC_IjEEEESE_fNS9_4plusIvEENS9_8equal_toIvEEfEE10hipError_tPvRmT2_T3_T4_T5_mT6_T7_P12ihipStream_tbENKUlT_T0_E_clISt17integral_constantIbLb1EES10_IbLb0EEEEDaSW_SX_EUlSW_E_NS1_11comp_targetILNS1_3genE4ELNS1_11target_archE910ELNS1_3gpuE8ELNS1_3repE0EEENS1_30default_config_static_selectorELNS0_4arch9wavefront6targetE0EEEvT1_,comdat
.Lfunc_end1809:
	.size	_ZN7rocprim17ROCPRIM_400000_NS6detail17trampoline_kernelINS0_14default_configENS1_27scan_by_key_config_selectorIifEEZZNS1_16scan_by_key_implILNS1_25lookback_scan_determinismE0ELb1ES3_N6thrust23THRUST_200600_302600_NS6detail15normal_iteratorINS9_10device_ptrIiEEEENSB_INSC_IjEEEESE_fNS9_4plusIvEENS9_8equal_toIvEEfEE10hipError_tPvRmT2_T3_T4_T5_mT6_T7_P12ihipStream_tbENKUlT_T0_E_clISt17integral_constantIbLb1EES10_IbLb0EEEEDaSW_SX_EUlSW_E_NS1_11comp_targetILNS1_3genE4ELNS1_11target_archE910ELNS1_3gpuE8ELNS1_3repE0EEENS1_30default_config_static_selectorELNS0_4arch9wavefront6targetE0EEEvT1_, .Lfunc_end1809-_ZN7rocprim17ROCPRIM_400000_NS6detail17trampoline_kernelINS0_14default_configENS1_27scan_by_key_config_selectorIifEEZZNS1_16scan_by_key_implILNS1_25lookback_scan_determinismE0ELb1ES3_N6thrust23THRUST_200600_302600_NS6detail15normal_iteratorINS9_10device_ptrIiEEEENSB_INSC_IjEEEESE_fNS9_4plusIvEENS9_8equal_toIvEEfEE10hipError_tPvRmT2_T3_T4_T5_mT6_T7_P12ihipStream_tbENKUlT_T0_E_clISt17integral_constantIbLb1EES10_IbLb0EEEEDaSW_SX_EUlSW_E_NS1_11comp_targetILNS1_3genE4ELNS1_11target_archE910ELNS1_3gpuE8ELNS1_3repE0EEENS1_30default_config_static_selectorELNS0_4arch9wavefront6targetE0EEEvT1_
                                        ; -- End function
	.set _ZN7rocprim17ROCPRIM_400000_NS6detail17trampoline_kernelINS0_14default_configENS1_27scan_by_key_config_selectorIifEEZZNS1_16scan_by_key_implILNS1_25lookback_scan_determinismE0ELb1ES3_N6thrust23THRUST_200600_302600_NS6detail15normal_iteratorINS9_10device_ptrIiEEEENSB_INSC_IjEEEESE_fNS9_4plusIvEENS9_8equal_toIvEEfEE10hipError_tPvRmT2_T3_T4_T5_mT6_T7_P12ihipStream_tbENKUlT_T0_E_clISt17integral_constantIbLb1EES10_IbLb0EEEEDaSW_SX_EUlSW_E_NS1_11comp_targetILNS1_3genE4ELNS1_11target_archE910ELNS1_3gpuE8ELNS1_3repE0EEENS1_30default_config_static_selectorELNS0_4arch9wavefront6targetE0EEEvT1_.num_vgpr, 0
	.set _ZN7rocprim17ROCPRIM_400000_NS6detail17trampoline_kernelINS0_14default_configENS1_27scan_by_key_config_selectorIifEEZZNS1_16scan_by_key_implILNS1_25lookback_scan_determinismE0ELb1ES3_N6thrust23THRUST_200600_302600_NS6detail15normal_iteratorINS9_10device_ptrIiEEEENSB_INSC_IjEEEESE_fNS9_4plusIvEENS9_8equal_toIvEEfEE10hipError_tPvRmT2_T3_T4_T5_mT6_T7_P12ihipStream_tbENKUlT_T0_E_clISt17integral_constantIbLb1EES10_IbLb0EEEEDaSW_SX_EUlSW_E_NS1_11comp_targetILNS1_3genE4ELNS1_11target_archE910ELNS1_3gpuE8ELNS1_3repE0EEENS1_30default_config_static_selectorELNS0_4arch9wavefront6targetE0EEEvT1_.num_agpr, 0
	.set _ZN7rocprim17ROCPRIM_400000_NS6detail17trampoline_kernelINS0_14default_configENS1_27scan_by_key_config_selectorIifEEZZNS1_16scan_by_key_implILNS1_25lookback_scan_determinismE0ELb1ES3_N6thrust23THRUST_200600_302600_NS6detail15normal_iteratorINS9_10device_ptrIiEEEENSB_INSC_IjEEEESE_fNS9_4plusIvEENS9_8equal_toIvEEfEE10hipError_tPvRmT2_T3_T4_T5_mT6_T7_P12ihipStream_tbENKUlT_T0_E_clISt17integral_constantIbLb1EES10_IbLb0EEEEDaSW_SX_EUlSW_E_NS1_11comp_targetILNS1_3genE4ELNS1_11target_archE910ELNS1_3gpuE8ELNS1_3repE0EEENS1_30default_config_static_selectorELNS0_4arch9wavefront6targetE0EEEvT1_.numbered_sgpr, 0
	.set _ZN7rocprim17ROCPRIM_400000_NS6detail17trampoline_kernelINS0_14default_configENS1_27scan_by_key_config_selectorIifEEZZNS1_16scan_by_key_implILNS1_25lookback_scan_determinismE0ELb1ES3_N6thrust23THRUST_200600_302600_NS6detail15normal_iteratorINS9_10device_ptrIiEEEENSB_INSC_IjEEEESE_fNS9_4plusIvEENS9_8equal_toIvEEfEE10hipError_tPvRmT2_T3_T4_T5_mT6_T7_P12ihipStream_tbENKUlT_T0_E_clISt17integral_constantIbLb1EES10_IbLb0EEEEDaSW_SX_EUlSW_E_NS1_11comp_targetILNS1_3genE4ELNS1_11target_archE910ELNS1_3gpuE8ELNS1_3repE0EEENS1_30default_config_static_selectorELNS0_4arch9wavefront6targetE0EEEvT1_.num_named_barrier, 0
	.set _ZN7rocprim17ROCPRIM_400000_NS6detail17trampoline_kernelINS0_14default_configENS1_27scan_by_key_config_selectorIifEEZZNS1_16scan_by_key_implILNS1_25lookback_scan_determinismE0ELb1ES3_N6thrust23THRUST_200600_302600_NS6detail15normal_iteratorINS9_10device_ptrIiEEEENSB_INSC_IjEEEESE_fNS9_4plusIvEENS9_8equal_toIvEEfEE10hipError_tPvRmT2_T3_T4_T5_mT6_T7_P12ihipStream_tbENKUlT_T0_E_clISt17integral_constantIbLb1EES10_IbLb0EEEEDaSW_SX_EUlSW_E_NS1_11comp_targetILNS1_3genE4ELNS1_11target_archE910ELNS1_3gpuE8ELNS1_3repE0EEENS1_30default_config_static_selectorELNS0_4arch9wavefront6targetE0EEEvT1_.private_seg_size, 0
	.set _ZN7rocprim17ROCPRIM_400000_NS6detail17trampoline_kernelINS0_14default_configENS1_27scan_by_key_config_selectorIifEEZZNS1_16scan_by_key_implILNS1_25lookback_scan_determinismE0ELb1ES3_N6thrust23THRUST_200600_302600_NS6detail15normal_iteratorINS9_10device_ptrIiEEEENSB_INSC_IjEEEESE_fNS9_4plusIvEENS9_8equal_toIvEEfEE10hipError_tPvRmT2_T3_T4_T5_mT6_T7_P12ihipStream_tbENKUlT_T0_E_clISt17integral_constantIbLb1EES10_IbLb0EEEEDaSW_SX_EUlSW_E_NS1_11comp_targetILNS1_3genE4ELNS1_11target_archE910ELNS1_3gpuE8ELNS1_3repE0EEENS1_30default_config_static_selectorELNS0_4arch9wavefront6targetE0EEEvT1_.uses_vcc, 0
	.set _ZN7rocprim17ROCPRIM_400000_NS6detail17trampoline_kernelINS0_14default_configENS1_27scan_by_key_config_selectorIifEEZZNS1_16scan_by_key_implILNS1_25lookback_scan_determinismE0ELb1ES3_N6thrust23THRUST_200600_302600_NS6detail15normal_iteratorINS9_10device_ptrIiEEEENSB_INSC_IjEEEESE_fNS9_4plusIvEENS9_8equal_toIvEEfEE10hipError_tPvRmT2_T3_T4_T5_mT6_T7_P12ihipStream_tbENKUlT_T0_E_clISt17integral_constantIbLb1EES10_IbLb0EEEEDaSW_SX_EUlSW_E_NS1_11comp_targetILNS1_3genE4ELNS1_11target_archE910ELNS1_3gpuE8ELNS1_3repE0EEENS1_30default_config_static_selectorELNS0_4arch9wavefront6targetE0EEEvT1_.uses_flat_scratch, 0
	.set _ZN7rocprim17ROCPRIM_400000_NS6detail17trampoline_kernelINS0_14default_configENS1_27scan_by_key_config_selectorIifEEZZNS1_16scan_by_key_implILNS1_25lookback_scan_determinismE0ELb1ES3_N6thrust23THRUST_200600_302600_NS6detail15normal_iteratorINS9_10device_ptrIiEEEENSB_INSC_IjEEEESE_fNS9_4plusIvEENS9_8equal_toIvEEfEE10hipError_tPvRmT2_T3_T4_T5_mT6_T7_P12ihipStream_tbENKUlT_T0_E_clISt17integral_constantIbLb1EES10_IbLb0EEEEDaSW_SX_EUlSW_E_NS1_11comp_targetILNS1_3genE4ELNS1_11target_archE910ELNS1_3gpuE8ELNS1_3repE0EEENS1_30default_config_static_selectorELNS0_4arch9wavefront6targetE0EEEvT1_.has_dyn_sized_stack, 0
	.set _ZN7rocprim17ROCPRIM_400000_NS6detail17trampoline_kernelINS0_14default_configENS1_27scan_by_key_config_selectorIifEEZZNS1_16scan_by_key_implILNS1_25lookback_scan_determinismE0ELb1ES3_N6thrust23THRUST_200600_302600_NS6detail15normal_iteratorINS9_10device_ptrIiEEEENSB_INSC_IjEEEESE_fNS9_4plusIvEENS9_8equal_toIvEEfEE10hipError_tPvRmT2_T3_T4_T5_mT6_T7_P12ihipStream_tbENKUlT_T0_E_clISt17integral_constantIbLb1EES10_IbLb0EEEEDaSW_SX_EUlSW_E_NS1_11comp_targetILNS1_3genE4ELNS1_11target_archE910ELNS1_3gpuE8ELNS1_3repE0EEENS1_30default_config_static_selectorELNS0_4arch9wavefront6targetE0EEEvT1_.has_recursion, 0
	.set _ZN7rocprim17ROCPRIM_400000_NS6detail17trampoline_kernelINS0_14default_configENS1_27scan_by_key_config_selectorIifEEZZNS1_16scan_by_key_implILNS1_25lookback_scan_determinismE0ELb1ES3_N6thrust23THRUST_200600_302600_NS6detail15normal_iteratorINS9_10device_ptrIiEEEENSB_INSC_IjEEEESE_fNS9_4plusIvEENS9_8equal_toIvEEfEE10hipError_tPvRmT2_T3_T4_T5_mT6_T7_P12ihipStream_tbENKUlT_T0_E_clISt17integral_constantIbLb1EES10_IbLb0EEEEDaSW_SX_EUlSW_E_NS1_11comp_targetILNS1_3genE4ELNS1_11target_archE910ELNS1_3gpuE8ELNS1_3repE0EEENS1_30default_config_static_selectorELNS0_4arch9wavefront6targetE0EEEvT1_.has_indirect_call, 0
	.section	.AMDGPU.csdata,"",@progbits
; Kernel info:
; codeLenInByte = 0
; TotalNumSgprs: 0
; NumVgprs: 0
; ScratchSize: 0
; MemoryBound: 0
; FloatMode: 240
; IeeeMode: 1
; LDSByteSize: 0 bytes/workgroup (compile time only)
; SGPRBlocks: 0
; VGPRBlocks: 0
; NumSGPRsForWavesPerEU: 1
; NumVGPRsForWavesPerEU: 1
; NamedBarCnt: 0
; Occupancy: 16
; WaveLimiterHint : 0
; COMPUTE_PGM_RSRC2:SCRATCH_EN: 0
; COMPUTE_PGM_RSRC2:USER_SGPR: 2
; COMPUTE_PGM_RSRC2:TRAP_HANDLER: 0
; COMPUTE_PGM_RSRC2:TGID_X_EN: 1
; COMPUTE_PGM_RSRC2:TGID_Y_EN: 0
; COMPUTE_PGM_RSRC2:TGID_Z_EN: 0
; COMPUTE_PGM_RSRC2:TIDIG_COMP_CNT: 0
	.section	.text._ZN7rocprim17ROCPRIM_400000_NS6detail17trampoline_kernelINS0_14default_configENS1_27scan_by_key_config_selectorIifEEZZNS1_16scan_by_key_implILNS1_25lookback_scan_determinismE0ELb1ES3_N6thrust23THRUST_200600_302600_NS6detail15normal_iteratorINS9_10device_ptrIiEEEENSB_INSC_IjEEEESE_fNS9_4plusIvEENS9_8equal_toIvEEfEE10hipError_tPvRmT2_T3_T4_T5_mT6_T7_P12ihipStream_tbENKUlT_T0_E_clISt17integral_constantIbLb1EES10_IbLb0EEEEDaSW_SX_EUlSW_E_NS1_11comp_targetILNS1_3genE3ELNS1_11target_archE908ELNS1_3gpuE7ELNS1_3repE0EEENS1_30default_config_static_selectorELNS0_4arch9wavefront6targetE0EEEvT1_,"axG",@progbits,_ZN7rocprim17ROCPRIM_400000_NS6detail17trampoline_kernelINS0_14default_configENS1_27scan_by_key_config_selectorIifEEZZNS1_16scan_by_key_implILNS1_25lookback_scan_determinismE0ELb1ES3_N6thrust23THRUST_200600_302600_NS6detail15normal_iteratorINS9_10device_ptrIiEEEENSB_INSC_IjEEEESE_fNS9_4plusIvEENS9_8equal_toIvEEfEE10hipError_tPvRmT2_T3_T4_T5_mT6_T7_P12ihipStream_tbENKUlT_T0_E_clISt17integral_constantIbLb1EES10_IbLb0EEEEDaSW_SX_EUlSW_E_NS1_11comp_targetILNS1_3genE3ELNS1_11target_archE908ELNS1_3gpuE7ELNS1_3repE0EEENS1_30default_config_static_selectorELNS0_4arch9wavefront6targetE0EEEvT1_,comdat
	.protected	_ZN7rocprim17ROCPRIM_400000_NS6detail17trampoline_kernelINS0_14default_configENS1_27scan_by_key_config_selectorIifEEZZNS1_16scan_by_key_implILNS1_25lookback_scan_determinismE0ELb1ES3_N6thrust23THRUST_200600_302600_NS6detail15normal_iteratorINS9_10device_ptrIiEEEENSB_INSC_IjEEEESE_fNS9_4plusIvEENS9_8equal_toIvEEfEE10hipError_tPvRmT2_T3_T4_T5_mT6_T7_P12ihipStream_tbENKUlT_T0_E_clISt17integral_constantIbLb1EES10_IbLb0EEEEDaSW_SX_EUlSW_E_NS1_11comp_targetILNS1_3genE3ELNS1_11target_archE908ELNS1_3gpuE7ELNS1_3repE0EEENS1_30default_config_static_selectorELNS0_4arch9wavefront6targetE0EEEvT1_ ; -- Begin function _ZN7rocprim17ROCPRIM_400000_NS6detail17trampoline_kernelINS0_14default_configENS1_27scan_by_key_config_selectorIifEEZZNS1_16scan_by_key_implILNS1_25lookback_scan_determinismE0ELb1ES3_N6thrust23THRUST_200600_302600_NS6detail15normal_iteratorINS9_10device_ptrIiEEEENSB_INSC_IjEEEESE_fNS9_4plusIvEENS9_8equal_toIvEEfEE10hipError_tPvRmT2_T3_T4_T5_mT6_T7_P12ihipStream_tbENKUlT_T0_E_clISt17integral_constantIbLb1EES10_IbLb0EEEEDaSW_SX_EUlSW_E_NS1_11comp_targetILNS1_3genE3ELNS1_11target_archE908ELNS1_3gpuE7ELNS1_3repE0EEENS1_30default_config_static_selectorELNS0_4arch9wavefront6targetE0EEEvT1_
	.globl	_ZN7rocprim17ROCPRIM_400000_NS6detail17trampoline_kernelINS0_14default_configENS1_27scan_by_key_config_selectorIifEEZZNS1_16scan_by_key_implILNS1_25lookback_scan_determinismE0ELb1ES3_N6thrust23THRUST_200600_302600_NS6detail15normal_iteratorINS9_10device_ptrIiEEEENSB_INSC_IjEEEESE_fNS9_4plusIvEENS9_8equal_toIvEEfEE10hipError_tPvRmT2_T3_T4_T5_mT6_T7_P12ihipStream_tbENKUlT_T0_E_clISt17integral_constantIbLb1EES10_IbLb0EEEEDaSW_SX_EUlSW_E_NS1_11comp_targetILNS1_3genE3ELNS1_11target_archE908ELNS1_3gpuE7ELNS1_3repE0EEENS1_30default_config_static_selectorELNS0_4arch9wavefront6targetE0EEEvT1_
	.p2align	8
	.type	_ZN7rocprim17ROCPRIM_400000_NS6detail17trampoline_kernelINS0_14default_configENS1_27scan_by_key_config_selectorIifEEZZNS1_16scan_by_key_implILNS1_25lookback_scan_determinismE0ELb1ES3_N6thrust23THRUST_200600_302600_NS6detail15normal_iteratorINS9_10device_ptrIiEEEENSB_INSC_IjEEEESE_fNS9_4plusIvEENS9_8equal_toIvEEfEE10hipError_tPvRmT2_T3_T4_T5_mT6_T7_P12ihipStream_tbENKUlT_T0_E_clISt17integral_constantIbLb1EES10_IbLb0EEEEDaSW_SX_EUlSW_E_NS1_11comp_targetILNS1_3genE3ELNS1_11target_archE908ELNS1_3gpuE7ELNS1_3repE0EEENS1_30default_config_static_selectorELNS0_4arch9wavefront6targetE0EEEvT1_,@function
_ZN7rocprim17ROCPRIM_400000_NS6detail17trampoline_kernelINS0_14default_configENS1_27scan_by_key_config_selectorIifEEZZNS1_16scan_by_key_implILNS1_25lookback_scan_determinismE0ELb1ES3_N6thrust23THRUST_200600_302600_NS6detail15normal_iteratorINS9_10device_ptrIiEEEENSB_INSC_IjEEEESE_fNS9_4plusIvEENS9_8equal_toIvEEfEE10hipError_tPvRmT2_T3_T4_T5_mT6_T7_P12ihipStream_tbENKUlT_T0_E_clISt17integral_constantIbLb1EES10_IbLb0EEEEDaSW_SX_EUlSW_E_NS1_11comp_targetILNS1_3genE3ELNS1_11target_archE908ELNS1_3gpuE7ELNS1_3repE0EEENS1_30default_config_static_selectorELNS0_4arch9wavefront6targetE0EEEvT1_: ; @_ZN7rocprim17ROCPRIM_400000_NS6detail17trampoline_kernelINS0_14default_configENS1_27scan_by_key_config_selectorIifEEZZNS1_16scan_by_key_implILNS1_25lookback_scan_determinismE0ELb1ES3_N6thrust23THRUST_200600_302600_NS6detail15normal_iteratorINS9_10device_ptrIiEEEENSB_INSC_IjEEEESE_fNS9_4plusIvEENS9_8equal_toIvEEfEE10hipError_tPvRmT2_T3_T4_T5_mT6_T7_P12ihipStream_tbENKUlT_T0_E_clISt17integral_constantIbLb1EES10_IbLb0EEEEDaSW_SX_EUlSW_E_NS1_11comp_targetILNS1_3genE3ELNS1_11target_archE908ELNS1_3gpuE7ELNS1_3repE0EEENS1_30default_config_static_selectorELNS0_4arch9wavefront6targetE0EEEvT1_
; %bb.0:
	.section	.rodata,"a",@progbits
	.p2align	6, 0x0
	.amdhsa_kernel _ZN7rocprim17ROCPRIM_400000_NS6detail17trampoline_kernelINS0_14default_configENS1_27scan_by_key_config_selectorIifEEZZNS1_16scan_by_key_implILNS1_25lookback_scan_determinismE0ELb1ES3_N6thrust23THRUST_200600_302600_NS6detail15normal_iteratorINS9_10device_ptrIiEEEENSB_INSC_IjEEEESE_fNS9_4plusIvEENS9_8equal_toIvEEfEE10hipError_tPvRmT2_T3_T4_T5_mT6_T7_P12ihipStream_tbENKUlT_T0_E_clISt17integral_constantIbLb1EES10_IbLb0EEEEDaSW_SX_EUlSW_E_NS1_11comp_targetILNS1_3genE3ELNS1_11target_archE908ELNS1_3gpuE7ELNS1_3repE0EEENS1_30default_config_static_selectorELNS0_4arch9wavefront6targetE0EEEvT1_
		.amdhsa_group_segment_fixed_size 0
		.amdhsa_private_segment_fixed_size 0
		.amdhsa_kernarg_size 112
		.amdhsa_user_sgpr_count 2
		.amdhsa_user_sgpr_dispatch_ptr 0
		.amdhsa_user_sgpr_queue_ptr 0
		.amdhsa_user_sgpr_kernarg_segment_ptr 1
		.amdhsa_user_sgpr_dispatch_id 0
		.amdhsa_user_sgpr_kernarg_preload_length 0
		.amdhsa_user_sgpr_kernarg_preload_offset 0
		.amdhsa_user_sgpr_private_segment_size 0
		.amdhsa_wavefront_size32 1
		.amdhsa_uses_dynamic_stack 0
		.amdhsa_enable_private_segment 0
		.amdhsa_system_sgpr_workgroup_id_x 1
		.amdhsa_system_sgpr_workgroup_id_y 0
		.amdhsa_system_sgpr_workgroup_id_z 0
		.amdhsa_system_sgpr_workgroup_info 0
		.amdhsa_system_vgpr_workitem_id 0
		.amdhsa_next_free_vgpr 1
		.amdhsa_next_free_sgpr 1
		.amdhsa_named_barrier_count 0
		.amdhsa_reserve_vcc 0
		.amdhsa_float_round_mode_32 0
		.amdhsa_float_round_mode_16_64 0
		.amdhsa_float_denorm_mode_32 3
		.amdhsa_float_denorm_mode_16_64 3
		.amdhsa_fp16_overflow 0
		.amdhsa_memory_ordered 1
		.amdhsa_forward_progress 1
		.amdhsa_inst_pref_size 0
		.amdhsa_round_robin_scheduling 0
		.amdhsa_exception_fp_ieee_invalid_op 0
		.amdhsa_exception_fp_denorm_src 0
		.amdhsa_exception_fp_ieee_div_zero 0
		.amdhsa_exception_fp_ieee_overflow 0
		.amdhsa_exception_fp_ieee_underflow 0
		.amdhsa_exception_fp_ieee_inexact 0
		.amdhsa_exception_int_div_zero 0
	.end_amdhsa_kernel
	.section	.text._ZN7rocprim17ROCPRIM_400000_NS6detail17trampoline_kernelINS0_14default_configENS1_27scan_by_key_config_selectorIifEEZZNS1_16scan_by_key_implILNS1_25lookback_scan_determinismE0ELb1ES3_N6thrust23THRUST_200600_302600_NS6detail15normal_iteratorINS9_10device_ptrIiEEEENSB_INSC_IjEEEESE_fNS9_4plusIvEENS9_8equal_toIvEEfEE10hipError_tPvRmT2_T3_T4_T5_mT6_T7_P12ihipStream_tbENKUlT_T0_E_clISt17integral_constantIbLb1EES10_IbLb0EEEEDaSW_SX_EUlSW_E_NS1_11comp_targetILNS1_3genE3ELNS1_11target_archE908ELNS1_3gpuE7ELNS1_3repE0EEENS1_30default_config_static_selectorELNS0_4arch9wavefront6targetE0EEEvT1_,"axG",@progbits,_ZN7rocprim17ROCPRIM_400000_NS6detail17trampoline_kernelINS0_14default_configENS1_27scan_by_key_config_selectorIifEEZZNS1_16scan_by_key_implILNS1_25lookback_scan_determinismE0ELb1ES3_N6thrust23THRUST_200600_302600_NS6detail15normal_iteratorINS9_10device_ptrIiEEEENSB_INSC_IjEEEESE_fNS9_4plusIvEENS9_8equal_toIvEEfEE10hipError_tPvRmT2_T3_T4_T5_mT6_T7_P12ihipStream_tbENKUlT_T0_E_clISt17integral_constantIbLb1EES10_IbLb0EEEEDaSW_SX_EUlSW_E_NS1_11comp_targetILNS1_3genE3ELNS1_11target_archE908ELNS1_3gpuE7ELNS1_3repE0EEENS1_30default_config_static_selectorELNS0_4arch9wavefront6targetE0EEEvT1_,comdat
.Lfunc_end1810:
	.size	_ZN7rocprim17ROCPRIM_400000_NS6detail17trampoline_kernelINS0_14default_configENS1_27scan_by_key_config_selectorIifEEZZNS1_16scan_by_key_implILNS1_25lookback_scan_determinismE0ELb1ES3_N6thrust23THRUST_200600_302600_NS6detail15normal_iteratorINS9_10device_ptrIiEEEENSB_INSC_IjEEEESE_fNS9_4plusIvEENS9_8equal_toIvEEfEE10hipError_tPvRmT2_T3_T4_T5_mT6_T7_P12ihipStream_tbENKUlT_T0_E_clISt17integral_constantIbLb1EES10_IbLb0EEEEDaSW_SX_EUlSW_E_NS1_11comp_targetILNS1_3genE3ELNS1_11target_archE908ELNS1_3gpuE7ELNS1_3repE0EEENS1_30default_config_static_selectorELNS0_4arch9wavefront6targetE0EEEvT1_, .Lfunc_end1810-_ZN7rocprim17ROCPRIM_400000_NS6detail17trampoline_kernelINS0_14default_configENS1_27scan_by_key_config_selectorIifEEZZNS1_16scan_by_key_implILNS1_25lookback_scan_determinismE0ELb1ES3_N6thrust23THRUST_200600_302600_NS6detail15normal_iteratorINS9_10device_ptrIiEEEENSB_INSC_IjEEEESE_fNS9_4plusIvEENS9_8equal_toIvEEfEE10hipError_tPvRmT2_T3_T4_T5_mT6_T7_P12ihipStream_tbENKUlT_T0_E_clISt17integral_constantIbLb1EES10_IbLb0EEEEDaSW_SX_EUlSW_E_NS1_11comp_targetILNS1_3genE3ELNS1_11target_archE908ELNS1_3gpuE7ELNS1_3repE0EEENS1_30default_config_static_selectorELNS0_4arch9wavefront6targetE0EEEvT1_
                                        ; -- End function
	.set _ZN7rocprim17ROCPRIM_400000_NS6detail17trampoline_kernelINS0_14default_configENS1_27scan_by_key_config_selectorIifEEZZNS1_16scan_by_key_implILNS1_25lookback_scan_determinismE0ELb1ES3_N6thrust23THRUST_200600_302600_NS6detail15normal_iteratorINS9_10device_ptrIiEEEENSB_INSC_IjEEEESE_fNS9_4plusIvEENS9_8equal_toIvEEfEE10hipError_tPvRmT2_T3_T4_T5_mT6_T7_P12ihipStream_tbENKUlT_T0_E_clISt17integral_constantIbLb1EES10_IbLb0EEEEDaSW_SX_EUlSW_E_NS1_11comp_targetILNS1_3genE3ELNS1_11target_archE908ELNS1_3gpuE7ELNS1_3repE0EEENS1_30default_config_static_selectorELNS0_4arch9wavefront6targetE0EEEvT1_.num_vgpr, 0
	.set _ZN7rocprim17ROCPRIM_400000_NS6detail17trampoline_kernelINS0_14default_configENS1_27scan_by_key_config_selectorIifEEZZNS1_16scan_by_key_implILNS1_25lookback_scan_determinismE0ELb1ES3_N6thrust23THRUST_200600_302600_NS6detail15normal_iteratorINS9_10device_ptrIiEEEENSB_INSC_IjEEEESE_fNS9_4plusIvEENS9_8equal_toIvEEfEE10hipError_tPvRmT2_T3_T4_T5_mT6_T7_P12ihipStream_tbENKUlT_T0_E_clISt17integral_constantIbLb1EES10_IbLb0EEEEDaSW_SX_EUlSW_E_NS1_11comp_targetILNS1_3genE3ELNS1_11target_archE908ELNS1_3gpuE7ELNS1_3repE0EEENS1_30default_config_static_selectorELNS0_4arch9wavefront6targetE0EEEvT1_.num_agpr, 0
	.set _ZN7rocprim17ROCPRIM_400000_NS6detail17trampoline_kernelINS0_14default_configENS1_27scan_by_key_config_selectorIifEEZZNS1_16scan_by_key_implILNS1_25lookback_scan_determinismE0ELb1ES3_N6thrust23THRUST_200600_302600_NS6detail15normal_iteratorINS9_10device_ptrIiEEEENSB_INSC_IjEEEESE_fNS9_4plusIvEENS9_8equal_toIvEEfEE10hipError_tPvRmT2_T3_T4_T5_mT6_T7_P12ihipStream_tbENKUlT_T0_E_clISt17integral_constantIbLb1EES10_IbLb0EEEEDaSW_SX_EUlSW_E_NS1_11comp_targetILNS1_3genE3ELNS1_11target_archE908ELNS1_3gpuE7ELNS1_3repE0EEENS1_30default_config_static_selectorELNS0_4arch9wavefront6targetE0EEEvT1_.numbered_sgpr, 0
	.set _ZN7rocprim17ROCPRIM_400000_NS6detail17trampoline_kernelINS0_14default_configENS1_27scan_by_key_config_selectorIifEEZZNS1_16scan_by_key_implILNS1_25lookback_scan_determinismE0ELb1ES3_N6thrust23THRUST_200600_302600_NS6detail15normal_iteratorINS9_10device_ptrIiEEEENSB_INSC_IjEEEESE_fNS9_4plusIvEENS9_8equal_toIvEEfEE10hipError_tPvRmT2_T3_T4_T5_mT6_T7_P12ihipStream_tbENKUlT_T0_E_clISt17integral_constantIbLb1EES10_IbLb0EEEEDaSW_SX_EUlSW_E_NS1_11comp_targetILNS1_3genE3ELNS1_11target_archE908ELNS1_3gpuE7ELNS1_3repE0EEENS1_30default_config_static_selectorELNS0_4arch9wavefront6targetE0EEEvT1_.num_named_barrier, 0
	.set _ZN7rocprim17ROCPRIM_400000_NS6detail17trampoline_kernelINS0_14default_configENS1_27scan_by_key_config_selectorIifEEZZNS1_16scan_by_key_implILNS1_25lookback_scan_determinismE0ELb1ES3_N6thrust23THRUST_200600_302600_NS6detail15normal_iteratorINS9_10device_ptrIiEEEENSB_INSC_IjEEEESE_fNS9_4plusIvEENS9_8equal_toIvEEfEE10hipError_tPvRmT2_T3_T4_T5_mT6_T7_P12ihipStream_tbENKUlT_T0_E_clISt17integral_constantIbLb1EES10_IbLb0EEEEDaSW_SX_EUlSW_E_NS1_11comp_targetILNS1_3genE3ELNS1_11target_archE908ELNS1_3gpuE7ELNS1_3repE0EEENS1_30default_config_static_selectorELNS0_4arch9wavefront6targetE0EEEvT1_.private_seg_size, 0
	.set _ZN7rocprim17ROCPRIM_400000_NS6detail17trampoline_kernelINS0_14default_configENS1_27scan_by_key_config_selectorIifEEZZNS1_16scan_by_key_implILNS1_25lookback_scan_determinismE0ELb1ES3_N6thrust23THRUST_200600_302600_NS6detail15normal_iteratorINS9_10device_ptrIiEEEENSB_INSC_IjEEEESE_fNS9_4plusIvEENS9_8equal_toIvEEfEE10hipError_tPvRmT2_T3_T4_T5_mT6_T7_P12ihipStream_tbENKUlT_T0_E_clISt17integral_constantIbLb1EES10_IbLb0EEEEDaSW_SX_EUlSW_E_NS1_11comp_targetILNS1_3genE3ELNS1_11target_archE908ELNS1_3gpuE7ELNS1_3repE0EEENS1_30default_config_static_selectorELNS0_4arch9wavefront6targetE0EEEvT1_.uses_vcc, 0
	.set _ZN7rocprim17ROCPRIM_400000_NS6detail17trampoline_kernelINS0_14default_configENS1_27scan_by_key_config_selectorIifEEZZNS1_16scan_by_key_implILNS1_25lookback_scan_determinismE0ELb1ES3_N6thrust23THRUST_200600_302600_NS6detail15normal_iteratorINS9_10device_ptrIiEEEENSB_INSC_IjEEEESE_fNS9_4plusIvEENS9_8equal_toIvEEfEE10hipError_tPvRmT2_T3_T4_T5_mT6_T7_P12ihipStream_tbENKUlT_T0_E_clISt17integral_constantIbLb1EES10_IbLb0EEEEDaSW_SX_EUlSW_E_NS1_11comp_targetILNS1_3genE3ELNS1_11target_archE908ELNS1_3gpuE7ELNS1_3repE0EEENS1_30default_config_static_selectorELNS0_4arch9wavefront6targetE0EEEvT1_.uses_flat_scratch, 0
	.set _ZN7rocprim17ROCPRIM_400000_NS6detail17trampoline_kernelINS0_14default_configENS1_27scan_by_key_config_selectorIifEEZZNS1_16scan_by_key_implILNS1_25lookback_scan_determinismE0ELb1ES3_N6thrust23THRUST_200600_302600_NS6detail15normal_iteratorINS9_10device_ptrIiEEEENSB_INSC_IjEEEESE_fNS9_4plusIvEENS9_8equal_toIvEEfEE10hipError_tPvRmT2_T3_T4_T5_mT6_T7_P12ihipStream_tbENKUlT_T0_E_clISt17integral_constantIbLb1EES10_IbLb0EEEEDaSW_SX_EUlSW_E_NS1_11comp_targetILNS1_3genE3ELNS1_11target_archE908ELNS1_3gpuE7ELNS1_3repE0EEENS1_30default_config_static_selectorELNS0_4arch9wavefront6targetE0EEEvT1_.has_dyn_sized_stack, 0
	.set _ZN7rocprim17ROCPRIM_400000_NS6detail17trampoline_kernelINS0_14default_configENS1_27scan_by_key_config_selectorIifEEZZNS1_16scan_by_key_implILNS1_25lookback_scan_determinismE0ELb1ES3_N6thrust23THRUST_200600_302600_NS6detail15normal_iteratorINS9_10device_ptrIiEEEENSB_INSC_IjEEEESE_fNS9_4plusIvEENS9_8equal_toIvEEfEE10hipError_tPvRmT2_T3_T4_T5_mT6_T7_P12ihipStream_tbENKUlT_T0_E_clISt17integral_constantIbLb1EES10_IbLb0EEEEDaSW_SX_EUlSW_E_NS1_11comp_targetILNS1_3genE3ELNS1_11target_archE908ELNS1_3gpuE7ELNS1_3repE0EEENS1_30default_config_static_selectorELNS0_4arch9wavefront6targetE0EEEvT1_.has_recursion, 0
	.set _ZN7rocprim17ROCPRIM_400000_NS6detail17trampoline_kernelINS0_14default_configENS1_27scan_by_key_config_selectorIifEEZZNS1_16scan_by_key_implILNS1_25lookback_scan_determinismE0ELb1ES3_N6thrust23THRUST_200600_302600_NS6detail15normal_iteratorINS9_10device_ptrIiEEEENSB_INSC_IjEEEESE_fNS9_4plusIvEENS9_8equal_toIvEEfEE10hipError_tPvRmT2_T3_T4_T5_mT6_T7_P12ihipStream_tbENKUlT_T0_E_clISt17integral_constantIbLb1EES10_IbLb0EEEEDaSW_SX_EUlSW_E_NS1_11comp_targetILNS1_3genE3ELNS1_11target_archE908ELNS1_3gpuE7ELNS1_3repE0EEENS1_30default_config_static_selectorELNS0_4arch9wavefront6targetE0EEEvT1_.has_indirect_call, 0
	.section	.AMDGPU.csdata,"",@progbits
; Kernel info:
; codeLenInByte = 0
; TotalNumSgprs: 0
; NumVgprs: 0
; ScratchSize: 0
; MemoryBound: 0
; FloatMode: 240
; IeeeMode: 1
; LDSByteSize: 0 bytes/workgroup (compile time only)
; SGPRBlocks: 0
; VGPRBlocks: 0
; NumSGPRsForWavesPerEU: 1
; NumVGPRsForWavesPerEU: 1
; NamedBarCnt: 0
; Occupancy: 16
; WaveLimiterHint : 0
; COMPUTE_PGM_RSRC2:SCRATCH_EN: 0
; COMPUTE_PGM_RSRC2:USER_SGPR: 2
; COMPUTE_PGM_RSRC2:TRAP_HANDLER: 0
; COMPUTE_PGM_RSRC2:TGID_X_EN: 1
; COMPUTE_PGM_RSRC2:TGID_Y_EN: 0
; COMPUTE_PGM_RSRC2:TGID_Z_EN: 0
; COMPUTE_PGM_RSRC2:TIDIG_COMP_CNT: 0
	.section	.text._ZN7rocprim17ROCPRIM_400000_NS6detail17trampoline_kernelINS0_14default_configENS1_27scan_by_key_config_selectorIifEEZZNS1_16scan_by_key_implILNS1_25lookback_scan_determinismE0ELb1ES3_N6thrust23THRUST_200600_302600_NS6detail15normal_iteratorINS9_10device_ptrIiEEEENSB_INSC_IjEEEESE_fNS9_4plusIvEENS9_8equal_toIvEEfEE10hipError_tPvRmT2_T3_T4_T5_mT6_T7_P12ihipStream_tbENKUlT_T0_E_clISt17integral_constantIbLb1EES10_IbLb0EEEEDaSW_SX_EUlSW_E_NS1_11comp_targetILNS1_3genE2ELNS1_11target_archE906ELNS1_3gpuE6ELNS1_3repE0EEENS1_30default_config_static_selectorELNS0_4arch9wavefront6targetE0EEEvT1_,"axG",@progbits,_ZN7rocprim17ROCPRIM_400000_NS6detail17trampoline_kernelINS0_14default_configENS1_27scan_by_key_config_selectorIifEEZZNS1_16scan_by_key_implILNS1_25lookback_scan_determinismE0ELb1ES3_N6thrust23THRUST_200600_302600_NS6detail15normal_iteratorINS9_10device_ptrIiEEEENSB_INSC_IjEEEESE_fNS9_4plusIvEENS9_8equal_toIvEEfEE10hipError_tPvRmT2_T3_T4_T5_mT6_T7_P12ihipStream_tbENKUlT_T0_E_clISt17integral_constantIbLb1EES10_IbLb0EEEEDaSW_SX_EUlSW_E_NS1_11comp_targetILNS1_3genE2ELNS1_11target_archE906ELNS1_3gpuE6ELNS1_3repE0EEENS1_30default_config_static_selectorELNS0_4arch9wavefront6targetE0EEEvT1_,comdat
	.protected	_ZN7rocprim17ROCPRIM_400000_NS6detail17trampoline_kernelINS0_14default_configENS1_27scan_by_key_config_selectorIifEEZZNS1_16scan_by_key_implILNS1_25lookback_scan_determinismE0ELb1ES3_N6thrust23THRUST_200600_302600_NS6detail15normal_iteratorINS9_10device_ptrIiEEEENSB_INSC_IjEEEESE_fNS9_4plusIvEENS9_8equal_toIvEEfEE10hipError_tPvRmT2_T3_T4_T5_mT6_T7_P12ihipStream_tbENKUlT_T0_E_clISt17integral_constantIbLb1EES10_IbLb0EEEEDaSW_SX_EUlSW_E_NS1_11comp_targetILNS1_3genE2ELNS1_11target_archE906ELNS1_3gpuE6ELNS1_3repE0EEENS1_30default_config_static_selectorELNS0_4arch9wavefront6targetE0EEEvT1_ ; -- Begin function _ZN7rocprim17ROCPRIM_400000_NS6detail17trampoline_kernelINS0_14default_configENS1_27scan_by_key_config_selectorIifEEZZNS1_16scan_by_key_implILNS1_25lookback_scan_determinismE0ELb1ES3_N6thrust23THRUST_200600_302600_NS6detail15normal_iteratorINS9_10device_ptrIiEEEENSB_INSC_IjEEEESE_fNS9_4plusIvEENS9_8equal_toIvEEfEE10hipError_tPvRmT2_T3_T4_T5_mT6_T7_P12ihipStream_tbENKUlT_T0_E_clISt17integral_constantIbLb1EES10_IbLb0EEEEDaSW_SX_EUlSW_E_NS1_11comp_targetILNS1_3genE2ELNS1_11target_archE906ELNS1_3gpuE6ELNS1_3repE0EEENS1_30default_config_static_selectorELNS0_4arch9wavefront6targetE0EEEvT1_
	.globl	_ZN7rocprim17ROCPRIM_400000_NS6detail17trampoline_kernelINS0_14default_configENS1_27scan_by_key_config_selectorIifEEZZNS1_16scan_by_key_implILNS1_25lookback_scan_determinismE0ELb1ES3_N6thrust23THRUST_200600_302600_NS6detail15normal_iteratorINS9_10device_ptrIiEEEENSB_INSC_IjEEEESE_fNS9_4plusIvEENS9_8equal_toIvEEfEE10hipError_tPvRmT2_T3_T4_T5_mT6_T7_P12ihipStream_tbENKUlT_T0_E_clISt17integral_constantIbLb1EES10_IbLb0EEEEDaSW_SX_EUlSW_E_NS1_11comp_targetILNS1_3genE2ELNS1_11target_archE906ELNS1_3gpuE6ELNS1_3repE0EEENS1_30default_config_static_selectorELNS0_4arch9wavefront6targetE0EEEvT1_
	.p2align	8
	.type	_ZN7rocprim17ROCPRIM_400000_NS6detail17trampoline_kernelINS0_14default_configENS1_27scan_by_key_config_selectorIifEEZZNS1_16scan_by_key_implILNS1_25lookback_scan_determinismE0ELb1ES3_N6thrust23THRUST_200600_302600_NS6detail15normal_iteratorINS9_10device_ptrIiEEEENSB_INSC_IjEEEESE_fNS9_4plusIvEENS9_8equal_toIvEEfEE10hipError_tPvRmT2_T3_T4_T5_mT6_T7_P12ihipStream_tbENKUlT_T0_E_clISt17integral_constantIbLb1EES10_IbLb0EEEEDaSW_SX_EUlSW_E_NS1_11comp_targetILNS1_3genE2ELNS1_11target_archE906ELNS1_3gpuE6ELNS1_3repE0EEENS1_30default_config_static_selectorELNS0_4arch9wavefront6targetE0EEEvT1_,@function
_ZN7rocprim17ROCPRIM_400000_NS6detail17trampoline_kernelINS0_14default_configENS1_27scan_by_key_config_selectorIifEEZZNS1_16scan_by_key_implILNS1_25lookback_scan_determinismE0ELb1ES3_N6thrust23THRUST_200600_302600_NS6detail15normal_iteratorINS9_10device_ptrIiEEEENSB_INSC_IjEEEESE_fNS9_4plusIvEENS9_8equal_toIvEEfEE10hipError_tPvRmT2_T3_T4_T5_mT6_T7_P12ihipStream_tbENKUlT_T0_E_clISt17integral_constantIbLb1EES10_IbLb0EEEEDaSW_SX_EUlSW_E_NS1_11comp_targetILNS1_3genE2ELNS1_11target_archE906ELNS1_3gpuE6ELNS1_3repE0EEENS1_30default_config_static_selectorELNS0_4arch9wavefront6targetE0EEEvT1_: ; @_ZN7rocprim17ROCPRIM_400000_NS6detail17trampoline_kernelINS0_14default_configENS1_27scan_by_key_config_selectorIifEEZZNS1_16scan_by_key_implILNS1_25lookback_scan_determinismE0ELb1ES3_N6thrust23THRUST_200600_302600_NS6detail15normal_iteratorINS9_10device_ptrIiEEEENSB_INSC_IjEEEESE_fNS9_4plusIvEENS9_8equal_toIvEEfEE10hipError_tPvRmT2_T3_T4_T5_mT6_T7_P12ihipStream_tbENKUlT_T0_E_clISt17integral_constantIbLb1EES10_IbLb0EEEEDaSW_SX_EUlSW_E_NS1_11comp_targetILNS1_3genE2ELNS1_11target_archE906ELNS1_3gpuE6ELNS1_3repE0EEENS1_30default_config_static_selectorELNS0_4arch9wavefront6targetE0EEEvT1_
; %bb.0:
	.section	.rodata,"a",@progbits
	.p2align	6, 0x0
	.amdhsa_kernel _ZN7rocprim17ROCPRIM_400000_NS6detail17trampoline_kernelINS0_14default_configENS1_27scan_by_key_config_selectorIifEEZZNS1_16scan_by_key_implILNS1_25lookback_scan_determinismE0ELb1ES3_N6thrust23THRUST_200600_302600_NS6detail15normal_iteratorINS9_10device_ptrIiEEEENSB_INSC_IjEEEESE_fNS9_4plusIvEENS9_8equal_toIvEEfEE10hipError_tPvRmT2_T3_T4_T5_mT6_T7_P12ihipStream_tbENKUlT_T0_E_clISt17integral_constantIbLb1EES10_IbLb0EEEEDaSW_SX_EUlSW_E_NS1_11comp_targetILNS1_3genE2ELNS1_11target_archE906ELNS1_3gpuE6ELNS1_3repE0EEENS1_30default_config_static_selectorELNS0_4arch9wavefront6targetE0EEEvT1_
		.amdhsa_group_segment_fixed_size 0
		.amdhsa_private_segment_fixed_size 0
		.amdhsa_kernarg_size 112
		.amdhsa_user_sgpr_count 2
		.amdhsa_user_sgpr_dispatch_ptr 0
		.amdhsa_user_sgpr_queue_ptr 0
		.amdhsa_user_sgpr_kernarg_segment_ptr 1
		.amdhsa_user_sgpr_dispatch_id 0
		.amdhsa_user_sgpr_kernarg_preload_length 0
		.amdhsa_user_sgpr_kernarg_preload_offset 0
		.amdhsa_user_sgpr_private_segment_size 0
		.amdhsa_wavefront_size32 1
		.amdhsa_uses_dynamic_stack 0
		.amdhsa_enable_private_segment 0
		.amdhsa_system_sgpr_workgroup_id_x 1
		.amdhsa_system_sgpr_workgroup_id_y 0
		.amdhsa_system_sgpr_workgroup_id_z 0
		.amdhsa_system_sgpr_workgroup_info 0
		.amdhsa_system_vgpr_workitem_id 0
		.amdhsa_next_free_vgpr 1
		.amdhsa_next_free_sgpr 1
		.amdhsa_named_barrier_count 0
		.amdhsa_reserve_vcc 0
		.amdhsa_float_round_mode_32 0
		.amdhsa_float_round_mode_16_64 0
		.amdhsa_float_denorm_mode_32 3
		.amdhsa_float_denorm_mode_16_64 3
		.amdhsa_fp16_overflow 0
		.amdhsa_memory_ordered 1
		.amdhsa_forward_progress 1
		.amdhsa_inst_pref_size 0
		.amdhsa_round_robin_scheduling 0
		.amdhsa_exception_fp_ieee_invalid_op 0
		.amdhsa_exception_fp_denorm_src 0
		.amdhsa_exception_fp_ieee_div_zero 0
		.amdhsa_exception_fp_ieee_overflow 0
		.amdhsa_exception_fp_ieee_underflow 0
		.amdhsa_exception_fp_ieee_inexact 0
		.amdhsa_exception_int_div_zero 0
	.end_amdhsa_kernel
	.section	.text._ZN7rocprim17ROCPRIM_400000_NS6detail17trampoline_kernelINS0_14default_configENS1_27scan_by_key_config_selectorIifEEZZNS1_16scan_by_key_implILNS1_25lookback_scan_determinismE0ELb1ES3_N6thrust23THRUST_200600_302600_NS6detail15normal_iteratorINS9_10device_ptrIiEEEENSB_INSC_IjEEEESE_fNS9_4plusIvEENS9_8equal_toIvEEfEE10hipError_tPvRmT2_T3_T4_T5_mT6_T7_P12ihipStream_tbENKUlT_T0_E_clISt17integral_constantIbLb1EES10_IbLb0EEEEDaSW_SX_EUlSW_E_NS1_11comp_targetILNS1_3genE2ELNS1_11target_archE906ELNS1_3gpuE6ELNS1_3repE0EEENS1_30default_config_static_selectorELNS0_4arch9wavefront6targetE0EEEvT1_,"axG",@progbits,_ZN7rocprim17ROCPRIM_400000_NS6detail17trampoline_kernelINS0_14default_configENS1_27scan_by_key_config_selectorIifEEZZNS1_16scan_by_key_implILNS1_25lookback_scan_determinismE0ELb1ES3_N6thrust23THRUST_200600_302600_NS6detail15normal_iteratorINS9_10device_ptrIiEEEENSB_INSC_IjEEEESE_fNS9_4plusIvEENS9_8equal_toIvEEfEE10hipError_tPvRmT2_T3_T4_T5_mT6_T7_P12ihipStream_tbENKUlT_T0_E_clISt17integral_constantIbLb1EES10_IbLb0EEEEDaSW_SX_EUlSW_E_NS1_11comp_targetILNS1_3genE2ELNS1_11target_archE906ELNS1_3gpuE6ELNS1_3repE0EEENS1_30default_config_static_selectorELNS0_4arch9wavefront6targetE0EEEvT1_,comdat
.Lfunc_end1811:
	.size	_ZN7rocprim17ROCPRIM_400000_NS6detail17trampoline_kernelINS0_14default_configENS1_27scan_by_key_config_selectorIifEEZZNS1_16scan_by_key_implILNS1_25lookback_scan_determinismE0ELb1ES3_N6thrust23THRUST_200600_302600_NS6detail15normal_iteratorINS9_10device_ptrIiEEEENSB_INSC_IjEEEESE_fNS9_4plusIvEENS9_8equal_toIvEEfEE10hipError_tPvRmT2_T3_T4_T5_mT6_T7_P12ihipStream_tbENKUlT_T0_E_clISt17integral_constantIbLb1EES10_IbLb0EEEEDaSW_SX_EUlSW_E_NS1_11comp_targetILNS1_3genE2ELNS1_11target_archE906ELNS1_3gpuE6ELNS1_3repE0EEENS1_30default_config_static_selectorELNS0_4arch9wavefront6targetE0EEEvT1_, .Lfunc_end1811-_ZN7rocprim17ROCPRIM_400000_NS6detail17trampoline_kernelINS0_14default_configENS1_27scan_by_key_config_selectorIifEEZZNS1_16scan_by_key_implILNS1_25lookback_scan_determinismE0ELb1ES3_N6thrust23THRUST_200600_302600_NS6detail15normal_iteratorINS9_10device_ptrIiEEEENSB_INSC_IjEEEESE_fNS9_4plusIvEENS9_8equal_toIvEEfEE10hipError_tPvRmT2_T3_T4_T5_mT6_T7_P12ihipStream_tbENKUlT_T0_E_clISt17integral_constantIbLb1EES10_IbLb0EEEEDaSW_SX_EUlSW_E_NS1_11comp_targetILNS1_3genE2ELNS1_11target_archE906ELNS1_3gpuE6ELNS1_3repE0EEENS1_30default_config_static_selectorELNS0_4arch9wavefront6targetE0EEEvT1_
                                        ; -- End function
	.set _ZN7rocprim17ROCPRIM_400000_NS6detail17trampoline_kernelINS0_14default_configENS1_27scan_by_key_config_selectorIifEEZZNS1_16scan_by_key_implILNS1_25lookback_scan_determinismE0ELb1ES3_N6thrust23THRUST_200600_302600_NS6detail15normal_iteratorINS9_10device_ptrIiEEEENSB_INSC_IjEEEESE_fNS9_4plusIvEENS9_8equal_toIvEEfEE10hipError_tPvRmT2_T3_T4_T5_mT6_T7_P12ihipStream_tbENKUlT_T0_E_clISt17integral_constantIbLb1EES10_IbLb0EEEEDaSW_SX_EUlSW_E_NS1_11comp_targetILNS1_3genE2ELNS1_11target_archE906ELNS1_3gpuE6ELNS1_3repE0EEENS1_30default_config_static_selectorELNS0_4arch9wavefront6targetE0EEEvT1_.num_vgpr, 0
	.set _ZN7rocprim17ROCPRIM_400000_NS6detail17trampoline_kernelINS0_14default_configENS1_27scan_by_key_config_selectorIifEEZZNS1_16scan_by_key_implILNS1_25lookback_scan_determinismE0ELb1ES3_N6thrust23THRUST_200600_302600_NS6detail15normal_iteratorINS9_10device_ptrIiEEEENSB_INSC_IjEEEESE_fNS9_4plusIvEENS9_8equal_toIvEEfEE10hipError_tPvRmT2_T3_T4_T5_mT6_T7_P12ihipStream_tbENKUlT_T0_E_clISt17integral_constantIbLb1EES10_IbLb0EEEEDaSW_SX_EUlSW_E_NS1_11comp_targetILNS1_3genE2ELNS1_11target_archE906ELNS1_3gpuE6ELNS1_3repE0EEENS1_30default_config_static_selectorELNS0_4arch9wavefront6targetE0EEEvT1_.num_agpr, 0
	.set _ZN7rocprim17ROCPRIM_400000_NS6detail17trampoline_kernelINS0_14default_configENS1_27scan_by_key_config_selectorIifEEZZNS1_16scan_by_key_implILNS1_25lookback_scan_determinismE0ELb1ES3_N6thrust23THRUST_200600_302600_NS6detail15normal_iteratorINS9_10device_ptrIiEEEENSB_INSC_IjEEEESE_fNS9_4plusIvEENS9_8equal_toIvEEfEE10hipError_tPvRmT2_T3_T4_T5_mT6_T7_P12ihipStream_tbENKUlT_T0_E_clISt17integral_constantIbLb1EES10_IbLb0EEEEDaSW_SX_EUlSW_E_NS1_11comp_targetILNS1_3genE2ELNS1_11target_archE906ELNS1_3gpuE6ELNS1_3repE0EEENS1_30default_config_static_selectorELNS0_4arch9wavefront6targetE0EEEvT1_.numbered_sgpr, 0
	.set _ZN7rocprim17ROCPRIM_400000_NS6detail17trampoline_kernelINS0_14default_configENS1_27scan_by_key_config_selectorIifEEZZNS1_16scan_by_key_implILNS1_25lookback_scan_determinismE0ELb1ES3_N6thrust23THRUST_200600_302600_NS6detail15normal_iteratorINS9_10device_ptrIiEEEENSB_INSC_IjEEEESE_fNS9_4plusIvEENS9_8equal_toIvEEfEE10hipError_tPvRmT2_T3_T4_T5_mT6_T7_P12ihipStream_tbENKUlT_T0_E_clISt17integral_constantIbLb1EES10_IbLb0EEEEDaSW_SX_EUlSW_E_NS1_11comp_targetILNS1_3genE2ELNS1_11target_archE906ELNS1_3gpuE6ELNS1_3repE0EEENS1_30default_config_static_selectorELNS0_4arch9wavefront6targetE0EEEvT1_.num_named_barrier, 0
	.set _ZN7rocprim17ROCPRIM_400000_NS6detail17trampoline_kernelINS0_14default_configENS1_27scan_by_key_config_selectorIifEEZZNS1_16scan_by_key_implILNS1_25lookback_scan_determinismE0ELb1ES3_N6thrust23THRUST_200600_302600_NS6detail15normal_iteratorINS9_10device_ptrIiEEEENSB_INSC_IjEEEESE_fNS9_4plusIvEENS9_8equal_toIvEEfEE10hipError_tPvRmT2_T3_T4_T5_mT6_T7_P12ihipStream_tbENKUlT_T0_E_clISt17integral_constantIbLb1EES10_IbLb0EEEEDaSW_SX_EUlSW_E_NS1_11comp_targetILNS1_3genE2ELNS1_11target_archE906ELNS1_3gpuE6ELNS1_3repE0EEENS1_30default_config_static_selectorELNS0_4arch9wavefront6targetE0EEEvT1_.private_seg_size, 0
	.set _ZN7rocprim17ROCPRIM_400000_NS6detail17trampoline_kernelINS0_14default_configENS1_27scan_by_key_config_selectorIifEEZZNS1_16scan_by_key_implILNS1_25lookback_scan_determinismE0ELb1ES3_N6thrust23THRUST_200600_302600_NS6detail15normal_iteratorINS9_10device_ptrIiEEEENSB_INSC_IjEEEESE_fNS9_4plusIvEENS9_8equal_toIvEEfEE10hipError_tPvRmT2_T3_T4_T5_mT6_T7_P12ihipStream_tbENKUlT_T0_E_clISt17integral_constantIbLb1EES10_IbLb0EEEEDaSW_SX_EUlSW_E_NS1_11comp_targetILNS1_3genE2ELNS1_11target_archE906ELNS1_3gpuE6ELNS1_3repE0EEENS1_30default_config_static_selectorELNS0_4arch9wavefront6targetE0EEEvT1_.uses_vcc, 0
	.set _ZN7rocprim17ROCPRIM_400000_NS6detail17trampoline_kernelINS0_14default_configENS1_27scan_by_key_config_selectorIifEEZZNS1_16scan_by_key_implILNS1_25lookback_scan_determinismE0ELb1ES3_N6thrust23THRUST_200600_302600_NS6detail15normal_iteratorINS9_10device_ptrIiEEEENSB_INSC_IjEEEESE_fNS9_4plusIvEENS9_8equal_toIvEEfEE10hipError_tPvRmT2_T3_T4_T5_mT6_T7_P12ihipStream_tbENKUlT_T0_E_clISt17integral_constantIbLb1EES10_IbLb0EEEEDaSW_SX_EUlSW_E_NS1_11comp_targetILNS1_3genE2ELNS1_11target_archE906ELNS1_3gpuE6ELNS1_3repE0EEENS1_30default_config_static_selectorELNS0_4arch9wavefront6targetE0EEEvT1_.uses_flat_scratch, 0
	.set _ZN7rocprim17ROCPRIM_400000_NS6detail17trampoline_kernelINS0_14default_configENS1_27scan_by_key_config_selectorIifEEZZNS1_16scan_by_key_implILNS1_25lookback_scan_determinismE0ELb1ES3_N6thrust23THRUST_200600_302600_NS6detail15normal_iteratorINS9_10device_ptrIiEEEENSB_INSC_IjEEEESE_fNS9_4plusIvEENS9_8equal_toIvEEfEE10hipError_tPvRmT2_T3_T4_T5_mT6_T7_P12ihipStream_tbENKUlT_T0_E_clISt17integral_constantIbLb1EES10_IbLb0EEEEDaSW_SX_EUlSW_E_NS1_11comp_targetILNS1_3genE2ELNS1_11target_archE906ELNS1_3gpuE6ELNS1_3repE0EEENS1_30default_config_static_selectorELNS0_4arch9wavefront6targetE0EEEvT1_.has_dyn_sized_stack, 0
	.set _ZN7rocprim17ROCPRIM_400000_NS6detail17trampoline_kernelINS0_14default_configENS1_27scan_by_key_config_selectorIifEEZZNS1_16scan_by_key_implILNS1_25lookback_scan_determinismE0ELb1ES3_N6thrust23THRUST_200600_302600_NS6detail15normal_iteratorINS9_10device_ptrIiEEEENSB_INSC_IjEEEESE_fNS9_4plusIvEENS9_8equal_toIvEEfEE10hipError_tPvRmT2_T3_T4_T5_mT6_T7_P12ihipStream_tbENKUlT_T0_E_clISt17integral_constantIbLb1EES10_IbLb0EEEEDaSW_SX_EUlSW_E_NS1_11comp_targetILNS1_3genE2ELNS1_11target_archE906ELNS1_3gpuE6ELNS1_3repE0EEENS1_30default_config_static_selectorELNS0_4arch9wavefront6targetE0EEEvT1_.has_recursion, 0
	.set _ZN7rocprim17ROCPRIM_400000_NS6detail17trampoline_kernelINS0_14default_configENS1_27scan_by_key_config_selectorIifEEZZNS1_16scan_by_key_implILNS1_25lookback_scan_determinismE0ELb1ES3_N6thrust23THRUST_200600_302600_NS6detail15normal_iteratorINS9_10device_ptrIiEEEENSB_INSC_IjEEEESE_fNS9_4plusIvEENS9_8equal_toIvEEfEE10hipError_tPvRmT2_T3_T4_T5_mT6_T7_P12ihipStream_tbENKUlT_T0_E_clISt17integral_constantIbLb1EES10_IbLb0EEEEDaSW_SX_EUlSW_E_NS1_11comp_targetILNS1_3genE2ELNS1_11target_archE906ELNS1_3gpuE6ELNS1_3repE0EEENS1_30default_config_static_selectorELNS0_4arch9wavefront6targetE0EEEvT1_.has_indirect_call, 0
	.section	.AMDGPU.csdata,"",@progbits
; Kernel info:
; codeLenInByte = 0
; TotalNumSgprs: 0
; NumVgprs: 0
; ScratchSize: 0
; MemoryBound: 0
; FloatMode: 240
; IeeeMode: 1
; LDSByteSize: 0 bytes/workgroup (compile time only)
; SGPRBlocks: 0
; VGPRBlocks: 0
; NumSGPRsForWavesPerEU: 1
; NumVGPRsForWavesPerEU: 1
; NamedBarCnt: 0
; Occupancy: 16
; WaveLimiterHint : 0
; COMPUTE_PGM_RSRC2:SCRATCH_EN: 0
; COMPUTE_PGM_RSRC2:USER_SGPR: 2
; COMPUTE_PGM_RSRC2:TRAP_HANDLER: 0
; COMPUTE_PGM_RSRC2:TGID_X_EN: 1
; COMPUTE_PGM_RSRC2:TGID_Y_EN: 0
; COMPUTE_PGM_RSRC2:TGID_Z_EN: 0
; COMPUTE_PGM_RSRC2:TIDIG_COMP_CNT: 0
	.section	.text._ZN7rocprim17ROCPRIM_400000_NS6detail17trampoline_kernelINS0_14default_configENS1_27scan_by_key_config_selectorIifEEZZNS1_16scan_by_key_implILNS1_25lookback_scan_determinismE0ELb1ES3_N6thrust23THRUST_200600_302600_NS6detail15normal_iteratorINS9_10device_ptrIiEEEENSB_INSC_IjEEEESE_fNS9_4plusIvEENS9_8equal_toIvEEfEE10hipError_tPvRmT2_T3_T4_T5_mT6_T7_P12ihipStream_tbENKUlT_T0_E_clISt17integral_constantIbLb1EES10_IbLb0EEEEDaSW_SX_EUlSW_E_NS1_11comp_targetILNS1_3genE10ELNS1_11target_archE1200ELNS1_3gpuE4ELNS1_3repE0EEENS1_30default_config_static_selectorELNS0_4arch9wavefront6targetE0EEEvT1_,"axG",@progbits,_ZN7rocprim17ROCPRIM_400000_NS6detail17trampoline_kernelINS0_14default_configENS1_27scan_by_key_config_selectorIifEEZZNS1_16scan_by_key_implILNS1_25lookback_scan_determinismE0ELb1ES3_N6thrust23THRUST_200600_302600_NS6detail15normal_iteratorINS9_10device_ptrIiEEEENSB_INSC_IjEEEESE_fNS9_4plusIvEENS9_8equal_toIvEEfEE10hipError_tPvRmT2_T3_T4_T5_mT6_T7_P12ihipStream_tbENKUlT_T0_E_clISt17integral_constantIbLb1EES10_IbLb0EEEEDaSW_SX_EUlSW_E_NS1_11comp_targetILNS1_3genE10ELNS1_11target_archE1200ELNS1_3gpuE4ELNS1_3repE0EEENS1_30default_config_static_selectorELNS0_4arch9wavefront6targetE0EEEvT1_,comdat
	.protected	_ZN7rocprim17ROCPRIM_400000_NS6detail17trampoline_kernelINS0_14default_configENS1_27scan_by_key_config_selectorIifEEZZNS1_16scan_by_key_implILNS1_25lookback_scan_determinismE0ELb1ES3_N6thrust23THRUST_200600_302600_NS6detail15normal_iteratorINS9_10device_ptrIiEEEENSB_INSC_IjEEEESE_fNS9_4plusIvEENS9_8equal_toIvEEfEE10hipError_tPvRmT2_T3_T4_T5_mT6_T7_P12ihipStream_tbENKUlT_T0_E_clISt17integral_constantIbLb1EES10_IbLb0EEEEDaSW_SX_EUlSW_E_NS1_11comp_targetILNS1_3genE10ELNS1_11target_archE1200ELNS1_3gpuE4ELNS1_3repE0EEENS1_30default_config_static_selectorELNS0_4arch9wavefront6targetE0EEEvT1_ ; -- Begin function _ZN7rocprim17ROCPRIM_400000_NS6detail17trampoline_kernelINS0_14default_configENS1_27scan_by_key_config_selectorIifEEZZNS1_16scan_by_key_implILNS1_25lookback_scan_determinismE0ELb1ES3_N6thrust23THRUST_200600_302600_NS6detail15normal_iteratorINS9_10device_ptrIiEEEENSB_INSC_IjEEEESE_fNS9_4plusIvEENS9_8equal_toIvEEfEE10hipError_tPvRmT2_T3_T4_T5_mT6_T7_P12ihipStream_tbENKUlT_T0_E_clISt17integral_constantIbLb1EES10_IbLb0EEEEDaSW_SX_EUlSW_E_NS1_11comp_targetILNS1_3genE10ELNS1_11target_archE1200ELNS1_3gpuE4ELNS1_3repE0EEENS1_30default_config_static_selectorELNS0_4arch9wavefront6targetE0EEEvT1_
	.globl	_ZN7rocprim17ROCPRIM_400000_NS6detail17trampoline_kernelINS0_14default_configENS1_27scan_by_key_config_selectorIifEEZZNS1_16scan_by_key_implILNS1_25lookback_scan_determinismE0ELb1ES3_N6thrust23THRUST_200600_302600_NS6detail15normal_iteratorINS9_10device_ptrIiEEEENSB_INSC_IjEEEESE_fNS9_4plusIvEENS9_8equal_toIvEEfEE10hipError_tPvRmT2_T3_T4_T5_mT6_T7_P12ihipStream_tbENKUlT_T0_E_clISt17integral_constantIbLb1EES10_IbLb0EEEEDaSW_SX_EUlSW_E_NS1_11comp_targetILNS1_3genE10ELNS1_11target_archE1200ELNS1_3gpuE4ELNS1_3repE0EEENS1_30default_config_static_selectorELNS0_4arch9wavefront6targetE0EEEvT1_
	.p2align	8
	.type	_ZN7rocprim17ROCPRIM_400000_NS6detail17trampoline_kernelINS0_14default_configENS1_27scan_by_key_config_selectorIifEEZZNS1_16scan_by_key_implILNS1_25lookback_scan_determinismE0ELb1ES3_N6thrust23THRUST_200600_302600_NS6detail15normal_iteratorINS9_10device_ptrIiEEEENSB_INSC_IjEEEESE_fNS9_4plusIvEENS9_8equal_toIvEEfEE10hipError_tPvRmT2_T3_T4_T5_mT6_T7_P12ihipStream_tbENKUlT_T0_E_clISt17integral_constantIbLb1EES10_IbLb0EEEEDaSW_SX_EUlSW_E_NS1_11comp_targetILNS1_3genE10ELNS1_11target_archE1200ELNS1_3gpuE4ELNS1_3repE0EEENS1_30default_config_static_selectorELNS0_4arch9wavefront6targetE0EEEvT1_,@function
_ZN7rocprim17ROCPRIM_400000_NS6detail17trampoline_kernelINS0_14default_configENS1_27scan_by_key_config_selectorIifEEZZNS1_16scan_by_key_implILNS1_25lookback_scan_determinismE0ELb1ES3_N6thrust23THRUST_200600_302600_NS6detail15normal_iteratorINS9_10device_ptrIiEEEENSB_INSC_IjEEEESE_fNS9_4plusIvEENS9_8equal_toIvEEfEE10hipError_tPvRmT2_T3_T4_T5_mT6_T7_P12ihipStream_tbENKUlT_T0_E_clISt17integral_constantIbLb1EES10_IbLb0EEEEDaSW_SX_EUlSW_E_NS1_11comp_targetILNS1_3genE10ELNS1_11target_archE1200ELNS1_3gpuE4ELNS1_3repE0EEENS1_30default_config_static_selectorELNS0_4arch9wavefront6targetE0EEEvT1_: ; @_ZN7rocprim17ROCPRIM_400000_NS6detail17trampoline_kernelINS0_14default_configENS1_27scan_by_key_config_selectorIifEEZZNS1_16scan_by_key_implILNS1_25lookback_scan_determinismE0ELb1ES3_N6thrust23THRUST_200600_302600_NS6detail15normal_iteratorINS9_10device_ptrIiEEEENSB_INSC_IjEEEESE_fNS9_4plusIvEENS9_8equal_toIvEEfEE10hipError_tPvRmT2_T3_T4_T5_mT6_T7_P12ihipStream_tbENKUlT_T0_E_clISt17integral_constantIbLb1EES10_IbLb0EEEEDaSW_SX_EUlSW_E_NS1_11comp_targetILNS1_3genE10ELNS1_11target_archE1200ELNS1_3gpuE4ELNS1_3repE0EEENS1_30default_config_static_selectorELNS0_4arch9wavefront6targetE0EEEvT1_
; %bb.0:
	.section	.rodata,"a",@progbits
	.p2align	6, 0x0
	.amdhsa_kernel _ZN7rocprim17ROCPRIM_400000_NS6detail17trampoline_kernelINS0_14default_configENS1_27scan_by_key_config_selectorIifEEZZNS1_16scan_by_key_implILNS1_25lookback_scan_determinismE0ELb1ES3_N6thrust23THRUST_200600_302600_NS6detail15normal_iteratorINS9_10device_ptrIiEEEENSB_INSC_IjEEEESE_fNS9_4plusIvEENS9_8equal_toIvEEfEE10hipError_tPvRmT2_T3_T4_T5_mT6_T7_P12ihipStream_tbENKUlT_T0_E_clISt17integral_constantIbLb1EES10_IbLb0EEEEDaSW_SX_EUlSW_E_NS1_11comp_targetILNS1_3genE10ELNS1_11target_archE1200ELNS1_3gpuE4ELNS1_3repE0EEENS1_30default_config_static_selectorELNS0_4arch9wavefront6targetE0EEEvT1_
		.amdhsa_group_segment_fixed_size 0
		.amdhsa_private_segment_fixed_size 0
		.amdhsa_kernarg_size 112
		.amdhsa_user_sgpr_count 2
		.amdhsa_user_sgpr_dispatch_ptr 0
		.amdhsa_user_sgpr_queue_ptr 0
		.amdhsa_user_sgpr_kernarg_segment_ptr 1
		.amdhsa_user_sgpr_dispatch_id 0
		.amdhsa_user_sgpr_kernarg_preload_length 0
		.amdhsa_user_sgpr_kernarg_preload_offset 0
		.amdhsa_user_sgpr_private_segment_size 0
		.amdhsa_wavefront_size32 1
		.amdhsa_uses_dynamic_stack 0
		.amdhsa_enable_private_segment 0
		.amdhsa_system_sgpr_workgroup_id_x 1
		.amdhsa_system_sgpr_workgroup_id_y 0
		.amdhsa_system_sgpr_workgroup_id_z 0
		.amdhsa_system_sgpr_workgroup_info 0
		.amdhsa_system_vgpr_workitem_id 0
		.amdhsa_next_free_vgpr 1
		.amdhsa_next_free_sgpr 1
		.amdhsa_named_barrier_count 0
		.amdhsa_reserve_vcc 0
		.amdhsa_float_round_mode_32 0
		.amdhsa_float_round_mode_16_64 0
		.amdhsa_float_denorm_mode_32 3
		.amdhsa_float_denorm_mode_16_64 3
		.amdhsa_fp16_overflow 0
		.amdhsa_memory_ordered 1
		.amdhsa_forward_progress 1
		.amdhsa_inst_pref_size 0
		.amdhsa_round_robin_scheduling 0
		.amdhsa_exception_fp_ieee_invalid_op 0
		.amdhsa_exception_fp_denorm_src 0
		.amdhsa_exception_fp_ieee_div_zero 0
		.amdhsa_exception_fp_ieee_overflow 0
		.amdhsa_exception_fp_ieee_underflow 0
		.amdhsa_exception_fp_ieee_inexact 0
		.amdhsa_exception_int_div_zero 0
	.end_amdhsa_kernel
	.section	.text._ZN7rocprim17ROCPRIM_400000_NS6detail17trampoline_kernelINS0_14default_configENS1_27scan_by_key_config_selectorIifEEZZNS1_16scan_by_key_implILNS1_25lookback_scan_determinismE0ELb1ES3_N6thrust23THRUST_200600_302600_NS6detail15normal_iteratorINS9_10device_ptrIiEEEENSB_INSC_IjEEEESE_fNS9_4plusIvEENS9_8equal_toIvEEfEE10hipError_tPvRmT2_T3_T4_T5_mT6_T7_P12ihipStream_tbENKUlT_T0_E_clISt17integral_constantIbLb1EES10_IbLb0EEEEDaSW_SX_EUlSW_E_NS1_11comp_targetILNS1_3genE10ELNS1_11target_archE1200ELNS1_3gpuE4ELNS1_3repE0EEENS1_30default_config_static_selectorELNS0_4arch9wavefront6targetE0EEEvT1_,"axG",@progbits,_ZN7rocprim17ROCPRIM_400000_NS6detail17trampoline_kernelINS0_14default_configENS1_27scan_by_key_config_selectorIifEEZZNS1_16scan_by_key_implILNS1_25lookback_scan_determinismE0ELb1ES3_N6thrust23THRUST_200600_302600_NS6detail15normal_iteratorINS9_10device_ptrIiEEEENSB_INSC_IjEEEESE_fNS9_4plusIvEENS9_8equal_toIvEEfEE10hipError_tPvRmT2_T3_T4_T5_mT6_T7_P12ihipStream_tbENKUlT_T0_E_clISt17integral_constantIbLb1EES10_IbLb0EEEEDaSW_SX_EUlSW_E_NS1_11comp_targetILNS1_3genE10ELNS1_11target_archE1200ELNS1_3gpuE4ELNS1_3repE0EEENS1_30default_config_static_selectorELNS0_4arch9wavefront6targetE0EEEvT1_,comdat
.Lfunc_end1812:
	.size	_ZN7rocprim17ROCPRIM_400000_NS6detail17trampoline_kernelINS0_14default_configENS1_27scan_by_key_config_selectorIifEEZZNS1_16scan_by_key_implILNS1_25lookback_scan_determinismE0ELb1ES3_N6thrust23THRUST_200600_302600_NS6detail15normal_iteratorINS9_10device_ptrIiEEEENSB_INSC_IjEEEESE_fNS9_4plusIvEENS9_8equal_toIvEEfEE10hipError_tPvRmT2_T3_T4_T5_mT6_T7_P12ihipStream_tbENKUlT_T0_E_clISt17integral_constantIbLb1EES10_IbLb0EEEEDaSW_SX_EUlSW_E_NS1_11comp_targetILNS1_3genE10ELNS1_11target_archE1200ELNS1_3gpuE4ELNS1_3repE0EEENS1_30default_config_static_selectorELNS0_4arch9wavefront6targetE0EEEvT1_, .Lfunc_end1812-_ZN7rocprim17ROCPRIM_400000_NS6detail17trampoline_kernelINS0_14default_configENS1_27scan_by_key_config_selectorIifEEZZNS1_16scan_by_key_implILNS1_25lookback_scan_determinismE0ELb1ES3_N6thrust23THRUST_200600_302600_NS6detail15normal_iteratorINS9_10device_ptrIiEEEENSB_INSC_IjEEEESE_fNS9_4plusIvEENS9_8equal_toIvEEfEE10hipError_tPvRmT2_T3_T4_T5_mT6_T7_P12ihipStream_tbENKUlT_T0_E_clISt17integral_constantIbLb1EES10_IbLb0EEEEDaSW_SX_EUlSW_E_NS1_11comp_targetILNS1_3genE10ELNS1_11target_archE1200ELNS1_3gpuE4ELNS1_3repE0EEENS1_30default_config_static_selectorELNS0_4arch9wavefront6targetE0EEEvT1_
                                        ; -- End function
	.set _ZN7rocprim17ROCPRIM_400000_NS6detail17trampoline_kernelINS0_14default_configENS1_27scan_by_key_config_selectorIifEEZZNS1_16scan_by_key_implILNS1_25lookback_scan_determinismE0ELb1ES3_N6thrust23THRUST_200600_302600_NS6detail15normal_iteratorINS9_10device_ptrIiEEEENSB_INSC_IjEEEESE_fNS9_4plusIvEENS9_8equal_toIvEEfEE10hipError_tPvRmT2_T3_T4_T5_mT6_T7_P12ihipStream_tbENKUlT_T0_E_clISt17integral_constantIbLb1EES10_IbLb0EEEEDaSW_SX_EUlSW_E_NS1_11comp_targetILNS1_3genE10ELNS1_11target_archE1200ELNS1_3gpuE4ELNS1_3repE0EEENS1_30default_config_static_selectorELNS0_4arch9wavefront6targetE0EEEvT1_.num_vgpr, 0
	.set _ZN7rocprim17ROCPRIM_400000_NS6detail17trampoline_kernelINS0_14default_configENS1_27scan_by_key_config_selectorIifEEZZNS1_16scan_by_key_implILNS1_25lookback_scan_determinismE0ELb1ES3_N6thrust23THRUST_200600_302600_NS6detail15normal_iteratorINS9_10device_ptrIiEEEENSB_INSC_IjEEEESE_fNS9_4plusIvEENS9_8equal_toIvEEfEE10hipError_tPvRmT2_T3_T4_T5_mT6_T7_P12ihipStream_tbENKUlT_T0_E_clISt17integral_constantIbLb1EES10_IbLb0EEEEDaSW_SX_EUlSW_E_NS1_11comp_targetILNS1_3genE10ELNS1_11target_archE1200ELNS1_3gpuE4ELNS1_3repE0EEENS1_30default_config_static_selectorELNS0_4arch9wavefront6targetE0EEEvT1_.num_agpr, 0
	.set _ZN7rocprim17ROCPRIM_400000_NS6detail17trampoline_kernelINS0_14default_configENS1_27scan_by_key_config_selectorIifEEZZNS1_16scan_by_key_implILNS1_25lookback_scan_determinismE0ELb1ES3_N6thrust23THRUST_200600_302600_NS6detail15normal_iteratorINS9_10device_ptrIiEEEENSB_INSC_IjEEEESE_fNS9_4plusIvEENS9_8equal_toIvEEfEE10hipError_tPvRmT2_T3_T4_T5_mT6_T7_P12ihipStream_tbENKUlT_T0_E_clISt17integral_constantIbLb1EES10_IbLb0EEEEDaSW_SX_EUlSW_E_NS1_11comp_targetILNS1_3genE10ELNS1_11target_archE1200ELNS1_3gpuE4ELNS1_3repE0EEENS1_30default_config_static_selectorELNS0_4arch9wavefront6targetE0EEEvT1_.numbered_sgpr, 0
	.set _ZN7rocprim17ROCPRIM_400000_NS6detail17trampoline_kernelINS0_14default_configENS1_27scan_by_key_config_selectorIifEEZZNS1_16scan_by_key_implILNS1_25lookback_scan_determinismE0ELb1ES3_N6thrust23THRUST_200600_302600_NS6detail15normal_iteratorINS9_10device_ptrIiEEEENSB_INSC_IjEEEESE_fNS9_4plusIvEENS9_8equal_toIvEEfEE10hipError_tPvRmT2_T3_T4_T5_mT6_T7_P12ihipStream_tbENKUlT_T0_E_clISt17integral_constantIbLb1EES10_IbLb0EEEEDaSW_SX_EUlSW_E_NS1_11comp_targetILNS1_3genE10ELNS1_11target_archE1200ELNS1_3gpuE4ELNS1_3repE0EEENS1_30default_config_static_selectorELNS0_4arch9wavefront6targetE0EEEvT1_.num_named_barrier, 0
	.set _ZN7rocprim17ROCPRIM_400000_NS6detail17trampoline_kernelINS0_14default_configENS1_27scan_by_key_config_selectorIifEEZZNS1_16scan_by_key_implILNS1_25lookback_scan_determinismE0ELb1ES3_N6thrust23THRUST_200600_302600_NS6detail15normal_iteratorINS9_10device_ptrIiEEEENSB_INSC_IjEEEESE_fNS9_4plusIvEENS9_8equal_toIvEEfEE10hipError_tPvRmT2_T3_T4_T5_mT6_T7_P12ihipStream_tbENKUlT_T0_E_clISt17integral_constantIbLb1EES10_IbLb0EEEEDaSW_SX_EUlSW_E_NS1_11comp_targetILNS1_3genE10ELNS1_11target_archE1200ELNS1_3gpuE4ELNS1_3repE0EEENS1_30default_config_static_selectorELNS0_4arch9wavefront6targetE0EEEvT1_.private_seg_size, 0
	.set _ZN7rocprim17ROCPRIM_400000_NS6detail17trampoline_kernelINS0_14default_configENS1_27scan_by_key_config_selectorIifEEZZNS1_16scan_by_key_implILNS1_25lookback_scan_determinismE0ELb1ES3_N6thrust23THRUST_200600_302600_NS6detail15normal_iteratorINS9_10device_ptrIiEEEENSB_INSC_IjEEEESE_fNS9_4plusIvEENS9_8equal_toIvEEfEE10hipError_tPvRmT2_T3_T4_T5_mT6_T7_P12ihipStream_tbENKUlT_T0_E_clISt17integral_constantIbLb1EES10_IbLb0EEEEDaSW_SX_EUlSW_E_NS1_11comp_targetILNS1_3genE10ELNS1_11target_archE1200ELNS1_3gpuE4ELNS1_3repE0EEENS1_30default_config_static_selectorELNS0_4arch9wavefront6targetE0EEEvT1_.uses_vcc, 0
	.set _ZN7rocprim17ROCPRIM_400000_NS6detail17trampoline_kernelINS0_14default_configENS1_27scan_by_key_config_selectorIifEEZZNS1_16scan_by_key_implILNS1_25lookback_scan_determinismE0ELb1ES3_N6thrust23THRUST_200600_302600_NS6detail15normal_iteratorINS9_10device_ptrIiEEEENSB_INSC_IjEEEESE_fNS9_4plusIvEENS9_8equal_toIvEEfEE10hipError_tPvRmT2_T3_T4_T5_mT6_T7_P12ihipStream_tbENKUlT_T0_E_clISt17integral_constantIbLb1EES10_IbLb0EEEEDaSW_SX_EUlSW_E_NS1_11comp_targetILNS1_3genE10ELNS1_11target_archE1200ELNS1_3gpuE4ELNS1_3repE0EEENS1_30default_config_static_selectorELNS0_4arch9wavefront6targetE0EEEvT1_.uses_flat_scratch, 0
	.set _ZN7rocprim17ROCPRIM_400000_NS6detail17trampoline_kernelINS0_14default_configENS1_27scan_by_key_config_selectorIifEEZZNS1_16scan_by_key_implILNS1_25lookback_scan_determinismE0ELb1ES3_N6thrust23THRUST_200600_302600_NS6detail15normal_iteratorINS9_10device_ptrIiEEEENSB_INSC_IjEEEESE_fNS9_4plusIvEENS9_8equal_toIvEEfEE10hipError_tPvRmT2_T3_T4_T5_mT6_T7_P12ihipStream_tbENKUlT_T0_E_clISt17integral_constantIbLb1EES10_IbLb0EEEEDaSW_SX_EUlSW_E_NS1_11comp_targetILNS1_3genE10ELNS1_11target_archE1200ELNS1_3gpuE4ELNS1_3repE0EEENS1_30default_config_static_selectorELNS0_4arch9wavefront6targetE0EEEvT1_.has_dyn_sized_stack, 0
	.set _ZN7rocprim17ROCPRIM_400000_NS6detail17trampoline_kernelINS0_14default_configENS1_27scan_by_key_config_selectorIifEEZZNS1_16scan_by_key_implILNS1_25lookback_scan_determinismE0ELb1ES3_N6thrust23THRUST_200600_302600_NS6detail15normal_iteratorINS9_10device_ptrIiEEEENSB_INSC_IjEEEESE_fNS9_4plusIvEENS9_8equal_toIvEEfEE10hipError_tPvRmT2_T3_T4_T5_mT6_T7_P12ihipStream_tbENKUlT_T0_E_clISt17integral_constantIbLb1EES10_IbLb0EEEEDaSW_SX_EUlSW_E_NS1_11comp_targetILNS1_3genE10ELNS1_11target_archE1200ELNS1_3gpuE4ELNS1_3repE0EEENS1_30default_config_static_selectorELNS0_4arch9wavefront6targetE0EEEvT1_.has_recursion, 0
	.set _ZN7rocprim17ROCPRIM_400000_NS6detail17trampoline_kernelINS0_14default_configENS1_27scan_by_key_config_selectorIifEEZZNS1_16scan_by_key_implILNS1_25lookback_scan_determinismE0ELb1ES3_N6thrust23THRUST_200600_302600_NS6detail15normal_iteratorINS9_10device_ptrIiEEEENSB_INSC_IjEEEESE_fNS9_4plusIvEENS9_8equal_toIvEEfEE10hipError_tPvRmT2_T3_T4_T5_mT6_T7_P12ihipStream_tbENKUlT_T0_E_clISt17integral_constantIbLb1EES10_IbLb0EEEEDaSW_SX_EUlSW_E_NS1_11comp_targetILNS1_3genE10ELNS1_11target_archE1200ELNS1_3gpuE4ELNS1_3repE0EEENS1_30default_config_static_selectorELNS0_4arch9wavefront6targetE0EEEvT1_.has_indirect_call, 0
	.section	.AMDGPU.csdata,"",@progbits
; Kernel info:
; codeLenInByte = 0
; TotalNumSgprs: 0
; NumVgprs: 0
; ScratchSize: 0
; MemoryBound: 0
; FloatMode: 240
; IeeeMode: 1
; LDSByteSize: 0 bytes/workgroup (compile time only)
; SGPRBlocks: 0
; VGPRBlocks: 0
; NumSGPRsForWavesPerEU: 1
; NumVGPRsForWavesPerEU: 1
; NamedBarCnt: 0
; Occupancy: 16
; WaveLimiterHint : 0
; COMPUTE_PGM_RSRC2:SCRATCH_EN: 0
; COMPUTE_PGM_RSRC2:USER_SGPR: 2
; COMPUTE_PGM_RSRC2:TRAP_HANDLER: 0
; COMPUTE_PGM_RSRC2:TGID_X_EN: 1
; COMPUTE_PGM_RSRC2:TGID_Y_EN: 0
; COMPUTE_PGM_RSRC2:TGID_Z_EN: 0
; COMPUTE_PGM_RSRC2:TIDIG_COMP_CNT: 0
	.section	.text._ZN7rocprim17ROCPRIM_400000_NS6detail17trampoline_kernelINS0_14default_configENS1_27scan_by_key_config_selectorIifEEZZNS1_16scan_by_key_implILNS1_25lookback_scan_determinismE0ELb1ES3_N6thrust23THRUST_200600_302600_NS6detail15normal_iteratorINS9_10device_ptrIiEEEENSB_INSC_IjEEEESE_fNS9_4plusIvEENS9_8equal_toIvEEfEE10hipError_tPvRmT2_T3_T4_T5_mT6_T7_P12ihipStream_tbENKUlT_T0_E_clISt17integral_constantIbLb1EES10_IbLb0EEEEDaSW_SX_EUlSW_E_NS1_11comp_targetILNS1_3genE9ELNS1_11target_archE1100ELNS1_3gpuE3ELNS1_3repE0EEENS1_30default_config_static_selectorELNS0_4arch9wavefront6targetE0EEEvT1_,"axG",@progbits,_ZN7rocprim17ROCPRIM_400000_NS6detail17trampoline_kernelINS0_14default_configENS1_27scan_by_key_config_selectorIifEEZZNS1_16scan_by_key_implILNS1_25lookback_scan_determinismE0ELb1ES3_N6thrust23THRUST_200600_302600_NS6detail15normal_iteratorINS9_10device_ptrIiEEEENSB_INSC_IjEEEESE_fNS9_4plusIvEENS9_8equal_toIvEEfEE10hipError_tPvRmT2_T3_T4_T5_mT6_T7_P12ihipStream_tbENKUlT_T0_E_clISt17integral_constantIbLb1EES10_IbLb0EEEEDaSW_SX_EUlSW_E_NS1_11comp_targetILNS1_3genE9ELNS1_11target_archE1100ELNS1_3gpuE3ELNS1_3repE0EEENS1_30default_config_static_selectorELNS0_4arch9wavefront6targetE0EEEvT1_,comdat
	.protected	_ZN7rocprim17ROCPRIM_400000_NS6detail17trampoline_kernelINS0_14default_configENS1_27scan_by_key_config_selectorIifEEZZNS1_16scan_by_key_implILNS1_25lookback_scan_determinismE0ELb1ES3_N6thrust23THRUST_200600_302600_NS6detail15normal_iteratorINS9_10device_ptrIiEEEENSB_INSC_IjEEEESE_fNS9_4plusIvEENS9_8equal_toIvEEfEE10hipError_tPvRmT2_T3_T4_T5_mT6_T7_P12ihipStream_tbENKUlT_T0_E_clISt17integral_constantIbLb1EES10_IbLb0EEEEDaSW_SX_EUlSW_E_NS1_11comp_targetILNS1_3genE9ELNS1_11target_archE1100ELNS1_3gpuE3ELNS1_3repE0EEENS1_30default_config_static_selectorELNS0_4arch9wavefront6targetE0EEEvT1_ ; -- Begin function _ZN7rocprim17ROCPRIM_400000_NS6detail17trampoline_kernelINS0_14default_configENS1_27scan_by_key_config_selectorIifEEZZNS1_16scan_by_key_implILNS1_25lookback_scan_determinismE0ELb1ES3_N6thrust23THRUST_200600_302600_NS6detail15normal_iteratorINS9_10device_ptrIiEEEENSB_INSC_IjEEEESE_fNS9_4plusIvEENS9_8equal_toIvEEfEE10hipError_tPvRmT2_T3_T4_T5_mT6_T7_P12ihipStream_tbENKUlT_T0_E_clISt17integral_constantIbLb1EES10_IbLb0EEEEDaSW_SX_EUlSW_E_NS1_11comp_targetILNS1_3genE9ELNS1_11target_archE1100ELNS1_3gpuE3ELNS1_3repE0EEENS1_30default_config_static_selectorELNS0_4arch9wavefront6targetE0EEEvT1_
	.globl	_ZN7rocprim17ROCPRIM_400000_NS6detail17trampoline_kernelINS0_14default_configENS1_27scan_by_key_config_selectorIifEEZZNS1_16scan_by_key_implILNS1_25lookback_scan_determinismE0ELb1ES3_N6thrust23THRUST_200600_302600_NS6detail15normal_iteratorINS9_10device_ptrIiEEEENSB_INSC_IjEEEESE_fNS9_4plusIvEENS9_8equal_toIvEEfEE10hipError_tPvRmT2_T3_T4_T5_mT6_T7_P12ihipStream_tbENKUlT_T0_E_clISt17integral_constantIbLb1EES10_IbLb0EEEEDaSW_SX_EUlSW_E_NS1_11comp_targetILNS1_3genE9ELNS1_11target_archE1100ELNS1_3gpuE3ELNS1_3repE0EEENS1_30default_config_static_selectorELNS0_4arch9wavefront6targetE0EEEvT1_
	.p2align	8
	.type	_ZN7rocprim17ROCPRIM_400000_NS6detail17trampoline_kernelINS0_14default_configENS1_27scan_by_key_config_selectorIifEEZZNS1_16scan_by_key_implILNS1_25lookback_scan_determinismE0ELb1ES3_N6thrust23THRUST_200600_302600_NS6detail15normal_iteratorINS9_10device_ptrIiEEEENSB_INSC_IjEEEESE_fNS9_4plusIvEENS9_8equal_toIvEEfEE10hipError_tPvRmT2_T3_T4_T5_mT6_T7_P12ihipStream_tbENKUlT_T0_E_clISt17integral_constantIbLb1EES10_IbLb0EEEEDaSW_SX_EUlSW_E_NS1_11comp_targetILNS1_3genE9ELNS1_11target_archE1100ELNS1_3gpuE3ELNS1_3repE0EEENS1_30default_config_static_selectorELNS0_4arch9wavefront6targetE0EEEvT1_,@function
_ZN7rocprim17ROCPRIM_400000_NS6detail17trampoline_kernelINS0_14default_configENS1_27scan_by_key_config_selectorIifEEZZNS1_16scan_by_key_implILNS1_25lookback_scan_determinismE0ELb1ES3_N6thrust23THRUST_200600_302600_NS6detail15normal_iteratorINS9_10device_ptrIiEEEENSB_INSC_IjEEEESE_fNS9_4plusIvEENS9_8equal_toIvEEfEE10hipError_tPvRmT2_T3_T4_T5_mT6_T7_P12ihipStream_tbENKUlT_T0_E_clISt17integral_constantIbLb1EES10_IbLb0EEEEDaSW_SX_EUlSW_E_NS1_11comp_targetILNS1_3genE9ELNS1_11target_archE1100ELNS1_3gpuE3ELNS1_3repE0EEENS1_30default_config_static_selectorELNS0_4arch9wavefront6targetE0EEEvT1_: ; @_ZN7rocprim17ROCPRIM_400000_NS6detail17trampoline_kernelINS0_14default_configENS1_27scan_by_key_config_selectorIifEEZZNS1_16scan_by_key_implILNS1_25lookback_scan_determinismE0ELb1ES3_N6thrust23THRUST_200600_302600_NS6detail15normal_iteratorINS9_10device_ptrIiEEEENSB_INSC_IjEEEESE_fNS9_4plusIvEENS9_8equal_toIvEEfEE10hipError_tPvRmT2_T3_T4_T5_mT6_T7_P12ihipStream_tbENKUlT_T0_E_clISt17integral_constantIbLb1EES10_IbLb0EEEEDaSW_SX_EUlSW_E_NS1_11comp_targetILNS1_3genE9ELNS1_11target_archE1100ELNS1_3gpuE3ELNS1_3repE0EEENS1_30default_config_static_selectorELNS0_4arch9wavefront6targetE0EEEvT1_
; %bb.0:
	.section	.rodata,"a",@progbits
	.p2align	6, 0x0
	.amdhsa_kernel _ZN7rocprim17ROCPRIM_400000_NS6detail17trampoline_kernelINS0_14default_configENS1_27scan_by_key_config_selectorIifEEZZNS1_16scan_by_key_implILNS1_25lookback_scan_determinismE0ELb1ES3_N6thrust23THRUST_200600_302600_NS6detail15normal_iteratorINS9_10device_ptrIiEEEENSB_INSC_IjEEEESE_fNS9_4plusIvEENS9_8equal_toIvEEfEE10hipError_tPvRmT2_T3_T4_T5_mT6_T7_P12ihipStream_tbENKUlT_T0_E_clISt17integral_constantIbLb1EES10_IbLb0EEEEDaSW_SX_EUlSW_E_NS1_11comp_targetILNS1_3genE9ELNS1_11target_archE1100ELNS1_3gpuE3ELNS1_3repE0EEENS1_30default_config_static_selectorELNS0_4arch9wavefront6targetE0EEEvT1_
		.amdhsa_group_segment_fixed_size 0
		.amdhsa_private_segment_fixed_size 0
		.amdhsa_kernarg_size 112
		.amdhsa_user_sgpr_count 2
		.amdhsa_user_sgpr_dispatch_ptr 0
		.amdhsa_user_sgpr_queue_ptr 0
		.amdhsa_user_sgpr_kernarg_segment_ptr 1
		.amdhsa_user_sgpr_dispatch_id 0
		.amdhsa_user_sgpr_kernarg_preload_length 0
		.amdhsa_user_sgpr_kernarg_preload_offset 0
		.amdhsa_user_sgpr_private_segment_size 0
		.amdhsa_wavefront_size32 1
		.amdhsa_uses_dynamic_stack 0
		.amdhsa_enable_private_segment 0
		.amdhsa_system_sgpr_workgroup_id_x 1
		.amdhsa_system_sgpr_workgroup_id_y 0
		.amdhsa_system_sgpr_workgroup_id_z 0
		.amdhsa_system_sgpr_workgroup_info 0
		.amdhsa_system_vgpr_workitem_id 0
		.amdhsa_next_free_vgpr 1
		.amdhsa_next_free_sgpr 1
		.amdhsa_named_barrier_count 0
		.amdhsa_reserve_vcc 0
		.amdhsa_float_round_mode_32 0
		.amdhsa_float_round_mode_16_64 0
		.amdhsa_float_denorm_mode_32 3
		.amdhsa_float_denorm_mode_16_64 3
		.amdhsa_fp16_overflow 0
		.amdhsa_memory_ordered 1
		.amdhsa_forward_progress 1
		.amdhsa_inst_pref_size 0
		.amdhsa_round_robin_scheduling 0
		.amdhsa_exception_fp_ieee_invalid_op 0
		.amdhsa_exception_fp_denorm_src 0
		.amdhsa_exception_fp_ieee_div_zero 0
		.amdhsa_exception_fp_ieee_overflow 0
		.amdhsa_exception_fp_ieee_underflow 0
		.amdhsa_exception_fp_ieee_inexact 0
		.amdhsa_exception_int_div_zero 0
	.end_amdhsa_kernel
	.section	.text._ZN7rocprim17ROCPRIM_400000_NS6detail17trampoline_kernelINS0_14default_configENS1_27scan_by_key_config_selectorIifEEZZNS1_16scan_by_key_implILNS1_25lookback_scan_determinismE0ELb1ES3_N6thrust23THRUST_200600_302600_NS6detail15normal_iteratorINS9_10device_ptrIiEEEENSB_INSC_IjEEEESE_fNS9_4plusIvEENS9_8equal_toIvEEfEE10hipError_tPvRmT2_T3_T4_T5_mT6_T7_P12ihipStream_tbENKUlT_T0_E_clISt17integral_constantIbLb1EES10_IbLb0EEEEDaSW_SX_EUlSW_E_NS1_11comp_targetILNS1_3genE9ELNS1_11target_archE1100ELNS1_3gpuE3ELNS1_3repE0EEENS1_30default_config_static_selectorELNS0_4arch9wavefront6targetE0EEEvT1_,"axG",@progbits,_ZN7rocprim17ROCPRIM_400000_NS6detail17trampoline_kernelINS0_14default_configENS1_27scan_by_key_config_selectorIifEEZZNS1_16scan_by_key_implILNS1_25lookback_scan_determinismE0ELb1ES3_N6thrust23THRUST_200600_302600_NS6detail15normal_iteratorINS9_10device_ptrIiEEEENSB_INSC_IjEEEESE_fNS9_4plusIvEENS9_8equal_toIvEEfEE10hipError_tPvRmT2_T3_T4_T5_mT6_T7_P12ihipStream_tbENKUlT_T0_E_clISt17integral_constantIbLb1EES10_IbLb0EEEEDaSW_SX_EUlSW_E_NS1_11comp_targetILNS1_3genE9ELNS1_11target_archE1100ELNS1_3gpuE3ELNS1_3repE0EEENS1_30default_config_static_selectorELNS0_4arch9wavefront6targetE0EEEvT1_,comdat
.Lfunc_end1813:
	.size	_ZN7rocprim17ROCPRIM_400000_NS6detail17trampoline_kernelINS0_14default_configENS1_27scan_by_key_config_selectorIifEEZZNS1_16scan_by_key_implILNS1_25lookback_scan_determinismE0ELb1ES3_N6thrust23THRUST_200600_302600_NS6detail15normal_iteratorINS9_10device_ptrIiEEEENSB_INSC_IjEEEESE_fNS9_4plusIvEENS9_8equal_toIvEEfEE10hipError_tPvRmT2_T3_T4_T5_mT6_T7_P12ihipStream_tbENKUlT_T0_E_clISt17integral_constantIbLb1EES10_IbLb0EEEEDaSW_SX_EUlSW_E_NS1_11comp_targetILNS1_3genE9ELNS1_11target_archE1100ELNS1_3gpuE3ELNS1_3repE0EEENS1_30default_config_static_selectorELNS0_4arch9wavefront6targetE0EEEvT1_, .Lfunc_end1813-_ZN7rocprim17ROCPRIM_400000_NS6detail17trampoline_kernelINS0_14default_configENS1_27scan_by_key_config_selectorIifEEZZNS1_16scan_by_key_implILNS1_25lookback_scan_determinismE0ELb1ES3_N6thrust23THRUST_200600_302600_NS6detail15normal_iteratorINS9_10device_ptrIiEEEENSB_INSC_IjEEEESE_fNS9_4plusIvEENS9_8equal_toIvEEfEE10hipError_tPvRmT2_T3_T4_T5_mT6_T7_P12ihipStream_tbENKUlT_T0_E_clISt17integral_constantIbLb1EES10_IbLb0EEEEDaSW_SX_EUlSW_E_NS1_11comp_targetILNS1_3genE9ELNS1_11target_archE1100ELNS1_3gpuE3ELNS1_3repE0EEENS1_30default_config_static_selectorELNS0_4arch9wavefront6targetE0EEEvT1_
                                        ; -- End function
	.set _ZN7rocprim17ROCPRIM_400000_NS6detail17trampoline_kernelINS0_14default_configENS1_27scan_by_key_config_selectorIifEEZZNS1_16scan_by_key_implILNS1_25lookback_scan_determinismE0ELb1ES3_N6thrust23THRUST_200600_302600_NS6detail15normal_iteratorINS9_10device_ptrIiEEEENSB_INSC_IjEEEESE_fNS9_4plusIvEENS9_8equal_toIvEEfEE10hipError_tPvRmT2_T3_T4_T5_mT6_T7_P12ihipStream_tbENKUlT_T0_E_clISt17integral_constantIbLb1EES10_IbLb0EEEEDaSW_SX_EUlSW_E_NS1_11comp_targetILNS1_3genE9ELNS1_11target_archE1100ELNS1_3gpuE3ELNS1_3repE0EEENS1_30default_config_static_selectorELNS0_4arch9wavefront6targetE0EEEvT1_.num_vgpr, 0
	.set _ZN7rocprim17ROCPRIM_400000_NS6detail17trampoline_kernelINS0_14default_configENS1_27scan_by_key_config_selectorIifEEZZNS1_16scan_by_key_implILNS1_25lookback_scan_determinismE0ELb1ES3_N6thrust23THRUST_200600_302600_NS6detail15normal_iteratorINS9_10device_ptrIiEEEENSB_INSC_IjEEEESE_fNS9_4plusIvEENS9_8equal_toIvEEfEE10hipError_tPvRmT2_T3_T4_T5_mT6_T7_P12ihipStream_tbENKUlT_T0_E_clISt17integral_constantIbLb1EES10_IbLb0EEEEDaSW_SX_EUlSW_E_NS1_11comp_targetILNS1_3genE9ELNS1_11target_archE1100ELNS1_3gpuE3ELNS1_3repE0EEENS1_30default_config_static_selectorELNS0_4arch9wavefront6targetE0EEEvT1_.num_agpr, 0
	.set _ZN7rocprim17ROCPRIM_400000_NS6detail17trampoline_kernelINS0_14default_configENS1_27scan_by_key_config_selectorIifEEZZNS1_16scan_by_key_implILNS1_25lookback_scan_determinismE0ELb1ES3_N6thrust23THRUST_200600_302600_NS6detail15normal_iteratorINS9_10device_ptrIiEEEENSB_INSC_IjEEEESE_fNS9_4plusIvEENS9_8equal_toIvEEfEE10hipError_tPvRmT2_T3_T4_T5_mT6_T7_P12ihipStream_tbENKUlT_T0_E_clISt17integral_constantIbLb1EES10_IbLb0EEEEDaSW_SX_EUlSW_E_NS1_11comp_targetILNS1_3genE9ELNS1_11target_archE1100ELNS1_3gpuE3ELNS1_3repE0EEENS1_30default_config_static_selectorELNS0_4arch9wavefront6targetE0EEEvT1_.numbered_sgpr, 0
	.set _ZN7rocprim17ROCPRIM_400000_NS6detail17trampoline_kernelINS0_14default_configENS1_27scan_by_key_config_selectorIifEEZZNS1_16scan_by_key_implILNS1_25lookback_scan_determinismE0ELb1ES3_N6thrust23THRUST_200600_302600_NS6detail15normal_iteratorINS9_10device_ptrIiEEEENSB_INSC_IjEEEESE_fNS9_4plusIvEENS9_8equal_toIvEEfEE10hipError_tPvRmT2_T3_T4_T5_mT6_T7_P12ihipStream_tbENKUlT_T0_E_clISt17integral_constantIbLb1EES10_IbLb0EEEEDaSW_SX_EUlSW_E_NS1_11comp_targetILNS1_3genE9ELNS1_11target_archE1100ELNS1_3gpuE3ELNS1_3repE0EEENS1_30default_config_static_selectorELNS0_4arch9wavefront6targetE0EEEvT1_.num_named_barrier, 0
	.set _ZN7rocprim17ROCPRIM_400000_NS6detail17trampoline_kernelINS0_14default_configENS1_27scan_by_key_config_selectorIifEEZZNS1_16scan_by_key_implILNS1_25lookback_scan_determinismE0ELb1ES3_N6thrust23THRUST_200600_302600_NS6detail15normal_iteratorINS9_10device_ptrIiEEEENSB_INSC_IjEEEESE_fNS9_4plusIvEENS9_8equal_toIvEEfEE10hipError_tPvRmT2_T3_T4_T5_mT6_T7_P12ihipStream_tbENKUlT_T0_E_clISt17integral_constantIbLb1EES10_IbLb0EEEEDaSW_SX_EUlSW_E_NS1_11comp_targetILNS1_3genE9ELNS1_11target_archE1100ELNS1_3gpuE3ELNS1_3repE0EEENS1_30default_config_static_selectorELNS0_4arch9wavefront6targetE0EEEvT1_.private_seg_size, 0
	.set _ZN7rocprim17ROCPRIM_400000_NS6detail17trampoline_kernelINS0_14default_configENS1_27scan_by_key_config_selectorIifEEZZNS1_16scan_by_key_implILNS1_25lookback_scan_determinismE0ELb1ES3_N6thrust23THRUST_200600_302600_NS6detail15normal_iteratorINS9_10device_ptrIiEEEENSB_INSC_IjEEEESE_fNS9_4plusIvEENS9_8equal_toIvEEfEE10hipError_tPvRmT2_T3_T4_T5_mT6_T7_P12ihipStream_tbENKUlT_T0_E_clISt17integral_constantIbLb1EES10_IbLb0EEEEDaSW_SX_EUlSW_E_NS1_11comp_targetILNS1_3genE9ELNS1_11target_archE1100ELNS1_3gpuE3ELNS1_3repE0EEENS1_30default_config_static_selectorELNS0_4arch9wavefront6targetE0EEEvT1_.uses_vcc, 0
	.set _ZN7rocprim17ROCPRIM_400000_NS6detail17trampoline_kernelINS0_14default_configENS1_27scan_by_key_config_selectorIifEEZZNS1_16scan_by_key_implILNS1_25lookback_scan_determinismE0ELb1ES3_N6thrust23THRUST_200600_302600_NS6detail15normal_iteratorINS9_10device_ptrIiEEEENSB_INSC_IjEEEESE_fNS9_4plusIvEENS9_8equal_toIvEEfEE10hipError_tPvRmT2_T3_T4_T5_mT6_T7_P12ihipStream_tbENKUlT_T0_E_clISt17integral_constantIbLb1EES10_IbLb0EEEEDaSW_SX_EUlSW_E_NS1_11comp_targetILNS1_3genE9ELNS1_11target_archE1100ELNS1_3gpuE3ELNS1_3repE0EEENS1_30default_config_static_selectorELNS0_4arch9wavefront6targetE0EEEvT1_.uses_flat_scratch, 0
	.set _ZN7rocprim17ROCPRIM_400000_NS6detail17trampoline_kernelINS0_14default_configENS1_27scan_by_key_config_selectorIifEEZZNS1_16scan_by_key_implILNS1_25lookback_scan_determinismE0ELb1ES3_N6thrust23THRUST_200600_302600_NS6detail15normal_iteratorINS9_10device_ptrIiEEEENSB_INSC_IjEEEESE_fNS9_4plusIvEENS9_8equal_toIvEEfEE10hipError_tPvRmT2_T3_T4_T5_mT6_T7_P12ihipStream_tbENKUlT_T0_E_clISt17integral_constantIbLb1EES10_IbLb0EEEEDaSW_SX_EUlSW_E_NS1_11comp_targetILNS1_3genE9ELNS1_11target_archE1100ELNS1_3gpuE3ELNS1_3repE0EEENS1_30default_config_static_selectorELNS0_4arch9wavefront6targetE0EEEvT1_.has_dyn_sized_stack, 0
	.set _ZN7rocprim17ROCPRIM_400000_NS6detail17trampoline_kernelINS0_14default_configENS1_27scan_by_key_config_selectorIifEEZZNS1_16scan_by_key_implILNS1_25lookback_scan_determinismE0ELb1ES3_N6thrust23THRUST_200600_302600_NS6detail15normal_iteratorINS9_10device_ptrIiEEEENSB_INSC_IjEEEESE_fNS9_4plusIvEENS9_8equal_toIvEEfEE10hipError_tPvRmT2_T3_T4_T5_mT6_T7_P12ihipStream_tbENKUlT_T0_E_clISt17integral_constantIbLb1EES10_IbLb0EEEEDaSW_SX_EUlSW_E_NS1_11comp_targetILNS1_3genE9ELNS1_11target_archE1100ELNS1_3gpuE3ELNS1_3repE0EEENS1_30default_config_static_selectorELNS0_4arch9wavefront6targetE0EEEvT1_.has_recursion, 0
	.set _ZN7rocprim17ROCPRIM_400000_NS6detail17trampoline_kernelINS0_14default_configENS1_27scan_by_key_config_selectorIifEEZZNS1_16scan_by_key_implILNS1_25lookback_scan_determinismE0ELb1ES3_N6thrust23THRUST_200600_302600_NS6detail15normal_iteratorINS9_10device_ptrIiEEEENSB_INSC_IjEEEESE_fNS9_4plusIvEENS9_8equal_toIvEEfEE10hipError_tPvRmT2_T3_T4_T5_mT6_T7_P12ihipStream_tbENKUlT_T0_E_clISt17integral_constantIbLb1EES10_IbLb0EEEEDaSW_SX_EUlSW_E_NS1_11comp_targetILNS1_3genE9ELNS1_11target_archE1100ELNS1_3gpuE3ELNS1_3repE0EEENS1_30default_config_static_selectorELNS0_4arch9wavefront6targetE0EEEvT1_.has_indirect_call, 0
	.section	.AMDGPU.csdata,"",@progbits
; Kernel info:
; codeLenInByte = 0
; TotalNumSgprs: 0
; NumVgprs: 0
; ScratchSize: 0
; MemoryBound: 0
; FloatMode: 240
; IeeeMode: 1
; LDSByteSize: 0 bytes/workgroup (compile time only)
; SGPRBlocks: 0
; VGPRBlocks: 0
; NumSGPRsForWavesPerEU: 1
; NumVGPRsForWavesPerEU: 1
; NamedBarCnt: 0
; Occupancy: 16
; WaveLimiterHint : 0
; COMPUTE_PGM_RSRC2:SCRATCH_EN: 0
; COMPUTE_PGM_RSRC2:USER_SGPR: 2
; COMPUTE_PGM_RSRC2:TRAP_HANDLER: 0
; COMPUTE_PGM_RSRC2:TGID_X_EN: 1
; COMPUTE_PGM_RSRC2:TGID_Y_EN: 0
; COMPUTE_PGM_RSRC2:TGID_Z_EN: 0
; COMPUTE_PGM_RSRC2:TIDIG_COMP_CNT: 0
	.section	.text._ZN7rocprim17ROCPRIM_400000_NS6detail17trampoline_kernelINS0_14default_configENS1_27scan_by_key_config_selectorIifEEZZNS1_16scan_by_key_implILNS1_25lookback_scan_determinismE0ELb1ES3_N6thrust23THRUST_200600_302600_NS6detail15normal_iteratorINS9_10device_ptrIiEEEENSB_INSC_IjEEEESE_fNS9_4plusIvEENS9_8equal_toIvEEfEE10hipError_tPvRmT2_T3_T4_T5_mT6_T7_P12ihipStream_tbENKUlT_T0_E_clISt17integral_constantIbLb1EES10_IbLb0EEEEDaSW_SX_EUlSW_E_NS1_11comp_targetILNS1_3genE8ELNS1_11target_archE1030ELNS1_3gpuE2ELNS1_3repE0EEENS1_30default_config_static_selectorELNS0_4arch9wavefront6targetE0EEEvT1_,"axG",@progbits,_ZN7rocprim17ROCPRIM_400000_NS6detail17trampoline_kernelINS0_14default_configENS1_27scan_by_key_config_selectorIifEEZZNS1_16scan_by_key_implILNS1_25lookback_scan_determinismE0ELb1ES3_N6thrust23THRUST_200600_302600_NS6detail15normal_iteratorINS9_10device_ptrIiEEEENSB_INSC_IjEEEESE_fNS9_4plusIvEENS9_8equal_toIvEEfEE10hipError_tPvRmT2_T3_T4_T5_mT6_T7_P12ihipStream_tbENKUlT_T0_E_clISt17integral_constantIbLb1EES10_IbLb0EEEEDaSW_SX_EUlSW_E_NS1_11comp_targetILNS1_3genE8ELNS1_11target_archE1030ELNS1_3gpuE2ELNS1_3repE0EEENS1_30default_config_static_selectorELNS0_4arch9wavefront6targetE0EEEvT1_,comdat
	.protected	_ZN7rocprim17ROCPRIM_400000_NS6detail17trampoline_kernelINS0_14default_configENS1_27scan_by_key_config_selectorIifEEZZNS1_16scan_by_key_implILNS1_25lookback_scan_determinismE0ELb1ES3_N6thrust23THRUST_200600_302600_NS6detail15normal_iteratorINS9_10device_ptrIiEEEENSB_INSC_IjEEEESE_fNS9_4plusIvEENS9_8equal_toIvEEfEE10hipError_tPvRmT2_T3_T4_T5_mT6_T7_P12ihipStream_tbENKUlT_T0_E_clISt17integral_constantIbLb1EES10_IbLb0EEEEDaSW_SX_EUlSW_E_NS1_11comp_targetILNS1_3genE8ELNS1_11target_archE1030ELNS1_3gpuE2ELNS1_3repE0EEENS1_30default_config_static_selectorELNS0_4arch9wavefront6targetE0EEEvT1_ ; -- Begin function _ZN7rocprim17ROCPRIM_400000_NS6detail17trampoline_kernelINS0_14default_configENS1_27scan_by_key_config_selectorIifEEZZNS1_16scan_by_key_implILNS1_25lookback_scan_determinismE0ELb1ES3_N6thrust23THRUST_200600_302600_NS6detail15normal_iteratorINS9_10device_ptrIiEEEENSB_INSC_IjEEEESE_fNS9_4plusIvEENS9_8equal_toIvEEfEE10hipError_tPvRmT2_T3_T4_T5_mT6_T7_P12ihipStream_tbENKUlT_T0_E_clISt17integral_constantIbLb1EES10_IbLb0EEEEDaSW_SX_EUlSW_E_NS1_11comp_targetILNS1_3genE8ELNS1_11target_archE1030ELNS1_3gpuE2ELNS1_3repE0EEENS1_30default_config_static_selectorELNS0_4arch9wavefront6targetE0EEEvT1_
	.globl	_ZN7rocprim17ROCPRIM_400000_NS6detail17trampoline_kernelINS0_14default_configENS1_27scan_by_key_config_selectorIifEEZZNS1_16scan_by_key_implILNS1_25lookback_scan_determinismE0ELb1ES3_N6thrust23THRUST_200600_302600_NS6detail15normal_iteratorINS9_10device_ptrIiEEEENSB_INSC_IjEEEESE_fNS9_4plusIvEENS9_8equal_toIvEEfEE10hipError_tPvRmT2_T3_T4_T5_mT6_T7_P12ihipStream_tbENKUlT_T0_E_clISt17integral_constantIbLb1EES10_IbLb0EEEEDaSW_SX_EUlSW_E_NS1_11comp_targetILNS1_3genE8ELNS1_11target_archE1030ELNS1_3gpuE2ELNS1_3repE0EEENS1_30default_config_static_selectorELNS0_4arch9wavefront6targetE0EEEvT1_
	.p2align	8
	.type	_ZN7rocprim17ROCPRIM_400000_NS6detail17trampoline_kernelINS0_14default_configENS1_27scan_by_key_config_selectorIifEEZZNS1_16scan_by_key_implILNS1_25lookback_scan_determinismE0ELb1ES3_N6thrust23THRUST_200600_302600_NS6detail15normal_iteratorINS9_10device_ptrIiEEEENSB_INSC_IjEEEESE_fNS9_4plusIvEENS9_8equal_toIvEEfEE10hipError_tPvRmT2_T3_T4_T5_mT6_T7_P12ihipStream_tbENKUlT_T0_E_clISt17integral_constantIbLb1EES10_IbLb0EEEEDaSW_SX_EUlSW_E_NS1_11comp_targetILNS1_3genE8ELNS1_11target_archE1030ELNS1_3gpuE2ELNS1_3repE0EEENS1_30default_config_static_selectorELNS0_4arch9wavefront6targetE0EEEvT1_,@function
_ZN7rocprim17ROCPRIM_400000_NS6detail17trampoline_kernelINS0_14default_configENS1_27scan_by_key_config_selectorIifEEZZNS1_16scan_by_key_implILNS1_25lookback_scan_determinismE0ELb1ES3_N6thrust23THRUST_200600_302600_NS6detail15normal_iteratorINS9_10device_ptrIiEEEENSB_INSC_IjEEEESE_fNS9_4plusIvEENS9_8equal_toIvEEfEE10hipError_tPvRmT2_T3_T4_T5_mT6_T7_P12ihipStream_tbENKUlT_T0_E_clISt17integral_constantIbLb1EES10_IbLb0EEEEDaSW_SX_EUlSW_E_NS1_11comp_targetILNS1_3genE8ELNS1_11target_archE1030ELNS1_3gpuE2ELNS1_3repE0EEENS1_30default_config_static_selectorELNS0_4arch9wavefront6targetE0EEEvT1_: ; @_ZN7rocprim17ROCPRIM_400000_NS6detail17trampoline_kernelINS0_14default_configENS1_27scan_by_key_config_selectorIifEEZZNS1_16scan_by_key_implILNS1_25lookback_scan_determinismE0ELb1ES3_N6thrust23THRUST_200600_302600_NS6detail15normal_iteratorINS9_10device_ptrIiEEEENSB_INSC_IjEEEESE_fNS9_4plusIvEENS9_8equal_toIvEEfEE10hipError_tPvRmT2_T3_T4_T5_mT6_T7_P12ihipStream_tbENKUlT_T0_E_clISt17integral_constantIbLb1EES10_IbLb0EEEEDaSW_SX_EUlSW_E_NS1_11comp_targetILNS1_3genE8ELNS1_11target_archE1030ELNS1_3gpuE2ELNS1_3repE0EEENS1_30default_config_static_selectorELNS0_4arch9wavefront6targetE0EEEvT1_
; %bb.0:
	.section	.rodata,"a",@progbits
	.p2align	6, 0x0
	.amdhsa_kernel _ZN7rocprim17ROCPRIM_400000_NS6detail17trampoline_kernelINS0_14default_configENS1_27scan_by_key_config_selectorIifEEZZNS1_16scan_by_key_implILNS1_25lookback_scan_determinismE0ELb1ES3_N6thrust23THRUST_200600_302600_NS6detail15normal_iteratorINS9_10device_ptrIiEEEENSB_INSC_IjEEEESE_fNS9_4plusIvEENS9_8equal_toIvEEfEE10hipError_tPvRmT2_T3_T4_T5_mT6_T7_P12ihipStream_tbENKUlT_T0_E_clISt17integral_constantIbLb1EES10_IbLb0EEEEDaSW_SX_EUlSW_E_NS1_11comp_targetILNS1_3genE8ELNS1_11target_archE1030ELNS1_3gpuE2ELNS1_3repE0EEENS1_30default_config_static_selectorELNS0_4arch9wavefront6targetE0EEEvT1_
		.amdhsa_group_segment_fixed_size 0
		.amdhsa_private_segment_fixed_size 0
		.amdhsa_kernarg_size 112
		.amdhsa_user_sgpr_count 2
		.amdhsa_user_sgpr_dispatch_ptr 0
		.amdhsa_user_sgpr_queue_ptr 0
		.amdhsa_user_sgpr_kernarg_segment_ptr 1
		.amdhsa_user_sgpr_dispatch_id 0
		.amdhsa_user_sgpr_kernarg_preload_length 0
		.amdhsa_user_sgpr_kernarg_preload_offset 0
		.amdhsa_user_sgpr_private_segment_size 0
		.amdhsa_wavefront_size32 1
		.amdhsa_uses_dynamic_stack 0
		.amdhsa_enable_private_segment 0
		.amdhsa_system_sgpr_workgroup_id_x 1
		.amdhsa_system_sgpr_workgroup_id_y 0
		.amdhsa_system_sgpr_workgroup_id_z 0
		.amdhsa_system_sgpr_workgroup_info 0
		.amdhsa_system_vgpr_workitem_id 0
		.amdhsa_next_free_vgpr 1
		.amdhsa_next_free_sgpr 1
		.amdhsa_named_barrier_count 0
		.amdhsa_reserve_vcc 0
		.amdhsa_float_round_mode_32 0
		.amdhsa_float_round_mode_16_64 0
		.amdhsa_float_denorm_mode_32 3
		.amdhsa_float_denorm_mode_16_64 3
		.amdhsa_fp16_overflow 0
		.amdhsa_memory_ordered 1
		.amdhsa_forward_progress 1
		.amdhsa_inst_pref_size 0
		.amdhsa_round_robin_scheduling 0
		.amdhsa_exception_fp_ieee_invalid_op 0
		.amdhsa_exception_fp_denorm_src 0
		.amdhsa_exception_fp_ieee_div_zero 0
		.amdhsa_exception_fp_ieee_overflow 0
		.amdhsa_exception_fp_ieee_underflow 0
		.amdhsa_exception_fp_ieee_inexact 0
		.amdhsa_exception_int_div_zero 0
	.end_amdhsa_kernel
	.section	.text._ZN7rocprim17ROCPRIM_400000_NS6detail17trampoline_kernelINS0_14default_configENS1_27scan_by_key_config_selectorIifEEZZNS1_16scan_by_key_implILNS1_25lookback_scan_determinismE0ELb1ES3_N6thrust23THRUST_200600_302600_NS6detail15normal_iteratorINS9_10device_ptrIiEEEENSB_INSC_IjEEEESE_fNS9_4plusIvEENS9_8equal_toIvEEfEE10hipError_tPvRmT2_T3_T4_T5_mT6_T7_P12ihipStream_tbENKUlT_T0_E_clISt17integral_constantIbLb1EES10_IbLb0EEEEDaSW_SX_EUlSW_E_NS1_11comp_targetILNS1_3genE8ELNS1_11target_archE1030ELNS1_3gpuE2ELNS1_3repE0EEENS1_30default_config_static_selectorELNS0_4arch9wavefront6targetE0EEEvT1_,"axG",@progbits,_ZN7rocprim17ROCPRIM_400000_NS6detail17trampoline_kernelINS0_14default_configENS1_27scan_by_key_config_selectorIifEEZZNS1_16scan_by_key_implILNS1_25lookback_scan_determinismE0ELb1ES3_N6thrust23THRUST_200600_302600_NS6detail15normal_iteratorINS9_10device_ptrIiEEEENSB_INSC_IjEEEESE_fNS9_4plusIvEENS9_8equal_toIvEEfEE10hipError_tPvRmT2_T3_T4_T5_mT6_T7_P12ihipStream_tbENKUlT_T0_E_clISt17integral_constantIbLb1EES10_IbLb0EEEEDaSW_SX_EUlSW_E_NS1_11comp_targetILNS1_3genE8ELNS1_11target_archE1030ELNS1_3gpuE2ELNS1_3repE0EEENS1_30default_config_static_selectorELNS0_4arch9wavefront6targetE0EEEvT1_,comdat
.Lfunc_end1814:
	.size	_ZN7rocprim17ROCPRIM_400000_NS6detail17trampoline_kernelINS0_14default_configENS1_27scan_by_key_config_selectorIifEEZZNS1_16scan_by_key_implILNS1_25lookback_scan_determinismE0ELb1ES3_N6thrust23THRUST_200600_302600_NS6detail15normal_iteratorINS9_10device_ptrIiEEEENSB_INSC_IjEEEESE_fNS9_4plusIvEENS9_8equal_toIvEEfEE10hipError_tPvRmT2_T3_T4_T5_mT6_T7_P12ihipStream_tbENKUlT_T0_E_clISt17integral_constantIbLb1EES10_IbLb0EEEEDaSW_SX_EUlSW_E_NS1_11comp_targetILNS1_3genE8ELNS1_11target_archE1030ELNS1_3gpuE2ELNS1_3repE0EEENS1_30default_config_static_selectorELNS0_4arch9wavefront6targetE0EEEvT1_, .Lfunc_end1814-_ZN7rocprim17ROCPRIM_400000_NS6detail17trampoline_kernelINS0_14default_configENS1_27scan_by_key_config_selectorIifEEZZNS1_16scan_by_key_implILNS1_25lookback_scan_determinismE0ELb1ES3_N6thrust23THRUST_200600_302600_NS6detail15normal_iteratorINS9_10device_ptrIiEEEENSB_INSC_IjEEEESE_fNS9_4plusIvEENS9_8equal_toIvEEfEE10hipError_tPvRmT2_T3_T4_T5_mT6_T7_P12ihipStream_tbENKUlT_T0_E_clISt17integral_constantIbLb1EES10_IbLb0EEEEDaSW_SX_EUlSW_E_NS1_11comp_targetILNS1_3genE8ELNS1_11target_archE1030ELNS1_3gpuE2ELNS1_3repE0EEENS1_30default_config_static_selectorELNS0_4arch9wavefront6targetE0EEEvT1_
                                        ; -- End function
	.set _ZN7rocprim17ROCPRIM_400000_NS6detail17trampoline_kernelINS0_14default_configENS1_27scan_by_key_config_selectorIifEEZZNS1_16scan_by_key_implILNS1_25lookback_scan_determinismE0ELb1ES3_N6thrust23THRUST_200600_302600_NS6detail15normal_iteratorINS9_10device_ptrIiEEEENSB_INSC_IjEEEESE_fNS9_4plusIvEENS9_8equal_toIvEEfEE10hipError_tPvRmT2_T3_T4_T5_mT6_T7_P12ihipStream_tbENKUlT_T0_E_clISt17integral_constantIbLb1EES10_IbLb0EEEEDaSW_SX_EUlSW_E_NS1_11comp_targetILNS1_3genE8ELNS1_11target_archE1030ELNS1_3gpuE2ELNS1_3repE0EEENS1_30default_config_static_selectorELNS0_4arch9wavefront6targetE0EEEvT1_.num_vgpr, 0
	.set _ZN7rocprim17ROCPRIM_400000_NS6detail17trampoline_kernelINS0_14default_configENS1_27scan_by_key_config_selectorIifEEZZNS1_16scan_by_key_implILNS1_25lookback_scan_determinismE0ELb1ES3_N6thrust23THRUST_200600_302600_NS6detail15normal_iteratorINS9_10device_ptrIiEEEENSB_INSC_IjEEEESE_fNS9_4plusIvEENS9_8equal_toIvEEfEE10hipError_tPvRmT2_T3_T4_T5_mT6_T7_P12ihipStream_tbENKUlT_T0_E_clISt17integral_constantIbLb1EES10_IbLb0EEEEDaSW_SX_EUlSW_E_NS1_11comp_targetILNS1_3genE8ELNS1_11target_archE1030ELNS1_3gpuE2ELNS1_3repE0EEENS1_30default_config_static_selectorELNS0_4arch9wavefront6targetE0EEEvT1_.num_agpr, 0
	.set _ZN7rocprim17ROCPRIM_400000_NS6detail17trampoline_kernelINS0_14default_configENS1_27scan_by_key_config_selectorIifEEZZNS1_16scan_by_key_implILNS1_25lookback_scan_determinismE0ELb1ES3_N6thrust23THRUST_200600_302600_NS6detail15normal_iteratorINS9_10device_ptrIiEEEENSB_INSC_IjEEEESE_fNS9_4plusIvEENS9_8equal_toIvEEfEE10hipError_tPvRmT2_T3_T4_T5_mT6_T7_P12ihipStream_tbENKUlT_T0_E_clISt17integral_constantIbLb1EES10_IbLb0EEEEDaSW_SX_EUlSW_E_NS1_11comp_targetILNS1_3genE8ELNS1_11target_archE1030ELNS1_3gpuE2ELNS1_3repE0EEENS1_30default_config_static_selectorELNS0_4arch9wavefront6targetE0EEEvT1_.numbered_sgpr, 0
	.set _ZN7rocprim17ROCPRIM_400000_NS6detail17trampoline_kernelINS0_14default_configENS1_27scan_by_key_config_selectorIifEEZZNS1_16scan_by_key_implILNS1_25lookback_scan_determinismE0ELb1ES3_N6thrust23THRUST_200600_302600_NS6detail15normal_iteratorINS9_10device_ptrIiEEEENSB_INSC_IjEEEESE_fNS9_4plusIvEENS9_8equal_toIvEEfEE10hipError_tPvRmT2_T3_T4_T5_mT6_T7_P12ihipStream_tbENKUlT_T0_E_clISt17integral_constantIbLb1EES10_IbLb0EEEEDaSW_SX_EUlSW_E_NS1_11comp_targetILNS1_3genE8ELNS1_11target_archE1030ELNS1_3gpuE2ELNS1_3repE0EEENS1_30default_config_static_selectorELNS0_4arch9wavefront6targetE0EEEvT1_.num_named_barrier, 0
	.set _ZN7rocprim17ROCPRIM_400000_NS6detail17trampoline_kernelINS0_14default_configENS1_27scan_by_key_config_selectorIifEEZZNS1_16scan_by_key_implILNS1_25lookback_scan_determinismE0ELb1ES3_N6thrust23THRUST_200600_302600_NS6detail15normal_iteratorINS9_10device_ptrIiEEEENSB_INSC_IjEEEESE_fNS9_4plusIvEENS9_8equal_toIvEEfEE10hipError_tPvRmT2_T3_T4_T5_mT6_T7_P12ihipStream_tbENKUlT_T0_E_clISt17integral_constantIbLb1EES10_IbLb0EEEEDaSW_SX_EUlSW_E_NS1_11comp_targetILNS1_3genE8ELNS1_11target_archE1030ELNS1_3gpuE2ELNS1_3repE0EEENS1_30default_config_static_selectorELNS0_4arch9wavefront6targetE0EEEvT1_.private_seg_size, 0
	.set _ZN7rocprim17ROCPRIM_400000_NS6detail17trampoline_kernelINS0_14default_configENS1_27scan_by_key_config_selectorIifEEZZNS1_16scan_by_key_implILNS1_25lookback_scan_determinismE0ELb1ES3_N6thrust23THRUST_200600_302600_NS6detail15normal_iteratorINS9_10device_ptrIiEEEENSB_INSC_IjEEEESE_fNS9_4plusIvEENS9_8equal_toIvEEfEE10hipError_tPvRmT2_T3_T4_T5_mT6_T7_P12ihipStream_tbENKUlT_T0_E_clISt17integral_constantIbLb1EES10_IbLb0EEEEDaSW_SX_EUlSW_E_NS1_11comp_targetILNS1_3genE8ELNS1_11target_archE1030ELNS1_3gpuE2ELNS1_3repE0EEENS1_30default_config_static_selectorELNS0_4arch9wavefront6targetE0EEEvT1_.uses_vcc, 0
	.set _ZN7rocprim17ROCPRIM_400000_NS6detail17trampoline_kernelINS0_14default_configENS1_27scan_by_key_config_selectorIifEEZZNS1_16scan_by_key_implILNS1_25lookback_scan_determinismE0ELb1ES3_N6thrust23THRUST_200600_302600_NS6detail15normal_iteratorINS9_10device_ptrIiEEEENSB_INSC_IjEEEESE_fNS9_4plusIvEENS9_8equal_toIvEEfEE10hipError_tPvRmT2_T3_T4_T5_mT6_T7_P12ihipStream_tbENKUlT_T0_E_clISt17integral_constantIbLb1EES10_IbLb0EEEEDaSW_SX_EUlSW_E_NS1_11comp_targetILNS1_3genE8ELNS1_11target_archE1030ELNS1_3gpuE2ELNS1_3repE0EEENS1_30default_config_static_selectorELNS0_4arch9wavefront6targetE0EEEvT1_.uses_flat_scratch, 0
	.set _ZN7rocprim17ROCPRIM_400000_NS6detail17trampoline_kernelINS0_14default_configENS1_27scan_by_key_config_selectorIifEEZZNS1_16scan_by_key_implILNS1_25lookback_scan_determinismE0ELb1ES3_N6thrust23THRUST_200600_302600_NS6detail15normal_iteratorINS9_10device_ptrIiEEEENSB_INSC_IjEEEESE_fNS9_4plusIvEENS9_8equal_toIvEEfEE10hipError_tPvRmT2_T3_T4_T5_mT6_T7_P12ihipStream_tbENKUlT_T0_E_clISt17integral_constantIbLb1EES10_IbLb0EEEEDaSW_SX_EUlSW_E_NS1_11comp_targetILNS1_3genE8ELNS1_11target_archE1030ELNS1_3gpuE2ELNS1_3repE0EEENS1_30default_config_static_selectorELNS0_4arch9wavefront6targetE0EEEvT1_.has_dyn_sized_stack, 0
	.set _ZN7rocprim17ROCPRIM_400000_NS6detail17trampoline_kernelINS0_14default_configENS1_27scan_by_key_config_selectorIifEEZZNS1_16scan_by_key_implILNS1_25lookback_scan_determinismE0ELb1ES3_N6thrust23THRUST_200600_302600_NS6detail15normal_iteratorINS9_10device_ptrIiEEEENSB_INSC_IjEEEESE_fNS9_4plusIvEENS9_8equal_toIvEEfEE10hipError_tPvRmT2_T3_T4_T5_mT6_T7_P12ihipStream_tbENKUlT_T0_E_clISt17integral_constantIbLb1EES10_IbLb0EEEEDaSW_SX_EUlSW_E_NS1_11comp_targetILNS1_3genE8ELNS1_11target_archE1030ELNS1_3gpuE2ELNS1_3repE0EEENS1_30default_config_static_selectorELNS0_4arch9wavefront6targetE0EEEvT1_.has_recursion, 0
	.set _ZN7rocprim17ROCPRIM_400000_NS6detail17trampoline_kernelINS0_14default_configENS1_27scan_by_key_config_selectorIifEEZZNS1_16scan_by_key_implILNS1_25lookback_scan_determinismE0ELb1ES3_N6thrust23THRUST_200600_302600_NS6detail15normal_iteratorINS9_10device_ptrIiEEEENSB_INSC_IjEEEESE_fNS9_4plusIvEENS9_8equal_toIvEEfEE10hipError_tPvRmT2_T3_T4_T5_mT6_T7_P12ihipStream_tbENKUlT_T0_E_clISt17integral_constantIbLb1EES10_IbLb0EEEEDaSW_SX_EUlSW_E_NS1_11comp_targetILNS1_3genE8ELNS1_11target_archE1030ELNS1_3gpuE2ELNS1_3repE0EEENS1_30default_config_static_selectorELNS0_4arch9wavefront6targetE0EEEvT1_.has_indirect_call, 0
	.section	.AMDGPU.csdata,"",@progbits
; Kernel info:
; codeLenInByte = 0
; TotalNumSgprs: 0
; NumVgprs: 0
; ScratchSize: 0
; MemoryBound: 0
; FloatMode: 240
; IeeeMode: 1
; LDSByteSize: 0 bytes/workgroup (compile time only)
; SGPRBlocks: 0
; VGPRBlocks: 0
; NumSGPRsForWavesPerEU: 1
; NumVGPRsForWavesPerEU: 1
; NamedBarCnt: 0
; Occupancy: 16
; WaveLimiterHint : 0
; COMPUTE_PGM_RSRC2:SCRATCH_EN: 0
; COMPUTE_PGM_RSRC2:USER_SGPR: 2
; COMPUTE_PGM_RSRC2:TRAP_HANDLER: 0
; COMPUTE_PGM_RSRC2:TGID_X_EN: 1
; COMPUTE_PGM_RSRC2:TGID_Y_EN: 0
; COMPUTE_PGM_RSRC2:TGID_Z_EN: 0
; COMPUTE_PGM_RSRC2:TIDIG_COMP_CNT: 0
	.section	.text._ZN7rocprim17ROCPRIM_400000_NS6detail17trampoline_kernelINS0_14default_configENS1_27scan_by_key_config_selectorIifEEZZNS1_16scan_by_key_implILNS1_25lookback_scan_determinismE0ELb1ES3_N6thrust23THRUST_200600_302600_NS6detail15normal_iteratorINS9_10device_ptrIiEEEENSB_INSC_IjEEEESE_fNS9_4plusIvEENS9_8equal_toIvEEfEE10hipError_tPvRmT2_T3_T4_T5_mT6_T7_P12ihipStream_tbENKUlT_T0_E_clISt17integral_constantIbLb0EES10_IbLb1EEEEDaSW_SX_EUlSW_E_NS1_11comp_targetILNS1_3genE0ELNS1_11target_archE4294967295ELNS1_3gpuE0ELNS1_3repE0EEENS1_30default_config_static_selectorELNS0_4arch9wavefront6targetE0EEEvT1_,"axG",@progbits,_ZN7rocprim17ROCPRIM_400000_NS6detail17trampoline_kernelINS0_14default_configENS1_27scan_by_key_config_selectorIifEEZZNS1_16scan_by_key_implILNS1_25lookback_scan_determinismE0ELb1ES3_N6thrust23THRUST_200600_302600_NS6detail15normal_iteratorINS9_10device_ptrIiEEEENSB_INSC_IjEEEESE_fNS9_4plusIvEENS9_8equal_toIvEEfEE10hipError_tPvRmT2_T3_T4_T5_mT6_T7_P12ihipStream_tbENKUlT_T0_E_clISt17integral_constantIbLb0EES10_IbLb1EEEEDaSW_SX_EUlSW_E_NS1_11comp_targetILNS1_3genE0ELNS1_11target_archE4294967295ELNS1_3gpuE0ELNS1_3repE0EEENS1_30default_config_static_selectorELNS0_4arch9wavefront6targetE0EEEvT1_,comdat
	.protected	_ZN7rocprim17ROCPRIM_400000_NS6detail17trampoline_kernelINS0_14default_configENS1_27scan_by_key_config_selectorIifEEZZNS1_16scan_by_key_implILNS1_25lookback_scan_determinismE0ELb1ES3_N6thrust23THRUST_200600_302600_NS6detail15normal_iteratorINS9_10device_ptrIiEEEENSB_INSC_IjEEEESE_fNS9_4plusIvEENS9_8equal_toIvEEfEE10hipError_tPvRmT2_T3_T4_T5_mT6_T7_P12ihipStream_tbENKUlT_T0_E_clISt17integral_constantIbLb0EES10_IbLb1EEEEDaSW_SX_EUlSW_E_NS1_11comp_targetILNS1_3genE0ELNS1_11target_archE4294967295ELNS1_3gpuE0ELNS1_3repE0EEENS1_30default_config_static_selectorELNS0_4arch9wavefront6targetE0EEEvT1_ ; -- Begin function _ZN7rocprim17ROCPRIM_400000_NS6detail17trampoline_kernelINS0_14default_configENS1_27scan_by_key_config_selectorIifEEZZNS1_16scan_by_key_implILNS1_25lookback_scan_determinismE0ELb1ES3_N6thrust23THRUST_200600_302600_NS6detail15normal_iteratorINS9_10device_ptrIiEEEENSB_INSC_IjEEEESE_fNS9_4plusIvEENS9_8equal_toIvEEfEE10hipError_tPvRmT2_T3_T4_T5_mT6_T7_P12ihipStream_tbENKUlT_T0_E_clISt17integral_constantIbLb0EES10_IbLb1EEEEDaSW_SX_EUlSW_E_NS1_11comp_targetILNS1_3genE0ELNS1_11target_archE4294967295ELNS1_3gpuE0ELNS1_3repE0EEENS1_30default_config_static_selectorELNS0_4arch9wavefront6targetE0EEEvT1_
	.globl	_ZN7rocprim17ROCPRIM_400000_NS6detail17trampoline_kernelINS0_14default_configENS1_27scan_by_key_config_selectorIifEEZZNS1_16scan_by_key_implILNS1_25lookback_scan_determinismE0ELb1ES3_N6thrust23THRUST_200600_302600_NS6detail15normal_iteratorINS9_10device_ptrIiEEEENSB_INSC_IjEEEESE_fNS9_4plusIvEENS9_8equal_toIvEEfEE10hipError_tPvRmT2_T3_T4_T5_mT6_T7_P12ihipStream_tbENKUlT_T0_E_clISt17integral_constantIbLb0EES10_IbLb1EEEEDaSW_SX_EUlSW_E_NS1_11comp_targetILNS1_3genE0ELNS1_11target_archE4294967295ELNS1_3gpuE0ELNS1_3repE0EEENS1_30default_config_static_selectorELNS0_4arch9wavefront6targetE0EEEvT1_
	.p2align	8
	.type	_ZN7rocprim17ROCPRIM_400000_NS6detail17trampoline_kernelINS0_14default_configENS1_27scan_by_key_config_selectorIifEEZZNS1_16scan_by_key_implILNS1_25lookback_scan_determinismE0ELb1ES3_N6thrust23THRUST_200600_302600_NS6detail15normal_iteratorINS9_10device_ptrIiEEEENSB_INSC_IjEEEESE_fNS9_4plusIvEENS9_8equal_toIvEEfEE10hipError_tPvRmT2_T3_T4_T5_mT6_T7_P12ihipStream_tbENKUlT_T0_E_clISt17integral_constantIbLb0EES10_IbLb1EEEEDaSW_SX_EUlSW_E_NS1_11comp_targetILNS1_3genE0ELNS1_11target_archE4294967295ELNS1_3gpuE0ELNS1_3repE0EEENS1_30default_config_static_selectorELNS0_4arch9wavefront6targetE0EEEvT1_,@function
_ZN7rocprim17ROCPRIM_400000_NS6detail17trampoline_kernelINS0_14default_configENS1_27scan_by_key_config_selectorIifEEZZNS1_16scan_by_key_implILNS1_25lookback_scan_determinismE0ELb1ES3_N6thrust23THRUST_200600_302600_NS6detail15normal_iteratorINS9_10device_ptrIiEEEENSB_INSC_IjEEEESE_fNS9_4plusIvEENS9_8equal_toIvEEfEE10hipError_tPvRmT2_T3_T4_T5_mT6_T7_P12ihipStream_tbENKUlT_T0_E_clISt17integral_constantIbLb0EES10_IbLb1EEEEDaSW_SX_EUlSW_E_NS1_11comp_targetILNS1_3genE0ELNS1_11target_archE4294967295ELNS1_3gpuE0ELNS1_3repE0EEENS1_30default_config_static_selectorELNS0_4arch9wavefront6targetE0EEEvT1_: ; @_ZN7rocprim17ROCPRIM_400000_NS6detail17trampoline_kernelINS0_14default_configENS1_27scan_by_key_config_selectorIifEEZZNS1_16scan_by_key_implILNS1_25lookback_scan_determinismE0ELb1ES3_N6thrust23THRUST_200600_302600_NS6detail15normal_iteratorINS9_10device_ptrIiEEEENSB_INSC_IjEEEESE_fNS9_4plusIvEENS9_8equal_toIvEEfEE10hipError_tPvRmT2_T3_T4_T5_mT6_T7_P12ihipStream_tbENKUlT_T0_E_clISt17integral_constantIbLb0EES10_IbLb1EEEEDaSW_SX_EUlSW_E_NS1_11comp_targetILNS1_3genE0ELNS1_11target_archE4294967295ELNS1_3gpuE0ELNS1_3repE0EEENS1_30default_config_static_selectorELNS0_4arch9wavefront6targetE0EEEvT1_
; %bb.0:
	s_clause 0x2
	s_load_b32 s33, s[0:1], 0x20
	s_load_b128 s[20:23], s[0:1], 0x28
	s_load_b64 s[30:31], s[0:1], 0x38
	v_cmp_ne_u32_e64 s3, 0, v0
	v_cmp_eq_u32_e64 s2, 0, v0
	s_and_saveexec_b32 s4, s2
	s_cbranch_execz .LBB1815_4
; %bb.1:
	s_mov_b32 s6, exec_lo
	s_mov_b32 s5, exec_lo
	v_mbcnt_lo_u32_b32 v1, s6, 0
                                        ; implicit-def: $vgpr2
	s_delay_alu instid0(VALU_DEP_1)
	v_cmpx_eq_u32_e32 0, v1
	s_cbranch_execz .LBB1815_3
; %bb.2:
	s_load_b64 s[8:9], s[0:1], 0x68
	s_bcnt1_i32_b32 s6, s6
	s_delay_alu instid0(SALU_CYCLE_1)
	v_dual_mov_b32 v2, 0 :: v_dual_mov_b32 v3, s6
	s_wait_xcnt 0x0
	s_wait_kmcnt 0x0
	global_atomic_add_u32 v2, v2, v3, s[8:9] th:TH_ATOMIC_RETURN scope:SCOPE_DEV
.LBB1815_3:
	s_wait_xcnt 0x0
	s_or_b32 exec_lo, exec_lo, s5
	s_wait_loadcnt 0x0
	v_readfirstlane_b32 s5, v2
	s_delay_alu instid0(VALU_DEP_1)
	v_dual_mov_b32 v2, 0 :: v_dual_add_nc_u32 v1, s5, v1
	ds_store_b32 v2, v1
.LBB1815_4:
	s_or_b32 exec_lo, exec_lo, s4
	v_mov_b32_e32 v3, 0
	s_clause 0x2
	s_load_b256 s[12:19], s[0:1], 0x0
	s_load_b32 s4, s[0:1], 0x40
	s_load_b128 s[24:27], s[0:1], 0x48
	s_wait_dscnt 0x0
	s_barrier_signal -1
	s_barrier_wait -1
	ds_load_b32 v2, v3
	s_mov_b32 s5, 0
	s_wait_dscnt 0x0
	s_barrier_signal -1
	s_barrier_wait -1
	s_barrier_signal -1
	s_barrier_wait -1
	s_wait_kmcnt 0x0
	s_lshl_b64 s[28:29], s[14:15], 2
	s_mul_u64 s[0:1], s[30:31], s[4:5]
	s_add_nc_u64 s[10:11], s[24:25], -1
	s_add_nc_u64 s[6:7], s[12:13], s[28:29]
	s_add_nc_u64 s[8:9], s[16:17], s[28:29]
	s_mul_i32 s23, s10, 0xfffff400
	v_add_nc_u64_e32 v[4:5], s[0:1], v[2:3]
	v_readfirstlane_b32 s36, v2
	s_mul_i32 s4, s36, 0xc00
	v_cmp_le_u64_e64 s0, s[10:11], v[4:5]
	s_lshl_b64 s[16:17], s[4:5], 2
	s_delay_alu instid0(SALU_CYCLE_1)
	s_add_nc_u64 s[34:35], s[6:7], s[16:17]
	s_add_nc_u64 s[24:25], s[8:9], s[16:17]
	s_and_b32 vcc_lo, exec_lo, s0
	s_cbranch_vccz .LBB1815_70
; %bb.5:
	flat_load_b32 v2, v3, s[34:35]
	s_add_co_i32 s39, s23, s22
	s_delay_alu instid0(SALU_CYCLE_1)
	v_cmp_gt_u32_e32 vcc_lo, s39, v0
	s_wait_loadcnt_dscnt 0x0
	v_mov_b32_e32 v3, v2
	s_and_saveexec_b32 s1, vcc_lo
	s_cbranch_execz .LBB1815_7
; %bb.6:
	flat_load_b32 v3, v0, s[34:35] scale_offset
.LBB1815_7:
	s_wait_xcnt 0x0
	s_or_b32 exec_lo, exec_lo, s1
	v_or_b32_e32 v1, 0x100, v0
	v_mov_b32_e32 v4, v2
	s_delay_alu instid0(VALU_DEP_2)
	v_cmp_gt_u32_e64 s1, s39, v1
	s_and_saveexec_b32 s4, s1
	s_cbranch_execz .LBB1815_9
; %bb.8:
	flat_load_b32 v4, v0, s[34:35] offset:1024 scale_offset
.LBB1815_9:
	s_wait_xcnt 0x0
	s_or_b32 exec_lo, exec_lo, s4
	v_or_b32_e32 v1, 0x200, v0
	v_mov_b32_e32 v5, v2
	s_delay_alu instid0(VALU_DEP_2)
	v_cmp_gt_u32_e64 s4, s39, v1
	s_and_saveexec_b32 s5, s4
	s_cbranch_execz .LBB1815_11
; %bb.10:
	flat_load_b32 v5, v0, s[34:35] offset:2048 scale_offset
.LBB1815_11:
	;; [unrolled: 11-line block ×10, first 2 shown]
	s_wait_xcnt 0x0
	s_or_b32 exec_lo, exec_lo, s13
	v_or_b32_e32 v1, 0xb00, v0
	s_delay_alu instid0(VALU_DEP_1) | instskip(SKIP_2) | instid1(SALU_CYCLE_1)
	v_cmp_gt_u32_e64 s13, s39, v1
	v_cmp_le_u32_e64 s14, s39, v1
	s_and_saveexec_b32 s15, s14
	s_xor_b32 s14, exec_lo, s15
	s_delay_alu instid0(SALU_CYCLE_1)
	s_and_not1_saveexec_b32 s14, s14
	s_cbranch_execz .LBB1815_29
; %bb.28:
	flat_load_b32 v2, v0, s[34:35] offset:11264 scale_offset
.LBB1815_29:
	s_wait_xcnt 0x0
	s_or_b32 exec_lo, exec_lo, s14
	v_lshlrev_b32_e32 v1, 2, v0
	s_mov_b32 s15, exec_lo
	s_wait_loadcnt_dscnt 0x0
	ds_store_2addr_stride64_b32 v1, v3, v4 offset1:4
	ds_store_2addr_stride64_b32 v1, v5, v6 offset0:8 offset1:12
	ds_store_2addr_stride64_b32 v1, v7, v8 offset0:16 offset1:20
	;; [unrolled: 1-line block ×5, first 2 shown]
	v_mov_b32_e32 v2, 0
	s_wait_dscnt 0x0
	s_barrier_signal -1
	s_barrier_wait -1
	flat_load_b32 v54, v2, s[34:35]
	v_mad_u32_u24 v31, v0, 44, v1
	ds_load_b128 v[10:13], v31
	ds_load_b128 v[6:9], v31 offset:16
	s_wait_xcnt 0x0
	ds_load_b128 v[2:5], v31 offset:32
	v_mad_i32_i24 v14, 0xffffffd4, v0, v31
	s_wait_dscnt 0x2
	ds_store_b32 v14, v10 offset:13312
	s_wait_loadcnt_dscnt 0x0
	s_barrier_signal -1
	s_barrier_wait -1
	v_cmpx_ne_u32_e32 0xff, v0
; %bb.30:
	v_mul_i32_i24_e32 v14, 0xffffffd4, v0
	s_delay_alu instid0(VALU_DEP_1)
	v_add_nc_u32_e32 v14, v31, v14
	ds_load_b32 v54, v14 offset:13316
; %bb.31:
	s_or_b32 exec_lo, exec_lo, s15
	s_wait_dscnt 0x0
	s_barrier_signal -1
	s_barrier_wait -1
                                        ; implicit-def: $vgpr14
	s_and_saveexec_b32 s14, vcc_lo
	s_cbranch_execz .LBB1815_126
; %bb.32:
	flat_load_b32 v14, v0, s[24:25] scale_offset
	s_wait_loadcnt_dscnt 0x0
	v_cvt_f32_u32_e32 v14, v14
	s_or_b32 exec_lo, exec_lo, s14
                                        ; implicit-def: $vgpr15
	s_and_saveexec_b32 s14, s1
	s_cbranch_execnz .LBB1815_127
.LBB1815_33:
	s_or_b32 exec_lo, exec_lo, s14
                                        ; implicit-def: $vgpr16
	s_and_saveexec_b32 s1, s4
	s_cbranch_execz .LBB1815_128
.LBB1815_34:
	flat_load_b32 v16, v0, s[24:25] offset:2048 scale_offset
	s_wait_loadcnt_dscnt 0x0
	v_cvt_f32_u32_e32 v16, v16
	s_or_b32 exec_lo, exec_lo, s1
                                        ; implicit-def: $vgpr17
	s_and_saveexec_b32 s1, s5
	s_cbranch_execnz .LBB1815_129
.LBB1815_35:
	s_or_b32 exec_lo, exec_lo, s1
                                        ; implicit-def: $vgpr18
	s_and_saveexec_b32 s1, s6
	s_cbranch_execz .LBB1815_130
.LBB1815_36:
	flat_load_b32 v18, v0, s[24:25] offset:4096 scale_offset
	s_wait_loadcnt_dscnt 0x0
	v_cvt_f32_u32_e32 v18, v18
	s_or_b32 exec_lo, exec_lo, s1
                                        ; implicit-def: $vgpr19
	s_and_saveexec_b32 s1, s7
	s_cbranch_execnz .LBB1815_131
.LBB1815_37:
	s_or_b32 exec_lo, exec_lo, s1
                                        ; implicit-def: $vgpr20
	s_and_saveexec_b32 s1, s8
	s_cbranch_execz .LBB1815_132
.LBB1815_38:
	flat_load_b32 v20, v0, s[24:25] offset:6144 scale_offset
	s_wait_loadcnt_dscnt 0x0
	v_cvt_f32_u32_e32 v20, v20
	s_or_b32 exec_lo, exec_lo, s1
                                        ; implicit-def: $vgpr21
	s_and_saveexec_b32 s1, s9
	s_cbranch_execnz .LBB1815_133
.LBB1815_39:
	s_or_b32 exec_lo, exec_lo, s1
                                        ; implicit-def: $vgpr22
	s_and_saveexec_b32 s1, s10
	s_cbranch_execz .LBB1815_134
.LBB1815_40:
	flat_load_b32 v22, v0, s[24:25] offset:8192 scale_offset
	s_wait_loadcnt_dscnt 0x0
	v_cvt_f32_u32_e32 v22, v22
	s_or_b32 exec_lo, exec_lo, s1
                                        ; implicit-def: $vgpr23
	s_and_saveexec_b32 s1, s11
	s_cbranch_execnz .LBB1815_135
.LBB1815_41:
	s_or_b32 exec_lo, exec_lo, s1
                                        ; implicit-def: $vgpr24
	s_and_saveexec_b32 s1, s12
	s_cbranch_execz .LBB1815_43
.LBB1815_42:
	flat_load_b32 v24, v0, s[24:25] offset:10240 scale_offset
	s_wait_loadcnt_dscnt 0x0
	v_cvt_f32_u32_e32 v24, v24
.LBB1815_43:
	s_or_b32 exec_lo, exec_lo, s1
	v_mul_u32_u24_e32 v60, 12, v0
                                        ; implicit-def: $vgpr25
	s_and_saveexec_b32 s1, s13
	s_cbranch_execz .LBB1815_45
; %bb.44:
	flat_load_b32 v25, v0, s[24:25] offset:11264 scale_offset
	s_wait_loadcnt_dscnt 0x0
	v_cvt_f32_u32_e32 v25, v25
.LBB1815_45:
	s_or_b32 exec_lo, exec_lo, s1
	ds_store_2addr_stride64_b32 v1, v14, v15 offset1:4
	ds_store_2addr_stride64_b32 v1, v16, v17 offset0:8 offset1:12
	ds_store_2addr_stride64_b32 v1, v18, v19 offset0:16 offset1:20
	ds_store_2addr_stride64_b32 v1, v20, v21 offset0:24 offset1:28
	ds_store_2addr_stride64_b32 v1, v22, v23 offset0:32 offset1:36
	ds_store_2addr_stride64_b32 v1, v24, v25 offset0:40 offset1:44
	v_cmp_gt_u32_e32 vcc_lo, s39, v60
	v_dual_mov_b32 v32, 0 :: v_dual_mov_b32 v58, 0
	v_dual_mov_b32 v30, 0 :: v_dual_mov_b32 v59, 0
	;; [unrolled: 1-line block ×22, first 2 shown]
	s_mov_b32 s14, 0
	s_mov_b32 s5, 0
	s_wait_dscnt 0x0
	s_barrier_signal -1
	s_barrier_wait -1
                                        ; implicit-def: $sgpr15
	s_and_saveexec_b32 s37, vcc_lo
	s_cbranch_execz .LBB1815_69
; %bb.46:
	ds_load_b32 v27, v31
	v_dual_mov_b32 v30, 0 :: v_dual_bitop2_b32 v1, 1, v60 bitop3:0x54
	v_dual_mov_b32 v32, 0 :: v_dual_mov_b32 v33, 0
	v_dual_mov_b32 v34, 0 :: v_dual_mov_b32 v56, 0
	s_delay_alu instid0(VALU_DEP_3)
	v_cmp_gt_u32_e64 s1, s39, v1
	v_dual_mov_b32 v36, 0 :: v_dual_mov_b32 v35, 0
	v_dual_mov_b32 v57, 0 :: v_dual_mov_b32 v38, 0
	;; [unrolled: 1-line block ×18, first 2 shown]
	s_mov_b32 s4, 0
	v_cmp_ne_u32_e32 vcc_lo, v10, v11
                                        ; implicit-def: $sgpr15
	s_and_saveexec_b32 s38, s1
	s_cbranch_execz .LBB1815_68
; %bb.47:
	ds_load_2addr_b32 v[14:15], v31 offset0:1 offset1:2
	v_dual_mov_b32 v30, 0 :: v_dual_bitop2_b32 v1, 2, v60 bitop3:0x54
	v_cmp_ne_u32_e64 s1, v11, v12
	v_dual_mov_b32 v32, 0 :: v_dual_mov_b32 v33, 0
	s_delay_alu instid0(VALU_DEP_3)
	v_cmp_gt_u32_e64 s4, s39, v1
	v_dual_mov_b32 v34, 0 :: v_dual_mov_b32 v36, 0
	v_dual_mov_b32 v35, 0 :: v_dual_mov_b32 v38, 0
	;; [unrolled: 1-line block ×17, first 2 shown]
                                        ; implicit-def: $sgpr15
	s_and_saveexec_b32 s40, s4
	s_cbranch_execz .LBB1815_67
; %bb.48:
	v_dual_mov_b32 v30, 0 :: v_dual_bitop2_b32 v1, 3, v60 bitop3:0x54
	v_cmp_ne_u32_e64 s4, v12, v13
	v_dual_mov_b32 v32, 0 :: v_dual_mov_b32 v33, 0
	s_delay_alu instid0(VALU_DEP_3)
	v_cmp_gt_u32_e64 s5, s39, v1
	v_dual_mov_b32 v34, 0 :: v_dual_mov_b32 v36, 0
	v_dual_mov_b32 v35, 0 :: v_dual_mov_b32 v38, 0
	;; [unrolled: 1-line block ×15, first 2 shown]
	s_mov_b32 s6, 0
                                        ; implicit-def: $sgpr15
	s_and_saveexec_b32 s41, s5
	s_cbranch_execz .LBB1815_66
; %bb.49:
	ds_load_2addr_b32 v[10:11], v31 offset0:3 offset1:4
	v_dual_mov_b32 v30, 0 :: v_dual_add_nc_u32 v1, 4, v60
	v_cmp_ne_u32_e64 s5, v13, v6
	v_dual_mov_b32 v32, 0 :: v_dual_mov_b32 v33, 0
	s_delay_alu instid0(VALU_DEP_3)
	v_cmp_gt_u32_e64 s6, s39, v1
	v_dual_mov_b32 v34, 0 :: v_dual_mov_b32 v36, 0
	v_dual_mov_b32 v35, 0 :: v_dual_mov_b32 v38, 0
	;; [unrolled: 1-line block ×13, first 2 shown]
	s_mov_b32 s7, 0
                                        ; implicit-def: $sgpr15
	s_and_saveexec_b32 s42, s6
	s_cbranch_execz .LBB1815_65
; %bb.50:
	v_dual_mov_b32 v30, 0 :: v_dual_add_nc_u32 v1, 5, v60
	v_cmp_ne_u32_e64 s6, v6, v7
	v_dual_mov_b32 v32, 0 :: v_dual_mov_b32 v33, 0
	s_delay_alu instid0(VALU_DEP_3)
	v_cmp_gt_u32_e64 s7, s39, v1
	v_dual_mov_b32 v34, 0 :: v_dual_mov_b32 v36, 0
	v_dual_mov_b32 v35, 0 :: v_dual_mov_b32 v38, 0
	;; [unrolled: 1-line block ×11, first 2 shown]
	s_mov_b32 s8, 0
                                        ; implicit-def: $sgpr15
	s_and_saveexec_b32 s43, s7
	s_cbranch_execz .LBB1815_64
; %bb.51:
	ds_load_2addr_b32 v[12:13], v31 offset0:5 offset1:6
	v_dual_mov_b32 v30, 0 :: v_dual_add_nc_u32 v1, 6, v60
	v_cmp_ne_u32_e64 s7, v7, v8
	v_dual_mov_b32 v32, 0 :: v_dual_mov_b32 v33, 0
	s_delay_alu instid0(VALU_DEP_3)
	v_cmp_gt_u32_e64 s8, s39, v1
	v_dual_mov_b32 v34, 0 :: v_dual_mov_b32 v36, 0
	v_dual_mov_b32 v35, 0 :: v_dual_mov_b32 v38, 0
	;; [unrolled: 1-line block ×9, first 2 shown]
	s_mov_b32 s9, 0
                                        ; implicit-def: $sgpr15
	s_and_saveexec_b32 s44, s8
	s_cbranch_execz .LBB1815_63
; %bb.52:
	v_dual_mov_b32 v30, 0 :: v_dual_add_nc_u32 v1, 7, v60
	v_cmp_ne_u32_e64 s8, v8, v9
	v_dual_mov_b32 v32, 0 :: v_dual_mov_b32 v33, 0
	s_delay_alu instid0(VALU_DEP_3)
	v_cmp_gt_u32_e64 s9, s39, v1
	v_dual_mov_b32 v34, 0 :: v_dual_mov_b32 v36, 0
	v_dual_mov_b32 v35, 0 :: v_dual_mov_b32 v38, 0
	v_dual_mov_b32 v37, 0 :: v_dual_mov_b32 v21, 0
	v_dual_mov_b32 v16, 0 :: v_dual_mov_b32 v48, 0
	v_dual_mov_b32 v1, 0 :: v_dual_mov_b32 v47, 0
	v_dual_mov_b32 v17, 0 :: v_dual_mov_b32 v24, 0
	v_dual_mov_b32 v18, 0 :: v_dual_mov_b32 v26, 0
	s_mov_b32 s10, 0
                                        ; implicit-def: $sgpr15
	s_and_saveexec_b32 s45, s9
	s_cbranch_execz .LBB1815_62
; %bb.53:
	ds_load_2addr_b32 v[6:7], v31 offset0:7 offset1:8
	v_dual_mov_b32 v30, 0 :: v_dual_add_nc_u32 v1, 8, v60
	v_cmp_ne_u32_e64 s9, v9, v2
	v_dual_mov_b32 v32, 0 :: v_dual_mov_b32 v33, 0
	s_delay_alu instid0(VALU_DEP_3)
	v_cmp_gt_u32_e64 s10, s39, v1
	v_dual_mov_b32 v34, 0 :: v_dual_mov_b32 v36, 0
	v_dual_mov_b32 v35, 0 :: v_dual_mov_b32 v21, 0
	;; [unrolled: 1-line block ×5, first 2 shown]
	s_mov_b32 s11, 0
                                        ; implicit-def: $sgpr15
	s_and_saveexec_b32 s46, s10
	s_cbranch_execz .LBB1815_61
; %bb.54:
	v_dual_mov_b32 v30, 0 :: v_dual_add_nc_u32 v1, 9, v60
	v_cmp_ne_u32_e64 s10, v2, v3
	v_dual_mov_b32 v32, 0 :: v_dual_mov_b32 v33, 0
	s_delay_alu instid0(VALU_DEP_3)
	v_cmp_gt_u32_e64 s11, s39, v1
	v_dual_mov_b32 v34, 0 :: v_dual_mov_b32 v21, 0
	v_dual_mov_b32 v1, 0 :: v_dual_mov_b32 v47, 0
	s_mov_b32 s12, 0
                                        ; implicit-def: $sgpr15
	s_and_saveexec_b32 s47, s11
	s_cbranch_execz .LBB1815_60
; %bb.55:
	ds_load_2addr_b32 v[8:9], v31 offset0:9 offset1:10
	v_dual_mov_b32 v30, 0 :: v_dual_add_nc_u32 v1, 10, v60
	v_cmp_ne_u32_e64 s11, v3, v4
	v_dual_mov_b32 v32, 0 :: v_dual_mov_b32 v21, 0
	s_mov_b32 s13, 0
	s_mov_b32 s48, exec_lo
                                        ; implicit-def: $sgpr15
	v_cmpx_gt_u32_e64 s39, v1
	s_cbranch_execz .LBB1815_59
; %bb.56:
	v_dual_add_nc_u32 v1, 11, v60 :: v_dual_mov_b32 v21, 0
	v_cmp_ne_u32_e64 s12, v4, v5
                                        ; implicit-def: $sgpr15
	s_delay_alu instid0(VALU_DEP_2) | instskip(SKIP_2) | instid1(SALU_CYCLE_1)
	v_cmp_gt_u32_e64 s13, s39, v1
	s_mov_b32 s39, 0
	s_and_saveexec_b32 s49, s13
	s_xor_b32 s13, exec_lo, s49
	s_cbranch_execz .LBB1815_58
; %bb.57:
	ds_load_b32 v1, v31 offset:44
	v_cmp_ne_u32_e64 s15, v5, v54
	s_mov_b32 s39, exec_lo
	s_wait_dscnt 0x0
	v_cndmask_b32_e64 v21, v1, s33, s15
.LBB1815_58:
	s_or_b32 exec_lo, exec_lo, s13
	v_cndmask_b32_e64 v30, 0, 1, s12
	s_wait_dscnt 0x0
	v_cndmask_b32_e64 v32, v9, s33, s12
	s_and_b32 s13, s39, exec_lo
.LBB1815_59:
	s_or_b32 exec_lo, exec_lo, s48
	s_wait_dscnt 0x0
	v_cndmask_b32_e64 v33, v8, s33, s11
	v_cndmask_b32_e64 v34, 0, 1, s11
	s_and_b32 s12, s13, exec_lo
	s_delay_alu instid0(VALU_DEP_1)
	v_dual_mov_b32 v1, v33 :: v_dual_mov_b32 v47, v34
.LBB1815_60:
	s_or_b32 exec_lo, exec_lo, s47
	s_wait_dscnt 0x0
	v_cndmask_b32_e64 v36, v7, s33, s10
	v_cndmask_b32_e64 v35, 0, 1, s10
	v_dual_mov_b32 v16, v32 :: v_dual_mov_b32 v48, v30
	s_and_b32 s11, s12, exec_lo
	s_delay_alu instid0(VALU_DEP_2)
	v_dual_mov_b32 v17, v36 :: v_dual_mov_b32 v24, v35
.LBB1815_61:
	s_or_b32 exec_lo, exec_lo, s46
	s_wait_dscnt 0x0
	v_cndmask_b32_e64 v38, v6, s33, s9
	v_cndmask_b32_e64 v37, 0, 1, s9
	s_and_b32 s10, s11, exec_lo
	s_delay_alu instid0(VALU_DEP_1)
	v_dual_mov_b32 v18, v38 :: v_dual_mov_b32 v26, v37
.LBB1815_62:
	s_or_b32 exec_lo, exec_lo, s45
	s_wait_dscnt 0x0
	v_cndmask_b32_e64 v40, v13, s33, s8
	v_cndmask_b32_e64 v39, 0, 1, s8
	s_and_b32 s9, s10, exec_lo
	s_delay_alu instid0(VALU_DEP_1)
	v_dual_mov_b32 v19, v40 :: v_dual_mov_b32 v49, v39
.LBB1815_63:
	s_or_b32 exec_lo, exec_lo, s44
	s_wait_dscnt 0x0
	v_cndmask_b32_e64 v42, v12, s33, s7
	v_cndmask_b32_e64 v41, 0, 1, s7
	s_and_b32 s8, s9, exec_lo
	s_delay_alu instid0(VALU_DEP_1)
	v_dual_mov_b32 v20, v42 :: v_dual_mov_b32 v50, v41
.LBB1815_64:
	s_or_b32 exec_lo, exec_lo, s43
	s_wait_dscnt 0x0
	v_cndmask_b32_e64 v44, v11, s33, s6
	v_cndmask_b32_e64 v43, 0, 1, s6
	s_and_b32 s7, s8, exec_lo
	s_delay_alu instid0(VALU_DEP_1)
	v_dual_mov_b32 v22, v44 :: v_dual_mov_b32 v52, v43
.LBB1815_65:
	s_or_b32 exec_lo, exec_lo, s42
	v_cndmask_b32_e64 v45, 0, 1, s5
	s_wait_dscnt 0x0
	v_cndmask_b32_e64 v46, v10, s33, s5
	s_and_b32 s6, s7, exec_lo
	s_delay_alu instid0(VALU_DEP_1)
	v_dual_mov_b32 v55, v45 :: v_dual_mov_b32 v23, v46
.LBB1815_66:
	s_or_b32 exec_lo, exec_lo, s41
	v_cndmask_b32_e64 v51, 0, 1, s4
	s_wait_dscnt 0x0
	v_cndmask_b32_e64 v53, v15, s33, s4
	s_and_b32 s5, s6, exec_lo
	s_delay_alu instid0(VALU_DEP_1)
	v_dual_mov_b32 v28, v51 :: v_dual_mov_b32 v25, v53
.LBB1815_67:
	s_or_b32 exec_lo, exec_lo, s40
	v_cndmask_b32_e64 v56, 0, 1, s1
	s_wait_dscnt 0x0
	v_cndmask_b32_e64 v57, v14, s33, s1
	s_and_b32 s4, s5, exec_lo
	s_delay_alu instid0(VALU_DEP_1)
	v_dual_mov_b32 v29, v56 :: v_dual_mov_b32 v15, v57
.LBB1815_68:
	s_or_b32 exec_lo, exec_lo, s38
	s_wait_dscnt 0x0
	v_cndmask_b32_e64 v59, v27, s33, vcc_lo
	v_cndmask_b32_e64 v58, 0, 1, vcc_lo
	s_and_b32 s5, s4, exec_lo
	s_delay_alu instid0(VALU_DEP_2)
	v_mov_b32_e32 v27, v59
.LBB1815_69:
	s_or_b32 exec_lo, exec_lo, s37
	v_lshlrev_b32_e32 v14, 2, v0
	s_and_b32 vcc_lo, exec_lo, s14
	s_cbranch_vccnz .LBB1815_71
	s_branch .LBB1815_76
.LBB1815_70:
                                        ; implicit-def: $sgpr15
                                        ; implicit-def: $vgpr58
                                        ; implicit-def: $vgpr32
                                        ; implicit-def: $vgpr30
                                        ; implicit-def: $vgpr59
                                        ; implicit-def: $vgpr33
                                        ; implicit-def: $vgpr34
                                        ; implicit-def: $vgpr56
                                        ; implicit-def: $vgpr36
                                        ; implicit-def: $vgpr35
                                        ; implicit-def: $vgpr57
                                        ; implicit-def: $vgpr38
                                        ; implicit-def: $vgpr37
                                        ; implicit-def: $vgpr51
                                        ; implicit-def: $vgpr40
                                        ; implicit-def: $vgpr39
                                        ; implicit-def: $vgpr53
                                        ; implicit-def: $vgpr42
                                        ; implicit-def: $vgpr41
                                        ; implicit-def: $vgpr45
                                        ; implicit-def: $vgpr44
                                        ; implicit-def: $vgpr43
                                        ; implicit-def: $vgpr46
                                        ; implicit-def: $vgpr21
                                        ; implicit-def: $vgpr16
                                        ; implicit-def: $vgpr48
                                        ; implicit-def: $vgpr27
                                        ; implicit-def: $vgpr1
                                        ; implicit-def: $vgpr47
                                        ; implicit-def: $vgpr29
                                        ; implicit-def: $vgpr17
                                        ; implicit-def: $vgpr24
                                        ; implicit-def: $vgpr15
                                        ; implicit-def: $vgpr18
                                        ; implicit-def: $vgpr26
                                        ; implicit-def: $vgpr28
                                        ; implicit-def: $vgpr19
                                        ; implicit-def: $vgpr49
                                        ; implicit-def: $vgpr25
                                        ; implicit-def: $vgpr20
                                        ; implicit-def: $vgpr50
                                        ; implicit-def: $vgpr55
                                        ; implicit-def: $vgpr22
                                        ; implicit-def: $vgpr52
                                        ; implicit-def: $vgpr23
	v_lshlrev_b32_e32 v14, 2, v0
	s_cbranch_execz .LBB1815_76
.LBB1815_71:
	s_clause 0xb
	flat_load_b32 v1, v0, s[34:35] scale_offset
	flat_load_b32 v2, v0, s[34:35] offset:1024 scale_offset
	flat_load_b32 v3, v0, s[34:35] offset:2048 scale_offset
	;; [unrolled: 1-line block ×11, first 2 shown]
	v_mov_b32_e32 v13, 0
	v_mad_u32_u24 v15, v0, 44, v14
	s_mov_b32 s1, exec_lo
	s_wait_loadcnt_dscnt 0xa0a
	ds_store_2addr_stride64_b32 v14, v1, v2 offset1:4
	s_wait_loadcnt_dscnt 0x809
	ds_store_2addr_stride64_b32 v14, v3, v4 offset0:8 offset1:12
	s_wait_loadcnt_dscnt 0x608
	ds_store_2addr_stride64_b32 v14, v5, v6 offset0:16 offset1:20
	;; [unrolled: 2-line block ×5, first 2 shown]
	s_wait_dscnt 0x0
	s_barrier_signal -1
	s_barrier_wait -1
	flat_load_b32 v1, v13, s[34:35] offset:12288
	s_wait_xcnt 0x0
	ds_load_b128 v[10:13], v15
	ds_load_b128 v[6:9], v15 offset:16
	ds_load_b128 v[2:5], v15 offset:32
	v_mad_i32_i24 v16, 0xffffffd4, v0, v15
	s_wait_dscnt 0x2
	ds_store_b32 v16, v10 offset:13312
	s_wait_loadcnt_dscnt 0x0
	s_barrier_signal -1
	s_barrier_wait -1
	v_cmpx_ne_u32_e32 0xff, v0
; %bb.72:
	v_mul_i32_i24_e32 v1, 0xffffffd4, v0
	s_delay_alu instid0(VALU_DEP_1)
	v_add_nc_u32_e32 v1, v15, v1
	ds_load_b32 v1, v1 offset:13316
; %bb.73:
	s_or_b32 exec_lo, exec_lo, s1
	s_wait_dscnt 0x0
	s_barrier_signal -1
	s_barrier_wait -1
	s_clause 0xb
	flat_load_b32 v16, v0, s[24:25] scale_offset
	flat_load_b32 v17, v0, s[24:25] offset:1024 scale_offset
	flat_load_b32 v18, v0, s[24:25] offset:2048 scale_offset
	;; [unrolled: 1-line block ×11, first 2 shown]
	v_mov_b32_e32 v59, s33
	s_mov_b32 s4, exec_lo
	v_cmp_ne_u32_e32 vcc_lo, v10, v11
	s_wait_loadcnt_dscnt 0xb0b
	v_cvt_f32_u32_e32 v16, v16
	s_wait_loadcnt_dscnt 0xa0a
	v_cvt_f32_u32_e32 v17, v17
	;; [unrolled: 2-line block ×12, first 2 shown]
	ds_store_2addr_stride64_b32 v14, v16, v17 offset1:4
	ds_store_2addr_stride64_b32 v14, v18, v19 offset0:8 offset1:12
	ds_store_2addr_stride64_b32 v14, v20, v21 offset0:16 offset1:20
	;; [unrolled: 1-line block ×5, first 2 shown]
	s_wait_dscnt 0x0
	s_barrier_signal -1
	s_barrier_wait -1
	ds_load_2addr_b32 v[24:25], v15 offset0:1 offset1:2
	ds_load_2addr_b32 v[22:23], v15 offset0:3 offset1:4
	;; [unrolled: 1-line block ×5, first 2 shown]
	ds_load_b32 v26, v15 offset:44
	v_cmpx_eq_u32_e64 v10, v11
; %bb.74:
	ds_load_b32 v59, v15
; %bb.75:
	s_or_b32 exec_lo, exec_lo, s4
	v_cndmask_b32_e64 v58, 0, 1, vcc_lo
	v_cmp_ne_u32_e32 vcc_lo, v11, v12
	v_cmp_ne_u32_e64 s1, v12, v13
	v_cmp_ne_u32_e64 s4, v13, v6
	;; [unrolled: 1-line block ×9, first 2 shown]
	v_cndmask_b32_e64 v56, 0, 1, vcc_lo
	v_cndmask_b32_e64 v51, 0, 1, s1
	v_cndmask_b32_e64 v45, 0, 1, s4
	;; [unrolled: 1-line block ×9, first 2 shown]
	s_wait_dscnt 0x5
	v_cndmask_b32_e64 v57, v24, s33, vcc_lo
	v_cndmask_b32_e64 v53, v25, s33, s1
	s_wait_dscnt 0x4
	v_cndmask_b32_e64 v46, v22, s33, s4
	v_cndmask_b32_e64 v44, v23, s33, s5
	s_wait_dscnt 0x3
	v_cndmask_b32_e64 v42, v20, s33, s6
	;; [unrolled: 3-line block ×3, first 2 shown]
	s_wait_dscnt 0x1
	v_cndmask_b32_e64 v32, v19, s33, s11
	v_cndmask_b32_e64 v36, v17, s33, s9
	;; [unrolled: 1-line block ×3, first 2 shown]
	v_cmp_ne_u32_e64 s15, v5, v1
	s_delay_alu instid0(VALU_DEP_4) | instskip(SKIP_1) | instid1(VALU_DEP_3)
	v_dual_mov_b32 v48, v30 :: v_dual_mov_b32 v16, v32
	s_wait_dscnt 0x0
	v_dual_mov_b32 v27, v59 :: v_dual_mov_b32 v1, v33
	s_delay_alu instid0(VALU_DEP_3)
	v_cndmask_b32_e64 v21, v26, s33, s15
	v_dual_mov_b32 v47, v34 :: v_dual_mov_b32 v29, v56
	v_dual_mov_b32 v17, v36 :: v_dual_mov_b32 v24, v35
	v_dual_mov_b32 v15, v57 :: v_dual_mov_b32 v18, v38
	v_dual_mov_b32 v26, v37 :: v_dual_mov_b32 v28, v51
	v_dual_mov_b32 v19, v40 :: v_dual_mov_b32 v49, v39
	v_dual_mov_b32 v25, v53 :: v_dual_mov_b32 v20, v42
	v_dual_mov_b32 v50, v41 :: v_dual_mov_b32 v55, v45
	v_dual_mov_b32 v22, v44 :: v_dual_mov_b32 v52, v43
	v_mov_b32_e32 v23, v46
	s_mov_b32 s5, -1
.LBB1815_76:
	v_mov_b32_e32 v31, 0
	s_and_saveexec_b32 s1, s5
	s_cbranch_execz .LBB1815_78
; %bb.77:
	v_cndmask_b32_e64 v31, 0, 1, s15
	v_dual_mov_b32 v23, v46 :: v_dual_mov_b32 v52, v43
	v_dual_mov_b32 v22, v44 :: v_dual_mov_b32 v55, v45
	;; [unrolled: 1-line block ×10, first 2 shown]
	v_mov_b32_e32 v16, v32
.LBB1815_78:
	s_or_b32 exec_lo, exec_lo, s1
	v_or_b32_e32 v2, v55, v52
	v_and_b32_e32 v32, 1, v31
	v_dual_add_f32 v43, v15, v27 :: v_dual_lshrrev_b32 v34, 2, v0
	v_or_b32_e32 v33, v48, v47
	v_and_b32_e32 v30, 0xff, v58
	v_and_b32_e32 v46, 0xff, v29
	;; [unrolled: 1-line block ×9, first 2 shown]
	v_bitop3_b16 v36, v2, v49, v50 bitop3:0xfe
	v_and_b32_e32 v37, 0xff, v47
	v_and_b32_e32 v35, 0xff, v48
	v_cmp_eq_u16_e64 s13, 0, v31
	v_cmp_eq_u32_e64 s14, 1, v32
	s_cmp_lg_u32 s36, 0
	v_cmp_gt_u32_e32 vcc_lo, 32, v0
	s_barrier_signal -1
	s_barrier_wait -1
	s_cbranch_scc0 .LBB1815_136
; %bb.79:
	v_cmp_eq_u16_e64 s1, 0, v46
	v_cmp_eq_u16_e64 s4, 0, v45
	;; [unrolled: 1-line block ×5, first 2 shown]
	v_dual_cndmask_b32 v2, v15, v43, s1 :: v_dual_bitop2_b32 v4, 56, v34 bitop3:0x40
	v_cmp_eq_u16_e64 s8, 0, v40
	v_cmp_eq_u16_e64 s9, 0, v39
	;; [unrolled: 1-line block ×3, first 2 shown]
	s_delay_alu instid0(VALU_DEP_4)
	v_add_f32_e32 v2, v25, v2
	v_cmp_eq_u16_e64 s11, 0, v37
	v_bitop3_b16 v3, v36, v26, v28 bitop3:0xfe
	v_cmp_eq_u16_e64 s12, 0, v35
	v_lshl_add_u32 v4, v0, 3, v4
	v_cndmask_b32_e64 v2, v25, v2, s4
	s_delay_alu instid0(VALU_DEP_4) | instskip(NEXT) | instid1(VALU_DEP_2)
	v_bitop3_b16 v3, v3, v29, v24 bitop3:0xfe
	v_add_f32_e32 v2, v23, v2
	s_delay_alu instid0(VALU_DEP_2) | instskip(NEXT) | instid1(VALU_DEP_2)
	v_bitop3_b16 v3, v33, 0xff, v3 bitop3:0xc8
	v_cndmask_b32_e64 v2, v23, v2, s5
	s_delay_alu instid0(VALU_DEP_2) | instskip(NEXT) | instid1(VALU_DEP_2)
	v_cmp_eq_u16_e64 s15, 0, v3
	v_add_f32_e32 v2, v22, v2
	s_delay_alu instid0(VALU_DEP_2) | instskip(NEXT) | instid1(VALU_DEP_2)
	v_cndmask_b32_e64 v3, 1, v30, s15
	v_cndmask_b32_e64 v2, v22, v2, s6
	s_delay_alu instid0(VALU_DEP_2) | instskip(NEXT) | instid1(VALU_DEP_2)
	v_cndmask_b32_e64 v13, v3, 1, s14
	v_add_f32_e32 v2, v20, v2
	s_delay_alu instid0(VALU_DEP_1) | instskip(NEXT) | instid1(VALU_DEP_1)
	v_cndmask_b32_e64 v2, v20, v2, s7
	v_add_f32_e32 v2, v19, v2
	s_delay_alu instid0(VALU_DEP_1) | instskip(NEXT) | instid1(VALU_DEP_1)
	;; [unrolled: 3-line block ×6, first 2 shown]
	v_cndmask_b32_e64 v2, v16, v2, s12
	v_add_f32_e32 v2, v21, v2
	s_delay_alu instid0(VALU_DEP_1)
	v_cndmask_b32_e64 v12, v21, v2, s13
	ds_store_b32 v4, v12
	ds_store_b8 v4, v13 offset:4
	s_wait_dscnt 0x0
	s_barrier_signal -1
	s_barrier_wait -1
	s_and_saveexec_b32 s15, vcc_lo
	s_cbranch_execz .LBB1815_91
; %bb.80:
	v_dual_lshlrev_b32 v2, 1, v0 :: v_dual_lshlrev_b32 v3, 6, v0
	s_mov_b32 s24, exec_lo
	s_delay_alu instid0(VALU_DEP_1) | instskip(NEXT) | instid1(VALU_DEP_1)
	v_and_b32_e32 v2, 0x1f8, v2
	v_add_nc_u32_e32 v4, v2, v3
	ds_load_2addr_b32 v[6:7], v4 offset0:2 offset1:4
	ds_load_b64 v[2:3], v4
	ds_load_u8 v5, v4 offset:12
	ds_load_2addr_b32 v[8:9], v4 offset0:6 offset1:8
	ds_load_u8 v10, v4 offset:20
	ds_load_u8 v11, v4 offset:28
	;; [unrolled: 1-line block ×5, first 2 shown]
	ds_load_b32 v50, v4 offset:56
	s_wait_dscnt 0x8
	v_add_f32_e32 v51, v2, v6
	s_wait_dscnt 0x7
	v_cmp_eq_u16_e64 s13, 0, v5
	s_wait_dscnt 0x5
	v_or_b32_e32 v5, v10, v5
	s_delay_alu instid0(VALU_DEP_2) | instskip(SKIP_2) | instid1(VALU_DEP_3)
	v_cndmask_b32_e64 v6, v6, v51, s13
	v_cmp_eq_u16_e64 s13, 0, v10
	s_wait_dscnt 0x3
	v_bitop3_b16 v5, v5, v47, v11 bitop3:0xfe
	s_delay_alu instid0(VALU_DEP_3) | instskip(NEXT) | instid1(VALU_DEP_1)
	v_add_f32_e32 v6, v7, v6
	v_cndmask_b32_e64 v51, v7, v6, s13
	ds_load_2addr_b32 v[6:7], v4 offset0:10 offset1:12
	v_cmp_eq_u16_e64 s13, 0, v11
	v_and_b32_e32 v11, 0xffffff00, v3
	v_add_f32_e32 v51, v8, v51
	s_delay_alu instid0(VALU_DEP_1) | instskip(SKIP_3) | instid1(VALU_DEP_1)
	v_cndmask_b32_e64 v8, v8, v51, s13
	v_cmp_eq_u16_e64 s13, 0, v47
	ds_load_u8 v51, v4 offset:60
	v_add_f32_e32 v8, v9, v8
	v_cndmask_b32_e64 v8, v9, v8, s13
	s_wait_dscnt 0x4
	v_cmp_eq_u16_e64 s13, 0, v48
	s_wait_dscnt 0x1
	s_delay_alu instid0(VALU_DEP_2) | instskip(NEXT) | instid1(VALU_DEP_1)
	v_add_f32_e32 v8, v6, v8
	v_cndmask_b32_e64 v6, v6, v8, s13
	v_bitop3_b16 v8, v5, v49, v48 bitop3:0xfe
	v_and_b32_e32 v5, 1, v3
	s_wait_dscnt 0x0
	v_and_b32_e32 v9, 1, v51
	s_delay_alu instid0(VALU_DEP_3) | instskip(NEXT) | instid1(VALU_DEP_1)
	v_cmp_eq_u16_e64 s13, 0, v8
	v_dual_add_f32 v6, v7, v6 :: v_dual_cndmask_b32 v8, 1, v5, s13
	v_cmp_eq_u16_e64 s13, 0, v49
	s_delay_alu instid0(VALU_DEP_1) | instskip(SKIP_1) | instid1(VALU_DEP_1)
	v_cndmask_b32_e64 v6, v7, v6, s13
	v_cmp_eq_u32_e64 s13, 1, v9
	v_cndmask_b32_e64 v9, v8, 1, s13
	v_cmp_eq_u16_e64 s13, 0, v51
	s_delay_alu instid0(VALU_DEP_2) | instskip(SKIP_1) | instid1(VALU_DEP_2)
	v_dual_add_f32 v7, v50, v6 :: v_dual_bitop2_b32 v8, v9, v11 bitop3:0x54
	v_mbcnt_lo_u32_b32 v6, -1, 0
	v_mov_b32_dpp v48, v8 row_shr:1 row_mask:0xf bank_mask:0xf
	s_delay_alu instid0(VALU_DEP_2) | instskip(NEXT) | instid1(VALU_DEP_1)
	v_dual_cndmask_b32 v7, v50, v7, s13 :: v_dual_bitop2_b32 v10, 15, v6 bitop3:0x40
	v_mov_b32_dpp v47, v7 row_shr:1 row_mask:0xf bank_mask:0xf
	s_delay_alu instid0(VALU_DEP_2)
	v_cmpx_ne_u32_e32 0, v10
	s_cbranch_execz .LBB1815_82
; %bb.81:
	s_delay_alu instid0(VALU_DEP_2) | instskip(SKIP_2) | instid1(VALU_DEP_3)
	v_dual_add_f32 v47, v7, v47 :: v_dual_bitop2_b32 v8, 1, v9 bitop3:0x40
	v_cmp_eq_u32_e64 s13, 0, v9
	v_and_b32_e32 v48, 1, v48
	v_cmp_eq_u32_e64 s14, 1, v8
	s_delay_alu instid0(VALU_DEP_3) | instskip(NEXT) | instid1(VALU_DEP_2)
	v_cndmask_b32_e64 v7, v7, v47, s13
	v_cndmask_b32_e64 v9, v48, 1, s14
	s_delay_alu instid0(VALU_DEP_1)
	v_or_b32_e32 v8, v9, v11
.LBB1815_82:
	s_or_b32 exec_lo, exec_lo, s24
	s_delay_alu instid0(VALU_DEP_3) | instskip(NEXT) | instid1(VALU_DEP_2)
	v_mov_b32_dpp v11, v7 row_shr:2 row_mask:0xf bank_mask:0xf
	v_mov_b32_dpp v47, v8 row_shr:2 row_mask:0xf bank_mask:0xf
	s_mov_b32 s24, exec_lo
	v_cmpx_lt_u32_e32 1, v10
	s_cbranch_execz .LBB1815_84
; %bb.83:
	v_dual_add_f32 v11, v7, v11 :: v_dual_bitop2_b32 v48, 1, v9 bitop3:0x40
	v_and_b32_e32 v47, 1, v47
	v_cmp_eq_u32_e64 s13, 0, v9
	s_delay_alu instid0(VALU_DEP_3) | instskip(NEXT) | instid1(VALU_DEP_2)
	v_cmp_eq_u32_e64 s14, 1, v48
	v_cndmask_b32_e64 v7, v7, v11, s13
	s_delay_alu instid0(VALU_DEP_2) | instskip(NEXT) | instid1(VALU_DEP_1)
	v_cndmask_b32_e64 v9, v47, 1, s14
	v_and_or_b32 v8, 0xffffff00, v8, v9
.LBB1815_84:
	s_or_b32 exec_lo, exec_lo, s24
	s_delay_alu instid0(VALU_DEP_3) | instskip(NEXT) | instid1(VALU_DEP_2)
	v_mov_b32_dpp v11, v7 row_shr:4 row_mask:0xf bank_mask:0xf
	v_mov_b32_dpp v47, v8 row_shr:4 row_mask:0xf bank_mask:0xf
	s_mov_b32 s24, exec_lo
	v_cmpx_lt_u32_e32 3, v10
	s_cbranch_execz .LBB1815_86
; %bb.85:
	v_dual_add_f32 v11, v7, v11 :: v_dual_bitop2_b32 v48, 1, v9 bitop3:0x40
	v_and_b32_e32 v47, 1, v47
	v_cmp_eq_u32_e64 s13, 0, v9
	s_delay_alu instid0(VALU_DEP_3) | instskip(NEXT) | instid1(VALU_DEP_2)
	v_cmp_eq_u32_e64 s14, 1, v48
	v_cndmask_b32_e64 v7, v7, v11, s13
	s_delay_alu instid0(VALU_DEP_2) | instskip(NEXT) | instid1(VALU_DEP_1)
	v_cndmask_b32_e64 v9, v47, 1, s14
	v_and_or_b32 v8, 0xffffff00, v8, v9
.LBB1815_86:
	;; [unrolled: 18-line block ×3, first 2 shown]
	s_or_b32 exec_lo, exec_lo, s24
	ds_swizzle_b32 v10, v7 offset:swizzle(BROADCAST,32,15)
	ds_swizzle_b32 v11, v8 offset:swizzle(BROADCAST,32,15)
	v_and_b32_e32 v47, 16, v6
	s_mov_b32 s14, exec_lo
	s_delay_alu instid0(VALU_DEP_1)
	v_cmpx_ne_u32_e32 0, v47
	s_cbranch_execz .LBB1815_90
; %bb.89:
	s_wait_dscnt 0x1
	v_dual_add_f32 v10, v7, v10 :: v_dual_bitop2_b32 v47, 1, v9 bitop3:0x40
	s_wait_dscnt 0x0
	v_and_b32_e32 v11, 1, v11
	s_delay_alu instid0(VALU_DEP_2) | instskip(NEXT) | instid1(VALU_DEP_1)
	v_cmp_eq_u32_e64 s13, 1, v47
	v_cndmask_b32_e64 v11, v11, 1, s13
	v_cmp_eq_u32_e64 s13, 0, v9
	s_delay_alu instid0(VALU_DEP_2) | instskip(NEXT) | instid1(VALU_DEP_2)
	v_and_or_b32 v8, 0xffffff00, v8, v11
	v_cndmask_b32_e64 v7, v7, v10, s13
.LBB1815_90:
	s_or_b32 exec_lo, exec_lo, s14
	v_add_nc_u32_e32 v9, -1, v6
	v_and_b32_e32 v3, 0xff, v3
	; wave barrier
	s_delay_alu instid0(VALU_DEP_2) | instskip(NEXT) | instid1(VALU_DEP_1)
	v_cmp_gt_i32_e64 s13, 0, v9
	v_cndmask_b32_e64 v6, v9, v6, s13
	s_delay_alu instid0(VALU_DEP_3) | instskip(NEXT) | instid1(VALU_DEP_2)
	v_cmp_eq_u32_e64 s13, 0, v3
	v_lshlrev_b32_e32 v6, 2, v6
	ds_bpermute_b32 v7, v6, v7
	ds_bpermute_b32 v6, v6, v8
	s_wait_dscnt 0x0
	v_dual_add_f32 v7, v2, v7 :: v_dual_bitop2_b32 v6, 1, v6 bitop3:0x40
	s_delay_alu instid0(VALU_DEP_1) | instskip(SKIP_1) | instid1(VALU_DEP_1)
	v_cndmask_b32_e64 v2, v2, v7, s13
	v_cmp_eq_u32_e64 s13, 1, v5
	v_cndmask_b32_e64 v3, v6, 1, s13
	s_delay_alu instid0(VALU_DEP_1)
	v_dual_cndmask_b32 v5, v2, v12, s2 :: v_dual_cndmask_b32 v8, v3, v13, s2
	ds_store_b32 v4, v5
	ds_store_b8 v4, v8 offset:4
	; wave barrier
	ds_load_2addr_b32 v[2:3], v4 offset0:2 offset1:4
	ds_load_u8 v9, v4 offset:12
	ds_load_u8 v10, v4 offset:20
	ds_load_2addr_b32 v[6:7], v4 offset0:6 offset1:8
	ds_load_u8 v11, v4 offset:28
	ds_load_u8 v47, v4 offset:36
	;; [unrolled: 1-line block ×4, first 2 shown]
	ds_load_b32 v50, v4 offset:56
	ds_load_u8 v51, v4 offset:60
	s_wait_dscnt 0x9
	v_add_f32_e32 v5, v5, v2
	s_wait_dscnt 0x8
	v_cmp_eq_u16_e64 s13, 0, v9
	s_delay_alu instid0(VALU_DEP_1) | instskip(SKIP_2) | instid1(VALU_DEP_2)
	v_cndmask_b32_e64 v5, v2, v5, s13
	s_wait_dscnt 0x7
	v_cmp_eq_u16_e64 s13, 0, v10
	v_add_f32_e32 v2, v5, v3
	s_delay_alu instid0(VALU_DEP_1)
	v_cndmask_b32_e64 v52, v3, v2, s13
	s_wait_dscnt 0x5
	v_cmp_eq_u16_e64 s13, 0, v11
	ds_load_2addr_b32 v[2:3], v4 offset0:10 offset1:12
	v_add_f32_e32 v53, v52, v6
	ds_store_2addr_b32 v4, v5, v52 offset0:2 offset1:4
	v_cndmask_b32_e64 v6, v6, v53, s13
	s_delay_alu instid0(VALU_DEP_1) | instskip(NEXT) | instid1(VALU_DEP_1)
	v_dual_add_f32 v53, v6, v7 :: v_dual_bitop2_b32 v9, 1, v9 bitop3:0x40
	v_cmp_eq_u32_e64 s13, 1, v9
	s_delay_alu instid0(VALU_DEP_1) | instskip(SKIP_2) | instid1(VALU_DEP_1)
	v_cndmask_b32_e64 v8, v8, 1, s13
	s_wait_dscnt 0x6
	v_cmp_eq_u16_e64 s13, 0, v47
	v_dual_cndmask_b32 v7, v7, v53, s13 :: v_dual_bitop2_b32 v10, 1, v10 bitop3:0x40
	v_and_b32_e32 v9, 1, v11
	s_delay_alu instid0(VALU_DEP_2) | instskip(SKIP_1) | instid1(VALU_DEP_3)
	v_cmp_eq_u32_e64 s13, 1, v10
	s_wait_dscnt 0x1
	v_dual_add_f32 v47, v7, v2 :: v_dual_bitop2_b32 v11, 1, v47 bitop3:0x40
	s_delay_alu instid0(VALU_DEP_2) | instskip(SKIP_1) | instid1(VALU_DEP_1)
	v_cndmask_b32_e64 v10, v8, 1, s13
	v_cmp_eq_u32_e64 s13, 1, v9
	v_cndmask_b32_e64 v9, v10, 1, s13
	v_cmp_eq_u16_e64 s13, 0, v48
	s_delay_alu instid0(VALU_DEP_1) | instskip(SKIP_1) | instid1(VALU_DEP_2)
	v_dual_cndmask_b32 v2, v2, v47, s13 :: v_dual_bitop2_b32 v53, 1, v48 bitop3:0x40
	v_cmp_eq_u32_e64 s13, 1, v11
	v_add_f32_e32 v48, v2, v3
	s_delay_alu instid0(VALU_DEP_2) | instskip(NEXT) | instid1(VALU_DEP_4)
	v_cndmask_b32_e64 v11, v9, 1, s13
	v_cmp_eq_u32_e64 s13, 1, v53
	s_delay_alu instid0(VALU_DEP_1) | instskip(SKIP_1) | instid1(VALU_DEP_1)
	v_cndmask_b32_e64 v53, v11, 1, s13
	v_cmp_eq_u16_e64 s13, 0, v49
	v_dual_cndmask_b32 v3, v3, v48, s13 :: v_dual_bitop2_b32 v47, 1, v49 bitop3:0x40
	v_and_b32_e32 v54, 1, v51
	s_delay_alu instid0(VALU_DEP_2)
	v_cmp_eq_u32_e64 s13, 1, v47
	ds_store_2addr_b32 v4, v6, v7 offset0:6 offset1:8
	ds_store_2addr_b32 v4, v2, v3 offset0:10 offset1:12
	v_add_f32_e32 v5, v3, v50
	v_cndmask_b32_e64 v47, v53, 1, s13
	v_cmp_eq_u32_e64 s13, 1, v54
	s_delay_alu instid0(VALU_DEP_1) | instskip(SKIP_1) | instid1(VALU_DEP_1)
	v_cndmask_b32_e64 v48, v47, 1, s13
	v_cmp_eq_u16_e64 s13, 0, v51
	v_cndmask_b32_e64 v2, v50, v5, s13
	ds_store_b8 v4, v8 offset:12
	ds_store_b8 v4, v10 offset:20
	;; [unrolled: 1-line block ×6, first 2 shown]
	ds_store_b32 v4, v2 offset:56
	ds_store_b8 v4, v48 offset:60
.LBB1815_91:
	s_or_b32 exec_lo, exec_lo, s15
	s_wait_dscnt 0x0
	s_barrier_signal -1
	s_barrier_wait -1
	s_and_saveexec_b32 s13, s3
	s_cbranch_execz .LBB1815_93
; %bb.92:
	v_add_nc_u32_e32 v2, -1, v0
	s_delay_alu instid0(VALU_DEP_1) | instskip(NEXT) | instid1(VALU_DEP_1)
	v_lshrrev_b32_e32 v3, 2, v2
	v_and_b32_e32 v3, 0x3ffffff8, v3
	s_delay_alu instid0(VALU_DEP_1)
	v_lshl_add_u32 v2, v2, 3, v3
	ds_load_b32 v12, v2
	ds_load_u8 v13, v2 offset:4
.LBB1815_93:
	s_or_b32 exec_lo, exec_lo, s13
	s_and_saveexec_b32 s24, vcc_lo
	s_cbranch_execz .LBB1815_181
; %bb.94:
	v_mov_b32_e32 v5, 0
	v_mbcnt_lo_u32_b32 v47, -1, 0
	s_mov_b32 s15, 0
	ds_load_b64 v[2:3], v5 offset:2096
	v_cmp_eq_u32_e64 s13, 0, v47
	s_and_saveexec_b32 s25, s13
	s_cbranch_execz .LBB1815_96
; %bb.95:
	s_add_co_i32 s14, s36, 32
	v_mov_b32_e32 v4, 1
	s_lshl_b64 s[14:15], s[14:15], 4
	s_delay_alu instid0(SALU_CYCLE_1) | instskip(NEXT) | instid1(SALU_CYCLE_1)
	s_add_nc_u64 s[14:15], s[20:21], s[14:15]
	v_mov_b64_e32 v[6:7], s[14:15]
	s_wait_dscnt 0x0
	;;#ASMSTART
	global_store_b128 v[6:7], v[2:5] off scope:SCOPE_DEV	
s_wait_storecnt 0x0
	;;#ASMEND
.LBB1815_96:
	s_or_b32 exec_lo, exec_lo, s25
	v_xad_u32 v8, v47, -1, s36
	s_mov_b32 s14, exec_lo
	s_delay_alu instid0(VALU_DEP_1) | instskip(NEXT) | instid1(VALU_DEP_1)
	v_add_nc_u32_e32 v4, 32, v8
	v_lshl_add_u64 v[10:11], v[4:5], 4, s[20:21]
	;;#ASMSTART
	global_load_b128 v[4:7], v[10:11] off scope:SCOPE_DEV	
s_wait_loadcnt 0x0
	;;#ASMEND
	v_and_b32_e32 v7, 0xff, v6
	s_delay_alu instid0(VALU_DEP_1)
	v_cmpx_eq_u16_e32 0, v7
	s_cbranch_execz .LBB1815_100
; %bb.97:
	s_mov_b32 s15, 0
.LBB1815_98:                            ; =>This Inner Loop Header: Depth=1
	;;#ASMSTART
	global_load_b128 v[4:7], v[10:11] off scope:SCOPE_DEV	
s_wait_loadcnt 0x0
	;;#ASMEND
	v_and_b32_e32 v7, 0xff, v6
	s_delay_alu instid0(VALU_DEP_1) | instskip(SKIP_1) | instid1(SALU_CYCLE_1)
	v_cmp_ne_u16_e32 vcc_lo, 0, v7
	s_or_b32 s15, vcc_lo, s15
	s_and_not1_b32 exec_lo, exec_lo, s15
	s_cbranch_execnz .LBB1815_98
; %bb.99:
	s_or_b32 exec_lo, exec_lo, s15
.LBB1815_100:
	s_delay_alu instid0(SALU_CYCLE_1)
	s_or_b32 exec_lo, exec_lo, s14
	v_cmp_ne_u32_e32 vcc_lo, 31, v47
	v_and_b32_e32 v10, 0xff, v6
	v_and_b32_e32 v9, 0xff, v5
	v_lshlrev_b32_e64 v49, v47, -1
	s_mov_b32 s14, exec_lo
	v_add_co_ci_u32_e64 v7, null, 0, v47, vcc_lo
	v_cmp_eq_u16_e32 vcc_lo, 2, v10
	s_delay_alu instid0(VALU_DEP_2) | instskip(SKIP_4) | instid1(VALU_DEP_1)
	v_lshlrev_b32_e32 v48, 2, v7
	v_and_or_b32 v7, vcc_lo, v49, 0x80000000
	ds_bpermute_b32 v10, v48, v4
	ds_bpermute_b32 v11, v48, v9
	v_ctz_i32_b32_e32 v7, v7
	v_cmpx_lt_u32_e64 v47, v7
	s_cbranch_execz .LBB1815_102
; %bb.101:
	s_wait_dscnt 0x1
	v_dual_add_f32 v10, v4, v10 :: v_dual_bitop2_b32 v9, 1, v5 bitop3:0x40
	s_wait_dscnt 0x0
	v_and_b32_e32 v11, 1, v11
	v_and_b32_e32 v50, 0xff, v5
	s_delay_alu instid0(VALU_DEP_3) | instskip(NEXT) | instid1(VALU_DEP_3)
	v_cmp_eq_u32_e32 vcc_lo, 1, v9
	v_cndmask_b32_e64 v5, v11, 1, vcc_lo
	s_delay_alu instid0(VALU_DEP_3) | instskip(NEXT) | instid1(VALU_DEP_2)
	v_cmp_eq_u16_e32 vcc_lo, 0, v50
	v_and_b32_e32 v9, 0xffff, v5
	v_cndmask_b32_e32 v4, v4, v10, vcc_lo
.LBB1815_102:
	s_or_b32 exec_lo, exec_lo, s14
	v_cmp_gt_u32_e32 vcc_lo, 30, v47
	v_add_nc_u32_e32 v51, 2, v47
	s_mov_b32 s14, exec_lo
	s_wait_dscnt 0x1
	v_cndmask_b32_e64 v10, 0, 2, vcc_lo
	s_delay_alu instid0(VALU_DEP_1)
	v_add_lshl_u32 v50, v10, v47, 2
	ds_bpermute_b32 v10, v50, v4
	s_wait_dscnt 0x1
	ds_bpermute_b32 v11, v50, v9
	v_cmpx_le_u32_e64 v51, v7
	s_cbranch_execz .LBB1815_104
; %bb.103:
	s_wait_dscnt 0x1
	v_dual_add_f32 v10, v4, v10 :: v_dual_bitop2_b32 v9, 1, v5 bitop3:0x40
	s_wait_dscnt 0x0
	v_and_b32_e32 v11, 1, v11
	v_and_b32_e32 v52, 0xff, v5
	s_delay_alu instid0(VALU_DEP_3) | instskip(NEXT) | instid1(VALU_DEP_3)
	v_cmp_eq_u32_e32 vcc_lo, 1, v9
	v_cndmask_b32_e64 v5, v11, 1, vcc_lo
	s_delay_alu instid0(VALU_DEP_3) | instskip(NEXT) | instid1(VALU_DEP_2)
	v_cmp_eq_u16_e32 vcc_lo, 0, v52
	v_and_b32_e32 v9, 0xffff, v5
	v_cndmask_b32_e32 v4, v4, v10, vcc_lo
.LBB1815_104:
	s_or_b32 exec_lo, exec_lo, s14
	v_cmp_gt_u32_e32 vcc_lo, 28, v47
	v_add_nc_u32_e32 v53, 4, v47
	s_mov_b32 s14, exec_lo
	s_wait_dscnt 0x1
	v_cndmask_b32_e64 v10, 0, 4, vcc_lo
	s_delay_alu instid0(VALU_DEP_1)
	v_add_lshl_u32 v52, v10, v47, 2
	ds_bpermute_b32 v10, v52, v4
	s_wait_dscnt 0x1
	ds_bpermute_b32 v11, v52, v9
	v_cmpx_le_u32_e64 v53, v7
	;; [unrolled: 27-line block ×3, first 2 shown]
	s_cbranch_execz .LBB1815_108
; %bb.107:
	s_wait_dscnt 0x1
	v_dual_add_f32 v10, v4, v10 :: v_dual_bitop2_b32 v9, 1, v5 bitop3:0x40
	s_wait_dscnt 0x0
	v_and_b32_e32 v11, 1, v11
	v_and_b32_e32 v56, 0xff, v5
	s_delay_alu instid0(VALU_DEP_3) | instskip(NEXT) | instid1(VALU_DEP_3)
	v_cmp_eq_u32_e32 vcc_lo, 1, v9
	v_cndmask_b32_e64 v5, v11, 1, vcc_lo
	s_delay_alu instid0(VALU_DEP_3) | instskip(NEXT) | instid1(VALU_DEP_2)
	v_cmp_eq_u16_e32 vcc_lo, 0, v56
	v_and_b32_e32 v9, 0xffff, v5
	v_cndmask_b32_e32 v4, v4, v10, vcc_lo
.LBB1815_108:
	s_or_b32 exec_lo, exec_lo, s14
	v_lshl_or_b32 v58, v47, 2, 64
	v_add_nc_u32_e32 v59, 16, v47
	s_mov_b32 s14, exec_lo
	s_wait_dscnt 0x1
	ds_bpermute_b32 v10, v58, v4
	ds_bpermute_b32 v9, v58, v9
	v_cmpx_le_u32_e64 v59, v7
	s_cbranch_execz .LBB1815_110
; %bb.109:
	v_and_b32_e32 v7, 0xff, v5
	s_wait_dscnt 0x1
	v_dual_add_f32 v10, v4, v10 :: v_dual_bitop2_b32 v5, 1, v5 bitop3:0x40
	s_delay_alu instid0(VALU_DEP_2) | instskip(SKIP_1) | instid1(VALU_DEP_2)
	v_cmp_eq_u16_e32 vcc_lo, 0, v7
	s_wait_dscnt 0x0
	v_dual_cndmask_b32 v4, v4, v10, vcc_lo :: v_dual_bitop2_b32 v9, 1, v9 bitop3:0x40
	s_delay_alu instid0(VALU_DEP_3) | instskip(NEXT) | instid1(VALU_DEP_2)
	v_cmp_eq_u32_e32 vcc_lo, 1, v5
	v_cndmask_b32_e64 v5, v9, 1, vcc_lo
.LBB1815_110:
	s_or_b32 exec_lo, exec_lo, s14
	s_wait_dscnt 0x0
	v_mov_b32_e32 v9, 0
	s_branch .LBB1815_113
.LBB1815_111:                           ;   in Loop: Header=BB1815_113 Depth=1
	s_or_b32 exec_lo, exec_lo, s14
	s_wait_dscnt 0x1
	ds_bpermute_b32 v11, v58, v4
	ds_bpermute_b32 v10, v58, v10
	s_wait_dscnt 0x2
	v_and_b32_e32 v60, 1, v5
	v_and_b32_e32 v61, 0xff, v5
	v_subrev_nc_u32_e32 v8, 32, v8
	s_mov_b32 s14, 0
	s_wait_dscnt 0x1
	v_add_f32_e32 v11, v4, v11
	v_cmp_eq_u32_e32 vcc_lo, 1, v60
	s_wait_dscnt 0x0
	v_cndmask_b32_e64 v10, v10, 1, vcc_lo
	v_cmp_eq_u16_e32 vcc_lo, 0, v61
	v_cndmask_b32_e32 v11, v4, v11, vcc_lo
	v_cmp_gt_u32_e32 vcc_lo, v59, v7
	v_and_b32_e32 v7, 0xff, v56
	s_delay_alu instid0(VALU_DEP_3) | instskip(SKIP_1) | instid1(VALU_DEP_3)
	v_dual_cndmask_b32 v5, v10, v5 :: v_dual_cndmask_b32 v4, v11, v4
	v_and_b32_e32 v10, 1, v56
	v_cmp_eq_u16_e32 vcc_lo, 0, v7
	s_delay_alu instid0(VALU_DEP_3) | instskip(NEXT) | instid1(VALU_DEP_1)
	v_dual_add_f32 v4, v57, v4 :: v_dual_bitop2_b32 v5, 1, v5 bitop3:0x40
	v_cndmask_b32_e32 v4, v57, v4, vcc_lo
	s_delay_alu instid0(VALU_DEP_4) | instskip(NEXT) | instid1(VALU_DEP_3)
	v_cmp_eq_u32_e32 vcc_lo, 1, v10
	v_cndmask_b32_e64 v5, v5, 1, vcc_lo
.LBB1815_112:                           ;   in Loop: Header=BB1815_113 Depth=1
	s_and_b32 vcc_lo, exec_lo, s14
	s_cbranch_vccnz .LBB1815_177
.LBB1815_113:                           ; =>This Loop Header: Depth=1
                                        ;     Child Loop BB1815_116 Depth 2
	v_and_b32_e32 v6, 0xff, v6
	s_delay_alu instid0(VALU_DEP_2) | instskip(SKIP_1) | instid1(VALU_DEP_2)
	v_dual_mov_b32 v56, v5 :: v_dual_mov_b32 v57, v4
	s_mov_b32 s14, -1
	v_cmp_ne_u16_e32 vcc_lo, 2, v6
                                        ; implicit-def: $vgpr5
	s_cmp_lg_u32 vcc_lo, exec_lo
	s_cbranch_scc1 .LBB1815_112
; %bb.114:                              ;   in Loop: Header=BB1815_113 Depth=1
	v_lshl_add_u64 v[10:11], v[8:9], 4, s[20:21]
	;;#ASMSTART
	global_load_b128 v[4:7], v[10:11] off scope:SCOPE_DEV	
s_wait_loadcnt 0x0
	;;#ASMEND
	v_and_b32_e32 v7, 0xff, v6
	s_mov_b32 s14, exec_lo
	s_delay_alu instid0(VALU_DEP_1)
	v_cmpx_eq_u16_e32 0, v7
	s_cbranch_execz .LBB1815_118
; %bb.115:                              ;   in Loop: Header=BB1815_113 Depth=1
	s_mov_b32 s15, 0
.LBB1815_116:                           ;   Parent Loop BB1815_113 Depth=1
                                        ; =>  This Inner Loop Header: Depth=2
	;;#ASMSTART
	global_load_b128 v[4:7], v[10:11] off scope:SCOPE_DEV	
s_wait_loadcnt 0x0
	;;#ASMEND
	v_and_b32_e32 v7, 0xff, v6
	s_delay_alu instid0(VALU_DEP_1) | instskip(SKIP_1) | instid1(SALU_CYCLE_1)
	v_cmp_ne_u16_e32 vcc_lo, 0, v7
	s_or_b32 s15, vcc_lo, s15
	s_and_not1_b32 exec_lo, exec_lo, s15
	s_cbranch_execnz .LBB1815_116
; %bb.117:                              ;   in Loop: Header=BB1815_113 Depth=1
	s_or_b32 exec_lo, exec_lo, s15
.LBB1815_118:                           ;   in Loop: Header=BB1815_113 Depth=1
	s_delay_alu instid0(SALU_CYCLE_1)
	s_or_b32 exec_lo, exec_lo, s14
	v_and_b32_e32 v10, 0xff, v5
	v_and_b32_e32 v7, 0xff, v6
	ds_bpermute_b32 v11, v48, v4
	s_mov_b32 s14, exec_lo
	ds_bpermute_b32 v60, v48, v10
	v_cmp_eq_u16_e32 vcc_lo, 2, v7
	v_and_or_b32 v7, vcc_lo, v49, 0x80000000
	s_delay_alu instid0(VALU_DEP_1) | instskip(NEXT) | instid1(VALU_DEP_1)
	v_ctz_i32_b32_e32 v7, v7
	v_cmpx_lt_u32_e64 v47, v7
	s_cbranch_execz .LBB1815_120
; %bb.119:                              ;   in Loop: Header=BB1815_113 Depth=1
	s_wait_dscnt 0x1
	v_dual_add_f32 v11, v4, v11 :: v_dual_bitop2_b32 v10, 1, v5 bitop3:0x40
	s_wait_dscnt 0x0
	v_and_b32_e32 v60, 1, v60
	v_and_b32_e32 v61, 0xff, v5
	s_delay_alu instid0(VALU_DEP_3) | instskip(NEXT) | instid1(VALU_DEP_3)
	v_cmp_eq_u32_e32 vcc_lo, 1, v10
	v_cndmask_b32_e64 v5, v60, 1, vcc_lo
	s_delay_alu instid0(VALU_DEP_3) | instskip(NEXT) | instid1(VALU_DEP_2)
	v_cmp_eq_u16_e32 vcc_lo, 0, v61
	v_and_b32_e32 v10, 0xffff, v5
	v_cndmask_b32_e32 v4, v4, v11, vcc_lo
.LBB1815_120:                           ;   in Loop: Header=BB1815_113 Depth=1
	s_or_b32 exec_lo, exec_lo, s14
	s_wait_dscnt 0x1
	ds_bpermute_b32 v11, v50, v4
	s_wait_dscnt 0x1
	ds_bpermute_b32 v60, v50, v10
	s_mov_b32 s14, exec_lo
	v_cmpx_le_u32_e64 v51, v7
	s_cbranch_execz .LBB1815_122
; %bb.121:                              ;   in Loop: Header=BB1815_113 Depth=1
	s_wait_dscnt 0x1
	v_dual_add_f32 v11, v4, v11 :: v_dual_bitop2_b32 v10, 1, v5 bitop3:0x40
	s_wait_dscnt 0x0
	v_and_b32_e32 v60, 1, v60
	v_and_b32_e32 v61, 0xff, v5
	s_delay_alu instid0(VALU_DEP_3) | instskip(NEXT) | instid1(VALU_DEP_3)
	v_cmp_eq_u32_e32 vcc_lo, 1, v10
	v_cndmask_b32_e64 v5, v60, 1, vcc_lo
	s_delay_alu instid0(VALU_DEP_3) | instskip(NEXT) | instid1(VALU_DEP_2)
	v_cmp_eq_u16_e32 vcc_lo, 0, v61
	v_and_b32_e32 v10, 0xffff, v5
	v_cndmask_b32_e32 v4, v4, v11, vcc_lo
.LBB1815_122:                           ;   in Loop: Header=BB1815_113 Depth=1
	s_or_b32 exec_lo, exec_lo, s14
	s_wait_dscnt 0x1
	ds_bpermute_b32 v11, v52, v4
	s_wait_dscnt 0x1
	ds_bpermute_b32 v60, v52, v10
	s_mov_b32 s14, exec_lo
	v_cmpx_le_u32_e64 v53, v7
	;; [unrolled: 22-line block ×3, first 2 shown]
	s_cbranch_execz .LBB1815_111
; %bb.125:                              ;   in Loop: Header=BB1815_113 Depth=1
	s_wait_dscnt 0x1
	v_dual_add_f32 v11, v4, v11 :: v_dual_bitop2_b32 v10, 1, v5 bitop3:0x40
	s_wait_dscnt 0x0
	v_and_b32_e32 v60, 1, v60
	v_and_b32_e32 v61, 0xff, v5
	s_delay_alu instid0(VALU_DEP_3) | instskip(NEXT) | instid1(VALU_DEP_3)
	v_cmp_eq_u32_e32 vcc_lo, 1, v10
	v_cndmask_b32_e64 v5, v60, 1, vcc_lo
	s_delay_alu instid0(VALU_DEP_3) | instskip(NEXT) | instid1(VALU_DEP_2)
	v_cmp_eq_u16_e32 vcc_lo, 0, v61
	v_and_b32_e32 v10, 0xffff, v5
	v_cndmask_b32_e32 v4, v4, v11, vcc_lo
	s_branch .LBB1815_111
.LBB1815_126:
	s_or_b32 exec_lo, exec_lo, s14
                                        ; implicit-def: $vgpr15
	s_and_saveexec_b32 s14, s1
	s_cbranch_execz .LBB1815_33
.LBB1815_127:
	flat_load_b32 v15, v0, s[24:25] offset:1024 scale_offset
	s_wait_loadcnt_dscnt 0x0
	v_cvt_f32_u32_e32 v15, v15
	s_or_b32 exec_lo, exec_lo, s14
                                        ; implicit-def: $vgpr16
	s_and_saveexec_b32 s1, s4
	s_cbranch_execnz .LBB1815_34
.LBB1815_128:
	s_or_b32 exec_lo, exec_lo, s1
                                        ; implicit-def: $vgpr17
	s_and_saveexec_b32 s1, s5
	s_cbranch_execz .LBB1815_35
.LBB1815_129:
	flat_load_b32 v17, v0, s[24:25] offset:3072 scale_offset
	s_wait_loadcnt_dscnt 0x0
	v_cvt_f32_u32_e32 v17, v17
	s_or_b32 exec_lo, exec_lo, s1
                                        ; implicit-def: $vgpr18
	s_and_saveexec_b32 s1, s6
	s_cbranch_execnz .LBB1815_36
.LBB1815_130:
	s_or_b32 exec_lo, exec_lo, s1
                                        ; implicit-def: $vgpr19
	s_and_saveexec_b32 s1, s7
	s_cbranch_execz .LBB1815_37
.LBB1815_131:
	flat_load_b32 v19, v0, s[24:25] offset:5120 scale_offset
	s_wait_loadcnt_dscnt 0x0
	v_cvt_f32_u32_e32 v19, v19
	s_or_b32 exec_lo, exec_lo, s1
                                        ; implicit-def: $vgpr20
	s_and_saveexec_b32 s1, s8
	s_cbranch_execnz .LBB1815_38
.LBB1815_132:
	s_or_b32 exec_lo, exec_lo, s1
                                        ; implicit-def: $vgpr21
	s_and_saveexec_b32 s1, s9
	s_cbranch_execz .LBB1815_39
.LBB1815_133:
	flat_load_b32 v21, v0, s[24:25] offset:7168 scale_offset
	s_wait_loadcnt_dscnt 0x0
	v_cvt_f32_u32_e32 v21, v21
	s_or_b32 exec_lo, exec_lo, s1
                                        ; implicit-def: $vgpr22
	s_and_saveexec_b32 s1, s10
	s_cbranch_execnz .LBB1815_40
.LBB1815_134:
	s_or_b32 exec_lo, exec_lo, s1
                                        ; implicit-def: $vgpr23
	s_and_saveexec_b32 s1, s11
	s_cbranch_execz .LBB1815_41
.LBB1815_135:
	flat_load_b32 v23, v0, s[24:25] offset:9216 scale_offset
	s_wait_loadcnt_dscnt 0x0
	v_cvt_f32_u32_e32 v23, v23
	s_or_b32 exec_lo, exec_lo, s1
                                        ; implicit-def: $vgpr24
	s_and_saveexec_b32 s1, s12
	s_cbranch_execz .LBB1815_43
	s_branch .LBB1815_42
.LBB1815_136:
                                        ; implicit-def: $vgpr13
                                        ; implicit-def: $vgpr9
                                        ; implicit-def: $vgpr5
	s_cbranch_execnz .LBB1815_182
.LBB1815_137:
	s_add_nc_u64 s[2:3], s[18:19], s[28:29]
	s_and_b32 vcc_lo, exec_lo, s0
	s_add_nc_u64 s[0:1], s[2:3], s[16:17]
	s_cbranch_vccz .LBB1815_201
.LBB1815_138:
	v_mul_u32_u24_e32 v1, 12, v0
	s_add_co_i32 s23, s23, s22
	s_mov_b32 s2, exec_lo
	s_delay_alu instid0(VALU_DEP_1)
	v_cmpx_gt_u32_e64 s23, v1
	s_cbranch_execz .LBB1815_154
; %bb.139:
	v_or_b32_e32 v15, 1, v1
	s_mov_b32 s3, exec_lo
	s_delay_alu instid0(VALU_DEP_1)
	v_cmpx_gt_u32_e64 s23, v15
	s_cbranch_execz .LBB1815_153
; %bb.140:
	v_or_b32_e32 v15, 2, v1
	;; [unrolled: 6-line block ×3, first 2 shown]
	s_mov_b32 s5, exec_lo
	s_delay_alu instid0(VALU_DEP_1)
	v_cmpx_gt_u32_e64 s23, v15
	s_cbranch_execz .LBB1815_151
; %bb.142:
	v_add_nc_u32_e32 v15, 4, v1
	s_mov_b32 s6, exec_lo
	s_delay_alu instid0(VALU_DEP_1)
	v_cmpx_gt_u32_e64 s23, v15
	s_cbranch_execz .LBB1815_150
; %bb.143:
	v_add_nc_u32_e32 v15, 5, v1
	;; [unrolled: 6-line block ×4, first 2 shown]
	s_mov_b32 s9, exec_lo
	s_delay_alu instid0(VALU_DEP_1)
	v_cmpx_gt_u32_e64 s23, v15
; %bb.146:
	v_add_nc_u32_e32 v15, 8, v1
	s_mov_b32 s10, exec_lo
	s_delay_alu instid0(VALU_DEP_1)
	v_cmpx_gt_u32_e64 s23, v15
	s_or_b32 exec_lo, exec_lo, s10
; %bb.147:
	s_delay_alu instid0(SALU_CYCLE_1)
	s_or_b32 exec_lo, exec_lo, s9
.LBB1815_148:
	s_delay_alu instid0(SALU_CYCLE_1)
	s_or_b32 exec_lo, exec_lo, s8
.LBB1815_149:
	s_delay_alu instid0(SALU_CYCLE_1)
	s_or_b32 exec_lo, exec_lo, s7
.LBB1815_150:
	s_delay_alu instid0(SALU_CYCLE_1)
	s_or_b32 exec_lo, exec_lo, s6
.LBB1815_151:
	s_delay_alu instid0(SALU_CYCLE_1)
	s_or_b32 exec_lo, exec_lo, s5
.LBB1815_152:
	s_delay_alu instid0(SALU_CYCLE_1)
	s_or_b32 exec_lo, exec_lo, s4
.LBB1815_153:
	s_delay_alu instid0(SALU_CYCLE_1)
	s_or_b32 exec_lo, exec_lo, s3
.LBB1815_154:
	s_delay_alu instid0(SALU_CYCLE_1) | instskip(SKIP_3) | instid1(VALU_DEP_1)
	s_or_b32 exec_lo, exec_lo, s2
	v_lshlrev_b32_e32 v1, 2, v1
	s_barrier_signal -1
	s_barrier_wait -1
	v_mad_i32_i24 v15, 0xffffffd4, v0, v1
	ds_store_b128 v1, v[2:5]
	ds_store_b128 v1, v[6:9] offset:16
	ds_store_b128 v1, v[10:13] offset:32
	s_wait_dscnt 0x0
	s_barrier_signal -1
	s_barrier_wait -1
	ds_load_2addr_stride64_b32 v[26:27], v15 offset0:4 offset1:8
	ds_load_2addr_stride64_b32 v[24:25], v15 offset0:12 offset1:16
	ds_load_2addr_stride64_b32 v[22:23], v15 offset0:20 offset1:24
	ds_load_2addr_stride64_b32 v[20:21], v15 offset0:28 offset1:32
	ds_load_2addr_stride64_b32 v[18:19], v15 offset0:36 offset1:40
	ds_load_b32 v17, v15 offset:11264
	v_mov_b32_e32 v15, 0
	s_mov_b32 s2, exec_lo
	s_delay_alu instid0(VALU_DEP_1)
	v_add_nc_u64_e32 v[14:15], s[0:1], v[14:15]
	v_cmpx_gt_u32_e64 s23, v0
	s_cbranch_execz .LBB1815_156
; %bb.155:
	v_mul_i32_i24_e32 v16, 0xffffffd4, v0
	s_delay_alu instid0(VALU_DEP_1)
	v_add_nc_u32_e32 v1, v1, v16
	ds_load_b32 v1, v1
	s_wait_dscnt 0x0
	v_cvt_i32_f32_e32 v1, v1
	flat_store_b32 v[14:15], v1
.LBB1815_156:
	s_wait_xcnt 0x0
	s_or_b32 exec_lo, exec_lo, s2
	v_or_b32_e32 v1, 0x100, v0
	s_mov_b32 s2, exec_lo
	s_delay_alu instid0(VALU_DEP_1)
	v_cmpx_gt_u32_e64 s23, v1
	s_cbranch_execz .LBB1815_158
; %bb.157:
	s_wait_dscnt 0x5
	v_cvt_i32_f32_e32 v1, v26
	flat_store_b32 v[14:15], v1 offset:1024
.LBB1815_158:
	s_wait_xcnt 0x0
	s_or_b32 exec_lo, exec_lo, s2
	v_or_b32_e32 v1, 0x200, v0
	s_mov_b32 s2, exec_lo
	s_delay_alu instid0(VALU_DEP_1)
	v_cmpx_gt_u32_e64 s23, v1
	s_cbranch_execz .LBB1815_160
; %bb.159:
	s_wait_dscnt 0x5
	v_cvt_i32_f32_e32 v1, v27
	flat_store_b32 v[14:15], v1 offset:2048
.LBB1815_160:
	;; [unrolled: 12-line block ×10, first 2 shown]
	s_wait_xcnt 0x0
	s_or_b32 exec_lo, exec_lo, s2
	v_or_b32_e32 v1, 0xb00, v0
	s_delay_alu instid0(VALU_DEP_1)
	v_cmp_gt_u32_e64 s2, s23, v1
	s_branch .LBB1815_203
.LBB1815_177:
	s_and_saveexec_b32 s14, s13
	s_cbranch_execz .LBB1815_179
; %bb.178:
	v_and_b32_e32 v4, 0xff, v3
	v_dual_add_f32 v5, v57, v2 :: v_dual_bitop2_b32 v3, 1, v3 bitop3:0x40
	s_mov_b32 s35, 0
	s_add_co_i32 s34, s36, 32
	s_delay_alu instid0(VALU_DEP_2)
	v_cmp_eq_u32_e32 vcc_lo, 0, v4
	v_and_b32_e32 v6, 1, v56
	s_lshl_b64 s[34:35], s[34:35], 4
	v_mov_b32_e32 v4, 2
	s_add_nc_u64 s[34:35], s[20:21], s[34:35]
	v_cndmask_b32_e32 v2, v2, v5, vcc_lo
	v_cmp_eq_u32_e32 vcc_lo, 1, v3
	v_mov_b32_e32 v5, 0
	v_cndmask_b32_e64 v3, v6, 1, vcc_lo
	v_mov_b64_e32 v[6:7], s[34:35]
	;;#ASMSTART
	global_store_b128 v[6:7], v[2:5] off scope:SCOPE_DEV	
s_wait_storecnt 0x0
	;;#ASMEND
.LBB1815_179:
	s_or_b32 exec_lo, exec_lo, s14
	s_delay_alu instid0(SALU_CYCLE_1)
	s_and_b32 exec_lo, exec_lo, s2
	s_cbranch_execz .LBB1815_181
; %bb.180:
	v_mov_b32_e32 v2, 0
	ds_store_b32 v2, v57
	ds_store_b8 v2, v56 offset:4
.LBB1815_181:
	s_or_b32 exec_lo, exec_lo, s24
	s_wait_dscnt 0x0
	v_cmp_eq_u32_e32 vcc_lo, 0, v13
	v_mov_b32_e32 v2, 0
	s_barrier_signal -1
	s_barrier_wait -1
	ds_load_b32 v2, v2
	s_wait_dscnt 0x0
	v_add_f32_e32 v3, v12, v2
	s_delay_alu instid0(VALU_DEP_1) | instskip(SKIP_1) | instid1(VALU_DEP_2)
	v_cndmask_b32_e32 v3, v12, v3, vcc_lo
	v_cmp_eq_u16_e32 vcc_lo, 0, v30
	v_cndmask_b32_e64 v2, v3, v2, s2
	s_delay_alu instid0(VALU_DEP_1) | instskip(NEXT) | instid1(VALU_DEP_1)
	v_add_f32_e32 v3, v27, v2
	v_cndmask_b32_e32 v3, v27, v3, vcc_lo
	s_delay_alu instid0(VALU_DEP_1) | instskip(NEXT) | instid1(VALU_DEP_1)
	v_add_f32_e32 v4, v15, v3
	v_cndmask_b32_e64 v4, v15, v4, s1
	s_delay_alu instid0(VALU_DEP_1) | instskip(NEXT) | instid1(VALU_DEP_1)
	v_add_f32_e32 v5, v25, v4
	v_cndmask_b32_e64 v5, v25, v5, s4
	;; [unrolled: 3-line block ×10, first 2 shown]
	s_branch .LBB1815_137
.LBB1815_182:
	s_cmp_eq_u64 s[30:31], 0
	v_mov_b32_e32 v47, s33
	s_cselect_b32 s1, -1, 0
	s_cmp_eq_u64 s[26:27], 0
	s_cselect_b32 s4, -1, 0
	s_delay_alu instid0(SALU_CYCLE_1) | instskip(NEXT) | instid1(SALU_CYCLE_1)
	s_or_b32 s1, s1, s4
	s_and_b32 vcc_lo, exec_lo, s1
	s_cbranch_vccnz .LBB1815_184
; %bb.183:
	v_mov_b32_e32 v2, 0
	global_load_b32 v47, v2, s[26:27]
.LBB1815_184:
	v_cmp_eq_u16_e32 vcc_lo, 0, v46
	v_cmp_eq_u16_e64 s1, 0, v45
	v_cmp_eq_u16_e64 s4, 0, v44
	;; [unrolled: 1-line block ×4, first 2 shown]
	s_wait_xcnt 0x0
	v_dual_cndmask_b32 v2, v15, v43, vcc_lo :: v_dual_bitop2_b32 v4, 56, v34 bitop3:0x40
	v_cmp_eq_u16_e64 s7, 0, v40
	v_cmp_eq_u16_e64 s8, 0, v39
	;; [unrolled: 1-line block ×3, first 2 shown]
	s_delay_alu instid0(VALU_DEP_4)
	v_add_f32_e32 v2, v25, v2
	v_cmp_eq_u16_e64 s10, 0, v37
	v_bitop3_b16 v3, v36, v26, v28 bitop3:0xfe
	v_cmp_eq_u16_e64 s11, 0, v35
	v_lshl_add_u32 v4, v0, 3, v4
	v_cndmask_b32_e64 v2, v25, v2, s1
	s_mov_b32 s14, exec_lo
	v_bitop3_b16 v3, v3, v29, v24 bitop3:0xfe
	s_delay_alu instid0(VALU_DEP_2) | instskip(NEXT) | instid1(VALU_DEP_2)
	v_add_f32_e32 v2, v23, v2
	v_bitop3_b16 v3, v33, 0xff, v3 bitop3:0xc8
	s_delay_alu instid0(VALU_DEP_2) | instskip(NEXT) | instid1(VALU_DEP_2)
	v_cndmask_b32_e64 v2, v23, v2, s4
	v_cmp_eq_u16_e64 s12, 0, v3
	s_delay_alu instid0(VALU_DEP_2) | instskip(NEXT) | instid1(VALU_DEP_2)
	v_add_f32_e32 v2, v22, v2
	v_cndmask_b32_e64 v3, 1, v30, s12
	v_cmp_eq_u16_e64 s12, 0, v31
	s_delay_alu instid0(VALU_DEP_3) | instskip(NEXT) | instid1(VALU_DEP_1)
	v_cndmask_b32_e64 v2, v22, v2, s5
	v_add_f32_e32 v2, v20, v2
	s_delay_alu instid0(VALU_DEP_1) | instskip(NEXT) | instid1(VALU_DEP_1)
	v_cndmask_b32_e64 v2, v20, v2, s6
	v_add_f32_e32 v2, v19, v2
	s_delay_alu instid0(VALU_DEP_1) | instskip(NEXT) | instid1(VALU_DEP_1)
	;; [unrolled: 3-line block ×6, first 2 shown]
	v_cndmask_b32_e64 v2, v16, v2, s11
	v_add_f32_e32 v2, v21, v2
	s_delay_alu instid0(VALU_DEP_1) | instskip(SKIP_1) | instid1(VALU_DEP_1)
	v_cndmask_b32_e64 v5, v21, v2, s12
	v_cmp_eq_u32_e64 s12, 1, v32
	v_cndmask_b32_e64 v6, v3, 1, s12
	ds_store_b32 v4, v5
	ds_store_b8 v4, v6 offset:4
	s_wait_loadcnt_dscnt 0x0
	s_barrier_signal -1
	s_barrier_wait -1
	v_cmpx_gt_u32_e32 32, v0
	s_cbranch_execz .LBB1815_196
; %bb.185:
	v_dual_lshlrev_b32 v2, 1, v0 :: v_dual_lshlrev_b32 v3, 6, v0
	s_mov_b32 s15, exec_lo
	s_delay_alu instid0(VALU_DEP_1) | instskip(NEXT) | instid1(VALU_DEP_1)
	v_and_b32_e32 v2, 0x1f8, v2
	v_add_nc_u32_e32 v4, v2, v3
	ds_load_2addr_b32 v[8:9], v4 offset0:2 offset1:4
	ds_load_b64 v[2:3], v4
	ds_load_u8 v7, v4 offset:12
	ds_load_2addr_b32 v[10:11], v4 offset0:6 offset1:8
	ds_load_u8 v12, v4 offset:20
	ds_load_u8 v13, v4 offset:28
	;; [unrolled: 1-line block ×5, first 2 shown]
	ds_load_b32 v28, v4 offset:56
	s_wait_dscnt 0x8
	v_add_f32_e32 v29, v2, v8
	s_wait_dscnt 0x7
	v_cmp_eq_u16_e64 s12, 0, v7
	s_wait_dscnt 0x5
	v_or_b32_e32 v7, v12, v7
	s_delay_alu instid0(VALU_DEP_2) | instskip(SKIP_2) | instid1(VALU_DEP_3)
	v_cndmask_b32_e64 v8, v8, v29, s12
	v_cmp_eq_u16_e64 s12, 0, v12
	s_wait_dscnt 0x3
	v_bitop3_b16 v7, v7, v21, v13 bitop3:0xfe
	s_delay_alu instid0(VALU_DEP_3) | instskip(NEXT) | instid1(VALU_DEP_1)
	v_add_f32_e32 v8, v9, v8
	v_cndmask_b32_e64 v29, v9, v8, s12
	ds_load_2addr_b32 v[8:9], v4 offset0:10 offset1:12
	v_cmp_eq_u16_e64 s12, 0, v13
	v_and_b32_e32 v13, 0xffffff00, v3
	v_add_f32_e32 v29, v10, v29
	s_delay_alu instid0(VALU_DEP_1) | instskip(SKIP_3) | instid1(VALU_DEP_1)
	v_cndmask_b32_e64 v10, v10, v29, s12
	v_cmp_eq_u16_e64 s12, 0, v21
	ds_load_u8 v29, v4 offset:60
	v_add_f32_e32 v10, v11, v10
	v_cndmask_b32_e64 v10, v11, v10, s12
	s_wait_dscnt 0x4
	v_cmp_eq_u16_e64 s12, 0, v24
	s_wait_dscnt 0x1
	s_delay_alu instid0(VALU_DEP_2) | instskip(NEXT) | instid1(VALU_DEP_1)
	v_add_f32_e32 v10, v8, v10
	v_cndmask_b32_e64 v8, v8, v10, s12
	v_bitop3_b16 v10, v7, v26, v24 bitop3:0xfe
	v_and_b32_e32 v7, 1, v3
	s_wait_dscnt 0x0
	v_and_b32_e32 v11, 1, v29
	s_delay_alu instid0(VALU_DEP_3) | instskip(NEXT) | instid1(VALU_DEP_1)
	v_cmp_eq_u16_e64 s12, 0, v10
	v_dual_add_f32 v8, v9, v8 :: v_dual_cndmask_b32 v10, 1, v7, s12
	v_cmp_eq_u16_e64 s12, 0, v26
	s_delay_alu instid0(VALU_DEP_1) | instskip(SKIP_1) | instid1(VALU_DEP_1)
	v_cndmask_b32_e64 v8, v9, v8, s12
	v_cmp_eq_u32_e64 s12, 1, v11
	v_cndmask_b32_e64 v11, v10, 1, s12
	v_cmp_eq_u16_e64 s12, 0, v29
	s_delay_alu instid0(VALU_DEP_2) | instskip(SKIP_1) | instid1(VALU_DEP_2)
	v_dual_add_f32 v9, v28, v8 :: v_dual_bitop2_b32 v10, v11, v13 bitop3:0x54
	v_mbcnt_lo_u32_b32 v8, -1, 0
	v_mov_b32_dpp v24, v10 row_shr:1 row_mask:0xf bank_mask:0xf
	s_delay_alu instid0(VALU_DEP_2) | instskip(NEXT) | instid1(VALU_DEP_1)
	v_dual_cndmask_b32 v9, v28, v9, s12 :: v_dual_bitop2_b32 v12, 15, v8 bitop3:0x40
	v_mov_b32_dpp v21, v9 row_shr:1 row_mask:0xf bank_mask:0xf
	s_delay_alu instid0(VALU_DEP_2)
	v_cmpx_ne_u32_e32 0, v12
	s_cbranch_execz .LBB1815_187
; %bb.186:
	s_delay_alu instid0(VALU_DEP_2) | instskip(SKIP_2) | instid1(VALU_DEP_3)
	v_dual_add_f32 v21, v9, v21 :: v_dual_bitop2_b32 v10, 1, v11 bitop3:0x40
	v_cmp_eq_u32_e64 s12, 0, v11
	v_and_b32_e32 v24, 1, v24
	v_cmp_eq_u32_e64 s13, 1, v10
	s_delay_alu instid0(VALU_DEP_3) | instskip(NEXT) | instid1(VALU_DEP_2)
	v_cndmask_b32_e64 v9, v9, v21, s12
	v_cndmask_b32_e64 v11, v24, 1, s13
	s_delay_alu instid0(VALU_DEP_1)
	v_or_b32_e32 v10, v11, v13
.LBB1815_187:
	s_or_b32 exec_lo, exec_lo, s15
	s_delay_alu instid0(VALU_DEP_3) | instskip(NEXT) | instid1(VALU_DEP_2)
	v_mov_b32_dpp v13, v9 row_shr:2 row_mask:0xf bank_mask:0xf
	v_mov_b32_dpp v21, v10 row_shr:2 row_mask:0xf bank_mask:0xf
	s_mov_b32 s15, exec_lo
	v_cmpx_lt_u32_e32 1, v12
	s_cbranch_execz .LBB1815_189
; %bb.188:
	v_dual_add_f32 v13, v9, v13 :: v_dual_bitop2_b32 v24, 1, v11 bitop3:0x40
	v_and_b32_e32 v21, 1, v21
	v_cmp_eq_u32_e64 s12, 0, v11
	s_delay_alu instid0(VALU_DEP_3) | instskip(NEXT) | instid1(VALU_DEP_2)
	v_cmp_eq_u32_e64 s13, 1, v24
	v_cndmask_b32_e64 v9, v9, v13, s12
	s_delay_alu instid0(VALU_DEP_2) | instskip(NEXT) | instid1(VALU_DEP_1)
	v_cndmask_b32_e64 v11, v21, 1, s13
	v_and_or_b32 v10, 0xffffff00, v10, v11
.LBB1815_189:
	s_or_b32 exec_lo, exec_lo, s15
	s_delay_alu instid0(VALU_DEP_3) | instskip(NEXT) | instid1(VALU_DEP_2)
	v_mov_b32_dpp v13, v9 row_shr:4 row_mask:0xf bank_mask:0xf
	v_mov_b32_dpp v21, v10 row_shr:4 row_mask:0xf bank_mask:0xf
	s_mov_b32 s15, exec_lo
	v_cmpx_lt_u32_e32 3, v12
	s_cbranch_execz .LBB1815_191
; %bb.190:
	v_dual_add_f32 v13, v9, v13 :: v_dual_bitop2_b32 v24, 1, v11 bitop3:0x40
	v_and_b32_e32 v21, 1, v21
	v_cmp_eq_u32_e64 s12, 0, v11
	s_delay_alu instid0(VALU_DEP_3) | instskip(NEXT) | instid1(VALU_DEP_2)
	v_cmp_eq_u32_e64 s13, 1, v24
	v_cndmask_b32_e64 v9, v9, v13, s12
	s_delay_alu instid0(VALU_DEP_2) | instskip(NEXT) | instid1(VALU_DEP_1)
	v_cndmask_b32_e64 v11, v21, 1, s13
	v_and_or_b32 v10, 0xffffff00, v10, v11
.LBB1815_191:
	;; [unrolled: 18-line block ×3, first 2 shown]
	s_or_b32 exec_lo, exec_lo, s15
	ds_swizzle_b32 v12, v9 offset:swizzle(BROADCAST,32,15)
	ds_swizzle_b32 v13, v10 offset:swizzle(BROADCAST,32,15)
	v_and_b32_e32 v21, 16, v8
	s_mov_b32 s13, exec_lo
	s_delay_alu instid0(VALU_DEP_1)
	v_cmpx_ne_u32_e32 0, v21
	s_cbranch_execz .LBB1815_195
; %bb.194:
	s_wait_dscnt 0x1
	v_dual_add_f32 v12, v9, v12 :: v_dual_bitop2_b32 v21, 1, v11 bitop3:0x40
	s_wait_dscnt 0x0
	v_and_b32_e32 v13, 1, v13
	s_delay_alu instid0(VALU_DEP_2) | instskip(NEXT) | instid1(VALU_DEP_1)
	v_cmp_eq_u32_e64 s12, 1, v21
	v_cndmask_b32_e64 v13, v13, 1, s12
	v_cmp_eq_u32_e64 s12, 0, v11
	s_delay_alu instid0(VALU_DEP_2) | instskip(NEXT) | instid1(VALU_DEP_2)
	v_and_or_b32 v10, 0xffffff00, v10, v13
	v_cndmask_b32_e64 v9, v9, v12, s12
.LBB1815_195:
	s_or_b32 exec_lo, exec_lo, s13
	v_add_nc_u32_e32 v11, -1, v8
	v_and_b32_e32 v3, 0xff, v3
	; wave barrier
	s_delay_alu instid0(VALU_DEP_2) | instskip(NEXT) | instid1(VALU_DEP_1)
	v_cmp_gt_i32_e64 s12, 0, v11
	v_cndmask_b32_e64 v8, v11, v8, s12
	s_delay_alu instid0(VALU_DEP_3) | instskip(NEXT) | instid1(VALU_DEP_2)
	v_cmp_eq_u32_e64 s12, 0, v3
	v_lshlrev_b32_e32 v8, 2, v8
	ds_bpermute_b32 v9, v8, v9
	ds_bpermute_b32 v8, v8, v10
	s_wait_dscnt 0x0
	v_dual_add_f32 v9, v2, v9 :: v_dual_bitop2_b32 v8, 1, v8 bitop3:0x40
	s_delay_alu instid0(VALU_DEP_1) | instskip(SKIP_1) | instid1(VALU_DEP_1)
	v_cndmask_b32_e64 v2, v2, v9, s12
	v_cmp_eq_u32_e64 s12, 1, v7
	v_cndmask_b32_e64 v3, v8, 1, s12
	s_delay_alu instid0(VALU_DEP_1)
	v_dual_cndmask_b32 v5, v2, v5, s2 :: v_dual_cndmask_b32 v8, v3, v6, s2
	ds_store_b32 v4, v5
	ds_store_b8 v4, v8 offset:4
	; wave barrier
	ds_load_2addr_b32 v[2:3], v4 offset0:2 offset1:4
	ds_load_u8 v9, v4 offset:12
	ds_load_u8 v10, v4 offset:20
	ds_load_2addr_b32 v[6:7], v4 offset0:6 offset1:8
	ds_load_u8 v11, v4 offset:28
	ds_load_u8 v12, v4 offset:36
	ds_load_u8 v13, v4 offset:44
	ds_load_u8 v21, v4 offset:52
	ds_load_b32 v24, v4 offset:56
	ds_load_u8 v26, v4 offset:60
	s_wait_dscnt 0x9
	v_add_f32_e32 v5, v5, v2
	s_wait_dscnt 0x8
	v_cmp_eq_u16_e64 s12, 0, v9
	s_delay_alu instid0(VALU_DEP_1) | instskip(SKIP_2) | instid1(VALU_DEP_2)
	v_cndmask_b32_e64 v5, v2, v5, s12
	s_wait_dscnt 0x7
	v_cmp_eq_u16_e64 s12, 0, v10
	v_add_f32_e32 v2, v5, v3
	s_delay_alu instid0(VALU_DEP_1)
	v_cndmask_b32_e64 v28, v3, v2, s12
	s_wait_dscnt 0x5
	v_cmp_eq_u16_e64 s12, 0, v11
	ds_load_2addr_b32 v[2:3], v4 offset0:10 offset1:12
	v_add_f32_e32 v29, v28, v6
	ds_store_2addr_b32 v4, v5, v28 offset0:2 offset1:4
	v_cndmask_b32_e64 v6, v6, v29, s12
	s_delay_alu instid0(VALU_DEP_1) | instskip(NEXT) | instid1(VALU_DEP_1)
	v_dual_add_f32 v29, v6, v7 :: v_dual_bitop2_b32 v9, 1, v9 bitop3:0x40
	v_cmp_eq_u32_e64 s12, 1, v9
	s_delay_alu instid0(VALU_DEP_1) | instskip(SKIP_2) | instid1(VALU_DEP_1)
	v_cndmask_b32_e64 v8, v8, 1, s12
	s_wait_dscnt 0x6
	v_cmp_eq_u16_e64 s12, 0, v12
	v_dual_cndmask_b32 v7, v7, v29, s12 :: v_dual_bitop2_b32 v10, 1, v10 bitop3:0x40
	v_and_b32_e32 v9, 1, v11
	s_delay_alu instid0(VALU_DEP_2) | instskip(SKIP_1) | instid1(VALU_DEP_3)
	v_cmp_eq_u32_e64 s12, 1, v10
	s_wait_dscnt 0x1
	v_dual_add_f32 v12, v7, v2 :: v_dual_bitop2_b32 v11, 1, v12 bitop3:0x40
	s_delay_alu instid0(VALU_DEP_2) | instskip(SKIP_1) | instid1(VALU_DEP_1)
	v_cndmask_b32_e64 v10, v8, 1, s12
	v_cmp_eq_u32_e64 s12, 1, v9
	v_cndmask_b32_e64 v9, v10, 1, s12
	v_cmp_eq_u16_e64 s12, 0, v13
	s_delay_alu instid0(VALU_DEP_1) | instskip(SKIP_1) | instid1(VALU_DEP_2)
	v_dual_cndmask_b32 v2, v2, v12, s12 :: v_dual_bitop2_b32 v29, 1, v13 bitop3:0x40
	v_cmp_eq_u32_e64 s12, 1, v11
	v_add_f32_e32 v13, v2, v3
	s_delay_alu instid0(VALU_DEP_2) | instskip(NEXT) | instid1(VALU_DEP_4)
	v_cndmask_b32_e64 v11, v9, 1, s12
	v_cmp_eq_u32_e64 s12, 1, v29
	s_delay_alu instid0(VALU_DEP_1) | instskip(SKIP_1) | instid1(VALU_DEP_1)
	v_cndmask_b32_e64 v29, v11, 1, s12
	v_cmp_eq_u16_e64 s12, 0, v21
	v_dual_cndmask_b32 v3, v3, v13, s12 :: v_dual_bitop2_b32 v31, 1, v26 bitop3:0x40
	v_and_b32_e32 v12, 1, v21
	ds_store_2addr_b32 v4, v6, v7 offset0:6 offset1:8
	ds_store_2addr_b32 v4, v2, v3 offset0:10 offset1:12
	v_add_f32_e32 v5, v3, v24
	v_cmp_eq_u32_e64 s12, 1, v12
	s_delay_alu instid0(VALU_DEP_1) | instskip(SKIP_1) | instid1(VALU_DEP_1)
	v_cndmask_b32_e64 v12, v29, 1, s12
	v_cmp_eq_u32_e64 s12, 1, v31
	v_cndmask_b32_e64 v13, v12, 1, s12
	v_cmp_eq_u16_e64 s12, 0, v26
	s_delay_alu instid0(VALU_DEP_1)
	v_cndmask_b32_e64 v2, v24, v5, s12
	ds_store_b8 v4, v8 offset:12
	ds_store_b8 v4, v10 offset:20
	;; [unrolled: 1-line block ×6, first 2 shown]
	ds_store_b32 v4, v2 offset:56
	ds_store_b8 v4, v13 offset:60
.LBB1815_196:
	s_or_b32 exec_lo, exec_lo, s14
	v_mov_b32_e32 v2, v47
	s_wait_dscnt 0x0
	s_barrier_signal -1
	s_barrier_wait -1
	s_and_saveexec_b32 s12, s3
	s_cbranch_execz .LBB1815_198
; %bb.197:
	v_add_nc_u32_e32 v2, -1, v0
	s_delay_alu instid0(VALU_DEP_1) | instskip(NEXT) | instid1(VALU_DEP_1)
	v_lshrrev_b32_e32 v3, 2, v2
	v_and_b32_e32 v3, 0x3ffffff8, v3
	s_delay_alu instid0(VALU_DEP_1)
	v_lshl_add_u32 v2, v2, 3, v3
	ds_load_b32 v3, v2
	ds_load_u8 v2, v2 offset:4
	s_wait_dscnt 0x1
	v_add_f32_e32 v4, v47, v3
	s_wait_dscnt 0x0
	v_cmp_eq_u16_e64 s3, 0, v2
	s_delay_alu instid0(VALU_DEP_1)
	v_cndmask_b32_e64 v2, v3, v4, s3
.LBB1815_198:
	s_or_b32 exec_lo, exec_lo, s12
	s_delay_alu instid0(VALU_DEP_1) | instskip(SKIP_1) | instid1(VALU_DEP_1)
	v_add_f32_e32 v3, v27, v2
	v_cmp_eq_u16_e64 s3, 0, v30
	v_cndmask_b32_e64 v3, v27, v3, s3
	s_delay_alu instid0(VALU_DEP_1) | instskip(NEXT) | instid1(VALU_DEP_1)
	v_add_f32_e32 v4, v15, v3
	v_cndmask_b32_e32 v4, v15, v4, vcc_lo
	s_delay_alu instid0(VALU_DEP_1) | instskip(NEXT) | instid1(VALU_DEP_1)
	v_add_f32_e32 v5, v25, v4
	v_cndmask_b32_e64 v5, v25, v5, s1
	s_delay_alu instid0(VALU_DEP_1) | instskip(NEXT) | instid1(VALU_DEP_1)
	v_add_f32_e32 v6, v23, v5
	v_cndmask_b32_e64 v6, v23, v6, s4
	;; [unrolled: 3-line block ×9, first 2 shown]
	s_and_saveexec_b32 s1, s2
	s_cbranch_execz .LBB1815_200
; %bb.199:
	v_mov_b32_e32 v21, 0
	s_add_nc_u64 s[2:3], s[20:21], 0x200
	ds_load_u8 v1, v21 offset:2100
	ds_load_b32 v15, v21 offset:2096
	s_wait_dscnt 0x1
	v_and_b32_e32 v20, 0xffff, v1
	s_wait_dscnt 0x0
	v_dual_add_f32 v1, v47, v15 :: v_dual_mov_b32 v18, 2
	v_mov_b32_e32 v19, v21
	s_delay_alu instid0(VALU_DEP_3)
	v_cmp_eq_u64_e32 vcc_lo, 0, v[20:21]
	v_mov_b32_e32 v17, v20
	v_mov_b64_e32 v[20:21], s[2:3]
	v_cndmask_b32_e32 v16, v15, v1, vcc_lo
	;;#ASMSTART
	global_store_b128 v[20:21], v[16:19] off scope:SCOPE_DEV	
s_wait_storecnt 0x0
	;;#ASMEND
.LBB1815_200:
	s_or_b32 exec_lo, exec_lo, s1
	s_add_nc_u64 s[2:3], s[18:19], s[28:29]
	s_and_b32 vcc_lo, exec_lo, s0
	s_add_nc_u64 s[0:1], s[2:3], s[16:17]
	s_cbranch_vccnz .LBB1815_138
.LBB1815_201:
	s_mov_b32 s2, 0
                                        ; implicit-def: $vgpr17
	s_cbranch_execz .LBB1815_203
; %bb.202:
	v_mul_u32_u24_e32 v1, 48, v0
	v_mul_i32_i24_e32 v14, 0xffffffd4, v0
	s_wait_storecnt_dscnt 0x0
	s_barrier_signal -1
	s_barrier_wait -1
	ds_store_b128 v1, v[2:5]
	ds_store_b128 v1, v[6:9] offset:16
	ds_store_b128 v1, v[10:13] offset:32
	v_mad_u32_u24 v1, v0, 48, v14
	s_wait_dscnt 0x0
	s_barrier_signal -1
	s_barrier_wait -1
	ds_load_2addr_stride64_b32 v[2:3], v1 offset1:4
	ds_load_2addr_stride64_b32 v[4:5], v1 offset0:8 offset1:12
	ds_load_2addr_stride64_b32 v[6:7], v1 offset0:16 offset1:20
	;; [unrolled: 1-line block ×5, first 2 shown]
	s_or_b32 s2, s2, exec_lo
	s_wait_dscnt 0x5
	v_cvt_i32_f32_e32 v1, v2
	v_cvt_i32_f32_e32 v2, v3
	s_wait_dscnt 0x4
	v_cvt_i32_f32_e32 v3, v4
	v_cvt_i32_f32_e32 v4, v5
	;; [unrolled: 3-line block ×5, first 2 shown]
	s_wait_dscnt 0x0
	v_cvt_i32_f32_e32 v11, v16
	s_clause 0xa
	flat_store_b32 v0, v1, s[0:1] scale_offset
	flat_store_b32 v0, v2, s[0:1] offset:1024 scale_offset
	flat_store_b32 v0, v3, s[0:1] offset:2048 scale_offset
	;; [unrolled: 1-line block ×10, first 2 shown]
.LBB1815_203:
	s_wait_xcnt 0x0
	s_delay_alu instid0(VALU_DEP_1)
	s_and_saveexec_b32 s3, s2
	s_cbranch_execz .LBB1815_205
; %bb.204:
	s_wait_dscnt 0x0
	v_cvt_i32_f32_e32 v1, v17
	flat_store_b32 v0, v1, s[0:1] offset:11264 scale_offset
	s_endpgm
.LBB1815_205:
	s_endpgm
	.section	.rodata,"a",@progbits
	.p2align	6, 0x0
	.amdhsa_kernel _ZN7rocprim17ROCPRIM_400000_NS6detail17trampoline_kernelINS0_14default_configENS1_27scan_by_key_config_selectorIifEEZZNS1_16scan_by_key_implILNS1_25lookback_scan_determinismE0ELb1ES3_N6thrust23THRUST_200600_302600_NS6detail15normal_iteratorINS9_10device_ptrIiEEEENSB_INSC_IjEEEESE_fNS9_4plusIvEENS9_8equal_toIvEEfEE10hipError_tPvRmT2_T3_T4_T5_mT6_T7_P12ihipStream_tbENKUlT_T0_E_clISt17integral_constantIbLb0EES10_IbLb1EEEEDaSW_SX_EUlSW_E_NS1_11comp_targetILNS1_3genE0ELNS1_11target_archE4294967295ELNS1_3gpuE0ELNS1_3repE0EEENS1_30default_config_static_selectorELNS0_4arch9wavefront6targetE0EEEvT1_
		.amdhsa_group_segment_fixed_size 14336
		.amdhsa_private_segment_fixed_size 0
		.amdhsa_kernarg_size 112
		.amdhsa_user_sgpr_count 2
		.amdhsa_user_sgpr_dispatch_ptr 0
		.amdhsa_user_sgpr_queue_ptr 0
		.amdhsa_user_sgpr_kernarg_segment_ptr 1
		.amdhsa_user_sgpr_dispatch_id 0
		.amdhsa_user_sgpr_kernarg_preload_length 0
		.amdhsa_user_sgpr_kernarg_preload_offset 0
		.amdhsa_user_sgpr_private_segment_size 0
		.amdhsa_wavefront_size32 1
		.amdhsa_uses_dynamic_stack 0
		.amdhsa_enable_private_segment 0
		.amdhsa_system_sgpr_workgroup_id_x 1
		.amdhsa_system_sgpr_workgroup_id_y 0
		.amdhsa_system_sgpr_workgroup_id_z 0
		.amdhsa_system_sgpr_workgroup_info 0
		.amdhsa_system_vgpr_workitem_id 0
		.amdhsa_next_free_vgpr 62
		.amdhsa_next_free_sgpr 50
		.amdhsa_named_barrier_count 0
		.amdhsa_reserve_vcc 1
		.amdhsa_float_round_mode_32 0
		.amdhsa_float_round_mode_16_64 0
		.amdhsa_float_denorm_mode_32 3
		.amdhsa_float_denorm_mode_16_64 3
		.amdhsa_fp16_overflow 0
		.amdhsa_memory_ordered 1
		.amdhsa_forward_progress 1
		.amdhsa_inst_pref_size 106
		.amdhsa_round_robin_scheduling 0
		.amdhsa_exception_fp_ieee_invalid_op 0
		.amdhsa_exception_fp_denorm_src 0
		.amdhsa_exception_fp_ieee_div_zero 0
		.amdhsa_exception_fp_ieee_overflow 0
		.amdhsa_exception_fp_ieee_underflow 0
		.amdhsa_exception_fp_ieee_inexact 0
		.amdhsa_exception_int_div_zero 0
	.end_amdhsa_kernel
	.section	.text._ZN7rocprim17ROCPRIM_400000_NS6detail17trampoline_kernelINS0_14default_configENS1_27scan_by_key_config_selectorIifEEZZNS1_16scan_by_key_implILNS1_25lookback_scan_determinismE0ELb1ES3_N6thrust23THRUST_200600_302600_NS6detail15normal_iteratorINS9_10device_ptrIiEEEENSB_INSC_IjEEEESE_fNS9_4plusIvEENS9_8equal_toIvEEfEE10hipError_tPvRmT2_T3_T4_T5_mT6_T7_P12ihipStream_tbENKUlT_T0_E_clISt17integral_constantIbLb0EES10_IbLb1EEEEDaSW_SX_EUlSW_E_NS1_11comp_targetILNS1_3genE0ELNS1_11target_archE4294967295ELNS1_3gpuE0ELNS1_3repE0EEENS1_30default_config_static_selectorELNS0_4arch9wavefront6targetE0EEEvT1_,"axG",@progbits,_ZN7rocprim17ROCPRIM_400000_NS6detail17trampoline_kernelINS0_14default_configENS1_27scan_by_key_config_selectorIifEEZZNS1_16scan_by_key_implILNS1_25lookback_scan_determinismE0ELb1ES3_N6thrust23THRUST_200600_302600_NS6detail15normal_iteratorINS9_10device_ptrIiEEEENSB_INSC_IjEEEESE_fNS9_4plusIvEENS9_8equal_toIvEEfEE10hipError_tPvRmT2_T3_T4_T5_mT6_T7_P12ihipStream_tbENKUlT_T0_E_clISt17integral_constantIbLb0EES10_IbLb1EEEEDaSW_SX_EUlSW_E_NS1_11comp_targetILNS1_3genE0ELNS1_11target_archE4294967295ELNS1_3gpuE0ELNS1_3repE0EEENS1_30default_config_static_selectorELNS0_4arch9wavefront6targetE0EEEvT1_,comdat
.Lfunc_end1815:
	.size	_ZN7rocprim17ROCPRIM_400000_NS6detail17trampoline_kernelINS0_14default_configENS1_27scan_by_key_config_selectorIifEEZZNS1_16scan_by_key_implILNS1_25lookback_scan_determinismE0ELb1ES3_N6thrust23THRUST_200600_302600_NS6detail15normal_iteratorINS9_10device_ptrIiEEEENSB_INSC_IjEEEESE_fNS9_4plusIvEENS9_8equal_toIvEEfEE10hipError_tPvRmT2_T3_T4_T5_mT6_T7_P12ihipStream_tbENKUlT_T0_E_clISt17integral_constantIbLb0EES10_IbLb1EEEEDaSW_SX_EUlSW_E_NS1_11comp_targetILNS1_3genE0ELNS1_11target_archE4294967295ELNS1_3gpuE0ELNS1_3repE0EEENS1_30default_config_static_selectorELNS0_4arch9wavefront6targetE0EEEvT1_, .Lfunc_end1815-_ZN7rocprim17ROCPRIM_400000_NS6detail17trampoline_kernelINS0_14default_configENS1_27scan_by_key_config_selectorIifEEZZNS1_16scan_by_key_implILNS1_25lookback_scan_determinismE0ELb1ES3_N6thrust23THRUST_200600_302600_NS6detail15normal_iteratorINS9_10device_ptrIiEEEENSB_INSC_IjEEEESE_fNS9_4plusIvEENS9_8equal_toIvEEfEE10hipError_tPvRmT2_T3_T4_T5_mT6_T7_P12ihipStream_tbENKUlT_T0_E_clISt17integral_constantIbLb0EES10_IbLb1EEEEDaSW_SX_EUlSW_E_NS1_11comp_targetILNS1_3genE0ELNS1_11target_archE4294967295ELNS1_3gpuE0ELNS1_3repE0EEENS1_30default_config_static_selectorELNS0_4arch9wavefront6targetE0EEEvT1_
                                        ; -- End function
	.set _ZN7rocprim17ROCPRIM_400000_NS6detail17trampoline_kernelINS0_14default_configENS1_27scan_by_key_config_selectorIifEEZZNS1_16scan_by_key_implILNS1_25lookback_scan_determinismE0ELb1ES3_N6thrust23THRUST_200600_302600_NS6detail15normal_iteratorINS9_10device_ptrIiEEEENSB_INSC_IjEEEESE_fNS9_4plusIvEENS9_8equal_toIvEEfEE10hipError_tPvRmT2_T3_T4_T5_mT6_T7_P12ihipStream_tbENKUlT_T0_E_clISt17integral_constantIbLb0EES10_IbLb1EEEEDaSW_SX_EUlSW_E_NS1_11comp_targetILNS1_3genE0ELNS1_11target_archE4294967295ELNS1_3gpuE0ELNS1_3repE0EEENS1_30default_config_static_selectorELNS0_4arch9wavefront6targetE0EEEvT1_.num_vgpr, 62
	.set _ZN7rocprim17ROCPRIM_400000_NS6detail17trampoline_kernelINS0_14default_configENS1_27scan_by_key_config_selectorIifEEZZNS1_16scan_by_key_implILNS1_25lookback_scan_determinismE0ELb1ES3_N6thrust23THRUST_200600_302600_NS6detail15normal_iteratorINS9_10device_ptrIiEEEENSB_INSC_IjEEEESE_fNS9_4plusIvEENS9_8equal_toIvEEfEE10hipError_tPvRmT2_T3_T4_T5_mT6_T7_P12ihipStream_tbENKUlT_T0_E_clISt17integral_constantIbLb0EES10_IbLb1EEEEDaSW_SX_EUlSW_E_NS1_11comp_targetILNS1_3genE0ELNS1_11target_archE4294967295ELNS1_3gpuE0ELNS1_3repE0EEENS1_30default_config_static_selectorELNS0_4arch9wavefront6targetE0EEEvT1_.num_agpr, 0
	.set _ZN7rocprim17ROCPRIM_400000_NS6detail17trampoline_kernelINS0_14default_configENS1_27scan_by_key_config_selectorIifEEZZNS1_16scan_by_key_implILNS1_25lookback_scan_determinismE0ELb1ES3_N6thrust23THRUST_200600_302600_NS6detail15normal_iteratorINS9_10device_ptrIiEEEENSB_INSC_IjEEEESE_fNS9_4plusIvEENS9_8equal_toIvEEfEE10hipError_tPvRmT2_T3_T4_T5_mT6_T7_P12ihipStream_tbENKUlT_T0_E_clISt17integral_constantIbLb0EES10_IbLb1EEEEDaSW_SX_EUlSW_E_NS1_11comp_targetILNS1_3genE0ELNS1_11target_archE4294967295ELNS1_3gpuE0ELNS1_3repE0EEENS1_30default_config_static_selectorELNS0_4arch9wavefront6targetE0EEEvT1_.numbered_sgpr, 50
	.set _ZN7rocprim17ROCPRIM_400000_NS6detail17trampoline_kernelINS0_14default_configENS1_27scan_by_key_config_selectorIifEEZZNS1_16scan_by_key_implILNS1_25lookback_scan_determinismE0ELb1ES3_N6thrust23THRUST_200600_302600_NS6detail15normal_iteratorINS9_10device_ptrIiEEEENSB_INSC_IjEEEESE_fNS9_4plusIvEENS9_8equal_toIvEEfEE10hipError_tPvRmT2_T3_T4_T5_mT6_T7_P12ihipStream_tbENKUlT_T0_E_clISt17integral_constantIbLb0EES10_IbLb1EEEEDaSW_SX_EUlSW_E_NS1_11comp_targetILNS1_3genE0ELNS1_11target_archE4294967295ELNS1_3gpuE0ELNS1_3repE0EEENS1_30default_config_static_selectorELNS0_4arch9wavefront6targetE0EEEvT1_.num_named_barrier, 0
	.set _ZN7rocprim17ROCPRIM_400000_NS6detail17trampoline_kernelINS0_14default_configENS1_27scan_by_key_config_selectorIifEEZZNS1_16scan_by_key_implILNS1_25lookback_scan_determinismE0ELb1ES3_N6thrust23THRUST_200600_302600_NS6detail15normal_iteratorINS9_10device_ptrIiEEEENSB_INSC_IjEEEESE_fNS9_4plusIvEENS9_8equal_toIvEEfEE10hipError_tPvRmT2_T3_T4_T5_mT6_T7_P12ihipStream_tbENKUlT_T0_E_clISt17integral_constantIbLb0EES10_IbLb1EEEEDaSW_SX_EUlSW_E_NS1_11comp_targetILNS1_3genE0ELNS1_11target_archE4294967295ELNS1_3gpuE0ELNS1_3repE0EEENS1_30default_config_static_selectorELNS0_4arch9wavefront6targetE0EEEvT1_.private_seg_size, 0
	.set _ZN7rocprim17ROCPRIM_400000_NS6detail17trampoline_kernelINS0_14default_configENS1_27scan_by_key_config_selectorIifEEZZNS1_16scan_by_key_implILNS1_25lookback_scan_determinismE0ELb1ES3_N6thrust23THRUST_200600_302600_NS6detail15normal_iteratorINS9_10device_ptrIiEEEENSB_INSC_IjEEEESE_fNS9_4plusIvEENS9_8equal_toIvEEfEE10hipError_tPvRmT2_T3_T4_T5_mT6_T7_P12ihipStream_tbENKUlT_T0_E_clISt17integral_constantIbLb0EES10_IbLb1EEEEDaSW_SX_EUlSW_E_NS1_11comp_targetILNS1_3genE0ELNS1_11target_archE4294967295ELNS1_3gpuE0ELNS1_3repE0EEENS1_30default_config_static_selectorELNS0_4arch9wavefront6targetE0EEEvT1_.uses_vcc, 1
	.set _ZN7rocprim17ROCPRIM_400000_NS6detail17trampoline_kernelINS0_14default_configENS1_27scan_by_key_config_selectorIifEEZZNS1_16scan_by_key_implILNS1_25lookback_scan_determinismE0ELb1ES3_N6thrust23THRUST_200600_302600_NS6detail15normal_iteratorINS9_10device_ptrIiEEEENSB_INSC_IjEEEESE_fNS9_4plusIvEENS9_8equal_toIvEEfEE10hipError_tPvRmT2_T3_T4_T5_mT6_T7_P12ihipStream_tbENKUlT_T0_E_clISt17integral_constantIbLb0EES10_IbLb1EEEEDaSW_SX_EUlSW_E_NS1_11comp_targetILNS1_3genE0ELNS1_11target_archE4294967295ELNS1_3gpuE0ELNS1_3repE0EEENS1_30default_config_static_selectorELNS0_4arch9wavefront6targetE0EEEvT1_.uses_flat_scratch, 1
	.set _ZN7rocprim17ROCPRIM_400000_NS6detail17trampoline_kernelINS0_14default_configENS1_27scan_by_key_config_selectorIifEEZZNS1_16scan_by_key_implILNS1_25lookback_scan_determinismE0ELb1ES3_N6thrust23THRUST_200600_302600_NS6detail15normal_iteratorINS9_10device_ptrIiEEEENSB_INSC_IjEEEESE_fNS9_4plusIvEENS9_8equal_toIvEEfEE10hipError_tPvRmT2_T3_T4_T5_mT6_T7_P12ihipStream_tbENKUlT_T0_E_clISt17integral_constantIbLb0EES10_IbLb1EEEEDaSW_SX_EUlSW_E_NS1_11comp_targetILNS1_3genE0ELNS1_11target_archE4294967295ELNS1_3gpuE0ELNS1_3repE0EEENS1_30default_config_static_selectorELNS0_4arch9wavefront6targetE0EEEvT1_.has_dyn_sized_stack, 0
	.set _ZN7rocprim17ROCPRIM_400000_NS6detail17trampoline_kernelINS0_14default_configENS1_27scan_by_key_config_selectorIifEEZZNS1_16scan_by_key_implILNS1_25lookback_scan_determinismE0ELb1ES3_N6thrust23THRUST_200600_302600_NS6detail15normal_iteratorINS9_10device_ptrIiEEEENSB_INSC_IjEEEESE_fNS9_4plusIvEENS9_8equal_toIvEEfEE10hipError_tPvRmT2_T3_T4_T5_mT6_T7_P12ihipStream_tbENKUlT_T0_E_clISt17integral_constantIbLb0EES10_IbLb1EEEEDaSW_SX_EUlSW_E_NS1_11comp_targetILNS1_3genE0ELNS1_11target_archE4294967295ELNS1_3gpuE0ELNS1_3repE0EEENS1_30default_config_static_selectorELNS0_4arch9wavefront6targetE0EEEvT1_.has_recursion, 0
	.set _ZN7rocprim17ROCPRIM_400000_NS6detail17trampoline_kernelINS0_14default_configENS1_27scan_by_key_config_selectorIifEEZZNS1_16scan_by_key_implILNS1_25lookback_scan_determinismE0ELb1ES3_N6thrust23THRUST_200600_302600_NS6detail15normal_iteratorINS9_10device_ptrIiEEEENSB_INSC_IjEEEESE_fNS9_4plusIvEENS9_8equal_toIvEEfEE10hipError_tPvRmT2_T3_T4_T5_mT6_T7_P12ihipStream_tbENKUlT_T0_E_clISt17integral_constantIbLb0EES10_IbLb1EEEEDaSW_SX_EUlSW_E_NS1_11comp_targetILNS1_3genE0ELNS1_11target_archE4294967295ELNS1_3gpuE0ELNS1_3repE0EEENS1_30default_config_static_selectorELNS0_4arch9wavefront6targetE0EEEvT1_.has_indirect_call, 0
	.section	.AMDGPU.csdata,"",@progbits
; Kernel info:
; codeLenInByte = 13448
; TotalNumSgprs: 52
; NumVgprs: 62
; ScratchSize: 0
; MemoryBound: 0
; FloatMode: 240
; IeeeMode: 1
; LDSByteSize: 14336 bytes/workgroup (compile time only)
; SGPRBlocks: 0
; VGPRBlocks: 3
; NumSGPRsForWavesPerEU: 52
; NumVGPRsForWavesPerEU: 62
; NamedBarCnt: 0
; Occupancy: 16
; WaveLimiterHint : 1
; COMPUTE_PGM_RSRC2:SCRATCH_EN: 0
; COMPUTE_PGM_RSRC2:USER_SGPR: 2
; COMPUTE_PGM_RSRC2:TRAP_HANDLER: 0
; COMPUTE_PGM_RSRC2:TGID_X_EN: 1
; COMPUTE_PGM_RSRC2:TGID_Y_EN: 0
; COMPUTE_PGM_RSRC2:TGID_Z_EN: 0
; COMPUTE_PGM_RSRC2:TIDIG_COMP_CNT: 0
	.section	.text._ZN7rocprim17ROCPRIM_400000_NS6detail17trampoline_kernelINS0_14default_configENS1_27scan_by_key_config_selectorIifEEZZNS1_16scan_by_key_implILNS1_25lookback_scan_determinismE0ELb1ES3_N6thrust23THRUST_200600_302600_NS6detail15normal_iteratorINS9_10device_ptrIiEEEENSB_INSC_IjEEEESE_fNS9_4plusIvEENS9_8equal_toIvEEfEE10hipError_tPvRmT2_T3_T4_T5_mT6_T7_P12ihipStream_tbENKUlT_T0_E_clISt17integral_constantIbLb0EES10_IbLb1EEEEDaSW_SX_EUlSW_E_NS1_11comp_targetILNS1_3genE10ELNS1_11target_archE1201ELNS1_3gpuE5ELNS1_3repE0EEENS1_30default_config_static_selectorELNS0_4arch9wavefront6targetE0EEEvT1_,"axG",@progbits,_ZN7rocprim17ROCPRIM_400000_NS6detail17trampoline_kernelINS0_14default_configENS1_27scan_by_key_config_selectorIifEEZZNS1_16scan_by_key_implILNS1_25lookback_scan_determinismE0ELb1ES3_N6thrust23THRUST_200600_302600_NS6detail15normal_iteratorINS9_10device_ptrIiEEEENSB_INSC_IjEEEESE_fNS9_4plusIvEENS9_8equal_toIvEEfEE10hipError_tPvRmT2_T3_T4_T5_mT6_T7_P12ihipStream_tbENKUlT_T0_E_clISt17integral_constantIbLb0EES10_IbLb1EEEEDaSW_SX_EUlSW_E_NS1_11comp_targetILNS1_3genE10ELNS1_11target_archE1201ELNS1_3gpuE5ELNS1_3repE0EEENS1_30default_config_static_selectorELNS0_4arch9wavefront6targetE0EEEvT1_,comdat
	.protected	_ZN7rocprim17ROCPRIM_400000_NS6detail17trampoline_kernelINS0_14default_configENS1_27scan_by_key_config_selectorIifEEZZNS1_16scan_by_key_implILNS1_25lookback_scan_determinismE0ELb1ES3_N6thrust23THRUST_200600_302600_NS6detail15normal_iteratorINS9_10device_ptrIiEEEENSB_INSC_IjEEEESE_fNS9_4plusIvEENS9_8equal_toIvEEfEE10hipError_tPvRmT2_T3_T4_T5_mT6_T7_P12ihipStream_tbENKUlT_T0_E_clISt17integral_constantIbLb0EES10_IbLb1EEEEDaSW_SX_EUlSW_E_NS1_11comp_targetILNS1_3genE10ELNS1_11target_archE1201ELNS1_3gpuE5ELNS1_3repE0EEENS1_30default_config_static_selectorELNS0_4arch9wavefront6targetE0EEEvT1_ ; -- Begin function _ZN7rocprim17ROCPRIM_400000_NS6detail17trampoline_kernelINS0_14default_configENS1_27scan_by_key_config_selectorIifEEZZNS1_16scan_by_key_implILNS1_25lookback_scan_determinismE0ELb1ES3_N6thrust23THRUST_200600_302600_NS6detail15normal_iteratorINS9_10device_ptrIiEEEENSB_INSC_IjEEEESE_fNS9_4plusIvEENS9_8equal_toIvEEfEE10hipError_tPvRmT2_T3_T4_T5_mT6_T7_P12ihipStream_tbENKUlT_T0_E_clISt17integral_constantIbLb0EES10_IbLb1EEEEDaSW_SX_EUlSW_E_NS1_11comp_targetILNS1_3genE10ELNS1_11target_archE1201ELNS1_3gpuE5ELNS1_3repE0EEENS1_30default_config_static_selectorELNS0_4arch9wavefront6targetE0EEEvT1_
	.globl	_ZN7rocprim17ROCPRIM_400000_NS6detail17trampoline_kernelINS0_14default_configENS1_27scan_by_key_config_selectorIifEEZZNS1_16scan_by_key_implILNS1_25lookback_scan_determinismE0ELb1ES3_N6thrust23THRUST_200600_302600_NS6detail15normal_iteratorINS9_10device_ptrIiEEEENSB_INSC_IjEEEESE_fNS9_4plusIvEENS9_8equal_toIvEEfEE10hipError_tPvRmT2_T3_T4_T5_mT6_T7_P12ihipStream_tbENKUlT_T0_E_clISt17integral_constantIbLb0EES10_IbLb1EEEEDaSW_SX_EUlSW_E_NS1_11comp_targetILNS1_3genE10ELNS1_11target_archE1201ELNS1_3gpuE5ELNS1_3repE0EEENS1_30default_config_static_selectorELNS0_4arch9wavefront6targetE0EEEvT1_
	.p2align	8
	.type	_ZN7rocprim17ROCPRIM_400000_NS6detail17trampoline_kernelINS0_14default_configENS1_27scan_by_key_config_selectorIifEEZZNS1_16scan_by_key_implILNS1_25lookback_scan_determinismE0ELb1ES3_N6thrust23THRUST_200600_302600_NS6detail15normal_iteratorINS9_10device_ptrIiEEEENSB_INSC_IjEEEESE_fNS9_4plusIvEENS9_8equal_toIvEEfEE10hipError_tPvRmT2_T3_T4_T5_mT6_T7_P12ihipStream_tbENKUlT_T0_E_clISt17integral_constantIbLb0EES10_IbLb1EEEEDaSW_SX_EUlSW_E_NS1_11comp_targetILNS1_3genE10ELNS1_11target_archE1201ELNS1_3gpuE5ELNS1_3repE0EEENS1_30default_config_static_selectorELNS0_4arch9wavefront6targetE0EEEvT1_,@function
_ZN7rocprim17ROCPRIM_400000_NS6detail17trampoline_kernelINS0_14default_configENS1_27scan_by_key_config_selectorIifEEZZNS1_16scan_by_key_implILNS1_25lookback_scan_determinismE0ELb1ES3_N6thrust23THRUST_200600_302600_NS6detail15normal_iteratorINS9_10device_ptrIiEEEENSB_INSC_IjEEEESE_fNS9_4plusIvEENS9_8equal_toIvEEfEE10hipError_tPvRmT2_T3_T4_T5_mT6_T7_P12ihipStream_tbENKUlT_T0_E_clISt17integral_constantIbLb0EES10_IbLb1EEEEDaSW_SX_EUlSW_E_NS1_11comp_targetILNS1_3genE10ELNS1_11target_archE1201ELNS1_3gpuE5ELNS1_3repE0EEENS1_30default_config_static_selectorELNS0_4arch9wavefront6targetE0EEEvT1_: ; @_ZN7rocprim17ROCPRIM_400000_NS6detail17trampoline_kernelINS0_14default_configENS1_27scan_by_key_config_selectorIifEEZZNS1_16scan_by_key_implILNS1_25lookback_scan_determinismE0ELb1ES3_N6thrust23THRUST_200600_302600_NS6detail15normal_iteratorINS9_10device_ptrIiEEEENSB_INSC_IjEEEESE_fNS9_4plusIvEENS9_8equal_toIvEEfEE10hipError_tPvRmT2_T3_T4_T5_mT6_T7_P12ihipStream_tbENKUlT_T0_E_clISt17integral_constantIbLb0EES10_IbLb1EEEEDaSW_SX_EUlSW_E_NS1_11comp_targetILNS1_3genE10ELNS1_11target_archE1201ELNS1_3gpuE5ELNS1_3repE0EEENS1_30default_config_static_selectorELNS0_4arch9wavefront6targetE0EEEvT1_
; %bb.0:
	.section	.rodata,"a",@progbits
	.p2align	6, 0x0
	.amdhsa_kernel _ZN7rocprim17ROCPRIM_400000_NS6detail17trampoline_kernelINS0_14default_configENS1_27scan_by_key_config_selectorIifEEZZNS1_16scan_by_key_implILNS1_25lookback_scan_determinismE0ELb1ES3_N6thrust23THRUST_200600_302600_NS6detail15normal_iteratorINS9_10device_ptrIiEEEENSB_INSC_IjEEEESE_fNS9_4plusIvEENS9_8equal_toIvEEfEE10hipError_tPvRmT2_T3_T4_T5_mT6_T7_P12ihipStream_tbENKUlT_T0_E_clISt17integral_constantIbLb0EES10_IbLb1EEEEDaSW_SX_EUlSW_E_NS1_11comp_targetILNS1_3genE10ELNS1_11target_archE1201ELNS1_3gpuE5ELNS1_3repE0EEENS1_30default_config_static_selectorELNS0_4arch9wavefront6targetE0EEEvT1_
		.amdhsa_group_segment_fixed_size 0
		.amdhsa_private_segment_fixed_size 0
		.amdhsa_kernarg_size 112
		.amdhsa_user_sgpr_count 2
		.amdhsa_user_sgpr_dispatch_ptr 0
		.amdhsa_user_sgpr_queue_ptr 0
		.amdhsa_user_sgpr_kernarg_segment_ptr 1
		.amdhsa_user_sgpr_dispatch_id 0
		.amdhsa_user_sgpr_kernarg_preload_length 0
		.amdhsa_user_sgpr_kernarg_preload_offset 0
		.amdhsa_user_sgpr_private_segment_size 0
		.amdhsa_wavefront_size32 1
		.amdhsa_uses_dynamic_stack 0
		.amdhsa_enable_private_segment 0
		.amdhsa_system_sgpr_workgroup_id_x 1
		.amdhsa_system_sgpr_workgroup_id_y 0
		.amdhsa_system_sgpr_workgroup_id_z 0
		.amdhsa_system_sgpr_workgroup_info 0
		.amdhsa_system_vgpr_workitem_id 0
		.amdhsa_next_free_vgpr 1
		.amdhsa_next_free_sgpr 1
		.amdhsa_named_barrier_count 0
		.amdhsa_reserve_vcc 0
		.amdhsa_float_round_mode_32 0
		.amdhsa_float_round_mode_16_64 0
		.amdhsa_float_denorm_mode_32 3
		.amdhsa_float_denorm_mode_16_64 3
		.amdhsa_fp16_overflow 0
		.amdhsa_memory_ordered 1
		.amdhsa_forward_progress 1
		.amdhsa_inst_pref_size 0
		.amdhsa_round_robin_scheduling 0
		.amdhsa_exception_fp_ieee_invalid_op 0
		.amdhsa_exception_fp_denorm_src 0
		.amdhsa_exception_fp_ieee_div_zero 0
		.amdhsa_exception_fp_ieee_overflow 0
		.amdhsa_exception_fp_ieee_underflow 0
		.amdhsa_exception_fp_ieee_inexact 0
		.amdhsa_exception_int_div_zero 0
	.end_amdhsa_kernel
	.section	.text._ZN7rocprim17ROCPRIM_400000_NS6detail17trampoline_kernelINS0_14default_configENS1_27scan_by_key_config_selectorIifEEZZNS1_16scan_by_key_implILNS1_25lookback_scan_determinismE0ELb1ES3_N6thrust23THRUST_200600_302600_NS6detail15normal_iteratorINS9_10device_ptrIiEEEENSB_INSC_IjEEEESE_fNS9_4plusIvEENS9_8equal_toIvEEfEE10hipError_tPvRmT2_T3_T4_T5_mT6_T7_P12ihipStream_tbENKUlT_T0_E_clISt17integral_constantIbLb0EES10_IbLb1EEEEDaSW_SX_EUlSW_E_NS1_11comp_targetILNS1_3genE10ELNS1_11target_archE1201ELNS1_3gpuE5ELNS1_3repE0EEENS1_30default_config_static_selectorELNS0_4arch9wavefront6targetE0EEEvT1_,"axG",@progbits,_ZN7rocprim17ROCPRIM_400000_NS6detail17trampoline_kernelINS0_14default_configENS1_27scan_by_key_config_selectorIifEEZZNS1_16scan_by_key_implILNS1_25lookback_scan_determinismE0ELb1ES3_N6thrust23THRUST_200600_302600_NS6detail15normal_iteratorINS9_10device_ptrIiEEEENSB_INSC_IjEEEESE_fNS9_4plusIvEENS9_8equal_toIvEEfEE10hipError_tPvRmT2_T3_T4_T5_mT6_T7_P12ihipStream_tbENKUlT_T0_E_clISt17integral_constantIbLb0EES10_IbLb1EEEEDaSW_SX_EUlSW_E_NS1_11comp_targetILNS1_3genE10ELNS1_11target_archE1201ELNS1_3gpuE5ELNS1_3repE0EEENS1_30default_config_static_selectorELNS0_4arch9wavefront6targetE0EEEvT1_,comdat
.Lfunc_end1816:
	.size	_ZN7rocprim17ROCPRIM_400000_NS6detail17trampoline_kernelINS0_14default_configENS1_27scan_by_key_config_selectorIifEEZZNS1_16scan_by_key_implILNS1_25lookback_scan_determinismE0ELb1ES3_N6thrust23THRUST_200600_302600_NS6detail15normal_iteratorINS9_10device_ptrIiEEEENSB_INSC_IjEEEESE_fNS9_4plusIvEENS9_8equal_toIvEEfEE10hipError_tPvRmT2_T3_T4_T5_mT6_T7_P12ihipStream_tbENKUlT_T0_E_clISt17integral_constantIbLb0EES10_IbLb1EEEEDaSW_SX_EUlSW_E_NS1_11comp_targetILNS1_3genE10ELNS1_11target_archE1201ELNS1_3gpuE5ELNS1_3repE0EEENS1_30default_config_static_selectorELNS0_4arch9wavefront6targetE0EEEvT1_, .Lfunc_end1816-_ZN7rocprim17ROCPRIM_400000_NS6detail17trampoline_kernelINS0_14default_configENS1_27scan_by_key_config_selectorIifEEZZNS1_16scan_by_key_implILNS1_25lookback_scan_determinismE0ELb1ES3_N6thrust23THRUST_200600_302600_NS6detail15normal_iteratorINS9_10device_ptrIiEEEENSB_INSC_IjEEEESE_fNS9_4plusIvEENS9_8equal_toIvEEfEE10hipError_tPvRmT2_T3_T4_T5_mT6_T7_P12ihipStream_tbENKUlT_T0_E_clISt17integral_constantIbLb0EES10_IbLb1EEEEDaSW_SX_EUlSW_E_NS1_11comp_targetILNS1_3genE10ELNS1_11target_archE1201ELNS1_3gpuE5ELNS1_3repE0EEENS1_30default_config_static_selectorELNS0_4arch9wavefront6targetE0EEEvT1_
                                        ; -- End function
	.set _ZN7rocprim17ROCPRIM_400000_NS6detail17trampoline_kernelINS0_14default_configENS1_27scan_by_key_config_selectorIifEEZZNS1_16scan_by_key_implILNS1_25lookback_scan_determinismE0ELb1ES3_N6thrust23THRUST_200600_302600_NS6detail15normal_iteratorINS9_10device_ptrIiEEEENSB_INSC_IjEEEESE_fNS9_4plusIvEENS9_8equal_toIvEEfEE10hipError_tPvRmT2_T3_T4_T5_mT6_T7_P12ihipStream_tbENKUlT_T0_E_clISt17integral_constantIbLb0EES10_IbLb1EEEEDaSW_SX_EUlSW_E_NS1_11comp_targetILNS1_3genE10ELNS1_11target_archE1201ELNS1_3gpuE5ELNS1_3repE0EEENS1_30default_config_static_selectorELNS0_4arch9wavefront6targetE0EEEvT1_.num_vgpr, 0
	.set _ZN7rocprim17ROCPRIM_400000_NS6detail17trampoline_kernelINS0_14default_configENS1_27scan_by_key_config_selectorIifEEZZNS1_16scan_by_key_implILNS1_25lookback_scan_determinismE0ELb1ES3_N6thrust23THRUST_200600_302600_NS6detail15normal_iteratorINS9_10device_ptrIiEEEENSB_INSC_IjEEEESE_fNS9_4plusIvEENS9_8equal_toIvEEfEE10hipError_tPvRmT2_T3_T4_T5_mT6_T7_P12ihipStream_tbENKUlT_T0_E_clISt17integral_constantIbLb0EES10_IbLb1EEEEDaSW_SX_EUlSW_E_NS1_11comp_targetILNS1_3genE10ELNS1_11target_archE1201ELNS1_3gpuE5ELNS1_3repE0EEENS1_30default_config_static_selectorELNS0_4arch9wavefront6targetE0EEEvT1_.num_agpr, 0
	.set _ZN7rocprim17ROCPRIM_400000_NS6detail17trampoline_kernelINS0_14default_configENS1_27scan_by_key_config_selectorIifEEZZNS1_16scan_by_key_implILNS1_25lookback_scan_determinismE0ELb1ES3_N6thrust23THRUST_200600_302600_NS6detail15normal_iteratorINS9_10device_ptrIiEEEENSB_INSC_IjEEEESE_fNS9_4plusIvEENS9_8equal_toIvEEfEE10hipError_tPvRmT2_T3_T4_T5_mT6_T7_P12ihipStream_tbENKUlT_T0_E_clISt17integral_constantIbLb0EES10_IbLb1EEEEDaSW_SX_EUlSW_E_NS1_11comp_targetILNS1_3genE10ELNS1_11target_archE1201ELNS1_3gpuE5ELNS1_3repE0EEENS1_30default_config_static_selectorELNS0_4arch9wavefront6targetE0EEEvT1_.numbered_sgpr, 0
	.set _ZN7rocprim17ROCPRIM_400000_NS6detail17trampoline_kernelINS0_14default_configENS1_27scan_by_key_config_selectorIifEEZZNS1_16scan_by_key_implILNS1_25lookback_scan_determinismE0ELb1ES3_N6thrust23THRUST_200600_302600_NS6detail15normal_iteratorINS9_10device_ptrIiEEEENSB_INSC_IjEEEESE_fNS9_4plusIvEENS9_8equal_toIvEEfEE10hipError_tPvRmT2_T3_T4_T5_mT6_T7_P12ihipStream_tbENKUlT_T0_E_clISt17integral_constantIbLb0EES10_IbLb1EEEEDaSW_SX_EUlSW_E_NS1_11comp_targetILNS1_3genE10ELNS1_11target_archE1201ELNS1_3gpuE5ELNS1_3repE0EEENS1_30default_config_static_selectorELNS0_4arch9wavefront6targetE0EEEvT1_.num_named_barrier, 0
	.set _ZN7rocprim17ROCPRIM_400000_NS6detail17trampoline_kernelINS0_14default_configENS1_27scan_by_key_config_selectorIifEEZZNS1_16scan_by_key_implILNS1_25lookback_scan_determinismE0ELb1ES3_N6thrust23THRUST_200600_302600_NS6detail15normal_iteratorINS9_10device_ptrIiEEEENSB_INSC_IjEEEESE_fNS9_4plusIvEENS9_8equal_toIvEEfEE10hipError_tPvRmT2_T3_T4_T5_mT6_T7_P12ihipStream_tbENKUlT_T0_E_clISt17integral_constantIbLb0EES10_IbLb1EEEEDaSW_SX_EUlSW_E_NS1_11comp_targetILNS1_3genE10ELNS1_11target_archE1201ELNS1_3gpuE5ELNS1_3repE0EEENS1_30default_config_static_selectorELNS0_4arch9wavefront6targetE0EEEvT1_.private_seg_size, 0
	.set _ZN7rocprim17ROCPRIM_400000_NS6detail17trampoline_kernelINS0_14default_configENS1_27scan_by_key_config_selectorIifEEZZNS1_16scan_by_key_implILNS1_25lookback_scan_determinismE0ELb1ES3_N6thrust23THRUST_200600_302600_NS6detail15normal_iteratorINS9_10device_ptrIiEEEENSB_INSC_IjEEEESE_fNS9_4plusIvEENS9_8equal_toIvEEfEE10hipError_tPvRmT2_T3_T4_T5_mT6_T7_P12ihipStream_tbENKUlT_T0_E_clISt17integral_constantIbLb0EES10_IbLb1EEEEDaSW_SX_EUlSW_E_NS1_11comp_targetILNS1_3genE10ELNS1_11target_archE1201ELNS1_3gpuE5ELNS1_3repE0EEENS1_30default_config_static_selectorELNS0_4arch9wavefront6targetE0EEEvT1_.uses_vcc, 0
	.set _ZN7rocprim17ROCPRIM_400000_NS6detail17trampoline_kernelINS0_14default_configENS1_27scan_by_key_config_selectorIifEEZZNS1_16scan_by_key_implILNS1_25lookback_scan_determinismE0ELb1ES3_N6thrust23THRUST_200600_302600_NS6detail15normal_iteratorINS9_10device_ptrIiEEEENSB_INSC_IjEEEESE_fNS9_4plusIvEENS9_8equal_toIvEEfEE10hipError_tPvRmT2_T3_T4_T5_mT6_T7_P12ihipStream_tbENKUlT_T0_E_clISt17integral_constantIbLb0EES10_IbLb1EEEEDaSW_SX_EUlSW_E_NS1_11comp_targetILNS1_3genE10ELNS1_11target_archE1201ELNS1_3gpuE5ELNS1_3repE0EEENS1_30default_config_static_selectorELNS0_4arch9wavefront6targetE0EEEvT1_.uses_flat_scratch, 0
	.set _ZN7rocprim17ROCPRIM_400000_NS6detail17trampoline_kernelINS0_14default_configENS1_27scan_by_key_config_selectorIifEEZZNS1_16scan_by_key_implILNS1_25lookback_scan_determinismE0ELb1ES3_N6thrust23THRUST_200600_302600_NS6detail15normal_iteratorINS9_10device_ptrIiEEEENSB_INSC_IjEEEESE_fNS9_4plusIvEENS9_8equal_toIvEEfEE10hipError_tPvRmT2_T3_T4_T5_mT6_T7_P12ihipStream_tbENKUlT_T0_E_clISt17integral_constantIbLb0EES10_IbLb1EEEEDaSW_SX_EUlSW_E_NS1_11comp_targetILNS1_3genE10ELNS1_11target_archE1201ELNS1_3gpuE5ELNS1_3repE0EEENS1_30default_config_static_selectorELNS0_4arch9wavefront6targetE0EEEvT1_.has_dyn_sized_stack, 0
	.set _ZN7rocprim17ROCPRIM_400000_NS6detail17trampoline_kernelINS0_14default_configENS1_27scan_by_key_config_selectorIifEEZZNS1_16scan_by_key_implILNS1_25lookback_scan_determinismE0ELb1ES3_N6thrust23THRUST_200600_302600_NS6detail15normal_iteratorINS9_10device_ptrIiEEEENSB_INSC_IjEEEESE_fNS9_4plusIvEENS9_8equal_toIvEEfEE10hipError_tPvRmT2_T3_T4_T5_mT6_T7_P12ihipStream_tbENKUlT_T0_E_clISt17integral_constantIbLb0EES10_IbLb1EEEEDaSW_SX_EUlSW_E_NS1_11comp_targetILNS1_3genE10ELNS1_11target_archE1201ELNS1_3gpuE5ELNS1_3repE0EEENS1_30default_config_static_selectorELNS0_4arch9wavefront6targetE0EEEvT1_.has_recursion, 0
	.set _ZN7rocprim17ROCPRIM_400000_NS6detail17trampoline_kernelINS0_14default_configENS1_27scan_by_key_config_selectorIifEEZZNS1_16scan_by_key_implILNS1_25lookback_scan_determinismE0ELb1ES3_N6thrust23THRUST_200600_302600_NS6detail15normal_iteratorINS9_10device_ptrIiEEEENSB_INSC_IjEEEESE_fNS9_4plusIvEENS9_8equal_toIvEEfEE10hipError_tPvRmT2_T3_T4_T5_mT6_T7_P12ihipStream_tbENKUlT_T0_E_clISt17integral_constantIbLb0EES10_IbLb1EEEEDaSW_SX_EUlSW_E_NS1_11comp_targetILNS1_3genE10ELNS1_11target_archE1201ELNS1_3gpuE5ELNS1_3repE0EEENS1_30default_config_static_selectorELNS0_4arch9wavefront6targetE0EEEvT1_.has_indirect_call, 0
	.section	.AMDGPU.csdata,"",@progbits
; Kernel info:
; codeLenInByte = 0
; TotalNumSgprs: 0
; NumVgprs: 0
; ScratchSize: 0
; MemoryBound: 0
; FloatMode: 240
; IeeeMode: 1
; LDSByteSize: 0 bytes/workgroup (compile time only)
; SGPRBlocks: 0
; VGPRBlocks: 0
; NumSGPRsForWavesPerEU: 1
; NumVGPRsForWavesPerEU: 1
; NamedBarCnt: 0
; Occupancy: 16
; WaveLimiterHint : 0
; COMPUTE_PGM_RSRC2:SCRATCH_EN: 0
; COMPUTE_PGM_RSRC2:USER_SGPR: 2
; COMPUTE_PGM_RSRC2:TRAP_HANDLER: 0
; COMPUTE_PGM_RSRC2:TGID_X_EN: 1
; COMPUTE_PGM_RSRC2:TGID_Y_EN: 0
; COMPUTE_PGM_RSRC2:TGID_Z_EN: 0
; COMPUTE_PGM_RSRC2:TIDIG_COMP_CNT: 0
	.section	.text._ZN7rocprim17ROCPRIM_400000_NS6detail17trampoline_kernelINS0_14default_configENS1_27scan_by_key_config_selectorIifEEZZNS1_16scan_by_key_implILNS1_25lookback_scan_determinismE0ELb1ES3_N6thrust23THRUST_200600_302600_NS6detail15normal_iteratorINS9_10device_ptrIiEEEENSB_INSC_IjEEEESE_fNS9_4plusIvEENS9_8equal_toIvEEfEE10hipError_tPvRmT2_T3_T4_T5_mT6_T7_P12ihipStream_tbENKUlT_T0_E_clISt17integral_constantIbLb0EES10_IbLb1EEEEDaSW_SX_EUlSW_E_NS1_11comp_targetILNS1_3genE5ELNS1_11target_archE942ELNS1_3gpuE9ELNS1_3repE0EEENS1_30default_config_static_selectorELNS0_4arch9wavefront6targetE0EEEvT1_,"axG",@progbits,_ZN7rocprim17ROCPRIM_400000_NS6detail17trampoline_kernelINS0_14default_configENS1_27scan_by_key_config_selectorIifEEZZNS1_16scan_by_key_implILNS1_25lookback_scan_determinismE0ELb1ES3_N6thrust23THRUST_200600_302600_NS6detail15normal_iteratorINS9_10device_ptrIiEEEENSB_INSC_IjEEEESE_fNS9_4plusIvEENS9_8equal_toIvEEfEE10hipError_tPvRmT2_T3_T4_T5_mT6_T7_P12ihipStream_tbENKUlT_T0_E_clISt17integral_constantIbLb0EES10_IbLb1EEEEDaSW_SX_EUlSW_E_NS1_11comp_targetILNS1_3genE5ELNS1_11target_archE942ELNS1_3gpuE9ELNS1_3repE0EEENS1_30default_config_static_selectorELNS0_4arch9wavefront6targetE0EEEvT1_,comdat
	.protected	_ZN7rocprim17ROCPRIM_400000_NS6detail17trampoline_kernelINS0_14default_configENS1_27scan_by_key_config_selectorIifEEZZNS1_16scan_by_key_implILNS1_25lookback_scan_determinismE0ELb1ES3_N6thrust23THRUST_200600_302600_NS6detail15normal_iteratorINS9_10device_ptrIiEEEENSB_INSC_IjEEEESE_fNS9_4plusIvEENS9_8equal_toIvEEfEE10hipError_tPvRmT2_T3_T4_T5_mT6_T7_P12ihipStream_tbENKUlT_T0_E_clISt17integral_constantIbLb0EES10_IbLb1EEEEDaSW_SX_EUlSW_E_NS1_11comp_targetILNS1_3genE5ELNS1_11target_archE942ELNS1_3gpuE9ELNS1_3repE0EEENS1_30default_config_static_selectorELNS0_4arch9wavefront6targetE0EEEvT1_ ; -- Begin function _ZN7rocprim17ROCPRIM_400000_NS6detail17trampoline_kernelINS0_14default_configENS1_27scan_by_key_config_selectorIifEEZZNS1_16scan_by_key_implILNS1_25lookback_scan_determinismE0ELb1ES3_N6thrust23THRUST_200600_302600_NS6detail15normal_iteratorINS9_10device_ptrIiEEEENSB_INSC_IjEEEESE_fNS9_4plusIvEENS9_8equal_toIvEEfEE10hipError_tPvRmT2_T3_T4_T5_mT6_T7_P12ihipStream_tbENKUlT_T0_E_clISt17integral_constantIbLb0EES10_IbLb1EEEEDaSW_SX_EUlSW_E_NS1_11comp_targetILNS1_3genE5ELNS1_11target_archE942ELNS1_3gpuE9ELNS1_3repE0EEENS1_30default_config_static_selectorELNS0_4arch9wavefront6targetE0EEEvT1_
	.globl	_ZN7rocprim17ROCPRIM_400000_NS6detail17trampoline_kernelINS0_14default_configENS1_27scan_by_key_config_selectorIifEEZZNS1_16scan_by_key_implILNS1_25lookback_scan_determinismE0ELb1ES3_N6thrust23THRUST_200600_302600_NS6detail15normal_iteratorINS9_10device_ptrIiEEEENSB_INSC_IjEEEESE_fNS9_4plusIvEENS9_8equal_toIvEEfEE10hipError_tPvRmT2_T3_T4_T5_mT6_T7_P12ihipStream_tbENKUlT_T0_E_clISt17integral_constantIbLb0EES10_IbLb1EEEEDaSW_SX_EUlSW_E_NS1_11comp_targetILNS1_3genE5ELNS1_11target_archE942ELNS1_3gpuE9ELNS1_3repE0EEENS1_30default_config_static_selectorELNS0_4arch9wavefront6targetE0EEEvT1_
	.p2align	8
	.type	_ZN7rocprim17ROCPRIM_400000_NS6detail17trampoline_kernelINS0_14default_configENS1_27scan_by_key_config_selectorIifEEZZNS1_16scan_by_key_implILNS1_25lookback_scan_determinismE0ELb1ES3_N6thrust23THRUST_200600_302600_NS6detail15normal_iteratorINS9_10device_ptrIiEEEENSB_INSC_IjEEEESE_fNS9_4plusIvEENS9_8equal_toIvEEfEE10hipError_tPvRmT2_T3_T4_T5_mT6_T7_P12ihipStream_tbENKUlT_T0_E_clISt17integral_constantIbLb0EES10_IbLb1EEEEDaSW_SX_EUlSW_E_NS1_11comp_targetILNS1_3genE5ELNS1_11target_archE942ELNS1_3gpuE9ELNS1_3repE0EEENS1_30default_config_static_selectorELNS0_4arch9wavefront6targetE0EEEvT1_,@function
_ZN7rocprim17ROCPRIM_400000_NS6detail17trampoline_kernelINS0_14default_configENS1_27scan_by_key_config_selectorIifEEZZNS1_16scan_by_key_implILNS1_25lookback_scan_determinismE0ELb1ES3_N6thrust23THRUST_200600_302600_NS6detail15normal_iteratorINS9_10device_ptrIiEEEENSB_INSC_IjEEEESE_fNS9_4plusIvEENS9_8equal_toIvEEfEE10hipError_tPvRmT2_T3_T4_T5_mT6_T7_P12ihipStream_tbENKUlT_T0_E_clISt17integral_constantIbLb0EES10_IbLb1EEEEDaSW_SX_EUlSW_E_NS1_11comp_targetILNS1_3genE5ELNS1_11target_archE942ELNS1_3gpuE9ELNS1_3repE0EEENS1_30default_config_static_selectorELNS0_4arch9wavefront6targetE0EEEvT1_: ; @_ZN7rocprim17ROCPRIM_400000_NS6detail17trampoline_kernelINS0_14default_configENS1_27scan_by_key_config_selectorIifEEZZNS1_16scan_by_key_implILNS1_25lookback_scan_determinismE0ELb1ES3_N6thrust23THRUST_200600_302600_NS6detail15normal_iteratorINS9_10device_ptrIiEEEENSB_INSC_IjEEEESE_fNS9_4plusIvEENS9_8equal_toIvEEfEE10hipError_tPvRmT2_T3_T4_T5_mT6_T7_P12ihipStream_tbENKUlT_T0_E_clISt17integral_constantIbLb0EES10_IbLb1EEEEDaSW_SX_EUlSW_E_NS1_11comp_targetILNS1_3genE5ELNS1_11target_archE942ELNS1_3gpuE9ELNS1_3repE0EEENS1_30default_config_static_selectorELNS0_4arch9wavefront6targetE0EEEvT1_
; %bb.0:
	.section	.rodata,"a",@progbits
	.p2align	6, 0x0
	.amdhsa_kernel _ZN7rocprim17ROCPRIM_400000_NS6detail17trampoline_kernelINS0_14default_configENS1_27scan_by_key_config_selectorIifEEZZNS1_16scan_by_key_implILNS1_25lookback_scan_determinismE0ELb1ES3_N6thrust23THRUST_200600_302600_NS6detail15normal_iteratorINS9_10device_ptrIiEEEENSB_INSC_IjEEEESE_fNS9_4plusIvEENS9_8equal_toIvEEfEE10hipError_tPvRmT2_T3_T4_T5_mT6_T7_P12ihipStream_tbENKUlT_T0_E_clISt17integral_constantIbLb0EES10_IbLb1EEEEDaSW_SX_EUlSW_E_NS1_11comp_targetILNS1_3genE5ELNS1_11target_archE942ELNS1_3gpuE9ELNS1_3repE0EEENS1_30default_config_static_selectorELNS0_4arch9wavefront6targetE0EEEvT1_
		.amdhsa_group_segment_fixed_size 0
		.amdhsa_private_segment_fixed_size 0
		.amdhsa_kernarg_size 112
		.amdhsa_user_sgpr_count 2
		.amdhsa_user_sgpr_dispatch_ptr 0
		.amdhsa_user_sgpr_queue_ptr 0
		.amdhsa_user_sgpr_kernarg_segment_ptr 1
		.amdhsa_user_sgpr_dispatch_id 0
		.amdhsa_user_sgpr_kernarg_preload_length 0
		.amdhsa_user_sgpr_kernarg_preload_offset 0
		.amdhsa_user_sgpr_private_segment_size 0
		.amdhsa_wavefront_size32 1
		.amdhsa_uses_dynamic_stack 0
		.amdhsa_enable_private_segment 0
		.amdhsa_system_sgpr_workgroup_id_x 1
		.amdhsa_system_sgpr_workgroup_id_y 0
		.amdhsa_system_sgpr_workgroup_id_z 0
		.amdhsa_system_sgpr_workgroup_info 0
		.amdhsa_system_vgpr_workitem_id 0
		.amdhsa_next_free_vgpr 1
		.amdhsa_next_free_sgpr 1
		.amdhsa_named_barrier_count 0
		.amdhsa_reserve_vcc 0
		.amdhsa_float_round_mode_32 0
		.amdhsa_float_round_mode_16_64 0
		.amdhsa_float_denorm_mode_32 3
		.amdhsa_float_denorm_mode_16_64 3
		.amdhsa_fp16_overflow 0
		.amdhsa_memory_ordered 1
		.amdhsa_forward_progress 1
		.amdhsa_inst_pref_size 0
		.amdhsa_round_robin_scheduling 0
		.amdhsa_exception_fp_ieee_invalid_op 0
		.amdhsa_exception_fp_denorm_src 0
		.amdhsa_exception_fp_ieee_div_zero 0
		.amdhsa_exception_fp_ieee_overflow 0
		.amdhsa_exception_fp_ieee_underflow 0
		.amdhsa_exception_fp_ieee_inexact 0
		.amdhsa_exception_int_div_zero 0
	.end_amdhsa_kernel
	.section	.text._ZN7rocprim17ROCPRIM_400000_NS6detail17trampoline_kernelINS0_14default_configENS1_27scan_by_key_config_selectorIifEEZZNS1_16scan_by_key_implILNS1_25lookback_scan_determinismE0ELb1ES3_N6thrust23THRUST_200600_302600_NS6detail15normal_iteratorINS9_10device_ptrIiEEEENSB_INSC_IjEEEESE_fNS9_4plusIvEENS9_8equal_toIvEEfEE10hipError_tPvRmT2_T3_T4_T5_mT6_T7_P12ihipStream_tbENKUlT_T0_E_clISt17integral_constantIbLb0EES10_IbLb1EEEEDaSW_SX_EUlSW_E_NS1_11comp_targetILNS1_3genE5ELNS1_11target_archE942ELNS1_3gpuE9ELNS1_3repE0EEENS1_30default_config_static_selectorELNS0_4arch9wavefront6targetE0EEEvT1_,"axG",@progbits,_ZN7rocprim17ROCPRIM_400000_NS6detail17trampoline_kernelINS0_14default_configENS1_27scan_by_key_config_selectorIifEEZZNS1_16scan_by_key_implILNS1_25lookback_scan_determinismE0ELb1ES3_N6thrust23THRUST_200600_302600_NS6detail15normal_iteratorINS9_10device_ptrIiEEEENSB_INSC_IjEEEESE_fNS9_4plusIvEENS9_8equal_toIvEEfEE10hipError_tPvRmT2_T3_T4_T5_mT6_T7_P12ihipStream_tbENKUlT_T0_E_clISt17integral_constantIbLb0EES10_IbLb1EEEEDaSW_SX_EUlSW_E_NS1_11comp_targetILNS1_3genE5ELNS1_11target_archE942ELNS1_3gpuE9ELNS1_3repE0EEENS1_30default_config_static_selectorELNS0_4arch9wavefront6targetE0EEEvT1_,comdat
.Lfunc_end1817:
	.size	_ZN7rocprim17ROCPRIM_400000_NS6detail17trampoline_kernelINS0_14default_configENS1_27scan_by_key_config_selectorIifEEZZNS1_16scan_by_key_implILNS1_25lookback_scan_determinismE0ELb1ES3_N6thrust23THRUST_200600_302600_NS6detail15normal_iteratorINS9_10device_ptrIiEEEENSB_INSC_IjEEEESE_fNS9_4plusIvEENS9_8equal_toIvEEfEE10hipError_tPvRmT2_T3_T4_T5_mT6_T7_P12ihipStream_tbENKUlT_T0_E_clISt17integral_constantIbLb0EES10_IbLb1EEEEDaSW_SX_EUlSW_E_NS1_11comp_targetILNS1_3genE5ELNS1_11target_archE942ELNS1_3gpuE9ELNS1_3repE0EEENS1_30default_config_static_selectorELNS0_4arch9wavefront6targetE0EEEvT1_, .Lfunc_end1817-_ZN7rocprim17ROCPRIM_400000_NS6detail17trampoline_kernelINS0_14default_configENS1_27scan_by_key_config_selectorIifEEZZNS1_16scan_by_key_implILNS1_25lookback_scan_determinismE0ELb1ES3_N6thrust23THRUST_200600_302600_NS6detail15normal_iteratorINS9_10device_ptrIiEEEENSB_INSC_IjEEEESE_fNS9_4plusIvEENS9_8equal_toIvEEfEE10hipError_tPvRmT2_T3_T4_T5_mT6_T7_P12ihipStream_tbENKUlT_T0_E_clISt17integral_constantIbLb0EES10_IbLb1EEEEDaSW_SX_EUlSW_E_NS1_11comp_targetILNS1_3genE5ELNS1_11target_archE942ELNS1_3gpuE9ELNS1_3repE0EEENS1_30default_config_static_selectorELNS0_4arch9wavefront6targetE0EEEvT1_
                                        ; -- End function
	.set _ZN7rocprim17ROCPRIM_400000_NS6detail17trampoline_kernelINS0_14default_configENS1_27scan_by_key_config_selectorIifEEZZNS1_16scan_by_key_implILNS1_25lookback_scan_determinismE0ELb1ES3_N6thrust23THRUST_200600_302600_NS6detail15normal_iteratorINS9_10device_ptrIiEEEENSB_INSC_IjEEEESE_fNS9_4plusIvEENS9_8equal_toIvEEfEE10hipError_tPvRmT2_T3_T4_T5_mT6_T7_P12ihipStream_tbENKUlT_T0_E_clISt17integral_constantIbLb0EES10_IbLb1EEEEDaSW_SX_EUlSW_E_NS1_11comp_targetILNS1_3genE5ELNS1_11target_archE942ELNS1_3gpuE9ELNS1_3repE0EEENS1_30default_config_static_selectorELNS0_4arch9wavefront6targetE0EEEvT1_.num_vgpr, 0
	.set _ZN7rocprim17ROCPRIM_400000_NS6detail17trampoline_kernelINS0_14default_configENS1_27scan_by_key_config_selectorIifEEZZNS1_16scan_by_key_implILNS1_25lookback_scan_determinismE0ELb1ES3_N6thrust23THRUST_200600_302600_NS6detail15normal_iteratorINS9_10device_ptrIiEEEENSB_INSC_IjEEEESE_fNS9_4plusIvEENS9_8equal_toIvEEfEE10hipError_tPvRmT2_T3_T4_T5_mT6_T7_P12ihipStream_tbENKUlT_T0_E_clISt17integral_constantIbLb0EES10_IbLb1EEEEDaSW_SX_EUlSW_E_NS1_11comp_targetILNS1_3genE5ELNS1_11target_archE942ELNS1_3gpuE9ELNS1_3repE0EEENS1_30default_config_static_selectorELNS0_4arch9wavefront6targetE0EEEvT1_.num_agpr, 0
	.set _ZN7rocprim17ROCPRIM_400000_NS6detail17trampoline_kernelINS0_14default_configENS1_27scan_by_key_config_selectorIifEEZZNS1_16scan_by_key_implILNS1_25lookback_scan_determinismE0ELb1ES3_N6thrust23THRUST_200600_302600_NS6detail15normal_iteratorINS9_10device_ptrIiEEEENSB_INSC_IjEEEESE_fNS9_4plusIvEENS9_8equal_toIvEEfEE10hipError_tPvRmT2_T3_T4_T5_mT6_T7_P12ihipStream_tbENKUlT_T0_E_clISt17integral_constantIbLb0EES10_IbLb1EEEEDaSW_SX_EUlSW_E_NS1_11comp_targetILNS1_3genE5ELNS1_11target_archE942ELNS1_3gpuE9ELNS1_3repE0EEENS1_30default_config_static_selectorELNS0_4arch9wavefront6targetE0EEEvT1_.numbered_sgpr, 0
	.set _ZN7rocprim17ROCPRIM_400000_NS6detail17trampoline_kernelINS0_14default_configENS1_27scan_by_key_config_selectorIifEEZZNS1_16scan_by_key_implILNS1_25lookback_scan_determinismE0ELb1ES3_N6thrust23THRUST_200600_302600_NS6detail15normal_iteratorINS9_10device_ptrIiEEEENSB_INSC_IjEEEESE_fNS9_4plusIvEENS9_8equal_toIvEEfEE10hipError_tPvRmT2_T3_T4_T5_mT6_T7_P12ihipStream_tbENKUlT_T0_E_clISt17integral_constantIbLb0EES10_IbLb1EEEEDaSW_SX_EUlSW_E_NS1_11comp_targetILNS1_3genE5ELNS1_11target_archE942ELNS1_3gpuE9ELNS1_3repE0EEENS1_30default_config_static_selectorELNS0_4arch9wavefront6targetE0EEEvT1_.num_named_barrier, 0
	.set _ZN7rocprim17ROCPRIM_400000_NS6detail17trampoline_kernelINS0_14default_configENS1_27scan_by_key_config_selectorIifEEZZNS1_16scan_by_key_implILNS1_25lookback_scan_determinismE0ELb1ES3_N6thrust23THRUST_200600_302600_NS6detail15normal_iteratorINS9_10device_ptrIiEEEENSB_INSC_IjEEEESE_fNS9_4plusIvEENS9_8equal_toIvEEfEE10hipError_tPvRmT2_T3_T4_T5_mT6_T7_P12ihipStream_tbENKUlT_T0_E_clISt17integral_constantIbLb0EES10_IbLb1EEEEDaSW_SX_EUlSW_E_NS1_11comp_targetILNS1_3genE5ELNS1_11target_archE942ELNS1_3gpuE9ELNS1_3repE0EEENS1_30default_config_static_selectorELNS0_4arch9wavefront6targetE0EEEvT1_.private_seg_size, 0
	.set _ZN7rocprim17ROCPRIM_400000_NS6detail17trampoline_kernelINS0_14default_configENS1_27scan_by_key_config_selectorIifEEZZNS1_16scan_by_key_implILNS1_25lookback_scan_determinismE0ELb1ES3_N6thrust23THRUST_200600_302600_NS6detail15normal_iteratorINS9_10device_ptrIiEEEENSB_INSC_IjEEEESE_fNS9_4plusIvEENS9_8equal_toIvEEfEE10hipError_tPvRmT2_T3_T4_T5_mT6_T7_P12ihipStream_tbENKUlT_T0_E_clISt17integral_constantIbLb0EES10_IbLb1EEEEDaSW_SX_EUlSW_E_NS1_11comp_targetILNS1_3genE5ELNS1_11target_archE942ELNS1_3gpuE9ELNS1_3repE0EEENS1_30default_config_static_selectorELNS0_4arch9wavefront6targetE0EEEvT1_.uses_vcc, 0
	.set _ZN7rocprim17ROCPRIM_400000_NS6detail17trampoline_kernelINS0_14default_configENS1_27scan_by_key_config_selectorIifEEZZNS1_16scan_by_key_implILNS1_25lookback_scan_determinismE0ELb1ES3_N6thrust23THRUST_200600_302600_NS6detail15normal_iteratorINS9_10device_ptrIiEEEENSB_INSC_IjEEEESE_fNS9_4plusIvEENS9_8equal_toIvEEfEE10hipError_tPvRmT2_T3_T4_T5_mT6_T7_P12ihipStream_tbENKUlT_T0_E_clISt17integral_constantIbLb0EES10_IbLb1EEEEDaSW_SX_EUlSW_E_NS1_11comp_targetILNS1_3genE5ELNS1_11target_archE942ELNS1_3gpuE9ELNS1_3repE0EEENS1_30default_config_static_selectorELNS0_4arch9wavefront6targetE0EEEvT1_.uses_flat_scratch, 0
	.set _ZN7rocprim17ROCPRIM_400000_NS6detail17trampoline_kernelINS0_14default_configENS1_27scan_by_key_config_selectorIifEEZZNS1_16scan_by_key_implILNS1_25lookback_scan_determinismE0ELb1ES3_N6thrust23THRUST_200600_302600_NS6detail15normal_iteratorINS9_10device_ptrIiEEEENSB_INSC_IjEEEESE_fNS9_4plusIvEENS9_8equal_toIvEEfEE10hipError_tPvRmT2_T3_T4_T5_mT6_T7_P12ihipStream_tbENKUlT_T0_E_clISt17integral_constantIbLb0EES10_IbLb1EEEEDaSW_SX_EUlSW_E_NS1_11comp_targetILNS1_3genE5ELNS1_11target_archE942ELNS1_3gpuE9ELNS1_3repE0EEENS1_30default_config_static_selectorELNS0_4arch9wavefront6targetE0EEEvT1_.has_dyn_sized_stack, 0
	.set _ZN7rocprim17ROCPRIM_400000_NS6detail17trampoline_kernelINS0_14default_configENS1_27scan_by_key_config_selectorIifEEZZNS1_16scan_by_key_implILNS1_25lookback_scan_determinismE0ELb1ES3_N6thrust23THRUST_200600_302600_NS6detail15normal_iteratorINS9_10device_ptrIiEEEENSB_INSC_IjEEEESE_fNS9_4plusIvEENS9_8equal_toIvEEfEE10hipError_tPvRmT2_T3_T4_T5_mT6_T7_P12ihipStream_tbENKUlT_T0_E_clISt17integral_constantIbLb0EES10_IbLb1EEEEDaSW_SX_EUlSW_E_NS1_11comp_targetILNS1_3genE5ELNS1_11target_archE942ELNS1_3gpuE9ELNS1_3repE0EEENS1_30default_config_static_selectorELNS0_4arch9wavefront6targetE0EEEvT1_.has_recursion, 0
	.set _ZN7rocprim17ROCPRIM_400000_NS6detail17trampoline_kernelINS0_14default_configENS1_27scan_by_key_config_selectorIifEEZZNS1_16scan_by_key_implILNS1_25lookback_scan_determinismE0ELb1ES3_N6thrust23THRUST_200600_302600_NS6detail15normal_iteratorINS9_10device_ptrIiEEEENSB_INSC_IjEEEESE_fNS9_4plusIvEENS9_8equal_toIvEEfEE10hipError_tPvRmT2_T3_T4_T5_mT6_T7_P12ihipStream_tbENKUlT_T0_E_clISt17integral_constantIbLb0EES10_IbLb1EEEEDaSW_SX_EUlSW_E_NS1_11comp_targetILNS1_3genE5ELNS1_11target_archE942ELNS1_3gpuE9ELNS1_3repE0EEENS1_30default_config_static_selectorELNS0_4arch9wavefront6targetE0EEEvT1_.has_indirect_call, 0
	.section	.AMDGPU.csdata,"",@progbits
; Kernel info:
; codeLenInByte = 0
; TotalNumSgprs: 0
; NumVgprs: 0
; ScratchSize: 0
; MemoryBound: 0
; FloatMode: 240
; IeeeMode: 1
; LDSByteSize: 0 bytes/workgroup (compile time only)
; SGPRBlocks: 0
; VGPRBlocks: 0
; NumSGPRsForWavesPerEU: 1
; NumVGPRsForWavesPerEU: 1
; NamedBarCnt: 0
; Occupancy: 16
; WaveLimiterHint : 0
; COMPUTE_PGM_RSRC2:SCRATCH_EN: 0
; COMPUTE_PGM_RSRC2:USER_SGPR: 2
; COMPUTE_PGM_RSRC2:TRAP_HANDLER: 0
; COMPUTE_PGM_RSRC2:TGID_X_EN: 1
; COMPUTE_PGM_RSRC2:TGID_Y_EN: 0
; COMPUTE_PGM_RSRC2:TGID_Z_EN: 0
; COMPUTE_PGM_RSRC2:TIDIG_COMP_CNT: 0
	.section	.text._ZN7rocprim17ROCPRIM_400000_NS6detail17trampoline_kernelINS0_14default_configENS1_27scan_by_key_config_selectorIifEEZZNS1_16scan_by_key_implILNS1_25lookback_scan_determinismE0ELb1ES3_N6thrust23THRUST_200600_302600_NS6detail15normal_iteratorINS9_10device_ptrIiEEEENSB_INSC_IjEEEESE_fNS9_4plusIvEENS9_8equal_toIvEEfEE10hipError_tPvRmT2_T3_T4_T5_mT6_T7_P12ihipStream_tbENKUlT_T0_E_clISt17integral_constantIbLb0EES10_IbLb1EEEEDaSW_SX_EUlSW_E_NS1_11comp_targetILNS1_3genE4ELNS1_11target_archE910ELNS1_3gpuE8ELNS1_3repE0EEENS1_30default_config_static_selectorELNS0_4arch9wavefront6targetE0EEEvT1_,"axG",@progbits,_ZN7rocprim17ROCPRIM_400000_NS6detail17trampoline_kernelINS0_14default_configENS1_27scan_by_key_config_selectorIifEEZZNS1_16scan_by_key_implILNS1_25lookback_scan_determinismE0ELb1ES3_N6thrust23THRUST_200600_302600_NS6detail15normal_iteratorINS9_10device_ptrIiEEEENSB_INSC_IjEEEESE_fNS9_4plusIvEENS9_8equal_toIvEEfEE10hipError_tPvRmT2_T3_T4_T5_mT6_T7_P12ihipStream_tbENKUlT_T0_E_clISt17integral_constantIbLb0EES10_IbLb1EEEEDaSW_SX_EUlSW_E_NS1_11comp_targetILNS1_3genE4ELNS1_11target_archE910ELNS1_3gpuE8ELNS1_3repE0EEENS1_30default_config_static_selectorELNS0_4arch9wavefront6targetE0EEEvT1_,comdat
	.protected	_ZN7rocprim17ROCPRIM_400000_NS6detail17trampoline_kernelINS0_14default_configENS1_27scan_by_key_config_selectorIifEEZZNS1_16scan_by_key_implILNS1_25lookback_scan_determinismE0ELb1ES3_N6thrust23THRUST_200600_302600_NS6detail15normal_iteratorINS9_10device_ptrIiEEEENSB_INSC_IjEEEESE_fNS9_4plusIvEENS9_8equal_toIvEEfEE10hipError_tPvRmT2_T3_T4_T5_mT6_T7_P12ihipStream_tbENKUlT_T0_E_clISt17integral_constantIbLb0EES10_IbLb1EEEEDaSW_SX_EUlSW_E_NS1_11comp_targetILNS1_3genE4ELNS1_11target_archE910ELNS1_3gpuE8ELNS1_3repE0EEENS1_30default_config_static_selectorELNS0_4arch9wavefront6targetE0EEEvT1_ ; -- Begin function _ZN7rocprim17ROCPRIM_400000_NS6detail17trampoline_kernelINS0_14default_configENS1_27scan_by_key_config_selectorIifEEZZNS1_16scan_by_key_implILNS1_25lookback_scan_determinismE0ELb1ES3_N6thrust23THRUST_200600_302600_NS6detail15normal_iteratorINS9_10device_ptrIiEEEENSB_INSC_IjEEEESE_fNS9_4plusIvEENS9_8equal_toIvEEfEE10hipError_tPvRmT2_T3_T4_T5_mT6_T7_P12ihipStream_tbENKUlT_T0_E_clISt17integral_constantIbLb0EES10_IbLb1EEEEDaSW_SX_EUlSW_E_NS1_11comp_targetILNS1_3genE4ELNS1_11target_archE910ELNS1_3gpuE8ELNS1_3repE0EEENS1_30default_config_static_selectorELNS0_4arch9wavefront6targetE0EEEvT1_
	.globl	_ZN7rocprim17ROCPRIM_400000_NS6detail17trampoline_kernelINS0_14default_configENS1_27scan_by_key_config_selectorIifEEZZNS1_16scan_by_key_implILNS1_25lookback_scan_determinismE0ELb1ES3_N6thrust23THRUST_200600_302600_NS6detail15normal_iteratorINS9_10device_ptrIiEEEENSB_INSC_IjEEEESE_fNS9_4plusIvEENS9_8equal_toIvEEfEE10hipError_tPvRmT2_T3_T4_T5_mT6_T7_P12ihipStream_tbENKUlT_T0_E_clISt17integral_constantIbLb0EES10_IbLb1EEEEDaSW_SX_EUlSW_E_NS1_11comp_targetILNS1_3genE4ELNS1_11target_archE910ELNS1_3gpuE8ELNS1_3repE0EEENS1_30default_config_static_selectorELNS0_4arch9wavefront6targetE0EEEvT1_
	.p2align	8
	.type	_ZN7rocprim17ROCPRIM_400000_NS6detail17trampoline_kernelINS0_14default_configENS1_27scan_by_key_config_selectorIifEEZZNS1_16scan_by_key_implILNS1_25lookback_scan_determinismE0ELb1ES3_N6thrust23THRUST_200600_302600_NS6detail15normal_iteratorINS9_10device_ptrIiEEEENSB_INSC_IjEEEESE_fNS9_4plusIvEENS9_8equal_toIvEEfEE10hipError_tPvRmT2_T3_T4_T5_mT6_T7_P12ihipStream_tbENKUlT_T0_E_clISt17integral_constantIbLb0EES10_IbLb1EEEEDaSW_SX_EUlSW_E_NS1_11comp_targetILNS1_3genE4ELNS1_11target_archE910ELNS1_3gpuE8ELNS1_3repE0EEENS1_30default_config_static_selectorELNS0_4arch9wavefront6targetE0EEEvT1_,@function
_ZN7rocprim17ROCPRIM_400000_NS6detail17trampoline_kernelINS0_14default_configENS1_27scan_by_key_config_selectorIifEEZZNS1_16scan_by_key_implILNS1_25lookback_scan_determinismE0ELb1ES3_N6thrust23THRUST_200600_302600_NS6detail15normal_iteratorINS9_10device_ptrIiEEEENSB_INSC_IjEEEESE_fNS9_4plusIvEENS9_8equal_toIvEEfEE10hipError_tPvRmT2_T3_T4_T5_mT6_T7_P12ihipStream_tbENKUlT_T0_E_clISt17integral_constantIbLb0EES10_IbLb1EEEEDaSW_SX_EUlSW_E_NS1_11comp_targetILNS1_3genE4ELNS1_11target_archE910ELNS1_3gpuE8ELNS1_3repE0EEENS1_30default_config_static_selectorELNS0_4arch9wavefront6targetE0EEEvT1_: ; @_ZN7rocprim17ROCPRIM_400000_NS6detail17trampoline_kernelINS0_14default_configENS1_27scan_by_key_config_selectorIifEEZZNS1_16scan_by_key_implILNS1_25lookback_scan_determinismE0ELb1ES3_N6thrust23THRUST_200600_302600_NS6detail15normal_iteratorINS9_10device_ptrIiEEEENSB_INSC_IjEEEESE_fNS9_4plusIvEENS9_8equal_toIvEEfEE10hipError_tPvRmT2_T3_T4_T5_mT6_T7_P12ihipStream_tbENKUlT_T0_E_clISt17integral_constantIbLb0EES10_IbLb1EEEEDaSW_SX_EUlSW_E_NS1_11comp_targetILNS1_3genE4ELNS1_11target_archE910ELNS1_3gpuE8ELNS1_3repE0EEENS1_30default_config_static_selectorELNS0_4arch9wavefront6targetE0EEEvT1_
; %bb.0:
	.section	.rodata,"a",@progbits
	.p2align	6, 0x0
	.amdhsa_kernel _ZN7rocprim17ROCPRIM_400000_NS6detail17trampoline_kernelINS0_14default_configENS1_27scan_by_key_config_selectorIifEEZZNS1_16scan_by_key_implILNS1_25lookback_scan_determinismE0ELb1ES3_N6thrust23THRUST_200600_302600_NS6detail15normal_iteratorINS9_10device_ptrIiEEEENSB_INSC_IjEEEESE_fNS9_4plusIvEENS9_8equal_toIvEEfEE10hipError_tPvRmT2_T3_T4_T5_mT6_T7_P12ihipStream_tbENKUlT_T0_E_clISt17integral_constantIbLb0EES10_IbLb1EEEEDaSW_SX_EUlSW_E_NS1_11comp_targetILNS1_3genE4ELNS1_11target_archE910ELNS1_3gpuE8ELNS1_3repE0EEENS1_30default_config_static_selectorELNS0_4arch9wavefront6targetE0EEEvT1_
		.amdhsa_group_segment_fixed_size 0
		.amdhsa_private_segment_fixed_size 0
		.amdhsa_kernarg_size 112
		.amdhsa_user_sgpr_count 2
		.amdhsa_user_sgpr_dispatch_ptr 0
		.amdhsa_user_sgpr_queue_ptr 0
		.amdhsa_user_sgpr_kernarg_segment_ptr 1
		.amdhsa_user_sgpr_dispatch_id 0
		.amdhsa_user_sgpr_kernarg_preload_length 0
		.amdhsa_user_sgpr_kernarg_preload_offset 0
		.amdhsa_user_sgpr_private_segment_size 0
		.amdhsa_wavefront_size32 1
		.amdhsa_uses_dynamic_stack 0
		.amdhsa_enable_private_segment 0
		.amdhsa_system_sgpr_workgroup_id_x 1
		.amdhsa_system_sgpr_workgroup_id_y 0
		.amdhsa_system_sgpr_workgroup_id_z 0
		.amdhsa_system_sgpr_workgroup_info 0
		.amdhsa_system_vgpr_workitem_id 0
		.amdhsa_next_free_vgpr 1
		.amdhsa_next_free_sgpr 1
		.amdhsa_named_barrier_count 0
		.amdhsa_reserve_vcc 0
		.amdhsa_float_round_mode_32 0
		.amdhsa_float_round_mode_16_64 0
		.amdhsa_float_denorm_mode_32 3
		.amdhsa_float_denorm_mode_16_64 3
		.amdhsa_fp16_overflow 0
		.amdhsa_memory_ordered 1
		.amdhsa_forward_progress 1
		.amdhsa_inst_pref_size 0
		.amdhsa_round_robin_scheduling 0
		.amdhsa_exception_fp_ieee_invalid_op 0
		.amdhsa_exception_fp_denorm_src 0
		.amdhsa_exception_fp_ieee_div_zero 0
		.amdhsa_exception_fp_ieee_overflow 0
		.amdhsa_exception_fp_ieee_underflow 0
		.amdhsa_exception_fp_ieee_inexact 0
		.amdhsa_exception_int_div_zero 0
	.end_amdhsa_kernel
	.section	.text._ZN7rocprim17ROCPRIM_400000_NS6detail17trampoline_kernelINS0_14default_configENS1_27scan_by_key_config_selectorIifEEZZNS1_16scan_by_key_implILNS1_25lookback_scan_determinismE0ELb1ES3_N6thrust23THRUST_200600_302600_NS6detail15normal_iteratorINS9_10device_ptrIiEEEENSB_INSC_IjEEEESE_fNS9_4plusIvEENS9_8equal_toIvEEfEE10hipError_tPvRmT2_T3_T4_T5_mT6_T7_P12ihipStream_tbENKUlT_T0_E_clISt17integral_constantIbLb0EES10_IbLb1EEEEDaSW_SX_EUlSW_E_NS1_11comp_targetILNS1_3genE4ELNS1_11target_archE910ELNS1_3gpuE8ELNS1_3repE0EEENS1_30default_config_static_selectorELNS0_4arch9wavefront6targetE0EEEvT1_,"axG",@progbits,_ZN7rocprim17ROCPRIM_400000_NS6detail17trampoline_kernelINS0_14default_configENS1_27scan_by_key_config_selectorIifEEZZNS1_16scan_by_key_implILNS1_25lookback_scan_determinismE0ELb1ES3_N6thrust23THRUST_200600_302600_NS6detail15normal_iteratorINS9_10device_ptrIiEEEENSB_INSC_IjEEEESE_fNS9_4plusIvEENS9_8equal_toIvEEfEE10hipError_tPvRmT2_T3_T4_T5_mT6_T7_P12ihipStream_tbENKUlT_T0_E_clISt17integral_constantIbLb0EES10_IbLb1EEEEDaSW_SX_EUlSW_E_NS1_11comp_targetILNS1_3genE4ELNS1_11target_archE910ELNS1_3gpuE8ELNS1_3repE0EEENS1_30default_config_static_selectorELNS0_4arch9wavefront6targetE0EEEvT1_,comdat
.Lfunc_end1818:
	.size	_ZN7rocprim17ROCPRIM_400000_NS6detail17trampoline_kernelINS0_14default_configENS1_27scan_by_key_config_selectorIifEEZZNS1_16scan_by_key_implILNS1_25lookback_scan_determinismE0ELb1ES3_N6thrust23THRUST_200600_302600_NS6detail15normal_iteratorINS9_10device_ptrIiEEEENSB_INSC_IjEEEESE_fNS9_4plusIvEENS9_8equal_toIvEEfEE10hipError_tPvRmT2_T3_T4_T5_mT6_T7_P12ihipStream_tbENKUlT_T0_E_clISt17integral_constantIbLb0EES10_IbLb1EEEEDaSW_SX_EUlSW_E_NS1_11comp_targetILNS1_3genE4ELNS1_11target_archE910ELNS1_3gpuE8ELNS1_3repE0EEENS1_30default_config_static_selectorELNS0_4arch9wavefront6targetE0EEEvT1_, .Lfunc_end1818-_ZN7rocprim17ROCPRIM_400000_NS6detail17trampoline_kernelINS0_14default_configENS1_27scan_by_key_config_selectorIifEEZZNS1_16scan_by_key_implILNS1_25lookback_scan_determinismE0ELb1ES3_N6thrust23THRUST_200600_302600_NS6detail15normal_iteratorINS9_10device_ptrIiEEEENSB_INSC_IjEEEESE_fNS9_4plusIvEENS9_8equal_toIvEEfEE10hipError_tPvRmT2_T3_T4_T5_mT6_T7_P12ihipStream_tbENKUlT_T0_E_clISt17integral_constantIbLb0EES10_IbLb1EEEEDaSW_SX_EUlSW_E_NS1_11comp_targetILNS1_3genE4ELNS1_11target_archE910ELNS1_3gpuE8ELNS1_3repE0EEENS1_30default_config_static_selectorELNS0_4arch9wavefront6targetE0EEEvT1_
                                        ; -- End function
	.set _ZN7rocprim17ROCPRIM_400000_NS6detail17trampoline_kernelINS0_14default_configENS1_27scan_by_key_config_selectorIifEEZZNS1_16scan_by_key_implILNS1_25lookback_scan_determinismE0ELb1ES3_N6thrust23THRUST_200600_302600_NS6detail15normal_iteratorINS9_10device_ptrIiEEEENSB_INSC_IjEEEESE_fNS9_4plusIvEENS9_8equal_toIvEEfEE10hipError_tPvRmT2_T3_T4_T5_mT6_T7_P12ihipStream_tbENKUlT_T0_E_clISt17integral_constantIbLb0EES10_IbLb1EEEEDaSW_SX_EUlSW_E_NS1_11comp_targetILNS1_3genE4ELNS1_11target_archE910ELNS1_3gpuE8ELNS1_3repE0EEENS1_30default_config_static_selectorELNS0_4arch9wavefront6targetE0EEEvT1_.num_vgpr, 0
	.set _ZN7rocprim17ROCPRIM_400000_NS6detail17trampoline_kernelINS0_14default_configENS1_27scan_by_key_config_selectorIifEEZZNS1_16scan_by_key_implILNS1_25lookback_scan_determinismE0ELb1ES3_N6thrust23THRUST_200600_302600_NS6detail15normal_iteratorINS9_10device_ptrIiEEEENSB_INSC_IjEEEESE_fNS9_4plusIvEENS9_8equal_toIvEEfEE10hipError_tPvRmT2_T3_T4_T5_mT6_T7_P12ihipStream_tbENKUlT_T0_E_clISt17integral_constantIbLb0EES10_IbLb1EEEEDaSW_SX_EUlSW_E_NS1_11comp_targetILNS1_3genE4ELNS1_11target_archE910ELNS1_3gpuE8ELNS1_3repE0EEENS1_30default_config_static_selectorELNS0_4arch9wavefront6targetE0EEEvT1_.num_agpr, 0
	.set _ZN7rocprim17ROCPRIM_400000_NS6detail17trampoline_kernelINS0_14default_configENS1_27scan_by_key_config_selectorIifEEZZNS1_16scan_by_key_implILNS1_25lookback_scan_determinismE0ELb1ES3_N6thrust23THRUST_200600_302600_NS6detail15normal_iteratorINS9_10device_ptrIiEEEENSB_INSC_IjEEEESE_fNS9_4plusIvEENS9_8equal_toIvEEfEE10hipError_tPvRmT2_T3_T4_T5_mT6_T7_P12ihipStream_tbENKUlT_T0_E_clISt17integral_constantIbLb0EES10_IbLb1EEEEDaSW_SX_EUlSW_E_NS1_11comp_targetILNS1_3genE4ELNS1_11target_archE910ELNS1_3gpuE8ELNS1_3repE0EEENS1_30default_config_static_selectorELNS0_4arch9wavefront6targetE0EEEvT1_.numbered_sgpr, 0
	.set _ZN7rocprim17ROCPRIM_400000_NS6detail17trampoline_kernelINS0_14default_configENS1_27scan_by_key_config_selectorIifEEZZNS1_16scan_by_key_implILNS1_25lookback_scan_determinismE0ELb1ES3_N6thrust23THRUST_200600_302600_NS6detail15normal_iteratorINS9_10device_ptrIiEEEENSB_INSC_IjEEEESE_fNS9_4plusIvEENS9_8equal_toIvEEfEE10hipError_tPvRmT2_T3_T4_T5_mT6_T7_P12ihipStream_tbENKUlT_T0_E_clISt17integral_constantIbLb0EES10_IbLb1EEEEDaSW_SX_EUlSW_E_NS1_11comp_targetILNS1_3genE4ELNS1_11target_archE910ELNS1_3gpuE8ELNS1_3repE0EEENS1_30default_config_static_selectorELNS0_4arch9wavefront6targetE0EEEvT1_.num_named_barrier, 0
	.set _ZN7rocprim17ROCPRIM_400000_NS6detail17trampoline_kernelINS0_14default_configENS1_27scan_by_key_config_selectorIifEEZZNS1_16scan_by_key_implILNS1_25lookback_scan_determinismE0ELb1ES3_N6thrust23THRUST_200600_302600_NS6detail15normal_iteratorINS9_10device_ptrIiEEEENSB_INSC_IjEEEESE_fNS9_4plusIvEENS9_8equal_toIvEEfEE10hipError_tPvRmT2_T3_T4_T5_mT6_T7_P12ihipStream_tbENKUlT_T0_E_clISt17integral_constantIbLb0EES10_IbLb1EEEEDaSW_SX_EUlSW_E_NS1_11comp_targetILNS1_3genE4ELNS1_11target_archE910ELNS1_3gpuE8ELNS1_3repE0EEENS1_30default_config_static_selectorELNS0_4arch9wavefront6targetE0EEEvT1_.private_seg_size, 0
	.set _ZN7rocprim17ROCPRIM_400000_NS6detail17trampoline_kernelINS0_14default_configENS1_27scan_by_key_config_selectorIifEEZZNS1_16scan_by_key_implILNS1_25lookback_scan_determinismE0ELb1ES3_N6thrust23THRUST_200600_302600_NS6detail15normal_iteratorINS9_10device_ptrIiEEEENSB_INSC_IjEEEESE_fNS9_4plusIvEENS9_8equal_toIvEEfEE10hipError_tPvRmT2_T3_T4_T5_mT6_T7_P12ihipStream_tbENKUlT_T0_E_clISt17integral_constantIbLb0EES10_IbLb1EEEEDaSW_SX_EUlSW_E_NS1_11comp_targetILNS1_3genE4ELNS1_11target_archE910ELNS1_3gpuE8ELNS1_3repE0EEENS1_30default_config_static_selectorELNS0_4arch9wavefront6targetE0EEEvT1_.uses_vcc, 0
	.set _ZN7rocprim17ROCPRIM_400000_NS6detail17trampoline_kernelINS0_14default_configENS1_27scan_by_key_config_selectorIifEEZZNS1_16scan_by_key_implILNS1_25lookback_scan_determinismE0ELb1ES3_N6thrust23THRUST_200600_302600_NS6detail15normal_iteratorINS9_10device_ptrIiEEEENSB_INSC_IjEEEESE_fNS9_4plusIvEENS9_8equal_toIvEEfEE10hipError_tPvRmT2_T3_T4_T5_mT6_T7_P12ihipStream_tbENKUlT_T0_E_clISt17integral_constantIbLb0EES10_IbLb1EEEEDaSW_SX_EUlSW_E_NS1_11comp_targetILNS1_3genE4ELNS1_11target_archE910ELNS1_3gpuE8ELNS1_3repE0EEENS1_30default_config_static_selectorELNS0_4arch9wavefront6targetE0EEEvT1_.uses_flat_scratch, 0
	.set _ZN7rocprim17ROCPRIM_400000_NS6detail17trampoline_kernelINS0_14default_configENS1_27scan_by_key_config_selectorIifEEZZNS1_16scan_by_key_implILNS1_25lookback_scan_determinismE0ELb1ES3_N6thrust23THRUST_200600_302600_NS6detail15normal_iteratorINS9_10device_ptrIiEEEENSB_INSC_IjEEEESE_fNS9_4plusIvEENS9_8equal_toIvEEfEE10hipError_tPvRmT2_T3_T4_T5_mT6_T7_P12ihipStream_tbENKUlT_T0_E_clISt17integral_constantIbLb0EES10_IbLb1EEEEDaSW_SX_EUlSW_E_NS1_11comp_targetILNS1_3genE4ELNS1_11target_archE910ELNS1_3gpuE8ELNS1_3repE0EEENS1_30default_config_static_selectorELNS0_4arch9wavefront6targetE0EEEvT1_.has_dyn_sized_stack, 0
	.set _ZN7rocprim17ROCPRIM_400000_NS6detail17trampoline_kernelINS0_14default_configENS1_27scan_by_key_config_selectorIifEEZZNS1_16scan_by_key_implILNS1_25lookback_scan_determinismE0ELb1ES3_N6thrust23THRUST_200600_302600_NS6detail15normal_iteratorINS9_10device_ptrIiEEEENSB_INSC_IjEEEESE_fNS9_4plusIvEENS9_8equal_toIvEEfEE10hipError_tPvRmT2_T3_T4_T5_mT6_T7_P12ihipStream_tbENKUlT_T0_E_clISt17integral_constantIbLb0EES10_IbLb1EEEEDaSW_SX_EUlSW_E_NS1_11comp_targetILNS1_3genE4ELNS1_11target_archE910ELNS1_3gpuE8ELNS1_3repE0EEENS1_30default_config_static_selectorELNS0_4arch9wavefront6targetE0EEEvT1_.has_recursion, 0
	.set _ZN7rocprim17ROCPRIM_400000_NS6detail17trampoline_kernelINS0_14default_configENS1_27scan_by_key_config_selectorIifEEZZNS1_16scan_by_key_implILNS1_25lookback_scan_determinismE0ELb1ES3_N6thrust23THRUST_200600_302600_NS6detail15normal_iteratorINS9_10device_ptrIiEEEENSB_INSC_IjEEEESE_fNS9_4plusIvEENS9_8equal_toIvEEfEE10hipError_tPvRmT2_T3_T4_T5_mT6_T7_P12ihipStream_tbENKUlT_T0_E_clISt17integral_constantIbLb0EES10_IbLb1EEEEDaSW_SX_EUlSW_E_NS1_11comp_targetILNS1_3genE4ELNS1_11target_archE910ELNS1_3gpuE8ELNS1_3repE0EEENS1_30default_config_static_selectorELNS0_4arch9wavefront6targetE0EEEvT1_.has_indirect_call, 0
	.section	.AMDGPU.csdata,"",@progbits
; Kernel info:
; codeLenInByte = 0
; TotalNumSgprs: 0
; NumVgprs: 0
; ScratchSize: 0
; MemoryBound: 0
; FloatMode: 240
; IeeeMode: 1
; LDSByteSize: 0 bytes/workgroup (compile time only)
; SGPRBlocks: 0
; VGPRBlocks: 0
; NumSGPRsForWavesPerEU: 1
; NumVGPRsForWavesPerEU: 1
; NamedBarCnt: 0
; Occupancy: 16
; WaveLimiterHint : 0
; COMPUTE_PGM_RSRC2:SCRATCH_EN: 0
; COMPUTE_PGM_RSRC2:USER_SGPR: 2
; COMPUTE_PGM_RSRC2:TRAP_HANDLER: 0
; COMPUTE_PGM_RSRC2:TGID_X_EN: 1
; COMPUTE_PGM_RSRC2:TGID_Y_EN: 0
; COMPUTE_PGM_RSRC2:TGID_Z_EN: 0
; COMPUTE_PGM_RSRC2:TIDIG_COMP_CNT: 0
	.section	.text._ZN7rocprim17ROCPRIM_400000_NS6detail17trampoline_kernelINS0_14default_configENS1_27scan_by_key_config_selectorIifEEZZNS1_16scan_by_key_implILNS1_25lookback_scan_determinismE0ELb1ES3_N6thrust23THRUST_200600_302600_NS6detail15normal_iteratorINS9_10device_ptrIiEEEENSB_INSC_IjEEEESE_fNS9_4plusIvEENS9_8equal_toIvEEfEE10hipError_tPvRmT2_T3_T4_T5_mT6_T7_P12ihipStream_tbENKUlT_T0_E_clISt17integral_constantIbLb0EES10_IbLb1EEEEDaSW_SX_EUlSW_E_NS1_11comp_targetILNS1_3genE3ELNS1_11target_archE908ELNS1_3gpuE7ELNS1_3repE0EEENS1_30default_config_static_selectorELNS0_4arch9wavefront6targetE0EEEvT1_,"axG",@progbits,_ZN7rocprim17ROCPRIM_400000_NS6detail17trampoline_kernelINS0_14default_configENS1_27scan_by_key_config_selectorIifEEZZNS1_16scan_by_key_implILNS1_25lookback_scan_determinismE0ELb1ES3_N6thrust23THRUST_200600_302600_NS6detail15normal_iteratorINS9_10device_ptrIiEEEENSB_INSC_IjEEEESE_fNS9_4plusIvEENS9_8equal_toIvEEfEE10hipError_tPvRmT2_T3_T4_T5_mT6_T7_P12ihipStream_tbENKUlT_T0_E_clISt17integral_constantIbLb0EES10_IbLb1EEEEDaSW_SX_EUlSW_E_NS1_11comp_targetILNS1_3genE3ELNS1_11target_archE908ELNS1_3gpuE7ELNS1_3repE0EEENS1_30default_config_static_selectorELNS0_4arch9wavefront6targetE0EEEvT1_,comdat
	.protected	_ZN7rocprim17ROCPRIM_400000_NS6detail17trampoline_kernelINS0_14default_configENS1_27scan_by_key_config_selectorIifEEZZNS1_16scan_by_key_implILNS1_25lookback_scan_determinismE0ELb1ES3_N6thrust23THRUST_200600_302600_NS6detail15normal_iteratorINS9_10device_ptrIiEEEENSB_INSC_IjEEEESE_fNS9_4plusIvEENS9_8equal_toIvEEfEE10hipError_tPvRmT2_T3_T4_T5_mT6_T7_P12ihipStream_tbENKUlT_T0_E_clISt17integral_constantIbLb0EES10_IbLb1EEEEDaSW_SX_EUlSW_E_NS1_11comp_targetILNS1_3genE3ELNS1_11target_archE908ELNS1_3gpuE7ELNS1_3repE0EEENS1_30default_config_static_selectorELNS0_4arch9wavefront6targetE0EEEvT1_ ; -- Begin function _ZN7rocprim17ROCPRIM_400000_NS6detail17trampoline_kernelINS0_14default_configENS1_27scan_by_key_config_selectorIifEEZZNS1_16scan_by_key_implILNS1_25lookback_scan_determinismE0ELb1ES3_N6thrust23THRUST_200600_302600_NS6detail15normal_iteratorINS9_10device_ptrIiEEEENSB_INSC_IjEEEESE_fNS9_4plusIvEENS9_8equal_toIvEEfEE10hipError_tPvRmT2_T3_T4_T5_mT6_T7_P12ihipStream_tbENKUlT_T0_E_clISt17integral_constantIbLb0EES10_IbLb1EEEEDaSW_SX_EUlSW_E_NS1_11comp_targetILNS1_3genE3ELNS1_11target_archE908ELNS1_3gpuE7ELNS1_3repE0EEENS1_30default_config_static_selectorELNS0_4arch9wavefront6targetE0EEEvT1_
	.globl	_ZN7rocprim17ROCPRIM_400000_NS6detail17trampoline_kernelINS0_14default_configENS1_27scan_by_key_config_selectorIifEEZZNS1_16scan_by_key_implILNS1_25lookback_scan_determinismE0ELb1ES3_N6thrust23THRUST_200600_302600_NS6detail15normal_iteratorINS9_10device_ptrIiEEEENSB_INSC_IjEEEESE_fNS9_4plusIvEENS9_8equal_toIvEEfEE10hipError_tPvRmT2_T3_T4_T5_mT6_T7_P12ihipStream_tbENKUlT_T0_E_clISt17integral_constantIbLb0EES10_IbLb1EEEEDaSW_SX_EUlSW_E_NS1_11comp_targetILNS1_3genE3ELNS1_11target_archE908ELNS1_3gpuE7ELNS1_3repE0EEENS1_30default_config_static_selectorELNS0_4arch9wavefront6targetE0EEEvT1_
	.p2align	8
	.type	_ZN7rocprim17ROCPRIM_400000_NS6detail17trampoline_kernelINS0_14default_configENS1_27scan_by_key_config_selectorIifEEZZNS1_16scan_by_key_implILNS1_25lookback_scan_determinismE0ELb1ES3_N6thrust23THRUST_200600_302600_NS6detail15normal_iteratorINS9_10device_ptrIiEEEENSB_INSC_IjEEEESE_fNS9_4plusIvEENS9_8equal_toIvEEfEE10hipError_tPvRmT2_T3_T4_T5_mT6_T7_P12ihipStream_tbENKUlT_T0_E_clISt17integral_constantIbLb0EES10_IbLb1EEEEDaSW_SX_EUlSW_E_NS1_11comp_targetILNS1_3genE3ELNS1_11target_archE908ELNS1_3gpuE7ELNS1_3repE0EEENS1_30default_config_static_selectorELNS0_4arch9wavefront6targetE0EEEvT1_,@function
_ZN7rocprim17ROCPRIM_400000_NS6detail17trampoline_kernelINS0_14default_configENS1_27scan_by_key_config_selectorIifEEZZNS1_16scan_by_key_implILNS1_25lookback_scan_determinismE0ELb1ES3_N6thrust23THRUST_200600_302600_NS6detail15normal_iteratorINS9_10device_ptrIiEEEENSB_INSC_IjEEEESE_fNS9_4plusIvEENS9_8equal_toIvEEfEE10hipError_tPvRmT2_T3_T4_T5_mT6_T7_P12ihipStream_tbENKUlT_T0_E_clISt17integral_constantIbLb0EES10_IbLb1EEEEDaSW_SX_EUlSW_E_NS1_11comp_targetILNS1_3genE3ELNS1_11target_archE908ELNS1_3gpuE7ELNS1_3repE0EEENS1_30default_config_static_selectorELNS0_4arch9wavefront6targetE0EEEvT1_: ; @_ZN7rocprim17ROCPRIM_400000_NS6detail17trampoline_kernelINS0_14default_configENS1_27scan_by_key_config_selectorIifEEZZNS1_16scan_by_key_implILNS1_25lookback_scan_determinismE0ELb1ES3_N6thrust23THRUST_200600_302600_NS6detail15normal_iteratorINS9_10device_ptrIiEEEENSB_INSC_IjEEEESE_fNS9_4plusIvEENS9_8equal_toIvEEfEE10hipError_tPvRmT2_T3_T4_T5_mT6_T7_P12ihipStream_tbENKUlT_T0_E_clISt17integral_constantIbLb0EES10_IbLb1EEEEDaSW_SX_EUlSW_E_NS1_11comp_targetILNS1_3genE3ELNS1_11target_archE908ELNS1_3gpuE7ELNS1_3repE0EEENS1_30default_config_static_selectorELNS0_4arch9wavefront6targetE0EEEvT1_
; %bb.0:
	.section	.rodata,"a",@progbits
	.p2align	6, 0x0
	.amdhsa_kernel _ZN7rocprim17ROCPRIM_400000_NS6detail17trampoline_kernelINS0_14default_configENS1_27scan_by_key_config_selectorIifEEZZNS1_16scan_by_key_implILNS1_25lookback_scan_determinismE0ELb1ES3_N6thrust23THRUST_200600_302600_NS6detail15normal_iteratorINS9_10device_ptrIiEEEENSB_INSC_IjEEEESE_fNS9_4plusIvEENS9_8equal_toIvEEfEE10hipError_tPvRmT2_T3_T4_T5_mT6_T7_P12ihipStream_tbENKUlT_T0_E_clISt17integral_constantIbLb0EES10_IbLb1EEEEDaSW_SX_EUlSW_E_NS1_11comp_targetILNS1_3genE3ELNS1_11target_archE908ELNS1_3gpuE7ELNS1_3repE0EEENS1_30default_config_static_selectorELNS0_4arch9wavefront6targetE0EEEvT1_
		.amdhsa_group_segment_fixed_size 0
		.amdhsa_private_segment_fixed_size 0
		.amdhsa_kernarg_size 112
		.amdhsa_user_sgpr_count 2
		.amdhsa_user_sgpr_dispatch_ptr 0
		.amdhsa_user_sgpr_queue_ptr 0
		.amdhsa_user_sgpr_kernarg_segment_ptr 1
		.amdhsa_user_sgpr_dispatch_id 0
		.amdhsa_user_sgpr_kernarg_preload_length 0
		.amdhsa_user_sgpr_kernarg_preload_offset 0
		.amdhsa_user_sgpr_private_segment_size 0
		.amdhsa_wavefront_size32 1
		.amdhsa_uses_dynamic_stack 0
		.amdhsa_enable_private_segment 0
		.amdhsa_system_sgpr_workgroup_id_x 1
		.amdhsa_system_sgpr_workgroup_id_y 0
		.amdhsa_system_sgpr_workgroup_id_z 0
		.amdhsa_system_sgpr_workgroup_info 0
		.amdhsa_system_vgpr_workitem_id 0
		.amdhsa_next_free_vgpr 1
		.amdhsa_next_free_sgpr 1
		.amdhsa_named_barrier_count 0
		.amdhsa_reserve_vcc 0
		.amdhsa_float_round_mode_32 0
		.amdhsa_float_round_mode_16_64 0
		.amdhsa_float_denorm_mode_32 3
		.amdhsa_float_denorm_mode_16_64 3
		.amdhsa_fp16_overflow 0
		.amdhsa_memory_ordered 1
		.amdhsa_forward_progress 1
		.amdhsa_inst_pref_size 0
		.amdhsa_round_robin_scheduling 0
		.amdhsa_exception_fp_ieee_invalid_op 0
		.amdhsa_exception_fp_denorm_src 0
		.amdhsa_exception_fp_ieee_div_zero 0
		.amdhsa_exception_fp_ieee_overflow 0
		.amdhsa_exception_fp_ieee_underflow 0
		.amdhsa_exception_fp_ieee_inexact 0
		.amdhsa_exception_int_div_zero 0
	.end_amdhsa_kernel
	.section	.text._ZN7rocprim17ROCPRIM_400000_NS6detail17trampoline_kernelINS0_14default_configENS1_27scan_by_key_config_selectorIifEEZZNS1_16scan_by_key_implILNS1_25lookback_scan_determinismE0ELb1ES3_N6thrust23THRUST_200600_302600_NS6detail15normal_iteratorINS9_10device_ptrIiEEEENSB_INSC_IjEEEESE_fNS9_4plusIvEENS9_8equal_toIvEEfEE10hipError_tPvRmT2_T3_T4_T5_mT6_T7_P12ihipStream_tbENKUlT_T0_E_clISt17integral_constantIbLb0EES10_IbLb1EEEEDaSW_SX_EUlSW_E_NS1_11comp_targetILNS1_3genE3ELNS1_11target_archE908ELNS1_3gpuE7ELNS1_3repE0EEENS1_30default_config_static_selectorELNS0_4arch9wavefront6targetE0EEEvT1_,"axG",@progbits,_ZN7rocprim17ROCPRIM_400000_NS6detail17trampoline_kernelINS0_14default_configENS1_27scan_by_key_config_selectorIifEEZZNS1_16scan_by_key_implILNS1_25lookback_scan_determinismE0ELb1ES3_N6thrust23THRUST_200600_302600_NS6detail15normal_iteratorINS9_10device_ptrIiEEEENSB_INSC_IjEEEESE_fNS9_4plusIvEENS9_8equal_toIvEEfEE10hipError_tPvRmT2_T3_T4_T5_mT6_T7_P12ihipStream_tbENKUlT_T0_E_clISt17integral_constantIbLb0EES10_IbLb1EEEEDaSW_SX_EUlSW_E_NS1_11comp_targetILNS1_3genE3ELNS1_11target_archE908ELNS1_3gpuE7ELNS1_3repE0EEENS1_30default_config_static_selectorELNS0_4arch9wavefront6targetE0EEEvT1_,comdat
.Lfunc_end1819:
	.size	_ZN7rocprim17ROCPRIM_400000_NS6detail17trampoline_kernelINS0_14default_configENS1_27scan_by_key_config_selectorIifEEZZNS1_16scan_by_key_implILNS1_25lookback_scan_determinismE0ELb1ES3_N6thrust23THRUST_200600_302600_NS6detail15normal_iteratorINS9_10device_ptrIiEEEENSB_INSC_IjEEEESE_fNS9_4plusIvEENS9_8equal_toIvEEfEE10hipError_tPvRmT2_T3_T4_T5_mT6_T7_P12ihipStream_tbENKUlT_T0_E_clISt17integral_constantIbLb0EES10_IbLb1EEEEDaSW_SX_EUlSW_E_NS1_11comp_targetILNS1_3genE3ELNS1_11target_archE908ELNS1_3gpuE7ELNS1_3repE0EEENS1_30default_config_static_selectorELNS0_4arch9wavefront6targetE0EEEvT1_, .Lfunc_end1819-_ZN7rocprim17ROCPRIM_400000_NS6detail17trampoline_kernelINS0_14default_configENS1_27scan_by_key_config_selectorIifEEZZNS1_16scan_by_key_implILNS1_25lookback_scan_determinismE0ELb1ES3_N6thrust23THRUST_200600_302600_NS6detail15normal_iteratorINS9_10device_ptrIiEEEENSB_INSC_IjEEEESE_fNS9_4plusIvEENS9_8equal_toIvEEfEE10hipError_tPvRmT2_T3_T4_T5_mT6_T7_P12ihipStream_tbENKUlT_T0_E_clISt17integral_constantIbLb0EES10_IbLb1EEEEDaSW_SX_EUlSW_E_NS1_11comp_targetILNS1_3genE3ELNS1_11target_archE908ELNS1_3gpuE7ELNS1_3repE0EEENS1_30default_config_static_selectorELNS0_4arch9wavefront6targetE0EEEvT1_
                                        ; -- End function
	.set _ZN7rocprim17ROCPRIM_400000_NS6detail17trampoline_kernelINS0_14default_configENS1_27scan_by_key_config_selectorIifEEZZNS1_16scan_by_key_implILNS1_25lookback_scan_determinismE0ELb1ES3_N6thrust23THRUST_200600_302600_NS6detail15normal_iteratorINS9_10device_ptrIiEEEENSB_INSC_IjEEEESE_fNS9_4plusIvEENS9_8equal_toIvEEfEE10hipError_tPvRmT2_T3_T4_T5_mT6_T7_P12ihipStream_tbENKUlT_T0_E_clISt17integral_constantIbLb0EES10_IbLb1EEEEDaSW_SX_EUlSW_E_NS1_11comp_targetILNS1_3genE3ELNS1_11target_archE908ELNS1_3gpuE7ELNS1_3repE0EEENS1_30default_config_static_selectorELNS0_4arch9wavefront6targetE0EEEvT1_.num_vgpr, 0
	.set _ZN7rocprim17ROCPRIM_400000_NS6detail17trampoline_kernelINS0_14default_configENS1_27scan_by_key_config_selectorIifEEZZNS1_16scan_by_key_implILNS1_25lookback_scan_determinismE0ELb1ES3_N6thrust23THRUST_200600_302600_NS6detail15normal_iteratorINS9_10device_ptrIiEEEENSB_INSC_IjEEEESE_fNS9_4plusIvEENS9_8equal_toIvEEfEE10hipError_tPvRmT2_T3_T4_T5_mT6_T7_P12ihipStream_tbENKUlT_T0_E_clISt17integral_constantIbLb0EES10_IbLb1EEEEDaSW_SX_EUlSW_E_NS1_11comp_targetILNS1_3genE3ELNS1_11target_archE908ELNS1_3gpuE7ELNS1_3repE0EEENS1_30default_config_static_selectorELNS0_4arch9wavefront6targetE0EEEvT1_.num_agpr, 0
	.set _ZN7rocprim17ROCPRIM_400000_NS6detail17trampoline_kernelINS0_14default_configENS1_27scan_by_key_config_selectorIifEEZZNS1_16scan_by_key_implILNS1_25lookback_scan_determinismE0ELb1ES3_N6thrust23THRUST_200600_302600_NS6detail15normal_iteratorINS9_10device_ptrIiEEEENSB_INSC_IjEEEESE_fNS9_4plusIvEENS9_8equal_toIvEEfEE10hipError_tPvRmT2_T3_T4_T5_mT6_T7_P12ihipStream_tbENKUlT_T0_E_clISt17integral_constantIbLb0EES10_IbLb1EEEEDaSW_SX_EUlSW_E_NS1_11comp_targetILNS1_3genE3ELNS1_11target_archE908ELNS1_3gpuE7ELNS1_3repE0EEENS1_30default_config_static_selectorELNS0_4arch9wavefront6targetE0EEEvT1_.numbered_sgpr, 0
	.set _ZN7rocprim17ROCPRIM_400000_NS6detail17trampoline_kernelINS0_14default_configENS1_27scan_by_key_config_selectorIifEEZZNS1_16scan_by_key_implILNS1_25lookback_scan_determinismE0ELb1ES3_N6thrust23THRUST_200600_302600_NS6detail15normal_iteratorINS9_10device_ptrIiEEEENSB_INSC_IjEEEESE_fNS9_4plusIvEENS9_8equal_toIvEEfEE10hipError_tPvRmT2_T3_T4_T5_mT6_T7_P12ihipStream_tbENKUlT_T0_E_clISt17integral_constantIbLb0EES10_IbLb1EEEEDaSW_SX_EUlSW_E_NS1_11comp_targetILNS1_3genE3ELNS1_11target_archE908ELNS1_3gpuE7ELNS1_3repE0EEENS1_30default_config_static_selectorELNS0_4arch9wavefront6targetE0EEEvT1_.num_named_barrier, 0
	.set _ZN7rocprim17ROCPRIM_400000_NS6detail17trampoline_kernelINS0_14default_configENS1_27scan_by_key_config_selectorIifEEZZNS1_16scan_by_key_implILNS1_25lookback_scan_determinismE0ELb1ES3_N6thrust23THRUST_200600_302600_NS6detail15normal_iteratorINS9_10device_ptrIiEEEENSB_INSC_IjEEEESE_fNS9_4plusIvEENS9_8equal_toIvEEfEE10hipError_tPvRmT2_T3_T4_T5_mT6_T7_P12ihipStream_tbENKUlT_T0_E_clISt17integral_constantIbLb0EES10_IbLb1EEEEDaSW_SX_EUlSW_E_NS1_11comp_targetILNS1_3genE3ELNS1_11target_archE908ELNS1_3gpuE7ELNS1_3repE0EEENS1_30default_config_static_selectorELNS0_4arch9wavefront6targetE0EEEvT1_.private_seg_size, 0
	.set _ZN7rocprim17ROCPRIM_400000_NS6detail17trampoline_kernelINS0_14default_configENS1_27scan_by_key_config_selectorIifEEZZNS1_16scan_by_key_implILNS1_25lookback_scan_determinismE0ELb1ES3_N6thrust23THRUST_200600_302600_NS6detail15normal_iteratorINS9_10device_ptrIiEEEENSB_INSC_IjEEEESE_fNS9_4plusIvEENS9_8equal_toIvEEfEE10hipError_tPvRmT2_T3_T4_T5_mT6_T7_P12ihipStream_tbENKUlT_T0_E_clISt17integral_constantIbLb0EES10_IbLb1EEEEDaSW_SX_EUlSW_E_NS1_11comp_targetILNS1_3genE3ELNS1_11target_archE908ELNS1_3gpuE7ELNS1_3repE0EEENS1_30default_config_static_selectorELNS0_4arch9wavefront6targetE0EEEvT1_.uses_vcc, 0
	.set _ZN7rocprim17ROCPRIM_400000_NS6detail17trampoline_kernelINS0_14default_configENS1_27scan_by_key_config_selectorIifEEZZNS1_16scan_by_key_implILNS1_25lookback_scan_determinismE0ELb1ES3_N6thrust23THRUST_200600_302600_NS6detail15normal_iteratorINS9_10device_ptrIiEEEENSB_INSC_IjEEEESE_fNS9_4plusIvEENS9_8equal_toIvEEfEE10hipError_tPvRmT2_T3_T4_T5_mT6_T7_P12ihipStream_tbENKUlT_T0_E_clISt17integral_constantIbLb0EES10_IbLb1EEEEDaSW_SX_EUlSW_E_NS1_11comp_targetILNS1_3genE3ELNS1_11target_archE908ELNS1_3gpuE7ELNS1_3repE0EEENS1_30default_config_static_selectorELNS0_4arch9wavefront6targetE0EEEvT1_.uses_flat_scratch, 0
	.set _ZN7rocprim17ROCPRIM_400000_NS6detail17trampoline_kernelINS0_14default_configENS1_27scan_by_key_config_selectorIifEEZZNS1_16scan_by_key_implILNS1_25lookback_scan_determinismE0ELb1ES3_N6thrust23THRUST_200600_302600_NS6detail15normal_iteratorINS9_10device_ptrIiEEEENSB_INSC_IjEEEESE_fNS9_4plusIvEENS9_8equal_toIvEEfEE10hipError_tPvRmT2_T3_T4_T5_mT6_T7_P12ihipStream_tbENKUlT_T0_E_clISt17integral_constantIbLb0EES10_IbLb1EEEEDaSW_SX_EUlSW_E_NS1_11comp_targetILNS1_3genE3ELNS1_11target_archE908ELNS1_3gpuE7ELNS1_3repE0EEENS1_30default_config_static_selectorELNS0_4arch9wavefront6targetE0EEEvT1_.has_dyn_sized_stack, 0
	.set _ZN7rocprim17ROCPRIM_400000_NS6detail17trampoline_kernelINS0_14default_configENS1_27scan_by_key_config_selectorIifEEZZNS1_16scan_by_key_implILNS1_25lookback_scan_determinismE0ELb1ES3_N6thrust23THRUST_200600_302600_NS6detail15normal_iteratorINS9_10device_ptrIiEEEENSB_INSC_IjEEEESE_fNS9_4plusIvEENS9_8equal_toIvEEfEE10hipError_tPvRmT2_T3_T4_T5_mT6_T7_P12ihipStream_tbENKUlT_T0_E_clISt17integral_constantIbLb0EES10_IbLb1EEEEDaSW_SX_EUlSW_E_NS1_11comp_targetILNS1_3genE3ELNS1_11target_archE908ELNS1_3gpuE7ELNS1_3repE0EEENS1_30default_config_static_selectorELNS0_4arch9wavefront6targetE0EEEvT1_.has_recursion, 0
	.set _ZN7rocprim17ROCPRIM_400000_NS6detail17trampoline_kernelINS0_14default_configENS1_27scan_by_key_config_selectorIifEEZZNS1_16scan_by_key_implILNS1_25lookback_scan_determinismE0ELb1ES3_N6thrust23THRUST_200600_302600_NS6detail15normal_iteratorINS9_10device_ptrIiEEEENSB_INSC_IjEEEESE_fNS9_4plusIvEENS9_8equal_toIvEEfEE10hipError_tPvRmT2_T3_T4_T5_mT6_T7_P12ihipStream_tbENKUlT_T0_E_clISt17integral_constantIbLb0EES10_IbLb1EEEEDaSW_SX_EUlSW_E_NS1_11comp_targetILNS1_3genE3ELNS1_11target_archE908ELNS1_3gpuE7ELNS1_3repE0EEENS1_30default_config_static_selectorELNS0_4arch9wavefront6targetE0EEEvT1_.has_indirect_call, 0
	.section	.AMDGPU.csdata,"",@progbits
; Kernel info:
; codeLenInByte = 0
; TotalNumSgprs: 0
; NumVgprs: 0
; ScratchSize: 0
; MemoryBound: 0
; FloatMode: 240
; IeeeMode: 1
; LDSByteSize: 0 bytes/workgroup (compile time only)
; SGPRBlocks: 0
; VGPRBlocks: 0
; NumSGPRsForWavesPerEU: 1
; NumVGPRsForWavesPerEU: 1
; NamedBarCnt: 0
; Occupancy: 16
; WaveLimiterHint : 0
; COMPUTE_PGM_RSRC2:SCRATCH_EN: 0
; COMPUTE_PGM_RSRC2:USER_SGPR: 2
; COMPUTE_PGM_RSRC2:TRAP_HANDLER: 0
; COMPUTE_PGM_RSRC2:TGID_X_EN: 1
; COMPUTE_PGM_RSRC2:TGID_Y_EN: 0
; COMPUTE_PGM_RSRC2:TGID_Z_EN: 0
; COMPUTE_PGM_RSRC2:TIDIG_COMP_CNT: 0
	.section	.text._ZN7rocprim17ROCPRIM_400000_NS6detail17trampoline_kernelINS0_14default_configENS1_27scan_by_key_config_selectorIifEEZZNS1_16scan_by_key_implILNS1_25lookback_scan_determinismE0ELb1ES3_N6thrust23THRUST_200600_302600_NS6detail15normal_iteratorINS9_10device_ptrIiEEEENSB_INSC_IjEEEESE_fNS9_4plusIvEENS9_8equal_toIvEEfEE10hipError_tPvRmT2_T3_T4_T5_mT6_T7_P12ihipStream_tbENKUlT_T0_E_clISt17integral_constantIbLb0EES10_IbLb1EEEEDaSW_SX_EUlSW_E_NS1_11comp_targetILNS1_3genE2ELNS1_11target_archE906ELNS1_3gpuE6ELNS1_3repE0EEENS1_30default_config_static_selectorELNS0_4arch9wavefront6targetE0EEEvT1_,"axG",@progbits,_ZN7rocprim17ROCPRIM_400000_NS6detail17trampoline_kernelINS0_14default_configENS1_27scan_by_key_config_selectorIifEEZZNS1_16scan_by_key_implILNS1_25lookback_scan_determinismE0ELb1ES3_N6thrust23THRUST_200600_302600_NS6detail15normal_iteratorINS9_10device_ptrIiEEEENSB_INSC_IjEEEESE_fNS9_4plusIvEENS9_8equal_toIvEEfEE10hipError_tPvRmT2_T3_T4_T5_mT6_T7_P12ihipStream_tbENKUlT_T0_E_clISt17integral_constantIbLb0EES10_IbLb1EEEEDaSW_SX_EUlSW_E_NS1_11comp_targetILNS1_3genE2ELNS1_11target_archE906ELNS1_3gpuE6ELNS1_3repE0EEENS1_30default_config_static_selectorELNS0_4arch9wavefront6targetE0EEEvT1_,comdat
	.protected	_ZN7rocprim17ROCPRIM_400000_NS6detail17trampoline_kernelINS0_14default_configENS1_27scan_by_key_config_selectorIifEEZZNS1_16scan_by_key_implILNS1_25lookback_scan_determinismE0ELb1ES3_N6thrust23THRUST_200600_302600_NS6detail15normal_iteratorINS9_10device_ptrIiEEEENSB_INSC_IjEEEESE_fNS9_4plusIvEENS9_8equal_toIvEEfEE10hipError_tPvRmT2_T3_T4_T5_mT6_T7_P12ihipStream_tbENKUlT_T0_E_clISt17integral_constantIbLb0EES10_IbLb1EEEEDaSW_SX_EUlSW_E_NS1_11comp_targetILNS1_3genE2ELNS1_11target_archE906ELNS1_3gpuE6ELNS1_3repE0EEENS1_30default_config_static_selectorELNS0_4arch9wavefront6targetE0EEEvT1_ ; -- Begin function _ZN7rocprim17ROCPRIM_400000_NS6detail17trampoline_kernelINS0_14default_configENS1_27scan_by_key_config_selectorIifEEZZNS1_16scan_by_key_implILNS1_25lookback_scan_determinismE0ELb1ES3_N6thrust23THRUST_200600_302600_NS6detail15normal_iteratorINS9_10device_ptrIiEEEENSB_INSC_IjEEEESE_fNS9_4plusIvEENS9_8equal_toIvEEfEE10hipError_tPvRmT2_T3_T4_T5_mT6_T7_P12ihipStream_tbENKUlT_T0_E_clISt17integral_constantIbLb0EES10_IbLb1EEEEDaSW_SX_EUlSW_E_NS1_11comp_targetILNS1_3genE2ELNS1_11target_archE906ELNS1_3gpuE6ELNS1_3repE0EEENS1_30default_config_static_selectorELNS0_4arch9wavefront6targetE0EEEvT1_
	.globl	_ZN7rocprim17ROCPRIM_400000_NS6detail17trampoline_kernelINS0_14default_configENS1_27scan_by_key_config_selectorIifEEZZNS1_16scan_by_key_implILNS1_25lookback_scan_determinismE0ELb1ES3_N6thrust23THRUST_200600_302600_NS6detail15normal_iteratorINS9_10device_ptrIiEEEENSB_INSC_IjEEEESE_fNS9_4plusIvEENS9_8equal_toIvEEfEE10hipError_tPvRmT2_T3_T4_T5_mT6_T7_P12ihipStream_tbENKUlT_T0_E_clISt17integral_constantIbLb0EES10_IbLb1EEEEDaSW_SX_EUlSW_E_NS1_11comp_targetILNS1_3genE2ELNS1_11target_archE906ELNS1_3gpuE6ELNS1_3repE0EEENS1_30default_config_static_selectorELNS0_4arch9wavefront6targetE0EEEvT1_
	.p2align	8
	.type	_ZN7rocprim17ROCPRIM_400000_NS6detail17trampoline_kernelINS0_14default_configENS1_27scan_by_key_config_selectorIifEEZZNS1_16scan_by_key_implILNS1_25lookback_scan_determinismE0ELb1ES3_N6thrust23THRUST_200600_302600_NS6detail15normal_iteratorINS9_10device_ptrIiEEEENSB_INSC_IjEEEESE_fNS9_4plusIvEENS9_8equal_toIvEEfEE10hipError_tPvRmT2_T3_T4_T5_mT6_T7_P12ihipStream_tbENKUlT_T0_E_clISt17integral_constantIbLb0EES10_IbLb1EEEEDaSW_SX_EUlSW_E_NS1_11comp_targetILNS1_3genE2ELNS1_11target_archE906ELNS1_3gpuE6ELNS1_3repE0EEENS1_30default_config_static_selectorELNS0_4arch9wavefront6targetE0EEEvT1_,@function
_ZN7rocprim17ROCPRIM_400000_NS6detail17trampoline_kernelINS0_14default_configENS1_27scan_by_key_config_selectorIifEEZZNS1_16scan_by_key_implILNS1_25lookback_scan_determinismE0ELb1ES3_N6thrust23THRUST_200600_302600_NS6detail15normal_iteratorINS9_10device_ptrIiEEEENSB_INSC_IjEEEESE_fNS9_4plusIvEENS9_8equal_toIvEEfEE10hipError_tPvRmT2_T3_T4_T5_mT6_T7_P12ihipStream_tbENKUlT_T0_E_clISt17integral_constantIbLb0EES10_IbLb1EEEEDaSW_SX_EUlSW_E_NS1_11comp_targetILNS1_3genE2ELNS1_11target_archE906ELNS1_3gpuE6ELNS1_3repE0EEENS1_30default_config_static_selectorELNS0_4arch9wavefront6targetE0EEEvT1_: ; @_ZN7rocprim17ROCPRIM_400000_NS6detail17trampoline_kernelINS0_14default_configENS1_27scan_by_key_config_selectorIifEEZZNS1_16scan_by_key_implILNS1_25lookback_scan_determinismE0ELb1ES3_N6thrust23THRUST_200600_302600_NS6detail15normal_iteratorINS9_10device_ptrIiEEEENSB_INSC_IjEEEESE_fNS9_4plusIvEENS9_8equal_toIvEEfEE10hipError_tPvRmT2_T3_T4_T5_mT6_T7_P12ihipStream_tbENKUlT_T0_E_clISt17integral_constantIbLb0EES10_IbLb1EEEEDaSW_SX_EUlSW_E_NS1_11comp_targetILNS1_3genE2ELNS1_11target_archE906ELNS1_3gpuE6ELNS1_3repE0EEENS1_30default_config_static_selectorELNS0_4arch9wavefront6targetE0EEEvT1_
; %bb.0:
	.section	.rodata,"a",@progbits
	.p2align	6, 0x0
	.amdhsa_kernel _ZN7rocprim17ROCPRIM_400000_NS6detail17trampoline_kernelINS0_14default_configENS1_27scan_by_key_config_selectorIifEEZZNS1_16scan_by_key_implILNS1_25lookback_scan_determinismE0ELb1ES3_N6thrust23THRUST_200600_302600_NS6detail15normal_iteratorINS9_10device_ptrIiEEEENSB_INSC_IjEEEESE_fNS9_4plusIvEENS9_8equal_toIvEEfEE10hipError_tPvRmT2_T3_T4_T5_mT6_T7_P12ihipStream_tbENKUlT_T0_E_clISt17integral_constantIbLb0EES10_IbLb1EEEEDaSW_SX_EUlSW_E_NS1_11comp_targetILNS1_3genE2ELNS1_11target_archE906ELNS1_3gpuE6ELNS1_3repE0EEENS1_30default_config_static_selectorELNS0_4arch9wavefront6targetE0EEEvT1_
		.amdhsa_group_segment_fixed_size 0
		.amdhsa_private_segment_fixed_size 0
		.amdhsa_kernarg_size 112
		.amdhsa_user_sgpr_count 2
		.amdhsa_user_sgpr_dispatch_ptr 0
		.amdhsa_user_sgpr_queue_ptr 0
		.amdhsa_user_sgpr_kernarg_segment_ptr 1
		.amdhsa_user_sgpr_dispatch_id 0
		.amdhsa_user_sgpr_kernarg_preload_length 0
		.amdhsa_user_sgpr_kernarg_preload_offset 0
		.amdhsa_user_sgpr_private_segment_size 0
		.amdhsa_wavefront_size32 1
		.amdhsa_uses_dynamic_stack 0
		.amdhsa_enable_private_segment 0
		.amdhsa_system_sgpr_workgroup_id_x 1
		.amdhsa_system_sgpr_workgroup_id_y 0
		.amdhsa_system_sgpr_workgroup_id_z 0
		.amdhsa_system_sgpr_workgroup_info 0
		.amdhsa_system_vgpr_workitem_id 0
		.amdhsa_next_free_vgpr 1
		.amdhsa_next_free_sgpr 1
		.amdhsa_named_barrier_count 0
		.amdhsa_reserve_vcc 0
		.amdhsa_float_round_mode_32 0
		.amdhsa_float_round_mode_16_64 0
		.amdhsa_float_denorm_mode_32 3
		.amdhsa_float_denorm_mode_16_64 3
		.amdhsa_fp16_overflow 0
		.amdhsa_memory_ordered 1
		.amdhsa_forward_progress 1
		.amdhsa_inst_pref_size 0
		.amdhsa_round_robin_scheduling 0
		.amdhsa_exception_fp_ieee_invalid_op 0
		.amdhsa_exception_fp_denorm_src 0
		.amdhsa_exception_fp_ieee_div_zero 0
		.amdhsa_exception_fp_ieee_overflow 0
		.amdhsa_exception_fp_ieee_underflow 0
		.amdhsa_exception_fp_ieee_inexact 0
		.amdhsa_exception_int_div_zero 0
	.end_amdhsa_kernel
	.section	.text._ZN7rocprim17ROCPRIM_400000_NS6detail17trampoline_kernelINS0_14default_configENS1_27scan_by_key_config_selectorIifEEZZNS1_16scan_by_key_implILNS1_25lookback_scan_determinismE0ELb1ES3_N6thrust23THRUST_200600_302600_NS6detail15normal_iteratorINS9_10device_ptrIiEEEENSB_INSC_IjEEEESE_fNS9_4plusIvEENS9_8equal_toIvEEfEE10hipError_tPvRmT2_T3_T4_T5_mT6_T7_P12ihipStream_tbENKUlT_T0_E_clISt17integral_constantIbLb0EES10_IbLb1EEEEDaSW_SX_EUlSW_E_NS1_11comp_targetILNS1_3genE2ELNS1_11target_archE906ELNS1_3gpuE6ELNS1_3repE0EEENS1_30default_config_static_selectorELNS0_4arch9wavefront6targetE0EEEvT1_,"axG",@progbits,_ZN7rocprim17ROCPRIM_400000_NS6detail17trampoline_kernelINS0_14default_configENS1_27scan_by_key_config_selectorIifEEZZNS1_16scan_by_key_implILNS1_25lookback_scan_determinismE0ELb1ES3_N6thrust23THRUST_200600_302600_NS6detail15normal_iteratorINS9_10device_ptrIiEEEENSB_INSC_IjEEEESE_fNS9_4plusIvEENS9_8equal_toIvEEfEE10hipError_tPvRmT2_T3_T4_T5_mT6_T7_P12ihipStream_tbENKUlT_T0_E_clISt17integral_constantIbLb0EES10_IbLb1EEEEDaSW_SX_EUlSW_E_NS1_11comp_targetILNS1_3genE2ELNS1_11target_archE906ELNS1_3gpuE6ELNS1_3repE0EEENS1_30default_config_static_selectorELNS0_4arch9wavefront6targetE0EEEvT1_,comdat
.Lfunc_end1820:
	.size	_ZN7rocprim17ROCPRIM_400000_NS6detail17trampoline_kernelINS0_14default_configENS1_27scan_by_key_config_selectorIifEEZZNS1_16scan_by_key_implILNS1_25lookback_scan_determinismE0ELb1ES3_N6thrust23THRUST_200600_302600_NS6detail15normal_iteratorINS9_10device_ptrIiEEEENSB_INSC_IjEEEESE_fNS9_4plusIvEENS9_8equal_toIvEEfEE10hipError_tPvRmT2_T3_T4_T5_mT6_T7_P12ihipStream_tbENKUlT_T0_E_clISt17integral_constantIbLb0EES10_IbLb1EEEEDaSW_SX_EUlSW_E_NS1_11comp_targetILNS1_3genE2ELNS1_11target_archE906ELNS1_3gpuE6ELNS1_3repE0EEENS1_30default_config_static_selectorELNS0_4arch9wavefront6targetE0EEEvT1_, .Lfunc_end1820-_ZN7rocprim17ROCPRIM_400000_NS6detail17trampoline_kernelINS0_14default_configENS1_27scan_by_key_config_selectorIifEEZZNS1_16scan_by_key_implILNS1_25lookback_scan_determinismE0ELb1ES3_N6thrust23THRUST_200600_302600_NS6detail15normal_iteratorINS9_10device_ptrIiEEEENSB_INSC_IjEEEESE_fNS9_4plusIvEENS9_8equal_toIvEEfEE10hipError_tPvRmT2_T3_T4_T5_mT6_T7_P12ihipStream_tbENKUlT_T0_E_clISt17integral_constantIbLb0EES10_IbLb1EEEEDaSW_SX_EUlSW_E_NS1_11comp_targetILNS1_3genE2ELNS1_11target_archE906ELNS1_3gpuE6ELNS1_3repE0EEENS1_30default_config_static_selectorELNS0_4arch9wavefront6targetE0EEEvT1_
                                        ; -- End function
	.set _ZN7rocprim17ROCPRIM_400000_NS6detail17trampoline_kernelINS0_14default_configENS1_27scan_by_key_config_selectorIifEEZZNS1_16scan_by_key_implILNS1_25lookback_scan_determinismE0ELb1ES3_N6thrust23THRUST_200600_302600_NS6detail15normal_iteratorINS9_10device_ptrIiEEEENSB_INSC_IjEEEESE_fNS9_4plusIvEENS9_8equal_toIvEEfEE10hipError_tPvRmT2_T3_T4_T5_mT6_T7_P12ihipStream_tbENKUlT_T0_E_clISt17integral_constantIbLb0EES10_IbLb1EEEEDaSW_SX_EUlSW_E_NS1_11comp_targetILNS1_3genE2ELNS1_11target_archE906ELNS1_3gpuE6ELNS1_3repE0EEENS1_30default_config_static_selectorELNS0_4arch9wavefront6targetE0EEEvT1_.num_vgpr, 0
	.set _ZN7rocprim17ROCPRIM_400000_NS6detail17trampoline_kernelINS0_14default_configENS1_27scan_by_key_config_selectorIifEEZZNS1_16scan_by_key_implILNS1_25lookback_scan_determinismE0ELb1ES3_N6thrust23THRUST_200600_302600_NS6detail15normal_iteratorINS9_10device_ptrIiEEEENSB_INSC_IjEEEESE_fNS9_4plusIvEENS9_8equal_toIvEEfEE10hipError_tPvRmT2_T3_T4_T5_mT6_T7_P12ihipStream_tbENKUlT_T0_E_clISt17integral_constantIbLb0EES10_IbLb1EEEEDaSW_SX_EUlSW_E_NS1_11comp_targetILNS1_3genE2ELNS1_11target_archE906ELNS1_3gpuE6ELNS1_3repE0EEENS1_30default_config_static_selectorELNS0_4arch9wavefront6targetE0EEEvT1_.num_agpr, 0
	.set _ZN7rocprim17ROCPRIM_400000_NS6detail17trampoline_kernelINS0_14default_configENS1_27scan_by_key_config_selectorIifEEZZNS1_16scan_by_key_implILNS1_25lookback_scan_determinismE0ELb1ES3_N6thrust23THRUST_200600_302600_NS6detail15normal_iteratorINS9_10device_ptrIiEEEENSB_INSC_IjEEEESE_fNS9_4plusIvEENS9_8equal_toIvEEfEE10hipError_tPvRmT2_T3_T4_T5_mT6_T7_P12ihipStream_tbENKUlT_T0_E_clISt17integral_constantIbLb0EES10_IbLb1EEEEDaSW_SX_EUlSW_E_NS1_11comp_targetILNS1_3genE2ELNS1_11target_archE906ELNS1_3gpuE6ELNS1_3repE0EEENS1_30default_config_static_selectorELNS0_4arch9wavefront6targetE0EEEvT1_.numbered_sgpr, 0
	.set _ZN7rocprim17ROCPRIM_400000_NS6detail17trampoline_kernelINS0_14default_configENS1_27scan_by_key_config_selectorIifEEZZNS1_16scan_by_key_implILNS1_25lookback_scan_determinismE0ELb1ES3_N6thrust23THRUST_200600_302600_NS6detail15normal_iteratorINS9_10device_ptrIiEEEENSB_INSC_IjEEEESE_fNS9_4plusIvEENS9_8equal_toIvEEfEE10hipError_tPvRmT2_T3_T4_T5_mT6_T7_P12ihipStream_tbENKUlT_T0_E_clISt17integral_constantIbLb0EES10_IbLb1EEEEDaSW_SX_EUlSW_E_NS1_11comp_targetILNS1_3genE2ELNS1_11target_archE906ELNS1_3gpuE6ELNS1_3repE0EEENS1_30default_config_static_selectorELNS0_4arch9wavefront6targetE0EEEvT1_.num_named_barrier, 0
	.set _ZN7rocprim17ROCPRIM_400000_NS6detail17trampoline_kernelINS0_14default_configENS1_27scan_by_key_config_selectorIifEEZZNS1_16scan_by_key_implILNS1_25lookback_scan_determinismE0ELb1ES3_N6thrust23THRUST_200600_302600_NS6detail15normal_iteratorINS9_10device_ptrIiEEEENSB_INSC_IjEEEESE_fNS9_4plusIvEENS9_8equal_toIvEEfEE10hipError_tPvRmT2_T3_T4_T5_mT6_T7_P12ihipStream_tbENKUlT_T0_E_clISt17integral_constantIbLb0EES10_IbLb1EEEEDaSW_SX_EUlSW_E_NS1_11comp_targetILNS1_3genE2ELNS1_11target_archE906ELNS1_3gpuE6ELNS1_3repE0EEENS1_30default_config_static_selectorELNS0_4arch9wavefront6targetE0EEEvT1_.private_seg_size, 0
	.set _ZN7rocprim17ROCPRIM_400000_NS6detail17trampoline_kernelINS0_14default_configENS1_27scan_by_key_config_selectorIifEEZZNS1_16scan_by_key_implILNS1_25lookback_scan_determinismE0ELb1ES3_N6thrust23THRUST_200600_302600_NS6detail15normal_iteratorINS9_10device_ptrIiEEEENSB_INSC_IjEEEESE_fNS9_4plusIvEENS9_8equal_toIvEEfEE10hipError_tPvRmT2_T3_T4_T5_mT6_T7_P12ihipStream_tbENKUlT_T0_E_clISt17integral_constantIbLb0EES10_IbLb1EEEEDaSW_SX_EUlSW_E_NS1_11comp_targetILNS1_3genE2ELNS1_11target_archE906ELNS1_3gpuE6ELNS1_3repE0EEENS1_30default_config_static_selectorELNS0_4arch9wavefront6targetE0EEEvT1_.uses_vcc, 0
	.set _ZN7rocprim17ROCPRIM_400000_NS6detail17trampoline_kernelINS0_14default_configENS1_27scan_by_key_config_selectorIifEEZZNS1_16scan_by_key_implILNS1_25lookback_scan_determinismE0ELb1ES3_N6thrust23THRUST_200600_302600_NS6detail15normal_iteratorINS9_10device_ptrIiEEEENSB_INSC_IjEEEESE_fNS9_4plusIvEENS9_8equal_toIvEEfEE10hipError_tPvRmT2_T3_T4_T5_mT6_T7_P12ihipStream_tbENKUlT_T0_E_clISt17integral_constantIbLb0EES10_IbLb1EEEEDaSW_SX_EUlSW_E_NS1_11comp_targetILNS1_3genE2ELNS1_11target_archE906ELNS1_3gpuE6ELNS1_3repE0EEENS1_30default_config_static_selectorELNS0_4arch9wavefront6targetE0EEEvT1_.uses_flat_scratch, 0
	.set _ZN7rocprim17ROCPRIM_400000_NS6detail17trampoline_kernelINS0_14default_configENS1_27scan_by_key_config_selectorIifEEZZNS1_16scan_by_key_implILNS1_25lookback_scan_determinismE0ELb1ES3_N6thrust23THRUST_200600_302600_NS6detail15normal_iteratorINS9_10device_ptrIiEEEENSB_INSC_IjEEEESE_fNS9_4plusIvEENS9_8equal_toIvEEfEE10hipError_tPvRmT2_T3_T4_T5_mT6_T7_P12ihipStream_tbENKUlT_T0_E_clISt17integral_constantIbLb0EES10_IbLb1EEEEDaSW_SX_EUlSW_E_NS1_11comp_targetILNS1_3genE2ELNS1_11target_archE906ELNS1_3gpuE6ELNS1_3repE0EEENS1_30default_config_static_selectorELNS0_4arch9wavefront6targetE0EEEvT1_.has_dyn_sized_stack, 0
	.set _ZN7rocprim17ROCPRIM_400000_NS6detail17trampoline_kernelINS0_14default_configENS1_27scan_by_key_config_selectorIifEEZZNS1_16scan_by_key_implILNS1_25lookback_scan_determinismE0ELb1ES3_N6thrust23THRUST_200600_302600_NS6detail15normal_iteratorINS9_10device_ptrIiEEEENSB_INSC_IjEEEESE_fNS9_4plusIvEENS9_8equal_toIvEEfEE10hipError_tPvRmT2_T3_T4_T5_mT6_T7_P12ihipStream_tbENKUlT_T0_E_clISt17integral_constantIbLb0EES10_IbLb1EEEEDaSW_SX_EUlSW_E_NS1_11comp_targetILNS1_3genE2ELNS1_11target_archE906ELNS1_3gpuE6ELNS1_3repE0EEENS1_30default_config_static_selectorELNS0_4arch9wavefront6targetE0EEEvT1_.has_recursion, 0
	.set _ZN7rocprim17ROCPRIM_400000_NS6detail17trampoline_kernelINS0_14default_configENS1_27scan_by_key_config_selectorIifEEZZNS1_16scan_by_key_implILNS1_25lookback_scan_determinismE0ELb1ES3_N6thrust23THRUST_200600_302600_NS6detail15normal_iteratorINS9_10device_ptrIiEEEENSB_INSC_IjEEEESE_fNS9_4plusIvEENS9_8equal_toIvEEfEE10hipError_tPvRmT2_T3_T4_T5_mT6_T7_P12ihipStream_tbENKUlT_T0_E_clISt17integral_constantIbLb0EES10_IbLb1EEEEDaSW_SX_EUlSW_E_NS1_11comp_targetILNS1_3genE2ELNS1_11target_archE906ELNS1_3gpuE6ELNS1_3repE0EEENS1_30default_config_static_selectorELNS0_4arch9wavefront6targetE0EEEvT1_.has_indirect_call, 0
	.section	.AMDGPU.csdata,"",@progbits
; Kernel info:
; codeLenInByte = 0
; TotalNumSgprs: 0
; NumVgprs: 0
; ScratchSize: 0
; MemoryBound: 0
; FloatMode: 240
; IeeeMode: 1
; LDSByteSize: 0 bytes/workgroup (compile time only)
; SGPRBlocks: 0
; VGPRBlocks: 0
; NumSGPRsForWavesPerEU: 1
; NumVGPRsForWavesPerEU: 1
; NamedBarCnt: 0
; Occupancy: 16
; WaveLimiterHint : 0
; COMPUTE_PGM_RSRC2:SCRATCH_EN: 0
; COMPUTE_PGM_RSRC2:USER_SGPR: 2
; COMPUTE_PGM_RSRC2:TRAP_HANDLER: 0
; COMPUTE_PGM_RSRC2:TGID_X_EN: 1
; COMPUTE_PGM_RSRC2:TGID_Y_EN: 0
; COMPUTE_PGM_RSRC2:TGID_Z_EN: 0
; COMPUTE_PGM_RSRC2:TIDIG_COMP_CNT: 0
	.section	.text._ZN7rocprim17ROCPRIM_400000_NS6detail17trampoline_kernelINS0_14default_configENS1_27scan_by_key_config_selectorIifEEZZNS1_16scan_by_key_implILNS1_25lookback_scan_determinismE0ELb1ES3_N6thrust23THRUST_200600_302600_NS6detail15normal_iteratorINS9_10device_ptrIiEEEENSB_INSC_IjEEEESE_fNS9_4plusIvEENS9_8equal_toIvEEfEE10hipError_tPvRmT2_T3_T4_T5_mT6_T7_P12ihipStream_tbENKUlT_T0_E_clISt17integral_constantIbLb0EES10_IbLb1EEEEDaSW_SX_EUlSW_E_NS1_11comp_targetILNS1_3genE10ELNS1_11target_archE1200ELNS1_3gpuE4ELNS1_3repE0EEENS1_30default_config_static_selectorELNS0_4arch9wavefront6targetE0EEEvT1_,"axG",@progbits,_ZN7rocprim17ROCPRIM_400000_NS6detail17trampoline_kernelINS0_14default_configENS1_27scan_by_key_config_selectorIifEEZZNS1_16scan_by_key_implILNS1_25lookback_scan_determinismE0ELb1ES3_N6thrust23THRUST_200600_302600_NS6detail15normal_iteratorINS9_10device_ptrIiEEEENSB_INSC_IjEEEESE_fNS9_4plusIvEENS9_8equal_toIvEEfEE10hipError_tPvRmT2_T3_T4_T5_mT6_T7_P12ihipStream_tbENKUlT_T0_E_clISt17integral_constantIbLb0EES10_IbLb1EEEEDaSW_SX_EUlSW_E_NS1_11comp_targetILNS1_3genE10ELNS1_11target_archE1200ELNS1_3gpuE4ELNS1_3repE0EEENS1_30default_config_static_selectorELNS0_4arch9wavefront6targetE0EEEvT1_,comdat
	.protected	_ZN7rocprim17ROCPRIM_400000_NS6detail17trampoline_kernelINS0_14default_configENS1_27scan_by_key_config_selectorIifEEZZNS1_16scan_by_key_implILNS1_25lookback_scan_determinismE0ELb1ES3_N6thrust23THRUST_200600_302600_NS6detail15normal_iteratorINS9_10device_ptrIiEEEENSB_INSC_IjEEEESE_fNS9_4plusIvEENS9_8equal_toIvEEfEE10hipError_tPvRmT2_T3_T4_T5_mT6_T7_P12ihipStream_tbENKUlT_T0_E_clISt17integral_constantIbLb0EES10_IbLb1EEEEDaSW_SX_EUlSW_E_NS1_11comp_targetILNS1_3genE10ELNS1_11target_archE1200ELNS1_3gpuE4ELNS1_3repE0EEENS1_30default_config_static_selectorELNS0_4arch9wavefront6targetE0EEEvT1_ ; -- Begin function _ZN7rocprim17ROCPRIM_400000_NS6detail17trampoline_kernelINS0_14default_configENS1_27scan_by_key_config_selectorIifEEZZNS1_16scan_by_key_implILNS1_25lookback_scan_determinismE0ELb1ES3_N6thrust23THRUST_200600_302600_NS6detail15normal_iteratorINS9_10device_ptrIiEEEENSB_INSC_IjEEEESE_fNS9_4plusIvEENS9_8equal_toIvEEfEE10hipError_tPvRmT2_T3_T4_T5_mT6_T7_P12ihipStream_tbENKUlT_T0_E_clISt17integral_constantIbLb0EES10_IbLb1EEEEDaSW_SX_EUlSW_E_NS1_11comp_targetILNS1_3genE10ELNS1_11target_archE1200ELNS1_3gpuE4ELNS1_3repE0EEENS1_30default_config_static_selectorELNS0_4arch9wavefront6targetE0EEEvT1_
	.globl	_ZN7rocprim17ROCPRIM_400000_NS6detail17trampoline_kernelINS0_14default_configENS1_27scan_by_key_config_selectorIifEEZZNS1_16scan_by_key_implILNS1_25lookback_scan_determinismE0ELb1ES3_N6thrust23THRUST_200600_302600_NS6detail15normal_iteratorINS9_10device_ptrIiEEEENSB_INSC_IjEEEESE_fNS9_4plusIvEENS9_8equal_toIvEEfEE10hipError_tPvRmT2_T3_T4_T5_mT6_T7_P12ihipStream_tbENKUlT_T0_E_clISt17integral_constantIbLb0EES10_IbLb1EEEEDaSW_SX_EUlSW_E_NS1_11comp_targetILNS1_3genE10ELNS1_11target_archE1200ELNS1_3gpuE4ELNS1_3repE0EEENS1_30default_config_static_selectorELNS0_4arch9wavefront6targetE0EEEvT1_
	.p2align	8
	.type	_ZN7rocprim17ROCPRIM_400000_NS6detail17trampoline_kernelINS0_14default_configENS1_27scan_by_key_config_selectorIifEEZZNS1_16scan_by_key_implILNS1_25lookback_scan_determinismE0ELb1ES3_N6thrust23THRUST_200600_302600_NS6detail15normal_iteratorINS9_10device_ptrIiEEEENSB_INSC_IjEEEESE_fNS9_4plusIvEENS9_8equal_toIvEEfEE10hipError_tPvRmT2_T3_T4_T5_mT6_T7_P12ihipStream_tbENKUlT_T0_E_clISt17integral_constantIbLb0EES10_IbLb1EEEEDaSW_SX_EUlSW_E_NS1_11comp_targetILNS1_3genE10ELNS1_11target_archE1200ELNS1_3gpuE4ELNS1_3repE0EEENS1_30default_config_static_selectorELNS0_4arch9wavefront6targetE0EEEvT1_,@function
_ZN7rocprim17ROCPRIM_400000_NS6detail17trampoline_kernelINS0_14default_configENS1_27scan_by_key_config_selectorIifEEZZNS1_16scan_by_key_implILNS1_25lookback_scan_determinismE0ELb1ES3_N6thrust23THRUST_200600_302600_NS6detail15normal_iteratorINS9_10device_ptrIiEEEENSB_INSC_IjEEEESE_fNS9_4plusIvEENS9_8equal_toIvEEfEE10hipError_tPvRmT2_T3_T4_T5_mT6_T7_P12ihipStream_tbENKUlT_T0_E_clISt17integral_constantIbLb0EES10_IbLb1EEEEDaSW_SX_EUlSW_E_NS1_11comp_targetILNS1_3genE10ELNS1_11target_archE1200ELNS1_3gpuE4ELNS1_3repE0EEENS1_30default_config_static_selectorELNS0_4arch9wavefront6targetE0EEEvT1_: ; @_ZN7rocprim17ROCPRIM_400000_NS6detail17trampoline_kernelINS0_14default_configENS1_27scan_by_key_config_selectorIifEEZZNS1_16scan_by_key_implILNS1_25lookback_scan_determinismE0ELb1ES3_N6thrust23THRUST_200600_302600_NS6detail15normal_iteratorINS9_10device_ptrIiEEEENSB_INSC_IjEEEESE_fNS9_4plusIvEENS9_8equal_toIvEEfEE10hipError_tPvRmT2_T3_T4_T5_mT6_T7_P12ihipStream_tbENKUlT_T0_E_clISt17integral_constantIbLb0EES10_IbLb1EEEEDaSW_SX_EUlSW_E_NS1_11comp_targetILNS1_3genE10ELNS1_11target_archE1200ELNS1_3gpuE4ELNS1_3repE0EEENS1_30default_config_static_selectorELNS0_4arch9wavefront6targetE0EEEvT1_
; %bb.0:
	.section	.rodata,"a",@progbits
	.p2align	6, 0x0
	.amdhsa_kernel _ZN7rocprim17ROCPRIM_400000_NS6detail17trampoline_kernelINS0_14default_configENS1_27scan_by_key_config_selectorIifEEZZNS1_16scan_by_key_implILNS1_25lookback_scan_determinismE0ELb1ES3_N6thrust23THRUST_200600_302600_NS6detail15normal_iteratorINS9_10device_ptrIiEEEENSB_INSC_IjEEEESE_fNS9_4plusIvEENS9_8equal_toIvEEfEE10hipError_tPvRmT2_T3_T4_T5_mT6_T7_P12ihipStream_tbENKUlT_T0_E_clISt17integral_constantIbLb0EES10_IbLb1EEEEDaSW_SX_EUlSW_E_NS1_11comp_targetILNS1_3genE10ELNS1_11target_archE1200ELNS1_3gpuE4ELNS1_3repE0EEENS1_30default_config_static_selectorELNS0_4arch9wavefront6targetE0EEEvT1_
		.amdhsa_group_segment_fixed_size 0
		.amdhsa_private_segment_fixed_size 0
		.amdhsa_kernarg_size 112
		.amdhsa_user_sgpr_count 2
		.amdhsa_user_sgpr_dispatch_ptr 0
		.amdhsa_user_sgpr_queue_ptr 0
		.amdhsa_user_sgpr_kernarg_segment_ptr 1
		.amdhsa_user_sgpr_dispatch_id 0
		.amdhsa_user_sgpr_kernarg_preload_length 0
		.amdhsa_user_sgpr_kernarg_preload_offset 0
		.amdhsa_user_sgpr_private_segment_size 0
		.amdhsa_wavefront_size32 1
		.amdhsa_uses_dynamic_stack 0
		.amdhsa_enable_private_segment 0
		.amdhsa_system_sgpr_workgroup_id_x 1
		.amdhsa_system_sgpr_workgroup_id_y 0
		.amdhsa_system_sgpr_workgroup_id_z 0
		.amdhsa_system_sgpr_workgroup_info 0
		.amdhsa_system_vgpr_workitem_id 0
		.amdhsa_next_free_vgpr 1
		.amdhsa_next_free_sgpr 1
		.amdhsa_named_barrier_count 0
		.amdhsa_reserve_vcc 0
		.amdhsa_float_round_mode_32 0
		.amdhsa_float_round_mode_16_64 0
		.amdhsa_float_denorm_mode_32 3
		.amdhsa_float_denorm_mode_16_64 3
		.amdhsa_fp16_overflow 0
		.amdhsa_memory_ordered 1
		.amdhsa_forward_progress 1
		.amdhsa_inst_pref_size 0
		.amdhsa_round_robin_scheduling 0
		.amdhsa_exception_fp_ieee_invalid_op 0
		.amdhsa_exception_fp_denorm_src 0
		.amdhsa_exception_fp_ieee_div_zero 0
		.amdhsa_exception_fp_ieee_overflow 0
		.amdhsa_exception_fp_ieee_underflow 0
		.amdhsa_exception_fp_ieee_inexact 0
		.amdhsa_exception_int_div_zero 0
	.end_amdhsa_kernel
	.section	.text._ZN7rocprim17ROCPRIM_400000_NS6detail17trampoline_kernelINS0_14default_configENS1_27scan_by_key_config_selectorIifEEZZNS1_16scan_by_key_implILNS1_25lookback_scan_determinismE0ELb1ES3_N6thrust23THRUST_200600_302600_NS6detail15normal_iteratorINS9_10device_ptrIiEEEENSB_INSC_IjEEEESE_fNS9_4plusIvEENS9_8equal_toIvEEfEE10hipError_tPvRmT2_T3_T4_T5_mT6_T7_P12ihipStream_tbENKUlT_T0_E_clISt17integral_constantIbLb0EES10_IbLb1EEEEDaSW_SX_EUlSW_E_NS1_11comp_targetILNS1_3genE10ELNS1_11target_archE1200ELNS1_3gpuE4ELNS1_3repE0EEENS1_30default_config_static_selectorELNS0_4arch9wavefront6targetE0EEEvT1_,"axG",@progbits,_ZN7rocprim17ROCPRIM_400000_NS6detail17trampoline_kernelINS0_14default_configENS1_27scan_by_key_config_selectorIifEEZZNS1_16scan_by_key_implILNS1_25lookback_scan_determinismE0ELb1ES3_N6thrust23THRUST_200600_302600_NS6detail15normal_iteratorINS9_10device_ptrIiEEEENSB_INSC_IjEEEESE_fNS9_4plusIvEENS9_8equal_toIvEEfEE10hipError_tPvRmT2_T3_T4_T5_mT6_T7_P12ihipStream_tbENKUlT_T0_E_clISt17integral_constantIbLb0EES10_IbLb1EEEEDaSW_SX_EUlSW_E_NS1_11comp_targetILNS1_3genE10ELNS1_11target_archE1200ELNS1_3gpuE4ELNS1_3repE0EEENS1_30default_config_static_selectorELNS0_4arch9wavefront6targetE0EEEvT1_,comdat
.Lfunc_end1821:
	.size	_ZN7rocprim17ROCPRIM_400000_NS6detail17trampoline_kernelINS0_14default_configENS1_27scan_by_key_config_selectorIifEEZZNS1_16scan_by_key_implILNS1_25lookback_scan_determinismE0ELb1ES3_N6thrust23THRUST_200600_302600_NS6detail15normal_iteratorINS9_10device_ptrIiEEEENSB_INSC_IjEEEESE_fNS9_4plusIvEENS9_8equal_toIvEEfEE10hipError_tPvRmT2_T3_T4_T5_mT6_T7_P12ihipStream_tbENKUlT_T0_E_clISt17integral_constantIbLb0EES10_IbLb1EEEEDaSW_SX_EUlSW_E_NS1_11comp_targetILNS1_3genE10ELNS1_11target_archE1200ELNS1_3gpuE4ELNS1_3repE0EEENS1_30default_config_static_selectorELNS0_4arch9wavefront6targetE0EEEvT1_, .Lfunc_end1821-_ZN7rocprim17ROCPRIM_400000_NS6detail17trampoline_kernelINS0_14default_configENS1_27scan_by_key_config_selectorIifEEZZNS1_16scan_by_key_implILNS1_25lookback_scan_determinismE0ELb1ES3_N6thrust23THRUST_200600_302600_NS6detail15normal_iteratorINS9_10device_ptrIiEEEENSB_INSC_IjEEEESE_fNS9_4plusIvEENS9_8equal_toIvEEfEE10hipError_tPvRmT2_T3_T4_T5_mT6_T7_P12ihipStream_tbENKUlT_T0_E_clISt17integral_constantIbLb0EES10_IbLb1EEEEDaSW_SX_EUlSW_E_NS1_11comp_targetILNS1_3genE10ELNS1_11target_archE1200ELNS1_3gpuE4ELNS1_3repE0EEENS1_30default_config_static_selectorELNS0_4arch9wavefront6targetE0EEEvT1_
                                        ; -- End function
	.set _ZN7rocprim17ROCPRIM_400000_NS6detail17trampoline_kernelINS0_14default_configENS1_27scan_by_key_config_selectorIifEEZZNS1_16scan_by_key_implILNS1_25lookback_scan_determinismE0ELb1ES3_N6thrust23THRUST_200600_302600_NS6detail15normal_iteratorINS9_10device_ptrIiEEEENSB_INSC_IjEEEESE_fNS9_4plusIvEENS9_8equal_toIvEEfEE10hipError_tPvRmT2_T3_T4_T5_mT6_T7_P12ihipStream_tbENKUlT_T0_E_clISt17integral_constantIbLb0EES10_IbLb1EEEEDaSW_SX_EUlSW_E_NS1_11comp_targetILNS1_3genE10ELNS1_11target_archE1200ELNS1_3gpuE4ELNS1_3repE0EEENS1_30default_config_static_selectorELNS0_4arch9wavefront6targetE0EEEvT1_.num_vgpr, 0
	.set _ZN7rocprim17ROCPRIM_400000_NS6detail17trampoline_kernelINS0_14default_configENS1_27scan_by_key_config_selectorIifEEZZNS1_16scan_by_key_implILNS1_25lookback_scan_determinismE0ELb1ES3_N6thrust23THRUST_200600_302600_NS6detail15normal_iteratorINS9_10device_ptrIiEEEENSB_INSC_IjEEEESE_fNS9_4plusIvEENS9_8equal_toIvEEfEE10hipError_tPvRmT2_T3_T4_T5_mT6_T7_P12ihipStream_tbENKUlT_T0_E_clISt17integral_constantIbLb0EES10_IbLb1EEEEDaSW_SX_EUlSW_E_NS1_11comp_targetILNS1_3genE10ELNS1_11target_archE1200ELNS1_3gpuE4ELNS1_3repE0EEENS1_30default_config_static_selectorELNS0_4arch9wavefront6targetE0EEEvT1_.num_agpr, 0
	.set _ZN7rocprim17ROCPRIM_400000_NS6detail17trampoline_kernelINS0_14default_configENS1_27scan_by_key_config_selectorIifEEZZNS1_16scan_by_key_implILNS1_25lookback_scan_determinismE0ELb1ES3_N6thrust23THRUST_200600_302600_NS6detail15normal_iteratorINS9_10device_ptrIiEEEENSB_INSC_IjEEEESE_fNS9_4plusIvEENS9_8equal_toIvEEfEE10hipError_tPvRmT2_T3_T4_T5_mT6_T7_P12ihipStream_tbENKUlT_T0_E_clISt17integral_constantIbLb0EES10_IbLb1EEEEDaSW_SX_EUlSW_E_NS1_11comp_targetILNS1_3genE10ELNS1_11target_archE1200ELNS1_3gpuE4ELNS1_3repE0EEENS1_30default_config_static_selectorELNS0_4arch9wavefront6targetE0EEEvT1_.numbered_sgpr, 0
	.set _ZN7rocprim17ROCPRIM_400000_NS6detail17trampoline_kernelINS0_14default_configENS1_27scan_by_key_config_selectorIifEEZZNS1_16scan_by_key_implILNS1_25lookback_scan_determinismE0ELb1ES3_N6thrust23THRUST_200600_302600_NS6detail15normal_iteratorINS9_10device_ptrIiEEEENSB_INSC_IjEEEESE_fNS9_4plusIvEENS9_8equal_toIvEEfEE10hipError_tPvRmT2_T3_T4_T5_mT6_T7_P12ihipStream_tbENKUlT_T0_E_clISt17integral_constantIbLb0EES10_IbLb1EEEEDaSW_SX_EUlSW_E_NS1_11comp_targetILNS1_3genE10ELNS1_11target_archE1200ELNS1_3gpuE4ELNS1_3repE0EEENS1_30default_config_static_selectorELNS0_4arch9wavefront6targetE0EEEvT1_.num_named_barrier, 0
	.set _ZN7rocprim17ROCPRIM_400000_NS6detail17trampoline_kernelINS0_14default_configENS1_27scan_by_key_config_selectorIifEEZZNS1_16scan_by_key_implILNS1_25lookback_scan_determinismE0ELb1ES3_N6thrust23THRUST_200600_302600_NS6detail15normal_iteratorINS9_10device_ptrIiEEEENSB_INSC_IjEEEESE_fNS9_4plusIvEENS9_8equal_toIvEEfEE10hipError_tPvRmT2_T3_T4_T5_mT6_T7_P12ihipStream_tbENKUlT_T0_E_clISt17integral_constantIbLb0EES10_IbLb1EEEEDaSW_SX_EUlSW_E_NS1_11comp_targetILNS1_3genE10ELNS1_11target_archE1200ELNS1_3gpuE4ELNS1_3repE0EEENS1_30default_config_static_selectorELNS0_4arch9wavefront6targetE0EEEvT1_.private_seg_size, 0
	.set _ZN7rocprim17ROCPRIM_400000_NS6detail17trampoline_kernelINS0_14default_configENS1_27scan_by_key_config_selectorIifEEZZNS1_16scan_by_key_implILNS1_25lookback_scan_determinismE0ELb1ES3_N6thrust23THRUST_200600_302600_NS6detail15normal_iteratorINS9_10device_ptrIiEEEENSB_INSC_IjEEEESE_fNS9_4plusIvEENS9_8equal_toIvEEfEE10hipError_tPvRmT2_T3_T4_T5_mT6_T7_P12ihipStream_tbENKUlT_T0_E_clISt17integral_constantIbLb0EES10_IbLb1EEEEDaSW_SX_EUlSW_E_NS1_11comp_targetILNS1_3genE10ELNS1_11target_archE1200ELNS1_3gpuE4ELNS1_3repE0EEENS1_30default_config_static_selectorELNS0_4arch9wavefront6targetE0EEEvT1_.uses_vcc, 0
	.set _ZN7rocprim17ROCPRIM_400000_NS6detail17trampoline_kernelINS0_14default_configENS1_27scan_by_key_config_selectorIifEEZZNS1_16scan_by_key_implILNS1_25lookback_scan_determinismE0ELb1ES3_N6thrust23THRUST_200600_302600_NS6detail15normal_iteratorINS9_10device_ptrIiEEEENSB_INSC_IjEEEESE_fNS9_4plusIvEENS9_8equal_toIvEEfEE10hipError_tPvRmT2_T3_T4_T5_mT6_T7_P12ihipStream_tbENKUlT_T0_E_clISt17integral_constantIbLb0EES10_IbLb1EEEEDaSW_SX_EUlSW_E_NS1_11comp_targetILNS1_3genE10ELNS1_11target_archE1200ELNS1_3gpuE4ELNS1_3repE0EEENS1_30default_config_static_selectorELNS0_4arch9wavefront6targetE0EEEvT1_.uses_flat_scratch, 0
	.set _ZN7rocprim17ROCPRIM_400000_NS6detail17trampoline_kernelINS0_14default_configENS1_27scan_by_key_config_selectorIifEEZZNS1_16scan_by_key_implILNS1_25lookback_scan_determinismE0ELb1ES3_N6thrust23THRUST_200600_302600_NS6detail15normal_iteratorINS9_10device_ptrIiEEEENSB_INSC_IjEEEESE_fNS9_4plusIvEENS9_8equal_toIvEEfEE10hipError_tPvRmT2_T3_T4_T5_mT6_T7_P12ihipStream_tbENKUlT_T0_E_clISt17integral_constantIbLb0EES10_IbLb1EEEEDaSW_SX_EUlSW_E_NS1_11comp_targetILNS1_3genE10ELNS1_11target_archE1200ELNS1_3gpuE4ELNS1_3repE0EEENS1_30default_config_static_selectorELNS0_4arch9wavefront6targetE0EEEvT1_.has_dyn_sized_stack, 0
	.set _ZN7rocprim17ROCPRIM_400000_NS6detail17trampoline_kernelINS0_14default_configENS1_27scan_by_key_config_selectorIifEEZZNS1_16scan_by_key_implILNS1_25lookback_scan_determinismE0ELb1ES3_N6thrust23THRUST_200600_302600_NS6detail15normal_iteratorINS9_10device_ptrIiEEEENSB_INSC_IjEEEESE_fNS9_4plusIvEENS9_8equal_toIvEEfEE10hipError_tPvRmT2_T3_T4_T5_mT6_T7_P12ihipStream_tbENKUlT_T0_E_clISt17integral_constantIbLb0EES10_IbLb1EEEEDaSW_SX_EUlSW_E_NS1_11comp_targetILNS1_3genE10ELNS1_11target_archE1200ELNS1_3gpuE4ELNS1_3repE0EEENS1_30default_config_static_selectorELNS0_4arch9wavefront6targetE0EEEvT1_.has_recursion, 0
	.set _ZN7rocprim17ROCPRIM_400000_NS6detail17trampoline_kernelINS0_14default_configENS1_27scan_by_key_config_selectorIifEEZZNS1_16scan_by_key_implILNS1_25lookback_scan_determinismE0ELb1ES3_N6thrust23THRUST_200600_302600_NS6detail15normal_iteratorINS9_10device_ptrIiEEEENSB_INSC_IjEEEESE_fNS9_4plusIvEENS9_8equal_toIvEEfEE10hipError_tPvRmT2_T3_T4_T5_mT6_T7_P12ihipStream_tbENKUlT_T0_E_clISt17integral_constantIbLb0EES10_IbLb1EEEEDaSW_SX_EUlSW_E_NS1_11comp_targetILNS1_3genE10ELNS1_11target_archE1200ELNS1_3gpuE4ELNS1_3repE0EEENS1_30default_config_static_selectorELNS0_4arch9wavefront6targetE0EEEvT1_.has_indirect_call, 0
	.section	.AMDGPU.csdata,"",@progbits
; Kernel info:
; codeLenInByte = 0
; TotalNumSgprs: 0
; NumVgprs: 0
; ScratchSize: 0
; MemoryBound: 0
; FloatMode: 240
; IeeeMode: 1
; LDSByteSize: 0 bytes/workgroup (compile time only)
; SGPRBlocks: 0
; VGPRBlocks: 0
; NumSGPRsForWavesPerEU: 1
; NumVGPRsForWavesPerEU: 1
; NamedBarCnt: 0
; Occupancy: 16
; WaveLimiterHint : 0
; COMPUTE_PGM_RSRC2:SCRATCH_EN: 0
; COMPUTE_PGM_RSRC2:USER_SGPR: 2
; COMPUTE_PGM_RSRC2:TRAP_HANDLER: 0
; COMPUTE_PGM_RSRC2:TGID_X_EN: 1
; COMPUTE_PGM_RSRC2:TGID_Y_EN: 0
; COMPUTE_PGM_RSRC2:TGID_Z_EN: 0
; COMPUTE_PGM_RSRC2:TIDIG_COMP_CNT: 0
	.section	.text._ZN7rocprim17ROCPRIM_400000_NS6detail17trampoline_kernelINS0_14default_configENS1_27scan_by_key_config_selectorIifEEZZNS1_16scan_by_key_implILNS1_25lookback_scan_determinismE0ELb1ES3_N6thrust23THRUST_200600_302600_NS6detail15normal_iteratorINS9_10device_ptrIiEEEENSB_INSC_IjEEEESE_fNS9_4plusIvEENS9_8equal_toIvEEfEE10hipError_tPvRmT2_T3_T4_T5_mT6_T7_P12ihipStream_tbENKUlT_T0_E_clISt17integral_constantIbLb0EES10_IbLb1EEEEDaSW_SX_EUlSW_E_NS1_11comp_targetILNS1_3genE9ELNS1_11target_archE1100ELNS1_3gpuE3ELNS1_3repE0EEENS1_30default_config_static_selectorELNS0_4arch9wavefront6targetE0EEEvT1_,"axG",@progbits,_ZN7rocprim17ROCPRIM_400000_NS6detail17trampoline_kernelINS0_14default_configENS1_27scan_by_key_config_selectorIifEEZZNS1_16scan_by_key_implILNS1_25lookback_scan_determinismE0ELb1ES3_N6thrust23THRUST_200600_302600_NS6detail15normal_iteratorINS9_10device_ptrIiEEEENSB_INSC_IjEEEESE_fNS9_4plusIvEENS9_8equal_toIvEEfEE10hipError_tPvRmT2_T3_T4_T5_mT6_T7_P12ihipStream_tbENKUlT_T0_E_clISt17integral_constantIbLb0EES10_IbLb1EEEEDaSW_SX_EUlSW_E_NS1_11comp_targetILNS1_3genE9ELNS1_11target_archE1100ELNS1_3gpuE3ELNS1_3repE0EEENS1_30default_config_static_selectorELNS0_4arch9wavefront6targetE0EEEvT1_,comdat
	.protected	_ZN7rocprim17ROCPRIM_400000_NS6detail17trampoline_kernelINS0_14default_configENS1_27scan_by_key_config_selectorIifEEZZNS1_16scan_by_key_implILNS1_25lookback_scan_determinismE0ELb1ES3_N6thrust23THRUST_200600_302600_NS6detail15normal_iteratorINS9_10device_ptrIiEEEENSB_INSC_IjEEEESE_fNS9_4plusIvEENS9_8equal_toIvEEfEE10hipError_tPvRmT2_T3_T4_T5_mT6_T7_P12ihipStream_tbENKUlT_T0_E_clISt17integral_constantIbLb0EES10_IbLb1EEEEDaSW_SX_EUlSW_E_NS1_11comp_targetILNS1_3genE9ELNS1_11target_archE1100ELNS1_3gpuE3ELNS1_3repE0EEENS1_30default_config_static_selectorELNS0_4arch9wavefront6targetE0EEEvT1_ ; -- Begin function _ZN7rocprim17ROCPRIM_400000_NS6detail17trampoline_kernelINS0_14default_configENS1_27scan_by_key_config_selectorIifEEZZNS1_16scan_by_key_implILNS1_25lookback_scan_determinismE0ELb1ES3_N6thrust23THRUST_200600_302600_NS6detail15normal_iteratorINS9_10device_ptrIiEEEENSB_INSC_IjEEEESE_fNS9_4plusIvEENS9_8equal_toIvEEfEE10hipError_tPvRmT2_T3_T4_T5_mT6_T7_P12ihipStream_tbENKUlT_T0_E_clISt17integral_constantIbLb0EES10_IbLb1EEEEDaSW_SX_EUlSW_E_NS1_11comp_targetILNS1_3genE9ELNS1_11target_archE1100ELNS1_3gpuE3ELNS1_3repE0EEENS1_30default_config_static_selectorELNS0_4arch9wavefront6targetE0EEEvT1_
	.globl	_ZN7rocprim17ROCPRIM_400000_NS6detail17trampoline_kernelINS0_14default_configENS1_27scan_by_key_config_selectorIifEEZZNS1_16scan_by_key_implILNS1_25lookback_scan_determinismE0ELb1ES3_N6thrust23THRUST_200600_302600_NS6detail15normal_iteratorINS9_10device_ptrIiEEEENSB_INSC_IjEEEESE_fNS9_4plusIvEENS9_8equal_toIvEEfEE10hipError_tPvRmT2_T3_T4_T5_mT6_T7_P12ihipStream_tbENKUlT_T0_E_clISt17integral_constantIbLb0EES10_IbLb1EEEEDaSW_SX_EUlSW_E_NS1_11comp_targetILNS1_3genE9ELNS1_11target_archE1100ELNS1_3gpuE3ELNS1_3repE0EEENS1_30default_config_static_selectorELNS0_4arch9wavefront6targetE0EEEvT1_
	.p2align	8
	.type	_ZN7rocprim17ROCPRIM_400000_NS6detail17trampoline_kernelINS0_14default_configENS1_27scan_by_key_config_selectorIifEEZZNS1_16scan_by_key_implILNS1_25lookback_scan_determinismE0ELb1ES3_N6thrust23THRUST_200600_302600_NS6detail15normal_iteratorINS9_10device_ptrIiEEEENSB_INSC_IjEEEESE_fNS9_4plusIvEENS9_8equal_toIvEEfEE10hipError_tPvRmT2_T3_T4_T5_mT6_T7_P12ihipStream_tbENKUlT_T0_E_clISt17integral_constantIbLb0EES10_IbLb1EEEEDaSW_SX_EUlSW_E_NS1_11comp_targetILNS1_3genE9ELNS1_11target_archE1100ELNS1_3gpuE3ELNS1_3repE0EEENS1_30default_config_static_selectorELNS0_4arch9wavefront6targetE0EEEvT1_,@function
_ZN7rocprim17ROCPRIM_400000_NS6detail17trampoline_kernelINS0_14default_configENS1_27scan_by_key_config_selectorIifEEZZNS1_16scan_by_key_implILNS1_25lookback_scan_determinismE0ELb1ES3_N6thrust23THRUST_200600_302600_NS6detail15normal_iteratorINS9_10device_ptrIiEEEENSB_INSC_IjEEEESE_fNS9_4plusIvEENS9_8equal_toIvEEfEE10hipError_tPvRmT2_T3_T4_T5_mT6_T7_P12ihipStream_tbENKUlT_T0_E_clISt17integral_constantIbLb0EES10_IbLb1EEEEDaSW_SX_EUlSW_E_NS1_11comp_targetILNS1_3genE9ELNS1_11target_archE1100ELNS1_3gpuE3ELNS1_3repE0EEENS1_30default_config_static_selectorELNS0_4arch9wavefront6targetE0EEEvT1_: ; @_ZN7rocprim17ROCPRIM_400000_NS6detail17trampoline_kernelINS0_14default_configENS1_27scan_by_key_config_selectorIifEEZZNS1_16scan_by_key_implILNS1_25lookback_scan_determinismE0ELb1ES3_N6thrust23THRUST_200600_302600_NS6detail15normal_iteratorINS9_10device_ptrIiEEEENSB_INSC_IjEEEESE_fNS9_4plusIvEENS9_8equal_toIvEEfEE10hipError_tPvRmT2_T3_T4_T5_mT6_T7_P12ihipStream_tbENKUlT_T0_E_clISt17integral_constantIbLb0EES10_IbLb1EEEEDaSW_SX_EUlSW_E_NS1_11comp_targetILNS1_3genE9ELNS1_11target_archE1100ELNS1_3gpuE3ELNS1_3repE0EEENS1_30default_config_static_selectorELNS0_4arch9wavefront6targetE0EEEvT1_
; %bb.0:
	.section	.rodata,"a",@progbits
	.p2align	6, 0x0
	.amdhsa_kernel _ZN7rocprim17ROCPRIM_400000_NS6detail17trampoline_kernelINS0_14default_configENS1_27scan_by_key_config_selectorIifEEZZNS1_16scan_by_key_implILNS1_25lookback_scan_determinismE0ELb1ES3_N6thrust23THRUST_200600_302600_NS6detail15normal_iteratorINS9_10device_ptrIiEEEENSB_INSC_IjEEEESE_fNS9_4plusIvEENS9_8equal_toIvEEfEE10hipError_tPvRmT2_T3_T4_T5_mT6_T7_P12ihipStream_tbENKUlT_T0_E_clISt17integral_constantIbLb0EES10_IbLb1EEEEDaSW_SX_EUlSW_E_NS1_11comp_targetILNS1_3genE9ELNS1_11target_archE1100ELNS1_3gpuE3ELNS1_3repE0EEENS1_30default_config_static_selectorELNS0_4arch9wavefront6targetE0EEEvT1_
		.amdhsa_group_segment_fixed_size 0
		.amdhsa_private_segment_fixed_size 0
		.amdhsa_kernarg_size 112
		.amdhsa_user_sgpr_count 2
		.amdhsa_user_sgpr_dispatch_ptr 0
		.amdhsa_user_sgpr_queue_ptr 0
		.amdhsa_user_sgpr_kernarg_segment_ptr 1
		.amdhsa_user_sgpr_dispatch_id 0
		.amdhsa_user_sgpr_kernarg_preload_length 0
		.amdhsa_user_sgpr_kernarg_preload_offset 0
		.amdhsa_user_sgpr_private_segment_size 0
		.amdhsa_wavefront_size32 1
		.amdhsa_uses_dynamic_stack 0
		.amdhsa_enable_private_segment 0
		.amdhsa_system_sgpr_workgroup_id_x 1
		.amdhsa_system_sgpr_workgroup_id_y 0
		.amdhsa_system_sgpr_workgroup_id_z 0
		.amdhsa_system_sgpr_workgroup_info 0
		.amdhsa_system_vgpr_workitem_id 0
		.amdhsa_next_free_vgpr 1
		.amdhsa_next_free_sgpr 1
		.amdhsa_named_barrier_count 0
		.amdhsa_reserve_vcc 0
		.amdhsa_float_round_mode_32 0
		.amdhsa_float_round_mode_16_64 0
		.amdhsa_float_denorm_mode_32 3
		.amdhsa_float_denorm_mode_16_64 3
		.amdhsa_fp16_overflow 0
		.amdhsa_memory_ordered 1
		.amdhsa_forward_progress 1
		.amdhsa_inst_pref_size 0
		.amdhsa_round_robin_scheduling 0
		.amdhsa_exception_fp_ieee_invalid_op 0
		.amdhsa_exception_fp_denorm_src 0
		.amdhsa_exception_fp_ieee_div_zero 0
		.amdhsa_exception_fp_ieee_overflow 0
		.amdhsa_exception_fp_ieee_underflow 0
		.amdhsa_exception_fp_ieee_inexact 0
		.amdhsa_exception_int_div_zero 0
	.end_amdhsa_kernel
	.section	.text._ZN7rocprim17ROCPRIM_400000_NS6detail17trampoline_kernelINS0_14default_configENS1_27scan_by_key_config_selectorIifEEZZNS1_16scan_by_key_implILNS1_25lookback_scan_determinismE0ELb1ES3_N6thrust23THRUST_200600_302600_NS6detail15normal_iteratorINS9_10device_ptrIiEEEENSB_INSC_IjEEEESE_fNS9_4plusIvEENS9_8equal_toIvEEfEE10hipError_tPvRmT2_T3_T4_T5_mT6_T7_P12ihipStream_tbENKUlT_T0_E_clISt17integral_constantIbLb0EES10_IbLb1EEEEDaSW_SX_EUlSW_E_NS1_11comp_targetILNS1_3genE9ELNS1_11target_archE1100ELNS1_3gpuE3ELNS1_3repE0EEENS1_30default_config_static_selectorELNS0_4arch9wavefront6targetE0EEEvT1_,"axG",@progbits,_ZN7rocprim17ROCPRIM_400000_NS6detail17trampoline_kernelINS0_14default_configENS1_27scan_by_key_config_selectorIifEEZZNS1_16scan_by_key_implILNS1_25lookback_scan_determinismE0ELb1ES3_N6thrust23THRUST_200600_302600_NS6detail15normal_iteratorINS9_10device_ptrIiEEEENSB_INSC_IjEEEESE_fNS9_4plusIvEENS9_8equal_toIvEEfEE10hipError_tPvRmT2_T3_T4_T5_mT6_T7_P12ihipStream_tbENKUlT_T0_E_clISt17integral_constantIbLb0EES10_IbLb1EEEEDaSW_SX_EUlSW_E_NS1_11comp_targetILNS1_3genE9ELNS1_11target_archE1100ELNS1_3gpuE3ELNS1_3repE0EEENS1_30default_config_static_selectorELNS0_4arch9wavefront6targetE0EEEvT1_,comdat
.Lfunc_end1822:
	.size	_ZN7rocprim17ROCPRIM_400000_NS6detail17trampoline_kernelINS0_14default_configENS1_27scan_by_key_config_selectorIifEEZZNS1_16scan_by_key_implILNS1_25lookback_scan_determinismE0ELb1ES3_N6thrust23THRUST_200600_302600_NS6detail15normal_iteratorINS9_10device_ptrIiEEEENSB_INSC_IjEEEESE_fNS9_4plusIvEENS9_8equal_toIvEEfEE10hipError_tPvRmT2_T3_T4_T5_mT6_T7_P12ihipStream_tbENKUlT_T0_E_clISt17integral_constantIbLb0EES10_IbLb1EEEEDaSW_SX_EUlSW_E_NS1_11comp_targetILNS1_3genE9ELNS1_11target_archE1100ELNS1_3gpuE3ELNS1_3repE0EEENS1_30default_config_static_selectorELNS0_4arch9wavefront6targetE0EEEvT1_, .Lfunc_end1822-_ZN7rocprim17ROCPRIM_400000_NS6detail17trampoline_kernelINS0_14default_configENS1_27scan_by_key_config_selectorIifEEZZNS1_16scan_by_key_implILNS1_25lookback_scan_determinismE0ELb1ES3_N6thrust23THRUST_200600_302600_NS6detail15normal_iteratorINS9_10device_ptrIiEEEENSB_INSC_IjEEEESE_fNS9_4plusIvEENS9_8equal_toIvEEfEE10hipError_tPvRmT2_T3_T4_T5_mT6_T7_P12ihipStream_tbENKUlT_T0_E_clISt17integral_constantIbLb0EES10_IbLb1EEEEDaSW_SX_EUlSW_E_NS1_11comp_targetILNS1_3genE9ELNS1_11target_archE1100ELNS1_3gpuE3ELNS1_3repE0EEENS1_30default_config_static_selectorELNS0_4arch9wavefront6targetE0EEEvT1_
                                        ; -- End function
	.set _ZN7rocprim17ROCPRIM_400000_NS6detail17trampoline_kernelINS0_14default_configENS1_27scan_by_key_config_selectorIifEEZZNS1_16scan_by_key_implILNS1_25lookback_scan_determinismE0ELb1ES3_N6thrust23THRUST_200600_302600_NS6detail15normal_iteratorINS9_10device_ptrIiEEEENSB_INSC_IjEEEESE_fNS9_4plusIvEENS9_8equal_toIvEEfEE10hipError_tPvRmT2_T3_T4_T5_mT6_T7_P12ihipStream_tbENKUlT_T0_E_clISt17integral_constantIbLb0EES10_IbLb1EEEEDaSW_SX_EUlSW_E_NS1_11comp_targetILNS1_3genE9ELNS1_11target_archE1100ELNS1_3gpuE3ELNS1_3repE0EEENS1_30default_config_static_selectorELNS0_4arch9wavefront6targetE0EEEvT1_.num_vgpr, 0
	.set _ZN7rocprim17ROCPRIM_400000_NS6detail17trampoline_kernelINS0_14default_configENS1_27scan_by_key_config_selectorIifEEZZNS1_16scan_by_key_implILNS1_25lookback_scan_determinismE0ELb1ES3_N6thrust23THRUST_200600_302600_NS6detail15normal_iteratorINS9_10device_ptrIiEEEENSB_INSC_IjEEEESE_fNS9_4plusIvEENS9_8equal_toIvEEfEE10hipError_tPvRmT2_T3_T4_T5_mT6_T7_P12ihipStream_tbENKUlT_T0_E_clISt17integral_constantIbLb0EES10_IbLb1EEEEDaSW_SX_EUlSW_E_NS1_11comp_targetILNS1_3genE9ELNS1_11target_archE1100ELNS1_3gpuE3ELNS1_3repE0EEENS1_30default_config_static_selectorELNS0_4arch9wavefront6targetE0EEEvT1_.num_agpr, 0
	.set _ZN7rocprim17ROCPRIM_400000_NS6detail17trampoline_kernelINS0_14default_configENS1_27scan_by_key_config_selectorIifEEZZNS1_16scan_by_key_implILNS1_25lookback_scan_determinismE0ELb1ES3_N6thrust23THRUST_200600_302600_NS6detail15normal_iteratorINS9_10device_ptrIiEEEENSB_INSC_IjEEEESE_fNS9_4plusIvEENS9_8equal_toIvEEfEE10hipError_tPvRmT2_T3_T4_T5_mT6_T7_P12ihipStream_tbENKUlT_T0_E_clISt17integral_constantIbLb0EES10_IbLb1EEEEDaSW_SX_EUlSW_E_NS1_11comp_targetILNS1_3genE9ELNS1_11target_archE1100ELNS1_3gpuE3ELNS1_3repE0EEENS1_30default_config_static_selectorELNS0_4arch9wavefront6targetE0EEEvT1_.numbered_sgpr, 0
	.set _ZN7rocprim17ROCPRIM_400000_NS6detail17trampoline_kernelINS0_14default_configENS1_27scan_by_key_config_selectorIifEEZZNS1_16scan_by_key_implILNS1_25lookback_scan_determinismE0ELb1ES3_N6thrust23THRUST_200600_302600_NS6detail15normal_iteratorINS9_10device_ptrIiEEEENSB_INSC_IjEEEESE_fNS9_4plusIvEENS9_8equal_toIvEEfEE10hipError_tPvRmT2_T3_T4_T5_mT6_T7_P12ihipStream_tbENKUlT_T0_E_clISt17integral_constantIbLb0EES10_IbLb1EEEEDaSW_SX_EUlSW_E_NS1_11comp_targetILNS1_3genE9ELNS1_11target_archE1100ELNS1_3gpuE3ELNS1_3repE0EEENS1_30default_config_static_selectorELNS0_4arch9wavefront6targetE0EEEvT1_.num_named_barrier, 0
	.set _ZN7rocprim17ROCPRIM_400000_NS6detail17trampoline_kernelINS0_14default_configENS1_27scan_by_key_config_selectorIifEEZZNS1_16scan_by_key_implILNS1_25lookback_scan_determinismE0ELb1ES3_N6thrust23THRUST_200600_302600_NS6detail15normal_iteratorINS9_10device_ptrIiEEEENSB_INSC_IjEEEESE_fNS9_4plusIvEENS9_8equal_toIvEEfEE10hipError_tPvRmT2_T3_T4_T5_mT6_T7_P12ihipStream_tbENKUlT_T0_E_clISt17integral_constantIbLb0EES10_IbLb1EEEEDaSW_SX_EUlSW_E_NS1_11comp_targetILNS1_3genE9ELNS1_11target_archE1100ELNS1_3gpuE3ELNS1_3repE0EEENS1_30default_config_static_selectorELNS0_4arch9wavefront6targetE0EEEvT1_.private_seg_size, 0
	.set _ZN7rocprim17ROCPRIM_400000_NS6detail17trampoline_kernelINS0_14default_configENS1_27scan_by_key_config_selectorIifEEZZNS1_16scan_by_key_implILNS1_25lookback_scan_determinismE0ELb1ES3_N6thrust23THRUST_200600_302600_NS6detail15normal_iteratorINS9_10device_ptrIiEEEENSB_INSC_IjEEEESE_fNS9_4plusIvEENS9_8equal_toIvEEfEE10hipError_tPvRmT2_T3_T4_T5_mT6_T7_P12ihipStream_tbENKUlT_T0_E_clISt17integral_constantIbLb0EES10_IbLb1EEEEDaSW_SX_EUlSW_E_NS1_11comp_targetILNS1_3genE9ELNS1_11target_archE1100ELNS1_3gpuE3ELNS1_3repE0EEENS1_30default_config_static_selectorELNS0_4arch9wavefront6targetE0EEEvT1_.uses_vcc, 0
	.set _ZN7rocprim17ROCPRIM_400000_NS6detail17trampoline_kernelINS0_14default_configENS1_27scan_by_key_config_selectorIifEEZZNS1_16scan_by_key_implILNS1_25lookback_scan_determinismE0ELb1ES3_N6thrust23THRUST_200600_302600_NS6detail15normal_iteratorINS9_10device_ptrIiEEEENSB_INSC_IjEEEESE_fNS9_4plusIvEENS9_8equal_toIvEEfEE10hipError_tPvRmT2_T3_T4_T5_mT6_T7_P12ihipStream_tbENKUlT_T0_E_clISt17integral_constantIbLb0EES10_IbLb1EEEEDaSW_SX_EUlSW_E_NS1_11comp_targetILNS1_3genE9ELNS1_11target_archE1100ELNS1_3gpuE3ELNS1_3repE0EEENS1_30default_config_static_selectorELNS0_4arch9wavefront6targetE0EEEvT1_.uses_flat_scratch, 0
	.set _ZN7rocprim17ROCPRIM_400000_NS6detail17trampoline_kernelINS0_14default_configENS1_27scan_by_key_config_selectorIifEEZZNS1_16scan_by_key_implILNS1_25lookback_scan_determinismE0ELb1ES3_N6thrust23THRUST_200600_302600_NS6detail15normal_iteratorINS9_10device_ptrIiEEEENSB_INSC_IjEEEESE_fNS9_4plusIvEENS9_8equal_toIvEEfEE10hipError_tPvRmT2_T3_T4_T5_mT6_T7_P12ihipStream_tbENKUlT_T0_E_clISt17integral_constantIbLb0EES10_IbLb1EEEEDaSW_SX_EUlSW_E_NS1_11comp_targetILNS1_3genE9ELNS1_11target_archE1100ELNS1_3gpuE3ELNS1_3repE0EEENS1_30default_config_static_selectorELNS0_4arch9wavefront6targetE0EEEvT1_.has_dyn_sized_stack, 0
	.set _ZN7rocprim17ROCPRIM_400000_NS6detail17trampoline_kernelINS0_14default_configENS1_27scan_by_key_config_selectorIifEEZZNS1_16scan_by_key_implILNS1_25lookback_scan_determinismE0ELb1ES3_N6thrust23THRUST_200600_302600_NS6detail15normal_iteratorINS9_10device_ptrIiEEEENSB_INSC_IjEEEESE_fNS9_4plusIvEENS9_8equal_toIvEEfEE10hipError_tPvRmT2_T3_T4_T5_mT6_T7_P12ihipStream_tbENKUlT_T0_E_clISt17integral_constantIbLb0EES10_IbLb1EEEEDaSW_SX_EUlSW_E_NS1_11comp_targetILNS1_3genE9ELNS1_11target_archE1100ELNS1_3gpuE3ELNS1_3repE0EEENS1_30default_config_static_selectorELNS0_4arch9wavefront6targetE0EEEvT1_.has_recursion, 0
	.set _ZN7rocprim17ROCPRIM_400000_NS6detail17trampoline_kernelINS0_14default_configENS1_27scan_by_key_config_selectorIifEEZZNS1_16scan_by_key_implILNS1_25lookback_scan_determinismE0ELb1ES3_N6thrust23THRUST_200600_302600_NS6detail15normal_iteratorINS9_10device_ptrIiEEEENSB_INSC_IjEEEESE_fNS9_4plusIvEENS9_8equal_toIvEEfEE10hipError_tPvRmT2_T3_T4_T5_mT6_T7_P12ihipStream_tbENKUlT_T0_E_clISt17integral_constantIbLb0EES10_IbLb1EEEEDaSW_SX_EUlSW_E_NS1_11comp_targetILNS1_3genE9ELNS1_11target_archE1100ELNS1_3gpuE3ELNS1_3repE0EEENS1_30default_config_static_selectorELNS0_4arch9wavefront6targetE0EEEvT1_.has_indirect_call, 0
	.section	.AMDGPU.csdata,"",@progbits
; Kernel info:
; codeLenInByte = 0
; TotalNumSgprs: 0
; NumVgprs: 0
; ScratchSize: 0
; MemoryBound: 0
; FloatMode: 240
; IeeeMode: 1
; LDSByteSize: 0 bytes/workgroup (compile time only)
; SGPRBlocks: 0
; VGPRBlocks: 0
; NumSGPRsForWavesPerEU: 1
; NumVGPRsForWavesPerEU: 1
; NamedBarCnt: 0
; Occupancy: 16
; WaveLimiterHint : 0
; COMPUTE_PGM_RSRC2:SCRATCH_EN: 0
; COMPUTE_PGM_RSRC2:USER_SGPR: 2
; COMPUTE_PGM_RSRC2:TRAP_HANDLER: 0
; COMPUTE_PGM_RSRC2:TGID_X_EN: 1
; COMPUTE_PGM_RSRC2:TGID_Y_EN: 0
; COMPUTE_PGM_RSRC2:TGID_Z_EN: 0
; COMPUTE_PGM_RSRC2:TIDIG_COMP_CNT: 0
	.section	.text._ZN7rocprim17ROCPRIM_400000_NS6detail17trampoline_kernelINS0_14default_configENS1_27scan_by_key_config_selectorIifEEZZNS1_16scan_by_key_implILNS1_25lookback_scan_determinismE0ELb1ES3_N6thrust23THRUST_200600_302600_NS6detail15normal_iteratorINS9_10device_ptrIiEEEENSB_INSC_IjEEEESE_fNS9_4plusIvEENS9_8equal_toIvEEfEE10hipError_tPvRmT2_T3_T4_T5_mT6_T7_P12ihipStream_tbENKUlT_T0_E_clISt17integral_constantIbLb0EES10_IbLb1EEEEDaSW_SX_EUlSW_E_NS1_11comp_targetILNS1_3genE8ELNS1_11target_archE1030ELNS1_3gpuE2ELNS1_3repE0EEENS1_30default_config_static_selectorELNS0_4arch9wavefront6targetE0EEEvT1_,"axG",@progbits,_ZN7rocprim17ROCPRIM_400000_NS6detail17trampoline_kernelINS0_14default_configENS1_27scan_by_key_config_selectorIifEEZZNS1_16scan_by_key_implILNS1_25lookback_scan_determinismE0ELb1ES3_N6thrust23THRUST_200600_302600_NS6detail15normal_iteratorINS9_10device_ptrIiEEEENSB_INSC_IjEEEESE_fNS9_4plusIvEENS9_8equal_toIvEEfEE10hipError_tPvRmT2_T3_T4_T5_mT6_T7_P12ihipStream_tbENKUlT_T0_E_clISt17integral_constantIbLb0EES10_IbLb1EEEEDaSW_SX_EUlSW_E_NS1_11comp_targetILNS1_3genE8ELNS1_11target_archE1030ELNS1_3gpuE2ELNS1_3repE0EEENS1_30default_config_static_selectorELNS0_4arch9wavefront6targetE0EEEvT1_,comdat
	.protected	_ZN7rocprim17ROCPRIM_400000_NS6detail17trampoline_kernelINS0_14default_configENS1_27scan_by_key_config_selectorIifEEZZNS1_16scan_by_key_implILNS1_25lookback_scan_determinismE0ELb1ES3_N6thrust23THRUST_200600_302600_NS6detail15normal_iteratorINS9_10device_ptrIiEEEENSB_INSC_IjEEEESE_fNS9_4plusIvEENS9_8equal_toIvEEfEE10hipError_tPvRmT2_T3_T4_T5_mT6_T7_P12ihipStream_tbENKUlT_T0_E_clISt17integral_constantIbLb0EES10_IbLb1EEEEDaSW_SX_EUlSW_E_NS1_11comp_targetILNS1_3genE8ELNS1_11target_archE1030ELNS1_3gpuE2ELNS1_3repE0EEENS1_30default_config_static_selectorELNS0_4arch9wavefront6targetE0EEEvT1_ ; -- Begin function _ZN7rocprim17ROCPRIM_400000_NS6detail17trampoline_kernelINS0_14default_configENS1_27scan_by_key_config_selectorIifEEZZNS1_16scan_by_key_implILNS1_25lookback_scan_determinismE0ELb1ES3_N6thrust23THRUST_200600_302600_NS6detail15normal_iteratorINS9_10device_ptrIiEEEENSB_INSC_IjEEEESE_fNS9_4plusIvEENS9_8equal_toIvEEfEE10hipError_tPvRmT2_T3_T4_T5_mT6_T7_P12ihipStream_tbENKUlT_T0_E_clISt17integral_constantIbLb0EES10_IbLb1EEEEDaSW_SX_EUlSW_E_NS1_11comp_targetILNS1_3genE8ELNS1_11target_archE1030ELNS1_3gpuE2ELNS1_3repE0EEENS1_30default_config_static_selectorELNS0_4arch9wavefront6targetE0EEEvT1_
	.globl	_ZN7rocprim17ROCPRIM_400000_NS6detail17trampoline_kernelINS0_14default_configENS1_27scan_by_key_config_selectorIifEEZZNS1_16scan_by_key_implILNS1_25lookback_scan_determinismE0ELb1ES3_N6thrust23THRUST_200600_302600_NS6detail15normal_iteratorINS9_10device_ptrIiEEEENSB_INSC_IjEEEESE_fNS9_4plusIvEENS9_8equal_toIvEEfEE10hipError_tPvRmT2_T3_T4_T5_mT6_T7_P12ihipStream_tbENKUlT_T0_E_clISt17integral_constantIbLb0EES10_IbLb1EEEEDaSW_SX_EUlSW_E_NS1_11comp_targetILNS1_3genE8ELNS1_11target_archE1030ELNS1_3gpuE2ELNS1_3repE0EEENS1_30default_config_static_selectorELNS0_4arch9wavefront6targetE0EEEvT1_
	.p2align	8
	.type	_ZN7rocprim17ROCPRIM_400000_NS6detail17trampoline_kernelINS0_14default_configENS1_27scan_by_key_config_selectorIifEEZZNS1_16scan_by_key_implILNS1_25lookback_scan_determinismE0ELb1ES3_N6thrust23THRUST_200600_302600_NS6detail15normal_iteratorINS9_10device_ptrIiEEEENSB_INSC_IjEEEESE_fNS9_4plusIvEENS9_8equal_toIvEEfEE10hipError_tPvRmT2_T3_T4_T5_mT6_T7_P12ihipStream_tbENKUlT_T0_E_clISt17integral_constantIbLb0EES10_IbLb1EEEEDaSW_SX_EUlSW_E_NS1_11comp_targetILNS1_3genE8ELNS1_11target_archE1030ELNS1_3gpuE2ELNS1_3repE0EEENS1_30default_config_static_selectorELNS0_4arch9wavefront6targetE0EEEvT1_,@function
_ZN7rocprim17ROCPRIM_400000_NS6detail17trampoline_kernelINS0_14default_configENS1_27scan_by_key_config_selectorIifEEZZNS1_16scan_by_key_implILNS1_25lookback_scan_determinismE0ELb1ES3_N6thrust23THRUST_200600_302600_NS6detail15normal_iteratorINS9_10device_ptrIiEEEENSB_INSC_IjEEEESE_fNS9_4plusIvEENS9_8equal_toIvEEfEE10hipError_tPvRmT2_T3_T4_T5_mT6_T7_P12ihipStream_tbENKUlT_T0_E_clISt17integral_constantIbLb0EES10_IbLb1EEEEDaSW_SX_EUlSW_E_NS1_11comp_targetILNS1_3genE8ELNS1_11target_archE1030ELNS1_3gpuE2ELNS1_3repE0EEENS1_30default_config_static_selectorELNS0_4arch9wavefront6targetE0EEEvT1_: ; @_ZN7rocprim17ROCPRIM_400000_NS6detail17trampoline_kernelINS0_14default_configENS1_27scan_by_key_config_selectorIifEEZZNS1_16scan_by_key_implILNS1_25lookback_scan_determinismE0ELb1ES3_N6thrust23THRUST_200600_302600_NS6detail15normal_iteratorINS9_10device_ptrIiEEEENSB_INSC_IjEEEESE_fNS9_4plusIvEENS9_8equal_toIvEEfEE10hipError_tPvRmT2_T3_T4_T5_mT6_T7_P12ihipStream_tbENKUlT_T0_E_clISt17integral_constantIbLb0EES10_IbLb1EEEEDaSW_SX_EUlSW_E_NS1_11comp_targetILNS1_3genE8ELNS1_11target_archE1030ELNS1_3gpuE2ELNS1_3repE0EEENS1_30default_config_static_selectorELNS0_4arch9wavefront6targetE0EEEvT1_
; %bb.0:
	.section	.rodata,"a",@progbits
	.p2align	6, 0x0
	.amdhsa_kernel _ZN7rocprim17ROCPRIM_400000_NS6detail17trampoline_kernelINS0_14default_configENS1_27scan_by_key_config_selectorIifEEZZNS1_16scan_by_key_implILNS1_25lookback_scan_determinismE0ELb1ES3_N6thrust23THRUST_200600_302600_NS6detail15normal_iteratorINS9_10device_ptrIiEEEENSB_INSC_IjEEEESE_fNS9_4plusIvEENS9_8equal_toIvEEfEE10hipError_tPvRmT2_T3_T4_T5_mT6_T7_P12ihipStream_tbENKUlT_T0_E_clISt17integral_constantIbLb0EES10_IbLb1EEEEDaSW_SX_EUlSW_E_NS1_11comp_targetILNS1_3genE8ELNS1_11target_archE1030ELNS1_3gpuE2ELNS1_3repE0EEENS1_30default_config_static_selectorELNS0_4arch9wavefront6targetE0EEEvT1_
		.amdhsa_group_segment_fixed_size 0
		.amdhsa_private_segment_fixed_size 0
		.amdhsa_kernarg_size 112
		.amdhsa_user_sgpr_count 2
		.amdhsa_user_sgpr_dispatch_ptr 0
		.amdhsa_user_sgpr_queue_ptr 0
		.amdhsa_user_sgpr_kernarg_segment_ptr 1
		.amdhsa_user_sgpr_dispatch_id 0
		.amdhsa_user_sgpr_kernarg_preload_length 0
		.amdhsa_user_sgpr_kernarg_preload_offset 0
		.amdhsa_user_sgpr_private_segment_size 0
		.amdhsa_wavefront_size32 1
		.amdhsa_uses_dynamic_stack 0
		.amdhsa_enable_private_segment 0
		.amdhsa_system_sgpr_workgroup_id_x 1
		.amdhsa_system_sgpr_workgroup_id_y 0
		.amdhsa_system_sgpr_workgroup_id_z 0
		.amdhsa_system_sgpr_workgroup_info 0
		.amdhsa_system_vgpr_workitem_id 0
		.amdhsa_next_free_vgpr 1
		.amdhsa_next_free_sgpr 1
		.amdhsa_named_barrier_count 0
		.amdhsa_reserve_vcc 0
		.amdhsa_float_round_mode_32 0
		.amdhsa_float_round_mode_16_64 0
		.amdhsa_float_denorm_mode_32 3
		.amdhsa_float_denorm_mode_16_64 3
		.amdhsa_fp16_overflow 0
		.amdhsa_memory_ordered 1
		.amdhsa_forward_progress 1
		.amdhsa_inst_pref_size 0
		.amdhsa_round_robin_scheduling 0
		.amdhsa_exception_fp_ieee_invalid_op 0
		.amdhsa_exception_fp_denorm_src 0
		.amdhsa_exception_fp_ieee_div_zero 0
		.amdhsa_exception_fp_ieee_overflow 0
		.amdhsa_exception_fp_ieee_underflow 0
		.amdhsa_exception_fp_ieee_inexact 0
		.amdhsa_exception_int_div_zero 0
	.end_amdhsa_kernel
	.section	.text._ZN7rocprim17ROCPRIM_400000_NS6detail17trampoline_kernelINS0_14default_configENS1_27scan_by_key_config_selectorIifEEZZNS1_16scan_by_key_implILNS1_25lookback_scan_determinismE0ELb1ES3_N6thrust23THRUST_200600_302600_NS6detail15normal_iteratorINS9_10device_ptrIiEEEENSB_INSC_IjEEEESE_fNS9_4plusIvEENS9_8equal_toIvEEfEE10hipError_tPvRmT2_T3_T4_T5_mT6_T7_P12ihipStream_tbENKUlT_T0_E_clISt17integral_constantIbLb0EES10_IbLb1EEEEDaSW_SX_EUlSW_E_NS1_11comp_targetILNS1_3genE8ELNS1_11target_archE1030ELNS1_3gpuE2ELNS1_3repE0EEENS1_30default_config_static_selectorELNS0_4arch9wavefront6targetE0EEEvT1_,"axG",@progbits,_ZN7rocprim17ROCPRIM_400000_NS6detail17trampoline_kernelINS0_14default_configENS1_27scan_by_key_config_selectorIifEEZZNS1_16scan_by_key_implILNS1_25lookback_scan_determinismE0ELb1ES3_N6thrust23THRUST_200600_302600_NS6detail15normal_iteratorINS9_10device_ptrIiEEEENSB_INSC_IjEEEESE_fNS9_4plusIvEENS9_8equal_toIvEEfEE10hipError_tPvRmT2_T3_T4_T5_mT6_T7_P12ihipStream_tbENKUlT_T0_E_clISt17integral_constantIbLb0EES10_IbLb1EEEEDaSW_SX_EUlSW_E_NS1_11comp_targetILNS1_3genE8ELNS1_11target_archE1030ELNS1_3gpuE2ELNS1_3repE0EEENS1_30default_config_static_selectorELNS0_4arch9wavefront6targetE0EEEvT1_,comdat
.Lfunc_end1823:
	.size	_ZN7rocprim17ROCPRIM_400000_NS6detail17trampoline_kernelINS0_14default_configENS1_27scan_by_key_config_selectorIifEEZZNS1_16scan_by_key_implILNS1_25lookback_scan_determinismE0ELb1ES3_N6thrust23THRUST_200600_302600_NS6detail15normal_iteratorINS9_10device_ptrIiEEEENSB_INSC_IjEEEESE_fNS9_4plusIvEENS9_8equal_toIvEEfEE10hipError_tPvRmT2_T3_T4_T5_mT6_T7_P12ihipStream_tbENKUlT_T0_E_clISt17integral_constantIbLb0EES10_IbLb1EEEEDaSW_SX_EUlSW_E_NS1_11comp_targetILNS1_3genE8ELNS1_11target_archE1030ELNS1_3gpuE2ELNS1_3repE0EEENS1_30default_config_static_selectorELNS0_4arch9wavefront6targetE0EEEvT1_, .Lfunc_end1823-_ZN7rocprim17ROCPRIM_400000_NS6detail17trampoline_kernelINS0_14default_configENS1_27scan_by_key_config_selectorIifEEZZNS1_16scan_by_key_implILNS1_25lookback_scan_determinismE0ELb1ES3_N6thrust23THRUST_200600_302600_NS6detail15normal_iteratorINS9_10device_ptrIiEEEENSB_INSC_IjEEEESE_fNS9_4plusIvEENS9_8equal_toIvEEfEE10hipError_tPvRmT2_T3_T4_T5_mT6_T7_P12ihipStream_tbENKUlT_T0_E_clISt17integral_constantIbLb0EES10_IbLb1EEEEDaSW_SX_EUlSW_E_NS1_11comp_targetILNS1_3genE8ELNS1_11target_archE1030ELNS1_3gpuE2ELNS1_3repE0EEENS1_30default_config_static_selectorELNS0_4arch9wavefront6targetE0EEEvT1_
                                        ; -- End function
	.set _ZN7rocprim17ROCPRIM_400000_NS6detail17trampoline_kernelINS0_14default_configENS1_27scan_by_key_config_selectorIifEEZZNS1_16scan_by_key_implILNS1_25lookback_scan_determinismE0ELb1ES3_N6thrust23THRUST_200600_302600_NS6detail15normal_iteratorINS9_10device_ptrIiEEEENSB_INSC_IjEEEESE_fNS9_4plusIvEENS9_8equal_toIvEEfEE10hipError_tPvRmT2_T3_T4_T5_mT6_T7_P12ihipStream_tbENKUlT_T0_E_clISt17integral_constantIbLb0EES10_IbLb1EEEEDaSW_SX_EUlSW_E_NS1_11comp_targetILNS1_3genE8ELNS1_11target_archE1030ELNS1_3gpuE2ELNS1_3repE0EEENS1_30default_config_static_selectorELNS0_4arch9wavefront6targetE0EEEvT1_.num_vgpr, 0
	.set _ZN7rocprim17ROCPRIM_400000_NS6detail17trampoline_kernelINS0_14default_configENS1_27scan_by_key_config_selectorIifEEZZNS1_16scan_by_key_implILNS1_25lookback_scan_determinismE0ELb1ES3_N6thrust23THRUST_200600_302600_NS6detail15normal_iteratorINS9_10device_ptrIiEEEENSB_INSC_IjEEEESE_fNS9_4plusIvEENS9_8equal_toIvEEfEE10hipError_tPvRmT2_T3_T4_T5_mT6_T7_P12ihipStream_tbENKUlT_T0_E_clISt17integral_constantIbLb0EES10_IbLb1EEEEDaSW_SX_EUlSW_E_NS1_11comp_targetILNS1_3genE8ELNS1_11target_archE1030ELNS1_3gpuE2ELNS1_3repE0EEENS1_30default_config_static_selectorELNS0_4arch9wavefront6targetE0EEEvT1_.num_agpr, 0
	.set _ZN7rocprim17ROCPRIM_400000_NS6detail17trampoline_kernelINS0_14default_configENS1_27scan_by_key_config_selectorIifEEZZNS1_16scan_by_key_implILNS1_25lookback_scan_determinismE0ELb1ES3_N6thrust23THRUST_200600_302600_NS6detail15normal_iteratorINS9_10device_ptrIiEEEENSB_INSC_IjEEEESE_fNS9_4plusIvEENS9_8equal_toIvEEfEE10hipError_tPvRmT2_T3_T4_T5_mT6_T7_P12ihipStream_tbENKUlT_T0_E_clISt17integral_constantIbLb0EES10_IbLb1EEEEDaSW_SX_EUlSW_E_NS1_11comp_targetILNS1_3genE8ELNS1_11target_archE1030ELNS1_3gpuE2ELNS1_3repE0EEENS1_30default_config_static_selectorELNS0_4arch9wavefront6targetE0EEEvT1_.numbered_sgpr, 0
	.set _ZN7rocprim17ROCPRIM_400000_NS6detail17trampoline_kernelINS0_14default_configENS1_27scan_by_key_config_selectorIifEEZZNS1_16scan_by_key_implILNS1_25lookback_scan_determinismE0ELb1ES3_N6thrust23THRUST_200600_302600_NS6detail15normal_iteratorINS9_10device_ptrIiEEEENSB_INSC_IjEEEESE_fNS9_4plusIvEENS9_8equal_toIvEEfEE10hipError_tPvRmT2_T3_T4_T5_mT6_T7_P12ihipStream_tbENKUlT_T0_E_clISt17integral_constantIbLb0EES10_IbLb1EEEEDaSW_SX_EUlSW_E_NS1_11comp_targetILNS1_3genE8ELNS1_11target_archE1030ELNS1_3gpuE2ELNS1_3repE0EEENS1_30default_config_static_selectorELNS0_4arch9wavefront6targetE0EEEvT1_.num_named_barrier, 0
	.set _ZN7rocprim17ROCPRIM_400000_NS6detail17trampoline_kernelINS0_14default_configENS1_27scan_by_key_config_selectorIifEEZZNS1_16scan_by_key_implILNS1_25lookback_scan_determinismE0ELb1ES3_N6thrust23THRUST_200600_302600_NS6detail15normal_iteratorINS9_10device_ptrIiEEEENSB_INSC_IjEEEESE_fNS9_4plusIvEENS9_8equal_toIvEEfEE10hipError_tPvRmT2_T3_T4_T5_mT6_T7_P12ihipStream_tbENKUlT_T0_E_clISt17integral_constantIbLb0EES10_IbLb1EEEEDaSW_SX_EUlSW_E_NS1_11comp_targetILNS1_3genE8ELNS1_11target_archE1030ELNS1_3gpuE2ELNS1_3repE0EEENS1_30default_config_static_selectorELNS0_4arch9wavefront6targetE0EEEvT1_.private_seg_size, 0
	.set _ZN7rocprim17ROCPRIM_400000_NS6detail17trampoline_kernelINS0_14default_configENS1_27scan_by_key_config_selectorIifEEZZNS1_16scan_by_key_implILNS1_25lookback_scan_determinismE0ELb1ES3_N6thrust23THRUST_200600_302600_NS6detail15normal_iteratorINS9_10device_ptrIiEEEENSB_INSC_IjEEEESE_fNS9_4plusIvEENS9_8equal_toIvEEfEE10hipError_tPvRmT2_T3_T4_T5_mT6_T7_P12ihipStream_tbENKUlT_T0_E_clISt17integral_constantIbLb0EES10_IbLb1EEEEDaSW_SX_EUlSW_E_NS1_11comp_targetILNS1_3genE8ELNS1_11target_archE1030ELNS1_3gpuE2ELNS1_3repE0EEENS1_30default_config_static_selectorELNS0_4arch9wavefront6targetE0EEEvT1_.uses_vcc, 0
	.set _ZN7rocprim17ROCPRIM_400000_NS6detail17trampoline_kernelINS0_14default_configENS1_27scan_by_key_config_selectorIifEEZZNS1_16scan_by_key_implILNS1_25lookback_scan_determinismE0ELb1ES3_N6thrust23THRUST_200600_302600_NS6detail15normal_iteratorINS9_10device_ptrIiEEEENSB_INSC_IjEEEESE_fNS9_4plusIvEENS9_8equal_toIvEEfEE10hipError_tPvRmT2_T3_T4_T5_mT6_T7_P12ihipStream_tbENKUlT_T0_E_clISt17integral_constantIbLb0EES10_IbLb1EEEEDaSW_SX_EUlSW_E_NS1_11comp_targetILNS1_3genE8ELNS1_11target_archE1030ELNS1_3gpuE2ELNS1_3repE0EEENS1_30default_config_static_selectorELNS0_4arch9wavefront6targetE0EEEvT1_.uses_flat_scratch, 0
	.set _ZN7rocprim17ROCPRIM_400000_NS6detail17trampoline_kernelINS0_14default_configENS1_27scan_by_key_config_selectorIifEEZZNS1_16scan_by_key_implILNS1_25lookback_scan_determinismE0ELb1ES3_N6thrust23THRUST_200600_302600_NS6detail15normal_iteratorINS9_10device_ptrIiEEEENSB_INSC_IjEEEESE_fNS9_4plusIvEENS9_8equal_toIvEEfEE10hipError_tPvRmT2_T3_T4_T5_mT6_T7_P12ihipStream_tbENKUlT_T0_E_clISt17integral_constantIbLb0EES10_IbLb1EEEEDaSW_SX_EUlSW_E_NS1_11comp_targetILNS1_3genE8ELNS1_11target_archE1030ELNS1_3gpuE2ELNS1_3repE0EEENS1_30default_config_static_selectorELNS0_4arch9wavefront6targetE0EEEvT1_.has_dyn_sized_stack, 0
	.set _ZN7rocprim17ROCPRIM_400000_NS6detail17trampoline_kernelINS0_14default_configENS1_27scan_by_key_config_selectorIifEEZZNS1_16scan_by_key_implILNS1_25lookback_scan_determinismE0ELb1ES3_N6thrust23THRUST_200600_302600_NS6detail15normal_iteratorINS9_10device_ptrIiEEEENSB_INSC_IjEEEESE_fNS9_4plusIvEENS9_8equal_toIvEEfEE10hipError_tPvRmT2_T3_T4_T5_mT6_T7_P12ihipStream_tbENKUlT_T0_E_clISt17integral_constantIbLb0EES10_IbLb1EEEEDaSW_SX_EUlSW_E_NS1_11comp_targetILNS1_3genE8ELNS1_11target_archE1030ELNS1_3gpuE2ELNS1_3repE0EEENS1_30default_config_static_selectorELNS0_4arch9wavefront6targetE0EEEvT1_.has_recursion, 0
	.set _ZN7rocprim17ROCPRIM_400000_NS6detail17trampoline_kernelINS0_14default_configENS1_27scan_by_key_config_selectorIifEEZZNS1_16scan_by_key_implILNS1_25lookback_scan_determinismE0ELb1ES3_N6thrust23THRUST_200600_302600_NS6detail15normal_iteratorINS9_10device_ptrIiEEEENSB_INSC_IjEEEESE_fNS9_4plusIvEENS9_8equal_toIvEEfEE10hipError_tPvRmT2_T3_T4_T5_mT6_T7_P12ihipStream_tbENKUlT_T0_E_clISt17integral_constantIbLb0EES10_IbLb1EEEEDaSW_SX_EUlSW_E_NS1_11comp_targetILNS1_3genE8ELNS1_11target_archE1030ELNS1_3gpuE2ELNS1_3repE0EEENS1_30default_config_static_selectorELNS0_4arch9wavefront6targetE0EEEvT1_.has_indirect_call, 0
	.section	.AMDGPU.csdata,"",@progbits
; Kernel info:
; codeLenInByte = 0
; TotalNumSgprs: 0
; NumVgprs: 0
; ScratchSize: 0
; MemoryBound: 0
; FloatMode: 240
; IeeeMode: 1
; LDSByteSize: 0 bytes/workgroup (compile time only)
; SGPRBlocks: 0
; VGPRBlocks: 0
; NumSGPRsForWavesPerEU: 1
; NumVGPRsForWavesPerEU: 1
; NamedBarCnt: 0
; Occupancy: 16
; WaveLimiterHint : 0
; COMPUTE_PGM_RSRC2:SCRATCH_EN: 0
; COMPUTE_PGM_RSRC2:USER_SGPR: 2
; COMPUTE_PGM_RSRC2:TRAP_HANDLER: 0
; COMPUTE_PGM_RSRC2:TGID_X_EN: 1
; COMPUTE_PGM_RSRC2:TGID_Y_EN: 0
; COMPUTE_PGM_RSRC2:TGID_Z_EN: 0
; COMPUTE_PGM_RSRC2:TIDIG_COMP_CNT: 0
	.section	.text._ZN6thrust23THRUST_200600_302600_NS11hip_rocprim14__parallel_for6kernelILj256ENS1_11__transform17unary_transform_fINS0_7pointerIiNS1_3tagENS0_11use_defaultES8_EENS0_10device_ptrIjEENS4_14no_stencil_tagENS0_8identityIiEENS4_21always_true_predicateEEElLj1EEEvT0_T1_SI_,"axG",@progbits,_ZN6thrust23THRUST_200600_302600_NS11hip_rocprim14__parallel_for6kernelILj256ENS1_11__transform17unary_transform_fINS0_7pointerIiNS1_3tagENS0_11use_defaultES8_EENS0_10device_ptrIjEENS4_14no_stencil_tagENS0_8identityIiEENS4_21always_true_predicateEEElLj1EEEvT0_T1_SI_,comdat
	.protected	_ZN6thrust23THRUST_200600_302600_NS11hip_rocprim14__parallel_for6kernelILj256ENS1_11__transform17unary_transform_fINS0_7pointerIiNS1_3tagENS0_11use_defaultES8_EENS0_10device_ptrIjEENS4_14no_stencil_tagENS0_8identityIiEENS4_21always_true_predicateEEElLj1EEEvT0_T1_SI_ ; -- Begin function _ZN6thrust23THRUST_200600_302600_NS11hip_rocprim14__parallel_for6kernelILj256ENS1_11__transform17unary_transform_fINS0_7pointerIiNS1_3tagENS0_11use_defaultES8_EENS0_10device_ptrIjEENS4_14no_stencil_tagENS0_8identityIiEENS4_21always_true_predicateEEElLj1EEEvT0_T1_SI_
	.globl	_ZN6thrust23THRUST_200600_302600_NS11hip_rocprim14__parallel_for6kernelILj256ENS1_11__transform17unary_transform_fINS0_7pointerIiNS1_3tagENS0_11use_defaultES8_EENS0_10device_ptrIjEENS4_14no_stencil_tagENS0_8identityIiEENS4_21always_true_predicateEEElLj1EEEvT0_T1_SI_
	.p2align	8
	.type	_ZN6thrust23THRUST_200600_302600_NS11hip_rocprim14__parallel_for6kernelILj256ENS1_11__transform17unary_transform_fINS0_7pointerIiNS1_3tagENS0_11use_defaultES8_EENS0_10device_ptrIjEENS4_14no_stencil_tagENS0_8identityIiEENS4_21always_true_predicateEEElLj1EEEvT0_T1_SI_,@function
_ZN6thrust23THRUST_200600_302600_NS11hip_rocprim14__parallel_for6kernelILj256ENS1_11__transform17unary_transform_fINS0_7pointerIiNS1_3tagENS0_11use_defaultES8_EENS0_10device_ptrIjEENS4_14no_stencil_tagENS0_8identityIiEENS4_21always_true_predicateEEElLj1EEEvT0_T1_SI_: ; @_ZN6thrust23THRUST_200600_302600_NS11hip_rocprim14__parallel_for6kernelILj256ENS1_11__transform17unary_transform_fINS0_7pointerIiNS1_3tagENS0_11use_defaultES8_EENS0_10device_ptrIjEENS4_14no_stencil_tagENS0_8identityIiEENS4_21always_true_predicateEEElLj1EEEvT0_T1_SI_
; %bb.0:
	s_load_b128 s[4:7], s[0:1], 0x18
	s_bfe_u32 s2, ttmp6, 0x4000c
	s_and_b32 s3, ttmp6, 15
	s_add_co_i32 s2, s2, 1
	s_getreg_b32 s8, hwreg(HW_REG_IB_STS2, 6, 4)
	s_mul_i32 s2, ttmp9, s2
	s_delay_alu instid0(SALU_CYCLE_1)
	s_add_co_i32 s3, s3, s2
	s_cmp_eq_u32 s8, 0
	s_cselect_b32 s2, ttmp9, s3
	s_mov_b32 s3, 0
	s_lshl_b32 s2, s2, 8
	s_wait_kmcnt 0x0
	s_add_nc_u64 s[2:3], s[6:7], s[2:3]
	s_delay_alu instid0(SALU_CYCLE_1) | instskip(NEXT) | instid1(SALU_CYCLE_1)
	s_sub_nc_u64 s[4:5], s[4:5], s[2:3]
	v_min_i64 v[2:3], 0x100, s[4:5]
	s_load_b128 s[4:7], s[0:1], 0x0
	s_wait_xcnt 0x0
	s_mov_b32 s0, -1
	s_delay_alu instid0(VALU_DEP_1)
	v_cmp_eq_u32_e32 vcc_lo, 0x100, v2
	s_cbranch_vccz .LBB1824_3
; %bb.1:
	s_and_not1_b32 vcc_lo, exec_lo, s0
	s_cbranch_vccz .LBB1824_6
.LBB1824_2:
	s_endpgm
.LBB1824_3:
	s_mov_b32 s0, exec_lo
	v_cmpx_lt_u32_e64 v0, v2
	s_cbranch_execz .LBB1824_5
; %bb.4:
	v_mov_b32_e32 v1, 0
	s_delay_alu instid0(VALU_DEP_1) | instskip(NEXT) | instid1(VALU_DEP_1)
	v_add_nc_u64_e32 v[2:3], s[2:3], v[0:1]
	v_lshlrev_b64_e32 v[2:3], 2, v[2:3]
	s_wait_kmcnt 0x0
	s_delay_alu instid0(VALU_DEP_1)
	v_add_nc_u64_e32 v[4:5], s[4:5], v[2:3]
	v_add_nc_u64_e32 v[2:3], s[6:7], v[2:3]
	flat_load_b32 v1, v[4:5]
	s_wait_loadcnt_dscnt 0x0
	flat_store_b32 v[2:3], v1
.LBB1824_5:
	s_wait_xcnt 0x0
	s_or_b32 exec_lo, exec_lo, s0
	s_cbranch_execnz .LBB1824_2
.LBB1824_6:
	v_mov_b32_e32 v1, 0
	s_delay_alu instid0(VALU_DEP_1) | instskip(NEXT) | instid1(VALU_DEP_1)
	v_add_nc_u64_e32 v[0:1], s[2:3], v[0:1]
	v_lshlrev_b64_e32 v[0:1], 2, v[0:1]
	s_wait_kmcnt 0x0
	s_delay_alu instid0(VALU_DEP_1)
	v_add_nc_u64_e32 v[2:3], s[4:5], v[0:1]
	v_add_nc_u64_e32 v[0:1], s[6:7], v[0:1]
	flat_load_b32 v2, v[2:3]
	s_wait_loadcnt_dscnt 0x0
	flat_store_b32 v[0:1], v2
	s_endpgm
	.section	.rodata,"a",@progbits
	.p2align	6, 0x0
	.amdhsa_kernel _ZN6thrust23THRUST_200600_302600_NS11hip_rocprim14__parallel_for6kernelILj256ENS1_11__transform17unary_transform_fINS0_7pointerIiNS1_3tagENS0_11use_defaultES8_EENS0_10device_ptrIjEENS4_14no_stencil_tagENS0_8identityIiEENS4_21always_true_predicateEEElLj1EEEvT0_T1_SI_
		.amdhsa_group_segment_fixed_size 0
		.amdhsa_private_segment_fixed_size 0
		.amdhsa_kernarg_size 40
		.amdhsa_user_sgpr_count 2
		.amdhsa_user_sgpr_dispatch_ptr 0
		.amdhsa_user_sgpr_queue_ptr 0
		.amdhsa_user_sgpr_kernarg_segment_ptr 1
		.amdhsa_user_sgpr_dispatch_id 0
		.amdhsa_user_sgpr_kernarg_preload_length 0
		.amdhsa_user_sgpr_kernarg_preload_offset 0
		.amdhsa_user_sgpr_private_segment_size 0
		.amdhsa_wavefront_size32 1
		.amdhsa_uses_dynamic_stack 0
		.amdhsa_enable_private_segment 0
		.amdhsa_system_sgpr_workgroup_id_x 1
		.amdhsa_system_sgpr_workgroup_id_y 0
		.amdhsa_system_sgpr_workgroup_id_z 0
		.amdhsa_system_sgpr_workgroup_info 0
		.amdhsa_system_vgpr_workitem_id 0
		.amdhsa_next_free_vgpr 6
		.amdhsa_next_free_sgpr 9
		.amdhsa_named_barrier_count 0
		.amdhsa_reserve_vcc 1
		.amdhsa_float_round_mode_32 0
		.amdhsa_float_round_mode_16_64 0
		.amdhsa_float_denorm_mode_32 3
		.amdhsa_float_denorm_mode_16_64 3
		.amdhsa_fp16_overflow 0
		.amdhsa_memory_ordered 1
		.amdhsa_forward_progress 1
		.amdhsa_inst_pref_size 3
		.amdhsa_round_robin_scheduling 0
		.amdhsa_exception_fp_ieee_invalid_op 0
		.amdhsa_exception_fp_denorm_src 0
		.amdhsa_exception_fp_ieee_div_zero 0
		.amdhsa_exception_fp_ieee_overflow 0
		.amdhsa_exception_fp_ieee_underflow 0
		.amdhsa_exception_fp_ieee_inexact 0
		.amdhsa_exception_int_div_zero 0
	.end_amdhsa_kernel
	.section	.text._ZN6thrust23THRUST_200600_302600_NS11hip_rocprim14__parallel_for6kernelILj256ENS1_11__transform17unary_transform_fINS0_7pointerIiNS1_3tagENS0_11use_defaultES8_EENS0_10device_ptrIjEENS4_14no_stencil_tagENS0_8identityIiEENS4_21always_true_predicateEEElLj1EEEvT0_T1_SI_,"axG",@progbits,_ZN6thrust23THRUST_200600_302600_NS11hip_rocprim14__parallel_for6kernelILj256ENS1_11__transform17unary_transform_fINS0_7pointerIiNS1_3tagENS0_11use_defaultES8_EENS0_10device_ptrIjEENS4_14no_stencil_tagENS0_8identityIiEENS4_21always_true_predicateEEElLj1EEEvT0_T1_SI_,comdat
.Lfunc_end1824:
	.size	_ZN6thrust23THRUST_200600_302600_NS11hip_rocprim14__parallel_for6kernelILj256ENS1_11__transform17unary_transform_fINS0_7pointerIiNS1_3tagENS0_11use_defaultES8_EENS0_10device_ptrIjEENS4_14no_stencil_tagENS0_8identityIiEENS4_21always_true_predicateEEElLj1EEEvT0_T1_SI_, .Lfunc_end1824-_ZN6thrust23THRUST_200600_302600_NS11hip_rocprim14__parallel_for6kernelILj256ENS1_11__transform17unary_transform_fINS0_7pointerIiNS1_3tagENS0_11use_defaultES8_EENS0_10device_ptrIjEENS4_14no_stencil_tagENS0_8identityIiEENS4_21always_true_predicateEEElLj1EEEvT0_T1_SI_
                                        ; -- End function
	.set _ZN6thrust23THRUST_200600_302600_NS11hip_rocprim14__parallel_for6kernelILj256ENS1_11__transform17unary_transform_fINS0_7pointerIiNS1_3tagENS0_11use_defaultES8_EENS0_10device_ptrIjEENS4_14no_stencil_tagENS0_8identityIiEENS4_21always_true_predicateEEElLj1EEEvT0_T1_SI_.num_vgpr, 6
	.set _ZN6thrust23THRUST_200600_302600_NS11hip_rocprim14__parallel_for6kernelILj256ENS1_11__transform17unary_transform_fINS0_7pointerIiNS1_3tagENS0_11use_defaultES8_EENS0_10device_ptrIjEENS4_14no_stencil_tagENS0_8identityIiEENS4_21always_true_predicateEEElLj1EEEvT0_T1_SI_.num_agpr, 0
	.set _ZN6thrust23THRUST_200600_302600_NS11hip_rocprim14__parallel_for6kernelILj256ENS1_11__transform17unary_transform_fINS0_7pointerIiNS1_3tagENS0_11use_defaultES8_EENS0_10device_ptrIjEENS4_14no_stencil_tagENS0_8identityIiEENS4_21always_true_predicateEEElLj1EEEvT0_T1_SI_.numbered_sgpr, 9
	.set _ZN6thrust23THRUST_200600_302600_NS11hip_rocprim14__parallel_for6kernelILj256ENS1_11__transform17unary_transform_fINS0_7pointerIiNS1_3tagENS0_11use_defaultES8_EENS0_10device_ptrIjEENS4_14no_stencil_tagENS0_8identityIiEENS4_21always_true_predicateEEElLj1EEEvT0_T1_SI_.num_named_barrier, 0
	.set _ZN6thrust23THRUST_200600_302600_NS11hip_rocprim14__parallel_for6kernelILj256ENS1_11__transform17unary_transform_fINS0_7pointerIiNS1_3tagENS0_11use_defaultES8_EENS0_10device_ptrIjEENS4_14no_stencil_tagENS0_8identityIiEENS4_21always_true_predicateEEElLj1EEEvT0_T1_SI_.private_seg_size, 0
	.set _ZN6thrust23THRUST_200600_302600_NS11hip_rocprim14__parallel_for6kernelILj256ENS1_11__transform17unary_transform_fINS0_7pointerIiNS1_3tagENS0_11use_defaultES8_EENS0_10device_ptrIjEENS4_14no_stencil_tagENS0_8identityIiEENS4_21always_true_predicateEEElLj1EEEvT0_T1_SI_.uses_vcc, 1
	.set _ZN6thrust23THRUST_200600_302600_NS11hip_rocprim14__parallel_for6kernelILj256ENS1_11__transform17unary_transform_fINS0_7pointerIiNS1_3tagENS0_11use_defaultES8_EENS0_10device_ptrIjEENS4_14no_stencil_tagENS0_8identityIiEENS4_21always_true_predicateEEElLj1EEEvT0_T1_SI_.uses_flat_scratch, 0
	.set _ZN6thrust23THRUST_200600_302600_NS11hip_rocprim14__parallel_for6kernelILj256ENS1_11__transform17unary_transform_fINS0_7pointerIiNS1_3tagENS0_11use_defaultES8_EENS0_10device_ptrIjEENS4_14no_stencil_tagENS0_8identityIiEENS4_21always_true_predicateEEElLj1EEEvT0_T1_SI_.has_dyn_sized_stack, 0
	.set _ZN6thrust23THRUST_200600_302600_NS11hip_rocprim14__parallel_for6kernelILj256ENS1_11__transform17unary_transform_fINS0_7pointerIiNS1_3tagENS0_11use_defaultES8_EENS0_10device_ptrIjEENS4_14no_stencil_tagENS0_8identityIiEENS4_21always_true_predicateEEElLj1EEEvT0_T1_SI_.has_recursion, 0
	.set _ZN6thrust23THRUST_200600_302600_NS11hip_rocprim14__parallel_for6kernelILj256ENS1_11__transform17unary_transform_fINS0_7pointerIiNS1_3tagENS0_11use_defaultES8_EENS0_10device_ptrIjEENS4_14no_stencil_tagENS0_8identityIiEENS4_21always_true_predicateEEElLj1EEEvT0_T1_SI_.has_indirect_call, 0
	.section	.AMDGPU.csdata,"",@progbits
; Kernel info:
; codeLenInByte = 280
; TotalNumSgprs: 11
; NumVgprs: 6
; ScratchSize: 0
; MemoryBound: 0
; FloatMode: 240
; IeeeMode: 1
; LDSByteSize: 0 bytes/workgroup (compile time only)
; SGPRBlocks: 0
; VGPRBlocks: 0
; NumSGPRsForWavesPerEU: 11
; NumVGPRsForWavesPerEU: 6
; NamedBarCnt: 0
; Occupancy: 16
; WaveLimiterHint : 0
; COMPUTE_PGM_RSRC2:SCRATCH_EN: 0
; COMPUTE_PGM_RSRC2:USER_SGPR: 2
; COMPUTE_PGM_RSRC2:TRAP_HANDLER: 0
; COMPUTE_PGM_RSRC2:TGID_X_EN: 1
; COMPUTE_PGM_RSRC2:TGID_Y_EN: 0
; COMPUTE_PGM_RSRC2:TGID_Z_EN: 0
; COMPUTE_PGM_RSRC2:TIDIG_COMP_CNT: 0
	.section	.text._ZN7rocprim17ROCPRIM_400000_NS6detail30init_device_scan_by_key_kernelINS1_19lookback_scan_stateINS0_5tupleIJjbEEELb0ELb1EEEN6thrust23THRUST_200600_302600_NS6detail15normal_iteratorINS8_10device_ptrIjEEEEjNS1_16block_id_wrapperIjLb0EEEEEvT_jjPNSG_10value_typeET0_PNSt15iterator_traitsISJ_E10value_typeEmT1_T2_,"axG",@progbits,_ZN7rocprim17ROCPRIM_400000_NS6detail30init_device_scan_by_key_kernelINS1_19lookback_scan_stateINS0_5tupleIJjbEEELb0ELb1EEEN6thrust23THRUST_200600_302600_NS6detail15normal_iteratorINS8_10device_ptrIjEEEEjNS1_16block_id_wrapperIjLb0EEEEEvT_jjPNSG_10value_typeET0_PNSt15iterator_traitsISJ_E10value_typeEmT1_T2_,comdat
	.protected	_ZN7rocprim17ROCPRIM_400000_NS6detail30init_device_scan_by_key_kernelINS1_19lookback_scan_stateINS0_5tupleIJjbEEELb0ELb1EEEN6thrust23THRUST_200600_302600_NS6detail15normal_iteratorINS8_10device_ptrIjEEEEjNS1_16block_id_wrapperIjLb0EEEEEvT_jjPNSG_10value_typeET0_PNSt15iterator_traitsISJ_E10value_typeEmT1_T2_ ; -- Begin function _ZN7rocprim17ROCPRIM_400000_NS6detail30init_device_scan_by_key_kernelINS1_19lookback_scan_stateINS0_5tupleIJjbEEELb0ELb1EEEN6thrust23THRUST_200600_302600_NS6detail15normal_iteratorINS8_10device_ptrIjEEEEjNS1_16block_id_wrapperIjLb0EEEEEvT_jjPNSG_10value_typeET0_PNSt15iterator_traitsISJ_E10value_typeEmT1_T2_
	.globl	_ZN7rocprim17ROCPRIM_400000_NS6detail30init_device_scan_by_key_kernelINS1_19lookback_scan_stateINS0_5tupleIJjbEEELb0ELb1EEEN6thrust23THRUST_200600_302600_NS6detail15normal_iteratorINS8_10device_ptrIjEEEEjNS1_16block_id_wrapperIjLb0EEEEEvT_jjPNSG_10value_typeET0_PNSt15iterator_traitsISJ_E10value_typeEmT1_T2_
	.p2align	8
	.type	_ZN7rocprim17ROCPRIM_400000_NS6detail30init_device_scan_by_key_kernelINS1_19lookback_scan_stateINS0_5tupleIJjbEEELb0ELb1EEEN6thrust23THRUST_200600_302600_NS6detail15normal_iteratorINS8_10device_ptrIjEEEEjNS1_16block_id_wrapperIjLb0EEEEEvT_jjPNSG_10value_typeET0_PNSt15iterator_traitsISJ_E10value_typeEmT1_T2_,@function
_ZN7rocprim17ROCPRIM_400000_NS6detail30init_device_scan_by_key_kernelINS1_19lookback_scan_stateINS0_5tupleIJjbEEELb0ELb1EEEN6thrust23THRUST_200600_302600_NS6detail15normal_iteratorINS8_10device_ptrIjEEEEjNS1_16block_id_wrapperIjLb0EEEEEvT_jjPNSG_10value_typeET0_PNSt15iterator_traitsISJ_E10value_typeEmT1_T2_: ; @_ZN7rocprim17ROCPRIM_400000_NS6detail30init_device_scan_by_key_kernelINS1_19lookback_scan_stateINS0_5tupleIJjbEEELb0ELb1EEEN6thrust23THRUST_200600_302600_NS6detail15normal_iteratorINS8_10device_ptrIjEEEEjNS1_16block_id_wrapperIjLb0EEEEEvT_jjPNSG_10value_typeET0_PNSt15iterator_traitsISJ_E10value_typeEmT1_T2_
; %bb.0:
	s_clause 0x2
	s_load_b32 s2, s[0:1], 0x44
	s_load_b32 s14, s[0:1], 0x38
	s_load_b256 s[4:11], s[0:1], 0x0
	s_bfe_u32 s3, ttmp6, 0x4000c
	s_and_b32 s12, ttmp6, 15
	s_add_co_i32 s3, s3, 1
	s_getreg_b32 s13, hwreg(HW_REG_IB_STS2, 6, 4)
	s_mul_i32 s3, ttmp9, s3
	s_delay_alu instid0(SALU_CYCLE_1)
	s_add_co_i32 s12, s12, s3
	s_wait_kmcnt 0x0
	s_and_b32 s15, s2, 0xffff
	s_cmp_eq_u32 s13, 0
	s_cselect_b32 s2, ttmp9, s12
	s_cmp_eq_u64 s[8:9], 0
	v_mad_u32 v4, s2, s15, v0
	s_cbranch_scc1 .LBB1825_8
; %bb.1:
	s_cmp_lt_u32 s7, s6
	s_mov_b32 s16, exec_lo
	s_cselect_b32 s2, s7, 0
	s_delay_alu instid0(VALU_DEP_1) | instid1(SALU_CYCLE_1)
	v_cmpx_eq_u32_e64 s2, v4
	s_cbranch_execz .LBB1825_7
; %bb.2:
	s_add_co_i32 s2, s7, 32
	s_mov_b32 s3, 0
	v_mov_b32_e32 v7, 0
	s_lshl_b64 s[12:13], s[2:3], 4
	s_mov_b32 s2, exec_lo
	s_add_nc_u64 s[12:13], s[4:5], s[12:13]
	s_delay_alu instid0(SALU_CYCLE_1) | instskip(SKIP_2) | instid1(VALU_DEP_1)
	v_mov_b64_e32 v[0:1], s[12:13]
	;;#ASMSTART
	global_load_b128 v[0:3], v[0:1] off scope:SCOPE_DEV	
s_wait_loadcnt 0x0
	;;#ASMEND
	v_and_b32_e32 v6, 0xff, v2
	v_cmpx_eq_u64_e32 0, v[6:7]
	s_cbranch_execz .LBB1825_6
; %bb.3:
	v_mov_b64_e32 v[8:9], s[12:13]
.LBB1825_4:                             ; =>This Inner Loop Header: Depth=1
	;;#ASMSTART
	global_load_b128 v[0:3], v[8:9] off scope:SCOPE_DEV	
s_wait_loadcnt 0x0
	;;#ASMEND
	v_and_b32_e32 v6, 0xff, v2
	s_delay_alu instid0(VALU_DEP_1) | instskip(SKIP_1) | instid1(SALU_CYCLE_1)
	v_cmp_ne_u64_e32 vcc_lo, 0, v[6:7]
	s_or_b32 s3, vcc_lo, s3
	s_and_not1_b32 exec_lo, exec_lo, s3
	s_cbranch_execnz .LBB1825_4
; %bb.5:
	s_or_b32 exec_lo, exec_lo, s3
.LBB1825_6:
	s_delay_alu instid0(SALU_CYCLE_1)
	s_or_b32 exec_lo, exec_lo, s2
	v_mov_b32_e32 v2, 0
	s_clause 0x1
	global_store_b32 v2, v0, s[8:9]
	global_store_b8 v2, v1, s[8:9] offset:4
.LBB1825_7:
	s_wait_xcnt 0x0
	s_or_b32 exec_lo, exec_lo, s16
.LBB1825_8:
	s_delay_alu instid0(SALU_CYCLE_1) | instskip(NEXT) | instid1(VALU_DEP_1)
	s_mov_b32 s2, exec_lo
	v_cmpx_gt_u32_e64 s6, v4
	s_cbranch_execz .LBB1825_10
; %bb.9:
	v_dual_mov_b32 v0, 0 :: v_dual_add_nc_u32 v5, 32, v4
	s_delay_alu instid0(VALU_DEP_1)
	v_dual_mov_b32 v1, v0 :: v_dual_mov_b32 v2, v0
	v_mov_b32_e32 v3, v0
	global_store_b128 v5, v[0:3], s[4:5] scale_offset
.LBB1825_10:
	s_wait_xcnt 0x0
	s_or_b32 exec_lo, exec_lo, s2
	v_mov_b32_e32 v5, 0
	s_mov_b32 s2, exec_lo
	v_cmpx_gt_u32_e32 32, v4
	s_cbranch_execz .LBB1825_12
; %bb.11:
	s_delay_alu instid0(VALU_DEP_2)
	v_lshl_add_u64 v[6:7], v[4:5], 4, s[4:5]
	v_dual_mov_b32 v2, 0xff :: v_dual_mov_b32 v1, v5
	v_dual_mov_b32 v0, v5 :: v_dual_mov_b32 v3, v5
	global_store_b128 v[6:7], v[0:3], off
.LBB1825_12:
	s_wait_xcnt 0x0
	s_or_b32 exec_lo, exec_lo, s2
	s_load_b64 s[2:3], s[0:1], 0x28
	s_mov_b32 s4, exec_lo
	s_wait_kmcnt 0x0
	v_cmpx_gt_u64_e64 s[2:3], v[4:5]
	s_cbranch_execz .LBB1825_15
; %bb.13:
	s_clause 0x1
	s_load_b32 s4, s[0:1], 0x30
	s_load_b64 s[6:7], s[0:1], 0x20
	s_mov_b32 s5, 0
	s_wait_xcnt 0x0
	s_mul_i32 s0, s14, s15
	s_mov_b32 s9, s5
	s_mov_b32 s1, s5
	s_wait_kmcnt 0x0
	v_mul_u64_e32 v[0:1], s[4:5], v[4:5]
	s_add_co_i32 s8, s4, -1
	v_lshl_add_u64 v[2:3], v[4:5], 2, s[6:7]
	s_lshl_b64 s[8:9], s[8:9], 2
	s_delay_alu instid0(SALU_CYCLE_1) | instskip(SKIP_1) | instid1(SALU_CYCLE_1)
	s_add_nc_u64 s[8:9], s[10:11], s[8:9]
	s_mul_u64 s[10:11], s[4:5], s[0:1]
	s_lshl_b64 s[6:7], s[10:11], 2
	s_delay_alu instid0(VALU_DEP_2)
	v_lshl_add_u64 v[0:1], v[0:1], 2, s[8:9]
	s_lshl_b64 s[8:9], s[0:1], 2
.LBB1825_14:                            ; =>This Inner Loop Header: Depth=1
	global_load_b32 v6, v[0:1], off
	v_add_nc_u64_e32 v[4:5], s[0:1], v[4:5]
	s_wait_xcnt 0x0
	v_add_nc_u64_e32 v[0:1], s[6:7], v[0:1]
	s_delay_alu instid0(VALU_DEP_2)
	v_cmp_le_u64_e32 vcc_lo, s[2:3], v[4:5]
	s_or_b32 s5, vcc_lo, s5
	s_wait_loadcnt 0x0
	global_store_b32 v[2:3], v6, off
	s_wait_xcnt 0x0
	v_add_nc_u64_e32 v[2:3], s[8:9], v[2:3]
	s_and_not1_b32 exec_lo, exec_lo, s5
	s_cbranch_execnz .LBB1825_14
.LBB1825_15:
	s_endpgm
	.section	.rodata,"a",@progbits
	.p2align	6, 0x0
	.amdhsa_kernel _ZN7rocprim17ROCPRIM_400000_NS6detail30init_device_scan_by_key_kernelINS1_19lookback_scan_stateINS0_5tupleIJjbEEELb0ELb1EEEN6thrust23THRUST_200600_302600_NS6detail15normal_iteratorINS8_10device_ptrIjEEEEjNS1_16block_id_wrapperIjLb0EEEEEvT_jjPNSG_10value_typeET0_PNSt15iterator_traitsISJ_E10value_typeEmT1_T2_
		.amdhsa_group_segment_fixed_size 0
		.amdhsa_private_segment_fixed_size 0
		.amdhsa_kernarg_size 312
		.amdhsa_user_sgpr_count 2
		.amdhsa_user_sgpr_dispatch_ptr 0
		.amdhsa_user_sgpr_queue_ptr 0
		.amdhsa_user_sgpr_kernarg_segment_ptr 1
		.amdhsa_user_sgpr_dispatch_id 0
		.amdhsa_user_sgpr_kernarg_preload_length 0
		.amdhsa_user_sgpr_kernarg_preload_offset 0
		.amdhsa_user_sgpr_private_segment_size 0
		.amdhsa_wavefront_size32 1
		.amdhsa_uses_dynamic_stack 0
		.amdhsa_enable_private_segment 0
		.amdhsa_system_sgpr_workgroup_id_x 1
		.amdhsa_system_sgpr_workgroup_id_y 0
		.amdhsa_system_sgpr_workgroup_id_z 0
		.amdhsa_system_sgpr_workgroup_info 0
		.amdhsa_system_vgpr_workitem_id 0
		.amdhsa_next_free_vgpr 10
		.amdhsa_next_free_sgpr 17
		.amdhsa_named_barrier_count 0
		.amdhsa_reserve_vcc 1
		.amdhsa_float_round_mode_32 0
		.amdhsa_float_round_mode_16_64 0
		.amdhsa_float_denorm_mode_32 3
		.amdhsa_float_denorm_mode_16_64 3
		.amdhsa_fp16_overflow 0
		.amdhsa_memory_ordered 1
		.amdhsa_forward_progress 1
		.amdhsa_inst_pref_size 5
		.amdhsa_round_robin_scheduling 0
		.amdhsa_exception_fp_ieee_invalid_op 0
		.amdhsa_exception_fp_denorm_src 0
		.amdhsa_exception_fp_ieee_div_zero 0
		.amdhsa_exception_fp_ieee_overflow 0
		.amdhsa_exception_fp_ieee_underflow 0
		.amdhsa_exception_fp_ieee_inexact 0
		.amdhsa_exception_int_div_zero 0
	.end_amdhsa_kernel
	.section	.text._ZN7rocprim17ROCPRIM_400000_NS6detail30init_device_scan_by_key_kernelINS1_19lookback_scan_stateINS0_5tupleIJjbEEELb0ELb1EEEN6thrust23THRUST_200600_302600_NS6detail15normal_iteratorINS8_10device_ptrIjEEEEjNS1_16block_id_wrapperIjLb0EEEEEvT_jjPNSG_10value_typeET0_PNSt15iterator_traitsISJ_E10value_typeEmT1_T2_,"axG",@progbits,_ZN7rocprim17ROCPRIM_400000_NS6detail30init_device_scan_by_key_kernelINS1_19lookback_scan_stateINS0_5tupleIJjbEEELb0ELb1EEEN6thrust23THRUST_200600_302600_NS6detail15normal_iteratorINS8_10device_ptrIjEEEEjNS1_16block_id_wrapperIjLb0EEEEEvT_jjPNSG_10value_typeET0_PNSt15iterator_traitsISJ_E10value_typeEmT1_T2_,comdat
.Lfunc_end1825:
	.size	_ZN7rocprim17ROCPRIM_400000_NS6detail30init_device_scan_by_key_kernelINS1_19lookback_scan_stateINS0_5tupleIJjbEEELb0ELb1EEEN6thrust23THRUST_200600_302600_NS6detail15normal_iteratorINS8_10device_ptrIjEEEEjNS1_16block_id_wrapperIjLb0EEEEEvT_jjPNSG_10value_typeET0_PNSt15iterator_traitsISJ_E10value_typeEmT1_T2_, .Lfunc_end1825-_ZN7rocprim17ROCPRIM_400000_NS6detail30init_device_scan_by_key_kernelINS1_19lookback_scan_stateINS0_5tupleIJjbEEELb0ELb1EEEN6thrust23THRUST_200600_302600_NS6detail15normal_iteratorINS8_10device_ptrIjEEEEjNS1_16block_id_wrapperIjLb0EEEEEvT_jjPNSG_10value_typeET0_PNSt15iterator_traitsISJ_E10value_typeEmT1_T2_
                                        ; -- End function
	.set _ZN7rocprim17ROCPRIM_400000_NS6detail30init_device_scan_by_key_kernelINS1_19lookback_scan_stateINS0_5tupleIJjbEEELb0ELb1EEEN6thrust23THRUST_200600_302600_NS6detail15normal_iteratorINS8_10device_ptrIjEEEEjNS1_16block_id_wrapperIjLb0EEEEEvT_jjPNSG_10value_typeET0_PNSt15iterator_traitsISJ_E10value_typeEmT1_T2_.num_vgpr, 10
	.set _ZN7rocprim17ROCPRIM_400000_NS6detail30init_device_scan_by_key_kernelINS1_19lookback_scan_stateINS0_5tupleIJjbEEELb0ELb1EEEN6thrust23THRUST_200600_302600_NS6detail15normal_iteratorINS8_10device_ptrIjEEEEjNS1_16block_id_wrapperIjLb0EEEEEvT_jjPNSG_10value_typeET0_PNSt15iterator_traitsISJ_E10value_typeEmT1_T2_.num_agpr, 0
	.set _ZN7rocprim17ROCPRIM_400000_NS6detail30init_device_scan_by_key_kernelINS1_19lookback_scan_stateINS0_5tupleIJjbEEELb0ELb1EEEN6thrust23THRUST_200600_302600_NS6detail15normal_iteratorINS8_10device_ptrIjEEEEjNS1_16block_id_wrapperIjLb0EEEEEvT_jjPNSG_10value_typeET0_PNSt15iterator_traitsISJ_E10value_typeEmT1_T2_.numbered_sgpr, 17
	.set _ZN7rocprim17ROCPRIM_400000_NS6detail30init_device_scan_by_key_kernelINS1_19lookback_scan_stateINS0_5tupleIJjbEEELb0ELb1EEEN6thrust23THRUST_200600_302600_NS6detail15normal_iteratorINS8_10device_ptrIjEEEEjNS1_16block_id_wrapperIjLb0EEEEEvT_jjPNSG_10value_typeET0_PNSt15iterator_traitsISJ_E10value_typeEmT1_T2_.num_named_barrier, 0
	.set _ZN7rocprim17ROCPRIM_400000_NS6detail30init_device_scan_by_key_kernelINS1_19lookback_scan_stateINS0_5tupleIJjbEEELb0ELb1EEEN6thrust23THRUST_200600_302600_NS6detail15normal_iteratorINS8_10device_ptrIjEEEEjNS1_16block_id_wrapperIjLb0EEEEEvT_jjPNSG_10value_typeET0_PNSt15iterator_traitsISJ_E10value_typeEmT1_T2_.private_seg_size, 0
	.set _ZN7rocprim17ROCPRIM_400000_NS6detail30init_device_scan_by_key_kernelINS1_19lookback_scan_stateINS0_5tupleIJjbEEELb0ELb1EEEN6thrust23THRUST_200600_302600_NS6detail15normal_iteratorINS8_10device_ptrIjEEEEjNS1_16block_id_wrapperIjLb0EEEEEvT_jjPNSG_10value_typeET0_PNSt15iterator_traitsISJ_E10value_typeEmT1_T2_.uses_vcc, 1
	.set _ZN7rocprim17ROCPRIM_400000_NS6detail30init_device_scan_by_key_kernelINS1_19lookback_scan_stateINS0_5tupleIJjbEEELb0ELb1EEEN6thrust23THRUST_200600_302600_NS6detail15normal_iteratorINS8_10device_ptrIjEEEEjNS1_16block_id_wrapperIjLb0EEEEEvT_jjPNSG_10value_typeET0_PNSt15iterator_traitsISJ_E10value_typeEmT1_T2_.uses_flat_scratch, 0
	.set _ZN7rocprim17ROCPRIM_400000_NS6detail30init_device_scan_by_key_kernelINS1_19lookback_scan_stateINS0_5tupleIJjbEEELb0ELb1EEEN6thrust23THRUST_200600_302600_NS6detail15normal_iteratorINS8_10device_ptrIjEEEEjNS1_16block_id_wrapperIjLb0EEEEEvT_jjPNSG_10value_typeET0_PNSt15iterator_traitsISJ_E10value_typeEmT1_T2_.has_dyn_sized_stack, 0
	.set _ZN7rocprim17ROCPRIM_400000_NS6detail30init_device_scan_by_key_kernelINS1_19lookback_scan_stateINS0_5tupleIJjbEEELb0ELb1EEEN6thrust23THRUST_200600_302600_NS6detail15normal_iteratorINS8_10device_ptrIjEEEEjNS1_16block_id_wrapperIjLb0EEEEEvT_jjPNSG_10value_typeET0_PNSt15iterator_traitsISJ_E10value_typeEmT1_T2_.has_recursion, 0
	.set _ZN7rocprim17ROCPRIM_400000_NS6detail30init_device_scan_by_key_kernelINS1_19lookback_scan_stateINS0_5tupleIJjbEEELb0ELb1EEEN6thrust23THRUST_200600_302600_NS6detail15normal_iteratorINS8_10device_ptrIjEEEEjNS1_16block_id_wrapperIjLb0EEEEEvT_jjPNSG_10value_typeET0_PNSt15iterator_traitsISJ_E10value_typeEmT1_T2_.has_indirect_call, 0
	.section	.AMDGPU.csdata,"",@progbits
; Kernel info:
; codeLenInByte = 584
; TotalNumSgprs: 19
; NumVgprs: 10
; ScratchSize: 0
; MemoryBound: 0
; FloatMode: 240
; IeeeMode: 1
; LDSByteSize: 0 bytes/workgroup (compile time only)
; SGPRBlocks: 0
; VGPRBlocks: 0
; NumSGPRsForWavesPerEU: 19
; NumVGPRsForWavesPerEU: 10
; NamedBarCnt: 0
; Occupancy: 16
; WaveLimiterHint : 0
; COMPUTE_PGM_RSRC2:SCRATCH_EN: 0
; COMPUTE_PGM_RSRC2:USER_SGPR: 2
; COMPUTE_PGM_RSRC2:TRAP_HANDLER: 0
; COMPUTE_PGM_RSRC2:TGID_X_EN: 1
; COMPUTE_PGM_RSRC2:TGID_Y_EN: 0
; COMPUTE_PGM_RSRC2:TGID_Z_EN: 0
; COMPUTE_PGM_RSRC2:TIDIG_COMP_CNT: 0
	.section	.text._ZN7rocprim17ROCPRIM_400000_NS6detail17trampoline_kernelINS0_14default_configENS1_27scan_by_key_config_selectorIjjEEZZNS1_16scan_by_key_implILNS1_25lookback_scan_determinismE0ELb0ES3_N6thrust23THRUST_200600_302600_NS6detail15normal_iteratorINS9_10device_ptrIjEEEESE_SE_jNS9_4plusIvEENS9_8equal_toIvEEjEE10hipError_tPvRmT2_T3_T4_T5_mT6_T7_P12ihipStream_tbENKUlT_T0_E_clISt17integral_constantIbLb0EESZ_EEDaSU_SV_EUlSU_E_NS1_11comp_targetILNS1_3genE0ELNS1_11target_archE4294967295ELNS1_3gpuE0ELNS1_3repE0EEENS1_30default_config_static_selectorELNS0_4arch9wavefront6targetE0EEEvT1_,"axG",@progbits,_ZN7rocprim17ROCPRIM_400000_NS6detail17trampoline_kernelINS0_14default_configENS1_27scan_by_key_config_selectorIjjEEZZNS1_16scan_by_key_implILNS1_25lookback_scan_determinismE0ELb0ES3_N6thrust23THRUST_200600_302600_NS6detail15normal_iteratorINS9_10device_ptrIjEEEESE_SE_jNS9_4plusIvEENS9_8equal_toIvEEjEE10hipError_tPvRmT2_T3_T4_T5_mT6_T7_P12ihipStream_tbENKUlT_T0_E_clISt17integral_constantIbLb0EESZ_EEDaSU_SV_EUlSU_E_NS1_11comp_targetILNS1_3genE0ELNS1_11target_archE4294967295ELNS1_3gpuE0ELNS1_3repE0EEENS1_30default_config_static_selectorELNS0_4arch9wavefront6targetE0EEEvT1_,comdat
	.protected	_ZN7rocprim17ROCPRIM_400000_NS6detail17trampoline_kernelINS0_14default_configENS1_27scan_by_key_config_selectorIjjEEZZNS1_16scan_by_key_implILNS1_25lookback_scan_determinismE0ELb0ES3_N6thrust23THRUST_200600_302600_NS6detail15normal_iteratorINS9_10device_ptrIjEEEESE_SE_jNS9_4plusIvEENS9_8equal_toIvEEjEE10hipError_tPvRmT2_T3_T4_T5_mT6_T7_P12ihipStream_tbENKUlT_T0_E_clISt17integral_constantIbLb0EESZ_EEDaSU_SV_EUlSU_E_NS1_11comp_targetILNS1_3genE0ELNS1_11target_archE4294967295ELNS1_3gpuE0ELNS1_3repE0EEENS1_30default_config_static_selectorELNS0_4arch9wavefront6targetE0EEEvT1_ ; -- Begin function _ZN7rocprim17ROCPRIM_400000_NS6detail17trampoline_kernelINS0_14default_configENS1_27scan_by_key_config_selectorIjjEEZZNS1_16scan_by_key_implILNS1_25lookback_scan_determinismE0ELb0ES3_N6thrust23THRUST_200600_302600_NS6detail15normal_iteratorINS9_10device_ptrIjEEEESE_SE_jNS9_4plusIvEENS9_8equal_toIvEEjEE10hipError_tPvRmT2_T3_T4_T5_mT6_T7_P12ihipStream_tbENKUlT_T0_E_clISt17integral_constantIbLb0EESZ_EEDaSU_SV_EUlSU_E_NS1_11comp_targetILNS1_3genE0ELNS1_11target_archE4294967295ELNS1_3gpuE0ELNS1_3repE0EEENS1_30default_config_static_selectorELNS0_4arch9wavefront6targetE0EEEvT1_
	.globl	_ZN7rocprim17ROCPRIM_400000_NS6detail17trampoline_kernelINS0_14default_configENS1_27scan_by_key_config_selectorIjjEEZZNS1_16scan_by_key_implILNS1_25lookback_scan_determinismE0ELb0ES3_N6thrust23THRUST_200600_302600_NS6detail15normal_iteratorINS9_10device_ptrIjEEEESE_SE_jNS9_4plusIvEENS9_8equal_toIvEEjEE10hipError_tPvRmT2_T3_T4_T5_mT6_T7_P12ihipStream_tbENKUlT_T0_E_clISt17integral_constantIbLb0EESZ_EEDaSU_SV_EUlSU_E_NS1_11comp_targetILNS1_3genE0ELNS1_11target_archE4294967295ELNS1_3gpuE0ELNS1_3repE0EEENS1_30default_config_static_selectorELNS0_4arch9wavefront6targetE0EEEvT1_
	.p2align	8
	.type	_ZN7rocprim17ROCPRIM_400000_NS6detail17trampoline_kernelINS0_14default_configENS1_27scan_by_key_config_selectorIjjEEZZNS1_16scan_by_key_implILNS1_25lookback_scan_determinismE0ELb0ES3_N6thrust23THRUST_200600_302600_NS6detail15normal_iteratorINS9_10device_ptrIjEEEESE_SE_jNS9_4plusIvEENS9_8equal_toIvEEjEE10hipError_tPvRmT2_T3_T4_T5_mT6_T7_P12ihipStream_tbENKUlT_T0_E_clISt17integral_constantIbLb0EESZ_EEDaSU_SV_EUlSU_E_NS1_11comp_targetILNS1_3genE0ELNS1_11target_archE4294967295ELNS1_3gpuE0ELNS1_3repE0EEENS1_30default_config_static_selectorELNS0_4arch9wavefront6targetE0EEEvT1_,@function
_ZN7rocprim17ROCPRIM_400000_NS6detail17trampoline_kernelINS0_14default_configENS1_27scan_by_key_config_selectorIjjEEZZNS1_16scan_by_key_implILNS1_25lookback_scan_determinismE0ELb0ES3_N6thrust23THRUST_200600_302600_NS6detail15normal_iteratorINS9_10device_ptrIjEEEESE_SE_jNS9_4plusIvEENS9_8equal_toIvEEjEE10hipError_tPvRmT2_T3_T4_T5_mT6_T7_P12ihipStream_tbENKUlT_T0_E_clISt17integral_constantIbLb0EESZ_EEDaSU_SV_EUlSU_E_NS1_11comp_targetILNS1_3genE0ELNS1_11target_archE4294967295ELNS1_3gpuE0ELNS1_3repE0EEENS1_30default_config_static_selectorELNS0_4arch9wavefront6targetE0EEEvT1_: ; @_ZN7rocprim17ROCPRIM_400000_NS6detail17trampoline_kernelINS0_14default_configENS1_27scan_by_key_config_selectorIjjEEZZNS1_16scan_by_key_implILNS1_25lookback_scan_determinismE0ELb0ES3_N6thrust23THRUST_200600_302600_NS6detail15normal_iteratorINS9_10device_ptrIjEEEESE_SE_jNS9_4plusIvEENS9_8equal_toIvEEjEE10hipError_tPvRmT2_T3_T4_T5_mT6_T7_P12ihipStream_tbENKUlT_T0_E_clISt17integral_constantIbLb0EESZ_EEDaSU_SV_EUlSU_E_NS1_11comp_targetILNS1_3genE0ELNS1_11target_archE4294967295ELNS1_3gpuE0ELNS1_3repE0EEENS1_30default_config_static_selectorELNS0_4arch9wavefront6targetE0EEEvT1_
; %bb.0:
	s_clause 0x3
	s_load_b256 s[8:15], s[0:1], 0x0
	s_load_b256 s[16:23], s[0:1], 0x48
	s_load_b96 s[28:30], s[0:1], 0x38
	s_load_b128 s[24:27], s[0:1], 0x28
	s_getreg_b32 s4, hwreg(HW_REG_IB_STS2, 6, 4)
	s_wait_xcnt 0x0
	s_mov_b32 s1, 0
	s_barrier_signal -1
	s_barrier_wait -1
	s_wait_kmcnt 0x0
	s_lshl_b64 s[34:35], s[10:11], 2
	s_cmp_lg_u64 s[20:21], 0
	s_mov_b32 s0, s30
	s_cselect_b32 s33, -1, 0
	s_bfe_u32 s2, ttmp6, 0x4000c
	s_and_b32 s5, ttmp6, 15
	s_add_co_i32 s2, s2, 1
	s_mov_b32 s21, s1
	s_mul_i32 s6, ttmp9, s2
	s_add_nc_u64 s[2:3], s[8:9], s[34:35]
	s_add_co_i32 s6, s5, s6
	s_cmp_eq_u32 s4, 0
	s_mul_u64 s[4:5], s[28:29], s[0:1]
	s_cselect_b32 s20, ttmp9, s6
	s_add_nc_u64 s[6:7], s[12:13], s[34:35]
	s_add_nc_u64 s[36:37], s[4:5], s[20:21]
	s_add_nc_u64 s[4:5], s[16:17], -1
	s_mul_i32 s0, s20, 0xc00
	v_cmp_ge_u64_e64 s21, s[36:37], s[4:5]
	s_lshl_b64 s[16:17], s[0:1], 2
	s_mul_i32 s27, s4, 0xfffff400
	s_add_nc_u64 s[30:31], s[2:3], s[16:17]
	s_add_nc_u64 s[12:13], s[6:7], s[16:17]
	s_and_b32 vcc_lo, exec_lo, s21
	s_cbranch_vccz .LBB1826_28
; %bb.1:
	v_mov_b32_e32 v1, 0
	s_add_co_i32 s40, s27, s26
	s_delay_alu instid0(SALU_CYCLE_1)
	v_cmp_gt_u32_e64 s0, s40, v0
	flat_load_b32 v1, v1, s[30:31]
	s_wait_loadcnt_dscnt 0x0
	v_mov_b32_e32 v2, v1
	s_and_saveexec_b32 s1, s0
	s_cbranch_execz .LBB1826_3
; %bb.2:
	flat_load_b32 v2, v0, s[30:31] scale_offset
.LBB1826_3:
	s_wait_xcnt 0x0
	s_or_b32 exec_lo, exec_lo, s1
	v_or_b32_e32 v3, 0x100, v0
	v_mov_b32_e32 v4, v1
	s_delay_alu instid0(VALU_DEP_2)
	v_cmp_gt_u32_e64 s1, s40, v3
	s_and_saveexec_b32 s2, s1
	s_cbranch_execz .LBB1826_5
; %bb.4:
	flat_load_b32 v4, v0, s[30:31] offset:1024 scale_offset
.LBB1826_5:
	s_wait_xcnt 0x0
	s_or_b32 exec_lo, exec_lo, s2
	v_or_b32_e32 v3, 0x200, v0
	v_mov_b32_e32 v5, v1
	s_delay_alu instid0(VALU_DEP_2)
	v_cmp_gt_u32_e64 s2, s40, v3
	s_and_saveexec_b32 s3, s2
	s_cbranch_execz .LBB1826_7
; %bb.6:
	flat_load_b32 v5, v0, s[30:31] offset:2048 scale_offset
.LBB1826_7:
	;; [unrolled: 11-line block ×10, first 2 shown]
	s_wait_xcnt 0x0
	s_or_b32 exec_lo, exec_lo, s11
	v_or_b32_e32 v3, 0xb00, v0
	s_mov_b32 s38, exec_lo
	s_delay_alu instid0(VALU_DEP_1) | instskip(SKIP_2) | instid1(SALU_CYCLE_1)
	v_cmp_gt_u32_e64 s11, s40, v3
	v_cmpx_le_u32_e64 s40, v3
	s_xor_b32 s38, exec_lo, s38
	s_and_not1_saveexec_b32 s38, s38
	s_cbranch_execz .LBB1826_25
; %bb.24:
	flat_load_b32 v1, v0, s[30:31] offset:11264 scale_offset
.LBB1826_25:
	s_wait_xcnt 0x0
	s_or_b32 exec_lo, exec_lo, s38
	v_lshlrev_b32_e32 v3, 2, v0
	s_cmp_eq_u64 s[36:37], 0
	s_mov_b64 s[38:39], s[30:31]
	s_wait_loadcnt_dscnt 0x0
	ds_store_2addr_stride64_b32 v3, v2, v4 offset1:4
	ds_store_2addr_stride64_b32 v3, v5, v6 offset0:8 offset1:12
	ds_store_2addr_stride64_b32 v3, v7, v8 offset0:16 offset1:20
	;; [unrolled: 1-line block ×5, first 2 shown]
	v_mad_u32_u24 v1, v0, 44, v3
	s_wait_dscnt 0x0
	s_barrier_signal -1
	s_barrier_wait -1
	ds_load_b128 v[14:17], v1
	ds_load_b128 v[10:13], v1 offset:16
	ds_load_b128 v[6:9], v1 offset:32
	s_cbranch_scc1 .LBB1826_31
; %bb.26:
	s_and_not1_b32 vcc_lo, exec_lo, s33
	s_cbranch_vccnz .LBB1826_29
; %bb.27:
	s_lshl_b64 s[38:39], s[36:37], 2
	s_mov_b32 s41, 0
	s_add_nc_u64 s[38:39], s[22:23], s[38:39]
	s_delay_alu instid0(SALU_CYCLE_1)
	s_add_nc_u64 s[38:39], s[38:39], -4
	s_branch .LBB1826_30
.LBB1826_28:
                                        ; implicit-def: $sgpr3
                                        ; implicit-def: $vgpr5
                                        ; implicit-def: $vgpr18_vgpr19
                                        ; implicit-def: $vgpr42_vgpr43
                                        ; implicit-def: $vgpr46_vgpr47
                                        ; implicit-def: $vgpr44_vgpr45
                                        ; implicit-def: $vgpr48_vgpr49
                                        ; implicit-def: $vgpr50_vgpr51
                                        ; implicit-def: $vgpr52_vgpr53
                                        ; implicit-def: $vgpr54_vgpr55
                                        ; implicit-def: $vgpr56_vgpr57
                                        ; implicit-def: $vgpr58_vgpr59
                                        ; implicit-def: $vgpr38_vgpr39
                                        ; implicit-def: $vgpr36_vgpr37
                                        ; implicit-def: $vgpr34_vgpr35
                                        ; implicit-def: $vgpr32_vgpr33
                                        ; implicit-def: $vgpr30_vgpr31
                                        ; implicit-def: $vgpr28_vgpr29
                                        ; implicit-def: $vgpr26_vgpr27
                                        ; implicit-def: $vgpr24_vgpr25
                                        ; implicit-def: $vgpr22_vgpr23
                                        ; implicit-def: $vgpr20_vgpr21
	v_lshlrev_b32_e32 v16, 2, v0
	s_cbranch_execnz .LBB1826_69
	s_branch .LBB1826_88
.LBB1826_29:
	s_add_nc_u64 s[38:39], s[30:31], -4
	s_mov_b32 s41, -1
.LBB1826_30:
	s_delay_alu instid0(SALU_CYCLE_1)
	s_and_not1_b32 vcc_lo, exec_lo, s41
.LBB1826_31:
	v_mov_b32_e32 v2, 0
	v_mad_i32_i24 v4, 0xffffffd4, v0, v1
	flat_load_b32 v2, v2, s[38:39]
	s_wait_xcnt 0x0
	s_mov_b32 s38, exec_lo
	s_wait_dscnt 0x1
	ds_store_b32 v4, v9 offset:12288
	s_wait_loadcnt_dscnt 0x0
	s_barrier_signal -1
	s_barrier_wait -1
	v_cmpx_ne_u32_e32 0, v0
; %bb.32:
	v_mul_i32_i24_e32 v2, 0xffffffd4, v0
	s_delay_alu instid0(VALU_DEP_1)
	v_add_nc_u32_e32 v2, v1, v2
	ds_load_b32 v2, v2 offset:12284
; %bb.33:
	s_or_b32 exec_lo, exec_lo, s38
	s_wait_dscnt 0x0
	s_barrier_signal -1
	s_barrier_wait -1
                                        ; implicit-def: $vgpr5
	s_and_saveexec_b32 s38, s0
	s_cbranch_execnz .LBB1826_72
; %bb.34:
	s_or_b32 exec_lo, exec_lo, s38
                                        ; implicit-def: $vgpr18
	s_and_saveexec_b32 s0, s1
	s_cbranch_execnz .LBB1826_73
.LBB1826_35:
	s_or_b32 exec_lo, exec_lo, s0
                                        ; implicit-def: $vgpr19
	s_and_saveexec_b32 s0, s2
	s_cbranch_execnz .LBB1826_74
.LBB1826_36:
	s_or_b32 exec_lo, exec_lo, s0
                                        ; implicit-def: $vgpr20
	s_and_saveexec_b32 s0, s3
	s_cbranch_execnz .LBB1826_75
.LBB1826_37:
	s_or_b32 exec_lo, exec_lo, s0
                                        ; implicit-def: $vgpr21
	s_and_saveexec_b32 s0, s4
	s_cbranch_execnz .LBB1826_76
.LBB1826_38:
	s_or_b32 exec_lo, exec_lo, s0
                                        ; implicit-def: $vgpr22
	s_and_saveexec_b32 s0, s5
	s_cbranch_execnz .LBB1826_77
.LBB1826_39:
	s_or_b32 exec_lo, exec_lo, s0
                                        ; implicit-def: $vgpr23
	s_and_saveexec_b32 s0, s6
	s_cbranch_execnz .LBB1826_78
.LBB1826_40:
	s_or_b32 exec_lo, exec_lo, s0
                                        ; implicit-def: $vgpr24
	s_and_saveexec_b32 s0, s7
	s_cbranch_execnz .LBB1826_79
.LBB1826_41:
	s_or_b32 exec_lo, exec_lo, s0
                                        ; implicit-def: $vgpr25
	s_and_saveexec_b32 s0, s8
	s_cbranch_execnz .LBB1826_80
.LBB1826_42:
	s_or_b32 exec_lo, exec_lo, s0
                                        ; implicit-def: $vgpr26
	s_and_saveexec_b32 s0, s9
	s_cbranch_execnz .LBB1826_81
.LBB1826_43:
	s_or_b32 exec_lo, exec_lo, s0
                                        ; implicit-def: $vgpr27
	s_and_saveexec_b32 s0, s10
	s_cbranch_execnz .LBB1826_82
.LBB1826_44:
	s_or_b32 exec_lo, exec_lo, s0
                                        ; implicit-def: $vgpr28
	s_and_saveexec_b32 s0, s11
	s_cbranch_execz .LBB1826_46
.LBB1826_45:
	flat_load_b32 v28, v0, s[12:13] offset:11264 scale_offset
.LBB1826_46:
	s_wait_xcnt 0x0
	s_or_b32 exec_lo, exec_lo, s0
	s_wait_loadcnt_dscnt 0x0
	ds_store_2addr_stride64_b32 v3, v5, v18 offset1:4
	ds_store_2addr_stride64_b32 v3, v19, v20 offset0:8 offset1:12
	ds_store_2addr_stride64_b32 v3, v21, v22 offset0:16 offset1:20
	;; [unrolled: 1-line block ×5, first 2 shown]
	v_mov_b64_e32 v[18:19], 0
	v_mov_b64_e32 v[42:43], 0
	;; [unrolled: 1-line block ×20, first 2 shown]
	v_mul_u32_u24_e32 v4, 12, v0
	s_mov_b32 s2, 0
	s_mov_b32 s1, 0
	s_mov_b32 s4, exec_lo
	s_wait_dscnt 0x0
	s_barrier_signal -1
	s_barrier_wait -1
                                        ; implicit-def: $sgpr3
                                        ; implicit-def: $vgpr5
	v_cmpx_gt_u32_e64 s40, v4
	s_cbranch_execz .LBB1826_68
; %bb.47:
	ds_load_b32 v18, v1
	v_cmp_ne_u32_e32 vcc_lo, v2, v14
	v_mov_b64_e32 v[42:43], 0
	v_mov_b64_e32 v[46:47], 0
	;; [unrolled: 1-line block ×18, first 2 shown]
	v_or_b32_e32 v3, 1, v4
	v_cndmask_b32_e64 v19, 0, 1, vcc_lo
	s_mov_b32 s0, 0
	s_mov_b32 s1, exec_lo
                                        ; implicit-def: $sgpr3
                                        ; implicit-def: $vgpr5
	s_delay_alu instid0(VALU_DEP_2)
	v_cmpx_gt_u32_e64 s40, v3
	s_cbranch_execz .LBB1826_67
; %bb.48:
	ds_load_2addr_b32 v[42:43], v1 offset0:1 offset1:2
	v_cmp_ne_u32_e32 vcc_lo, v14, v15
	v_mov_b64_e32 v[46:47], 0
	v_mov_b64_e32 v[44:45], 0
	;; [unrolled: 1-line block ×16, first 2 shown]
	v_or_b32_e32 v3, 2, v4
	v_cndmask_b32_e64 v2, 0, 1, vcc_lo
	s_mov_b32 s5, exec_lo
                                        ; implicit-def: $sgpr3
                                        ; implicit-def: $vgpr5
	s_delay_alu instid0(VALU_DEP_2)
	v_cmpx_gt_u32_e64 s40, v3
	s_cbranch_execz .LBB1826_66
; %bb.49:
	v_cmp_ne_u32_e32 vcc_lo, v15, v16
	v_mov_b64_e32 v[44:45], 0
	v_mov_b64_e32 v[48:49], 0
	;; [unrolled: 1-line block ×14, first 2 shown]
	v_or_b32_e32 v3, 3, v4
	v_cndmask_b32_e64 v47, 0, 1, vcc_lo
	s_mov_b32 s6, exec_lo
                                        ; implicit-def: $sgpr3
                                        ; implicit-def: $vgpr5
	s_delay_alu instid0(VALU_DEP_2)
	v_cmpx_gt_u32_e64 s40, v3
	s_cbranch_execz .LBB1826_65
; %bb.50:
	ds_load_2addr_b32 v[44:45], v1 offset0:3 offset1:4
	v_add_nc_u32_e32 v5, 4, v4
	v_cmp_ne_u32_e32 vcc_lo, v16, v17
	v_mov_b64_e32 v[48:49], 0
	v_mov_b64_e32 v[50:51], 0
	;; [unrolled: 1-line block ×12, first 2 shown]
	v_cndmask_b32_e64 v3, 0, 1, vcc_lo
	v_cmp_gt_u32_e32 vcc_lo, s40, v5
                                        ; implicit-def: $sgpr3
                                        ; implicit-def: $vgpr5
	s_and_saveexec_b32 s7, vcc_lo
	s_cbranch_execz .LBB1826_64
; %bb.51:
	v_add_nc_u32_e32 v5, 5, v4
	v_cmp_ne_u32_e32 vcc_lo, v17, v10
	v_mov_b64_e32 v[50:51], 0
	v_mov_b64_e32 v[52:53], 0
	v_mov_b64_e32 v[54:55], 0
	v_mov_b64_e32 v[56:57], 0
	v_mov_b64_e32 v[58:59], 0
	v_mov_b64_e32 v[28:29], 0
	v_mov_b64_e32 v[26:27], 0
	v_mov_b64_e32 v[24:25], 0
	v_mov_b64_e32 v[22:23], 0
	v_mov_b64_e32 v[20:21], 0
	v_cndmask_b32_e64 v49, 0, 1, vcc_lo
	v_cmp_gt_u32_e32 vcc_lo, s40, v5
                                        ; implicit-def: $sgpr3
                                        ; implicit-def: $vgpr5
	s_and_saveexec_b32 s8, vcc_lo
	s_cbranch_execz .LBB1826_63
; %bb.52:
	ds_load_2addr_b32 v[50:51], v1 offset0:5 offset1:6
	v_add_nc_u32_e32 v5, 6, v4
	v_cmp_ne_u32_e32 vcc_lo, v10, v11
	v_mov_b64_e32 v[52:53], 0
	v_mov_b64_e32 v[54:55], 0
	;; [unrolled: 1-line block ×8, first 2 shown]
	v_cndmask_b32_e64 v10, 0, 1, vcc_lo
	v_cmp_gt_u32_e32 vcc_lo, s40, v5
                                        ; implicit-def: $sgpr3
                                        ; implicit-def: $vgpr5
	s_and_saveexec_b32 s9, vcc_lo
	s_cbranch_execz .LBB1826_62
; %bb.53:
	v_add_nc_u32_e32 v5, 7, v4
	v_cmp_ne_u32_e32 vcc_lo, v11, v12
	v_mov_b64_e32 v[54:55], 0
	v_mov_b64_e32 v[56:57], 0
	;; [unrolled: 1-line block ×6, first 2 shown]
	v_cndmask_b32_e64 v53, 0, 1, vcc_lo
	v_cmp_gt_u32_e32 vcc_lo, s40, v5
                                        ; implicit-def: $sgpr3
                                        ; implicit-def: $vgpr5
	s_and_saveexec_b32 s10, vcc_lo
	s_cbranch_execz .LBB1826_61
; %bb.54:
	ds_load_2addr_b32 v[54:55], v1 offset0:7 offset1:8
	v_add_nc_u32_e32 v5, 8, v4
	v_cmp_ne_u32_e32 vcc_lo, v12, v13
	v_mov_b64_e32 v[56:57], 0
	v_mov_b64_e32 v[58:59], 0
	;; [unrolled: 1-line block ×4, first 2 shown]
	v_cndmask_b32_e64 v11, 0, 1, vcc_lo
	v_cmp_gt_u32_e32 vcc_lo, s40, v5
                                        ; implicit-def: $sgpr3
                                        ; implicit-def: $vgpr5
	s_and_saveexec_b32 s11, vcc_lo
	s_cbranch_execz .LBB1826_60
; %bb.55:
	v_add_nc_u32_e32 v5, 9, v4
	v_cmp_ne_u32_e32 vcc_lo, v13, v6
	v_mov_b64_e32 v[58:59], 0
	v_mov_b64_e32 v[20:21], 0
                                        ; implicit-def: $sgpr3
	v_cndmask_b32_e64 v57, 0, 1, vcc_lo
	v_cmp_gt_u32_e32 vcc_lo, s40, v5
                                        ; implicit-def: $vgpr5
	s_and_saveexec_b32 s38, vcc_lo
	s_cbranch_execz .LBB1826_59
; %bb.56:
	ds_load_2addr_b32 v[58:59], v1 offset0:9 offset1:10
	v_add_nc_u32_e32 v5, 10, v4
	v_cmp_ne_u32_e32 vcc_lo, v6, v7
	v_mov_b64_e32 v[20:21], 0
                                        ; implicit-def: $sgpr3
	v_cndmask_b32_e64 v6, 0, 1, vcc_lo
	s_delay_alu instid0(VALU_DEP_4) | instskip(SKIP_1) | instid1(SALU_CYCLE_1)
	v_cmp_gt_u32_e32 vcc_lo, s40, v5
                                        ; implicit-def: $vgpr5
	s_and_saveexec_b32 s39, vcc_lo
	s_xor_b32 s39, exec_lo, s39
	s_cbranch_execz .LBB1826_58
; %bb.57:
	ds_load_b32 v5, v1 offset:44
	s_wait_dscnt 0x1
	v_dual_mov_b32 v20, v59 :: v_dual_add_nc_u32 v1, 11, v4
	v_cmp_ne_u32_e64 s0, v7, v8
	v_cmp_ne_u32_e64 s3, v8, v9
	s_delay_alu instid0(VALU_DEP_3) | instskip(NEXT) | instid1(VALU_DEP_3)
	v_cmp_gt_u32_e32 vcc_lo, s40, v1
	v_cndmask_b32_e64 v21, 0, 1, s0
	s_and_b32 s0, vcc_lo, exec_lo
.LBB1826_58:
	s_or_b32 exec_lo, exec_lo, s39
	s_wait_dscnt 0x0
	v_mov_b32_e32 v59, v6
	s_and_b32 s0, s0, exec_lo
.LBB1826_59:
	s_or_b32 exec_lo, exec_lo, s38
	s_delay_alu instid0(VALU_DEP_1)
	v_mov_b64_e32 v[22:23], v[58:59]
	s_wait_dscnt 0x0
	v_mov_b32_e32 v56, v55
	s_and_b32 s0, s0, exec_lo
.LBB1826_60:
	s_or_b32 exec_lo, exec_lo, s11
	s_delay_alu instid0(VALU_DEP_1)
	v_mov_b64_e32 v[24:25], v[56:57]
	s_wait_dscnt 0x0
	v_mov_b32_e32 v55, v11
	s_and_b32 s0, s0, exec_lo
.LBB1826_61:
	s_or_b32 exec_lo, exec_lo, s10
	s_delay_alu instid0(VALU_DEP_1)
	v_mov_b64_e32 v[26:27], v[54:55]
	s_wait_dscnt 0x0
	v_mov_b32_e32 v52, v51
	s_and_b32 s0, s0, exec_lo
.LBB1826_62:
	s_or_b32 exec_lo, exec_lo, s9
	s_delay_alu instid0(VALU_DEP_1)
	v_mov_b64_e32 v[28:29], v[52:53]
	s_wait_dscnt 0x0
	v_mov_b32_e32 v51, v10
	s_and_b32 s0, s0, exec_lo
.LBB1826_63:
	s_or_b32 exec_lo, exec_lo, s8
	s_delay_alu instid0(VALU_DEP_1)
	v_mov_b64_e32 v[30:31], v[50:51]
	s_wait_dscnt 0x0
	v_mov_b32_e32 v48, v45
	s_and_b32 s0, s0, exec_lo
.LBB1826_64:
	s_or_b32 exec_lo, exec_lo, s7
	s_delay_alu instid0(VALU_DEP_1)
	v_mov_b64_e32 v[32:33], v[48:49]
	s_wait_dscnt 0x0
	v_mov_b32_e32 v45, v3
	s_and_b32 s0, s0, exec_lo
.LBB1826_65:
	s_or_b32 exec_lo, exec_lo, s6
	s_delay_alu instid0(VALU_DEP_1)
	v_mov_b64_e32 v[34:35], v[44:45]
	s_wait_dscnt 0x0
	v_mov_b32_e32 v46, v43
	s_and_b32 s0, s0, exec_lo
.LBB1826_66:
	s_or_b32 exec_lo, exec_lo, s5
	s_delay_alu instid0(VALU_DEP_1)
	v_mov_b64_e32 v[36:37], v[46:47]
	s_wait_dscnt 0x0
	v_mov_b32_e32 v43, v2
	s_and_b32 s0, s0, exec_lo
.LBB1826_67:
	s_or_b32 exec_lo, exec_lo, s1
	s_delay_alu instid0(VALU_DEP_1)
	v_mov_b64_e32 v[38:39], v[42:43]
	s_and_b32 s1, s0, exec_lo
.LBB1826_68:
	s_or_b32 exec_lo, exec_lo, s4
	v_lshlrev_b32_e32 v16, 2, v0
	s_and_b32 vcc_lo, exec_lo, s2
	s_cbranch_vccz .LBB1826_88
.LBB1826_69:
	s_clause 0xb
	flat_load_b32 v2, v0, s[30:31] scale_offset
	flat_load_b32 v3, v0, s[30:31] offset:1024 scale_offset
	flat_load_b32 v4, v0, s[30:31] offset:2048 scale_offset
	;; [unrolled: 1-line block ×11, first 2 shown]
	v_mad_u32_u24 v1, v0, 44, v16
	v_mov_b32_e32 v14, 0
	s_cmp_eq_u64 s[36:37], 0
	s_wait_loadcnt_dscnt 0xa0a
	ds_store_2addr_stride64_b32 v16, v2, v3 offset1:4
	s_wait_loadcnt_dscnt 0x809
	ds_store_2addr_stride64_b32 v16, v4, v5 offset0:8 offset1:12
	s_wait_loadcnt_dscnt 0x608
	ds_store_2addr_stride64_b32 v16, v6, v7 offset0:16 offset1:20
	;; [unrolled: 2-line block ×5, first 2 shown]
	s_wait_dscnt 0x0
	s_barrier_signal -1
	s_barrier_wait -1
	ds_load_b128 v[2:5], v1
	ds_load_b128 v[10:13], v1 offset:16
	ds_load_b128 v[6:9], v1 offset:32
	s_cbranch_scc1 .LBB1826_85
; %bb.70:
	s_and_not1_b32 vcc_lo, exec_lo, s33
	s_cbranch_vccnz .LBB1826_83
; %bb.71:
	s_lshl_b64 s[0:1], s[36:37], 2
	s_delay_alu instid0(SALU_CYCLE_1) | instskip(NEXT) | instid1(SALU_CYCLE_1)
	s_add_nc_u64 s[0:1], s[22:23], s[0:1]
	s_add_nc_u64 s[30:31], s[0:1], -4
	s_mov_b32 s0, 0
	s_branch .LBB1826_84
.LBB1826_72:
	flat_load_b32 v5, v0, s[12:13] scale_offset
	s_wait_xcnt 0x0
	s_or_b32 exec_lo, exec_lo, s38
                                        ; implicit-def: $vgpr18
	s_and_saveexec_b32 s0, s1
	s_cbranch_execz .LBB1826_35
.LBB1826_73:
	flat_load_b32 v18, v0, s[12:13] offset:1024 scale_offset
	s_wait_xcnt 0x0
	s_or_b32 exec_lo, exec_lo, s0
                                        ; implicit-def: $vgpr19
	s_and_saveexec_b32 s0, s2
	s_cbranch_execz .LBB1826_36
.LBB1826_74:
	flat_load_b32 v19, v0, s[12:13] offset:2048 scale_offset
	s_wait_xcnt 0x0
	s_or_b32 exec_lo, exec_lo, s0
                                        ; implicit-def: $vgpr20
	s_and_saveexec_b32 s0, s3
	s_cbranch_execz .LBB1826_37
.LBB1826_75:
	flat_load_b32 v20, v0, s[12:13] offset:3072 scale_offset
	s_wait_xcnt 0x0
	s_or_b32 exec_lo, exec_lo, s0
                                        ; implicit-def: $vgpr21
	s_and_saveexec_b32 s0, s4
	s_cbranch_execz .LBB1826_38
.LBB1826_76:
	flat_load_b32 v21, v0, s[12:13] offset:4096 scale_offset
	s_wait_xcnt 0x0
	s_or_b32 exec_lo, exec_lo, s0
                                        ; implicit-def: $vgpr22
	s_and_saveexec_b32 s0, s5
	s_cbranch_execz .LBB1826_39
.LBB1826_77:
	flat_load_b32 v22, v0, s[12:13] offset:5120 scale_offset
	s_wait_xcnt 0x0
	s_or_b32 exec_lo, exec_lo, s0
                                        ; implicit-def: $vgpr23
	s_and_saveexec_b32 s0, s6
	s_cbranch_execz .LBB1826_40
.LBB1826_78:
	flat_load_b32 v23, v0, s[12:13] offset:6144 scale_offset
	s_wait_xcnt 0x0
	s_or_b32 exec_lo, exec_lo, s0
                                        ; implicit-def: $vgpr24
	s_and_saveexec_b32 s0, s7
	s_cbranch_execz .LBB1826_41
.LBB1826_79:
	flat_load_b32 v24, v0, s[12:13] offset:7168 scale_offset
	s_wait_xcnt 0x0
	s_or_b32 exec_lo, exec_lo, s0
                                        ; implicit-def: $vgpr25
	s_and_saveexec_b32 s0, s8
	s_cbranch_execz .LBB1826_42
.LBB1826_80:
	flat_load_b32 v25, v0, s[12:13] offset:8192 scale_offset
	s_wait_xcnt 0x0
	s_or_b32 exec_lo, exec_lo, s0
                                        ; implicit-def: $vgpr26
	s_and_saveexec_b32 s0, s9
	s_cbranch_execz .LBB1826_43
.LBB1826_81:
	flat_load_b32 v26, v0, s[12:13] offset:9216 scale_offset
	s_wait_xcnt 0x0
	s_or_b32 exec_lo, exec_lo, s0
                                        ; implicit-def: $vgpr27
	s_and_saveexec_b32 s0, s10
	s_cbranch_execz .LBB1826_44
.LBB1826_82:
	flat_load_b32 v27, v0, s[12:13] offset:10240 scale_offset
	s_wait_xcnt 0x0
	s_or_b32 exec_lo, exec_lo, s0
                                        ; implicit-def: $vgpr28
	s_and_saveexec_b32 s0, s11
	s_cbranch_execnz .LBB1826_45
	s_branch .LBB1826_46
.LBB1826_83:
	s_add_nc_u64 s[30:31], s[30:31], -4
	s_mov_b32 s0, -1
.LBB1826_84:
	s_delay_alu instid0(SALU_CYCLE_1)
	s_and_not1_b32 vcc_lo, exec_lo, s0
.LBB1826_85:
	flat_load_b32 v14, v14, s[30:31]
	v_mad_i32_i24 v15, 0xffffffd4, v0, v1
	s_mov_b32 s0, exec_lo
	s_wait_dscnt 0x1
	ds_store_b32 v15, v9 offset:12288
	s_wait_loadcnt_dscnt 0x0
	s_barrier_signal -1
	s_barrier_wait -1
	v_cmpx_ne_u32_e32 0, v0
; %bb.86:
	v_mul_i32_i24_e32 v14, 0xffffffd4, v0
	s_delay_alu instid0(VALU_DEP_1)
	v_add_nc_u32_e32 v14, v1, v14
	ds_load_b32 v14, v14 offset:12284
; %bb.87:
	s_or_b32 exec_lo, exec_lo, s0
	s_wait_dscnt 0x0
	s_barrier_signal -1
	s_barrier_wait -1
	s_clause 0xb
	flat_load_b32 v15, v0, s[12:13] scale_offset
	flat_load_b32 v17, v0, s[12:13] offset:1024 scale_offset
	flat_load_b32 v18, v0, s[12:13] offset:2048 scale_offset
	;; [unrolled: 1-line block ×11, first 2 shown]
	v_cmp_ne_u32_e32 vcc_lo, v14, v2
	v_cmp_ne_u32_e64 s3, v8, v9
	s_mov_b32 s1, -1
	s_wait_loadcnt_dscnt 0xa0a
	ds_store_2addr_stride64_b32 v16, v15, v17 offset1:4
	s_wait_loadcnt_dscnt 0x809
	ds_store_2addr_stride64_b32 v16, v18, v20 offset0:8 offset1:12
	s_wait_loadcnt_dscnt 0x608
	ds_store_2addr_stride64_b32 v16, v21, v22 offset0:16 offset1:20
	;; [unrolled: 2-line block ×5, first 2 shown]
	v_cndmask_b32_e64 v19, 0, 1, vcc_lo
	v_cmp_ne_u32_e32 vcc_lo, v2, v3
	s_wait_dscnt 0x0
	s_barrier_signal -1
	s_barrier_wait -1
	v_cndmask_b32_e64 v43, 0, 1, vcc_lo
	v_cmp_ne_u32_e32 vcc_lo, v3, v4
	ds_load_b128 v[22:25], v1
	ds_load_b128 v[26:29], v1 offset:16
	v_cndmask_b32_e64 v47, 0, 1, vcc_lo
	v_cmp_ne_u32_e32 vcc_lo, v4, v5
	v_cndmask_b32_e64 v45, 0, 1, vcc_lo
	v_cmp_ne_u32_e32 vcc_lo, v5, v10
	ds_load_b128 v[2:5], v1 offset:32
	v_cndmask_b32_e64 v49, 0, 1, vcc_lo
	v_cmp_ne_u32_e32 vcc_lo, v10, v11
	s_wait_dscnt 0x2
	v_dual_mov_b32 v18, v22 :: v_dual_mov_b32 v42, v23
	v_cndmask_b32_e64 v51, 0, 1, vcc_lo
	v_cmp_ne_u32_e32 vcc_lo, v11, v12
	v_dual_mov_b32 v46, v24 :: v_dual_mov_b32 v44, v25
	s_wait_dscnt 0x1
	v_dual_mov_b32 v48, v26 :: v_dual_mov_b32 v50, v27
	v_cndmask_b32_e64 v53, 0, 1, vcc_lo
	v_cmp_ne_u32_e32 vcc_lo, v12, v13
	v_dual_mov_b32 v52, v28 :: v_dual_mov_b32 v54, v29
	s_wait_dscnt 0x0
	v_dual_mov_b32 v56, v2 :: v_dual_mov_b32 v58, v3
	v_cndmask_b32_e64 v55, 0, 1, vcc_lo
	v_cmp_ne_u32_e32 vcc_lo, v13, v6
	v_mov_b64_e32 v[38:39], v[42:43]
	v_mov_b64_e32 v[36:37], v[46:47]
	;; [unrolled: 1-line block ×4, first 2 shown]
	v_cndmask_b32_e64 v57, 0, 1, vcc_lo
	v_cmp_ne_u32_e32 vcc_lo, v6, v7
	v_mov_b64_e32 v[30:31], v[50:51]
	v_mov_b64_e32 v[28:29], v[52:53]
	;; [unrolled: 1-line block ×4, first 2 shown]
	v_cndmask_b32_e64 v59, 0, 1, vcc_lo
	v_cmp_ne_u32_e32 vcc_lo, v7, v8
	v_mov_b32_e32 v20, v4
	s_delay_alu instid0(VALU_DEP_3)
	v_mov_b64_e32 v[22:23], v[58:59]
	v_cndmask_b32_e64 v21, 0, 1, vcc_lo
.LBB1826_88:
	v_mov_b64_e32 v[40:41], 0
	s_and_saveexec_b32 s0, s1
	s_cbranch_execz .LBB1826_90
; %bb.89:
	v_mov_b64_e32 v[22:23], v[58:59]
	v_mov_b64_e32 v[24:25], v[56:57]
	;; [unrolled: 1-line block ×9, first 2 shown]
	v_cndmask_b32_e64 v41, 0, 1, s3
	v_mov_b32_e32 v40, v5
.LBB1826_90:
	s_or_b32 exec_lo, exec_lo, s0
	v_dual_lshrrev_b32 v1, 2, v0 :: v_dual_bitop2_b32 v42, v27, v25 bitop3:0x54
	v_or_b32_e32 v17, v23, v21
	s_cmp_lg_u32 s20, 0
	s_wait_dscnt 0x0
	v_cmp_gt_u32_e32 vcc_lo, 32, v0
	s_barrier_signal -1
	s_barrier_wait -1
	s_cbranch_scc0 .LBB1826_118
; %bb.91:
	s_mov_b64 s[10:11], 0x100000000
	v_or3_b32 v3, v42, v29, v31
	v_cmp_gt_u64_e64 s0, s[10:11], v[38:39]
	v_cmp_gt_u64_e64 s1, s[10:11], v[36:37]
	;; [unrolled: 1-line block ×7, first 2 shown]
	v_dual_cndmask_b32 v2, 0, v18, s0 :: v_dual_bitop2_b32 v5, 56, v1 bitop3:0x40
	v_cmp_gt_u64_e64 s7, s[10:11], v[24:25]
	v_cmp_gt_u64_e64 s8, s[10:11], v[22:23]
	;; [unrolled: 1-line block ×4, first 2 shown]
	v_add_nc_u32_e32 v2, v2, v38
	v_or3_b32 v3, v3, v33, v35
	v_lshl_add_u32 v5, v0, 3, v5
	s_delay_alu instid0(VALU_DEP_3) | instskip(NEXT) | instid1(VALU_DEP_3)
	v_cndmask_b32_e64 v2, 0, v2, s1
	v_or3_b32 v3, v3, v37, v39
	s_delay_alu instid0(VALU_DEP_2) | instskip(NEXT) | instid1(VALU_DEP_2)
	v_add_nc_u32_e32 v2, v2, v36
	v_or3_b32 v3, v41, v17, v3
	s_delay_alu instid0(VALU_DEP_2) | instskip(NEXT) | instid1(VALU_DEP_2)
	v_cndmask_b32_e64 v2, 0, v2, s2
	v_and_b32_e32 v3, 0xff, v3
	s_delay_alu instid0(VALU_DEP_2) | instskip(NEXT) | instid1(VALU_DEP_1)
	v_add_nc_u32_e32 v2, v2, v34
	v_cndmask_b32_e64 v2, 0, v2, s3
	s_delay_alu instid0(VALU_DEP_1) | instskip(NEXT) | instid1(VALU_DEP_1)
	v_add_nc_u32_e32 v2, v2, v32
	v_cndmask_b32_e64 v2, 0, v2, s4
	s_delay_alu instid0(VALU_DEP_1) | instskip(NEXT) | instid1(VALU_DEP_1)
	v_add_nc_u32_e32 v2, v2, v30
	v_cndmask_b32_e64 v2, 0, v2, s5
	s_delay_alu instid0(VALU_DEP_1) | instskip(NEXT) | instid1(VALU_DEP_1)
	v_add_nc_u32_e32 v2, v2, v28
	v_cndmask_b32_e64 v2, 0, v2, s6
	s_delay_alu instid0(VALU_DEP_1) | instskip(NEXT) | instid1(VALU_DEP_1)
	v_add_nc_u32_e32 v2, v2, v26
	v_cndmask_b32_e64 v2, 0, v2, s7
	s_delay_alu instid0(VALU_DEP_1) | instskip(NEXT) | instid1(VALU_DEP_1)
	v_add_nc_u32_e32 v2, v2, v24
	v_cndmask_b32_e64 v2, 0, v2, s8
	s_delay_alu instid0(VALU_DEP_1) | instskip(NEXT) | instid1(VALU_DEP_1)
	v_add_nc_u32_e32 v2, v2, v22
	v_cndmask_b32_e64 v2, 0, v2, s9
	s_delay_alu instid0(VALU_DEP_1) | instskip(NEXT) | instid1(VALU_DEP_1)
	v_dual_add_nc_u32 v4, v2, v20 :: v_dual_mov_b32 v2, 0
	v_cndmask_b32_e64 v4, 0, v4, s10
	s_delay_alu instid0(VALU_DEP_2) | instskip(NEXT) | instid1(VALU_DEP_1)
	v_cmp_eq_u64_e64 s11, 0, v[2:3]
	v_dual_add_nc_u32 v12, v4, v40 :: v_dual_cndmask_b32 v13, 1, v19, s11
	ds_store_b32 v5, v12
	ds_store_b8 v5, v13 offset:4
	s_wait_dscnt 0x0
	s_barrier_signal -1
	s_barrier_wait -1
	s_and_saveexec_b32 s12, vcc_lo
	s_cbranch_execz .LBB1826_101
; %bb.92:
	v_dual_lshlrev_b32 v2, 1, v0 :: v_dual_lshlrev_b32 v3, 6, v0
	s_mov_b32 s13, exec_lo
	s_delay_alu instid0(VALU_DEP_1) | instskip(NEXT) | instid1(VALU_DEP_1)
	v_and_b32_e32 v2, 0x1f8, v2
	v_add_nc_u32_e32 v4, v2, v3
	ds_load_u8 v5, v4 offset:12
	ds_load_b64 v[2:3], v4
	ds_load_2addr_b32 v[6:7], v4 offset0:2 offset1:4
	ds_load_u8 v10, v4 offset:20
	ds_load_u8 v11, v4 offset:28
	;; [unrolled: 1-line block ×5, first 2 shown]
	ds_load_b32 v44, v4 offset:56
	s_wait_dscnt 0x8
	v_cmp_eq_u16_e64 s11, 0, v5
	s_wait_dscnt 0x5
	s_delay_alu instid0(VALU_DEP_1)
	v_dual_cndmask_b32 v45, 0, v2, s11 :: v_dual_bitop2_b32 v5, v10, v5 bitop3:0x54
	ds_load_2addr_b32 v[8:9], v4 offset0:6 offset1:8
	v_cmp_eq_u16_e64 s11, 0, v10
	s_wait_dscnt 0x4
	v_bitop3_b16 v5, v5, v14, v11 bitop3:0xfe
	v_add_nc_u32_e32 v6, v45, v6
	s_delay_alu instid0(VALU_DEP_1) | instskip(SKIP_1) | instid1(VALU_DEP_2)
	v_cndmask_b32_e64 v6, 0, v6, s11
	v_cmp_eq_u16_e64 s11, 0, v11
	v_add_nc_u32_e32 v6, v6, v7
	s_delay_alu instid0(VALU_DEP_1)
	v_cndmask_b32_e64 v45, 0, v6, s11
	ds_load_2addr_b32 v[6:7], v4 offset0:10 offset1:12
	v_cmp_eq_u16_e64 s11, 0, v14
	s_wait_dscnt 0x1
	v_add_nc_u32_e32 v8, v45, v8
	ds_load_u8 v45, v4 offset:60
	v_cndmask_b32_e64 v8, 0, v8, s11
	v_cmp_eq_u16_e64 s11, 0, v15
	s_delay_alu instid0(VALU_DEP_2) | instskip(SKIP_1) | instid1(VALU_DEP_2)
	v_add_nc_u32_e32 v8, v8, v9
	v_bitop3_b16 v9, v5, v43, v15 bitop3:0xfe
	v_dual_cndmask_b32 v8, 0, v8, s11 :: v_dual_bitop2_b32 v5, 1, v3 bitop3:0x40
	s_delay_alu instid0(VALU_DEP_2) | instskip(SKIP_1) | instid1(VALU_DEP_2)
	v_cmp_eq_u16_e64 s11, 0, v9
	s_wait_dscnt 0x0
	v_dual_add_nc_u32 v6, v8, v6 :: v_dual_bitop2_b32 v8, 1, v45 bitop3:0x40
	s_delay_alu instid0(VALU_DEP_2) | instskip(SKIP_1) | instid1(VALU_DEP_1)
	v_cndmask_b32_e64 v9, 1, v5, s11
	v_cmp_eq_u16_e64 s11, 0, v43
	v_cndmask_b32_e64 v6, 0, v6, s11
	s_delay_alu instid0(VALU_DEP_4) | instskip(SKIP_1) | instid1(VALU_DEP_2)
	v_cmp_eq_u32_e64 s11, 1, v8
	v_mbcnt_lo_u32_b32 v8, -1, 0
	v_cndmask_b32_e64 v9, v9, 1, s11
	v_cmp_eq_u16_e64 s11, 0, v45
	s_delay_alu instid0(VALU_DEP_2) | instskip(SKIP_2) | instid1(VALU_DEP_1)
	v_and_b32_e32 v10, 0xffff, v9
	v_add_nc_u32_e32 v7, v6, v7
	v_and_b32_e32 v6, 0xffffff00, v3
	v_dual_cndmask_b32 v7, 0, v7, s11 :: v_dual_bitop2_b32 v11, v6, v10 bitop3:0x54
	v_and_b32_e32 v10, 15, v8
	s_delay_alu instid0(VALU_DEP_2) | instskip(NEXT) | instid1(VALU_DEP_3)
	v_mov_b32_dpp v15, v11 row_shr:1 row_mask:0xf bank_mask:0xf
	v_add_nc_u32_e32 v7, v7, v44
	s_delay_alu instid0(VALU_DEP_1) | instskip(NEXT) | instid1(VALU_DEP_4)
	v_mov_b32_dpp v14, v7 row_shr:1 row_mask:0xf bank_mask:0xf
	v_cmpx_ne_u32_e32 0, v10
	s_cbranch_execz .LBB1826_94
; %bb.93:
	v_and_b32_e32 v11, 1, v9
	v_and_b32_e32 v15, 1, v15
	s_delay_alu instid0(VALU_DEP_2) | instskip(NEXT) | instid1(VALU_DEP_1)
	v_cmp_eq_u32_e64 s11, 1, v11
	v_cndmask_b32_e64 v15, v15, 1, s11
	v_cmp_eq_u16_e64 s11, 0, v9
	s_delay_alu instid0(VALU_DEP_2) | instskip(NEXT) | instid1(VALU_DEP_1)
	v_and_b32_e32 v11, 0xffff, v15
	v_dual_cndmask_b32 v9, 0, v14, s11 :: v_dual_bitop2_b32 v11, v6, v11 bitop3:0x54
	s_delay_alu instid0(VALU_DEP_1)
	v_dual_add_nc_u32 v7, v9, v7 :: v_dual_mov_b32 v9, v15
.LBB1826_94:
	s_or_b32 exec_lo, exec_lo, s13
	s_delay_alu instid0(VALU_DEP_1) | instskip(NEXT) | instid1(VALU_DEP_3)
	v_mov_b32_dpp v14, v7 row_shr:2 row_mask:0xf bank_mask:0xf
	v_mov_b32_dpp v15, v11 row_shr:2 row_mask:0xf bank_mask:0xf
	s_mov_b32 s13, exec_lo
	v_cmpx_lt_u32_e32 1, v10
	s_cbranch_execz .LBB1826_96
; %bb.95:
	v_and_b32_e32 v11, 1, v9
	v_and_b32_e32 v15, 1, v15
	s_delay_alu instid0(VALU_DEP_2) | instskip(NEXT) | instid1(VALU_DEP_1)
	v_cmp_eq_u32_e64 s11, 1, v11
	v_cndmask_b32_e64 v15, v15, 1, s11
	v_cmp_eq_u16_e64 s11, 0, v9
	s_delay_alu instid0(VALU_DEP_2) | instskip(NEXT) | instid1(VALU_DEP_1)
	v_and_b32_e32 v11, 0xffff, v15
	v_dual_cndmask_b32 v9, 0, v14, s11 :: v_dual_bitop2_b32 v11, v6, v11 bitop3:0x54
	s_delay_alu instid0(VALU_DEP_1)
	v_dual_add_nc_u32 v7, v9, v7 :: v_dual_mov_b32 v9, v15
.LBB1826_96:
	s_or_b32 exec_lo, exec_lo, s13
	s_delay_alu instid0(VALU_DEP_1) | instskip(NEXT) | instid1(VALU_DEP_3)
	v_mov_b32_dpp v14, v7 row_shr:4 row_mask:0xf bank_mask:0xf
	v_mov_b32_dpp v15, v11 row_shr:4 row_mask:0xf bank_mask:0xf
	s_mov_b32 s13, exec_lo
	v_cmpx_lt_u32_e32 3, v10
	;; [unrolled: 20-line block ×3, first 2 shown]
	s_cbranch_execz .LBB1826_100
; %bb.99:
	v_and_b32_e32 v10, 1, v9
	v_and_b32_e32 v11, 1, v15
	s_delay_alu instid0(VALU_DEP_2) | instskip(NEXT) | instid1(VALU_DEP_1)
	v_cmp_eq_u32_e64 s11, 1, v10
	v_cndmask_b32_e64 v10, v11, 1, s11
	v_cmp_eq_u16_e64 s11, 0, v9
	s_delay_alu instid0(VALU_DEP_2) | instskip(NEXT) | instid1(VALU_DEP_1)
	v_and_b32_e32 v11, 0xffff, v10
	v_dual_cndmask_b32 v9, 0, v14, s11 :: v_dual_bitop2_b32 v11, v6, v11 bitop3:0x54
	s_delay_alu instid0(VALU_DEP_1)
	v_dual_add_nc_u32 v7, v9, v7 :: v_dual_mov_b32 v9, v10
.LBB1826_100:
	s_or_b32 exec_lo, exec_lo, s13
	ds_swizzle_b32 v10, v11 offset:swizzle(BROADCAST,32,15)
	ds_swizzle_b32 v11, v7 offset:swizzle(BROADCAST,32,15)
	v_and_b32_e32 v14, 1, v9
	v_bfe_i32 v43, v8, 4, 1
	v_and_b32_e32 v3, 0xff, v3
	; wave barrier
	s_delay_alu instid0(VALU_DEP_3) | instskip(SKIP_2) | instid1(VALU_DEP_1)
	v_cmp_eq_u32_e64 s11, 1, v14
	s_wait_dscnt 0x1
	v_dual_add_nc_u32 v14, -1, v8 :: v_dual_bitop2_b32 v10, 1, v10 bitop3:0x40
	v_cndmask_b32_e64 v10, v10, 1, s11
	v_and_b32_e32 v15, 16, v8
	v_cmp_eq_u16_e64 s11, 0, v9
	s_wait_dscnt 0x0
	s_delay_alu instid0(VALU_DEP_1) | instskip(NEXT) | instid1(VALU_DEP_3)
	v_cndmask_b32_e64 v11, 0, v11, s11
	v_cmp_eq_u32_e64 s11, 0, v15
	s_delay_alu instid0(VALU_DEP_1) | instskip(SKIP_1) | instid1(VALU_DEP_4)
	v_cndmask_b32_e64 v9, v10, v9, s11
	v_cmp_gt_i32_e64 s11, 0, v14
	v_and_b32_e32 v10, v43, v11
	s_delay_alu instid0(VALU_DEP_3) | instskip(NEXT) | instid1(VALU_DEP_3)
	v_and_b32_e32 v9, 0xffff, v9
	v_cndmask_b32_e64 v8, v14, v8, s11
	s_delay_alu instid0(VALU_DEP_3) | instskip(SKIP_1) | instid1(VALU_DEP_3)
	v_add_nc_u32_e32 v7, v10, v7
	v_cmp_eq_u16_e64 s11, 0, v3
	v_lshlrev_b32_e32 v8, 2, v8
	ds_bpermute_b32 v7, v8, v7
	s_wait_dscnt 0x0
	v_dual_cndmask_b32 v3, 0, v7, s11 :: v_dual_bitop2_b32 v6, v6, v9 bitop3:0x54
	ds_bpermute_b32 v6, v8, v6
	v_cmp_eq_u32_e64 s11, 1, v5
	v_add_nc_u32_e32 v2, v3, v2
	s_wait_dscnt 0x0
	v_and_b32_e32 v6, 1, v6
	s_delay_alu instid0(VALU_DEP_1) | instskip(SKIP_1) | instid1(VALU_DEP_1)
	v_cndmask_b32_e64 v3, v6, 1, s11
	v_cmp_eq_u32_e64 s11, 0, v0
	v_dual_cndmask_b32 v8, v3, v13, s11 :: v_dual_cndmask_b32 v5, v2, v12, s11
	ds_store_b32 v4, v5
	ds_store_b8 v4, v8 offset:4
	; wave barrier
	ds_load_u8 v9, v4 offset:12
	ds_load_2addr_b32 v[2:3], v4 offset0:2 offset1:4
	ds_load_u8 v10, v4 offset:20
	ds_load_u8 v11, v4 offset:28
	;; [unrolled: 1-line block ×5, first 2 shown]
	ds_load_b32 v44, v4 offset:56
	ds_load_u8 v45, v4 offset:60
	ds_load_2addr_b32 v[6:7], v4 offset0:6 offset1:8
	s_wait_dscnt 0x9
	v_cmp_eq_u16_e64 s11, 0, v9
	v_and_b32_e32 v9, 1, v9
	s_delay_alu instid0(VALU_DEP_2) | instskip(SKIP_2) | instid1(VALU_DEP_2)
	v_cndmask_b32_e64 v5, 0, v5, s11
	s_wait_dscnt 0x7
	v_cmp_eq_u16_e64 s11, 0, v10
	v_add_nc_u32_e32 v5, v5, v2
	s_delay_alu instid0(VALU_DEP_1) | instskip(SKIP_2) | instid1(VALU_DEP_2)
	v_cndmask_b32_e64 v2, 0, v5, s11
	s_wait_dscnt 0x6
	v_cmp_eq_u16_e64 s11, 0, v11
	v_add_nc_u32_e32 v46, v2, v3
	ds_load_2addr_b32 v[2:3], v4 offset0:10 offset1:12
	v_cndmask_b32_e64 v47, 0, v46, s11
	s_wait_dscnt 0x6
	v_cmp_eq_u16_e64 s11, 0, v14
	ds_store_2addr_b32 v4, v5, v46 offset0:2 offset1:4
	s_wait_dscnt 0x2
	v_add_nc_u32_e32 v6, v47, v6
	s_delay_alu instid0(VALU_DEP_1) | instskip(SKIP_3) | instid1(VALU_DEP_4)
	v_cndmask_b32_e64 v47, 0, v6, s11
	v_and_b32_e32 v10, 1, v10
	v_cmp_eq_u32_e64 s11, 1, v9
	v_and_b32_e32 v9, 1, v11
	v_dual_add_nc_u32 v7, v47, v7 :: v_dual_bitop2_b32 v11, 1, v14 bitop3:0x40
	s_delay_alu instid0(VALU_DEP_3) | instskip(SKIP_1) | instid1(VALU_DEP_1)
	v_cndmask_b32_e64 v8, v8, 1, s11
	v_cmp_eq_u32_e64 s11, 1, v10
	v_cndmask_b32_e64 v10, v8, 1, s11
	v_cmp_eq_u16_e64 s11, 0, v15
	s_delay_alu instid0(VALU_DEP_1) | instskip(SKIP_2) | instid1(VALU_DEP_2)
	v_cndmask_b32_e64 v14, 0, v7, s11
	v_cmp_eq_u32_e64 s11, 1, v9
	s_wait_dscnt 0x1
	v_dual_add_nc_u32 v2, v14, v2 :: v_dual_bitop2_b32 v15, 1, v15 bitop3:0x40
	s_delay_alu instid0(VALU_DEP_2) | instskip(SKIP_1) | instid1(VALU_DEP_1)
	v_cndmask_b32_e64 v9, v10, 1, s11
	v_cmp_eq_u32_e64 s11, 1, v11
	v_cndmask_b32_e64 v11, v9, 1, s11
	v_cmp_eq_u16_e64 s11, 0, v43
	s_delay_alu instid0(VALU_DEP_1) | instskip(SKIP_1) | instid1(VALU_DEP_2)
	v_dual_cndmask_b32 v43, 0, v2, s11 :: v_dual_bitop2_b32 v14, 1, v43 bitop3:0x40
	v_cmp_eq_u32_e64 s11, 1, v15
	v_add_nc_u32_e32 v3, v43, v3
	s_delay_alu instid0(VALU_DEP_2) | instskip(NEXT) | instid1(VALU_DEP_4)
	v_cndmask_b32_e64 v15, v11, 1, s11
	v_cmp_eq_u32_e64 s11, 1, v14
	ds_store_2addr_b32 v4, v6, v7 offset0:6 offset1:8
	ds_store_2addr_b32 v4, v2, v3 offset0:10 offset1:12
	v_cndmask_b32_e64 v14, v15, 1, s11
	v_cmp_eq_u16_e64 s11, 0, v45
	s_delay_alu instid0(VALU_DEP_1) | instskip(NEXT) | instid1(VALU_DEP_1)
	v_dual_cndmask_b32 v5, 0, v3, s11 :: v_dual_bitop2_b32 v47, 1, v45 bitop3:0x40
	v_cmp_eq_u32_e64 s11, 1, v47
	s_delay_alu instid0(VALU_DEP_2) | instskip(NEXT) | instid1(VALU_DEP_2)
	v_add_nc_u32_e32 v2, v5, v44
	v_cndmask_b32_e64 v43, v14, 1, s11
	ds_store_b8 v4, v8 offset:12
	ds_store_b8 v4, v10 offset:20
	;; [unrolled: 1-line block ×6, first 2 shown]
	ds_store_b32 v4, v2 offset:56
	ds_store_b8 v4, v43 offset:60
.LBB1826_101:
	s_or_b32 exec_lo, exec_lo, s12
	v_cmp_eq_u32_e64 s11, 0, v0
	s_mov_b32 s13, exec_lo
	s_wait_dscnt 0x0
	s_barrier_signal -1
	s_barrier_wait -1
	v_cmpx_ne_u32_e32 0, v0
	s_cbranch_execz .LBB1826_103
; %bb.102:
	v_add_nc_u32_e32 v2, -1, v0
	s_delay_alu instid0(VALU_DEP_1) | instskip(NEXT) | instid1(VALU_DEP_1)
	v_lshrrev_b32_e32 v3, 2, v2
	v_and_b32_e32 v3, 0x3ffffff8, v3
	s_delay_alu instid0(VALU_DEP_1)
	v_lshl_add_u32 v2, v2, 3, v3
	ds_load_b32 v12, v2
	ds_load_u8 v13, v2 offset:4
.LBB1826_103:
	s_or_b32 exec_lo, exec_lo, s13
	s_and_saveexec_b32 s30, vcc_lo
	s_cbranch_execz .LBB1826_163
; %bb.104:
	v_mov_b32_e32 v5, 0
	v_mbcnt_lo_u32_b32 v14, -1, 0
	s_mov_b32 s23, 0
	ds_load_b64 v[2:3], v5 offset:2096
	v_cmp_eq_u32_e64 s12, 0, v14
	s_and_saveexec_b32 s13, s12
	s_cbranch_execz .LBB1826_106
; %bb.105:
	s_add_co_i32 s22, s20, 32
	v_mov_b32_e32 v4, 1
	s_lshl_b64 s[22:23], s[22:23], 4
	s_delay_alu instid0(SALU_CYCLE_1) | instskip(NEXT) | instid1(SALU_CYCLE_1)
	s_add_nc_u64 s[22:23], s[24:25], s[22:23]
	v_mov_b64_e32 v[6:7], s[22:23]
	s_wait_dscnt 0x0
	;;#ASMSTART
	global_store_b128 v[6:7], v[2:5] off scope:SCOPE_DEV	
s_wait_storecnt 0x0
	;;#ASMEND
.LBB1826_106:
	s_or_b32 exec_lo, exec_lo, s13
	v_xad_u32 v8, v14, -1, s20
	s_mov_b32 s13, exec_lo
	s_delay_alu instid0(VALU_DEP_1) | instskip(NEXT) | instid1(VALU_DEP_1)
	v_add_nc_u32_e32 v4, 32, v8
	v_lshl_add_u64 v[10:11], v[4:5], 4, s[24:25]
	;;#ASMSTART
	global_load_b128 v[4:7], v[10:11] off scope:SCOPE_DEV	
s_wait_loadcnt 0x0
	;;#ASMEND
	v_and_b32_e32 v7, 0xff, v6
	v_and_b32_e32 v5, 0xff, v5
	s_delay_alu instid0(VALU_DEP_2)
	v_cmpx_eq_u16_e32 0, v7
	s_cbranch_execz .LBB1826_110
; %bb.107:
	s_mov_b32 s22, 0
.LBB1826_108:                           ; =>This Inner Loop Header: Depth=1
	;;#ASMSTART
	global_load_b128 v[4:7], v[10:11] off scope:SCOPE_DEV	
s_wait_loadcnt 0x0
	;;#ASMEND
	v_and_b32_e32 v7, 0xff, v6
	s_delay_alu instid0(VALU_DEP_1) | instskip(SKIP_1) | instid1(SALU_CYCLE_1)
	v_cmp_ne_u16_e32 vcc_lo, 0, v7
	s_or_b32 s22, vcc_lo, s22
	s_and_not1_b32 exec_lo, exec_lo, s22
	s_cbranch_execnz .LBB1826_108
; %bb.109:
	s_or_b32 exec_lo, exec_lo, s22
	v_and_b32_e32 v5, 0xff, v5
.LBB1826_110:
	s_or_b32 exec_lo, exec_lo, s13
	v_cmp_ne_u32_e32 vcc_lo, 31, v14
	v_and_b32_e32 v9, 0xff, v6
	v_lshlrev_b32_e64 v43, v14, -1
	s_mov_b64 s[22:23], 0x100000000
	v_lshl_or_b32 v52, v14, 2, 64
	v_add_co_ci_u32_e64 v7, null, 0, v14, vcc_lo
	v_cmp_eq_u16_e32 vcc_lo, 2, v9
	v_cmp_gt_u64_e64 s13, s[22:23], v[4:5]
	s_delay_alu instid0(VALU_DEP_3) | instskip(SKIP_1) | instid1(VALU_DEP_2)
	v_dual_lshlrev_b32 v15, 2, v7 :: v_dual_bitop2_b32 v10, 1, v5 bitop3:0x40
	v_and_or_b32 v9, vcc_lo, v43, 0x80000000
	v_cmp_eq_u32_e32 vcc_lo, 1, v10
	ds_bpermute_b32 v7, v15, v5
	ds_bpermute_b32 v10, v15, v4
	v_ctz_i32_b32_e32 v9, v9
	s_wait_dscnt 0x1
	v_and_b32_e32 v7, 1, v7
	s_delay_alu instid0(VALU_DEP_1) | instskip(SKIP_1) | instid1(VALU_DEP_2)
	v_cndmask_b32_e64 v7, v7, 1, vcc_lo
	v_cmp_gt_u32_e32 vcc_lo, 30, v14
	v_and_b32_e32 v45, 0xffff, v7
	v_cndmask_b32_e64 v11, 0, 2, vcc_lo
	v_cmp_lt_u32_e32 vcc_lo, v14, v9
	s_delay_alu instid0(VALU_DEP_2) | instskip(NEXT) | instid1(VALU_DEP_4)
	v_add_lshl_u32 v44, v11, v14, 2
	v_dual_cndmask_b32 v11, v5, v45, vcc_lo :: v_dual_cndmask_b32 v7, v5, v7, vcc_lo
	s_and_b32 vcc_lo, vcc_lo, s13
	v_add_nc_u32_e32 v45, 2, v14
	s_wait_dscnt 0x0
	v_cndmask_b32_e32 v10, 0, v10, vcc_lo
	ds_bpermute_b32 v5, v44, v11
	v_and_b32_e32 v46, 1, v7
	v_and_b32_e32 v48, 0xff, v7
	v_add_nc_u32_e32 v4, v10, v4
	s_delay_alu instid0(VALU_DEP_3) | instskip(NEXT) | instid1(VALU_DEP_3)
	v_cmp_eq_u32_e32 vcc_lo, 1, v46
	v_cmp_eq_u16_e64 s13, 0, v48
	ds_bpermute_b32 v10, v44, v4
	s_wait_dscnt 0x1
	v_and_b32_e32 v5, 1, v5
	s_delay_alu instid0(VALU_DEP_1) | instskip(SKIP_3) | instid1(VALU_DEP_3)
	v_cndmask_b32_e64 v5, v5, 1, vcc_lo
	v_cmp_gt_u32_e32 vcc_lo, 28, v14
	s_wait_dscnt 0x0
	v_cndmask_b32_e64 v10, 0, v10, s13
	v_and_b32_e32 v47, 0xffff, v5
	v_cndmask_b32_e64 v46, 0, 4, vcc_lo
	v_cmp_gt_u32_e32 vcc_lo, v45, v9
	s_delay_alu instid0(VALU_DEP_2) | instskip(SKIP_3) | instid1(VALU_DEP_2)
	v_add_lshl_u32 v46, v46, v14, 2
	v_cndmask_b32_e32 v5, v5, v7, vcc_lo
	v_cndmask_b32_e64 v10, v10, 0, vcc_lo
	v_dual_cndmask_b32 v7, v47, v11, vcc_lo :: v_dual_add_nc_u32 v47, 4, v14
	v_dual_add_nc_u32 v4, v10, v4 :: v_dual_bitop2_b32 v48, 1, v5 bitop3:0x40
	ds_bpermute_b32 v11, v46, v7
	v_cmp_eq_u32_e32 vcc_lo, 1, v48
	ds_bpermute_b32 v10, v46, v4
	v_and_b32_e32 v48, 0xff, v5
	s_delay_alu instid0(VALU_DEP_1) | instskip(SKIP_1) | instid1(VALU_DEP_1)
	v_cmp_eq_u16_e64 s13, 0, v48
	s_wait_dscnt 0x0
	v_dual_cndmask_b32 v10, 0, v10, s13 :: v_dual_bitop2_b32 v11, 1, v11 bitop3:0x40
	s_delay_alu instid0(VALU_DEP_1) | instskip(SKIP_1) | instid1(VALU_DEP_2)
	v_cndmask_b32_e64 v11, v11, 1, vcc_lo
	v_cmp_gt_u32_e32 vcc_lo, 24, v14
	v_and_b32_e32 v50, 0xffff, v11
	v_cndmask_b32_e64 v49, 0, 8, vcc_lo
	v_cmp_gt_u32_e32 vcc_lo, v47, v9
	s_delay_alu instid0(VALU_DEP_2) | instskip(NEXT) | instid1(VALU_DEP_4)
	v_add_lshl_u32 v48, v49, v14, 2
	v_dual_cndmask_b32 v5, v11, v5, vcc_lo :: v_dual_cndmask_b32 v7, v50, v7, vcc_lo
	v_cndmask_b32_e64 v10, v10, 0, vcc_lo
	s_delay_alu instid0(VALU_DEP_2)
	v_dual_add_nc_u32 v49, 8, v14 :: v_dual_bitop2_b32 v50, 1, v5 bitop3:0x40
	ds_bpermute_b32 v11, v48, v7
	v_add_nc_u32_e32 v4, v10, v4
	v_and_b32_e32 v51, 0xff, v5
	v_cmp_eq_u32_e32 vcc_lo, 1, v50
	ds_bpermute_b32 v10, v48, v4
	s_wait_dscnt 0x1
	v_and_b32_e32 v11, 1, v11
	s_delay_alu instid0(VALU_DEP_1) | instskip(SKIP_1) | instid1(VALU_DEP_2)
	v_cndmask_b32_e64 v11, v11, 1, vcc_lo
	v_cmp_eq_u16_e32 vcc_lo, 0, v51
	v_and_b32_e32 v50, 0xffff, v11
	s_wait_dscnt 0x0
	v_cndmask_b32_e32 v10, 0, v10, vcc_lo
	v_cmp_gt_u32_e32 vcc_lo, v49, v9
	s_delay_alu instid0(VALU_DEP_3) | instskip(NEXT) | instid1(VALU_DEP_3)
	v_dual_cndmask_b32 v5, v11, v5, vcc_lo :: v_dual_cndmask_b32 v7, v50, v7, vcc_lo
	v_cndmask_b32_e64 v10, v10, 0, vcc_lo
	s_delay_alu instid0(VALU_DEP_2) | instskip(SKIP_3) | instid1(VALU_DEP_1)
	v_and_b32_e32 v50, 1, v5
	ds_bpermute_b32 v7, v52, v7
	v_add_nc_u32_e32 v4, v10, v4
	v_and_b32_e32 v11, 0xff, v5
	v_cmp_eq_u16_e32 vcc_lo, 0, v11
	s_wait_dscnt 0x0
	v_and_b32_e32 v7, 1, v7
	ds_bpermute_b32 v10, v52, v4
	s_wait_dscnt 0x0
	v_cndmask_b32_e32 v10, 0, v10, vcc_lo
	v_cmp_eq_u32_e32 vcc_lo, 1, v50
	v_cndmask_b32_e64 v7, v7, 1, vcc_lo
	v_add_nc_u32_e32 v53, 16, v14
	s_delay_alu instid0(VALU_DEP_1) | instskip(NEXT) | instid1(VALU_DEP_3)
	v_cmp_gt_u32_e32 vcc_lo, v53, v9
	v_dual_mov_b32 v9, 0 :: v_dual_cndmask_b32 v5, v7, v5, vcc_lo
	v_cndmask_b32_e64 v7, v10, 0, vcc_lo
	s_delay_alu instid0(VALU_DEP_1)
	v_add_nc_u32_e32 v4, v7, v4
	s_branch .LBB1826_114
.LBB1826_111:                           ;   in Loop: Header=BB1826_114 Depth=1
	s_or_b32 exec_lo, exec_lo, s31
	v_and_b32_e32 v5, 0xff, v5
.LBB1826_112:                           ;   in Loop: Header=BB1826_114 Depth=1
	s_or_b32 exec_lo, exec_lo, s13
	ds_bpermute_b32 v7, v15, v5
	v_and_b32_e32 v10, 0xff, v6
	v_cmp_gt_u64_e64 s13, s[22:23], v[4:5]
	v_subrev_nc_u32_e32 v8, 32, v8
	s_delay_alu instid0(VALU_DEP_3) | instskip(SKIP_2) | instid1(VALU_DEP_2)
	v_cmp_eq_u16_e32 vcc_lo, 2, v10
	v_and_b32_e32 v10, 1, v5
	v_and_or_b32 v11, vcc_lo, v43, 0x80000000
	v_cmp_eq_u32_e32 vcc_lo, 1, v10
	s_delay_alu instid0(VALU_DEP_2) | instskip(SKIP_3) | instid1(VALU_DEP_1)
	v_ctz_i32_b32_e32 v10, v11
	ds_bpermute_b32 v11, v15, v4
	s_wait_dscnt 0x1
	v_and_b32_e32 v7, 1, v7
	v_cndmask_b32_e64 v7, v7, 1, vcc_lo
	v_cmp_lt_u32_e32 vcc_lo, v14, v10
	s_delay_alu instid0(VALU_DEP_2) | instskip(NEXT) | instid1(VALU_DEP_1)
	v_and_b32_e32 v54, 0xffff, v7
	v_dual_cndmask_b32 v7, v5, v7 :: v_dual_cndmask_b32 v54, v5, v54
	s_and_b32 vcc_lo, vcc_lo, s13
	s_delay_alu instid0(VALU_DEP_1)
	v_and_b32_e32 v56, 0xff, v7
	v_and_b32_e32 v55, 1, v7
	ds_bpermute_b32 v5, v44, v54
	s_wait_dscnt 0x1
	v_cndmask_b32_e32 v11, 0, v11, vcc_lo
	v_cmp_eq_u16_e64 s13, 0, v56
	v_cmp_eq_u32_e32 vcc_lo, 1, v55
	s_wait_dscnt 0x0
	s_delay_alu instid0(VALU_DEP_3) | instskip(NEXT) | instid1(VALU_DEP_1)
	v_dual_add_nc_u32 v4, v11, v4 :: v_dual_bitop2_b32 v5, 1, v5 bitop3:0x40
	v_cndmask_b32_e64 v5, v5, 1, vcc_lo
	ds_bpermute_b32 v11, v44, v4
	v_cmp_gt_u32_e32 vcc_lo, v45, v10
	v_and_b32_e32 v55, 0xffff, v5
	s_delay_alu instid0(VALU_DEP_1) | instskip(NEXT) | instid1(VALU_DEP_1)
	v_dual_cndmask_b32 v5, v5, v7, vcc_lo :: v_dual_cndmask_b32 v7, v55, v54, vcc_lo
	v_and_b32_e32 v55, 1, v5
	ds_bpermute_b32 v54, v46, v7
	s_wait_dscnt 0x1
	v_cndmask_b32_e64 v11, 0, v11, s13
	s_delay_alu instid0(VALU_DEP_1) | instskip(SKIP_2) | instid1(VALU_DEP_3)
	v_cndmask_b32_e64 v11, v11, 0, vcc_lo
	v_cmp_eq_u32_e32 vcc_lo, 1, v55
	v_and_b32_e32 v55, 0xff, v5
	v_add_nc_u32_e32 v4, v11, v4
	s_delay_alu instid0(VALU_DEP_2)
	v_cmp_eq_u16_e64 s13, 0, v55
	s_wait_dscnt 0x0
	v_and_b32_e32 v54, 1, v54
	ds_bpermute_b32 v11, v46, v4
	v_cndmask_b32_e64 v54, v54, 1, vcc_lo
	v_cmp_gt_u32_e32 vcc_lo, v47, v10
	s_delay_alu instid0(VALU_DEP_2) | instskip(SKIP_3) | instid1(VALU_DEP_1)
	v_and_b32_e32 v56, 0xffff, v54
	s_wait_dscnt 0x0
	v_dual_cndmask_b32 v5, v54, v5, vcc_lo :: v_dual_cndmask_b32 v11, 0, v11, s13
	s_mov_b32 s13, 0
	v_cndmask_b32_e64 v11, v11, 0, vcc_lo
	v_cndmask_b32_e32 v7, v56, v7, vcc_lo
	s_delay_alu instid0(VALU_DEP_3) | instskip(NEXT) | instid1(VALU_DEP_3)
	v_and_b32_e32 v56, 0xff, v5
	v_add_nc_u32_e32 v4, v11, v4
	ds_bpermute_b32 v54, v48, v7
	ds_bpermute_b32 v11, v48, v4
	v_and_b32_e32 v55, 1, v5
	s_delay_alu instid0(VALU_DEP_1) | instskip(SKIP_2) | instid1(VALU_DEP_1)
	v_cmp_eq_u32_e32 vcc_lo, 1, v55
	s_wait_dscnt 0x1
	v_and_b32_e32 v54, 1, v54
	v_cndmask_b32_e64 v54, v54, 1, vcc_lo
	v_cmp_eq_u16_e32 vcc_lo, 0, v56
	s_delay_alu instid0(VALU_DEP_2) | instskip(SKIP_3) | instid1(VALU_DEP_2)
	v_and_b32_e32 v55, 0xffff, v54
	s_wait_dscnt 0x0
	v_cndmask_b32_e32 v11, 0, v11, vcc_lo
	v_cmp_gt_u32_e32 vcc_lo, v49, v10
	v_cndmask_b32_e64 v11, v11, 0, vcc_lo
	v_dual_cndmask_b32 v7, v55, v7, vcc_lo :: v_dual_cndmask_b32 v5, v54, v5, vcc_lo
	s_delay_alu instid0(VALU_DEP_2) | instskip(SKIP_4) | instid1(VALU_DEP_1)
	v_add_nc_u32_e32 v4, v11, v4
	ds_bpermute_b32 v7, v52, v7
	v_and_b32_e32 v55, 0xff, v5
	ds_bpermute_b32 v11, v52, v4
	v_and_b32_e32 v54, 1, v5
	v_cmp_eq_u32_e32 vcc_lo, 1, v54
	s_wait_dscnt 0x1
	v_cndmask_b32_e64 v7, v7, 1, vcc_lo
	v_cmp_eq_u16_e32 vcc_lo, 0, v55
	s_wait_dscnt 0x0
	v_cndmask_b32_e32 v11, 0, v11, vcc_lo
	v_cmp_gt_u32_e32 vcc_lo, v53, v10
	v_and_b32_e32 v10, 0xff, v50
	v_cndmask_b32_e32 v5, v7, v5, vcc_lo
	s_delay_alu instid0(VALU_DEP_4) | instskip(NEXT) | instid1(VALU_DEP_3)
	v_cndmask_b32_e64 v7, v11, 0, vcc_lo
	v_cmp_eq_u16_e32 vcc_lo, 0, v10
	s_delay_alu instid0(VALU_DEP_2) | instskip(NEXT) | instid1(VALU_DEP_1)
	v_dual_add_nc_u32 v4, v7, v4 :: v_dual_bitop2_b32 v7, 1, v50 bitop3:0x40
	v_dual_cndmask_b32 v4, 0, v4, vcc_lo :: v_dual_bitop2_b32 v5, 1, v5 bitop3:0x40
	s_delay_alu instid0(VALU_DEP_2) | instskip(NEXT) | instid1(VALU_DEP_2)
	v_cmp_eq_u32_e32 vcc_lo, 1, v7
	v_add_nc_u32_e32 v4, v4, v51
	s_delay_alu instid0(VALU_DEP_3)
	v_cndmask_b32_e64 v5, v5, 1, vcc_lo
.LBB1826_113:                           ;   in Loop: Header=BB1826_114 Depth=1
	s_and_b32 vcc_lo, exec_lo, s13
	s_cbranch_vccnz .LBB1826_159
.LBB1826_114:                           ; =>This Loop Header: Depth=1
                                        ;     Child Loop BB1826_117 Depth 2
	v_and_b32_e32 v6, 0xff, v6
	s_delay_alu instid0(VALU_DEP_2) | instskip(SKIP_1) | instid1(VALU_DEP_2)
	v_dual_mov_b32 v50, v5 :: v_dual_mov_b32 v51, v4
	s_mov_b32 s13, -1
                                        ; implicit-def: $vgpr5
                                        ; implicit-def: $vgpr4
	v_cmp_ne_u16_e32 vcc_lo, 2, v6
                                        ; implicit-def: $vgpr6
	s_cmp_lg_u32 vcc_lo, exec_lo
	s_cbranch_scc1 .LBB1826_113
; %bb.115:                              ;   in Loop: Header=BB1826_114 Depth=1
	v_lshl_add_u64 v[10:11], v[8:9], 4, s[24:25]
	;;#ASMSTART
	global_load_b128 v[4:7], v[10:11] off scope:SCOPE_DEV	
s_wait_loadcnt 0x0
	;;#ASMEND
	v_and_b32_e32 v7, 0xff, v6
	v_and_b32_e32 v5, 0xff, v5
	s_mov_b32 s13, exec_lo
	s_delay_alu instid0(VALU_DEP_2)
	v_cmpx_eq_u16_e32 0, v7
	s_cbranch_execz .LBB1826_112
; %bb.116:                              ;   in Loop: Header=BB1826_114 Depth=1
	s_mov_b32 s31, 0
.LBB1826_117:                           ;   Parent Loop BB1826_114 Depth=1
                                        ; =>  This Inner Loop Header: Depth=2
	;;#ASMSTART
	global_load_b128 v[4:7], v[10:11] off scope:SCOPE_DEV	
s_wait_loadcnt 0x0
	;;#ASMEND
	v_and_b32_e32 v7, 0xff, v6
	s_delay_alu instid0(VALU_DEP_1) | instskip(SKIP_1) | instid1(SALU_CYCLE_1)
	v_cmp_ne_u16_e32 vcc_lo, 0, v7
	s_or_b32 s31, vcc_lo, s31
	s_and_not1_b32 exec_lo, exec_lo, s31
	s_cbranch_execnz .LBB1826_117
	s_branch .LBB1826_111
.LBB1826_118:
                                        ; implicit-def: $vgpr13
                                        ; implicit-def: $vgpr5
                                        ; implicit-def: $vgpr9
                                        ; implicit-def: $vgpr14_vgpr15
	s_cbranch_execnz .LBB1826_164
.LBB1826_119:
	s_add_nc_u64 s[0:1], s[14:15], s[34:35]
	s_and_b32 vcc_lo, exec_lo, s21
	s_add_nc_u64 s[0:1], s[0:1], s[16:17]
	s_cbranch_vccz .LBB1826_181
.LBB1826_120:
	v_mul_u32_u24_e32 v1, 12, v0
	s_add_co_i32 s27, s27, s26
	s_mov_b32 s2, exec_lo
	s_delay_alu instid0(VALU_DEP_1)
	v_cmpx_gt_u32_e64 s27, v1
	s_cbranch_execz .LBB1826_136
; %bb.121:
	v_or_b32_e32 v17, 1, v1
	s_mov_b32 s3, exec_lo
	s_delay_alu instid0(VALU_DEP_1)
	v_cmpx_gt_u32_e64 s27, v17
	s_cbranch_execz .LBB1826_135
; %bb.122:
	v_or_b32_e32 v17, 2, v1
	;; [unrolled: 6-line block ×3, first 2 shown]
	s_mov_b32 s5, exec_lo
	s_delay_alu instid0(VALU_DEP_1)
	v_cmpx_gt_u32_e64 s27, v17
	s_cbranch_execz .LBB1826_133
; %bb.124:
	v_add_nc_u32_e32 v17, 4, v1
	s_mov_b32 s6, exec_lo
	s_delay_alu instid0(VALU_DEP_1)
	v_cmpx_gt_u32_e64 s27, v17
	s_cbranch_execz .LBB1826_132
; %bb.125:
	v_add_nc_u32_e32 v17, 5, v1
	;; [unrolled: 6-line block ×4, first 2 shown]
	s_mov_b32 s9, exec_lo
	s_delay_alu instid0(VALU_DEP_1)
	v_cmpx_gt_u32_e64 s27, v17
; %bb.128:
	v_add_nc_u32_e32 v17, 8, v1
	s_mov_b32 s10, exec_lo
	s_delay_alu instid0(VALU_DEP_1)
	v_cmpx_gt_u32_e64 s27, v17
	s_or_b32 exec_lo, exec_lo, s10
; %bb.129:
	s_delay_alu instid0(SALU_CYCLE_1)
	s_or_b32 exec_lo, exec_lo, s9
.LBB1826_130:
	s_delay_alu instid0(SALU_CYCLE_1)
	s_or_b32 exec_lo, exec_lo, s8
.LBB1826_131:
	s_delay_alu instid0(SALU_CYCLE_1)
	s_or_b32 exec_lo, exec_lo, s7
.LBB1826_132:
	s_delay_alu instid0(SALU_CYCLE_1)
	s_or_b32 exec_lo, exec_lo, s6
.LBB1826_133:
	s_delay_alu instid0(SALU_CYCLE_1)
	s_or_b32 exec_lo, exec_lo, s5
.LBB1826_134:
	s_delay_alu instid0(SALU_CYCLE_1)
	s_or_b32 exec_lo, exec_lo, s4
.LBB1826_135:
	s_delay_alu instid0(SALU_CYCLE_1)
	s_or_b32 exec_lo, exec_lo, s3
.LBB1826_136:
	s_delay_alu instid0(SALU_CYCLE_1)
	s_or_b32 exec_lo, exec_lo, s2
	v_dual_lshlrev_b32 v1, 2, v1 :: v_dual_mov_b32 v17, 0
	s_barrier_signal -1
	s_barrier_wait -1
	ds_store_b128 v1, v[6:9]
	ds_store_b128 v1, v[2:5] offset:16
	ds_store_b128 v1, v[10:13] offset:32
	v_mad_i32_i24 v6, 0xffffffd4, v0, v1
	s_wait_dscnt 0x0
	s_barrier_signal -1
	s_barrier_wait -1
	ds_load_2addr_stride64_b32 v[26:27], v6 offset0:4 offset1:8
	ds_load_2addr_stride64_b32 v[24:25], v6 offset0:12 offset1:16
	;; [unrolled: 1-line block ×5, first 2 shown]
	ds_load_b32 v7, v6 offset:11264
	v_add_nc_u64_e32 v[16:17], s[0:1], v[16:17]
	s_mov_b32 s2, exec_lo
	v_cmpx_gt_u32_e64 s27, v0
	s_cbranch_execz .LBB1826_138
; %bb.137:
	v_mul_i32_i24_e32 v6, 0xffffffd4, v0
	s_delay_alu instid0(VALU_DEP_1)
	v_add_nc_u32_e32 v1, v1, v6
	ds_load_b32 v1, v1
	s_wait_dscnt 0x0
	flat_store_b32 v[16:17], v1
.LBB1826_138:
	s_wait_xcnt 0x0
	s_or_b32 exec_lo, exec_lo, s2
	v_or_b32_e32 v1, 0x100, v0
	s_mov_b32 s2, exec_lo
	s_delay_alu instid0(VALU_DEP_1)
	v_cmpx_gt_u32_e64 s27, v1
	s_cbranch_execz .LBB1826_140
; %bb.139:
	s_wait_dscnt 0x5
	flat_store_b32 v[16:17], v26 offset:1024
.LBB1826_140:
	s_wait_xcnt 0x0
	s_or_b32 exec_lo, exec_lo, s2
	v_or_b32_e32 v1, 0x200, v0
	s_mov_b32 s2, exec_lo
	s_delay_alu instid0(VALU_DEP_1)
	v_cmpx_gt_u32_e64 s27, v1
	s_cbranch_execz .LBB1826_142
; %bb.141:
	s_wait_dscnt 0x5
	flat_store_b32 v[16:17], v27 offset:2048
.LBB1826_142:
	;; [unrolled: 11-line block ×10, first 2 shown]
	s_wait_xcnt 0x0
	s_or_b32 exec_lo, exec_lo, s2
	v_or_b32_e32 v1, 0xb00, v0
	s_delay_alu instid0(VALU_DEP_1)
	v_cmp_gt_u32_e64 s2, s27, v1
	s_branch .LBB1826_183
.LBB1826_159:
	s_and_saveexec_b32 s13, s12
	s_cbranch_execz .LBB1826_161
; %bb.160:
	v_and_b32_e32 v4, 0xff, v3
	s_mov_b32 s23, 0
	s_add_co_i32 s22, s20, 32
	v_and_b32_e32 v5, 1, v50
	s_lshl_b64 s[22:23], s[22:23], 4
	v_cmp_eq_u32_e32 vcc_lo, 0, v4
	s_add_nc_u64 s[22:23], s[24:25], s[22:23]
	s_delay_alu instid0(SALU_CYCLE_1) | instskip(SKIP_1) | instid1(VALU_DEP_1)
	v_mov_b64_e32 v[6:7], s[22:23]
	v_cndmask_b32_e32 v4, 0, v51, vcc_lo
	v_dual_add_nc_u32 v2, v4, v2 :: v_dual_bitop2_b32 v3, 1, v3 bitop3:0x40
	s_delay_alu instid0(VALU_DEP_1)
	v_cmp_eq_u32_e32 vcc_lo, 1, v3
	v_mov_b32_e32 v4, 2
	v_cndmask_b32_e64 v3, v5, 1, vcc_lo
	v_mov_b32_e32 v5, 0
	;;#ASMSTART
	global_store_b128 v[6:7], v[2:5] off scope:SCOPE_DEV	
s_wait_storecnt 0x0
	;;#ASMEND
.LBB1826_161:
	s_or_b32 exec_lo, exec_lo, s13
	s_delay_alu instid0(SALU_CYCLE_1)
	s_and_b32 exec_lo, exec_lo, s11
	s_cbranch_execz .LBB1826_163
; %bb.162:
	v_mov_b32_e32 v2, 0
	ds_store_b32 v2, v51
	ds_store_b8 v2, v50 offset:4
.LBB1826_163:
	s_or_b32 exec_lo, exec_lo, s30
	v_dual_mov_b32 v2, 0 :: v_dual_bitop2_b32 v3, 1, v19 bitop3:0x40
	s_wait_dscnt 0x0
	s_barrier_signal -1
	s_barrier_wait -1
	s_delay_alu instid0(VALU_DEP_1) | instskip(SKIP_4) | instid1(VALU_DEP_2)
	v_cmp_eq_u32_e32 vcc_lo, 1, v3
	ds_load_b32 v2, v2
	s_mov_b64 s[12:13], 0x100000000
	v_cndmask_b32_e64 v3, v13, 1, vcc_lo
	v_cmp_gt_u64_e32 vcc_lo, s[12:13], v[18:19]
	v_dual_cndmask_b32 v3, v3, v19, s11 :: v_dual_cndmask_b32 v4, 0, v12, vcc_lo
	s_delay_alu instid0(VALU_DEP_1) | instskip(NEXT) | instid1(VALU_DEP_2)
	v_and_b32_e32 v3, 0xff, v3
	v_cndmask_b32_e64 v4, v4, 0, s11
	s_delay_alu instid0(VALU_DEP_2) | instskip(SKIP_2) | instid1(VALU_DEP_1)
	v_cmp_eq_u16_e32 vcc_lo, 0, v3
	s_wait_dscnt 0x0
	v_cndmask_b32_e32 v2, 0, v2, vcc_lo
	v_add3_u32 v6, v4, v18, v2
	s_delay_alu instid0(VALU_DEP_1) | instskip(NEXT) | instid1(VALU_DEP_1)
	v_cndmask_b32_e64 v2, 0, v6, s0
	v_add_nc_u32_e32 v7, v2, v38
	s_delay_alu instid0(VALU_DEP_1) | instskip(NEXT) | instid1(VALU_DEP_1)
	v_cndmask_b32_e64 v2, 0, v7, s1
	v_add_nc_u32_e32 v8, v2, v36
	v_mov_b64_e32 v[14:15], v[6:7]
	s_delay_alu instid0(VALU_DEP_2) | instskip(NEXT) | instid1(VALU_DEP_1)
	v_cndmask_b32_e64 v2, 0, v8, s2
	v_add_nc_u32_e32 v9, v2, v34
	s_delay_alu instid0(VALU_DEP_1) | instskip(NEXT) | instid1(VALU_DEP_1)
	v_cndmask_b32_e64 v2, 0, v9, s3
	v_add_nc_u32_e32 v2, v2, v32
	s_delay_alu instid0(VALU_DEP_1) | instskip(NEXT) | instid1(VALU_DEP_1)
	;; [unrolled: 3-line block ×8, first 2 shown]
	v_cndmask_b32_e64 v13, 0, v12, s10
	v_add_nc_u32_e32 v13, v13, v40
	s_branch .LBB1826_119
.LBB1826_164:
	s_cmp_lg_u64 s[28:29], 0
	v_cmp_eq_u32_e32 vcc_lo, 0, v0
	s_cselect_b32 s1, -1, 0
	s_cmp_lg_u64 s[18:19], 0
	v_cmp_ne_u32_e64 s0, 0, v0
	s_cselect_b32 s2, -1, 0
	s_delay_alu instid0(SALU_CYCLE_1) | instskip(NEXT) | instid1(SALU_CYCLE_1)
	s_and_b32 s1, s1, s2
	s_and_b32 s1, vcc_lo, s1
	s_delay_alu instid0(SALU_CYCLE_1)
	s_and_saveexec_b32 s2, s1
	s_cbranch_execz .LBB1826_166
; %bb.165:
	s_mov_b64 s[4:5], 0x100000000
	s_delay_alu instid0(SALU_CYCLE_1)
	v_cmp_gt_u64_e64 s1, s[4:5], v[18:19]
	v_mov_b32_e32 v2, 0
	s_clause 0x1
	global_load_b32 v3, v2, s[18:19]
	global_load_u8 v4, v2, s[18:19] offset:4
	s_wait_loadcnt 0x1
	v_cndmask_b32_e64 v5, 0, v3, s1
	v_and_b32_e32 v3, 1, v19
	s_wait_loadcnt 0x0
	s_delay_alu instid0(VALU_DEP_2) | instskip(NEXT) | instid1(VALU_DEP_2)
	v_dual_add_nc_u32 v18, v5, v18 :: v_dual_bitop2_b32 v4, 1, v4 bitop3:0x40
	v_cmp_eq_u64_e64 s1, 0, v[2:3]
	s_delay_alu instid0(VALU_DEP_1)
	v_cndmask_b32_e64 v19, 1, v4, s1
.LBB1826_166:
	s_or_b32 exec_lo, exec_lo, s2
	s_mov_b64 s[12:13], 0x100000000
	v_or3_b32 v12, v42, v29, v31
	v_cmp_gt_u64_e64 s1, s[12:13], v[38:39]
	v_cmp_gt_u64_e64 s6, s[12:13], v[28:29]
	;; [unrolled: 1-line block ×7, first 2 shown]
	v_cndmask_b32_e64 v2, 0, v18, s1
	v_cmp_gt_u64_e64 s8, s[12:13], v[24:25]
	v_cmp_gt_u64_e64 s10, s[12:13], v[20:21]
	;; [unrolled: 1-line block ×3, first 2 shown]
	v_dual_mov_b32 v14, 0 :: v_dual_bitop2_b32 v1, 56, v1 bitop3:0x40
	v_add_nc_u32_e32 v7, v2, v38
	v_cmp_gt_u64_e64 s11, s[12:13], v[40:41]
	s_mov_b32 s13, exec_lo
	v_lshl_add_u32 v1, v0, 3, v1
	v_cndmask_b32_e64 v2, 0, v7, s2
	s_delay_alu instid0(VALU_DEP_1) | instskip(NEXT) | instid1(VALU_DEP_1)
	v_add_nc_u32_e32 v8, v2, v36
	v_cndmask_b32_e64 v2, 0, v8, s3
	s_delay_alu instid0(VALU_DEP_1) | instskip(NEXT) | instid1(VALU_DEP_1)
	v_add_nc_u32_e32 v9, v2, v34
	;; [unrolled: 3-line block ×7, first 2 shown]
	v_cndmask_b32_e64 v6, 0, v10, s9
	s_delay_alu instid0(VALU_DEP_1) | instskip(SKIP_1) | instid1(VALU_DEP_2)
	v_add_nc_u32_e32 v11, v6, v22
	v_or3_b32 v6, v12, v33, v35
	v_cndmask_b32_e64 v12, 0, v11, s10
	s_delay_alu instid0(VALU_DEP_2) | instskip(NEXT) | instid1(VALU_DEP_2)
	v_or3_b32 v6, v6, v37, v39
	v_add_nc_u32_e32 v12, v12, v20
	s_delay_alu instid0(VALU_DEP_2) | instskip(NEXT) | instid1(VALU_DEP_1)
	v_or3_b32 v6, v41, v17, v6
	v_and_b32_e32 v15, 0xff, v6
	s_delay_alu instid0(VALU_DEP_1) | instskip(NEXT) | instid1(VALU_DEP_1)
	v_cmp_eq_u64_e64 s12, 0, v[14:15]
	v_dual_cndmask_b32 v13, 0, v12, s11 :: v_dual_cndmask_b32 v6, 1, v19, s12
	s_delay_alu instid0(VALU_DEP_1)
	v_add_nc_u32_e32 v13, v13, v40
	ds_store_b32 v1, v13
	ds_store_b8 v1, v6 offset:4
	s_wait_dscnt 0x0
	s_barrier_signal -1
	s_barrier_wait -1
	v_cmpx_gt_u32_e32 32, v0
	s_cbranch_execz .LBB1826_176
; %bb.167:
	v_dual_lshlrev_b32 v1, 1, v0 :: v_dual_lshlrev_b32 v14, 6, v0
	s_mov_b32 s18, exec_lo
	s_delay_alu instid0(VALU_DEP_1) | instskip(NEXT) | instid1(VALU_DEP_1)
	v_and_b32_e32 v1, 0x1f8, v1
	v_add_nc_u32_e32 v1, v1, v14
	ds_load_u8 v17, v1 offset:12
	ds_load_b64 v[14:15], v1
	ds_load_2addr_b32 v[42:43], v1 offset0:2 offset1:4
	ds_load_u8 v21, v1 offset:20
	ds_load_u8 v23, v1 offset:28
	;; [unrolled: 1-line block ×5, first 2 shown]
	ds_load_b32 v33, v1 offset:56
	s_wait_dscnt 0x8
	v_cmp_eq_u16_e64 s12, 0, v17
	s_wait_dscnt 0x5
	s_delay_alu instid0(VALU_DEP_1)
	v_dual_cndmask_b32 v31, 0, v14, s12 :: v_dual_bitop2_b32 v17, v21, v17 bitop3:0x54
	ds_load_2addr_b32 v[44:45], v1 offset0:6 offset1:8
	v_cmp_eq_u16_e64 s12, 0, v21
	ds_load_u8 v35, v1 offset:60
	s_wait_dscnt 0x5
	v_bitop3_b16 v17, v17, v25, v23 bitop3:0xfe
	v_add_nc_u32_e32 v31, v31, v42
	s_delay_alu instid0(VALU_DEP_1)
	v_cndmask_b32_e64 v31, 0, v31, s12
	v_cmp_eq_u16_e64 s12, 0, v23
	s_wait_dscnt 0x3
	v_bitop3_b16 v23, v17, v29, v27 bitop3:0xfe
	v_and_b32_e32 v17, 1, v15
	v_add_nc_u32_e32 v31, v31, v43
	ds_load_2addr_b32 v[42:43], v1 offset0:10 offset1:12
	v_cndmask_b32_e64 v31, 0, v31, s12
	v_cmp_eq_u16_e64 s12, 0, v25
	s_wait_dscnt 0x1
	s_delay_alu instid0(VALU_DEP_2) | instskip(NEXT) | instid1(VALU_DEP_1)
	v_dual_add_nc_u32 v31, v31, v44 :: v_dual_bitop2_b32 v25, 1, v35 bitop3:0x40
	v_cndmask_b32_e64 v31, 0, v31, s12
	v_cmp_eq_u16_e64 s12, 0, v27
	s_delay_alu instid0(VALU_DEP_2) | instskip(NEXT) | instid1(VALU_DEP_1)
	v_add_nc_u32_e32 v21, v31, v45
	v_cndmask_b32_e64 v21, 0, v21, s12
	v_cmp_eq_u16_e64 s12, 0, v23
	s_wait_dscnt 0x0
	s_delay_alu instid0(VALU_DEP_1) | instskip(SKIP_1) | instid1(VALU_DEP_1)
	v_dual_add_nc_u32 v21, v21, v42 :: v_dual_cndmask_b32 v23, 1, v17, s12
	v_cmp_eq_u16_e64 s12, 0, v29
	v_cndmask_b32_e64 v21, 0, v21, s12
	v_cmp_eq_u32_e64 s12, 1, v25
	v_mbcnt_lo_u32_b32 v25, -1, 0
	s_delay_alu instid0(VALU_DEP_2) | instskip(SKIP_1) | instid1(VALU_DEP_2)
	v_cndmask_b32_e64 v27, v23, 1, s12
	v_cmp_eq_u16_e64 s12, 0, v35
	v_and_b32_e32 v29, 0xffff, v27
	v_add_nc_u32_e32 v23, v21, v43
	v_and_b32_e32 v21, 0xffffff00, v15
	s_delay_alu instid0(VALU_DEP_1) | instskip(SKIP_1) | instid1(VALU_DEP_2)
	v_dual_cndmask_b32 v23, 0, v23, s12 :: v_dual_bitop2_b32 v31, v21, v29 bitop3:0x54
	v_and_b32_e32 v29, 15, v25
	v_mov_b32_dpp v35, v31 row_shr:1 row_mask:0xf bank_mask:0xf
	s_delay_alu instid0(VALU_DEP_3) | instskip(NEXT) | instid1(VALU_DEP_1)
	v_add_nc_u32_e32 v23, v23, v33
	v_mov_b32_dpp v33, v23 row_shr:1 row_mask:0xf bank_mask:0xf
	s_delay_alu instid0(VALU_DEP_4)
	v_cmpx_ne_u32_e32 0, v29
	s_cbranch_execz .LBB1826_169
; %bb.168:
	v_and_b32_e32 v31, 1, v27
	v_and_b32_e32 v35, 1, v35
	s_delay_alu instid0(VALU_DEP_2) | instskip(NEXT) | instid1(VALU_DEP_1)
	v_cmp_eq_u32_e64 s12, 1, v31
	v_cndmask_b32_e64 v35, v35, 1, s12
	v_cmp_eq_u16_e64 s12, 0, v27
	s_delay_alu instid0(VALU_DEP_2) | instskip(NEXT) | instid1(VALU_DEP_1)
	v_and_b32_e32 v31, 0xffff, v35
	v_dual_cndmask_b32 v27, 0, v33, s12 :: v_dual_bitop2_b32 v31, v21, v31 bitop3:0x54
	s_delay_alu instid0(VALU_DEP_1)
	v_add_nc_u32_e32 v23, v27, v23
	v_mov_b32_e32 v27, v35
.LBB1826_169:
	s_or_b32 exec_lo, exec_lo, s18
	s_delay_alu instid0(VALU_DEP_2)
	v_mov_b32_dpp v33, v23 row_shr:2 row_mask:0xf bank_mask:0xf
	v_mov_b32_dpp v35, v31 row_shr:2 row_mask:0xf bank_mask:0xf
	s_mov_b32 s18, exec_lo
	v_cmpx_lt_u32_e32 1, v29
	s_cbranch_execz .LBB1826_171
; %bb.170:
	v_and_b32_e32 v31, 1, v27
	v_and_b32_e32 v35, 1, v35
	s_delay_alu instid0(VALU_DEP_2) | instskip(NEXT) | instid1(VALU_DEP_1)
	v_cmp_eq_u32_e64 s12, 1, v31
	v_cndmask_b32_e64 v35, v35, 1, s12
	v_cmp_eq_u16_e64 s12, 0, v27
	s_delay_alu instid0(VALU_DEP_2) | instskip(NEXT) | instid1(VALU_DEP_1)
	v_and_b32_e32 v31, 0xffff, v35
	v_dual_cndmask_b32 v27, 0, v33, s12 :: v_dual_bitop2_b32 v31, v21, v31 bitop3:0x54
	s_delay_alu instid0(VALU_DEP_1)
	v_add_nc_u32_e32 v23, v27, v23
	v_mov_b32_e32 v27, v35
.LBB1826_171:
	s_or_b32 exec_lo, exec_lo, s18
	s_delay_alu instid0(VALU_DEP_2)
	v_mov_b32_dpp v33, v23 row_shr:4 row_mask:0xf bank_mask:0xf
	v_mov_b32_dpp v35, v31 row_shr:4 row_mask:0xf bank_mask:0xf
	s_mov_b32 s18, exec_lo
	v_cmpx_lt_u32_e32 3, v29
	;; [unrolled: 21-line block ×3, first 2 shown]
	s_cbranch_execz .LBB1826_175
; %bb.174:
	v_and_b32_e32 v29, 1, v27
	v_and_b32_e32 v31, 1, v35
	s_delay_alu instid0(VALU_DEP_2) | instskip(NEXT) | instid1(VALU_DEP_1)
	v_cmp_eq_u32_e64 s12, 1, v29
	v_cndmask_b32_e64 v29, v31, 1, s12
	v_cmp_eq_u16_e64 s12, 0, v27
	s_delay_alu instid0(VALU_DEP_2) | instskip(NEXT) | instid1(VALU_DEP_1)
	v_and_b32_e32 v31, 0xffff, v29
	v_dual_cndmask_b32 v27, 0, v33, s12 :: v_dual_bitop2_b32 v31, v21, v31 bitop3:0x54
	s_delay_alu instid0(VALU_DEP_1)
	v_dual_add_nc_u32 v23, v27, v23 :: v_dual_mov_b32 v27, v29
.LBB1826_175:
	s_or_b32 exec_lo, exec_lo, s18
	ds_swizzle_b32 v29, v31 offset:swizzle(BROADCAST,32,15)
	ds_swizzle_b32 v31, v23 offset:swizzle(BROADCAST,32,15)
	v_and_b32_e32 v33, 1, v27
	v_and_b32_e32 v35, 16, v25
	v_bfe_i32 v37, v25, 4, 1
	v_and_b32_e32 v15, 0xff, v15
	s_delay_alu instid0(VALU_DEP_4) | instskip(SKIP_3) | instid1(VALU_DEP_1)
	v_cmp_eq_u32_e64 s12, 1, v33
	v_add_nc_u32_e32 v33, -1, v25
	; wave barrier
	s_wait_dscnt 0x1
	v_and_b32_e32 v29, 1, v29
	v_cndmask_b32_e64 v29, v29, 1, s12
	v_cmp_eq_u16_e64 s12, 0, v27
	s_wait_dscnt 0x0
	s_delay_alu instid0(VALU_DEP_1) | instskip(SKIP_1) | instid1(VALU_DEP_1)
	v_cndmask_b32_e64 v31, 0, v31, s12
	v_cmp_eq_u32_e64 s12, 0, v35
	v_cndmask_b32_e64 v27, v29, v27, s12
	v_cmp_gt_i32_e64 s12, 0, v33
	s_delay_alu instid0(VALU_DEP_2) | instskip(NEXT) | instid1(VALU_DEP_2)
	v_and_b32_e32 v27, 0xffff, v27
	v_cndmask_b32_e64 v25, v33, v25, s12
	v_and_b32_e32 v29, v37, v31
	v_cmp_eq_u16_e64 s12, 0, v15
	s_delay_alu instid0(VALU_DEP_3)
	v_dual_lshlrev_b32 v25, 2, v25 :: v_dual_bitop2_b32 v21, v21, v27 bitop3:0x54
	ds_bpermute_b32 v21, v25, v21
	s_wait_dscnt 0x0
	v_dual_add_nc_u32 v23, v29, v23 :: v_dual_bitop2_b32 v21, 1, v21 bitop3:0x40
	ds_bpermute_b32 v23, v25, v23
	s_wait_dscnt 0x0
	v_cndmask_b32_e64 v15, 0, v23, s12
	v_cmp_eq_u32_e64 s12, 1, v17
	s_delay_alu instid0(VALU_DEP_2) | instskip(NEXT) | instid1(VALU_DEP_2)
	v_add_nc_u32_e32 v14, v15, v14
	v_cndmask_b32_e64 v15, v21, 1, s12
	s_delay_alu instid0(VALU_DEP_1)
	v_dual_cndmask_b32 v17, v14, v13 :: v_dual_cndmask_b32 v6, v15, v6
	ds_store_b32 v1, v17
	ds_store_b8 v1, v6 offset:4
	; wave barrier
	ds_load_u8 v21, v1 offset:12
	ds_load_2addr_b32 v[14:15], v1 offset0:2 offset1:4
	ds_load_u8 v23, v1 offset:20
	ds_load_u8 v25, v1 offset:28
	;; [unrolled: 1-line block ×5, first 2 shown]
	ds_load_b32 v33, v1 offset:56
	ds_load_u8 v35, v1 offset:60
	ds_load_2addr_b32 v[42:43], v1 offset0:6 offset1:8
	s_wait_dscnt 0x9
	v_cmp_eq_u16_e64 s12, 0, v21
	s_delay_alu instid0(VALU_DEP_1) | instskip(SKIP_2) | instid1(VALU_DEP_2)
	v_cndmask_b32_e64 v17, 0, v17, s12
	s_wait_dscnt 0x7
	v_cmp_eq_u16_e64 s12, 0, v23
	v_add_nc_u32_e32 v17, v17, v14
	s_delay_alu instid0(VALU_DEP_1) | instskip(SKIP_2) | instid1(VALU_DEP_2)
	v_cndmask_b32_e64 v14, 0, v17, s12
	s_wait_dscnt 0x6
	v_cmp_eq_u16_e64 s12, 0, v25
	v_add_nc_u32_e32 v37, v14, v15
	ds_load_2addr_b32 v[14:15], v1 offset0:10 offset1:12
	v_cndmask_b32_e64 v39, 0, v37, s12
	s_wait_dscnt 0x6
	v_cmp_eq_u16_e64 s12, 0, v27
	ds_store_2addr_b32 v1, v17, v37 offset0:2 offset1:4
	s_wait_dscnt 0x2
	v_dual_add_nc_u32 v39, v39, v42 :: v_dual_bitop2_b32 v21, 1, v21 bitop3:0x40
	v_and_b32_e32 v42, 1, v35
	s_delay_alu instid0(VALU_DEP_2) | instskip(NEXT) | instid1(VALU_DEP_3)
	v_cndmask_b32_e64 v41, 0, v39, s12
	v_cmp_eq_u32_e64 s12, 1, v21
	s_delay_alu instid0(VALU_DEP_2) | instskip(SKIP_1) | instid1(VALU_DEP_3)
	v_dual_add_nc_u32 v25, v41, v43 :: v_dual_bitop2_b32 v21, 1, v25 bitop3:0x40
	v_and_b32_e32 v23, 1, v23
	v_cndmask_b32_e64 v6, v6, 1, s12
	s_delay_alu instid0(VALU_DEP_2) | instskip(NEXT) | instid1(VALU_DEP_1)
	v_cmp_eq_u32_e64 s12, 1, v23
	v_cndmask_b32_e64 v23, v6, 1, s12
	v_cmp_eq_u16_e64 s12, 0, v29
	s_delay_alu instid0(VALU_DEP_1) | instskip(SKIP_2) | instid1(VALU_DEP_2)
	v_dual_cndmask_b32 v41, 0, v25, s12 :: v_dual_bitop2_b32 v27, 1, v27 bitop3:0x40
	v_cmp_eq_u32_e64 s12, 1, v21
	s_wait_dscnt 0x1
	v_dual_add_nc_u32 v14, v41, v14 :: v_dual_bitop2_b32 v41, 1, v31 bitop3:0x40
	s_delay_alu instid0(VALU_DEP_2) | instskip(SKIP_1) | instid1(VALU_DEP_1)
	v_cndmask_b32_e64 v21, v23, 1, s12
	v_cmp_eq_u32_e64 s12, 1, v27
	v_cndmask_b32_e64 v27, v21, 1, s12
	v_cmp_eq_u16_e64 s12, 0, v31
	s_delay_alu instid0(VALU_DEP_1) | instskip(NEXT) | instid1(VALU_DEP_1)
	v_dual_cndmask_b32 v31, 0, v14, s12 :: v_dual_bitop2_b32 v29, 1, v29 bitop3:0x40
	v_cmp_eq_u32_e64 s12, 1, v29
	s_delay_alu instid0(VALU_DEP_2) | instskip(NEXT) | instid1(VALU_DEP_2)
	v_add_nc_u32_e32 v15, v31, v15
	v_cndmask_b32_e64 v29, v27, 1, s12
	v_cmp_eq_u32_e64 s12, 1, v41
	ds_store_2addr_b32 v1, v39, v25 offset0:6 offset1:8
	ds_store_2addr_b32 v1, v14, v15 offset0:10 offset1:12
	v_cndmask_b32_e64 v31, v29, 1, s12
	v_cmp_eq_u16_e64 s12, 0, v35
	s_delay_alu instid0(VALU_DEP_1) | instskip(SKIP_1) | instid1(VALU_DEP_2)
	v_cndmask_b32_e64 v17, 0, v15, s12
	v_cmp_eq_u32_e64 s12, 1, v42
	v_add_nc_u32_e32 v14, v17, v33
	s_delay_alu instid0(VALU_DEP_2)
	v_cndmask_b32_e64 v35, v31, 1, s12
	ds_store_b8 v1, v6 offset:12
	ds_store_b8 v1, v23 offset:20
	;; [unrolled: 1-line block ×6, first 2 shown]
	ds_store_b32 v1, v14 offset:56
	ds_store_b8 v1, v35 offset:60
.LBB1826_176:
	s_or_b32 exec_lo, exec_lo, s13
	v_mov_b32_e32 v6, v18
	s_wait_dscnt 0x0
	s_barrier_signal -1
	s_barrier_wait -1
	s_delay_alu instid0(VALU_DEP_1)
	v_mov_b64_e32 v[14:15], v[6:7]
	s_and_saveexec_b32 s12, s0
	s_cbranch_execz .LBB1826_178
; %bb.177:
	v_add_nc_u32_e32 v1, -1, v0
	v_and_b32_e32 v3, 0xff, v19
	s_delay_alu instid0(VALU_DEP_2) | instskip(NEXT) | instid1(VALU_DEP_1)
	v_lshrrev_b32_e32 v2, 2, v1
	v_and_b32_e32 v2, 0x3ffffff8, v2
	s_delay_alu instid0(VALU_DEP_1)
	v_lshl_add_u32 v1, v1, 3, v2
	v_mov_b32_e32 v2, 0
	ds_load_b32 v1, v1
	v_cmp_eq_u64_e64 s0, 0, v[2:3]
	;;#ASMSTART
	;;#ASMEND
	s_wait_dscnt 0x0
	s_delay_alu instid0(VALU_DEP_1) | instskip(NEXT) | instid1(VALU_DEP_1)
	v_cndmask_b32_e64 v1, 0, v1, s0
	v_add_nc_u32_e32 v14, v1, v18
	s_delay_alu instid0(VALU_DEP_1) | instskip(NEXT) | instid1(VALU_DEP_1)
	v_cndmask_b32_e64 v1, 0, v14, s1
	v_add_nc_u32_e32 v15, v1, v38
	s_delay_alu instid0(VALU_DEP_1) | instskip(NEXT) | instid1(VALU_DEP_1)
	v_dual_cndmask_b32 v1, 0, v15, s2 :: v_dual_mov_b32 v18, v14
	v_dual_mov_b32 v7, v15 :: v_dual_add_nc_u32 v8, v1, v36
	s_delay_alu instid0(VALU_DEP_1) | instskip(NEXT) | instid1(VALU_DEP_1)
	v_cndmask_b32_e64 v1, 0, v8, s3
	v_add_nc_u32_e32 v9, v1, v34
	s_delay_alu instid0(VALU_DEP_1) | instskip(NEXT) | instid1(VALU_DEP_1)
	v_cndmask_b32_e64 v1, 0, v9, s4
	v_add_nc_u32_e32 v2, v1, v32
	;; [unrolled: 3-line block ×9, first 2 shown]
.LBB1826_178:
	s_or_b32 exec_lo, exec_lo, s12
	s_and_saveexec_b32 s0, vcc_lo
	s_cbranch_execz .LBB1826_180
; %bb.179:
	v_dual_mov_b32 v23, 0 :: v_dual_mov_b32 v22, 2
	s_add_nc_u64 s[2:3], s[24:25], 0x200
	ds_load_b32 v20, v23 offset:2096
	ds_load_u8 v21, v23 offset:2100
	v_mov_b64_e32 v[24:25], s[2:3]
	s_wait_dscnt 0x0
	;;#ASMSTART
	global_store_b128 v[24:25], v[20:23] off scope:SCOPE_DEV	
s_wait_storecnt 0x0
	;;#ASMEND
.LBB1826_180:
	s_or_b32 exec_lo, exec_lo, s0
	v_mov_b32_e32 v6, v18
	s_add_nc_u64 s[0:1], s[14:15], s[34:35]
	s_and_b32 vcc_lo, exec_lo, s21
	s_add_nc_u64 s[0:1], s[0:1], s[16:17]
	s_cbranch_vccnz .LBB1826_120
.LBB1826_181:
	s_mov_b32 s2, 0
                                        ; implicit-def: $vgpr7
	s_cbranch_execz .LBB1826_183
; %bb.182:
	v_mul_u32_u24_e32 v1, 48, v0
	v_dual_mov_b32 v16, v8 :: v_dual_mov_b32 v17, v9
	v_mul_i32_i24_e32 v6, 0xffffffd4, v0
	s_wait_storecnt_dscnt 0x0
	s_barrier_signal -1
	s_barrier_wait -1
	ds_store_b128 v1, v[14:17]
	ds_store_b128 v1, v[2:5] offset:16
	ds_store_b128 v1, v[10:13] offset:32
	v_mad_u32_u24 v1, v0, 48, v6
	s_wait_dscnt 0x0
	s_barrier_signal -1
	s_barrier_wait -1
	ds_load_2addr_stride64_b32 v[2:3], v1 offset1:4
	ds_load_2addr_stride64_b32 v[4:5], v1 offset0:8 offset1:12
	ds_load_2addr_stride64_b32 v[8:9], v1 offset0:16 offset1:20
	;; [unrolled: 1-line block ×5, first 2 shown]
	s_or_b32 s2, s2, exec_lo
	s_wait_dscnt 0x5
	s_clause 0x1
	flat_store_b32 v0, v2, s[0:1] scale_offset
	flat_store_b32 v0, v3, s[0:1] offset:1024 scale_offset
	s_wait_dscnt 0x6
	s_clause 0x1
	flat_store_b32 v0, v4, s[0:1] offset:2048 scale_offset
	flat_store_b32 v0, v5, s[0:1] offset:3072 scale_offset
	s_wait_dscnt 0x7
	s_clause 0x1
	flat_store_b32 v0, v8, s[0:1] offset:4096 scale_offset
	;; [unrolled: 4-line block ×4, first 2 shown]
	flat_store_b32 v0, v13, s[0:1] offset:9216 scale_offset
	s_wait_dscnt 0xa
	flat_store_b32 v0, v6, s[0:1] offset:10240 scale_offset
.LBB1826_183:
	s_wait_xcnt 0x0
	s_delay_alu instid0(VALU_DEP_1)
	s_and_saveexec_b32 s3, s2
	s_cbranch_execnz .LBB1826_185
; %bb.184:
	s_endpgm
.LBB1826_185:
	s_wait_dscnt 0x0
	flat_store_b32 v0, v7, s[0:1] offset:11264 scale_offset
	s_endpgm
	.section	.rodata,"a",@progbits
	.p2align	6, 0x0
	.amdhsa_kernel _ZN7rocprim17ROCPRIM_400000_NS6detail17trampoline_kernelINS0_14default_configENS1_27scan_by_key_config_selectorIjjEEZZNS1_16scan_by_key_implILNS1_25lookback_scan_determinismE0ELb0ES3_N6thrust23THRUST_200600_302600_NS6detail15normal_iteratorINS9_10device_ptrIjEEEESE_SE_jNS9_4plusIvEENS9_8equal_toIvEEjEE10hipError_tPvRmT2_T3_T4_T5_mT6_T7_P12ihipStream_tbENKUlT_T0_E_clISt17integral_constantIbLb0EESZ_EEDaSU_SV_EUlSU_E_NS1_11comp_targetILNS1_3genE0ELNS1_11target_archE4294967295ELNS1_3gpuE0ELNS1_3repE0EEENS1_30default_config_static_selectorELNS0_4arch9wavefront6targetE0EEEvT1_
		.amdhsa_group_segment_fixed_size 14336
		.amdhsa_private_segment_fixed_size 0
		.amdhsa_kernarg_size 112
		.amdhsa_user_sgpr_count 2
		.amdhsa_user_sgpr_dispatch_ptr 0
		.amdhsa_user_sgpr_queue_ptr 0
		.amdhsa_user_sgpr_kernarg_segment_ptr 1
		.amdhsa_user_sgpr_dispatch_id 0
		.amdhsa_user_sgpr_kernarg_preload_length 0
		.amdhsa_user_sgpr_kernarg_preload_offset 0
		.amdhsa_user_sgpr_private_segment_size 0
		.amdhsa_wavefront_size32 1
		.amdhsa_uses_dynamic_stack 0
		.amdhsa_enable_private_segment 0
		.amdhsa_system_sgpr_workgroup_id_x 1
		.amdhsa_system_sgpr_workgroup_id_y 0
		.amdhsa_system_sgpr_workgroup_id_z 0
		.amdhsa_system_sgpr_workgroup_info 0
		.amdhsa_system_vgpr_workitem_id 0
		.amdhsa_next_free_vgpr 60
		.amdhsa_next_free_sgpr 42
		.amdhsa_named_barrier_count 0
		.amdhsa_reserve_vcc 1
		.amdhsa_float_round_mode_32 0
		.amdhsa_float_round_mode_16_64 0
		.amdhsa_float_denorm_mode_32 3
		.amdhsa_float_denorm_mode_16_64 3
		.amdhsa_fp16_overflow 0
		.amdhsa_memory_ordered 1
		.amdhsa_forward_progress 1
		.amdhsa_inst_pref_size 94
		.amdhsa_round_robin_scheduling 0
		.amdhsa_exception_fp_ieee_invalid_op 0
		.amdhsa_exception_fp_denorm_src 0
		.amdhsa_exception_fp_ieee_div_zero 0
		.amdhsa_exception_fp_ieee_overflow 0
		.amdhsa_exception_fp_ieee_underflow 0
		.amdhsa_exception_fp_ieee_inexact 0
		.amdhsa_exception_int_div_zero 0
	.end_amdhsa_kernel
	.section	.text._ZN7rocprim17ROCPRIM_400000_NS6detail17trampoline_kernelINS0_14default_configENS1_27scan_by_key_config_selectorIjjEEZZNS1_16scan_by_key_implILNS1_25lookback_scan_determinismE0ELb0ES3_N6thrust23THRUST_200600_302600_NS6detail15normal_iteratorINS9_10device_ptrIjEEEESE_SE_jNS9_4plusIvEENS9_8equal_toIvEEjEE10hipError_tPvRmT2_T3_T4_T5_mT6_T7_P12ihipStream_tbENKUlT_T0_E_clISt17integral_constantIbLb0EESZ_EEDaSU_SV_EUlSU_E_NS1_11comp_targetILNS1_3genE0ELNS1_11target_archE4294967295ELNS1_3gpuE0ELNS1_3repE0EEENS1_30default_config_static_selectorELNS0_4arch9wavefront6targetE0EEEvT1_,"axG",@progbits,_ZN7rocprim17ROCPRIM_400000_NS6detail17trampoline_kernelINS0_14default_configENS1_27scan_by_key_config_selectorIjjEEZZNS1_16scan_by_key_implILNS1_25lookback_scan_determinismE0ELb0ES3_N6thrust23THRUST_200600_302600_NS6detail15normal_iteratorINS9_10device_ptrIjEEEESE_SE_jNS9_4plusIvEENS9_8equal_toIvEEjEE10hipError_tPvRmT2_T3_T4_T5_mT6_T7_P12ihipStream_tbENKUlT_T0_E_clISt17integral_constantIbLb0EESZ_EEDaSU_SV_EUlSU_E_NS1_11comp_targetILNS1_3genE0ELNS1_11target_archE4294967295ELNS1_3gpuE0ELNS1_3repE0EEENS1_30default_config_static_selectorELNS0_4arch9wavefront6targetE0EEEvT1_,comdat
.Lfunc_end1826:
	.size	_ZN7rocprim17ROCPRIM_400000_NS6detail17trampoline_kernelINS0_14default_configENS1_27scan_by_key_config_selectorIjjEEZZNS1_16scan_by_key_implILNS1_25lookback_scan_determinismE0ELb0ES3_N6thrust23THRUST_200600_302600_NS6detail15normal_iteratorINS9_10device_ptrIjEEEESE_SE_jNS9_4plusIvEENS9_8equal_toIvEEjEE10hipError_tPvRmT2_T3_T4_T5_mT6_T7_P12ihipStream_tbENKUlT_T0_E_clISt17integral_constantIbLb0EESZ_EEDaSU_SV_EUlSU_E_NS1_11comp_targetILNS1_3genE0ELNS1_11target_archE4294967295ELNS1_3gpuE0ELNS1_3repE0EEENS1_30default_config_static_selectorELNS0_4arch9wavefront6targetE0EEEvT1_, .Lfunc_end1826-_ZN7rocprim17ROCPRIM_400000_NS6detail17trampoline_kernelINS0_14default_configENS1_27scan_by_key_config_selectorIjjEEZZNS1_16scan_by_key_implILNS1_25lookback_scan_determinismE0ELb0ES3_N6thrust23THRUST_200600_302600_NS6detail15normal_iteratorINS9_10device_ptrIjEEEESE_SE_jNS9_4plusIvEENS9_8equal_toIvEEjEE10hipError_tPvRmT2_T3_T4_T5_mT6_T7_P12ihipStream_tbENKUlT_T0_E_clISt17integral_constantIbLb0EESZ_EEDaSU_SV_EUlSU_E_NS1_11comp_targetILNS1_3genE0ELNS1_11target_archE4294967295ELNS1_3gpuE0ELNS1_3repE0EEENS1_30default_config_static_selectorELNS0_4arch9wavefront6targetE0EEEvT1_
                                        ; -- End function
	.set _ZN7rocprim17ROCPRIM_400000_NS6detail17trampoline_kernelINS0_14default_configENS1_27scan_by_key_config_selectorIjjEEZZNS1_16scan_by_key_implILNS1_25lookback_scan_determinismE0ELb0ES3_N6thrust23THRUST_200600_302600_NS6detail15normal_iteratorINS9_10device_ptrIjEEEESE_SE_jNS9_4plusIvEENS9_8equal_toIvEEjEE10hipError_tPvRmT2_T3_T4_T5_mT6_T7_P12ihipStream_tbENKUlT_T0_E_clISt17integral_constantIbLb0EESZ_EEDaSU_SV_EUlSU_E_NS1_11comp_targetILNS1_3genE0ELNS1_11target_archE4294967295ELNS1_3gpuE0ELNS1_3repE0EEENS1_30default_config_static_selectorELNS0_4arch9wavefront6targetE0EEEvT1_.num_vgpr, 60
	.set _ZN7rocprim17ROCPRIM_400000_NS6detail17trampoline_kernelINS0_14default_configENS1_27scan_by_key_config_selectorIjjEEZZNS1_16scan_by_key_implILNS1_25lookback_scan_determinismE0ELb0ES3_N6thrust23THRUST_200600_302600_NS6detail15normal_iteratorINS9_10device_ptrIjEEEESE_SE_jNS9_4plusIvEENS9_8equal_toIvEEjEE10hipError_tPvRmT2_T3_T4_T5_mT6_T7_P12ihipStream_tbENKUlT_T0_E_clISt17integral_constantIbLb0EESZ_EEDaSU_SV_EUlSU_E_NS1_11comp_targetILNS1_3genE0ELNS1_11target_archE4294967295ELNS1_3gpuE0ELNS1_3repE0EEENS1_30default_config_static_selectorELNS0_4arch9wavefront6targetE0EEEvT1_.num_agpr, 0
	.set _ZN7rocprim17ROCPRIM_400000_NS6detail17trampoline_kernelINS0_14default_configENS1_27scan_by_key_config_selectorIjjEEZZNS1_16scan_by_key_implILNS1_25lookback_scan_determinismE0ELb0ES3_N6thrust23THRUST_200600_302600_NS6detail15normal_iteratorINS9_10device_ptrIjEEEESE_SE_jNS9_4plusIvEENS9_8equal_toIvEEjEE10hipError_tPvRmT2_T3_T4_T5_mT6_T7_P12ihipStream_tbENKUlT_T0_E_clISt17integral_constantIbLb0EESZ_EEDaSU_SV_EUlSU_E_NS1_11comp_targetILNS1_3genE0ELNS1_11target_archE4294967295ELNS1_3gpuE0ELNS1_3repE0EEENS1_30default_config_static_selectorELNS0_4arch9wavefront6targetE0EEEvT1_.numbered_sgpr, 42
	.set _ZN7rocprim17ROCPRIM_400000_NS6detail17trampoline_kernelINS0_14default_configENS1_27scan_by_key_config_selectorIjjEEZZNS1_16scan_by_key_implILNS1_25lookback_scan_determinismE0ELb0ES3_N6thrust23THRUST_200600_302600_NS6detail15normal_iteratorINS9_10device_ptrIjEEEESE_SE_jNS9_4plusIvEENS9_8equal_toIvEEjEE10hipError_tPvRmT2_T3_T4_T5_mT6_T7_P12ihipStream_tbENKUlT_T0_E_clISt17integral_constantIbLb0EESZ_EEDaSU_SV_EUlSU_E_NS1_11comp_targetILNS1_3genE0ELNS1_11target_archE4294967295ELNS1_3gpuE0ELNS1_3repE0EEENS1_30default_config_static_selectorELNS0_4arch9wavefront6targetE0EEEvT1_.num_named_barrier, 0
	.set _ZN7rocprim17ROCPRIM_400000_NS6detail17trampoline_kernelINS0_14default_configENS1_27scan_by_key_config_selectorIjjEEZZNS1_16scan_by_key_implILNS1_25lookback_scan_determinismE0ELb0ES3_N6thrust23THRUST_200600_302600_NS6detail15normal_iteratorINS9_10device_ptrIjEEEESE_SE_jNS9_4plusIvEENS9_8equal_toIvEEjEE10hipError_tPvRmT2_T3_T4_T5_mT6_T7_P12ihipStream_tbENKUlT_T0_E_clISt17integral_constantIbLb0EESZ_EEDaSU_SV_EUlSU_E_NS1_11comp_targetILNS1_3genE0ELNS1_11target_archE4294967295ELNS1_3gpuE0ELNS1_3repE0EEENS1_30default_config_static_selectorELNS0_4arch9wavefront6targetE0EEEvT1_.private_seg_size, 0
	.set _ZN7rocprim17ROCPRIM_400000_NS6detail17trampoline_kernelINS0_14default_configENS1_27scan_by_key_config_selectorIjjEEZZNS1_16scan_by_key_implILNS1_25lookback_scan_determinismE0ELb0ES3_N6thrust23THRUST_200600_302600_NS6detail15normal_iteratorINS9_10device_ptrIjEEEESE_SE_jNS9_4plusIvEENS9_8equal_toIvEEjEE10hipError_tPvRmT2_T3_T4_T5_mT6_T7_P12ihipStream_tbENKUlT_T0_E_clISt17integral_constantIbLb0EESZ_EEDaSU_SV_EUlSU_E_NS1_11comp_targetILNS1_3genE0ELNS1_11target_archE4294967295ELNS1_3gpuE0ELNS1_3repE0EEENS1_30default_config_static_selectorELNS0_4arch9wavefront6targetE0EEEvT1_.uses_vcc, 1
	.set _ZN7rocprim17ROCPRIM_400000_NS6detail17trampoline_kernelINS0_14default_configENS1_27scan_by_key_config_selectorIjjEEZZNS1_16scan_by_key_implILNS1_25lookback_scan_determinismE0ELb0ES3_N6thrust23THRUST_200600_302600_NS6detail15normal_iteratorINS9_10device_ptrIjEEEESE_SE_jNS9_4plusIvEENS9_8equal_toIvEEjEE10hipError_tPvRmT2_T3_T4_T5_mT6_T7_P12ihipStream_tbENKUlT_T0_E_clISt17integral_constantIbLb0EESZ_EEDaSU_SV_EUlSU_E_NS1_11comp_targetILNS1_3genE0ELNS1_11target_archE4294967295ELNS1_3gpuE0ELNS1_3repE0EEENS1_30default_config_static_selectorELNS0_4arch9wavefront6targetE0EEEvT1_.uses_flat_scratch, 1
	.set _ZN7rocprim17ROCPRIM_400000_NS6detail17trampoline_kernelINS0_14default_configENS1_27scan_by_key_config_selectorIjjEEZZNS1_16scan_by_key_implILNS1_25lookback_scan_determinismE0ELb0ES3_N6thrust23THRUST_200600_302600_NS6detail15normal_iteratorINS9_10device_ptrIjEEEESE_SE_jNS9_4plusIvEENS9_8equal_toIvEEjEE10hipError_tPvRmT2_T3_T4_T5_mT6_T7_P12ihipStream_tbENKUlT_T0_E_clISt17integral_constantIbLb0EESZ_EEDaSU_SV_EUlSU_E_NS1_11comp_targetILNS1_3genE0ELNS1_11target_archE4294967295ELNS1_3gpuE0ELNS1_3repE0EEENS1_30default_config_static_selectorELNS0_4arch9wavefront6targetE0EEEvT1_.has_dyn_sized_stack, 0
	.set _ZN7rocprim17ROCPRIM_400000_NS6detail17trampoline_kernelINS0_14default_configENS1_27scan_by_key_config_selectorIjjEEZZNS1_16scan_by_key_implILNS1_25lookback_scan_determinismE0ELb0ES3_N6thrust23THRUST_200600_302600_NS6detail15normal_iteratorINS9_10device_ptrIjEEEESE_SE_jNS9_4plusIvEENS9_8equal_toIvEEjEE10hipError_tPvRmT2_T3_T4_T5_mT6_T7_P12ihipStream_tbENKUlT_T0_E_clISt17integral_constantIbLb0EESZ_EEDaSU_SV_EUlSU_E_NS1_11comp_targetILNS1_3genE0ELNS1_11target_archE4294967295ELNS1_3gpuE0ELNS1_3repE0EEENS1_30default_config_static_selectorELNS0_4arch9wavefront6targetE0EEEvT1_.has_recursion, 0
	.set _ZN7rocprim17ROCPRIM_400000_NS6detail17trampoline_kernelINS0_14default_configENS1_27scan_by_key_config_selectorIjjEEZZNS1_16scan_by_key_implILNS1_25lookback_scan_determinismE0ELb0ES3_N6thrust23THRUST_200600_302600_NS6detail15normal_iteratorINS9_10device_ptrIjEEEESE_SE_jNS9_4plusIvEENS9_8equal_toIvEEjEE10hipError_tPvRmT2_T3_T4_T5_mT6_T7_P12ihipStream_tbENKUlT_T0_E_clISt17integral_constantIbLb0EESZ_EEDaSU_SV_EUlSU_E_NS1_11comp_targetILNS1_3genE0ELNS1_11target_archE4294967295ELNS1_3gpuE0ELNS1_3repE0EEENS1_30default_config_static_selectorELNS0_4arch9wavefront6targetE0EEEvT1_.has_indirect_call, 0
	.section	.AMDGPU.csdata,"",@progbits
; Kernel info:
; codeLenInByte = 11992
; TotalNumSgprs: 44
; NumVgprs: 60
; ScratchSize: 0
; MemoryBound: 0
; FloatMode: 240
; IeeeMode: 1
; LDSByteSize: 14336 bytes/workgroup (compile time only)
; SGPRBlocks: 0
; VGPRBlocks: 3
; NumSGPRsForWavesPerEU: 44
; NumVGPRsForWavesPerEU: 60
; NamedBarCnt: 0
; Occupancy: 16
; WaveLimiterHint : 1
; COMPUTE_PGM_RSRC2:SCRATCH_EN: 0
; COMPUTE_PGM_RSRC2:USER_SGPR: 2
; COMPUTE_PGM_RSRC2:TRAP_HANDLER: 0
; COMPUTE_PGM_RSRC2:TGID_X_EN: 1
; COMPUTE_PGM_RSRC2:TGID_Y_EN: 0
; COMPUTE_PGM_RSRC2:TGID_Z_EN: 0
; COMPUTE_PGM_RSRC2:TIDIG_COMP_CNT: 0
	.section	.text._ZN7rocprim17ROCPRIM_400000_NS6detail17trampoline_kernelINS0_14default_configENS1_27scan_by_key_config_selectorIjjEEZZNS1_16scan_by_key_implILNS1_25lookback_scan_determinismE0ELb0ES3_N6thrust23THRUST_200600_302600_NS6detail15normal_iteratorINS9_10device_ptrIjEEEESE_SE_jNS9_4plusIvEENS9_8equal_toIvEEjEE10hipError_tPvRmT2_T3_T4_T5_mT6_T7_P12ihipStream_tbENKUlT_T0_E_clISt17integral_constantIbLb0EESZ_EEDaSU_SV_EUlSU_E_NS1_11comp_targetILNS1_3genE10ELNS1_11target_archE1201ELNS1_3gpuE5ELNS1_3repE0EEENS1_30default_config_static_selectorELNS0_4arch9wavefront6targetE0EEEvT1_,"axG",@progbits,_ZN7rocprim17ROCPRIM_400000_NS6detail17trampoline_kernelINS0_14default_configENS1_27scan_by_key_config_selectorIjjEEZZNS1_16scan_by_key_implILNS1_25lookback_scan_determinismE0ELb0ES3_N6thrust23THRUST_200600_302600_NS6detail15normal_iteratorINS9_10device_ptrIjEEEESE_SE_jNS9_4plusIvEENS9_8equal_toIvEEjEE10hipError_tPvRmT2_T3_T4_T5_mT6_T7_P12ihipStream_tbENKUlT_T0_E_clISt17integral_constantIbLb0EESZ_EEDaSU_SV_EUlSU_E_NS1_11comp_targetILNS1_3genE10ELNS1_11target_archE1201ELNS1_3gpuE5ELNS1_3repE0EEENS1_30default_config_static_selectorELNS0_4arch9wavefront6targetE0EEEvT1_,comdat
	.protected	_ZN7rocprim17ROCPRIM_400000_NS6detail17trampoline_kernelINS0_14default_configENS1_27scan_by_key_config_selectorIjjEEZZNS1_16scan_by_key_implILNS1_25lookback_scan_determinismE0ELb0ES3_N6thrust23THRUST_200600_302600_NS6detail15normal_iteratorINS9_10device_ptrIjEEEESE_SE_jNS9_4plusIvEENS9_8equal_toIvEEjEE10hipError_tPvRmT2_T3_T4_T5_mT6_T7_P12ihipStream_tbENKUlT_T0_E_clISt17integral_constantIbLb0EESZ_EEDaSU_SV_EUlSU_E_NS1_11comp_targetILNS1_3genE10ELNS1_11target_archE1201ELNS1_3gpuE5ELNS1_3repE0EEENS1_30default_config_static_selectorELNS0_4arch9wavefront6targetE0EEEvT1_ ; -- Begin function _ZN7rocprim17ROCPRIM_400000_NS6detail17trampoline_kernelINS0_14default_configENS1_27scan_by_key_config_selectorIjjEEZZNS1_16scan_by_key_implILNS1_25lookback_scan_determinismE0ELb0ES3_N6thrust23THRUST_200600_302600_NS6detail15normal_iteratorINS9_10device_ptrIjEEEESE_SE_jNS9_4plusIvEENS9_8equal_toIvEEjEE10hipError_tPvRmT2_T3_T4_T5_mT6_T7_P12ihipStream_tbENKUlT_T0_E_clISt17integral_constantIbLb0EESZ_EEDaSU_SV_EUlSU_E_NS1_11comp_targetILNS1_3genE10ELNS1_11target_archE1201ELNS1_3gpuE5ELNS1_3repE0EEENS1_30default_config_static_selectorELNS0_4arch9wavefront6targetE0EEEvT1_
	.globl	_ZN7rocprim17ROCPRIM_400000_NS6detail17trampoline_kernelINS0_14default_configENS1_27scan_by_key_config_selectorIjjEEZZNS1_16scan_by_key_implILNS1_25lookback_scan_determinismE0ELb0ES3_N6thrust23THRUST_200600_302600_NS6detail15normal_iteratorINS9_10device_ptrIjEEEESE_SE_jNS9_4plusIvEENS9_8equal_toIvEEjEE10hipError_tPvRmT2_T3_T4_T5_mT6_T7_P12ihipStream_tbENKUlT_T0_E_clISt17integral_constantIbLb0EESZ_EEDaSU_SV_EUlSU_E_NS1_11comp_targetILNS1_3genE10ELNS1_11target_archE1201ELNS1_3gpuE5ELNS1_3repE0EEENS1_30default_config_static_selectorELNS0_4arch9wavefront6targetE0EEEvT1_
	.p2align	8
	.type	_ZN7rocprim17ROCPRIM_400000_NS6detail17trampoline_kernelINS0_14default_configENS1_27scan_by_key_config_selectorIjjEEZZNS1_16scan_by_key_implILNS1_25lookback_scan_determinismE0ELb0ES3_N6thrust23THRUST_200600_302600_NS6detail15normal_iteratorINS9_10device_ptrIjEEEESE_SE_jNS9_4plusIvEENS9_8equal_toIvEEjEE10hipError_tPvRmT2_T3_T4_T5_mT6_T7_P12ihipStream_tbENKUlT_T0_E_clISt17integral_constantIbLb0EESZ_EEDaSU_SV_EUlSU_E_NS1_11comp_targetILNS1_3genE10ELNS1_11target_archE1201ELNS1_3gpuE5ELNS1_3repE0EEENS1_30default_config_static_selectorELNS0_4arch9wavefront6targetE0EEEvT1_,@function
_ZN7rocprim17ROCPRIM_400000_NS6detail17trampoline_kernelINS0_14default_configENS1_27scan_by_key_config_selectorIjjEEZZNS1_16scan_by_key_implILNS1_25lookback_scan_determinismE0ELb0ES3_N6thrust23THRUST_200600_302600_NS6detail15normal_iteratorINS9_10device_ptrIjEEEESE_SE_jNS9_4plusIvEENS9_8equal_toIvEEjEE10hipError_tPvRmT2_T3_T4_T5_mT6_T7_P12ihipStream_tbENKUlT_T0_E_clISt17integral_constantIbLb0EESZ_EEDaSU_SV_EUlSU_E_NS1_11comp_targetILNS1_3genE10ELNS1_11target_archE1201ELNS1_3gpuE5ELNS1_3repE0EEENS1_30default_config_static_selectorELNS0_4arch9wavefront6targetE0EEEvT1_: ; @_ZN7rocprim17ROCPRIM_400000_NS6detail17trampoline_kernelINS0_14default_configENS1_27scan_by_key_config_selectorIjjEEZZNS1_16scan_by_key_implILNS1_25lookback_scan_determinismE0ELb0ES3_N6thrust23THRUST_200600_302600_NS6detail15normal_iteratorINS9_10device_ptrIjEEEESE_SE_jNS9_4plusIvEENS9_8equal_toIvEEjEE10hipError_tPvRmT2_T3_T4_T5_mT6_T7_P12ihipStream_tbENKUlT_T0_E_clISt17integral_constantIbLb0EESZ_EEDaSU_SV_EUlSU_E_NS1_11comp_targetILNS1_3genE10ELNS1_11target_archE1201ELNS1_3gpuE5ELNS1_3repE0EEENS1_30default_config_static_selectorELNS0_4arch9wavefront6targetE0EEEvT1_
; %bb.0:
	.section	.rodata,"a",@progbits
	.p2align	6, 0x0
	.amdhsa_kernel _ZN7rocprim17ROCPRIM_400000_NS6detail17trampoline_kernelINS0_14default_configENS1_27scan_by_key_config_selectorIjjEEZZNS1_16scan_by_key_implILNS1_25lookback_scan_determinismE0ELb0ES3_N6thrust23THRUST_200600_302600_NS6detail15normal_iteratorINS9_10device_ptrIjEEEESE_SE_jNS9_4plusIvEENS9_8equal_toIvEEjEE10hipError_tPvRmT2_T3_T4_T5_mT6_T7_P12ihipStream_tbENKUlT_T0_E_clISt17integral_constantIbLb0EESZ_EEDaSU_SV_EUlSU_E_NS1_11comp_targetILNS1_3genE10ELNS1_11target_archE1201ELNS1_3gpuE5ELNS1_3repE0EEENS1_30default_config_static_selectorELNS0_4arch9wavefront6targetE0EEEvT1_
		.amdhsa_group_segment_fixed_size 0
		.amdhsa_private_segment_fixed_size 0
		.amdhsa_kernarg_size 112
		.amdhsa_user_sgpr_count 2
		.amdhsa_user_sgpr_dispatch_ptr 0
		.amdhsa_user_sgpr_queue_ptr 0
		.amdhsa_user_sgpr_kernarg_segment_ptr 1
		.amdhsa_user_sgpr_dispatch_id 0
		.amdhsa_user_sgpr_kernarg_preload_length 0
		.amdhsa_user_sgpr_kernarg_preload_offset 0
		.amdhsa_user_sgpr_private_segment_size 0
		.amdhsa_wavefront_size32 1
		.amdhsa_uses_dynamic_stack 0
		.amdhsa_enable_private_segment 0
		.amdhsa_system_sgpr_workgroup_id_x 1
		.amdhsa_system_sgpr_workgroup_id_y 0
		.amdhsa_system_sgpr_workgroup_id_z 0
		.amdhsa_system_sgpr_workgroup_info 0
		.amdhsa_system_vgpr_workitem_id 0
		.amdhsa_next_free_vgpr 1
		.amdhsa_next_free_sgpr 1
		.amdhsa_named_barrier_count 0
		.amdhsa_reserve_vcc 0
		.amdhsa_float_round_mode_32 0
		.amdhsa_float_round_mode_16_64 0
		.amdhsa_float_denorm_mode_32 3
		.amdhsa_float_denorm_mode_16_64 3
		.amdhsa_fp16_overflow 0
		.amdhsa_memory_ordered 1
		.amdhsa_forward_progress 1
		.amdhsa_inst_pref_size 0
		.amdhsa_round_robin_scheduling 0
		.amdhsa_exception_fp_ieee_invalid_op 0
		.amdhsa_exception_fp_denorm_src 0
		.amdhsa_exception_fp_ieee_div_zero 0
		.amdhsa_exception_fp_ieee_overflow 0
		.amdhsa_exception_fp_ieee_underflow 0
		.amdhsa_exception_fp_ieee_inexact 0
		.amdhsa_exception_int_div_zero 0
	.end_amdhsa_kernel
	.section	.text._ZN7rocprim17ROCPRIM_400000_NS6detail17trampoline_kernelINS0_14default_configENS1_27scan_by_key_config_selectorIjjEEZZNS1_16scan_by_key_implILNS1_25lookback_scan_determinismE0ELb0ES3_N6thrust23THRUST_200600_302600_NS6detail15normal_iteratorINS9_10device_ptrIjEEEESE_SE_jNS9_4plusIvEENS9_8equal_toIvEEjEE10hipError_tPvRmT2_T3_T4_T5_mT6_T7_P12ihipStream_tbENKUlT_T0_E_clISt17integral_constantIbLb0EESZ_EEDaSU_SV_EUlSU_E_NS1_11comp_targetILNS1_3genE10ELNS1_11target_archE1201ELNS1_3gpuE5ELNS1_3repE0EEENS1_30default_config_static_selectorELNS0_4arch9wavefront6targetE0EEEvT1_,"axG",@progbits,_ZN7rocprim17ROCPRIM_400000_NS6detail17trampoline_kernelINS0_14default_configENS1_27scan_by_key_config_selectorIjjEEZZNS1_16scan_by_key_implILNS1_25lookback_scan_determinismE0ELb0ES3_N6thrust23THRUST_200600_302600_NS6detail15normal_iteratorINS9_10device_ptrIjEEEESE_SE_jNS9_4plusIvEENS9_8equal_toIvEEjEE10hipError_tPvRmT2_T3_T4_T5_mT6_T7_P12ihipStream_tbENKUlT_T0_E_clISt17integral_constantIbLb0EESZ_EEDaSU_SV_EUlSU_E_NS1_11comp_targetILNS1_3genE10ELNS1_11target_archE1201ELNS1_3gpuE5ELNS1_3repE0EEENS1_30default_config_static_selectorELNS0_4arch9wavefront6targetE0EEEvT1_,comdat
.Lfunc_end1827:
	.size	_ZN7rocprim17ROCPRIM_400000_NS6detail17trampoline_kernelINS0_14default_configENS1_27scan_by_key_config_selectorIjjEEZZNS1_16scan_by_key_implILNS1_25lookback_scan_determinismE0ELb0ES3_N6thrust23THRUST_200600_302600_NS6detail15normal_iteratorINS9_10device_ptrIjEEEESE_SE_jNS9_4plusIvEENS9_8equal_toIvEEjEE10hipError_tPvRmT2_T3_T4_T5_mT6_T7_P12ihipStream_tbENKUlT_T0_E_clISt17integral_constantIbLb0EESZ_EEDaSU_SV_EUlSU_E_NS1_11comp_targetILNS1_3genE10ELNS1_11target_archE1201ELNS1_3gpuE5ELNS1_3repE0EEENS1_30default_config_static_selectorELNS0_4arch9wavefront6targetE0EEEvT1_, .Lfunc_end1827-_ZN7rocprim17ROCPRIM_400000_NS6detail17trampoline_kernelINS0_14default_configENS1_27scan_by_key_config_selectorIjjEEZZNS1_16scan_by_key_implILNS1_25lookback_scan_determinismE0ELb0ES3_N6thrust23THRUST_200600_302600_NS6detail15normal_iteratorINS9_10device_ptrIjEEEESE_SE_jNS9_4plusIvEENS9_8equal_toIvEEjEE10hipError_tPvRmT2_T3_T4_T5_mT6_T7_P12ihipStream_tbENKUlT_T0_E_clISt17integral_constantIbLb0EESZ_EEDaSU_SV_EUlSU_E_NS1_11comp_targetILNS1_3genE10ELNS1_11target_archE1201ELNS1_3gpuE5ELNS1_3repE0EEENS1_30default_config_static_selectorELNS0_4arch9wavefront6targetE0EEEvT1_
                                        ; -- End function
	.set _ZN7rocprim17ROCPRIM_400000_NS6detail17trampoline_kernelINS0_14default_configENS1_27scan_by_key_config_selectorIjjEEZZNS1_16scan_by_key_implILNS1_25lookback_scan_determinismE0ELb0ES3_N6thrust23THRUST_200600_302600_NS6detail15normal_iteratorINS9_10device_ptrIjEEEESE_SE_jNS9_4plusIvEENS9_8equal_toIvEEjEE10hipError_tPvRmT2_T3_T4_T5_mT6_T7_P12ihipStream_tbENKUlT_T0_E_clISt17integral_constantIbLb0EESZ_EEDaSU_SV_EUlSU_E_NS1_11comp_targetILNS1_3genE10ELNS1_11target_archE1201ELNS1_3gpuE5ELNS1_3repE0EEENS1_30default_config_static_selectorELNS0_4arch9wavefront6targetE0EEEvT1_.num_vgpr, 0
	.set _ZN7rocprim17ROCPRIM_400000_NS6detail17trampoline_kernelINS0_14default_configENS1_27scan_by_key_config_selectorIjjEEZZNS1_16scan_by_key_implILNS1_25lookback_scan_determinismE0ELb0ES3_N6thrust23THRUST_200600_302600_NS6detail15normal_iteratorINS9_10device_ptrIjEEEESE_SE_jNS9_4plusIvEENS9_8equal_toIvEEjEE10hipError_tPvRmT2_T3_T4_T5_mT6_T7_P12ihipStream_tbENKUlT_T0_E_clISt17integral_constantIbLb0EESZ_EEDaSU_SV_EUlSU_E_NS1_11comp_targetILNS1_3genE10ELNS1_11target_archE1201ELNS1_3gpuE5ELNS1_3repE0EEENS1_30default_config_static_selectorELNS0_4arch9wavefront6targetE0EEEvT1_.num_agpr, 0
	.set _ZN7rocprim17ROCPRIM_400000_NS6detail17trampoline_kernelINS0_14default_configENS1_27scan_by_key_config_selectorIjjEEZZNS1_16scan_by_key_implILNS1_25lookback_scan_determinismE0ELb0ES3_N6thrust23THRUST_200600_302600_NS6detail15normal_iteratorINS9_10device_ptrIjEEEESE_SE_jNS9_4plusIvEENS9_8equal_toIvEEjEE10hipError_tPvRmT2_T3_T4_T5_mT6_T7_P12ihipStream_tbENKUlT_T0_E_clISt17integral_constantIbLb0EESZ_EEDaSU_SV_EUlSU_E_NS1_11comp_targetILNS1_3genE10ELNS1_11target_archE1201ELNS1_3gpuE5ELNS1_3repE0EEENS1_30default_config_static_selectorELNS0_4arch9wavefront6targetE0EEEvT1_.numbered_sgpr, 0
	.set _ZN7rocprim17ROCPRIM_400000_NS6detail17trampoline_kernelINS0_14default_configENS1_27scan_by_key_config_selectorIjjEEZZNS1_16scan_by_key_implILNS1_25lookback_scan_determinismE0ELb0ES3_N6thrust23THRUST_200600_302600_NS6detail15normal_iteratorINS9_10device_ptrIjEEEESE_SE_jNS9_4plusIvEENS9_8equal_toIvEEjEE10hipError_tPvRmT2_T3_T4_T5_mT6_T7_P12ihipStream_tbENKUlT_T0_E_clISt17integral_constantIbLb0EESZ_EEDaSU_SV_EUlSU_E_NS1_11comp_targetILNS1_3genE10ELNS1_11target_archE1201ELNS1_3gpuE5ELNS1_3repE0EEENS1_30default_config_static_selectorELNS0_4arch9wavefront6targetE0EEEvT1_.num_named_barrier, 0
	.set _ZN7rocprim17ROCPRIM_400000_NS6detail17trampoline_kernelINS0_14default_configENS1_27scan_by_key_config_selectorIjjEEZZNS1_16scan_by_key_implILNS1_25lookback_scan_determinismE0ELb0ES3_N6thrust23THRUST_200600_302600_NS6detail15normal_iteratorINS9_10device_ptrIjEEEESE_SE_jNS9_4plusIvEENS9_8equal_toIvEEjEE10hipError_tPvRmT2_T3_T4_T5_mT6_T7_P12ihipStream_tbENKUlT_T0_E_clISt17integral_constantIbLb0EESZ_EEDaSU_SV_EUlSU_E_NS1_11comp_targetILNS1_3genE10ELNS1_11target_archE1201ELNS1_3gpuE5ELNS1_3repE0EEENS1_30default_config_static_selectorELNS0_4arch9wavefront6targetE0EEEvT1_.private_seg_size, 0
	.set _ZN7rocprim17ROCPRIM_400000_NS6detail17trampoline_kernelINS0_14default_configENS1_27scan_by_key_config_selectorIjjEEZZNS1_16scan_by_key_implILNS1_25lookback_scan_determinismE0ELb0ES3_N6thrust23THRUST_200600_302600_NS6detail15normal_iteratorINS9_10device_ptrIjEEEESE_SE_jNS9_4plusIvEENS9_8equal_toIvEEjEE10hipError_tPvRmT2_T3_T4_T5_mT6_T7_P12ihipStream_tbENKUlT_T0_E_clISt17integral_constantIbLb0EESZ_EEDaSU_SV_EUlSU_E_NS1_11comp_targetILNS1_3genE10ELNS1_11target_archE1201ELNS1_3gpuE5ELNS1_3repE0EEENS1_30default_config_static_selectorELNS0_4arch9wavefront6targetE0EEEvT1_.uses_vcc, 0
	.set _ZN7rocprim17ROCPRIM_400000_NS6detail17trampoline_kernelINS0_14default_configENS1_27scan_by_key_config_selectorIjjEEZZNS1_16scan_by_key_implILNS1_25lookback_scan_determinismE0ELb0ES3_N6thrust23THRUST_200600_302600_NS6detail15normal_iteratorINS9_10device_ptrIjEEEESE_SE_jNS9_4plusIvEENS9_8equal_toIvEEjEE10hipError_tPvRmT2_T3_T4_T5_mT6_T7_P12ihipStream_tbENKUlT_T0_E_clISt17integral_constantIbLb0EESZ_EEDaSU_SV_EUlSU_E_NS1_11comp_targetILNS1_3genE10ELNS1_11target_archE1201ELNS1_3gpuE5ELNS1_3repE0EEENS1_30default_config_static_selectorELNS0_4arch9wavefront6targetE0EEEvT1_.uses_flat_scratch, 0
	.set _ZN7rocprim17ROCPRIM_400000_NS6detail17trampoline_kernelINS0_14default_configENS1_27scan_by_key_config_selectorIjjEEZZNS1_16scan_by_key_implILNS1_25lookback_scan_determinismE0ELb0ES3_N6thrust23THRUST_200600_302600_NS6detail15normal_iteratorINS9_10device_ptrIjEEEESE_SE_jNS9_4plusIvEENS9_8equal_toIvEEjEE10hipError_tPvRmT2_T3_T4_T5_mT6_T7_P12ihipStream_tbENKUlT_T0_E_clISt17integral_constantIbLb0EESZ_EEDaSU_SV_EUlSU_E_NS1_11comp_targetILNS1_3genE10ELNS1_11target_archE1201ELNS1_3gpuE5ELNS1_3repE0EEENS1_30default_config_static_selectorELNS0_4arch9wavefront6targetE0EEEvT1_.has_dyn_sized_stack, 0
	.set _ZN7rocprim17ROCPRIM_400000_NS6detail17trampoline_kernelINS0_14default_configENS1_27scan_by_key_config_selectorIjjEEZZNS1_16scan_by_key_implILNS1_25lookback_scan_determinismE0ELb0ES3_N6thrust23THRUST_200600_302600_NS6detail15normal_iteratorINS9_10device_ptrIjEEEESE_SE_jNS9_4plusIvEENS9_8equal_toIvEEjEE10hipError_tPvRmT2_T3_T4_T5_mT6_T7_P12ihipStream_tbENKUlT_T0_E_clISt17integral_constantIbLb0EESZ_EEDaSU_SV_EUlSU_E_NS1_11comp_targetILNS1_3genE10ELNS1_11target_archE1201ELNS1_3gpuE5ELNS1_3repE0EEENS1_30default_config_static_selectorELNS0_4arch9wavefront6targetE0EEEvT1_.has_recursion, 0
	.set _ZN7rocprim17ROCPRIM_400000_NS6detail17trampoline_kernelINS0_14default_configENS1_27scan_by_key_config_selectorIjjEEZZNS1_16scan_by_key_implILNS1_25lookback_scan_determinismE0ELb0ES3_N6thrust23THRUST_200600_302600_NS6detail15normal_iteratorINS9_10device_ptrIjEEEESE_SE_jNS9_4plusIvEENS9_8equal_toIvEEjEE10hipError_tPvRmT2_T3_T4_T5_mT6_T7_P12ihipStream_tbENKUlT_T0_E_clISt17integral_constantIbLb0EESZ_EEDaSU_SV_EUlSU_E_NS1_11comp_targetILNS1_3genE10ELNS1_11target_archE1201ELNS1_3gpuE5ELNS1_3repE0EEENS1_30default_config_static_selectorELNS0_4arch9wavefront6targetE0EEEvT1_.has_indirect_call, 0
	.section	.AMDGPU.csdata,"",@progbits
; Kernel info:
; codeLenInByte = 0
; TotalNumSgprs: 0
; NumVgprs: 0
; ScratchSize: 0
; MemoryBound: 0
; FloatMode: 240
; IeeeMode: 1
; LDSByteSize: 0 bytes/workgroup (compile time only)
; SGPRBlocks: 0
; VGPRBlocks: 0
; NumSGPRsForWavesPerEU: 1
; NumVGPRsForWavesPerEU: 1
; NamedBarCnt: 0
; Occupancy: 16
; WaveLimiterHint : 0
; COMPUTE_PGM_RSRC2:SCRATCH_EN: 0
; COMPUTE_PGM_RSRC2:USER_SGPR: 2
; COMPUTE_PGM_RSRC2:TRAP_HANDLER: 0
; COMPUTE_PGM_RSRC2:TGID_X_EN: 1
; COMPUTE_PGM_RSRC2:TGID_Y_EN: 0
; COMPUTE_PGM_RSRC2:TGID_Z_EN: 0
; COMPUTE_PGM_RSRC2:TIDIG_COMP_CNT: 0
	.section	.text._ZN7rocprim17ROCPRIM_400000_NS6detail17trampoline_kernelINS0_14default_configENS1_27scan_by_key_config_selectorIjjEEZZNS1_16scan_by_key_implILNS1_25lookback_scan_determinismE0ELb0ES3_N6thrust23THRUST_200600_302600_NS6detail15normal_iteratorINS9_10device_ptrIjEEEESE_SE_jNS9_4plusIvEENS9_8equal_toIvEEjEE10hipError_tPvRmT2_T3_T4_T5_mT6_T7_P12ihipStream_tbENKUlT_T0_E_clISt17integral_constantIbLb0EESZ_EEDaSU_SV_EUlSU_E_NS1_11comp_targetILNS1_3genE5ELNS1_11target_archE942ELNS1_3gpuE9ELNS1_3repE0EEENS1_30default_config_static_selectorELNS0_4arch9wavefront6targetE0EEEvT1_,"axG",@progbits,_ZN7rocprim17ROCPRIM_400000_NS6detail17trampoline_kernelINS0_14default_configENS1_27scan_by_key_config_selectorIjjEEZZNS1_16scan_by_key_implILNS1_25lookback_scan_determinismE0ELb0ES3_N6thrust23THRUST_200600_302600_NS6detail15normal_iteratorINS9_10device_ptrIjEEEESE_SE_jNS9_4plusIvEENS9_8equal_toIvEEjEE10hipError_tPvRmT2_T3_T4_T5_mT6_T7_P12ihipStream_tbENKUlT_T0_E_clISt17integral_constantIbLb0EESZ_EEDaSU_SV_EUlSU_E_NS1_11comp_targetILNS1_3genE5ELNS1_11target_archE942ELNS1_3gpuE9ELNS1_3repE0EEENS1_30default_config_static_selectorELNS0_4arch9wavefront6targetE0EEEvT1_,comdat
	.protected	_ZN7rocprim17ROCPRIM_400000_NS6detail17trampoline_kernelINS0_14default_configENS1_27scan_by_key_config_selectorIjjEEZZNS1_16scan_by_key_implILNS1_25lookback_scan_determinismE0ELb0ES3_N6thrust23THRUST_200600_302600_NS6detail15normal_iteratorINS9_10device_ptrIjEEEESE_SE_jNS9_4plusIvEENS9_8equal_toIvEEjEE10hipError_tPvRmT2_T3_T4_T5_mT6_T7_P12ihipStream_tbENKUlT_T0_E_clISt17integral_constantIbLb0EESZ_EEDaSU_SV_EUlSU_E_NS1_11comp_targetILNS1_3genE5ELNS1_11target_archE942ELNS1_3gpuE9ELNS1_3repE0EEENS1_30default_config_static_selectorELNS0_4arch9wavefront6targetE0EEEvT1_ ; -- Begin function _ZN7rocprim17ROCPRIM_400000_NS6detail17trampoline_kernelINS0_14default_configENS1_27scan_by_key_config_selectorIjjEEZZNS1_16scan_by_key_implILNS1_25lookback_scan_determinismE0ELb0ES3_N6thrust23THRUST_200600_302600_NS6detail15normal_iteratorINS9_10device_ptrIjEEEESE_SE_jNS9_4plusIvEENS9_8equal_toIvEEjEE10hipError_tPvRmT2_T3_T4_T5_mT6_T7_P12ihipStream_tbENKUlT_T0_E_clISt17integral_constantIbLb0EESZ_EEDaSU_SV_EUlSU_E_NS1_11comp_targetILNS1_3genE5ELNS1_11target_archE942ELNS1_3gpuE9ELNS1_3repE0EEENS1_30default_config_static_selectorELNS0_4arch9wavefront6targetE0EEEvT1_
	.globl	_ZN7rocprim17ROCPRIM_400000_NS6detail17trampoline_kernelINS0_14default_configENS1_27scan_by_key_config_selectorIjjEEZZNS1_16scan_by_key_implILNS1_25lookback_scan_determinismE0ELb0ES3_N6thrust23THRUST_200600_302600_NS6detail15normal_iteratorINS9_10device_ptrIjEEEESE_SE_jNS9_4plusIvEENS9_8equal_toIvEEjEE10hipError_tPvRmT2_T3_T4_T5_mT6_T7_P12ihipStream_tbENKUlT_T0_E_clISt17integral_constantIbLb0EESZ_EEDaSU_SV_EUlSU_E_NS1_11comp_targetILNS1_3genE5ELNS1_11target_archE942ELNS1_3gpuE9ELNS1_3repE0EEENS1_30default_config_static_selectorELNS0_4arch9wavefront6targetE0EEEvT1_
	.p2align	8
	.type	_ZN7rocprim17ROCPRIM_400000_NS6detail17trampoline_kernelINS0_14default_configENS1_27scan_by_key_config_selectorIjjEEZZNS1_16scan_by_key_implILNS1_25lookback_scan_determinismE0ELb0ES3_N6thrust23THRUST_200600_302600_NS6detail15normal_iteratorINS9_10device_ptrIjEEEESE_SE_jNS9_4plusIvEENS9_8equal_toIvEEjEE10hipError_tPvRmT2_T3_T4_T5_mT6_T7_P12ihipStream_tbENKUlT_T0_E_clISt17integral_constantIbLb0EESZ_EEDaSU_SV_EUlSU_E_NS1_11comp_targetILNS1_3genE5ELNS1_11target_archE942ELNS1_3gpuE9ELNS1_3repE0EEENS1_30default_config_static_selectorELNS0_4arch9wavefront6targetE0EEEvT1_,@function
_ZN7rocprim17ROCPRIM_400000_NS6detail17trampoline_kernelINS0_14default_configENS1_27scan_by_key_config_selectorIjjEEZZNS1_16scan_by_key_implILNS1_25lookback_scan_determinismE0ELb0ES3_N6thrust23THRUST_200600_302600_NS6detail15normal_iteratorINS9_10device_ptrIjEEEESE_SE_jNS9_4plusIvEENS9_8equal_toIvEEjEE10hipError_tPvRmT2_T3_T4_T5_mT6_T7_P12ihipStream_tbENKUlT_T0_E_clISt17integral_constantIbLb0EESZ_EEDaSU_SV_EUlSU_E_NS1_11comp_targetILNS1_3genE5ELNS1_11target_archE942ELNS1_3gpuE9ELNS1_3repE0EEENS1_30default_config_static_selectorELNS0_4arch9wavefront6targetE0EEEvT1_: ; @_ZN7rocprim17ROCPRIM_400000_NS6detail17trampoline_kernelINS0_14default_configENS1_27scan_by_key_config_selectorIjjEEZZNS1_16scan_by_key_implILNS1_25lookback_scan_determinismE0ELb0ES3_N6thrust23THRUST_200600_302600_NS6detail15normal_iteratorINS9_10device_ptrIjEEEESE_SE_jNS9_4plusIvEENS9_8equal_toIvEEjEE10hipError_tPvRmT2_T3_T4_T5_mT6_T7_P12ihipStream_tbENKUlT_T0_E_clISt17integral_constantIbLb0EESZ_EEDaSU_SV_EUlSU_E_NS1_11comp_targetILNS1_3genE5ELNS1_11target_archE942ELNS1_3gpuE9ELNS1_3repE0EEENS1_30default_config_static_selectorELNS0_4arch9wavefront6targetE0EEEvT1_
; %bb.0:
	.section	.rodata,"a",@progbits
	.p2align	6, 0x0
	.amdhsa_kernel _ZN7rocprim17ROCPRIM_400000_NS6detail17trampoline_kernelINS0_14default_configENS1_27scan_by_key_config_selectorIjjEEZZNS1_16scan_by_key_implILNS1_25lookback_scan_determinismE0ELb0ES3_N6thrust23THRUST_200600_302600_NS6detail15normal_iteratorINS9_10device_ptrIjEEEESE_SE_jNS9_4plusIvEENS9_8equal_toIvEEjEE10hipError_tPvRmT2_T3_T4_T5_mT6_T7_P12ihipStream_tbENKUlT_T0_E_clISt17integral_constantIbLb0EESZ_EEDaSU_SV_EUlSU_E_NS1_11comp_targetILNS1_3genE5ELNS1_11target_archE942ELNS1_3gpuE9ELNS1_3repE0EEENS1_30default_config_static_selectorELNS0_4arch9wavefront6targetE0EEEvT1_
		.amdhsa_group_segment_fixed_size 0
		.amdhsa_private_segment_fixed_size 0
		.amdhsa_kernarg_size 112
		.amdhsa_user_sgpr_count 2
		.amdhsa_user_sgpr_dispatch_ptr 0
		.amdhsa_user_sgpr_queue_ptr 0
		.amdhsa_user_sgpr_kernarg_segment_ptr 1
		.amdhsa_user_sgpr_dispatch_id 0
		.amdhsa_user_sgpr_kernarg_preload_length 0
		.amdhsa_user_sgpr_kernarg_preload_offset 0
		.amdhsa_user_sgpr_private_segment_size 0
		.amdhsa_wavefront_size32 1
		.amdhsa_uses_dynamic_stack 0
		.amdhsa_enable_private_segment 0
		.amdhsa_system_sgpr_workgroup_id_x 1
		.amdhsa_system_sgpr_workgroup_id_y 0
		.amdhsa_system_sgpr_workgroup_id_z 0
		.amdhsa_system_sgpr_workgroup_info 0
		.amdhsa_system_vgpr_workitem_id 0
		.amdhsa_next_free_vgpr 1
		.amdhsa_next_free_sgpr 1
		.amdhsa_named_barrier_count 0
		.amdhsa_reserve_vcc 0
		.amdhsa_float_round_mode_32 0
		.amdhsa_float_round_mode_16_64 0
		.amdhsa_float_denorm_mode_32 3
		.amdhsa_float_denorm_mode_16_64 3
		.amdhsa_fp16_overflow 0
		.amdhsa_memory_ordered 1
		.amdhsa_forward_progress 1
		.amdhsa_inst_pref_size 0
		.amdhsa_round_robin_scheduling 0
		.amdhsa_exception_fp_ieee_invalid_op 0
		.amdhsa_exception_fp_denorm_src 0
		.amdhsa_exception_fp_ieee_div_zero 0
		.amdhsa_exception_fp_ieee_overflow 0
		.amdhsa_exception_fp_ieee_underflow 0
		.amdhsa_exception_fp_ieee_inexact 0
		.amdhsa_exception_int_div_zero 0
	.end_amdhsa_kernel
	.section	.text._ZN7rocprim17ROCPRIM_400000_NS6detail17trampoline_kernelINS0_14default_configENS1_27scan_by_key_config_selectorIjjEEZZNS1_16scan_by_key_implILNS1_25lookback_scan_determinismE0ELb0ES3_N6thrust23THRUST_200600_302600_NS6detail15normal_iteratorINS9_10device_ptrIjEEEESE_SE_jNS9_4plusIvEENS9_8equal_toIvEEjEE10hipError_tPvRmT2_T3_T4_T5_mT6_T7_P12ihipStream_tbENKUlT_T0_E_clISt17integral_constantIbLb0EESZ_EEDaSU_SV_EUlSU_E_NS1_11comp_targetILNS1_3genE5ELNS1_11target_archE942ELNS1_3gpuE9ELNS1_3repE0EEENS1_30default_config_static_selectorELNS0_4arch9wavefront6targetE0EEEvT1_,"axG",@progbits,_ZN7rocprim17ROCPRIM_400000_NS6detail17trampoline_kernelINS0_14default_configENS1_27scan_by_key_config_selectorIjjEEZZNS1_16scan_by_key_implILNS1_25lookback_scan_determinismE0ELb0ES3_N6thrust23THRUST_200600_302600_NS6detail15normal_iteratorINS9_10device_ptrIjEEEESE_SE_jNS9_4plusIvEENS9_8equal_toIvEEjEE10hipError_tPvRmT2_T3_T4_T5_mT6_T7_P12ihipStream_tbENKUlT_T0_E_clISt17integral_constantIbLb0EESZ_EEDaSU_SV_EUlSU_E_NS1_11comp_targetILNS1_3genE5ELNS1_11target_archE942ELNS1_3gpuE9ELNS1_3repE0EEENS1_30default_config_static_selectorELNS0_4arch9wavefront6targetE0EEEvT1_,comdat
.Lfunc_end1828:
	.size	_ZN7rocprim17ROCPRIM_400000_NS6detail17trampoline_kernelINS0_14default_configENS1_27scan_by_key_config_selectorIjjEEZZNS1_16scan_by_key_implILNS1_25lookback_scan_determinismE0ELb0ES3_N6thrust23THRUST_200600_302600_NS6detail15normal_iteratorINS9_10device_ptrIjEEEESE_SE_jNS9_4plusIvEENS9_8equal_toIvEEjEE10hipError_tPvRmT2_T3_T4_T5_mT6_T7_P12ihipStream_tbENKUlT_T0_E_clISt17integral_constantIbLb0EESZ_EEDaSU_SV_EUlSU_E_NS1_11comp_targetILNS1_3genE5ELNS1_11target_archE942ELNS1_3gpuE9ELNS1_3repE0EEENS1_30default_config_static_selectorELNS0_4arch9wavefront6targetE0EEEvT1_, .Lfunc_end1828-_ZN7rocprim17ROCPRIM_400000_NS6detail17trampoline_kernelINS0_14default_configENS1_27scan_by_key_config_selectorIjjEEZZNS1_16scan_by_key_implILNS1_25lookback_scan_determinismE0ELb0ES3_N6thrust23THRUST_200600_302600_NS6detail15normal_iteratorINS9_10device_ptrIjEEEESE_SE_jNS9_4plusIvEENS9_8equal_toIvEEjEE10hipError_tPvRmT2_T3_T4_T5_mT6_T7_P12ihipStream_tbENKUlT_T0_E_clISt17integral_constantIbLb0EESZ_EEDaSU_SV_EUlSU_E_NS1_11comp_targetILNS1_3genE5ELNS1_11target_archE942ELNS1_3gpuE9ELNS1_3repE0EEENS1_30default_config_static_selectorELNS0_4arch9wavefront6targetE0EEEvT1_
                                        ; -- End function
	.set _ZN7rocprim17ROCPRIM_400000_NS6detail17trampoline_kernelINS0_14default_configENS1_27scan_by_key_config_selectorIjjEEZZNS1_16scan_by_key_implILNS1_25lookback_scan_determinismE0ELb0ES3_N6thrust23THRUST_200600_302600_NS6detail15normal_iteratorINS9_10device_ptrIjEEEESE_SE_jNS9_4plusIvEENS9_8equal_toIvEEjEE10hipError_tPvRmT2_T3_T4_T5_mT6_T7_P12ihipStream_tbENKUlT_T0_E_clISt17integral_constantIbLb0EESZ_EEDaSU_SV_EUlSU_E_NS1_11comp_targetILNS1_3genE5ELNS1_11target_archE942ELNS1_3gpuE9ELNS1_3repE0EEENS1_30default_config_static_selectorELNS0_4arch9wavefront6targetE0EEEvT1_.num_vgpr, 0
	.set _ZN7rocprim17ROCPRIM_400000_NS6detail17trampoline_kernelINS0_14default_configENS1_27scan_by_key_config_selectorIjjEEZZNS1_16scan_by_key_implILNS1_25lookback_scan_determinismE0ELb0ES3_N6thrust23THRUST_200600_302600_NS6detail15normal_iteratorINS9_10device_ptrIjEEEESE_SE_jNS9_4plusIvEENS9_8equal_toIvEEjEE10hipError_tPvRmT2_T3_T4_T5_mT6_T7_P12ihipStream_tbENKUlT_T0_E_clISt17integral_constantIbLb0EESZ_EEDaSU_SV_EUlSU_E_NS1_11comp_targetILNS1_3genE5ELNS1_11target_archE942ELNS1_3gpuE9ELNS1_3repE0EEENS1_30default_config_static_selectorELNS0_4arch9wavefront6targetE0EEEvT1_.num_agpr, 0
	.set _ZN7rocprim17ROCPRIM_400000_NS6detail17trampoline_kernelINS0_14default_configENS1_27scan_by_key_config_selectorIjjEEZZNS1_16scan_by_key_implILNS1_25lookback_scan_determinismE0ELb0ES3_N6thrust23THRUST_200600_302600_NS6detail15normal_iteratorINS9_10device_ptrIjEEEESE_SE_jNS9_4plusIvEENS9_8equal_toIvEEjEE10hipError_tPvRmT2_T3_T4_T5_mT6_T7_P12ihipStream_tbENKUlT_T0_E_clISt17integral_constantIbLb0EESZ_EEDaSU_SV_EUlSU_E_NS1_11comp_targetILNS1_3genE5ELNS1_11target_archE942ELNS1_3gpuE9ELNS1_3repE0EEENS1_30default_config_static_selectorELNS0_4arch9wavefront6targetE0EEEvT1_.numbered_sgpr, 0
	.set _ZN7rocprim17ROCPRIM_400000_NS6detail17trampoline_kernelINS0_14default_configENS1_27scan_by_key_config_selectorIjjEEZZNS1_16scan_by_key_implILNS1_25lookback_scan_determinismE0ELb0ES3_N6thrust23THRUST_200600_302600_NS6detail15normal_iteratorINS9_10device_ptrIjEEEESE_SE_jNS9_4plusIvEENS9_8equal_toIvEEjEE10hipError_tPvRmT2_T3_T4_T5_mT6_T7_P12ihipStream_tbENKUlT_T0_E_clISt17integral_constantIbLb0EESZ_EEDaSU_SV_EUlSU_E_NS1_11comp_targetILNS1_3genE5ELNS1_11target_archE942ELNS1_3gpuE9ELNS1_3repE0EEENS1_30default_config_static_selectorELNS0_4arch9wavefront6targetE0EEEvT1_.num_named_barrier, 0
	.set _ZN7rocprim17ROCPRIM_400000_NS6detail17trampoline_kernelINS0_14default_configENS1_27scan_by_key_config_selectorIjjEEZZNS1_16scan_by_key_implILNS1_25lookback_scan_determinismE0ELb0ES3_N6thrust23THRUST_200600_302600_NS6detail15normal_iteratorINS9_10device_ptrIjEEEESE_SE_jNS9_4plusIvEENS9_8equal_toIvEEjEE10hipError_tPvRmT2_T3_T4_T5_mT6_T7_P12ihipStream_tbENKUlT_T0_E_clISt17integral_constantIbLb0EESZ_EEDaSU_SV_EUlSU_E_NS1_11comp_targetILNS1_3genE5ELNS1_11target_archE942ELNS1_3gpuE9ELNS1_3repE0EEENS1_30default_config_static_selectorELNS0_4arch9wavefront6targetE0EEEvT1_.private_seg_size, 0
	.set _ZN7rocprim17ROCPRIM_400000_NS6detail17trampoline_kernelINS0_14default_configENS1_27scan_by_key_config_selectorIjjEEZZNS1_16scan_by_key_implILNS1_25lookback_scan_determinismE0ELb0ES3_N6thrust23THRUST_200600_302600_NS6detail15normal_iteratorINS9_10device_ptrIjEEEESE_SE_jNS9_4plusIvEENS9_8equal_toIvEEjEE10hipError_tPvRmT2_T3_T4_T5_mT6_T7_P12ihipStream_tbENKUlT_T0_E_clISt17integral_constantIbLb0EESZ_EEDaSU_SV_EUlSU_E_NS1_11comp_targetILNS1_3genE5ELNS1_11target_archE942ELNS1_3gpuE9ELNS1_3repE0EEENS1_30default_config_static_selectorELNS0_4arch9wavefront6targetE0EEEvT1_.uses_vcc, 0
	.set _ZN7rocprim17ROCPRIM_400000_NS6detail17trampoline_kernelINS0_14default_configENS1_27scan_by_key_config_selectorIjjEEZZNS1_16scan_by_key_implILNS1_25lookback_scan_determinismE0ELb0ES3_N6thrust23THRUST_200600_302600_NS6detail15normal_iteratorINS9_10device_ptrIjEEEESE_SE_jNS9_4plusIvEENS9_8equal_toIvEEjEE10hipError_tPvRmT2_T3_T4_T5_mT6_T7_P12ihipStream_tbENKUlT_T0_E_clISt17integral_constantIbLb0EESZ_EEDaSU_SV_EUlSU_E_NS1_11comp_targetILNS1_3genE5ELNS1_11target_archE942ELNS1_3gpuE9ELNS1_3repE0EEENS1_30default_config_static_selectorELNS0_4arch9wavefront6targetE0EEEvT1_.uses_flat_scratch, 0
	.set _ZN7rocprim17ROCPRIM_400000_NS6detail17trampoline_kernelINS0_14default_configENS1_27scan_by_key_config_selectorIjjEEZZNS1_16scan_by_key_implILNS1_25lookback_scan_determinismE0ELb0ES3_N6thrust23THRUST_200600_302600_NS6detail15normal_iteratorINS9_10device_ptrIjEEEESE_SE_jNS9_4plusIvEENS9_8equal_toIvEEjEE10hipError_tPvRmT2_T3_T4_T5_mT6_T7_P12ihipStream_tbENKUlT_T0_E_clISt17integral_constantIbLb0EESZ_EEDaSU_SV_EUlSU_E_NS1_11comp_targetILNS1_3genE5ELNS1_11target_archE942ELNS1_3gpuE9ELNS1_3repE0EEENS1_30default_config_static_selectorELNS0_4arch9wavefront6targetE0EEEvT1_.has_dyn_sized_stack, 0
	.set _ZN7rocprim17ROCPRIM_400000_NS6detail17trampoline_kernelINS0_14default_configENS1_27scan_by_key_config_selectorIjjEEZZNS1_16scan_by_key_implILNS1_25lookback_scan_determinismE0ELb0ES3_N6thrust23THRUST_200600_302600_NS6detail15normal_iteratorINS9_10device_ptrIjEEEESE_SE_jNS9_4plusIvEENS9_8equal_toIvEEjEE10hipError_tPvRmT2_T3_T4_T5_mT6_T7_P12ihipStream_tbENKUlT_T0_E_clISt17integral_constantIbLb0EESZ_EEDaSU_SV_EUlSU_E_NS1_11comp_targetILNS1_3genE5ELNS1_11target_archE942ELNS1_3gpuE9ELNS1_3repE0EEENS1_30default_config_static_selectorELNS0_4arch9wavefront6targetE0EEEvT1_.has_recursion, 0
	.set _ZN7rocprim17ROCPRIM_400000_NS6detail17trampoline_kernelINS0_14default_configENS1_27scan_by_key_config_selectorIjjEEZZNS1_16scan_by_key_implILNS1_25lookback_scan_determinismE0ELb0ES3_N6thrust23THRUST_200600_302600_NS6detail15normal_iteratorINS9_10device_ptrIjEEEESE_SE_jNS9_4plusIvEENS9_8equal_toIvEEjEE10hipError_tPvRmT2_T3_T4_T5_mT6_T7_P12ihipStream_tbENKUlT_T0_E_clISt17integral_constantIbLb0EESZ_EEDaSU_SV_EUlSU_E_NS1_11comp_targetILNS1_3genE5ELNS1_11target_archE942ELNS1_3gpuE9ELNS1_3repE0EEENS1_30default_config_static_selectorELNS0_4arch9wavefront6targetE0EEEvT1_.has_indirect_call, 0
	.section	.AMDGPU.csdata,"",@progbits
; Kernel info:
; codeLenInByte = 0
; TotalNumSgprs: 0
; NumVgprs: 0
; ScratchSize: 0
; MemoryBound: 0
; FloatMode: 240
; IeeeMode: 1
; LDSByteSize: 0 bytes/workgroup (compile time only)
; SGPRBlocks: 0
; VGPRBlocks: 0
; NumSGPRsForWavesPerEU: 1
; NumVGPRsForWavesPerEU: 1
; NamedBarCnt: 0
; Occupancy: 16
; WaveLimiterHint : 0
; COMPUTE_PGM_RSRC2:SCRATCH_EN: 0
; COMPUTE_PGM_RSRC2:USER_SGPR: 2
; COMPUTE_PGM_RSRC2:TRAP_HANDLER: 0
; COMPUTE_PGM_RSRC2:TGID_X_EN: 1
; COMPUTE_PGM_RSRC2:TGID_Y_EN: 0
; COMPUTE_PGM_RSRC2:TGID_Z_EN: 0
; COMPUTE_PGM_RSRC2:TIDIG_COMP_CNT: 0
	.section	.text._ZN7rocprim17ROCPRIM_400000_NS6detail17trampoline_kernelINS0_14default_configENS1_27scan_by_key_config_selectorIjjEEZZNS1_16scan_by_key_implILNS1_25lookback_scan_determinismE0ELb0ES3_N6thrust23THRUST_200600_302600_NS6detail15normal_iteratorINS9_10device_ptrIjEEEESE_SE_jNS9_4plusIvEENS9_8equal_toIvEEjEE10hipError_tPvRmT2_T3_T4_T5_mT6_T7_P12ihipStream_tbENKUlT_T0_E_clISt17integral_constantIbLb0EESZ_EEDaSU_SV_EUlSU_E_NS1_11comp_targetILNS1_3genE4ELNS1_11target_archE910ELNS1_3gpuE8ELNS1_3repE0EEENS1_30default_config_static_selectorELNS0_4arch9wavefront6targetE0EEEvT1_,"axG",@progbits,_ZN7rocprim17ROCPRIM_400000_NS6detail17trampoline_kernelINS0_14default_configENS1_27scan_by_key_config_selectorIjjEEZZNS1_16scan_by_key_implILNS1_25lookback_scan_determinismE0ELb0ES3_N6thrust23THRUST_200600_302600_NS6detail15normal_iteratorINS9_10device_ptrIjEEEESE_SE_jNS9_4plusIvEENS9_8equal_toIvEEjEE10hipError_tPvRmT2_T3_T4_T5_mT6_T7_P12ihipStream_tbENKUlT_T0_E_clISt17integral_constantIbLb0EESZ_EEDaSU_SV_EUlSU_E_NS1_11comp_targetILNS1_3genE4ELNS1_11target_archE910ELNS1_3gpuE8ELNS1_3repE0EEENS1_30default_config_static_selectorELNS0_4arch9wavefront6targetE0EEEvT1_,comdat
	.protected	_ZN7rocprim17ROCPRIM_400000_NS6detail17trampoline_kernelINS0_14default_configENS1_27scan_by_key_config_selectorIjjEEZZNS1_16scan_by_key_implILNS1_25lookback_scan_determinismE0ELb0ES3_N6thrust23THRUST_200600_302600_NS6detail15normal_iteratorINS9_10device_ptrIjEEEESE_SE_jNS9_4plusIvEENS9_8equal_toIvEEjEE10hipError_tPvRmT2_T3_T4_T5_mT6_T7_P12ihipStream_tbENKUlT_T0_E_clISt17integral_constantIbLb0EESZ_EEDaSU_SV_EUlSU_E_NS1_11comp_targetILNS1_3genE4ELNS1_11target_archE910ELNS1_3gpuE8ELNS1_3repE0EEENS1_30default_config_static_selectorELNS0_4arch9wavefront6targetE0EEEvT1_ ; -- Begin function _ZN7rocprim17ROCPRIM_400000_NS6detail17trampoline_kernelINS0_14default_configENS1_27scan_by_key_config_selectorIjjEEZZNS1_16scan_by_key_implILNS1_25lookback_scan_determinismE0ELb0ES3_N6thrust23THRUST_200600_302600_NS6detail15normal_iteratorINS9_10device_ptrIjEEEESE_SE_jNS9_4plusIvEENS9_8equal_toIvEEjEE10hipError_tPvRmT2_T3_T4_T5_mT6_T7_P12ihipStream_tbENKUlT_T0_E_clISt17integral_constantIbLb0EESZ_EEDaSU_SV_EUlSU_E_NS1_11comp_targetILNS1_3genE4ELNS1_11target_archE910ELNS1_3gpuE8ELNS1_3repE0EEENS1_30default_config_static_selectorELNS0_4arch9wavefront6targetE0EEEvT1_
	.globl	_ZN7rocprim17ROCPRIM_400000_NS6detail17trampoline_kernelINS0_14default_configENS1_27scan_by_key_config_selectorIjjEEZZNS1_16scan_by_key_implILNS1_25lookback_scan_determinismE0ELb0ES3_N6thrust23THRUST_200600_302600_NS6detail15normal_iteratorINS9_10device_ptrIjEEEESE_SE_jNS9_4plusIvEENS9_8equal_toIvEEjEE10hipError_tPvRmT2_T3_T4_T5_mT6_T7_P12ihipStream_tbENKUlT_T0_E_clISt17integral_constantIbLb0EESZ_EEDaSU_SV_EUlSU_E_NS1_11comp_targetILNS1_3genE4ELNS1_11target_archE910ELNS1_3gpuE8ELNS1_3repE0EEENS1_30default_config_static_selectorELNS0_4arch9wavefront6targetE0EEEvT1_
	.p2align	8
	.type	_ZN7rocprim17ROCPRIM_400000_NS6detail17trampoline_kernelINS0_14default_configENS1_27scan_by_key_config_selectorIjjEEZZNS1_16scan_by_key_implILNS1_25lookback_scan_determinismE0ELb0ES3_N6thrust23THRUST_200600_302600_NS6detail15normal_iteratorINS9_10device_ptrIjEEEESE_SE_jNS9_4plusIvEENS9_8equal_toIvEEjEE10hipError_tPvRmT2_T3_T4_T5_mT6_T7_P12ihipStream_tbENKUlT_T0_E_clISt17integral_constantIbLb0EESZ_EEDaSU_SV_EUlSU_E_NS1_11comp_targetILNS1_3genE4ELNS1_11target_archE910ELNS1_3gpuE8ELNS1_3repE0EEENS1_30default_config_static_selectorELNS0_4arch9wavefront6targetE0EEEvT1_,@function
_ZN7rocprim17ROCPRIM_400000_NS6detail17trampoline_kernelINS0_14default_configENS1_27scan_by_key_config_selectorIjjEEZZNS1_16scan_by_key_implILNS1_25lookback_scan_determinismE0ELb0ES3_N6thrust23THRUST_200600_302600_NS6detail15normal_iteratorINS9_10device_ptrIjEEEESE_SE_jNS9_4plusIvEENS9_8equal_toIvEEjEE10hipError_tPvRmT2_T3_T4_T5_mT6_T7_P12ihipStream_tbENKUlT_T0_E_clISt17integral_constantIbLb0EESZ_EEDaSU_SV_EUlSU_E_NS1_11comp_targetILNS1_3genE4ELNS1_11target_archE910ELNS1_3gpuE8ELNS1_3repE0EEENS1_30default_config_static_selectorELNS0_4arch9wavefront6targetE0EEEvT1_: ; @_ZN7rocprim17ROCPRIM_400000_NS6detail17trampoline_kernelINS0_14default_configENS1_27scan_by_key_config_selectorIjjEEZZNS1_16scan_by_key_implILNS1_25lookback_scan_determinismE0ELb0ES3_N6thrust23THRUST_200600_302600_NS6detail15normal_iteratorINS9_10device_ptrIjEEEESE_SE_jNS9_4plusIvEENS9_8equal_toIvEEjEE10hipError_tPvRmT2_T3_T4_T5_mT6_T7_P12ihipStream_tbENKUlT_T0_E_clISt17integral_constantIbLb0EESZ_EEDaSU_SV_EUlSU_E_NS1_11comp_targetILNS1_3genE4ELNS1_11target_archE910ELNS1_3gpuE8ELNS1_3repE0EEENS1_30default_config_static_selectorELNS0_4arch9wavefront6targetE0EEEvT1_
; %bb.0:
	.section	.rodata,"a",@progbits
	.p2align	6, 0x0
	.amdhsa_kernel _ZN7rocprim17ROCPRIM_400000_NS6detail17trampoline_kernelINS0_14default_configENS1_27scan_by_key_config_selectorIjjEEZZNS1_16scan_by_key_implILNS1_25lookback_scan_determinismE0ELb0ES3_N6thrust23THRUST_200600_302600_NS6detail15normal_iteratorINS9_10device_ptrIjEEEESE_SE_jNS9_4plusIvEENS9_8equal_toIvEEjEE10hipError_tPvRmT2_T3_T4_T5_mT6_T7_P12ihipStream_tbENKUlT_T0_E_clISt17integral_constantIbLb0EESZ_EEDaSU_SV_EUlSU_E_NS1_11comp_targetILNS1_3genE4ELNS1_11target_archE910ELNS1_3gpuE8ELNS1_3repE0EEENS1_30default_config_static_selectorELNS0_4arch9wavefront6targetE0EEEvT1_
		.amdhsa_group_segment_fixed_size 0
		.amdhsa_private_segment_fixed_size 0
		.amdhsa_kernarg_size 112
		.amdhsa_user_sgpr_count 2
		.amdhsa_user_sgpr_dispatch_ptr 0
		.amdhsa_user_sgpr_queue_ptr 0
		.amdhsa_user_sgpr_kernarg_segment_ptr 1
		.amdhsa_user_sgpr_dispatch_id 0
		.amdhsa_user_sgpr_kernarg_preload_length 0
		.amdhsa_user_sgpr_kernarg_preload_offset 0
		.amdhsa_user_sgpr_private_segment_size 0
		.amdhsa_wavefront_size32 1
		.amdhsa_uses_dynamic_stack 0
		.amdhsa_enable_private_segment 0
		.amdhsa_system_sgpr_workgroup_id_x 1
		.amdhsa_system_sgpr_workgroup_id_y 0
		.amdhsa_system_sgpr_workgroup_id_z 0
		.amdhsa_system_sgpr_workgroup_info 0
		.amdhsa_system_vgpr_workitem_id 0
		.amdhsa_next_free_vgpr 1
		.amdhsa_next_free_sgpr 1
		.amdhsa_named_barrier_count 0
		.amdhsa_reserve_vcc 0
		.amdhsa_float_round_mode_32 0
		.amdhsa_float_round_mode_16_64 0
		.amdhsa_float_denorm_mode_32 3
		.amdhsa_float_denorm_mode_16_64 3
		.amdhsa_fp16_overflow 0
		.amdhsa_memory_ordered 1
		.amdhsa_forward_progress 1
		.amdhsa_inst_pref_size 0
		.amdhsa_round_robin_scheduling 0
		.amdhsa_exception_fp_ieee_invalid_op 0
		.amdhsa_exception_fp_denorm_src 0
		.amdhsa_exception_fp_ieee_div_zero 0
		.amdhsa_exception_fp_ieee_overflow 0
		.amdhsa_exception_fp_ieee_underflow 0
		.amdhsa_exception_fp_ieee_inexact 0
		.amdhsa_exception_int_div_zero 0
	.end_amdhsa_kernel
	.section	.text._ZN7rocprim17ROCPRIM_400000_NS6detail17trampoline_kernelINS0_14default_configENS1_27scan_by_key_config_selectorIjjEEZZNS1_16scan_by_key_implILNS1_25lookback_scan_determinismE0ELb0ES3_N6thrust23THRUST_200600_302600_NS6detail15normal_iteratorINS9_10device_ptrIjEEEESE_SE_jNS9_4plusIvEENS9_8equal_toIvEEjEE10hipError_tPvRmT2_T3_T4_T5_mT6_T7_P12ihipStream_tbENKUlT_T0_E_clISt17integral_constantIbLb0EESZ_EEDaSU_SV_EUlSU_E_NS1_11comp_targetILNS1_3genE4ELNS1_11target_archE910ELNS1_3gpuE8ELNS1_3repE0EEENS1_30default_config_static_selectorELNS0_4arch9wavefront6targetE0EEEvT1_,"axG",@progbits,_ZN7rocprim17ROCPRIM_400000_NS6detail17trampoline_kernelINS0_14default_configENS1_27scan_by_key_config_selectorIjjEEZZNS1_16scan_by_key_implILNS1_25lookback_scan_determinismE0ELb0ES3_N6thrust23THRUST_200600_302600_NS6detail15normal_iteratorINS9_10device_ptrIjEEEESE_SE_jNS9_4plusIvEENS9_8equal_toIvEEjEE10hipError_tPvRmT2_T3_T4_T5_mT6_T7_P12ihipStream_tbENKUlT_T0_E_clISt17integral_constantIbLb0EESZ_EEDaSU_SV_EUlSU_E_NS1_11comp_targetILNS1_3genE4ELNS1_11target_archE910ELNS1_3gpuE8ELNS1_3repE0EEENS1_30default_config_static_selectorELNS0_4arch9wavefront6targetE0EEEvT1_,comdat
.Lfunc_end1829:
	.size	_ZN7rocprim17ROCPRIM_400000_NS6detail17trampoline_kernelINS0_14default_configENS1_27scan_by_key_config_selectorIjjEEZZNS1_16scan_by_key_implILNS1_25lookback_scan_determinismE0ELb0ES3_N6thrust23THRUST_200600_302600_NS6detail15normal_iteratorINS9_10device_ptrIjEEEESE_SE_jNS9_4plusIvEENS9_8equal_toIvEEjEE10hipError_tPvRmT2_T3_T4_T5_mT6_T7_P12ihipStream_tbENKUlT_T0_E_clISt17integral_constantIbLb0EESZ_EEDaSU_SV_EUlSU_E_NS1_11comp_targetILNS1_3genE4ELNS1_11target_archE910ELNS1_3gpuE8ELNS1_3repE0EEENS1_30default_config_static_selectorELNS0_4arch9wavefront6targetE0EEEvT1_, .Lfunc_end1829-_ZN7rocprim17ROCPRIM_400000_NS6detail17trampoline_kernelINS0_14default_configENS1_27scan_by_key_config_selectorIjjEEZZNS1_16scan_by_key_implILNS1_25lookback_scan_determinismE0ELb0ES3_N6thrust23THRUST_200600_302600_NS6detail15normal_iteratorINS9_10device_ptrIjEEEESE_SE_jNS9_4plusIvEENS9_8equal_toIvEEjEE10hipError_tPvRmT2_T3_T4_T5_mT6_T7_P12ihipStream_tbENKUlT_T0_E_clISt17integral_constantIbLb0EESZ_EEDaSU_SV_EUlSU_E_NS1_11comp_targetILNS1_3genE4ELNS1_11target_archE910ELNS1_3gpuE8ELNS1_3repE0EEENS1_30default_config_static_selectorELNS0_4arch9wavefront6targetE0EEEvT1_
                                        ; -- End function
	.set _ZN7rocprim17ROCPRIM_400000_NS6detail17trampoline_kernelINS0_14default_configENS1_27scan_by_key_config_selectorIjjEEZZNS1_16scan_by_key_implILNS1_25lookback_scan_determinismE0ELb0ES3_N6thrust23THRUST_200600_302600_NS6detail15normal_iteratorINS9_10device_ptrIjEEEESE_SE_jNS9_4plusIvEENS9_8equal_toIvEEjEE10hipError_tPvRmT2_T3_T4_T5_mT6_T7_P12ihipStream_tbENKUlT_T0_E_clISt17integral_constantIbLb0EESZ_EEDaSU_SV_EUlSU_E_NS1_11comp_targetILNS1_3genE4ELNS1_11target_archE910ELNS1_3gpuE8ELNS1_3repE0EEENS1_30default_config_static_selectorELNS0_4arch9wavefront6targetE0EEEvT1_.num_vgpr, 0
	.set _ZN7rocprim17ROCPRIM_400000_NS6detail17trampoline_kernelINS0_14default_configENS1_27scan_by_key_config_selectorIjjEEZZNS1_16scan_by_key_implILNS1_25lookback_scan_determinismE0ELb0ES3_N6thrust23THRUST_200600_302600_NS6detail15normal_iteratorINS9_10device_ptrIjEEEESE_SE_jNS9_4plusIvEENS9_8equal_toIvEEjEE10hipError_tPvRmT2_T3_T4_T5_mT6_T7_P12ihipStream_tbENKUlT_T0_E_clISt17integral_constantIbLb0EESZ_EEDaSU_SV_EUlSU_E_NS1_11comp_targetILNS1_3genE4ELNS1_11target_archE910ELNS1_3gpuE8ELNS1_3repE0EEENS1_30default_config_static_selectorELNS0_4arch9wavefront6targetE0EEEvT1_.num_agpr, 0
	.set _ZN7rocprim17ROCPRIM_400000_NS6detail17trampoline_kernelINS0_14default_configENS1_27scan_by_key_config_selectorIjjEEZZNS1_16scan_by_key_implILNS1_25lookback_scan_determinismE0ELb0ES3_N6thrust23THRUST_200600_302600_NS6detail15normal_iteratorINS9_10device_ptrIjEEEESE_SE_jNS9_4plusIvEENS9_8equal_toIvEEjEE10hipError_tPvRmT2_T3_T4_T5_mT6_T7_P12ihipStream_tbENKUlT_T0_E_clISt17integral_constantIbLb0EESZ_EEDaSU_SV_EUlSU_E_NS1_11comp_targetILNS1_3genE4ELNS1_11target_archE910ELNS1_3gpuE8ELNS1_3repE0EEENS1_30default_config_static_selectorELNS0_4arch9wavefront6targetE0EEEvT1_.numbered_sgpr, 0
	.set _ZN7rocprim17ROCPRIM_400000_NS6detail17trampoline_kernelINS0_14default_configENS1_27scan_by_key_config_selectorIjjEEZZNS1_16scan_by_key_implILNS1_25lookback_scan_determinismE0ELb0ES3_N6thrust23THRUST_200600_302600_NS6detail15normal_iteratorINS9_10device_ptrIjEEEESE_SE_jNS9_4plusIvEENS9_8equal_toIvEEjEE10hipError_tPvRmT2_T3_T4_T5_mT6_T7_P12ihipStream_tbENKUlT_T0_E_clISt17integral_constantIbLb0EESZ_EEDaSU_SV_EUlSU_E_NS1_11comp_targetILNS1_3genE4ELNS1_11target_archE910ELNS1_3gpuE8ELNS1_3repE0EEENS1_30default_config_static_selectorELNS0_4arch9wavefront6targetE0EEEvT1_.num_named_barrier, 0
	.set _ZN7rocprim17ROCPRIM_400000_NS6detail17trampoline_kernelINS0_14default_configENS1_27scan_by_key_config_selectorIjjEEZZNS1_16scan_by_key_implILNS1_25lookback_scan_determinismE0ELb0ES3_N6thrust23THRUST_200600_302600_NS6detail15normal_iteratorINS9_10device_ptrIjEEEESE_SE_jNS9_4plusIvEENS9_8equal_toIvEEjEE10hipError_tPvRmT2_T3_T4_T5_mT6_T7_P12ihipStream_tbENKUlT_T0_E_clISt17integral_constantIbLb0EESZ_EEDaSU_SV_EUlSU_E_NS1_11comp_targetILNS1_3genE4ELNS1_11target_archE910ELNS1_3gpuE8ELNS1_3repE0EEENS1_30default_config_static_selectorELNS0_4arch9wavefront6targetE0EEEvT1_.private_seg_size, 0
	.set _ZN7rocprim17ROCPRIM_400000_NS6detail17trampoline_kernelINS0_14default_configENS1_27scan_by_key_config_selectorIjjEEZZNS1_16scan_by_key_implILNS1_25lookback_scan_determinismE0ELb0ES3_N6thrust23THRUST_200600_302600_NS6detail15normal_iteratorINS9_10device_ptrIjEEEESE_SE_jNS9_4plusIvEENS9_8equal_toIvEEjEE10hipError_tPvRmT2_T3_T4_T5_mT6_T7_P12ihipStream_tbENKUlT_T0_E_clISt17integral_constantIbLb0EESZ_EEDaSU_SV_EUlSU_E_NS1_11comp_targetILNS1_3genE4ELNS1_11target_archE910ELNS1_3gpuE8ELNS1_3repE0EEENS1_30default_config_static_selectorELNS0_4arch9wavefront6targetE0EEEvT1_.uses_vcc, 0
	.set _ZN7rocprim17ROCPRIM_400000_NS6detail17trampoline_kernelINS0_14default_configENS1_27scan_by_key_config_selectorIjjEEZZNS1_16scan_by_key_implILNS1_25lookback_scan_determinismE0ELb0ES3_N6thrust23THRUST_200600_302600_NS6detail15normal_iteratorINS9_10device_ptrIjEEEESE_SE_jNS9_4plusIvEENS9_8equal_toIvEEjEE10hipError_tPvRmT2_T3_T4_T5_mT6_T7_P12ihipStream_tbENKUlT_T0_E_clISt17integral_constantIbLb0EESZ_EEDaSU_SV_EUlSU_E_NS1_11comp_targetILNS1_3genE4ELNS1_11target_archE910ELNS1_3gpuE8ELNS1_3repE0EEENS1_30default_config_static_selectorELNS0_4arch9wavefront6targetE0EEEvT1_.uses_flat_scratch, 0
	.set _ZN7rocprim17ROCPRIM_400000_NS6detail17trampoline_kernelINS0_14default_configENS1_27scan_by_key_config_selectorIjjEEZZNS1_16scan_by_key_implILNS1_25lookback_scan_determinismE0ELb0ES3_N6thrust23THRUST_200600_302600_NS6detail15normal_iteratorINS9_10device_ptrIjEEEESE_SE_jNS9_4plusIvEENS9_8equal_toIvEEjEE10hipError_tPvRmT2_T3_T4_T5_mT6_T7_P12ihipStream_tbENKUlT_T0_E_clISt17integral_constantIbLb0EESZ_EEDaSU_SV_EUlSU_E_NS1_11comp_targetILNS1_3genE4ELNS1_11target_archE910ELNS1_3gpuE8ELNS1_3repE0EEENS1_30default_config_static_selectorELNS0_4arch9wavefront6targetE0EEEvT1_.has_dyn_sized_stack, 0
	.set _ZN7rocprim17ROCPRIM_400000_NS6detail17trampoline_kernelINS0_14default_configENS1_27scan_by_key_config_selectorIjjEEZZNS1_16scan_by_key_implILNS1_25lookback_scan_determinismE0ELb0ES3_N6thrust23THRUST_200600_302600_NS6detail15normal_iteratorINS9_10device_ptrIjEEEESE_SE_jNS9_4plusIvEENS9_8equal_toIvEEjEE10hipError_tPvRmT2_T3_T4_T5_mT6_T7_P12ihipStream_tbENKUlT_T0_E_clISt17integral_constantIbLb0EESZ_EEDaSU_SV_EUlSU_E_NS1_11comp_targetILNS1_3genE4ELNS1_11target_archE910ELNS1_3gpuE8ELNS1_3repE0EEENS1_30default_config_static_selectorELNS0_4arch9wavefront6targetE0EEEvT1_.has_recursion, 0
	.set _ZN7rocprim17ROCPRIM_400000_NS6detail17trampoline_kernelINS0_14default_configENS1_27scan_by_key_config_selectorIjjEEZZNS1_16scan_by_key_implILNS1_25lookback_scan_determinismE0ELb0ES3_N6thrust23THRUST_200600_302600_NS6detail15normal_iteratorINS9_10device_ptrIjEEEESE_SE_jNS9_4plusIvEENS9_8equal_toIvEEjEE10hipError_tPvRmT2_T3_T4_T5_mT6_T7_P12ihipStream_tbENKUlT_T0_E_clISt17integral_constantIbLb0EESZ_EEDaSU_SV_EUlSU_E_NS1_11comp_targetILNS1_3genE4ELNS1_11target_archE910ELNS1_3gpuE8ELNS1_3repE0EEENS1_30default_config_static_selectorELNS0_4arch9wavefront6targetE0EEEvT1_.has_indirect_call, 0
	.section	.AMDGPU.csdata,"",@progbits
; Kernel info:
; codeLenInByte = 0
; TotalNumSgprs: 0
; NumVgprs: 0
; ScratchSize: 0
; MemoryBound: 0
; FloatMode: 240
; IeeeMode: 1
; LDSByteSize: 0 bytes/workgroup (compile time only)
; SGPRBlocks: 0
; VGPRBlocks: 0
; NumSGPRsForWavesPerEU: 1
; NumVGPRsForWavesPerEU: 1
; NamedBarCnt: 0
; Occupancy: 16
; WaveLimiterHint : 0
; COMPUTE_PGM_RSRC2:SCRATCH_EN: 0
; COMPUTE_PGM_RSRC2:USER_SGPR: 2
; COMPUTE_PGM_RSRC2:TRAP_HANDLER: 0
; COMPUTE_PGM_RSRC2:TGID_X_EN: 1
; COMPUTE_PGM_RSRC2:TGID_Y_EN: 0
; COMPUTE_PGM_RSRC2:TGID_Z_EN: 0
; COMPUTE_PGM_RSRC2:TIDIG_COMP_CNT: 0
	.section	.text._ZN7rocprim17ROCPRIM_400000_NS6detail17trampoline_kernelINS0_14default_configENS1_27scan_by_key_config_selectorIjjEEZZNS1_16scan_by_key_implILNS1_25lookback_scan_determinismE0ELb0ES3_N6thrust23THRUST_200600_302600_NS6detail15normal_iteratorINS9_10device_ptrIjEEEESE_SE_jNS9_4plusIvEENS9_8equal_toIvEEjEE10hipError_tPvRmT2_T3_T4_T5_mT6_T7_P12ihipStream_tbENKUlT_T0_E_clISt17integral_constantIbLb0EESZ_EEDaSU_SV_EUlSU_E_NS1_11comp_targetILNS1_3genE3ELNS1_11target_archE908ELNS1_3gpuE7ELNS1_3repE0EEENS1_30default_config_static_selectorELNS0_4arch9wavefront6targetE0EEEvT1_,"axG",@progbits,_ZN7rocprim17ROCPRIM_400000_NS6detail17trampoline_kernelINS0_14default_configENS1_27scan_by_key_config_selectorIjjEEZZNS1_16scan_by_key_implILNS1_25lookback_scan_determinismE0ELb0ES3_N6thrust23THRUST_200600_302600_NS6detail15normal_iteratorINS9_10device_ptrIjEEEESE_SE_jNS9_4plusIvEENS9_8equal_toIvEEjEE10hipError_tPvRmT2_T3_T4_T5_mT6_T7_P12ihipStream_tbENKUlT_T0_E_clISt17integral_constantIbLb0EESZ_EEDaSU_SV_EUlSU_E_NS1_11comp_targetILNS1_3genE3ELNS1_11target_archE908ELNS1_3gpuE7ELNS1_3repE0EEENS1_30default_config_static_selectorELNS0_4arch9wavefront6targetE0EEEvT1_,comdat
	.protected	_ZN7rocprim17ROCPRIM_400000_NS6detail17trampoline_kernelINS0_14default_configENS1_27scan_by_key_config_selectorIjjEEZZNS1_16scan_by_key_implILNS1_25lookback_scan_determinismE0ELb0ES3_N6thrust23THRUST_200600_302600_NS6detail15normal_iteratorINS9_10device_ptrIjEEEESE_SE_jNS9_4plusIvEENS9_8equal_toIvEEjEE10hipError_tPvRmT2_T3_T4_T5_mT6_T7_P12ihipStream_tbENKUlT_T0_E_clISt17integral_constantIbLb0EESZ_EEDaSU_SV_EUlSU_E_NS1_11comp_targetILNS1_3genE3ELNS1_11target_archE908ELNS1_3gpuE7ELNS1_3repE0EEENS1_30default_config_static_selectorELNS0_4arch9wavefront6targetE0EEEvT1_ ; -- Begin function _ZN7rocprim17ROCPRIM_400000_NS6detail17trampoline_kernelINS0_14default_configENS1_27scan_by_key_config_selectorIjjEEZZNS1_16scan_by_key_implILNS1_25lookback_scan_determinismE0ELb0ES3_N6thrust23THRUST_200600_302600_NS6detail15normal_iteratorINS9_10device_ptrIjEEEESE_SE_jNS9_4plusIvEENS9_8equal_toIvEEjEE10hipError_tPvRmT2_T3_T4_T5_mT6_T7_P12ihipStream_tbENKUlT_T0_E_clISt17integral_constantIbLb0EESZ_EEDaSU_SV_EUlSU_E_NS1_11comp_targetILNS1_3genE3ELNS1_11target_archE908ELNS1_3gpuE7ELNS1_3repE0EEENS1_30default_config_static_selectorELNS0_4arch9wavefront6targetE0EEEvT1_
	.globl	_ZN7rocprim17ROCPRIM_400000_NS6detail17trampoline_kernelINS0_14default_configENS1_27scan_by_key_config_selectorIjjEEZZNS1_16scan_by_key_implILNS1_25lookback_scan_determinismE0ELb0ES3_N6thrust23THRUST_200600_302600_NS6detail15normal_iteratorINS9_10device_ptrIjEEEESE_SE_jNS9_4plusIvEENS9_8equal_toIvEEjEE10hipError_tPvRmT2_T3_T4_T5_mT6_T7_P12ihipStream_tbENKUlT_T0_E_clISt17integral_constantIbLb0EESZ_EEDaSU_SV_EUlSU_E_NS1_11comp_targetILNS1_3genE3ELNS1_11target_archE908ELNS1_3gpuE7ELNS1_3repE0EEENS1_30default_config_static_selectorELNS0_4arch9wavefront6targetE0EEEvT1_
	.p2align	8
	.type	_ZN7rocprim17ROCPRIM_400000_NS6detail17trampoline_kernelINS0_14default_configENS1_27scan_by_key_config_selectorIjjEEZZNS1_16scan_by_key_implILNS1_25lookback_scan_determinismE0ELb0ES3_N6thrust23THRUST_200600_302600_NS6detail15normal_iteratorINS9_10device_ptrIjEEEESE_SE_jNS9_4plusIvEENS9_8equal_toIvEEjEE10hipError_tPvRmT2_T3_T4_T5_mT6_T7_P12ihipStream_tbENKUlT_T0_E_clISt17integral_constantIbLb0EESZ_EEDaSU_SV_EUlSU_E_NS1_11comp_targetILNS1_3genE3ELNS1_11target_archE908ELNS1_3gpuE7ELNS1_3repE0EEENS1_30default_config_static_selectorELNS0_4arch9wavefront6targetE0EEEvT1_,@function
_ZN7rocprim17ROCPRIM_400000_NS6detail17trampoline_kernelINS0_14default_configENS1_27scan_by_key_config_selectorIjjEEZZNS1_16scan_by_key_implILNS1_25lookback_scan_determinismE0ELb0ES3_N6thrust23THRUST_200600_302600_NS6detail15normal_iteratorINS9_10device_ptrIjEEEESE_SE_jNS9_4plusIvEENS9_8equal_toIvEEjEE10hipError_tPvRmT2_T3_T4_T5_mT6_T7_P12ihipStream_tbENKUlT_T0_E_clISt17integral_constantIbLb0EESZ_EEDaSU_SV_EUlSU_E_NS1_11comp_targetILNS1_3genE3ELNS1_11target_archE908ELNS1_3gpuE7ELNS1_3repE0EEENS1_30default_config_static_selectorELNS0_4arch9wavefront6targetE0EEEvT1_: ; @_ZN7rocprim17ROCPRIM_400000_NS6detail17trampoline_kernelINS0_14default_configENS1_27scan_by_key_config_selectorIjjEEZZNS1_16scan_by_key_implILNS1_25lookback_scan_determinismE0ELb0ES3_N6thrust23THRUST_200600_302600_NS6detail15normal_iteratorINS9_10device_ptrIjEEEESE_SE_jNS9_4plusIvEENS9_8equal_toIvEEjEE10hipError_tPvRmT2_T3_T4_T5_mT6_T7_P12ihipStream_tbENKUlT_T0_E_clISt17integral_constantIbLb0EESZ_EEDaSU_SV_EUlSU_E_NS1_11comp_targetILNS1_3genE3ELNS1_11target_archE908ELNS1_3gpuE7ELNS1_3repE0EEENS1_30default_config_static_selectorELNS0_4arch9wavefront6targetE0EEEvT1_
; %bb.0:
	.section	.rodata,"a",@progbits
	.p2align	6, 0x0
	.amdhsa_kernel _ZN7rocprim17ROCPRIM_400000_NS6detail17trampoline_kernelINS0_14default_configENS1_27scan_by_key_config_selectorIjjEEZZNS1_16scan_by_key_implILNS1_25lookback_scan_determinismE0ELb0ES3_N6thrust23THRUST_200600_302600_NS6detail15normal_iteratorINS9_10device_ptrIjEEEESE_SE_jNS9_4plusIvEENS9_8equal_toIvEEjEE10hipError_tPvRmT2_T3_T4_T5_mT6_T7_P12ihipStream_tbENKUlT_T0_E_clISt17integral_constantIbLb0EESZ_EEDaSU_SV_EUlSU_E_NS1_11comp_targetILNS1_3genE3ELNS1_11target_archE908ELNS1_3gpuE7ELNS1_3repE0EEENS1_30default_config_static_selectorELNS0_4arch9wavefront6targetE0EEEvT1_
		.amdhsa_group_segment_fixed_size 0
		.amdhsa_private_segment_fixed_size 0
		.amdhsa_kernarg_size 112
		.amdhsa_user_sgpr_count 2
		.amdhsa_user_sgpr_dispatch_ptr 0
		.amdhsa_user_sgpr_queue_ptr 0
		.amdhsa_user_sgpr_kernarg_segment_ptr 1
		.amdhsa_user_sgpr_dispatch_id 0
		.amdhsa_user_sgpr_kernarg_preload_length 0
		.amdhsa_user_sgpr_kernarg_preload_offset 0
		.amdhsa_user_sgpr_private_segment_size 0
		.amdhsa_wavefront_size32 1
		.amdhsa_uses_dynamic_stack 0
		.amdhsa_enable_private_segment 0
		.amdhsa_system_sgpr_workgroup_id_x 1
		.amdhsa_system_sgpr_workgroup_id_y 0
		.amdhsa_system_sgpr_workgroup_id_z 0
		.amdhsa_system_sgpr_workgroup_info 0
		.amdhsa_system_vgpr_workitem_id 0
		.amdhsa_next_free_vgpr 1
		.amdhsa_next_free_sgpr 1
		.amdhsa_named_barrier_count 0
		.amdhsa_reserve_vcc 0
		.amdhsa_float_round_mode_32 0
		.amdhsa_float_round_mode_16_64 0
		.amdhsa_float_denorm_mode_32 3
		.amdhsa_float_denorm_mode_16_64 3
		.amdhsa_fp16_overflow 0
		.amdhsa_memory_ordered 1
		.amdhsa_forward_progress 1
		.amdhsa_inst_pref_size 0
		.amdhsa_round_robin_scheduling 0
		.amdhsa_exception_fp_ieee_invalid_op 0
		.amdhsa_exception_fp_denorm_src 0
		.amdhsa_exception_fp_ieee_div_zero 0
		.amdhsa_exception_fp_ieee_overflow 0
		.amdhsa_exception_fp_ieee_underflow 0
		.amdhsa_exception_fp_ieee_inexact 0
		.amdhsa_exception_int_div_zero 0
	.end_amdhsa_kernel
	.section	.text._ZN7rocprim17ROCPRIM_400000_NS6detail17trampoline_kernelINS0_14default_configENS1_27scan_by_key_config_selectorIjjEEZZNS1_16scan_by_key_implILNS1_25lookback_scan_determinismE0ELb0ES3_N6thrust23THRUST_200600_302600_NS6detail15normal_iteratorINS9_10device_ptrIjEEEESE_SE_jNS9_4plusIvEENS9_8equal_toIvEEjEE10hipError_tPvRmT2_T3_T4_T5_mT6_T7_P12ihipStream_tbENKUlT_T0_E_clISt17integral_constantIbLb0EESZ_EEDaSU_SV_EUlSU_E_NS1_11comp_targetILNS1_3genE3ELNS1_11target_archE908ELNS1_3gpuE7ELNS1_3repE0EEENS1_30default_config_static_selectorELNS0_4arch9wavefront6targetE0EEEvT1_,"axG",@progbits,_ZN7rocprim17ROCPRIM_400000_NS6detail17trampoline_kernelINS0_14default_configENS1_27scan_by_key_config_selectorIjjEEZZNS1_16scan_by_key_implILNS1_25lookback_scan_determinismE0ELb0ES3_N6thrust23THRUST_200600_302600_NS6detail15normal_iteratorINS9_10device_ptrIjEEEESE_SE_jNS9_4plusIvEENS9_8equal_toIvEEjEE10hipError_tPvRmT2_T3_T4_T5_mT6_T7_P12ihipStream_tbENKUlT_T0_E_clISt17integral_constantIbLb0EESZ_EEDaSU_SV_EUlSU_E_NS1_11comp_targetILNS1_3genE3ELNS1_11target_archE908ELNS1_3gpuE7ELNS1_3repE0EEENS1_30default_config_static_selectorELNS0_4arch9wavefront6targetE0EEEvT1_,comdat
.Lfunc_end1830:
	.size	_ZN7rocprim17ROCPRIM_400000_NS6detail17trampoline_kernelINS0_14default_configENS1_27scan_by_key_config_selectorIjjEEZZNS1_16scan_by_key_implILNS1_25lookback_scan_determinismE0ELb0ES3_N6thrust23THRUST_200600_302600_NS6detail15normal_iteratorINS9_10device_ptrIjEEEESE_SE_jNS9_4plusIvEENS9_8equal_toIvEEjEE10hipError_tPvRmT2_T3_T4_T5_mT6_T7_P12ihipStream_tbENKUlT_T0_E_clISt17integral_constantIbLb0EESZ_EEDaSU_SV_EUlSU_E_NS1_11comp_targetILNS1_3genE3ELNS1_11target_archE908ELNS1_3gpuE7ELNS1_3repE0EEENS1_30default_config_static_selectorELNS0_4arch9wavefront6targetE0EEEvT1_, .Lfunc_end1830-_ZN7rocprim17ROCPRIM_400000_NS6detail17trampoline_kernelINS0_14default_configENS1_27scan_by_key_config_selectorIjjEEZZNS1_16scan_by_key_implILNS1_25lookback_scan_determinismE0ELb0ES3_N6thrust23THRUST_200600_302600_NS6detail15normal_iteratorINS9_10device_ptrIjEEEESE_SE_jNS9_4plusIvEENS9_8equal_toIvEEjEE10hipError_tPvRmT2_T3_T4_T5_mT6_T7_P12ihipStream_tbENKUlT_T0_E_clISt17integral_constantIbLb0EESZ_EEDaSU_SV_EUlSU_E_NS1_11comp_targetILNS1_3genE3ELNS1_11target_archE908ELNS1_3gpuE7ELNS1_3repE0EEENS1_30default_config_static_selectorELNS0_4arch9wavefront6targetE0EEEvT1_
                                        ; -- End function
	.set _ZN7rocprim17ROCPRIM_400000_NS6detail17trampoline_kernelINS0_14default_configENS1_27scan_by_key_config_selectorIjjEEZZNS1_16scan_by_key_implILNS1_25lookback_scan_determinismE0ELb0ES3_N6thrust23THRUST_200600_302600_NS6detail15normal_iteratorINS9_10device_ptrIjEEEESE_SE_jNS9_4plusIvEENS9_8equal_toIvEEjEE10hipError_tPvRmT2_T3_T4_T5_mT6_T7_P12ihipStream_tbENKUlT_T0_E_clISt17integral_constantIbLb0EESZ_EEDaSU_SV_EUlSU_E_NS1_11comp_targetILNS1_3genE3ELNS1_11target_archE908ELNS1_3gpuE7ELNS1_3repE0EEENS1_30default_config_static_selectorELNS0_4arch9wavefront6targetE0EEEvT1_.num_vgpr, 0
	.set _ZN7rocprim17ROCPRIM_400000_NS6detail17trampoline_kernelINS0_14default_configENS1_27scan_by_key_config_selectorIjjEEZZNS1_16scan_by_key_implILNS1_25lookback_scan_determinismE0ELb0ES3_N6thrust23THRUST_200600_302600_NS6detail15normal_iteratorINS9_10device_ptrIjEEEESE_SE_jNS9_4plusIvEENS9_8equal_toIvEEjEE10hipError_tPvRmT2_T3_T4_T5_mT6_T7_P12ihipStream_tbENKUlT_T0_E_clISt17integral_constantIbLb0EESZ_EEDaSU_SV_EUlSU_E_NS1_11comp_targetILNS1_3genE3ELNS1_11target_archE908ELNS1_3gpuE7ELNS1_3repE0EEENS1_30default_config_static_selectorELNS0_4arch9wavefront6targetE0EEEvT1_.num_agpr, 0
	.set _ZN7rocprim17ROCPRIM_400000_NS6detail17trampoline_kernelINS0_14default_configENS1_27scan_by_key_config_selectorIjjEEZZNS1_16scan_by_key_implILNS1_25lookback_scan_determinismE0ELb0ES3_N6thrust23THRUST_200600_302600_NS6detail15normal_iteratorINS9_10device_ptrIjEEEESE_SE_jNS9_4plusIvEENS9_8equal_toIvEEjEE10hipError_tPvRmT2_T3_T4_T5_mT6_T7_P12ihipStream_tbENKUlT_T0_E_clISt17integral_constantIbLb0EESZ_EEDaSU_SV_EUlSU_E_NS1_11comp_targetILNS1_3genE3ELNS1_11target_archE908ELNS1_3gpuE7ELNS1_3repE0EEENS1_30default_config_static_selectorELNS0_4arch9wavefront6targetE0EEEvT1_.numbered_sgpr, 0
	.set _ZN7rocprim17ROCPRIM_400000_NS6detail17trampoline_kernelINS0_14default_configENS1_27scan_by_key_config_selectorIjjEEZZNS1_16scan_by_key_implILNS1_25lookback_scan_determinismE0ELb0ES3_N6thrust23THRUST_200600_302600_NS6detail15normal_iteratorINS9_10device_ptrIjEEEESE_SE_jNS9_4plusIvEENS9_8equal_toIvEEjEE10hipError_tPvRmT2_T3_T4_T5_mT6_T7_P12ihipStream_tbENKUlT_T0_E_clISt17integral_constantIbLb0EESZ_EEDaSU_SV_EUlSU_E_NS1_11comp_targetILNS1_3genE3ELNS1_11target_archE908ELNS1_3gpuE7ELNS1_3repE0EEENS1_30default_config_static_selectorELNS0_4arch9wavefront6targetE0EEEvT1_.num_named_barrier, 0
	.set _ZN7rocprim17ROCPRIM_400000_NS6detail17trampoline_kernelINS0_14default_configENS1_27scan_by_key_config_selectorIjjEEZZNS1_16scan_by_key_implILNS1_25lookback_scan_determinismE0ELb0ES3_N6thrust23THRUST_200600_302600_NS6detail15normal_iteratorINS9_10device_ptrIjEEEESE_SE_jNS9_4plusIvEENS9_8equal_toIvEEjEE10hipError_tPvRmT2_T3_T4_T5_mT6_T7_P12ihipStream_tbENKUlT_T0_E_clISt17integral_constantIbLb0EESZ_EEDaSU_SV_EUlSU_E_NS1_11comp_targetILNS1_3genE3ELNS1_11target_archE908ELNS1_3gpuE7ELNS1_3repE0EEENS1_30default_config_static_selectorELNS0_4arch9wavefront6targetE0EEEvT1_.private_seg_size, 0
	.set _ZN7rocprim17ROCPRIM_400000_NS6detail17trampoline_kernelINS0_14default_configENS1_27scan_by_key_config_selectorIjjEEZZNS1_16scan_by_key_implILNS1_25lookback_scan_determinismE0ELb0ES3_N6thrust23THRUST_200600_302600_NS6detail15normal_iteratorINS9_10device_ptrIjEEEESE_SE_jNS9_4plusIvEENS9_8equal_toIvEEjEE10hipError_tPvRmT2_T3_T4_T5_mT6_T7_P12ihipStream_tbENKUlT_T0_E_clISt17integral_constantIbLb0EESZ_EEDaSU_SV_EUlSU_E_NS1_11comp_targetILNS1_3genE3ELNS1_11target_archE908ELNS1_3gpuE7ELNS1_3repE0EEENS1_30default_config_static_selectorELNS0_4arch9wavefront6targetE0EEEvT1_.uses_vcc, 0
	.set _ZN7rocprim17ROCPRIM_400000_NS6detail17trampoline_kernelINS0_14default_configENS1_27scan_by_key_config_selectorIjjEEZZNS1_16scan_by_key_implILNS1_25lookback_scan_determinismE0ELb0ES3_N6thrust23THRUST_200600_302600_NS6detail15normal_iteratorINS9_10device_ptrIjEEEESE_SE_jNS9_4plusIvEENS9_8equal_toIvEEjEE10hipError_tPvRmT2_T3_T4_T5_mT6_T7_P12ihipStream_tbENKUlT_T0_E_clISt17integral_constantIbLb0EESZ_EEDaSU_SV_EUlSU_E_NS1_11comp_targetILNS1_3genE3ELNS1_11target_archE908ELNS1_3gpuE7ELNS1_3repE0EEENS1_30default_config_static_selectorELNS0_4arch9wavefront6targetE0EEEvT1_.uses_flat_scratch, 0
	.set _ZN7rocprim17ROCPRIM_400000_NS6detail17trampoline_kernelINS0_14default_configENS1_27scan_by_key_config_selectorIjjEEZZNS1_16scan_by_key_implILNS1_25lookback_scan_determinismE0ELb0ES3_N6thrust23THRUST_200600_302600_NS6detail15normal_iteratorINS9_10device_ptrIjEEEESE_SE_jNS9_4plusIvEENS9_8equal_toIvEEjEE10hipError_tPvRmT2_T3_T4_T5_mT6_T7_P12ihipStream_tbENKUlT_T0_E_clISt17integral_constantIbLb0EESZ_EEDaSU_SV_EUlSU_E_NS1_11comp_targetILNS1_3genE3ELNS1_11target_archE908ELNS1_3gpuE7ELNS1_3repE0EEENS1_30default_config_static_selectorELNS0_4arch9wavefront6targetE0EEEvT1_.has_dyn_sized_stack, 0
	.set _ZN7rocprim17ROCPRIM_400000_NS6detail17trampoline_kernelINS0_14default_configENS1_27scan_by_key_config_selectorIjjEEZZNS1_16scan_by_key_implILNS1_25lookback_scan_determinismE0ELb0ES3_N6thrust23THRUST_200600_302600_NS6detail15normal_iteratorINS9_10device_ptrIjEEEESE_SE_jNS9_4plusIvEENS9_8equal_toIvEEjEE10hipError_tPvRmT2_T3_T4_T5_mT6_T7_P12ihipStream_tbENKUlT_T0_E_clISt17integral_constantIbLb0EESZ_EEDaSU_SV_EUlSU_E_NS1_11comp_targetILNS1_3genE3ELNS1_11target_archE908ELNS1_3gpuE7ELNS1_3repE0EEENS1_30default_config_static_selectorELNS0_4arch9wavefront6targetE0EEEvT1_.has_recursion, 0
	.set _ZN7rocprim17ROCPRIM_400000_NS6detail17trampoline_kernelINS0_14default_configENS1_27scan_by_key_config_selectorIjjEEZZNS1_16scan_by_key_implILNS1_25lookback_scan_determinismE0ELb0ES3_N6thrust23THRUST_200600_302600_NS6detail15normal_iteratorINS9_10device_ptrIjEEEESE_SE_jNS9_4plusIvEENS9_8equal_toIvEEjEE10hipError_tPvRmT2_T3_T4_T5_mT6_T7_P12ihipStream_tbENKUlT_T0_E_clISt17integral_constantIbLb0EESZ_EEDaSU_SV_EUlSU_E_NS1_11comp_targetILNS1_3genE3ELNS1_11target_archE908ELNS1_3gpuE7ELNS1_3repE0EEENS1_30default_config_static_selectorELNS0_4arch9wavefront6targetE0EEEvT1_.has_indirect_call, 0
	.section	.AMDGPU.csdata,"",@progbits
; Kernel info:
; codeLenInByte = 0
; TotalNumSgprs: 0
; NumVgprs: 0
; ScratchSize: 0
; MemoryBound: 0
; FloatMode: 240
; IeeeMode: 1
; LDSByteSize: 0 bytes/workgroup (compile time only)
; SGPRBlocks: 0
; VGPRBlocks: 0
; NumSGPRsForWavesPerEU: 1
; NumVGPRsForWavesPerEU: 1
; NamedBarCnt: 0
; Occupancy: 16
; WaveLimiterHint : 0
; COMPUTE_PGM_RSRC2:SCRATCH_EN: 0
; COMPUTE_PGM_RSRC2:USER_SGPR: 2
; COMPUTE_PGM_RSRC2:TRAP_HANDLER: 0
; COMPUTE_PGM_RSRC2:TGID_X_EN: 1
; COMPUTE_PGM_RSRC2:TGID_Y_EN: 0
; COMPUTE_PGM_RSRC2:TGID_Z_EN: 0
; COMPUTE_PGM_RSRC2:TIDIG_COMP_CNT: 0
	.section	.text._ZN7rocprim17ROCPRIM_400000_NS6detail17trampoline_kernelINS0_14default_configENS1_27scan_by_key_config_selectorIjjEEZZNS1_16scan_by_key_implILNS1_25lookback_scan_determinismE0ELb0ES3_N6thrust23THRUST_200600_302600_NS6detail15normal_iteratorINS9_10device_ptrIjEEEESE_SE_jNS9_4plusIvEENS9_8equal_toIvEEjEE10hipError_tPvRmT2_T3_T4_T5_mT6_T7_P12ihipStream_tbENKUlT_T0_E_clISt17integral_constantIbLb0EESZ_EEDaSU_SV_EUlSU_E_NS1_11comp_targetILNS1_3genE2ELNS1_11target_archE906ELNS1_3gpuE6ELNS1_3repE0EEENS1_30default_config_static_selectorELNS0_4arch9wavefront6targetE0EEEvT1_,"axG",@progbits,_ZN7rocprim17ROCPRIM_400000_NS6detail17trampoline_kernelINS0_14default_configENS1_27scan_by_key_config_selectorIjjEEZZNS1_16scan_by_key_implILNS1_25lookback_scan_determinismE0ELb0ES3_N6thrust23THRUST_200600_302600_NS6detail15normal_iteratorINS9_10device_ptrIjEEEESE_SE_jNS9_4plusIvEENS9_8equal_toIvEEjEE10hipError_tPvRmT2_T3_T4_T5_mT6_T7_P12ihipStream_tbENKUlT_T0_E_clISt17integral_constantIbLb0EESZ_EEDaSU_SV_EUlSU_E_NS1_11comp_targetILNS1_3genE2ELNS1_11target_archE906ELNS1_3gpuE6ELNS1_3repE0EEENS1_30default_config_static_selectorELNS0_4arch9wavefront6targetE0EEEvT1_,comdat
	.protected	_ZN7rocprim17ROCPRIM_400000_NS6detail17trampoline_kernelINS0_14default_configENS1_27scan_by_key_config_selectorIjjEEZZNS1_16scan_by_key_implILNS1_25lookback_scan_determinismE0ELb0ES3_N6thrust23THRUST_200600_302600_NS6detail15normal_iteratorINS9_10device_ptrIjEEEESE_SE_jNS9_4plusIvEENS9_8equal_toIvEEjEE10hipError_tPvRmT2_T3_T4_T5_mT6_T7_P12ihipStream_tbENKUlT_T0_E_clISt17integral_constantIbLb0EESZ_EEDaSU_SV_EUlSU_E_NS1_11comp_targetILNS1_3genE2ELNS1_11target_archE906ELNS1_3gpuE6ELNS1_3repE0EEENS1_30default_config_static_selectorELNS0_4arch9wavefront6targetE0EEEvT1_ ; -- Begin function _ZN7rocprim17ROCPRIM_400000_NS6detail17trampoline_kernelINS0_14default_configENS1_27scan_by_key_config_selectorIjjEEZZNS1_16scan_by_key_implILNS1_25lookback_scan_determinismE0ELb0ES3_N6thrust23THRUST_200600_302600_NS6detail15normal_iteratorINS9_10device_ptrIjEEEESE_SE_jNS9_4plusIvEENS9_8equal_toIvEEjEE10hipError_tPvRmT2_T3_T4_T5_mT6_T7_P12ihipStream_tbENKUlT_T0_E_clISt17integral_constantIbLb0EESZ_EEDaSU_SV_EUlSU_E_NS1_11comp_targetILNS1_3genE2ELNS1_11target_archE906ELNS1_3gpuE6ELNS1_3repE0EEENS1_30default_config_static_selectorELNS0_4arch9wavefront6targetE0EEEvT1_
	.globl	_ZN7rocprim17ROCPRIM_400000_NS6detail17trampoline_kernelINS0_14default_configENS1_27scan_by_key_config_selectorIjjEEZZNS1_16scan_by_key_implILNS1_25lookback_scan_determinismE0ELb0ES3_N6thrust23THRUST_200600_302600_NS6detail15normal_iteratorINS9_10device_ptrIjEEEESE_SE_jNS9_4plusIvEENS9_8equal_toIvEEjEE10hipError_tPvRmT2_T3_T4_T5_mT6_T7_P12ihipStream_tbENKUlT_T0_E_clISt17integral_constantIbLb0EESZ_EEDaSU_SV_EUlSU_E_NS1_11comp_targetILNS1_3genE2ELNS1_11target_archE906ELNS1_3gpuE6ELNS1_3repE0EEENS1_30default_config_static_selectorELNS0_4arch9wavefront6targetE0EEEvT1_
	.p2align	8
	.type	_ZN7rocprim17ROCPRIM_400000_NS6detail17trampoline_kernelINS0_14default_configENS1_27scan_by_key_config_selectorIjjEEZZNS1_16scan_by_key_implILNS1_25lookback_scan_determinismE0ELb0ES3_N6thrust23THRUST_200600_302600_NS6detail15normal_iteratorINS9_10device_ptrIjEEEESE_SE_jNS9_4plusIvEENS9_8equal_toIvEEjEE10hipError_tPvRmT2_T3_T4_T5_mT6_T7_P12ihipStream_tbENKUlT_T0_E_clISt17integral_constantIbLb0EESZ_EEDaSU_SV_EUlSU_E_NS1_11comp_targetILNS1_3genE2ELNS1_11target_archE906ELNS1_3gpuE6ELNS1_3repE0EEENS1_30default_config_static_selectorELNS0_4arch9wavefront6targetE0EEEvT1_,@function
_ZN7rocprim17ROCPRIM_400000_NS6detail17trampoline_kernelINS0_14default_configENS1_27scan_by_key_config_selectorIjjEEZZNS1_16scan_by_key_implILNS1_25lookback_scan_determinismE0ELb0ES3_N6thrust23THRUST_200600_302600_NS6detail15normal_iteratorINS9_10device_ptrIjEEEESE_SE_jNS9_4plusIvEENS9_8equal_toIvEEjEE10hipError_tPvRmT2_T3_T4_T5_mT6_T7_P12ihipStream_tbENKUlT_T0_E_clISt17integral_constantIbLb0EESZ_EEDaSU_SV_EUlSU_E_NS1_11comp_targetILNS1_3genE2ELNS1_11target_archE906ELNS1_3gpuE6ELNS1_3repE0EEENS1_30default_config_static_selectorELNS0_4arch9wavefront6targetE0EEEvT1_: ; @_ZN7rocprim17ROCPRIM_400000_NS6detail17trampoline_kernelINS0_14default_configENS1_27scan_by_key_config_selectorIjjEEZZNS1_16scan_by_key_implILNS1_25lookback_scan_determinismE0ELb0ES3_N6thrust23THRUST_200600_302600_NS6detail15normal_iteratorINS9_10device_ptrIjEEEESE_SE_jNS9_4plusIvEENS9_8equal_toIvEEjEE10hipError_tPvRmT2_T3_T4_T5_mT6_T7_P12ihipStream_tbENKUlT_T0_E_clISt17integral_constantIbLb0EESZ_EEDaSU_SV_EUlSU_E_NS1_11comp_targetILNS1_3genE2ELNS1_11target_archE906ELNS1_3gpuE6ELNS1_3repE0EEENS1_30default_config_static_selectorELNS0_4arch9wavefront6targetE0EEEvT1_
; %bb.0:
	.section	.rodata,"a",@progbits
	.p2align	6, 0x0
	.amdhsa_kernel _ZN7rocprim17ROCPRIM_400000_NS6detail17trampoline_kernelINS0_14default_configENS1_27scan_by_key_config_selectorIjjEEZZNS1_16scan_by_key_implILNS1_25lookback_scan_determinismE0ELb0ES3_N6thrust23THRUST_200600_302600_NS6detail15normal_iteratorINS9_10device_ptrIjEEEESE_SE_jNS9_4plusIvEENS9_8equal_toIvEEjEE10hipError_tPvRmT2_T3_T4_T5_mT6_T7_P12ihipStream_tbENKUlT_T0_E_clISt17integral_constantIbLb0EESZ_EEDaSU_SV_EUlSU_E_NS1_11comp_targetILNS1_3genE2ELNS1_11target_archE906ELNS1_3gpuE6ELNS1_3repE0EEENS1_30default_config_static_selectorELNS0_4arch9wavefront6targetE0EEEvT1_
		.amdhsa_group_segment_fixed_size 0
		.amdhsa_private_segment_fixed_size 0
		.amdhsa_kernarg_size 112
		.amdhsa_user_sgpr_count 2
		.amdhsa_user_sgpr_dispatch_ptr 0
		.amdhsa_user_sgpr_queue_ptr 0
		.amdhsa_user_sgpr_kernarg_segment_ptr 1
		.amdhsa_user_sgpr_dispatch_id 0
		.amdhsa_user_sgpr_kernarg_preload_length 0
		.amdhsa_user_sgpr_kernarg_preload_offset 0
		.amdhsa_user_sgpr_private_segment_size 0
		.amdhsa_wavefront_size32 1
		.amdhsa_uses_dynamic_stack 0
		.amdhsa_enable_private_segment 0
		.amdhsa_system_sgpr_workgroup_id_x 1
		.amdhsa_system_sgpr_workgroup_id_y 0
		.amdhsa_system_sgpr_workgroup_id_z 0
		.amdhsa_system_sgpr_workgroup_info 0
		.amdhsa_system_vgpr_workitem_id 0
		.amdhsa_next_free_vgpr 1
		.amdhsa_next_free_sgpr 1
		.amdhsa_named_barrier_count 0
		.amdhsa_reserve_vcc 0
		.amdhsa_float_round_mode_32 0
		.amdhsa_float_round_mode_16_64 0
		.amdhsa_float_denorm_mode_32 3
		.amdhsa_float_denorm_mode_16_64 3
		.amdhsa_fp16_overflow 0
		.amdhsa_memory_ordered 1
		.amdhsa_forward_progress 1
		.amdhsa_inst_pref_size 0
		.amdhsa_round_robin_scheduling 0
		.amdhsa_exception_fp_ieee_invalid_op 0
		.amdhsa_exception_fp_denorm_src 0
		.amdhsa_exception_fp_ieee_div_zero 0
		.amdhsa_exception_fp_ieee_overflow 0
		.amdhsa_exception_fp_ieee_underflow 0
		.amdhsa_exception_fp_ieee_inexact 0
		.amdhsa_exception_int_div_zero 0
	.end_amdhsa_kernel
	.section	.text._ZN7rocprim17ROCPRIM_400000_NS6detail17trampoline_kernelINS0_14default_configENS1_27scan_by_key_config_selectorIjjEEZZNS1_16scan_by_key_implILNS1_25lookback_scan_determinismE0ELb0ES3_N6thrust23THRUST_200600_302600_NS6detail15normal_iteratorINS9_10device_ptrIjEEEESE_SE_jNS9_4plusIvEENS9_8equal_toIvEEjEE10hipError_tPvRmT2_T3_T4_T5_mT6_T7_P12ihipStream_tbENKUlT_T0_E_clISt17integral_constantIbLb0EESZ_EEDaSU_SV_EUlSU_E_NS1_11comp_targetILNS1_3genE2ELNS1_11target_archE906ELNS1_3gpuE6ELNS1_3repE0EEENS1_30default_config_static_selectorELNS0_4arch9wavefront6targetE0EEEvT1_,"axG",@progbits,_ZN7rocprim17ROCPRIM_400000_NS6detail17trampoline_kernelINS0_14default_configENS1_27scan_by_key_config_selectorIjjEEZZNS1_16scan_by_key_implILNS1_25lookback_scan_determinismE0ELb0ES3_N6thrust23THRUST_200600_302600_NS6detail15normal_iteratorINS9_10device_ptrIjEEEESE_SE_jNS9_4plusIvEENS9_8equal_toIvEEjEE10hipError_tPvRmT2_T3_T4_T5_mT6_T7_P12ihipStream_tbENKUlT_T0_E_clISt17integral_constantIbLb0EESZ_EEDaSU_SV_EUlSU_E_NS1_11comp_targetILNS1_3genE2ELNS1_11target_archE906ELNS1_3gpuE6ELNS1_3repE0EEENS1_30default_config_static_selectorELNS0_4arch9wavefront6targetE0EEEvT1_,comdat
.Lfunc_end1831:
	.size	_ZN7rocprim17ROCPRIM_400000_NS6detail17trampoline_kernelINS0_14default_configENS1_27scan_by_key_config_selectorIjjEEZZNS1_16scan_by_key_implILNS1_25lookback_scan_determinismE0ELb0ES3_N6thrust23THRUST_200600_302600_NS6detail15normal_iteratorINS9_10device_ptrIjEEEESE_SE_jNS9_4plusIvEENS9_8equal_toIvEEjEE10hipError_tPvRmT2_T3_T4_T5_mT6_T7_P12ihipStream_tbENKUlT_T0_E_clISt17integral_constantIbLb0EESZ_EEDaSU_SV_EUlSU_E_NS1_11comp_targetILNS1_3genE2ELNS1_11target_archE906ELNS1_3gpuE6ELNS1_3repE0EEENS1_30default_config_static_selectorELNS0_4arch9wavefront6targetE0EEEvT1_, .Lfunc_end1831-_ZN7rocprim17ROCPRIM_400000_NS6detail17trampoline_kernelINS0_14default_configENS1_27scan_by_key_config_selectorIjjEEZZNS1_16scan_by_key_implILNS1_25lookback_scan_determinismE0ELb0ES3_N6thrust23THRUST_200600_302600_NS6detail15normal_iteratorINS9_10device_ptrIjEEEESE_SE_jNS9_4plusIvEENS9_8equal_toIvEEjEE10hipError_tPvRmT2_T3_T4_T5_mT6_T7_P12ihipStream_tbENKUlT_T0_E_clISt17integral_constantIbLb0EESZ_EEDaSU_SV_EUlSU_E_NS1_11comp_targetILNS1_3genE2ELNS1_11target_archE906ELNS1_3gpuE6ELNS1_3repE0EEENS1_30default_config_static_selectorELNS0_4arch9wavefront6targetE0EEEvT1_
                                        ; -- End function
	.set _ZN7rocprim17ROCPRIM_400000_NS6detail17trampoline_kernelINS0_14default_configENS1_27scan_by_key_config_selectorIjjEEZZNS1_16scan_by_key_implILNS1_25lookback_scan_determinismE0ELb0ES3_N6thrust23THRUST_200600_302600_NS6detail15normal_iteratorINS9_10device_ptrIjEEEESE_SE_jNS9_4plusIvEENS9_8equal_toIvEEjEE10hipError_tPvRmT2_T3_T4_T5_mT6_T7_P12ihipStream_tbENKUlT_T0_E_clISt17integral_constantIbLb0EESZ_EEDaSU_SV_EUlSU_E_NS1_11comp_targetILNS1_3genE2ELNS1_11target_archE906ELNS1_3gpuE6ELNS1_3repE0EEENS1_30default_config_static_selectorELNS0_4arch9wavefront6targetE0EEEvT1_.num_vgpr, 0
	.set _ZN7rocprim17ROCPRIM_400000_NS6detail17trampoline_kernelINS0_14default_configENS1_27scan_by_key_config_selectorIjjEEZZNS1_16scan_by_key_implILNS1_25lookback_scan_determinismE0ELb0ES3_N6thrust23THRUST_200600_302600_NS6detail15normal_iteratorINS9_10device_ptrIjEEEESE_SE_jNS9_4plusIvEENS9_8equal_toIvEEjEE10hipError_tPvRmT2_T3_T4_T5_mT6_T7_P12ihipStream_tbENKUlT_T0_E_clISt17integral_constantIbLb0EESZ_EEDaSU_SV_EUlSU_E_NS1_11comp_targetILNS1_3genE2ELNS1_11target_archE906ELNS1_3gpuE6ELNS1_3repE0EEENS1_30default_config_static_selectorELNS0_4arch9wavefront6targetE0EEEvT1_.num_agpr, 0
	.set _ZN7rocprim17ROCPRIM_400000_NS6detail17trampoline_kernelINS0_14default_configENS1_27scan_by_key_config_selectorIjjEEZZNS1_16scan_by_key_implILNS1_25lookback_scan_determinismE0ELb0ES3_N6thrust23THRUST_200600_302600_NS6detail15normal_iteratorINS9_10device_ptrIjEEEESE_SE_jNS9_4plusIvEENS9_8equal_toIvEEjEE10hipError_tPvRmT2_T3_T4_T5_mT6_T7_P12ihipStream_tbENKUlT_T0_E_clISt17integral_constantIbLb0EESZ_EEDaSU_SV_EUlSU_E_NS1_11comp_targetILNS1_3genE2ELNS1_11target_archE906ELNS1_3gpuE6ELNS1_3repE0EEENS1_30default_config_static_selectorELNS0_4arch9wavefront6targetE0EEEvT1_.numbered_sgpr, 0
	.set _ZN7rocprim17ROCPRIM_400000_NS6detail17trampoline_kernelINS0_14default_configENS1_27scan_by_key_config_selectorIjjEEZZNS1_16scan_by_key_implILNS1_25lookback_scan_determinismE0ELb0ES3_N6thrust23THRUST_200600_302600_NS6detail15normal_iteratorINS9_10device_ptrIjEEEESE_SE_jNS9_4plusIvEENS9_8equal_toIvEEjEE10hipError_tPvRmT2_T3_T4_T5_mT6_T7_P12ihipStream_tbENKUlT_T0_E_clISt17integral_constantIbLb0EESZ_EEDaSU_SV_EUlSU_E_NS1_11comp_targetILNS1_3genE2ELNS1_11target_archE906ELNS1_3gpuE6ELNS1_3repE0EEENS1_30default_config_static_selectorELNS0_4arch9wavefront6targetE0EEEvT1_.num_named_barrier, 0
	.set _ZN7rocprim17ROCPRIM_400000_NS6detail17trampoline_kernelINS0_14default_configENS1_27scan_by_key_config_selectorIjjEEZZNS1_16scan_by_key_implILNS1_25lookback_scan_determinismE0ELb0ES3_N6thrust23THRUST_200600_302600_NS6detail15normal_iteratorINS9_10device_ptrIjEEEESE_SE_jNS9_4plusIvEENS9_8equal_toIvEEjEE10hipError_tPvRmT2_T3_T4_T5_mT6_T7_P12ihipStream_tbENKUlT_T0_E_clISt17integral_constantIbLb0EESZ_EEDaSU_SV_EUlSU_E_NS1_11comp_targetILNS1_3genE2ELNS1_11target_archE906ELNS1_3gpuE6ELNS1_3repE0EEENS1_30default_config_static_selectorELNS0_4arch9wavefront6targetE0EEEvT1_.private_seg_size, 0
	.set _ZN7rocprim17ROCPRIM_400000_NS6detail17trampoline_kernelINS0_14default_configENS1_27scan_by_key_config_selectorIjjEEZZNS1_16scan_by_key_implILNS1_25lookback_scan_determinismE0ELb0ES3_N6thrust23THRUST_200600_302600_NS6detail15normal_iteratorINS9_10device_ptrIjEEEESE_SE_jNS9_4plusIvEENS9_8equal_toIvEEjEE10hipError_tPvRmT2_T3_T4_T5_mT6_T7_P12ihipStream_tbENKUlT_T0_E_clISt17integral_constantIbLb0EESZ_EEDaSU_SV_EUlSU_E_NS1_11comp_targetILNS1_3genE2ELNS1_11target_archE906ELNS1_3gpuE6ELNS1_3repE0EEENS1_30default_config_static_selectorELNS0_4arch9wavefront6targetE0EEEvT1_.uses_vcc, 0
	.set _ZN7rocprim17ROCPRIM_400000_NS6detail17trampoline_kernelINS0_14default_configENS1_27scan_by_key_config_selectorIjjEEZZNS1_16scan_by_key_implILNS1_25lookback_scan_determinismE0ELb0ES3_N6thrust23THRUST_200600_302600_NS6detail15normal_iteratorINS9_10device_ptrIjEEEESE_SE_jNS9_4plusIvEENS9_8equal_toIvEEjEE10hipError_tPvRmT2_T3_T4_T5_mT6_T7_P12ihipStream_tbENKUlT_T0_E_clISt17integral_constantIbLb0EESZ_EEDaSU_SV_EUlSU_E_NS1_11comp_targetILNS1_3genE2ELNS1_11target_archE906ELNS1_3gpuE6ELNS1_3repE0EEENS1_30default_config_static_selectorELNS0_4arch9wavefront6targetE0EEEvT1_.uses_flat_scratch, 0
	.set _ZN7rocprim17ROCPRIM_400000_NS6detail17trampoline_kernelINS0_14default_configENS1_27scan_by_key_config_selectorIjjEEZZNS1_16scan_by_key_implILNS1_25lookback_scan_determinismE0ELb0ES3_N6thrust23THRUST_200600_302600_NS6detail15normal_iteratorINS9_10device_ptrIjEEEESE_SE_jNS9_4plusIvEENS9_8equal_toIvEEjEE10hipError_tPvRmT2_T3_T4_T5_mT6_T7_P12ihipStream_tbENKUlT_T0_E_clISt17integral_constantIbLb0EESZ_EEDaSU_SV_EUlSU_E_NS1_11comp_targetILNS1_3genE2ELNS1_11target_archE906ELNS1_3gpuE6ELNS1_3repE0EEENS1_30default_config_static_selectorELNS0_4arch9wavefront6targetE0EEEvT1_.has_dyn_sized_stack, 0
	.set _ZN7rocprim17ROCPRIM_400000_NS6detail17trampoline_kernelINS0_14default_configENS1_27scan_by_key_config_selectorIjjEEZZNS1_16scan_by_key_implILNS1_25lookback_scan_determinismE0ELb0ES3_N6thrust23THRUST_200600_302600_NS6detail15normal_iteratorINS9_10device_ptrIjEEEESE_SE_jNS9_4plusIvEENS9_8equal_toIvEEjEE10hipError_tPvRmT2_T3_T4_T5_mT6_T7_P12ihipStream_tbENKUlT_T0_E_clISt17integral_constantIbLb0EESZ_EEDaSU_SV_EUlSU_E_NS1_11comp_targetILNS1_3genE2ELNS1_11target_archE906ELNS1_3gpuE6ELNS1_3repE0EEENS1_30default_config_static_selectorELNS0_4arch9wavefront6targetE0EEEvT1_.has_recursion, 0
	.set _ZN7rocprim17ROCPRIM_400000_NS6detail17trampoline_kernelINS0_14default_configENS1_27scan_by_key_config_selectorIjjEEZZNS1_16scan_by_key_implILNS1_25lookback_scan_determinismE0ELb0ES3_N6thrust23THRUST_200600_302600_NS6detail15normal_iteratorINS9_10device_ptrIjEEEESE_SE_jNS9_4plusIvEENS9_8equal_toIvEEjEE10hipError_tPvRmT2_T3_T4_T5_mT6_T7_P12ihipStream_tbENKUlT_T0_E_clISt17integral_constantIbLb0EESZ_EEDaSU_SV_EUlSU_E_NS1_11comp_targetILNS1_3genE2ELNS1_11target_archE906ELNS1_3gpuE6ELNS1_3repE0EEENS1_30default_config_static_selectorELNS0_4arch9wavefront6targetE0EEEvT1_.has_indirect_call, 0
	.section	.AMDGPU.csdata,"",@progbits
; Kernel info:
; codeLenInByte = 0
; TotalNumSgprs: 0
; NumVgprs: 0
; ScratchSize: 0
; MemoryBound: 0
; FloatMode: 240
; IeeeMode: 1
; LDSByteSize: 0 bytes/workgroup (compile time only)
; SGPRBlocks: 0
; VGPRBlocks: 0
; NumSGPRsForWavesPerEU: 1
; NumVGPRsForWavesPerEU: 1
; NamedBarCnt: 0
; Occupancy: 16
; WaveLimiterHint : 0
; COMPUTE_PGM_RSRC2:SCRATCH_EN: 0
; COMPUTE_PGM_RSRC2:USER_SGPR: 2
; COMPUTE_PGM_RSRC2:TRAP_HANDLER: 0
; COMPUTE_PGM_RSRC2:TGID_X_EN: 1
; COMPUTE_PGM_RSRC2:TGID_Y_EN: 0
; COMPUTE_PGM_RSRC2:TGID_Z_EN: 0
; COMPUTE_PGM_RSRC2:TIDIG_COMP_CNT: 0
	.section	.text._ZN7rocprim17ROCPRIM_400000_NS6detail17trampoline_kernelINS0_14default_configENS1_27scan_by_key_config_selectorIjjEEZZNS1_16scan_by_key_implILNS1_25lookback_scan_determinismE0ELb0ES3_N6thrust23THRUST_200600_302600_NS6detail15normal_iteratorINS9_10device_ptrIjEEEESE_SE_jNS9_4plusIvEENS9_8equal_toIvEEjEE10hipError_tPvRmT2_T3_T4_T5_mT6_T7_P12ihipStream_tbENKUlT_T0_E_clISt17integral_constantIbLb0EESZ_EEDaSU_SV_EUlSU_E_NS1_11comp_targetILNS1_3genE10ELNS1_11target_archE1200ELNS1_3gpuE4ELNS1_3repE0EEENS1_30default_config_static_selectorELNS0_4arch9wavefront6targetE0EEEvT1_,"axG",@progbits,_ZN7rocprim17ROCPRIM_400000_NS6detail17trampoline_kernelINS0_14default_configENS1_27scan_by_key_config_selectorIjjEEZZNS1_16scan_by_key_implILNS1_25lookback_scan_determinismE0ELb0ES3_N6thrust23THRUST_200600_302600_NS6detail15normal_iteratorINS9_10device_ptrIjEEEESE_SE_jNS9_4plusIvEENS9_8equal_toIvEEjEE10hipError_tPvRmT2_T3_T4_T5_mT6_T7_P12ihipStream_tbENKUlT_T0_E_clISt17integral_constantIbLb0EESZ_EEDaSU_SV_EUlSU_E_NS1_11comp_targetILNS1_3genE10ELNS1_11target_archE1200ELNS1_3gpuE4ELNS1_3repE0EEENS1_30default_config_static_selectorELNS0_4arch9wavefront6targetE0EEEvT1_,comdat
	.protected	_ZN7rocprim17ROCPRIM_400000_NS6detail17trampoline_kernelINS0_14default_configENS1_27scan_by_key_config_selectorIjjEEZZNS1_16scan_by_key_implILNS1_25lookback_scan_determinismE0ELb0ES3_N6thrust23THRUST_200600_302600_NS6detail15normal_iteratorINS9_10device_ptrIjEEEESE_SE_jNS9_4plusIvEENS9_8equal_toIvEEjEE10hipError_tPvRmT2_T3_T4_T5_mT6_T7_P12ihipStream_tbENKUlT_T0_E_clISt17integral_constantIbLb0EESZ_EEDaSU_SV_EUlSU_E_NS1_11comp_targetILNS1_3genE10ELNS1_11target_archE1200ELNS1_3gpuE4ELNS1_3repE0EEENS1_30default_config_static_selectorELNS0_4arch9wavefront6targetE0EEEvT1_ ; -- Begin function _ZN7rocprim17ROCPRIM_400000_NS6detail17trampoline_kernelINS0_14default_configENS1_27scan_by_key_config_selectorIjjEEZZNS1_16scan_by_key_implILNS1_25lookback_scan_determinismE0ELb0ES3_N6thrust23THRUST_200600_302600_NS6detail15normal_iteratorINS9_10device_ptrIjEEEESE_SE_jNS9_4plusIvEENS9_8equal_toIvEEjEE10hipError_tPvRmT2_T3_T4_T5_mT6_T7_P12ihipStream_tbENKUlT_T0_E_clISt17integral_constantIbLb0EESZ_EEDaSU_SV_EUlSU_E_NS1_11comp_targetILNS1_3genE10ELNS1_11target_archE1200ELNS1_3gpuE4ELNS1_3repE0EEENS1_30default_config_static_selectorELNS0_4arch9wavefront6targetE0EEEvT1_
	.globl	_ZN7rocprim17ROCPRIM_400000_NS6detail17trampoline_kernelINS0_14default_configENS1_27scan_by_key_config_selectorIjjEEZZNS1_16scan_by_key_implILNS1_25lookback_scan_determinismE0ELb0ES3_N6thrust23THRUST_200600_302600_NS6detail15normal_iteratorINS9_10device_ptrIjEEEESE_SE_jNS9_4plusIvEENS9_8equal_toIvEEjEE10hipError_tPvRmT2_T3_T4_T5_mT6_T7_P12ihipStream_tbENKUlT_T0_E_clISt17integral_constantIbLb0EESZ_EEDaSU_SV_EUlSU_E_NS1_11comp_targetILNS1_3genE10ELNS1_11target_archE1200ELNS1_3gpuE4ELNS1_3repE0EEENS1_30default_config_static_selectorELNS0_4arch9wavefront6targetE0EEEvT1_
	.p2align	8
	.type	_ZN7rocprim17ROCPRIM_400000_NS6detail17trampoline_kernelINS0_14default_configENS1_27scan_by_key_config_selectorIjjEEZZNS1_16scan_by_key_implILNS1_25lookback_scan_determinismE0ELb0ES3_N6thrust23THRUST_200600_302600_NS6detail15normal_iteratorINS9_10device_ptrIjEEEESE_SE_jNS9_4plusIvEENS9_8equal_toIvEEjEE10hipError_tPvRmT2_T3_T4_T5_mT6_T7_P12ihipStream_tbENKUlT_T0_E_clISt17integral_constantIbLb0EESZ_EEDaSU_SV_EUlSU_E_NS1_11comp_targetILNS1_3genE10ELNS1_11target_archE1200ELNS1_3gpuE4ELNS1_3repE0EEENS1_30default_config_static_selectorELNS0_4arch9wavefront6targetE0EEEvT1_,@function
_ZN7rocprim17ROCPRIM_400000_NS6detail17trampoline_kernelINS0_14default_configENS1_27scan_by_key_config_selectorIjjEEZZNS1_16scan_by_key_implILNS1_25lookback_scan_determinismE0ELb0ES3_N6thrust23THRUST_200600_302600_NS6detail15normal_iteratorINS9_10device_ptrIjEEEESE_SE_jNS9_4plusIvEENS9_8equal_toIvEEjEE10hipError_tPvRmT2_T3_T4_T5_mT6_T7_P12ihipStream_tbENKUlT_T0_E_clISt17integral_constantIbLb0EESZ_EEDaSU_SV_EUlSU_E_NS1_11comp_targetILNS1_3genE10ELNS1_11target_archE1200ELNS1_3gpuE4ELNS1_3repE0EEENS1_30default_config_static_selectorELNS0_4arch9wavefront6targetE0EEEvT1_: ; @_ZN7rocprim17ROCPRIM_400000_NS6detail17trampoline_kernelINS0_14default_configENS1_27scan_by_key_config_selectorIjjEEZZNS1_16scan_by_key_implILNS1_25lookback_scan_determinismE0ELb0ES3_N6thrust23THRUST_200600_302600_NS6detail15normal_iteratorINS9_10device_ptrIjEEEESE_SE_jNS9_4plusIvEENS9_8equal_toIvEEjEE10hipError_tPvRmT2_T3_T4_T5_mT6_T7_P12ihipStream_tbENKUlT_T0_E_clISt17integral_constantIbLb0EESZ_EEDaSU_SV_EUlSU_E_NS1_11comp_targetILNS1_3genE10ELNS1_11target_archE1200ELNS1_3gpuE4ELNS1_3repE0EEENS1_30default_config_static_selectorELNS0_4arch9wavefront6targetE0EEEvT1_
; %bb.0:
	.section	.rodata,"a",@progbits
	.p2align	6, 0x0
	.amdhsa_kernel _ZN7rocprim17ROCPRIM_400000_NS6detail17trampoline_kernelINS0_14default_configENS1_27scan_by_key_config_selectorIjjEEZZNS1_16scan_by_key_implILNS1_25lookback_scan_determinismE0ELb0ES3_N6thrust23THRUST_200600_302600_NS6detail15normal_iteratorINS9_10device_ptrIjEEEESE_SE_jNS9_4plusIvEENS9_8equal_toIvEEjEE10hipError_tPvRmT2_T3_T4_T5_mT6_T7_P12ihipStream_tbENKUlT_T0_E_clISt17integral_constantIbLb0EESZ_EEDaSU_SV_EUlSU_E_NS1_11comp_targetILNS1_3genE10ELNS1_11target_archE1200ELNS1_3gpuE4ELNS1_3repE0EEENS1_30default_config_static_selectorELNS0_4arch9wavefront6targetE0EEEvT1_
		.amdhsa_group_segment_fixed_size 0
		.amdhsa_private_segment_fixed_size 0
		.amdhsa_kernarg_size 112
		.amdhsa_user_sgpr_count 2
		.amdhsa_user_sgpr_dispatch_ptr 0
		.amdhsa_user_sgpr_queue_ptr 0
		.amdhsa_user_sgpr_kernarg_segment_ptr 1
		.amdhsa_user_sgpr_dispatch_id 0
		.amdhsa_user_sgpr_kernarg_preload_length 0
		.amdhsa_user_sgpr_kernarg_preload_offset 0
		.amdhsa_user_sgpr_private_segment_size 0
		.amdhsa_wavefront_size32 1
		.amdhsa_uses_dynamic_stack 0
		.amdhsa_enable_private_segment 0
		.amdhsa_system_sgpr_workgroup_id_x 1
		.amdhsa_system_sgpr_workgroup_id_y 0
		.amdhsa_system_sgpr_workgroup_id_z 0
		.amdhsa_system_sgpr_workgroup_info 0
		.amdhsa_system_vgpr_workitem_id 0
		.amdhsa_next_free_vgpr 1
		.amdhsa_next_free_sgpr 1
		.amdhsa_named_barrier_count 0
		.amdhsa_reserve_vcc 0
		.amdhsa_float_round_mode_32 0
		.amdhsa_float_round_mode_16_64 0
		.amdhsa_float_denorm_mode_32 3
		.amdhsa_float_denorm_mode_16_64 3
		.amdhsa_fp16_overflow 0
		.amdhsa_memory_ordered 1
		.amdhsa_forward_progress 1
		.amdhsa_inst_pref_size 0
		.amdhsa_round_robin_scheduling 0
		.amdhsa_exception_fp_ieee_invalid_op 0
		.amdhsa_exception_fp_denorm_src 0
		.amdhsa_exception_fp_ieee_div_zero 0
		.amdhsa_exception_fp_ieee_overflow 0
		.amdhsa_exception_fp_ieee_underflow 0
		.amdhsa_exception_fp_ieee_inexact 0
		.amdhsa_exception_int_div_zero 0
	.end_amdhsa_kernel
	.section	.text._ZN7rocprim17ROCPRIM_400000_NS6detail17trampoline_kernelINS0_14default_configENS1_27scan_by_key_config_selectorIjjEEZZNS1_16scan_by_key_implILNS1_25lookback_scan_determinismE0ELb0ES3_N6thrust23THRUST_200600_302600_NS6detail15normal_iteratorINS9_10device_ptrIjEEEESE_SE_jNS9_4plusIvEENS9_8equal_toIvEEjEE10hipError_tPvRmT2_T3_T4_T5_mT6_T7_P12ihipStream_tbENKUlT_T0_E_clISt17integral_constantIbLb0EESZ_EEDaSU_SV_EUlSU_E_NS1_11comp_targetILNS1_3genE10ELNS1_11target_archE1200ELNS1_3gpuE4ELNS1_3repE0EEENS1_30default_config_static_selectorELNS0_4arch9wavefront6targetE0EEEvT1_,"axG",@progbits,_ZN7rocprim17ROCPRIM_400000_NS6detail17trampoline_kernelINS0_14default_configENS1_27scan_by_key_config_selectorIjjEEZZNS1_16scan_by_key_implILNS1_25lookback_scan_determinismE0ELb0ES3_N6thrust23THRUST_200600_302600_NS6detail15normal_iteratorINS9_10device_ptrIjEEEESE_SE_jNS9_4plusIvEENS9_8equal_toIvEEjEE10hipError_tPvRmT2_T3_T4_T5_mT6_T7_P12ihipStream_tbENKUlT_T0_E_clISt17integral_constantIbLb0EESZ_EEDaSU_SV_EUlSU_E_NS1_11comp_targetILNS1_3genE10ELNS1_11target_archE1200ELNS1_3gpuE4ELNS1_3repE0EEENS1_30default_config_static_selectorELNS0_4arch9wavefront6targetE0EEEvT1_,comdat
.Lfunc_end1832:
	.size	_ZN7rocprim17ROCPRIM_400000_NS6detail17trampoline_kernelINS0_14default_configENS1_27scan_by_key_config_selectorIjjEEZZNS1_16scan_by_key_implILNS1_25lookback_scan_determinismE0ELb0ES3_N6thrust23THRUST_200600_302600_NS6detail15normal_iteratorINS9_10device_ptrIjEEEESE_SE_jNS9_4plusIvEENS9_8equal_toIvEEjEE10hipError_tPvRmT2_T3_T4_T5_mT6_T7_P12ihipStream_tbENKUlT_T0_E_clISt17integral_constantIbLb0EESZ_EEDaSU_SV_EUlSU_E_NS1_11comp_targetILNS1_3genE10ELNS1_11target_archE1200ELNS1_3gpuE4ELNS1_3repE0EEENS1_30default_config_static_selectorELNS0_4arch9wavefront6targetE0EEEvT1_, .Lfunc_end1832-_ZN7rocprim17ROCPRIM_400000_NS6detail17trampoline_kernelINS0_14default_configENS1_27scan_by_key_config_selectorIjjEEZZNS1_16scan_by_key_implILNS1_25lookback_scan_determinismE0ELb0ES3_N6thrust23THRUST_200600_302600_NS6detail15normal_iteratorINS9_10device_ptrIjEEEESE_SE_jNS9_4plusIvEENS9_8equal_toIvEEjEE10hipError_tPvRmT2_T3_T4_T5_mT6_T7_P12ihipStream_tbENKUlT_T0_E_clISt17integral_constantIbLb0EESZ_EEDaSU_SV_EUlSU_E_NS1_11comp_targetILNS1_3genE10ELNS1_11target_archE1200ELNS1_3gpuE4ELNS1_3repE0EEENS1_30default_config_static_selectorELNS0_4arch9wavefront6targetE0EEEvT1_
                                        ; -- End function
	.set _ZN7rocprim17ROCPRIM_400000_NS6detail17trampoline_kernelINS0_14default_configENS1_27scan_by_key_config_selectorIjjEEZZNS1_16scan_by_key_implILNS1_25lookback_scan_determinismE0ELb0ES3_N6thrust23THRUST_200600_302600_NS6detail15normal_iteratorINS9_10device_ptrIjEEEESE_SE_jNS9_4plusIvEENS9_8equal_toIvEEjEE10hipError_tPvRmT2_T3_T4_T5_mT6_T7_P12ihipStream_tbENKUlT_T0_E_clISt17integral_constantIbLb0EESZ_EEDaSU_SV_EUlSU_E_NS1_11comp_targetILNS1_3genE10ELNS1_11target_archE1200ELNS1_3gpuE4ELNS1_3repE0EEENS1_30default_config_static_selectorELNS0_4arch9wavefront6targetE0EEEvT1_.num_vgpr, 0
	.set _ZN7rocprim17ROCPRIM_400000_NS6detail17trampoline_kernelINS0_14default_configENS1_27scan_by_key_config_selectorIjjEEZZNS1_16scan_by_key_implILNS1_25lookback_scan_determinismE0ELb0ES3_N6thrust23THRUST_200600_302600_NS6detail15normal_iteratorINS9_10device_ptrIjEEEESE_SE_jNS9_4plusIvEENS9_8equal_toIvEEjEE10hipError_tPvRmT2_T3_T4_T5_mT6_T7_P12ihipStream_tbENKUlT_T0_E_clISt17integral_constantIbLb0EESZ_EEDaSU_SV_EUlSU_E_NS1_11comp_targetILNS1_3genE10ELNS1_11target_archE1200ELNS1_3gpuE4ELNS1_3repE0EEENS1_30default_config_static_selectorELNS0_4arch9wavefront6targetE0EEEvT1_.num_agpr, 0
	.set _ZN7rocprim17ROCPRIM_400000_NS6detail17trampoline_kernelINS0_14default_configENS1_27scan_by_key_config_selectorIjjEEZZNS1_16scan_by_key_implILNS1_25lookback_scan_determinismE0ELb0ES3_N6thrust23THRUST_200600_302600_NS6detail15normal_iteratorINS9_10device_ptrIjEEEESE_SE_jNS9_4plusIvEENS9_8equal_toIvEEjEE10hipError_tPvRmT2_T3_T4_T5_mT6_T7_P12ihipStream_tbENKUlT_T0_E_clISt17integral_constantIbLb0EESZ_EEDaSU_SV_EUlSU_E_NS1_11comp_targetILNS1_3genE10ELNS1_11target_archE1200ELNS1_3gpuE4ELNS1_3repE0EEENS1_30default_config_static_selectorELNS0_4arch9wavefront6targetE0EEEvT1_.numbered_sgpr, 0
	.set _ZN7rocprim17ROCPRIM_400000_NS6detail17trampoline_kernelINS0_14default_configENS1_27scan_by_key_config_selectorIjjEEZZNS1_16scan_by_key_implILNS1_25lookback_scan_determinismE0ELb0ES3_N6thrust23THRUST_200600_302600_NS6detail15normal_iteratorINS9_10device_ptrIjEEEESE_SE_jNS9_4plusIvEENS9_8equal_toIvEEjEE10hipError_tPvRmT2_T3_T4_T5_mT6_T7_P12ihipStream_tbENKUlT_T0_E_clISt17integral_constantIbLb0EESZ_EEDaSU_SV_EUlSU_E_NS1_11comp_targetILNS1_3genE10ELNS1_11target_archE1200ELNS1_3gpuE4ELNS1_3repE0EEENS1_30default_config_static_selectorELNS0_4arch9wavefront6targetE0EEEvT1_.num_named_barrier, 0
	.set _ZN7rocprim17ROCPRIM_400000_NS6detail17trampoline_kernelINS0_14default_configENS1_27scan_by_key_config_selectorIjjEEZZNS1_16scan_by_key_implILNS1_25lookback_scan_determinismE0ELb0ES3_N6thrust23THRUST_200600_302600_NS6detail15normal_iteratorINS9_10device_ptrIjEEEESE_SE_jNS9_4plusIvEENS9_8equal_toIvEEjEE10hipError_tPvRmT2_T3_T4_T5_mT6_T7_P12ihipStream_tbENKUlT_T0_E_clISt17integral_constantIbLb0EESZ_EEDaSU_SV_EUlSU_E_NS1_11comp_targetILNS1_3genE10ELNS1_11target_archE1200ELNS1_3gpuE4ELNS1_3repE0EEENS1_30default_config_static_selectorELNS0_4arch9wavefront6targetE0EEEvT1_.private_seg_size, 0
	.set _ZN7rocprim17ROCPRIM_400000_NS6detail17trampoline_kernelINS0_14default_configENS1_27scan_by_key_config_selectorIjjEEZZNS1_16scan_by_key_implILNS1_25lookback_scan_determinismE0ELb0ES3_N6thrust23THRUST_200600_302600_NS6detail15normal_iteratorINS9_10device_ptrIjEEEESE_SE_jNS9_4plusIvEENS9_8equal_toIvEEjEE10hipError_tPvRmT2_T3_T4_T5_mT6_T7_P12ihipStream_tbENKUlT_T0_E_clISt17integral_constantIbLb0EESZ_EEDaSU_SV_EUlSU_E_NS1_11comp_targetILNS1_3genE10ELNS1_11target_archE1200ELNS1_3gpuE4ELNS1_3repE0EEENS1_30default_config_static_selectorELNS0_4arch9wavefront6targetE0EEEvT1_.uses_vcc, 0
	.set _ZN7rocprim17ROCPRIM_400000_NS6detail17trampoline_kernelINS0_14default_configENS1_27scan_by_key_config_selectorIjjEEZZNS1_16scan_by_key_implILNS1_25lookback_scan_determinismE0ELb0ES3_N6thrust23THRUST_200600_302600_NS6detail15normal_iteratorINS9_10device_ptrIjEEEESE_SE_jNS9_4plusIvEENS9_8equal_toIvEEjEE10hipError_tPvRmT2_T3_T4_T5_mT6_T7_P12ihipStream_tbENKUlT_T0_E_clISt17integral_constantIbLb0EESZ_EEDaSU_SV_EUlSU_E_NS1_11comp_targetILNS1_3genE10ELNS1_11target_archE1200ELNS1_3gpuE4ELNS1_3repE0EEENS1_30default_config_static_selectorELNS0_4arch9wavefront6targetE0EEEvT1_.uses_flat_scratch, 0
	.set _ZN7rocprim17ROCPRIM_400000_NS6detail17trampoline_kernelINS0_14default_configENS1_27scan_by_key_config_selectorIjjEEZZNS1_16scan_by_key_implILNS1_25lookback_scan_determinismE0ELb0ES3_N6thrust23THRUST_200600_302600_NS6detail15normal_iteratorINS9_10device_ptrIjEEEESE_SE_jNS9_4plusIvEENS9_8equal_toIvEEjEE10hipError_tPvRmT2_T3_T4_T5_mT6_T7_P12ihipStream_tbENKUlT_T0_E_clISt17integral_constantIbLb0EESZ_EEDaSU_SV_EUlSU_E_NS1_11comp_targetILNS1_3genE10ELNS1_11target_archE1200ELNS1_3gpuE4ELNS1_3repE0EEENS1_30default_config_static_selectorELNS0_4arch9wavefront6targetE0EEEvT1_.has_dyn_sized_stack, 0
	.set _ZN7rocprim17ROCPRIM_400000_NS6detail17trampoline_kernelINS0_14default_configENS1_27scan_by_key_config_selectorIjjEEZZNS1_16scan_by_key_implILNS1_25lookback_scan_determinismE0ELb0ES3_N6thrust23THRUST_200600_302600_NS6detail15normal_iteratorINS9_10device_ptrIjEEEESE_SE_jNS9_4plusIvEENS9_8equal_toIvEEjEE10hipError_tPvRmT2_T3_T4_T5_mT6_T7_P12ihipStream_tbENKUlT_T0_E_clISt17integral_constantIbLb0EESZ_EEDaSU_SV_EUlSU_E_NS1_11comp_targetILNS1_3genE10ELNS1_11target_archE1200ELNS1_3gpuE4ELNS1_3repE0EEENS1_30default_config_static_selectorELNS0_4arch9wavefront6targetE0EEEvT1_.has_recursion, 0
	.set _ZN7rocprim17ROCPRIM_400000_NS6detail17trampoline_kernelINS0_14default_configENS1_27scan_by_key_config_selectorIjjEEZZNS1_16scan_by_key_implILNS1_25lookback_scan_determinismE0ELb0ES3_N6thrust23THRUST_200600_302600_NS6detail15normal_iteratorINS9_10device_ptrIjEEEESE_SE_jNS9_4plusIvEENS9_8equal_toIvEEjEE10hipError_tPvRmT2_T3_T4_T5_mT6_T7_P12ihipStream_tbENKUlT_T0_E_clISt17integral_constantIbLb0EESZ_EEDaSU_SV_EUlSU_E_NS1_11comp_targetILNS1_3genE10ELNS1_11target_archE1200ELNS1_3gpuE4ELNS1_3repE0EEENS1_30default_config_static_selectorELNS0_4arch9wavefront6targetE0EEEvT1_.has_indirect_call, 0
	.section	.AMDGPU.csdata,"",@progbits
; Kernel info:
; codeLenInByte = 0
; TotalNumSgprs: 0
; NumVgprs: 0
; ScratchSize: 0
; MemoryBound: 0
; FloatMode: 240
; IeeeMode: 1
; LDSByteSize: 0 bytes/workgroup (compile time only)
; SGPRBlocks: 0
; VGPRBlocks: 0
; NumSGPRsForWavesPerEU: 1
; NumVGPRsForWavesPerEU: 1
; NamedBarCnt: 0
; Occupancy: 16
; WaveLimiterHint : 0
; COMPUTE_PGM_RSRC2:SCRATCH_EN: 0
; COMPUTE_PGM_RSRC2:USER_SGPR: 2
; COMPUTE_PGM_RSRC2:TRAP_HANDLER: 0
; COMPUTE_PGM_RSRC2:TGID_X_EN: 1
; COMPUTE_PGM_RSRC2:TGID_Y_EN: 0
; COMPUTE_PGM_RSRC2:TGID_Z_EN: 0
; COMPUTE_PGM_RSRC2:TIDIG_COMP_CNT: 0
	.section	.text._ZN7rocprim17ROCPRIM_400000_NS6detail17trampoline_kernelINS0_14default_configENS1_27scan_by_key_config_selectorIjjEEZZNS1_16scan_by_key_implILNS1_25lookback_scan_determinismE0ELb0ES3_N6thrust23THRUST_200600_302600_NS6detail15normal_iteratorINS9_10device_ptrIjEEEESE_SE_jNS9_4plusIvEENS9_8equal_toIvEEjEE10hipError_tPvRmT2_T3_T4_T5_mT6_T7_P12ihipStream_tbENKUlT_T0_E_clISt17integral_constantIbLb0EESZ_EEDaSU_SV_EUlSU_E_NS1_11comp_targetILNS1_3genE9ELNS1_11target_archE1100ELNS1_3gpuE3ELNS1_3repE0EEENS1_30default_config_static_selectorELNS0_4arch9wavefront6targetE0EEEvT1_,"axG",@progbits,_ZN7rocprim17ROCPRIM_400000_NS6detail17trampoline_kernelINS0_14default_configENS1_27scan_by_key_config_selectorIjjEEZZNS1_16scan_by_key_implILNS1_25lookback_scan_determinismE0ELb0ES3_N6thrust23THRUST_200600_302600_NS6detail15normal_iteratorINS9_10device_ptrIjEEEESE_SE_jNS9_4plusIvEENS9_8equal_toIvEEjEE10hipError_tPvRmT2_T3_T4_T5_mT6_T7_P12ihipStream_tbENKUlT_T0_E_clISt17integral_constantIbLb0EESZ_EEDaSU_SV_EUlSU_E_NS1_11comp_targetILNS1_3genE9ELNS1_11target_archE1100ELNS1_3gpuE3ELNS1_3repE0EEENS1_30default_config_static_selectorELNS0_4arch9wavefront6targetE0EEEvT1_,comdat
	.protected	_ZN7rocprim17ROCPRIM_400000_NS6detail17trampoline_kernelINS0_14default_configENS1_27scan_by_key_config_selectorIjjEEZZNS1_16scan_by_key_implILNS1_25lookback_scan_determinismE0ELb0ES3_N6thrust23THRUST_200600_302600_NS6detail15normal_iteratorINS9_10device_ptrIjEEEESE_SE_jNS9_4plusIvEENS9_8equal_toIvEEjEE10hipError_tPvRmT2_T3_T4_T5_mT6_T7_P12ihipStream_tbENKUlT_T0_E_clISt17integral_constantIbLb0EESZ_EEDaSU_SV_EUlSU_E_NS1_11comp_targetILNS1_3genE9ELNS1_11target_archE1100ELNS1_3gpuE3ELNS1_3repE0EEENS1_30default_config_static_selectorELNS0_4arch9wavefront6targetE0EEEvT1_ ; -- Begin function _ZN7rocprim17ROCPRIM_400000_NS6detail17trampoline_kernelINS0_14default_configENS1_27scan_by_key_config_selectorIjjEEZZNS1_16scan_by_key_implILNS1_25lookback_scan_determinismE0ELb0ES3_N6thrust23THRUST_200600_302600_NS6detail15normal_iteratorINS9_10device_ptrIjEEEESE_SE_jNS9_4plusIvEENS9_8equal_toIvEEjEE10hipError_tPvRmT2_T3_T4_T5_mT6_T7_P12ihipStream_tbENKUlT_T0_E_clISt17integral_constantIbLb0EESZ_EEDaSU_SV_EUlSU_E_NS1_11comp_targetILNS1_3genE9ELNS1_11target_archE1100ELNS1_3gpuE3ELNS1_3repE0EEENS1_30default_config_static_selectorELNS0_4arch9wavefront6targetE0EEEvT1_
	.globl	_ZN7rocprim17ROCPRIM_400000_NS6detail17trampoline_kernelINS0_14default_configENS1_27scan_by_key_config_selectorIjjEEZZNS1_16scan_by_key_implILNS1_25lookback_scan_determinismE0ELb0ES3_N6thrust23THRUST_200600_302600_NS6detail15normal_iteratorINS9_10device_ptrIjEEEESE_SE_jNS9_4plusIvEENS9_8equal_toIvEEjEE10hipError_tPvRmT2_T3_T4_T5_mT6_T7_P12ihipStream_tbENKUlT_T0_E_clISt17integral_constantIbLb0EESZ_EEDaSU_SV_EUlSU_E_NS1_11comp_targetILNS1_3genE9ELNS1_11target_archE1100ELNS1_3gpuE3ELNS1_3repE0EEENS1_30default_config_static_selectorELNS0_4arch9wavefront6targetE0EEEvT1_
	.p2align	8
	.type	_ZN7rocprim17ROCPRIM_400000_NS6detail17trampoline_kernelINS0_14default_configENS1_27scan_by_key_config_selectorIjjEEZZNS1_16scan_by_key_implILNS1_25lookback_scan_determinismE0ELb0ES3_N6thrust23THRUST_200600_302600_NS6detail15normal_iteratorINS9_10device_ptrIjEEEESE_SE_jNS9_4plusIvEENS9_8equal_toIvEEjEE10hipError_tPvRmT2_T3_T4_T5_mT6_T7_P12ihipStream_tbENKUlT_T0_E_clISt17integral_constantIbLb0EESZ_EEDaSU_SV_EUlSU_E_NS1_11comp_targetILNS1_3genE9ELNS1_11target_archE1100ELNS1_3gpuE3ELNS1_3repE0EEENS1_30default_config_static_selectorELNS0_4arch9wavefront6targetE0EEEvT1_,@function
_ZN7rocprim17ROCPRIM_400000_NS6detail17trampoline_kernelINS0_14default_configENS1_27scan_by_key_config_selectorIjjEEZZNS1_16scan_by_key_implILNS1_25lookback_scan_determinismE0ELb0ES3_N6thrust23THRUST_200600_302600_NS6detail15normal_iteratorINS9_10device_ptrIjEEEESE_SE_jNS9_4plusIvEENS9_8equal_toIvEEjEE10hipError_tPvRmT2_T3_T4_T5_mT6_T7_P12ihipStream_tbENKUlT_T0_E_clISt17integral_constantIbLb0EESZ_EEDaSU_SV_EUlSU_E_NS1_11comp_targetILNS1_3genE9ELNS1_11target_archE1100ELNS1_3gpuE3ELNS1_3repE0EEENS1_30default_config_static_selectorELNS0_4arch9wavefront6targetE0EEEvT1_: ; @_ZN7rocprim17ROCPRIM_400000_NS6detail17trampoline_kernelINS0_14default_configENS1_27scan_by_key_config_selectorIjjEEZZNS1_16scan_by_key_implILNS1_25lookback_scan_determinismE0ELb0ES3_N6thrust23THRUST_200600_302600_NS6detail15normal_iteratorINS9_10device_ptrIjEEEESE_SE_jNS9_4plusIvEENS9_8equal_toIvEEjEE10hipError_tPvRmT2_T3_T4_T5_mT6_T7_P12ihipStream_tbENKUlT_T0_E_clISt17integral_constantIbLb0EESZ_EEDaSU_SV_EUlSU_E_NS1_11comp_targetILNS1_3genE9ELNS1_11target_archE1100ELNS1_3gpuE3ELNS1_3repE0EEENS1_30default_config_static_selectorELNS0_4arch9wavefront6targetE0EEEvT1_
; %bb.0:
	.section	.rodata,"a",@progbits
	.p2align	6, 0x0
	.amdhsa_kernel _ZN7rocprim17ROCPRIM_400000_NS6detail17trampoline_kernelINS0_14default_configENS1_27scan_by_key_config_selectorIjjEEZZNS1_16scan_by_key_implILNS1_25lookback_scan_determinismE0ELb0ES3_N6thrust23THRUST_200600_302600_NS6detail15normal_iteratorINS9_10device_ptrIjEEEESE_SE_jNS9_4plusIvEENS9_8equal_toIvEEjEE10hipError_tPvRmT2_T3_T4_T5_mT6_T7_P12ihipStream_tbENKUlT_T0_E_clISt17integral_constantIbLb0EESZ_EEDaSU_SV_EUlSU_E_NS1_11comp_targetILNS1_3genE9ELNS1_11target_archE1100ELNS1_3gpuE3ELNS1_3repE0EEENS1_30default_config_static_selectorELNS0_4arch9wavefront6targetE0EEEvT1_
		.amdhsa_group_segment_fixed_size 0
		.amdhsa_private_segment_fixed_size 0
		.amdhsa_kernarg_size 112
		.amdhsa_user_sgpr_count 2
		.amdhsa_user_sgpr_dispatch_ptr 0
		.amdhsa_user_sgpr_queue_ptr 0
		.amdhsa_user_sgpr_kernarg_segment_ptr 1
		.amdhsa_user_sgpr_dispatch_id 0
		.amdhsa_user_sgpr_kernarg_preload_length 0
		.amdhsa_user_sgpr_kernarg_preload_offset 0
		.amdhsa_user_sgpr_private_segment_size 0
		.amdhsa_wavefront_size32 1
		.amdhsa_uses_dynamic_stack 0
		.amdhsa_enable_private_segment 0
		.amdhsa_system_sgpr_workgroup_id_x 1
		.amdhsa_system_sgpr_workgroup_id_y 0
		.amdhsa_system_sgpr_workgroup_id_z 0
		.amdhsa_system_sgpr_workgroup_info 0
		.amdhsa_system_vgpr_workitem_id 0
		.amdhsa_next_free_vgpr 1
		.amdhsa_next_free_sgpr 1
		.amdhsa_named_barrier_count 0
		.amdhsa_reserve_vcc 0
		.amdhsa_float_round_mode_32 0
		.amdhsa_float_round_mode_16_64 0
		.amdhsa_float_denorm_mode_32 3
		.amdhsa_float_denorm_mode_16_64 3
		.amdhsa_fp16_overflow 0
		.amdhsa_memory_ordered 1
		.amdhsa_forward_progress 1
		.amdhsa_inst_pref_size 0
		.amdhsa_round_robin_scheduling 0
		.amdhsa_exception_fp_ieee_invalid_op 0
		.amdhsa_exception_fp_denorm_src 0
		.amdhsa_exception_fp_ieee_div_zero 0
		.amdhsa_exception_fp_ieee_overflow 0
		.amdhsa_exception_fp_ieee_underflow 0
		.amdhsa_exception_fp_ieee_inexact 0
		.amdhsa_exception_int_div_zero 0
	.end_amdhsa_kernel
	.section	.text._ZN7rocprim17ROCPRIM_400000_NS6detail17trampoline_kernelINS0_14default_configENS1_27scan_by_key_config_selectorIjjEEZZNS1_16scan_by_key_implILNS1_25lookback_scan_determinismE0ELb0ES3_N6thrust23THRUST_200600_302600_NS6detail15normal_iteratorINS9_10device_ptrIjEEEESE_SE_jNS9_4plusIvEENS9_8equal_toIvEEjEE10hipError_tPvRmT2_T3_T4_T5_mT6_T7_P12ihipStream_tbENKUlT_T0_E_clISt17integral_constantIbLb0EESZ_EEDaSU_SV_EUlSU_E_NS1_11comp_targetILNS1_3genE9ELNS1_11target_archE1100ELNS1_3gpuE3ELNS1_3repE0EEENS1_30default_config_static_selectorELNS0_4arch9wavefront6targetE0EEEvT1_,"axG",@progbits,_ZN7rocprim17ROCPRIM_400000_NS6detail17trampoline_kernelINS0_14default_configENS1_27scan_by_key_config_selectorIjjEEZZNS1_16scan_by_key_implILNS1_25lookback_scan_determinismE0ELb0ES3_N6thrust23THRUST_200600_302600_NS6detail15normal_iteratorINS9_10device_ptrIjEEEESE_SE_jNS9_4plusIvEENS9_8equal_toIvEEjEE10hipError_tPvRmT2_T3_T4_T5_mT6_T7_P12ihipStream_tbENKUlT_T0_E_clISt17integral_constantIbLb0EESZ_EEDaSU_SV_EUlSU_E_NS1_11comp_targetILNS1_3genE9ELNS1_11target_archE1100ELNS1_3gpuE3ELNS1_3repE0EEENS1_30default_config_static_selectorELNS0_4arch9wavefront6targetE0EEEvT1_,comdat
.Lfunc_end1833:
	.size	_ZN7rocprim17ROCPRIM_400000_NS6detail17trampoline_kernelINS0_14default_configENS1_27scan_by_key_config_selectorIjjEEZZNS1_16scan_by_key_implILNS1_25lookback_scan_determinismE0ELb0ES3_N6thrust23THRUST_200600_302600_NS6detail15normal_iteratorINS9_10device_ptrIjEEEESE_SE_jNS9_4plusIvEENS9_8equal_toIvEEjEE10hipError_tPvRmT2_T3_T4_T5_mT6_T7_P12ihipStream_tbENKUlT_T0_E_clISt17integral_constantIbLb0EESZ_EEDaSU_SV_EUlSU_E_NS1_11comp_targetILNS1_3genE9ELNS1_11target_archE1100ELNS1_3gpuE3ELNS1_3repE0EEENS1_30default_config_static_selectorELNS0_4arch9wavefront6targetE0EEEvT1_, .Lfunc_end1833-_ZN7rocprim17ROCPRIM_400000_NS6detail17trampoline_kernelINS0_14default_configENS1_27scan_by_key_config_selectorIjjEEZZNS1_16scan_by_key_implILNS1_25lookback_scan_determinismE0ELb0ES3_N6thrust23THRUST_200600_302600_NS6detail15normal_iteratorINS9_10device_ptrIjEEEESE_SE_jNS9_4plusIvEENS9_8equal_toIvEEjEE10hipError_tPvRmT2_T3_T4_T5_mT6_T7_P12ihipStream_tbENKUlT_T0_E_clISt17integral_constantIbLb0EESZ_EEDaSU_SV_EUlSU_E_NS1_11comp_targetILNS1_3genE9ELNS1_11target_archE1100ELNS1_3gpuE3ELNS1_3repE0EEENS1_30default_config_static_selectorELNS0_4arch9wavefront6targetE0EEEvT1_
                                        ; -- End function
	.set _ZN7rocprim17ROCPRIM_400000_NS6detail17trampoline_kernelINS0_14default_configENS1_27scan_by_key_config_selectorIjjEEZZNS1_16scan_by_key_implILNS1_25lookback_scan_determinismE0ELb0ES3_N6thrust23THRUST_200600_302600_NS6detail15normal_iteratorINS9_10device_ptrIjEEEESE_SE_jNS9_4plusIvEENS9_8equal_toIvEEjEE10hipError_tPvRmT2_T3_T4_T5_mT6_T7_P12ihipStream_tbENKUlT_T0_E_clISt17integral_constantIbLb0EESZ_EEDaSU_SV_EUlSU_E_NS1_11comp_targetILNS1_3genE9ELNS1_11target_archE1100ELNS1_3gpuE3ELNS1_3repE0EEENS1_30default_config_static_selectorELNS0_4arch9wavefront6targetE0EEEvT1_.num_vgpr, 0
	.set _ZN7rocprim17ROCPRIM_400000_NS6detail17trampoline_kernelINS0_14default_configENS1_27scan_by_key_config_selectorIjjEEZZNS1_16scan_by_key_implILNS1_25lookback_scan_determinismE0ELb0ES3_N6thrust23THRUST_200600_302600_NS6detail15normal_iteratorINS9_10device_ptrIjEEEESE_SE_jNS9_4plusIvEENS9_8equal_toIvEEjEE10hipError_tPvRmT2_T3_T4_T5_mT6_T7_P12ihipStream_tbENKUlT_T0_E_clISt17integral_constantIbLb0EESZ_EEDaSU_SV_EUlSU_E_NS1_11comp_targetILNS1_3genE9ELNS1_11target_archE1100ELNS1_3gpuE3ELNS1_3repE0EEENS1_30default_config_static_selectorELNS0_4arch9wavefront6targetE0EEEvT1_.num_agpr, 0
	.set _ZN7rocprim17ROCPRIM_400000_NS6detail17trampoline_kernelINS0_14default_configENS1_27scan_by_key_config_selectorIjjEEZZNS1_16scan_by_key_implILNS1_25lookback_scan_determinismE0ELb0ES3_N6thrust23THRUST_200600_302600_NS6detail15normal_iteratorINS9_10device_ptrIjEEEESE_SE_jNS9_4plusIvEENS9_8equal_toIvEEjEE10hipError_tPvRmT2_T3_T4_T5_mT6_T7_P12ihipStream_tbENKUlT_T0_E_clISt17integral_constantIbLb0EESZ_EEDaSU_SV_EUlSU_E_NS1_11comp_targetILNS1_3genE9ELNS1_11target_archE1100ELNS1_3gpuE3ELNS1_3repE0EEENS1_30default_config_static_selectorELNS0_4arch9wavefront6targetE0EEEvT1_.numbered_sgpr, 0
	.set _ZN7rocprim17ROCPRIM_400000_NS6detail17trampoline_kernelINS0_14default_configENS1_27scan_by_key_config_selectorIjjEEZZNS1_16scan_by_key_implILNS1_25lookback_scan_determinismE0ELb0ES3_N6thrust23THRUST_200600_302600_NS6detail15normal_iteratorINS9_10device_ptrIjEEEESE_SE_jNS9_4plusIvEENS9_8equal_toIvEEjEE10hipError_tPvRmT2_T3_T4_T5_mT6_T7_P12ihipStream_tbENKUlT_T0_E_clISt17integral_constantIbLb0EESZ_EEDaSU_SV_EUlSU_E_NS1_11comp_targetILNS1_3genE9ELNS1_11target_archE1100ELNS1_3gpuE3ELNS1_3repE0EEENS1_30default_config_static_selectorELNS0_4arch9wavefront6targetE0EEEvT1_.num_named_barrier, 0
	.set _ZN7rocprim17ROCPRIM_400000_NS6detail17trampoline_kernelINS0_14default_configENS1_27scan_by_key_config_selectorIjjEEZZNS1_16scan_by_key_implILNS1_25lookback_scan_determinismE0ELb0ES3_N6thrust23THRUST_200600_302600_NS6detail15normal_iteratorINS9_10device_ptrIjEEEESE_SE_jNS9_4plusIvEENS9_8equal_toIvEEjEE10hipError_tPvRmT2_T3_T4_T5_mT6_T7_P12ihipStream_tbENKUlT_T0_E_clISt17integral_constantIbLb0EESZ_EEDaSU_SV_EUlSU_E_NS1_11comp_targetILNS1_3genE9ELNS1_11target_archE1100ELNS1_3gpuE3ELNS1_3repE0EEENS1_30default_config_static_selectorELNS0_4arch9wavefront6targetE0EEEvT1_.private_seg_size, 0
	.set _ZN7rocprim17ROCPRIM_400000_NS6detail17trampoline_kernelINS0_14default_configENS1_27scan_by_key_config_selectorIjjEEZZNS1_16scan_by_key_implILNS1_25lookback_scan_determinismE0ELb0ES3_N6thrust23THRUST_200600_302600_NS6detail15normal_iteratorINS9_10device_ptrIjEEEESE_SE_jNS9_4plusIvEENS9_8equal_toIvEEjEE10hipError_tPvRmT2_T3_T4_T5_mT6_T7_P12ihipStream_tbENKUlT_T0_E_clISt17integral_constantIbLb0EESZ_EEDaSU_SV_EUlSU_E_NS1_11comp_targetILNS1_3genE9ELNS1_11target_archE1100ELNS1_3gpuE3ELNS1_3repE0EEENS1_30default_config_static_selectorELNS0_4arch9wavefront6targetE0EEEvT1_.uses_vcc, 0
	.set _ZN7rocprim17ROCPRIM_400000_NS6detail17trampoline_kernelINS0_14default_configENS1_27scan_by_key_config_selectorIjjEEZZNS1_16scan_by_key_implILNS1_25lookback_scan_determinismE0ELb0ES3_N6thrust23THRUST_200600_302600_NS6detail15normal_iteratorINS9_10device_ptrIjEEEESE_SE_jNS9_4plusIvEENS9_8equal_toIvEEjEE10hipError_tPvRmT2_T3_T4_T5_mT6_T7_P12ihipStream_tbENKUlT_T0_E_clISt17integral_constantIbLb0EESZ_EEDaSU_SV_EUlSU_E_NS1_11comp_targetILNS1_3genE9ELNS1_11target_archE1100ELNS1_3gpuE3ELNS1_3repE0EEENS1_30default_config_static_selectorELNS0_4arch9wavefront6targetE0EEEvT1_.uses_flat_scratch, 0
	.set _ZN7rocprim17ROCPRIM_400000_NS6detail17trampoline_kernelINS0_14default_configENS1_27scan_by_key_config_selectorIjjEEZZNS1_16scan_by_key_implILNS1_25lookback_scan_determinismE0ELb0ES3_N6thrust23THRUST_200600_302600_NS6detail15normal_iteratorINS9_10device_ptrIjEEEESE_SE_jNS9_4plusIvEENS9_8equal_toIvEEjEE10hipError_tPvRmT2_T3_T4_T5_mT6_T7_P12ihipStream_tbENKUlT_T0_E_clISt17integral_constantIbLb0EESZ_EEDaSU_SV_EUlSU_E_NS1_11comp_targetILNS1_3genE9ELNS1_11target_archE1100ELNS1_3gpuE3ELNS1_3repE0EEENS1_30default_config_static_selectorELNS0_4arch9wavefront6targetE0EEEvT1_.has_dyn_sized_stack, 0
	.set _ZN7rocprim17ROCPRIM_400000_NS6detail17trampoline_kernelINS0_14default_configENS1_27scan_by_key_config_selectorIjjEEZZNS1_16scan_by_key_implILNS1_25lookback_scan_determinismE0ELb0ES3_N6thrust23THRUST_200600_302600_NS6detail15normal_iteratorINS9_10device_ptrIjEEEESE_SE_jNS9_4plusIvEENS9_8equal_toIvEEjEE10hipError_tPvRmT2_T3_T4_T5_mT6_T7_P12ihipStream_tbENKUlT_T0_E_clISt17integral_constantIbLb0EESZ_EEDaSU_SV_EUlSU_E_NS1_11comp_targetILNS1_3genE9ELNS1_11target_archE1100ELNS1_3gpuE3ELNS1_3repE0EEENS1_30default_config_static_selectorELNS0_4arch9wavefront6targetE0EEEvT1_.has_recursion, 0
	.set _ZN7rocprim17ROCPRIM_400000_NS6detail17trampoline_kernelINS0_14default_configENS1_27scan_by_key_config_selectorIjjEEZZNS1_16scan_by_key_implILNS1_25lookback_scan_determinismE0ELb0ES3_N6thrust23THRUST_200600_302600_NS6detail15normal_iteratorINS9_10device_ptrIjEEEESE_SE_jNS9_4plusIvEENS9_8equal_toIvEEjEE10hipError_tPvRmT2_T3_T4_T5_mT6_T7_P12ihipStream_tbENKUlT_T0_E_clISt17integral_constantIbLb0EESZ_EEDaSU_SV_EUlSU_E_NS1_11comp_targetILNS1_3genE9ELNS1_11target_archE1100ELNS1_3gpuE3ELNS1_3repE0EEENS1_30default_config_static_selectorELNS0_4arch9wavefront6targetE0EEEvT1_.has_indirect_call, 0
	.section	.AMDGPU.csdata,"",@progbits
; Kernel info:
; codeLenInByte = 0
; TotalNumSgprs: 0
; NumVgprs: 0
; ScratchSize: 0
; MemoryBound: 0
; FloatMode: 240
; IeeeMode: 1
; LDSByteSize: 0 bytes/workgroup (compile time only)
; SGPRBlocks: 0
; VGPRBlocks: 0
; NumSGPRsForWavesPerEU: 1
; NumVGPRsForWavesPerEU: 1
; NamedBarCnt: 0
; Occupancy: 16
; WaveLimiterHint : 0
; COMPUTE_PGM_RSRC2:SCRATCH_EN: 0
; COMPUTE_PGM_RSRC2:USER_SGPR: 2
; COMPUTE_PGM_RSRC2:TRAP_HANDLER: 0
; COMPUTE_PGM_RSRC2:TGID_X_EN: 1
; COMPUTE_PGM_RSRC2:TGID_Y_EN: 0
; COMPUTE_PGM_RSRC2:TGID_Z_EN: 0
; COMPUTE_PGM_RSRC2:TIDIG_COMP_CNT: 0
	.section	.text._ZN7rocprim17ROCPRIM_400000_NS6detail17trampoline_kernelINS0_14default_configENS1_27scan_by_key_config_selectorIjjEEZZNS1_16scan_by_key_implILNS1_25lookback_scan_determinismE0ELb0ES3_N6thrust23THRUST_200600_302600_NS6detail15normal_iteratorINS9_10device_ptrIjEEEESE_SE_jNS9_4plusIvEENS9_8equal_toIvEEjEE10hipError_tPvRmT2_T3_T4_T5_mT6_T7_P12ihipStream_tbENKUlT_T0_E_clISt17integral_constantIbLb0EESZ_EEDaSU_SV_EUlSU_E_NS1_11comp_targetILNS1_3genE8ELNS1_11target_archE1030ELNS1_3gpuE2ELNS1_3repE0EEENS1_30default_config_static_selectorELNS0_4arch9wavefront6targetE0EEEvT1_,"axG",@progbits,_ZN7rocprim17ROCPRIM_400000_NS6detail17trampoline_kernelINS0_14default_configENS1_27scan_by_key_config_selectorIjjEEZZNS1_16scan_by_key_implILNS1_25lookback_scan_determinismE0ELb0ES3_N6thrust23THRUST_200600_302600_NS6detail15normal_iteratorINS9_10device_ptrIjEEEESE_SE_jNS9_4plusIvEENS9_8equal_toIvEEjEE10hipError_tPvRmT2_T3_T4_T5_mT6_T7_P12ihipStream_tbENKUlT_T0_E_clISt17integral_constantIbLb0EESZ_EEDaSU_SV_EUlSU_E_NS1_11comp_targetILNS1_3genE8ELNS1_11target_archE1030ELNS1_3gpuE2ELNS1_3repE0EEENS1_30default_config_static_selectorELNS0_4arch9wavefront6targetE0EEEvT1_,comdat
	.protected	_ZN7rocprim17ROCPRIM_400000_NS6detail17trampoline_kernelINS0_14default_configENS1_27scan_by_key_config_selectorIjjEEZZNS1_16scan_by_key_implILNS1_25lookback_scan_determinismE0ELb0ES3_N6thrust23THRUST_200600_302600_NS6detail15normal_iteratorINS9_10device_ptrIjEEEESE_SE_jNS9_4plusIvEENS9_8equal_toIvEEjEE10hipError_tPvRmT2_T3_T4_T5_mT6_T7_P12ihipStream_tbENKUlT_T0_E_clISt17integral_constantIbLb0EESZ_EEDaSU_SV_EUlSU_E_NS1_11comp_targetILNS1_3genE8ELNS1_11target_archE1030ELNS1_3gpuE2ELNS1_3repE0EEENS1_30default_config_static_selectorELNS0_4arch9wavefront6targetE0EEEvT1_ ; -- Begin function _ZN7rocprim17ROCPRIM_400000_NS6detail17trampoline_kernelINS0_14default_configENS1_27scan_by_key_config_selectorIjjEEZZNS1_16scan_by_key_implILNS1_25lookback_scan_determinismE0ELb0ES3_N6thrust23THRUST_200600_302600_NS6detail15normal_iteratorINS9_10device_ptrIjEEEESE_SE_jNS9_4plusIvEENS9_8equal_toIvEEjEE10hipError_tPvRmT2_T3_T4_T5_mT6_T7_P12ihipStream_tbENKUlT_T0_E_clISt17integral_constantIbLb0EESZ_EEDaSU_SV_EUlSU_E_NS1_11comp_targetILNS1_3genE8ELNS1_11target_archE1030ELNS1_3gpuE2ELNS1_3repE0EEENS1_30default_config_static_selectorELNS0_4arch9wavefront6targetE0EEEvT1_
	.globl	_ZN7rocprim17ROCPRIM_400000_NS6detail17trampoline_kernelINS0_14default_configENS1_27scan_by_key_config_selectorIjjEEZZNS1_16scan_by_key_implILNS1_25lookback_scan_determinismE0ELb0ES3_N6thrust23THRUST_200600_302600_NS6detail15normal_iteratorINS9_10device_ptrIjEEEESE_SE_jNS9_4plusIvEENS9_8equal_toIvEEjEE10hipError_tPvRmT2_T3_T4_T5_mT6_T7_P12ihipStream_tbENKUlT_T0_E_clISt17integral_constantIbLb0EESZ_EEDaSU_SV_EUlSU_E_NS1_11comp_targetILNS1_3genE8ELNS1_11target_archE1030ELNS1_3gpuE2ELNS1_3repE0EEENS1_30default_config_static_selectorELNS0_4arch9wavefront6targetE0EEEvT1_
	.p2align	8
	.type	_ZN7rocprim17ROCPRIM_400000_NS6detail17trampoline_kernelINS0_14default_configENS1_27scan_by_key_config_selectorIjjEEZZNS1_16scan_by_key_implILNS1_25lookback_scan_determinismE0ELb0ES3_N6thrust23THRUST_200600_302600_NS6detail15normal_iteratorINS9_10device_ptrIjEEEESE_SE_jNS9_4plusIvEENS9_8equal_toIvEEjEE10hipError_tPvRmT2_T3_T4_T5_mT6_T7_P12ihipStream_tbENKUlT_T0_E_clISt17integral_constantIbLb0EESZ_EEDaSU_SV_EUlSU_E_NS1_11comp_targetILNS1_3genE8ELNS1_11target_archE1030ELNS1_3gpuE2ELNS1_3repE0EEENS1_30default_config_static_selectorELNS0_4arch9wavefront6targetE0EEEvT1_,@function
_ZN7rocprim17ROCPRIM_400000_NS6detail17trampoline_kernelINS0_14default_configENS1_27scan_by_key_config_selectorIjjEEZZNS1_16scan_by_key_implILNS1_25lookback_scan_determinismE0ELb0ES3_N6thrust23THRUST_200600_302600_NS6detail15normal_iteratorINS9_10device_ptrIjEEEESE_SE_jNS9_4plusIvEENS9_8equal_toIvEEjEE10hipError_tPvRmT2_T3_T4_T5_mT6_T7_P12ihipStream_tbENKUlT_T0_E_clISt17integral_constantIbLb0EESZ_EEDaSU_SV_EUlSU_E_NS1_11comp_targetILNS1_3genE8ELNS1_11target_archE1030ELNS1_3gpuE2ELNS1_3repE0EEENS1_30default_config_static_selectorELNS0_4arch9wavefront6targetE0EEEvT1_: ; @_ZN7rocprim17ROCPRIM_400000_NS6detail17trampoline_kernelINS0_14default_configENS1_27scan_by_key_config_selectorIjjEEZZNS1_16scan_by_key_implILNS1_25lookback_scan_determinismE0ELb0ES3_N6thrust23THRUST_200600_302600_NS6detail15normal_iteratorINS9_10device_ptrIjEEEESE_SE_jNS9_4plusIvEENS9_8equal_toIvEEjEE10hipError_tPvRmT2_T3_T4_T5_mT6_T7_P12ihipStream_tbENKUlT_T0_E_clISt17integral_constantIbLb0EESZ_EEDaSU_SV_EUlSU_E_NS1_11comp_targetILNS1_3genE8ELNS1_11target_archE1030ELNS1_3gpuE2ELNS1_3repE0EEENS1_30default_config_static_selectorELNS0_4arch9wavefront6targetE0EEEvT1_
; %bb.0:
	.section	.rodata,"a",@progbits
	.p2align	6, 0x0
	.amdhsa_kernel _ZN7rocprim17ROCPRIM_400000_NS6detail17trampoline_kernelINS0_14default_configENS1_27scan_by_key_config_selectorIjjEEZZNS1_16scan_by_key_implILNS1_25lookback_scan_determinismE0ELb0ES3_N6thrust23THRUST_200600_302600_NS6detail15normal_iteratorINS9_10device_ptrIjEEEESE_SE_jNS9_4plusIvEENS9_8equal_toIvEEjEE10hipError_tPvRmT2_T3_T4_T5_mT6_T7_P12ihipStream_tbENKUlT_T0_E_clISt17integral_constantIbLb0EESZ_EEDaSU_SV_EUlSU_E_NS1_11comp_targetILNS1_3genE8ELNS1_11target_archE1030ELNS1_3gpuE2ELNS1_3repE0EEENS1_30default_config_static_selectorELNS0_4arch9wavefront6targetE0EEEvT1_
		.amdhsa_group_segment_fixed_size 0
		.amdhsa_private_segment_fixed_size 0
		.amdhsa_kernarg_size 112
		.amdhsa_user_sgpr_count 2
		.amdhsa_user_sgpr_dispatch_ptr 0
		.amdhsa_user_sgpr_queue_ptr 0
		.amdhsa_user_sgpr_kernarg_segment_ptr 1
		.amdhsa_user_sgpr_dispatch_id 0
		.amdhsa_user_sgpr_kernarg_preload_length 0
		.amdhsa_user_sgpr_kernarg_preload_offset 0
		.amdhsa_user_sgpr_private_segment_size 0
		.amdhsa_wavefront_size32 1
		.amdhsa_uses_dynamic_stack 0
		.amdhsa_enable_private_segment 0
		.amdhsa_system_sgpr_workgroup_id_x 1
		.amdhsa_system_sgpr_workgroup_id_y 0
		.amdhsa_system_sgpr_workgroup_id_z 0
		.amdhsa_system_sgpr_workgroup_info 0
		.amdhsa_system_vgpr_workitem_id 0
		.amdhsa_next_free_vgpr 1
		.amdhsa_next_free_sgpr 1
		.amdhsa_named_barrier_count 0
		.amdhsa_reserve_vcc 0
		.amdhsa_float_round_mode_32 0
		.amdhsa_float_round_mode_16_64 0
		.amdhsa_float_denorm_mode_32 3
		.amdhsa_float_denorm_mode_16_64 3
		.amdhsa_fp16_overflow 0
		.amdhsa_memory_ordered 1
		.amdhsa_forward_progress 1
		.amdhsa_inst_pref_size 0
		.amdhsa_round_robin_scheduling 0
		.amdhsa_exception_fp_ieee_invalid_op 0
		.amdhsa_exception_fp_denorm_src 0
		.amdhsa_exception_fp_ieee_div_zero 0
		.amdhsa_exception_fp_ieee_overflow 0
		.amdhsa_exception_fp_ieee_underflow 0
		.amdhsa_exception_fp_ieee_inexact 0
		.amdhsa_exception_int_div_zero 0
	.end_amdhsa_kernel
	.section	.text._ZN7rocprim17ROCPRIM_400000_NS6detail17trampoline_kernelINS0_14default_configENS1_27scan_by_key_config_selectorIjjEEZZNS1_16scan_by_key_implILNS1_25lookback_scan_determinismE0ELb0ES3_N6thrust23THRUST_200600_302600_NS6detail15normal_iteratorINS9_10device_ptrIjEEEESE_SE_jNS9_4plusIvEENS9_8equal_toIvEEjEE10hipError_tPvRmT2_T3_T4_T5_mT6_T7_P12ihipStream_tbENKUlT_T0_E_clISt17integral_constantIbLb0EESZ_EEDaSU_SV_EUlSU_E_NS1_11comp_targetILNS1_3genE8ELNS1_11target_archE1030ELNS1_3gpuE2ELNS1_3repE0EEENS1_30default_config_static_selectorELNS0_4arch9wavefront6targetE0EEEvT1_,"axG",@progbits,_ZN7rocprim17ROCPRIM_400000_NS6detail17trampoline_kernelINS0_14default_configENS1_27scan_by_key_config_selectorIjjEEZZNS1_16scan_by_key_implILNS1_25lookback_scan_determinismE0ELb0ES3_N6thrust23THRUST_200600_302600_NS6detail15normal_iteratorINS9_10device_ptrIjEEEESE_SE_jNS9_4plusIvEENS9_8equal_toIvEEjEE10hipError_tPvRmT2_T3_T4_T5_mT6_T7_P12ihipStream_tbENKUlT_T0_E_clISt17integral_constantIbLb0EESZ_EEDaSU_SV_EUlSU_E_NS1_11comp_targetILNS1_3genE8ELNS1_11target_archE1030ELNS1_3gpuE2ELNS1_3repE0EEENS1_30default_config_static_selectorELNS0_4arch9wavefront6targetE0EEEvT1_,comdat
.Lfunc_end1834:
	.size	_ZN7rocprim17ROCPRIM_400000_NS6detail17trampoline_kernelINS0_14default_configENS1_27scan_by_key_config_selectorIjjEEZZNS1_16scan_by_key_implILNS1_25lookback_scan_determinismE0ELb0ES3_N6thrust23THRUST_200600_302600_NS6detail15normal_iteratorINS9_10device_ptrIjEEEESE_SE_jNS9_4plusIvEENS9_8equal_toIvEEjEE10hipError_tPvRmT2_T3_T4_T5_mT6_T7_P12ihipStream_tbENKUlT_T0_E_clISt17integral_constantIbLb0EESZ_EEDaSU_SV_EUlSU_E_NS1_11comp_targetILNS1_3genE8ELNS1_11target_archE1030ELNS1_3gpuE2ELNS1_3repE0EEENS1_30default_config_static_selectorELNS0_4arch9wavefront6targetE0EEEvT1_, .Lfunc_end1834-_ZN7rocprim17ROCPRIM_400000_NS6detail17trampoline_kernelINS0_14default_configENS1_27scan_by_key_config_selectorIjjEEZZNS1_16scan_by_key_implILNS1_25lookback_scan_determinismE0ELb0ES3_N6thrust23THRUST_200600_302600_NS6detail15normal_iteratorINS9_10device_ptrIjEEEESE_SE_jNS9_4plusIvEENS9_8equal_toIvEEjEE10hipError_tPvRmT2_T3_T4_T5_mT6_T7_P12ihipStream_tbENKUlT_T0_E_clISt17integral_constantIbLb0EESZ_EEDaSU_SV_EUlSU_E_NS1_11comp_targetILNS1_3genE8ELNS1_11target_archE1030ELNS1_3gpuE2ELNS1_3repE0EEENS1_30default_config_static_selectorELNS0_4arch9wavefront6targetE0EEEvT1_
                                        ; -- End function
	.set _ZN7rocprim17ROCPRIM_400000_NS6detail17trampoline_kernelINS0_14default_configENS1_27scan_by_key_config_selectorIjjEEZZNS1_16scan_by_key_implILNS1_25lookback_scan_determinismE0ELb0ES3_N6thrust23THRUST_200600_302600_NS6detail15normal_iteratorINS9_10device_ptrIjEEEESE_SE_jNS9_4plusIvEENS9_8equal_toIvEEjEE10hipError_tPvRmT2_T3_T4_T5_mT6_T7_P12ihipStream_tbENKUlT_T0_E_clISt17integral_constantIbLb0EESZ_EEDaSU_SV_EUlSU_E_NS1_11comp_targetILNS1_3genE8ELNS1_11target_archE1030ELNS1_3gpuE2ELNS1_3repE0EEENS1_30default_config_static_selectorELNS0_4arch9wavefront6targetE0EEEvT1_.num_vgpr, 0
	.set _ZN7rocprim17ROCPRIM_400000_NS6detail17trampoline_kernelINS0_14default_configENS1_27scan_by_key_config_selectorIjjEEZZNS1_16scan_by_key_implILNS1_25lookback_scan_determinismE0ELb0ES3_N6thrust23THRUST_200600_302600_NS6detail15normal_iteratorINS9_10device_ptrIjEEEESE_SE_jNS9_4plusIvEENS9_8equal_toIvEEjEE10hipError_tPvRmT2_T3_T4_T5_mT6_T7_P12ihipStream_tbENKUlT_T0_E_clISt17integral_constantIbLb0EESZ_EEDaSU_SV_EUlSU_E_NS1_11comp_targetILNS1_3genE8ELNS1_11target_archE1030ELNS1_3gpuE2ELNS1_3repE0EEENS1_30default_config_static_selectorELNS0_4arch9wavefront6targetE0EEEvT1_.num_agpr, 0
	.set _ZN7rocprim17ROCPRIM_400000_NS6detail17trampoline_kernelINS0_14default_configENS1_27scan_by_key_config_selectorIjjEEZZNS1_16scan_by_key_implILNS1_25lookback_scan_determinismE0ELb0ES3_N6thrust23THRUST_200600_302600_NS6detail15normal_iteratorINS9_10device_ptrIjEEEESE_SE_jNS9_4plusIvEENS9_8equal_toIvEEjEE10hipError_tPvRmT2_T3_T4_T5_mT6_T7_P12ihipStream_tbENKUlT_T0_E_clISt17integral_constantIbLb0EESZ_EEDaSU_SV_EUlSU_E_NS1_11comp_targetILNS1_3genE8ELNS1_11target_archE1030ELNS1_3gpuE2ELNS1_3repE0EEENS1_30default_config_static_selectorELNS0_4arch9wavefront6targetE0EEEvT1_.numbered_sgpr, 0
	.set _ZN7rocprim17ROCPRIM_400000_NS6detail17trampoline_kernelINS0_14default_configENS1_27scan_by_key_config_selectorIjjEEZZNS1_16scan_by_key_implILNS1_25lookback_scan_determinismE0ELb0ES3_N6thrust23THRUST_200600_302600_NS6detail15normal_iteratorINS9_10device_ptrIjEEEESE_SE_jNS9_4plusIvEENS9_8equal_toIvEEjEE10hipError_tPvRmT2_T3_T4_T5_mT6_T7_P12ihipStream_tbENKUlT_T0_E_clISt17integral_constantIbLb0EESZ_EEDaSU_SV_EUlSU_E_NS1_11comp_targetILNS1_3genE8ELNS1_11target_archE1030ELNS1_3gpuE2ELNS1_3repE0EEENS1_30default_config_static_selectorELNS0_4arch9wavefront6targetE0EEEvT1_.num_named_barrier, 0
	.set _ZN7rocprim17ROCPRIM_400000_NS6detail17trampoline_kernelINS0_14default_configENS1_27scan_by_key_config_selectorIjjEEZZNS1_16scan_by_key_implILNS1_25lookback_scan_determinismE0ELb0ES3_N6thrust23THRUST_200600_302600_NS6detail15normal_iteratorINS9_10device_ptrIjEEEESE_SE_jNS9_4plusIvEENS9_8equal_toIvEEjEE10hipError_tPvRmT2_T3_T4_T5_mT6_T7_P12ihipStream_tbENKUlT_T0_E_clISt17integral_constantIbLb0EESZ_EEDaSU_SV_EUlSU_E_NS1_11comp_targetILNS1_3genE8ELNS1_11target_archE1030ELNS1_3gpuE2ELNS1_3repE0EEENS1_30default_config_static_selectorELNS0_4arch9wavefront6targetE0EEEvT1_.private_seg_size, 0
	.set _ZN7rocprim17ROCPRIM_400000_NS6detail17trampoline_kernelINS0_14default_configENS1_27scan_by_key_config_selectorIjjEEZZNS1_16scan_by_key_implILNS1_25lookback_scan_determinismE0ELb0ES3_N6thrust23THRUST_200600_302600_NS6detail15normal_iteratorINS9_10device_ptrIjEEEESE_SE_jNS9_4plusIvEENS9_8equal_toIvEEjEE10hipError_tPvRmT2_T3_T4_T5_mT6_T7_P12ihipStream_tbENKUlT_T0_E_clISt17integral_constantIbLb0EESZ_EEDaSU_SV_EUlSU_E_NS1_11comp_targetILNS1_3genE8ELNS1_11target_archE1030ELNS1_3gpuE2ELNS1_3repE0EEENS1_30default_config_static_selectorELNS0_4arch9wavefront6targetE0EEEvT1_.uses_vcc, 0
	.set _ZN7rocprim17ROCPRIM_400000_NS6detail17trampoline_kernelINS0_14default_configENS1_27scan_by_key_config_selectorIjjEEZZNS1_16scan_by_key_implILNS1_25lookback_scan_determinismE0ELb0ES3_N6thrust23THRUST_200600_302600_NS6detail15normal_iteratorINS9_10device_ptrIjEEEESE_SE_jNS9_4plusIvEENS9_8equal_toIvEEjEE10hipError_tPvRmT2_T3_T4_T5_mT6_T7_P12ihipStream_tbENKUlT_T0_E_clISt17integral_constantIbLb0EESZ_EEDaSU_SV_EUlSU_E_NS1_11comp_targetILNS1_3genE8ELNS1_11target_archE1030ELNS1_3gpuE2ELNS1_3repE0EEENS1_30default_config_static_selectorELNS0_4arch9wavefront6targetE0EEEvT1_.uses_flat_scratch, 0
	.set _ZN7rocprim17ROCPRIM_400000_NS6detail17trampoline_kernelINS0_14default_configENS1_27scan_by_key_config_selectorIjjEEZZNS1_16scan_by_key_implILNS1_25lookback_scan_determinismE0ELb0ES3_N6thrust23THRUST_200600_302600_NS6detail15normal_iteratorINS9_10device_ptrIjEEEESE_SE_jNS9_4plusIvEENS9_8equal_toIvEEjEE10hipError_tPvRmT2_T3_T4_T5_mT6_T7_P12ihipStream_tbENKUlT_T0_E_clISt17integral_constantIbLb0EESZ_EEDaSU_SV_EUlSU_E_NS1_11comp_targetILNS1_3genE8ELNS1_11target_archE1030ELNS1_3gpuE2ELNS1_3repE0EEENS1_30default_config_static_selectorELNS0_4arch9wavefront6targetE0EEEvT1_.has_dyn_sized_stack, 0
	.set _ZN7rocprim17ROCPRIM_400000_NS6detail17trampoline_kernelINS0_14default_configENS1_27scan_by_key_config_selectorIjjEEZZNS1_16scan_by_key_implILNS1_25lookback_scan_determinismE0ELb0ES3_N6thrust23THRUST_200600_302600_NS6detail15normal_iteratorINS9_10device_ptrIjEEEESE_SE_jNS9_4plusIvEENS9_8equal_toIvEEjEE10hipError_tPvRmT2_T3_T4_T5_mT6_T7_P12ihipStream_tbENKUlT_T0_E_clISt17integral_constantIbLb0EESZ_EEDaSU_SV_EUlSU_E_NS1_11comp_targetILNS1_3genE8ELNS1_11target_archE1030ELNS1_3gpuE2ELNS1_3repE0EEENS1_30default_config_static_selectorELNS0_4arch9wavefront6targetE0EEEvT1_.has_recursion, 0
	.set _ZN7rocprim17ROCPRIM_400000_NS6detail17trampoline_kernelINS0_14default_configENS1_27scan_by_key_config_selectorIjjEEZZNS1_16scan_by_key_implILNS1_25lookback_scan_determinismE0ELb0ES3_N6thrust23THRUST_200600_302600_NS6detail15normal_iteratorINS9_10device_ptrIjEEEESE_SE_jNS9_4plusIvEENS9_8equal_toIvEEjEE10hipError_tPvRmT2_T3_T4_T5_mT6_T7_P12ihipStream_tbENKUlT_T0_E_clISt17integral_constantIbLb0EESZ_EEDaSU_SV_EUlSU_E_NS1_11comp_targetILNS1_3genE8ELNS1_11target_archE1030ELNS1_3gpuE2ELNS1_3repE0EEENS1_30default_config_static_selectorELNS0_4arch9wavefront6targetE0EEEvT1_.has_indirect_call, 0
	.section	.AMDGPU.csdata,"",@progbits
; Kernel info:
; codeLenInByte = 0
; TotalNumSgprs: 0
; NumVgprs: 0
; ScratchSize: 0
; MemoryBound: 0
; FloatMode: 240
; IeeeMode: 1
; LDSByteSize: 0 bytes/workgroup (compile time only)
; SGPRBlocks: 0
; VGPRBlocks: 0
; NumSGPRsForWavesPerEU: 1
; NumVGPRsForWavesPerEU: 1
; NamedBarCnt: 0
; Occupancy: 16
; WaveLimiterHint : 0
; COMPUTE_PGM_RSRC2:SCRATCH_EN: 0
; COMPUTE_PGM_RSRC2:USER_SGPR: 2
; COMPUTE_PGM_RSRC2:TRAP_HANDLER: 0
; COMPUTE_PGM_RSRC2:TGID_X_EN: 1
; COMPUTE_PGM_RSRC2:TGID_Y_EN: 0
; COMPUTE_PGM_RSRC2:TGID_Z_EN: 0
; COMPUTE_PGM_RSRC2:TIDIG_COMP_CNT: 0
	.section	.text._ZN7rocprim17ROCPRIM_400000_NS6detail30init_device_scan_by_key_kernelINS1_19lookback_scan_stateINS0_5tupleIJjbEEELb1ELb1EEEN6thrust23THRUST_200600_302600_NS6detail15normal_iteratorINS8_10device_ptrIjEEEEjNS1_16block_id_wrapperIjLb1EEEEEvT_jjPNSG_10value_typeET0_PNSt15iterator_traitsISJ_E10value_typeEmT1_T2_,"axG",@progbits,_ZN7rocprim17ROCPRIM_400000_NS6detail30init_device_scan_by_key_kernelINS1_19lookback_scan_stateINS0_5tupleIJjbEEELb1ELb1EEEN6thrust23THRUST_200600_302600_NS6detail15normal_iteratorINS8_10device_ptrIjEEEEjNS1_16block_id_wrapperIjLb1EEEEEvT_jjPNSG_10value_typeET0_PNSt15iterator_traitsISJ_E10value_typeEmT1_T2_,comdat
	.protected	_ZN7rocprim17ROCPRIM_400000_NS6detail30init_device_scan_by_key_kernelINS1_19lookback_scan_stateINS0_5tupleIJjbEEELb1ELb1EEEN6thrust23THRUST_200600_302600_NS6detail15normal_iteratorINS8_10device_ptrIjEEEEjNS1_16block_id_wrapperIjLb1EEEEEvT_jjPNSG_10value_typeET0_PNSt15iterator_traitsISJ_E10value_typeEmT1_T2_ ; -- Begin function _ZN7rocprim17ROCPRIM_400000_NS6detail30init_device_scan_by_key_kernelINS1_19lookback_scan_stateINS0_5tupleIJjbEEELb1ELb1EEEN6thrust23THRUST_200600_302600_NS6detail15normal_iteratorINS8_10device_ptrIjEEEEjNS1_16block_id_wrapperIjLb1EEEEEvT_jjPNSG_10value_typeET0_PNSt15iterator_traitsISJ_E10value_typeEmT1_T2_
	.globl	_ZN7rocprim17ROCPRIM_400000_NS6detail30init_device_scan_by_key_kernelINS1_19lookback_scan_stateINS0_5tupleIJjbEEELb1ELb1EEEN6thrust23THRUST_200600_302600_NS6detail15normal_iteratorINS8_10device_ptrIjEEEEjNS1_16block_id_wrapperIjLb1EEEEEvT_jjPNSG_10value_typeET0_PNSt15iterator_traitsISJ_E10value_typeEmT1_T2_
	.p2align	8
	.type	_ZN7rocprim17ROCPRIM_400000_NS6detail30init_device_scan_by_key_kernelINS1_19lookback_scan_stateINS0_5tupleIJjbEEELb1ELb1EEEN6thrust23THRUST_200600_302600_NS6detail15normal_iteratorINS8_10device_ptrIjEEEEjNS1_16block_id_wrapperIjLb1EEEEEvT_jjPNSG_10value_typeET0_PNSt15iterator_traitsISJ_E10value_typeEmT1_T2_,@function
_ZN7rocprim17ROCPRIM_400000_NS6detail30init_device_scan_by_key_kernelINS1_19lookback_scan_stateINS0_5tupleIJjbEEELb1ELb1EEEN6thrust23THRUST_200600_302600_NS6detail15normal_iteratorINS8_10device_ptrIjEEEEjNS1_16block_id_wrapperIjLb1EEEEEvT_jjPNSG_10value_typeET0_PNSt15iterator_traitsISJ_E10value_typeEmT1_T2_: ; @_ZN7rocprim17ROCPRIM_400000_NS6detail30init_device_scan_by_key_kernelINS1_19lookback_scan_stateINS0_5tupleIJjbEEELb1ELb1EEEN6thrust23THRUST_200600_302600_NS6detail15normal_iteratorINS8_10device_ptrIjEEEEjNS1_16block_id_wrapperIjLb1EEEEEvT_jjPNSG_10value_typeET0_PNSt15iterator_traitsISJ_E10value_typeEmT1_T2_
; %bb.0:
	s_clause 0x2
	s_load_b32 s2, s[0:1], 0x4c
	s_load_b32 s14, s[0:1], 0x40
	s_load_b256 s[4:11], s[0:1], 0x0
	s_bfe_u32 s3, ttmp6, 0x4000c
	s_and_b32 s12, ttmp6, 15
	s_add_co_i32 s3, s3, 1
	s_getreg_b32 s13, hwreg(HW_REG_IB_STS2, 6, 4)
	s_mul_i32 s3, ttmp9, s3
	s_delay_alu instid0(SALU_CYCLE_1)
	s_add_co_i32 s12, s12, s3
	s_wait_kmcnt 0x0
	s_and_b32 s15, s2, 0xffff
	s_cmp_eq_u32 s13, 0
	s_cselect_b32 s2, ttmp9, s12
	s_cmp_eq_u64 s[8:9], 0
	v_mad_u32 v4, s2, s15, v0
	s_cbranch_scc1 .LBB1835_10
; %bb.1:
	s_cmp_lt_u32 s7, s6
	s_mov_b32 s16, exec_lo
	s_cselect_b32 s2, s7, 0
	s_delay_alu instid0(VALU_DEP_1) | instid1(SALU_CYCLE_1)
	v_cmpx_eq_u32_e64 s2, v4
	s_cbranch_execz .LBB1835_9
; %bb.2:
	s_add_co_i32 s2, s7, 32
	s_mov_b32 s3, 0
	v_mov_b32_e32 v7, 0
	s_lshl_b64 s[12:13], s[2:3], 4
	s_mov_b32 s2, exec_lo
	s_add_nc_u64 s[12:13], s[4:5], s[12:13]
	s_delay_alu instid0(SALU_CYCLE_1) | instskip(SKIP_2) | instid1(VALU_DEP_1)
	v_mov_b64_e32 v[0:1], s[12:13]
	;;#ASMSTART
	global_load_b128 v[0:3], v[0:1] off scope:SCOPE_DEV	
s_wait_loadcnt 0x0
	;;#ASMEND
	v_and_b32_e32 v6, 0xff, v2
	v_cmpx_eq_u64_e32 0, v[6:7]
	s_cbranch_execz .LBB1835_8
; %bb.3:
	v_mov_b64_e32 v[8:9], s[12:13]
	s_mov_b32 s7, 1
.LBB1835_4:                             ; =>This Loop Header: Depth=1
                                        ;     Child Loop BB1835_5 Depth 2
	s_delay_alu instid0(SALU_CYCLE_1)
	s_mov_b32 s12, s7
.LBB1835_5:                             ;   Parent Loop BB1835_4 Depth=1
                                        ; =>  This Inner Loop Header: Depth=2
	s_delay_alu instid0(SALU_CYCLE_1)
	s_add_co_i32 s12, s12, -1
	s_sleep 1
	s_cmp_eq_u32 s12, 0
	s_cbranch_scc0 .LBB1835_5
; %bb.6:                                ;   in Loop: Header=BB1835_4 Depth=1
	;;#ASMSTART
	global_load_b128 v[0:3], v[8:9] off scope:SCOPE_DEV	
s_wait_loadcnt 0x0
	;;#ASMEND
	v_and_b32_e32 v6, 0xff, v2
	s_cmp_lt_u32 s7, 32
	s_cselect_b32 s12, -1, 0
	s_delay_alu instid0(VALU_DEP_1) | instskip(SKIP_3) | instid1(SALU_CYCLE_1)
	v_cmp_ne_u64_e32 vcc_lo, 0, v[6:7]
	s_cmp_lg_u32 s12, 0
	s_add_co_ci_u32 s7, s7, 0
	s_or_b32 s3, vcc_lo, s3
	s_and_not1_b32 exec_lo, exec_lo, s3
	s_cbranch_execnz .LBB1835_4
; %bb.7:
	s_or_b32 exec_lo, exec_lo, s3
.LBB1835_8:
	s_delay_alu instid0(SALU_CYCLE_1)
	s_or_b32 exec_lo, exec_lo, s2
	v_mov_b32_e32 v2, 0
	s_clause 0x1
	global_store_b32 v2, v0, s[8:9]
	global_store_b8 v2, v1, s[8:9] offset:4
.LBB1835_9:
	s_wait_xcnt 0x0
	s_or_b32 exec_lo, exec_lo, s16
.LBB1835_10:
	s_delay_alu instid0(SALU_CYCLE_1) | instskip(NEXT) | instid1(VALU_DEP_1)
	s_mov_b32 s2, exec_lo
	v_cmpx_eq_u32_e32 0, v4
	s_cbranch_execz .LBB1835_12
; %bb.11:
	s_load_b64 s[8:9], s[0:1], 0x38
	v_mov_b32_e32 v0, 0
	s_wait_kmcnt 0x0
	global_store_b32 v0, v0, s[8:9]
.LBB1835_12:
	s_wait_xcnt 0x0
	s_or_b32 exec_lo, exec_lo, s2
	s_delay_alu instid0(SALU_CYCLE_1)
	s_mov_b32 s2, exec_lo
	v_cmpx_gt_u32_e64 s6, v4
	s_cbranch_execz .LBB1835_14
; %bb.13:
	v_dual_mov_b32 v0, 0 :: v_dual_add_nc_u32 v5, 32, v4
	s_delay_alu instid0(VALU_DEP_1)
	v_dual_mov_b32 v1, v0 :: v_dual_mov_b32 v2, v0
	v_mov_b32_e32 v3, v0
	global_store_b128 v5, v[0:3], s[4:5] scale_offset
.LBB1835_14:
	s_wait_xcnt 0x0
	s_or_b32 exec_lo, exec_lo, s2
	v_mov_b32_e32 v5, 0
	s_mov_b32 s2, exec_lo
	v_cmpx_gt_u32_e32 32, v4
	s_cbranch_execz .LBB1835_16
; %bb.15:
	s_delay_alu instid0(VALU_DEP_2)
	v_lshl_add_u64 v[6:7], v[4:5], 4, s[4:5]
	v_dual_mov_b32 v2, 0xff :: v_dual_mov_b32 v1, v5
	v_dual_mov_b32 v0, v5 :: v_dual_mov_b32 v3, v5
	global_store_b128 v[6:7], v[0:3], off
.LBB1835_16:
	s_wait_xcnt 0x0
	s_or_b32 exec_lo, exec_lo, s2
	s_load_b64 s[2:3], s[0:1], 0x28
	s_mov_b32 s4, exec_lo
	s_wait_kmcnt 0x0
	v_cmpx_gt_u64_e64 s[2:3], v[4:5]
	s_cbranch_execz .LBB1835_19
; %bb.17:
	s_clause 0x1
	s_load_b32 s4, s[0:1], 0x30
	s_load_b64 s[6:7], s[0:1], 0x20
	s_mov_b32 s5, 0
	s_wait_xcnt 0x0
	s_mul_i32 s0, s14, s15
	s_mov_b32 s9, s5
	s_mov_b32 s1, s5
	s_wait_kmcnt 0x0
	v_mul_u64_e32 v[0:1], s[4:5], v[4:5]
	s_add_co_i32 s8, s4, -1
	v_lshl_add_u64 v[2:3], v[4:5], 2, s[6:7]
	s_lshl_b64 s[8:9], s[8:9], 2
	s_delay_alu instid0(SALU_CYCLE_1) | instskip(SKIP_1) | instid1(SALU_CYCLE_1)
	s_add_nc_u64 s[8:9], s[10:11], s[8:9]
	s_mul_u64 s[10:11], s[4:5], s[0:1]
	s_lshl_b64 s[6:7], s[10:11], 2
	s_delay_alu instid0(VALU_DEP_2)
	v_lshl_add_u64 v[0:1], v[0:1], 2, s[8:9]
	s_lshl_b64 s[8:9], s[0:1], 2
.LBB1835_18:                            ; =>This Inner Loop Header: Depth=1
	global_load_b32 v6, v[0:1], off
	v_add_nc_u64_e32 v[4:5], s[0:1], v[4:5]
	s_wait_xcnt 0x0
	v_add_nc_u64_e32 v[0:1], s[6:7], v[0:1]
	s_delay_alu instid0(VALU_DEP_2)
	v_cmp_le_u64_e32 vcc_lo, s[2:3], v[4:5]
	s_or_b32 s5, vcc_lo, s5
	s_wait_loadcnt 0x0
	global_store_b32 v[2:3], v6, off
	s_wait_xcnt 0x0
	v_add_nc_u64_e32 v[2:3], s[8:9], v[2:3]
	s_and_not1_b32 exec_lo, exec_lo, s5
	s_cbranch_execnz .LBB1835_18
.LBB1835_19:
	s_endpgm
	.section	.rodata,"a",@progbits
	.p2align	6, 0x0
	.amdhsa_kernel _ZN7rocprim17ROCPRIM_400000_NS6detail30init_device_scan_by_key_kernelINS1_19lookback_scan_stateINS0_5tupleIJjbEEELb1ELb1EEEN6thrust23THRUST_200600_302600_NS6detail15normal_iteratorINS8_10device_ptrIjEEEEjNS1_16block_id_wrapperIjLb1EEEEEvT_jjPNSG_10value_typeET0_PNSt15iterator_traitsISJ_E10value_typeEmT1_T2_
		.amdhsa_group_segment_fixed_size 0
		.amdhsa_private_segment_fixed_size 0
		.amdhsa_kernarg_size 320
		.amdhsa_user_sgpr_count 2
		.amdhsa_user_sgpr_dispatch_ptr 0
		.amdhsa_user_sgpr_queue_ptr 0
		.amdhsa_user_sgpr_kernarg_segment_ptr 1
		.amdhsa_user_sgpr_dispatch_id 0
		.amdhsa_user_sgpr_kernarg_preload_length 0
		.amdhsa_user_sgpr_kernarg_preload_offset 0
		.amdhsa_user_sgpr_private_segment_size 0
		.amdhsa_wavefront_size32 1
		.amdhsa_uses_dynamic_stack 0
		.amdhsa_enable_private_segment 0
		.amdhsa_system_sgpr_workgroup_id_x 1
		.amdhsa_system_sgpr_workgroup_id_y 0
		.amdhsa_system_sgpr_workgroup_id_z 0
		.amdhsa_system_sgpr_workgroup_info 0
		.amdhsa_system_vgpr_workitem_id 0
		.amdhsa_next_free_vgpr 10
		.amdhsa_next_free_sgpr 17
		.amdhsa_named_barrier_count 0
		.amdhsa_reserve_vcc 1
		.amdhsa_float_round_mode_32 0
		.amdhsa_float_round_mode_16_64 0
		.amdhsa_float_denorm_mode_32 3
		.amdhsa_float_denorm_mode_16_64 3
		.amdhsa_fp16_overflow 0
		.amdhsa_memory_ordered 1
		.amdhsa_forward_progress 1
		.amdhsa_inst_pref_size 6
		.amdhsa_round_robin_scheduling 0
		.amdhsa_exception_fp_ieee_invalid_op 0
		.amdhsa_exception_fp_denorm_src 0
		.amdhsa_exception_fp_ieee_div_zero 0
		.amdhsa_exception_fp_ieee_overflow 0
		.amdhsa_exception_fp_ieee_underflow 0
		.amdhsa_exception_fp_ieee_inexact 0
		.amdhsa_exception_int_div_zero 0
	.end_amdhsa_kernel
	.section	.text._ZN7rocprim17ROCPRIM_400000_NS6detail30init_device_scan_by_key_kernelINS1_19lookback_scan_stateINS0_5tupleIJjbEEELb1ELb1EEEN6thrust23THRUST_200600_302600_NS6detail15normal_iteratorINS8_10device_ptrIjEEEEjNS1_16block_id_wrapperIjLb1EEEEEvT_jjPNSG_10value_typeET0_PNSt15iterator_traitsISJ_E10value_typeEmT1_T2_,"axG",@progbits,_ZN7rocprim17ROCPRIM_400000_NS6detail30init_device_scan_by_key_kernelINS1_19lookback_scan_stateINS0_5tupleIJjbEEELb1ELb1EEEN6thrust23THRUST_200600_302600_NS6detail15normal_iteratorINS8_10device_ptrIjEEEEjNS1_16block_id_wrapperIjLb1EEEEEvT_jjPNSG_10value_typeET0_PNSt15iterator_traitsISJ_E10value_typeEmT1_T2_,comdat
.Lfunc_end1835:
	.size	_ZN7rocprim17ROCPRIM_400000_NS6detail30init_device_scan_by_key_kernelINS1_19lookback_scan_stateINS0_5tupleIJjbEEELb1ELb1EEEN6thrust23THRUST_200600_302600_NS6detail15normal_iteratorINS8_10device_ptrIjEEEEjNS1_16block_id_wrapperIjLb1EEEEEvT_jjPNSG_10value_typeET0_PNSt15iterator_traitsISJ_E10value_typeEmT1_T2_, .Lfunc_end1835-_ZN7rocprim17ROCPRIM_400000_NS6detail30init_device_scan_by_key_kernelINS1_19lookback_scan_stateINS0_5tupleIJjbEEELb1ELb1EEEN6thrust23THRUST_200600_302600_NS6detail15normal_iteratorINS8_10device_ptrIjEEEEjNS1_16block_id_wrapperIjLb1EEEEEvT_jjPNSG_10value_typeET0_PNSt15iterator_traitsISJ_E10value_typeEmT1_T2_
                                        ; -- End function
	.set _ZN7rocprim17ROCPRIM_400000_NS6detail30init_device_scan_by_key_kernelINS1_19lookback_scan_stateINS0_5tupleIJjbEEELb1ELb1EEEN6thrust23THRUST_200600_302600_NS6detail15normal_iteratorINS8_10device_ptrIjEEEEjNS1_16block_id_wrapperIjLb1EEEEEvT_jjPNSG_10value_typeET0_PNSt15iterator_traitsISJ_E10value_typeEmT1_T2_.num_vgpr, 10
	.set _ZN7rocprim17ROCPRIM_400000_NS6detail30init_device_scan_by_key_kernelINS1_19lookback_scan_stateINS0_5tupleIJjbEEELb1ELb1EEEN6thrust23THRUST_200600_302600_NS6detail15normal_iteratorINS8_10device_ptrIjEEEEjNS1_16block_id_wrapperIjLb1EEEEEvT_jjPNSG_10value_typeET0_PNSt15iterator_traitsISJ_E10value_typeEmT1_T2_.num_agpr, 0
	.set _ZN7rocprim17ROCPRIM_400000_NS6detail30init_device_scan_by_key_kernelINS1_19lookback_scan_stateINS0_5tupleIJjbEEELb1ELb1EEEN6thrust23THRUST_200600_302600_NS6detail15normal_iteratorINS8_10device_ptrIjEEEEjNS1_16block_id_wrapperIjLb1EEEEEvT_jjPNSG_10value_typeET0_PNSt15iterator_traitsISJ_E10value_typeEmT1_T2_.numbered_sgpr, 17
	.set _ZN7rocprim17ROCPRIM_400000_NS6detail30init_device_scan_by_key_kernelINS1_19lookback_scan_stateINS0_5tupleIJjbEEELb1ELb1EEEN6thrust23THRUST_200600_302600_NS6detail15normal_iteratorINS8_10device_ptrIjEEEEjNS1_16block_id_wrapperIjLb1EEEEEvT_jjPNSG_10value_typeET0_PNSt15iterator_traitsISJ_E10value_typeEmT1_T2_.num_named_barrier, 0
	.set _ZN7rocprim17ROCPRIM_400000_NS6detail30init_device_scan_by_key_kernelINS1_19lookback_scan_stateINS0_5tupleIJjbEEELb1ELb1EEEN6thrust23THRUST_200600_302600_NS6detail15normal_iteratorINS8_10device_ptrIjEEEEjNS1_16block_id_wrapperIjLb1EEEEEvT_jjPNSG_10value_typeET0_PNSt15iterator_traitsISJ_E10value_typeEmT1_T2_.private_seg_size, 0
	.set _ZN7rocprim17ROCPRIM_400000_NS6detail30init_device_scan_by_key_kernelINS1_19lookback_scan_stateINS0_5tupleIJjbEEELb1ELb1EEEN6thrust23THRUST_200600_302600_NS6detail15normal_iteratorINS8_10device_ptrIjEEEEjNS1_16block_id_wrapperIjLb1EEEEEvT_jjPNSG_10value_typeET0_PNSt15iterator_traitsISJ_E10value_typeEmT1_T2_.uses_vcc, 1
	.set _ZN7rocprim17ROCPRIM_400000_NS6detail30init_device_scan_by_key_kernelINS1_19lookback_scan_stateINS0_5tupleIJjbEEELb1ELb1EEEN6thrust23THRUST_200600_302600_NS6detail15normal_iteratorINS8_10device_ptrIjEEEEjNS1_16block_id_wrapperIjLb1EEEEEvT_jjPNSG_10value_typeET0_PNSt15iterator_traitsISJ_E10value_typeEmT1_T2_.uses_flat_scratch, 0
	.set _ZN7rocprim17ROCPRIM_400000_NS6detail30init_device_scan_by_key_kernelINS1_19lookback_scan_stateINS0_5tupleIJjbEEELb1ELb1EEEN6thrust23THRUST_200600_302600_NS6detail15normal_iteratorINS8_10device_ptrIjEEEEjNS1_16block_id_wrapperIjLb1EEEEEvT_jjPNSG_10value_typeET0_PNSt15iterator_traitsISJ_E10value_typeEmT1_T2_.has_dyn_sized_stack, 0
	.set _ZN7rocprim17ROCPRIM_400000_NS6detail30init_device_scan_by_key_kernelINS1_19lookback_scan_stateINS0_5tupleIJjbEEELb1ELb1EEEN6thrust23THRUST_200600_302600_NS6detail15normal_iteratorINS8_10device_ptrIjEEEEjNS1_16block_id_wrapperIjLb1EEEEEvT_jjPNSG_10value_typeET0_PNSt15iterator_traitsISJ_E10value_typeEmT1_T2_.has_recursion, 0
	.set _ZN7rocprim17ROCPRIM_400000_NS6detail30init_device_scan_by_key_kernelINS1_19lookback_scan_stateINS0_5tupleIJjbEEELb1ELb1EEEN6thrust23THRUST_200600_302600_NS6detail15normal_iteratorINS8_10device_ptrIjEEEEjNS1_16block_id_wrapperIjLb1EEEEEvT_jjPNSG_10value_typeET0_PNSt15iterator_traitsISJ_E10value_typeEmT1_T2_.has_indirect_call, 0
	.section	.AMDGPU.csdata,"",@progbits
; Kernel info:
; codeLenInByte = 684
; TotalNumSgprs: 19
; NumVgprs: 10
; ScratchSize: 0
; MemoryBound: 0
; FloatMode: 240
; IeeeMode: 1
; LDSByteSize: 0 bytes/workgroup (compile time only)
; SGPRBlocks: 0
; VGPRBlocks: 0
; NumSGPRsForWavesPerEU: 19
; NumVGPRsForWavesPerEU: 10
; NamedBarCnt: 0
; Occupancy: 16
; WaveLimiterHint : 0
; COMPUTE_PGM_RSRC2:SCRATCH_EN: 0
; COMPUTE_PGM_RSRC2:USER_SGPR: 2
; COMPUTE_PGM_RSRC2:TRAP_HANDLER: 0
; COMPUTE_PGM_RSRC2:TGID_X_EN: 1
; COMPUTE_PGM_RSRC2:TGID_Y_EN: 0
; COMPUTE_PGM_RSRC2:TGID_Z_EN: 0
; COMPUTE_PGM_RSRC2:TIDIG_COMP_CNT: 0
	.section	.text._ZN7rocprim17ROCPRIM_400000_NS6detail17trampoline_kernelINS0_14default_configENS1_27scan_by_key_config_selectorIjjEEZZNS1_16scan_by_key_implILNS1_25lookback_scan_determinismE0ELb0ES3_N6thrust23THRUST_200600_302600_NS6detail15normal_iteratorINS9_10device_ptrIjEEEESE_SE_jNS9_4plusIvEENS9_8equal_toIvEEjEE10hipError_tPvRmT2_T3_T4_T5_mT6_T7_P12ihipStream_tbENKUlT_T0_E_clISt17integral_constantIbLb1EESZ_EEDaSU_SV_EUlSU_E_NS1_11comp_targetILNS1_3genE0ELNS1_11target_archE4294967295ELNS1_3gpuE0ELNS1_3repE0EEENS1_30default_config_static_selectorELNS0_4arch9wavefront6targetE0EEEvT1_,"axG",@progbits,_ZN7rocprim17ROCPRIM_400000_NS6detail17trampoline_kernelINS0_14default_configENS1_27scan_by_key_config_selectorIjjEEZZNS1_16scan_by_key_implILNS1_25lookback_scan_determinismE0ELb0ES3_N6thrust23THRUST_200600_302600_NS6detail15normal_iteratorINS9_10device_ptrIjEEEESE_SE_jNS9_4plusIvEENS9_8equal_toIvEEjEE10hipError_tPvRmT2_T3_T4_T5_mT6_T7_P12ihipStream_tbENKUlT_T0_E_clISt17integral_constantIbLb1EESZ_EEDaSU_SV_EUlSU_E_NS1_11comp_targetILNS1_3genE0ELNS1_11target_archE4294967295ELNS1_3gpuE0ELNS1_3repE0EEENS1_30default_config_static_selectorELNS0_4arch9wavefront6targetE0EEEvT1_,comdat
	.protected	_ZN7rocprim17ROCPRIM_400000_NS6detail17trampoline_kernelINS0_14default_configENS1_27scan_by_key_config_selectorIjjEEZZNS1_16scan_by_key_implILNS1_25lookback_scan_determinismE0ELb0ES3_N6thrust23THRUST_200600_302600_NS6detail15normal_iteratorINS9_10device_ptrIjEEEESE_SE_jNS9_4plusIvEENS9_8equal_toIvEEjEE10hipError_tPvRmT2_T3_T4_T5_mT6_T7_P12ihipStream_tbENKUlT_T0_E_clISt17integral_constantIbLb1EESZ_EEDaSU_SV_EUlSU_E_NS1_11comp_targetILNS1_3genE0ELNS1_11target_archE4294967295ELNS1_3gpuE0ELNS1_3repE0EEENS1_30default_config_static_selectorELNS0_4arch9wavefront6targetE0EEEvT1_ ; -- Begin function _ZN7rocprim17ROCPRIM_400000_NS6detail17trampoline_kernelINS0_14default_configENS1_27scan_by_key_config_selectorIjjEEZZNS1_16scan_by_key_implILNS1_25lookback_scan_determinismE0ELb0ES3_N6thrust23THRUST_200600_302600_NS6detail15normal_iteratorINS9_10device_ptrIjEEEESE_SE_jNS9_4plusIvEENS9_8equal_toIvEEjEE10hipError_tPvRmT2_T3_T4_T5_mT6_T7_P12ihipStream_tbENKUlT_T0_E_clISt17integral_constantIbLb1EESZ_EEDaSU_SV_EUlSU_E_NS1_11comp_targetILNS1_3genE0ELNS1_11target_archE4294967295ELNS1_3gpuE0ELNS1_3repE0EEENS1_30default_config_static_selectorELNS0_4arch9wavefront6targetE0EEEvT1_
	.globl	_ZN7rocprim17ROCPRIM_400000_NS6detail17trampoline_kernelINS0_14default_configENS1_27scan_by_key_config_selectorIjjEEZZNS1_16scan_by_key_implILNS1_25lookback_scan_determinismE0ELb0ES3_N6thrust23THRUST_200600_302600_NS6detail15normal_iteratorINS9_10device_ptrIjEEEESE_SE_jNS9_4plusIvEENS9_8equal_toIvEEjEE10hipError_tPvRmT2_T3_T4_T5_mT6_T7_P12ihipStream_tbENKUlT_T0_E_clISt17integral_constantIbLb1EESZ_EEDaSU_SV_EUlSU_E_NS1_11comp_targetILNS1_3genE0ELNS1_11target_archE4294967295ELNS1_3gpuE0ELNS1_3repE0EEENS1_30default_config_static_selectorELNS0_4arch9wavefront6targetE0EEEvT1_
	.p2align	8
	.type	_ZN7rocprim17ROCPRIM_400000_NS6detail17trampoline_kernelINS0_14default_configENS1_27scan_by_key_config_selectorIjjEEZZNS1_16scan_by_key_implILNS1_25lookback_scan_determinismE0ELb0ES3_N6thrust23THRUST_200600_302600_NS6detail15normal_iteratorINS9_10device_ptrIjEEEESE_SE_jNS9_4plusIvEENS9_8equal_toIvEEjEE10hipError_tPvRmT2_T3_T4_T5_mT6_T7_P12ihipStream_tbENKUlT_T0_E_clISt17integral_constantIbLb1EESZ_EEDaSU_SV_EUlSU_E_NS1_11comp_targetILNS1_3genE0ELNS1_11target_archE4294967295ELNS1_3gpuE0ELNS1_3repE0EEENS1_30default_config_static_selectorELNS0_4arch9wavefront6targetE0EEEvT1_,@function
_ZN7rocprim17ROCPRIM_400000_NS6detail17trampoline_kernelINS0_14default_configENS1_27scan_by_key_config_selectorIjjEEZZNS1_16scan_by_key_implILNS1_25lookback_scan_determinismE0ELb0ES3_N6thrust23THRUST_200600_302600_NS6detail15normal_iteratorINS9_10device_ptrIjEEEESE_SE_jNS9_4plusIvEENS9_8equal_toIvEEjEE10hipError_tPvRmT2_T3_T4_T5_mT6_T7_P12ihipStream_tbENKUlT_T0_E_clISt17integral_constantIbLb1EESZ_EEDaSU_SV_EUlSU_E_NS1_11comp_targetILNS1_3genE0ELNS1_11target_archE4294967295ELNS1_3gpuE0ELNS1_3repE0EEENS1_30default_config_static_selectorELNS0_4arch9wavefront6targetE0EEEvT1_: ; @_ZN7rocprim17ROCPRIM_400000_NS6detail17trampoline_kernelINS0_14default_configENS1_27scan_by_key_config_selectorIjjEEZZNS1_16scan_by_key_implILNS1_25lookback_scan_determinismE0ELb0ES3_N6thrust23THRUST_200600_302600_NS6detail15normal_iteratorINS9_10device_ptrIjEEEESE_SE_jNS9_4plusIvEENS9_8equal_toIvEEjEE10hipError_tPvRmT2_T3_T4_T5_mT6_T7_P12ihipStream_tbENKUlT_T0_E_clISt17integral_constantIbLb1EESZ_EEDaSU_SV_EUlSU_E_NS1_11comp_targetILNS1_3genE0ELNS1_11target_archE4294967295ELNS1_3gpuE0ELNS1_3repE0EEENS1_30default_config_static_selectorELNS0_4arch9wavefront6targetE0EEEvT1_
; %bb.0:
	s_endpgm
	.section	.rodata,"a",@progbits
	.p2align	6, 0x0
	.amdhsa_kernel _ZN7rocprim17ROCPRIM_400000_NS6detail17trampoline_kernelINS0_14default_configENS1_27scan_by_key_config_selectorIjjEEZZNS1_16scan_by_key_implILNS1_25lookback_scan_determinismE0ELb0ES3_N6thrust23THRUST_200600_302600_NS6detail15normal_iteratorINS9_10device_ptrIjEEEESE_SE_jNS9_4plusIvEENS9_8equal_toIvEEjEE10hipError_tPvRmT2_T3_T4_T5_mT6_T7_P12ihipStream_tbENKUlT_T0_E_clISt17integral_constantIbLb1EESZ_EEDaSU_SV_EUlSU_E_NS1_11comp_targetILNS1_3genE0ELNS1_11target_archE4294967295ELNS1_3gpuE0ELNS1_3repE0EEENS1_30default_config_static_selectorELNS0_4arch9wavefront6targetE0EEEvT1_
		.amdhsa_group_segment_fixed_size 0
		.amdhsa_private_segment_fixed_size 0
		.amdhsa_kernarg_size 112
		.amdhsa_user_sgpr_count 2
		.amdhsa_user_sgpr_dispatch_ptr 0
		.amdhsa_user_sgpr_queue_ptr 0
		.amdhsa_user_sgpr_kernarg_segment_ptr 1
		.amdhsa_user_sgpr_dispatch_id 0
		.amdhsa_user_sgpr_kernarg_preload_length 0
		.amdhsa_user_sgpr_kernarg_preload_offset 0
		.amdhsa_user_sgpr_private_segment_size 0
		.amdhsa_wavefront_size32 1
		.amdhsa_uses_dynamic_stack 0
		.amdhsa_enable_private_segment 0
		.amdhsa_system_sgpr_workgroup_id_x 1
		.amdhsa_system_sgpr_workgroup_id_y 0
		.amdhsa_system_sgpr_workgroup_id_z 0
		.amdhsa_system_sgpr_workgroup_info 0
		.amdhsa_system_vgpr_workitem_id 0
		.amdhsa_next_free_vgpr 1
		.amdhsa_next_free_sgpr 1
		.amdhsa_named_barrier_count 0
		.amdhsa_reserve_vcc 0
		.amdhsa_float_round_mode_32 0
		.amdhsa_float_round_mode_16_64 0
		.amdhsa_float_denorm_mode_32 3
		.amdhsa_float_denorm_mode_16_64 3
		.amdhsa_fp16_overflow 0
		.amdhsa_memory_ordered 1
		.amdhsa_forward_progress 1
		.amdhsa_inst_pref_size 1
		.amdhsa_round_robin_scheduling 0
		.amdhsa_exception_fp_ieee_invalid_op 0
		.amdhsa_exception_fp_denorm_src 0
		.amdhsa_exception_fp_ieee_div_zero 0
		.amdhsa_exception_fp_ieee_overflow 0
		.amdhsa_exception_fp_ieee_underflow 0
		.amdhsa_exception_fp_ieee_inexact 0
		.amdhsa_exception_int_div_zero 0
	.end_amdhsa_kernel
	.section	.text._ZN7rocprim17ROCPRIM_400000_NS6detail17trampoline_kernelINS0_14default_configENS1_27scan_by_key_config_selectorIjjEEZZNS1_16scan_by_key_implILNS1_25lookback_scan_determinismE0ELb0ES3_N6thrust23THRUST_200600_302600_NS6detail15normal_iteratorINS9_10device_ptrIjEEEESE_SE_jNS9_4plusIvEENS9_8equal_toIvEEjEE10hipError_tPvRmT2_T3_T4_T5_mT6_T7_P12ihipStream_tbENKUlT_T0_E_clISt17integral_constantIbLb1EESZ_EEDaSU_SV_EUlSU_E_NS1_11comp_targetILNS1_3genE0ELNS1_11target_archE4294967295ELNS1_3gpuE0ELNS1_3repE0EEENS1_30default_config_static_selectorELNS0_4arch9wavefront6targetE0EEEvT1_,"axG",@progbits,_ZN7rocprim17ROCPRIM_400000_NS6detail17trampoline_kernelINS0_14default_configENS1_27scan_by_key_config_selectorIjjEEZZNS1_16scan_by_key_implILNS1_25lookback_scan_determinismE0ELb0ES3_N6thrust23THRUST_200600_302600_NS6detail15normal_iteratorINS9_10device_ptrIjEEEESE_SE_jNS9_4plusIvEENS9_8equal_toIvEEjEE10hipError_tPvRmT2_T3_T4_T5_mT6_T7_P12ihipStream_tbENKUlT_T0_E_clISt17integral_constantIbLb1EESZ_EEDaSU_SV_EUlSU_E_NS1_11comp_targetILNS1_3genE0ELNS1_11target_archE4294967295ELNS1_3gpuE0ELNS1_3repE0EEENS1_30default_config_static_selectorELNS0_4arch9wavefront6targetE0EEEvT1_,comdat
.Lfunc_end1836:
	.size	_ZN7rocprim17ROCPRIM_400000_NS6detail17trampoline_kernelINS0_14default_configENS1_27scan_by_key_config_selectorIjjEEZZNS1_16scan_by_key_implILNS1_25lookback_scan_determinismE0ELb0ES3_N6thrust23THRUST_200600_302600_NS6detail15normal_iteratorINS9_10device_ptrIjEEEESE_SE_jNS9_4plusIvEENS9_8equal_toIvEEjEE10hipError_tPvRmT2_T3_T4_T5_mT6_T7_P12ihipStream_tbENKUlT_T0_E_clISt17integral_constantIbLb1EESZ_EEDaSU_SV_EUlSU_E_NS1_11comp_targetILNS1_3genE0ELNS1_11target_archE4294967295ELNS1_3gpuE0ELNS1_3repE0EEENS1_30default_config_static_selectorELNS0_4arch9wavefront6targetE0EEEvT1_, .Lfunc_end1836-_ZN7rocprim17ROCPRIM_400000_NS6detail17trampoline_kernelINS0_14default_configENS1_27scan_by_key_config_selectorIjjEEZZNS1_16scan_by_key_implILNS1_25lookback_scan_determinismE0ELb0ES3_N6thrust23THRUST_200600_302600_NS6detail15normal_iteratorINS9_10device_ptrIjEEEESE_SE_jNS9_4plusIvEENS9_8equal_toIvEEjEE10hipError_tPvRmT2_T3_T4_T5_mT6_T7_P12ihipStream_tbENKUlT_T0_E_clISt17integral_constantIbLb1EESZ_EEDaSU_SV_EUlSU_E_NS1_11comp_targetILNS1_3genE0ELNS1_11target_archE4294967295ELNS1_3gpuE0ELNS1_3repE0EEENS1_30default_config_static_selectorELNS0_4arch9wavefront6targetE0EEEvT1_
                                        ; -- End function
	.set _ZN7rocprim17ROCPRIM_400000_NS6detail17trampoline_kernelINS0_14default_configENS1_27scan_by_key_config_selectorIjjEEZZNS1_16scan_by_key_implILNS1_25lookback_scan_determinismE0ELb0ES3_N6thrust23THRUST_200600_302600_NS6detail15normal_iteratorINS9_10device_ptrIjEEEESE_SE_jNS9_4plusIvEENS9_8equal_toIvEEjEE10hipError_tPvRmT2_T3_T4_T5_mT6_T7_P12ihipStream_tbENKUlT_T0_E_clISt17integral_constantIbLb1EESZ_EEDaSU_SV_EUlSU_E_NS1_11comp_targetILNS1_3genE0ELNS1_11target_archE4294967295ELNS1_3gpuE0ELNS1_3repE0EEENS1_30default_config_static_selectorELNS0_4arch9wavefront6targetE0EEEvT1_.num_vgpr, 0
	.set _ZN7rocprim17ROCPRIM_400000_NS6detail17trampoline_kernelINS0_14default_configENS1_27scan_by_key_config_selectorIjjEEZZNS1_16scan_by_key_implILNS1_25lookback_scan_determinismE0ELb0ES3_N6thrust23THRUST_200600_302600_NS6detail15normal_iteratorINS9_10device_ptrIjEEEESE_SE_jNS9_4plusIvEENS9_8equal_toIvEEjEE10hipError_tPvRmT2_T3_T4_T5_mT6_T7_P12ihipStream_tbENKUlT_T0_E_clISt17integral_constantIbLb1EESZ_EEDaSU_SV_EUlSU_E_NS1_11comp_targetILNS1_3genE0ELNS1_11target_archE4294967295ELNS1_3gpuE0ELNS1_3repE0EEENS1_30default_config_static_selectorELNS0_4arch9wavefront6targetE0EEEvT1_.num_agpr, 0
	.set _ZN7rocprim17ROCPRIM_400000_NS6detail17trampoline_kernelINS0_14default_configENS1_27scan_by_key_config_selectorIjjEEZZNS1_16scan_by_key_implILNS1_25lookback_scan_determinismE0ELb0ES3_N6thrust23THRUST_200600_302600_NS6detail15normal_iteratorINS9_10device_ptrIjEEEESE_SE_jNS9_4plusIvEENS9_8equal_toIvEEjEE10hipError_tPvRmT2_T3_T4_T5_mT6_T7_P12ihipStream_tbENKUlT_T0_E_clISt17integral_constantIbLb1EESZ_EEDaSU_SV_EUlSU_E_NS1_11comp_targetILNS1_3genE0ELNS1_11target_archE4294967295ELNS1_3gpuE0ELNS1_3repE0EEENS1_30default_config_static_selectorELNS0_4arch9wavefront6targetE0EEEvT1_.numbered_sgpr, 0
	.set _ZN7rocprim17ROCPRIM_400000_NS6detail17trampoline_kernelINS0_14default_configENS1_27scan_by_key_config_selectorIjjEEZZNS1_16scan_by_key_implILNS1_25lookback_scan_determinismE0ELb0ES3_N6thrust23THRUST_200600_302600_NS6detail15normal_iteratorINS9_10device_ptrIjEEEESE_SE_jNS9_4plusIvEENS9_8equal_toIvEEjEE10hipError_tPvRmT2_T3_T4_T5_mT6_T7_P12ihipStream_tbENKUlT_T0_E_clISt17integral_constantIbLb1EESZ_EEDaSU_SV_EUlSU_E_NS1_11comp_targetILNS1_3genE0ELNS1_11target_archE4294967295ELNS1_3gpuE0ELNS1_3repE0EEENS1_30default_config_static_selectorELNS0_4arch9wavefront6targetE0EEEvT1_.num_named_barrier, 0
	.set _ZN7rocprim17ROCPRIM_400000_NS6detail17trampoline_kernelINS0_14default_configENS1_27scan_by_key_config_selectorIjjEEZZNS1_16scan_by_key_implILNS1_25lookback_scan_determinismE0ELb0ES3_N6thrust23THRUST_200600_302600_NS6detail15normal_iteratorINS9_10device_ptrIjEEEESE_SE_jNS9_4plusIvEENS9_8equal_toIvEEjEE10hipError_tPvRmT2_T3_T4_T5_mT6_T7_P12ihipStream_tbENKUlT_T0_E_clISt17integral_constantIbLb1EESZ_EEDaSU_SV_EUlSU_E_NS1_11comp_targetILNS1_3genE0ELNS1_11target_archE4294967295ELNS1_3gpuE0ELNS1_3repE0EEENS1_30default_config_static_selectorELNS0_4arch9wavefront6targetE0EEEvT1_.private_seg_size, 0
	.set _ZN7rocprim17ROCPRIM_400000_NS6detail17trampoline_kernelINS0_14default_configENS1_27scan_by_key_config_selectorIjjEEZZNS1_16scan_by_key_implILNS1_25lookback_scan_determinismE0ELb0ES3_N6thrust23THRUST_200600_302600_NS6detail15normal_iteratorINS9_10device_ptrIjEEEESE_SE_jNS9_4plusIvEENS9_8equal_toIvEEjEE10hipError_tPvRmT2_T3_T4_T5_mT6_T7_P12ihipStream_tbENKUlT_T0_E_clISt17integral_constantIbLb1EESZ_EEDaSU_SV_EUlSU_E_NS1_11comp_targetILNS1_3genE0ELNS1_11target_archE4294967295ELNS1_3gpuE0ELNS1_3repE0EEENS1_30default_config_static_selectorELNS0_4arch9wavefront6targetE0EEEvT1_.uses_vcc, 0
	.set _ZN7rocprim17ROCPRIM_400000_NS6detail17trampoline_kernelINS0_14default_configENS1_27scan_by_key_config_selectorIjjEEZZNS1_16scan_by_key_implILNS1_25lookback_scan_determinismE0ELb0ES3_N6thrust23THRUST_200600_302600_NS6detail15normal_iteratorINS9_10device_ptrIjEEEESE_SE_jNS9_4plusIvEENS9_8equal_toIvEEjEE10hipError_tPvRmT2_T3_T4_T5_mT6_T7_P12ihipStream_tbENKUlT_T0_E_clISt17integral_constantIbLb1EESZ_EEDaSU_SV_EUlSU_E_NS1_11comp_targetILNS1_3genE0ELNS1_11target_archE4294967295ELNS1_3gpuE0ELNS1_3repE0EEENS1_30default_config_static_selectorELNS0_4arch9wavefront6targetE0EEEvT1_.uses_flat_scratch, 0
	.set _ZN7rocprim17ROCPRIM_400000_NS6detail17trampoline_kernelINS0_14default_configENS1_27scan_by_key_config_selectorIjjEEZZNS1_16scan_by_key_implILNS1_25lookback_scan_determinismE0ELb0ES3_N6thrust23THRUST_200600_302600_NS6detail15normal_iteratorINS9_10device_ptrIjEEEESE_SE_jNS9_4plusIvEENS9_8equal_toIvEEjEE10hipError_tPvRmT2_T3_T4_T5_mT6_T7_P12ihipStream_tbENKUlT_T0_E_clISt17integral_constantIbLb1EESZ_EEDaSU_SV_EUlSU_E_NS1_11comp_targetILNS1_3genE0ELNS1_11target_archE4294967295ELNS1_3gpuE0ELNS1_3repE0EEENS1_30default_config_static_selectorELNS0_4arch9wavefront6targetE0EEEvT1_.has_dyn_sized_stack, 0
	.set _ZN7rocprim17ROCPRIM_400000_NS6detail17trampoline_kernelINS0_14default_configENS1_27scan_by_key_config_selectorIjjEEZZNS1_16scan_by_key_implILNS1_25lookback_scan_determinismE0ELb0ES3_N6thrust23THRUST_200600_302600_NS6detail15normal_iteratorINS9_10device_ptrIjEEEESE_SE_jNS9_4plusIvEENS9_8equal_toIvEEjEE10hipError_tPvRmT2_T3_T4_T5_mT6_T7_P12ihipStream_tbENKUlT_T0_E_clISt17integral_constantIbLb1EESZ_EEDaSU_SV_EUlSU_E_NS1_11comp_targetILNS1_3genE0ELNS1_11target_archE4294967295ELNS1_3gpuE0ELNS1_3repE0EEENS1_30default_config_static_selectorELNS0_4arch9wavefront6targetE0EEEvT1_.has_recursion, 0
	.set _ZN7rocprim17ROCPRIM_400000_NS6detail17trampoline_kernelINS0_14default_configENS1_27scan_by_key_config_selectorIjjEEZZNS1_16scan_by_key_implILNS1_25lookback_scan_determinismE0ELb0ES3_N6thrust23THRUST_200600_302600_NS6detail15normal_iteratorINS9_10device_ptrIjEEEESE_SE_jNS9_4plusIvEENS9_8equal_toIvEEjEE10hipError_tPvRmT2_T3_T4_T5_mT6_T7_P12ihipStream_tbENKUlT_T0_E_clISt17integral_constantIbLb1EESZ_EEDaSU_SV_EUlSU_E_NS1_11comp_targetILNS1_3genE0ELNS1_11target_archE4294967295ELNS1_3gpuE0ELNS1_3repE0EEENS1_30default_config_static_selectorELNS0_4arch9wavefront6targetE0EEEvT1_.has_indirect_call, 0
	.section	.AMDGPU.csdata,"",@progbits
; Kernel info:
; codeLenInByte = 4
; TotalNumSgprs: 0
; NumVgprs: 0
; ScratchSize: 0
; MemoryBound: 0
; FloatMode: 240
; IeeeMode: 1
; LDSByteSize: 0 bytes/workgroup (compile time only)
; SGPRBlocks: 0
; VGPRBlocks: 0
; NumSGPRsForWavesPerEU: 1
; NumVGPRsForWavesPerEU: 1
; NamedBarCnt: 0
; Occupancy: 16
; WaveLimiterHint : 0
; COMPUTE_PGM_RSRC2:SCRATCH_EN: 0
; COMPUTE_PGM_RSRC2:USER_SGPR: 2
; COMPUTE_PGM_RSRC2:TRAP_HANDLER: 0
; COMPUTE_PGM_RSRC2:TGID_X_EN: 1
; COMPUTE_PGM_RSRC2:TGID_Y_EN: 0
; COMPUTE_PGM_RSRC2:TGID_Z_EN: 0
; COMPUTE_PGM_RSRC2:TIDIG_COMP_CNT: 0
	.section	.text._ZN7rocprim17ROCPRIM_400000_NS6detail17trampoline_kernelINS0_14default_configENS1_27scan_by_key_config_selectorIjjEEZZNS1_16scan_by_key_implILNS1_25lookback_scan_determinismE0ELb0ES3_N6thrust23THRUST_200600_302600_NS6detail15normal_iteratorINS9_10device_ptrIjEEEESE_SE_jNS9_4plusIvEENS9_8equal_toIvEEjEE10hipError_tPvRmT2_T3_T4_T5_mT6_T7_P12ihipStream_tbENKUlT_T0_E_clISt17integral_constantIbLb1EESZ_EEDaSU_SV_EUlSU_E_NS1_11comp_targetILNS1_3genE10ELNS1_11target_archE1201ELNS1_3gpuE5ELNS1_3repE0EEENS1_30default_config_static_selectorELNS0_4arch9wavefront6targetE0EEEvT1_,"axG",@progbits,_ZN7rocprim17ROCPRIM_400000_NS6detail17trampoline_kernelINS0_14default_configENS1_27scan_by_key_config_selectorIjjEEZZNS1_16scan_by_key_implILNS1_25lookback_scan_determinismE0ELb0ES3_N6thrust23THRUST_200600_302600_NS6detail15normal_iteratorINS9_10device_ptrIjEEEESE_SE_jNS9_4plusIvEENS9_8equal_toIvEEjEE10hipError_tPvRmT2_T3_T4_T5_mT6_T7_P12ihipStream_tbENKUlT_T0_E_clISt17integral_constantIbLb1EESZ_EEDaSU_SV_EUlSU_E_NS1_11comp_targetILNS1_3genE10ELNS1_11target_archE1201ELNS1_3gpuE5ELNS1_3repE0EEENS1_30default_config_static_selectorELNS0_4arch9wavefront6targetE0EEEvT1_,comdat
	.protected	_ZN7rocprim17ROCPRIM_400000_NS6detail17trampoline_kernelINS0_14default_configENS1_27scan_by_key_config_selectorIjjEEZZNS1_16scan_by_key_implILNS1_25lookback_scan_determinismE0ELb0ES3_N6thrust23THRUST_200600_302600_NS6detail15normal_iteratorINS9_10device_ptrIjEEEESE_SE_jNS9_4plusIvEENS9_8equal_toIvEEjEE10hipError_tPvRmT2_T3_T4_T5_mT6_T7_P12ihipStream_tbENKUlT_T0_E_clISt17integral_constantIbLb1EESZ_EEDaSU_SV_EUlSU_E_NS1_11comp_targetILNS1_3genE10ELNS1_11target_archE1201ELNS1_3gpuE5ELNS1_3repE0EEENS1_30default_config_static_selectorELNS0_4arch9wavefront6targetE0EEEvT1_ ; -- Begin function _ZN7rocprim17ROCPRIM_400000_NS6detail17trampoline_kernelINS0_14default_configENS1_27scan_by_key_config_selectorIjjEEZZNS1_16scan_by_key_implILNS1_25lookback_scan_determinismE0ELb0ES3_N6thrust23THRUST_200600_302600_NS6detail15normal_iteratorINS9_10device_ptrIjEEEESE_SE_jNS9_4plusIvEENS9_8equal_toIvEEjEE10hipError_tPvRmT2_T3_T4_T5_mT6_T7_P12ihipStream_tbENKUlT_T0_E_clISt17integral_constantIbLb1EESZ_EEDaSU_SV_EUlSU_E_NS1_11comp_targetILNS1_3genE10ELNS1_11target_archE1201ELNS1_3gpuE5ELNS1_3repE0EEENS1_30default_config_static_selectorELNS0_4arch9wavefront6targetE0EEEvT1_
	.globl	_ZN7rocprim17ROCPRIM_400000_NS6detail17trampoline_kernelINS0_14default_configENS1_27scan_by_key_config_selectorIjjEEZZNS1_16scan_by_key_implILNS1_25lookback_scan_determinismE0ELb0ES3_N6thrust23THRUST_200600_302600_NS6detail15normal_iteratorINS9_10device_ptrIjEEEESE_SE_jNS9_4plusIvEENS9_8equal_toIvEEjEE10hipError_tPvRmT2_T3_T4_T5_mT6_T7_P12ihipStream_tbENKUlT_T0_E_clISt17integral_constantIbLb1EESZ_EEDaSU_SV_EUlSU_E_NS1_11comp_targetILNS1_3genE10ELNS1_11target_archE1201ELNS1_3gpuE5ELNS1_3repE0EEENS1_30default_config_static_selectorELNS0_4arch9wavefront6targetE0EEEvT1_
	.p2align	8
	.type	_ZN7rocprim17ROCPRIM_400000_NS6detail17trampoline_kernelINS0_14default_configENS1_27scan_by_key_config_selectorIjjEEZZNS1_16scan_by_key_implILNS1_25lookback_scan_determinismE0ELb0ES3_N6thrust23THRUST_200600_302600_NS6detail15normal_iteratorINS9_10device_ptrIjEEEESE_SE_jNS9_4plusIvEENS9_8equal_toIvEEjEE10hipError_tPvRmT2_T3_T4_T5_mT6_T7_P12ihipStream_tbENKUlT_T0_E_clISt17integral_constantIbLb1EESZ_EEDaSU_SV_EUlSU_E_NS1_11comp_targetILNS1_3genE10ELNS1_11target_archE1201ELNS1_3gpuE5ELNS1_3repE0EEENS1_30default_config_static_selectorELNS0_4arch9wavefront6targetE0EEEvT1_,@function
_ZN7rocprim17ROCPRIM_400000_NS6detail17trampoline_kernelINS0_14default_configENS1_27scan_by_key_config_selectorIjjEEZZNS1_16scan_by_key_implILNS1_25lookback_scan_determinismE0ELb0ES3_N6thrust23THRUST_200600_302600_NS6detail15normal_iteratorINS9_10device_ptrIjEEEESE_SE_jNS9_4plusIvEENS9_8equal_toIvEEjEE10hipError_tPvRmT2_T3_T4_T5_mT6_T7_P12ihipStream_tbENKUlT_T0_E_clISt17integral_constantIbLb1EESZ_EEDaSU_SV_EUlSU_E_NS1_11comp_targetILNS1_3genE10ELNS1_11target_archE1201ELNS1_3gpuE5ELNS1_3repE0EEENS1_30default_config_static_selectorELNS0_4arch9wavefront6targetE0EEEvT1_: ; @_ZN7rocprim17ROCPRIM_400000_NS6detail17trampoline_kernelINS0_14default_configENS1_27scan_by_key_config_selectorIjjEEZZNS1_16scan_by_key_implILNS1_25lookback_scan_determinismE0ELb0ES3_N6thrust23THRUST_200600_302600_NS6detail15normal_iteratorINS9_10device_ptrIjEEEESE_SE_jNS9_4plusIvEENS9_8equal_toIvEEjEE10hipError_tPvRmT2_T3_T4_T5_mT6_T7_P12ihipStream_tbENKUlT_T0_E_clISt17integral_constantIbLb1EESZ_EEDaSU_SV_EUlSU_E_NS1_11comp_targetILNS1_3genE10ELNS1_11target_archE1201ELNS1_3gpuE5ELNS1_3repE0EEENS1_30default_config_static_selectorELNS0_4arch9wavefront6targetE0EEEvT1_
; %bb.0:
	.section	.rodata,"a",@progbits
	.p2align	6, 0x0
	.amdhsa_kernel _ZN7rocprim17ROCPRIM_400000_NS6detail17trampoline_kernelINS0_14default_configENS1_27scan_by_key_config_selectorIjjEEZZNS1_16scan_by_key_implILNS1_25lookback_scan_determinismE0ELb0ES3_N6thrust23THRUST_200600_302600_NS6detail15normal_iteratorINS9_10device_ptrIjEEEESE_SE_jNS9_4plusIvEENS9_8equal_toIvEEjEE10hipError_tPvRmT2_T3_T4_T5_mT6_T7_P12ihipStream_tbENKUlT_T0_E_clISt17integral_constantIbLb1EESZ_EEDaSU_SV_EUlSU_E_NS1_11comp_targetILNS1_3genE10ELNS1_11target_archE1201ELNS1_3gpuE5ELNS1_3repE0EEENS1_30default_config_static_selectorELNS0_4arch9wavefront6targetE0EEEvT1_
		.amdhsa_group_segment_fixed_size 0
		.amdhsa_private_segment_fixed_size 0
		.amdhsa_kernarg_size 112
		.amdhsa_user_sgpr_count 2
		.amdhsa_user_sgpr_dispatch_ptr 0
		.amdhsa_user_sgpr_queue_ptr 0
		.amdhsa_user_sgpr_kernarg_segment_ptr 1
		.amdhsa_user_sgpr_dispatch_id 0
		.amdhsa_user_sgpr_kernarg_preload_length 0
		.amdhsa_user_sgpr_kernarg_preload_offset 0
		.amdhsa_user_sgpr_private_segment_size 0
		.amdhsa_wavefront_size32 1
		.amdhsa_uses_dynamic_stack 0
		.amdhsa_enable_private_segment 0
		.amdhsa_system_sgpr_workgroup_id_x 1
		.amdhsa_system_sgpr_workgroup_id_y 0
		.amdhsa_system_sgpr_workgroup_id_z 0
		.amdhsa_system_sgpr_workgroup_info 0
		.amdhsa_system_vgpr_workitem_id 0
		.amdhsa_next_free_vgpr 1
		.amdhsa_next_free_sgpr 1
		.amdhsa_named_barrier_count 0
		.amdhsa_reserve_vcc 0
		.amdhsa_float_round_mode_32 0
		.amdhsa_float_round_mode_16_64 0
		.amdhsa_float_denorm_mode_32 3
		.amdhsa_float_denorm_mode_16_64 3
		.amdhsa_fp16_overflow 0
		.amdhsa_memory_ordered 1
		.amdhsa_forward_progress 1
		.amdhsa_inst_pref_size 0
		.amdhsa_round_robin_scheduling 0
		.amdhsa_exception_fp_ieee_invalid_op 0
		.amdhsa_exception_fp_denorm_src 0
		.amdhsa_exception_fp_ieee_div_zero 0
		.amdhsa_exception_fp_ieee_overflow 0
		.amdhsa_exception_fp_ieee_underflow 0
		.amdhsa_exception_fp_ieee_inexact 0
		.amdhsa_exception_int_div_zero 0
	.end_amdhsa_kernel
	.section	.text._ZN7rocprim17ROCPRIM_400000_NS6detail17trampoline_kernelINS0_14default_configENS1_27scan_by_key_config_selectorIjjEEZZNS1_16scan_by_key_implILNS1_25lookback_scan_determinismE0ELb0ES3_N6thrust23THRUST_200600_302600_NS6detail15normal_iteratorINS9_10device_ptrIjEEEESE_SE_jNS9_4plusIvEENS9_8equal_toIvEEjEE10hipError_tPvRmT2_T3_T4_T5_mT6_T7_P12ihipStream_tbENKUlT_T0_E_clISt17integral_constantIbLb1EESZ_EEDaSU_SV_EUlSU_E_NS1_11comp_targetILNS1_3genE10ELNS1_11target_archE1201ELNS1_3gpuE5ELNS1_3repE0EEENS1_30default_config_static_selectorELNS0_4arch9wavefront6targetE0EEEvT1_,"axG",@progbits,_ZN7rocprim17ROCPRIM_400000_NS6detail17trampoline_kernelINS0_14default_configENS1_27scan_by_key_config_selectorIjjEEZZNS1_16scan_by_key_implILNS1_25lookback_scan_determinismE0ELb0ES3_N6thrust23THRUST_200600_302600_NS6detail15normal_iteratorINS9_10device_ptrIjEEEESE_SE_jNS9_4plusIvEENS9_8equal_toIvEEjEE10hipError_tPvRmT2_T3_T4_T5_mT6_T7_P12ihipStream_tbENKUlT_T0_E_clISt17integral_constantIbLb1EESZ_EEDaSU_SV_EUlSU_E_NS1_11comp_targetILNS1_3genE10ELNS1_11target_archE1201ELNS1_3gpuE5ELNS1_3repE0EEENS1_30default_config_static_selectorELNS0_4arch9wavefront6targetE0EEEvT1_,comdat
.Lfunc_end1837:
	.size	_ZN7rocprim17ROCPRIM_400000_NS6detail17trampoline_kernelINS0_14default_configENS1_27scan_by_key_config_selectorIjjEEZZNS1_16scan_by_key_implILNS1_25lookback_scan_determinismE0ELb0ES3_N6thrust23THRUST_200600_302600_NS6detail15normal_iteratorINS9_10device_ptrIjEEEESE_SE_jNS9_4plusIvEENS9_8equal_toIvEEjEE10hipError_tPvRmT2_T3_T4_T5_mT6_T7_P12ihipStream_tbENKUlT_T0_E_clISt17integral_constantIbLb1EESZ_EEDaSU_SV_EUlSU_E_NS1_11comp_targetILNS1_3genE10ELNS1_11target_archE1201ELNS1_3gpuE5ELNS1_3repE0EEENS1_30default_config_static_selectorELNS0_4arch9wavefront6targetE0EEEvT1_, .Lfunc_end1837-_ZN7rocprim17ROCPRIM_400000_NS6detail17trampoline_kernelINS0_14default_configENS1_27scan_by_key_config_selectorIjjEEZZNS1_16scan_by_key_implILNS1_25lookback_scan_determinismE0ELb0ES3_N6thrust23THRUST_200600_302600_NS6detail15normal_iteratorINS9_10device_ptrIjEEEESE_SE_jNS9_4plusIvEENS9_8equal_toIvEEjEE10hipError_tPvRmT2_T3_T4_T5_mT6_T7_P12ihipStream_tbENKUlT_T0_E_clISt17integral_constantIbLb1EESZ_EEDaSU_SV_EUlSU_E_NS1_11comp_targetILNS1_3genE10ELNS1_11target_archE1201ELNS1_3gpuE5ELNS1_3repE0EEENS1_30default_config_static_selectorELNS0_4arch9wavefront6targetE0EEEvT1_
                                        ; -- End function
	.set _ZN7rocprim17ROCPRIM_400000_NS6detail17trampoline_kernelINS0_14default_configENS1_27scan_by_key_config_selectorIjjEEZZNS1_16scan_by_key_implILNS1_25lookback_scan_determinismE0ELb0ES3_N6thrust23THRUST_200600_302600_NS6detail15normal_iteratorINS9_10device_ptrIjEEEESE_SE_jNS9_4plusIvEENS9_8equal_toIvEEjEE10hipError_tPvRmT2_T3_T4_T5_mT6_T7_P12ihipStream_tbENKUlT_T0_E_clISt17integral_constantIbLb1EESZ_EEDaSU_SV_EUlSU_E_NS1_11comp_targetILNS1_3genE10ELNS1_11target_archE1201ELNS1_3gpuE5ELNS1_3repE0EEENS1_30default_config_static_selectorELNS0_4arch9wavefront6targetE0EEEvT1_.num_vgpr, 0
	.set _ZN7rocprim17ROCPRIM_400000_NS6detail17trampoline_kernelINS0_14default_configENS1_27scan_by_key_config_selectorIjjEEZZNS1_16scan_by_key_implILNS1_25lookback_scan_determinismE0ELb0ES3_N6thrust23THRUST_200600_302600_NS6detail15normal_iteratorINS9_10device_ptrIjEEEESE_SE_jNS9_4plusIvEENS9_8equal_toIvEEjEE10hipError_tPvRmT2_T3_T4_T5_mT6_T7_P12ihipStream_tbENKUlT_T0_E_clISt17integral_constantIbLb1EESZ_EEDaSU_SV_EUlSU_E_NS1_11comp_targetILNS1_3genE10ELNS1_11target_archE1201ELNS1_3gpuE5ELNS1_3repE0EEENS1_30default_config_static_selectorELNS0_4arch9wavefront6targetE0EEEvT1_.num_agpr, 0
	.set _ZN7rocprim17ROCPRIM_400000_NS6detail17trampoline_kernelINS0_14default_configENS1_27scan_by_key_config_selectorIjjEEZZNS1_16scan_by_key_implILNS1_25lookback_scan_determinismE0ELb0ES3_N6thrust23THRUST_200600_302600_NS6detail15normal_iteratorINS9_10device_ptrIjEEEESE_SE_jNS9_4plusIvEENS9_8equal_toIvEEjEE10hipError_tPvRmT2_T3_T4_T5_mT6_T7_P12ihipStream_tbENKUlT_T0_E_clISt17integral_constantIbLb1EESZ_EEDaSU_SV_EUlSU_E_NS1_11comp_targetILNS1_3genE10ELNS1_11target_archE1201ELNS1_3gpuE5ELNS1_3repE0EEENS1_30default_config_static_selectorELNS0_4arch9wavefront6targetE0EEEvT1_.numbered_sgpr, 0
	.set _ZN7rocprim17ROCPRIM_400000_NS6detail17trampoline_kernelINS0_14default_configENS1_27scan_by_key_config_selectorIjjEEZZNS1_16scan_by_key_implILNS1_25lookback_scan_determinismE0ELb0ES3_N6thrust23THRUST_200600_302600_NS6detail15normal_iteratorINS9_10device_ptrIjEEEESE_SE_jNS9_4plusIvEENS9_8equal_toIvEEjEE10hipError_tPvRmT2_T3_T4_T5_mT6_T7_P12ihipStream_tbENKUlT_T0_E_clISt17integral_constantIbLb1EESZ_EEDaSU_SV_EUlSU_E_NS1_11comp_targetILNS1_3genE10ELNS1_11target_archE1201ELNS1_3gpuE5ELNS1_3repE0EEENS1_30default_config_static_selectorELNS0_4arch9wavefront6targetE0EEEvT1_.num_named_barrier, 0
	.set _ZN7rocprim17ROCPRIM_400000_NS6detail17trampoline_kernelINS0_14default_configENS1_27scan_by_key_config_selectorIjjEEZZNS1_16scan_by_key_implILNS1_25lookback_scan_determinismE0ELb0ES3_N6thrust23THRUST_200600_302600_NS6detail15normal_iteratorINS9_10device_ptrIjEEEESE_SE_jNS9_4plusIvEENS9_8equal_toIvEEjEE10hipError_tPvRmT2_T3_T4_T5_mT6_T7_P12ihipStream_tbENKUlT_T0_E_clISt17integral_constantIbLb1EESZ_EEDaSU_SV_EUlSU_E_NS1_11comp_targetILNS1_3genE10ELNS1_11target_archE1201ELNS1_3gpuE5ELNS1_3repE0EEENS1_30default_config_static_selectorELNS0_4arch9wavefront6targetE0EEEvT1_.private_seg_size, 0
	.set _ZN7rocprim17ROCPRIM_400000_NS6detail17trampoline_kernelINS0_14default_configENS1_27scan_by_key_config_selectorIjjEEZZNS1_16scan_by_key_implILNS1_25lookback_scan_determinismE0ELb0ES3_N6thrust23THRUST_200600_302600_NS6detail15normal_iteratorINS9_10device_ptrIjEEEESE_SE_jNS9_4plusIvEENS9_8equal_toIvEEjEE10hipError_tPvRmT2_T3_T4_T5_mT6_T7_P12ihipStream_tbENKUlT_T0_E_clISt17integral_constantIbLb1EESZ_EEDaSU_SV_EUlSU_E_NS1_11comp_targetILNS1_3genE10ELNS1_11target_archE1201ELNS1_3gpuE5ELNS1_3repE0EEENS1_30default_config_static_selectorELNS0_4arch9wavefront6targetE0EEEvT1_.uses_vcc, 0
	.set _ZN7rocprim17ROCPRIM_400000_NS6detail17trampoline_kernelINS0_14default_configENS1_27scan_by_key_config_selectorIjjEEZZNS1_16scan_by_key_implILNS1_25lookback_scan_determinismE0ELb0ES3_N6thrust23THRUST_200600_302600_NS6detail15normal_iteratorINS9_10device_ptrIjEEEESE_SE_jNS9_4plusIvEENS9_8equal_toIvEEjEE10hipError_tPvRmT2_T3_T4_T5_mT6_T7_P12ihipStream_tbENKUlT_T0_E_clISt17integral_constantIbLb1EESZ_EEDaSU_SV_EUlSU_E_NS1_11comp_targetILNS1_3genE10ELNS1_11target_archE1201ELNS1_3gpuE5ELNS1_3repE0EEENS1_30default_config_static_selectorELNS0_4arch9wavefront6targetE0EEEvT1_.uses_flat_scratch, 0
	.set _ZN7rocprim17ROCPRIM_400000_NS6detail17trampoline_kernelINS0_14default_configENS1_27scan_by_key_config_selectorIjjEEZZNS1_16scan_by_key_implILNS1_25lookback_scan_determinismE0ELb0ES3_N6thrust23THRUST_200600_302600_NS6detail15normal_iteratorINS9_10device_ptrIjEEEESE_SE_jNS9_4plusIvEENS9_8equal_toIvEEjEE10hipError_tPvRmT2_T3_T4_T5_mT6_T7_P12ihipStream_tbENKUlT_T0_E_clISt17integral_constantIbLb1EESZ_EEDaSU_SV_EUlSU_E_NS1_11comp_targetILNS1_3genE10ELNS1_11target_archE1201ELNS1_3gpuE5ELNS1_3repE0EEENS1_30default_config_static_selectorELNS0_4arch9wavefront6targetE0EEEvT1_.has_dyn_sized_stack, 0
	.set _ZN7rocprim17ROCPRIM_400000_NS6detail17trampoline_kernelINS0_14default_configENS1_27scan_by_key_config_selectorIjjEEZZNS1_16scan_by_key_implILNS1_25lookback_scan_determinismE0ELb0ES3_N6thrust23THRUST_200600_302600_NS6detail15normal_iteratorINS9_10device_ptrIjEEEESE_SE_jNS9_4plusIvEENS9_8equal_toIvEEjEE10hipError_tPvRmT2_T3_T4_T5_mT6_T7_P12ihipStream_tbENKUlT_T0_E_clISt17integral_constantIbLb1EESZ_EEDaSU_SV_EUlSU_E_NS1_11comp_targetILNS1_3genE10ELNS1_11target_archE1201ELNS1_3gpuE5ELNS1_3repE0EEENS1_30default_config_static_selectorELNS0_4arch9wavefront6targetE0EEEvT1_.has_recursion, 0
	.set _ZN7rocprim17ROCPRIM_400000_NS6detail17trampoline_kernelINS0_14default_configENS1_27scan_by_key_config_selectorIjjEEZZNS1_16scan_by_key_implILNS1_25lookback_scan_determinismE0ELb0ES3_N6thrust23THRUST_200600_302600_NS6detail15normal_iteratorINS9_10device_ptrIjEEEESE_SE_jNS9_4plusIvEENS9_8equal_toIvEEjEE10hipError_tPvRmT2_T3_T4_T5_mT6_T7_P12ihipStream_tbENKUlT_T0_E_clISt17integral_constantIbLb1EESZ_EEDaSU_SV_EUlSU_E_NS1_11comp_targetILNS1_3genE10ELNS1_11target_archE1201ELNS1_3gpuE5ELNS1_3repE0EEENS1_30default_config_static_selectorELNS0_4arch9wavefront6targetE0EEEvT1_.has_indirect_call, 0
	.section	.AMDGPU.csdata,"",@progbits
; Kernel info:
; codeLenInByte = 0
; TotalNumSgprs: 0
; NumVgprs: 0
; ScratchSize: 0
; MemoryBound: 0
; FloatMode: 240
; IeeeMode: 1
; LDSByteSize: 0 bytes/workgroup (compile time only)
; SGPRBlocks: 0
; VGPRBlocks: 0
; NumSGPRsForWavesPerEU: 1
; NumVGPRsForWavesPerEU: 1
; NamedBarCnt: 0
; Occupancy: 16
; WaveLimiterHint : 0
; COMPUTE_PGM_RSRC2:SCRATCH_EN: 0
; COMPUTE_PGM_RSRC2:USER_SGPR: 2
; COMPUTE_PGM_RSRC2:TRAP_HANDLER: 0
; COMPUTE_PGM_RSRC2:TGID_X_EN: 1
; COMPUTE_PGM_RSRC2:TGID_Y_EN: 0
; COMPUTE_PGM_RSRC2:TGID_Z_EN: 0
; COMPUTE_PGM_RSRC2:TIDIG_COMP_CNT: 0
	.section	.text._ZN7rocprim17ROCPRIM_400000_NS6detail17trampoline_kernelINS0_14default_configENS1_27scan_by_key_config_selectorIjjEEZZNS1_16scan_by_key_implILNS1_25lookback_scan_determinismE0ELb0ES3_N6thrust23THRUST_200600_302600_NS6detail15normal_iteratorINS9_10device_ptrIjEEEESE_SE_jNS9_4plusIvEENS9_8equal_toIvEEjEE10hipError_tPvRmT2_T3_T4_T5_mT6_T7_P12ihipStream_tbENKUlT_T0_E_clISt17integral_constantIbLb1EESZ_EEDaSU_SV_EUlSU_E_NS1_11comp_targetILNS1_3genE5ELNS1_11target_archE942ELNS1_3gpuE9ELNS1_3repE0EEENS1_30default_config_static_selectorELNS0_4arch9wavefront6targetE0EEEvT1_,"axG",@progbits,_ZN7rocprim17ROCPRIM_400000_NS6detail17trampoline_kernelINS0_14default_configENS1_27scan_by_key_config_selectorIjjEEZZNS1_16scan_by_key_implILNS1_25lookback_scan_determinismE0ELb0ES3_N6thrust23THRUST_200600_302600_NS6detail15normal_iteratorINS9_10device_ptrIjEEEESE_SE_jNS9_4plusIvEENS9_8equal_toIvEEjEE10hipError_tPvRmT2_T3_T4_T5_mT6_T7_P12ihipStream_tbENKUlT_T0_E_clISt17integral_constantIbLb1EESZ_EEDaSU_SV_EUlSU_E_NS1_11comp_targetILNS1_3genE5ELNS1_11target_archE942ELNS1_3gpuE9ELNS1_3repE0EEENS1_30default_config_static_selectorELNS0_4arch9wavefront6targetE0EEEvT1_,comdat
	.protected	_ZN7rocprim17ROCPRIM_400000_NS6detail17trampoline_kernelINS0_14default_configENS1_27scan_by_key_config_selectorIjjEEZZNS1_16scan_by_key_implILNS1_25lookback_scan_determinismE0ELb0ES3_N6thrust23THRUST_200600_302600_NS6detail15normal_iteratorINS9_10device_ptrIjEEEESE_SE_jNS9_4plusIvEENS9_8equal_toIvEEjEE10hipError_tPvRmT2_T3_T4_T5_mT6_T7_P12ihipStream_tbENKUlT_T0_E_clISt17integral_constantIbLb1EESZ_EEDaSU_SV_EUlSU_E_NS1_11comp_targetILNS1_3genE5ELNS1_11target_archE942ELNS1_3gpuE9ELNS1_3repE0EEENS1_30default_config_static_selectorELNS0_4arch9wavefront6targetE0EEEvT1_ ; -- Begin function _ZN7rocprim17ROCPRIM_400000_NS6detail17trampoline_kernelINS0_14default_configENS1_27scan_by_key_config_selectorIjjEEZZNS1_16scan_by_key_implILNS1_25lookback_scan_determinismE0ELb0ES3_N6thrust23THRUST_200600_302600_NS6detail15normal_iteratorINS9_10device_ptrIjEEEESE_SE_jNS9_4plusIvEENS9_8equal_toIvEEjEE10hipError_tPvRmT2_T3_T4_T5_mT6_T7_P12ihipStream_tbENKUlT_T0_E_clISt17integral_constantIbLb1EESZ_EEDaSU_SV_EUlSU_E_NS1_11comp_targetILNS1_3genE5ELNS1_11target_archE942ELNS1_3gpuE9ELNS1_3repE0EEENS1_30default_config_static_selectorELNS0_4arch9wavefront6targetE0EEEvT1_
	.globl	_ZN7rocprim17ROCPRIM_400000_NS6detail17trampoline_kernelINS0_14default_configENS1_27scan_by_key_config_selectorIjjEEZZNS1_16scan_by_key_implILNS1_25lookback_scan_determinismE0ELb0ES3_N6thrust23THRUST_200600_302600_NS6detail15normal_iteratorINS9_10device_ptrIjEEEESE_SE_jNS9_4plusIvEENS9_8equal_toIvEEjEE10hipError_tPvRmT2_T3_T4_T5_mT6_T7_P12ihipStream_tbENKUlT_T0_E_clISt17integral_constantIbLb1EESZ_EEDaSU_SV_EUlSU_E_NS1_11comp_targetILNS1_3genE5ELNS1_11target_archE942ELNS1_3gpuE9ELNS1_3repE0EEENS1_30default_config_static_selectorELNS0_4arch9wavefront6targetE0EEEvT1_
	.p2align	8
	.type	_ZN7rocprim17ROCPRIM_400000_NS6detail17trampoline_kernelINS0_14default_configENS1_27scan_by_key_config_selectorIjjEEZZNS1_16scan_by_key_implILNS1_25lookback_scan_determinismE0ELb0ES3_N6thrust23THRUST_200600_302600_NS6detail15normal_iteratorINS9_10device_ptrIjEEEESE_SE_jNS9_4plusIvEENS9_8equal_toIvEEjEE10hipError_tPvRmT2_T3_T4_T5_mT6_T7_P12ihipStream_tbENKUlT_T0_E_clISt17integral_constantIbLb1EESZ_EEDaSU_SV_EUlSU_E_NS1_11comp_targetILNS1_3genE5ELNS1_11target_archE942ELNS1_3gpuE9ELNS1_3repE0EEENS1_30default_config_static_selectorELNS0_4arch9wavefront6targetE0EEEvT1_,@function
_ZN7rocprim17ROCPRIM_400000_NS6detail17trampoline_kernelINS0_14default_configENS1_27scan_by_key_config_selectorIjjEEZZNS1_16scan_by_key_implILNS1_25lookback_scan_determinismE0ELb0ES3_N6thrust23THRUST_200600_302600_NS6detail15normal_iteratorINS9_10device_ptrIjEEEESE_SE_jNS9_4plusIvEENS9_8equal_toIvEEjEE10hipError_tPvRmT2_T3_T4_T5_mT6_T7_P12ihipStream_tbENKUlT_T0_E_clISt17integral_constantIbLb1EESZ_EEDaSU_SV_EUlSU_E_NS1_11comp_targetILNS1_3genE5ELNS1_11target_archE942ELNS1_3gpuE9ELNS1_3repE0EEENS1_30default_config_static_selectorELNS0_4arch9wavefront6targetE0EEEvT1_: ; @_ZN7rocprim17ROCPRIM_400000_NS6detail17trampoline_kernelINS0_14default_configENS1_27scan_by_key_config_selectorIjjEEZZNS1_16scan_by_key_implILNS1_25lookback_scan_determinismE0ELb0ES3_N6thrust23THRUST_200600_302600_NS6detail15normal_iteratorINS9_10device_ptrIjEEEESE_SE_jNS9_4plusIvEENS9_8equal_toIvEEjEE10hipError_tPvRmT2_T3_T4_T5_mT6_T7_P12ihipStream_tbENKUlT_T0_E_clISt17integral_constantIbLb1EESZ_EEDaSU_SV_EUlSU_E_NS1_11comp_targetILNS1_3genE5ELNS1_11target_archE942ELNS1_3gpuE9ELNS1_3repE0EEENS1_30default_config_static_selectorELNS0_4arch9wavefront6targetE0EEEvT1_
; %bb.0:
	.section	.rodata,"a",@progbits
	.p2align	6, 0x0
	.amdhsa_kernel _ZN7rocprim17ROCPRIM_400000_NS6detail17trampoline_kernelINS0_14default_configENS1_27scan_by_key_config_selectorIjjEEZZNS1_16scan_by_key_implILNS1_25lookback_scan_determinismE0ELb0ES3_N6thrust23THRUST_200600_302600_NS6detail15normal_iteratorINS9_10device_ptrIjEEEESE_SE_jNS9_4plusIvEENS9_8equal_toIvEEjEE10hipError_tPvRmT2_T3_T4_T5_mT6_T7_P12ihipStream_tbENKUlT_T0_E_clISt17integral_constantIbLb1EESZ_EEDaSU_SV_EUlSU_E_NS1_11comp_targetILNS1_3genE5ELNS1_11target_archE942ELNS1_3gpuE9ELNS1_3repE0EEENS1_30default_config_static_selectorELNS0_4arch9wavefront6targetE0EEEvT1_
		.amdhsa_group_segment_fixed_size 0
		.amdhsa_private_segment_fixed_size 0
		.amdhsa_kernarg_size 112
		.amdhsa_user_sgpr_count 2
		.amdhsa_user_sgpr_dispatch_ptr 0
		.amdhsa_user_sgpr_queue_ptr 0
		.amdhsa_user_sgpr_kernarg_segment_ptr 1
		.amdhsa_user_sgpr_dispatch_id 0
		.amdhsa_user_sgpr_kernarg_preload_length 0
		.amdhsa_user_sgpr_kernarg_preload_offset 0
		.amdhsa_user_sgpr_private_segment_size 0
		.amdhsa_wavefront_size32 1
		.amdhsa_uses_dynamic_stack 0
		.amdhsa_enable_private_segment 0
		.amdhsa_system_sgpr_workgroup_id_x 1
		.amdhsa_system_sgpr_workgroup_id_y 0
		.amdhsa_system_sgpr_workgroup_id_z 0
		.amdhsa_system_sgpr_workgroup_info 0
		.amdhsa_system_vgpr_workitem_id 0
		.amdhsa_next_free_vgpr 1
		.amdhsa_next_free_sgpr 1
		.amdhsa_named_barrier_count 0
		.amdhsa_reserve_vcc 0
		.amdhsa_float_round_mode_32 0
		.amdhsa_float_round_mode_16_64 0
		.amdhsa_float_denorm_mode_32 3
		.amdhsa_float_denorm_mode_16_64 3
		.amdhsa_fp16_overflow 0
		.amdhsa_memory_ordered 1
		.amdhsa_forward_progress 1
		.amdhsa_inst_pref_size 0
		.amdhsa_round_robin_scheduling 0
		.amdhsa_exception_fp_ieee_invalid_op 0
		.amdhsa_exception_fp_denorm_src 0
		.amdhsa_exception_fp_ieee_div_zero 0
		.amdhsa_exception_fp_ieee_overflow 0
		.amdhsa_exception_fp_ieee_underflow 0
		.amdhsa_exception_fp_ieee_inexact 0
		.amdhsa_exception_int_div_zero 0
	.end_amdhsa_kernel
	.section	.text._ZN7rocprim17ROCPRIM_400000_NS6detail17trampoline_kernelINS0_14default_configENS1_27scan_by_key_config_selectorIjjEEZZNS1_16scan_by_key_implILNS1_25lookback_scan_determinismE0ELb0ES3_N6thrust23THRUST_200600_302600_NS6detail15normal_iteratorINS9_10device_ptrIjEEEESE_SE_jNS9_4plusIvEENS9_8equal_toIvEEjEE10hipError_tPvRmT2_T3_T4_T5_mT6_T7_P12ihipStream_tbENKUlT_T0_E_clISt17integral_constantIbLb1EESZ_EEDaSU_SV_EUlSU_E_NS1_11comp_targetILNS1_3genE5ELNS1_11target_archE942ELNS1_3gpuE9ELNS1_3repE0EEENS1_30default_config_static_selectorELNS0_4arch9wavefront6targetE0EEEvT1_,"axG",@progbits,_ZN7rocprim17ROCPRIM_400000_NS6detail17trampoline_kernelINS0_14default_configENS1_27scan_by_key_config_selectorIjjEEZZNS1_16scan_by_key_implILNS1_25lookback_scan_determinismE0ELb0ES3_N6thrust23THRUST_200600_302600_NS6detail15normal_iteratorINS9_10device_ptrIjEEEESE_SE_jNS9_4plusIvEENS9_8equal_toIvEEjEE10hipError_tPvRmT2_T3_T4_T5_mT6_T7_P12ihipStream_tbENKUlT_T0_E_clISt17integral_constantIbLb1EESZ_EEDaSU_SV_EUlSU_E_NS1_11comp_targetILNS1_3genE5ELNS1_11target_archE942ELNS1_3gpuE9ELNS1_3repE0EEENS1_30default_config_static_selectorELNS0_4arch9wavefront6targetE0EEEvT1_,comdat
.Lfunc_end1838:
	.size	_ZN7rocprim17ROCPRIM_400000_NS6detail17trampoline_kernelINS0_14default_configENS1_27scan_by_key_config_selectorIjjEEZZNS1_16scan_by_key_implILNS1_25lookback_scan_determinismE0ELb0ES3_N6thrust23THRUST_200600_302600_NS6detail15normal_iteratorINS9_10device_ptrIjEEEESE_SE_jNS9_4plusIvEENS9_8equal_toIvEEjEE10hipError_tPvRmT2_T3_T4_T5_mT6_T7_P12ihipStream_tbENKUlT_T0_E_clISt17integral_constantIbLb1EESZ_EEDaSU_SV_EUlSU_E_NS1_11comp_targetILNS1_3genE5ELNS1_11target_archE942ELNS1_3gpuE9ELNS1_3repE0EEENS1_30default_config_static_selectorELNS0_4arch9wavefront6targetE0EEEvT1_, .Lfunc_end1838-_ZN7rocprim17ROCPRIM_400000_NS6detail17trampoline_kernelINS0_14default_configENS1_27scan_by_key_config_selectorIjjEEZZNS1_16scan_by_key_implILNS1_25lookback_scan_determinismE0ELb0ES3_N6thrust23THRUST_200600_302600_NS6detail15normal_iteratorINS9_10device_ptrIjEEEESE_SE_jNS9_4plusIvEENS9_8equal_toIvEEjEE10hipError_tPvRmT2_T3_T4_T5_mT6_T7_P12ihipStream_tbENKUlT_T0_E_clISt17integral_constantIbLb1EESZ_EEDaSU_SV_EUlSU_E_NS1_11comp_targetILNS1_3genE5ELNS1_11target_archE942ELNS1_3gpuE9ELNS1_3repE0EEENS1_30default_config_static_selectorELNS0_4arch9wavefront6targetE0EEEvT1_
                                        ; -- End function
	.set _ZN7rocprim17ROCPRIM_400000_NS6detail17trampoline_kernelINS0_14default_configENS1_27scan_by_key_config_selectorIjjEEZZNS1_16scan_by_key_implILNS1_25lookback_scan_determinismE0ELb0ES3_N6thrust23THRUST_200600_302600_NS6detail15normal_iteratorINS9_10device_ptrIjEEEESE_SE_jNS9_4plusIvEENS9_8equal_toIvEEjEE10hipError_tPvRmT2_T3_T4_T5_mT6_T7_P12ihipStream_tbENKUlT_T0_E_clISt17integral_constantIbLb1EESZ_EEDaSU_SV_EUlSU_E_NS1_11comp_targetILNS1_3genE5ELNS1_11target_archE942ELNS1_3gpuE9ELNS1_3repE0EEENS1_30default_config_static_selectorELNS0_4arch9wavefront6targetE0EEEvT1_.num_vgpr, 0
	.set _ZN7rocprim17ROCPRIM_400000_NS6detail17trampoline_kernelINS0_14default_configENS1_27scan_by_key_config_selectorIjjEEZZNS1_16scan_by_key_implILNS1_25lookback_scan_determinismE0ELb0ES3_N6thrust23THRUST_200600_302600_NS6detail15normal_iteratorINS9_10device_ptrIjEEEESE_SE_jNS9_4plusIvEENS9_8equal_toIvEEjEE10hipError_tPvRmT2_T3_T4_T5_mT6_T7_P12ihipStream_tbENKUlT_T0_E_clISt17integral_constantIbLb1EESZ_EEDaSU_SV_EUlSU_E_NS1_11comp_targetILNS1_3genE5ELNS1_11target_archE942ELNS1_3gpuE9ELNS1_3repE0EEENS1_30default_config_static_selectorELNS0_4arch9wavefront6targetE0EEEvT1_.num_agpr, 0
	.set _ZN7rocprim17ROCPRIM_400000_NS6detail17trampoline_kernelINS0_14default_configENS1_27scan_by_key_config_selectorIjjEEZZNS1_16scan_by_key_implILNS1_25lookback_scan_determinismE0ELb0ES3_N6thrust23THRUST_200600_302600_NS6detail15normal_iteratorINS9_10device_ptrIjEEEESE_SE_jNS9_4plusIvEENS9_8equal_toIvEEjEE10hipError_tPvRmT2_T3_T4_T5_mT6_T7_P12ihipStream_tbENKUlT_T0_E_clISt17integral_constantIbLb1EESZ_EEDaSU_SV_EUlSU_E_NS1_11comp_targetILNS1_3genE5ELNS1_11target_archE942ELNS1_3gpuE9ELNS1_3repE0EEENS1_30default_config_static_selectorELNS0_4arch9wavefront6targetE0EEEvT1_.numbered_sgpr, 0
	.set _ZN7rocprim17ROCPRIM_400000_NS6detail17trampoline_kernelINS0_14default_configENS1_27scan_by_key_config_selectorIjjEEZZNS1_16scan_by_key_implILNS1_25lookback_scan_determinismE0ELb0ES3_N6thrust23THRUST_200600_302600_NS6detail15normal_iteratorINS9_10device_ptrIjEEEESE_SE_jNS9_4plusIvEENS9_8equal_toIvEEjEE10hipError_tPvRmT2_T3_T4_T5_mT6_T7_P12ihipStream_tbENKUlT_T0_E_clISt17integral_constantIbLb1EESZ_EEDaSU_SV_EUlSU_E_NS1_11comp_targetILNS1_3genE5ELNS1_11target_archE942ELNS1_3gpuE9ELNS1_3repE0EEENS1_30default_config_static_selectorELNS0_4arch9wavefront6targetE0EEEvT1_.num_named_barrier, 0
	.set _ZN7rocprim17ROCPRIM_400000_NS6detail17trampoline_kernelINS0_14default_configENS1_27scan_by_key_config_selectorIjjEEZZNS1_16scan_by_key_implILNS1_25lookback_scan_determinismE0ELb0ES3_N6thrust23THRUST_200600_302600_NS6detail15normal_iteratorINS9_10device_ptrIjEEEESE_SE_jNS9_4plusIvEENS9_8equal_toIvEEjEE10hipError_tPvRmT2_T3_T4_T5_mT6_T7_P12ihipStream_tbENKUlT_T0_E_clISt17integral_constantIbLb1EESZ_EEDaSU_SV_EUlSU_E_NS1_11comp_targetILNS1_3genE5ELNS1_11target_archE942ELNS1_3gpuE9ELNS1_3repE0EEENS1_30default_config_static_selectorELNS0_4arch9wavefront6targetE0EEEvT1_.private_seg_size, 0
	.set _ZN7rocprim17ROCPRIM_400000_NS6detail17trampoline_kernelINS0_14default_configENS1_27scan_by_key_config_selectorIjjEEZZNS1_16scan_by_key_implILNS1_25lookback_scan_determinismE0ELb0ES3_N6thrust23THRUST_200600_302600_NS6detail15normal_iteratorINS9_10device_ptrIjEEEESE_SE_jNS9_4plusIvEENS9_8equal_toIvEEjEE10hipError_tPvRmT2_T3_T4_T5_mT6_T7_P12ihipStream_tbENKUlT_T0_E_clISt17integral_constantIbLb1EESZ_EEDaSU_SV_EUlSU_E_NS1_11comp_targetILNS1_3genE5ELNS1_11target_archE942ELNS1_3gpuE9ELNS1_3repE0EEENS1_30default_config_static_selectorELNS0_4arch9wavefront6targetE0EEEvT1_.uses_vcc, 0
	.set _ZN7rocprim17ROCPRIM_400000_NS6detail17trampoline_kernelINS0_14default_configENS1_27scan_by_key_config_selectorIjjEEZZNS1_16scan_by_key_implILNS1_25lookback_scan_determinismE0ELb0ES3_N6thrust23THRUST_200600_302600_NS6detail15normal_iteratorINS9_10device_ptrIjEEEESE_SE_jNS9_4plusIvEENS9_8equal_toIvEEjEE10hipError_tPvRmT2_T3_T4_T5_mT6_T7_P12ihipStream_tbENKUlT_T0_E_clISt17integral_constantIbLb1EESZ_EEDaSU_SV_EUlSU_E_NS1_11comp_targetILNS1_3genE5ELNS1_11target_archE942ELNS1_3gpuE9ELNS1_3repE0EEENS1_30default_config_static_selectorELNS0_4arch9wavefront6targetE0EEEvT1_.uses_flat_scratch, 0
	.set _ZN7rocprim17ROCPRIM_400000_NS6detail17trampoline_kernelINS0_14default_configENS1_27scan_by_key_config_selectorIjjEEZZNS1_16scan_by_key_implILNS1_25lookback_scan_determinismE0ELb0ES3_N6thrust23THRUST_200600_302600_NS6detail15normal_iteratorINS9_10device_ptrIjEEEESE_SE_jNS9_4plusIvEENS9_8equal_toIvEEjEE10hipError_tPvRmT2_T3_T4_T5_mT6_T7_P12ihipStream_tbENKUlT_T0_E_clISt17integral_constantIbLb1EESZ_EEDaSU_SV_EUlSU_E_NS1_11comp_targetILNS1_3genE5ELNS1_11target_archE942ELNS1_3gpuE9ELNS1_3repE0EEENS1_30default_config_static_selectorELNS0_4arch9wavefront6targetE0EEEvT1_.has_dyn_sized_stack, 0
	.set _ZN7rocprim17ROCPRIM_400000_NS6detail17trampoline_kernelINS0_14default_configENS1_27scan_by_key_config_selectorIjjEEZZNS1_16scan_by_key_implILNS1_25lookback_scan_determinismE0ELb0ES3_N6thrust23THRUST_200600_302600_NS6detail15normal_iteratorINS9_10device_ptrIjEEEESE_SE_jNS9_4plusIvEENS9_8equal_toIvEEjEE10hipError_tPvRmT2_T3_T4_T5_mT6_T7_P12ihipStream_tbENKUlT_T0_E_clISt17integral_constantIbLb1EESZ_EEDaSU_SV_EUlSU_E_NS1_11comp_targetILNS1_3genE5ELNS1_11target_archE942ELNS1_3gpuE9ELNS1_3repE0EEENS1_30default_config_static_selectorELNS0_4arch9wavefront6targetE0EEEvT1_.has_recursion, 0
	.set _ZN7rocprim17ROCPRIM_400000_NS6detail17trampoline_kernelINS0_14default_configENS1_27scan_by_key_config_selectorIjjEEZZNS1_16scan_by_key_implILNS1_25lookback_scan_determinismE0ELb0ES3_N6thrust23THRUST_200600_302600_NS6detail15normal_iteratorINS9_10device_ptrIjEEEESE_SE_jNS9_4plusIvEENS9_8equal_toIvEEjEE10hipError_tPvRmT2_T3_T4_T5_mT6_T7_P12ihipStream_tbENKUlT_T0_E_clISt17integral_constantIbLb1EESZ_EEDaSU_SV_EUlSU_E_NS1_11comp_targetILNS1_3genE5ELNS1_11target_archE942ELNS1_3gpuE9ELNS1_3repE0EEENS1_30default_config_static_selectorELNS0_4arch9wavefront6targetE0EEEvT1_.has_indirect_call, 0
	.section	.AMDGPU.csdata,"",@progbits
; Kernel info:
; codeLenInByte = 0
; TotalNumSgprs: 0
; NumVgprs: 0
; ScratchSize: 0
; MemoryBound: 0
; FloatMode: 240
; IeeeMode: 1
; LDSByteSize: 0 bytes/workgroup (compile time only)
; SGPRBlocks: 0
; VGPRBlocks: 0
; NumSGPRsForWavesPerEU: 1
; NumVGPRsForWavesPerEU: 1
; NamedBarCnt: 0
; Occupancy: 16
; WaveLimiterHint : 0
; COMPUTE_PGM_RSRC2:SCRATCH_EN: 0
; COMPUTE_PGM_RSRC2:USER_SGPR: 2
; COMPUTE_PGM_RSRC2:TRAP_HANDLER: 0
; COMPUTE_PGM_RSRC2:TGID_X_EN: 1
; COMPUTE_PGM_RSRC2:TGID_Y_EN: 0
; COMPUTE_PGM_RSRC2:TGID_Z_EN: 0
; COMPUTE_PGM_RSRC2:TIDIG_COMP_CNT: 0
	.section	.text._ZN7rocprim17ROCPRIM_400000_NS6detail17trampoline_kernelINS0_14default_configENS1_27scan_by_key_config_selectorIjjEEZZNS1_16scan_by_key_implILNS1_25lookback_scan_determinismE0ELb0ES3_N6thrust23THRUST_200600_302600_NS6detail15normal_iteratorINS9_10device_ptrIjEEEESE_SE_jNS9_4plusIvEENS9_8equal_toIvEEjEE10hipError_tPvRmT2_T3_T4_T5_mT6_T7_P12ihipStream_tbENKUlT_T0_E_clISt17integral_constantIbLb1EESZ_EEDaSU_SV_EUlSU_E_NS1_11comp_targetILNS1_3genE4ELNS1_11target_archE910ELNS1_3gpuE8ELNS1_3repE0EEENS1_30default_config_static_selectorELNS0_4arch9wavefront6targetE0EEEvT1_,"axG",@progbits,_ZN7rocprim17ROCPRIM_400000_NS6detail17trampoline_kernelINS0_14default_configENS1_27scan_by_key_config_selectorIjjEEZZNS1_16scan_by_key_implILNS1_25lookback_scan_determinismE0ELb0ES3_N6thrust23THRUST_200600_302600_NS6detail15normal_iteratorINS9_10device_ptrIjEEEESE_SE_jNS9_4plusIvEENS9_8equal_toIvEEjEE10hipError_tPvRmT2_T3_T4_T5_mT6_T7_P12ihipStream_tbENKUlT_T0_E_clISt17integral_constantIbLb1EESZ_EEDaSU_SV_EUlSU_E_NS1_11comp_targetILNS1_3genE4ELNS1_11target_archE910ELNS1_3gpuE8ELNS1_3repE0EEENS1_30default_config_static_selectorELNS0_4arch9wavefront6targetE0EEEvT1_,comdat
	.protected	_ZN7rocprim17ROCPRIM_400000_NS6detail17trampoline_kernelINS0_14default_configENS1_27scan_by_key_config_selectorIjjEEZZNS1_16scan_by_key_implILNS1_25lookback_scan_determinismE0ELb0ES3_N6thrust23THRUST_200600_302600_NS6detail15normal_iteratorINS9_10device_ptrIjEEEESE_SE_jNS9_4plusIvEENS9_8equal_toIvEEjEE10hipError_tPvRmT2_T3_T4_T5_mT6_T7_P12ihipStream_tbENKUlT_T0_E_clISt17integral_constantIbLb1EESZ_EEDaSU_SV_EUlSU_E_NS1_11comp_targetILNS1_3genE4ELNS1_11target_archE910ELNS1_3gpuE8ELNS1_3repE0EEENS1_30default_config_static_selectorELNS0_4arch9wavefront6targetE0EEEvT1_ ; -- Begin function _ZN7rocprim17ROCPRIM_400000_NS6detail17trampoline_kernelINS0_14default_configENS1_27scan_by_key_config_selectorIjjEEZZNS1_16scan_by_key_implILNS1_25lookback_scan_determinismE0ELb0ES3_N6thrust23THRUST_200600_302600_NS6detail15normal_iteratorINS9_10device_ptrIjEEEESE_SE_jNS9_4plusIvEENS9_8equal_toIvEEjEE10hipError_tPvRmT2_T3_T4_T5_mT6_T7_P12ihipStream_tbENKUlT_T0_E_clISt17integral_constantIbLb1EESZ_EEDaSU_SV_EUlSU_E_NS1_11comp_targetILNS1_3genE4ELNS1_11target_archE910ELNS1_3gpuE8ELNS1_3repE0EEENS1_30default_config_static_selectorELNS0_4arch9wavefront6targetE0EEEvT1_
	.globl	_ZN7rocprim17ROCPRIM_400000_NS6detail17trampoline_kernelINS0_14default_configENS1_27scan_by_key_config_selectorIjjEEZZNS1_16scan_by_key_implILNS1_25lookback_scan_determinismE0ELb0ES3_N6thrust23THRUST_200600_302600_NS6detail15normal_iteratorINS9_10device_ptrIjEEEESE_SE_jNS9_4plusIvEENS9_8equal_toIvEEjEE10hipError_tPvRmT2_T3_T4_T5_mT6_T7_P12ihipStream_tbENKUlT_T0_E_clISt17integral_constantIbLb1EESZ_EEDaSU_SV_EUlSU_E_NS1_11comp_targetILNS1_3genE4ELNS1_11target_archE910ELNS1_3gpuE8ELNS1_3repE0EEENS1_30default_config_static_selectorELNS0_4arch9wavefront6targetE0EEEvT1_
	.p2align	8
	.type	_ZN7rocprim17ROCPRIM_400000_NS6detail17trampoline_kernelINS0_14default_configENS1_27scan_by_key_config_selectorIjjEEZZNS1_16scan_by_key_implILNS1_25lookback_scan_determinismE0ELb0ES3_N6thrust23THRUST_200600_302600_NS6detail15normal_iteratorINS9_10device_ptrIjEEEESE_SE_jNS9_4plusIvEENS9_8equal_toIvEEjEE10hipError_tPvRmT2_T3_T4_T5_mT6_T7_P12ihipStream_tbENKUlT_T0_E_clISt17integral_constantIbLb1EESZ_EEDaSU_SV_EUlSU_E_NS1_11comp_targetILNS1_3genE4ELNS1_11target_archE910ELNS1_3gpuE8ELNS1_3repE0EEENS1_30default_config_static_selectorELNS0_4arch9wavefront6targetE0EEEvT1_,@function
_ZN7rocprim17ROCPRIM_400000_NS6detail17trampoline_kernelINS0_14default_configENS1_27scan_by_key_config_selectorIjjEEZZNS1_16scan_by_key_implILNS1_25lookback_scan_determinismE0ELb0ES3_N6thrust23THRUST_200600_302600_NS6detail15normal_iteratorINS9_10device_ptrIjEEEESE_SE_jNS9_4plusIvEENS9_8equal_toIvEEjEE10hipError_tPvRmT2_T3_T4_T5_mT6_T7_P12ihipStream_tbENKUlT_T0_E_clISt17integral_constantIbLb1EESZ_EEDaSU_SV_EUlSU_E_NS1_11comp_targetILNS1_3genE4ELNS1_11target_archE910ELNS1_3gpuE8ELNS1_3repE0EEENS1_30default_config_static_selectorELNS0_4arch9wavefront6targetE0EEEvT1_: ; @_ZN7rocprim17ROCPRIM_400000_NS6detail17trampoline_kernelINS0_14default_configENS1_27scan_by_key_config_selectorIjjEEZZNS1_16scan_by_key_implILNS1_25lookback_scan_determinismE0ELb0ES3_N6thrust23THRUST_200600_302600_NS6detail15normal_iteratorINS9_10device_ptrIjEEEESE_SE_jNS9_4plusIvEENS9_8equal_toIvEEjEE10hipError_tPvRmT2_T3_T4_T5_mT6_T7_P12ihipStream_tbENKUlT_T0_E_clISt17integral_constantIbLb1EESZ_EEDaSU_SV_EUlSU_E_NS1_11comp_targetILNS1_3genE4ELNS1_11target_archE910ELNS1_3gpuE8ELNS1_3repE0EEENS1_30default_config_static_selectorELNS0_4arch9wavefront6targetE0EEEvT1_
; %bb.0:
	.section	.rodata,"a",@progbits
	.p2align	6, 0x0
	.amdhsa_kernel _ZN7rocprim17ROCPRIM_400000_NS6detail17trampoline_kernelINS0_14default_configENS1_27scan_by_key_config_selectorIjjEEZZNS1_16scan_by_key_implILNS1_25lookback_scan_determinismE0ELb0ES3_N6thrust23THRUST_200600_302600_NS6detail15normal_iteratorINS9_10device_ptrIjEEEESE_SE_jNS9_4plusIvEENS9_8equal_toIvEEjEE10hipError_tPvRmT2_T3_T4_T5_mT6_T7_P12ihipStream_tbENKUlT_T0_E_clISt17integral_constantIbLb1EESZ_EEDaSU_SV_EUlSU_E_NS1_11comp_targetILNS1_3genE4ELNS1_11target_archE910ELNS1_3gpuE8ELNS1_3repE0EEENS1_30default_config_static_selectorELNS0_4arch9wavefront6targetE0EEEvT1_
		.amdhsa_group_segment_fixed_size 0
		.amdhsa_private_segment_fixed_size 0
		.amdhsa_kernarg_size 112
		.amdhsa_user_sgpr_count 2
		.amdhsa_user_sgpr_dispatch_ptr 0
		.amdhsa_user_sgpr_queue_ptr 0
		.amdhsa_user_sgpr_kernarg_segment_ptr 1
		.amdhsa_user_sgpr_dispatch_id 0
		.amdhsa_user_sgpr_kernarg_preload_length 0
		.amdhsa_user_sgpr_kernarg_preload_offset 0
		.amdhsa_user_sgpr_private_segment_size 0
		.amdhsa_wavefront_size32 1
		.amdhsa_uses_dynamic_stack 0
		.amdhsa_enable_private_segment 0
		.amdhsa_system_sgpr_workgroup_id_x 1
		.amdhsa_system_sgpr_workgroup_id_y 0
		.amdhsa_system_sgpr_workgroup_id_z 0
		.amdhsa_system_sgpr_workgroup_info 0
		.amdhsa_system_vgpr_workitem_id 0
		.amdhsa_next_free_vgpr 1
		.amdhsa_next_free_sgpr 1
		.amdhsa_named_barrier_count 0
		.amdhsa_reserve_vcc 0
		.amdhsa_float_round_mode_32 0
		.amdhsa_float_round_mode_16_64 0
		.amdhsa_float_denorm_mode_32 3
		.amdhsa_float_denorm_mode_16_64 3
		.amdhsa_fp16_overflow 0
		.amdhsa_memory_ordered 1
		.amdhsa_forward_progress 1
		.amdhsa_inst_pref_size 0
		.amdhsa_round_robin_scheduling 0
		.amdhsa_exception_fp_ieee_invalid_op 0
		.amdhsa_exception_fp_denorm_src 0
		.amdhsa_exception_fp_ieee_div_zero 0
		.amdhsa_exception_fp_ieee_overflow 0
		.amdhsa_exception_fp_ieee_underflow 0
		.amdhsa_exception_fp_ieee_inexact 0
		.amdhsa_exception_int_div_zero 0
	.end_amdhsa_kernel
	.section	.text._ZN7rocprim17ROCPRIM_400000_NS6detail17trampoline_kernelINS0_14default_configENS1_27scan_by_key_config_selectorIjjEEZZNS1_16scan_by_key_implILNS1_25lookback_scan_determinismE0ELb0ES3_N6thrust23THRUST_200600_302600_NS6detail15normal_iteratorINS9_10device_ptrIjEEEESE_SE_jNS9_4plusIvEENS9_8equal_toIvEEjEE10hipError_tPvRmT2_T3_T4_T5_mT6_T7_P12ihipStream_tbENKUlT_T0_E_clISt17integral_constantIbLb1EESZ_EEDaSU_SV_EUlSU_E_NS1_11comp_targetILNS1_3genE4ELNS1_11target_archE910ELNS1_3gpuE8ELNS1_3repE0EEENS1_30default_config_static_selectorELNS0_4arch9wavefront6targetE0EEEvT1_,"axG",@progbits,_ZN7rocprim17ROCPRIM_400000_NS6detail17trampoline_kernelINS0_14default_configENS1_27scan_by_key_config_selectorIjjEEZZNS1_16scan_by_key_implILNS1_25lookback_scan_determinismE0ELb0ES3_N6thrust23THRUST_200600_302600_NS6detail15normal_iteratorINS9_10device_ptrIjEEEESE_SE_jNS9_4plusIvEENS9_8equal_toIvEEjEE10hipError_tPvRmT2_T3_T4_T5_mT6_T7_P12ihipStream_tbENKUlT_T0_E_clISt17integral_constantIbLb1EESZ_EEDaSU_SV_EUlSU_E_NS1_11comp_targetILNS1_3genE4ELNS1_11target_archE910ELNS1_3gpuE8ELNS1_3repE0EEENS1_30default_config_static_selectorELNS0_4arch9wavefront6targetE0EEEvT1_,comdat
.Lfunc_end1839:
	.size	_ZN7rocprim17ROCPRIM_400000_NS6detail17trampoline_kernelINS0_14default_configENS1_27scan_by_key_config_selectorIjjEEZZNS1_16scan_by_key_implILNS1_25lookback_scan_determinismE0ELb0ES3_N6thrust23THRUST_200600_302600_NS6detail15normal_iteratorINS9_10device_ptrIjEEEESE_SE_jNS9_4plusIvEENS9_8equal_toIvEEjEE10hipError_tPvRmT2_T3_T4_T5_mT6_T7_P12ihipStream_tbENKUlT_T0_E_clISt17integral_constantIbLb1EESZ_EEDaSU_SV_EUlSU_E_NS1_11comp_targetILNS1_3genE4ELNS1_11target_archE910ELNS1_3gpuE8ELNS1_3repE0EEENS1_30default_config_static_selectorELNS0_4arch9wavefront6targetE0EEEvT1_, .Lfunc_end1839-_ZN7rocprim17ROCPRIM_400000_NS6detail17trampoline_kernelINS0_14default_configENS1_27scan_by_key_config_selectorIjjEEZZNS1_16scan_by_key_implILNS1_25lookback_scan_determinismE0ELb0ES3_N6thrust23THRUST_200600_302600_NS6detail15normal_iteratorINS9_10device_ptrIjEEEESE_SE_jNS9_4plusIvEENS9_8equal_toIvEEjEE10hipError_tPvRmT2_T3_T4_T5_mT6_T7_P12ihipStream_tbENKUlT_T0_E_clISt17integral_constantIbLb1EESZ_EEDaSU_SV_EUlSU_E_NS1_11comp_targetILNS1_3genE4ELNS1_11target_archE910ELNS1_3gpuE8ELNS1_3repE0EEENS1_30default_config_static_selectorELNS0_4arch9wavefront6targetE0EEEvT1_
                                        ; -- End function
	.set _ZN7rocprim17ROCPRIM_400000_NS6detail17trampoline_kernelINS0_14default_configENS1_27scan_by_key_config_selectorIjjEEZZNS1_16scan_by_key_implILNS1_25lookback_scan_determinismE0ELb0ES3_N6thrust23THRUST_200600_302600_NS6detail15normal_iteratorINS9_10device_ptrIjEEEESE_SE_jNS9_4plusIvEENS9_8equal_toIvEEjEE10hipError_tPvRmT2_T3_T4_T5_mT6_T7_P12ihipStream_tbENKUlT_T0_E_clISt17integral_constantIbLb1EESZ_EEDaSU_SV_EUlSU_E_NS1_11comp_targetILNS1_3genE4ELNS1_11target_archE910ELNS1_3gpuE8ELNS1_3repE0EEENS1_30default_config_static_selectorELNS0_4arch9wavefront6targetE0EEEvT1_.num_vgpr, 0
	.set _ZN7rocprim17ROCPRIM_400000_NS6detail17trampoline_kernelINS0_14default_configENS1_27scan_by_key_config_selectorIjjEEZZNS1_16scan_by_key_implILNS1_25lookback_scan_determinismE0ELb0ES3_N6thrust23THRUST_200600_302600_NS6detail15normal_iteratorINS9_10device_ptrIjEEEESE_SE_jNS9_4plusIvEENS9_8equal_toIvEEjEE10hipError_tPvRmT2_T3_T4_T5_mT6_T7_P12ihipStream_tbENKUlT_T0_E_clISt17integral_constantIbLb1EESZ_EEDaSU_SV_EUlSU_E_NS1_11comp_targetILNS1_3genE4ELNS1_11target_archE910ELNS1_3gpuE8ELNS1_3repE0EEENS1_30default_config_static_selectorELNS0_4arch9wavefront6targetE0EEEvT1_.num_agpr, 0
	.set _ZN7rocprim17ROCPRIM_400000_NS6detail17trampoline_kernelINS0_14default_configENS1_27scan_by_key_config_selectorIjjEEZZNS1_16scan_by_key_implILNS1_25lookback_scan_determinismE0ELb0ES3_N6thrust23THRUST_200600_302600_NS6detail15normal_iteratorINS9_10device_ptrIjEEEESE_SE_jNS9_4plusIvEENS9_8equal_toIvEEjEE10hipError_tPvRmT2_T3_T4_T5_mT6_T7_P12ihipStream_tbENKUlT_T0_E_clISt17integral_constantIbLb1EESZ_EEDaSU_SV_EUlSU_E_NS1_11comp_targetILNS1_3genE4ELNS1_11target_archE910ELNS1_3gpuE8ELNS1_3repE0EEENS1_30default_config_static_selectorELNS0_4arch9wavefront6targetE0EEEvT1_.numbered_sgpr, 0
	.set _ZN7rocprim17ROCPRIM_400000_NS6detail17trampoline_kernelINS0_14default_configENS1_27scan_by_key_config_selectorIjjEEZZNS1_16scan_by_key_implILNS1_25lookback_scan_determinismE0ELb0ES3_N6thrust23THRUST_200600_302600_NS6detail15normal_iteratorINS9_10device_ptrIjEEEESE_SE_jNS9_4plusIvEENS9_8equal_toIvEEjEE10hipError_tPvRmT2_T3_T4_T5_mT6_T7_P12ihipStream_tbENKUlT_T0_E_clISt17integral_constantIbLb1EESZ_EEDaSU_SV_EUlSU_E_NS1_11comp_targetILNS1_3genE4ELNS1_11target_archE910ELNS1_3gpuE8ELNS1_3repE0EEENS1_30default_config_static_selectorELNS0_4arch9wavefront6targetE0EEEvT1_.num_named_barrier, 0
	.set _ZN7rocprim17ROCPRIM_400000_NS6detail17trampoline_kernelINS0_14default_configENS1_27scan_by_key_config_selectorIjjEEZZNS1_16scan_by_key_implILNS1_25lookback_scan_determinismE0ELb0ES3_N6thrust23THRUST_200600_302600_NS6detail15normal_iteratorINS9_10device_ptrIjEEEESE_SE_jNS9_4plusIvEENS9_8equal_toIvEEjEE10hipError_tPvRmT2_T3_T4_T5_mT6_T7_P12ihipStream_tbENKUlT_T0_E_clISt17integral_constantIbLb1EESZ_EEDaSU_SV_EUlSU_E_NS1_11comp_targetILNS1_3genE4ELNS1_11target_archE910ELNS1_3gpuE8ELNS1_3repE0EEENS1_30default_config_static_selectorELNS0_4arch9wavefront6targetE0EEEvT1_.private_seg_size, 0
	.set _ZN7rocprim17ROCPRIM_400000_NS6detail17trampoline_kernelINS0_14default_configENS1_27scan_by_key_config_selectorIjjEEZZNS1_16scan_by_key_implILNS1_25lookback_scan_determinismE0ELb0ES3_N6thrust23THRUST_200600_302600_NS6detail15normal_iteratorINS9_10device_ptrIjEEEESE_SE_jNS9_4plusIvEENS9_8equal_toIvEEjEE10hipError_tPvRmT2_T3_T4_T5_mT6_T7_P12ihipStream_tbENKUlT_T0_E_clISt17integral_constantIbLb1EESZ_EEDaSU_SV_EUlSU_E_NS1_11comp_targetILNS1_3genE4ELNS1_11target_archE910ELNS1_3gpuE8ELNS1_3repE0EEENS1_30default_config_static_selectorELNS0_4arch9wavefront6targetE0EEEvT1_.uses_vcc, 0
	.set _ZN7rocprim17ROCPRIM_400000_NS6detail17trampoline_kernelINS0_14default_configENS1_27scan_by_key_config_selectorIjjEEZZNS1_16scan_by_key_implILNS1_25lookback_scan_determinismE0ELb0ES3_N6thrust23THRUST_200600_302600_NS6detail15normal_iteratorINS9_10device_ptrIjEEEESE_SE_jNS9_4plusIvEENS9_8equal_toIvEEjEE10hipError_tPvRmT2_T3_T4_T5_mT6_T7_P12ihipStream_tbENKUlT_T0_E_clISt17integral_constantIbLb1EESZ_EEDaSU_SV_EUlSU_E_NS1_11comp_targetILNS1_3genE4ELNS1_11target_archE910ELNS1_3gpuE8ELNS1_3repE0EEENS1_30default_config_static_selectorELNS0_4arch9wavefront6targetE0EEEvT1_.uses_flat_scratch, 0
	.set _ZN7rocprim17ROCPRIM_400000_NS6detail17trampoline_kernelINS0_14default_configENS1_27scan_by_key_config_selectorIjjEEZZNS1_16scan_by_key_implILNS1_25lookback_scan_determinismE0ELb0ES3_N6thrust23THRUST_200600_302600_NS6detail15normal_iteratorINS9_10device_ptrIjEEEESE_SE_jNS9_4plusIvEENS9_8equal_toIvEEjEE10hipError_tPvRmT2_T3_T4_T5_mT6_T7_P12ihipStream_tbENKUlT_T0_E_clISt17integral_constantIbLb1EESZ_EEDaSU_SV_EUlSU_E_NS1_11comp_targetILNS1_3genE4ELNS1_11target_archE910ELNS1_3gpuE8ELNS1_3repE0EEENS1_30default_config_static_selectorELNS0_4arch9wavefront6targetE0EEEvT1_.has_dyn_sized_stack, 0
	.set _ZN7rocprim17ROCPRIM_400000_NS6detail17trampoline_kernelINS0_14default_configENS1_27scan_by_key_config_selectorIjjEEZZNS1_16scan_by_key_implILNS1_25lookback_scan_determinismE0ELb0ES3_N6thrust23THRUST_200600_302600_NS6detail15normal_iteratorINS9_10device_ptrIjEEEESE_SE_jNS9_4plusIvEENS9_8equal_toIvEEjEE10hipError_tPvRmT2_T3_T4_T5_mT6_T7_P12ihipStream_tbENKUlT_T0_E_clISt17integral_constantIbLb1EESZ_EEDaSU_SV_EUlSU_E_NS1_11comp_targetILNS1_3genE4ELNS1_11target_archE910ELNS1_3gpuE8ELNS1_3repE0EEENS1_30default_config_static_selectorELNS0_4arch9wavefront6targetE0EEEvT1_.has_recursion, 0
	.set _ZN7rocprim17ROCPRIM_400000_NS6detail17trampoline_kernelINS0_14default_configENS1_27scan_by_key_config_selectorIjjEEZZNS1_16scan_by_key_implILNS1_25lookback_scan_determinismE0ELb0ES3_N6thrust23THRUST_200600_302600_NS6detail15normal_iteratorINS9_10device_ptrIjEEEESE_SE_jNS9_4plusIvEENS9_8equal_toIvEEjEE10hipError_tPvRmT2_T3_T4_T5_mT6_T7_P12ihipStream_tbENKUlT_T0_E_clISt17integral_constantIbLb1EESZ_EEDaSU_SV_EUlSU_E_NS1_11comp_targetILNS1_3genE4ELNS1_11target_archE910ELNS1_3gpuE8ELNS1_3repE0EEENS1_30default_config_static_selectorELNS0_4arch9wavefront6targetE0EEEvT1_.has_indirect_call, 0
	.section	.AMDGPU.csdata,"",@progbits
; Kernel info:
; codeLenInByte = 0
; TotalNumSgprs: 0
; NumVgprs: 0
; ScratchSize: 0
; MemoryBound: 0
; FloatMode: 240
; IeeeMode: 1
; LDSByteSize: 0 bytes/workgroup (compile time only)
; SGPRBlocks: 0
; VGPRBlocks: 0
; NumSGPRsForWavesPerEU: 1
; NumVGPRsForWavesPerEU: 1
; NamedBarCnt: 0
; Occupancy: 16
; WaveLimiterHint : 0
; COMPUTE_PGM_RSRC2:SCRATCH_EN: 0
; COMPUTE_PGM_RSRC2:USER_SGPR: 2
; COMPUTE_PGM_RSRC2:TRAP_HANDLER: 0
; COMPUTE_PGM_RSRC2:TGID_X_EN: 1
; COMPUTE_PGM_RSRC2:TGID_Y_EN: 0
; COMPUTE_PGM_RSRC2:TGID_Z_EN: 0
; COMPUTE_PGM_RSRC2:TIDIG_COMP_CNT: 0
	.section	.text._ZN7rocprim17ROCPRIM_400000_NS6detail17trampoline_kernelINS0_14default_configENS1_27scan_by_key_config_selectorIjjEEZZNS1_16scan_by_key_implILNS1_25lookback_scan_determinismE0ELb0ES3_N6thrust23THRUST_200600_302600_NS6detail15normal_iteratorINS9_10device_ptrIjEEEESE_SE_jNS9_4plusIvEENS9_8equal_toIvEEjEE10hipError_tPvRmT2_T3_T4_T5_mT6_T7_P12ihipStream_tbENKUlT_T0_E_clISt17integral_constantIbLb1EESZ_EEDaSU_SV_EUlSU_E_NS1_11comp_targetILNS1_3genE3ELNS1_11target_archE908ELNS1_3gpuE7ELNS1_3repE0EEENS1_30default_config_static_selectorELNS0_4arch9wavefront6targetE0EEEvT1_,"axG",@progbits,_ZN7rocprim17ROCPRIM_400000_NS6detail17trampoline_kernelINS0_14default_configENS1_27scan_by_key_config_selectorIjjEEZZNS1_16scan_by_key_implILNS1_25lookback_scan_determinismE0ELb0ES3_N6thrust23THRUST_200600_302600_NS6detail15normal_iteratorINS9_10device_ptrIjEEEESE_SE_jNS9_4plusIvEENS9_8equal_toIvEEjEE10hipError_tPvRmT2_T3_T4_T5_mT6_T7_P12ihipStream_tbENKUlT_T0_E_clISt17integral_constantIbLb1EESZ_EEDaSU_SV_EUlSU_E_NS1_11comp_targetILNS1_3genE3ELNS1_11target_archE908ELNS1_3gpuE7ELNS1_3repE0EEENS1_30default_config_static_selectorELNS0_4arch9wavefront6targetE0EEEvT1_,comdat
	.protected	_ZN7rocprim17ROCPRIM_400000_NS6detail17trampoline_kernelINS0_14default_configENS1_27scan_by_key_config_selectorIjjEEZZNS1_16scan_by_key_implILNS1_25lookback_scan_determinismE0ELb0ES3_N6thrust23THRUST_200600_302600_NS6detail15normal_iteratorINS9_10device_ptrIjEEEESE_SE_jNS9_4plusIvEENS9_8equal_toIvEEjEE10hipError_tPvRmT2_T3_T4_T5_mT6_T7_P12ihipStream_tbENKUlT_T0_E_clISt17integral_constantIbLb1EESZ_EEDaSU_SV_EUlSU_E_NS1_11comp_targetILNS1_3genE3ELNS1_11target_archE908ELNS1_3gpuE7ELNS1_3repE0EEENS1_30default_config_static_selectorELNS0_4arch9wavefront6targetE0EEEvT1_ ; -- Begin function _ZN7rocprim17ROCPRIM_400000_NS6detail17trampoline_kernelINS0_14default_configENS1_27scan_by_key_config_selectorIjjEEZZNS1_16scan_by_key_implILNS1_25lookback_scan_determinismE0ELb0ES3_N6thrust23THRUST_200600_302600_NS6detail15normal_iteratorINS9_10device_ptrIjEEEESE_SE_jNS9_4plusIvEENS9_8equal_toIvEEjEE10hipError_tPvRmT2_T3_T4_T5_mT6_T7_P12ihipStream_tbENKUlT_T0_E_clISt17integral_constantIbLb1EESZ_EEDaSU_SV_EUlSU_E_NS1_11comp_targetILNS1_3genE3ELNS1_11target_archE908ELNS1_3gpuE7ELNS1_3repE0EEENS1_30default_config_static_selectorELNS0_4arch9wavefront6targetE0EEEvT1_
	.globl	_ZN7rocprim17ROCPRIM_400000_NS6detail17trampoline_kernelINS0_14default_configENS1_27scan_by_key_config_selectorIjjEEZZNS1_16scan_by_key_implILNS1_25lookback_scan_determinismE0ELb0ES3_N6thrust23THRUST_200600_302600_NS6detail15normal_iteratorINS9_10device_ptrIjEEEESE_SE_jNS9_4plusIvEENS9_8equal_toIvEEjEE10hipError_tPvRmT2_T3_T4_T5_mT6_T7_P12ihipStream_tbENKUlT_T0_E_clISt17integral_constantIbLb1EESZ_EEDaSU_SV_EUlSU_E_NS1_11comp_targetILNS1_3genE3ELNS1_11target_archE908ELNS1_3gpuE7ELNS1_3repE0EEENS1_30default_config_static_selectorELNS0_4arch9wavefront6targetE0EEEvT1_
	.p2align	8
	.type	_ZN7rocprim17ROCPRIM_400000_NS6detail17trampoline_kernelINS0_14default_configENS1_27scan_by_key_config_selectorIjjEEZZNS1_16scan_by_key_implILNS1_25lookback_scan_determinismE0ELb0ES3_N6thrust23THRUST_200600_302600_NS6detail15normal_iteratorINS9_10device_ptrIjEEEESE_SE_jNS9_4plusIvEENS9_8equal_toIvEEjEE10hipError_tPvRmT2_T3_T4_T5_mT6_T7_P12ihipStream_tbENKUlT_T0_E_clISt17integral_constantIbLb1EESZ_EEDaSU_SV_EUlSU_E_NS1_11comp_targetILNS1_3genE3ELNS1_11target_archE908ELNS1_3gpuE7ELNS1_3repE0EEENS1_30default_config_static_selectorELNS0_4arch9wavefront6targetE0EEEvT1_,@function
_ZN7rocprim17ROCPRIM_400000_NS6detail17trampoline_kernelINS0_14default_configENS1_27scan_by_key_config_selectorIjjEEZZNS1_16scan_by_key_implILNS1_25lookback_scan_determinismE0ELb0ES3_N6thrust23THRUST_200600_302600_NS6detail15normal_iteratorINS9_10device_ptrIjEEEESE_SE_jNS9_4plusIvEENS9_8equal_toIvEEjEE10hipError_tPvRmT2_T3_T4_T5_mT6_T7_P12ihipStream_tbENKUlT_T0_E_clISt17integral_constantIbLb1EESZ_EEDaSU_SV_EUlSU_E_NS1_11comp_targetILNS1_3genE3ELNS1_11target_archE908ELNS1_3gpuE7ELNS1_3repE0EEENS1_30default_config_static_selectorELNS0_4arch9wavefront6targetE0EEEvT1_: ; @_ZN7rocprim17ROCPRIM_400000_NS6detail17trampoline_kernelINS0_14default_configENS1_27scan_by_key_config_selectorIjjEEZZNS1_16scan_by_key_implILNS1_25lookback_scan_determinismE0ELb0ES3_N6thrust23THRUST_200600_302600_NS6detail15normal_iteratorINS9_10device_ptrIjEEEESE_SE_jNS9_4plusIvEENS9_8equal_toIvEEjEE10hipError_tPvRmT2_T3_T4_T5_mT6_T7_P12ihipStream_tbENKUlT_T0_E_clISt17integral_constantIbLb1EESZ_EEDaSU_SV_EUlSU_E_NS1_11comp_targetILNS1_3genE3ELNS1_11target_archE908ELNS1_3gpuE7ELNS1_3repE0EEENS1_30default_config_static_selectorELNS0_4arch9wavefront6targetE0EEEvT1_
; %bb.0:
	.section	.rodata,"a",@progbits
	.p2align	6, 0x0
	.amdhsa_kernel _ZN7rocprim17ROCPRIM_400000_NS6detail17trampoline_kernelINS0_14default_configENS1_27scan_by_key_config_selectorIjjEEZZNS1_16scan_by_key_implILNS1_25lookback_scan_determinismE0ELb0ES3_N6thrust23THRUST_200600_302600_NS6detail15normal_iteratorINS9_10device_ptrIjEEEESE_SE_jNS9_4plusIvEENS9_8equal_toIvEEjEE10hipError_tPvRmT2_T3_T4_T5_mT6_T7_P12ihipStream_tbENKUlT_T0_E_clISt17integral_constantIbLb1EESZ_EEDaSU_SV_EUlSU_E_NS1_11comp_targetILNS1_3genE3ELNS1_11target_archE908ELNS1_3gpuE7ELNS1_3repE0EEENS1_30default_config_static_selectorELNS0_4arch9wavefront6targetE0EEEvT1_
		.amdhsa_group_segment_fixed_size 0
		.amdhsa_private_segment_fixed_size 0
		.amdhsa_kernarg_size 112
		.amdhsa_user_sgpr_count 2
		.amdhsa_user_sgpr_dispatch_ptr 0
		.amdhsa_user_sgpr_queue_ptr 0
		.amdhsa_user_sgpr_kernarg_segment_ptr 1
		.amdhsa_user_sgpr_dispatch_id 0
		.amdhsa_user_sgpr_kernarg_preload_length 0
		.amdhsa_user_sgpr_kernarg_preload_offset 0
		.amdhsa_user_sgpr_private_segment_size 0
		.amdhsa_wavefront_size32 1
		.amdhsa_uses_dynamic_stack 0
		.amdhsa_enable_private_segment 0
		.amdhsa_system_sgpr_workgroup_id_x 1
		.amdhsa_system_sgpr_workgroup_id_y 0
		.amdhsa_system_sgpr_workgroup_id_z 0
		.amdhsa_system_sgpr_workgroup_info 0
		.amdhsa_system_vgpr_workitem_id 0
		.amdhsa_next_free_vgpr 1
		.amdhsa_next_free_sgpr 1
		.amdhsa_named_barrier_count 0
		.amdhsa_reserve_vcc 0
		.amdhsa_float_round_mode_32 0
		.amdhsa_float_round_mode_16_64 0
		.amdhsa_float_denorm_mode_32 3
		.amdhsa_float_denorm_mode_16_64 3
		.amdhsa_fp16_overflow 0
		.amdhsa_memory_ordered 1
		.amdhsa_forward_progress 1
		.amdhsa_inst_pref_size 0
		.amdhsa_round_robin_scheduling 0
		.amdhsa_exception_fp_ieee_invalid_op 0
		.amdhsa_exception_fp_denorm_src 0
		.amdhsa_exception_fp_ieee_div_zero 0
		.amdhsa_exception_fp_ieee_overflow 0
		.amdhsa_exception_fp_ieee_underflow 0
		.amdhsa_exception_fp_ieee_inexact 0
		.amdhsa_exception_int_div_zero 0
	.end_amdhsa_kernel
	.section	.text._ZN7rocprim17ROCPRIM_400000_NS6detail17trampoline_kernelINS0_14default_configENS1_27scan_by_key_config_selectorIjjEEZZNS1_16scan_by_key_implILNS1_25lookback_scan_determinismE0ELb0ES3_N6thrust23THRUST_200600_302600_NS6detail15normal_iteratorINS9_10device_ptrIjEEEESE_SE_jNS9_4plusIvEENS9_8equal_toIvEEjEE10hipError_tPvRmT2_T3_T4_T5_mT6_T7_P12ihipStream_tbENKUlT_T0_E_clISt17integral_constantIbLb1EESZ_EEDaSU_SV_EUlSU_E_NS1_11comp_targetILNS1_3genE3ELNS1_11target_archE908ELNS1_3gpuE7ELNS1_3repE0EEENS1_30default_config_static_selectorELNS0_4arch9wavefront6targetE0EEEvT1_,"axG",@progbits,_ZN7rocprim17ROCPRIM_400000_NS6detail17trampoline_kernelINS0_14default_configENS1_27scan_by_key_config_selectorIjjEEZZNS1_16scan_by_key_implILNS1_25lookback_scan_determinismE0ELb0ES3_N6thrust23THRUST_200600_302600_NS6detail15normal_iteratorINS9_10device_ptrIjEEEESE_SE_jNS9_4plusIvEENS9_8equal_toIvEEjEE10hipError_tPvRmT2_T3_T4_T5_mT6_T7_P12ihipStream_tbENKUlT_T0_E_clISt17integral_constantIbLb1EESZ_EEDaSU_SV_EUlSU_E_NS1_11comp_targetILNS1_3genE3ELNS1_11target_archE908ELNS1_3gpuE7ELNS1_3repE0EEENS1_30default_config_static_selectorELNS0_4arch9wavefront6targetE0EEEvT1_,comdat
.Lfunc_end1840:
	.size	_ZN7rocprim17ROCPRIM_400000_NS6detail17trampoline_kernelINS0_14default_configENS1_27scan_by_key_config_selectorIjjEEZZNS1_16scan_by_key_implILNS1_25lookback_scan_determinismE0ELb0ES3_N6thrust23THRUST_200600_302600_NS6detail15normal_iteratorINS9_10device_ptrIjEEEESE_SE_jNS9_4plusIvEENS9_8equal_toIvEEjEE10hipError_tPvRmT2_T3_T4_T5_mT6_T7_P12ihipStream_tbENKUlT_T0_E_clISt17integral_constantIbLb1EESZ_EEDaSU_SV_EUlSU_E_NS1_11comp_targetILNS1_3genE3ELNS1_11target_archE908ELNS1_3gpuE7ELNS1_3repE0EEENS1_30default_config_static_selectorELNS0_4arch9wavefront6targetE0EEEvT1_, .Lfunc_end1840-_ZN7rocprim17ROCPRIM_400000_NS6detail17trampoline_kernelINS0_14default_configENS1_27scan_by_key_config_selectorIjjEEZZNS1_16scan_by_key_implILNS1_25lookback_scan_determinismE0ELb0ES3_N6thrust23THRUST_200600_302600_NS6detail15normal_iteratorINS9_10device_ptrIjEEEESE_SE_jNS9_4plusIvEENS9_8equal_toIvEEjEE10hipError_tPvRmT2_T3_T4_T5_mT6_T7_P12ihipStream_tbENKUlT_T0_E_clISt17integral_constantIbLb1EESZ_EEDaSU_SV_EUlSU_E_NS1_11comp_targetILNS1_3genE3ELNS1_11target_archE908ELNS1_3gpuE7ELNS1_3repE0EEENS1_30default_config_static_selectorELNS0_4arch9wavefront6targetE0EEEvT1_
                                        ; -- End function
	.set _ZN7rocprim17ROCPRIM_400000_NS6detail17trampoline_kernelINS0_14default_configENS1_27scan_by_key_config_selectorIjjEEZZNS1_16scan_by_key_implILNS1_25lookback_scan_determinismE0ELb0ES3_N6thrust23THRUST_200600_302600_NS6detail15normal_iteratorINS9_10device_ptrIjEEEESE_SE_jNS9_4plusIvEENS9_8equal_toIvEEjEE10hipError_tPvRmT2_T3_T4_T5_mT6_T7_P12ihipStream_tbENKUlT_T0_E_clISt17integral_constantIbLb1EESZ_EEDaSU_SV_EUlSU_E_NS1_11comp_targetILNS1_3genE3ELNS1_11target_archE908ELNS1_3gpuE7ELNS1_3repE0EEENS1_30default_config_static_selectorELNS0_4arch9wavefront6targetE0EEEvT1_.num_vgpr, 0
	.set _ZN7rocprim17ROCPRIM_400000_NS6detail17trampoline_kernelINS0_14default_configENS1_27scan_by_key_config_selectorIjjEEZZNS1_16scan_by_key_implILNS1_25lookback_scan_determinismE0ELb0ES3_N6thrust23THRUST_200600_302600_NS6detail15normal_iteratorINS9_10device_ptrIjEEEESE_SE_jNS9_4plusIvEENS9_8equal_toIvEEjEE10hipError_tPvRmT2_T3_T4_T5_mT6_T7_P12ihipStream_tbENKUlT_T0_E_clISt17integral_constantIbLb1EESZ_EEDaSU_SV_EUlSU_E_NS1_11comp_targetILNS1_3genE3ELNS1_11target_archE908ELNS1_3gpuE7ELNS1_3repE0EEENS1_30default_config_static_selectorELNS0_4arch9wavefront6targetE0EEEvT1_.num_agpr, 0
	.set _ZN7rocprim17ROCPRIM_400000_NS6detail17trampoline_kernelINS0_14default_configENS1_27scan_by_key_config_selectorIjjEEZZNS1_16scan_by_key_implILNS1_25lookback_scan_determinismE0ELb0ES3_N6thrust23THRUST_200600_302600_NS6detail15normal_iteratorINS9_10device_ptrIjEEEESE_SE_jNS9_4plusIvEENS9_8equal_toIvEEjEE10hipError_tPvRmT2_T3_T4_T5_mT6_T7_P12ihipStream_tbENKUlT_T0_E_clISt17integral_constantIbLb1EESZ_EEDaSU_SV_EUlSU_E_NS1_11comp_targetILNS1_3genE3ELNS1_11target_archE908ELNS1_3gpuE7ELNS1_3repE0EEENS1_30default_config_static_selectorELNS0_4arch9wavefront6targetE0EEEvT1_.numbered_sgpr, 0
	.set _ZN7rocprim17ROCPRIM_400000_NS6detail17trampoline_kernelINS0_14default_configENS1_27scan_by_key_config_selectorIjjEEZZNS1_16scan_by_key_implILNS1_25lookback_scan_determinismE0ELb0ES3_N6thrust23THRUST_200600_302600_NS6detail15normal_iteratorINS9_10device_ptrIjEEEESE_SE_jNS9_4plusIvEENS9_8equal_toIvEEjEE10hipError_tPvRmT2_T3_T4_T5_mT6_T7_P12ihipStream_tbENKUlT_T0_E_clISt17integral_constantIbLb1EESZ_EEDaSU_SV_EUlSU_E_NS1_11comp_targetILNS1_3genE3ELNS1_11target_archE908ELNS1_3gpuE7ELNS1_3repE0EEENS1_30default_config_static_selectorELNS0_4arch9wavefront6targetE0EEEvT1_.num_named_barrier, 0
	.set _ZN7rocprim17ROCPRIM_400000_NS6detail17trampoline_kernelINS0_14default_configENS1_27scan_by_key_config_selectorIjjEEZZNS1_16scan_by_key_implILNS1_25lookback_scan_determinismE0ELb0ES3_N6thrust23THRUST_200600_302600_NS6detail15normal_iteratorINS9_10device_ptrIjEEEESE_SE_jNS9_4plusIvEENS9_8equal_toIvEEjEE10hipError_tPvRmT2_T3_T4_T5_mT6_T7_P12ihipStream_tbENKUlT_T0_E_clISt17integral_constantIbLb1EESZ_EEDaSU_SV_EUlSU_E_NS1_11comp_targetILNS1_3genE3ELNS1_11target_archE908ELNS1_3gpuE7ELNS1_3repE0EEENS1_30default_config_static_selectorELNS0_4arch9wavefront6targetE0EEEvT1_.private_seg_size, 0
	.set _ZN7rocprim17ROCPRIM_400000_NS6detail17trampoline_kernelINS0_14default_configENS1_27scan_by_key_config_selectorIjjEEZZNS1_16scan_by_key_implILNS1_25lookback_scan_determinismE0ELb0ES3_N6thrust23THRUST_200600_302600_NS6detail15normal_iteratorINS9_10device_ptrIjEEEESE_SE_jNS9_4plusIvEENS9_8equal_toIvEEjEE10hipError_tPvRmT2_T3_T4_T5_mT6_T7_P12ihipStream_tbENKUlT_T0_E_clISt17integral_constantIbLb1EESZ_EEDaSU_SV_EUlSU_E_NS1_11comp_targetILNS1_3genE3ELNS1_11target_archE908ELNS1_3gpuE7ELNS1_3repE0EEENS1_30default_config_static_selectorELNS0_4arch9wavefront6targetE0EEEvT1_.uses_vcc, 0
	.set _ZN7rocprim17ROCPRIM_400000_NS6detail17trampoline_kernelINS0_14default_configENS1_27scan_by_key_config_selectorIjjEEZZNS1_16scan_by_key_implILNS1_25lookback_scan_determinismE0ELb0ES3_N6thrust23THRUST_200600_302600_NS6detail15normal_iteratorINS9_10device_ptrIjEEEESE_SE_jNS9_4plusIvEENS9_8equal_toIvEEjEE10hipError_tPvRmT2_T3_T4_T5_mT6_T7_P12ihipStream_tbENKUlT_T0_E_clISt17integral_constantIbLb1EESZ_EEDaSU_SV_EUlSU_E_NS1_11comp_targetILNS1_3genE3ELNS1_11target_archE908ELNS1_3gpuE7ELNS1_3repE0EEENS1_30default_config_static_selectorELNS0_4arch9wavefront6targetE0EEEvT1_.uses_flat_scratch, 0
	.set _ZN7rocprim17ROCPRIM_400000_NS6detail17trampoline_kernelINS0_14default_configENS1_27scan_by_key_config_selectorIjjEEZZNS1_16scan_by_key_implILNS1_25lookback_scan_determinismE0ELb0ES3_N6thrust23THRUST_200600_302600_NS6detail15normal_iteratorINS9_10device_ptrIjEEEESE_SE_jNS9_4plusIvEENS9_8equal_toIvEEjEE10hipError_tPvRmT2_T3_T4_T5_mT6_T7_P12ihipStream_tbENKUlT_T0_E_clISt17integral_constantIbLb1EESZ_EEDaSU_SV_EUlSU_E_NS1_11comp_targetILNS1_3genE3ELNS1_11target_archE908ELNS1_3gpuE7ELNS1_3repE0EEENS1_30default_config_static_selectorELNS0_4arch9wavefront6targetE0EEEvT1_.has_dyn_sized_stack, 0
	.set _ZN7rocprim17ROCPRIM_400000_NS6detail17trampoline_kernelINS0_14default_configENS1_27scan_by_key_config_selectorIjjEEZZNS1_16scan_by_key_implILNS1_25lookback_scan_determinismE0ELb0ES3_N6thrust23THRUST_200600_302600_NS6detail15normal_iteratorINS9_10device_ptrIjEEEESE_SE_jNS9_4plusIvEENS9_8equal_toIvEEjEE10hipError_tPvRmT2_T3_T4_T5_mT6_T7_P12ihipStream_tbENKUlT_T0_E_clISt17integral_constantIbLb1EESZ_EEDaSU_SV_EUlSU_E_NS1_11comp_targetILNS1_3genE3ELNS1_11target_archE908ELNS1_3gpuE7ELNS1_3repE0EEENS1_30default_config_static_selectorELNS0_4arch9wavefront6targetE0EEEvT1_.has_recursion, 0
	.set _ZN7rocprim17ROCPRIM_400000_NS6detail17trampoline_kernelINS0_14default_configENS1_27scan_by_key_config_selectorIjjEEZZNS1_16scan_by_key_implILNS1_25lookback_scan_determinismE0ELb0ES3_N6thrust23THRUST_200600_302600_NS6detail15normal_iteratorINS9_10device_ptrIjEEEESE_SE_jNS9_4plusIvEENS9_8equal_toIvEEjEE10hipError_tPvRmT2_T3_T4_T5_mT6_T7_P12ihipStream_tbENKUlT_T0_E_clISt17integral_constantIbLb1EESZ_EEDaSU_SV_EUlSU_E_NS1_11comp_targetILNS1_3genE3ELNS1_11target_archE908ELNS1_3gpuE7ELNS1_3repE0EEENS1_30default_config_static_selectorELNS0_4arch9wavefront6targetE0EEEvT1_.has_indirect_call, 0
	.section	.AMDGPU.csdata,"",@progbits
; Kernel info:
; codeLenInByte = 0
; TotalNumSgprs: 0
; NumVgprs: 0
; ScratchSize: 0
; MemoryBound: 0
; FloatMode: 240
; IeeeMode: 1
; LDSByteSize: 0 bytes/workgroup (compile time only)
; SGPRBlocks: 0
; VGPRBlocks: 0
; NumSGPRsForWavesPerEU: 1
; NumVGPRsForWavesPerEU: 1
; NamedBarCnt: 0
; Occupancy: 16
; WaveLimiterHint : 0
; COMPUTE_PGM_RSRC2:SCRATCH_EN: 0
; COMPUTE_PGM_RSRC2:USER_SGPR: 2
; COMPUTE_PGM_RSRC2:TRAP_HANDLER: 0
; COMPUTE_PGM_RSRC2:TGID_X_EN: 1
; COMPUTE_PGM_RSRC2:TGID_Y_EN: 0
; COMPUTE_PGM_RSRC2:TGID_Z_EN: 0
; COMPUTE_PGM_RSRC2:TIDIG_COMP_CNT: 0
	.section	.text._ZN7rocprim17ROCPRIM_400000_NS6detail17trampoline_kernelINS0_14default_configENS1_27scan_by_key_config_selectorIjjEEZZNS1_16scan_by_key_implILNS1_25lookback_scan_determinismE0ELb0ES3_N6thrust23THRUST_200600_302600_NS6detail15normal_iteratorINS9_10device_ptrIjEEEESE_SE_jNS9_4plusIvEENS9_8equal_toIvEEjEE10hipError_tPvRmT2_T3_T4_T5_mT6_T7_P12ihipStream_tbENKUlT_T0_E_clISt17integral_constantIbLb1EESZ_EEDaSU_SV_EUlSU_E_NS1_11comp_targetILNS1_3genE2ELNS1_11target_archE906ELNS1_3gpuE6ELNS1_3repE0EEENS1_30default_config_static_selectorELNS0_4arch9wavefront6targetE0EEEvT1_,"axG",@progbits,_ZN7rocprim17ROCPRIM_400000_NS6detail17trampoline_kernelINS0_14default_configENS1_27scan_by_key_config_selectorIjjEEZZNS1_16scan_by_key_implILNS1_25lookback_scan_determinismE0ELb0ES3_N6thrust23THRUST_200600_302600_NS6detail15normal_iteratorINS9_10device_ptrIjEEEESE_SE_jNS9_4plusIvEENS9_8equal_toIvEEjEE10hipError_tPvRmT2_T3_T4_T5_mT6_T7_P12ihipStream_tbENKUlT_T0_E_clISt17integral_constantIbLb1EESZ_EEDaSU_SV_EUlSU_E_NS1_11comp_targetILNS1_3genE2ELNS1_11target_archE906ELNS1_3gpuE6ELNS1_3repE0EEENS1_30default_config_static_selectorELNS0_4arch9wavefront6targetE0EEEvT1_,comdat
	.protected	_ZN7rocprim17ROCPRIM_400000_NS6detail17trampoline_kernelINS0_14default_configENS1_27scan_by_key_config_selectorIjjEEZZNS1_16scan_by_key_implILNS1_25lookback_scan_determinismE0ELb0ES3_N6thrust23THRUST_200600_302600_NS6detail15normal_iteratorINS9_10device_ptrIjEEEESE_SE_jNS9_4plusIvEENS9_8equal_toIvEEjEE10hipError_tPvRmT2_T3_T4_T5_mT6_T7_P12ihipStream_tbENKUlT_T0_E_clISt17integral_constantIbLb1EESZ_EEDaSU_SV_EUlSU_E_NS1_11comp_targetILNS1_3genE2ELNS1_11target_archE906ELNS1_3gpuE6ELNS1_3repE0EEENS1_30default_config_static_selectorELNS0_4arch9wavefront6targetE0EEEvT1_ ; -- Begin function _ZN7rocprim17ROCPRIM_400000_NS6detail17trampoline_kernelINS0_14default_configENS1_27scan_by_key_config_selectorIjjEEZZNS1_16scan_by_key_implILNS1_25lookback_scan_determinismE0ELb0ES3_N6thrust23THRUST_200600_302600_NS6detail15normal_iteratorINS9_10device_ptrIjEEEESE_SE_jNS9_4plusIvEENS9_8equal_toIvEEjEE10hipError_tPvRmT2_T3_T4_T5_mT6_T7_P12ihipStream_tbENKUlT_T0_E_clISt17integral_constantIbLb1EESZ_EEDaSU_SV_EUlSU_E_NS1_11comp_targetILNS1_3genE2ELNS1_11target_archE906ELNS1_3gpuE6ELNS1_3repE0EEENS1_30default_config_static_selectorELNS0_4arch9wavefront6targetE0EEEvT1_
	.globl	_ZN7rocprim17ROCPRIM_400000_NS6detail17trampoline_kernelINS0_14default_configENS1_27scan_by_key_config_selectorIjjEEZZNS1_16scan_by_key_implILNS1_25lookback_scan_determinismE0ELb0ES3_N6thrust23THRUST_200600_302600_NS6detail15normal_iteratorINS9_10device_ptrIjEEEESE_SE_jNS9_4plusIvEENS9_8equal_toIvEEjEE10hipError_tPvRmT2_T3_T4_T5_mT6_T7_P12ihipStream_tbENKUlT_T0_E_clISt17integral_constantIbLb1EESZ_EEDaSU_SV_EUlSU_E_NS1_11comp_targetILNS1_3genE2ELNS1_11target_archE906ELNS1_3gpuE6ELNS1_3repE0EEENS1_30default_config_static_selectorELNS0_4arch9wavefront6targetE0EEEvT1_
	.p2align	8
	.type	_ZN7rocprim17ROCPRIM_400000_NS6detail17trampoline_kernelINS0_14default_configENS1_27scan_by_key_config_selectorIjjEEZZNS1_16scan_by_key_implILNS1_25lookback_scan_determinismE0ELb0ES3_N6thrust23THRUST_200600_302600_NS6detail15normal_iteratorINS9_10device_ptrIjEEEESE_SE_jNS9_4plusIvEENS9_8equal_toIvEEjEE10hipError_tPvRmT2_T3_T4_T5_mT6_T7_P12ihipStream_tbENKUlT_T0_E_clISt17integral_constantIbLb1EESZ_EEDaSU_SV_EUlSU_E_NS1_11comp_targetILNS1_3genE2ELNS1_11target_archE906ELNS1_3gpuE6ELNS1_3repE0EEENS1_30default_config_static_selectorELNS0_4arch9wavefront6targetE0EEEvT1_,@function
_ZN7rocprim17ROCPRIM_400000_NS6detail17trampoline_kernelINS0_14default_configENS1_27scan_by_key_config_selectorIjjEEZZNS1_16scan_by_key_implILNS1_25lookback_scan_determinismE0ELb0ES3_N6thrust23THRUST_200600_302600_NS6detail15normal_iteratorINS9_10device_ptrIjEEEESE_SE_jNS9_4plusIvEENS9_8equal_toIvEEjEE10hipError_tPvRmT2_T3_T4_T5_mT6_T7_P12ihipStream_tbENKUlT_T0_E_clISt17integral_constantIbLb1EESZ_EEDaSU_SV_EUlSU_E_NS1_11comp_targetILNS1_3genE2ELNS1_11target_archE906ELNS1_3gpuE6ELNS1_3repE0EEENS1_30default_config_static_selectorELNS0_4arch9wavefront6targetE0EEEvT1_: ; @_ZN7rocprim17ROCPRIM_400000_NS6detail17trampoline_kernelINS0_14default_configENS1_27scan_by_key_config_selectorIjjEEZZNS1_16scan_by_key_implILNS1_25lookback_scan_determinismE0ELb0ES3_N6thrust23THRUST_200600_302600_NS6detail15normal_iteratorINS9_10device_ptrIjEEEESE_SE_jNS9_4plusIvEENS9_8equal_toIvEEjEE10hipError_tPvRmT2_T3_T4_T5_mT6_T7_P12ihipStream_tbENKUlT_T0_E_clISt17integral_constantIbLb1EESZ_EEDaSU_SV_EUlSU_E_NS1_11comp_targetILNS1_3genE2ELNS1_11target_archE906ELNS1_3gpuE6ELNS1_3repE0EEENS1_30default_config_static_selectorELNS0_4arch9wavefront6targetE0EEEvT1_
; %bb.0:
	.section	.rodata,"a",@progbits
	.p2align	6, 0x0
	.amdhsa_kernel _ZN7rocprim17ROCPRIM_400000_NS6detail17trampoline_kernelINS0_14default_configENS1_27scan_by_key_config_selectorIjjEEZZNS1_16scan_by_key_implILNS1_25lookback_scan_determinismE0ELb0ES3_N6thrust23THRUST_200600_302600_NS6detail15normal_iteratorINS9_10device_ptrIjEEEESE_SE_jNS9_4plusIvEENS9_8equal_toIvEEjEE10hipError_tPvRmT2_T3_T4_T5_mT6_T7_P12ihipStream_tbENKUlT_T0_E_clISt17integral_constantIbLb1EESZ_EEDaSU_SV_EUlSU_E_NS1_11comp_targetILNS1_3genE2ELNS1_11target_archE906ELNS1_3gpuE6ELNS1_3repE0EEENS1_30default_config_static_selectorELNS0_4arch9wavefront6targetE0EEEvT1_
		.amdhsa_group_segment_fixed_size 0
		.amdhsa_private_segment_fixed_size 0
		.amdhsa_kernarg_size 112
		.amdhsa_user_sgpr_count 2
		.amdhsa_user_sgpr_dispatch_ptr 0
		.amdhsa_user_sgpr_queue_ptr 0
		.amdhsa_user_sgpr_kernarg_segment_ptr 1
		.amdhsa_user_sgpr_dispatch_id 0
		.amdhsa_user_sgpr_kernarg_preload_length 0
		.amdhsa_user_sgpr_kernarg_preload_offset 0
		.amdhsa_user_sgpr_private_segment_size 0
		.amdhsa_wavefront_size32 1
		.amdhsa_uses_dynamic_stack 0
		.amdhsa_enable_private_segment 0
		.amdhsa_system_sgpr_workgroup_id_x 1
		.amdhsa_system_sgpr_workgroup_id_y 0
		.amdhsa_system_sgpr_workgroup_id_z 0
		.amdhsa_system_sgpr_workgroup_info 0
		.amdhsa_system_vgpr_workitem_id 0
		.amdhsa_next_free_vgpr 1
		.amdhsa_next_free_sgpr 1
		.amdhsa_named_barrier_count 0
		.amdhsa_reserve_vcc 0
		.amdhsa_float_round_mode_32 0
		.amdhsa_float_round_mode_16_64 0
		.amdhsa_float_denorm_mode_32 3
		.amdhsa_float_denorm_mode_16_64 3
		.amdhsa_fp16_overflow 0
		.amdhsa_memory_ordered 1
		.amdhsa_forward_progress 1
		.amdhsa_inst_pref_size 0
		.amdhsa_round_robin_scheduling 0
		.amdhsa_exception_fp_ieee_invalid_op 0
		.amdhsa_exception_fp_denorm_src 0
		.amdhsa_exception_fp_ieee_div_zero 0
		.amdhsa_exception_fp_ieee_overflow 0
		.amdhsa_exception_fp_ieee_underflow 0
		.amdhsa_exception_fp_ieee_inexact 0
		.amdhsa_exception_int_div_zero 0
	.end_amdhsa_kernel
	.section	.text._ZN7rocprim17ROCPRIM_400000_NS6detail17trampoline_kernelINS0_14default_configENS1_27scan_by_key_config_selectorIjjEEZZNS1_16scan_by_key_implILNS1_25lookback_scan_determinismE0ELb0ES3_N6thrust23THRUST_200600_302600_NS6detail15normal_iteratorINS9_10device_ptrIjEEEESE_SE_jNS9_4plusIvEENS9_8equal_toIvEEjEE10hipError_tPvRmT2_T3_T4_T5_mT6_T7_P12ihipStream_tbENKUlT_T0_E_clISt17integral_constantIbLb1EESZ_EEDaSU_SV_EUlSU_E_NS1_11comp_targetILNS1_3genE2ELNS1_11target_archE906ELNS1_3gpuE6ELNS1_3repE0EEENS1_30default_config_static_selectorELNS0_4arch9wavefront6targetE0EEEvT1_,"axG",@progbits,_ZN7rocprim17ROCPRIM_400000_NS6detail17trampoline_kernelINS0_14default_configENS1_27scan_by_key_config_selectorIjjEEZZNS1_16scan_by_key_implILNS1_25lookback_scan_determinismE0ELb0ES3_N6thrust23THRUST_200600_302600_NS6detail15normal_iteratorINS9_10device_ptrIjEEEESE_SE_jNS9_4plusIvEENS9_8equal_toIvEEjEE10hipError_tPvRmT2_T3_T4_T5_mT6_T7_P12ihipStream_tbENKUlT_T0_E_clISt17integral_constantIbLb1EESZ_EEDaSU_SV_EUlSU_E_NS1_11comp_targetILNS1_3genE2ELNS1_11target_archE906ELNS1_3gpuE6ELNS1_3repE0EEENS1_30default_config_static_selectorELNS0_4arch9wavefront6targetE0EEEvT1_,comdat
.Lfunc_end1841:
	.size	_ZN7rocprim17ROCPRIM_400000_NS6detail17trampoline_kernelINS0_14default_configENS1_27scan_by_key_config_selectorIjjEEZZNS1_16scan_by_key_implILNS1_25lookback_scan_determinismE0ELb0ES3_N6thrust23THRUST_200600_302600_NS6detail15normal_iteratorINS9_10device_ptrIjEEEESE_SE_jNS9_4plusIvEENS9_8equal_toIvEEjEE10hipError_tPvRmT2_T3_T4_T5_mT6_T7_P12ihipStream_tbENKUlT_T0_E_clISt17integral_constantIbLb1EESZ_EEDaSU_SV_EUlSU_E_NS1_11comp_targetILNS1_3genE2ELNS1_11target_archE906ELNS1_3gpuE6ELNS1_3repE0EEENS1_30default_config_static_selectorELNS0_4arch9wavefront6targetE0EEEvT1_, .Lfunc_end1841-_ZN7rocprim17ROCPRIM_400000_NS6detail17trampoline_kernelINS0_14default_configENS1_27scan_by_key_config_selectorIjjEEZZNS1_16scan_by_key_implILNS1_25lookback_scan_determinismE0ELb0ES3_N6thrust23THRUST_200600_302600_NS6detail15normal_iteratorINS9_10device_ptrIjEEEESE_SE_jNS9_4plusIvEENS9_8equal_toIvEEjEE10hipError_tPvRmT2_T3_T4_T5_mT6_T7_P12ihipStream_tbENKUlT_T0_E_clISt17integral_constantIbLb1EESZ_EEDaSU_SV_EUlSU_E_NS1_11comp_targetILNS1_3genE2ELNS1_11target_archE906ELNS1_3gpuE6ELNS1_3repE0EEENS1_30default_config_static_selectorELNS0_4arch9wavefront6targetE0EEEvT1_
                                        ; -- End function
	.set _ZN7rocprim17ROCPRIM_400000_NS6detail17trampoline_kernelINS0_14default_configENS1_27scan_by_key_config_selectorIjjEEZZNS1_16scan_by_key_implILNS1_25lookback_scan_determinismE0ELb0ES3_N6thrust23THRUST_200600_302600_NS6detail15normal_iteratorINS9_10device_ptrIjEEEESE_SE_jNS9_4plusIvEENS9_8equal_toIvEEjEE10hipError_tPvRmT2_T3_T4_T5_mT6_T7_P12ihipStream_tbENKUlT_T0_E_clISt17integral_constantIbLb1EESZ_EEDaSU_SV_EUlSU_E_NS1_11comp_targetILNS1_3genE2ELNS1_11target_archE906ELNS1_3gpuE6ELNS1_3repE0EEENS1_30default_config_static_selectorELNS0_4arch9wavefront6targetE0EEEvT1_.num_vgpr, 0
	.set _ZN7rocprim17ROCPRIM_400000_NS6detail17trampoline_kernelINS0_14default_configENS1_27scan_by_key_config_selectorIjjEEZZNS1_16scan_by_key_implILNS1_25lookback_scan_determinismE0ELb0ES3_N6thrust23THRUST_200600_302600_NS6detail15normal_iteratorINS9_10device_ptrIjEEEESE_SE_jNS9_4plusIvEENS9_8equal_toIvEEjEE10hipError_tPvRmT2_T3_T4_T5_mT6_T7_P12ihipStream_tbENKUlT_T0_E_clISt17integral_constantIbLb1EESZ_EEDaSU_SV_EUlSU_E_NS1_11comp_targetILNS1_3genE2ELNS1_11target_archE906ELNS1_3gpuE6ELNS1_3repE0EEENS1_30default_config_static_selectorELNS0_4arch9wavefront6targetE0EEEvT1_.num_agpr, 0
	.set _ZN7rocprim17ROCPRIM_400000_NS6detail17trampoline_kernelINS0_14default_configENS1_27scan_by_key_config_selectorIjjEEZZNS1_16scan_by_key_implILNS1_25lookback_scan_determinismE0ELb0ES3_N6thrust23THRUST_200600_302600_NS6detail15normal_iteratorINS9_10device_ptrIjEEEESE_SE_jNS9_4plusIvEENS9_8equal_toIvEEjEE10hipError_tPvRmT2_T3_T4_T5_mT6_T7_P12ihipStream_tbENKUlT_T0_E_clISt17integral_constantIbLb1EESZ_EEDaSU_SV_EUlSU_E_NS1_11comp_targetILNS1_3genE2ELNS1_11target_archE906ELNS1_3gpuE6ELNS1_3repE0EEENS1_30default_config_static_selectorELNS0_4arch9wavefront6targetE0EEEvT1_.numbered_sgpr, 0
	.set _ZN7rocprim17ROCPRIM_400000_NS6detail17trampoline_kernelINS0_14default_configENS1_27scan_by_key_config_selectorIjjEEZZNS1_16scan_by_key_implILNS1_25lookback_scan_determinismE0ELb0ES3_N6thrust23THRUST_200600_302600_NS6detail15normal_iteratorINS9_10device_ptrIjEEEESE_SE_jNS9_4plusIvEENS9_8equal_toIvEEjEE10hipError_tPvRmT2_T3_T4_T5_mT6_T7_P12ihipStream_tbENKUlT_T0_E_clISt17integral_constantIbLb1EESZ_EEDaSU_SV_EUlSU_E_NS1_11comp_targetILNS1_3genE2ELNS1_11target_archE906ELNS1_3gpuE6ELNS1_3repE0EEENS1_30default_config_static_selectorELNS0_4arch9wavefront6targetE0EEEvT1_.num_named_barrier, 0
	.set _ZN7rocprim17ROCPRIM_400000_NS6detail17trampoline_kernelINS0_14default_configENS1_27scan_by_key_config_selectorIjjEEZZNS1_16scan_by_key_implILNS1_25lookback_scan_determinismE0ELb0ES3_N6thrust23THRUST_200600_302600_NS6detail15normal_iteratorINS9_10device_ptrIjEEEESE_SE_jNS9_4plusIvEENS9_8equal_toIvEEjEE10hipError_tPvRmT2_T3_T4_T5_mT6_T7_P12ihipStream_tbENKUlT_T0_E_clISt17integral_constantIbLb1EESZ_EEDaSU_SV_EUlSU_E_NS1_11comp_targetILNS1_3genE2ELNS1_11target_archE906ELNS1_3gpuE6ELNS1_3repE0EEENS1_30default_config_static_selectorELNS0_4arch9wavefront6targetE0EEEvT1_.private_seg_size, 0
	.set _ZN7rocprim17ROCPRIM_400000_NS6detail17trampoline_kernelINS0_14default_configENS1_27scan_by_key_config_selectorIjjEEZZNS1_16scan_by_key_implILNS1_25lookback_scan_determinismE0ELb0ES3_N6thrust23THRUST_200600_302600_NS6detail15normal_iteratorINS9_10device_ptrIjEEEESE_SE_jNS9_4plusIvEENS9_8equal_toIvEEjEE10hipError_tPvRmT2_T3_T4_T5_mT6_T7_P12ihipStream_tbENKUlT_T0_E_clISt17integral_constantIbLb1EESZ_EEDaSU_SV_EUlSU_E_NS1_11comp_targetILNS1_3genE2ELNS1_11target_archE906ELNS1_3gpuE6ELNS1_3repE0EEENS1_30default_config_static_selectorELNS0_4arch9wavefront6targetE0EEEvT1_.uses_vcc, 0
	.set _ZN7rocprim17ROCPRIM_400000_NS6detail17trampoline_kernelINS0_14default_configENS1_27scan_by_key_config_selectorIjjEEZZNS1_16scan_by_key_implILNS1_25lookback_scan_determinismE0ELb0ES3_N6thrust23THRUST_200600_302600_NS6detail15normal_iteratorINS9_10device_ptrIjEEEESE_SE_jNS9_4plusIvEENS9_8equal_toIvEEjEE10hipError_tPvRmT2_T3_T4_T5_mT6_T7_P12ihipStream_tbENKUlT_T0_E_clISt17integral_constantIbLb1EESZ_EEDaSU_SV_EUlSU_E_NS1_11comp_targetILNS1_3genE2ELNS1_11target_archE906ELNS1_3gpuE6ELNS1_3repE0EEENS1_30default_config_static_selectorELNS0_4arch9wavefront6targetE0EEEvT1_.uses_flat_scratch, 0
	.set _ZN7rocprim17ROCPRIM_400000_NS6detail17trampoline_kernelINS0_14default_configENS1_27scan_by_key_config_selectorIjjEEZZNS1_16scan_by_key_implILNS1_25lookback_scan_determinismE0ELb0ES3_N6thrust23THRUST_200600_302600_NS6detail15normal_iteratorINS9_10device_ptrIjEEEESE_SE_jNS9_4plusIvEENS9_8equal_toIvEEjEE10hipError_tPvRmT2_T3_T4_T5_mT6_T7_P12ihipStream_tbENKUlT_T0_E_clISt17integral_constantIbLb1EESZ_EEDaSU_SV_EUlSU_E_NS1_11comp_targetILNS1_3genE2ELNS1_11target_archE906ELNS1_3gpuE6ELNS1_3repE0EEENS1_30default_config_static_selectorELNS0_4arch9wavefront6targetE0EEEvT1_.has_dyn_sized_stack, 0
	.set _ZN7rocprim17ROCPRIM_400000_NS6detail17trampoline_kernelINS0_14default_configENS1_27scan_by_key_config_selectorIjjEEZZNS1_16scan_by_key_implILNS1_25lookback_scan_determinismE0ELb0ES3_N6thrust23THRUST_200600_302600_NS6detail15normal_iteratorINS9_10device_ptrIjEEEESE_SE_jNS9_4plusIvEENS9_8equal_toIvEEjEE10hipError_tPvRmT2_T3_T4_T5_mT6_T7_P12ihipStream_tbENKUlT_T0_E_clISt17integral_constantIbLb1EESZ_EEDaSU_SV_EUlSU_E_NS1_11comp_targetILNS1_3genE2ELNS1_11target_archE906ELNS1_3gpuE6ELNS1_3repE0EEENS1_30default_config_static_selectorELNS0_4arch9wavefront6targetE0EEEvT1_.has_recursion, 0
	.set _ZN7rocprim17ROCPRIM_400000_NS6detail17trampoline_kernelINS0_14default_configENS1_27scan_by_key_config_selectorIjjEEZZNS1_16scan_by_key_implILNS1_25lookback_scan_determinismE0ELb0ES3_N6thrust23THRUST_200600_302600_NS6detail15normal_iteratorINS9_10device_ptrIjEEEESE_SE_jNS9_4plusIvEENS9_8equal_toIvEEjEE10hipError_tPvRmT2_T3_T4_T5_mT6_T7_P12ihipStream_tbENKUlT_T0_E_clISt17integral_constantIbLb1EESZ_EEDaSU_SV_EUlSU_E_NS1_11comp_targetILNS1_3genE2ELNS1_11target_archE906ELNS1_3gpuE6ELNS1_3repE0EEENS1_30default_config_static_selectorELNS0_4arch9wavefront6targetE0EEEvT1_.has_indirect_call, 0
	.section	.AMDGPU.csdata,"",@progbits
; Kernel info:
; codeLenInByte = 0
; TotalNumSgprs: 0
; NumVgprs: 0
; ScratchSize: 0
; MemoryBound: 0
; FloatMode: 240
; IeeeMode: 1
; LDSByteSize: 0 bytes/workgroup (compile time only)
; SGPRBlocks: 0
; VGPRBlocks: 0
; NumSGPRsForWavesPerEU: 1
; NumVGPRsForWavesPerEU: 1
; NamedBarCnt: 0
; Occupancy: 16
; WaveLimiterHint : 0
; COMPUTE_PGM_RSRC2:SCRATCH_EN: 0
; COMPUTE_PGM_RSRC2:USER_SGPR: 2
; COMPUTE_PGM_RSRC2:TRAP_HANDLER: 0
; COMPUTE_PGM_RSRC2:TGID_X_EN: 1
; COMPUTE_PGM_RSRC2:TGID_Y_EN: 0
; COMPUTE_PGM_RSRC2:TGID_Z_EN: 0
; COMPUTE_PGM_RSRC2:TIDIG_COMP_CNT: 0
	.section	.text._ZN7rocprim17ROCPRIM_400000_NS6detail17trampoline_kernelINS0_14default_configENS1_27scan_by_key_config_selectorIjjEEZZNS1_16scan_by_key_implILNS1_25lookback_scan_determinismE0ELb0ES3_N6thrust23THRUST_200600_302600_NS6detail15normal_iteratorINS9_10device_ptrIjEEEESE_SE_jNS9_4plusIvEENS9_8equal_toIvEEjEE10hipError_tPvRmT2_T3_T4_T5_mT6_T7_P12ihipStream_tbENKUlT_T0_E_clISt17integral_constantIbLb1EESZ_EEDaSU_SV_EUlSU_E_NS1_11comp_targetILNS1_3genE10ELNS1_11target_archE1200ELNS1_3gpuE4ELNS1_3repE0EEENS1_30default_config_static_selectorELNS0_4arch9wavefront6targetE0EEEvT1_,"axG",@progbits,_ZN7rocprim17ROCPRIM_400000_NS6detail17trampoline_kernelINS0_14default_configENS1_27scan_by_key_config_selectorIjjEEZZNS1_16scan_by_key_implILNS1_25lookback_scan_determinismE0ELb0ES3_N6thrust23THRUST_200600_302600_NS6detail15normal_iteratorINS9_10device_ptrIjEEEESE_SE_jNS9_4plusIvEENS9_8equal_toIvEEjEE10hipError_tPvRmT2_T3_T4_T5_mT6_T7_P12ihipStream_tbENKUlT_T0_E_clISt17integral_constantIbLb1EESZ_EEDaSU_SV_EUlSU_E_NS1_11comp_targetILNS1_3genE10ELNS1_11target_archE1200ELNS1_3gpuE4ELNS1_3repE0EEENS1_30default_config_static_selectorELNS0_4arch9wavefront6targetE0EEEvT1_,comdat
	.protected	_ZN7rocprim17ROCPRIM_400000_NS6detail17trampoline_kernelINS0_14default_configENS1_27scan_by_key_config_selectorIjjEEZZNS1_16scan_by_key_implILNS1_25lookback_scan_determinismE0ELb0ES3_N6thrust23THRUST_200600_302600_NS6detail15normal_iteratorINS9_10device_ptrIjEEEESE_SE_jNS9_4plusIvEENS9_8equal_toIvEEjEE10hipError_tPvRmT2_T3_T4_T5_mT6_T7_P12ihipStream_tbENKUlT_T0_E_clISt17integral_constantIbLb1EESZ_EEDaSU_SV_EUlSU_E_NS1_11comp_targetILNS1_3genE10ELNS1_11target_archE1200ELNS1_3gpuE4ELNS1_3repE0EEENS1_30default_config_static_selectorELNS0_4arch9wavefront6targetE0EEEvT1_ ; -- Begin function _ZN7rocprim17ROCPRIM_400000_NS6detail17trampoline_kernelINS0_14default_configENS1_27scan_by_key_config_selectorIjjEEZZNS1_16scan_by_key_implILNS1_25lookback_scan_determinismE0ELb0ES3_N6thrust23THRUST_200600_302600_NS6detail15normal_iteratorINS9_10device_ptrIjEEEESE_SE_jNS9_4plusIvEENS9_8equal_toIvEEjEE10hipError_tPvRmT2_T3_T4_T5_mT6_T7_P12ihipStream_tbENKUlT_T0_E_clISt17integral_constantIbLb1EESZ_EEDaSU_SV_EUlSU_E_NS1_11comp_targetILNS1_3genE10ELNS1_11target_archE1200ELNS1_3gpuE4ELNS1_3repE0EEENS1_30default_config_static_selectorELNS0_4arch9wavefront6targetE0EEEvT1_
	.globl	_ZN7rocprim17ROCPRIM_400000_NS6detail17trampoline_kernelINS0_14default_configENS1_27scan_by_key_config_selectorIjjEEZZNS1_16scan_by_key_implILNS1_25lookback_scan_determinismE0ELb0ES3_N6thrust23THRUST_200600_302600_NS6detail15normal_iteratorINS9_10device_ptrIjEEEESE_SE_jNS9_4plusIvEENS9_8equal_toIvEEjEE10hipError_tPvRmT2_T3_T4_T5_mT6_T7_P12ihipStream_tbENKUlT_T0_E_clISt17integral_constantIbLb1EESZ_EEDaSU_SV_EUlSU_E_NS1_11comp_targetILNS1_3genE10ELNS1_11target_archE1200ELNS1_3gpuE4ELNS1_3repE0EEENS1_30default_config_static_selectorELNS0_4arch9wavefront6targetE0EEEvT1_
	.p2align	8
	.type	_ZN7rocprim17ROCPRIM_400000_NS6detail17trampoline_kernelINS0_14default_configENS1_27scan_by_key_config_selectorIjjEEZZNS1_16scan_by_key_implILNS1_25lookback_scan_determinismE0ELb0ES3_N6thrust23THRUST_200600_302600_NS6detail15normal_iteratorINS9_10device_ptrIjEEEESE_SE_jNS9_4plusIvEENS9_8equal_toIvEEjEE10hipError_tPvRmT2_T3_T4_T5_mT6_T7_P12ihipStream_tbENKUlT_T0_E_clISt17integral_constantIbLb1EESZ_EEDaSU_SV_EUlSU_E_NS1_11comp_targetILNS1_3genE10ELNS1_11target_archE1200ELNS1_3gpuE4ELNS1_3repE0EEENS1_30default_config_static_selectorELNS0_4arch9wavefront6targetE0EEEvT1_,@function
_ZN7rocprim17ROCPRIM_400000_NS6detail17trampoline_kernelINS0_14default_configENS1_27scan_by_key_config_selectorIjjEEZZNS1_16scan_by_key_implILNS1_25lookback_scan_determinismE0ELb0ES3_N6thrust23THRUST_200600_302600_NS6detail15normal_iteratorINS9_10device_ptrIjEEEESE_SE_jNS9_4plusIvEENS9_8equal_toIvEEjEE10hipError_tPvRmT2_T3_T4_T5_mT6_T7_P12ihipStream_tbENKUlT_T0_E_clISt17integral_constantIbLb1EESZ_EEDaSU_SV_EUlSU_E_NS1_11comp_targetILNS1_3genE10ELNS1_11target_archE1200ELNS1_3gpuE4ELNS1_3repE0EEENS1_30default_config_static_selectorELNS0_4arch9wavefront6targetE0EEEvT1_: ; @_ZN7rocprim17ROCPRIM_400000_NS6detail17trampoline_kernelINS0_14default_configENS1_27scan_by_key_config_selectorIjjEEZZNS1_16scan_by_key_implILNS1_25lookback_scan_determinismE0ELb0ES3_N6thrust23THRUST_200600_302600_NS6detail15normal_iteratorINS9_10device_ptrIjEEEESE_SE_jNS9_4plusIvEENS9_8equal_toIvEEjEE10hipError_tPvRmT2_T3_T4_T5_mT6_T7_P12ihipStream_tbENKUlT_T0_E_clISt17integral_constantIbLb1EESZ_EEDaSU_SV_EUlSU_E_NS1_11comp_targetILNS1_3genE10ELNS1_11target_archE1200ELNS1_3gpuE4ELNS1_3repE0EEENS1_30default_config_static_selectorELNS0_4arch9wavefront6targetE0EEEvT1_
; %bb.0:
	.section	.rodata,"a",@progbits
	.p2align	6, 0x0
	.amdhsa_kernel _ZN7rocprim17ROCPRIM_400000_NS6detail17trampoline_kernelINS0_14default_configENS1_27scan_by_key_config_selectorIjjEEZZNS1_16scan_by_key_implILNS1_25lookback_scan_determinismE0ELb0ES3_N6thrust23THRUST_200600_302600_NS6detail15normal_iteratorINS9_10device_ptrIjEEEESE_SE_jNS9_4plusIvEENS9_8equal_toIvEEjEE10hipError_tPvRmT2_T3_T4_T5_mT6_T7_P12ihipStream_tbENKUlT_T0_E_clISt17integral_constantIbLb1EESZ_EEDaSU_SV_EUlSU_E_NS1_11comp_targetILNS1_3genE10ELNS1_11target_archE1200ELNS1_3gpuE4ELNS1_3repE0EEENS1_30default_config_static_selectorELNS0_4arch9wavefront6targetE0EEEvT1_
		.amdhsa_group_segment_fixed_size 0
		.amdhsa_private_segment_fixed_size 0
		.amdhsa_kernarg_size 112
		.amdhsa_user_sgpr_count 2
		.amdhsa_user_sgpr_dispatch_ptr 0
		.amdhsa_user_sgpr_queue_ptr 0
		.amdhsa_user_sgpr_kernarg_segment_ptr 1
		.amdhsa_user_sgpr_dispatch_id 0
		.amdhsa_user_sgpr_kernarg_preload_length 0
		.amdhsa_user_sgpr_kernarg_preload_offset 0
		.amdhsa_user_sgpr_private_segment_size 0
		.amdhsa_wavefront_size32 1
		.amdhsa_uses_dynamic_stack 0
		.amdhsa_enable_private_segment 0
		.amdhsa_system_sgpr_workgroup_id_x 1
		.amdhsa_system_sgpr_workgroup_id_y 0
		.amdhsa_system_sgpr_workgroup_id_z 0
		.amdhsa_system_sgpr_workgroup_info 0
		.amdhsa_system_vgpr_workitem_id 0
		.amdhsa_next_free_vgpr 1
		.amdhsa_next_free_sgpr 1
		.amdhsa_named_barrier_count 0
		.amdhsa_reserve_vcc 0
		.amdhsa_float_round_mode_32 0
		.amdhsa_float_round_mode_16_64 0
		.amdhsa_float_denorm_mode_32 3
		.amdhsa_float_denorm_mode_16_64 3
		.amdhsa_fp16_overflow 0
		.amdhsa_memory_ordered 1
		.amdhsa_forward_progress 1
		.amdhsa_inst_pref_size 0
		.amdhsa_round_robin_scheduling 0
		.amdhsa_exception_fp_ieee_invalid_op 0
		.amdhsa_exception_fp_denorm_src 0
		.amdhsa_exception_fp_ieee_div_zero 0
		.amdhsa_exception_fp_ieee_overflow 0
		.amdhsa_exception_fp_ieee_underflow 0
		.amdhsa_exception_fp_ieee_inexact 0
		.amdhsa_exception_int_div_zero 0
	.end_amdhsa_kernel
	.section	.text._ZN7rocprim17ROCPRIM_400000_NS6detail17trampoline_kernelINS0_14default_configENS1_27scan_by_key_config_selectorIjjEEZZNS1_16scan_by_key_implILNS1_25lookback_scan_determinismE0ELb0ES3_N6thrust23THRUST_200600_302600_NS6detail15normal_iteratorINS9_10device_ptrIjEEEESE_SE_jNS9_4plusIvEENS9_8equal_toIvEEjEE10hipError_tPvRmT2_T3_T4_T5_mT6_T7_P12ihipStream_tbENKUlT_T0_E_clISt17integral_constantIbLb1EESZ_EEDaSU_SV_EUlSU_E_NS1_11comp_targetILNS1_3genE10ELNS1_11target_archE1200ELNS1_3gpuE4ELNS1_3repE0EEENS1_30default_config_static_selectorELNS0_4arch9wavefront6targetE0EEEvT1_,"axG",@progbits,_ZN7rocprim17ROCPRIM_400000_NS6detail17trampoline_kernelINS0_14default_configENS1_27scan_by_key_config_selectorIjjEEZZNS1_16scan_by_key_implILNS1_25lookback_scan_determinismE0ELb0ES3_N6thrust23THRUST_200600_302600_NS6detail15normal_iteratorINS9_10device_ptrIjEEEESE_SE_jNS9_4plusIvEENS9_8equal_toIvEEjEE10hipError_tPvRmT2_T3_T4_T5_mT6_T7_P12ihipStream_tbENKUlT_T0_E_clISt17integral_constantIbLb1EESZ_EEDaSU_SV_EUlSU_E_NS1_11comp_targetILNS1_3genE10ELNS1_11target_archE1200ELNS1_3gpuE4ELNS1_3repE0EEENS1_30default_config_static_selectorELNS0_4arch9wavefront6targetE0EEEvT1_,comdat
.Lfunc_end1842:
	.size	_ZN7rocprim17ROCPRIM_400000_NS6detail17trampoline_kernelINS0_14default_configENS1_27scan_by_key_config_selectorIjjEEZZNS1_16scan_by_key_implILNS1_25lookback_scan_determinismE0ELb0ES3_N6thrust23THRUST_200600_302600_NS6detail15normal_iteratorINS9_10device_ptrIjEEEESE_SE_jNS9_4plusIvEENS9_8equal_toIvEEjEE10hipError_tPvRmT2_T3_T4_T5_mT6_T7_P12ihipStream_tbENKUlT_T0_E_clISt17integral_constantIbLb1EESZ_EEDaSU_SV_EUlSU_E_NS1_11comp_targetILNS1_3genE10ELNS1_11target_archE1200ELNS1_3gpuE4ELNS1_3repE0EEENS1_30default_config_static_selectorELNS0_4arch9wavefront6targetE0EEEvT1_, .Lfunc_end1842-_ZN7rocprim17ROCPRIM_400000_NS6detail17trampoline_kernelINS0_14default_configENS1_27scan_by_key_config_selectorIjjEEZZNS1_16scan_by_key_implILNS1_25lookback_scan_determinismE0ELb0ES3_N6thrust23THRUST_200600_302600_NS6detail15normal_iteratorINS9_10device_ptrIjEEEESE_SE_jNS9_4plusIvEENS9_8equal_toIvEEjEE10hipError_tPvRmT2_T3_T4_T5_mT6_T7_P12ihipStream_tbENKUlT_T0_E_clISt17integral_constantIbLb1EESZ_EEDaSU_SV_EUlSU_E_NS1_11comp_targetILNS1_3genE10ELNS1_11target_archE1200ELNS1_3gpuE4ELNS1_3repE0EEENS1_30default_config_static_selectorELNS0_4arch9wavefront6targetE0EEEvT1_
                                        ; -- End function
	.set _ZN7rocprim17ROCPRIM_400000_NS6detail17trampoline_kernelINS0_14default_configENS1_27scan_by_key_config_selectorIjjEEZZNS1_16scan_by_key_implILNS1_25lookback_scan_determinismE0ELb0ES3_N6thrust23THRUST_200600_302600_NS6detail15normal_iteratorINS9_10device_ptrIjEEEESE_SE_jNS9_4plusIvEENS9_8equal_toIvEEjEE10hipError_tPvRmT2_T3_T4_T5_mT6_T7_P12ihipStream_tbENKUlT_T0_E_clISt17integral_constantIbLb1EESZ_EEDaSU_SV_EUlSU_E_NS1_11comp_targetILNS1_3genE10ELNS1_11target_archE1200ELNS1_3gpuE4ELNS1_3repE0EEENS1_30default_config_static_selectorELNS0_4arch9wavefront6targetE0EEEvT1_.num_vgpr, 0
	.set _ZN7rocprim17ROCPRIM_400000_NS6detail17trampoline_kernelINS0_14default_configENS1_27scan_by_key_config_selectorIjjEEZZNS1_16scan_by_key_implILNS1_25lookback_scan_determinismE0ELb0ES3_N6thrust23THRUST_200600_302600_NS6detail15normal_iteratorINS9_10device_ptrIjEEEESE_SE_jNS9_4plusIvEENS9_8equal_toIvEEjEE10hipError_tPvRmT2_T3_T4_T5_mT6_T7_P12ihipStream_tbENKUlT_T0_E_clISt17integral_constantIbLb1EESZ_EEDaSU_SV_EUlSU_E_NS1_11comp_targetILNS1_3genE10ELNS1_11target_archE1200ELNS1_3gpuE4ELNS1_3repE0EEENS1_30default_config_static_selectorELNS0_4arch9wavefront6targetE0EEEvT1_.num_agpr, 0
	.set _ZN7rocprim17ROCPRIM_400000_NS6detail17trampoline_kernelINS0_14default_configENS1_27scan_by_key_config_selectorIjjEEZZNS1_16scan_by_key_implILNS1_25lookback_scan_determinismE0ELb0ES3_N6thrust23THRUST_200600_302600_NS6detail15normal_iteratorINS9_10device_ptrIjEEEESE_SE_jNS9_4plusIvEENS9_8equal_toIvEEjEE10hipError_tPvRmT2_T3_T4_T5_mT6_T7_P12ihipStream_tbENKUlT_T0_E_clISt17integral_constantIbLb1EESZ_EEDaSU_SV_EUlSU_E_NS1_11comp_targetILNS1_3genE10ELNS1_11target_archE1200ELNS1_3gpuE4ELNS1_3repE0EEENS1_30default_config_static_selectorELNS0_4arch9wavefront6targetE0EEEvT1_.numbered_sgpr, 0
	.set _ZN7rocprim17ROCPRIM_400000_NS6detail17trampoline_kernelINS0_14default_configENS1_27scan_by_key_config_selectorIjjEEZZNS1_16scan_by_key_implILNS1_25lookback_scan_determinismE0ELb0ES3_N6thrust23THRUST_200600_302600_NS6detail15normal_iteratorINS9_10device_ptrIjEEEESE_SE_jNS9_4plusIvEENS9_8equal_toIvEEjEE10hipError_tPvRmT2_T3_T4_T5_mT6_T7_P12ihipStream_tbENKUlT_T0_E_clISt17integral_constantIbLb1EESZ_EEDaSU_SV_EUlSU_E_NS1_11comp_targetILNS1_3genE10ELNS1_11target_archE1200ELNS1_3gpuE4ELNS1_3repE0EEENS1_30default_config_static_selectorELNS0_4arch9wavefront6targetE0EEEvT1_.num_named_barrier, 0
	.set _ZN7rocprim17ROCPRIM_400000_NS6detail17trampoline_kernelINS0_14default_configENS1_27scan_by_key_config_selectorIjjEEZZNS1_16scan_by_key_implILNS1_25lookback_scan_determinismE0ELb0ES3_N6thrust23THRUST_200600_302600_NS6detail15normal_iteratorINS9_10device_ptrIjEEEESE_SE_jNS9_4plusIvEENS9_8equal_toIvEEjEE10hipError_tPvRmT2_T3_T4_T5_mT6_T7_P12ihipStream_tbENKUlT_T0_E_clISt17integral_constantIbLb1EESZ_EEDaSU_SV_EUlSU_E_NS1_11comp_targetILNS1_3genE10ELNS1_11target_archE1200ELNS1_3gpuE4ELNS1_3repE0EEENS1_30default_config_static_selectorELNS0_4arch9wavefront6targetE0EEEvT1_.private_seg_size, 0
	.set _ZN7rocprim17ROCPRIM_400000_NS6detail17trampoline_kernelINS0_14default_configENS1_27scan_by_key_config_selectorIjjEEZZNS1_16scan_by_key_implILNS1_25lookback_scan_determinismE0ELb0ES3_N6thrust23THRUST_200600_302600_NS6detail15normal_iteratorINS9_10device_ptrIjEEEESE_SE_jNS9_4plusIvEENS9_8equal_toIvEEjEE10hipError_tPvRmT2_T3_T4_T5_mT6_T7_P12ihipStream_tbENKUlT_T0_E_clISt17integral_constantIbLb1EESZ_EEDaSU_SV_EUlSU_E_NS1_11comp_targetILNS1_3genE10ELNS1_11target_archE1200ELNS1_3gpuE4ELNS1_3repE0EEENS1_30default_config_static_selectorELNS0_4arch9wavefront6targetE0EEEvT1_.uses_vcc, 0
	.set _ZN7rocprim17ROCPRIM_400000_NS6detail17trampoline_kernelINS0_14default_configENS1_27scan_by_key_config_selectorIjjEEZZNS1_16scan_by_key_implILNS1_25lookback_scan_determinismE0ELb0ES3_N6thrust23THRUST_200600_302600_NS6detail15normal_iteratorINS9_10device_ptrIjEEEESE_SE_jNS9_4plusIvEENS9_8equal_toIvEEjEE10hipError_tPvRmT2_T3_T4_T5_mT6_T7_P12ihipStream_tbENKUlT_T0_E_clISt17integral_constantIbLb1EESZ_EEDaSU_SV_EUlSU_E_NS1_11comp_targetILNS1_3genE10ELNS1_11target_archE1200ELNS1_3gpuE4ELNS1_3repE0EEENS1_30default_config_static_selectorELNS0_4arch9wavefront6targetE0EEEvT1_.uses_flat_scratch, 0
	.set _ZN7rocprim17ROCPRIM_400000_NS6detail17trampoline_kernelINS0_14default_configENS1_27scan_by_key_config_selectorIjjEEZZNS1_16scan_by_key_implILNS1_25lookback_scan_determinismE0ELb0ES3_N6thrust23THRUST_200600_302600_NS6detail15normal_iteratorINS9_10device_ptrIjEEEESE_SE_jNS9_4plusIvEENS9_8equal_toIvEEjEE10hipError_tPvRmT2_T3_T4_T5_mT6_T7_P12ihipStream_tbENKUlT_T0_E_clISt17integral_constantIbLb1EESZ_EEDaSU_SV_EUlSU_E_NS1_11comp_targetILNS1_3genE10ELNS1_11target_archE1200ELNS1_3gpuE4ELNS1_3repE0EEENS1_30default_config_static_selectorELNS0_4arch9wavefront6targetE0EEEvT1_.has_dyn_sized_stack, 0
	.set _ZN7rocprim17ROCPRIM_400000_NS6detail17trampoline_kernelINS0_14default_configENS1_27scan_by_key_config_selectorIjjEEZZNS1_16scan_by_key_implILNS1_25lookback_scan_determinismE0ELb0ES3_N6thrust23THRUST_200600_302600_NS6detail15normal_iteratorINS9_10device_ptrIjEEEESE_SE_jNS9_4plusIvEENS9_8equal_toIvEEjEE10hipError_tPvRmT2_T3_T4_T5_mT6_T7_P12ihipStream_tbENKUlT_T0_E_clISt17integral_constantIbLb1EESZ_EEDaSU_SV_EUlSU_E_NS1_11comp_targetILNS1_3genE10ELNS1_11target_archE1200ELNS1_3gpuE4ELNS1_3repE0EEENS1_30default_config_static_selectorELNS0_4arch9wavefront6targetE0EEEvT1_.has_recursion, 0
	.set _ZN7rocprim17ROCPRIM_400000_NS6detail17trampoline_kernelINS0_14default_configENS1_27scan_by_key_config_selectorIjjEEZZNS1_16scan_by_key_implILNS1_25lookback_scan_determinismE0ELb0ES3_N6thrust23THRUST_200600_302600_NS6detail15normal_iteratorINS9_10device_ptrIjEEEESE_SE_jNS9_4plusIvEENS9_8equal_toIvEEjEE10hipError_tPvRmT2_T3_T4_T5_mT6_T7_P12ihipStream_tbENKUlT_T0_E_clISt17integral_constantIbLb1EESZ_EEDaSU_SV_EUlSU_E_NS1_11comp_targetILNS1_3genE10ELNS1_11target_archE1200ELNS1_3gpuE4ELNS1_3repE0EEENS1_30default_config_static_selectorELNS0_4arch9wavefront6targetE0EEEvT1_.has_indirect_call, 0
	.section	.AMDGPU.csdata,"",@progbits
; Kernel info:
; codeLenInByte = 0
; TotalNumSgprs: 0
; NumVgprs: 0
; ScratchSize: 0
; MemoryBound: 0
; FloatMode: 240
; IeeeMode: 1
; LDSByteSize: 0 bytes/workgroup (compile time only)
; SGPRBlocks: 0
; VGPRBlocks: 0
; NumSGPRsForWavesPerEU: 1
; NumVGPRsForWavesPerEU: 1
; NamedBarCnt: 0
; Occupancy: 16
; WaveLimiterHint : 0
; COMPUTE_PGM_RSRC2:SCRATCH_EN: 0
; COMPUTE_PGM_RSRC2:USER_SGPR: 2
; COMPUTE_PGM_RSRC2:TRAP_HANDLER: 0
; COMPUTE_PGM_RSRC2:TGID_X_EN: 1
; COMPUTE_PGM_RSRC2:TGID_Y_EN: 0
; COMPUTE_PGM_RSRC2:TGID_Z_EN: 0
; COMPUTE_PGM_RSRC2:TIDIG_COMP_CNT: 0
	.section	.text._ZN7rocprim17ROCPRIM_400000_NS6detail17trampoline_kernelINS0_14default_configENS1_27scan_by_key_config_selectorIjjEEZZNS1_16scan_by_key_implILNS1_25lookback_scan_determinismE0ELb0ES3_N6thrust23THRUST_200600_302600_NS6detail15normal_iteratorINS9_10device_ptrIjEEEESE_SE_jNS9_4plusIvEENS9_8equal_toIvEEjEE10hipError_tPvRmT2_T3_T4_T5_mT6_T7_P12ihipStream_tbENKUlT_T0_E_clISt17integral_constantIbLb1EESZ_EEDaSU_SV_EUlSU_E_NS1_11comp_targetILNS1_3genE9ELNS1_11target_archE1100ELNS1_3gpuE3ELNS1_3repE0EEENS1_30default_config_static_selectorELNS0_4arch9wavefront6targetE0EEEvT1_,"axG",@progbits,_ZN7rocprim17ROCPRIM_400000_NS6detail17trampoline_kernelINS0_14default_configENS1_27scan_by_key_config_selectorIjjEEZZNS1_16scan_by_key_implILNS1_25lookback_scan_determinismE0ELb0ES3_N6thrust23THRUST_200600_302600_NS6detail15normal_iteratorINS9_10device_ptrIjEEEESE_SE_jNS9_4plusIvEENS9_8equal_toIvEEjEE10hipError_tPvRmT2_T3_T4_T5_mT6_T7_P12ihipStream_tbENKUlT_T0_E_clISt17integral_constantIbLb1EESZ_EEDaSU_SV_EUlSU_E_NS1_11comp_targetILNS1_3genE9ELNS1_11target_archE1100ELNS1_3gpuE3ELNS1_3repE0EEENS1_30default_config_static_selectorELNS0_4arch9wavefront6targetE0EEEvT1_,comdat
	.protected	_ZN7rocprim17ROCPRIM_400000_NS6detail17trampoline_kernelINS0_14default_configENS1_27scan_by_key_config_selectorIjjEEZZNS1_16scan_by_key_implILNS1_25lookback_scan_determinismE0ELb0ES3_N6thrust23THRUST_200600_302600_NS6detail15normal_iteratorINS9_10device_ptrIjEEEESE_SE_jNS9_4plusIvEENS9_8equal_toIvEEjEE10hipError_tPvRmT2_T3_T4_T5_mT6_T7_P12ihipStream_tbENKUlT_T0_E_clISt17integral_constantIbLb1EESZ_EEDaSU_SV_EUlSU_E_NS1_11comp_targetILNS1_3genE9ELNS1_11target_archE1100ELNS1_3gpuE3ELNS1_3repE0EEENS1_30default_config_static_selectorELNS0_4arch9wavefront6targetE0EEEvT1_ ; -- Begin function _ZN7rocprim17ROCPRIM_400000_NS6detail17trampoline_kernelINS0_14default_configENS1_27scan_by_key_config_selectorIjjEEZZNS1_16scan_by_key_implILNS1_25lookback_scan_determinismE0ELb0ES3_N6thrust23THRUST_200600_302600_NS6detail15normal_iteratorINS9_10device_ptrIjEEEESE_SE_jNS9_4plusIvEENS9_8equal_toIvEEjEE10hipError_tPvRmT2_T3_T4_T5_mT6_T7_P12ihipStream_tbENKUlT_T0_E_clISt17integral_constantIbLb1EESZ_EEDaSU_SV_EUlSU_E_NS1_11comp_targetILNS1_3genE9ELNS1_11target_archE1100ELNS1_3gpuE3ELNS1_3repE0EEENS1_30default_config_static_selectorELNS0_4arch9wavefront6targetE0EEEvT1_
	.globl	_ZN7rocprim17ROCPRIM_400000_NS6detail17trampoline_kernelINS0_14default_configENS1_27scan_by_key_config_selectorIjjEEZZNS1_16scan_by_key_implILNS1_25lookback_scan_determinismE0ELb0ES3_N6thrust23THRUST_200600_302600_NS6detail15normal_iteratorINS9_10device_ptrIjEEEESE_SE_jNS9_4plusIvEENS9_8equal_toIvEEjEE10hipError_tPvRmT2_T3_T4_T5_mT6_T7_P12ihipStream_tbENKUlT_T0_E_clISt17integral_constantIbLb1EESZ_EEDaSU_SV_EUlSU_E_NS1_11comp_targetILNS1_3genE9ELNS1_11target_archE1100ELNS1_3gpuE3ELNS1_3repE0EEENS1_30default_config_static_selectorELNS0_4arch9wavefront6targetE0EEEvT1_
	.p2align	8
	.type	_ZN7rocprim17ROCPRIM_400000_NS6detail17trampoline_kernelINS0_14default_configENS1_27scan_by_key_config_selectorIjjEEZZNS1_16scan_by_key_implILNS1_25lookback_scan_determinismE0ELb0ES3_N6thrust23THRUST_200600_302600_NS6detail15normal_iteratorINS9_10device_ptrIjEEEESE_SE_jNS9_4plusIvEENS9_8equal_toIvEEjEE10hipError_tPvRmT2_T3_T4_T5_mT6_T7_P12ihipStream_tbENKUlT_T0_E_clISt17integral_constantIbLb1EESZ_EEDaSU_SV_EUlSU_E_NS1_11comp_targetILNS1_3genE9ELNS1_11target_archE1100ELNS1_3gpuE3ELNS1_3repE0EEENS1_30default_config_static_selectorELNS0_4arch9wavefront6targetE0EEEvT1_,@function
_ZN7rocprim17ROCPRIM_400000_NS6detail17trampoline_kernelINS0_14default_configENS1_27scan_by_key_config_selectorIjjEEZZNS1_16scan_by_key_implILNS1_25lookback_scan_determinismE0ELb0ES3_N6thrust23THRUST_200600_302600_NS6detail15normal_iteratorINS9_10device_ptrIjEEEESE_SE_jNS9_4plusIvEENS9_8equal_toIvEEjEE10hipError_tPvRmT2_T3_T4_T5_mT6_T7_P12ihipStream_tbENKUlT_T0_E_clISt17integral_constantIbLb1EESZ_EEDaSU_SV_EUlSU_E_NS1_11comp_targetILNS1_3genE9ELNS1_11target_archE1100ELNS1_3gpuE3ELNS1_3repE0EEENS1_30default_config_static_selectorELNS0_4arch9wavefront6targetE0EEEvT1_: ; @_ZN7rocprim17ROCPRIM_400000_NS6detail17trampoline_kernelINS0_14default_configENS1_27scan_by_key_config_selectorIjjEEZZNS1_16scan_by_key_implILNS1_25lookback_scan_determinismE0ELb0ES3_N6thrust23THRUST_200600_302600_NS6detail15normal_iteratorINS9_10device_ptrIjEEEESE_SE_jNS9_4plusIvEENS9_8equal_toIvEEjEE10hipError_tPvRmT2_T3_T4_T5_mT6_T7_P12ihipStream_tbENKUlT_T0_E_clISt17integral_constantIbLb1EESZ_EEDaSU_SV_EUlSU_E_NS1_11comp_targetILNS1_3genE9ELNS1_11target_archE1100ELNS1_3gpuE3ELNS1_3repE0EEENS1_30default_config_static_selectorELNS0_4arch9wavefront6targetE0EEEvT1_
; %bb.0:
	.section	.rodata,"a",@progbits
	.p2align	6, 0x0
	.amdhsa_kernel _ZN7rocprim17ROCPRIM_400000_NS6detail17trampoline_kernelINS0_14default_configENS1_27scan_by_key_config_selectorIjjEEZZNS1_16scan_by_key_implILNS1_25lookback_scan_determinismE0ELb0ES3_N6thrust23THRUST_200600_302600_NS6detail15normal_iteratorINS9_10device_ptrIjEEEESE_SE_jNS9_4plusIvEENS9_8equal_toIvEEjEE10hipError_tPvRmT2_T3_T4_T5_mT6_T7_P12ihipStream_tbENKUlT_T0_E_clISt17integral_constantIbLb1EESZ_EEDaSU_SV_EUlSU_E_NS1_11comp_targetILNS1_3genE9ELNS1_11target_archE1100ELNS1_3gpuE3ELNS1_3repE0EEENS1_30default_config_static_selectorELNS0_4arch9wavefront6targetE0EEEvT1_
		.amdhsa_group_segment_fixed_size 0
		.amdhsa_private_segment_fixed_size 0
		.amdhsa_kernarg_size 112
		.amdhsa_user_sgpr_count 2
		.amdhsa_user_sgpr_dispatch_ptr 0
		.amdhsa_user_sgpr_queue_ptr 0
		.amdhsa_user_sgpr_kernarg_segment_ptr 1
		.amdhsa_user_sgpr_dispatch_id 0
		.amdhsa_user_sgpr_kernarg_preload_length 0
		.amdhsa_user_sgpr_kernarg_preload_offset 0
		.amdhsa_user_sgpr_private_segment_size 0
		.amdhsa_wavefront_size32 1
		.amdhsa_uses_dynamic_stack 0
		.amdhsa_enable_private_segment 0
		.amdhsa_system_sgpr_workgroup_id_x 1
		.amdhsa_system_sgpr_workgroup_id_y 0
		.amdhsa_system_sgpr_workgroup_id_z 0
		.amdhsa_system_sgpr_workgroup_info 0
		.amdhsa_system_vgpr_workitem_id 0
		.amdhsa_next_free_vgpr 1
		.amdhsa_next_free_sgpr 1
		.amdhsa_named_barrier_count 0
		.amdhsa_reserve_vcc 0
		.amdhsa_float_round_mode_32 0
		.amdhsa_float_round_mode_16_64 0
		.amdhsa_float_denorm_mode_32 3
		.amdhsa_float_denorm_mode_16_64 3
		.amdhsa_fp16_overflow 0
		.amdhsa_memory_ordered 1
		.amdhsa_forward_progress 1
		.amdhsa_inst_pref_size 0
		.amdhsa_round_robin_scheduling 0
		.amdhsa_exception_fp_ieee_invalid_op 0
		.amdhsa_exception_fp_denorm_src 0
		.amdhsa_exception_fp_ieee_div_zero 0
		.amdhsa_exception_fp_ieee_overflow 0
		.amdhsa_exception_fp_ieee_underflow 0
		.amdhsa_exception_fp_ieee_inexact 0
		.amdhsa_exception_int_div_zero 0
	.end_amdhsa_kernel
	.section	.text._ZN7rocprim17ROCPRIM_400000_NS6detail17trampoline_kernelINS0_14default_configENS1_27scan_by_key_config_selectorIjjEEZZNS1_16scan_by_key_implILNS1_25lookback_scan_determinismE0ELb0ES3_N6thrust23THRUST_200600_302600_NS6detail15normal_iteratorINS9_10device_ptrIjEEEESE_SE_jNS9_4plusIvEENS9_8equal_toIvEEjEE10hipError_tPvRmT2_T3_T4_T5_mT6_T7_P12ihipStream_tbENKUlT_T0_E_clISt17integral_constantIbLb1EESZ_EEDaSU_SV_EUlSU_E_NS1_11comp_targetILNS1_3genE9ELNS1_11target_archE1100ELNS1_3gpuE3ELNS1_3repE0EEENS1_30default_config_static_selectorELNS0_4arch9wavefront6targetE0EEEvT1_,"axG",@progbits,_ZN7rocprim17ROCPRIM_400000_NS6detail17trampoline_kernelINS0_14default_configENS1_27scan_by_key_config_selectorIjjEEZZNS1_16scan_by_key_implILNS1_25lookback_scan_determinismE0ELb0ES3_N6thrust23THRUST_200600_302600_NS6detail15normal_iteratorINS9_10device_ptrIjEEEESE_SE_jNS9_4plusIvEENS9_8equal_toIvEEjEE10hipError_tPvRmT2_T3_T4_T5_mT6_T7_P12ihipStream_tbENKUlT_T0_E_clISt17integral_constantIbLb1EESZ_EEDaSU_SV_EUlSU_E_NS1_11comp_targetILNS1_3genE9ELNS1_11target_archE1100ELNS1_3gpuE3ELNS1_3repE0EEENS1_30default_config_static_selectorELNS0_4arch9wavefront6targetE0EEEvT1_,comdat
.Lfunc_end1843:
	.size	_ZN7rocprim17ROCPRIM_400000_NS6detail17trampoline_kernelINS0_14default_configENS1_27scan_by_key_config_selectorIjjEEZZNS1_16scan_by_key_implILNS1_25lookback_scan_determinismE0ELb0ES3_N6thrust23THRUST_200600_302600_NS6detail15normal_iteratorINS9_10device_ptrIjEEEESE_SE_jNS9_4plusIvEENS9_8equal_toIvEEjEE10hipError_tPvRmT2_T3_T4_T5_mT6_T7_P12ihipStream_tbENKUlT_T0_E_clISt17integral_constantIbLb1EESZ_EEDaSU_SV_EUlSU_E_NS1_11comp_targetILNS1_3genE9ELNS1_11target_archE1100ELNS1_3gpuE3ELNS1_3repE0EEENS1_30default_config_static_selectorELNS0_4arch9wavefront6targetE0EEEvT1_, .Lfunc_end1843-_ZN7rocprim17ROCPRIM_400000_NS6detail17trampoline_kernelINS0_14default_configENS1_27scan_by_key_config_selectorIjjEEZZNS1_16scan_by_key_implILNS1_25lookback_scan_determinismE0ELb0ES3_N6thrust23THRUST_200600_302600_NS6detail15normal_iteratorINS9_10device_ptrIjEEEESE_SE_jNS9_4plusIvEENS9_8equal_toIvEEjEE10hipError_tPvRmT2_T3_T4_T5_mT6_T7_P12ihipStream_tbENKUlT_T0_E_clISt17integral_constantIbLb1EESZ_EEDaSU_SV_EUlSU_E_NS1_11comp_targetILNS1_3genE9ELNS1_11target_archE1100ELNS1_3gpuE3ELNS1_3repE0EEENS1_30default_config_static_selectorELNS0_4arch9wavefront6targetE0EEEvT1_
                                        ; -- End function
	.set _ZN7rocprim17ROCPRIM_400000_NS6detail17trampoline_kernelINS0_14default_configENS1_27scan_by_key_config_selectorIjjEEZZNS1_16scan_by_key_implILNS1_25lookback_scan_determinismE0ELb0ES3_N6thrust23THRUST_200600_302600_NS6detail15normal_iteratorINS9_10device_ptrIjEEEESE_SE_jNS9_4plusIvEENS9_8equal_toIvEEjEE10hipError_tPvRmT2_T3_T4_T5_mT6_T7_P12ihipStream_tbENKUlT_T0_E_clISt17integral_constantIbLb1EESZ_EEDaSU_SV_EUlSU_E_NS1_11comp_targetILNS1_3genE9ELNS1_11target_archE1100ELNS1_3gpuE3ELNS1_3repE0EEENS1_30default_config_static_selectorELNS0_4arch9wavefront6targetE0EEEvT1_.num_vgpr, 0
	.set _ZN7rocprim17ROCPRIM_400000_NS6detail17trampoline_kernelINS0_14default_configENS1_27scan_by_key_config_selectorIjjEEZZNS1_16scan_by_key_implILNS1_25lookback_scan_determinismE0ELb0ES3_N6thrust23THRUST_200600_302600_NS6detail15normal_iteratorINS9_10device_ptrIjEEEESE_SE_jNS9_4plusIvEENS9_8equal_toIvEEjEE10hipError_tPvRmT2_T3_T4_T5_mT6_T7_P12ihipStream_tbENKUlT_T0_E_clISt17integral_constantIbLb1EESZ_EEDaSU_SV_EUlSU_E_NS1_11comp_targetILNS1_3genE9ELNS1_11target_archE1100ELNS1_3gpuE3ELNS1_3repE0EEENS1_30default_config_static_selectorELNS0_4arch9wavefront6targetE0EEEvT1_.num_agpr, 0
	.set _ZN7rocprim17ROCPRIM_400000_NS6detail17trampoline_kernelINS0_14default_configENS1_27scan_by_key_config_selectorIjjEEZZNS1_16scan_by_key_implILNS1_25lookback_scan_determinismE0ELb0ES3_N6thrust23THRUST_200600_302600_NS6detail15normal_iteratorINS9_10device_ptrIjEEEESE_SE_jNS9_4plusIvEENS9_8equal_toIvEEjEE10hipError_tPvRmT2_T3_T4_T5_mT6_T7_P12ihipStream_tbENKUlT_T0_E_clISt17integral_constantIbLb1EESZ_EEDaSU_SV_EUlSU_E_NS1_11comp_targetILNS1_3genE9ELNS1_11target_archE1100ELNS1_3gpuE3ELNS1_3repE0EEENS1_30default_config_static_selectorELNS0_4arch9wavefront6targetE0EEEvT1_.numbered_sgpr, 0
	.set _ZN7rocprim17ROCPRIM_400000_NS6detail17trampoline_kernelINS0_14default_configENS1_27scan_by_key_config_selectorIjjEEZZNS1_16scan_by_key_implILNS1_25lookback_scan_determinismE0ELb0ES3_N6thrust23THRUST_200600_302600_NS6detail15normal_iteratorINS9_10device_ptrIjEEEESE_SE_jNS9_4plusIvEENS9_8equal_toIvEEjEE10hipError_tPvRmT2_T3_T4_T5_mT6_T7_P12ihipStream_tbENKUlT_T0_E_clISt17integral_constantIbLb1EESZ_EEDaSU_SV_EUlSU_E_NS1_11comp_targetILNS1_3genE9ELNS1_11target_archE1100ELNS1_3gpuE3ELNS1_3repE0EEENS1_30default_config_static_selectorELNS0_4arch9wavefront6targetE0EEEvT1_.num_named_barrier, 0
	.set _ZN7rocprim17ROCPRIM_400000_NS6detail17trampoline_kernelINS0_14default_configENS1_27scan_by_key_config_selectorIjjEEZZNS1_16scan_by_key_implILNS1_25lookback_scan_determinismE0ELb0ES3_N6thrust23THRUST_200600_302600_NS6detail15normal_iteratorINS9_10device_ptrIjEEEESE_SE_jNS9_4plusIvEENS9_8equal_toIvEEjEE10hipError_tPvRmT2_T3_T4_T5_mT6_T7_P12ihipStream_tbENKUlT_T0_E_clISt17integral_constantIbLb1EESZ_EEDaSU_SV_EUlSU_E_NS1_11comp_targetILNS1_3genE9ELNS1_11target_archE1100ELNS1_3gpuE3ELNS1_3repE0EEENS1_30default_config_static_selectorELNS0_4arch9wavefront6targetE0EEEvT1_.private_seg_size, 0
	.set _ZN7rocprim17ROCPRIM_400000_NS6detail17trampoline_kernelINS0_14default_configENS1_27scan_by_key_config_selectorIjjEEZZNS1_16scan_by_key_implILNS1_25lookback_scan_determinismE0ELb0ES3_N6thrust23THRUST_200600_302600_NS6detail15normal_iteratorINS9_10device_ptrIjEEEESE_SE_jNS9_4plusIvEENS9_8equal_toIvEEjEE10hipError_tPvRmT2_T3_T4_T5_mT6_T7_P12ihipStream_tbENKUlT_T0_E_clISt17integral_constantIbLb1EESZ_EEDaSU_SV_EUlSU_E_NS1_11comp_targetILNS1_3genE9ELNS1_11target_archE1100ELNS1_3gpuE3ELNS1_3repE0EEENS1_30default_config_static_selectorELNS0_4arch9wavefront6targetE0EEEvT1_.uses_vcc, 0
	.set _ZN7rocprim17ROCPRIM_400000_NS6detail17trampoline_kernelINS0_14default_configENS1_27scan_by_key_config_selectorIjjEEZZNS1_16scan_by_key_implILNS1_25lookback_scan_determinismE0ELb0ES3_N6thrust23THRUST_200600_302600_NS6detail15normal_iteratorINS9_10device_ptrIjEEEESE_SE_jNS9_4plusIvEENS9_8equal_toIvEEjEE10hipError_tPvRmT2_T3_T4_T5_mT6_T7_P12ihipStream_tbENKUlT_T0_E_clISt17integral_constantIbLb1EESZ_EEDaSU_SV_EUlSU_E_NS1_11comp_targetILNS1_3genE9ELNS1_11target_archE1100ELNS1_3gpuE3ELNS1_3repE0EEENS1_30default_config_static_selectorELNS0_4arch9wavefront6targetE0EEEvT1_.uses_flat_scratch, 0
	.set _ZN7rocprim17ROCPRIM_400000_NS6detail17trampoline_kernelINS0_14default_configENS1_27scan_by_key_config_selectorIjjEEZZNS1_16scan_by_key_implILNS1_25lookback_scan_determinismE0ELb0ES3_N6thrust23THRUST_200600_302600_NS6detail15normal_iteratorINS9_10device_ptrIjEEEESE_SE_jNS9_4plusIvEENS9_8equal_toIvEEjEE10hipError_tPvRmT2_T3_T4_T5_mT6_T7_P12ihipStream_tbENKUlT_T0_E_clISt17integral_constantIbLb1EESZ_EEDaSU_SV_EUlSU_E_NS1_11comp_targetILNS1_3genE9ELNS1_11target_archE1100ELNS1_3gpuE3ELNS1_3repE0EEENS1_30default_config_static_selectorELNS0_4arch9wavefront6targetE0EEEvT1_.has_dyn_sized_stack, 0
	.set _ZN7rocprim17ROCPRIM_400000_NS6detail17trampoline_kernelINS0_14default_configENS1_27scan_by_key_config_selectorIjjEEZZNS1_16scan_by_key_implILNS1_25lookback_scan_determinismE0ELb0ES3_N6thrust23THRUST_200600_302600_NS6detail15normal_iteratorINS9_10device_ptrIjEEEESE_SE_jNS9_4plusIvEENS9_8equal_toIvEEjEE10hipError_tPvRmT2_T3_T4_T5_mT6_T7_P12ihipStream_tbENKUlT_T0_E_clISt17integral_constantIbLb1EESZ_EEDaSU_SV_EUlSU_E_NS1_11comp_targetILNS1_3genE9ELNS1_11target_archE1100ELNS1_3gpuE3ELNS1_3repE0EEENS1_30default_config_static_selectorELNS0_4arch9wavefront6targetE0EEEvT1_.has_recursion, 0
	.set _ZN7rocprim17ROCPRIM_400000_NS6detail17trampoline_kernelINS0_14default_configENS1_27scan_by_key_config_selectorIjjEEZZNS1_16scan_by_key_implILNS1_25lookback_scan_determinismE0ELb0ES3_N6thrust23THRUST_200600_302600_NS6detail15normal_iteratorINS9_10device_ptrIjEEEESE_SE_jNS9_4plusIvEENS9_8equal_toIvEEjEE10hipError_tPvRmT2_T3_T4_T5_mT6_T7_P12ihipStream_tbENKUlT_T0_E_clISt17integral_constantIbLb1EESZ_EEDaSU_SV_EUlSU_E_NS1_11comp_targetILNS1_3genE9ELNS1_11target_archE1100ELNS1_3gpuE3ELNS1_3repE0EEENS1_30default_config_static_selectorELNS0_4arch9wavefront6targetE0EEEvT1_.has_indirect_call, 0
	.section	.AMDGPU.csdata,"",@progbits
; Kernel info:
; codeLenInByte = 0
; TotalNumSgprs: 0
; NumVgprs: 0
; ScratchSize: 0
; MemoryBound: 0
; FloatMode: 240
; IeeeMode: 1
; LDSByteSize: 0 bytes/workgroup (compile time only)
; SGPRBlocks: 0
; VGPRBlocks: 0
; NumSGPRsForWavesPerEU: 1
; NumVGPRsForWavesPerEU: 1
; NamedBarCnt: 0
; Occupancy: 16
; WaveLimiterHint : 0
; COMPUTE_PGM_RSRC2:SCRATCH_EN: 0
; COMPUTE_PGM_RSRC2:USER_SGPR: 2
; COMPUTE_PGM_RSRC2:TRAP_HANDLER: 0
; COMPUTE_PGM_RSRC2:TGID_X_EN: 1
; COMPUTE_PGM_RSRC2:TGID_Y_EN: 0
; COMPUTE_PGM_RSRC2:TGID_Z_EN: 0
; COMPUTE_PGM_RSRC2:TIDIG_COMP_CNT: 0
	.section	.text._ZN7rocprim17ROCPRIM_400000_NS6detail17trampoline_kernelINS0_14default_configENS1_27scan_by_key_config_selectorIjjEEZZNS1_16scan_by_key_implILNS1_25lookback_scan_determinismE0ELb0ES3_N6thrust23THRUST_200600_302600_NS6detail15normal_iteratorINS9_10device_ptrIjEEEESE_SE_jNS9_4plusIvEENS9_8equal_toIvEEjEE10hipError_tPvRmT2_T3_T4_T5_mT6_T7_P12ihipStream_tbENKUlT_T0_E_clISt17integral_constantIbLb1EESZ_EEDaSU_SV_EUlSU_E_NS1_11comp_targetILNS1_3genE8ELNS1_11target_archE1030ELNS1_3gpuE2ELNS1_3repE0EEENS1_30default_config_static_selectorELNS0_4arch9wavefront6targetE0EEEvT1_,"axG",@progbits,_ZN7rocprim17ROCPRIM_400000_NS6detail17trampoline_kernelINS0_14default_configENS1_27scan_by_key_config_selectorIjjEEZZNS1_16scan_by_key_implILNS1_25lookback_scan_determinismE0ELb0ES3_N6thrust23THRUST_200600_302600_NS6detail15normal_iteratorINS9_10device_ptrIjEEEESE_SE_jNS9_4plusIvEENS9_8equal_toIvEEjEE10hipError_tPvRmT2_T3_T4_T5_mT6_T7_P12ihipStream_tbENKUlT_T0_E_clISt17integral_constantIbLb1EESZ_EEDaSU_SV_EUlSU_E_NS1_11comp_targetILNS1_3genE8ELNS1_11target_archE1030ELNS1_3gpuE2ELNS1_3repE0EEENS1_30default_config_static_selectorELNS0_4arch9wavefront6targetE0EEEvT1_,comdat
	.protected	_ZN7rocprim17ROCPRIM_400000_NS6detail17trampoline_kernelINS0_14default_configENS1_27scan_by_key_config_selectorIjjEEZZNS1_16scan_by_key_implILNS1_25lookback_scan_determinismE0ELb0ES3_N6thrust23THRUST_200600_302600_NS6detail15normal_iteratorINS9_10device_ptrIjEEEESE_SE_jNS9_4plusIvEENS9_8equal_toIvEEjEE10hipError_tPvRmT2_T3_T4_T5_mT6_T7_P12ihipStream_tbENKUlT_T0_E_clISt17integral_constantIbLb1EESZ_EEDaSU_SV_EUlSU_E_NS1_11comp_targetILNS1_3genE8ELNS1_11target_archE1030ELNS1_3gpuE2ELNS1_3repE0EEENS1_30default_config_static_selectorELNS0_4arch9wavefront6targetE0EEEvT1_ ; -- Begin function _ZN7rocprim17ROCPRIM_400000_NS6detail17trampoline_kernelINS0_14default_configENS1_27scan_by_key_config_selectorIjjEEZZNS1_16scan_by_key_implILNS1_25lookback_scan_determinismE0ELb0ES3_N6thrust23THRUST_200600_302600_NS6detail15normal_iteratorINS9_10device_ptrIjEEEESE_SE_jNS9_4plusIvEENS9_8equal_toIvEEjEE10hipError_tPvRmT2_T3_T4_T5_mT6_T7_P12ihipStream_tbENKUlT_T0_E_clISt17integral_constantIbLb1EESZ_EEDaSU_SV_EUlSU_E_NS1_11comp_targetILNS1_3genE8ELNS1_11target_archE1030ELNS1_3gpuE2ELNS1_3repE0EEENS1_30default_config_static_selectorELNS0_4arch9wavefront6targetE0EEEvT1_
	.globl	_ZN7rocprim17ROCPRIM_400000_NS6detail17trampoline_kernelINS0_14default_configENS1_27scan_by_key_config_selectorIjjEEZZNS1_16scan_by_key_implILNS1_25lookback_scan_determinismE0ELb0ES3_N6thrust23THRUST_200600_302600_NS6detail15normal_iteratorINS9_10device_ptrIjEEEESE_SE_jNS9_4plusIvEENS9_8equal_toIvEEjEE10hipError_tPvRmT2_T3_T4_T5_mT6_T7_P12ihipStream_tbENKUlT_T0_E_clISt17integral_constantIbLb1EESZ_EEDaSU_SV_EUlSU_E_NS1_11comp_targetILNS1_3genE8ELNS1_11target_archE1030ELNS1_3gpuE2ELNS1_3repE0EEENS1_30default_config_static_selectorELNS0_4arch9wavefront6targetE0EEEvT1_
	.p2align	8
	.type	_ZN7rocprim17ROCPRIM_400000_NS6detail17trampoline_kernelINS0_14default_configENS1_27scan_by_key_config_selectorIjjEEZZNS1_16scan_by_key_implILNS1_25lookback_scan_determinismE0ELb0ES3_N6thrust23THRUST_200600_302600_NS6detail15normal_iteratorINS9_10device_ptrIjEEEESE_SE_jNS9_4plusIvEENS9_8equal_toIvEEjEE10hipError_tPvRmT2_T3_T4_T5_mT6_T7_P12ihipStream_tbENKUlT_T0_E_clISt17integral_constantIbLb1EESZ_EEDaSU_SV_EUlSU_E_NS1_11comp_targetILNS1_3genE8ELNS1_11target_archE1030ELNS1_3gpuE2ELNS1_3repE0EEENS1_30default_config_static_selectorELNS0_4arch9wavefront6targetE0EEEvT1_,@function
_ZN7rocprim17ROCPRIM_400000_NS6detail17trampoline_kernelINS0_14default_configENS1_27scan_by_key_config_selectorIjjEEZZNS1_16scan_by_key_implILNS1_25lookback_scan_determinismE0ELb0ES3_N6thrust23THRUST_200600_302600_NS6detail15normal_iteratorINS9_10device_ptrIjEEEESE_SE_jNS9_4plusIvEENS9_8equal_toIvEEjEE10hipError_tPvRmT2_T3_T4_T5_mT6_T7_P12ihipStream_tbENKUlT_T0_E_clISt17integral_constantIbLb1EESZ_EEDaSU_SV_EUlSU_E_NS1_11comp_targetILNS1_3genE8ELNS1_11target_archE1030ELNS1_3gpuE2ELNS1_3repE0EEENS1_30default_config_static_selectorELNS0_4arch9wavefront6targetE0EEEvT1_: ; @_ZN7rocprim17ROCPRIM_400000_NS6detail17trampoline_kernelINS0_14default_configENS1_27scan_by_key_config_selectorIjjEEZZNS1_16scan_by_key_implILNS1_25lookback_scan_determinismE0ELb0ES3_N6thrust23THRUST_200600_302600_NS6detail15normal_iteratorINS9_10device_ptrIjEEEESE_SE_jNS9_4plusIvEENS9_8equal_toIvEEjEE10hipError_tPvRmT2_T3_T4_T5_mT6_T7_P12ihipStream_tbENKUlT_T0_E_clISt17integral_constantIbLb1EESZ_EEDaSU_SV_EUlSU_E_NS1_11comp_targetILNS1_3genE8ELNS1_11target_archE1030ELNS1_3gpuE2ELNS1_3repE0EEENS1_30default_config_static_selectorELNS0_4arch9wavefront6targetE0EEEvT1_
; %bb.0:
	.section	.rodata,"a",@progbits
	.p2align	6, 0x0
	.amdhsa_kernel _ZN7rocprim17ROCPRIM_400000_NS6detail17trampoline_kernelINS0_14default_configENS1_27scan_by_key_config_selectorIjjEEZZNS1_16scan_by_key_implILNS1_25lookback_scan_determinismE0ELb0ES3_N6thrust23THRUST_200600_302600_NS6detail15normal_iteratorINS9_10device_ptrIjEEEESE_SE_jNS9_4plusIvEENS9_8equal_toIvEEjEE10hipError_tPvRmT2_T3_T4_T5_mT6_T7_P12ihipStream_tbENKUlT_T0_E_clISt17integral_constantIbLb1EESZ_EEDaSU_SV_EUlSU_E_NS1_11comp_targetILNS1_3genE8ELNS1_11target_archE1030ELNS1_3gpuE2ELNS1_3repE0EEENS1_30default_config_static_selectorELNS0_4arch9wavefront6targetE0EEEvT1_
		.amdhsa_group_segment_fixed_size 0
		.amdhsa_private_segment_fixed_size 0
		.amdhsa_kernarg_size 112
		.amdhsa_user_sgpr_count 2
		.amdhsa_user_sgpr_dispatch_ptr 0
		.amdhsa_user_sgpr_queue_ptr 0
		.amdhsa_user_sgpr_kernarg_segment_ptr 1
		.amdhsa_user_sgpr_dispatch_id 0
		.amdhsa_user_sgpr_kernarg_preload_length 0
		.amdhsa_user_sgpr_kernarg_preload_offset 0
		.amdhsa_user_sgpr_private_segment_size 0
		.amdhsa_wavefront_size32 1
		.amdhsa_uses_dynamic_stack 0
		.amdhsa_enable_private_segment 0
		.amdhsa_system_sgpr_workgroup_id_x 1
		.amdhsa_system_sgpr_workgroup_id_y 0
		.amdhsa_system_sgpr_workgroup_id_z 0
		.amdhsa_system_sgpr_workgroup_info 0
		.amdhsa_system_vgpr_workitem_id 0
		.amdhsa_next_free_vgpr 1
		.amdhsa_next_free_sgpr 1
		.amdhsa_named_barrier_count 0
		.amdhsa_reserve_vcc 0
		.amdhsa_float_round_mode_32 0
		.amdhsa_float_round_mode_16_64 0
		.amdhsa_float_denorm_mode_32 3
		.amdhsa_float_denorm_mode_16_64 3
		.amdhsa_fp16_overflow 0
		.amdhsa_memory_ordered 1
		.amdhsa_forward_progress 1
		.amdhsa_inst_pref_size 0
		.amdhsa_round_robin_scheduling 0
		.amdhsa_exception_fp_ieee_invalid_op 0
		.amdhsa_exception_fp_denorm_src 0
		.amdhsa_exception_fp_ieee_div_zero 0
		.amdhsa_exception_fp_ieee_overflow 0
		.amdhsa_exception_fp_ieee_underflow 0
		.amdhsa_exception_fp_ieee_inexact 0
		.amdhsa_exception_int_div_zero 0
	.end_amdhsa_kernel
	.section	.text._ZN7rocprim17ROCPRIM_400000_NS6detail17trampoline_kernelINS0_14default_configENS1_27scan_by_key_config_selectorIjjEEZZNS1_16scan_by_key_implILNS1_25lookback_scan_determinismE0ELb0ES3_N6thrust23THRUST_200600_302600_NS6detail15normal_iteratorINS9_10device_ptrIjEEEESE_SE_jNS9_4plusIvEENS9_8equal_toIvEEjEE10hipError_tPvRmT2_T3_T4_T5_mT6_T7_P12ihipStream_tbENKUlT_T0_E_clISt17integral_constantIbLb1EESZ_EEDaSU_SV_EUlSU_E_NS1_11comp_targetILNS1_3genE8ELNS1_11target_archE1030ELNS1_3gpuE2ELNS1_3repE0EEENS1_30default_config_static_selectorELNS0_4arch9wavefront6targetE0EEEvT1_,"axG",@progbits,_ZN7rocprim17ROCPRIM_400000_NS6detail17trampoline_kernelINS0_14default_configENS1_27scan_by_key_config_selectorIjjEEZZNS1_16scan_by_key_implILNS1_25lookback_scan_determinismE0ELb0ES3_N6thrust23THRUST_200600_302600_NS6detail15normal_iteratorINS9_10device_ptrIjEEEESE_SE_jNS9_4plusIvEENS9_8equal_toIvEEjEE10hipError_tPvRmT2_T3_T4_T5_mT6_T7_P12ihipStream_tbENKUlT_T0_E_clISt17integral_constantIbLb1EESZ_EEDaSU_SV_EUlSU_E_NS1_11comp_targetILNS1_3genE8ELNS1_11target_archE1030ELNS1_3gpuE2ELNS1_3repE0EEENS1_30default_config_static_selectorELNS0_4arch9wavefront6targetE0EEEvT1_,comdat
.Lfunc_end1844:
	.size	_ZN7rocprim17ROCPRIM_400000_NS6detail17trampoline_kernelINS0_14default_configENS1_27scan_by_key_config_selectorIjjEEZZNS1_16scan_by_key_implILNS1_25lookback_scan_determinismE0ELb0ES3_N6thrust23THRUST_200600_302600_NS6detail15normal_iteratorINS9_10device_ptrIjEEEESE_SE_jNS9_4plusIvEENS9_8equal_toIvEEjEE10hipError_tPvRmT2_T3_T4_T5_mT6_T7_P12ihipStream_tbENKUlT_T0_E_clISt17integral_constantIbLb1EESZ_EEDaSU_SV_EUlSU_E_NS1_11comp_targetILNS1_3genE8ELNS1_11target_archE1030ELNS1_3gpuE2ELNS1_3repE0EEENS1_30default_config_static_selectorELNS0_4arch9wavefront6targetE0EEEvT1_, .Lfunc_end1844-_ZN7rocprim17ROCPRIM_400000_NS6detail17trampoline_kernelINS0_14default_configENS1_27scan_by_key_config_selectorIjjEEZZNS1_16scan_by_key_implILNS1_25lookback_scan_determinismE0ELb0ES3_N6thrust23THRUST_200600_302600_NS6detail15normal_iteratorINS9_10device_ptrIjEEEESE_SE_jNS9_4plusIvEENS9_8equal_toIvEEjEE10hipError_tPvRmT2_T3_T4_T5_mT6_T7_P12ihipStream_tbENKUlT_T0_E_clISt17integral_constantIbLb1EESZ_EEDaSU_SV_EUlSU_E_NS1_11comp_targetILNS1_3genE8ELNS1_11target_archE1030ELNS1_3gpuE2ELNS1_3repE0EEENS1_30default_config_static_selectorELNS0_4arch9wavefront6targetE0EEEvT1_
                                        ; -- End function
	.set _ZN7rocprim17ROCPRIM_400000_NS6detail17trampoline_kernelINS0_14default_configENS1_27scan_by_key_config_selectorIjjEEZZNS1_16scan_by_key_implILNS1_25lookback_scan_determinismE0ELb0ES3_N6thrust23THRUST_200600_302600_NS6detail15normal_iteratorINS9_10device_ptrIjEEEESE_SE_jNS9_4plusIvEENS9_8equal_toIvEEjEE10hipError_tPvRmT2_T3_T4_T5_mT6_T7_P12ihipStream_tbENKUlT_T0_E_clISt17integral_constantIbLb1EESZ_EEDaSU_SV_EUlSU_E_NS1_11comp_targetILNS1_3genE8ELNS1_11target_archE1030ELNS1_3gpuE2ELNS1_3repE0EEENS1_30default_config_static_selectorELNS0_4arch9wavefront6targetE0EEEvT1_.num_vgpr, 0
	.set _ZN7rocprim17ROCPRIM_400000_NS6detail17trampoline_kernelINS0_14default_configENS1_27scan_by_key_config_selectorIjjEEZZNS1_16scan_by_key_implILNS1_25lookback_scan_determinismE0ELb0ES3_N6thrust23THRUST_200600_302600_NS6detail15normal_iteratorINS9_10device_ptrIjEEEESE_SE_jNS9_4plusIvEENS9_8equal_toIvEEjEE10hipError_tPvRmT2_T3_T4_T5_mT6_T7_P12ihipStream_tbENKUlT_T0_E_clISt17integral_constantIbLb1EESZ_EEDaSU_SV_EUlSU_E_NS1_11comp_targetILNS1_3genE8ELNS1_11target_archE1030ELNS1_3gpuE2ELNS1_3repE0EEENS1_30default_config_static_selectorELNS0_4arch9wavefront6targetE0EEEvT1_.num_agpr, 0
	.set _ZN7rocprim17ROCPRIM_400000_NS6detail17trampoline_kernelINS0_14default_configENS1_27scan_by_key_config_selectorIjjEEZZNS1_16scan_by_key_implILNS1_25lookback_scan_determinismE0ELb0ES3_N6thrust23THRUST_200600_302600_NS6detail15normal_iteratorINS9_10device_ptrIjEEEESE_SE_jNS9_4plusIvEENS9_8equal_toIvEEjEE10hipError_tPvRmT2_T3_T4_T5_mT6_T7_P12ihipStream_tbENKUlT_T0_E_clISt17integral_constantIbLb1EESZ_EEDaSU_SV_EUlSU_E_NS1_11comp_targetILNS1_3genE8ELNS1_11target_archE1030ELNS1_3gpuE2ELNS1_3repE0EEENS1_30default_config_static_selectorELNS0_4arch9wavefront6targetE0EEEvT1_.numbered_sgpr, 0
	.set _ZN7rocprim17ROCPRIM_400000_NS6detail17trampoline_kernelINS0_14default_configENS1_27scan_by_key_config_selectorIjjEEZZNS1_16scan_by_key_implILNS1_25lookback_scan_determinismE0ELb0ES3_N6thrust23THRUST_200600_302600_NS6detail15normal_iteratorINS9_10device_ptrIjEEEESE_SE_jNS9_4plusIvEENS9_8equal_toIvEEjEE10hipError_tPvRmT2_T3_T4_T5_mT6_T7_P12ihipStream_tbENKUlT_T0_E_clISt17integral_constantIbLb1EESZ_EEDaSU_SV_EUlSU_E_NS1_11comp_targetILNS1_3genE8ELNS1_11target_archE1030ELNS1_3gpuE2ELNS1_3repE0EEENS1_30default_config_static_selectorELNS0_4arch9wavefront6targetE0EEEvT1_.num_named_barrier, 0
	.set _ZN7rocprim17ROCPRIM_400000_NS6detail17trampoline_kernelINS0_14default_configENS1_27scan_by_key_config_selectorIjjEEZZNS1_16scan_by_key_implILNS1_25lookback_scan_determinismE0ELb0ES3_N6thrust23THRUST_200600_302600_NS6detail15normal_iteratorINS9_10device_ptrIjEEEESE_SE_jNS9_4plusIvEENS9_8equal_toIvEEjEE10hipError_tPvRmT2_T3_T4_T5_mT6_T7_P12ihipStream_tbENKUlT_T0_E_clISt17integral_constantIbLb1EESZ_EEDaSU_SV_EUlSU_E_NS1_11comp_targetILNS1_3genE8ELNS1_11target_archE1030ELNS1_3gpuE2ELNS1_3repE0EEENS1_30default_config_static_selectorELNS0_4arch9wavefront6targetE0EEEvT1_.private_seg_size, 0
	.set _ZN7rocprim17ROCPRIM_400000_NS6detail17trampoline_kernelINS0_14default_configENS1_27scan_by_key_config_selectorIjjEEZZNS1_16scan_by_key_implILNS1_25lookback_scan_determinismE0ELb0ES3_N6thrust23THRUST_200600_302600_NS6detail15normal_iteratorINS9_10device_ptrIjEEEESE_SE_jNS9_4plusIvEENS9_8equal_toIvEEjEE10hipError_tPvRmT2_T3_T4_T5_mT6_T7_P12ihipStream_tbENKUlT_T0_E_clISt17integral_constantIbLb1EESZ_EEDaSU_SV_EUlSU_E_NS1_11comp_targetILNS1_3genE8ELNS1_11target_archE1030ELNS1_3gpuE2ELNS1_3repE0EEENS1_30default_config_static_selectorELNS0_4arch9wavefront6targetE0EEEvT1_.uses_vcc, 0
	.set _ZN7rocprim17ROCPRIM_400000_NS6detail17trampoline_kernelINS0_14default_configENS1_27scan_by_key_config_selectorIjjEEZZNS1_16scan_by_key_implILNS1_25lookback_scan_determinismE0ELb0ES3_N6thrust23THRUST_200600_302600_NS6detail15normal_iteratorINS9_10device_ptrIjEEEESE_SE_jNS9_4plusIvEENS9_8equal_toIvEEjEE10hipError_tPvRmT2_T3_T4_T5_mT6_T7_P12ihipStream_tbENKUlT_T0_E_clISt17integral_constantIbLb1EESZ_EEDaSU_SV_EUlSU_E_NS1_11comp_targetILNS1_3genE8ELNS1_11target_archE1030ELNS1_3gpuE2ELNS1_3repE0EEENS1_30default_config_static_selectorELNS0_4arch9wavefront6targetE0EEEvT1_.uses_flat_scratch, 0
	.set _ZN7rocprim17ROCPRIM_400000_NS6detail17trampoline_kernelINS0_14default_configENS1_27scan_by_key_config_selectorIjjEEZZNS1_16scan_by_key_implILNS1_25lookback_scan_determinismE0ELb0ES3_N6thrust23THRUST_200600_302600_NS6detail15normal_iteratorINS9_10device_ptrIjEEEESE_SE_jNS9_4plusIvEENS9_8equal_toIvEEjEE10hipError_tPvRmT2_T3_T4_T5_mT6_T7_P12ihipStream_tbENKUlT_T0_E_clISt17integral_constantIbLb1EESZ_EEDaSU_SV_EUlSU_E_NS1_11comp_targetILNS1_3genE8ELNS1_11target_archE1030ELNS1_3gpuE2ELNS1_3repE0EEENS1_30default_config_static_selectorELNS0_4arch9wavefront6targetE0EEEvT1_.has_dyn_sized_stack, 0
	.set _ZN7rocprim17ROCPRIM_400000_NS6detail17trampoline_kernelINS0_14default_configENS1_27scan_by_key_config_selectorIjjEEZZNS1_16scan_by_key_implILNS1_25lookback_scan_determinismE0ELb0ES3_N6thrust23THRUST_200600_302600_NS6detail15normal_iteratorINS9_10device_ptrIjEEEESE_SE_jNS9_4plusIvEENS9_8equal_toIvEEjEE10hipError_tPvRmT2_T3_T4_T5_mT6_T7_P12ihipStream_tbENKUlT_T0_E_clISt17integral_constantIbLb1EESZ_EEDaSU_SV_EUlSU_E_NS1_11comp_targetILNS1_3genE8ELNS1_11target_archE1030ELNS1_3gpuE2ELNS1_3repE0EEENS1_30default_config_static_selectorELNS0_4arch9wavefront6targetE0EEEvT1_.has_recursion, 0
	.set _ZN7rocprim17ROCPRIM_400000_NS6detail17trampoline_kernelINS0_14default_configENS1_27scan_by_key_config_selectorIjjEEZZNS1_16scan_by_key_implILNS1_25lookback_scan_determinismE0ELb0ES3_N6thrust23THRUST_200600_302600_NS6detail15normal_iteratorINS9_10device_ptrIjEEEESE_SE_jNS9_4plusIvEENS9_8equal_toIvEEjEE10hipError_tPvRmT2_T3_T4_T5_mT6_T7_P12ihipStream_tbENKUlT_T0_E_clISt17integral_constantIbLb1EESZ_EEDaSU_SV_EUlSU_E_NS1_11comp_targetILNS1_3genE8ELNS1_11target_archE1030ELNS1_3gpuE2ELNS1_3repE0EEENS1_30default_config_static_selectorELNS0_4arch9wavefront6targetE0EEEvT1_.has_indirect_call, 0
	.section	.AMDGPU.csdata,"",@progbits
; Kernel info:
; codeLenInByte = 0
; TotalNumSgprs: 0
; NumVgprs: 0
; ScratchSize: 0
; MemoryBound: 0
; FloatMode: 240
; IeeeMode: 1
; LDSByteSize: 0 bytes/workgroup (compile time only)
; SGPRBlocks: 0
; VGPRBlocks: 0
; NumSGPRsForWavesPerEU: 1
; NumVGPRsForWavesPerEU: 1
; NamedBarCnt: 0
; Occupancy: 16
; WaveLimiterHint : 0
; COMPUTE_PGM_RSRC2:SCRATCH_EN: 0
; COMPUTE_PGM_RSRC2:USER_SGPR: 2
; COMPUTE_PGM_RSRC2:TRAP_HANDLER: 0
; COMPUTE_PGM_RSRC2:TGID_X_EN: 1
; COMPUTE_PGM_RSRC2:TGID_Y_EN: 0
; COMPUTE_PGM_RSRC2:TGID_Z_EN: 0
; COMPUTE_PGM_RSRC2:TIDIG_COMP_CNT: 0
	.section	.text._ZN7rocprim17ROCPRIM_400000_NS6detail30init_device_scan_by_key_kernelINS1_19lookback_scan_stateINS0_5tupleIJjbEEELb1ELb1EEEN6thrust23THRUST_200600_302600_NS6detail15normal_iteratorINS8_10device_ptrIjEEEEjNS1_16block_id_wrapperIjLb0EEEEEvT_jjPNSG_10value_typeET0_PNSt15iterator_traitsISJ_E10value_typeEmT1_T2_,"axG",@progbits,_ZN7rocprim17ROCPRIM_400000_NS6detail30init_device_scan_by_key_kernelINS1_19lookback_scan_stateINS0_5tupleIJjbEEELb1ELb1EEEN6thrust23THRUST_200600_302600_NS6detail15normal_iteratorINS8_10device_ptrIjEEEEjNS1_16block_id_wrapperIjLb0EEEEEvT_jjPNSG_10value_typeET0_PNSt15iterator_traitsISJ_E10value_typeEmT1_T2_,comdat
	.protected	_ZN7rocprim17ROCPRIM_400000_NS6detail30init_device_scan_by_key_kernelINS1_19lookback_scan_stateINS0_5tupleIJjbEEELb1ELb1EEEN6thrust23THRUST_200600_302600_NS6detail15normal_iteratorINS8_10device_ptrIjEEEEjNS1_16block_id_wrapperIjLb0EEEEEvT_jjPNSG_10value_typeET0_PNSt15iterator_traitsISJ_E10value_typeEmT1_T2_ ; -- Begin function _ZN7rocprim17ROCPRIM_400000_NS6detail30init_device_scan_by_key_kernelINS1_19lookback_scan_stateINS0_5tupleIJjbEEELb1ELb1EEEN6thrust23THRUST_200600_302600_NS6detail15normal_iteratorINS8_10device_ptrIjEEEEjNS1_16block_id_wrapperIjLb0EEEEEvT_jjPNSG_10value_typeET0_PNSt15iterator_traitsISJ_E10value_typeEmT1_T2_
	.globl	_ZN7rocprim17ROCPRIM_400000_NS6detail30init_device_scan_by_key_kernelINS1_19lookback_scan_stateINS0_5tupleIJjbEEELb1ELb1EEEN6thrust23THRUST_200600_302600_NS6detail15normal_iteratorINS8_10device_ptrIjEEEEjNS1_16block_id_wrapperIjLb0EEEEEvT_jjPNSG_10value_typeET0_PNSt15iterator_traitsISJ_E10value_typeEmT1_T2_
	.p2align	8
	.type	_ZN7rocprim17ROCPRIM_400000_NS6detail30init_device_scan_by_key_kernelINS1_19lookback_scan_stateINS0_5tupleIJjbEEELb1ELb1EEEN6thrust23THRUST_200600_302600_NS6detail15normal_iteratorINS8_10device_ptrIjEEEEjNS1_16block_id_wrapperIjLb0EEEEEvT_jjPNSG_10value_typeET0_PNSt15iterator_traitsISJ_E10value_typeEmT1_T2_,@function
_ZN7rocprim17ROCPRIM_400000_NS6detail30init_device_scan_by_key_kernelINS1_19lookback_scan_stateINS0_5tupleIJjbEEELb1ELb1EEEN6thrust23THRUST_200600_302600_NS6detail15normal_iteratorINS8_10device_ptrIjEEEEjNS1_16block_id_wrapperIjLb0EEEEEvT_jjPNSG_10value_typeET0_PNSt15iterator_traitsISJ_E10value_typeEmT1_T2_: ; @_ZN7rocprim17ROCPRIM_400000_NS6detail30init_device_scan_by_key_kernelINS1_19lookback_scan_stateINS0_5tupleIJjbEEELb1ELb1EEEN6thrust23THRUST_200600_302600_NS6detail15normal_iteratorINS8_10device_ptrIjEEEEjNS1_16block_id_wrapperIjLb0EEEEEvT_jjPNSG_10value_typeET0_PNSt15iterator_traitsISJ_E10value_typeEmT1_T2_
; %bb.0:
	s_clause 0x2
	s_load_b32 s2, s[0:1], 0x44
	s_load_b32 s14, s[0:1], 0x38
	s_load_b256 s[4:11], s[0:1], 0x0
	s_bfe_u32 s3, ttmp6, 0x4000c
	s_and_b32 s12, ttmp6, 15
	s_add_co_i32 s3, s3, 1
	s_getreg_b32 s13, hwreg(HW_REG_IB_STS2, 6, 4)
	s_mul_i32 s3, ttmp9, s3
	s_delay_alu instid0(SALU_CYCLE_1)
	s_add_co_i32 s12, s12, s3
	s_wait_kmcnt 0x0
	s_and_b32 s15, s2, 0xffff
	s_cmp_eq_u32 s13, 0
	s_cselect_b32 s2, ttmp9, s12
	s_cmp_eq_u64 s[8:9], 0
	v_mad_u32 v4, s2, s15, v0
	s_cbranch_scc1 .LBB1845_10
; %bb.1:
	s_cmp_lt_u32 s7, s6
	s_mov_b32 s16, exec_lo
	s_cselect_b32 s2, s7, 0
	s_delay_alu instid0(VALU_DEP_1) | instid1(SALU_CYCLE_1)
	v_cmpx_eq_u32_e64 s2, v4
	s_cbranch_execz .LBB1845_9
; %bb.2:
	s_add_co_i32 s2, s7, 32
	s_mov_b32 s3, 0
	v_mov_b32_e32 v7, 0
	s_lshl_b64 s[12:13], s[2:3], 4
	s_mov_b32 s2, exec_lo
	s_add_nc_u64 s[12:13], s[4:5], s[12:13]
	s_delay_alu instid0(SALU_CYCLE_1) | instskip(SKIP_2) | instid1(VALU_DEP_1)
	v_mov_b64_e32 v[0:1], s[12:13]
	;;#ASMSTART
	global_load_b128 v[0:3], v[0:1] off scope:SCOPE_DEV	
s_wait_loadcnt 0x0
	;;#ASMEND
	v_and_b32_e32 v6, 0xff, v2
	v_cmpx_eq_u64_e32 0, v[6:7]
	s_cbranch_execz .LBB1845_8
; %bb.3:
	v_mov_b64_e32 v[8:9], s[12:13]
	s_mov_b32 s7, 1
.LBB1845_4:                             ; =>This Loop Header: Depth=1
                                        ;     Child Loop BB1845_5 Depth 2
	s_delay_alu instid0(SALU_CYCLE_1)
	s_mov_b32 s12, s7
.LBB1845_5:                             ;   Parent Loop BB1845_4 Depth=1
                                        ; =>  This Inner Loop Header: Depth=2
	s_delay_alu instid0(SALU_CYCLE_1)
	s_add_co_i32 s12, s12, -1
	s_sleep 1
	s_cmp_eq_u32 s12, 0
	s_cbranch_scc0 .LBB1845_5
; %bb.6:                                ;   in Loop: Header=BB1845_4 Depth=1
	;;#ASMSTART
	global_load_b128 v[0:3], v[8:9] off scope:SCOPE_DEV	
s_wait_loadcnt 0x0
	;;#ASMEND
	v_and_b32_e32 v6, 0xff, v2
	s_cmp_lt_u32 s7, 32
	s_cselect_b32 s12, -1, 0
	s_delay_alu instid0(VALU_DEP_1) | instskip(SKIP_3) | instid1(SALU_CYCLE_1)
	v_cmp_ne_u64_e32 vcc_lo, 0, v[6:7]
	s_cmp_lg_u32 s12, 0
	s_add_co_ci_u32 s7, s7, 0
	s_or_b32 s3, vcc_lo, s3
	s_and_not1_b32 exec_lo, exec_lo, s3
	s_cbranch_execnz .LBB1845_4
; %bb.7:
	s_or_b32 exec_lo, exec_lo, s3
.LBB1845_8:
	s_delay_alu instid0(SALU_CYCLE_1)
	s_or_b32 exec_lo, exec_lo, s2
	v_mov_b32_e32 v2, 0
	s_clause 0x1
	global_store_b32 v2, v0, s[8:9]
	global_store_b8 v2, v1, s[8:9] offset:4
.LBB1845_9:
	s_wait_xcnt 0x0
	s_or_b32 exec_lo, exec_lo, s16
.LBB1845_10:
	s_delay_alu instid0(SALU_CYCLE_1) | instskip(NEXT) | instid1(VALU_DEP_1)
	s_mov_b32 s2, exec_lo
	v_cmpx_gt_u32_e64 s6, v4
	s_cbranch_execz .LBB1845_12
; %bb.11:
	v_dual_mov_b32 v0, 0 :: v_dual_add_nc_u32 v5, 32, v4
	s_delay_alu instid0(VALU_DEP_1)
	v_dual_mov_b32 v1, v0 :: v_dual_mov_b32 v2, v0
	v_mov_b32_e32 v3, v0
	global_store_b128 v5, v[0:3], s[4:5] scale_offset
.LBB1845_12:
	s_wait_xcnt 0x0
	s_or_b32 exec_lo, exec_lo, s2
	v_mov_b32_e32 v5, 0
	s_mov_b32 s2, exec_lo
	v_cmpx_gt_u32_e32 32, v4
	s_cbranch_execz .LBB1845_14
; %bb.13:
	s_delay_alu instid0(VALU_DEP_2)
	v_lshl_add_u64 v[6:7], v[4:5], 4, s[4:5]
	v_dual_mov_b32 v2, 0xff :: v_dual_mov_b32 v1, v5
	v_dual_mov_b32 v0, v5 :: v_dual_mov_b32 v3, v5
	global_store_b128 v[6:7], v[0:3], off
.LBB1845_14:
	s_wait_xcnt 0x0
	s_or_b32 exec_lo, exec_lo, s2
	s_load_b64 s[2:3], s[0:1], 0x28
	s_mov_b32 s4, exec_lo
	s_wait_kmcnt 0x0
	v_cmpx_gt_u64_e64 s[2:3], v[4:5]
	s_cbranch_execz .LBB1845_17
; %bb.15:
	s_clause 0x1
	s_load_b32 s4, s[0:1], 0x30
	s_load_b64 s[6:7], s[0:1], 0x20
	s_mov_b32 s5, 0
	s_wait_xcnt 0x0
	s_mul_i32 s0, s14, s15
	s_mov_b32 s9, s5
	s_mov_b32 s1, s5
	s_wait_kmcnt 0x0
	v_mul_u64_e32 v[0:1], s[4:5], v[4:5]
	s_add_co_i32 s8, s4, -1
	v_lshl_add_u64 v[2:3], v[4:5], 2, s[6:7]
	s_lshl_b64 s[8:9], s[8:9], 2
	s_delay_alu instid0(SALU_CYCLE_1) | instskip(SKIP_1) | instid1(SALU_CYCLE_1)
	s_add_nc_u64 s[8:9], s[10:11], s[8:9]
	s_mul_u64 s[10:11], s[4:5], s[0:1]
	s_lshl_b64 s[6:7], s[10:11], 2
	s_delay_alu instid0(VALU_DEP_2)
	v_lshl_add_u64 v[0:1], v[0:1], 2, s[8:9]
	s_lshl_b64 s[8:9], s[0:1], 2
.LBB1845_16:                            ; =>This Inner Loop Header: Depth=1
	global_load_b32 v6, v[0:1], off
	v_add_nc_u64_e32 v[4:5], s[0:1], v[4:5]
	s_wait_xcnt 0x0
	v_add_nc_u64_e32 v[0:1], s[6:7], v[0:1]
	s_delay_alu instid0(VALU_DEP_2)
	v_cmp_le_u64_e32 vcc_lo, s[2:3], v[4:5]
	s_or_b32 s5, vcc_lo, s5
	s_wait_loadcnt 0x0
	global_store_b32 v[2:3], v6, off
	s_wait_xcnt 0x0
	v_add_nc_u64_e32 v[2:3], s[8:9], v[2:3]
	s_and_not1_b32 exec_lo, exec_lo, s5
	s_cbranch_execnz .LBB1845_16
.LBB1845_17:
	s_endpgm
	.section	.rodata,"a",@progbits
	.p2align	6, 0x0
	.amdhsa_kernel _ZN7rocprim17ROCPRIM_400000_NS6detail30init_device_scan_by_key_kernelINS1_19lookback_scan_stateINS0_5tupleIJjbEEELb1ELb1EEEN6thrust23THRUST_200600_302600_NS6detail15normal_iteratorINS8_10device_ptrIjEEEEjNS1_16block_id_wrapperIjLb0EEEEEvT_jjPNSG_10value_typeET0_PNSt15iterator_traitsISJ_E10value_typeEmT1_T2_
		.amdhsa_group_segment_fixed_size 0
		.amdhsa_private_segment_fixed_size 0
		.amdhsa_kernarg_size 312
		.amdhsa_user_sgpr_count 2
		.amdhsa_user_sgpr_dispatch_ptr 0
		.amdhsa_user_sgpr_queue_ptr 0
		.amdhsa_user_sgpr_kernarg_segment_ptr 1
		.amdhsa_user_sgpr_dispatch_id 0
		.amdhsa_user_sgpr_kernarg_preload_length 0
		.amdhsa_user_sgpr_kernarg_preload_offset 0
		.amdhsa_user_sgpr_private_segment_size 0
		.amdhsa_wavefront_size32 1
		.amdhsa_uses_dynamic_stack 0
		.amdhsa_enable_private_segment 0
		.amdhsa_system_sgpr_workgroup_id_x 1
		.amdhsa_system_sgpr_workgroup_id_y 0
		.amdhsa_system_sgpr_workgroup_id_z 0
		.amdhsa_system_sgpr_workgroup_info 0
		.amdhsa_system_vgpr_workitem_id 0
		.amdhsa_next_free_vgpr 10
		.amdhsa_next_free_sgpr 17
		.amdhsa_named_barrier_count 0
		.amdhsa_reserve_vcc 1
		.amdhsa_float_round_mode_32 0
		.amdhsa_float_round_mode_16_64 0
		.amdhsa_float_denorm_mode_32 3
		.amdhsa_float_denorm_mode_16_64 3
		.amdhsa_fp16_overflow 0
		.amdhsa_memory_ordered 1
		.amdhsa_forward_progress 1
		.amdhsa_inst_pref_size 5
		.amdhsa_round_robin_scheduling 0
		.amdhsa_exception_fp_ieee_invalid_op 0
		.amdhsa_exception_fp_denorm_src 0
		.amdhsa_exception_fp_ieee_div_zero 0
		.amdhsa_exception_fp_ieee_overflow 0
		.amdhsa_exception_fp_ieee_underflow 0
		.amdhsa_exception_fp_ieee_inexact 0
		.amdhsa_exception_int_div_zero 0
	.end_amdhsa_kernel
	.section	.text._ZN7rocprim17ROCPRIM_400000_NS6detail30init_device_scan_by_key_kernelINS1_19lookback_scan_stateINS0_5tupleIJjbEEELb1ELb1EEEN6thrust23THRUST_200600_302600_NS6detail15normal_iteratorINS8_10device_ptrIjEEEEjNS1_16block_id_wrapperIjLb0EEEEEvT_jjPNSG_10value_typeET0_PNSt15iterator_traitsISJ_E10value_typeEmT1_T2_,"axG",@progbits,_ZN7rocprim17ROCPRIM_400000_NS6detail30init_device_scan_by_key_kernelINS1_19lookback_scan_stateINS0_5tupleIJjbEEELb1ELb1EEEN6thrust23THRUST_200600_302600_NS6detail15normal_iteratorINS8_10device_ptrIjEEEEjNS1_16block_id_wrapperIjLb0EEEEEvT_jjPNSG_10value_typeET0_PNSt15iterator_traitsISJ_E10value_typeEmT1_T2_,comdat
.Lfunc_end1845:
	.size	_ZN7rocprim17ROCPRIM_400000_NS6detail30init_device_scan_by_key_kernelINS1_19lookback_scan_stateINS0_5tupleIJjbEEELb1ELb1EEEN6thrust23THRUST_200600_302600_NS6detail15normal_iteratorINS8_10device_ptrIjEEEEjNS1_16block_id_wrapperIjLb0EEEEEvT_jjPNSG_10value_typeET0_PNSt15iterator_traitsISJ_E10value_typeEmT1_T2_, .Lfunc_end1845-_ZN7rocprim17ROCPRIM_400000_NS6detail30init_device_scan_by_key_kernelINS1_19lookback_scan_stateINS0_5tupleIJjbEEELb1ELb1EEEN6thrust23THRUST_200600_302600_NS6detail15normal_iteratorINS8_10device_ptrIjEEEEjNS1_16block_id_wrapperIjLb0EEEEEvT_jjPNSG_10value_typeET0_PNSt15iterator_traitsISJ_E10value_typeEmT1_T2_
                                        ; -- End function
	.set _ZN7rocprim17ROCPRIM_400000_NS6detail30init_device_scan_by_key_kernelINS1_19lookback_scan_stateINS0_5tupleIJjbEEELb1ELb1EEEN6thrust23THRUST_200600_302600_NS6detail15normal_iteratorINS8_10device_ptrIjEEEEjNS1_16block_id_wrapperIjLb0EEEEEvT_jjPNSG_10value_typeET0_PNSt15iterator_traitsISJ_E10value_typeEmT1_T2_.num_vgpr, 10
	.set _ZN7rocprim17ROCPRIM_400000_NS6detail30init_device_scan_by_key_kernelINS1_19lookback_scan_stateINS0_5tupleIJjbEEELb1ELb1EEEN6thrust23THRUST_200600_302600_NS6detail15normal_iteratorINS8_10device_ptrIjEEEEjNS1_16block_id_wrapperIjLb0EEEEEvT_jjPNSG_10value_typeET0_PNSt15iterator_traitsISJ_E10value_typeEmT1_T2_.num_agpr, 0
	.set _ZN7rocprim17ROCPRIM_400000_NS6detail30init_device_scan_by_key_kernelINS1_19lookback_scan_stateINS0_5tupleIJjbEEELb1ELb1EEEN6thrust23THRUST_200600_302600_NS6detail15normal_iteratorINS8_10device_ptrIjEEEEjNS1_16block_id_wrapperIjLb0EEEEEvT_jjPNSG_10value_typeET0_PNSt15iterator_traitsISJ_E10value_typeEmT1_T2_.numbered_sgpr, 17
	.set _ZN7rocprim17ROCPRIM_400000_NS6detail30init_device_scan_by_key_kernelINS1_19lookback_scan_stateINS0_5tupleIJjbEEELb1ELb1EEEN6thrust23THRUST_200600_302600_NS6detail15normal_iteratorINS8_10device_ptrIjEEEEjNS1_16block_id_wrapperIjLb0EEEEEvT_jjPNSG_10value_typeET0_PNSt15iterator_traitsISJ_E10value_typeEmT1_T2_.num_named_barrier, 0
	.set _ZN7rocprim17ROCPRIM_400000_NS6detail30init_device_scan_by_key_kernelINS1_19lookback_scan_stateINS0_5tupleIJjbEEELb1ELb1EEEN6thrust23THRUST_200600_302600_NS6detail15normal_iteratorINS8_10device_ptrIjEEEEjNS1_16block_id_wrapperIjLb0EEEEEvT_jjPNSG_10value_typeET0_PNSt15iterator_traitsISJ_E10value_typeEmT1_T2_.private_seg_size, 0
	.set _ZN7rocprim17ROCPRIM_400000_NS6detail30init_device_scan_by_key_kernelINS1_19lookback_scan_stateINS0_5tupleIJjbEEELb1ELb1EEEN6thrust23THRUST_200600_302600_NS6detail15normal_iteratorINS8_10device_ptrIjEEEEjNS1_16block_id_wrapperIjLb0EEEEEvT_jjPNSG_10value_typeET0_PNSt15iterator_traitsISJ_E10value_typeEmT1_T2_.uses_vcc, 1
	.set _ZN7rocprim17ROCPRIM_400000_NS6detail30init_device_scan_by_key_kernelINS1_19lookback_scan_stateINS0_5tupleIJjbEEELb1ELb1EEEN6thrust23THRUST_200600_302600_NS6detail15normal_iteratorINS8_10device_ptrIjEEEEjNS1_16block_id_wrapperIjLb0EEEEEvT_jjPNSG_10value_typeET0_PNSt15iterator_traitsISJ_E10value_typeEmT1_T2_.uses_flat_scratch, 0
	.set _ZN7rocprim17ROCPRIM_400000_NS6detail30init_device_scan_by_key_kernelINS1_19lookback_scan_stateINS0_5tupleIJjbEEELb1ELb1EEEN6thrust23THRUST_200600_302600_NS6detail15normal_iteratorINS8_10device_ptrIjEEEEjNS1_16block_id_wrapperIjLb0EEEEEvT_jjPNSG_10value_typeET0_PNSt15iterator_traitsISJ_E10value_typeEmT1_T2_.has_dyn_sized_stack, 0
	.set _ZN7rocprim17ROCPRIM_400000_NS6detail30init_device_scan_by_key_kernelINS1_19lookback_scan_stateINS0_5tupleIJjbEEELb1ELb1EEEN6thrust23THRUST_200600_302600_NS6detail15normal_iteratorINS8_10device_ptrIjEEEEjNS1_16block_id_wrapperIjLb0EEEEEvT_jjPNSG_10value_typeET0_PNSt15iterator_traitsISJ_E10value_typeEmT1_T2_.has_recursion, 0
	.set _ZN7rocprim17ROCPRIM_400000_NS6detail30init_device_scan_by_key_kernelINS1_19lookback_scan_stateINS0_5tupleIJjbEEELb1ELb1EEEN6thrust23THRUST_200600_302600_NS6detail15normal_iteratorINS8_10device_ptrIjEEEEjNS1_16block_id_wrapperIjLb0EEEEEvT_jjPNSG_10value_typeET0_PNSt15iterator_traitsISJ_E10value_typeEmT1_T2_.has_indirect_call, 0
	.section	.AMDGPU.csdata,"",@progbits
; Kernel info:
; codeLenInByte = 632
; TotalNumSgprs: 19
; NumVgprs: 10
; ScratchSize: 0
; MemoryBound: 0
; FloatMode: 240
; IeeeMode: 1
; LDSByteSize: 0 bytes/workgroup (compile time only)
; SGPRBlocks: 0
; VGPRBlocks: 0
; NumSGPRsForWavesPerEU: 19
; NumVGPRsForWavesPerEU: 10
; NamedBarCnt: 0
; Occupancy: 16
; WaveLimiterHint : 0
; COMPUTE_PGM_RSRC2:SCRATCH_EN: 0
; COMPUTE_PGM_RSRC2:USER_SGPR: 2
; COMPUTE_PGM_RSRC2:TRAP_HANDLER: 0
; COMPUTE_PGM_RSRC2:TGID_X_EN: 1
; COMPUTE_PGM_RSRC2:TGID_Y_EN: 0
; COMPUTE_PGM_RSRC2:TGID_Z_EN: 0
; COMPUTE_PGM_RSRC2:TIDIG_COMP_CNT: 0
	.section	.text._ZN7rocprim17ROCPRIM_400000_NS6detail17trampoline_kernelINS0_14default_configENS1_27scan_by_key_config_selectorIjjEEZZNS1_16scan_by_key_implILNS1_25lookback_scan_determinismE0ELb0ES3_N6thrust23THRUST_200600_302600_NS6detail15normal_iteratorINS9_10device_ptrIjEEEESE_SE_jNS9_4plusIvEENS9_8equal_toIvEEjEE10hipError_tPvRmT2_T3_T4_T5_mT6_T7_P12ihipStream_tbENKUlT_T0_E_clISt17integral_constantIbLb1EESY_IbLb0EEEEDaSU_SV_EUlSU_E_NS1_11comp_targetILNS1_3genE0ELNS1_11target_archE4294967295ELNS1_3gpuE0ELNS1_3repE0EEENS1_30default_config_static_selectorELNS0_4arch9wavefront6targetE0EEEvT1_,"axG",@progbits,_ZN7rocprim17ROCPRIM_400000_NS6detail17trampoline_kernelINS0_14default_configENS1_27scan_by_key_config_selectorIjjEEZZNS1_16scan_by_key_implILNS1_25lookback_scan_determinismE0ELb0ES3_N6thrust23THRUST_200600_302600_NS6detail15normal_iteratorINS9_10device_ptrIjEEEESE_SE_jNS9_4plusIvEENS9_8equal_toIvEEjEE10hipError_tPvRmT2_T3_T4_T5_mT6_T7_P12ihipStream_tbENKUlT_T0_E_clISt17integral_constantIbLb1EESY_IbLb0EEEEDaSU_SV_EUlSU_E_NS1_11comp_targetILNS1_3genE0ELNS1_11target_archE4294967295ELNS1_3gpuE0ELNS1_3repE0EEENS1_30default_config_static_selectorELNS0_4arch9wavefront6targetE0EEEvT1_,comdat
	.protected	_ZN7rocprim17ROCPRIM_400000_NS6detail17trampoline_kernelINS0_14default_configENS1_27scan_by_key_config_selectorIjjEEZZNS1_16scan_by_key_implILNS1_25lookback_scan_determinismE0ELb0ES3_N6thrust23THRUST_200600_302600_NS6detail15normal_iteratorINS9_10device_ptrIjEEEESE_SE_jNS9_4plusIvEENS9_8equal_toIvEEjEE10hipError_tPvRmT2_T3_T4_T5_mT6_T7_P12ihipStream_tbENKUlT_T0_E_clISt17integral_constantIbLb1EESY_IbLb0EEEEDaSU_SV_EUlSU_E_NS1_11comp_targetILNS1_3genE0ELNS1_11target_archE4294967295ELNS1_3gpuE0ELNS1_3repE0EEENS1_30default_config_static_selectorELNS0_4arch9wavefront6targetE0EEEvT1_ ; -- Begin function _ZN7rocprim17ROCPRIM_400000_NS6detail17trampoline_kernelINS0_14default_configENS1_27scan_by_key_config_selectorIjjEEZZNS1_16scan_by_key_implILNS1_25lookback_scan_determinismE0ELb0ES3_N6thrust23THRUST_200600_302600_NS6detail15normal_iteratorINS9_10device_ptrIjEEEESE_SE_jNS9_4plusIvEENS9_8equal_toIvEEjEE10hipError_tPvRmT2_T3_T4_T5_mT6_T7_P12ihipStream_tbENKUlT_T0_E_clISt17integral_constantIbLb1EESY_IbLb0EEEEDaSU_SV_EUlSU_E_NS1_11comp_targetILNS1_3genE0ELNS1_11target_archE4294967295ELNS1_3gpuE0ELNS1_3repE0EEENS1_30default_config_static_selectorELNS0_4arch9wavefront6targetE0EEEvT1_
	.globl	_ZN7rocprim17ROCPRIM_400000_NS6detail17trampoline_kernelINS0_14default_configENS1_27scan_by_key_config_selectorIjjEEZZNS1_16scan_by_key_implILNS1_25lookback_scan_determinismE0ELb0ES3_N6thrust23THRUST_200600_302600_NS6detail15normal_iteratorINS9_10device_ptrIjEEEESE_SE_jNS9_4plusIvEENS9_8equal_toIvEEjEE10hipError_tPvRmT2_T3_T4_T5_mT6_T7_P12ihipStream_tbENKUlT_T0_E_clISt17integral_constantIbLb1EESY_IbLb0EEEEDaSU_SV_EUlSU_E_NS1_11comp_targetILNS1_3genE0ELNS1_11target_archE4294967295ELNS1_3gpuE0ELNS1_3repE0EEENS1_30default_config_static_selectorELNS0_4arch9wavefront6targetE0EEEvT1_
	.p2align	8
	.type	_ZN7rocprim17ROCPRIM_400000_NS6detail17trampoline_kernelINS0_14default_configENS1_27scan_by_key_config_selectorIjjEEZZNS1_16scan_by_key_implILNS1_25lookback_scan_determinismE0ELb0ES3_N6thrust23THRUST_200600_302600_NS6detail15normal_iteratorINS9_10device_ptrIjEEEESE_SE_jNS9_4plusIvEENS9_8equal_toIvEEjEE10hipError_tPvRmT2_T3_T4_T5_mT6_T7_P12ihipStream_tbENKUlT_T0_E_clISt17integral_constantIbLb1EESY_IbLb0EEEEDaSU_SV_EUlSU_E_NS1_11comp_targetILNS1_3genE0ELNS1_11target_archE4294967295ELNS1_3gpuE0ELNS1_3repE0EEENS1_30default_config_static_selectorELNS0_4arch9wavefront6targetE0EEEvT1_,@function
_ZN7rocprim17ROCPRIM_400000_NS6detail17trampoline_kernelINS0_14default_configENS1_27scan_by_key_config_selectorIjjEEZZNS1_16scan_by_key_implILNS1_25lookback_scan_determinismE0ELb0ES3_N6thrust23THRUST_200600_302600_NS6detail15normal_iteratorINS9_10device_ptrIjEEEESE_SE_jNS9_4plusIvEENS9_8equal_toIvEEjEE10hipError_tPvRmT2_T3_T4_T5_mT6_T7_P12ihipStream_tbENKUlT_T0_E_clISt17integral_constantIbLb1EESY_IbLb0EEEEDaSU_SV_EUlSU_E_NS1_11comp_targetILNS1_3genE0ELNS1_11target_archE4294967295ELNS1_3gpuE0ELNS1_3repE0EEENS1_30default_config_static_selectorELNS0_4arch9wavefront6targetE0EEEvT1_: ; @_ZN7rocprim17ROCPRIM_400000_NS6detail17trampoline_kernelINS0_14default_configENS1_27scan_by_key_config_selectorIjjEEZZNS1_16scan_by_key_implILNS1_25lookback_scan_determinismE0ELb0ES3_N6thrust23THRUST_200600_302600_NS6detail15normal_iteratorINS9_10device_ptrIjEEEESE_SE_jNS9_4plusIvEENS9_8equal_toIvEEjEE10hipError_tPvRmT2_T3_T4_T5_mT6_T7_P12ihipStream_tbENKUlT_T0_E_clISt17integral_constantIbLb1EESY_IbLb0EEEEDaSU_SV_EUlSU_E_NS1_11comp_targetILNS1_3genE0ELNS1_11target_archE4294967295ELNS1_3gpuE0ELNS1_3repE0EEENS1_30default_config_static_selectorELNS0_4arch9wavefront6targetE0EEEvT1_
; %bb.0:
	s_endpgm
	.section	.rodata,"a",@progbits
	.p2align	6, 0x0
	.amdhsa_kernel _ZN7rocprim17ROCPRIM_400000_NS6detail17trampoline_kernelINS0_14default_configENS1_27scan_by_key_config_selectorIjjEEZZNS1_16scan_by_key_implILNS1_25lookback_scan_determinismE0ELb0ES3_N6thrust23THRUST_200600_302600_NS6detail15normal_iteratorINS9_10device_ptrIjEEEESE_SE_jNS9_4plusIvEENS9_8equal_toIvEEjEE10hipError_tPvRmT2_T3_T4_T5_mT6_T7_P12ihipStream_tbENKUlT_T0_E_clISt17integral_constantIbLb1EESY_IbLb0EEEEDaSU_SV_EUlSU_E_NS1_11comp_targetILNS1_3genE0ELNS1_11target_archE4294967295ELNS1_3gpuE0ELNS1_3repE0EEENS1_30default_config_static_selectorELNS0_4arch9wavefront6targetE0EEEvT1_
		.amdhsa_group_segment_fixed_size 0
		.amdhsa_private_segment_fixed_size 0
		.amdhsa_kernarg_size 112
		.amdhsa_user_sgpr_count 2
		.amdhsa_user_sgpr_dispatch_ptr 0
		.amdhsa_user_sgpr_queue_ptr 0
		.amdhsa_user_sgpr_kernarg_segment_ptr 1
		.amdhsa_user_sgpr_dispatch_id 0
		.amdhsa_user_sgpr_kernarg_preload_length 0
		.amdhsa_user_sgpr_kernarg_preload_offset 0
		.amdhsa_user_sgpr_private_segment_size 0
		.amdhsa_wavefront_size32 1
		.amdhsa_uses_dynamic_stack 0
		.amdhsa_enable_private_segment 0
		.amdhsa_system_sgpr_workgroup_id_x 1
		.amdhsa_system_sgpr_workgroup_id_y 0
		.amdhsa_system_sgpr_workgroup_id_z 0
		.amdhsa_system_sgpr_workgroup_info 0
		.amdhsa_system_vgpr_workitem_id 0
		.amdhsa_next_free_vgpr 1
		.amdhsa_next_free_sgpr 1
		.amdhsa_named_barrier_count 0
		.amdhsa_reserve_vcc 0
		.amdhsa_float_round_mode_32 0
		.amdhsa_float_round_mode_16_64 0
		.amdhsa_float_denorm_mode_32 3
		.amdhsa_float_denorm_mode_16_64 3
		.amdhsa_fp16_overflow 0
		.amdhsa_memory_ordered 1
		.amdhsa_forward_progress 1
		.amdhsa_inst_pref_size 1
		.amdhsa_round_robin_scheduling 0
		.amdhsa_exception_fp_ieee_invalid_op 0
		.amdhsa_exception_fp_denorm_src 0
		.amdhsa_exception_fp_ieee_div_zero 0
		.amdhsa_exception_fp_ieee_overflow 0
		.amdhsa_exception_fp_ieee_underflow 0
		.amdhsa_exception_fp_ieee_inexact 0
		.amdhsa_exception_int_div_zero 0
	.end_amdhsa_kernel
	.section	.text._ZN7rocprim17ROCPRIM_400000_NS6detail17trampoline_kernelINS0_14default_configENS1_27scan_by_key_config_selectorIjjEEZZNS1_16scan_by_key_implILNS1_25lookback_scan_determinismE0ELb0ES3_N6thrust23THRUST_200600_302600_NS6detail15normal_iteratorINS9_10device_ptrIjEEEESE_SE_jNS9_4plusIvEENS9_8equal_toIvEEjEE10hipError_tPvRmT2_T3_T4_T5_mT6_T7_P12ihipStream_tbENKUlT_T0_E_clISt17integral_constantIbLb1EESY_IbLb0EEEEDaSU_SV_EUlSU_E_NS1_11comp_targetILNS1_3genE0ELNS1_11target_archE4294967295ELNS1_3gpuE0ELNS1_3repE0EEENS1_30default_config_static_selectorELNS0_4arch9wavefront6targetE0EEEvT1_,"axG",@progbits,_ZN7rocprim17ROCPRIM_400000_NS6detail17trampoline_kernelINS0_14default_configENS1_27scan_by_key_config_selectorIjjEEZZNS1_16scan_by_key_implILNS1_25lookback_scan_determinismE0ELb0ES3_N6thrust23THRUST_200600_302600_NS6detail15normal_iteratorINS9_10device_ptrIjEEEESE_SE_jNS9_4plusIvEENS9_8equal_toIvEEjEE10hipError_tPvRmT2_T3_T4_T5_mT6_T7_P12ihipStream_tbENKUlT_T0_E_clISt17integral_constantIbLb1EESY_IbLb0EEEEDaSU_SV_EUlSU_E_NS1_11comp_targetILNS1_3genE0ELNS1_11target_archE4294967295ELNS1_3gpuE0ELNS1_3repE0EEENS1_30default_config_static_selectorELNS0_4arch9wavefront6targetE0EEEvT1_,comdat
.Lfunc_end1846:
	.size	_ZN7rocprim17ROCPRIM_400000_NS6detail17trampoline_kernelINS0_14default_configENS1_27scan_by_key_config_selectorIjjEEZZNS1_16scan_by_key_implILNS1_25lookback_scan_determinismE0ELb0ES3_N6thrust23THRUST_200600_302600_NS6detail15normal_iteratorINS9_10device_ptrIjEEEESE_SE_jNS9_4plusIvEENS9_8equal_toIvEEjEE10hipError_tPvRmT2_T3_T4_T5_mT6_T7_P12ihipStream_tbENKUlT_T0_E_clISt17integral_constantIbLb1EESY_IbLb0EEEEDaSU_SV_EUlSU_E_NS1_11comp_targetILNS1_3genE0ELNS1_11target_archE4294967295ELNS1_3gpuE0ELNS1_3repE0EEENS1_30default_config_static_selectorELNS0_4arch9wavefront6targetE0EEEvT1_, .Lfunc_end1846-_ZN7rocprim17ROCPRIM_400000_NS6detail17trampoline_kernelINS0_14default_configENS1_27scan_by_key_config_selectorIjjEEZZNS1_16scan_by_key_implILNS1_25lookback_scan_determinismE0ELb0ES3_N6thrust23THRUST_200600_302600_NS6detail15normal_iteratorINS9_10device_ptrIjEEEESE_SE_jNS9_4plusIvEENS9_8equal_toIvEEjEE10hipError_tPvRmT2_T3_T4_T5_mT6_T7_P12ihipStream_tbENKUlT_T0_E_clISt17integral_constantIbLb1EESY_IbLb0EEEEDaSU_SV_EUlSU_E_NS1_11comp_targetILNS1_3genE0ELNS1_11target_archE4294967295ELNS1_3gpuE0ELNS1_3repE0EEENS1_30default_config_static_selectorELNS0_4arch9wavefront6targetE0EEEvT1_
                                        ; -- End function
	.set _ZN7rocprim17ROCPRIM_400000_NS6detail17trampoline_kernelINS0_14default_configENS1_27scan_by_key_config_selectorIjjEEZZNS1_16scan_by_key_implILNS1_25lookback_scan_determinismE0ELb0ES3_N6thrust23THRUST_200600_302600_NS6detail15normal_iteratorINS9_10device_ptrIjEEEESE_SE_jNS9_4plusIvEENS9_8equal_toIvEEjEE10hipError_tPvRmT2_T3_T4_T5_mT6_T7_P12ihipStream_tbENKUlT_T0_E_clISt17integral_constantIbLb1EESY_IbLb0EEEEDaSU_SV_EUlSU_E_NS1_11comp_targetILNS1_3genE0ELNS1_11target_archE4294967295ELNS1_3gpuE0ELNS1_3repE0EEENS1_30default_config_static_selectorELNS0_4arch9wavefront6targetE0EEEvT1_.num_vgpr, 0
	.set _ZN7rocprim17ROCPRIM_400000_NS6detail17trampoline_kernelINS0_14default_configENS1_27scan_by_key_config_selectorIjjEEZZNS1_16scan_by_key_implILNS1_25lookback_scan_determinismE0ELb0ES3_N6thrust23THRUST_200600_302600_NS6detail15normal_iteratorINS9_10device_ptrIjEEEESE_SE_jNS9_4plusIvEENS9_8equal_toIvEEjEE10hipError_tPvRmT2_T3_T4_T5_mT6_T7_P12ihipStream_tbENKUlT_T0_E_clISt17integral_constantIbLb1EESY_IbLb0EEEEDaSU_SV_EUlSU_E_NS1_11comp_targetILNS1_3genE0ELNS1_11target_archE4294967295ELNS1_3gpuE0ELNS1_3repE0EEENS1_30default_config_static_selectorELNS0_4arch9wavefront6targetE0EEEvT1_.num_agpr, 0
	.set _ZN7rocprim17ROCPRIM_400000_NS6detail17trampoline_kernelINS0_14default_configENS1_27scan_by_key_config_selectorIjjEEZZNS1_16scan_by_key_implILNS1_25lookback_scan_determinismE0ELb0ES3_N6thrust23THRUST_200600_302600_NS6detail15normal_iteratorINS9_10device_ptrIjEEEESE_SE_jNS9_4plusIvEENS9_8equal_toIvEEjEE10hipError_tPvRmT2_T3_T4_T5_mT6_T7_P12ihipStream_tbENKUlT_T0_E_clISt17integral_constantIbLb1EESY_IbLb0EEEEDaSU_SV_EUlSU_E_NS1_11comp_targetILNS1_3genE0ELNS1_11target_archE4294967295ELNS1_3gpuE0ELNS1_3repE0EEENS1_30default_config_static_selectorELNS0_4arch9wavefront6targetE0EEEvT1_.numbered_sgpr, 0
	.set _ZN7rocprim17ROCPRIM_400000_NS6detail17trampoline_kernelINS0_14default_configENS1_27scan_by_key_config_selectorIjjEEZZNS1_16scan_by_key_implILNS1_25lookback_scan_determinismE0ELb0ES3_N6thrust23THRUST_200600_302600_NS6detail15normal_iteratorINS9_10device_ptrIjEEEESE_SE_jNS9_4plusIvEENS9_8equal_toIvEEjEE10hipError_tPvRmT2_T3_T4_T5_mT6_T7_P12ihipStream_tbENKUlT_T0_E_clISt17integral_constantIbLb1EESY_IbLb0EEEEDaSU_SV_EUlSU_E_NS1_11comp_targetILNS1_3genE0ELNS1_11target_archE4294967295ELNS1_3gpuE0ELNS1_3repE0EEENS1_30default_config_static_selectorELNS0_4arch9wavefront6targetE0EEEvT1_.num_named_barrier, 0
	.set _ZN7rocprim17ROCPRIM_400000_NS6detail17trampoline_kernelINS0_14default_configENS1_27scan_by_key_config_selectorIjjEEZZNS1_16scan_by_key_implILNS1_25lookback_scan_determinismE0ELb0ES3_N6thrust23THRUST_200600_302600_NS6detail15normal_iteratorINS9_10device_ptrIjEEEESE_SE_jNS9_4plusIvEENS9_8equal_toIvEEjEE10hipError_tPvRmT2_T3_T4_T5_mT6_T7_P12ihipStream_tbENKUlT_T0_E_clISt17integral_constantIbLb1EESY_IbLb0EEEEDaSU_SV_EUlSU_E_NS1_11comp_targetILNS1_3genE0ELNS1_11target_archE4294967295ELNS1_3gpuE0ELNS1_3repE0EEENS1_30default_config_static_selectorELNS0_4arch9wavefront6targetE0EEEvT1_.private_seg_size, 0
	.set _ZN7rocprim17ROCPRIM_400000_NS6detail17trampoline_kernelINS0_14default_configENS1_27scan_by_key_config_selectorIjjEEZZNS1_16scan_by_key_implILNS1_25lookback_scan_determinismE0ELb0ES3_N6thrust23THRUST_200600_302600_NS6detail15normal_iteratorINS9_10device_ptrIjEEEESE_SE_jNS9_4plusIvEENS9_8equal_toIvEEjEE10hipError_tPvRmT2_T3_T4_T5_mT6_T7_P12ihipStream_tbENKUlT_T0_E_clISt17integral_constantIbLb1EESY_IbLb0EEEEDaSU_SV_EUlSU_E_NS1_11comp_targetILNS1_3genE0ELNS1_11target_archE4294967295ELNS1_3gpuE0ELNS1_3repE0EEENS1_30default_config_static_selectorELNS0_4arch9wavefront6targetE0EEEvT1_.uses_vcc, 0
	.set _ZN7rocprim17ROCPRIM_400000_NS6detail17trampoline_kernelINS0_14default_configENS1_27scan_by_key_config_selectorIjjEEZZNS1_16scan_by_key_implILNS1_25lookback_scan_determinismE0ELb0ES3_N6thrust23THRUST_200600_302600_NS6detail15normal_iteratorINS9_10device_ptrIjEEEESE_SE_jNS9_4plusIvEENS9_8equal_toIvEEjEE10hipError_tPvRmT2_T3_T4_T5_mT6_T7_P12ihipStream_tbENKUlT_T0_E_clISt17integral_constantIbLb1EESY_IbLb0EEEEDaSU_SV_EUlSU_E_NS1_11comp_targetILNS1_3genE0ELNS1_11target_archE4294967295ELNS1_3gpuE0ELNS1_3repE0EEENS1_30default_config_static_selectorELNS0_4arch9wavefront6targetE0EEEvT1_.uses_flat_scratch, 0
	.set _ZN7rocprim17ROCPRIM_400000_NS6detail17trampoline_kernelINS0_14default_configENS1_27scan_by_key_config_selectorIjjEEZZNS1_16scan_by_key_implILNS1_25lookback_scan_determinismE0ELb0ES3_N6thrust23THRUST_200600_302600_NS6detail15normal_iteratorINS9_10device_ptrIjEEEESE_SE_jNS9_4plusIvEENS9_8equal_toIvEEjEE10hipError_tPvRmT2_T3_T4_T5_mT6_T7_P12ihipStream_tbENKUlT_T0_E_clISt17integral_constantIbLb1EESY_IbLb0EEEEDaSU_SV_EUlSU_E_NS1_11comp_targetILNS1_3genE0ELNS1_11target_archE4294967295ELNS1_3gpuE0ELNS1_3repE0EEENS1_30default_config_static_selectorELNS0_4arch9wavefront6targetE0EEEvT1_.has_dyn_sized_stack, 0
	.set _ZN7rocprim17ROCPRIM_400000_NS6detail17trampoline_kernelINS0_14default_configENS1_27scan_by_key_config_selectorIjjEEZZNS1_16scan_by_key_implILNS1_25lookback_scan_determinismE0ELb0ES3_N6thrust23THRUST_200600_302600_NS6detail15normal_iteratorINS9_10device_ptrIjEEEESE_SE_jNS9_4plusIvEENS9_8equal_toIvEEjEE10hipError_tPvRmT2_T3_T4_T5_mT6_T7_P12ihipStream_tbENKUlT_T0_E_clISt17integral_constantIbLb1EESY_IbLb0EEEEDaSU_SV_EUlSU_E_NS1_11comp_targetILNS1_3genE0ELNS1_11target_archE4294967295ELNS1_3gpuE0ELNS1_3repE0EEENS1_30default_config_static_selectorELNS0_4arch9wavefront6targetE0EEEvT1_.has_recursion, 0
	.set _ZN7rocprim17ROCPRIM_400000_NS6detail17trampoline_kernelINS0_14default_configENS1_27scan_by_key_config_selectorIjjEEZZNS1_16scan_by_key_implILNS1_25lookback_scan_determinismE0ELb0ES3_N6thrust23THRUST_200600_302600_NS6detail15normal_iteratorINS9_10device_ptrIjEEEESE_SE_jNS9_4plusIvEENS9_8equal_toIvEEjEE10hipError_tPvRmT2_T3_T4_T5_mT6_T7_P12ihipStream_tbENKUlT_T0_E_clISt17integral_constantIbLb1EESY_IbLb0EEEEDaSU_SV_EUlSU_E_NS1_11comp_targetILNS1_3genE0ELNS1_11target_archE4294967295ELNS1_3gpuE0ELNS1_3repE0EEENS1_30default_config_static_selectorELNS0_4arch9wavefront6targetE0EEEvT1_.has_indirect_call, 0
	.section	.AMDGPU.csdata,"",@progbits
; Kernel info:
; codeLenInByte = 4
; TotalNumSgprs: 0
; NumVgprs: 0
; ScratchSize: 0
; MemoryBound: 0
; FloatMode: 240
; IeeeMode: 1
; LDSByteSize: 0 bytes/workgroup (compile time only)
; SGPRBlocks: 0
; VGPRBlocks: 0
; NumSGPRsForWavesPerEU: 1
; NumVGPRsForWavesPerEU: 1
; NamedBarCnt: 0
; Occupancy: 16
; WaveLimiterHint : 0
; COMPUTE_PGM_RSRC2:SCRATCH_EN: 0
; COMPUTE_PGM_RSRC2:USER_SGPR: 2
; COMPUTE_PGM_RSRC2:TRAP_HANDLER: 0
; COMPUTE_PGM_RSRC2:TGID_X_EN: 1
; COMPUTE_PGM_RSRC2:TGID_Y_EN: 0
; COMPUTE_PGM_RSRC2:TGID_Z_EN: 0
; COMPUTE_PGM_RSRC2:TIDIG_COMP_CNT: 0
	.section	.text._ZN7rocprim17ROCPRIM_400000_NS6detail17trampoline_kernelINS0_14default_configENS1_27scan_by_key_config_selectorIjjEEZZNS1_16scan_by_key_implILNS1_25lookback_scan_determinismE0ELb0ES3_N6thrust23THRUST_200600_302600_NS6detail15normal_iteratorINS9_10device_ptrIjEEEESE_SE_jNS9_4plusIvEENS9_8equal_toIvEEjEE10hipError_tPvRmT2_T3_T4_T5_mT6_T7_P12ihipStream_tbENKUlT_T0_E_clISt17integral_constantIbLb1EESY_IbLb0EEEEDaSU_SV_EUlSU_E_NS1_11comp_targetILNS1_3genE10ELNS1_11target_archE1201ELNS1_3gpuE5ELNS1_3repE0EEENS1_30default_config_static_selectorELNS0_4arch9wavefront6targetE0EEEvT1_,"axG",@progbits,_ZN7rocprim17ROCPRIM_400000_NS6detail17trampoline_kernelINS0_14default_configENS1_27scan_by_key_config_selectorIjjEEZZNS1_16scan_by_key_implILNS1_25lookback_scan_determinismE0ELb0ES3_N6thrust23THRUST_200600_302600_NS6detail15normal_iteratorINS9_10device_ptrIjEEEESE_SE_jNS9_4plusIvEENS9_8equal_toIvEEjEE10hipError_tPvRmT2_T3_T4_T5_mT6_T7_P12ihipStream_tbENKUlT_T0_E_clISt17integral_constantIbLb1EESY_IbLb0EEEEDaSU_SV_EUlSU_E_NS1_11comp_targetILNS1_3genE10ELNS1_11target_archE1201ELNS1_3gpuE5ELNS1_3repE0EEENS1_30default_config_static_selectorELNS0_4arch9wavefront6targetE0EEEvT1_,comdat
	.protected	_ZN7rocprim17ROCPRIM_400000_NS6detail17trampoline_kernelINS0_14default_configENS1_27scan_by_key_config_selectorIjjEEZZNS1_16scan_by_key_implILNS1_25lookback_scan_determinismE0ELb0ES3_N6thrust23THRUST_200600_302600_NS6detail15normal_iteratorINS9_10device_ptrIjEEEESE_SE_jNS9_4plusIvEENS9_8equal_toIvEEjEE10hipError_tPvRmT2_T3_T4_T5_mT6_T7_P12ihipStream_tbENKUlT_T0_E_clISt17integral_constantIbLb1EESY_IbLb0EEEEDaSU_SV_EUlSU_E_NS1_11comp_targetILNS1_3genE10ELNS1_11target_archE1201ELNS1_3gpuE5ELNS1_3repE0EEENS1_30default_config_static_selectorELNS0_4arch9wavefront6targetE0EEEvT1_ ; -- Begin function _ZN7rocprim17ROCPRIM_400000_NS6detail17trampoline_kernelINS0_14default_configENS1_27scan_by_key_config_selectorIjjEEZZNS1_16scan_by_key_implILNS1_25lookback_scan_determinismE0ELb0ES3_N6thrust23THRUST_200600_302600_NS6detail15normal_iteratorINS9_10device_ptrIjEEEESE_SE_jNS9_4plusIvEENS9_8equal_toIvEEjEE10hipError_tPvRmT2_T3_T4_T5_mT6_T7_P12ihipStream_tbENKUlT_T0_E_clISt17integral_constantIbLb1EESY_IbLb0EEEEDaSU_SV_EUlSU_E_NS1_11comp_targetILNS1_3genE10ELNS1_11target_archE1201ELNS1_3gpuE5ELNS1_3repE0EEENS1_30default_config_static_selectorELNS0_4arch9wavefront6targetE0EEEvT1_
	.globl	_ZN7rocprim17ROCPRIM_400000_NS6detail17trampoline_kernelINS0_14default_configENS1_27scan_by_key_config_selectorIjjEEZZNS1_16scan_by_key_implILNS1_25lookback_scan_determinismE0ELb0ES3_N6thrust23THRUST_200600_302600_NS6detail15normal_iteratorINS9_10device_ptrIjEEEESE_SE_jNS9_4plusIvEENS9_8equal_toIvEEjEE10hipError_tPvRmT2_T3_T4_T5_mT6_T7_P12ihipStream_tbENKUlT_T0_E_clISt17integral_constantIbLb1EESY_IbLb0EEEEDaSU_SV_EUlSU_E_NS1_11comp_targetILNS1_3genE10ELNS1_11target_archE1201ELNS1_3gpuE5ELNS1_3repE0EEENS1_30default_config_static_selectorELNS0_4arch9wavefront6targetE0EEEvT1_
	.p2align	8
	.type	_ZN7rocprim17ROCPRIM_400000_NS6detail17trampoline_kernelINS0_14default_configENS1_27scan_by_key_config_selectorIjjEEZZNS1_16scan_by_key_implILNS1_25lookback_scan_determinismE0ELb0ES3_N6thrust23THRUST_200600_302600_NS6detail15normal_iteratorINS9_10device_ptrIjEEEESE_SE_jNS9_4plusIvEENS9_8equal_toIvEEjEE10hipError_tPvRmT2_T3_T4_T5_mT6_T7_P12ihipStream_tbENKUlT_T0_E_clISt17integral_constantIbLb1EESY_IbLb0EEEEDaSU_SV_EUlSU_E_NS1_11comp_targetILNS1_3genE10ELNS1_11target_archE1201ELNS1_3gpuE5ELNS1_3repE0EEENS1_30default_config_static_selectorELNS0_4arch9wavefront6targetE0EEEvT1_,@function
_ZN7rocprim17ROCPRIM_400000_NS6detail17trampoline_kernelINS0_14default_configENS1_27scan_by_key_config_selectorIjjEEZZNS1_16scan_by_key_implILNS1_25lookback_scan_determinismE0ELb0ES3_N6thrust23THRUST_200600_302600_NS6detail15normal_iteratorINS9_10device_ptrIjEEEESE_SE_jNS9_4plusIvEENS9_8equal_toIvEEjEE10hipError_tPvRmT2_T3_T4_T5_mT6_T7_P12ihipStream_tbENKUlT_T0_E_clISt17integral_constantIbLb1EESY_IbLb0EEEEDaSU_SV_EUlSU_E_NS1_11comp_targetILNS1_3genE10ELNS1_11target_archE1201ELNS1_3gpuE5ELNS1_3repE0EEENS1_30default_config_static_selectorELNS0_4arch9wavefront6targetE0EEEvT1_: ; @_ZN7rocprim17ROCPRIM_400000_NS6detail17trampoline_kernelINS0_14default_configENS1_27scan_by_key_config_selectorIjjEEZZNS1_16scan_by_key_implILNS1_25lookback_scan_determinismE0ELb0ES3_N6thrust23THRUST_200600_302600_NS6detail15normal_iteratorINS9_10device_ptrIjEEEESE_SE_jNS9_4plusIvEENS9_8equal_toIvEEjEE10hipError_tPvRmT2_T3_T4_T5_mT6_T7_P12ihipStream_tbENKUlT_T0_E_clISt17integral_constantIbLb1EESY_IbLb0EEEEDaSU_SV_EUlSU_E_NS1_11comp_targetILNS1_3genE10ELNS1_11target_archE1201ELNS1_3gpuE5ELNS1_3repE0EEENS1_30default_config_static_selectorELNS0_4arch9wavefront6targetE0EEEvT1_
; %bb.0:
	.section	.rodata,"a",@progbits
	.p2align	6, 0x0
	.amdhsa_kernel _ZN7rocprim17ROCPRIM_400000_NS6detail17trampoline_kernelINS0_14default_configENS1_27scan_by_key_config_selectorIjjEEZZNS1_16scan_by_key_implILNS1_25lookback_scan_determinismE0ELb0ES3_N6thrust23THRUST_200600_302600_NS6detail15normal_iteratorINS9_10device_ptrIjEEEESE_SE_jNS9_4plusIvEENS9_8equal_toIvEEjEE10hipError_tPvRmT2_T3_T4_T5_mT6_T7_P12ihipStream_tbENKUlT_T0_E_clISt17integral_constantIbLb1EESY_IbLb0EEEEDaSU_SV_EUlSU_E_NS1_11comp_targetILNS1_3genE10ELNS1_11target_archE1201ELNS1_3gpuE5ELNS1_3repE0EEENS1_30default_config_static_selectorELNS0_4arch9wavefront6targetE0EEEvT1_
		.amdhsa_group_segment_fixed_size 0
		.amdhsa_private_segment_fixed_size 0
		.amdhsa_kernarg_size 112
		.amdhsa_user_sgpr_count 2
		.amdhsa_user_sgpr_dispatch_ptr 0
		.amdhsa_user_sgpr_queue_ptr 0
		.amdhsa_user_sgpr_kernarg_segment_ptr 1
		.amdhsa_user_sgpr_dispatch_id 0
		.amdhsa_user_sgpr_kernarg_preload_length 0
		.amdhsa_user_sgpr_kernarg_preload_offset 0
		.amdhsa_user_sgpr_private_segment_size 0
		.amdhsa_wavefront_size32 1
		.amdhsa_uses_dynamic_stack 0
		.amdhsa_enable_private_segment 0
		.amdhsa_system_sgpr_workgroup_id_x 1
		.amdhsa_system_sgpr_workgroup_id_y 0
		.amdhsa_system_sgpr_workgroup_id_z 0
		.amdhsa_system_sgpr_workgroup_info 0
		.amdhsa_system_vgpr_workitem_id 0
		.amdhsa_next_free_vgpr 1
		.amdhsa_next_free_sgpr 1
		.amdhsa_named_barrier_count 0
		.amdhsa_reserve_vcc 0
		.amdhsa_float_round_mode_32 0
		.amdhsa_float_round_mode_16_64 0
		.amdhsa_float_denorm_mode_32 3
		.amdhsa_float_denorm_mode_16_64 3
		.amdhsa_fp16_overflow 0
		.amdhsa_memory_ordered 1
		.amdhsa_forward_progress 1
		.amdhsa_inst_pref_size 0
		.amdhsa_round_robin_scheduling 0
		.amdhsa_exception_fp_ieee_invalid_op 0
		.amdhsa_exception_fp_denorm_src 0
		.amdhsa_exception_fp_ieee_div_zero 0
		.amdhsa_exception_fp_ieee_overflow 0
		.amdhsa_exception_fp_ieee_underflow 0
		.amdhsa_exception_fp_ieee_inexact 0
		.amdhsa_exception_int_div_zero 0
	.end_amdhsa_kernel
	.section	.text._ZN7rocprim17ROCPRIM_400000_NS6detail17trampoline_kernelINS0_14default_configENS1_27scan_by_key_config_selectorIjjEEZZNS1_16scan_by_key_implILNS1_25lookback_scan_determinismE0ELb0ES3_N6thrust23THRUST_200600_302600_NS6detail15normal_iteratorINS9_10device_ptrIjEEEESE_SE_jNS9_4plusIvEENS9_8equal_toIvEEjEE10hipError_tPvRmT2_T3_T4_T5_mT6_T7_P12ihipStream_tbENKUlT_T0_E_clISt17integral_constantIbLb1EESY_IbLb0EEEEDaSU_SV_EUlSU_E_NS1_11comp_targetILNS1_3genE10ELNS1_11target_archE1201ELNS1_3gpuE5ELNS1_3repE0EEENS1_30default_config_static_selectorELNS0_4arch9wavefront6targetE0EEEvT1_,"axG",@progbits,_ZN7rocprim17ROCPRIM_400000_NS6detail17trampoline_kernelINS0_14default_configENS1_27scan_by_key_config_selectorIjjEEZZNS1_16scan_by_key_implILNS1_25lookback_scan_determinismE0ELb0ES3_N6thrust23THRUST_200600_302600_NS6detail15normal_iteratorINS9_10device_ptrIjEEEESE_SE_jNS9_4plusIvEENS9_8equal_toIvEEjEE10hipError_tPvRmT2_T3_T4_T5_mT6_T7_P12ihipStream_tbENKUlT_T0_E_clISt17integral_constantIbLb1EESY_IbLb0EEEEDaSU_SV_EUlSU_E_NS1_11comp_targetILNS1_3genE10ELNS1_11target_archE1201ELNS1_3gpuE5ELNS1_3repE0EEENS1_30default_config_static_selectorELNS0_4arch9wavefront6targetE0EEEvT1_,comdat
.Lfunc_end1847:
	.size	_ZN7rocprim17ROCPRIM_400000_NS6detail17trampoline_kernelINS0_14default_configENS1_27scan_by_key_config_selectorIjjEEZZNS1_16scan_by_key_implILNS1_25lookback_scan_determinismE0ELb0ES3_N6thrust23THRUST_200600_302600_NS6detail15normal_iteratorINS9_10device_ptrIjEEEESE_SE_jNS9_4plusIvEENS9_8equal_toIvEEjEE10hipError_tPvRmT2_T3_T4_T5_mT6_T7_P12ihipStream_tbENKUlT_T0_E_clISt17integral_constantIbLb1EESY_IbLb0EEEEDaSU_SV_EUlSU_E_NS1_11comp_targetILNS1_3genE10ELNS1_11target_archE1201ELNS1_3gpuE5ELNS1_3repE0EEENS1_30default_config_static_selectorELNS0_4arch9wavefront6targetE0EEEvT1_, .Lfunc_end1847-_ZN7rocprim17ROCPRIM_400000_NS6detail17trampoline_kernelINS0_14default_configENS1_27scan_by_key_config_selectorIjjEEZZNS1_16scan_by_key_implILNS1_25lookback_scan_determinismE0ELb0ES3_N6thrust23THRUST_200600_302600_NS6detail15normal_iteratorINS9_10device_ptrIjEEEESE_SE_jNS9_4plusIvEENS9_8equal_toIvEEjEE10hipError_tPvRmT2_T3_T4_T5_mT6_T7_P12ihipStream_tbENKUlT_T0_E_clISt17integral_constantIbLb1EESY_IbLb0EEEEDaSU_SV_EUlSU_E_NS1_11comp_targetILNS1_3genE10ELNS1_11target_archE1201ELNS1_3gpuE5ELNS1_3repE0EEENS1_30default_config_static_selectorELNS0_4arch9wavefront6targetE0EEEvT1_
                                        ; -- End function
	.set _ZN7rocprim17ROCPRIM_400000_NS6detail17trampoline_kernelINS0_14default_configENS1_27scan_by_key_config_selectorIjjEEZZNS1_16scan_by_key_implILNS1_25lookback_scan_determinismE0ELb0ES3_N6thrust23THRUST_200600_302600_NS6detail15normal_iteratorINS9_10device_ptrIjEEEESE_SE_jNS9_4plusIvEENS9_8equal_toIvEEjEE10hipError_tPvRmT2_T3_T4_T5_mT6_T7_P12ihipStream_tbENKUlT_T0_E_clISt17integral_constantIbLb1EESY_IbLb0EEEEDaSU_SV_EUlSU_E_NS1_11comp_targetILNS1_3genE10ELNS1_11target_archE1201ELNS1_3gpuE5ELNS1_3repE0EEENS1_30default_config_static_selectorELNS0_4arch9wavefront6targetE0EEEvT1_.num_vgpr, 0
	.set _ZN7rocprim17ROCPRIM_400000_NS6detail17trampoline_kernelINS0_14default_configENS1_27scan_by_key_config_selectorIjjEEZZNS1_16scan_by_key_implILNS1_25lookback_scan_determinismE0ELb0ES3_N6thrust23THRUST_200600_302600_NS6detail15normal_iteratorINS9_10device_ptrIjEEEESE_SE_jNS9_4plusIvEENS9_8equal_toIvEEjEE10hipError_tPvRmT2_T3_T4_T5_mT6_T7_P12ihipStream_tbENKUlT_T0_E_clISt17integral_constantIbLb1EESY_IbLb0EEEEDaSU_SV_EUlSU_E_NS1_11comp_targetILNS1_3genE10ELNS1_11target_archE1201ELNS1_3gpuE5ELNS1_3repE0EEENS1_30default_config_static_selectorELNS0_4arch9wavefront6targetE0EEEvT1_.num_agpr, 0
	.set _ZN7rocprim17ROCPRIM_400000_NS6detail17trampoline_kernelINS0_14default_configENS1_27scan_by_key_config_selectorIjjEEZZNS1_16scan_by_key_implILNS1_25lookback_scan_determinismE0ELb0ES3_N6thrust23THRUST_200600_302600_NS6detail15normal_iteratorINS9_10device_ptrIjEEEESE_SE_jNS9_4plusIvEENS9_8equal_toIvEEjEE10hipError_tPvRmT2_T3_T4_T5_mT6_T7_P12ihipStream_tbENKUlT_T0_E_clISt17integral_constantIbLb1EESY_IbLb0EEEEDaSU_SV_EUlSU_E_NS1_11comp_targetILNS1_3genE10ELNS1_11target_archE1201ELNS1_3gpuE5ELNS1_3repE0EEENS1_30default_config_static_selectorELNS0_4arch9wavefront6targetE0EEEvT1_.numbered_sgpr, 0
	.set _ZN7rocprim17ROCPRIM_400000_NS6detail17trampoline_kernelINS0_14default_configENS1_27scan_by_key_config_selectorIjjEEZZNS1_16scan_by_key_implILNS1_25lookback_scan_determinismE0ELb0ES3_N6thrust23THRUST_200600_302600_NS6detail15normal_iteratorINS9_10device_ptrIjEEEESE_SE_jNS9_4plusIvEENS9_8equal_toIvEEjEE10hipError_tPvRmT2_T3_T4_T5_mT6_T7_P12ihipStream_tbENKUlT_T0_E_clISt17integral_constantIbLb1EESY_IbLb0EEEEDaSU_SV_EUlSU_E_NS1_11comp_targetILNS1_3genE10ELNS1_11target_archE1201ELNS1_3gpuE5ELNS1_3repE0EEENS1_30default_config_static_selectorELNS0_4arch9wavefront6targetE0EEEvT1_.num_named_barrier, 0
	.set _ZN7rocprim17ROCPRIM_400000_NS6detail17trampoline_kernelINS0_14default_configENS1_27scan_by_key_config_selectorIjjEEZZNS1_16scan_by_key_implILNS1_25lookback_scan_determinismE0ELb0ES3_N6thrust23THRUST_200600_302600_NS6detail15normal_iteratorINS9_10device_ptrIjEEEESE_SE_jNS9_4plusIvEENS9_8equal_toIvEEjEE10hipError_tPvRmT2_T3_T4_T5_mT6_T7_P12ihipStream_tbENKUlT_T0_E_clISt17integral_constantIbLb1EESY_IbLb0EEEEDaSU_SV_EUlSU_E_NS1_11comp_targetILNS1_3genE10ELNS1_11target_archE1201ELNS1_3gpuE5ELNS1_3repE0EEENS1_30default_config_static_selectorELNS0_4arch9wavefront6targetE0EEEvT1_.private_seg_size, 0
	.set _ZN7rocprim17ROCPRIM_400000_NS6detail17trampoline_kernelINS0_14default_configENS1_27scan_by_key_config_selectorIjjEEZZNS1_16scan_by_key_implILNS1_25lookback_scan_determinismE0ELb0ES3_N6thrust23THRUST_200600_302600_NS6detail15normal_iteratorINS9_10device_ptrIjEEEESE_SE_jNS9_4plusIvEENS9_8equal_toIvEEjEE10hipError_tPvRmT2_T3_T4_T5_mT6_T7_P12ihipStream_tbENKUlT_T0_E_clISt17integral_constantIbLb1EESY_IbLb0EEEEDaSU_SV_EUlSU_E_NS1_11comp_targetILNS1_3genE10ELNS1_11target_archE1201ELNS1_3gpuE5ELNS1_3repE0EEENS1_30default_config_static_selectorELNS0_4arch9wavefront6targetE0EEEvT1_.uses_vcc, 0
	.set _ZN7rocprim17ROCPRIM_400000_NS6detail17trampoline_kernelINS0_14default_configENS1_27scan_by_key_config_selectorIjjEEZZNS1_16scan_by_key_implILNS1_25lookback_scan_determinismE0ELb0ES3_N6thrust23THRUST_200600_302600_NS6detail15normal_iteratorINS9_10device_ptrIjEEEESE_SE_jNS9_4plusIvEENS9_8equal_toIvEEjEE10hipError_tPvRmT2_T3_T4_T5_mT6_T7_P12ihipStream_tbENKUlT_T0_E_clISt17integral_constantIbLb1EESY_IbLb0EEEEDaSU_SV_EUlSU_E_NS1_11comp_targetILNS1_3genE10ELNS1_11target_archE1201ELNS1_3gpuE5ELNS1_3repE0EEENS1_30default_config_static_selectorELNS0_4arch9wavefront6targetE0EEEvT1_.uses_flat_scratch, 0
	.set _ZN7rocprim17ROCPRIM_400000_NS6detail17trampoline_kernelINS0_14default_configENS1_27scan_by_key_config_selectorIjjEEZZNS1_16scan_by_key_implILNS1_25lookback_scan_determinismE0ELb0ES3_N6thrust23THRUST_200600_302600_NS6detail15normal_iteratorINS9_10device_ptrIjEEEESE_SE_jNS9_4plusIvEENS9_8equal_toIvEEjEE10hipError_tPvRmT2_T3_T4_T5_mT6_T7_P12ihipStream_tbENKUlT_T0_E_clISt17integral_constantIbLb1EESY_IbLb0EEEEDaSU_SV_EUlSU_E_NS1_11comp_targetILNS1_3genE10ELNS1_11target_archE1201ELNS1_3gpuE5ELNS1_3repE0EEENS1_30default_config_static_selectorELNS0_4arch9wavefront6targetE0EEEvT1_.has_dyn_sized_stack, 0
	.set _ZN7rocprim17ROCPRIM_400000_NS6detail17trampoline_kernelINS0_14default_configENS1_27scan_by_key_config_selectorIjjEEZZNS1_16scan_by_key_implILNS1_25lookback_scan_determinismE0ELb0ES3_N6thrust23THRUST_200600_302600_NS6detail15normal_iteratorINS9_10device_ptrIjEEEESE_SE_jNS9_4plusIvEENS9_8equal_toIvEEjEE10hipError_tPvRmT2_T3_T4_T5_mT6_T7_P12ihipStream_tbENKUlT_T0_E_clISt17integral_constantIbLb1EESY_IbLb0EEEEDaSU_SV_EUlSU_E_NS1_11comp_targetILNS1_3genE10ELNS1_11target_archE1201ELNS1_3gpuE5ELNS1_3repE0EEENS1_30default_config_static_selectorELNS0_4arch9wavefront6targetE0EEEvT1_.has_recursion, 0
	.set _ZN7rocprim17ROCPRIM_400000_NS6detail17trampoline_kernelINS0_14default_configENS1_27scan_by_key_config_selectorIjjEEZZNS1_16scan_by_key_implILNS1_25lookback_scan_determinismE0ELb0ES3_N6thrust23THRUST_200600_302600_NS6detail15normal_iteratorINS9_10device_ptrIjEEEESE_SE_jNS9_4plusIvEENS9_8equal_toIvEEjEE10hipError_tPvRmT2_T3_T4_T5_mT6_T7_P12ihipStream_tbENKUlT_T0_E_clISt17integral_constantIbLb1EESY_IbLb0EEEEDaSU_SV_EUlSU_E_NS1_11comp_targetILNS1_3genE10ELNS1_11target_archE1201ELNS1_3gpuE5ELNS1_3repE0EEENS1_30default_config_static_selectorELNS0_4arch9wavefront6targetE0EEEvT1_.has_indirect_call, 0
	.section	.AMDGPU.csdata,"",@progbits
; Kernel info:
; codeLenInByte = 0
; TotalNumSgprs: 0
; NumVgprs: 0
; ScratchSize: 0
; MemoryBound: 0
; FloatMode: 240
; IeeeMode: 1
; LDSByteSize: 0 bytes/workgroup (compile time only)
; SGPRBlocks: 0
; VGPRBlocks: 0
; NumSGPRsForWavesPerEU: 1
; NumVGPRsForWavesPerEU: 1
; NamedBarCnt: 0
; Occupancy: 16
; WaveLimiterHint : 0
; COMPUTE_PGM_RSRC2:SCRATCH_EN: 0
; COMPUTE_PGM_RSRC2:USER_SGPR: 2
; COMPUTE_PGM_RSRC2:TRAP_HANDLER: 0
; COMPUTE_PGM_RSRC2:TGID_X_EN: 1
; COMPUTE_PGM_RSRC2:TGID_Y_EN: 0
; COMPUTE_PGM_RSRC2:TGID_Z_EN: 0
; COMPUTE_PGM_RSRC2:TIDIG_COMP_CNT: 0
	.section	.text._ZN7rocprim17ROCPRIM_400000_NS6detail17trampoline_kernelINS0_14default_configENS1_27scan_by_key_config_selectorIjjEEZZNS1_16scan_by_key_implILNS1_25lookback_scan_determinismE0ELb0ES3_N6thrust23THRUST_200600_302600_NS6detail15normal_iteratorINS9_10device_ptrIjEEEESE_SE_jNS9_4plusIvEENS9_8equal_toIvEEjEE10hipError_tPvRmT2_T3_T4_T5_mT6_T7_P12ihipStream_tbENKUlT_T0_E_clISt17integral_constantIbLb1EESY_IbLb0EEEEDaSU_SV_EUlSU_E_NS1_11comp_targetILNS1_3genE5ELNS1_11target_archE942ELNS1_3gpuE9ELNS1_3repE0EEENS1_30default_config_static_selectorELNS0_4arch9wavefront6targetE0EEEvT1_,"axG",@progbits,_ZN7rocprim17ROCPRIM_400000_NS6detail17trampoline_kernelINS0_14default_configENS1_27scan_by_key_config_selectorIjjEEZZNS1_16scan_by_key_implILNS1_25lookback_scan_determinismE0ELb0ES3_N6thrust23THRUST_200600_302600_NS6detail15normal_iteratorINS9_10device_ptrIjEEEESE_SE_jNS9_4plusIvEENS9_8equal_toIvEEjEE10hipError_tPvRmT2_T3_T4_T5_mT6_T7_P12ihipStream_tbENKUlT_T0_E_clISt17integral_constantIbLb1EESY_IbLb0EEEEDaSU_SV_EUlSU_E_NS1_11comp_targetILNS1_3genE5ELNS1_11target_archE942ELNS1_3gpuE9ELNS1_3repE0EEENS1_30default_config_static_selectorELNS0_4arch9wavefront6targetE0EEEvT1_,comdat
	.protected	_ZN7rocprim17ROCPRIM_400000_NS6detail17trampoline_kernelINS0_14default_configENS1_27scan_by_key_config_selectorIjjEEZZNS1_16scan_by_key_implILNS1_25lookback_scan_determinismE0ELb0ES3_N6thrust23THRUST_200600_302600_NS6detail15normal_iteratorINS9_10device_ptrIjEEEESE_SE_jNS9_4plusIvEENS9_8equal_toIvEEjEE10hipError_tPvRmT2_T3_T4_T5_mT6_T7_P12ihipStream_tbENKUlT_T0_E_clISt17integral_constantIbLb1EESY_IbLb0EEEEDaSU_SV_EUlSU_E_NS1_11comp_targetILNS1_3genE5ELNS1_11target_archE942ELNS1_3gpuE9ELNS1_3repE0EEENS1_30default_config_static_selectorELNS0_4arch9wavefront6targetE0EEEvT1_ ; -- Begin function _ZN7rocprim17ROCPRIM_400000_NS6detail17trampoline_kernelINS0_14default_configENS1_27scan_by_key_config_selectorIjjEEZZNS1_16scan_by_key_implILNS1_25lookback_scan_determinismE0ELb0ES3_N6thrust23THRUST_200600_302600_NS6detail15normal_iteratorINS9_10device_ptrIjEEEESE_SE_jNS9_4plusIvEENS9_8equal_toIvEEjEE10hipError_tPvRmT2_T3_T4_T5_mT6_T7_P12ihipStream_tbENKUlT_T0_E_clISt17integral_constantIbLb1EESY_IbLb0EEEEDaSU_SV_EUlSU_E_NS1_11comp_targetILNS1_3genE5ELNS1_11target_archE942ELNS1_3gpuE9ELNS1_3repE0EEENS1_30default_config_static_selectorELNS0_4arch9wavefront6targetE0EEEvT1_
	.globl	_ZN7rocprim17ROCPRIM_400000_NS6detail17trampoline_kernelINS0_14default_configENS1_27scan_by_key_config_selectorIjjEEZZNS1_16scan_by_key_implILNS1_25lookback_scan_determinismE0ELb0ES3_N6thrust23THRUST_200600_302600_NS6detail15normal_iteratorINS9_10device_ptrIjEEEESE_SE_jNS9_4plusIvEENS9_8equal_toIvEEjEE10hipError_tPvRmT2_T3_T4_T5_mT6_T7_P12ihipStream_tbENKUlT_T0_E_clISt17integral_constantIbLb1EESY_IbLb0EEEEDaSU_SV_EUlSU_E_NS1_11comp_targetILNS1_3genE5ELNS1_11target_archE942ELNS1_3gpuE9ELNS1_3repE0EEENS1_30default_config_static_selectorELNS0_4arch9wavefront6targetE0EEEvT1_
	.p2align	8
	.type	_ZN7rocprim17ROCPRIM_400000_NS6detail17trampoline_kernelINS0_14default_configENS1_27scan_by_key_config_selectorIjjEEZZNS1_16scan_by_key_implILNS1_25lookback_scan_determinismE0ELb0ES3_N6thrust23THRUST_200600_302600_NS6detail15normal_iteratorINS9_10device_ptrIjEEEESE_SE_jNS9_4plusIvEENS9_8equal_toIvEEjEE10hipError_tPvRmT2_T3_T4_T5_mT6_T7_P12ihipStream_tbENKUlT_T0_E_clISt17integral_constantIbLb1EESY_IbLb0EEEEDaSU_SV_EUlSU_E_NS1_11comp_targetILNS1_3genE5ELNS1_11target_archE942ELNS1_3gpuE9ELNS1_3repE0EEENS1_30default_config_static_selectorELNS0_4arch9wavefront6targetE0EEEvT1_,@function
_ZN7rocprim17ROCPRIM_400000_NS6detail17trampoline_kernelINS0_14default_configENS1_27scan_by_key_config_selectorIjjEEZZNS1_16scan_by_key_implILNS1_25lookback_scan_determinismE0ELb0ES3_N6thrust23THRUST_200600_302600_NS6detail15normal_iteratorINS9_10device_ptrIjEEEESE_SE_jNS9_4plusIvEENS9_8equal_toIvEEjEE10hipError_tPvRmT2_T3_T4_T5_mT6_T7_P12ihipStream_tbENKUlT_T0_E_clISt17integral_constantIbLb1EESY_IbLb0EEEEDaSU_SV_EUlSU_E_NS1_11comp_targetILNS1_3genE5ELNS1_11target_archE942ELNS1_3gpuE9ELNS1_3repE0EEENS1_30default_config_static_selectorELNS0_4arch9wavefront6targetE0EEEvT1_: ; @_ZN7rocprim17ROCPRIM_400000_NS6detail17trampoline_kernelINS0_14default_configENS1_27scan_by_key_config_selectorIjjEEZZNS1_16scan_by_key_implILNS1_25lookback_scan_determinismE0ELb0ES3_N6thrust23THRUST_200600_302600_NS6detail15normal_iteratorINS9_10device_ptrIjEEEESE_SE_jNS9_4plusIvEENS9_8equal_toIvEEjEE10hipError_tPvRmT2_T3_T4_T5_mT6_T7_P12ihipStream_tbENKUlT_T0_E_clISt17integral_constantIbLb1EESY_IbLb0EEEEDaSU_SV_EUlSU_E_NS1_11comp_targetILNS1_3genE5ELNS1_11target_archE942ELNS1_3gpuE9ELNS1_3repE0EEENS1_30default_config_static_selectorELNS0_4arch9wavefront6targetE0EEEvT1_
; %bb.0:
	.section	.rodata,"a",@progbits
	.p2align	6, 0x0
	.amdhsa_kernel _ZN7rocprim17ROCPRIM_400000_NS6detail17trampoline_kernelINS0_14default_configENS1_27scan_by_key_config_selectorIjjEEZZNS1_16scan_by_key_implILNS1_25lookback_scan_determinismE0ELb0ES3_N6thrust23THRUST_200600_302600_NS6detail15normal_iteratorINS9_10device_ptrIjEEEESE_SE_jNS9_4plusIvEENS9_8equal_toIvEEjEE10hipError_tPvRmT2_T3_T4_T5_mT6_T7_P12ihipStream_tbENKUlT_T0_E_clISt17integral_constantIbLb1EESY_IbLb0EEEEDaSU_SV_EUlSU_E_NS1_11comp_targetILNS1_3genE5ELNS1_11target_archE942ELNS1_3gpuE9ELNS1_3repE0EEENS1_30default_config_static_selectorELNS0_4arch9wavefront6targetE0EEEvT1_
		.amdhsa_group_segment_fixed_size 0
		.amdhsa_private_segment_fixed_size 0
		.amdhsa_kernarg_size 112
		.amdhsa_user_sgpr_count 2
		.amdhsa_user_sgpr_dispatch_ptr 0
		.amdhsa_user_sgpr_queue_ptr 0
		.amdhsa_user_sgpr_kernarg_segment_ptr 1
		.amdhsa_user_sgpr_dispatch_id 0
		.amdhsa_user_sgpr_kernarg_preload_length 0
		.amdhsa_user_sgpr_kernarg_preload_offset 0
		.amdhsa_user_sgpr_private_segment_size 0
		.amdhsa_wavefront_size32 1
		.amdhsa_uses_dynamic_stack 0
		.amdhsa_enable_private_segment 0
		.amdhsa_system_sgpr_workgroup_id_x 1
		.amdhsa_system_sgpr_workgroup_id_y 0
		.amdhsa_system_sgpr_workgroup_id_z 0
		.amdhsa_system_sgpr_workgroup_info 0
		.amdhsa_system_vgpr_workitem_id 0
		.amdhsa_next_free_vgpr 1
		.amdhsa_next_free_sgpr 1
		.amdhsa_named_barrier_count 0
		.amdhsa_reserve_vcc 0
		.amdhsa_float_round_mode_32 0
		.amdhsa_float_round_mode_16_64 0
		.amdhsa_float_denorm_mode_32 3
		.amdhsa_float_denorm_mode_16_64 3
		.amdhsa_fp16_overflow 0
		.amdhsa_memory_ordered 1
		.amdhsa_forward_progress 1
		.amdhsa_inst_pref_size 0
		.amdhsa_round_robin_scheduling 0
		.amdhsa_exception_fp_ieee_invalid_op 0
		.amdhsa_exception_fp_denorm_src 0
		.amdhsa_exception_fp_ieee_div_zero 0
		.amdhsa_exception_fp_ieee_overflow 0
		.amdhsa_exception_fp_ieee_underflow 0
		.amdhsa_exception_fp_ieee_inexact 0
		.amdhsa_exception_int_div_zero 0
	.end_amdhsa_kernel
	.section	.text._ZN7rocprim17ROCPRIM_400000_NS6detail17trampoline_kernelINS0_14default_configENS1_27scan_by_key_config_selectorIjjEEZZNS1_16scan_by_key_implILNS1_25lookback_scan_determinismE0ELb0ES3_N6thrust23THRUST_200600_302600_NS6detail15normal_iteratorINS9_10device_ptrIjEEEESE_SE_jNS9_4plusIvEENS9_8equal_toIvEEjEE10hipError_tPvRmT2_T3_T4_T5_mT6_T7_P12ihipStream_tbENKUlT_T0_E_clISt17integral_constantIbLb1EESY_IbLb0EEEEDaSU_SV_EUlSU_E_NS1_11comp_targetILNS1_3genE5ELNS1_11target_archE942ELNS1_3gpuE9ELNS1_3repE0EEENS1_30default_config_static_selectorELNS0_4arch9wavefront6targetE0EEEvT1_,"axG",@progbits,_ZN7rocprim17ROCPRIM_400000_NS6detail17trampoline_kernelINS0_14default_configENS1_27scan_by_key_config_selectorIjjEEZZNS1_16scan_by_key_implILNS1_25lookback_scan_determinismE0ELb0ES3_N6thrust23THRUST_200600_302600_NS6detail15normal_iteratorINS9_10device_ptrIjEEEESE_SE_jNS9_4plusIvEENS9_8equal_toIvEEjEE10hipError_tPvRmT2_T3_T4_T5_mT6_T7_P12ihipStream_tbENKUlT_T0_E_clISt17integral_constantIbLb1EESY_IbLb0EEEEDaSU_SV_EUlSU_E_NS1_11comp_targetILNS1_3genE5ELNS1_11target_archE942ELNS1_3gpuE9ELNS1_3repE0EEENS1_30default_config_static_selectorELNS0_4arch9wavefront6targetE0EEEvT1_,comdat
.Lfunc_end1848:
	.size	_ZN7rocprim17ROCPRIM_400000_NS6detail17trampoline_kernelINS0_14default_configENS1_27scan_by_key_config_selectorIjjEEZZNS1_16scan_by_key_implILNS1_25lookback_scan_determinismE0ELb0ES3_N6thrust23THRUST_200600_302600_NS6detail15normal_iteratorINS9_10device_ptrIjEEEESE_SE_jNS9_4plusIvEENS9_8equal_toIvEEjEE10hipError_tPvRmT2_T3_T4_T5_mT6_T7_P12ihipStream_tbENKUlT_T0_E_clISt17integral_constantIbLb1EESY_IbLb0EEEEDaSU_SV_EUlSU_E_NS1_11comp_targetILNS1_3genE5ELNS1_11target_archE942ELNS1_3gpuE9ELNS1_3repE0EEENS1_30default_config_static_selectorELNS0_4arch9wavefront6targetE0EEEvT1_, .Lfunc_end1848-_ZN7rocprim17ROCPRIM_400000_NS6detail17trampoline_kernelINS0_14default_configENS1_27scan_by_key_config_selectorIjjEEZZNS1_16scan_by_key_implILNS1_25lookback_scan_determinismE0ELb0ES3_N6thrust23THRUST_200600_302600_NS6detail15normal_iteratorINS9_10device_ptrIjEEEESE_SE_jNS9_4plusIvEENS9_8equal_toIvEEjEE10hipError_tPvRmT2_T3_T4_T5_mT6_T7_P12ihipStream_tbENKUlT_T0_E_clISt17integral_constantIbLb1EESY_IbLb0EEEEDaSU_SV_EUlSU_E_NS1_11comp_targetILNS1_3genE5ELNS1_11target_archE942ELNS1_3gpuE9ELNS1_3repE0EEENS1_30default_config_static_selectorELNS0_4arch9wavefront6targetE0EEEvT1_
                                        ; -- End function
	.set _ZN7rocprim17ROCPRIM_400000_NS6detail17trampoline_kernelINS0_14default_configENS1_27scan_by_key_config_selectorIjjEEZZNS1_16scan_by_key_implILNS1_25lookback_scan_determinismE0ELb0ES3_N6thrust23THRUST_200600_302600_NS6detail15normal_iteratorINS9_10device_ptrIjEEEESE_SE_jNS9_4plusIvEENS9_8equal_toIvEEjEE10hipError_tPvRmT2_T3_T4_T5_mT6_T7_P12ihipStream_tbENKUlT_T0_E_clISt17integral_constantIbLb1EESY_IbLb0EEEEDaSU_SV_EUlSU_E_NS1_11comp_targetILNS1_3genE5ELNS1_11target_archE942ELNS1_3gpuE9ELNS1_3repE0EEENS1_30default_config_static_selectorELNS0_4arch9wavefront6targetE0EEEvT1_.num_vgpr, 0
	.set _ZN7rocprim17ROCPRIM_400000_NS6detail17trampoline_kernelINS0_14default_configENS1_27scan_by_key_config_selectorIjjEEZZNS1_16scan_by_key_implILNS1_25lookback_scan_determinismE0ELb0ES3_N6thrust23THRUST_200600_302600_NS6detail15normal_iteratorINS9_10device_ptrIjEEEESE_SE_jNS9_4plusIvEENS9_8equal_toIvEEjEE10hipError_tPvRmT2_T3_T4_T5_mT6_T7_P12ihipStream_tbENKUlT_T0_E_clISt17integral_constantIbLb1EESY_IbLb0EEEEDaSU_SV_EUlSU_E_NS1_11comp_targetILNS1_3genE5ELNS1_11target_archE942ELNS1_3gpuE9ELNS1_3repE0EEENS1_30default_config_static_selectorELNS0_4arch9wavefront6targetE0EEEvT1_.num_agpr, 0
	.set _ZN7rocprim17ROCPRIM_400000_NS6detail17trampoline_kernelINS0_14default_configENS1_27scan_by_key_config_selectorIjjEEZZNS1_16scan_by_key_implILNS1_25lookback_scan_determinismE0ELb0ES3_N6thrust23THRUST_200600_302600_NS6detail15normal_iteratorINS9_10device_ptrIjEEEESE_SE_jNS9_4plusIvEENS9_8equal_toIvEEjEE10hipError_tPvRmT2_T3_T4_T5_mT6_T7_P12ihipStream_tbENKUlT_T0_E_clISt17integral_constantIbLb1EESY_IbLb0EEEEDaSU_SV_EUlSU_E_NS1_11comp_targetILNS1_3genE5ELNS1_11target_archE942ELNS1_3gpuE9ELNS1_3repE0EEENS1_30default_config_static_selectorELNS0_4arch9wavefront6targetE0EEEvT1_.numbered_sgpr, 0
	.set _ZN7rocprim17ROCPRIM_400000_NS6detail17trampoline_kernelINS0_14default_configENS1_27scan_by_key_config_selectorIjjEEZZNS1_16scan_by_key_implILNS1_25lookback_scan_determinismE0ELb0ES3_N6thrust23THRUST_200600_302600_NS6detail15normal_iteratorINS9_10device_ptrIjEEEESE_SE_jNS9_4plusIvEENS9_8equal_toIvEEjEE10hipError_tPvRmT2_T3_T4_T5_mT6_T7_P12ihipStream_tbENKUlT_T0_E_clISt17integral_constantIbLb1EESY_IbLb0EEEEDaSU_SV_EUlSU_E_NS1_11comp_targetILNS1_3genE5ELNS1_11target_archE942ELNS1_3gpuE9ELNS1_3repE0EEENS1_30default_config_static_selectorELNS0_4arch9wavefront6targetE0EEEvT1_.num_named_barrier, 0
	.set _ZN7rocprim17ROCPRIM_400000_NS6detail17trampoline_kernelINS0_14default_configENS1_27scan_by_key_config_selectorIjjEEZZNS1_16scan_by_key_implILNS1_25lookback_scan_determinismE0ELb0ES3_N6thrust23THRUST_200600_302600_NS6detail15normal_iteratorINS9_10device_ptrIjEEEESE_SE_jNS9_4plusIvEENS9_8equal_toIvEEjEE10hipError_tPvRmT2_T3_T4_T5_mT6_T7_P12ihipStream_tbENKUlT_T0_E_clISt17integral_constantIbLb1EESY_IbLb0EEEEDaSU_SV_EUlSU_E_NS1_11comp_targetILNS1_3genE5ELNS1_11target_archE942ELNS1_3gpuE9ELNS1_3repE0EEENS1_30default_config_static_selectorELNS0_4arch9wavefront6targetE0EEEvT1_.private_seg_size, 0
	.set _ZN7rocprim17ROCPRIM_400000_NS6detail17trampoline_kernelINS0_14default_configENS1_27scan_by_key_config_selectorIjjEEZZNS1_16scan_by_key_implILNS1_25lookback_scan_determinismE0ELb0ES3_N6thrust23THRUST_200600_302600_NS6detail15normal_iteratorINS9_10device_ptrIjEEEESE_SE_jNS9_4plusIvEENS9_8equal_toIvEEjEE10hipError_tPvRmT2_T3_T4_T5_mT6_T7_P12ihipStream_tbENKUlT_T0_E_clISt17integral_constantIbLb1EESY_IbLb0EEEEDaSU_SV_EUlSU_E_NS1_11comp_targetILNS1_3genE5ELNS1_11target_archE942ELNS1_3gpuE9ELNS1_3repE0EEENS1_30default_config_static_selectorELNS0_4arch9wavefront6targetE0EEEvT1_.uses_vcc, 0
	.set _ZN7rocprim17ROCPRIM_400000_NS6detail17trampoline_kernelINS0_14default_configENS1_27scan_by_key_config_selectorIjjEEZZNS1_16scan_by_key_implILNS1_25lookback_scan_determinismE0ELb0ES3_N6thrust23THRUST_200600_302600_NS6detail15normal_iteratorINS9_10device_ptrIjEEEESE_SE_jNS9_4plusIvEENS9_8equal_toIvEEjEE10hipError_tPvRmT2_T3_T4_T5_mT6_T7_P12ihipStream_tbENKUlT_T0_E_clISt17integral_constantIbLb1EESY_IbLb0EEEEDaSU_SV_EUlSU_E_NS1_11comp_targetILNS1_3genE5ELNS1_11target_archE942ELNS1_3gpuE9ELNS1_3repE0EEENS1_30default_config_static_selectorELNS0_4arch9wavefront6targetE0EEEvT1_.uses_flat_scratch, 0
	.set _ZN7rocprim17ROCPRIM_400000_NS6detail17trampoline_kernelINS0_14default_configENS1_27scan_by_key_config_selectorIjjEEZZNS1_16scan_by_key_implILNS1_25lookback_scan_determinismE0ELb0ES3_N6thrust23THRUST_200600_302600_NS6detail15normal_iteratorINS9_10device_ptrIjEEEESE_SE_jNS9_4plusIvEENS9_8equal_toIvEEjEE10hipError_tPvRmT2_T3_T4_T5_mT6_T7_P12ihipStream_tbENKUlT_T0_E_clISt17integral_constantIbLb1EESY_IbLb0EEEEDaSU_SV_EUlSU_E_NS1_11comp_targetILNS1_3genE5ELNS1_11target_archE942ELNS1_3gpuE9ELNS1_3repE0EEENS1_30default_config_static_selectorELNS0_4arch9wavefront6targetE0EEEvT1_.has_dyn_sized_stack, 0
	.set _ZN7rocprim17ROCPRIM_400000_NS6detail17trampoline_kernelINS0_14default_configENS1_27scan_by_key_config_selectorIjjEEZZNS1_16scan_by_key_implILNS1_25lookback_scan_determinismE0ELb0ES3_N6thrust23THRUST_200600_302600_NS6detail15normal_iteratorINS9_10device_ptrIjEEEESE_SE_jNS9_4plusIvEENS9_8equal_toIvEEjEE10hipError_tPvRmT2_T3_T4_T5_mT6_T7_P12ihipStream_tbENKUlT_T0_E_clISt17integral_constantIbLb1EESY_IbLb0EEEEDaSU_SV_EUlSU_E_NS1_11comp_targetILNS1_3genE5ELNS1_11target_archE942ELNS1_3gpuE9ELNS1_3repE0EEENS1_30default_config_static_selectorELNS0_4arch9wavefront6targetE0EEEvT1_.has_recursion, 0
	.set _ZN7rocprim17ROCPRIM_400000_NS6detail17trampoline_kernelINS0_14default_configENS1_27scan_by_key_config_selectorIjjEEZZNS1_16scan_by_key_implILNS1_25lookback_scan_determinismE0ELb0ES3_N6thrust23THRUST_200600_302600_NS6detail15normal_iteratorINS9_10device_ptrIjEEEESE_SE_jNS9_4plusIvEENS9_8equal_toIvEEjEE10hipError_tPvRmT2_T3_T4_T5_mT6_T7_P12ihipStream_tbENKUlT_T0_E_clISt17integral_constantIbLb1EESY_IbLb0EEEEDaSU_SV_EUlSU_E_NS1_11comp_targetILNS1_3genE5ELNS1_11target_archE942ELNS1_3gpuE9ELNS1_3repE0EEENS1_30default_config_static_selectorELNS0_4arch9wavefront6targetE0EEEvT1_.has_indirect_call, 0
	.section	.AMDGPU.csdata,"",@progbits
; Kernel info:
; codeLenInByte = 0
; TotalNumSgprs: 0
; NumVgprs: 0
; ScratchSize: 0
; MemoryBound: 0
; FloatMode: 240
; IeeeMode: 1
; LDSByteSize: 0 bytes/workgroup (compile time only)
; SGPRBlocks: 0
; VGPRBlocks: 0
; NumSGPRsForWavesPerEU: 1
; NumVGPRsForWavesPerEU: 1
; NamedBarCnt: 0
; Occupancy: 16
; WaveLimiterHint : 0
; COMPUTE_PGM_RSRC2:SCRATCH_EN: 0
; COMPUTE_PGM_RSRC2:USER_SGPR: 2
; COMPUTE_PGM_RSRC2:TRAP_HANDLER: 0
; COMPUTE_PGM_RSRC2:TGID_X_EN: 1
; COMPUTE_PGM_RSRC2:TGID_Y_EN: 0
; COMPUTE_PGM_RSRC2:TGID_Z_EN: 0
; COMPUTE_PGM_RSRC2:TIDIG_COMP_CNT: 0
	.section	.text._ZN7rocprim17ROCPRIM_400000_NS6detail17trampoline_kernelINS0_14default_configENS1_27scan_by_key_config_selectorIjjEEZZNS1_16scan_by_key_implILNS1_25lookback_scan_determinismE0ELb0ES3_N6thrust23THRUST_200600_302600_NS6detail15normal_iteratorINS9_10device_ptrIjEEEESE_SE_jNS9_4plusIvEENS9_8equal_toIvEEjEE10hipError_tPvRmT2_T3_T4_T5_mT6_T7_P12ihipStream_tbENKUlT_T0_E_clISt17integral_constantIbLb1EESY_IbLb0EEEEDaSU_SV_EUlSU_E_NS1_11comp_targetILNS1_3genE4ELNS1_11target_archE910ELNS1_3gpuE8ELNS1_3repE0EEENS1_30default_config_static_selectorELNS0_4arch9wavefront6targetE0EEEvT1_,"axG",@progbits,_ZN7rocprim17ROCPRIM_400000_NS6detail17trampoline_kernelINS0_14default_configENS1_27scan_by_key_config_selectorIjjEEZZNS1_16scan_by_key_implILNS1_25lookback_scan_determinismE0ELb0ES3_N6thrust23THRUST_200600_302600_NS6detail15normal_iteratorINS9_10device_ptrIjEEEESE_SE_jNS9_4plusIvEENS9_8equal_toIvEEjEE10hipError_tPvRmT2_T3_T4_T5_mT6_T7_P12ihipStream_tbENKUlT_T0_E_clISt17integral_constantIbLb1EESY_IbLb0EEEEDaSU_SV_EUlSU_E_NS1_11comp_targetILNS1_3genE4ELNS1_11target_archE910ELNS1_3gpuE8ELNS1_3repE0EEENS1_30default_config_static_selectorELNS0_4arch9wavefront6targetE0EEEvT1_,comdat
	.protected	_ZN7rocprim17ROCPRIM_400000_NS6detail17trampoline_kernelINS0_14default_configENS1_27scan_by_key_config_selectorIjjEEZZNS1_16scan_by_key_implILNS1_25lookback_scan_determinismE0ELb0ES3_N6thrust23THRUST_200600_302600_NS6detail15normal_iteratorINS9_10device_ptrIjEEEESE_SE_jNS9_4plusIvEENS9_8equal_toIvEEjEE10hipError_tPvRmT2_T3_T4_T5_mT6_T7_P12ihipStream_tbENKUlT_T0_E_clISt17integral_constantIbLb1EESY_IbLb0EEEEDaSU_SV_EUlSU_E_NS1_11comp_targetILNS1_3genE4ELNS1_11target_archE910ELNS1_3gpuE8ELNS1_3repE0EEENS1_30default_config_static_selectorELNS0_4arch9wavefront6targetE0EEEvT1_ ; -- Begin function _ZN7rocprim17ROCPRIM_400000_NS6detail17trampoline_kernelINS0_14default_configENS1_27scan_by_key_config_selectorIjjEEZZNS1_16scan_by_key_implILNS1_25lookback_scan_determinismE0ELb0ES3_N6thrust23THRUST_200600_302600_NS6detail15normal_iteratorINS9_10device_ptrIjEEEESE_SE_jNS9_4plusIvEENS9_8equal_toIvEEjEE10hipError_tPvRmT2_T3_T4_T5_mT6_T7_P12ihipStream_tbENKUlT_T0_E_clISt17integral_constantIbLb1EESY_IbLb0EEEEDaSU_SV_EUlSU_E_NS1_11comp_targetILNS1_3genE4ELNS1_11target_archE910ELNS1_3gpuE8ELNS1_3repE0EEENS1_30default_config_static_selectorELNS0_4arch9wavefront6targetE0EEEvT1_
	.globl	_ZN7rocprim17ROCPRIM_400000_NS6detail17trampoline_kernelINS0_14default_configENS1_27scan_by_key_config_selectorIjjEEZZNS1_16scan_by_key_implILNS1_25lookback_scan_determinismE0ELb0ES3_N6thrust23THRUST_200600_302600_NS6detail15normal_iteratorINS9_10device_ptrIjEEEESE_SE_jNS9_4plusIvEENS9_8equal_toIvEEjEE10hipError_tPvRmT2_T3_T4_T5_mT6_T7_P12ihipStream_tbENKUlT_T0_E_clISt17integral_constantIbLb1EESY_IbLb0EEEEDaSU_SV_EUlSU_E_NS1_11comp_targetILNS1_3genE4ELNS1_11target_archE910ELNS1_3gpuE8ELNS1_3repE0EEENS1_30default_config_static_selectorELNS0_4arch9wavefront6targetE0EEEvT1_
	.p2align	8
	.type	_ZN7rocprim17ROCPRIM_400000_NS6detail17trampoline_kernelINS0_14default_configENS1_27scan_by_key_config_selectorIjjEEZZNS1_16scan_by_key_implILNS1_25lookback_scan_determinismE0ELb0ES3_N6thrust23THRUST_200600_302600_NS6detail15normal_iteratorINS9_10device_ptrIjEEEESE_SE_jNS9_4plusIvEENS9_8equal_toIvEEjEE10hipError_tPvRmT2_T3_T4_T5_mT6_T7_P12ihipStream_tbENKUlT_T0_E_clISt17integral_constantIbLb1EESY_IbLb0EEEEDaSU_SV_EUlSU_E_NS1_11comp_targetILNS1_3genE4ELNS1_11target_archE910ELNS1_3gpuE8ELNS1_3repE0EEENS1_30default_config_static_selectorELNS0_4arch9wavefront6targetE0EEEvT1_,@function
_ZN7rocprim17ROCPRIM_400000_NS6detail17trampoline_kernelINS0_14default_configENS1_27scan_by_key_config_selectorIjjEEZZNS1_16scan_by_key_implILNS1_25lookback_scan_determinismE0ELb0ES3_N6thrust23THRUST_200600_302600_NS6detail15normal_iteratorINS9_10device_ptrIjEEEESE_SE_jNS9_4plusIvEENS9_8equal_toIvEEjEE10hipError_tPvRmT2_T3_T4_T5_mT6_T7_P12ihipStream_tbENKUlT_T0_E_clISt17integral_constantIbLb1EESY_IbLb0EEEEDaSU_SV_EUlSU_E_NS1_11comp_targetILNS1_3genE4ELNS1_11target_archE910ELNS1_3gpuE8ELNS1_3repE0EEENS1_30default_config_static_selectorELNS0_4arch9wavefront6targetE0EEEvT1_: ; @_ZN7rocprim17ROCPRIM_400000_NS6detail17trampoline_kernelINS0_14default_configENS1_27scan_by_key_config_selectorIjjEEZZNS1_16scan_by_key_implILNS1_25lookback_scan_determinismE0ELb0ES3_N6thrust23THRUST_200600_302600_NS6detail15normal_iteratorINS9_10device_ptrIjEEEESE_SE_jNS9_4plusIvEENS9_8equal_toIvEEjEE10hipError_tPvRmT2_T3_T4_T5_mT6_T7_P12ihipStream_tbENKUlT_T0_E_clISt17integral_constantIbLb1EESY_IbLb0EEEEDaSU_SV_EUlSU_E_NS1_11comp_targetILNS1_3genE4ELNS1_11target_archE910ELNS1_3gpuE8ELNS1_3repE0EEENS1_30default_config_static_selectorELNS0_4arch9wavefront6targetE0EEEvT1_
; %bb.0:
	.section	.rodata,"a",@progbits
	.p2align	6, 0x0
	.amdhsa_kernel _ZN7rocprim17ROCPRIM_400000_NS6detail17trampoline_kernelINS0_14default_configENS1_27scan_by_key_config_selectorIjjEEZZNS1_16scan_by_key_implILNS1_25lookback_scan_determinismE0ELb0ES3_N6thrust23THRUST_200600_302600_NS6detail15normal_iteratorINS9_10device_ptrIjEEEESE_SE_jNS9_4plusIvEENS9_8equal_toIvEEjEE10hipError_tPvRmT2_T3_T4_T5_mT6_T7_P12ihipStream_tbENKUlT_T0_E_clISt17integral_constantIbLb1EESY_IbLb0EEEEDaSU_SV_EUlSU_E_NS1_11comp_targetILNS1_3genE4ELNS1_11target_archE910ELNS1_3gpuE8ELNS1_3repE0EEENS1_30default_config_static_selectorELNS0_4arch9wavefront6targetE0EEEvT1_
		.amdhsa_group_segment_fixed_size 0
		.amdhsa_private_segment_fixed_size 0
		.amdhsa_kernarg_size 112
		.amdhsa_user_sgpr_count 2
		.amdhsa_user_sgpr_dispatch_ptr 0
		.amdhsa_user_sgpr_queue_ptr 0
		.amdhsa_user_sgpr_kernarg_segment_ptr 1
		.amdhsa_user_sgpr_dispatch_id 0
		.amdhsa_user_sgpr_kernarg_preload_length 0
		.amdhsa_user_sgpr_kernarg_preload_offset 0
		.amdhsa_user_sgpr_private_segment_size 0
		.amdhsa_wavefront_size32 1
		.amdhsa_uses_dynamic_stack 0
		.amdhsa_enable_private_segment 0
		.amdhsa_system_sgpr_workgroup_id_x 1
		.amdhsa_system_sgpr_workgroup_id_y 0
		.amdhsa_system_sgpr_workgroup_id_z 0
		.amdhsa_system_sgpr_workgroup_info 0
		.amdhsa_system_vgpr_workitem_id 0
		.amdhsa_next_free_vgpr 1
		.amdhsa_next_free_sgpr 1
		.amdhsa_named_barrier_count 0
		.amdhsa_reserve_vcc 0
		.amdhsa_float_round_mode_32 0
		.amdhsa_float_round_mode_16_64 0
		.amdhsa_float_denorm_mode_32 3
		.amdhsa_float_denorm_mode_16_64 3
		.amdhsa_fp16_overflow 0
		.amdhsa_memory_ordered 1
		.amdhsa_forward_progress 1
		.amdhsa_inst_pref_size 0
		.amdhsa_round_robin_scheduling 0
		.amdhsa_exception_fp_ieee_invalid_op 0
		.amdhsa_exception_fp_denorm_src 0
		.amdhsa_exception_fp_ieee_div_zero 0
		.amdhsa_exception_fp_ieee_overflow 0
		.amdhsa_exception_fp_ieee_underflow 0
		.amdhsa_exception_fp_ieee_inexact 0
		.amdhsa_exception_int_div_zero 0
	.end_amdhsa_kernel
	.section	.text._ZN7rocprim17ROCPRIM_400000_NS6detail17trampoline_kernelINS0_14default_configENS1_27scan_by_key_config_selectorIjjEEZZNS1_16scan_by_key_implILNS1_25lookback_scan_determinismE0ELb0ES3_N6thrust23THRUST_200600_302600_NS6detail15normal_iteratorINS9_10device_ptrIjEEEESE_SE_jNS9_4plusIvEENS9_8equal_toIvEEjEE10hipError_tPvRmT2_T3_T4_T5_mT6_T7_P12ihipStream_tbENKUlT_T0_E_clISt17integral_constantIbLb1EESY_IbLb0EEEEDaSU_SV_EUlSU_E_NS1_11comp_targetILNS1_3genE4ELNS1_11target_archE910ELNS1_3gpuE8ELNS1_3repE0EEENS1_30default_config_static_selectorELNS0_4arch9wavefront6targetE0EEEvT1_,"axG",@progbits,_ZN7rocprim17ROCPRIM_400000_NS6detail17trampoline_kernelINS0_14default_configENS1_27scan_by_key_config_selectorIjjEEZZNS1_16scan_by_key_implILNS1_25lookback_scan_determinismE0ELb0ES3_N6thrust23THRUST_200600_302600_NS6detail15normal_iteratorINS9_10device_ptrIjEEEESE_SE_jNS9_4plusIvEENS9_8equal_toIvEEjEE10hipError_tPvRmT2_T3_T4_T5_mT6_T7_P12ihipStream_tbENKUlT_T0_E_clISt17integral_constantIbLb1EESY_IbLb0EEEEDaSU_SV_EUlSU_E_NS1_11comp_targetILNS1_3genE4ELNS1_11target_archE910ELNS1_3gpuE8ELNS1_3repE0EEENS1_30default_config_static_selectorELNS0_4arch9wavefront6targetE0EEEvT1_,comdat
.Lfunc_end1849:
	.size	_ZN7rocprim17ROCPRIM_400000_NS6detail17trampoline_kernelINS0_14default_configENS1_27scan_by_key_config_selectorIjjEEZZNS1_16scan_by_key_implILNS1_25lookback_scan_determinismE0ELb0ES3_N6thrust23THRUST_200600_302600_NS6detail15normal_iteratorINS9_10device_ptrIjEEEESE_SE_jNS9_4plusIvEENS9_8equal_toIvEEjEE10hipError_tPvRmT2_T3_T4_T5_mT6_T7_P12ihipStream_tbENKUlT_T0_E_clISt17integral_constantIbLb1EESY_IbLb0EEEEDaSU_SV_EUlSU_E_NS1_11comp_targetILNS1_3genE4ELNS1_11target_archE910ELNS1_3gpuE8ELNS1_3repE0EEENS1_30default_config_static_selectorELNS0_4arch9wavefront6targetE0EEEvT1_, .Lfunc_end1849-_ZN7rocprim17ROCPRIM_400000_NS6detail17trampoline_kernelINS0_14default_configENS1_27scan_by_key_config_selectorIjjEEZZNS1_16scan_by_key_implILNS1_25lookback_scan_determinismE0ELb0ES3_N6thrust23THRUST_200600_302600_NS6detail15normal_iteratorINS9_10device_ptrIjEEEESE_SE_jNS9_4plusIvEENS9_8equal_toIvEEjEE10hipError_tPvRmT2_T3_T4_T5_mT6_T7_P12ihipStream_tbENKUlT_T0_E_clISt17integral_constantIbLb1EESY_IbLb0EEEEDaSU_SV_EUlSU_E_NS1_11comp_targetILNS1_3genE4ELNS1_11target_archE910ELNS1_3gpuE8ELNS1_3repE0EEENS1_30default_config_static_selectorELNS0_4arch9wavefront6targetE0EEEvT1_
                                        ; -- End function
	.set _ZN7rocprim17ROCPRIM_400000_NS6detail17trampoline_kernelINS0_14default_configENS1_27scan_by_key_config_selectorIjjEEZZNS1_16scan_by_key_implILNS1_25lookback_scan_determinismE0ELb0ES3_N6thrust23THRUST_200600_302600_NS6detail15normal_iteratorINS9_10device_ptrIjEEEESE_SE_jNS9_4plusIvEENS9_8equal_toIvEEjEE10hipError_tPvRmT2_T3_T4_T5_mT6_T7_P12ihipStream_tbENKUlT_T0_E_clISt17integral_constantIbLb1EESY_IbLb0EEEEDaSU_SV_EUlSU_E_NS1_11comp_targetILNS1_3genE4ELNS1_11target_archE910ELNS1_3gpuE8ELNS1_3repE0EEENS1_30default_config_static_selectorELNS0_4arch9wavefront6targetE0EEEvT1_.num_vgpr, 0
	.set _ZN7rocprim17ROCPRIM_400000_NS6detail17trampoline_kernelINS0_14default_configENS1_27scan_by_key_config_selectorIjjEEZZNS1_16scan_by_key_implILNS1_25lookback_scan_determinismE0ELb0ES3_N6thrust23THRUST_200600_302600_NS6detail15normal_iteratorINS9_10device_ptrIjEEEESE_SE_jNS9_4plusIvEENS9_8equal_toIvEEjEE10hipError_tPvRmT2_T3_T4_T5_mT6_T7_P12ihipStream_tbENKUlT_T0_E_clISt17integral_constantIbLb1EESY_IbLb0EEEEDaSU_SV_EUlSU_E_NS1_11comp_targetILNS1_3genE4ELNS1_11target_archE910ELNS1_3gpuE8ELNS1_3repE0EEENS1_30default_config_static_selectorELNS0_4arch9wavefront6targetE0EEEvT1_.num_agpr, 0
	.set _ZN7rocprim17ROCPRIM_400000_NS6detail17trampoline_kernelINS0_14default_configENS1_27scan_by_key_config_selectorIjjEEZZNS1_16scan_by_key_implILNS1_25lookback_scan_determinismE0ELb0ES3_N6thrust23THRUST_200600_302600_NS6detail15normal_iteratorINS9_10device_ptrIjEEEESE_SE_jNS9_4plusIvEENS9_8equal_toIvEEjEE10hipError_tPvRmT2_T3_T4_T5_mT6_T7_P12ihipStream_tbENKUlT_T0_E_clISt17integral_constantIbLb1EESY_IbLb0EEEEDaSU_SV_EUlSU_E_NS1_11comp_targetILNS1_3genE4ELNS1_11target_archE910ELNS1_3gpuE8ELNS1_3repE0EEENS1_30default_config_static_selectorELNS0_4arch9wavefront6targetE0EEEvT1_.numbered_sgpr, 0
	.set _ZN7rocprim17ROCPRIM_400000_NS6detail17trampoline_kernelINS0_14default_configENS1_27scan_by_key_config_selectorIjjEEZZNS1_16scan_by_key_implILNS1_25lookback_scan_determinismE0ELb0ES3_N6thrust23THRUST_200600_302600_NS6detail15normal_iteratorINS9_10device_ptrIjEEEESE_SE_jNS9_4plusIvEENS9_8equal_toIvEEjEE10hipError_tPvRmT2_T3_T4_T5_mT6_T7_P12ihipStream_tbENKUlT_T0_E_clISt17integral_constantIbLb1EESY_IbLb0EEEEDaSU_SV_EUlSU_E_NS1_11comp_targetILNS1_3genE4ELNS1_11target_archE910ELNS1_3gpuE8ELNS1_3repE0EEENS1_30default_config_static_selectorELNS0_4arch9wavefront6targetE0EEEvT1_.num_named_barrier, 0
	.set _ZN7rocprim17ROCPRIM_400000_NS6detail17trampoline_kernelINS0_14default_configENS1_27scan_by_key_config_selectorIjjEEZZNS1_16scan_by_key_implILNS1_25lookback_scan_determinismE0ELb0ES3_N6thrust23THRUST_200600_302600_NS6detail15normal_iteratorINS9_10device_ptrIjEEEESE_SE_jNS9_4plusIvEENS9_8equal_toIvEEjEE10hipError_tPvRmT2_T3_T4_T5_mT6_T7_P12ihipStream_tbENKUlT_T0_E_clISt17integral_constantIbLb1EESY_IbLb0EEEEDaSU_SV_EUlSU_E_NS1_11comp_targetILNS1_3genE4ELNS1_11target_archE910ELNS1_3gpuE8ELNS1_3repE0EEENS1_30default_config_static_selectorELNS0_4arch9wavefront6targetE0EEEvT1_.private_seg_size, 0
	.set _ZN7rocprim17ROCPRIM_400000_NS6detail17trampoline_kernelINS0_14default_configENS1_27scan_by_key_config_selectorIjjEEZZNS1_16scan_by_key_implILNS1_25lookback_scan_determinismE0ELb0ES3_N6thrust23THRUST_200600_302600_NS6detail15normal_iteratorINS9_10device_ptrIjEEEESE_SE_jNS9_4plusIvEENS9_8equal_toIvEEjEE10hipError_tPvRmT2_T3_T4_T5_mT6_T7_P12ihipStream_tbENKUlT_T0_E_clISt17integral_constantIbLb1EESY_IbLb0EEEEDaSU_SV_EUlSU_E_NS1_11comp_targetILNS1_3genE4ELNS1_11target_archE910ELNS1_3gpuE8ELNS1_3repE0EEENS1_30default_config_static_selectorELNS0_4arch9wavefront6targetE0EEEvT1_.uses_vcc, 0
	.set _ZN7rocprim17ROCPRIM_400000_NS6detail17trampoline_kernelINS0_14default_configENS1_27scan_by_key_config_selectorIjjEEZZNS1_16scan_by_key_implILNS1_25lookback_scan_determinismE0ELb0ES3_N6thrust23THRUST_200600_302600_NS6detail15normal_iteratorINS9_10device_ptrIjEEEESE_SE_jNS9_4plusIvEENS9_8equal_toIvEEjEE10hipError_tPvRmT2_T3_T4_T5_mT6_T7_P12ihipStream_tbENKUlT_T0_E_clISt17integral_constantIbLb1EESY_IbLb0EEEEDaSU_SV_EUlSU_E_NS1_11comp_targetILNS1_3genE4ELNS1_11target_archE910ELNS1_3gpuE8ELNS1_3repE0EEENS1_30default_config_static_selectorELNS0_4arch9wavefront6targetE0EEEvT1_.uses_flat_scratch, 0
	.set _ZN7rocprim17ROCPRIM_400000_NS6detail17trampoline_kernelINS0_14default_configENS1_27scan_by_key_config_selectorIjjEEZZNS1_16scan_by_key_implILNS1_25lookback_scan_determinismE0ELb0ES3_N6thrust23THRUST_200600_302600_NS6detail15normal_iteratorINS9_10device_ptrIjEEEESE_SE_jNS9_4plusIvEENS9_8equal_toIvEEjEE10hipError_tPvRmT2_T3_T4_T5_mT6_T7_P12ihipStream_tbENKUlT_T0_E_clISt17integral_constantIbLb1EESY_IbLb0EEEEDaSU_SV_EUlSU_E_NS1_11comp_targetILNS1_3genE4ELNS1_11target_archE910ELNS1_3gpuE8ELNS1_3repE0EEENS1_30default_config_static_selectorELNS0_4arch9wavefront6targetE0EEEvT1_.has_dyn_sized_stack, 0
	.set _ZN7rocprim17ROCPRIM_400000_NS6detail17trampoline_kernelINS0_14default_configENS1_27scan_by_key_config_selectorIjjEEZZNS1_16scan_by_key_implILNS1_25lookback_scan_determinismE0ELb0ES3_N6thrust23THRUST_200600_302600_NS6detail15normal_iteratorINS9_10device_ptrIjEEEESE_SE_jNS9_4plusIvEENS9_8equal_toIvEEjEE10hipError_tPvRmT2_T3_T4_T5_mT6_T7_P12ihipStream_tbENKUlT_T0_E_clISt17integral_constantIbLb1EESY_IbLb0EEEEDaSU_SV_EUlSU_E_NS1_11comp_targetILNS1_3genE4ELNS1_11target_archE910ELNS1_3gpuE8ELNS1_3repE0EEENS1_30default_config_static_selectorELNS0_4arch9wavefront6targetE0EEEvT1_.has_recursion, 0
	.set _ZN7rocprim17ROCPRIM_400000_NS6detail17trampoline_kernelINS0_14default_configENS1_27scan_by_key_config_selectorIjjEEZZNS1_16scan_by_key_implILNS1_25lookback_scan_determinismE0ELb0ES3_N6thrust23THRUST_200600_302600_NS6detail15normal_iteratorINS9_10device_ptrIjEEEESE_SE_jNS9_4plusIvEENS9_8equal_toIvEEjEE10hipError_tPvRmT2_T3_T4_T5_mT6_T7_P12ihipStream_tbENKUlT_T0_E_clISt17integral_constantIbLb1EESY_IbLb0EEEEDaSU_SV_EUlSU_E_NS1_11comp_targetILNS1_3genE4ELNS1_11target_archE910ELNS1_3gpuE8ELNS1_3repE0EEENS1_30default_config_static_selectorELNS0_4arch9wavefront6targetE0EEEvT1_.has_indirect_call, 0
	.section	.AMDGPU.csdata,"",@progbits
; Kernel info:
; codeLenInByte = 0
; TotalNumSgprs: 0
; NumVgprs: 0
; ScratchSize: 0
; MemoryBound: 0
; FloatMode: 240
; IeeeMode: 1
; LDSByteSize: 0 bytes/workgroup (compile time only)
; SGPRBlocks: 0
; VGPRBlocks: 0
; NumSGPRsForWavesPerEU: 1
; NumVGPRsForWavesPerEU: 1
; NamedBarCnt: 0
; Occupancy: 16
; WaveLimiterHint : 0
; COMPUTE_PGM_RSRC2:SCRATCH_EN: 0
; COMPUTE_PGM_RSRC2:USER_SGPR: 2
; COMPUTE_PGM_RSRC2:TRAP_HANDLER: 0
; COMPUTE_PGM_RSRC2:TGID_X_EN: 1
; COMPUTE_PGM_RSRC2:TGID_Y_EN: 0
; COMPUTE_PGM_RSRC2:TGID_Z_EN: 0
; COMPUTE_PGM_RSRC2:TIDIG_COMP_CNT: 0
	.section	.text._ZN7rocprim17ROCPRIM_400000_NS6detail17trampoline_kernelINS0_14default_configENS1_27scan_by_key_config_selectorIjjEEZZNS1_16scan_by_key_implILNS1_25lookback_scan_determinismE0ELb0ES3_N6thrust23THRUST_200600_302600_NS6detail15normal_iteratorINS9_10device_ptrIjEEEESE_SE_jNS9_4plusIvEENS9_8equal_toIvEEjEE10hipError_tPvRmT2_T3_T4_T5_mT6_T7_P12ihipStream_tbENKUlT_T0_E_clISt17integral_constantIbLb1EESY_IbLb0EEEEDaSU_SV_EUlSU_E_NS1_11comp_targetILNS1_3genE3ELNS1_11target_archE908ELNS1_3gpuE7ELNS1_3repE0EEENS1_30default_config_static_selectorELNS0_4arch9wavefront6targetE0EEEvT1_,"axG",@progbits,_ZN7rocprim17ROCPRIM_400000_NS6detail17trampoline_kernelINS0_14default_configENS1_27scan_by_key_config_selectorIjjEEZZNS1_16scan_by_key_implILNS1_25lookback_scan_determinismE0ELb0ES3_N6thrust23THRUST_200600_302600_NS6detail15normal_iteratorINS9_10device_ptrIjEEEESE_SE_jNS9_4plusIvEENS9_8equal_toIvEEjEE10hipError_tPvRmT2_T3_T4_T5_mT6_T7_P12ihipStream_tbENKUlT_T0_E_clISt17integral_constantIbLb1EESY_IbLb0EEEEDaSU_SV_EUlSU_E_NS1_11comp_targetILNS1_3genE3ELNS1_11target_archE908ELNS1_3gpuE7ELNS1_3repE0EEENS1_30default_config_static_selectorELNS0_4arch9wavefront6targetE0EEEvT1_,comdat
	.protected	_ZN7rocprim17ROCPRIM_400000_NS6detail17trampoline_kernelINS0_14default_configENS1_27scan_by_key_config_selectorIjjEEZZNS1_16scan_by_key_implILNS1_25lookback_scan_determinismE0ELb0ES3_N6thrust23THRUST_200600_302600_NS6detail15normal_iteratorINS9_10device_ptrIjEEEESE_SE_jNS9_4plusIvEENS9_8equal_toIvEEjEE10hipError_tPvRmT2_T3_T4_T5_mT6_T7_P12ihipStream_tbENKUlT_T0_E_clISt17integral_constantIbLb1EESY_IbLb0EEEEDaSU_SV_EUlSU_E_NS1_11comp_targetILNS1_3genE3ELNS1_11target_archE908ELNS1_3gpuE7ELNS1_3repE0EEENS1_30default_config_static_selectorELNS0_4arch9wavefront6targetE0EEEvT1_ ; -- Begin function _ZN7rocprim17ROCPRIM_400000_NS6detail17trampoline_kernelINS0_14default_configENS1_27scan_by_key_config_selectorIjjEEZZNS1_16scan_by_key_implILNS1_25lookback_scan_determinismE0ELb0ES3_N6thrust23THRUST_200600_302600_NS6detail15normal_iteratorINS9_10device_ptrIjEEEESE_SE_jNS9_4plusIvEENS9_8equal_toIvEEjEE10hipError_tPvRmT2_T3_T4_T5_mT6_T7_P12ihipStream_tbENKUlT_T0_E_clISt17integral_constantIbLb1EESY_IbLb0EEEEDaSU_SV_EUlSU_E_NS1_11comp_targetILNS1_3genE3ELNS1_11target_archE908ELNS1_3gpuE7ELNS1_3repE0EEENS1_30default_config_static_selectorELNS0_4arch9wavefront6targetE0EEEvT1_
	.globl	_ZN7rocprim17ROCPRIM_400000_NS6detail17trampoline_kernelINS0_14default_configENS1_27scan_by_key_config_selectorIjjEEZZNS1_16scan_by_key_implILNS1_25lookback_scan_determinismE0ELb0ES3_N6thrust23THRUST_200600_302600_NS6detail15normal_iteratorINS9_10device_ptrIjEEEESE_SE_jNS9_4plusIvEENS9_8equal_toIvEEjEE10hipError_tPvRmT2_T3_T4_T5_mT6_T7_P12ihipStream_tbENKUlT_T0_E_clISt17integral_constantIbLb1EESY_IbLb0EEEEDaSU_SV_EUlSU_E_NS1_11comp_targetILNS1_3genE3ELNS1_11target_archE908ELNS1_3gpuE7ELNS1_3repE0EEENS1_30default_config_static_selectorELNS0_4arch9wavefront6targetE0EEEvT1_
	.p2align	8
	.type	_ZN7rocprim17ROCPRIM_400000_NS6detail17trampoline_kernelINS0_14default_configENS1_27scan_by_key_config_selectorIjjEEZZNS1_16scan_by_key_implILNS1_25lookback_scan_determinismE0ELb0ES3_N6thrust23THRUST_200600_302600_NS6detail15normal_iteratorINS9_10device_ptrIjEEEESE_SE_jNS9_4plusIvEENS9_8equal_toIvEEjEE10hipError_tPvRmT2_T3_T4_T5_mT6_T7_P12ihipStream_tbENKUlT_T0_E_clISt17integral_constantIbLb1EESY_IbLb0EEEEDaSU_SV_EUlSU_E_NS1_11comp_targetILNS1_3genE3ELNS1_11target_archE908ELNS1_3gpuE7ELNS1_3repE0EEENS1_30default_config_static_selectorELNS0_4arch9wavefront6targetE0EEEvT1_,@function
_ZN7rocprim17ROCPRIM_400000_NS6detail17trampoline_kernelINS0_14default_configENS1_27scan_by_key_config_selectorIjjEEZZNS1_16scan_by_key_implILNS1_25lookback_scan_determinismE0ELb0ES3_N6thrust23THRUST_200600_302600_NS6detail15normal_iteratorINS9_10device_ptrIjEEEESE_SE_jNS9_4plusIvEENS9_8equal_toIvEEjEE10hipError_tPvRmT2_T3_T4_T5_mT6_T7_P12ihipStream_tbENKUlT_T0_E_clISt17integral_constantIbLb1EESY_IbLb0EEEEDaSU_SV_EUlSU_E_NS1_11comp_targetILNS1_3genE3ELNS1_11target_archE908ELNS1_3gpuE7ELNS1_3repE0EEENS1_30default_config_static_selectorELNS0_4arch9wavefront6targetE0EEEvT1_: ; @_ZN7rocprim17ROCPRIM_400000_NS6detail17trampoline_kernelINS0_14default_configENS1_27scan_by_key_config_selectorIjjEEZZNS1_16scan_by_key_implILNS1_25lookback_scan_determinismE0ELb0ES3_N6thrust23THRUST_200600_302600_NS6detail15normal_iteratorINS9_10device_ptrIjEEEESE_SE_jNS9_4plusIvEENS9_8equal_toIvEEjEE10hipError_tPvRmT2_T3_T4_T5_mT6_T7_P12ihipStream_tbENKUlT_T0_E_clISt17integral_constantIbLb1EESY_IbLb0EEEEDaSU_SV_EUlSU_E_NS1_11comp_targetILNS1_3genE3ELNS1_11target_archE908ELNS1_3gpuE7ELNS1_3repE0EEENS1_30default_config_static_selectorELNS0_4arch9wavefront6targetE0EEEvT1_
; %bb.0:
	.section	.rodata,"a",@progbits
	.p2align	6, 0x0
	.amdhsa_kernel _ZN7rocprim17ROCPRIM_400000_NS6detail17trampoline_kernelINS0_14default_configENS1_27scan_by_key_config_selectorIjjEEZZNS1_16scan_by_key_implILNS1_25lookback_scan_determinismE0ELb0ES3_N6thrust23THRUST_200600_302600_NS6detail15normal_iteratorINS9_10device_ptrIjEEEESE_SE_jNS9_4plusIvEENS9_8equal_toIvEEjEE10hipError_tPvRmT2_T3_T4_T5_mT6_T7_P12ihipStream_tbENKUlT_T0_E_clISt17integral_constantIbLb1EESY_IbLb0EEEEDaSU_SV_EUlSU_E_NS1_11comp_targetILNS1_3genE3ELNS1_11target_archE908ELNS1_3gpuE7ELNS1_3repE0EEENS1_30default_config_static_selectorELNS0_4arch9wavefront6targetE0EEEvT1_
		.amdhsa_group_segment_fixed_size 0
		.amdhsa_private_segment_fixed_size 0
		.amdhsa_kernarg_size 112
		.amdhsa_user_sgpr_count 2
		.amdhsa_user_sgpr_dispatch_ptr 0
		.amdhsa_user_sgpr_queue_ptr 0
		.amdhsa_user_sgpr_kernarg_segment_ptr 1
		.amdhsa_user_sgpr_dispatch_id 0
		.amdhsa_user_sgpr_kernarg_preload_length 0
		.amdhsa_user_sgpr_kernarg_preload_offset 0
		.amdhsa_user_sgpr_private_segment_size 0
		.amdhsa_wavefront_size32 1
		.amdhsa_uses_dynamic_stack 0
		.amdhsa_enable_private_segment 0
		.amdhsa_system_sgpr_workgroup_id_x 1
		.amdhsa_system_sgpr_workgroup_id_y 0
		.amdhsa_system_sgpr_workgroup_id_z 0
		.amdhsa_system_sgpr_workgroup_info 0
		.amdhsa_system_vgpr_workitem_id 0
		.amdhsa_next_free_vgpr 1
		.amdhsa_next_free_sgpr 1
		.amdhsa_named_barrier_count 0
		.amdhsa_reserve_vcc 0
		.amdhsa_float_round_mode_32 0
		.amdhsa_float_round_mode_16_64 0
		.amdhsa_float_denorm_mode_32 3
		.amdhsa_float_denorm_mode_16_64 3
		.amdhsa_fp16_overflow 0
		.amdhsa_memory_ordered 1
		.amdhsa_forward_progress 1
		.amdhsa_inst_pref_size 0
		.amdhsa_round_robin_scheduling 0
		.amdhsa_exception_fp_ieee_invalid_op 0
		.amdhsa_exception_fp_denorm_src 0
		.amdhsa_exception_fp_ieee_div_zero 0
		.amdhsa_exception_fp_ieee_overflow 0
		.amdhsa_exception_fp_ieee_underflow 0
		.amdhsa_exception_fp_ieee_inexact 0
		.amdhsa_exception_int_div_zero 0
	.end_amdhsa_kernel
	.section	.text._ZN7rocprim17ROCPRIM_400000_NS6detail17trampoline_kernelINS0_14default_configENS1_27scan_by_key_config_selectorIjjEEZZNS1_16scan_by_key_implILNS1_25lookback_scan_determinismE0ELb0ES3_N6thrust23THRUST_200600_302600_NS6detail15normal_iteratorINS9_10device_ptrIjEEEESE_SE_jNS9_4plusIvEENS9_8equal_toIvEEjEE10hipError_tPvRmT2_T3_T4_T5_mT6_T7_P12ihipStream_tbENKUlT_T0_E_clISt17integral_constantIbLb1EESY_IbLb0EEEEDaSU_SV_EUlSU_E_NS1_11comp_targetILNS1_3genE3ELNS1_11target_archE908ELNS1_3gpuE7ELNS1_3repE0EEENS1_30default_config_static_selectorELNS0_4arch9wavefront6targetE0EEEvT1_,"axG",@progbits,_ZN7rocprim17ROCPRIM_400000_NS6detail17trampoline_kernelINS0_14default_configENS1_27scan_by_key_config_selectorIjjEEZZNS1_16scan_by_key_implILNS1_25lookback_scan_determinismE0ELb0ES3_N6thrust23THRUST_200600_302600_NS6detail15normal_iteratorINS9_10device_ptrIjEEEESE_SE_jNS9_4plusIvEENS9_8equal_toIvEEjEE10hipError_tPvRmT2_T3_T4_T5_mT6_T7_P12ihipStream_tbENKUlT_T0_E_clISt17integral_constantIbLb1EESY_IbLb0EEEEDaSU_SV_EUlSU_E_NS1_11comp_targetILNS1_3genE3ELNS1_11target_archE908ELNS1_3gpuE7ELNS1_3repE0EEENS1_30default_config_static_selectorELNS0_4arch9wavefront6targetE0EEEvT1_,comdat
.Lfunc_end1850:
	.size	_ZN7rocprim17ROCPRIM_400000_NS6detail17trampoline_kernelINS0_14default_configENS1_27scan_by_key_config_selectorIjjEEZZNS1_16scan_by_key_implILNS1_25lookback_scan_determinismE0ELb0ES3_N6thrust23THRUST_200600_302600_NS6detail15normal_iteratorINS9_10device_ptrIjEEEESE_SE_jNS9_4plusIvEENS9_8equal_toIvEEjEE10hipError_tPvRmT2_T3_T4_T5_mT6_T7_P12ihipStream_tbENKUlT_T0_E_clISt17integral_constantIbLb1EESY_IbLb0EEEEDaSU_SV_EUlSU_E_NS1_11comp_targetILNS1_3genE3ELNS1_11target_archE908ELNS1_3gpuE7ELNS1_3repE0EEENS1_30default_config_static_selectorELNS0_4arch9wavefront6targetE0EEEvT1_, .Lfunc_end1850-_ZN7rocprim17ROCPRIM_400000_NS6detail17trampoline_kernelINS0_14default_configENS1_27scan_by_key_config_selectorIjjEEZZNS1_16scan_by_key_implILNS1_25lookback_scan_determinismE0ELb0ES3_N6thrust23THRUST_200600_302600_NS6detail15normal_iteratorINS9_10device_ptrIjEEEESE_SE_jNS9_4plusIvEENS9_8equal_toIvEEjEE10hipError_tPvRmT2_T3_T4_T5_mT6_T7_P12ihipStream_tbENKUlT_T0_E_clISt17integral_constantIbLb1EESY_IbLb0EEEEDaSU_SV_EUlSU_E_NS1_11comp_targetILNS1_3genE3ELNS1_11target_archE908ELNS1_3gpuE7ELNS1_3repE0EEENS1_30default_config_static_selectorELNS0_4arch9wavefront6targetE0EEEvT1_
                                        ; -- End function
	.set _ZN7rocprim17ROCPRIM_400000_NS6detail17trampoline_kernelINS0_14default_configENS1_27scan_by_key_config_selectorIjjEEZZNS1_16scan_by_key_implILNS1_25lookback_scan_determinismE0ELb0ES3_N6thrust23THRUST_200600_302600_NS6detail15normal_iteratorINS9_10device_ptrIjEEEESE_SE_jNS9_4plusIvEENS9_8equal_toIvEEjEE10hipError_tPvRmT2_T3_T4_T5_mT6_T7_P12ihipStream_tbENKUlT_T0_E_clISt17integral_constantIbLb1EESY_IbLb0EEEEDaSU_SV_EUlSU_E_NS1_11comp_targetILNS1_3genE3ELNS1_11target_archE908ELNS1_3gpuE7ELNS1_3repE0EEENS1_30default_config_static_selectorELNS0_4arch9wavefront6targetE0EEEvT1_.num_vgpr, 0
	.set _ZN7rocprim17ROCPRIM_400000_NS6detail17trampoline_kernelINS0_14default_configENS1_27scan_by_key_config_selectorIjjEEZZNS1_16scan_by_key_implILNS1_25lookback_scan_determinismE0ELb0ES3_N6thrust23THRUST_200600_302600_NS6detail15normal_iteratorINS9_10device_ptrIjEEEESE_SE_jNS9_4plusIvEENS9_8equal_toIvEEjEE10hipError_tPvRmT2_T3_T4_T5_mT6_T7_P12ihipStream_tbENKUlT_T0_E_clISt17integral_constantIbLb1EESY_IbLb0EEEEDaSU_SV_EUlSU_E_NS1_11comp_targetILNS1_3genE3ELNS1_11target_archE908ELNS1_3gpuE7ELNS1_3repE0EEENS1_30default_config_static_selectorELNS0_4arch9wavefront6targetE0EEEvT1_.num_agpr, 0
	.set _ZN7rocprim17ROCPRIM_400000_NS6detail17trampoline_kernelINS0_14default_configENS1_27scan_by_key_config_selectorIjjEEZZNS1_16scan_by_key_implILNS1_25lookback_scan_determinismE0ELb0ES3_N6thrust23THRUST_200600_302600_NS6detail15normal_iteratorINS9_10device_ptrIjEEEESE_SE_jNS9_4plusIvEENS9_8equal_toIvEEjEE10hipError_tPvRmT2_T3_T4_T5_mT6_T7_P12ihipStream_tbENKUlT_T0_E_clISt17integral_constantIbLb1EESY_IbLb0EEEEDaSU_SV_EUlSU_E_NS1_11comp_targetILNS1_3genE3ELNS1_11target_archE908ELNS1_3gpuE7ELNS1_3repE0EEENS1_30default_config_static_selectorELNS0_4arch9wavefront6targetE0EEEvT1_.numbered_sgpr, 0
	.set _ZN7rocprim17ROCPRIM_400000_NS6detail17trampoline_kernelINS0_14default_configENS1_27scan_by_key_config_selectorIjjEEZZNS1_16scan_by_key_implILNS1_25lookback_scan_determinismE0ELb0ES3_N6thrust23THRUST_200600_302600_NS6detail15normal_iteratorINS9_10device_ptrIjEEEESE_SE_jNS9_4plusIvEENS9_8equal_toIvEEjEE10hipError_tPvRmT2_T3_T4_T5_mT6_T7_P12ihipStream_tbENKUlT_T0_E_clISt17integral_constantIbLb1EESY_IbLb0EEEEDaSU_SV_EUlSU_E_NS1_11comp_targetILNS1_3genE3ELNS1_11target_archE908ELNS1_3gpuE7ELNS1_3repE0EEENS1_30default_config_static_selectorELNS0_4arch9wavefront6targetE0EEEvT1_.num_named_barrier, 0
	.set _ZN7rocprim17ROCPRIM_400000_NS6detail17trampoline_kernelINS0_14default_configENS1_27scan_by_key_config_selectorIjjEEZZNS1_16scan_by_key_implILNS1_25lookback_scan_determinismE0ELb0ES3_N6thrust23THRUST_200600_302600_NS6detail15normal_iteratorINS9_10device_ptrIjEEEESE_SE_jNS9_4plusIvEENS9_8equal_toIvEEjEE10hipError_tPvRmT2_T3_T4_T5_mT6_T7_P12ihipStream_tbENKUlT_T0_E_clISt17integral_constantIbLb1EESY_IbLb0EEEEDaSU_SV_EUlSU_E_NS1_11comp_targetILNS1_3genE3ELNS1_11target_archE908ELNS1_3gpuE7ELNS1_3repE0EEENS1_30default_config_static_selectorELNS0_4arch9wavefront6targetE0EEEvT1_.private_seg_size, 0
	.set _ZN7rocprim17ROCPRIM_400000_NS6detail17trampoline_kernelINS0_14default_configENS1_27scan_by_key_config_selectorIjjEEZZNS1_16scan_by_key_implILNS1_25lookback_scan_determinismE0ELb0ES3_N6thrust23THRUST_200600_302600_NS6detail15normal_iteratorINS9_10device_ptrIjEEEESE_SE_jNS9_4plusIvEENS9_8equal_toIvEEjEE10hipError_tPvRmT2_T3_T4_T5_mT6_T7_P12ihipStream_tbENKUlT_T0_E_clISt17integral_constantIbLb1EESY_IbLb0EEEEDaSU_SV_EUlSU_E_NS1_11comp_targetILNS1_3genE3ELNS1_11target_archE908ELNS1_3gpuE7ELNS1_3repE0EEENS1_30default_config_static_selectorELNS0_4arch9wavefront6targetE0EEEvT1_.uses_vcc, 0
	.set _ZN7rocprim17ROCPRIM_400000_NS6detail17trampoline_kernelINS0_14default_configENS1_27scan_by_key_config_selectorIjjEEZZNS1_16scan_by_key_implILNS1_25lookback_scan_determinismE0ELb0ES3_N6thrust23THRUST_200600_302600_NS6detail15normal_iteratorINS9_10device_ptrIjEEEESE_SE_jNS9_4plusIvEENS9_8equal_toIvEEjEE10hipError_tPvRmT2_T3_T4_T5_mT6_T7_P12ihipStream_tbENKUlT_T0_E_clISt17integral_constantIbLb1EESY_IbLb0EEEEDaSU_SV_EUlSU_E_NS1_11comp_targetILNS1_3genE3ELNS1_11target_archE908ELNS1_3gpuE7ELNS1_3repE0EEENS1_30default_config_static_selectorELNS0_4arch9wavefront6targetE0EEEvT1_.uses_flat_scratch, 0
	.set _ZN7rocprim17ROCPRIM_400000_NS6detail17trampoline_kernelINS0_14default_configENS1_27scan_by_key_config_selectorIjjEEZZNS1_16scan_by_key_implILNS1_25lookback_scan_determinismE0ELb0ES3_N6thrust23THRUST_200600_302600_NS6detail15normal_iteratorINS9_10device_ptrIjEEEESE_SE_jNS9_4plusIvEENS9_8equal_toIvEEjEE10hipError_tPvRmT2_T3_T4_T5_mT6_T7_P12ihipStream_tbENKUlT_T0_E_clISt17integral_constantIbLb1EESY_IbLb0EEEEDaSU_SV_EUlSU_E_NS1_11comp_targetILNS1_3genE3ELNS1_11target_archE908ELNS1_3gpuE7ELNS1_3repE0EEENS1_30default_config_static_selectorELNS0_4arch9wavefront6targetE0EEEvT1_.has_dyn_sized_stack, 0
	.set _ZN7rocprim17ROCPRIM_400000_NS6detail17trampoline_kernelINS0_14default_configENS1_27scan_by_key_config_selectorIjjEEZZNS1_16scan_by_key_implILNS1_25lookback_scan_determinismE0ELb0ES3_N6thrust23THRUST_200600_302600_NS6detail15normal_iteratorINS9_10device_ptrIjEEEESE_SE_jNS9_4plusIvEENS9_8equal_toIvEEjEE10hipError_tPvRmT2_T3_T4_T5_mT6_T7_P12ihipStream_tbENKUlT_T0_E_clISt17integral_constantIbLb1EESY_IbLb0EEEEDaSU_SV_EUlSU_E_NS1_11comp_targetILNS1_3genE3ELNS1_11target_archE908ELNS1_3gpuE7ELNS1_3repE0EEENS1_30default_config_static_selectorELNS0_4arch9wavefront6targetE0EEEvT1_.has_recursion, 0
	.set _ZN7rocprim17ROCPRIM_400000_NS6detail17trampoline_kernelINS0_14default_configENS1_27scan_by_key_config_selectorIjjEEZZNS1_16scan_by_key_implILNS1_25lookback_scan_determinismE0ELb0ES3_N6thrust23THRUST_200600_302600_NS6detail15normal_iteratorINS9_10device_ptrIjEEEESE_SE_jNS9_4plusIvEENS9_8equal_toIvEEjEE10hipError_tPvRmT2_T3_T4_T5_mT6_T7_P12ihipStream_tbENKUlT_T0_E_clISt17integral_constantIbLb1EESY_IbLb0EEEEDaSU_SV_EUlSU_E_NS1_11comp_targetILNS1_3genE3ELNS1_11target_archE908ELNS1_3gpuE7ELNS1_3repE0EEENS1_30default_config_static_selectorELNS0_4arch9wavefront6targetE0EEEvT1_.has_indirect_call, 0
	.section	.AMDGPU.csdata,"",@progbits
; Kernel info:
; codeLenInByte = 0
; TotalNumSgprs: 0
; NumVgprs: 0
; ScratchSize: 0
; MemoryBound: 0
; FloatMode: 240
; IeeeMode: 1
; LDSByteSize: 0 bytes/workgroup (compile time only)
; SGPRBlocks: 0
; VGPRBlocks: 0
; NumSGPRsForWavesPerEU: 1
; NumVGPRsForWavesPerEU: 1
; NamedBarCnt: 0
; Occupancy: 16
; WaveLimiterHint : 0
; COMPUTE_PGM_RSRC2:SCRATCH_EN: 0
; COMPUTE_PGM_RSRC2:USER_SGPR: 2
; COMPUTE_PGM_RSRC2:TRAP_HANDLER: 0
; COMPUTE_PGM_RSRC2:TGID_X_EN: 1
; COMPUTE_PGM_RSRC2:TGID_Y_EN: 0
; COMPUTE_PGM_RSRC2:TGID_Z_EN: 0
; COMPUTE_PGM_RSRC2:TIDIG_COMP_CNT: 0
	.section	.text._ZN7rocprim17ROCPRIM_400000_NS6detail17trampoline_kernelINS0_14default_configENS1_27scan_by_key_config_selectorIjjEEZZNS1_16scan_by_key_implILNS1_25lookback_scan_determinismE0ELb0ES3_N6thrust23THRUST_200600_302600_NS6detail15normal_iteratorINS9_10device_ptrIjEEEESE_SE_jNS9_4plusIvEENS9_8equal_toIvEEjEE10hipError_tPvRmT2_T3_T4_T5_mT6_T7_P12ihipStream_tbENKUlT_T0_E_clISt17integral_constantIbLb1EESY_IbLb0EEEEDaSU_SV_EUlSU_E_NS1_11comp_targetILNS1_3genE2ELNS1_11target_archE906ELNS1_3gpuE6ELNS1_3repE0EEENS1_30default_config_static_selectorELNS0_4arch9wavefront6targetE0EEEvT1_,"axG",@progbits,_ZN7rocprim17ROCPRIM_400000_NS6detail17trampoline_kernelINS0_14default_configENS1_27scan_by_key_config_selectorIjjEEZZNS1_16scan_by_key_implILNS1_25lookback_scan_determinismE0ELb0ES3_N6thrust23THRUST_200600_302600_NS6detail15normal_iteratorINS9_10device_ptrIjEEEESE_SE_jNS9_4plusIvEENS9_8equal_toIvEEjEE10hipError_tPvRmT2_T3_T4_T5_mT6_T7_P12ihipStream_tbENKUlT_T0_E_clISt17integral_constantIbLb1EESY_IbLb0EEEEDaSU_SV_EUlSU_E_NS1_11comp_targetILNS1_3genE2ELNS1_11target_archE906ELNS1_3gpuE6ELNS1_3repE0EEENS1_30default_config_static_selectorELNS0_4arch9wavefront6targetE0EEEvT1_,comdat
	.protected	_ZN7rocprim17ROCPRIM_400000_NS6detail17trampoline_kernelINS0_14default_configENS1_27scan_by_key_config_selectorIjjEEZZNS1_16scan_by_key_implILNS1_25lookback_scan_determinismE0ELb0ES3_N6thrust23THRUST_200600_302600_NS6detail15normal_iteratorINS9_10device_ptrIjEEEESE_SE_jNS9_4plusIvEENS9_8equal_toIvEEjEE10hipError_tPvRmT2_T3_T4_T5_mT6_T7_P12ihipStream_tbENKUlT_T0_E_clISt17integral_constantIbLb1EESY_IbLb0EEEEDaSU_SV_EUlSU_E_NS1_11comp_targetILNS1_3genE2ELNS1_11target_archE906ELNS1_3gpuE6ELNS1_3repE0EEENS1_30default_config_static_selectorELNS0_4arch9wavefront6targetE0EEEvT1_ ; -- Begin function _ZN7rocprim17ROCPRIM_400000_NS6detail17trampoline_kernelINS0_14default_configENS1_27scan_by_key_config_selectorIjjEEZZNS1_16scan_by_key_implILNS1_25lookback_scan_determinismE0ELb0ES3_N6thrust23THRUST_200600_302600_NS6detail15normal_iteratorINS9_10device_ptrIjEEEESE_SE_jNS9_4plusIvEENS9_8equal_toIvEEjEE10hipError_tPvRmT2_T3_T4_T5_mT6_T7_P12ihipStream_tbENKUlT_T0_E_clISt17integral_constantIbLb1EESY_IbLb0EEEEDaSU_SV_EUlSU_E_NS1_11comp_targetILNS1_3genE2ELNS1_11target_archE906ELNS1_3gpuE6ELNS1_3repE0EEENS1_30default_config_static_selectorELNS0_4arch9wavefront6targetE0EEEvT1_
	.globl	_ZN7rocprim17ROCPRIM_400000_NS6detail17trampoline_kernelINS0_14default_configENS1_27scan_by_key_config_selectorIjjEEZZNS1_16scan_by_key_implILNS1_25lookback_scan_determinismE0ELb0ES3_N6thrust23THRUST_200600_302600_NS6detail15normal_iteratorINS9_10device_ptrIjEEEESE_SE_jNS9_4plusIvEENS9_8equal_toIvEEjEE10hipError_tPvRmT2_T3_T4_T5_mT6_T7_P12ihipStream_tbENKUlT_T0_E_clISt17integral_constantIbLb1EESY_IbLb0EEEEDaSU_SV_EUlSU_E_NS1_11comp_targetILNS1_3genE2ELNS1_11target_archE906ELNS1_3gpuE6ELNS1_3repE0EEENS1_30default_config_static_selectorELNS0_4arch9wavefront6targetE0EEEvT1_
	.p2align	8
	.type	_ZN7rocprim17ROCPRIM_400000_NS6detail17trampoline_kernelINS0_14default_configENS1_27scan_by_key_config_selectorIjjEEZZNS1_16scan_by_key_implILNS1_25lookback_scan_determinismE0ELb0ES3_N6thrust23THRUST_200600_302600_NS6detail15normal_iteratorINS9_10device_ptrIjEEEESE_SE_jNS9_4plusIvEENS9_8equal_toIvEEjEE10hipError_tPvRmT2_T3_T4_T5_mT6_T7_P12ihipStream_tbENKUlT_T0_E_clISt17integral_constantIbLb1EESY_IbLb0EEEEDaSU_SV_EUlSU_E_NS1_11comp_targetILNS1_3genE2ELNS1_11target_archE906ELNS1_3gpuE6ELNS1_3repE0EEENS1_30default_config_static_selectorELNS0_4arch9wavefront6targetE0EEEvT1_,@function
_ZN7rocprim17ROCPRIM_400000_NS6detail17trampoline_kernelINS0_14default_configENS1_27scan_by_key_config_selectorIjjEEZZNS1_16scan_by_key_implILNS1_25lookback_scan_determinismE0ELb0ES3_N6thrust23THRUST_200600_302600_NS6detail15normal_iteratorINS9_10device_ptrIjEEEESE_SE_jNS9_4plusIvEENS9_8equal_toIvEEjEE10hipError_tPvRmT2_T3_T4_T5_mT6_T7_P12ihipStream_tbENKUlT_T0_E_clISt17integral_constantIbLb1EESY_IbLb0EEEEDaSU_SV_EUlSU_E_NS1_11comp_targetILNS1_3genE2ELNS1_11target_archE906ELNS1_3gpuE6ELNS1_3repE0EEENS1_30default_config_static_selectorELNS0_4arch9wavefront6targetE0EEEvT1_: ; @_ZN7rocprim17ROCPRIM_400000_NS6detail17trampoline_kernelINS0_14default_configENS1_27scan_by_key_config_selectorIjjEEZZNS1_16scan_by_key_implILNS1_25lookback_scan_determinismE0ELb0ES3_N6thrust23THRUST_200600_302600_NS6detail15normal_iteratorINS9_10device_ptrIjEEEESE_SE_jNS9_4plusIvEENS9_8equal_toIvEEjEE10hipError_tPvRmT2_T3_T4_T5_mT6_T7_P12ihipStream_tbENKUlT_T0_E_clISt17integral_constantIbLb1EESY_IbLb0EEEEDaSU_SV_EUlSU_E_NS1_11comp_targetILNS1_3genE2ELNS1_11target_archE906ELNS1_3gpuE6ELNS1_3repE0EEENS1_30default_config_static_selectorELNS0_4arch9wavefront6targetE0EEEvT1_
; %bb.0:
	.section	.rodata,"a",@progbits
	.p2align	6, 0x0
	.amdhsa_kernel _ZN7rocprim17ROCPRIM_400000_NS6detail17trampoline_kernelINS0_14default_configENS1_27scan_by_key_config_selectorIjjEEZZNS1_16scan_by_key_implILNS1_25lookback_scan_determinismE0ELb0ES3_N6thrust23THRUST_200600_302600_NS6detail15normal_iteratorINS9_10device_ptrIjEEEESE_SE_jNS9_4plusIvEENS9_8equal_toIvEEjEE10hipError_tPvRmT2_T3_T4_T5_mT6_T7_P12ihipStream_tbENKUlT_T0_E_clISt17integral_constantIbLb1EESY_IbLb0EEEEDaSU_SV_EUlSU_E_NS1_11comp_targetILNS1_3genE2ELNS1_11target_archE906ELNS1_3gpuE6ELNS1_3repE0EEENS1_30default_config_static_selectorELNS0_4arch9wavefront6targetE0EEEvT1_
		.amdhsa_group_segment_fixed_size 0
		.amdhsa_private_segment_fixed_size 0
		.amdhsa_kernarg_size 112
		.amdhsa_user_sgpr_count 2
		.amdhsa_user_sgpr_dispatch_ptr 0
		.amdhsa_user_sgpr_queue_ptr 0
		.amdhsa_user_sgpr_kernarg_segment_ptr 1
		.amdhsa_user_sgpr_dispatch_id 0
		.amdhsa_user_sgpr_kernarg_preload_length 0
		.amdhsa_user_sgpr_kernarg_preload_offset 0
		.amdhsa_user_sgpr_private_segment_size 0
		.amdhsa_wavefront_size32 1
		.amdhsa_uses_dynamic_stack 0
		.amdhsa_enable_private_segment 0
		.amdhsa_system_sgpr_workgroup_id_x 1
		.amdhsa_system_sgpr_workgroup_id_y 0
		.amdhsa_system_sgpr_workgroup_id_z 0
		.amdhsa_system_sgpr_workgroup_info 0
		.amdhsa_system_vgpr_workitem_id 0
		.amdhsa_next_free_vgpr 1
		.amdhsa_next_free_sgpr 1
		.amdhsa_named_barrier_count 0
		.amdhsa_reserve_vcc 0
		.amdhsa_float_round_mode_32 0
		.amdhsa_float_round_mode_16_64 0
		.amdhsa_float_denorm_mode_32 3
		.amdhsa_float_denorm_mode_16_64 3
		.amdhsa_fp16_overflow 0
		.amdhsa_memory_ordered 1
		.amdhsa_forward_progress 1
		.amdhsa_inst_pref_size 0
		.amdhsa_round_robin_scheduling 0
		.amdhsa_exception_fp_ieee_invalid_op 0
		.amdhsa_exception_fp_denorm_src 0
		.amdhsa_exception_fp_ieee_div_zero 0
		.amdhsa_exception_fp_ieee_overflow 0
		.amdhsa_exception_fp_ieee_underflow 0
		.amdhsa_exception_fp_ieee_inexact 0
		.amdhsa_exception_int_div_zero 0
	.end_amdhsa_kernel
	.section	.text._ZN7rocprim17ROCPRIM_400000_NS6detail17trampoline_kernelINS0_14default_configENS1_27scan_by_key_config_selectorIjjEEZZNS1_16scan_by_key_implILNS1_25lookback_scan_determinismE0ELb0ES3_N6thrust23THRUST_200600_302600_NS6detail15normal_iteratorINS9_10device_ptrIjEEEESE_SE_jNS9_4plusIvEENS9_8equal_toIvEEjEE10hipError_tPvRmT2_T3_T4_T5_mT6_T7_P12ihipStream_tbENKUlT_T0_E_clISt17integral_constantIbLb1EESY_IbLb0EEEEDaSU_SV_EUlSU_E_NS1_11comp_targetILNS1_3genE2ELNS1_11target_archE906ELNS1_3gpuE6ELNS1_3repE0EEENS1_30default_config_static_selectorELNS0_4arch9wavefront6targetE0EEEvT1_,"axG",@progbits,_ZN7rocprim17ROCPRIM_400000_NS6detail17trampoline_kernelINS0_14default_configENS1_27scan_by_key_config_selectorIjjEEZZNS1_16scan_by_key_implILNS1_25lookback_scan_determinismE0ELb0ES3_N6thrust23THRUST_200600_302600_NS6detail15normal_iteratorINS9_10device_ptrIjEEEESE_SE_jNS9_4plusIvEENS9_8equal_toIvEEjEE10hipError_tPvRmT2_T3_T4_T5_mT6_T7_P12ihipStream_tbENKUlT_T0_E_clISt17integral_constantIbLb1EESY_IbLb0EEEEDaSU_SV_EUlSU_E_NS1_11comp_targetILNS1_3genE2ELNS1_11target_archE906ELNS1_3gpuE6ELNS1_3repE0EEENS1_30default_config_static_selectorELNS0_4arch9wavefront6targetE0EEEvT1_,comdat
.Lfunc_end1851:
	.size	_ZN7rocprim17ROCPRIM_400000_NS6detail17trampoline_kernelINS0_14default_configENS1_27scan_by_key_config_selectorIjjEEZZNS1_16scan_by_key_implILNS1_25lookback_scan_determinismE0ELb0ES3_N6thrust23THRUST_200600_302600_NS6detail15normal_iteratorINS9_10device_ptrIjEEEESE_SE_jNS9_4plusIvEENS9_8equal_toIvEEjEE10hipError_tPvRmT2_T3_T4_T5_mT6_T7_P12ihipStream_tbENKUlT_T0_E_clISt17integral_constantIbLb1EESY_IbLb0EEEEDaSU_SV_EUlSU_E_NS1_11comp_targetILNS1_3genE2ELNS1_11target_archE906ELNS1_3gpuE6ELNS1_3repE0EEENS1_30default_config_static_selectorELNS0_4arch9wavefront6targetE0EEEvT1_, .Lfunc_end1851-_ZN7rocprim17ROCPRIM_400000_NS6detail17trampoline_kernelINS0_14default_configENS1_27scan_by_key_config_selectorIjjEEZZNS1_16scan_by_key_implILNS1_25lookback_scan_determinismE0ELb0ES3_N6thrust23THRUST_200600_302600_NS6detail15normal_iteratorINS9_10device_ptrIjEEEESE_SE_jNS9_4plusIvEENS9_8equal_toIvEEjEE10hipError_tPvRmT2_T3_T4_T5_mT6_T7_P12ihipStream_tbENKUlT_T0_E_clISt17integral_constantIbLb1EESY_IbLb0EEEEDaSU_SV_EUlSU_E_NS1_11comp_targetILNS1_3genE2ELNS1_11target_archE906ELNS1_3gpuE6ELNS1_3repE0EEENS1_30default_config_static_selectorELNS0_4arch9wavefront6targetE0EEEvT1_
                                        ; -- End function
	.set _ZN7rocprim17ROCPRIM_400000_NS6detail17trampoline_kernelINS0_14default_configENS1_27scan_by_key_config_selectorIjjEEZZNS1_16scan_by_key_implILNS1_25lookback_scan_determinismE0ELb0ES3_N6thrust23THRUST_200600_302600_NS6detail15normal_iteratorINS9_10device_ptrIjEEEESE_SE_jNS9_4plusIvEENS9_8equal_toIvEEjEE10hipError_tPvRmT2_T3_T4_T5_mT6_T7_P12ihipStream_tbENKUlT_T0_E_clISt17integral_constantIbLb1EESY_IbLb0EEEEDaSU_SV_EUlSU_E_NS1_11comp_targetILNS1_3genE2ELNS1_11target_archE906ELNS1_3gpuE6ELNS1_3repE0EEENS1_30default_config_static_selectorELNS0_4arch9wavefront6targetE0EEEvT1_.num_vgpr, 0
	.set _ZN7rocprim17ROCPRIM_400000_NS6detail17trampoline_kernelINS0_14default_configENS1_27scan_by_key_config_selectorIjjEEZZNS1_16scan_by_key_implILNS1_25lookback_scan_determinismE0ELb0ES3_N6thrust23THRUST_200600_302600_NS6detail15normal_iteratorINS9_10device_ptrIjEEEESE_SE_jNS9_4plusIvEENS9_8equal_toIvEEjEE10hipError_tPvRmT2_T3_T4_T5_mT6_T7_P12ihipStream_tbENKUlT_T0_E_clISt17integral_constantIbLb1EESY_IbLb0EEEEDaSU_SV_EUlSU_E_NS1_11comp_targetILNS1_3genE2ELNS1_11target_archE906ELNS1_3gpuE6ELNS1_3repE0EEENS1_30default_config_static_selectorELNS0_4arch9wavefront6targetE0EEEvT1_.num_agpr, 0
	.set _ZN7rocprim17ROCPRIM_400000_NS6detail17trampoline_kernelINS0_14default_configENS1_27scan_by_key_config_selectorIjjEEZZNS1_16scan_by_key_implILNS1_25lookback_scan_determinismE0ELb0ES3_N6thrust23THRUST_200600_302600_NS6detail15normal_iteratorINS9_10device_ptrIjEEEESE_SE_jNS9_4plusIvEENS9_8equal_toIvEEjEE10hipError_tPvRmT2_T3_T4_T5_mT6_T7_P12ihipStream_tbENKUlT_T0_E_clISt17integral_constantIbLb1EESY_IbLb0EEEEDaSU_SV_EUlSU_E_NS1_11comp_targetILNS1_3genE2ELNS1_11target_archE906ELNS1_3gpuE6ELNS1_3repE0EEENS1_30default_config_static_selectorELNS0_4arch9wavefront6targetE0EEEvT1_.numbered_sgpr, 0
	.set _ZN7rocprim17ROCPRIM_400000_NS6detail17trampoline_kernelINS0_14default_configENS1_27scan_by_key_config_selectorIjjEEZZNS1_16scan_by_key_implILNS1_25lookback_scan_determinismE0ELb0ES3_N6thrust23THRUST_200600_302600_NS6detail15normal_iteratorINS9_10device_ptrIjEEEESE_SE_jNS9_4plusIvEENS9_8equal_toIvEEjEE10hipError_tPvRmT2_T3_T4_T5_mT6_T7_P12ihipStream_tbENKUlT_T0_E_clISt17integral_constantIbLb1EESY_IbLb0EEEEDaSU_SV_EUlSU_E_NS1_11comp_targetILNS1_3genE2ELNS1_11target_archE906ELNS1_3gpuE6ELNS1_3repE0EEENS1_30default_config_static_selectorELNS0_4arch9wavefront6targetE0EEEvT1_.num_named_barrier, 0
	.set _ZN7rocprim17ROCPRIM_400000_NS6detail17trampoline_kernelINS0_14default_configENS1_27scan_by_key_config_selectorIjjEEZZNS1_16scan_by_key_implILNS1_25lookback_scan_determinismE0ELb0ES3_N6thrust23THRUST_200600_302600_NS6detail15normal_iteratorINS9_10device_ptrIjEEEESE_SE_jNS9_4plusIvEENS9_8equal_toIvEEjEE10hipError_tPvRmT2_T3_T4_T5_mT6_T7_P12ihipStream_tbENKUlT_T0_E_clISt17integral_constantIbLb1EESY_IbLb0EEEEDaSU_SV_EUlSU_E_NS1_11comp_targetILNS1_3genE2ELNS1_11target_archE906ELNS1_3gpuE6ELNS1_3repE0EEENS1_30default_config_static_selectorELNS0_4arch9wavefront6targetE0EEEvT1_.private_seg_size, 0
	.set _ZN7rocprim17ROCPRIM_400000_NS6detail17trampoline_kernelINS0_14default_configENS1_27scan_by_key_config_selectorIjjEEZZNS1_16scan_by_key_implILNS1_25lookback_scan_determinismE0ELb0ES3_N6thrust23THRUST_200600_302600_NS6detail15normal_iteratorINS9_10device_ptrIjEEEESE_SE_jNS9_4plusIvEENS9_8equal_toIvEEjEE10hipError_tPvRmT2_T3_T4_T5_mT6_T7_P12ihipStream_tbENKUlT_T0_E_clISt17integral_constantIbLb1EESY_IbLb0EEEEDaSU_SV_EUlSU_E_NS1_11comp_targetILNS1_3genE2ELNS1_11target_archE906ELNS1_3gpuE6ELNS1_3repE0EEENS1_30default_config_static_selectorELNS0_4arch9wavefront6targetE0EEEvT1_.uses_vcc, 0
	.set _ZN7rocprim17ROCPRIM_400000_NS6detail17trampoline_kernelINS0_14default_configENS1_27scan_by_key_config_selectorIjjEEZZNS1_16scan_by_key_implILNS1_25lookback_scan_determinismE0ELb0ES3_N6thrust23THRUST_200600_302600_NS6detail15normal_iteratorINS9_10device_ptrIjEEEESE_SE_jNS9_4plusIvEENS9_8equal_toIvEEjEE10hipError_tPvRmT2_T3_T4_T5_mT6_T7_P12ihipStream_tbENKUlT_T0_E_clISt17integral_constantIbLb1EESY_IbLb0EEEEDaSU_SV_EUlSU_E_NS1_11comp_targetILNS1_3genE2ELNS1_11target_archE906ELNS1_3gpuE6ELNS1_3repE0EEENS1_30default_config_static_selectorELNS0_4arch9wavefront6targetE0EEEvT1_.uses_flat_scratch, 0
	.set _ZN7rocprim17ROCPRIM_400000_NS6detail17trampoline_kernelINS0_14default_configENS1_27scan_by_key_config_selectorIjjEEZZNS1_16scan_by_key_implILNS1_25lookback_scan_determinismE0ELb0ES3_N6thrust23THRUST_200600_302600_NS6detail15normal_iteratorINS9_10device_ptrIjEEEESE_SE_jNS9_4plusIvEENS9_8equal_toIvEEjEE10hipError_tPvRmT2_T3_T4_T5_mT6_T7_P12ihipStream_tbENKUlT_T0_E_clISt17integral_constantIbLb1EESY_IbLb0EEEEDaSU_SV_EUlSU_E_NS1_11comp_targetILNS1_3genE2ELNS1_11target_archE906ELNS1_3gpuE6ELNS1_3repE0EEENS1_30default_config_static_selectorELNS0_4arch9wavefront6targetE0EEEvT1_.has_dyn_sized_stack, 0
	.set _ZN7rocprim17ROCPRIM_400000_NS6detail17trampoline_kernelINS0_14default_configENS1_27scan_by_key_config_selectorIjjEEZZNS1_16scan_by_key_implILNS1_25lookback_scan_determinismE0ELb0ES3_N6thrust23THRUST_200600_302600_NS6detail15normal_iteratorINS9_10device_ptrIjEEEESE_SE_jNS9_4plusIvEENS9_8equal_toIvEEjEE10hipError_tPvRmT2_T3_T4_T5_mT6_T7_P12ihipStream_tbENKUlT_T0_E_clISt17integral_constantIbLb1EESY_IbLb0EEEEDaSU_SV_EUlSU_E_NS1_11comp_targetILNS1_3genE2ELNS1_11target_archE906ELNS1_3gpuE6ELNS1_3repE0EEENS1_30default_config_static_selectorELNS0_4arch9wavefront6targetE0EEEvT1_.has_recursion, 0
	.set _ZN7rocprim17ROCPRIM_400000_NS6detail17trampoline_kernelINS0_14default_configENS1_27scan_by_key_config_selectorIjjEEZZNS1_16scan_by_key_implILNS1_25lookback_scan_determinismE0ELb0ES3_N6thrust23THRUST_200600_302600_NS6detail15normal_iteratorINS9_10device_ptrIjEEEESE_SE_jNS9_4plusIvEENS9_8equal_toIvEEjEE10hipError_tPvRmT2_T3_T4_T5_mT6_T7_P12ihipStream_tbENKUlT_T0_E_clISt17integral_constantIbLb1EESY_IbLb0EEEEDaSU_SV_EUlSU_E_NS1_11comp_targetILNS1_3genE2ELNS1_11target_archE906ELNS1_3gpuE6ELNS1_3repE0EEENS1_30default_config_static_selectorELNS0_4arch9wavefront6targetE0EEEvT1_.has_indirect_call, 0
	.section	.AMDGPU.csdata,"",@progbits
; Kernel info:
; codeLenInByte = 0
; TotalNumSgprs: 0
; NumVgprs: 0
; ScratchSize: 0
; MemoryBound: 0
; FloatMode: 240
; IeeeMode: 1
; LDSByteSize: 0 bytes/workgroup (compile time only)
; SGPRBlocks: 0
; VGPRBlocks: 0
; NumSGPRsForWavesPerEU: 1
; NumVGPRsForWavesPerEU: 1
; NamedBarCnt: 0
; Occupancy: 16
; WaveLimiterHint : 0
; COMPUTE_PGM_RSRC2:SCRATCH_EN: 0
; COMPUTE_PGM_RSRC2:USER_SGPR: 2
; COMPUTE_PGM_RSRC2:TRAP_HANDLER: 0
; COMPUTE_PGM_RSRC2:TGID_X_EN: 1
; COMPUTE_PGM_RSRC2:TGID_Y_EN: 0
; COMPUTE_PGM_RSRC2:TGID_Z_EN: 0
; COMPUTE_PGM_RSRC2:TIDIG_COMP_CNT: 0
	.section	.text._ZN7rocprim17ROCPRIM_400000_NS6detail17trampoline_kernelINS0_14default_configENS1_27scan_by_key_config_selectorIjjEEZZNS1_16scan_by_key_implILNS1_25lookback_scan_determinismE0ELb0ES3_N6thrust23THRUST_200600_302600_NS6detail15normal_iteratorINS9_10device_ptrIjEEEESE_SE_jNS9_4plusIvEENS9_8equal_toIvEEjEE10hipError_tPvRmT2_T3_T4_T5_mT6_T7_P12ihipStream_tbENKUlT_T0_E_clISt17integral_constantIbLb1EESY_IbLb0EEEEDaSU_SV_EUlSU_E_NS1_11comp_targetILNS1_3genE10ELNS1_11target_archE1200ELNS1_3gpuE4ELNS1_3repE0EEENS1_30default_config_static_selectorELNS0_4arch9wavefront6targetE0EEEvT1_,"axG",@progbits,_ZN7rocprim17ROCPRIM_400000_NS6detail17trampoline_kernelINS0_14default_configENS1_27scan_by_key_config_selectorIjjEEZZNS1_16scan_by_key_implILNS1_25lookback_scan_determinismE0ELb0ES3_N6thrust23THRUST_200600_302600_NS6detail15normal_iteratorINS9_10device_ptrIjEEEESE_SE_jNS9_4plusIvEENS9_8equal_toIvEEjEE10hipError_tPvRmT2_T3_T4_T5_mT6_T7_P12ihipStream_tbENKUlT_T0_E_clISt17integral_constantIbLb1EESY_IbLb0EEEEDaSU_SV_EUlSU_E_NS1_11comp_targetILNS1_3genE10ELNS1_11target_archE1200ELNS1_3gpuE4ELNS1_3repE0EEENS1_30default_config_static_selectorELNS0_4arch9wavefront6targetE0EEEvT1_,comdat
	.protected	_ZN7rocprim17ROCPRIM_400000_NS6detail17trampoline_kernelINS0_14default_configENS1_27scan_by_key_config_selectorIjjEEZZNS1_16scan_by_key_implILNS1_25lookback_scan_determinismE0ELb0ES3_N6thrust23THRUST_200600_302600_NS6detail15normal_iteratorINS9_10device_ptrIjEEEESE_SE_jNS9_4plusIvEENS9_8equal_toIvEEjEE10hipError_tPvRmT2_T3_T4_T5_mT6_T7_P12ihipStream_tbENKUlT_T0_E_clISt17integral_constantIbLb1EESY_IbLb0EEEEDaSU_SV_EUlSU_E_NS1_11comp_targetILNS1_3genE10ELNS1_11target_archE1200ELNS1_3gpuE4ELNS1_3repE0EEENS1_30default_config_static_selectorELNS0_4arch9wavefront6targetE0EEEvT1_ ; -- Begin function _ZN7rocprim17ROCPRIM_400000_NS6detail17trampoline_kernelINS0_14default_configENS1_27scan_by_key_config_selectorIjjEEZZNS1_16scan_by_key_implILNS1_25lookback_scan_determinismE0ELb0ES3_N6thrust23THRUST_200600_302600_NS6detail15normal_iteratorINS9_10device_ptrIjEEEESE_SE_jNS9_4plusIvEENS9_8equal_toIvEEjEE10hipError_tPvRmT2_T3_T4_T5_mT6_T7_P12ihipStream_tbENKUlT_T0_E_clISt17integral_constantIbLb1EESY_IbLb0EEEEDaSU_SV_EUlSU_E_NS1_11comp_targetILNS1_3genE10ELNS1_11target_archE1200ELNS1_3gpuE4ELNS1_3repE0EEENS1_30default_config_static_selectorELNS0_4arch9wavefront6targetE0EEEvT1_
	.globl	_ZN7rocprim17ROCPRIM_400000_NS6detail17trampoline_kernelINS0_14default_configENS1_27scan_by_key_config_selectorIjjEEZZNS1_16scan_by_key_implILNS1_25lookback_scan_determinismE0ELb0ES3_N6thrust23THRUST_200600_302600_NS6detail15normal_iteratorINS9_10device_ptrIjEEEESE_SE_jNS9_4plusIvEENS9_8equal_toIvEEjEE10hipError_tPvRmT2_T3_T4_T5_mT6_T7_P12ihipStream_tbENKUlT_T0_E_clISt17integral_constantIbLb1EESY_IbLb0EEEEDaSU_SV_EUlSU_E_NS1_11comp_targetILNS1_3genE10ELNS1_11target_archE1200ELNS1_3gpuE4ELNS1_3repE0EEENS1_30default_config_static_selectorELNS0_4arch9wavefront6targetE0EEEvT1_
	.p2align	8
	.type	_ZN7rocprim17ROCPRIM_400000_NS6detail17trampoline_kernelINS0_14default_configENS1_27scan_by_key_config_selectorIjjEEZZNS1_16scan_by_key_implILNS1_25lookback_scan_determinismE0ELb0ES3_N6thrust23THRUST_200600_302600_NS6detail15normal_iteratorINS9_10device_ptrIjEEEESE_SE_jNS9_4plusIvEENS9_8equal_toIvEEjEE10hipError_tPvRmT2_T3_T4_T5_mT6_T7_P12ihipStream_tbENKUlT_T0_E_clISt17integral_constantIbLb1EESY_IbLb0EEEEDaSU_SV_EUlSU_E_NS1_11comp_targetILNS1_3genE10ELNS1_11target_archE1200ELNS1_3gpuE4ELNS1_3repE0EEENS1_30default_config_static_selectorELNS0_4arch9wavefront6targetE0EEEvT1_,@function
_ZN7rocprim17ROCPRIM_400000_NS6detail17trampoline_kernelINS0_14default_configENS1_27scan_by_key_config_selectorIjjEEZZNS1_16scan_by_key_implILNS1_25lookback_scan_determinismE0ELb0ES3_N6thrust23THRUST_200600_302600_NS6detail15normal_iteratorINS9_10device_ptrIjEEEESE_SE_jNS9_4plusIvEENS9_8equal_toIvEEjEE10hipError_tPvRmT2_T3_T4_T5_mT6_T7_P12ihipStream_tbENKUlT_T0_E_clISt17integral_constantIbLb1EESY_IbLb0EEEEDaSU_SV_EUlSU_E_NS1_11comp_targetILNS1_3genE10ELNS1_11target_archE1200ELNS1_3gpuE4ELNS1_3repE0EEENS1_30default_config_static_selectorELNS0_4arch9wavefront6targetE0EEEvT1_: ; @_ZN7rocprim17ROCPRIM_400000_NS6detail17trampoline_kernelINS0_14default_configENS1_27scan_by_key_config_selectorIjjEEZZNS1_16scan_by_key_implILNS1_25lookback_scan_determinismE0ELb0ES3_N6thrust23THRUST_200600_302600_NS6detail15normal_iteratorINS9_10device_ptrIjEEEESE_SE_jNS9_4plusIvEENS9_8equal_toIvEEjEE10hipError_tPvRmT2_T3_T4_T5_mT6_T7_P12ihipStream_tbENKUlT_T0_E_clISt17integral_constantIbLb1EESY_IbLb0EEEEDaSU_SV_EUlSU_E_NS1_11comp_targetILNS1_3genE10ELNS1_11target_archE1200ELNS1_3gpuE4ELNS1_3repE0EEENS1_30default_config_static_selectorELNS0_4arch9wavefront6targetE0EEEvT1_
; %bb.0:
	.section	.rodata,"a",@progbits
	.p2align	6, 0x0
	.amdhsa_kernel _ZN7rocprim17ROCPRIM_400000_NS6detail17trampoline_kernelINS0_14default_configENS1_27scan_by_key_config_selectorIjjEEZZNS1_16scan_by_key_implILNS1_25lookback_scan_determinismE0ELb0ES3_N6thrust23THRUST_200600_302600_NS6detail15normal_iteratorINS9_10device_ptrIjEEEESE_SE_jNS9_4plusIvEENS9_8equal_toIvEEjEE10hipError_tPvRmT2_T3_T4_T5_mT6_T7_P12ihipStream_tbENKUlT_T0_E_clISt17integral_constantIbLb1EESY_IbLb0EEEEDaSU_SV_EUlSU_E_NS1_11comp_targetILNS1_3genE10ELNS1_11target_archE1200ELNS1_3gpuE4ELNS1_3repE0EEENS1_30default_config_static_selectorELNS0_4arch9wavefront6targetE0EEEvT1_
		.amdhsa_group_segment_fixed_size 0
		.amdhsa_private_segment_fixed_size 0
		.amdhsa_kernarg_size 112
		.amdhsa_user_sgpr_count 2
		.amdhsa_user_sgpr_dispatch_ptr 0
		.amdhsa_user_sgpr_queue_ptr 0
		.amdhsa_user_sgpr_kernarg_segment_ptr 1
		.amdhsa_user_sgpr_dispatch_id 0
		.amdhsa_user_sgpr_kernarg_preload_length 0
		.amdhsa_user_sgpr_kernarg_preload_offset 0
		.amdhsa_user_sgpr_private_segment_size 0
		.amdhsa_wavefront_size32 1
		.amdhsa_uses_dynamic_stack 0
		.amdhsa_enable_private_segment 0
		.amdhsa_system_sgpr_workgroup_id_x 1
		.amdhsa_system_sgpr_workgroup_id_y 0
		.amdhsa_system_sgpr_workgroup_id_z 0
		.amdhsa_system_sgpr_workgroup_info 0
		.amdhsa_system_vgpr_workitem_id 0
		.amdhsa_next_free_vgpr 1
		.amdhsa_next_free_sgpr 1
		.amdhsa_named_barrier_count 0
		.amdhsa_reserve_vcc 0
		.amdhsa_float_round_mode_32 0
		.amdhsa_float_round_mode_16_64 0
		.amdhsa_float_denorm_mode_32 3
		.amdhsa_float_denorm_mode_16_64 3
		.amdhsa_fp16_overflow 0
		.amdhsa_memory_ordered 1
		.amdhsa_forward_progress 1
		.amdhsa_inst_pref_size 0
		.amdhsa_round_robin_scheduling 0
		.amdhsa_exception_fp_ieee_invalid_op 0
		.amdhsa_exception_fp_denorm_src 0
		.amdhsa_exception_fp_ieee_div_zero 0
		.amdhsa_exception_fp_ieee_overflow 0
		.amdhsa_exception_fp_ieee_underflow 0
		.amdhsa_exception_fp_ieee_inexact 0
		.amdhsa_exception_int_div_zero 0
	.end_amdhsa_kernel
	.section	.text._ZN7rocprim17ROCPRIM_400000_NS6detail17trampoline_kernelINS0_14default_configENS1_27scan_by_key_config_selectorIjjEEZZNS1_16scan_by_key_implILNS1_25lookback_scan_determinismE0ELb0ES3_N6thrust23THRUST_200600_302600_NS6detail15normal_iteratorINS9_10device_ptrIjEEEESE_SE_jNS9_4plusIvEENS9_8equal_toIvEEjEE10hipError_tPvRmT2_T3_T4_T5_mT6_T7_P12ihipStream_tbENKUlT_T0_E_clISt17integral_constantIbLb1EESY_IbLb0EEEEDaSU_SV_EUlSU_E_NS1_11comp_targetILNS1_3genE10ELNS1_11target_archE1200ELNS1_3gpuE4ELNS1_3repE0EEENS1_30default_config_static_selectorELNS0_4arch9wavefront6targetE0EEEvT1_,"axG",@progbits,_ZN7rocprim17ROCPRIM_400000_NS6detail17trampoline_kernelINS0_14default_configENS1_27scan_by_key_config_selectorIjjEEZZNS1_16scan_by_key_implILNS1_25lookback_scan_determinismE0ELb0ES3_N6thrust23THRUST_200600_302600_NS6detail15normal_iteratorINS9_10device_ptrIjEEEESE_SE_jNS9_4plusIvEENS9_8equal_toIvEEjEE10hipError_tPvRmT2_T3_T4_T5_mT6_T7_P12ihipStream_tbENKUlT_T0_E_clISt17integral_constantIbLb1EESY_IbLb0EEEEDaSU_SV_EUlSU_E_NS1_11comp_targetILNS1_3genE10ELNS1_11target_archE1200ELNS1_3gpuE4ELNS1_3repE0EEENS1_30default_config_static_selectorELNS0_4arch9wavefront6targetE0EEEvT1_,comdat
.Lfunc_end1852:
	.size	_ZN7rocprim17ROCPRIM_400000_NS6detail17trampoline_kernelINS0_14default_configENS1_27scan_by_key_config_selectorIjjEEZZNS1_16scan_by_key_implILNS1_25lookback_scan_determinismE0ELb0ES3_N6thrust23THRUST_200600_302600_NS6detail15normal_iteratorINS9_10device_ptrIjEEEESE_SE_jNS9_4plusIvEENS9_8equal_toIvEEjEE10hipError_tPvRmT2_T3_T4_T5_mT6_T7_P12ihipStream_tbENKUlT_T0_E_clISt17integral_constantIbLb1EESY_IbLb0EEEEDaSU_SV_EUlSU_E_NS1_11comp_targetILNS1_3genE10ELNS1_11target_archE1200ELNS1_3gpuE4ELNS1_3repE0EEENS1_30default_config_static_selectorELNS0_4arch9wavefront6targetE0EEEvT1_, .Lfunc_end1852-_ZN7rocprim17ROCPRIM_400000_NS6detail17trampoline_kernelINS0_14default_configENS1_27scan_by_key_config_selectorIjjEEZZNS1_16scan_by_key_implILNS1_25lookback_scan_determinismE0ELb0ES3_N6thrust23THRUST_200600_302600_NS6detail15normal_iteratorINS9_10device_ptrIjEEEESE_SE_jNS9_4plusIvEENS9_8equal_toIvEEjEE10hipError_tPvRmT2_T3_T4_T5_mT6_T7_P12ihipStream_tbENKUlT_T0_E_clISt17integral_constantIbLb1EESY_IbLb0EEEEDaSU_SV_EUlSU_E_NS1_11comp_targetILNS1_3genE10ELNS1_11target_archE1200ELNS1_3gpuE4ELNS1_3repE0EEENS1_30default_config_static_selectorELNS0_4arch9wavefront6targetE0EEEvT1_
                                        ; -- End function
	.set _ZN7rocprim17ROCPRIM_400000_NS6detail17trampoline_kernelINS0_14default_configENS1_27scan_by_key_config_selectorIjjEEZZNS1_16scan_by_key_implILNS1_25lookback_scan_determinismE0ELb0ES3_N6thrust23THRUST_200600_302600_NS6detail15normal_iteratorINS9_10device_ptrIjEEEESE_SE_jNS9_4plusIvEENS9_8equal_toIvEEjEE10hipError_tPvRmT2_T3_T4_T5_mT6_T7_P12ihipStream_tbENKUlT_T0_E_clISt17integral_constantIbLb1EESY_IbLb0EEEEDaSU_SV_EUlSU_E_NS1_11comp_targetILNS1_3genE10ELNS1_11target_archE1200ELNS1_3gpuE4ELNS1_3repE0EEENS1_30default_config_static_selectorELNS0_4arch9wavefront6targetE0EEEvT1_.num_vgpr, 0
	.set _ZN7rocprim17ROCPRIM_400000_NS6detail17trampoline_kernelINS0_14default_configENS1_27scan_by_key_config_selectorIjjEEZZNS1_16scan_by_key_implILNS1_25lookback_scan_determinismE0ELb0ES3_N6thrust23THRUST_200600_302600_NS6detail15normal_iteratorINS9_10device_ptrIjEEEESE_SE_jNS9_4plusIvEENS9_8equal_toIvEEjEE10hipError_tPvRmT2_T3_T4_T5_mT6_T7_P12ihipStream_tbENKUlT_T0_E_clISt17integral_constantIbLb1EESY_IbLb0EEEEDaSU_SV_EUlSU_E_NS1_11comp_targetILNS1_3genE10ELNS1_11target_archE1200ELNS1_3gpuE4ELNS1_3repE0EEENS1_30default_config_static_selectorELNS0_4arch9wavefront6targetE0EEEvT1_.num_agpr, 0
	.set _ZN7rocprim17ROCPRIM_400000_NS6detail17trampoline_kernelINS0_14default_configENS1_27scan_by_key_config_selectorIjjEEZZNS1_16scan_by_key_implILNS1_25lookback_scan_determinismE0ELb0ES3_N6thrust23THRUST_200600_302600_NS6detail15normal_iteratorINS9_10device_ptrIjEEEESE_SE_jNS9_4plusIvEENS9_8equal_toIvEEjEE10hipError_tPvRmT2_T3_T4_T5_mT6_T7_P12ihipStream_tbENKUlT_T0_E_clISt17integral_constantIbLb1EESY_IbLb0EEEEDaSU_SV_EUlSU_E_NS1_11comp_targetILNS1_3genE10ELNS1_11target_archE1200ELNS1_3gpuE4ELNS1_3repE0EEENS1_30default_config_static_selectorELNS0_4arch9wavefront6targetE0EEEvT1_.numbered_sgpr, 0
	.set _ZN7rocprim17ROCPRIM_400000_NS6detail17trampoline_kernelINS0_14default_configENS1_27scan_by_key_config_selectorIjjEEZZNS1_16scan_by_key_implILNS1_25lookback_scan_determinismE0ELb0ES3_N6thrust23THRUST_200600_302600_NS6detail15normal_iteratorINS9_10device_ptrIjEEEESE_SE_jNS9_4plusIvEENS9_8equal_toIvEEjEE10hipError_tPvRmT2_T3_T4_T5_mT6_T7_P12ihipStream_tbENKUlT_T0_E_clISt17integral_constantIbLb1EESY_IbLb0EEEEDaSU_SV_EUlSU_E_NS1_11comp_targetILNS1_3genE10ELNS1_11target_archE1200ELNS1_3gpuE4ELNS1_3repE0EEENS1_30default_config_static_selectorELNS0_4arch9wavefront6targetE0EEEvT1_.num_named_barrier, 0
	.set _ZN7rocprim17ROCPRIM_400000_NS6detail17trampoline_kernelINS0_14default_configENS1_27scan_by_key_config_selectorIjjEEZZNS1_16scan_by_key_implILNS1_25lookback_scan_determinismE0ELb0ES3_N6thrust23THRUST_200600_302600_NS6detail15normal_iteratorINS9_10device_ptrIjEEEESE_SE_jNS9_4plusIvEENS9_8equal_toIvEEjEE10hipError_tPvRmT2_T3_T4_T5_mT6_T7_P12ihipStream_tbENKUlT_T0_E_clISt17integral_constantIbLb1EESY_IbLb0EEEEDaSU_SV_EUlSU_E_NS1_11comp_targetILNS1_3genE10ELNS1_11target_archE1200ELNS1_3gpuE4ELNS1_3repE0EEENS1_30default_config_static_selectorELNS0_4arch9wavefront6targetE0EEEvT1_.private_seg_size, 0
	.set _ZN7rocprim17ROCPRIM_400000_NS6detail17trampoline_kernelINS0_14default_configENS1_27scan_by_key_config_selectorIjjEEZZNS1_16scan_by_key_implILNS1_25lookback_scan_determinismE0ELb0ES3_N6thrust23THRUST_200600_302600_NS6detail15normal_iteratorINS9_10device_ptrIjEEEESE_SE_jNS9_4plusIvEENS9_8equal_toIvEEjEE10hipError_tPvRmT2_T3_T4_T5_mT6_T7_P12ihipStream_tbENKUlT_T0_E_clISt17integral_constantIbLb1EESY_IbLb0EEEEDaSU_SV_EUlSU_E_NS1_11comp_targetILNS1_3genE10ELNS1_11target_archE1200ELNS1_3gpuE4ELNS1_3repE0EEENS1_30default_config_static_selectorELNS0_4arch9wavefront6targetE0EEEvT1_.uses_vcc, 0
	.set _ZN7rocprim17ROCPRIM_400000_NS6detail17trampoline_kernelINS0_14default_configENS1_27scan_by_key_config_selectorIjjEEZZNS1_16scan_by_key_implILNS1_25lookback_scan_determinismE0ELb0ES3_N6thrust23THRUST_200600_302600_NS6detail15normal_iteratorINS9_10device_ptrIjEEEESE_SE_jNS9_4plusIvEENS9_8equal_toIvEEjEE10hipError_tPvRmT2_T3_T4_T5_mT6_T7_P12ihipStream_tbENKUlT_T0_E_clISt17integral_constantIbLb1EESY_IbLb0EEEEDaSU_SV_EUlSU_E_NS1_11comp_targetILNS1_3genE10ELNS1_11target_archE1200ELNS1_3gpuE4ELNS1_3repE0EEENS1_30default_config_static_selectorELNS0_4arch9wavefront6targetE0EEEvT1_.uses_flat_scratch, 0
	.set _ZN7rocprim17ROCPRIM_400000_NS6detail17trampoline_kernelINS0_14default_configENS1_27scan_by_key_config_selectorIjjEEZZNS1_16scan_by_key_implILNS1_25lookback_scan_determinismE0ELb0ES3_N6thrust23THRUST_200600_302600_NS6detail15normal_iteratorINS9_10device_ptrIjEEEESE_SE_jNS9_4plusIvEENS9_8equal_toIvEEjEE10hipError_tPvRmT2_T3_T4_T5_mT6_T7_P12ihipStream_tbENKUlT_T0_E_clISt17integral_constantIbLb1EESY_IbLb0EEEEDaSU_SV_EUlSU_E_NS1_11comp_targetILNS1_3genE10ELNS1_11target_archE1200ELNS1_3gpuE4ELNS1_3repE0EEENS1_30default_config_static_selectorELNS0_4arch9wavefront6targetE0EEEvT1_.has_dyn_sized_stack, 0
	.set _ZN7rocprim17ROCPRIM_400000_NS6detail17trampoline_kernelINS0_14default_configENS1_27scan_by_key_config_selectorIjjEEZZNS1_16scan_by_key_implILNS1_25lookback_scan_determinismE0ELb0ES3_N6thrust23THRUST_200600_302600_NS6detail15normal_iteratorINS9_10device_ptrIjEEEESE_SE_jNS9_4plusIvEENS9_8equal_toIvEEjEE10hipError_tPvRmT2_T3_T4_T5_mT6_T7_P12ihipStream_tbENKUlT_T0_E_clISt17integral_constantIbLb1EESY_IbLb0EEEEDaSU_SV_EUlSU_E_NS1_11comp_targetILNS1_3genE10ELNS1_11target_archE1200ELNS1_3gpuE4ELNS1_3repE0EEENS1_30default_config_static_selectorELNS0_4arch9wavefront6targetE0EEEvT1_.has_recursion, 0
	.set _ZN7rocprim17ROCPRIM_400000_NS6detail17trampoline_kernelINS0_14default_configENS1_27scan_by_key_config_selectorIjjEEZZNS1_16scan_by_key_implILNS1_25lookback_scan_determinismE0ELb0ES3_N6thrust23THRUST_200600_302600_NS6detail15normal_iteratorINS9_10device_ptrIjEEEESE_SE_jNS9_4plusIvEENS9_8equal_toIvEEjEE10hipError_tPvRmT2_T3_T4_T5_mT6_T7_P12ihipStream_tbENKUlT_T0_E_clISt17integral_constantIbLb1EESY_IbLb0EEEEDaSU_SV_EUlSU_E_NS1_11comp_targetILNS1_3genE10ELNS1_11target_archE1200ELNS1_3gpuE4ELNS1_3repE0EEENS1_30default_config_static_selectorELNS0_4arch9wavefront6targetE0EEEvT1_.has_indirect_call, 0
	.section	.AMDGPU.csdata,"",@progbits
; Kernel info:
; codeLenInByte = 0
; TotalNumSgprs: 0
; NumVgprs: 0
; ScratchSize: 0
; MemoryBound: 0
; FloatMode: 240
; IeeeMode: 1
; LDSByteSize: 0 bytes/workgroup (compile time only)
; SGPRBlocks: 0
; VGPRBlocks: 0
; NumSGPRsForWavesPerEU: 1
; NumVGPRsForWavesPerEU: 1
; NamedBarCnt: 0
; Occupancy: 16
; WaveLimiterHint : 0
; COMPUTE_PGM_RSRC2:SCRATCH_EN: 0
; COMPUTE_PGM_RSRC2:USER_SGPR: 2
; COMPUTE_PGM_RSRC2:TRAP_HANDLER: 0
; COMPUTE_PGM_RSRC2:TGID_X_EN: 1
; COMPUTE_PGM_RSRC2:TGID_Y_EN: 0
; COMPUTE_PGM_RSRC2:TGID_Z_EN: 0
; COMPUTE_PGM_RSRC2:TIDIG_COMP_CNT: 0
	.section	.text._ZN7rocprim17ROCPRIM_400000_NS6detail17trampoline_kernelINS0_14default_configENS1_27scan_by_key_config_selectorIjjEEZZNS1_16scan_by_key_implILNS1_25lookback_scan_determinismE0ELb0ES3_N6thrust23THRUST_200600_302600_NS6detail15normal_iteratorINS9_10device_ptrIjEEEESE_SE_jNS9_4plusIvEENS9_8equal_toIvEEjEE10hipError_tPvRmT2_T3_T4_T5_mT6_T7_P12ihipStream_tbENKUlT_T0_E_clISt17integral_constantIbLb1EESY_IbLb0EEEEDaSU_SV_EUlSU_E_NS1_11comp_targetILNS1_3genE9ELNS1_11target_archE1100ELNS1_3gpuE3ELNS1_3repE0EEENS1_30default_config_static_selectorELNS0_4arch9wavefront6targetE0EEEvT1_,"axG",@progbits,_ZN7rocprim17ROCPRIM_400000_NS6detail17trampoline_kernelINS0_14default_configENS1_27scan_by_key_config_selectorIjjEEZZNS1_16scan_by_key_implILNS1_25lookback_scan_determinismE0ELb0ES3_N6thrust23THRUST_200600_302600_NS6detail15normal_iteratorINS9_10device_ptrIjEEEESE_SE_jNS9_4plusIvEENS9_8equal_toIvEEjEE10hipError_tPvRmT2_T3_T4_T5_mT6_T7_P12ihipStream_tbENKUlT_T0_E_clISt17integral_constantIbLb1EESY_IbLb0EEEEDaSU_SV_EUlSU_E_NS1_11comp_targetILNS1_3genE9ELNS1_11target_archE1100ELNS1_3gpuE3ELNS1_3repE0EEENS1_30default_config_static_selectorELNS0_4arch9wavefront6targetE0EEEvT1_,comdat
	.protected	_ZN7rocprim17ROCPRIM_400000_NS6detail17trampoline_kernelINS0_14default_configENS1_27scan_by_key_config_selectorIjjEEZZNS1_16scan_by_key_implILNS1_25lookback_scan_determinismE0ELb0ES3_N6thrust23THRUST_200600_302600_NS6detail15normal_iteratorINS9_10device_ptrIjEEEESE_SE_jNS9_4plusIvEENS9_8equal_toIvEEjEE10hipError_tPvRmT2_T3_T4_T5_mT6_T7_P12ihipStream_tbENKUlT_T0_E_clISt17integral_constantIbLb1EESY_IbLb0EEEEDaSU_SV_EUlSU_E_NS1_11comp_targetILNS1_3genE9ELNS1_11target_archE1100ELNS1_3gpuE3ELNS1_3repE0EEENS1_30default_config_static_selectorELNS0_4arch9wavefront6targetE0EEEvT1_ ; -- Begin function _ZN7rocprim17ROCPRIM_400000_NS6detail17trampoline_kernelINS0_14default_configENS1_27scan_by_key_config_selectorIjjEEZZNS1_16scan_by_key_implILNS1_25lookback_scan_determinismE0ELb0ES3_N6thrust23THRUST_200600_302600_NS6detail15normal_iteratorINS9_10device_ptrIjEEEESE_SE_jNS9_4plusIvEENS9_8equal_toIvEEjEE10hipError_tPvRmT2_T3_T4_T5_mT6_T7_P12ihipStream_tbENKUlT_T0_E_clISt17integral_constantIbLb1EESY_IbLb0EEEEDaSU_SV_EUlSU_E_NS1_11comp_targetILNS1_3genE9ELNS1_11target_archE1100ELNS1_3gpuE3ELNS1_3repE0EEENS1_30default_config_static_selectorELNS0_4arch9wavefront6targetE0EEEvT1_
	.globl	_ZN7rocprim17ROCPRIM_400000_NS6detail17trampoline_kernelINS0_14default_configENS1_27scan_by_key_config_selectorIjjEEZZNS1_16scan_by_key_implILNS1_25lookback_scan_determinismE0ELb0ES3_N6thrust23THRUST_200600_302600_NS6detail15normal_iteratorINS9_10device_ptrIjEEEESE_SE_jNS9_4plusIvEENS9_8equal_toIvEEjEE10hipError_tPvRmT2_T3_T4_T5_mT6_T7_P12ihipStream_tbENKUlT_T0_E_clISt17integral_constantIbLb1EESY_IbLb0EEEEDaSU_SV_EUlSU_E_NS1_11comp_targetILNS1_3genE9ELNS1_11target_archE1100ELNS1_3gpuE3ELNS1_3repE0EEENS1_30default_config_static_selectorELNS0_4arch9wavefront6targetE0EEEvT1_
	.p2align	8
	.type	_ZN7rocprim17ROCPRIM_400000_NS6detail17trampoline_kernelINS0_14default_configENS1_27scan_by_key_config_selectorIjjEEZZNS1_16scan_by_key_implILNS1_25lookback_scan_determinismE0ELb0ES3_N6thrust23THRUST_200600_302600_NS6detail15normal_iteratorINS9_10device_ptrIjEEEESE_SE_jNS9_4plusIvEENS9_8equal_toIvEEjEE10hipError_tPvRmT2_T3_T4_T5_mT6_T7_P12ihipStream_tbENKUlT_T0_E_clISt17integral_constantIbLb1EESY_IbLb0EEEEDaSU_SV_EUlSU_E_NS1_11comp_targetILNS1_3genE9ELNS1_11target_archE1100ELNS1_3gpuE3ELNS1_3repE0EEENS1_30default_config_static_selectorELNS0_4arch9wavefront6targetE0EEEvT1_,@function
_ZN7rocprim17ROCPRIM_400000_NS6detail17trampoline_kernelINS0_14default_configENS1_27scan_by_key_config_selectorIjjEEZZNS1_16scan_by_key_implILNS1_25lookback_scan_determinismE0ELb0ES3_N6thrust23THRUST_200600_302600_NS6detail15normal_iteratorINS9_10device_ptrIjEEEESE_SE_jNS9_4plusIvEENS9_8equal_toIvEEjEE10hipError_tPvRmT2_T3_T4_T5_mT6_T7_P12ihipStream_tbENKUlT_T0_E_clISt17integral_constantIbLb1EESY_IbLb0EEEEDaSU_SV_EUlSU_E_NS1_11comp_targetILNS1_3genE9ELNS1_11target_archE1100ELNS1_3gpuE3ELNS1_3repE0EEENS1_30default_config_static_selectorELNS0_4arch9wavefront6targetE0EEEvT1_: ; @_ZN7rocprim17ROCPRIM_400000_NS6detail17trampoline_kernelINS0_14default_configENS1_27scan_by_key_config_selectorIjjEEZZNS1_16scan_by_key_implILNS1_25lookback_scan_determinismE0ELb0ES3_N6thrust23THRUST_200600_302600_NS6detail15normal_iteratorINS9_10device_ptrIjEEEESE_SE_jNS9_4plusIvEENS9_8equal_toIvEEjEE10hipError_tPvRmT2_T3_T4_T5_mT6_T7_P12ihipStream_tbENKUlT_T0_E_clISt17integral_constantIbLb1EESY_IbLb0EEEEDaSU_SV_EUlSU_E_NS1_11comp_targetILNS1_3genE9ELNS1_11target_archE1100ELNS1_3gpuE3ELNS1_3repE0EEENS1_30default_config_static_selectorELNS0_4arch9wavefront6targetE0EEEvT1_
; %bb.0:
	.section	.rodata,"a",@progbits
	.p2align	6, 0x0
	.amdhsa_kernel _ZN7rocprim17ROCPRIM_400000_NS6detail17trampoline_kernelINS0_14default_configENS1_27scan_by_key_config_selectorIjjEEZZNS1_16scan_by_key_implILNS1_25lookback_scan_determinismE0ELb0ES3_N6thrust23THRUST_200600_302600_NS6detail15normal_iteratorINS9_10device_ptrIjEEEESE_SE_jNS9_4plusIvEENS9_8equal_toIvEEjEE10hipError_tPvRmT2_T3_T4_T5_mT6_T7_P12ihipStream_tbENKUlT_T0_E_clISt17integral_constantIbLb1EESY_IbLb0EEEEDaSU_SV_EUlSU_E_NS1_11comp_targetILNS1_3genE9ELNS1_11target_archE1100ELNS1_3gpuE3ELNS1_3repE0EEENS1_30default_config_static_selectorELNS0_4arch9wavefront6targetE0EEEvT1_
		.amdhsa_group_segment_fixed_size 0
		.amdhsa_private_segment_fixed_size 0
		.amdhsa_kernarg_size 112
		.amdhsa_user_sgpr_count 2
		.amdhsa_user_sgpr_dispatch_ptr 0
		.amdhsa_user_sgpr_queue_ptr 0
		.amdhsa_user_sgpr_kernarg_segment_ptr 1
		.amdhsa_user_sgpr_dispatch_id 0
		.amdhsa_user_sgpr_kernarg_preload_length 0
		.amdhsa_user_sgpr_kernarg_preload_offset 0
		.amdhsa_user_sgpr_private_segment_size 0
		.amdhsa_wavefront_size32 1
		.amdhsa_uses_dynamic_stack 0
		.amdhsa_enable_private_segment 0
		.amdhsa_system_sgpr_workgroup_id_x 1
		.amdhsa_system_sgpr_workgroup_id_y 0
		.amdhsa_system_sgpr_workgroup_id_z 0
		.amdhsa_system_sgpr_workgroup_info 0
		.amdhsa_system_vgpr_workitem_id 0
		.amdhsa_next_free_vgpr 1
		.amdhsa_next_free_sgpr 1
		.amdhsa_named_barrier_count 0
		.amdhsa_reserve_vcc 0
		.amdhsa_float_round_mode_32 0
		.amdhsa_float_round_mode_16_64 0
		.amdhsa_float_denorm_mode_32 3
		.amdhsa_float_denorm_mode_16_64 3
		.amdhsa_fp16_overflow 0
		.amdhsa_memory_ordered 1
		.amdhsa_forward_progress 1
		.amdhsa_inst_pref_size 0
		.amdhsa_round_robin_scheduling 0
		.amdhsa_exception_fp_ieee_invalid_op 0
		.amdhsa_exception_fp_denorm_src 0
		.amdhsa_exception_fp_ieee_div_zero 0
		.amdhsa_exception_fp_ieee_overflow 0
		.amdhsa_exception_fp_ieee_underflow 0
		.amdhsa_exception_fp_ieee_inexact 0
		.amdhsa_exception_int_div_zero 0
	.end_amdhsa_kernel
	.section	.text._ZN7rocprim17ROCPRIM_400000_NS6detail17trampoline_kernelINS0_14default_configENS1_27scan_by_key_config_selectorIjjEEZZNS1_16scan_by_key_implILNS1_25lookback_scan_determinismE0ELb0ES3_N6thrust23THRUST_200600_302600_NS6detail15normal_iteratorINS9_10device_ptrIjEEEESE_SE_jNS9_4plusIvEENS9_8equal_toIvEEjEE10hipError_tPvRmT2_T3_T4_T5_mT6_T7_P12ihipStream_tbENKUlT_T0_E_clISt17integral_constantIbLb1EESY_IbLb0EEEEDaSU_SV_EUlSU_E_NS1_11comp_targetILNS1_3genE9ELNS1_11target_archE1100ELNS1_3gpuE3ELNS1_3repE0EEENS1_30default_config_static_selectorELNS0_4arch9wavefront6targetE0EEEvT1_,"axG",@progbits,_ZN7rocprim17ROCPRIM_400000_NS6detail17trampoline_kernelINS0_14default_configENS1_27scan_by_key_config_selectorIjjEEZZNS1_16scan_by_key_implILNS1_25lookback_scan_determinismE0ELb0ES3_N6thrust23THRUST_200600_302600_NS6detail15normal_iteratorINS9_10device_ptrIjEEEESE_SE_jNS9_4plusIvEENS9_8equal_toIvEEjEE10hipError_tPvRmT2_T3_T4_T5_mT6_T7_P12ihipStream_tbENKUlT_T0_E_clISt17integral_constantIbLb1EESY_IbLb0EEEEDaSU_SV_EUlSU_E_NS1_11comp_targetILNS1_3genE9ELNS1_11target_archE1100ELNS1_3gpuE3ELNS1_3repE0EEENS1_30default_config_static_selectorELNS0_4arch9wavefront6targetE0EEEvT1_,comdat
.Lfunc_end1853:
	.size	_ZN7rocprim17ROCPRIM_400000_NS6detail17trampoline_kernelINS0_14default_configENS1_27scan_by_key_config_selectorIjjEEZZNS1_16scan_by_key_implILNS1_25lookback_scan_determinismE0ELb0ES3_N6thrust23THRUST_200600_302600_NS6detail15normal_iteratorINS9_10device_ptrIjEEEESE_SE_jNS9_4plusIvEENS9_8equal_toIvEEjEE10hipError_tPvRmT2_T3_T4_T5_mT6_T7_P12ihipStream_tbENKUlT_T0_E_clISt17integral_constantIbLb1EESY_IbLb0EEEEDaSU_SV_EUlSU_E_NS1_11comp_targetILNS1_3genE9ELNS1_11target_archE1100ELNS1_3gpuE3ELNS1_3repE0EEENS1_30default_config_static_selectorELNS0_4arch9wavefront6targetE0EEEvT1_, .Lfunc_end1853-_ZN7rocprim17ROCPRIM_400000_NS6detail17trampoline_kernelINS0_14default_configENS1_27scan_by_key_config_selectorIjjEEZZNS1_16scan_by_key_implILNS1_25lookback_scan_determinismE0ELb0ES3_N6thrust23THRUST_200600_302600_NS6detail15normal_iteratorINS9_10device_ptrIjEEEESE_SE_jNS9_4plusIvEENS9_8equal_toIvEEjEE10hipError_tPvRmT2_T3_T4_T5_mT6_T7_P12ihipStream_tbENKUlT_T0_E_clISt17integral_constantIbLb1EESY_IbLb0EEEEDaSU_SV_EUlSU_E_NS1_11comp_targetILNS1_3genE9ELNS1_11target_archE1100ELNS1_3gpuE3ELNS1_3repE0EEENS1_30default_config_static_selectorELNS0_4arch9wavefront6targetE0EEEvT1_
                                        ; -- End function
	.set _ZN7rocprim17ROCPRIM_400000_NS6detail17trampoline_kernelINS0_14default_configENS1_27scan_by_key_config_selectorIjjEEZZNS1_16scan_by_key_implILNS1_25lookback_scan_determinismE0ELb0ES3_N6thrust23THRUST_200600_302600_NS6detail15normal_iteratorINS9_10device_ptrIjEEEESE_SE_jNS9_4plusIvEENS9_8equal_toIvEEjEE10hipError_tPvRmT2_T3_T4_T5_mT6_T7_P12ihipStream_tbENKUlT_T0_E_clISt17integral_constantIbLb1EESY_IbLb0EEEEDaSU_SV_EUlSU_E_NS1_11comp_targetILNS1_3genE9ELNS1_11target_archE1100ELNS1_3gpuE3ELNS1_3repE0EEENS1_30default_config_static_selectorELNS0_4arch9wavefront6targetE0EEEvT1_.num_vgpr, 0
	.set _ZN7rocprim17ROCPRIM_400000_NS6detail17trampoline_kernelINS0_14default_configENS1_27scan_by_key_config_selectorIjjEEZZNS1_16scan_by_key_implILNS1_25lookback_scan_determinismE0ELb0ES3_N6thrust23THRUST_200600_302600_NS6detail15normal_iteratorINS9_10device_ptrIjEEEESE_SE_jNS9_4plusIvEENS9_8equal_toIvEEjEE10hipError_tPvRmT2_T3_T4_T5_mT6_T7_P12ihipStream_tbENKUlT_T0_E_clISt17integral_constantIbLb1EESY_IbLb0EEEEDaSU_SV_EUlSU_E_NS1_11comp_targetILNS1_3genE9ELNS1_11target_archE1100ELNS1_3gpuE3ELNS1_3repE0EEENS1_30default_config_static_selectorELNS0_4arch9wavefront6targetE0EEEvT1_.num_agpr, 0
	.set _ZN7rocprim17ROCPRIM_400000_NS6detail17trampoline_kernelINS0_14default_configENS1_27scan_by_key_config_selectorIjjEEZZNS1_16scan_by_key_implILNS1_25lookback_scan_determinismE0ELb0ES3_N6thrust23THRUST_200600_302600_NS6detail15normal_iteratorINS9_10device_ptrIjEEEESE_SE_jNS9_4plusIvEENS9_8equal_toIvEEjEE10hipError_tPvRmT2_T3_T4_T5_mT6_T7_P12ihipStream_tbENKUlT_T0_E_clISt17integral_constantIbLb1EESY_IbLb0EEEEDaSU_SV_EUlSU_E_NS1_11comp_targetILNS1_3genE9ELNS1_11target_archE1100ELNS1_3gpuE3ELNS1_3repE0EEENS1_30default_config_static_selectorELNS0_4arch9wavefront6targetE0EEEvT1_.numbered_sgpr, 0
	.set _ZN7rocprim17ROCPRIM_400000_NS6detail17trampoline_kernelINS0_14default_configENS1_27scan_by_key_config_selectorIjjEEZZNS1_16scan_by_key_implILNS1_25lookback_scan_determinismE0ELb0ES3_N6thrust23THRUST_200600_302600_NS6detail15normal_iteratorINS9_10device_ptrIjEEEESE_SE_jNS9_4plusIvEENS9_8equal_toIvEEjEE10hipError_tPvRmT2_T3_T4_T5_mT6_T7_P12ihipStream_tbENKUlT_T0_E_clISt17integral_constantIbLb1EESY_IbLb0EEEEDaSU_SV_EUlSU_E_NS1_11comp_targetILNS1_3genE9ELNS1_11target_archE1100ELNS1_3gpuE3ELNS1_3repE0EEENS1_30default_config_static_selectorELNS0_4arch9wavefront6targetE0EEEvT1_.num_named_barrier, 0
	.set _ZN7rocprim17ROCPRIM_400000_NS6detail17trampoline_kernelINS0_14default_configENS1_27scan_by_key_config_selectorIjjEEZZNS1_16scan_by_key_implILNS1_25lookback_scan_determinismE0ELb0ES3_N6thrust23THRUST_200600_302600_NS6detail15normal_iteratorINS9_10device_ptrIjEEEESE_SE_jNS9_4plusIvEENS9_8equal_toIvEEjEE10hipError_tPvRmT2_T3_T4_T5_mT6_T7_P12ihipStream_tbENKUlT_T0_E_clISt17integral_constantIbLb1EESY_IbLb0EEEEDaSU_SV_EUlSU_E_NS1_11comp_targetILNS1_3genE9ELNS1_11target_archE1100ELNS1_3gpuE3ELNS1_3repE0EEENS1_30default_config_static_selectorELNS0_4arch9wavefront6targetE0EEEvT1_.private_seg_size, 0
	.set _ZN7rocprim17ROCPRIM_400000_NS6detail17trampoline_kernelINS0_14default_configENS1_27scan_by_key_config_selectorIjjEEZZNS1_16scan_by_key_implILNS1_25lookback_scan_determinismE0ELb0ES3_N6thrust23THRUST_200600_302600_NS6detail15normal_iteratorINS9_10device_ptrIjEEEESE_SE_jNS9_4plusIvEENS9_8equal_toIvEEjEE10hipError_tPvRmT2_T3_T4_T5_mT6_T7_P12ihipStream_tbENKUlT_T0_E_clISt17integral_constantIbLb1EESY_IbLb0EEEEDaSU_SV_EUlSU_E_NS1_11comp_targetILNS1_3genE9ELNS1_11target_archE1100ELNS1_3gpuE3ELNS1_3repE0EEENS1_30default_config_static_selectorELNS0_4arch9wavefront6targetE0EEEvT1_.uses_vcc, 0
	.set _ZN7rocprim17ROCPRIM_400000_NS6detail17trampoline_kernelINS0_14default_configENS1_27scan_by_key_config_selectorIjjEEZZNS1_16scan_by_key_implILNS1_25lookback_scan_determinismE0ELb0ES3_N6thrust23THRUST_200600_302600_NS6detail15normal_iteratorINS9_10device_ptrIjEEEESE_SE_jNS9_4plusIvEENS9_8equal_toIvEEjEE10hipError_tPvRmT2_T3_T4_T5_mT6_T7_P12ihipStream_tbENKUlT_T0_E_clISt17integral_constantIbLb1EESY_IbLb0EEEEDaSU_SV_EUlSU_E_NS1_11comp_targetILNS1_3genE9ELNS1_11target_archE1100ELNS1_3gpuE3ELNS1_3repE0EEENS1_30default_config_static_selectorELNS0_4arch9wavefront6targetE0EEEvT1_.uses_flat_scratch, 0
	.set _ZN7rocprim17ROCPRIM_400000_NS6detail17trampoline_kernelINS0_14default_configENS1_27scan_by_key_config_selectorIjjEEZZNS1_16scan_by_key_implILNS1_25lookback_scan_determinismE0ELb0ES3_N6thrust23THRUST_200600_302600_NS6detail15normal_iteratorINS9_10device_ptrIjEEEESE_SE_jNS9_4plusIvEENS9_8equal_toIvEEjEE10hipError_tPvRmT2_T3_T4_T5_mT6_T7_P12ihipStream_tbENKUlT_T0_E_clISt17integral_constantIbLb1EESY_IbLb0EEEEDaSU_SV_EUlSU_E_NS1_11comp_targetILNS1_3genE9ELNS1_11target_archE1100ELNS1_3gpuE3ELNS1_3repE0EEENS1_30default_config_static_selectorELNS0_4arch9wavefront6targetE0EEEvT1_.has_dyn_sized_stack, 0
	.set _ZN7rocprim17ROCPRIM_400000_NS6detail17trampoline_kernelINS0_14default_configENS1_27scan_by_key_config_selectorIjjEEZZNS1_16scan_by_key_implILNS1_25lookback_scan_determinismE0ELb0ES3_N6thrust23THRUST_200600_302600_NS6detail15normal_iteratorINS9_10device_ptrIjEEEESE_SE_jNS9_4plusIvEENS9_8equal_toIvEEjEE10hipError_tPvRmT2_T3_T4_T5_mT6_T7_P12ihipStream_tbENKUlT_T0_E_clISt17integral_constantIbLb1EESY_IbLb0EEEEDaSU_SV_EUlSU_E_NS1_11comp_targetILNS1_3genE9ELNS1_11target_archE1100ELNS1_3gpuE3ELNS1_3repE0EEENS1_30default_config_static_selectorELNS0_4arch9wavefront6targetE0EEEvT1_.has_recursion, 0
	.set _ZN7rocprim17ROCPRIM_400000_NS6detail17trampoline_kernelINS0_14default_configENS1_27scan_by_key_config_selectorIjjEEZZNS1_16scan_by_key_implILNS1_25lookback_scan_determinismE0ELb0ES3_N6thrust23THRUST_200600_302600_NS6detail15normal_iteratorINS9_10device_ptrIjEEEESE_SE_jNS9_4plusIvEENS9_8equal_toIvEEjEE10hipError_tPvRmT2_T3_T4_T5_mT6_T7_P12ihipStream_tbENKUlT_T0_E_clISt17integral_constantIbLb1EESY_IbLb0EEEEDaSU_SV_EUlSU_E_NS1_11comp_targetILNS1_3genE9ELNS1_11target_archE1100ELNS1_3gpuE3ELNS1_3repE0EEENS1_30default_config_static_selectorELNS0_4arch9wavefront6targetE0EEEvT1_.has_indirect_call, 0
	.section	.AMDGPU.csdata,"",@progbits
; Kernel info:
; codeLenInByte = 0
; TotalNumSgprs: 0
; NumVgprs: 0
; ScratchSize: 0
; MemoryBound: 0
; FloatMode: 240
; IeeeMode: 1
; LDSByteSize: 0 bytes/workgroup (compile time only)
; SGPRBlocks: 0
; VGPRBlocks: 0
; NumSGPRsForWavesPerEU: 1
; NumVGPRsForWavesPerEU: 1
; NamedBarCnt: 0
; Occupancy: 16
; WaveLimiterHint : 0
; COMPUTE_PGM_RSRC2:SCRATCH_EN: 0
; COMPUTE_PGM_RSRC2:USER_SGPR: 2
; COMPUTE_PGM_RSRC2:TRAP_HANDLER: 0
; COMPUTE_PGM_RSRC2:TGID_X_EN: 1
; COMPUTE_PGM_RSRC2:TGID_Y_EN: 0
; COMPUTE_PGM_RSRC2:TGID_Z_EN: 0
; COMPUTE_PGM_RSRC2:TIDIG_COMP_CNT: 0
	.section	.text._ZN7rocprim17ROCPRIM_400000_NS6detail17trampoline_kernelINS0_14default_configENS1_27scan_by_key_config_selectorIjjEEZZNS1_16scan_by_key_implILNS1_25lookback_scan_determinismE0ELb0ES3_N6thrust23THRUST_200600_302600_NS6detail15normal_iteratorINS9_10device_ptrIjEEEESE_SE_jNS9_4plusIvEENS9_8equal_toIvEEjEE10hipError_tPvRmT2_T3_T4_T5_mT6_T7_P12ihipStream_tbENKUlT_T0_E_clISt17integral_constantIbLb1EESY_IbLb0EEEEDaSU_SV_EUlSU_E_NS1_11comp_targetILNS1_3genE8ELNS1_11target_archE1030ELNS1_3gpuE2ELNS1_3repE0EEENS1_30default_config_static_selectorELNS0_4arch9wavefront6targetE0EEEvT1_,"axG",@progbits,_ZN7rocprim17ROCPRIM_400000_NS6detail17trampoline_kernelINS0_14default_configENS1_27scan_by_key_config_selectorIjjEEZZNS1_16scan_by_key_implILNS1_25lookback_scan_determinismE0ELb0ES3_N6thrust23THRUST_200600_302600_NS6detail15normal_iteratorINS9_10device_ptrIjEEEESE_SE_jNS9_4plusIvEENS9_8equal_toIvEEjEE10hipError_tPvRmT2_T3_T4_T5_mT6_T7_P12ihipStream_tbENKUlT_T0_E_clISt17integral_constantIbLb1EESY_IbLb0EEEEDaSU_SV_EUlSU_E_NS1_11comp_targetILNS1_3genE8ELNS1_11target_archE1030ELNS1_3gpuE2ELNS1_3repE0EEENS1_30default_config_static_selectorELNS0_4arch9wavefront6targetE0EEEvT1_,comdat
	.protected	_ZN7rocprim17ROCPRIM_400000_NS6detail17trampoline_kernelINS0_14default_configENS1_27scan_by_key_config_selectorIjjEEZZNS1_16scan_by_key_implILNS1_25lookback_scan_determinismE0ELb0ES3_N6thrust23THRUST_200600_302600_NS6detail15normal_iteratorINS9_10device_ptrIjEEEESE_SE_jNS9_4plusIvEENS9_8equal_toIvEEjEE10hipError_tPvRmT2_T3_T4_T5_mT6_T7_P12ihipStream_tbENKUlT_T0_E_clISt17integral_constantIbLb1EESY_IbLb0EEEEDaSU_SV_EUlSU_E_NS1_11comp_targetILNS1_3genE8ELNS1_11target_archE1030ELNS1_3gpuE2ELNS1_3repE0EEENS1_30default_config_static_selectorELNS0_4arch9wavefront6targetE0EEEvT1_ ; -- Begin function _ZN7rocprim17ROCPRIM_400000_NS6detail17trampoline_kernelINS0_14default_configENS1_27scan_by_key_config_selectorIjjEEZZNS1_16scan_by_key_implILNS1_25lookback_scan_determinismE0ELb0ES3_N6thrust23THRUST_200600_302600_NS6detail15normal_iteratorINS9_10device_ptrIjEEEESE_SE_jNS9_4plusIvEENS9_8equal_toIvEEjEE10hipError_tPvRmT2_T3_T4_T5_mT6_T7_P12ihipStream_tbENKUlT_T0_E_clISt17integral_constantIbLb1EESY_IbLb0EEEEDaSU_SV_EUlSU_E_NS1_11comp_targetILNS1_3genE8ELNS1_11target_archE1030ELNS1_3gpuE2ELNS1_3repE0EEENS1_30default_config_static_selectorELNS0_4arch9wavefront6targetE0EEEvT1_
	.globl	_ZN7rocprim17ROCPRIM_400000_NS6detail17trampoline_kernelINS0_14default_configENS1_27scan_by_key_config_selectorIjjEEZZNS1_16scan_by_key_implILNS1_25lookback_scan_determinismE0ELb0ES3_N6thrust23THRUST_200600_302600_NS6detail15normal_iteratorINS9_10device_ptrIjEEEESE_SE_jNS9_4plusIvEENS9_8equal_toIvEEjEE10hipError_tPvRmT2_T3_T4_T5_mT6_T7_P12ihipStream_tbENKUlT_T0_E_clISt17integral_constantIbLb1EESY_IbLb0EEEEDaSU_SV_EUlSU_E_NS1_11comp_targetILNS1_3genE8ELNS1_11target_archE1030ELNS1_3gpuE2ELNS1_3repE0EEENS1_30default_config_static_selectorELNS0_4arch9wavefront6targetE0EEEvT1_
	.p2align	8
	.type	_ZN7rocprim17ROCPRIM_400000_NS6detail17trampoline_kernelINS0_14default_configENS1_27scan_by_key_config_selectorIjjEEZZNS1_16scan_by_key_implILNS1_25lookback_scan_determinismE0ELb0ES3_N6thrust23THRUST_200600_302600_NS6detail15normal_iteratorINS9_10device_ptrIjEEEESE_SE_jNS9_4plusIvEENS9_8equal_toIvEEjEE10hipError_tPvRmT2_T3_T4_T5_mT6_T7_P12ihipStream_tbENKUlT_T0_E_clISt17integral_constantIbLb1EESY_IbLb0EEEEDaSU_SV_EUlSU_E_NS1_11comp_targetILNS1_3genE8ELNS1_11target_archE1030ELNS1_3gpuE2ELNS1_3repE0EEENS1_30default_config_static_selectorELNS0_4arch9wavefront6targetE0EEEvT1_,@function
_ZN7rocprim17ROCPRIM_400000_NS6detail17trampoline_kernelINS0_14default_configENS1_27scan_by_key_config_selectorIjjEEZZNS1_16scan_by_key_implILNS1_25lookback_scan_determinismE0ELb0ES3_N6thrust23THRUST_200600_302600_NS6detail15normal_iteratorINS9_10device_ptrIjEEEESE_SE_jNS9_4plusIvEENS9_8equal_toIvEEjEE10hipError_tPvRmT2_T3_T4_T5_mT6_T7_P12ihipStream_tbENKUlT_T0_E_clISt17integral_constantIbLb1EESY_IbLb0EEEEDaSU_SV_EUlSU_E_NS1_11comp_targetILNS1_3genE8ELNS1_11target_archE1030ELNS1_3gpuE2ELNS1_3repE0EEENS1_30default_config_static_selectorELNS0_4arch9wavefront6targetE0EEEvT1_: ; @_ZN7rocprim17ROCPRIM_400000_NS6detail17trampoline_kernelINS0_14default_configENS1_27scan_by_key_config_selectorIjjEEZZNS1_16scan_by_key_implILNS1_25lookback_scan_determinismE0ELb0ES3_N6thrust23THRUST_200600_302600_NS6detail15normal_iteratorINS9_10device_ptrIjEEEESE_SE_jNS9_4plusIvEENS9_8equal_toIvEEjEE10hipError_tPvRmT2_T3_T4_T5_mT6_T7_P12ihipStream_tbENKUlT_T0_E_clISt17integral_constantIbLb1EESY_IbLb0EEEEDaSU_SV_EUlSU_E_NS1_11comp_targetILNS1_3genE8ELNS1_11target_archE1030ELNS1_3gpuE2ELNS1_3repE0EEENS1_30default_config_static_selectorELNS0_4arch9wavefront6targetE0EEEvT1_
; %bb.0:
	.section	.rodata,"a",@progbits
	.p2align	6, 0x0
	.amdhsa_kernel _ZN7rocprim17ROCPRIM_400000_NS6detail17trampoline_kernelINS0_14default_configENS1_27scan_by_key_config_selectorIjjEEZZNS1_16scan_by_key_implILNS1_25lookback_scan_determinismE0ELb0ES3_N6thrust23THRUST_200600_302600_NS6detail15normal_iteratorINS9_10device_ptrIjEEEESE_SE_jNS9_4plusIvEENS9_8equal_toIvEEjEE10hipError_tPvRmT2_T3_T4_T5_mT6_T7_P12ihipStream_tbENKUlT_T0_E_clISt17integral_constantIbLb1EESY_IbLb0EEEEDaSU_SV_EUlSU_E_NS1_11comp_targetILNS1_3genE8ELNS1_11target_archE1030ELNS1_3gpuE2ELNS1_3repE0EEENS1_30default_config_static_selectorELNS0_4arch9wavefront6targetE0EEEvT1_
		.amdhsa_group_segment_fixed_size 0
		.amdhsa_private_segment_fixed_size 0
		.amdhsa_kernarg_size 112
		.amdhsa_user_sgpr_count 2
		.amdhsa_user_sgpr_dispatch_ptr 0
		.amdhsa_user_sgpr_queue_ptr 0
		.amdhsa_user_sgpr_kernarg_segment_ptr 1
		.amdhsa_user_sgpr_dispatch_id 0
		.amdhsa_user_sgpr_kernarg_preload_length 0
		.amdhsa_user_sgpr_kernarg_preload_offset 0
		.amdhsa_user_sgpr_private_segment_size 0
		.amdhsa_wavefront_size32 1
		.amdhsa_uses_dynamic_stack 0
		.amdhsa_enable_private_segment 0
		.amdhsa_system_sgpr_workgroup_id_x 1
		.amdhsa_system_sgpr_workgroup_id_y 0
		.amdhsa_system_sgpr_workgroup_id_z 0
		.amdhsa_system_sgpr_workgroup_info 0
		.amdhsa_system_vgpr_workitem_id 0
		.amdhsa_next_free_vgpr 1
		.amdhsa_next_free_sgpr 1
		.amdhsa_named_barrier_count 0
		.amdhsa_reserve_vcc 0
		.amdhsa_float_round_mode_32 0
		.amdhsa_float_round_mode_16_64 0
		.amdhsa_float_denorm_mode_32 3
		.amdhsa_float_denorm_mode_16_64 3
		.amdhsa_fp16_overflow 0
		.amdhsa_memory_ordered 1
		.amdhsa_forward_progress 1
		.amdhsa_inst_pref_size 0
		.amdhsa_round_robin_scheduling 0
		.amdhsa_exception_fp_ieee_invalid_op 0
		.amdhsa_exception_fp_denorm_src 0
		.amdhsa_exception_fp_ieee_div_zero 0
		.amdhsa_exception_fp_ieee_overflow 0
		.amdhsa_exception_fp_ieee_underflow 0
		.amdhsa_exception_fp_ieee_inexact 0
		.amdhsa_exception_int_div_zero 0
	.end_amdhsa_kernel
	.section	.text._ZN7rocprim17ROCPRIM_400000_NS6detail17trampoline_kernelINS0_14default_configENS1_27scan_by_key_config_selectorIjjEEZZNS1_16scan_by_key_implILNS1_25lookback_scan_determinismE0ELb0ES3_N6thrust23THRUST_200600_302600_NS6detail15normal_iteratorINS9_10device_ptrIjEEEESE_SE_jNS9_4plusIvEENS9_8equal_toIvEEjEE10hipError_tPvRmT2_T3_T4_T5_mT6_T7_P12ihipStream_tbENKUlT_T0_E_clISt17integral_constantIbLb1EESY_IbLb0EEEEDaSU_SV_EUlSU_E_NS1_11comp_targetILNS1_3genE8ELNS1_11target_archE1030ELNS1_3gpuE2ELNS1_3repE0EEENS1_30default_config_static_selectorELNS0_4arch9wavefront6targetE0EEEvT1_,"axG",@progbits,_ZN7rocprim17ROCPRIM_400000_NS6detail17trampoline_kernelINS0_14default_configENS1_27scan_by_key_config_selectorIjjEEZZNS1_16scan_by_key_implILNS1_25lookback_scan_determinismE0ELb0ES3_N6thrust23THRUST_200600_302600_NS6detail15normal_iteratorINS9_10device_ptrIjEEEESE_SE_jNS9_4plusIvEENS9_8equal_toIvEEjEE10hipError_tPvRmT2_T3_T4_T5_mT6_T7_P12ihipStream_tbENKUlT_T0_E_clISt17integral_constantIbLb1EESY_IbLb0EEEEDaSU_SV_EUlSU_E_NS1_11comp_targetILNS1_3genE8ELNS1_11target_archE1030ELNS1_3gpuE2ELNS1_3repE0EEENS1_30default_config_static_selectorELNS0_4arch9wavefront6targetE0EEEvT1_,comdat
.Lfunc_end1854:
	.size	_ZN7rocprim17ROCPRIM_400000_NS6detail17trampoline_kernelINS0_14default_configENS1_27scan_by_key_config_selectorIjjEEZZNS1_16scan_by_key_implILNS1_25lookback_scan_determinismE0ELb0ES3_N6thrust23THRUST_200600_302600_NS6detail15normal_iteratorINS9_10device_ptrIjEEEESE_SE_jNS9_4plusIvEENS9_8equal_toIvEEjEE10hipError_tPvRmT2_T3_T4_T5_mT6_T7_P12ihipStream_tbENKUlT_T0_E_clISt17integral_constantIbLb1EESY_IbLb0EEEEDaSU_SV_EUlSU_E_NS1_11comp_targetILNS1_3genE8ELNS1_11target_archE1030ELNS1_3gpuE2ELNS1_3repE0EEENS1_30default_config_static_selectorELNS0_4arch9wavefront6targetE0EEEvT1_, .Lfunc_end1854-_ZN7rocprim17ROCPRIM_400000_NS6detail17trampoline_kernelINS0_14default_configENS1_27scan_by_key_config_selectorIjjEEZZNS1_16scan_by_key_implILNS1_25lookback_scan_determinismE0ELb0ES3_N6thrust23THRUST_200600_302600_NS6detail15normal_iteratorINS9_10device_ptrIjEEEESE_SE_jNS9_4plusIvEENS9_8equal_toIvEEjEE10hipError_tPvRmT2_T3_T4_T5_mT6_T7_P12ihipStream_tbENKUlT_T0_E_clISt17integral_constantIbLb1EESY_IbLb0EEEEDaSU_SV_EUlSU_E_NS1_11comp_targetILNS1_3genE8ELNS1_11target_archE1030ELNS1_3gpuE2ELNS1_3repE0EEENS1_30default_config_static_selectorELNS0_4arch9wavefront6targetE0EEEvT1_
                                        ; -- End function
	.set _ZN7rocprim17ROCPRIM_400000_NS6detail17trampoline_kernelINS0_14default_configENS1_27scan_by_key_config_selectorIjjEEZZNS1_16scan_by_key_implILNS1_25lookback_scan_determinismE0ELb0ES3_N6thrust23THRUST_200600_302600_NS6detail15normal_iteratorINS9_10device_ptrIjEEEESE_SE_jNS9_4plusIvEENS9_8equal_toIvEEjEE10hipError_tPvRmT2_T3_T4_T5_mT6_T7_P12ihipStream_tbENKUlT_T0_E_clISt17integral_constantIbLb1EESY_IbLb0EEEEDaSU_SV_EUlSU_E_NS1_11comp_targetILNS1_3genE8ELNS1_11target_archE1030ELNS1_3gpuE2ELNS1_3repE0EEENS1_30default_config_static_selectorELNS0_4arch9wavefront6targetE0EEEvT1_.num_vgpr, 0
	.set _ZN7rocprim17ROCPRIM_400000_NS6detail17trampoline_kernelINS0_14default_configENS1_27scan_by_key_config_selectorIjjEEZZNS1_16scan_by_key_implILNS1_25lookback_scan_determinismE0ELb0ES3_N6thrust23THRUST_200600_302600_NS6detail15normal_iteratorINS9_10device_ptrIjEEEESE_SE_jNS9_4plusIvEENS9_8equal_toIvEEjEE10hipError_tPvRmT2_T3_T4_T5_mT6_T7_P12ihipStream_tbENKUlT_T0_E_clISt17integral_constantIbLb1EESY_IbLb0EEEEDaSU_SV_EUlSU_E_NS1_11comp_targetILNS1_3genE8ELNS1_11target_archE1030ELNS1_3gpuE2ELNS1_3repE0EEENS1_30default_config_static_selectorELNS0_4arch9wavefront6targetE0EEEvT1_.num_agpr, 0
	.set _ZN7rocprim17ROCPRIM_400000_NS6detail17trampoline_kernelINS0_14default_configENS1_27scan_by_key_config_selectorIjjEEZZNS1_16scan_by_key_implILNS1_25lookback_scan_determinismE0ELb0ES3_N6thrust23THRUST_200600_302600_NS6detail15normal_iteratorINS9_10device_ptrIjEEEESE_SE_jNS9_4plusIvEENS9_8equal_toIvEEjEE10hipError_tPvRmT2_T3_T4_T5_mT6_T7_P12ihipStream_tbENKUlT_T0_E_clISt17integral_constantIbLb1EESY_IbLb0EEEEDaSU_SV_EUlSU_E_NS1_11comp_targetILNS1_3genE8ELNS1_11target_archE1030ELNS1_3gpuE2ELNS1_3repE0EEENS1_30default_config_static_selectorELNS0_4arch9wavefront6targetE0EEEvT1_.numbered_sgpr, 0
	.set _ZN7rocprim17ROCPRIM_400000_NS6detail17trampoline_kernelINS0_14default_configENS1_27scan_by_key_config_selectorIjjEEZZNS1_16scan_by_key_implILNS1_25lookback_scan_determinismE0ELb0ES3_N6thrust23THRUST_200600_302600_NS6detail15normal_iteratorINS9_10device_ptrIjEEEESE_SE_jNS9_4plusIvEENS9_8equal_toIvEEjEE10hipError_tPvRmT2_T3_T4_T5_mT6_T7_P12ihipStream_tbENKUlT_T0_E_clISt17integral_constantIbLb1EESY_IbLb0EEEEDaSU_SV_EUlSU_E_NS1_11comp_targetILNS1_3genE8ELNS1_11target_archE1030ELNS1_3gpuE2ELNS1_3repE0EEENS1_30default_config_static_selectorELNS0_4arch9wavefront6targetE0EEEvT1_.num_named_barrier, 0
	.set _ZN7rocprim17ROCPRIM_400000_NS6detail17trampoline_kernelINS0_14default_configENS1_27scan_by_key_config_selectorIjjEEZZNS1_16scan_by_key_implILNS1_25lookback_scan_determinismE0ELb0ES3_N6thrust23THRUST_200600_302600_NS6detail15normal_iteratorINS9_10device_ptrIjEEEESE_SE_jNS9_4plusIvEENS9_8equal_toIvEEjEE10hipError_tPvRmT2_T3_T4_T5_mT6_T7_P12ihipStream_tbENKUlT_T0_E_clISt17integral_constantIbLb1EESY_IbLb0EEEEDaSU_SV_EUlSU_E_NS1_11comp_targetILNS1_3genE8ELNS1_11target_archE1030ELNS1_3gpuE2ELNS1_3repE0EEENS1_30default_config_static_selectorELNS0_4arch9wavefront6targetE0EEEvT1_.private_seg_size, 0
	.set _ZN7rocprim17ROCPRIM_400000_NS6detail17trampoline_kernelINS0_14default_configENS1_27scan_by_key_config_selectorIjjEEZZNS1_16scan_by_key_implILNS1_25lookback_scan_determinismE0ELb0ES3_N6thrust23THRUST_200600_302600_NS6detail15normal_iteratorINS9_10device_ptrIjEEEESE_SE_jNS9_4plusIvEENS9_8equal_toIvEEjEE10hipError_tPvRmT2_T3_T4_T5_mT6_T7_P12ihipStream_tbENKUlT_T0_E_clISt17integral_constantIbLb1EESY_IbLb0EEEEDaSU_SV_EUlSU_E_NS1_11comp_targetILNS1_3genE8ELNS1_11target_archE1030ELNS1_3gpuE2ELNS1_3repE0EEENS1_30default_config_static_selectorELNS0_4arch9wavefront6targetE0EEEvT1_.uses_vcc, 0
	.set _ZN7rocprim17ROCPRIM_400000_NS6detail17trampoline_kernelINS0_14default_configENS1_27scan_by_key_config_selectorIjjEEZZNS1_16scan_by_key_implILNS1_25lookback_scan_determinismE0ELb0ES3_N6thrust23THRUST_200600_302600_NS6detail15normal_iteratorINS9_10device_ptrIjEEEESE_SE_jNS9_4plusIvEENS9_8equal_toIvEEjEE10hipError_tPvRmT2_T3_T4_T5_mT6_T7_P12ihipStream_tbENKUlT_T0_E_clISt17integral_constantIbLb1EESY_IbLb0EEEEDaSU_SV_EUlSU_E_NS1_11comp_targetILNS1_3genE8ELNS1_11target_archE1030ELNS1_3gpuE2ELNS1_3repE0EEENS1_30default_config_static_selectorELNS0_4arch9wavefront6targetE0EEEvT1_.uses_flat_scratch, 0
	.set _ZN7rocprim17ROCPRIM_400000_NS6detail17trampoline_kernelINS0_14default_configENS1_27scan_by_key_config_selectorIjjEEZZNS1_16scan_by_key_implILNS1_25lookback_scan_determinismE0ELb0ES3_N6thrust23THRUST_200600_302600_NS6detail15normal_iteratorINS9_10device_ptrIjEEEESE_SE_jNS9_4plusIvEENS9_8equal_toIvEEjEE10hipError_tPvRmT2_T3_T4_T5_mT6_T7_P12ihipStream_tbENKUlT_T0_E_clISt17integral_constantIbLb1EESY_IbLb0EEEEDaSU_SV_EUlSU_E_NS1_11comp_targetILNS1_3genE8ELNS1_11target_archE1030ELNS1_3gpuE2ELNS1_3repE0EEENS1_30default_config_static_selectorELNS0_4arch9wavefront6targetE0EEEvT1_.has_dyn_sized_stack, 0
	.set _ZN7rocprim17ROCPRIM_400000_NS6detail17trampoline_kernelINS0_14default_configENS1_27scan_by_key_config_selectorIjjEEZZNS1_16scan_by_key_implILNS1_25lookback_scan_determinismE0ELb0ES3_N6thrust23THRUST_200600_302600_NS6detail15normal_iteratorINS9_10device_ptrIjEEEESE_SE_jNS9_4plusIvEENS9_8equal_toIvEEjEE10hipError_tPvRmT2_T3_T4_T5_mT6_T7_P12ihipStream_tbENKUlT_T0_E_clISt17integral_constantIbLb1EESY_IbLb0EEEEDaSU_SV_EUlSU_E_NS1_11comp_targetILNS1_3genE8ELNS1_11target_archE1030ELNS1_3gpuE2ELNS1_3repE0EEENS1_30default_config_static_selectorELNS0_4arch9wavefront6targetE0EEEvT1_.has_recursion, 0
	.set _ZN7rocprim17ROCPRIM_400000_NS6detail17trampoline_kernelINS0_14default_configENS1_27scan_by_key_config_selectorIjjEEZZNS1_16scan_by_key_implILNS1_25lookback_scan_determinismE0ELb0ES3_N6thrust23THRUST_200600_302600_NS6detail15normal_iteratorINS9_10device_ptrIjEEEESE_SE_jNS9_4plusIvEENS9_8equal_toIvEEjEE10hipError_tPvRmT2_T3_T4_T5_mT6_T7_P12ihipStream_tbENKUlT_T0_E_clISt17integral_constantIbLb1EESY_IbLb0EEEEDaSU_SV_EUlSU_E_NS1_11comp_targetILNS1_3genE8ELNS1_11target_archE1030ELNS1_3gpuE2ELNS1_3repE0EEENS1_30default_config_static_selectorELNS0_4arch9wavefront6targetE0EEEvT1_.has_indirect_call, 0
	.section	.AMDGPU.csdata,"",@progbits
; Kernel info:
; codeLenInByte = 0
; TotalNumSgprs: 0
; NumVgprs: 0
; ScratchSize: 0
; MemoryBound: 0
; FloatMode: 240
; IeeeMode: 1
; LDSByteSize: 0 bytes/workgroup (compile time only)
; SGPRBlocks: 0
; VGPRBlocks: 0
; NumSGPRsForWavesPerEU: 1
; NumVGPRsForWavesPerEU: 1
; NamedBarCnt: 0
; Occupancy: 16
; WaveLimiterHint : 0
; COMPUTE_PGM_RSRC2:SCRATCH_EN: 0
; COMPUTE_PGM_RSRC2:USER_SGPR: 2
; COMPUTE_PGM_RSRC2:TRAP_HANDLER: 0
; COMPUTE_PGM_RSRC2:TGID_X_EN: 1
; COMPUTE_PGM_RSRC2:TGID_Y_EN: 0
; COMPUTE_PGM_RSRC2:TGID_Z_EN: 0
; COMPUTE_PGM_RSRC2:TIDIG_COMP_CNT: 0
	.section	.text._ZN7rocprim17ROCPRIM_400000_NS6detail30init_device_scan_by_key_kernelINS1_19lookback_scan_stateINS0_5tupleIJjbEEELb0ELb1EEEN6thrust23THRUST_200600_302600_NS6detail15normal_iteratorINS8_10device_ptrIjEEEEjNS1_16block_id_wrapperIjLb1EEEEEvT_jjPNSG_10value_typeET0_PNSt15iterator_traitsISJ_E10value_typeEmT1_T2_,"axG",@progbits,_ZN7rocprim17ROCPRIM_400000_NS6detail30init_device_scan_by_key_kernelINS1_19lookback_scan_stateINS0_5tupleIJjbEEELb0ELb1EEEN6thrust23THRUST_200600_302600_NS6detail15normal_iteratorINS8_10device_ptrIjEEEEjNS1_16block_id_wrapperIjLb1EEEEEvT_jjPNSG_10value_typeET0_PNSt15iterator_traitsISJ_E10value_typeEmT1_T2_,comdat
	.protected	_ZN7rocprim17ROCPRIM_400000_NS6detail30init_device_scan_by_key_kernelINS1_19lookback_scan_stateINS0_5tupleIJjbEEELb0ELb1EEEN6thrust23THRUST_200600_302600_NS6detail15normal_iteratorINS8_10device_ptrIjEEEEjNS1_16block_id_wrapperIjLb1EEEEEvT_jjPNSG_10value_typeET0_PNSt15iterator_traitsISJ_E10value_typeEmT1_T2_ ; -- Begin function _ZN7rocprim17ROCPRIM_400000_NS6detail30init_device_scan_by_key_kernelINS1_19lookback_scan_stateINS0_5tupleIJjbEEELb0ELb1EEEN6thrust23THRUST_200600_302600_NS6detail15normal_iteratorINS8_10device_ptrIjEEEEjNS1_16block_id_wrapperIjLb1EEEEEvT_jjPNSG_10value_typeET0_PNSt15iterator_traitsISJ_E10value_typeEmT1_T2_
	.globl	_ZN7rocprim17ROCPRIM_400000_NS6detail30init_device_scan_by_key_kernelINS1_19lookback_scan_stateINS0_5tupleIJjbEEELb0ELb1EEEN6thrust23THRUST_200600_302600_NS6detail15normal_iteratorINS8_10device_ptrIjEEEEjNS1_16block_id_wrapperIjLb1EEEEEvT_jjPNSG_10value_typeET0_PNSt15iterator_traitsISJ_E10value_typeEmT1_T2_
	.p2align	8
	.type	_ZN7rocprim17ROCPRIM_400000_NS6detail30init_device_scan_by_key_kernelINS1_19lookback_scan_stateINS0_5tupleIJjbEEELb0ELb1EEEN6thrust23THRUST_200600_302600_NS6detail15normal_iteratorINS8_10device_ptrIjEEEEjNS1_16block_id_wrapperIjLb1EEEEEvT_jjPNSG_10value_typeET0_PNSt15iterator_traitsISJ_E10value_typeEmT1_T2_,@function
_ZN7rocprim17ROCPRIM_400000_NS6detail30init_device_scan_by_key_kernelINS1_19lookback_scan_stateINS0_5tupleIJjbEEELb0ELb1EEEN6thrust23THRUST_200600_302600_NS6detail15normal_iteratorINS8_10device_ptrIjEEEEjNS1_16block_id_wrapperIjLb1EEEEEvT_jjPNSG_10value_typeET0_PNSt15iterator_traitsISJ_E10value_typeEmT1_T2_: ; @_ZN7rocprim17ROCPRIM_400000_NS6detail30init_device_scan_by_key_kernelINS1_19lookback_scan_stateINS0_5tupleIJjbEEELb0ELb1EEEN6thrust23THRUST_200600_302600_NS6detail15normal_iteratorINS8_10device_ptrIjEEEEjNS1_16block_id_wrapperIjLb1EEEEEvT_jjPNSG_10value_typeET0_PNSt15iterator_traitsISJ_E10value_typeEmT1_T2_
; %bb.0:
	s_clause 0x2
	s_load_b32 s2, s[0:1], 0x4c
	s_load_b32 s14, s[0:1], 0x40
	s_load_b256 s[4:11], s[0:1], 0x0
	s_bfe_u32 s3, ttmp6, 0x4000c
	s_and_b32 s12, ttmp6, 15
	s_add_co_i32 s3, s3, 1
	s_getreg_b32 s13, hwreg(HW_REG_IB_STS2, 6, 4)
	s_mul_i32 s3, ttmp9, s3
	s_delay_alu instid0(SALU_CYCLE_1)
	s_add_co_i32 s12, s12, s3
	s_wait_kmcnt 0x0
	s_and_b32 s15, s2, 0xffff
	s_cmp_eq_u32 s13, 0
	s_cselect_b32 s2, ttmp9, s12
	s_cmp_eq_u64 s[8:9], 0
	v_mad_u32 v4, s2, s15, v0
	s_cbranch_scc1 .LBB1855_8
; %bb.1:
	s_cmp_lt_u32 s7, s6
	s_mov_b32 s16, exec_lo
	s_cselect_b32 s2, s7, 0
	s_delay_alu instid0(VALU_DEP_1) | instid1(SALU_CYCLE_1)
	v_cmpx_eq_u32_e64 s2, v4
	s_cbranch_execz .LBB1855_7
; %bb.2:
	s_add_co_i32 s2, s7, 32
	s_mov_b32 s3, 0
	v_mov_b32_e32 v7, 0
	s_lshl_b64 s[12:13], s[2:3], 4
	s_mov_b32 s2, exec_lo
	s_add_nc_u64 s[12:13], s[4:5], s[12:13]
	s_delay_alu instid0(SALU_CYCLE_1) | instskip(SKIP_2) | instid1(VALU_DEP_1)
	v_mov_b64_e32 v[0:1], s[12:13]
	;;#ASMSTART
	global_load_b128 v[0:3], v[0:1] off scope:SCOPE_DEV	
s_wait_loadcnt 0x0
	;;#ASMEND
	v_and_b32_e32 v6, 0xff, v2
	v_cmpx_eq_u64_e32 0, v[6:7]
	s_cbranch_execz .LBB1855_6
; %bb.3:
	v_mov_b64_e32 v[8:9], s[12:13]
.LBB1855_4:                             ; =>This Inner Loop Header: Depth=1
	;;#ASMSTART
	global_load_b128 v[0:3], v[8:9] off scope:SCOPE_DEV	
s_wait_loadcnt 0x0
	;;#ASMEND
	v_and_b32_e32 v6, 0xff, v2
	s_delay_alu instid0(VALU_DEP_1) | instskip(SKIP_1) | instid1(SALU_CYCLE_1)
	v_cmp_ne_u64_e32 vcc_lo, 0, v[6:7]
	s_or_b32 s3, vcc_lo, s3
	s_and_not1_b32 exec_lo, exec_lo, s3
	s_cbranch_execnz .LBB1855_4
; %bb.5:
	s_or_b32 exec_lo, exec_lo, s3
.LBB1855_6:
	s_delay_alu instid0(SALU_CYCLE_1)
	s_or_b32 exec_lo, exec_lo, s2
	v_mov_b32_e32 v2, 0
	s_clause 0x1
	global_store_b32 v2, v0, s[8:9]
	global_store_b8 v2, v1, s[8:9] offset:4
.LBB1855_7:
	s_wait_xcnt 0x0
	s_or_b32 exec_lo, exec_lo, s16
.LBB1855_8:
	s_delay_alu instid0(SALU_CYCLE_1) | instskip(NEXT) | instid1(VALU_DEP_1)
	s_mov_b32 s2, exec_lo
	v_cmpx_eq_u32_e32 0, v4
	s_cbranch_execz .LBB1855_10
; %bb.9:
	s_load_b64 s[8:9], s[0:1], 0x38
	v_mov_b32_e32 v0, 0
	s_wait_kmcnt 0x0
	global_store_b32 v0, v0, s[8:9]
.LBB1855_10:
	s_wait_xcnt 0x0
	s_or_b32 exec_lo, exec_lo, s2
	s_delay_alu instid0(SALU_CYCLE_1)
	s_mov_b32 s2, exec_lo
	v_cmpx_gt_u32_e64 s6, v4
	s_cbranch_execz .LBB1855_12
; %bb.11:
	v_dual_mov_b32 v0, 0 :: v_dual_add_nc_u32 v5, 32, v4
	s_delay_alu instid0(VALU_DEP_1)
	v_dual_mov_b32 v1, v0 :: v_dual_mov_b32 v2, v0
	v_mov_b32_e32 v3, v0
	global_store_b128 v5, v[0:3], s[4:5] scale_offset
.LBB1855_12:
	s_wait_xcnt 0x0
	s_or_b32 exec_lo, exec_lo, s2
	v_mov_b32_e32 v5, 0
	s_mov_b32 s2, exec_lo
	v_cmpx_gt_u32_e32 32, v4
	s_cbranch_execz .LBB1855_14
; %bb.13:
	s_delay_alu instid0(VALU_DEP_2)
	v_lshl_add_u64 v[6:7], v[4:5], 4, s[4:5]
	v_dual_mov_b32 v2, 0xff :: v_dual_mov_b32 v1, v5
	v_dual_mov_b32 v0, v5 :: v_dual_mov_b32 v3, v5
	global_store_b128 v[6:7], v[0:3], off
.LBB1855_14:
	s_wait_xcnt 0x0
	s_or_b32 exec_lo, exec_lo, s2
	s_load_b64 s[2:3], s[0:1], 0x28
	s_mov_b32 s4, exec_lo
	s_wait_kmcnt 0x0
	v_cmpx_gt_u64_e64 s[2:3], v[4:5]
	s_cbranch_execz .LBB1855_17
; %bb.15:
	s_clause 0x1
	s_load_b32 s4, s[0:1], 0x30
	s_load_b64 s[6:7], s[0:1], 0x20
	s_mov_b32 s5, 0
	s_wait_xcnt 0x0
	s_mul_i32 s0, s14, s15
	s_mov_b32 s9, s5
	s_mov_b32 s1, s5
	s_wait_kmcnt 0x0
	v_mul_u64_e32 v[0:1], s[4:5], v[4:5]
	s_add_co_i32 s8, s4, -1
	v_lshl_add_u64 v[2:3], v[4:5], 2, s[6:7]
	s_lshl_b64 s[8:9], s[8:9], 2
	s_delay_alu instid0(SALU_CYCLE_1) | instskip(SKIP_1) | instid1(SALU_CYCLE_1)
	s_add_nc_u64 s[8:9], s[10:11], s[8:9]
	s_mul_u64 s[10:11], s[4:5], s[0:1]
	s_lshl_b64 s[6:7], s[10:11], 2
	s_delay_alu instid0(VALU_DEP_2)
	v_lshl_add_u64 v[0:1], v[0:1], 2, s[8:9]
	s_lshl_b64 s[8:9], s[0:1], 2
.LBB1855_16:                            ; =>This Inner Loop Header: Depth=1
	global_load_b32 v6, v[0:1], off
	v_add_nc_u64_e32 v[4:5], s[0:1], v[4:5]
	s_wait_xcnt 0x0
	v_add_nc_u64_e32 v[0:1], s[6:7], v[0:1]
	s_delay_alu instid0(VALU_DEP_2)
	v_cmp_le_u64_e32 vcc_lo, s[2:3], v[4:5]
	s_or_b32 s5, vcc_lo, s5
	s_wait_loadcnt 0x0
	global_store_b32 v[2:3], v6, off
	s_wait_xcnt 0x0
	v_add_nc_u64_e32 v[2:3], s[8:9], v[2:3]
	s_and_not1_b32 exec_lo, exec_lo, s5
	s_cbranch_execnz .LBB1855_16
.LBB1855_17:
	s_endpgm
	.section	.rodata,"a",@progbits
	.p2align	6, 0x0
	.amdhsa_kernel _ZN7rocprim17ROCPRIM_400000_NS6detail30init_device_scan_by_key_kernelINS1_19lookback_scan_stateINS0_5tupleIJjbEEELb0ELb1EEEN6thrust23THRUST_200600_302600_NS6detail15normal_iteratorINS8_10device_ptrIjEEEEjNS1_16block_id_wrapperIjLb1EEEEEvT_jjPNSG_10value_typeET0_PNSt15iterator_traitsISJ_E10value_typeEmT1_T2_
		.amdhsa_group_segment_fixed_size 0
		.amdhsa_private_segment_fixed_size 0
		.amdhsa_kernarg_size 320
		.amdhsa_user_sgpr_count 2
		.amdhsa_user_sgpr_dispatch_ptr 0
		.amdhsa_user_sgpr_queue_ptr 0
		.amdhsa_user_sgpr_kernarg_segment_ptr 1
		.amdhsa_user_sgpr_dispatch_id 0
		.amdhsa_user_sgpr_kernarg_preload_length 0
		.amdhsa_user_sgpr_kernarg_preload_offset 0
		.amdhsa_user_sgpr_private_segment_size 0
		.amdhsa_wavefront_size32 1
		.amdhsa_uses_dynamic_stack 0
		.amdhsa_enable_private_segment 0
		.amdhsa_system_sgpr_workgroup_id_x 1
		.amdhsa_system_sgpr_workgroup_id_y 0
		.amdhsa_system_sgpr_workgroup_id_z 0
		.amdhsa_system_sgpr_workgroup_info 0
		.amdhsa_system_vgpr_workitem_id 0
		.amdhsa_next_free_vgpr 10
		.amdhsa_next_free_sgpr 17
		.amdhsa_named_barrier_count 0
		.amdhsa_reserve_vcc 1
		.amdhsa_float_round_mode_32 0
		.amdhsa_float_round_mode_16_64 0
		.amdhsa_float_denorm_mode_32 3
		.amdhsa_float_denorm_mode_16_64 3
		.amdhsa_fp16_overflow 0
		.amdhsa_memory_ordered 1
		.amdhsa_forward_progress 1
		.amdhsa_inst_pref_size 5
		.amdhsa_round_robin_scheduling 0
		.amdhsa_exception_fp_ieee_invalid_op 0
		.amdhsa_exception_fp_denorm_src 0
		.amdhsa_exception_fp_ieee_div_zero 0
		.amdhsa_exception_fp_ieee_overflow 0
		.amdhsa_exception_fp_ieee_underflow 0
		.amdhsa_exception_fp_ieee_inexact 0
		.amdhsa_exception_int_div_zero 0
	.end_amdhsa_kernel
	.section	.text._ZN7rocprim17ROCPRIM_400000_NS6detail30init_device_scan_by_key_kernelINS1_19lookback_scan_stateINS0_5tupleIJjbEEELb0ELb1EEEN6thrust23THRUST_200600_302600_NS6detail15normal_iteratorINS8_10device_ptrIjEEEEjNS1_16block_id_wrapperIjLb1EEEEEvT_jjPNSG_10value_typeET0_PNSt15iterator_traitsISJ_E10value_typeEmT1_T2_,"axG",@progbits,_ZN7rocprim17ROCPRIM_400000_NS6detail30init_device_scan_by_key_kernelINS1_19lookback_scan_stateINS0_5tupleIJjbEEELb0ELb1EEEN6thrust23THRUST_200600_302600_NS6detail15normal_iteratorINS8_10device_ptrIjEEEEjNS1_16block_id_wrapperIjLb1EEEEEvT_jjPNSG_10value_typeET0_PNSt15iterator_traitsISJ_E10value_typeEmT1_T2_,comdat
.Lfunc_end1855:
	.size	_ZN7rocprim17ROCPRIM_400000_NS6detail30init_device_scan_by_key_kernelINS1_19lookback_scan_stateINS0_5tupleIJjbEEELb0ELb1EEEN6thrust23THRUST_200600_302600_NS6detail15normal_iteratorINS8_10device_ptrIjEEEEjNS1_16block_id_wrapperIjLb1EEEEEvT_jjPNSG_10value_typeET0_PNSt15iterator_traitsISJ_E10value_typeEmT1_T2_, .Lfunc_end1855-_ZN7rocprim17ROCPRIM_400000_NS6detail30init_device_scan_by_key_kernelINS1_19lookback_scan_stateINS0_5tupleIJjbEEELb0ELb1EEEN6thrust23THRUST_200600_302600_NS6detail15normal_iteratorINS8_10device_ptrIjEEEEjNS1_16block_id_wrapperIjLb1EEEEEvT_jjPNSG_10value_typeET0_PNSt15iterator_traitsISJ_E10value_typeEmT1_T2_
                                        ; -- End function
	.set _ZN7rocprim17ROCPRIM_400000_NS6detail30init_device_scan_by_key_kernelINS1_19lookback_scan_stateINS0_5tupleIJjbEEELb0ELb1EEEN6thrust23THRUST_200600_302600_NS6detail15normal_iteratorINS8_10device_ptrIjEEEEjNS1_16block_id_wrapperIjLb1EEEEEvT_jjPNSG_10value_typeET0_PNSt15iterator_traitsISJ_E10value_typeEmT1_T2_.num_vgpr, 10
	.set _ZN7rocprim17ROCPRIM_400000_NS6detail30init_device_scan_by_key_kernelINS1_19lookback_scan_stateINS0_5tupleIJjbEEELb0ELb1EEEN6thrust23THRUST_200600_302600_NS6detail15normal_iteratorINS8_10device_ptrIjEEEEjNS1_16block_id_wrapperIjLb1EEEEEvT_jjPNSG_10value_typeET0_PNSt15iterator_traitsISJ_E10value_typeEmT1_T2_.num_agpr, 0
	.set _ZN7rocprim17ROCPRIM_400000_NS6detail30init_device_scan_by_key_kernelINS1_19lookback_scan_stateINS0_5tupleIJjbEEELb0ELb1EEEN6thrust23THRUST_200600_302600_NS6detail15normal_iteratorINS8_10device_ptrIjEEEEjNS1_16block_id_wrapperIjLb1EEEEEvT_jjPNSG_10value_typeET0_PNSt15iterator_traitsISJ_E10value_typeEmT1_T2_.numbered_sgpr, 17
	.set _ZN7rocprim17ROCPRIM_400000_NS6detail30init_device_scan_by_key_kernelINS1_19lookback_scan_stateINS0_5tupleIJjbEEELb0ELb1EEEN6thrust23THRUST_200600_302600_NS6detail15normal_iteratorINS8_10device_ptrIjEEEEjNS1_16block_id_wrapperIjLb1EEEEEvT_jjPNSG_10value_typeET0_PNSt15iterator_traitsISJ_E10value_typeEmT1_T2_.num_named_barrier, 0
	.set _ZN7rocprim17ROCPRIM_400000_NS6detail30init_device_scan_by_key_kernelINS1_19lookback_scan_stateINS0_5tupleIJjbEEELb0ELb1EEEN6thrust23THRUST_200600_302600_NS6detail15normal_iteratorINS8_10device_ptrIjEEEEjNS1_16block_id_wrapperIjLb1EEEEEvT_jjPNSG_10value_typeET0_PNSt15iterator_traitsISJ_E10value_typeEmT1_T2_.private_seg_size, 0
	.set _ZN7rocprim17ROCPRIM_400000_NS6detail30init_device_scan_by_key_kernelINS1_19lookback_scan_stateINS0_5tupleIJjbEEELb0ELb1EEEN6thrust23THRUST_200600_302600_NS6detail15normal_iteratorINS8_10device_ptrIjEEEEjNS1_16block_id_wrapperIjLb1EEEEEvT_jjPNSG_10value_typeET0_PNSt15iterator_traitsISJ_E10value_typeEmT1_T2_.uses_vcc, 1
	.set _ZN7rocprim17ROCPRIM_400000_NS6detail30init_device_scan_by_key_kernelINS1_19lookback_scan_stateINS0_5tupleIJjbEEELb0ELb1EEEN6thrust23THRUST_200600_302600_NS6detail15normal_iteratorINS8_10device_ptrIjEEEEjNS1_16block_id_wrapperIjLb1EEEEEvT_jjPNSG_10value_typeET0_PNSt15iterator_traitsISJ_E10value_typeEmT1_T2_.uses_flat_scratch, 0
	.set _ZN7rocprim17ROCPRIM_400000_NS6detail30init_device_scan_by_key_kernelINS1_19lookback_scan_stateINS0_5tupleIJjbEEELb0ELb1EEEN6thrust23THRUST_200600_302600_NS6detail15normal_iteratorINS8_10device_ptrIjEEEEjNS1_16block_id_wrapperIjLb1EEEEEvT_jjPNSG_10value_typeET0_PNSt15iterator_traitsISJ_E10value_typeEmT1_T2_.has_dyn_sized_stack, 0
	.set _ZN7rocprim17ROCPRIM_400000_NS6detail30init_device_scan_by_key_kernelINS1_19lookback_scan_stateINS0_5tupleIJjbEEELb0ELb1EEEN6thrust23THRUST_200600_302600_NS6detail15normal_iteratorINS8_10device_ptrIjEEEEjNS1_16block_id_wrapperIjLb1EEEEEvT_jjPNSG_10value_typeET0_PNSt15iterator_traitsISJ_E10value_typeEmT1_T2_.has_recursion, 0
	.set _ZN7rocprim17ROCPRIM_400000_NS6detail30init_device_scan_by_key_kernelINS1_19lookback_scan_stateINS0_5tupleIJjbEEELb0ELb1EEEN6thrust23THRUST_200600_302600_NS6detail15normal_iteratorINS8_10device_ptrIjEEEEjNS1_16block_id_wrapperIjLb1EEEEEvT_jjPNSG_10value_typeET0_PNSt15iterator_traitsISJ_E10value_typeEmT1_T2_.has_indirect_call, 0
	.section	.AMDGPU.csdata,"",@progbits
; Kernel info:
; codeLenInByte = 636
; TotalNumSgprs: 19
; NumVgprs: 10
; ScratchSize: 0
; MemoryBound: 0
; FloatMode: 240
; IeeeMode: 1
; LDSByteSize: 0 bytes/workgroup (compile time only)
; SGPRBlocks: 0
; VGPRBlocks: 0
; NumSGPRsForWavesPerEU: 19
; NumVGPRsForWavesPerEU: 10
; NamedBarCnt: 0
; Occupancy: 16
; WaveLimiterHint : 0
; COMPUTE_PGM_RSRC2:SCRATCH_EN: 0
; COMPUTE_PGM_RSRC2:USER_SGPR: 2
; COMPUTE_PGM_RSRC2:TRAP_HANDLER: 0
; COMPUTE_PGM_RSRC2:TGID_X_EN: 1
; COMPUTE_PGM_RSRC2:TGID_Y_EN: 0
; COMPUTE_PGM_RSRC2:TGID_Z_EN: 0
; COMPUTE_PGM_RSRC2:TIDIG_COMP_CNT: 0
	.section	.text._ZN7rocprim17ROCPRIM_400000_NS6detail17trampoline_kernelINS0_14default_configENS1_27scan_by_key_config_selectorIjjEEZZNS1_16scan_by_key_implILNS1_25lookback_scan_determinismE0ELb0ES3_N6thrust23THRUST_200600_302600_NS6detail15normal_iteratorINS9_10device_ptrIjEEEESE_SE_jNS9_4plusIvEENS9_8equal_toIvEEjEE10hipError_tPvRmT2_T3_T4_T5_mT6_T7_P12ihipStream_tbENKUlT_T0_E_clISt17integral_constantIbLb0EESY_IbLb1EEEEDaSU_SV_EUlSU_E_NS1_11comp_targetILNS1_3genE0ELNS1_11target_archE4294967295ELNS1_3gpuE0ELNS1_3repE0EEENS1_30default_config_static_selectorELNS0_4arch9wavefront6targetE0EEEvT1_,"axG",@progbits,_ZN7rocprim17ROCPRIM_400000_NS6detail17trampoline_kernelINS0_14default_configENS1_27scan_by_key_config_selectorIjjEEZZNS1_16scan_by_key_implILNS1_25lookback_scan_determinismE0ELb0ES3_N6thrust23THRUST_200600_302600_NS6detail15normal_iteratorINS9_10device_ptrIjEEEESE_SE_jNS9_4plusIvEENS9_8equal_toIvEEjEE10hipError_tPvRmT2_T3_T4_T5_mT6_T7_P12ihipStream_tbENKUlT_T0_E_clISt17integral_constantIbLb0EESY_IbLb1EEEEDaSU_SV_EUlSU_E_NS1_11comp_targetILNS1_3genE0ELNS1_11target_archE4294967295ELNS1_3gpuE0ELNS1_3repE0EEENS1_30default_config_static_selectorELNS0_4arch9wavefront6targetE0EEEvT1_,comdat
	.protected	_ZN7rocprim17ROCPRIM_400000_NS6detail17trampoline_kernelINS0_14default_configENS1_27scan_by_key_config_selectorIjjEEZZNS1_16scan_by_key_implILNS1_25lookback_scan_determinismE0ELb0ES3_N6thrust23THRUST_200600_302600_NS6detail15normal_iteratorINS9_10device_ptrIjEEEESE_SE_jNS9_4plusIvEENS9_8equal_toIvEEjEE10hipError_tPvRmT2_T3_T4_T5_mT6_T7_P12ihipStream_tbENKUlT_T0_E_clISt17integral_constantIbLb0EESY_IbLb1EEEEDaSU_SV_EUlSU_E_NS1_11comp_targetILNS1_3genE0ELNS1_11target_archE4294967295ELNS1_3gpuE0ELNS1_3repE0EEENS1_30default_config_static_selectorELNS0_4arch9wavefront6targetE0EEEvT1_ ; -- Begin function _ZN7rocprim17ROCPRIM_400000_NS6detail17trampoline_kernelINS0_14default_configENS1_27scan_by_key_config_selectorIjjEEZZNS1_16scan_by_key_implILNS1_25lookback_scan_determinismE0ELb0ES3_N6thrust23THRUST_200600_302600_NS6detail15normal_iteratorINS9_10device_ptrIjEEEESE_SE_jNS9_4plusIvEENS9_8equal_toIvEEjEE10hipError_tPvRmT2_T3_T4_T5_mT6_T7_P12ihipStream_tbENKUlT_T0_E_clISt17integral_constantIbLb0EESY_IbLb1EEEEDaSU_SV_EUlSU_E_NS1_11comp_targetILNS1_3genE0ELNS1_11target_archE4294967295ELNS1_3gpuE0ELNS1_3repE0EEENS1_30default_config_static_selectorELNS0_4arch9wavefront6targetE0EEEvT1_
	.globl	_ZN7rocprim17ROCPRIM_400000_NS6detail17trampoline_kernelINS0_14default_configENS1_27scan_by_key_config_selectorIjjEEZZNS1_16scan_by_key_implILNS1_25lookback_scan_determinismE0ELb0ES3_N6thrust23THRUST_200600_302600_NS6detail15normal_iteratorINS9_10device_ptrIjEEEESE_SE_jNS9_4plusIvEENS9_8equal_toIvEEjEE10hipError_tPvRmT2_T3_T4_T5_mT6_T7_P12ihipStream_tbENKUlT_T0_E_clISt17integral_constantIbLb0EESY_IbLb1EEEEDaSU_SV_EUlSU_E_NS1_11comp_targetILNS1_3genE0ELNS1_11target_archE4294967295ELNS1_3gpuE0ELNS1_3repE0EEENS1_30default_config_static_selectorELNS0_4arch9wavefront6targetE0EEEvT1_
	.p2align	8
	.type	_ZN7rocprim17ROCPRIM_400000_NS6detail17trampoline_kernelINS0_14default_configENS1_27scan_by_key_config_selectorIjjEEZZNS1_16scan_by_key_implILNS1_25lookback_scan_determinismE0ELb0ES3_N6thrust23THRUST_200600_302600_NS6detail15normal_iteratorINS9_10device_ptrIjEEEESE_SE_jNS9_4plusIvEENS9_8equal_toIvEEjEE10hipError_tPvRmT2_T3_T4_T5_mT6_T7_P12ihipStream_tbENKUlT_T0_E_clISt17integral_constantIbLb0EESY_IbLb1EEEEDaSU_SV_EUlSU_E_NS1_11comp_targetILNS1_3genE0ELNS1_11target_archE4294967295ELNS1_3gpuE0ELNS1_3repE0EEENS1_30default_config_static_selectorELNS0_4arch9wavefront6targetE0EEEvT1_,@function
_ZN7rocprim17ROCPRIM_400000_NS6detail17trampoline_kernelINS0_14default_configENS1_27scan_by_key_config_selectorIjjEEZZNS1_16scan_by_key_implILNS1_25lookback_scan_determinismE0ELb0ES3_N6thrust23THRUST_200600_302600_NS6detail15normal_iteratorINS9_10device_ptrIjEEEESE_SE_jNS9_4plusIvEENS9_8equal_toIvEEjEE10hipError_tPvRmT2_T3_T4_T5_mT6_T7_P12ihipStream_tbENKUlT_T0_E_clISt17integral_constantIbLb0EESY_IbLb1EEEEDaSU_SV_EUlSU_E_NS1_11comp_targetILNS1_3genE0ELNS1_11target_archE4294967295ELNS1_3gpuE0ELNS1_3repE0EEENS1_30default_config_static_selectorELNS0_4arch9wavefront6targetE0EEEvT1_: ; @_ZN7rocprim17ROCPRIM_400000_NS6detail17trampoline_kernelINS0_14default_configENS1_27scan_by_key_config_selectorIjjEEZZNS1_16scan_by_key_implILNS1_25lookback_scan_determinismE0ELb0ES3_N6thrust23THRUST_200600_302600_NS6detail15normal_iteratorINS9_10device_ptrIjEEEESE_SE_jNS9_4plusIvEENS9_8equal_toIvEEjEE10hipError_tPvRmT2_T3_T4_T5_mT6_T7_P12ihipStream_tbENKUlT_T0_E_clISt17integral_constantIbLb0EESY_IbLb1EEEEDaSU_SV_EUlSU_E_NS1_11comp_targetILNS1_3genE0ELNS1_11target_archE4294967295ELNS1_3gpuE0ELNS1_3repE0EEENS1_30default_config_static_selectorELNS0_4arch9wavefront6targetE0EEEvT1_
; %bb.0:
	s_clause 0x1
	s_load_b128 s[28:31], s[0:1], 0x28
	s_load_b64 s[36:37], s[0:1], 0x38
	v_cmp_ne_u32_e64 s3, 0, v0
	v_cmp_eq_u32_e64 s2, 0, v0
	s_and_saveexec_b32 s4, s2
	s_cbranch_execz .LBB1856_4
; %bb.1:
	s_mov_b32 s6, exec_lo
	s_mov_b32 s5, exec_lo
	v_mbcnt_lo_u32_b32 v1, s6, 0
                                        ; implicit-def: $vgpr2
	s_delay_alu instid0(VALU_DEP_1)
	v_cmpx_eq_u32_e32 0, v1
	s_cbranch_execz .LBB1856_3
; %bb.2:
	s_load_b64 s[8:9], s[0:1], 0x68
	s_bcnt1_i32_b32 s6, s6
	s_delay_alu instid0(SALU_CYCLE_1)
	v_dual_mov_b32 v2, 0 :: v_dual_mov_b32 v3, s6
	s_wait_xcnt 0x0
	s_wait_kmcnt 0x0
	global_atomic_add_u32 v2, v2, v3, s[8:9] th:TH_ATOMIC_RETURN scope:SCOPE_DEV
.LBB1856_3:
	s_wait_xcnt 0x0
	s_or_b32 exec_lo, exec_lo, s5
	s_wait_loadcnt 0x0
	v_readfirstlane_b32 s5, v2
	s_delay_alu instid0(VALU_DEP_1)
	v_dual_mov_b32 v2, 0 :: v_dual_add_nc_u32 v1, s5, v1
	ds_store_b32 v2, v1
.LBB1856_4:
	s_or_b32 exec_lo, exec_lo, s4
	v_mov_b32_e32 v1, 0
	s_clause 0x2
	s_load_b256 s[12:19], s[0:1], 0x0
	s_load_b32 s38, s[0:1], 0x40
	s_load_b256 s[20:27], s[0:1], 0x48
	s_wait_dscnt 0x0
	s_barrier_signal -1
	s_barrier_wait -1
	ds_load_b32 v2, v1
	s_mov_b32 s39, 0
	s_wait_dscnt 0x0
	s_mov_b32 s9, s39
	s_barrier_signal -1
	s_barrier_wait -1
	s_barrier_signal -1
	s_barrier_wait -1
	s_wait_kmcnt 0x0
	s_lshl_b64 s[34:35], s[14:15], 2
	s_mul_u64 s[6:7], s[36:37], s[38:39]
	s_cmp_lg_u64 s[24:25], 0
	s_add_nc_u64 s[0:1], s[12:13], s[34:35]
	s_add_nc_u64 s[4:5], s[16:17], s[34:35]
	s_cselect_b32 s42, -1, 0
	v_readfirstlane_b32 s38, v2
	s_add_nc_u64 s[24:25], s[6:7], s[38:39]
	s_add_nc_u64 s[6:7], s[20:21], -1
	s_mul_i32 s8, s38, 0xc00
	v_cmp_ge_u64_e64 s31, s[24:25], s[6:7]
	s_lshl_b64 s[16:17], s[8:9], 2
	s_mul_i32 s33, s6, 0xfffff400
	s_add_nc_u64 s[20:21], s[0:1], s[16:17]
	s_add_nc_u64 s[14:15], s[4:5], s[16:17]
	s_and_b32 vcc_lo, exec_lo, s31
	s_cbranch_vccz .LBB1856_32
; %bb.5:
	flat_load_b32 v1, v1, s[20:21]
	s_add_co_i32 s43, s33, s30
	s_delay_alu instid0(SALU_CYCLE_1)
	v_cmp_gt_u32_e64 s0, s43, v0
	s_wait_loadcnt_dscnt 0x0
	v_mov_b32_e32 v2, v1
	s_and_saveexec_b32 s1, s0
	s_cbranch_execz .LBB1856_7
; %bb.6:
	flat_load_b32 v2, v0, s[20:21] scale_offset
.LBB1856_7:
	s_wait_xcnt 0x0
	s_or_b32 exec_lo, exec_lo, s1
	v_or_b32_e32 v3, 0x100, v0
	v_mov_b32_e32 v4, v1
	s_delay_alu instid0(VALU_DEP_2)
	v_cmp_gt_u32_e64 s1, s43, v3
	s_and_saveexec_b32 s4, s1
	s_cbranch_execz .LBB1856_9
; %bb.8:
	flat_load_b32 v4, v0, s[20:21] offset:1024 scale_offset
.LBB1856_9:
	s_wait_xcnt 0x0
	s_or_b32 exec_lo, exec_lo, s4
	v_or_b32_e32 v3, 0x200, v0
	v_mov_b32_e32 v5, v1
	s_delay_alu instid0(VALU_DEP_2)
	v_cmp_gt_u32_e64 s4, s43, v3
	s_and_saveexec_b32 s5, s4
	s_cbranch_execz .LBB1856_11
; %bb.10:
	flat_load_b32 v5, v0, s[20:21] offset:2048 scale_offset
.LBB1856_11:
	;; [unrolled: 11-line block ×10, first 2 shown]
	s_wait_xcnt 0x0
	s_or_b32 exec_lo, exec_lo, s13
	v_or_b32_e32 v3, 0xb00, v0
	s_mov_b32 s39, exec_lo
	s_delay_alu instid0(VALU_DEP_1) | instskip(SKIP_2) | instid1(SALU_CYCLE_1)
	v_cmp_gt_u32_e64 s13, s43, v3
	v_cmpx_le_u32_e64 s43, v3
	s_xor_b32 s39, exec_lo, s39
	s_and_not1_saveexec_b32 s39, s39
	s_cbranch_execz .LBB1856_29
; %bb.28:
	flat_load_b32 v1, v0, s[20:21] offset:11264 scale_offset
.LBB1856_29:
	s_wait_xcnt 0x0
	s_or_b32 exec_lo, exec_lo, s39
	v_lshlrev_b32_e32 v3, 2, v0
	s_cmp_eq_u64 s[24:25], 0
	s_mov_b64 s[40:41], s[20:21]
	s_wait_loadcnt_dscnt 0x0
	ds_store_2addr_stride64_b32 v3, v2, v4 offset1:4
	ds_store_2addr_stride64_b32 v3, v5, v6 offset0:8 offset1:12
	ds_store_2addr_stride64_b32 v3, v7, v8 offset0:16 offset1:20
	;; [unrolled: 1-line block ×5, first 2 shown]
	v_mad_u32_u24 v1, v0, 44, v3
	s_wait_dscnt 0x0
	s_barrier_signal -1
	s_barrier_wait -1
	ds_load_b128 v[14:17], v1
	ds_load_b128 v[10:13], v1 offset:16
	ds_load_b128 v[6:9], v1 offset:32
	s_cbranch_scc1 .LBB1856_35
; %bb.30:
	s_and_not1_b32 vcc_lo, exec_lo, s42
	s_cbranch_vccnz .LBB1856_33
; %bb.31:
	s_lshl_b64 s[40:41], s[24:25], 2
	s_mov_b32 s39, 0
	s_add_nc_u64 s[40:41], s[26:27], s[40:41]
	s_delay_alu instid0(SALU_CYCLE_1)
	s_add_nc_u64 s[40:41], s[40:41], -4
	s_branch .LBB1856_34
.LBB1856_32:
                                        ; implicit-def: $sgpr4
                                        ; implicit-def: $vgpr5
                                        ; implicit-def: $vgpr18_vgpr19
                                        ; implicit-def: $vgpr42_vgpr43
                                        ; implicit-def: $vgpr46_vgpr47
                                        ; implicit-def: $vgpr44_vgpr45
                                        ; implicit-def: $vgpr48_vgpr49
                                        ; implicit-def: $vgpr50_vgpr51
                                        ; implicit-def: $vgpr52_vgpr53
                                        ; implicit-def: $vgpr54_vgpr55
                                        ; implicit-def: $vgpr56_vgpr57
                                        ; implicit-def: $vgpr58_vgpr59
                                        ; implicit-def: $vgpr38_vgpr39
                                        ; implicit-def: $vgpr36_vgpr37
                                        ; implicit-def: $vgpr34_vgpr35
                                        ; implicit-def: $vgpr32_vgpr33
                                        ; implicit-def: $vgpr30_vgpr31
                                        ; implicit-def: $vgpr28_vgpr29
                                        ; implicit-def: $vgpr26_vgpr27
                                        ; implicit-def: $vgpr24_vgpr25
                                        ; implicit-def: $vgpr22_vgpr23
                                        ; implicit-def: $vgpr20_vgpr21
	v_lshlrev_b32_e32 v16, 2, v0
	s_cbranch_execnz .LBB1856_73
	s_branch .LBB1856_92
.LBB1856_33:
	s_add_nc_u64 s[40:41], s[20:21], -4
	s_mov_b32 s39, -1
.LBB1856_34:
	s_delay_alu instid0(SALU_CYCLE_1)
	s_and_not1_b32 vcc_lo, exec_lo, s39
.LBB1856_35:
	v_mov_b32_e32 v2, 0
	v_mad_i32_i24 v4, 0xffffffd4, v0, v1
	flat_load_b32 v2, v2, s[40:41]
	s_wait_dscnt 0x1
	ds_store_b32 v4, v9 offset:12288
	s_wait_loadcnt_dscnt 0x0
	s_barrier_signal -1
	s_barrier_wait -1
	s_and_saveexec_b32 s39, s3
; %bb.36:
	v_mul_i32_i24_e32 v2, 0xffffffd4, v0
	s_delay_alu instid0(VALU_DEP_1)
	v_add_nc_u32_e32 v2, v1, v2
	ds_load_b32 v2, v2 offset:12284
; %bb.37:
	s_or_b32 exec_lo, exec_lo, s39
	s_wait_dscnt 0x0
	s_barrier_signal -1
	s_barrier_wait -1
                                        ; implicit-def: $vgpr5
	s_and_saveexec_b32 s39, s0
	s_cbranch_execnz .LBB1856_76
; %bb.38:
	s_or_b32 exec_lo, exec_lo, s39
                                        ; implicit-def: $vgpr18
	s_and_saveexec_b32 s0, s1
	s_cbranch_execnz .LBB1856_77
.LBB1856_39:
	s_or_b32 exec_lo, exec_lo, s0
                                        ; implicit-def: $vgpr19
	s_and_saveexec_b32 s0, s4
	s_cbranch_execnz .LBB1856_78
.LBB1856_40:
	s_or_b32 exec_lo, exec_lo, s0
                                        ; implicit-def: $vgpr20
	s_and_saveexec_b32 s0, s5
	s_cbranch_execnz .LBB1856_79
.LBB1856_41:
	s_or_b32 exec_lo, exec_lo, s0
                                        ; implicit-def: $vgpr21
	s_and_saveexec_b32 s0, s6
	s_cbranch_execnz .LBB1856_80
.LBB1856_42:
	s_or_b32 exec_lo, exec_lo, s0
                                        ; implicit-def: $vgpr22
	s_and_saveexec_b32 s0, s7
	s_cbranch_execnz .LBB1856_81
.LBB1856_43:
	s_or_b32 exec_lo, exec_lo, s0
                                        ; implicit-def: $vgpr23
	s_and_saveexec_b32 s0, s8
	s_cbranch_execnz .LBB1856_82
.LBB1856_44:
	s_or_b32 exec_lo, exec_lo, s0
                                        ; implicit-def: $vgpr24
	s_and_saveexec_b32 s0, s9
	s_cbranch_execnz .LBB1856_83
.LBB1856_45:
	s_or_b32 exec_lo, exec_lo, s0
                                        ; implicit-def: $vgpr25
	s_and_saveexec_b32 s0, s10
	s_cbranch_execnz .LBB1856_84
.LBB1856_46:
	s_or_b32 exec_lo, exec_lo, s0
                                        ; implicit-def: $vgpr26
	s_and_saveexec_b32 s0, s11
	s_cbranch_execnz .LBB1856_85
.LBB1856_47:
	s_or_b32 exec_lo, exec_lo, s0
                                        ; implicit-def: $vgpr27
	s_and_saveexec_b32 s0, s12
	s_cbranch_execnz .LBB1856_86
.LBB1856_48:
	s_or_b32 exec_lo, exec_lo, s0
                                        ; implicit-def: $vgpr28
	s_and_saveexec_b32 s0, s13
	s_cbranch_execz .LBB1856_50
.LBB1856_49:
	flat_load_b32 v28, v0, s[14:15] offset:11264 scale_offset
.LBB1856_50:
	s_wait_xcnt 0x0
	s_or_b32 exec_lo, exec_lo, s0
	s_wait_loadcnt_dscnt 0x0
	ds_store_2addr_stride64_b32 v3, v5, v18 offset1:4
	ds_store_2addr_stride64_b32 v3, v19, v20 offset0:8 offset1:12
	ds_store_2addr_stride64_b32 v3, v21, v22 offset0:16 offset1:20
	;; [unrolled: 1-line block ×5, first 2 shown]
	v_mov_b64_e32 v[18:19], 0
	v_mov_b64_e32 v[42:43], 0
	;; [unrolled: 1-line block ×20, first 2 shown]
	v_mul_u32_u24_e32 v4, 12, v0
	s_mov_b32 s1, 0
	s_mov_b32 s39, 0
	s_mov_b32 s5, exec_lo
	s_wait_dscnt 0x0
	s_barrier_signal -1
	s_barrier_wait -1
                                        ; implicit-def: $sgpr4
                                        ; implicit-def: $vgpr5
	v_cmpx_gt_u32_e64 s43, v4
	s_cbranch_execz .LBB1856_72
; %bb.51:
	ds_load_b32 v18, v1
	v_cmp_ne_u32_e32 vcc_lo, v2, v14
	v_mov_b64_e32 v[42:43], 0
	v_mov_b64_e32 v[46:47], 0
	;; [unrolled: 1-line block ×18, first 2 shown]
	v_or_b32_e32 v3, 1, v4
	v_cndmask_b32_e64 v19, 0, 1, vcc_lo
	s_mov_b32 s0, 0
	s_mov_b32 s6, exec_lo
                                        ; implicit-def: $sgpr4
                                        ; implicit-def: $vgpr5
	s_delay_alu instid0(VALU_DEP_2)
	v_cmpx_gt_u32_e64 s43, v3
	s_cbranch_execz .LBB1856_71
; %bb.52:
	ds_load_2addr_b32 v[42:43], v1 offset0:1 offset1:2
	v_cmp_ne_u32_e32 vcc_lo, v14, v15
	v_mov_b64_e32 v[46:47], 0
	v_mov_b64_e32 v[44:45], 0
	;; [unrolled: 1-line block ×16, first 2 shown]
	v_or_b32_e32 v3, 2, v4
	v_cndmask_b32_e64 v2, 0, 1, vcc_lo
	s_mov_b32 s7, exec_lo
                                        ; implicit-def: $sgpr4
                                        ; implicit-def: $vgpr5
	s_delay_alu instid0(VALU_DEP_2)
	v_cmpx_gt_u32_e64 s43, v3
	s_cbranch_execz .LBB1856_70
; %bb.53:
	v_cmp_ne_u32_e32 vcc_lo, v15, v16
	v_mov_b64_e32 v[44:45], 0
	v_mov_b64_e32 v[48:49], 0
	;; [unrolled: 1-line block ×14, first 2 shown]
	v_or_b32_e32 v3, 3, v4
	v_cndmask_b32_e64 v47, 0, 1, vcc_lo
	s_mov_b32 s8, exec_lo
                                        ; implicit-def: $sgpr4
                                        ; implicit-def: $vgpr5
	s_delay_alu instid0(VALU_DEP_2)
	v_cmpx_gt_u32_e64 s43, v3
	s_cbranch_execz .LBB1856_69
; %bb.54:
	ds_load_2addr_b32 v[44:45], v1 offset0:3 offset1:4
	v_add_nc_u32_e32 v5, 4, v4
	v_cmp_ne_u32_e32 vcc_lo, v16, v17
	v_mov_b64_e32 v[48:49], 0
	v_mov_b64_e32 v[50:51], 0
	;; [unrolled: 1-line block ×12, first 2 shown]
	v_cndmask_b32_e64 v3, 0, 1, vcc_lo
	v_cmp_gt_u32_e32 vcc_lo, s43, v5
                                        ; implicit-def: $sgpr4
                                        ; implicit-def: $vgpr5
	s_and_saveexec_b32 s9, vcc_lo
	s_cbranch_execz .LBB1856_68
; %bb.55:
	v_add_nc_u32_e32 v5, 5, v4
	v_cmp_ne_u32_e32 vcc_lo, v17, v10
	v_mov_b64_e32 v[50:51], 0
	v_mov_b64_e32 v[52:53], 0
	;; [unrolled: 1-line block ×10, first 2 shown]
	v_cndmask_b32_e64 v49, 0, 1, vcc_lo
	v_cmp_gt_u32_e32 vcc_lo, s43, v5
                                        ; implicit-def: $sgpr4
                                        ; implicit-def: $vgpr5
	s_and_saveexec_b32 s10, vcc_lo
	s_cbranch_execz .LBB1856_67
; %bb.56:
	ds_load_2addr_b32 v[50:51], v1 offset0:5 offset1:6
	v_add_nc_u32_e32 v5, 6, v4
	v_cmp_ne_u32_e32 vcc_lo, v10, v11
	v_mov_b64_e32 v[52:53], 0
	v_mov_b64_e32 v[54:55], 0
	;; [unrolled: 1-line block ×8, first 2 shown]
	v_cndmask_b32_e64 v10, 0, 1, vcc_lo
	v_cmp_gt_u32_e32 vcc_lo, s43, v5
                                        ; implicit-def: $sgpr4
                                        ; implicit-def: $vgpr5
	s_and_saveexec_b32 s11, vcc_lo
	s_cbranch_execz .LBB1856_66
; %bb.57:
	v_add_nc_u32_e32 v5, 7, v4
	v_cmp_ne_u32_e32 vcc_lo, v11, v12
	v_mov_b64_e32 v[54:55], 0
	v_mov_b64_e32 v[56:57], 0
	;; [unrolled: 1-line block ×6, first 2 shown]
	v_cndmask_b32_e64 v53, 0, 1, vcc_lo
	v_cmp_gt_u32_e32 vcc_lo, s43, v5
                                        ; implicit-def: $sgpr4
                                        ; implicit-def: $vgpr5
	s_and_saveexec_b32 s12, vcc_lo
	s_cbranch_execz .LBB1856_65
; %bb.58:
	ds_load_2addr_b32 v[54:55], v1 offset0:7 offset1:8
	v_add_nc_u32_e32 v5, 8, v4
	v_cmp_ne_u32_e32 vcc_lo, v12, v13
	v_mov_b64_e32 v[56:57], 0
	v_mov_b64_e32 v[58:59], 0
	;; [unrolled: 1-line block ×4, first 2 shown]
	v_cndmask_b32_e64 v11, 0, 1, vcc_lo
	v_cmp_gt_u32_e32 vcc_lo, s43, v5
                                        ; implicit-def: $sgpr4
                                        ; implicit-def: $vgpr5
	s_and_saveexec_b32 s13, vcc_lo
	s_cbranch_execz .LBB1856_64
; %bb.59:
	v_add_nc_u32_e32 v5, 9, v4
	v_cmp_ne_u32_e32 vcc_lo, v13, v6
	v_mov_b64_e32 v[58:59], 0
	v_mov_b64_e32 v[20:21], 0
                                        ; implicit-def: $sgpr4
	v_cndmask_b32_e64 v57, 0, 1, vcc_lo
	v_cmp_gt_u32_e32 vcc_lo, s43, v5
                                        ; implicit-def: $vgpr5
	s_and_saveexec_b32 s39, vcc_lo
	s_cbranch_execz .LBB1856_63
; %bb.60:
	ds_load_2addr_b32 v[58:59], v1 offset0:9 offset1:10
	v_add_nc_u32_e32 v5, 10, v4
	v_cmp_ne_u32_e32 vcc_lo, v6, v7
	v_mov_b64_e32 v[20:21], 0
                                        ; implicit-def: $sgpr4
	v_cndmask_b32_e64 v6, 0, 1, vcc_lo
	s_delay_alu instid0(VALU_DEP_4) | instskip(SKIP_1) | instid1(SALU_CYCLE_1)
	v_cmp_gt_u32_e32 vcc_lo, s43, v5
                                        ; implicit-def: $vgpr5
	s_and_saveexec_b32 s40, vcc_lo
	s_xor_b32 s40, exec_lo, s40
	s_cbranch_execz .LBB1856_62
; %bb.61:
	ds_load_b32 v5, v1 offset:44
	s_wait_dscnt 0x1
	v_dual_mov_b32 v20, v59 :: v_dual_add_nc_u32 v1, 11, v4
	v_cmp_ne_u32_e64 s0, v7, v8
	v_cmp_ne_u32_e64 s4, v8, v9
	s_delay_alu instid0(VALU_DEP_3) | instskip(NEXT) | instid1(VALU_DEP_3)
	v_cmp_gt_u32_e32 vcc_lo, s43, v1
	v_cndmask_b32_e64 v21, 0, 1, s0
	s_and_b32 s0, vcc_lo, exec_lo
.LBB1856_62:
	s_or_b32 exec_lo, exec_lo, s40
	s_wait_dscnt 0x0
	v_mov_b32_e32 v59, v6
	s_and_b32 s0, s0, exec_lo
.LBB1856_63:
	s_or_b32 exec_lo, exec_lo, s39
	s_delay_alu instid0(VALU_DEP_1)
	v_mov_b64_e32 v[22:23], v[58:59]
	s_wait_dscnt 0x0
	v_mov_b32_e32 v56, v55
	s_and_b32 s0, s0, exec_lo
.LBB1856_64:
	s_or_b32 exec_lo, exec_lo, s13
	s_delay_alu instid0(VALU_DEP_1)
	v_mov_b64_e32 v[24:25], v[56:57]
	s_wait_dscnt 0x0
	v_mov_b32_e32 v55, v11
	s_and_b32 s0, s0, exec_lo
.LBB1856_65:
	s_or_b32 exec_lo, exec_lo, s12
	s_delay_alu instid0(VALU_DEP_1)
	v_mov_b64_e32 v[26:27], v[54:55]
	s_wait_dscnt 0x0
	v_mov_b32_e32 v52, v51
	s_and_b32 s0, s0, exec_lo
.LBB1856_66:
	s_or_b32 exec_lo, exec_lo, s11
	s_delay_alu instid0(VALU_DEP_1)
	v_mov_b64_e32 v[28:29], v[52:53]
	s_wait_dscnt 0x0
	v_mov_b32_e32 v51, v10
	s_and_b32 s0, s0, exec_lo
.LBB1856_67:
	s_or_b32 exec_lo, exec_lo, s10
	s_delay_alu instid0(VALU_DEP_1)
	v_mov_b64_e32 v[30:31], v[50:51]
	s_wait_dscnt 0x0
	v_mov_b32_e32 v48, v45
	s_and_b32 s0, s0, exec_lo
.LBB1856_68:
	s_or_b32 exec_lo, exec_lo, s9
	s_delay_alu instid0(VALU_DEP_1)
	v_mov_b64_e32 v[32:33], v[48:49]
	s_wait_dscnt 0x0
	v_mov_b32_e32 v45, v3
	s_and_b32 s0, s0, exec_lo
.LBB1856_69:
	s_or_b32 exec_lo, exec_lo, s8
	s_delay_alu instid0(VALU_DEP_1)
	v_mov_b64_e32 v[34:35], v[44:45]
	s_wait_dscnt 0x0
	v_mov_b32_e32 v46, v43
	s_and_b32 s0, s0, exec_lo
.LBB1856_70:
	s_or_b32 exec_lo, exec_lo, s7
	s_delay_alu instid0(VALU_DEP_1)
	v_mov_b64_e32 v[36:37], v[46:47]
	s_wait_dscnt 0x0
	v_mov_b32_e32 v43, v2
	s_and_b32 s0, s0, exec_lo
.LBB1856_71:
	s_or_b32 exec_lo, exec_lo, s6
	s_delay_alu instid0(VALU_DEP_1)
	v_mov_b64_e32 v[38:39], v[42:43]
	s_and_b32 s39, s0, exec_lo
.LBB1856_72:
	s_or_b32 exec_lo, exec_lo, s5
	v_lshlrev_b32_e32 v16, 2, v0
	s_and_b32 vcc_lo, exec_lo, s1
	s_cbranch_vccz .LBB1856_92
.LBB1856_73:
	s_clause 0xb
	flat_load_b32 v2, v0, s[20:21] scale_offset
	flat_load_b32 v3, v0, s[20:21] offset:1024 scale_offset
	flat_load_b32 v4, v0, s[20:21] offset:2048 scale_offset
	;; [unrolled: 1-line block ×11, first 2 shown]
	v_mad_u32_u24 v1, v0, 44, v16
	v_mov_b32_e32 v14, 0
	s_cmp_eq_u64 s[24:25], 0
	s_wait_loadcnt_dscnt 0xa0a
	ds_store_2addr_stride64_b32 v16, v2, v3 offset1:4
	s_wait_loadcnt_dscnt 0x809
	ds_store_2addr_stride64_b32 v16, v4, v5 offset0:8 offset1:12
	s_wait_loadcnt_dscnt 0x608
	ds_store_2addr_stride64_b32 v16, v6, v7 offset0:16 offset1:20
	;; [unrolled: 2-line block ×5, first 2 shown]
	s_wait_dscnt 0x0
	s_barrier_signal -1
	s_barrier_wait -1
	ds_load_b128 v[2:5], v1
	ds_load_b128 v[10:13], v1 offset:16
	ds_load_b128 v[6:9], v1 offset:32
	s_cbranch_scc1 .LBB1856_89
; %bb.74:
	s_and_not1_b32 vcc_lo, exec_lo, s42
	s_cbranch_vccnz .LBB1856_87
; %bb.75:
	s_lshl_b64 s[0:1], s[24:25], 2
	s_delay_alu instid0(SALU_CYCLE_1) | instskip(NEXT) | instid1(SALU_CYCLE_1)
	s_add_nc_u64 s[0:1], s[26:27], s[0:1]
	s_add_nc_u64 s[20:21], s[0:1], -4
	s_mov_b32 s0, 0
	s_branch .LBB1856_88
.LBB1856_76:
	flat_load_b32 v5, v0, s[14:15] scale_offset
	s_wait_xcnt 0x0
	s_or_b32 exec_lo, exec_lo, s39
                                        ; implicit-def: $vgpr18
	s_and_saveexec_b32 s0, s1
	s_cbranch_execz .LBB1856_39
.LBB1856_77:
	flat_load_b32 v18, v0, s[14:15] offset:1024 scale_offset
	s_wait_xcnt 0x0
	s_or_b32 exec_lo, exec_lo, s0
                                        ; implicit-def: $vgpr19
	s_and_saveexec_b32 s0, s4
	s_cbranch_execz .LBB1856_40
.LBB1856_78:
	flat_load_b32 v19, v0, s[14:15] offset:2048 scale_offset
	s_wait_xcnt 0x0
	s_or_b32 exec_lo, exec_lo, s0
                                        ; implicit-def: $vgpr20
	s_and_saveexec_b32 s0, s5
	s_cbranch_execz .LBB1856_41
.LBB1856_79:
	flat_load_b32 v20, v0, s[14:15] offset:3072 scale_offset
	s_wait_xcnt 0x0
	s_or_b32 exec_lo, exec_lo, s0
                                        ; implicit-def: $vgpr21
	s_and_saveexec_b32 s0, s6
	s_cbranch_execz .LBB1856_42
.LBB1856_80:
	flat_load_b32 v21, v0, s[14:15] offset:4096 scale_offset
	s_wait_xcnt 0x0
	s_or_b32 exec_lo, exec_lo, s0
                                        ; implicit-def: $vgpr22
	s_and_saveexec_b32 s0, s7
	s_cbranch_execz .LBB1856_43
.LBB1856_81:
	flat_load_b32 v22, v0, s[14:15] offset:5120 scale_offset
	s_wait_xcnt 0x0
	s_or_b32 exec_lo, exec_lo, s0
                                        ; implicit-def: $vgpr23
	s_and_saveexec_b32 s0, s8
	s_cbranch_execz .LBB1856_44
.LBB1856_82:
	flat_load_b32 v23, v0, s[14:15] offset:6144 scale_offset
	s_wait_xcnt 0x0
	s_or_b32 exec_lo, exec_lo, s0
                                        ; implicit-def: $vgpr24
	s_and_saveexec_b32 s0, s9
	s_cbranch_execz .LBB1856_45
.LBB1856_83:
	flat_load_b32 v24, v0, s[14:15] offset:7168 scale_offset
	s_wait_xcnt 0x0
	s_or_b32 exec_lo, exec_lo, s0
                                        ; implicit-def: $vgpr25
	s_and_saveexec_b32 s0, s10
	s_cbranch_execz .LBB1856_46
.LBB1856_84:
	flat_load_b32 v25, v0, s[14:15] offset:8192 scale_offset
	s_wait_xcnt 0x0
	s_or_b32 exec_lo, exec_lo, s0
                                        ; implicit-def: $vgpr26
	s_and_saveexec_b32 s0, s11
	s_cbranch_execz .LBB1856_47
.LBB1856_85:
	flat_load_b32 v26, v0, s[14:15] offset:9216 scale_offset
	s_wait_xcnt 0x0
	s_or_b32 exec_lo, exec_lo, s0
                                        ; implicit-def: $vgpr27
	s_and_saveexec_b32 s0, s12
	s_cbranch_execz .LBB1856_48
.LBB1856_86:
	flat_load_b32 v27, v0, s[14:15] offset:10240 scale_offset
	s_wait_xcnt 0x0
	s_or_b32 exec_lo, exec_lo, s0
                                        ; implicit-def: $vgpr28
	s_and_saveexec_b32 s0, s13
	s_cbranch_execnz .LBB1856_49
	s_branch .LBB1856_50
.LBB1856_87:
	s_add_nc_u64 s[20:21], s[20:21], -4
	s_mov_b32 s0, -1
.LBB1856_88:
	s_delay_alu instid0(SALU_CYCLE_1)
	s_and_not1_b32 vcc_lo, exec_lo, s0
.LBB1856_89:
	flat_load_b32 v14, v14, s[20:21]
	v_mad_i32_i24 v15, 0xffffffd4, v0, v1
	s_wait_dscnt 0x1
	ds_store_b32 v15, v9 offset:12288
	s_wait_loadcnt_dscnt 0x0
	s_barrier_signal -1
	s_barrier_wait -1
	s_and_saveexec_b32 s0, s3
; %bb.90:
	v_mul_i32_i24_e32 v14, 0xffffffd4, v0
	s_delay_alu instid0(VALU_DEP_1)
	v_add_nc_u32_e32 v14, v1, v14
	ds_load_b32 v14, v14 offset:12284
; %bb.91:
	s_or_b32 exec_lo, exec_lo, s0
	s_wait_dscnt 0x0
	s_barrier_signal -1
	s_barrier_wait -1
	s_clause 0xb
	flat_load_b32 v15, v0, s[14:15] scale_offset
	flat_load_b32 v17, v0, s[14:15] offset:1024 scale_offset
	flat_load_b32 v18, v0, s[14:15] offset:2048 scale_offset
	;; [unrolled: 1-line block ×11, first 2 shown]
	v_cmp_ne_u32_e32 vcc_lo, v14, v2
	v_cmp_ne_u32_e64 s4, v8, v9
	s_mov_b32 s39, -1
	s_wait_loadcnt_dscnt 0xa0a
	ds_store_2addr_stride64_b32 v16, v15, v17 offset1:4
	s_wait_loadcnt_dscnt 0x809
	ds_store_2addr_stride64_b32 v16, v18, v20 offset0:8 offset1:12
	s_wait_loadcnt_dscnt 0x608
	ds_store_2addr_stride64_b32 v16, v21, v22 offset0:16 offset1:20
	;; [unrolled: 2-line block ×5, first 2 shown]
	v_cndmask_b32_e64 v19, 0, 1, vcc_lo
	v_cmp_ne_u32_e32 vcc_lo, v2, v3
	s_wait_dscnt 0x0
	s_barrier_signal -1
	s_barrier_wait -1
	v_cndmask_b32_e64 v43, 0, 1, vcc_lo
	v_cmp_ne_u32_e32 vcc_lo, v3, v4
	ds_load_b128 v[22:25], v1
	ds_load_b128 v[26:29], v1 offset:16
	v_cndmask_b32_e64 v47, 0, 1, vcc_lo
	v_cmp_ne_u32_e32 vcc_lo, v4, v5
	v_cndmask_b32_e64 v45, 0, 1, vcc_lo
	v_cmp_ne_u32_e32 vcc_lo, v5, v10
	ds_load_b128 v[2:5], v1 offset:32
	v_cndmask_b32_e64 v49, 0, 1, vcc_lo
	v_cmp_ne_u32_e32 vcc_lo, v10, v11
	s_wait_dscnt 0x2
	v_dual_mov_b32 v18, v22 :: v_dual_mov_b32 v42, v23
	v_cndmask_b32_e64 v51, 0, 1, vcc_lo
	v_cmp_ne_u32_e32 vcc_lo, v11, v12
	v_dual_mov_b32 v46, v24 :: v_dual_mov_b32 v44, v25
	s_wait_dscnt 0x1
	v_dual_mov_b32 v48, v26 :: v_dual_mov_b32 v50, v27
	v_cndmask_b32_e64 v53, 0, 1, vcc_lo
	v_cmp_ne_u32_e32 vcc_lo, v12, v13
	v_dual_mov_b32 v52, v28 :: v_dual_mov_b32 v54, v29
	s_wait_dscnt 0x0
	v_dual_mov_b32 v56, v2 :: v_dual_mov_b32 v58, v3
	v_cndmask_b32_e64 v55, 0, 1, vcc_lo
	v_cmp_ne_u32_e32 vcc_lo, v13, v6
	v_mov_b64_e32 v[38:39], v[42:43]
	v_mov_b64_e32 v[36:37], v[46:47]
	;; [unrolled: 1-line block ×4, first 2 shown]
	v_cndmask_b32_e64 v57, 0, 1, vcc_lo
	v_cmp_ne_u32_e32 vcc_lo, v6, v7
	v_mov_b64_e32 v[30:31], v[50:51]
	v_mov_b64_e32 v[28:29], v[52:53]
	;; [unrolled: 1-line block ×4, first 2 shown]
	v_cndmask_b32_e64 v59, 0, 1, vcc_lo
	v_cmp_ne_u32_e32 vcc_lo, v7, v8
	v_mov_b32_e32 v20, v4
	s_delay_alu instid0(VALU_DEP_3)
	v_mov_b64_e32 v[22:23], v[58:59]
	v_cndmask_b32_e64 v21, 0, 1, vcc_lo
.LBB1856_92:
	v_mov_b64_e32 v[40:41], 0
	s_and_saveexec_b32 s0, s39
	s_cbranch_execz .LBB1856_94
; %bb.93:
	v_mov_b64_e32 v[22:23], v[58:59]
	v_mov_b64_e32 v[24:25], v[56:57]
	;; [unrolled: 1-line block ×9, first 2 shown]
	v_cndmask_b32_e64 v41, 0, 1, s4
	v_mov_b32_e32 v40, v5
.LBB1856_94:
	s_or_b32 exec_lo, exec_lo, s0
	v_dual_lshrrev_b32 v1, 2, v0 :: v_dual_bitop2_b32 v42, v27, v25 bitop3:0x54
	v_or_b32_e32 v17, v23, v21
	s_cmp_lg_u32 s38, 0
	s_wait_dscnt 0x0
	v_cmp_gt_u32_e32 vcc_lo, 32, v0
	s_barrier_signal -1
	s_barrier_wait -1
	s_cbranch_scc0 .LBB1856_122
; %bb.95:
	s_mov_b64 s[12:13], 0x100000000
	v_or3_b32 v3, v42, v29, v31
	v_cmp_gt_u64_e64 s0, s[12:13], v[38:39]
	v_cmp_gt_u64_e64 s1, s[12:13], v[36:37]
	;; [unrolled: 1-line block ×7, first 2 shown]
	v_dual_cndmask_b32 v2, 0, v18, s0 :: v_dual_bitop2_b32 v5, 56, v1 bitop3:0x40
	v_cmp_gt_u64_e64 s9, s[12:13], v[24:25]
	v_cmp_gt_u64_e64 s10, s[12:13], v[22:23]
	;; [unrolled: 1-line block ×4, first 2 shown]
	v_add_nc_u32_e32 v2, v2, v38
	v_or3_b32 v3, v3, v33, v35
	v_lshl_add_u32 v5, v0, 3, v5
	s_delay_alu instid0(VALU_DEP_3) | instskip(NEXT) | instid1(VALU_DEP_3)
	v_cndmask_b32_e64 v2, 0, v2, s1
	v_or3_b32 v3, v3, v37, v39
	s_delay_alu instid0(VALU_DEP_2) | instskip(NEXT) | instid1(VALU_DEP_2)
	v_add_nc_u32_e32 v2, v2, v36
	v_or3_b32 v3, v41, v17, v3
	s_delay_alu instid0(VALU_DEP_2) | instskip(NEXT) | instid1(VALU_DEP_2)
	v_cndmask_b32_e64 v2, 0, v2, s4
	v_and_b32_e32 v3, 0xff, v3
	s_delay_alu instid0(VALU_DEP_2) | instskip(NEXT) | instid1(VALU_DEP_1)
	v_add_nc_u32_e32 v2, v2, v34
	v_cndmask_b32_e64 v2, 0, v2, s5
	s_delay_alu instid0(VALU_DEP_1) | instskip(NEXT) | instid1(VALU_DEP_1)
	v_add_nc_u32_e32 v2, v2, v32
	v_cndmask_b32_e64 v2, 0, v2, s6
	s_delay_alu instid0(VALU_DEP_1) | instskip(NEXT) | instid1(VALU_DEP_1)
	;; [unrolled: 3-line block ×7, first 2 shown]
	v_dual_add_nc_u32 v4, v2, v20 :: v_dual_mov_b32 v2, 0
	v_cndmask_b32_e64 v4, 0, v4, s12
	s_delay_alu instid0(VALU_DEP_2) | instskip(NEXT) | instid1(VALU_DEP_1)
	v_cmp_eq_u64_e64 s13, 0, v[2:3]
	v_dual_add_nc_u32 v12, v4, v40 :: v_dual_cndmask_b32 v13, 1, v19, s13
	ds_store_b32 v5, v12
	ds_store_b8 v5, v13 offset:4
	s_wait_dscnt 0x0
	s_barrier_signal -1
	s_barrier_wait -1
	s_and_saveexec_b32 s14, vcc_lo
	s_cbranch_execz .LBB1856_105
; %bb.96:
	v_dual_lshlrev_b32 v2, 1, v0 :: v_dual_lshlrev_b32 v3, 6, v0
	s_mov_b32 s15, exec_lo
	s_delay_alu instid0(VALU_DEP_1) | instskip(NEXT) | instid1(VALU_DEP_1)
	v_and_b32_e32 v2, 0x1f8, v2
	v_add_nc_u32_e32 v4, v2, v3
	ds_load_u8 v5, v4 offset:12
	ds_load_b64 v[2:3], v4
	ds_load_2addr_b32 v[6:7], v4 offset0:2 offset1:4
	ds_load_u8 v10, v4 offset:20
	ds_load_u8 v11, v4 offset:28
	;; [unrolled: 1-line block ×5, first 2 shown]
	ds_load_b32 v44, v4 offset:56
	s_wait_dscnt 0x8
	v_cmp_eq_u16_e64 s13, 0, v5
	s_wait_dscnt 0x5
	s_delay_alu instid0(VALU_DEP_1)
	v_dual_cndmask_b32 v45, 0, v2, s13 :: v_dual_bitop2_b32 v5, v10, v5 bitop3:0x54
	ds_load_2addr_b32 v[8:9], v4 offset0:6 offset1:8
	v_cmp_eq_u16_e64 s13, 0, v10
	s_wait_dscnt 0x4
	v_bitop3_b16 v5, v5, v14, v11 bitop3:0xfe
	v_add_nc_u32_e32 v6, v45, v6
	s_delay_alu instid0(VALU_DEP_1) | instskip(SKIP_1) | instid1(VALU_DEP_2)
	v_cndmask_b32_e64 v6, 0, v6, s13
	v_cmp_eq_u16_e64 s13, 0, v11
	v_add_nc_u32_e32 v6, v6, v7
	s_delay_alu instid0(VALU_DEP_1)
	v_cndmask_b32_e64 v45, 0, v6, s13
	ds_load_2addr_b32 v[6:7], v4 offset0:10 offset1:12
	v_cmp_eq_u16_e64 s13, 0, v14
	s_wait_dscnt 0x1
	v_add_nc_u32_e32 v8, v45, v8
	ds_load_u8 v45, v4 offset:60
	v_cndmask_b32_e64 v8, 0, v8, s13
	v_cmp_eq_u16_e64 s13, 0, v15
	s_delay_alu instid0(VALU_DEP_2) | instskip(SKIP_1) | instid1(VALU_DEP_2)
	v_add_nc_u32_e32 v8, v8, v9
	v_bitop3_b16 v9, v5, v43, v15 bitop3:0xfe
	v_dual_cndmask_b32 v8, 0, v8, s13 :: v_dual_bitop2_b32 v5, 1, v3 bitop3:0x40
	s_delay_alu instid0(VALU_DEP_2) | instskip(SKIP_1) | instid1(VALU_DEP_2)
	v_cmp_eq_u16_e64 s13, 0, v9
	s_wait_dscnt 0x0
	v_dual_add_nc_u32 v6, v8, v6 :: v_dual_bitop2_b32 v8, 1, v45 bitop3:0x40
	s_delay_alu instid0(VALU_DEP_2) | instskip(SKIP_1) | instid1(VALU_DEP_1)
	v_cndmask_b32_e64 v9, 1, v5, s13
	v_cmp_eq_u16_e64 s13, 0, v43
	v_cndmask_b32_e64 v6, 0, v6, s13
	s_delay_alu instid0(VALU_DEP_4) | instskip(SKIP_1) | instid1(VALU_DEP_2)
	v_cmp_eq_u32_e64 s13, 1, v8
	v_mbcnt_lo_u32_b32 v8, -1, 0
	v_cndmask_b32_e64 v9, v9, 1, s13
	v_cmp_eq_u16_e64 s13, 0, v45
	s_delay_alu instid0(VALU_DEP_2) | instskip(SKIP_2) | instid1(VALU_DEP_1)
	v_and_b32_e32 v10, 0xffff, v9
	v_add_nc_u32_e32 v7, v6, v7
	v_and_b32_e32 v6, 0xffffff00, v3
	v_dual_cndmask_b32 v7, 0, v7, s13 :: v_dual_bitop2_b32 v11, v6, v10 bitop3:0x54
	v_and_b32_e32 v10, 15, v8
	s_delay_alu instid0(VALU_DEP_2) | instskip(NEXT) | instid1(VALU_DEP_3)
	v_mov_b32_dpp v15, v11 row_shr:1 row_mask:0xf bank_mask:0xf
	v_add_nc_u32_e32 v7, v7, v44
	s_delay_alu instid0(VALU_DEP_1) | instskip(NEXT) | instid1(VALU_DEP_4)
	v_mov_b32_dpp v14, v7 row_shr:1 row_mask:0xf bank_mask:0xf
	v_cmpx_ne_u32_e32 0, v10
	s_cbranch_execz .LBB1856_98
; %bb.97:
	v_and_b32_e32 v11, 1, v9
	v_and_b32_e32 v15, 1, v15
	s_delay_alu instid0(VALU_DEP_2) | instskip(NEXT) | instid1(VALU_DEP_1)
	v_cmp_eq_u32_e64 s13, 1, v11
	v_cndmask_b32_e64 v15, v15, 1, s13
	v_cmp_eq_u16_e64 s13, 0, v9
	s_delay_alu instid0(VALU_DEP_2) | instskip(NEXT) | instid1(VALU_DEP_1)
	v_and_b32_e32 v11, 0xffff, v15
	v_dual_cndmask_b32 v9, 0, v14, s13 :: v_dual_bitop2_b32 v11, v6, v11 bitop3:0x54
	s_delay_alu instid0(VALU_DEP_1)
	v_dual_add_nc_u32 v7, v9, v7 :: v_dual_mov_b32 v9, v15
.LBB1856_98:
	s_or_b32 exec_lo, exec_lo, s15
	s_delay_alu instid0(VALU_DEP_1) | instskip(NEXT) | instid1(VALU_DEP_3)
	v_mov_b32_dpp v14, v7 row_shr:2 row_mask:0xf bank_mask:0xf
	v_mov_b32_dpp v15, v11 row_shr:2 row_mask:0xf bank_mask:0xf
	s_mov_b32 s15, exec_lo
	v_cmpx_lt_u32_e32 1, v10
	s_cbranch_execz .LBB1856_100
; %bb.99:
	v_and_b32_e32 v11, 1, v9
	v_and_b32_e32 v15, 1, v15
	s_delay_alu instid0(VALU_DEP_2) | instskip(NEXT) | instid1(VALU_DEP_1)
	v_cmp_eq_u32_e64 s13, 1, v11
	v_cndmask_b32_e64 v15, v15, 1, s13
	v_cmp_eq_u16_e64 s13, 0, v9
	s_delay_alu instid0(VALU_DEP_2) | instskip(NEXT) | instid1(VALU_DEP_1)
	v_and_b32_e32 v11, 0xffff, v15
	v_dual_cndmask_b32 v9, 0, v14, s13 :: v_dual_bitop2_b32 v11, v6, v11 bitop3:0x54
	s_delay_alu instid0(VALU_DEP_1)
	v_dual_add_nc_u32 v7, v9, v7 :: v_dual_mov_b32 v9, v15
.LBB1856_100:
	s_or_b32 exec_lo, exec_lo, s15
	s_delay_alu instid0(VALU_DEP_1) | instskip(NEXT) | instid1(VALU_DEP_3)
	v_mov_b32_dpp v14, v7 row_shr:4 row_mask:0xf bank_mask:0xf
	v_mov_b32_dpp v15, v11 row_shr:4 row_mask:0xf bank_mask:0xf
	s_mov_b32 s15, exec_lo
	v_cmpx_lt_u32_e32 3, v10
	s_cbranch_execz .LBB1856_102
; %bb.101:
	v_and_b32_e32 v11, 1, v9
	v_and_b32_e32 v15, 1, v15
	s_delay_alu instid0(VALU_DEP_2) | instskip(NEXT) | instid1(VALU_DEP_1)
	v_cmp_eq_u32_e64 s13, 1, v11
	v_cndmask_b32_e64 v15, v15, 1, s13
	v_cmp_eq_u16_e64 s13, 0, v9
	s_delay_alu instid0(VALU_DEP_2) | instskip(NEXT) | instid1(VALU_DEP_1)
	v_and_b32_e32 v11, 0xffff, v15
	v_dual_cndmask_b32 v9, 0, v14, s13 :: v_dual_bitop2_b32 v11, v6, v11 bitop3:0x54
	s_delay_alu instid0(VALU_DEP_1)
	v_dual_add_nc_u32 v7, v9, v7 :: v_dual_mov_b32 v9, v15
.LBB1856_102:
	s_or_b32 exec_lo, exec_lo, s15
	s_delay_alu instid0(VALU_DEP_1) | instskip(NEXT) | instid1(VALU_DEP_3)
	v_mov_b32_dpp v14, v7 row_shr:8 row_mask:0xf bank_mask:0xf
	v_mov_b32_dpp v15, v11 row_shr:8 row_mask:0xf bank_mask:0xf
	s_mov_b32 s15, exec_lo
	v_cmpx_lt_u32_e32 7, v10
	s_cbranch_execz .LBB1856_104
; %bb.103:
	v_and_b32_e32 v10, 1, v9
	v_and_b32_e32 v11, 1, v15
	s_delay_alu instid0(VALU_DEP_2) | instskip(NEXT) | instid1(VALU_DEP_1)
	v_cmp_eq_u32_e64 s13, 1, v10
	v_cndmask_b32_e64 v10, v11, 1, s13
	v_cmp_eq_u16_e64 s13, 0, v9
	s_delay_alu instid0(VALU_DEP_2) | instskip(NEXT) | instid1(VALU_DEP_1)
	v_and_b32_e32 v11, 0xffff, v10
	v_dual_cndmask_b32 v9, 0, v14, s13 :: v_dual_bitop2_b32 v11, v6, v11 bitop3:0x54
	s_delay_alu instid0(VALU_DEP_1)
	v_dual_add_nc_u32 v7, v9, v7 :: v_dual_mov_b32 v9, v10
.LBB1856_104:
	s_or_b32 exec_lo, exec_lo, s15
	ds_swizzle_b32 v10, v11 offset:swizzle(BROADCAST,32,15)
	ds_swizzle_b32 v11, v7 offset:swizzle(BROADCAST,32,15)
	v_and_b32_e32 v14, 1, v9
	v_bfe_i32 v43, v8, 4, 1
	v_and_b32_e32 v3, 0xff, v3
	; wave barrier
	s_delay_alu instid0(VALU_DEP_3) | instskip(SKIP_2) | instid1(VALU_DEP_1)
	v_cmp_eq_u32_e64 s13, 1, v14
	s_wait_dscnt 0x1
	v_dual_add_nc_u32 v14, -1, v8 :: v_dual_bitop2_b32 v10, 1, v10 bitop3:0x40
	v_cndmask_b32_e64 v10, v10, 1, s13
	v_and_b32_e32 v15, 16, v8
	v_cmp_eq_u16_e64 s13, 0, v9
	s_wait_dscnt 0x0
	s_delay_alu instid0(VALU_DEP_1) | instskip(NEXT) | instid1(VALU_DEP_3)
	v_cndmask_b32_e64 v11, 0, v11, s13
	v_cmp_eq_u32_e64 s13, 0, v15
	s_delay_alu instid0(VALU_DEP_1) | instskip(SKIP_1) | instid1(VALU_DEP_4)
	v_cndmask_b32_e64 v9, v10, v9, s13
	v_cmp_gt_i32_e64 s13, 0, v14
	v_and_b32_e32 v10, v43, v11
	s_delay_alu instid0(VALU_DEP_3) | instskip(NEXT) | instid1(VALU_DEP_3)
	v_and_b32_e32 v9, 0xffff, v9
	v_cndmask_b32_e64 v8, v14, v8, s13
	s_delay_alu instid0(VALU_DEP_3) | instskip(SKIP_1) | instid1(VALU_DEP_3)
	v_add_nc_u32_e32 v7, v10, v7
	v_cmp_eq_u16_e64 s13, 0, v3
	v_lshlrev_b32_e32 v8, 2, v8
	ds_bpermute_b32 v7, v8, v7
	s_wait_dscnt 0x0
	v_dual_cndmask_b32 v3, 0, v7, s13 :: v_dual_bitop2_b32 v6, v6, v9 bitop3:0x54
	ds_bpermute_b32 v6, v8, v6
	v_cmp_eq_u32_e64 s13, 1, v5
	v_add_nc_u32_e32 v2, v3, v2
	s_wait_dscnt 0x0
	s_delay_alu instid0(VALU_DEP_1) | instskip(NEXT) | instid1(VALU_DEP_1)
	v_dual_cndmask_b32 v5, v2, v12, s2 :: v_dual_bitop2_b32 v6, 1, v6 bitop3:0x40
	v_cndmask_b32_e64 v3, v6, 1, s13
	s_delay_alu instid0(VALU_DEP_1)
	v_cndmask_b32_e64 v8, v3, v13, s2
	ds_store_b32 v4, v5
	ds_store_b8 v4, v8 offset:4
	; wave barrier
	ds_load_u8 v9, v4 offset:12
	ds_load_2addr_b32 v[2:3], v4 offset0:2 offset1:4
	ds_load_u8 v10, v4 offset:20
	ds_load_u8 v11, v4 offset:28
	;; [unrolled: 1-line block ×5, first 2 shown]
	ds_load_b32 v44, v4 offset:56
	ds_load_u8 v45, v4 offset:60
	ds_load_2addr_b32 v[6:7], v4 offset0:6 offset1:8
	s_wait_dscnt 0x9
	v_cmp_eq_u16_e64 s13, 0, v9
	v_and_b32_e32 v9, 1, v9
	s_delay_alu instid0(VALU_DEP_2) | instskip(SKIP_2) | instid1(VALU_DEP_2)
	v_cndmask_b32_e64 v5, 0, v5, s13
	s_wait_dscnt 0x7
	v_cmp_eq_u16_e64 s13, 0, v10
	v_add_nc_u32_e32 v5, v5, v2
	s_delay_alu instid0(VALU_DEP_1) | instskip(SKIP_2) | instid1(VALU_DEP_2)
	v_cndmask_b32_e64 v2, 0, v5, s13
	s_wait_dscnt 0x6
	v_cmp_eq_u16_e64 s13, 0, v11
	v_add_nc_u32_e32 v46, v2, v3
	ds_load_2addr_b32 v[2:3], v4 offset0:10 offset1:12
	v_cndmask_b32_e64 v47, 0, v46, s13
	s_wait_dscnt 0x6
	v_cmp_eq_u16_e64 s13, 0, v14
	ds_store_2addr_b32 v4, v5, v46 offset0:2 offset1:4
	s_wait_dscnt 0x2
	v_add_nc_u32_e32 v6, v47, v6
	s_delay_alu instid0(VALU_DEP_1) | instskip(SKIP_3) | instid1(VALU_DEP_4)
	v_cndmask_b32_e64 v47, 0, v6, s13
	v_and_b32_e32 v10, 1, v10
	v_cmp_eq_u32_e64 s13, 1, v9
	v_and_b32_e32 v9, 1, v11
	v_dual_add_nc_u32 v7, v47, v7 :: v_dual_bitop2_b32 v11, 1, v14 bitop3:0x40
	s_delay_alu instid0(VALU_DEP_3) | instskip(SKIP_1) | instid1(VALU_DEP_1)
	v_cndmask_b32_e64 v8, v8, 1, s13
	v_cmp_eq_u32_e64 s13, 1, v10
	v_cndmask_b32_e64 v10, v8, 1, s13
	v_cmp_eq_u16_e64 s13, 0, v15
	s_delay_alu instid0(VALU_DEP_1) | instskip(SKIP_2) | instid1(VALU_DEP_2)
	v_cndmask_b32_e64 v14, 0, v7, s13
	v_cmp_eq_u32_e64 s13, 1, v9
	s_wait_dscnt 0x1
	v_dual_add_nc_u32 v2, v14, v2 :: v_dual_bitop2_b32 v15, 1, v15 bitop3:0x40
	s_delay_alu instid0(VALU_DEP_2) | instskip(SKIP_1) | instid1(VALU_DEP_1)
	v_cndmask_b32_e64 v9, v10, 1, s13
	v_cmp_eq_u32_e64 s13, 1, v11
	v_cndmask_b32_e64 v11, v9, 1, s13
	v_cmp_eq_u16_e64 s13, 0, v43
	s_delay_alu instid0(VALU_DEP_1) | instskip(SKIP_1) | instid1(VALU_DEP_2)
	v_dual_cndmask_b32 v43, 0, v2, s13 :: v_dual_bitop2_b32 v14, 1, v43 bitop3:0x40
	v_cmp_eq_u32_e64 s13, 1, v15
	v_add_nc_u32_e32 v3, v43, v3
	s_delay_alu instid0(VALU_DEP_2) | instskip(NEXT) | instid1(VALU_DEP_4)
	v_cndmask_b32_e64 v15, v11, 1, s13
	v_cmp_eq_u32_e64 s13, 1, v14
	ds_store_2addr_b32 v4, v6, v7 offset0:6 offset1:8
	ds_store_2addr_b32 v4, v2, v3 offset0:10 offset1:12
	v_cndmask_b32_e64 v14, v15, 1, s13
	v_cmp_eq_u16_e64 s13, 0, v45
	s_delay_alu instid0(VALU_DEP_1) | instskip(NEXT) | instid1(VALU_DEP_1)
	v_dual_cndmask_b32 v5, 0, v3, s13 :: v_dual_bitop2_b32 v47, 1, v45 bitop3:0x40
	v_cmp_eq_u32_e64 s13, 1, v47
	s_delay_alu instid0(VALU_DEP_2) | instskip(NEXT) | instid1(VALU_DEP_2)
	v_add_nc_u32_e32 v2, v5, v44
	v_cndmask_b32_e64 v43, v14, 1, s13
	ds_store_b8 v4, v8 offset:12
	ds_store_b8 v4, v10 offset:20
	;; [unrolled: 1-line block ×6, first 2 shown]
	ds_store_b32 v4, v2 offset:56
	ds_store_b8 v4, v43 offset:60
.LBB1856_105:
	s_or_b32 exec_lo, exec_lo, s14
	s_wait_dscnt 0x0
	s_barrier_signal -1
	s_barrier_wait -1
	s_and_saveexec_b32 s13, s3
	s_cbranch_execz .LBB1856_107
; %bb.106:
	v_add_nc_u32_e32 v2, -1, v0
	s_delay_alu instid0(VALU_DEP_1) | instskip(NEXT) | instid1(VALU_DEP_1)
	v_lshrrev_b32_e32 v3, 2, v2
	v_and_b32_e32 v3, 0x3ffffff8, v3
	s_delay_alu instid0(VALU_DEP_1)
	v_lshl_add_u32 v2, v2, 3, v3
	ds_load_b32 v12, v2
	ds_load_u8 v13, v2 offset:4
.LBB1856_107:
	s_or_b32 exec_lo, exec_lo, s13
	s_and_saveexec_b32 s24, vcc_lo
	s_cbranch_execz .LBB1856_167
; %bb.108:
	v_mov_b32_e32 v5, 0
	v_mbcnt_lo_u32_b32 v14, -1, 0
	s_mov_b32 s15, 0
	ds_load_b64 v[2:3], v5 offset:2096
	v_cmp_eq_u32_e64 s13, 0, v14
	s_and_saveexec_b32 s20, s13
	s_cbranch_execz .LBB1856_110
; %bb.109:
	s_add_co_i32 s14, s38, 32
	v_mov_b32_e32 v4, 1
	s_lshl_b64 s[14:15], s[14:15], 4
	s_delay_alu instid0(SALU_CYCLE_1) | instskip(NEXT) | instid1(SALU_CYCLE_1)
	s_add_nc_u64 s[14:15], s[28:29], s[14:15]
	v_mov_b64_e32 v[6:7], s[14:15]
	s_wait_dscnt 0x0
	;;#ASMSTART
	global_store_b128 v[6:7], v[2:5] off scope:SCOPE_DEV	
s_wait_storecnt 0x0
	;;#ASMEND
.LBB1856_110:
	s_or_b32 exec_lo, exec_lo, s20
	v_xad_u32 v8, v14, -1, s38
	s_mov_b32 s14, exec_lo
	s_delay_alu instid0(VALU_DEP_1) | instskip(NEXT) | instid1(VALU_DEP_1)
	v_add_nc_u32_e32 v4, 32, v8
	v_lshl_add_u64 v[10:11], v[4:5], 4, s[28:29]
	;;#ASMSTART
	global_load_b128 v[4:7], v[10:11] off scope:SCOPE_DEV	
s_wait_loadcnt 0x0
	;;#ASMEND
	v_and_b32_e32 v7, 0xff, v6
	v_and_b32_e32 v5, 0xff, v5
	s_delay_alu instid0(VALU_DEP_2)
	v_cmpx_eq_u16_e32 0, v7
	s_cbranch_execz .LBB1856_114
; %bb.111:
	s_mov_b32 s15, 0
.LBB1856_112:                           ; =>This Inner Loop Header: Depth=1
	;;#ASMSTART
	global_load_b128 v[4:7], v[10:11] off scope:SCOPE_DEV	
s_wait_loadcnt 0x0
	;;#ASMEND
	v_and_b32_e32 v7, 0xff, v6
	s_delay_alu instid0(VALU_DEP_1) | instskip(SKIP_1) | instid1(SALU_CYCLE_1)
	v_cmp_ne_u16_e32 vcc_lo, 0, v7
	s_or_b32 s15, vcc_lo, s15
	s_and_not1_b32 exec_lo, exec_lo, s15
	s_cbranch_execnz .LBB1856_112
; %bb.113:
	s_or_b32 exec_lo, exec_lo, s15
	v_and_b32_e32 v5, 0xff, v5
.LBB1856_114:
	s_or_b32 exec_lo, exec_lo, s14
	v_cmp_ne_u32_e32 vcc_lo, 31, v14
	v_and_b32_e32 v9, 0xff, v6
	v_lshlrev_b32_e64 v43, v14, -1
	s_mov_b64 s[20:21], 0x100000000
	v_lshl_or_b32 v52, v14, 2, 64
	v_add_co_ci_u32_e64 v7, null, 0, v14, vcc_lo
	v_cmp_eq_u16_e32 vcc_lo, 2, v9
	v_cmp_gt_u64_e64 s14, s[20:21], v[4:5]
	s_delay_alu instid0(VALU_DEP_3) | instskip(SKIP_1) | instid1(VALU_DEP_2)
	v_dual_lshlrev_b32 v15, 2, v7 :: v_dual_bitop2_b32 v10, 1, v5 bitop3:0x40
	v_and_or_b32 v9, vcc_lo, v43, 0x80000000
	v_cmp_eq_u32_e32 vcc_lo, 1, v10
	ds_bpermute_b32 v7, v15, v5
	ds_bpermute_b32 v10, v15, v4
	v_ctz_i32_b32_e32 v9, v9
	s_wait_dscnt 0x1
	v_and_b32_e32 v7, 1, v7
	s_delay_alu instid0(VALU_DEP_1) | instskip(SKIP_1) | instid1(VALU_DEP_2)
	v_cndmask_b32_e64 v7, v7, 1, vcc_lo
	v_cmp_gt_u32_e32 vcc_lo, 30, v14
	v_and_b32_e32 v45, 0xffff, v7
	v_cndmask_b32_e64 v11, 0, 2, vcc_lo
	v_cmp_lt_u32_e32 vcc_lo, v14, v9
	s_delay_alu instid0(VALU_DEP_2) | instskip(NEXT) | instid1(VALU_DEP_4)
	v_add_lshl_u32 v44, v11, v14, 2
	v_dual_cndmask_b32 v11, v5, v45, vcc_lo :: v_dual_cndmask_b32 v7, v5, v7, vcc_lo
	s_and_b32 vcc_lo, vcc_lo, s14
	v_add_nc_u32_e32 v45, 2, v14
	s_wait_dscnt 0x0
	v_cndmask_b32_e32 v10, 0, v10, vcc_lo
	ds_bpermute_b32 v5, v44, v11
	v_and_b32_e32 v46, 1, v7
	v_and_b32_e32 v48, 0xff, v7
	v_add_nc_u32_e32 v4, v10, v4
	s_delay_alu instid0(VALU_DEP_3) | instskip(NEXT) | instid1(VALU_DEP_3)
	v_cmp_eq_u32_e32 vcc_lo, 1, v46
	v_cmp_eq_u16_e64 s14, 0, v48
	ds_bpermute_b32 v10, v44, v4
	s_wait_dscnt 0x1
	v_and_b32_e32 v5, 1, v5
	s_delay_alu instid0(VALU_DEP_1) | instskip(SKIP_3) | instid1(VALU_DEP_3)
	v_cndmask_b32_e64 v5, v5, 1, vcc_lo
	v_cmp_gt_u32_e32 vcc_lo, 28, v14
	s_wait_dscnt 0x0
	v_cndmask_b32_e64 v10, 0, v10, s14
	v_and_b32_e32 v47, 0xffff, v5
	v_cndmask_b32_e64 v46, 0, 4, vcc_lo
	v_cmp_gt_u32_e32 vcc_lo, v45, v9
	s_delay_alu instid0(VALU_DEP_2) | instskip(SKIP_3) | instid1(VALU_DEP_2)
	v_add_lshl_u32 v46, v46, v14, 2
	v_cndmask_b32_e32 v5, v5, v7, vcc_lo
	v_cndmask_b32_e64 v10, v10, 0, vcc_lo
	v_dual_cndmask_b32 v7, v47, v11, vcc_lo :: v_dual_add_nc_u32 v47, 4, v14
	v_dual_add_nc_u32 v4, v10, v4 :: v_dual_bitop2_b32 v48, 1, v5 bitop3:0x40
	ds_bpermute_b32 v11, v46, v7
	v_cmp_eq_u32_e32 vcc_lo, 1, v48
	ds_bpermute_b32 v10, v46, v4
	v_and_b32_e32 v48, 0xff, v5
	s_delay_alu instid0(VALU_DEP_1) | instskip(SKIP_1) | instid1(VALU_DEP_1)
	v_cmp_eq_u16_e64 s14, 0, v48
	s_wait_dscnt 0x0
	v_dual_cndmask_b32 v10, 0, v10, s14 :: v_dual_bitop2_b32 v11, 1, v11 bitop3:0x40
	s_delay_alu instid0(VALU_DEP_1) | instskip(SKIP_1) | instid1(VALU_DEP_2)
	v_cndmask_b32_e64 v11, v11, 1, vcc_lo
	v_cmp_gt_u32_e32 vcc_lo, 24, v14
	v_and_b32_e32 v50, 0xffff, v11
	v_cndmask_b32_e64 v49, 0, 8, vcc_lo
	v_cmp_gt_u32_e32 vcc_lo, v47, v9
	s_delay_alu instid0(VALU_DEP_2) | instskip(NEXT) | instid1(VALU_DEP_4)
	v_add_lshl_u32 v48, v49, v14, 2
	v_dual_cndmask_b32 v5, v11, v5, vcc_lo :: v_dual_cndmask_b32 v7, v50, v7, vcc_lo
	v_cndmask_b32_e64 v10, v10, 0, vcc_lo
	s_delay_alu instid0(VALU_DEP_2)
	v_dual_add_nc_u32 v49, 8, v14 :: v_dual_bitop2_b32 v50, 1, v5 bitop3:0x40
	ds_bpermute_b32 v11, v48, v7
	v_add_nc_u32_e32 v4, v10, v4
	v_and_b32_e32 v51, 0xff, v5
	v_cmp_eq_u32_e32 vcc_lo, 1, v50
	ds_bpermute_b32 v10, v48, v4
	s_wait_dscnt 0x1
	v_and_b32_e32 v11, 1, v11
	s_delay_alu instid0(VALU_DEP_1) | instskip(SKIP_1) | instid1(VALU_DEP_2)
	v_cndmask_b32_e64 v11, v11, 1, vcc_lo
	v_cmp_eq_u16_e32 vcc_lo, 0, v51
	v_and_b32_e32 v50, 0xffff, v11
	s_wait_dscnt 0x0
	v_cndmask_b32_e32 v10, 0, v10, vcc_lo
	v_cmp_gt_u32_e32 vcc_lo, v49, v9
	s_delay_alu instid0(VALU_DEP_3) | instskip(NEXT) | instid1(VALU_DEP_3)
	v_dual_cndmask_b32 v5, v11, v5, vcc_lo :: v_dual_cndmask_b32 v7, v50, v7, vcc_lo
	v_cndmask_b32_e64 v10, v10, 0, vcc_lo
	s_delay_alu instid0(VALU_DEP_2) | instskip(SKIP_3) | instid1(VALU_DEP_1)
	v_and_b32_e32 v50, 1, v5
	ds_bpermute_b32 v7, v52, v7
	v_add_nc_u32_e32 v4, v10, v4
	v_and_b32_e32 v11, 0xff, v5
	v_cmp_eq_u16_e32 vcc_lo, 0, v11
	s_wait_dscnt 0x0
	v_and_b32_e32 v7, 1, v7
	ds_bpermute_b32 v10, v52, v4
	s_wait_dscnt 0x0
	v_cndmask_b32_e32 v10, 0, v10, vcc_lo
	v_cmp_eq_u32_e32 vcc_lo, 1, v50
	v_cndmask_b32_e64 v7, v7, 1, vcc_lo
	v_add_nc_u32_e32 v53, 16, v14
	s_delay_alu instid0(VALU_DEP_1) | instskip(NEXT) | instid1(VALU_DEP_3)
	v_cmp_gt_u32_e32 vcc_lo, v53, v9
	v_dual_mov_b32 v9, 0 :: v_dual_cndmask_b32 v5, v7, v5, vcc_lo
	v_cndmask_b32_e64 v7, v10, 0, vcc_lo
	s_delay_alu instid0(VALU_DEP_1)
	v_add_nc_u32_e32 v4, v7, v4
	s_branch .LBB1856_118
.LBB1856_115:                           ;   in Loop: Header=BB1856_118 Depth=1
	s_or_b32 exec_lo, exec_lo, s15
	v_and_b32_e32 v5, 0xff, v5
.LBB1856_116:                           ;   in Loop: Header=BB1856_118 Depth=1
	s_or_b32 exec_lo, exec_lo, s14
	ds_bpermute_b32 v7, v15, v5
	v_and_b32_e32 v10, 0xff, v6
	v_cmp_gt_u64_e64 s14, s[20:21], v[4:5]
	v_subrev_nc_u32_e32 v8, 32, v8
	s_delay_alu instid0(VALU_DEP_3) | instskip(SKIP_2) | instid1(VALU_DEP_2)
	v_cmp_eq_u16_e32 vcc_lo, 2, v10
	v_and_b32_e32 v10, 1, v5
	v_and_or_b32 v11, vcc_lo, v43, 0x80000000
	v_cmp_eq_u32_e32 vcc_lo, 1, v10
	s_delay_alu instid0(VALU_DEP_2) | instskip(SKIP_3) | instid1(VALU_DEP_1)
	v_ctz_i32_b32_e32 v10, v11
	ds_bpermute_b32 v11, v15, v4
	s_wait_dscnt 0x1
	v_and_b32_e32 v7, 1, v7
	v_cndmask_b32_e64 v7, v7, 1, vcc_lo
	v_cmp_lt_u32_e32 vcc_lo, v14, v10
	s_delay_alu instid0(VALU_DEP_2) | instskip(NEXT) | instid1(VALU_DEP_1)
	v_and_b32_e32 v54, 0xffff, v7
	v_dual_cndmask_b32 v7, v5, v7 :: v_dual_cndmask_b32 v54, v5, v54
	s_and_b32 vcc_lo, vcc_lo, s14
	s_delay_alu instid0(VALU_DEP_1)
	v_and_b32_e32 v56, 0xff, v7
	v_and_b32_e32 v55, 1, v7
	ds_bpermute_b32 v5, v44, v54
	s_wait_dscnt 0x1
	v_cndmask_b32_e32 v11, 0, v11, vcc_lo
	v_cmp_eq_u16_e64 s14, 0, v56
	v_cmp_eq_u32_e32 vcc_lo, 1, v55
	s_wait_dscnt 0x0
	s_delay_alu instid0(VALU_DEP_3) | instskip(NEXT) | instid1(VALU_DEP_1)
	v_dual_add_nc_u32 v4, v11, v4 :: v_dual_bitop2_b32 v5, 1, v5 bitop3:0x40
	v_cndmask_b32_e64 v5, v5, 1, vcc_lo
	ds_bpermute_b32 v11, v44, v4
	v_cmp_gt_u32_e32 vcc_lo, v45, v10
	v_and_b32_e32 v55, 0xffff, v5
	s_delay_alu instid0(VALU_DEP_1) | instskip(NEXT) | instid1(VALU_DEP_1)
	v_dual_cndmask_b32 v5, v5, v7, vcc_lo :: v_dual_cndmask_b32 v7, v55, v54, vcc_lo
	v_and_b32_e32 v55, 1, v5
	ds_bpermute_b32 v54, v46, v7
	s_wait_dscnt 0x1
	v_cndmask_b32_e64 v11, 0, v11, s14
	s_delay_alu instid0(VALU_DEP_1) | instskip(SKIP_2) | instid1(VALU_DEP_3)
	v_cndmask_b32_e64 v11, v11, 0, vcc_lo
	v_cmp_eq_u32_e32 vcc_lo, 1, v55
	v_and_b32_e32 v55, 0xff, v5
	v_add_nc_u32_e32 v4, v11, v4
	s_delay_alu instid0(VALU_DEP_2)
	v_cmp_eq_u16_e64 s14, 0, v55
	s_wait_dscnt 0x0
	v_and_b32_e32 v54, 1, v54
	ds_bpermute_b32 v11, v46, v4
	v_cndmask_b32_e64 v54, v54, 1, vcc_lo
	v_cmp_gt_u32_e32 vcc_lo, v47, v10
	s_delay_alu instid0(VALU_DEP_2) | instskip(SKIP_3) | instid1(VALU_DEP_1)
	v_and_b32_e32 v56, 0xffff, v54
	s_wait_dscnt 0x0
	v_dual_cndmask_b32 v5, v54, v5, vcc_lo :: v_dual_cndmask_b32 v11, 0, v11, s14
	s_mov_b32 s14, 0
	v_cndmask_b32_e64 v11, v11, 0, vcc_lo
	v_cndmask_b32_e32 v7, v56, v7, vcc_lo
	s_delay_alu instid0(VALU_DEP_3) | instskip(NEXT) | instid1(VALU_DEP_3)
	v_and_b32_e32 v56, 0xff, v5
	v_add_nc_u32_e32 v4, v11, v4
	ds_bpermute_b32 v54, v48, v7
	ds_bpermute_b32 v11, v48, v4
	v_and_b32_e32 v55, 1, v5
	s_delay_alu instid0(VALU_DEP_1) | instskip(SKIP_2) | instid1(VALU_DEP_1)
	v_cmp_eq_u32_e32 vcc_lo, 1, v55
	s_wait_dscnt 0x1
	v_and_b32_e32 v54, 1, v54
	v_cndmask_b32_e64 v54, v54, 1, vcc_lo
	v_cmp_eq_u16_e32 vcc_lo, 0, v56
	s_delay_alu instid0(VALU_DEP_2) | instskip(SKIP_3) | instid1(VALU_DEP_2)
	v_and_b32_e32 v55, 0xffff, v54
	s_wait_dscnt 0x0
	v_cndmask_b32_e32 v11, 0, v11, vcc_lo
	v_cmp_gt_u32_e32 vcc_lo, v49, v10
	v_cndmask_b32_e64 v11, v11, 0, vcc_lo
	v_dual_cndmask_b32 v7, v55, v7, vcc_lo :: v_dual_cndmask_b32 v5, v54, v5, vcc_lo
	s_delay_alu instid0(VALU_DEP_2) | instskip(SKIP_4) | instid1(VALU_DEP_1)
	v_add_nc_u32_e32 v4, v11, v4
	ds_bpermute_b32 v7, v52, v7
	v_and_b32_e32 v55, 0xff, v5
	ds_bpermute_b32 v11, v52, v4
	v_and_b32_e32 v54, 1, v5
	v_cmp_eq_u32_e32 vcc_lo, 1, v54
	s_wait_dscnt 0x1
	v_cndmask_b32_e64 v7, v7, 1, vcc_lo
	v_cmp_eq_u16_e32 vcc_lo, 0, v55
	s_wait_dscnt 0x0
	v_cndmask_b32_e32 v11, 0, v11, vcc_lo
	v_cmp_gt_u32_e32 vcc_lo, v53, v10
	v_and_b32_e32 v10, 0xff, v50
	v_cndmask_b32_e32 v5, v7, v5, vcc_lo
	s_delay_alu instid0(VALU_DEP_4) | instskip(NEXT) | instid1(VALU_DEP_3)
	v_cndmask_b32_e64 v7, v11, 0, vcc_lo
	v_cmp_eq_u16_e32 vcc_lo, 0, v10
	s_delay_alu instid0(VALU_DEP_2) | instskip(NEXT) | instid1(VALU_DEP_1)
	v_dual_add_nc_u32 v4, v7, v4 :: v_dual_bitop2_b32 v7, 1, v50 bitop3:0x40
	v_dual_cndmask_b32 v4, 0, v4, vcc_lo :: v_dual_bitop2_b32 v5, 1, v5 bitop3:0x40
	s_delay_alu instid0(VALU_DEP_2) | instskip(NEXT) | instid1(VALU_DEP_2)
	v_cmp_eq_u32_e32 vcc_lo, 1, v7
	v_add_nc_u32_e32 v4, v4, v51
	s_delay_alu instid0(VALU_DEP_3)
	v_cndmask_b32_e64 v5, v5, 1, vcc_lo
.LBB1856_117:                           ;   in Loop: Header=BB1856_118 Depth=1
	s_and_b32 vcc_lo, exec_lo, s14
	s_cbranch_vccnz .LBB1856_163
.LBB1856_118:                           ; =>This Loop Header: Depth=1
                                        ;     Child Loop BB1856_121 Depth 2
	v_and_b32_e32 v6, 0xff, v6
	s_delay_alu instid0(VALU_DEP_2) | instskip(SKIP_1) | instid1(VALU_DEP_2)
	v_dual_mov_b32 v50, v5 :: v_dual_mov_b32 v51, v4
	s_mov_b32 s14, -1
                                        ; implicit-def: $vgpr5
                                        ; implicit-def: $vgpr4
	v_cmp_ne_u16_e32 vcc_lo, 2, v6
                                        ; implicit-def: $vgpr6
	s_cmp_lg_u32 vcc_lo, exec_lo
	s_cbranch_scc1 .LBB1856_117
; %bb.119:                              ;   in Loop: Header=BB1856_118 Depth=1
	v_lshl_add_u64 v[10:11], v[8:9], 4, s[28:29]
	;;#ASMSTART
	global_load_b128 v[4:7], v[10:11] off scope:SCOPE_DEV	
s_wait_loadcnt 0x0
	;;#ASMEND
	v_and_b32_e32 v7, 0xff, v6
	v_and_b32_e32 v5, 0xff, v5
	s_mov_b32 s14, exec_lo
	s_delay_alu instid0(VALU_DEP_2)
	v_cmpx_eq_u16_e32 0, v7
	s_cbranch_execz .LBB1856_116
; %bb.120:                              ;   in Loop: Header=BB1856_118 Depth=1
	s_mov_b32 s15, 0
.LBB1856_121:                           ;   Parent Loop BB1856_118 Depth=1
                                        ; =>  This Inner Loop Header: Depth=2
	;;#ASMSTART
	global_load_b128 v[4:7], v[10:11] off scope:SCOPE_DEV	
s_wait_loadcnt 0x0
	;;#ASMEND
	v_and_b32_e32 v7, 0xff, v6
	s_delay_alu instid0(VALU_DEP_1) | instskip(SKIP_1) | instid1(SALU_CYCLE_1)
	v_cmp_ne_u16_e32 vcc_lo, 0, v7
	s_or_b32 s15, vcc_lo, s15
	s_and_not1_b32 exec_lo, exec_lo, s15
	s_cbranch_execnz .LBB1856_121
	s_branch .LBB1856_115
.LBB1856_122:
                                        ; implicit-def: $vgpr13
                                        ; implicit-def: $vgpr5
                                        ; implicit-def: $vgpr9
                                        ; implicit-def: $vgpr14_vgpr15
	s_cbranch_execnz .LBB1856_168
.LBB1856_123:
	s_add_nc_u64 s[0:1], s[18:19], s[34:35]
	s_and_b32 vcc_lo, exec_lo, s31
	s_add_nc_u64 s[0:1], s[0:1], s[16:17]
	s_cbranch_vccz .LBB1856_185
.LBB1856_124:
	v_mul_u32_u24_e32 v1, 12, v0
	s_add_co_i32 s33, s33, s30
	s_mov_b32 s2, exec_lo
	s_delay_alu instid0(VALU_DEP_1)
	v_cmpx_gt_u32_e64 s33, v1
	s_cbranch_execz .LBB1856_140
; %bb.125:
	v_or_b32_e32 v17, 1, v1
	s_mov_b32 s3, exec_lo
	s_delay_alu instid0(VALU_DEP_1)
	v_cmpx_gt_u32_e64 s33, v17
	s_cbranch_execz .LBB1856_139
; %bb.126:
	v_or_b32_e32 v17, 2, v1
	;; [unrolled: 6-line block ×3, first 2 shown]
	s_mov_b32 s5, exec_lo
	s_delay_alu instid0(VALU_DEP_1)
	v_cmpx_gt_u32_e64 s33, v17
	s_cbranch_execz .LBB1856_137
; %bb.128:
	v_add_nc_u32_e32 v17, 4, v1
	s_mov_b32 s6, exec_lo
	s_delay_alu instid0(VALU_DEP_1)
	v_cmpx_gt_u32_e64 s33, v17
	s_cbranch_execz .LBB1856_136
; %bb.129:
	v_add_nc_u32_e32 v17, 5, v1
	;; [unrolled: 6-line block ×4, first 2 shown]
	s_mov_b32 s9, exec_lo
	s_delay_alu instid0(VALU_DEP_1)
	v_cmpx_gt_u32_e64 s33, v17
; %bb.132:
	v_add_nc_u32_e32 v17, 8, v1
	s_mov_b32 s10, exec_lo
	s_delay_alu instid0(VALU_DEP_1)
	v_cmpx_gt_u32_e64 s33, v17
	s_or_b32 exec_lo, exec_lo, s10
; %bb.133:
	s_delay_alu instid0(SALU_CYCLE_1)
	s_or_b32 exec_lo, exec_lo, s9
.LBB1856_134:
	s_delay_alu instid0(SALU_CYCLE_1)
	s_or_b32 exec_lo, exec_lo, s8
.LBB1856_135:
	s_delay_alu instid0(SALU_CYCLE_1)
	s_or_b32 exec_lo, exec_lo, s7
.LBB1856_136:
	s_delay_alu instid0(SALU_CYCLE_1)
	s_or_b32 exec_lo, exec_lo, s6
.LBB1856_137:
	s_delay_alu instid0(SALU_CYCLE_1)
	s_or_b32 exec_lo, exec_lo, s5
.LBB1856_138:
	s_delay_alu instid0(SALU_CYCLE_1)
	s_or_b32 exec_lo, exec_lo, s4
.LBB1856_139:
	s_delay_alu instid0(SALU_CYCLE_1)
	s_or_b32 exec_lo, exec_lo, s3
.LBB1856_140:
	s_delay_alu instid0(SALU_CYCLE_1)
	s_or_b32 exec_lo, exec_lo, s2
	v_dual_lshlrev_b32 v1, 2, v1 :: v_dual_mov_b32 v17, 0
	s_barrier_signal -1
	s_barrier_wait -1
	ds_store_b128 v1, v[6:9]
	ds_store_b128 v1, v[2:5] offset:16
	ds_store_b128 v1, v[10:13] offset:32
	v_mad_i32_i24 v6, 0xffffffd4, v0, v1
	s_wait_dscnt 0x0
	s_barrier_signal -1
	s_barrier_wait -1
	ds_load_2addr_stride64_b32 v[26:27], v6 offset0:4 offset1:8
	ds_load_2addr_stride64_b32 v[24:25], v6 offset0:12 offset1:16
	ds_load_2addr_stride64_b32 v[22:23], v6 offset0:20 offset1:24
	ds_load_2addr_stride64_b32 v[20:21], v6 offset0:28 offset1:32
	ds_load_2addr_stride64_b32 v[18:19], v6 offset0:36 offset1:40
	ds_load_b32 v7, v6 offset:11264
	v_add_nc_u64_e32 v[16:17], s[0:1], v[16:17]
	s_mov_b32 s2, exec_lo
	v_cmpx_gt_u32_e64 s33, v0
	s_cbranch_execz .LBB1856_142
; %bb.141:
	v_mul_i32_i24_e32 v6, 0xffffffd4, v0
	s_delay_alu instid0(VALU_DEP_1)
	v_add_nc_u32_e32 v1, v1, v6
	ds_load_b32 v1, v1
	s_wait_dscnt 0x0
	flat_store_b32 v[16:17], v1
.LBB1856_142:
	s_wait_xcnt 0x0
	s_or_b32 exec_lo, exec_lo, s2
	v_or_b32_e32 v1, 0x100, v0
	s_mov_b32 s2, exec_lo
	s_delay_alu instid0(VALU_DEP_1)
	v_cmpx_gt_u32_e64 s33, v1
	s_cbranch_execz .LBB1856_144
; %bb.143:
	s_wait_dscnt 0x5
	flat_store_b32 v[16:17], v26 offset:1024
.LBB1856_144:
	s_wait_xcnt 0x0
	s_or_b32 exec_lo, exec_lo, s2
	v_or_b32_e32 v1, 0x200, v0
	s_mov_b32 s2, exec_lo
	s_delay_alu instid0(VALU_DEP_1)
	v_cmpx_gt_u32_e64 s33, v1
	s_cbranch_execz .LBB1856_146
; %bb.145:
	s_wait_dscnt 0x5
	flat_store_b32 v[16:17], v27 offset:2048
.LBB1856_146:
	;; [unrolled: 11-line block ×10, first 2 shown]
	s_wait_xcnt 0x0
	s_or_b32 exec_lo, exec_lo, s2
	v_or_b32_e32 v1, 0xb00, v0
	s_delay_alu instid0(VALU_DEP_1)
	v_cmp_gt_u32_e64 s2, s33, v1
	s_branch .LBB1856_187
.LBB1856_163:
	s_and_saveexec_b32 s14, s13
	s_cbranch_execz .LBB1856_165
; %bb.164:
	v_and_b32_e32 v4, 0xff, v3
	s_mov_b32 s21, 0
	s_add_co_i32 s20, s38, 32
	v_and_b32_e32 v5, 1, v50
	s_lshl_b64 s[20:21], s[20:21], 4
	v_cmp_eq_u32_e32 vcc_lo, 0, v4
	s_add_nc_u64 s[20:21], s[28:29], s[20:21]
	s_delay_alu instid0(SALU_CYCLE_1) | instskip(SKIP_1) | instid1(VALU_DEP_1)
	v_mov_b64_e32 v[6:7], s[20:21]
	v_cndmask_b32_e32 v4, 0, v51, vcc_lo
	v_dual_add_nc_u32 v2, v4, v2 :: v_dual_bitop2_b32 v3, 1, v3 bitop3:0x40
	s_delay_alu instid0(VALU_DEP_1)
	v_cmp_eq_u32_e32 vcc_lo, 1, v3
	v_mov_b32_e32 v4, 2
	v_cndmask_b32_e64 v3, v5, 1, vcc_lo
	v_mov_b32_e32 v5, 0
	;;#ASMSTART
	global_store_b128 v[6:7], v[2:5] off scope:SCOPE_DEV	
s_wait_storecnt 0x0
	;;#ASMEND
.LBB1856_165:
	s_or_b32 exec_lo, exec_lo, s14
	s_delay_alu instid0(SALU_CYCLE_1)
	s_and_b32 exec_lo, exec_lo, s2
	s_cbranch_execz .LBB1856_167
; %bb.166:
	v_mov_b32_e32 v2, 0
	ds_store_b32 v2, v51
	ds_store_b8 v2, v50 offset:4
.LBB1856_167:
	s_or_b32 exec_lo, exec_lo, s24
	v_dual_mov_b32 v2, 0 :: v_dual_bitop2_b32 v3, 1, v19 bitop3:0x40
	s_wait_dscnt 0x0
	s_barrier_signal -1
	s_barrier_wait -1
	s_delay_alu instid0(VALU_DEP_1) | instskip(SKIP_4) | instid1(VALU_DEP_2)
	v_cmp_eq_u32_e32 vcc_lo, 1, v3
	ds_load_b32 v2, v2
	s_mov_b64 s[14:15], 0x100000000
	v_cndmask_b32_e64 v3, v13, 1, vcc_lo
	v_cmp_gt_u64_e32 vcc_lo, s[14:15], v[18:19]
	v_dual_cndmask_b32 v3, v3, v19, s2 :: v_dual_cndmask_b32 v4, 0, v12, vcc_lo
	s_delay_alu instid0(VALU_DEP_1) | instskip(NEXT) | instid1(VALU_DEP_2)
	v_and_b32_e32 v3, 0xff, v3
	v_cndmask_b32_e64 v4, v4, 0, s2
	s_delay_alu instid0(VALU_DEP_2) | instskip(SKIP_2) | instid1(VALU_DEP_1)
	v_cmp_eq_u16_e32 vcc_lo, 0, v3
	s_wait_dscnt 0x0
	v_cndmask_b32_e32 v2, 0, v2, vcc_lo
	v_add3_u32 v6, v4, v18, v2
	s_delay_alu instid0(VALU_DEP_1) | instskip(NEXT) | instid1(VALU_DEP_1)
	v_cndmask_b32_e64 v2, 0, v6, s0
	v_add_nc_u32_e32 v7, v2, v38
	s_delay_alu instid0(VALU_DEP_1) | instskip(NEXT) | instid1(VALU_DEP_1)
	v_cndmask_b32_e64 v2, 0, v7, s1
	v_add_nc_u32_e32 v8, v2, v36
	v_mov_b64_e32 v[14:15], v[6:7]
	s_delay_alu instid0(VALU_DEP_2) | instskip(NEXT) | instid1(VALU_DEP_1)
	v_cndmask_b32_e64 v2, 0, v8, s4
	v_add_nc_u32_e32 v9, v2, v34
	s_delay_alu instid0(VALU_DEP_1) | instskip(NEXT) | instid1(VALU_DEP_1)
	v_cndmask_b32_e64 v2, 0, v9, s5
	v_add_nc_u32_e32 v2, v2, v32
	s_delay_alu instid0(VALU_DEP_1) | instskip(NEXT) | instid1(VALU_DEP_1)
	;; [unrolled: 3-line block ×8, first 2 shown]
	v_cndmask_b32_e64 v13, 0, v12, s12
	v_add_nc_u32_e32 v13, v13, v40
	s_branch .LBB1856_123
.LBB1856_168:
	s_cmp_lg_u64 s[36:37], 0
	s_cselect_b32 s0, -1, 0
	s_cmp_lg_u64 s[22:23], 0
	s_cselect_b32 s1, -1, 0
	s_delay_alu instid0(SALU_CYCLE_1) | instskip(NEXT) | instid1(SALU_CYCLE_1)
	s_and_b32 s0, s0, s1
	s_and_b32 s1, s2, s0
	s_delay_alu instid0(SALU_CYCLE_1)
	s_and_saveexec_b32 s0, s1
	s_cbranch_execz .LBB1856_170
; %bb.169:
	s_mov_b64 s[4:5], 0x100000000
	s_delay_alu instid0(SALU_CYCLE_1)
	v_cmp_gt_u64_e32 vcc_lo, s[4:5], v[18:19]
	v_mov_b32_e32 v2, 0
	s_clause 0x1
	global_load_b32 v3, v2, s[22:23]
	global_load_u8 v4, v2, s[22:23] offset:4
	s_wait_loadcnt 0x1
	v_cndmask_b32_e32 v5, 0, v3, vcc_lo
	v_and_b32_e32 v3, 1, v19
	s_wait_loadcnt 0x0
	s_delay_alu instid0(VALU_DEP_2) | instskip(NEXT) | instid1(VALU_DEP_2)
	v_dual_add_nc_u32 v18, v5, v18 :: v_dual_bitop2_b32 v4, 1, v4 bitop3:0x40
	v_cmp_eq_u64_e32 vcc_lo, 0, v[2:3]
	s_delay_alu instid0(VALU_DEP_2)
	v_cndmask_b32_e32 v19, 1, v4, vcc_lo
.LBB1856_170:
	s_or_b32 exec_lo, exec_lo, s0
	s_mov_b64 s[12:13], 0x100000000
	v_or3_b32 v12, v42, v29, v31
	v_cmp_gt_u64_e32 vcc_lo, s[12:13], v[38:39]
	v_cmp_gt_u64_e64 s6, s[12:13], v[28:29]
	v_cmp_gt_u64_e64 s0, s[12:13], v[36:37]
	;; [unrolled: 1-line block ×6, first 2 shown]
	v_cndmask_b32_e32 v2, 0, v18, vcc_lo
	v_cmp_gt_u64_e64 s8, s[12:13], v[24:25]
	v_cmp_gt_u64_e64 s10, s[12:13], v[20:21]
	;; [unrolled: 1-line block ×3, first 2 shown]
	v_dual_mov_b32 v14, 0 :: v_dual_bitop2_b32 v1, 56, v1 bitop3:0x40
	v_add_nc_u32_e32 v7, v2, v38
	v_cmp_gt_u64_e64 s11, s[12:13], v[40:41]
	s_mov_b32 s13, exec_lo
	v_lshl_add_u32 v1, v0, 3, v1
	v_cndmask_b32_e64 v2, 0, v7, s0
	s_delay_alu instid0(VALU_DEP_1) | instskip(NEXT) | instid1(VALU_DEP_1)
	v_add_nc_u32_e32 v8, v2, v36
	v_cndmask_b32_e64 v2, 0, v8, s1
	s_delay_alu instid0(VALU_DEP_1) | instskip(NEXT) | instid1(VALU_DEP_1)
	v_add_nc_u32_e32 v9, v2, v34
	;; [unrolled: 3-line block ×7, first 2 shown]
	v_cndmask_b32_e64 v6, 0, v10, s9
	s_delay_alu instid0(VALU_DEP_1) | instskip(SKIP_1) | instid1(VALU_DEP_2)
	v_add_nc_u32_e32 v11, v6, v22
	v_or3_b32 v6, v12, v33, v35
	v_cndmask_b32_e64 v12, 0, v11, s10
	s_delay_alu instid0(VALU_DEP_2) | instskip(NEXT) | instid1(VALU_DEP_2)
	v_or3_b32 v6, v6, v37, v39
	v_add_nc_u32_e32 v12, v12, v20
	s_delay_alu instid0(VALU_DEP_2) | instskip(NEXT) | instid1(VALU_DEP_1)
	v_or3_b32 v6, v41, v17, v6
	v_and_b32_e32 v15, 0xff, v6
	s_delay_alu instid0(VALU_DEP_1) | instskip(NEXT) | instid1(VALU_DEP_1)
	v_cmp_eq_u64_e64 s12, 0, v[14:15]
	v_dual_cndmask_b32 v13, 0, v12, s11 :: v_dual_cndmask_b32 v6, 1, v19, s12
	s_delay_alu instid0(VALU_DEP_1)
	v_add_nc_u32_e32 v13, v13, v40
	ds_store_b32 v1, v13
	ds_store_b8 v1, v6 offset:4
	s_wait_dscnt 0x0
	s_barrier_signal -1
	s_barrier_wait -1
	v_cmpx_gt_u32_e32 32, v0
	s_cbranch_execz .LBB1856_180
; %bb.171:
	v_dual_lshlrev_b32 v1, 1, v0 :: v_dual_lshlrev_b32 v14, 6, v0
	s_mov_b32 s14, exec_lo
	s_delay_alu instid0(VALU_DEP_1) | instskip(NEXT) | instid1(VALU_DEP_1)
	v_and_b32_e32 v1, 0x1f8, v1
	v_add_nc_u32_e32 v1, v1, v14
	ds_load_u8 v17, v1 offset:12
	ds_load_b64 v[14:15], v1
	ds_load_2addr_b32 v[42:43], v1 offset0:2 offset1:4
	ds_load_u8 v21, v1 offset:20
	ds_load_u8 v23, v1 offset:28
	;; [unrolled: 1-line block ×5, first 2 shown]
	ds_load_b32 v33, v1 offset:56
	s_wait_dscnt 0x8
	v_cmp_eq_u16_e64 s12, 0, v17
	s_wait_dscnt 0x5
	s_delay_alu instid0(VALU_DEP_1)
	v_dual_cndmask_b32 v31, 0, v14, s12 :: v_dual_bitop2_b32 v17, v21, v17 bitop3:0x54
	ds_load_2addr_b32 v[44:45], v1 offset0:6 offset1:8
	v_cmp_eq_u16_e64 s12, 0, v21
	ds_load_u8 v35, v1 offset:60
	s_wait_dscnt 0x5
	v_bitop3_b16 v17, v17, v25, v23 bitop3:0xfe
	v_add_nc_u32_e32 v31, v31, v42
	s_delay_alu instid0(VALU_DEP_1)
	v_cndmask_b32_e64 v31, 0, v31, s12
	v_cmp_eq_u16_e64 s12, 0, v23
	s_wait_dscnt 0x3
	v_bitop3_b16 v23, v17, v29, v27 bitop3:0xfe
	v_and_b32_e32 v17, 1, v15
	v_add_nc_u32_e32 v31, v31, v43
	ds_load_2addr_b32 v[42:43], v1 offset0:10 offset1:12
	v_cndmask_b32_e64 v31, 0, v31, s12
	v_cmp_eq_u16_e64 s12, 0, v25
	s_wait_dscnt 0x1
	s_delay_alu instid0(VALU_DEP_2) | instskip(NEXT) | instid1(VALU_DEP_1)
	v_dual_add_nc_u32 v31, v31, v44 :: v_dual_bitop2_b32 v25, 1, v35 bitop3:0x40
	v_cndmask_b32_e64 v31, 0, v31, s12
	v_cmp_eq_u16_e64 s12, 0, v27
	s_delay_alu instid0(VALU_DEP_2) | instskip(NEXT) | instid1(VALU_DEP_1)
	v_add_nc_u32_e32 v21, v31, v45
	v_cndmask_b32_e64 v21, 0, v21, s12
	v_cmp_eq_u16_e64 s12, 0, v23
	s_wait_dscnt 0x0
	s_delay_alu instid0(VALU_DEP_1) | instskip(SKIP_1) | instid1(VALU_DEP_1)
	v_dual_add_nc_u32 v21, v21, v42 :: v_dual_cndmask_b32 v23, 1, v17, s12
	v_cmp_eq_u16_e64 s12, 0, v29
	v_cndmask_b32_e64 v21, 0, v21, s12
	v_cmp_eq_u32_e64 s12, 1, v25
	v_mbcnt_lo_u32_b32 v25, -1, 0
	s_delay_alu instid0(VALU_DEP_2) | instskip(SKIP_1) | instid1(VALU_DEP_2)
	v_cndmask_b32_e64 v27, v23, 1, s12
	v_cmp_eq_u16_e64 s12, 0, v35
	v_and_b32_e32 v29, 0xffff, v27
	v_add_nc_u32_e32 v23, v21, v43
	v_and_b32_e32 v21, 0xffffff00, v15
	s_delay_alu instid0(VALU_DEP_1) | instskip(SKIP_1) | instid1(VALU_DEP_2)
	v_dual_cndmask_b32 v23, 0, v23, s12 :: v_dual_bitop2_b32 v31, v21, v29 bitop3:0x54
	v_and_b32_e32 v29, 15, v25
	v_mov_b32_dpp v35, v31 row_shr:1 row_mask:0xf bank_mask:0xf
	s_delay_alu instid0(VALU_DEP_3) | instskip(NEXT) | instid1(VALU_DEP_1)
	v_add_nc_u32_e32 v23, v23, v33
	v_mov_b32_dpp v33, v23 row_shr:1 row_mask:0xf bank_mask:0xf
	s_delay_alu instid0(VALU_DEP_4)
	v_cmpx_ne_u32_e32 0, v29
	s_cbranch_execz .LBB1856_173
; %bb.172:
	v_and_b32_e32 v31, 1, v27
	v_and_b32_e32 v35, 1, v35
	s_delay_alu instid0(VALU_DEP_2) | instskip(NEXT) | instid1(VALU_DEP_1)
	v_cmp_eq_u32_e64 s12, 1, v31
	v_cndmask_b32_e64 v35, v35, 1, s12
	v_cmp_eq_u16_e64 s12, 0, v27
	s_delay_alu instid0(VALU_DEP_2) | instskip(NEXT) | instid1(VALU_DEP_1)
	v_and_b32_e32 v31, 0xffff, v35
	v_dual_cndmask_b32 v27, 0, v33, s12 :: v_dual_bitop2_b32 v31, v21, v31 bitop3:0x54
	s_delay_alu instid0(VALU_DEP_1)
	v_add_nc_u32_e32 v23, v27, v23
	v_mov_b32_e32 v27, v35
.LBB1856_173:
	s_or_b32 exec_lo, exec_lo, s14
	s_delay_alu instid0(VALU_DEP_2)
	v_mov_b32_dpp v33, v23 row_shr:2 row_mask:0xf bank_mask:0xf
	v_mov_b32_dpp v35, v31 row_shr:2 row_mask:0xf bank_mask:0xf
	s_mov_b32 s14, exec_lo
	v_cmpx_lt_u32_e32 1, v29
	s_cbranch_execz .LBB1856_175
; %bb.174:
	v_and_b32_e32 v31, 1, v27
	v_and_b32_e32 v35, 1, v35
	s_delay_alu instid0(VALU_DEP_2) | instskip(NEXT) | instid1(VALU_DEP_1)
	v_cmp_eq_u32_e64 s12, 1, v31
	v_cndmask_b32_e64 v35, v35, 1, s12
	v_cmp_eq_u16_e64 s12, 0, v27
	s_delay_alu instid0(VALU_DEP_2) | instskip(NEXT) | instid1(VALU_DEP_1)
	v_and_b32_e32 v31, 0xffff, v35
	v_dual_cndmask_b32 v27, 0, v33, s12 :: v_dual_bitop2_b32 v31, v21, v31 bitop3:0x54
	s_delay_alu instid0(VALU_DEP_1)
	v_add_nc_u32_e32 v23, v27, v23
	v_mov_b32_e32 v27, v35
.LBB1856_175:
	s_or_b32 exec_lo, exec_lo, s14
	s_delay_alu instid0(VALU_DEP_2)
	v_mov_b32_dpp v33, v23 row_shr:4 row_mask:0xf bank_mask:0xf
	v_mov_b32_dpp v35, v31 row_shr:4 row_mask:0xf bank_mask:0xf
	s_mov_b32 s14, exec_lo
	v_cmpx_lt_u32_e32 3, v29
	;; [unrolled: 21-line block ×3, first 2 shown]
	s_cbranch_execz .LBB1856_179
; %bb.178:
	v_and_b32_e32 v29, 1, v27
	v_and_b32_e32 v31, 1, v35
	s_delay_alu instid0(VALU_DEP_2) | instskip(NEXT) | instid1(VALU_DEP_1)
	v_cmp_eq_u32_e64 s12, 1, v29
	v_cndmask_b32_e64 v29, v31, 1, s12
	v_cmp_eq_u16_e64 s12, 0, v27
	s_delay_alu instid0(VALU_DEP_2) | instskip(NEXT) | instid1(VALU_DEP_1)
	v_and_b32_e32 v31, 0xffff, v29
	v_dual_cndmask_b32 v27, 0, v33, s12 :: v_dual_bitop2_b32 v31, v21, v31 bitop3:0x54
	s_delay_alu instid0(VALU_DEP_1)
	v_dual_add_nc_u32 v23, v27, v23 :: v_dual_mov_b32 v27, v29
.LBB1856_179:
	s_or_b32 exec_lo, exec_lo, s14
	ds_swizzle_b32 v29, v31 offset:swizzle(BROADCAST,32,15)
	ds_swizzle_b32 v31, v23 offset:swizzle(BROADCAST,32,15)
	v_and_b32_e32 v33, 1, v27
	v_and_b32_e32 v35, 16, v25
	v_bfe_i32 v37, v25, 4, 1
	v_and_b32_e32 v15, 0xff, v15
	s_delay_alu instid0(VALU_DEP_4) | instskip(SKIP_3) | instid1(VALU_DEP_1)
	v_cmp_eq_u32_e64 s12, 1, v33
	v_add_nc_u32_e32 v33, -1, v25
	; wave barrier
	s_wait_dscnt 0x1
	v_and_b32_e32 v29, 1, v29
	v_cndmask_b32_e64 v29, v29, 1, s12
	v_cmp_eq_u16_e64 s12, 0, v27
	s_wait_dscnt 0x0
	s_delay_alu instid0(VALU_DEP_1) | instskip(SKIP_1) | instid1(VALU_DEP_1)
	v_cndmask_b32_e64 v31, 0, v31, s12
	v_cmp_eq_u32_e64 s12, 0, v35
	v_cndmask_b32_e64 v27, v29, v27, s12
	v_cmp_gt_i32_e64 s12, 0, v33
	s_delay_alu instid0(VALU_DEP_2) | instskip(NEXT) | instid1(VALU_DEP_2)
	v_and_b32_e32 v27, 0xffff, v27
	v_cndmask_b32_e64 v25, v33, v25, s12
	v_and_b32_e32 v29, v37, v31
	v_cmp_eq_u16_e64 s12, 0, v15
	s_delay_alu instid0(VALU_DEP_3)
	v_dual_lshlrev_b32 v25, 2, v25 :: v_dual_bitop2_b32 v21, v21, v27 bitop3:0x54
	ds_bpermute_b32 v21, v25, v21
	s_wait_dscnt 0x0
	v_dual_add_nc_u32 v23, v29, v23 :: v_dual_bitop2_b32 v21, 1, v21 bitop3:0x40
	ds_bpermute_b32 v23, v25, v23
	s_wait_dscnt 0x0
	v_cndmask_b32_e64 v15, 0, v23, s12
	v_cmp_eq_u32_e64 s12, 1, v17
	s_delay_alu instid0(VALU_DEP_2) | instskip(NEXT) | instid1(VALU_DEP_2)
	v_add_nc_u32_e32 v14, v15, v14
	v_cndmask_b32_e64 v15, v21, 1, s12
	s_delay_alu instid0(VALU_DEP_1)
	v_dual_cndmask_b32 v17, v14, v13, s2 :: v_dual_cndmask_b32 v6, v15, v6, s2
	ds_store_b32 v1, v17
	ds_store_b8 v1, v6 offset:4
	; wave barrier
	ds_load_u8 v21, v1 offset:12
	ds_load_2addr_b32 v[14:15], v1 offset0:2 offset1:4
	ds_load_u8 v23, v1 offset:20
	ds_load_u8 v25, v1 offset:28
	;; [unrolled: 1-line block ×5, first 2 shown]
	ds_load_b32 v33, v1 offset:56
	ds_load_u8 v35, v1 offset:60
	ds_load_2addr_b32 v[42:43], v1 offset0:6 offset1:8
	s_wait_dscnt 0x9
	v_cmp_eq_u16_e64 s12, 0, v21
	s_delay_alu instid0(VALU_DEP_1) | instskip(SKIP_2) | instid1(VALU_DEP_2)
	v_cndmask_b32_e64 v17, 0, v17, s12
	s_wait_dscnt 0x7
	v_cmp_eq_u16_e64 s12, 0, v23
	v_add_nc_u32_e32 v17, v17, v14
	s_delay_alu instid0(VALU_DEP_1) | instskip(SKIP_2) | instid1(VALU_DEP_2)
	v_cndmask_b32_e64 v14, 0, v17, s12
	s_wait_dscnt 0x6
	v_cmp_eq_u16_e64 s12, 0, v25
	v_add_nc_u32_e32 v37, v14, v15
	ds_load_2addr_b32 v[14:15], v1 offset0:10 offset1:12
	v_cndmask_b32_e64 v39, 0, v37, s12
	s_wait_dscnt 0x6
	v_cmp_eq_u16_e64 s12, 0, v27
	ds_store_2addr_b32 v1, v17, v37 offset0:2 offset1:4
	s_wait_dscnt 0x2
	v_dual_add_nc_u32 v39, v39, v42 :: v_dual_bitop2_b32 v21, 1, v21 bitop3:0x40
	v_and_b32_e32 v42, 1, v35
	s_delay_alu instid0(VALU_DEP_2) | instskip(NEXT) | instid1(VALU_DEP_3)
	v_cndmask_b32_e64 v41, 0, v39, s12
	v_cmp_eq_u32_e64 s12, 1, v21
	s_delay_alu instid0(VALU_DEP_2) | instskip(SKIP_1) | instid1(VALU_DEP_3)
	v_dual_add_nc_u32 v25, v41, v43 :: v_dual_bitop2_b32 v21, 1, v25 bitop3:0x40
	v_and_b32_e32 v23, 1, v23
	v_cndmask_b32_e64 v6, v6, 1, s12
	s_delay_alu instid0(VALU_DEP_2) | instskip(NEXT) | instid1(VALU_DEP_1)
	v_cmp_eq_u32_e64 s12, 1, v23
	v_cndmask_b32_e64 v23, v6, 1, s12
	v_cmp_eq_u16_e64 s12, 0, v29
	s_delay_alu instid0(VALU_DEP_1) | instskip(SKIP_2) | instid1(VALU_DEP_2)
	v_dual_cndmask_b32 v41, 0, v25, s12 :: v_dual_bitop2_b32 v27, 1, v27 bitop3:0x40
	v_cmp_eq_u32_e64 s12, 1, v21
	s_wait_dscnt 0x1
	v_dual_add_nc_u32 v14, v41, v14 :: v_dual_bitop2_b32 v41, 1, v31 bitop3:0x40
	s_delay_alu instid0(VALU_DEP_2) | instskip(SKIP_1) | instid1(VALU_DEP_1)
	v_cndmask_b32_e64 v21, v23, 1, s12
	v_cmp_eq_u32_e64 s12, 1, v27
	v_cndmask_b32_e64 v27, v21, 1, s12
	v_cmp_eq_u16_e64 s12, 0, v31
	s_delay_alu instid0(VALU_DEP_1) | instskip(NEXT) | instid1(VALU_DEP_1)
	v_dual_cndmask_b32 v31, 0, v14, s12 :: v_dual_bitop2_b32 v29, 1, v29 bitop3:0x40
	v_cmp_eq_u32_e64 s12, 1, v29
	s_delay_alu instid0(VALU_DEP_2) | instskip(NEXT) | instid1(VALU_DEP_2)
	v_add_nc_u32_e32 v15, v31, v15
	v_cndmask_b32_e64 v29, v27, 1, s12
	v_cmp_eq_u32_e64 s12, 1, v41
	ds_store_2addr_b32 v1, v39, v25 offset0:6 offset1:8
	ds_store_2addr_b32 v1, v14, v15 offset0:10 offset1:12
	v_cndmask_b32_e64 v31, v29, 1, s12
	v_cmp_eq_u16_e64 s12, 0, v35
	s_delay_alu instid0(VALU_DEP_1) | instskip(SKIP_1) | instid1(VALU_DEP_2)
	v_cndmask_b32_e64 v17, 0, v15, s12
	v_cmp_eq_u32_e64 s12, 1, v42
	v_add_nc_u32_e32 v14, v17, v33
	s_delay_alu instid0(VALU_DEP_2)
	v_cndmask_b32_e64 v35, v31, 1, s12
	ds_store_b8 v1, v6 offset:12
	ds_store_b8 v1, v23 offset:20
	;; [unrolled: 1-line block ×6, first 2 shown]
	ds_store_b32 v1, v14 offset:56
	ds_store_b8 v1, v35 offset:60
.LBB1856_180:
	s_or_b32 exec_lo, exec_lo, s13
	v_mov_b32_e32 v6, v18
	s_wait_dscnt 0x0
	s_barrier_signal -1
	s_barrier_wait -1
	s_delay_alu instid0(VALU_DEP_1)
	v_mov_b64_e32 v[14:15], v[6:7]
	s_and_saveexec_b32 s12, s3
	s_cbranch_execz .LBB1856_182
; %bb.181:
	v_add_nc_u32_e32 v1, -1, v0
	v_and_b32_e32 v3, 0xff, v19
	s_delay_alu instid0(VALU_DEP_2) | instskip(NEXT) | instid1(VALU_DEP_1)
	v_lshrrev_b32_e32 v2, 2, v1
	v_and_b32_e32 v2, 0x3ffffff8, v2
	s_delay_alu instid0(VALU_DEP_1)
	v_lshl_add_u32 v1, v1, 3, v2
	v_mov_b32_e32 v2, 0
	ds_load_b32 v1, v1
	v_cmp_eq_u64_e64 s3, 0, v[2:3]
	;;#ASMSTART
	;;#ASMEND
	s_wait_dscnt 0x0
	s_delay_alu instid0(VALU_DEP_1) | instskip(NEXT) | instid1(VALU_DEP_1)
	v_cndmask_b32_e64 v1, 0, v1, s3
	v_add_nc_u32_e32 v14, v1, v18
	s_delay_alu instid0(VALU_DEP_1) | instskip(NEXT) | instid1(VALU_DEP_1)
	v_cndmask_b32_e32 v1, 0, v14, vcc_lo
	v_add_nc_u32_e32 v15, v1, v38
	s_delay_alu instid0(VALU_DEP_1) | instskip(NEXT) | instid1(VALU_DEP_1)
	v_dual_cndmask_b32 v1, 0, v15, s0 :: v_dual_mov_b32 v18, v14
	v_dual_mov_b32 v7, v15 :: v_dual_add_nc_u32 v8, v1, v36
	s_delay_alu instid0(VALU_DEP_1) | instskip(NEXT) | instid1(VALU_DEP_1)
	v_cndmask_b32_e64 v1, 0, v8, s1
	v_add_nc_u32_e32 v9, v1, v34
	s_delay_alu instid0(VALU_DEP_1) | instskip(NEXT) | instid1(VALU_DEP_1)
	v_cndmask_b32_e64 v1, 0, v9, s4
	v_add_nc_u32_e32 v2, v1, v32
	;; [unrolled: 3-line block ×9, first 2 shown]
.LBB1856_182:
	s_or_b32 exec_lo, exec_lo, s12
	s_and_saveexec_b32 s0, s2
	s_cbranch_execz .LBB1856_184
; %bb.183:
	v_dual_mov_b32 v23, 0 :: v_dual_mov_b32 v22, 2
	s_add_nc_u64 s[2:3], s[28:29], 0x200
	ds_load_b32 v20, v23 offset:2096
	ds_load_u8 v21, v23 offset:2100
	v_mov_b64_e32 v[24:25], s[2:3]
	s_wait_dscnt 0x0
	;;#ASMSTART
	global_store_b128 v[24:25], v[20:23] off scope:SCOPE_DEV	
s_wait_storecnt 0x0
	;;#ASMEND
.LBB1856_184:
	s_or_b32 exec_lo, exec_lo, s0
	v_mov_b32_e32 v6, v18
	s_add_nc_u64 s[0:1], s[18:19], s[34:35]
	s_and_b32 vcc_lo, exec_lo, s31
	s_add_nc_u64 s[0:1], s[0:1], s[16:17]
	s_cbranch_vccnz .LBB1856_124
.LBB1856_185:
	s_mov_b32 s2, 0
                                        ; implicit-def: $vgpr7
	s_cbranch_execz .LBB1856_187
; %bb.186:
	v_mul_u32_u24_e32 v1, 48, v0
	v_dual_mov_b32 v16, v8 :: v_dual_mov_b32 v17, v9
	v_mul_i32_i24_e32 v6, 0xffffffd4, v0
	s_wait_storecnt_dscnt 0x0
	s_barrier_signal -1
	s_barrier_wait -1
	ds_store_b128 v1, v[14:17]
	ds_store_b128 v1, v[2:5] offset:16
	ds_store_b128 v1, v[10:13] offset:32
	v_mad_u32_u24 v1, v0, 48, v6
	s_wait_dscnt 0x0
	s_barrier_signal -1
	s_barrier_wait -1
	ds_load_2addr_stride64_b32 v[2:3], v1 offset1:4
	ds_load_2addr_stride64_b32 v[4:5], v1 offset0:8 offset1:12
	ds_load_2addr_stride64_b32 v[8:9], v1 offset0:16 offset1:20
	;; [unrolled: 1-line block ×5, first 2 shown]
	s_or_b32 s2, s2, exec_lo
	s_wait_dscnt 0x5
	s_clause 0x1
	flat_store_b32 v0, v2, s[0:1] scale_offset
	flat_store_b32 v0, v3, s[0:1] offset:1024 scale_offset
	s_wait_dscnt 0x6
	s_clause 0x1
	flat_store_b32 v0, v4, s[0:1] offset:2048 scale_offset
	flat_store_b32 v0, v5, s[0:1] offset:3072 scale_offset
	s_wait_dscnt 0x7
	s_clause 0x1
	flat_store_b32 v0, v8, s[0:1] offset:4096 scale_offset
	;; [unrolled: 4-line block ×4, first 2 shown]
	flat_store_b32 v0, v13, s[0:1] offset:9216 scale_offset
	s_wait_dscnt 0xa
	flat_store_b32 v0, v6, s[0:1] offset:10240 scale_offset
.LBB1856_187:
	s_wait_xcnt 0x0
	s_delay_alu instid0(VALU_DEP_1)
	s_and_saveexec_b32 s3, s2
	s_cbranch_execnz .LBB1856_189
; %bb.188:
	s_endpgm
.LBB1856_189:
	s_wait_dscnt 0x0
	flat_store_b32 v0, v7, s[0:1] offset:11264 scale_offset
	s_endpgm
	.section	.rodata,"a",@progbits
	.p2align	6, 0x0
	.amdhsa_kernel _ZN7rocprim17ROCPRIM_400000_NS6detail17trampoline_kernelINS0_14default_configENS1_27scan_by_key_config_selectorIjjEEZZNS1_16scan_by_key_implILNS1_25lookback_scan_determinismE0ELb0ES3_N6thrust23THRUST_200600_302600_NS6detail15normal_iteratorINS9_10device_ptrIjEEEESE_SE_jNS9_4plusIvEENS9_8equal_toIvEEjEE10hipError_tPvRmT2_T3_T4_T5_mT6_T7_P12ihipStream_tbENKUlT_T0_E_clISt17integral_constantIbLb0EESY_IbLb1EEEEDaSU_SV_EUlSU_E_NS1_11comp_targetILNS1_3genE0ELNS1_11target_archE4294967295ELNS1_3gpuE0ELNS1_3repE0EEENS1_30default_config_static_selectorELNS0_4arch9wavefront6targetE0EEEvT1_
		.amdhsa_group_segment_fixed_size 14336
		.amdhsa_private_segment_fixed_size 0
		.amdhsa_kernarg_size 112
		.amdhsa_user_sgpr_count 2
		.amdhsa_user_sgpr_dispatch_ptr 0
		.amdhsa_user_sgpr_queue_ptr 0
		.amdhsa_user_sgpr_kernarg_segment_ptr 1
		.amdhsa_user_sgpr_dispatch_id 0
		.amdhsa_user_sgpr_kernarg_preload_length 0
		.amdhsa_user_sgpr_kernarg_preload_offset 0
		.amdhsa_user_sgpr_private_segment_size 0
		.amdhsa_wavefront_size32 1
		.amdhsa_uses_dynamic_stack 0
		.amdhsa_enable_private_segment 0
		.amdhsa_system_sgpr_workgroup_id_x 1
		.amdhsa_system_sgpr_workgroup_id_y 0
		.amdhsa_system_sgpr_workgroup_id_z 0
		.amdhsa_system_sgpr_workgroup_info 0
		.amdhsa_system_vgpr_workitem_id 0
		.amdhsa_next_free_vgpr 60
		.amdhsa_next_free_sgpr 44
		.amdhsa_named_barrier_count 0
		.amdhsa_reserve_vcc 1
		.amdhsa_float_round_mode_32 0
		.amdhsa_float_round_mode_16_64 0
		.amdhsa_float_denorm_mode_32 3
		.amdhsa_float_denorm_mode_16_64 3
		.amdhsa_fp16_overflow 0
		.amdhsa_memory_ordered 1
		.amdhsa_forward_progress 1
		.amdhsa_inst_pref_size 95
		.amdhsa_round_robin_scheduling 0
		.amdhsa_exception_fp_ieee_invalid_op 0
		.amdhsa_exception_fp_denorm_src 0
		.amdhsa_exception_fp_ieee_div_zero 0
		.amdhsa_exception_fp_ieee_overflow 0
		.amdhsa_exception_fp_ieee_underflow 0
		.amdhsa_exception_fp_ieee_inexact 0
		.amdhsa_exception_int_div_zero 0
	.end_amdhsa_kernel
	.section	.text._ZN7rocprim17ROCPRIM_400000_NS6detail17trampoline_kernelINS0_14default_configENS1_27scan_by_key_config_selectorIjjEEZZNS1_16scan_by_key_implILNS1_25lookback_scan_determinismE0ELb0ES3_N6thrust23THRUST_200600_302600_NS6detail15normal_iteratorINS9_10device_ptrIjEEEESE_SE_jNS9_4plusIvEENS9_8equal_toIvEEjEE10hipError_tPvRmT2_T3_T4_T5_mT6_T7_P12ihipStream_tbENKUlT_T0_E_clISt17integral_constantIbLb0EESY_IbLb1EEEEDaSU_SV_EUlSU_E_NS1_11comp_targetILNS1_3genE0ELNS1_11target_archE4294967295ELNS1_3gpuE0ELNS1_3repE0EEENS1_30default_config_static_selectorELNS0_4arch9wavefront6targetE0EEEvT1_,"axG",@progbits,_ZN7rocprim17ROCPRIM_400000_NS6detail17trampoline_kernelINS0_14default_configENS1_27scan_by_key_config_selectorIjjEEZZNS1_16scan_by_key_implILNS1_25lookback_scan_determinismE0ELb0ES3_N6thrust23THRUST_200600_302600_NS6detail15normal_iteratorINS9_10device_ptrIjEEEESE_SE_jNS9_4plusIvEENS9_8equal_toIvEEjEE10hipError_tPvRmT2_T3_T4_T5_mT6_T7_P12ihipStream_tbENKUlT_T0_E_clISt17integral_constantIbLb0EESY_IbLb1EEEEDaSU_SV_EUlSU_E_NS1_11comp_targetILNS1_3genE0ELNS1_11target_archE4294967295ELNS1_3gpuE0ELNS1_3repE0EEENS1_30default_config_static_selectorELNS0_4arch9wavefront6targetE0EEEvT1_,comdat
.Lfunc_end1856:
	.size	_ZN7rocprim17ROCPRIM_400000_NS6detail17trampoline_kernelINS0_14default_configENS1_27scan_by_key_config_selectorIjjEEZZNS1_16scan_by_key_implILNS1_25lookback_scan_determinismE0ELb0ES3_N6thrust23THRUST_200600_302600_NS6detail15normal_iteratorINS9_10device_ptrIjEEEESE_SE_jNS9_4plusIvEENS9_8equal_toIvEEjEE10hipError_tPvRmT2_T3_T4_T5_mT6_T7_P12ihipStream_tbENKUlT_T0_E_clISt17integral_constantIbLb0EESY_IbLb1EEEEDaSU_SV_EUlSU_E_NS1_11comp_targetILNS1_3genE0ELNS1_11target_archE4294967295ELNS1_3gpuE0ELNS1_3repE0EEENS1_30default_config_static_selectorELNS0_4arch9wavefront6targetE0EEEvT1_, .Lfunc_end1856-_ZN7rocprim17ROCPRIM_400000_NS6detail17trampoline_kernelINS0_14default_configENS1_27scan_by_key_config_selectorIjjEEZZNS1_16scan_by_key_implILNS1_25lookback_scan_determinismE0ELb0ES3_N6thrust23THRUST_200600_302600_NS6detail15normal_iteratorINS9_10device_ptrIjEEEESE_SE_jNS9_4plusIvEENS9_8equal_toIvEEjEE10hipError_tPvRmT2_T3_T4_T5_mT6_T7_P12ihipStream_tbENKUlT_T0_E_clISt17integral_constantIbLb0EESY_IbLb1EEEEDaSU_SV_EUlSU_E_NS1_11comp_targetILNS1_3genE0ELNS1_11target_archE4294967295ELNS1_3gpuE0ELNS1_3repE0EEENS1_30default_config_static_selectorELNS0_4arch9wavefront6targetE0EEEvT1_
                                        ; -- End function
	.set _ZN7rocprim17ROCPRIM_400000_NS6detail17trampoline_kernelINS0_14default_configENS1_27scan_by_key_config_selectorIjjEEZZNS1_16scan_by_key_implILNS1_25lookback_scan_determinismE0ELb0ES3_N6thrust23THRUST_200600_302600_NS6detail15normal_iteratorINS9_10device_ptrIjEEEESE_SE_jNS9_4plusIvEENS9_8equal_toIvEEjEE10hipError_tPvRmT2_T3_T4_T5_mT6_T7_P12ihipStream_tbENKUlT_T0_E_clISt17integral_constantIbLb0EESY_IbLb1EEEEDaSU_SV_EUlSU_E_NS1_11comp_targetILNS1_3genE0ELNS1_11target_archE4294967295ELNS1_3gpuE0ELNS1_3repE0EEENS1_30default_config_static_selectorELNS0_4arch9wavefront6targetE0EEEvT1_.num_vgpr, 60
	.set _ZN7rocprim17ROCPRIM_400000_NS6detail17trampoline_kernelINS0_14default_configENS1_27scan_by_key_config_selectorIjjEEZZNS1_16scan_by_key_implILNS1_25lookback_scan_determinismE0ELb0ES3_N6thrust23THRUST_200600_302600_NS6detail15normal_iteratorINS9_10device_ptrIjEEEESE_SE_jNS9_4plusIvEENS9_8equal_toIvEEjEE10hipError_tPvRmT2_T3_T4_T5_mT6_T7_P12ihipStream_tbENKUlT_T0_E_clISt17integral_constantIbLb0EESY_IbLb1EEEEDaSU_SV_EUlSU_E_NS1_11comp_targetILNS1_3genE0ELNS1_11target_archE4294967295ELNS1_3gpuE0ELNS1_3repE0EEENS1_30default_config_static_selectorELNS0_4arch9wavefront6targetE0EEEvT1_.num_agpr, 0
	.set _ZN7rocprim17ROCPRIM_400000_NS6detail17trampoline_kernelINS0_14default_configENS1_27scan_by_key_config_selectorIjjEEZZNS1_16scan_by_key_implILNS1_25lookback_scan_determinismE0ELb0ES3_N6thrust23THRUST_200600_302600_NS6detail15normal_iteratorINS9_10device_ptrIjEEEESE_SE_jNS9_4plusIvEENS9_8equal_toIvEEjEE10hipError_tPvRmT2_T3_T4_T5_mT6_T7_P12ihipStream_tbENKUlT_T0_E_clISt17integral_constantIbLb0EESY_IbLb1EEEEDaSU_SV_EUlSU_E_NS1_11comp_targetILNS1_3genE0ELNS1_11target_archE4294967295ELNS1_3gpuE0ELNS1_3repE0EEENS1_30default_config_static_selectorELNS0_4arch9wavefront6targetE0EEEvT1_.numbered_sgpr, 44
	.set _ZN7rocprim17ROCPRIM_400000_NS6detail17trampoline_kernelINS0_14default_configENS1_27scan_by_key_config_selectorIjjEEZZNS1_16scan_by_key_implILNS1_25lookback_scan_determinismE0ELb0ES3_N6thrust23THRUST_200600_302600_NS6detail15normal_iteratorINS9_10device_ptrIjEEEESE_SE_jNS9_4plusIvEENS9_8equal_toIvEEjEE10hipError_tPvRmT2_T3_T4_T5_mT6_T7_P12ihipStream_tbENKUlT_T0_E_clISt17integral_constantIbLb0EESY_IbLb1EEEEDaSU_SV_EUlSU_E_NS1_11comp_targetILNS1_3genE0ELNS1_11target_archE4294967295ELNS1_3gpuE0ELNS1_3repE0EEENS1_30default_config_static_selectorELNS0_4arch9wavefront6targetE0EEEvT1_.num_named_barrier, 0
	.set _ZN7rocprim17ROCPRIM_400000_NS6detail17trampoline_kernelINS0_14default_configENS1_27scan_by_key_config_selectorIjjEEZZNS1_16scan_by_key_implILNS1_25lookback_scan_determinismE0ELb0ES3_N6thrust23THRUST_200600_302600_NS6detail15normal_iteratorINS9_10device_ptrIjEEEESE_SE_jNS9_4plusIvEENS9_8equal_toIvEEjEE10hipError_tPvRmT2_T3_T4_T5_mT6_T7_P12ihipStream_tbENKUlT_T0_E_clISt17integral_constantIbLb0EESY_IbLb1EEEEDaSU_SV_EUlSU_E_NS1_11comp_targetILNS1_3genE0ELNS1_11target_archE4294967295ELNS1_3gpuE0ELNS1_3repE0EEENS1_30default_config_static_selectorELNS0_4arch9wavefront6targetE0EEEvT1_.private_seg_size, 0
	.set _ZN7rocprim17ROCPRIM_400000_NS6detail17trampoline_kernelINS0_14default_configENS1_27scan_by_key_config_selectorIjjEEZZNS1_16scan_by_key_implILNS1_25lookback_scan_determinismE0ELb0ES3_N6thrust23THRUST_200600_302600_NS6detail15normal_iteratorINS9_10device_ptrIjEEEESE_SE_jNS9_4plusIvEENS9_8equal_toIvEEjEE10hipError_tPvRmT2_T3_T4_T5_mT6_T7_P12ihipStream_tbENKUlT_T0_E_clISt17integral_constantIbLb0EESY_IbLb1EEEEDaSU_SV_EUlSU_E_NS1_11comp_targetILNS1_3genE0ELNS1_11target_archE4294967295ELNS1_3gpuE0ELNS1_3repE0EEENS1_30default_config_static_selectorELNS0_4arch9wavefront6targetE0EEEvT1_.uses_vcc, 1
	.set _ZN7rocprim17ROCPRIM_400000_NS6detail17trampoline_kernelINS0_14default_configENS1_27scan_by_key_config_selectorIjjEEZZNS1_16scan_by_key_implILNS1_25lookback_scan_determinismE0ELb0ES3_N6thrust23THRUST_200600_302600_NS6detail15normal_iteratorINS9_10device_ptrIjEEEESE_SE_jNS9_4plusIvEENS9_8equal_toIvEEjEE10hipError_tPvRmT2_T3_T4_T5_mT6_T7_P12ihipStream_tbENKUlT_T0_E_clISt17integral_constantIbLb0EESY_IbLb1EEEEDaSU_SV_EUlSU_E_NS1_11comp_targetILNS1_3genE0ELNS1_11target_archE4294967295ELNS1_3gpuE0ELNS1_3repE0EEENS1_30default_config_static_selectorELNS0_4arch9wavefront6targetE0EEEvT1_.uses_flat_scratch, 1
	.set _ZN7rocprim17ROCPRIM_400000_NS6detail17trampoline_kernelINS0_14default_configENS1_27scan_by_key_config_selectorIjjEEZZNS1_16scan_by_key_implILNS1_25lookback_scan_determinismE0ELb0ES3_N6thrust23THRUST_200600_302600_NS6detail15normal_iteratorINS9_10device_ptrIjEEEESE_SE_jNS9_4plusIvEENS9_8equal_toIvEEjEE10hipError_tPvRmT2_T3_T4_T5_mT6_T7_P12ihipStream_tbENKUlT_T0_E_clISt17integral_constantIbLb0EESY_IbLb1EEEEDaSU_SV_EUlSU_E_NS1_11comp_targetILNS1_3genE0ELNS1_11target_archE4294967295ELNS1_3gpuE0ELNS1_3repE0EEENS1_30default_config_static_selectorELNS0_4arch9wavefront6targetE0EEEvT1_.has_dyn_sized_stack, 0
	.set _ZN7rocprim17ROCPRIM_400000_NS6detail17trampoline_kernelINS0_14default_configENS1_27scan_by_key_config_selectorIjjEEZZNS1_16scan_by_key_implILNS1_25lookback_scan_determinismE0ELb0ES3_N6thrust23THRUST_200600_302600_NS6detail15normal_iteratorINS9_10device_ptrIjEEEESE_SE_jNS9_4plusIvEENS9_8equal_toIvEEjEE10hipError_tPvRmT2_T3_T4_T5_mT6_T7_P12ihipStream_tbENKUlT_T0_E_clISt17integral_constantIbLb0EESY_IbLb1EEEEDaSU_SV_EUlSU_E_NS1_11comp_targetILNS1_3genE0ELNS1_11target_archE4294967295ELNS1_3gpuE0ELNS1_3repE0EEENS1_30default_config_static_selectorELNS0_4arch9wavefront6targetE0EEEvT1_.has_recursion, 0
	.set _ZN7rocprim17ROCPRIM_400000_NS6detail17trampoline_kernelINS0_14default_configENS1_27scan_by_key_config_selectorIjjEEZZNS1_16scan_by_key_implILNS1_25lookback_scan_determinismE0ELb0ES3_N6thrust23THRUST_200600_302600_NS6detail15normal_iteratorINS9_10device_ptrIjEEEESE_SE_jNS9_4plusIvEENS9_8equal_toIvEEjEE10hipError_tPvRmT2_T3_T4_T5_mT6_T7_P12ihipStream_tbENKUlT_T0_E_clISt17integral_constantIbLb0EESY_IbLb1EEEEDaSU_SV_EUlSU_E_NS1_11comp_targetILNS1_3genE0ELNS1_11target_archE4294967295ELNS1_3gpuE0ELNS1_3repE0EEENS1_30default_config_static_selectorELNS0_4arch9wavefront6targetE0EEEvT1_.has_indirect_call, 0
	.section	.AMDGPU.csdata,"",@progbits
; Kernel info:
; codeLenInByte = 12072
; TotalNumSgprs: 46
; NumVgprs: 60
; ScratchSize: 0
; MemoryBound: 0
; FloatMode: 240
; IeeeMode: 1
; LDSByteSize: 14336 bytes/workgroup (compile time only)
; SGPRBlocks: 0
; VGPRBlocks: 3
; NumSGPRsForWavesPerEU: 46
; NumVGPRsForWavesPerEU: 60
; NamedBarCnt: 0
; Occupancy: 16
; WaveLimiterHint : 1
; COMPUTE_PGM_RSRC2:SCRATCH_EN: 0
; COMPUTE_PGM_RSRC2:USER_SGPR: 2
; COMPUTE_PGM_RSRC2:TRAP_HANDLER: 0
; COMPUTE_PGM_RSRC2:TGID_X_EN: 1
; COMPUTE_PGM_RSRC2:TGID_Y_EN: 0
; COMPUTE_PGM_RSRC2:TGID_Z_EN: 0
; COMPUTE_PGM_RSRC2:TIDIG_COMP_CNT: 0
	.section	.text._ZN7rocprim17ROCPRIM_400000_NS6detail17trampoline_kernelINS0_14default_configENS1_27scan_by_key_config_selectorIjjEEZZNS1_16scan_by_key_implILNS1_25lookback_scan_determinismE0ELb0ES3_N6thrust23THRUST_200600_302600_NS6detail15normal_iteratorINS9_10device_ptrIjEEEESE_SE_jNS9_4plusIvEENS9_8equal_toIvEEjEE10hipError_tPvRmT2_T3_T4_T5_mT6_T7_P12ihipStream_tbENKUlT_T0_E_clISt17integral_constantIbLb0EESY_IbLb1EEEEDaSU_SV_EUlSU_E_NS1_11comp_targetILNS1_3genE10ELNS1_11target_archE1201ELNS1_3gpuE5ELNS1_3repE0EEENS1_30default_config_static_selectorELNS0_4arch9wavefront6targetE0EEEvT1_,"axG",@progbits,_ZN7rocprim17ROCPRIM_400000_NS6detail17trampoline_kernelINS0_14default_configENS1_27scan_by_key_config_selectorIjjEEZZNS1_16scan_by_key_implILNS1_25lookback_scan_determinismE0ELb0ES3_N6thrust23THRUST_200600_302600_NS6detail15normal_iteratorINS9_10device_ptrIjEEEESE_SE_jNS9_4plusIvEENS9_8equal_toIvEEjEE10hipError_tPvRmT2_T3_T4_T5_mT6_T7_P12ihipStream_tbENKUlT_T0_E_clISt17integral_constantIbLb0EESY_IbLb1EEEEDaSU_SV_EUlSU_E_NS1_11comp_targetILNS1_3genE10ELNS1_11target_archE1201ELNS1_3gpuE5ELNS1_3repE0EEENS1_30default_config_static_selectorELNS0_4arch9wavefront6targetE0EEEvT1_,comdat
	.protected	_ZN7rocprim17ROCPRIM_400000_NS6detail17trampoline_kernelINS0_14default_configENS1_27scan_by_key_config_selectorIjjEEZZNS1_16scan_by_key_implILNS1_25lookback_scan_determinismE0ELb0ES3_N6thrust23THRUST_200600_302600_NS6detail15normal_iteratorINS9_10device_ptrIjEEEESE_SE_jNS9_4plusIvEENS9_8equal_toIvEEjEE10hipError_tPvRmT2_T3_T4_T5_mT6_T7_P12ihipStream_tbENKUlT_T0_E_clISt17integral_constantIbLb0EESY_IbLb1EEEEDaSU_SV_EUlSU_E_NS1_11comp_targetILNS1_3genE10ELNS1_11target_archE1201ELNS1_3gpuE5ELNS1_3repE0EEENS1_30default_config_static_selectorELNS0_4arch9wavefront6targetE0EEEvT1_ ; -- Begin function _ZN7rocprim17ROCPRIM_400000_NS6detail17trampoline_kernelINS0_14default_configENS1_27scan_by_key_config_selectorIjjEEZZNS1_16scan_by_key_implILNS1_25lookback_scan_determinismE0ELb0ES3_N6thrust23THRUST_200600_302600_NS6detail15normal_iteratorINS9_10device_ptrIjEEEESE_SE_jNS9_4plusIvEENS9_8equal_toIvEEjEE10hipError_tPvRmT2_T3_T4_T5_mT6_T7_P12ihipStream_tbENKUlT_T0_E_clISt17integral_constantIbLb0EESY_IbLb1EEEEDaSU_SV_EUlSU_E_NS1_11comp_targetILNS1_3genE10ELNS1_11target_archE1201ELNS1_3gpuE5ELNS1_3repE0EEENS1_30default_config_static_selectorELNS0_4arch9wavefront6targetE0EEEvT1_
	.globl	_ZN7rocprim17ROCPRIM_400000_NS6detail17trampoline_kernelINS0_14default_configENS1_27scan_by_key_config_selectorIjjEEZZNS1_16scan_by_key_implILNS1_25lookback_scan_determinismE0ELb0ES3_N6thrust23THRUST_200600_302600_NS6detail15normal_iteratorINS9_10device_ptrIjEEEESE_SE_jNS9_4plusIvEENS9_8equal_toIvEEjEE10hipError_tPvRmT2_T3_T4_T5_mT6_T7_P12ihipStream_tbENKUlT_T0_E_clISt17integral_constantIbLb0EESY_IbLb1EEEEDaSU_SV_EUlSU_E_NS1_11comp_targetILNS1_3genE10ELNS1_11target_archE1201ELNS1_3gpuE5ELNS1_3repE0EEENS1_30default_config_static_selectorELNS0_4arch9wavefront6targetE0EEEvT1_
	.p2align	8
	.type	_ZN7rocprim17ROCPRIM_400000_NS6detail17trampoline_kernelINS0_14default_configENS1_27scan_by_key_config_selectorIjjEEZZNS1_16scan_by_key_implILNS1_25lookback_scan_determinismE0ELb0ES3_N6thrust23THRUST_200600_302600_NS6detail15normal_iteratorINS9_10device_ptrIjEEEESE_SE_jNS9_4plusIvEENS9_8equal_toIvEEjEE10hipError_tPvRmT2_T3_T4_T5_mT6_T7_P12ihipStream_tbENKUlT_T0_E_clISt17integral_constantIbLb0EESY_IbLb1EEEEDaSU_SV_EUlSU_E_NS1_11comp_targetILNS1_3genE10ELNS1_11target_archE1201ELNS1_3gpuE5ELNS1_3repE0EEENS1_30default_config_static_selectorELNS0_4arch9wavefront6targetE0EEEvT1_,@function
_ZN7rocprim17ROCPRIM_400000_NS6detail17trampoline_kernelINS0_14default_configENS1_27scan_by_key_config_selectorIjjEEZZNS1_16scan_by_key_implILNS1_25lookback_scan_determinismE0ELb0ES3_N6thrust23THRUST_200600_302600_NS6detail15normal_iteratorINS9_10device_ptrIjEEEESE_SE_jNS9_4plusIvEENS9_8equal_toIvEEjEE10hipError_tPvRmT2_T3_T4_T5_mT6_T7_P12ihipStream_tbENKUlT_T0_E_clISt17integral_constantIbLb0EESY_IbLb1EEEEDaSU_SV_EUlSU_E_NS1_11comp_targetILNS1_3genE10ELNS1_11target_archE1201ELNS1_3gpuE5ELNS1_3repE0EEENS1_30default_config_static_selectorELNS0_4arch9wavefront6targetE0EEEvT1_: ; @_ZN7rocprim17ROCPRIM_400000_NS6detail17trampoline_kernelINS0_14default_configENS1_27scan_by_key_config_selectorIjjEEZZNS1_16scan_by_key_implILNS1_25lookback_scan_determinismE0ELb0ES3_N6thrust23THRUST_200600_302600_NS6detail15normal_iteratorINS9_10device_ptrIjEEEESE_SE_jNS9_4plusIvEENS9_8equal_toIvEEjEE10hipError_tPvRmT2_T3_T4_T5_mT6_T7_P12ihipStream_tbENKUlT_T0_E_clISt17integral_constantIbLb0EESY_IbLb1EEEEDaSU_SV_EUlSU_E_NS1_11comp_targetILNS1_3genE10ELNS1_11target_archE1201ELNS1_3gpuE5ELNS1_3repE0EEENS1_30default_config_static_selectorELNS0_4arch9wavefront6targetE0EEEvT1_
; %bb.0:
	.section	.rodata,"a",@progbits
	.p2align	6, 0x0
	.amdhsa_kernel _ZN7rocprim17ROCPRIM_400000_NS6detail17trampoline_kernelINS0_14default_configENS1_27scan_by_key_config_selectorIjjEEZZNS1_16scan_by_key_implILNS1_25lookback_scan_determinismE0ELb0ES3_N6thrust23THRUST_200600_302600_NS6detail15normal_iteratorINS9_10device_ptrIjEEEESE_SE_jNS9_4plusIvEENS9_8equal_toIvEEjEE10hipError_tPvRmT2_T3_T4_T5_mT6_T7_P12ihipStream_tbENKUlT_T0_E_clISt17integral_constantIbLb0EESY_IbLb1EEEEDaSU_SV_EUlSU_E_NS1_11comp_targetILNS1_3genE10ELNS1_11target_archE1201ELNS1_3gpuE5ELNS1_3repE0EEENS1_30default_config_static_selectorELNS0_4arch9wavefront6targetE0EEEvT1_
		.amdhsa_group_segment_fixed_size 0
		.amdhsa_private_segment_fixed_size 0
		.amdhsa_kernarg_size 112
		.amdhsa_user_sgpr_count 2
		.amdhsa_user_sgpr_dispatch_ptr 0
		.amdhsa_user_sgpr_queue_ptr 0
		.amdhsa_user_sgpr_kernarg_segment_ptr 1
		.amdhsa_user_sgpr_dispatch_id 0
		.amdhsa_user_sgpr_kernarg_preload_length 0
		.amdhsa_user_sgpr_kernarg_preload_offset 0
		.amdhsa_user_sgpr_private_segment_size 0
		.amdhsa_wavefront_size32 1
		.amdhsa_uses_dynamic_stack 0
		.amdhsa_enable_private_segment 0
		.amdhsa_system_sgpr_workgroup_id_x 1
		.amdhsa_system_sgpr_workgroup_id_y 0
		.amdhsa_system_sgpr_workgroup_id_z 0
		.amdhsa_system_sgpr_workgroup_info 0
		.amdhsa_system_vgpr_workitem_id 0
		.amdhsa_next_free_vgpr 1
		.amdhsa_next_free_sgpr 1
		.amdhsa_named_barrier_count 0
		.amdhsa_reserve_vcc 0
		.amdhsa_float_round_mode_32 0
		.amdhsa_float_round_mode_16_64 0
		.amdhsa_float_denorm_mode_32 3
		.amdhsa_float_denorm_mode_16_64 3
		.amdhsa_fp16_overflow 0
		.amdhsa_memory_ordered 1
		.amdhsa_forward_progress 1
		.amdhsa_inst_pref_size 0
		.amdhsa_round_robin_scheduling 0
		.amdhsa_exception_fp_ieee_invalid_op 0
		.amdhsa_exception_fp_denorm_src 0
		.amdhsa_exception_fp_ieee_div_zero 0
		.amdhsa_exception_fp_ieee_overflow 0
		.amdhsa_exception_fp_ieee_underflow 0
		.amdhsa_exception_fp_ieee_inexact 0
		.amdhsa_exception_int_div_zero 0
	.end_amdhsa_kernel
	.section	.text._ZN7rocprim17ROCPRIM_400000_NS6detail17trampoline_kernelINS0_14default_configENS1_27scan_by_key_config_selectorIjjEEZZNS1_16scan_by_key_implILNS1_25lookback_scan_determinismE0ELb0ES3_N6thrust23THRUST_200600_302600_NS6detail15normal_iteratorINS9_10device_ptrIjEEEESE_SE_jNS9_4plusIvEENS9_8equal_toIvEEjEE10hipError_tPvRmT2_T3_T4_T5_mT6_T7_P12ihipStream_tbENKUlT_T0_E_clISt17integral_constantIbLb0EESY_IbLb1EEEEDaSU_SV_EUlSU_E_NS1_11comp_targetILNS1_3genE10ELNS1_11target_archE1201ELNS1_3gpuE5ELNS1_3repE0EEENS1_30default_config_static_selectorELNS0_4arch9wavefront6targetE0EEEvT1_,"axG",@progbits,_ZN7rocprim17ROCPRIM_400000_NS6detail17trampoline_kernelINS0_14default_configENS1_27scan_by_key_config_selectorIjjEEZZNS1_16scan_by_key_implILNS1_25lookback_scan_determinismE0ELb0ES3_N6thrust23THRUST_200600_302600_NS6detail15normal_iteratorINS9_10device_ptrIjEEEESE_SE_jNS9_4plusIvEENS9_8equal_toIvEEjEE10hipError_tPvRmT2_T3_T4_T5_mT6_T7_P12ihipStream_tbENKUlT_T0_E_clISt17integral_constantIbLb0EESY_IbLb1EEEEDaSU_SV_EUlSU_E_NS1_11comp_targetILNS1_3genE10ELNS1_11target_archE1201ELNS1_3gpuE5ELNS1_3repE0EEENS1_30default_config_static_selectorELNS0_4arch9wavefront6targetE0EEEvT1_,comdat
.Lfunc_end1857:
	.size	_ZN7rocprim17ROCPRIM_400000_NS6detail17trampoline_kernelINS0_14default_configENS1_27scan_by_key_config_selectorIjjEEZZNS1_16scan_by_key_implILNS1_25lookback_scan_determinismE0ELb0ES3_N6thrust23THRUST_200600_302600_NS6detail15normal_iteratorINS9_10device_ptrIjEEEESE_SE_jNS9_4plusIvEENS9_8equal_toIvEEjEE10hipError_tPvRmT2_T3_T4_T5_mT6_T7_P12ihipStream_tbENKUlT_T0_E_clISt17integral_constantIbLb0EESY_IbLb1EEEEDaSU_SV_EUlSU_E_NS1_11comp_targetILNS1_3genE10ELNS1_11target_archE1201ELNS1_3gpuE5ELNS1_3repE0EEENS1_30default_config_static_selectorELNS0_4arch9wavefront6targetE0EEEvT1_, .Lfunc_end1857-_ZN7rocprim17ROCPRIM_400000_NS6detail17trampoline_kernelINS0_14default_configENS1_27scan_by_key_config_selectorIjjEEZZNS1_16scan_by_key_implILNS1_25lookback_scan_determinismE0ELb0ES3_N6thrust23THRUST_200600_302600_NS6detail15normal_iteratorINS9_10device_ptrIjEEEESE_SE_jNS9_4plusIvEENS9_8equal_toIvEEjEE10hipError_tPvRmT2_T3_T4_T5_mT6_T7_P12ihipStream_tbENKUlT_T0_E_clISt17integral_constantIbLb0EESY_IbLb1EEEEDaSU_SV_EUlSU_E_NS1_11comp_targetILNS1_3genE10ELNS1_11target_archE1201ELNS1_3gpuE5ELNS1_3repE0EEENS1_30default_config_static_selectorELNS0_4arch9wavefront6targetE0EEEvT1_
                                        ; -- End function
	.set _ZN7rocprim17ROCPRIM_400000_NS6detail17trampoline_kernelINS0_14default_configENS1_27scan_by_key_config_selectorIjjEEZZNS1_16scan_by_key_implILNS1_25lookback_scan_determinismE0ELb0ES3_N6thrust23THRUST_200600_302600_NS6detail15normal_iteratorINS9_10device_ptrIjEEEESE_SE_jNS9_4plusIvEENS9_8equal_toIvEEjEE10hipError_tPvRmT2_T3_T4_T5_mT6_T7_P12ihipStream_tbENKUlT_T0_E_clISt17integral_constantIbLb0EESY_IbLb1EEEEDaSU_SV_EUlSU_E_NS1_11comp_targetILNS1_3genE10ELNS1_11target_archE1201ELNS1_3gpuE5ELNS1_3repE0EEENS1_30default_config_static_selectorELNS0_4arch9wavefront6targetE0EEEvT1_.num_vgpr, 0
	.set _ZN7rocprim17ROCPRIM_400000_NS6detail17trampoline_kernelINS0_14default_configENS1_27scan_by_key_config_selectorIjjEEZZNS1_16scan_by_key_implILNS1_25lookback_scan_determinismE0ELb0ES3_N6thrust23THRUST_200600_302600_NS6detail15normal_iteratorINS9_10device_ptrIjEEEESE_SE_jNS9_4plusIvEENS9_8equal_toIvEEjEE10hipError_tPvRmT2_T3_T4_T5_mT6_T7_P12ihipStream_tbENKUlT_T0_E_clISt17integral_constantIbLb0EESY_IbLb1EEEEDaSU_SV_EUlSU_E_NS1_11comp_targetILNS1_3genE10ELNS1_11target_archE1201ELNS1_3gpuE5ELNS1_3repE0EEENS1_30default_config_static_selectorELNS0_4arch9wavefront6targetE0EEEvT1_.num_agpr, 0
	.set _ZN7rocprim17ROCPRIM_400000_NS6detail17trampoline_kernelINS0_14default_configENS1_27scan_by_key_config_selectorIjjEEZZNS1_16scan_by_key_implILNS1_25lookback_scan_determinismE0ELb0ES3_N6thrust23THRUST_200600_302600_NS6detail15normal_iteratorINS9_10device_ptrIjEEEESE_SE_jNS9_4plusIvEENS9_8equal_toIvEEjEE10hipError_tPvRmT2_T3_T4_T5_mT6_T7_P12ihipStream_tbENKUlT_T0_E_clISt17integral_constantIbLb0EESY_IbLb1EEEEDaSU_SV_EUlSU_E_NS1_11comp_targetILNS1_3genE10ELNS1_11target_archE1201ELNS1_3gpuE5ELNS1_3repE0EEENS1_30default_config_static_selectorELNS0_4arch9wavefront6targetE0EEEvT1_.numbered_sgpr, 0
	.set _ZN7rocprim17ROCPRIM_400000_NS6detail17trampoline_kernelINS0_14default_configENS1_27scan_by_key_config_selectorIjjEEZZNS1_16scan_by_key_implILNS1_25lookback_scan_determinismE0ELb0ES3_N6thrust23THRUST_200600_302600_NS6detail15normal_iteratorINS9_10device_ptrIjEEEESE_SE_jNS9_4plusIvEENS9_8equal_toIvEEjEE10hipError_tPvRmT2_T3_T4_T5_mT6_T7_P12ihipStream_tbENKUlT_T0_E_clISt17integral_constantIbLb0EESY_IbLb1EEEEDaSU_SV_EUlSU_E_NS1_11comp_targetILNS1_3genE10ELNS1_11target_archE1201ELNS1_3gpuE5ELNS1_3repE0EEENS1_30default_config_static_selectorELNS0_4arch9wavefront6targetE0EEEvT1_.num_named_barrier, 0
	.set _ZN7rocprim17ROCPRIM_400000_NS6detail17trampoline_kernelINS0_14default_configENS1_27scan_by_key_config_selectorIjjEEZZNS1_16scan_by_key_implILNS1_25lookback_scan_determinismE0ELb0ES3_N6thrust23THRUST_200600_302600_NS6detail15normal_iteratorINS9_10device_ptrIjEEEESE_SE_jNS9_4plusIvEENS9_8equal_toIvEEjEE10hipError_tPvRmT2_T3_T4_T5_mT6_T7_P12ihipStream_tbENKUlT_T0_E_clISt17integral_constantIbLb0EESY_IbLb1EEEEDaSU_SV_EUlSU_E_NS1_11comp_targetILNS1_3genE10ELNS1_11target_archE1201ELNS1_3gpuE5ELNS1_3repE0EEENS1_30default_config_static_selectorELNS0_4arch9wavefront6targetE0EEEvT1_.private_seg_size, 0
	.set _ZN7rocprim17ROCPRIM_400000_NS6detail17trampoline_kernelINS0_14default_configENS1_27scan_by_key_config_selectorIjjEEZZNS1_16scan_by_key_implILNS1_25lookback_scan_determinismE0ELb0ES3_N6thrust23THRUST_200600_302600_NS6detail15normal_iteratorINS9_10device_ptrIjEEEESE_SE_jNS9_4plusIvEENS9_8equal_toIvEEjEE10hipError_tPvRmT2_T3_T4_T5_mT6_T7_P12ihipStream_tbENKUlT_T0_E_clISt17integral_constantIbLb0EESY_IbLb1EEEEDaSU_SV_EUlSU_E_NS1_11comp_targetILNS1_3genE10ELNS1_11target_archE1201ELNS1_3gpuE5ELNS1_3repE0EEENS1_30default_config_static_selectorELNS0_4arch9wavefront6targetE0EEEvT1_.uses_vcc, 0
	.set _ZN7rocprim17ROCPRIM_400000_NS6detail17trampoline_kernelINS0_14default_configENS1_27scan_by_key_config_selectorIjjEEZZNS1_16scan_by_key_implILNS1_25lookback_scan_determinismE0ELb0ES3_N6thrust23THRUST_200600_302600_NS6detail15normal_iteratorINS9_10device_ptrIjEEEESE_SE_jNS9_4plusIvEENS9_8equal_toIvEEjEE10hipError_tPvRmT2_T3_T4_T5_mT6_T7_P12ihipStream_tbENKUlT_T0_E_clISt17integral_constantIbLb0EESY_IbLb1EEEEDaSU_SV_EUlSU_E_NS1_11comp_targetILNS1_3genE10ELNS1_11target_archE1201ELNS1_3gpuE5ELNS1_3repE0EEENS1_30default_config_static_selectorELNS0_4arch9wavefront6targetE0EEEvT1_.uses_flat_scratch, 0
	.set _ZN7rocprim17ROCPRIM_400000_NS6detail17trampoline_kernelINS0_14default_configENS1_27scan_by_key_config_selectorIjjEEZZNS1_16scan_by_key_implILNS1_25lookback_scan_determinismE0ELb0ES3_N6thrust23THRUST_200600_302600_NS6detail15normal_iteratorINS9_10device_ptrIjEEEESE_SE_jNS9_4plusIvEENS9_8equal_toIvEEjEE10hipError_tPvRmT2_T3_T4_T5_mT6_T7_P12ihipStream_tbENKUlT_T0_E_clISt17integral_constantIbLb0EESY_IbLb1EEEEDaSU_SV_EUlSU_E_NS1_11comp_targetILNS1_3genE10ELNS1_11target_archE1201ELNS1_3gpuE5ELNS1_3repE0EEENS1_30default_config_static_selectorELNS0_4arch9wavefront6targetE0EEEvT1_.has_dyn_sized_stack, 0
	.set _ZN7rocprim17ROCPRIM_400000_NS6detail17trampoline_kernelINS0_14default_configENS1_27scan_by_key_config_selectorIjjEEZZNS1_16scan_by_key_implILNS1_25lookback_scan_determinismE0ELb0ES3_N6thrust23THRUST_200600_302600_NS6detail15normal_iteratorINS9_10device_ptrIjEEEESE_SE_jNS9_4plusIvEENS9_8equal_toIvEEjEE10hipError_tPvRmT2_T3_T4_T5_mT6_T7_P12ihipStream_tbENKUlT_T0_E_clISt17integral_constantIbLb0EESY_IbLb1EEEEDaSU_SV_EUlSU_E_NS1_11comp_targetILNS1_3genE10ELNS1_11target_archE1201ELNS1_3gpuE5ELNS1_3repE0EEENS1_30default_config_static_selectorELNS0_4arch9wavefront6targetE0EEEvT1_.has_recursion, 0
	.set _ZN7rocprim17ROCPRIM_400000_NS6detail17trampoline_kernelINS0_14default_configENS1_27scan_by_key_config_selectorIjjEEZZNS1_16scan_by_key_implILNS1_25lookback_scan_determinismE0ELb0ES3_N6thrust23THRUST_200600_302600_NS6detail15normal_iteratorINS9_10device_ptrIjEEEESE_SE_jNS9_4plusIvEENS9_8equal_toIvEEjEE10hipError_tPvRmT2_T3_T4_T5_mT6_T7_P12ihipStream_tbENKUlT_T0_E_clISt17integral_constantIbLb0EESY_IbLb1EEEEDaSU_SV_EUlSU_E_NS1_11comp_targetILNS1_3genE10ELNS1_11target_archE1201ELNS1_3gpuE5ELNS1_3repE0EEENS1_30default_config_static_selectorELNS0_4arch9wavefront6targetE0EEEvT1_.has_indirect_call, 0
	.section	.AMDGPU.csdata,"",@progbits
; Kernel info:
; codeLenInByte = 0
; TotalNumSgprs: 0
; NumVgprs: 0
; ScratchSize: 0
; MemoryBound: 0
; FloatMode: 240
; IeeeMode: 1
; LDSByteSize: 0 bytes/workgroup (compile time only)
; SGPRBlocks: 0
; VGPRBlocks: 0
; NumSGPRsForWavesPerEU: 1
; NumVGPRsForWavesPerEU: 1
; NamedBarCnt: 0
; Occupancy: 16
; WaveLimiterHint : 0
; COMPUTE_PGM_RSRC2:SCRATCH_EN: 0
; COMPUTE_PGM_RSRC2:USER_SGPR: 2
; COMPUTE_PGM_RSRC2:TRAP_HANDLER: 0
; COMPUTE_PGM_RSRC2:TGID_X_EN: 1
; COMPUTE_PGM_RSRC2:TGID_Y_EN: 0
; COMPUTE_PGM_RSRC2:TGID_Z_EN: 0
; COMPUTE_PGM_RSRC2:TIDIG_COMP_CNT: 0
	.section	.text._ZN7rocprim17ROCPRIM_400000_NS6detail17trampoline_kernelINS0_14default_configENS1_27scan_by_key_config_selectorIjjEEZZNS1_16scan_by_key_implILNS1_25lookback_scan_determinismE0ELb0ES3_N6thrust23THRUST_200600_302600_NS6detail15normal_iteratorINS9_10device_ptrIjEEEESE_SE_jNS9_4plusIvEENS9_8equal_toIvEEjEE10hipError_tPvRmT2_T3_T4_T5_mT6_T7_P12ihipStream_tbENKUlT_T0_E_clISt17integral_constantIbLb0EESY_IbLb1EEEEDaSU_SV_EUlSU_E_NS1_11comp_targetILNS1_3genE5ELNS1_11target_archE942ELNS1_3gpuE9ELNS1_3repE0EEENS1_30default_config_static_selectorELNS0_4arch9wavefront6targetE0EEEvT1_,"axG",@progbits,_ZN7rocprim17ROCPRIM_400000_NS6detail17trampoline_kernelINS0_14default_configENS1_27scan_by_key_config_selectorIjjEEZZNS1_16scan_by_key_implILNS1_25lookback_scan_determinismE0ELb0ES3_N6thrust23THRUST_200600_302600_NS6detail15normal_iteratorINS9_10device_ptrIjEEEESE_SE_jNS9_4plusIvEENS9_8equal_toIvEEjEE10hipError_tPvRmT2_T3_T4_T5_mT6_T7_P12ihipStream_tbENKUlT_T0_E_clISt17integral_constantIbLb0EESY_IbLb1EEEEDaSU_SV_EUlSU_E_NS1_11comp_targetILNS1_3genE5ELNS1_11target_archE942ELNS1_3gpuE9ELNS1_3repE0EEENS1_30default_config_static_selectorELNS0_4arch9wavefront6targetE0EEEvT1_,comdat
	.protected	_ZN7rocprim17ROCPRIM_400000_NS6detail17trampoline_kernelINS0_14default_configENS1_27scan_by_key_config_selectorIjjEEZZNS1_16scan_by_key_implILNS1_25lookback_scan_determinismE0ELb0ES3_N6thrust23THRUST_200600_302600_NS6detail15normal_iteratorINS9_10device_ptrIjEEEESE_SE_jNS9_4plusIvEENS9_8equal_toIvEEjEE10hipError_tPvRmT2_T3_T4_T5_mT6_T7_P12ihipStream_tbENKUlT_T0_E_clISt17integral_constantIbLb0EESY_IbLb1EEEEDaSU_SV_EUlSU_E_NS1_11comp_targetILNS1_3genE5ELNS1_11target_archE942ELNS1_3gpuE9ELNS1_3repE0EEENS1_30default_config_static_selectorELNS0_4arch9wavefront6targetE0EEEvT1_ ; -- Begin function _ZN7rocprim17ROCPRIM_400000_NS6detail17trampoline_kernelINS0_14default_configENS1_27scan_by_key_config_selectorIjjEEZZNS1_16scan_by_key_implILNS1_25lookback_scan_determinismE0ELb0ES3_N6thrust23THRUST_200600_302600_NS6detail15normal_iteratorINS9_10device_ptrIjEEEESE_SE_jNS9_4plusIvEENS9_8equal_toIvEEjEE10hipError_tPvRmT2_T3_T4_T5_mT6_T7_P12ihipStream_tbENKUlT_T0_E_clISt17integral_constantIbLb0EESY_IbLb1EEEEDaSU_SV_EUlSU_E_NS1_11comp_targetILNS1_3genE5ELNS1_11target_archE942ELNS1_3gpuE9ELNS1_3repE0EEENS1_30default_config_static_selectorELNS0_4arch9wavefront6targetE0EEEvT1_
	.globl	_ZN7rocprim17ROCPRIM_400000_NS6detail17trampoline_kernelINS0_14default_configENS1_27scan_by_key_config_selectorIjjEEZZNS1_16scan_by_key_implILNS1_25lookback_scan_determinismE0ELb0ES3_N6thrust23THRUST_200600_302600_NS6detail15normal_iteratorINS9_10device_ptrIjEEEESE_SE_jNS9_4plusIvEENS9_8equal_toIvEEjEE10hipError_tPvRmT2_T3_T4_T5_mT6_T7_P12ihipStream_tbENKUlT_T0_E_clISt17integral_constantIbLb0EESY_IbLb1EEEEDaSU_SV_EUlSU_E_NS1_11comp_targetILNS1_3genE5ELNS1_11target_archE942ELNS1_3gpuE9ELNS1_3repE0EEENS1_30default_config_static_selectorELNS0_4arch9wavefront6targetE0EEEvT1_
	.p2align	8
	.type	_ZN7rocprim17ROCPRIM_400000_NS6detail17trampoline_kernelINS0_14default_configENS1_27scan_by_key_config_selectorIjjEEZZNS1_16scan_by_key_implILNS1_25lookback_scan_determinismE0ELb0ES3_N6thrust23THRUST_200600_302600_NS6detail15normal_iteratorINS9_10device_ptrIjEEEESE_SE_jNS9_4plusIvEENS9_8equal_toIvEEjEE10hipError_tPvRmT2_T3_T4_T5_mT6_T7_P12ihipStream_tbENKUlT_T0_E_clISt17integral_constantIbLb0EESY_IbLb1EEEEDaSU_SV_EUlSU_E_NS1_11comp_targetILNS1_3genE5ELNS1_11target_archE942ELNS1_3gpuE9ELNS1_3repE0EEENS1_30default_config_static_selectorELNS0_4arch9wavefront6targetE0EEEvT1_,@function
_ZN7rocprim17ROCPRIM_400000_NS6detail17trampoline_kernelINS0_14default_configENS1_27scan_by_key_config_selectorIjjEEZZNS1_16scan_by_key_implILNS1_25lookback_scan_determinismE0ELb0ES3_N6thrust23THRUST_200600_302600_NS6detail15normal_iteratorINS9_10device_ptrIjEEEESE_SE_jNS9_4plusIvEENS9_8equal_toIvEEjEE10hipError_tPvRmT2_T3_T4_T5_mT6_T7_P12ihipStream_tbENKUlT_T0_E_clISt17integral_constantIbLb0EESY_IbLb1EEEEDaSU_SV_EUlSU_E_NS1_11comp_targetILNS1_3genE5ELNS1_11target_archE942ELNS1_3gpuE9ELNS1_3repE0EEENS1_30default_config_static_selectorELNS0_4arch9wavefront6targetE0EEEvT1_: ; @_ZN7rocprim17ROCPRIM_400000_NS6detail17trampoline_kernelINS0_14default_configENS1_27scan_by_key_config_selectorIjjEEZZNS1_16scan_by_key_implILNS1_25lookback_scan_determinismE0ELb0ES3_N6thrust23THRUST_200600_302600_NS6detail15normal_iteratorINS9_10device_ptrIjEEEESE_SE_jNS9_4plusIvEENS9_8equal_toIvEEjEE10hipError_tPvRmT2_T3_T4_T5_mT6_T7_P12ihipStream_tbENKUlT_T0_E_clISt17integral_constantIbLb0EESY_IbLb1EEEEDaSU_SV_EUlSU_E_NS1_11comp_targetILNS1_3genE5ELNS1_11target_archE942ELNS1_3gpuE9ELNS1_3repE0EEENS1_30default_config_static_selectorELNS0_4arch9wavefront6targetE0EEEvT1_
; %bb.0:
	.section	.rodata,"a",@progbits
	.p2align	6, 0x0
	.amdhsa_kernel _ZN7rocprim17ROCPRIM_400000_NS6detail17trampoline_kernelINS0_14default_configENS1_27scan_by_key_config_selectorIjjEEZZNS1_16scan_by_key_implILNS1_25lookback_scan_determinismE0ELb0ES3_N6thrust23THRUST_200600_302600_NS6detail15normal_iteratorINS9_10device_ptrIjEEEESE_SE_jNS9_4plusIvEENS9_8equal_toIvEEjEE10hipError_tPvRmT2_T3_T4_T5_mT6_T7_P12ihipStream_tbENKUlT_T0_E_clISt17integral_constantIbLb0EESY_IbLb1EEEEDaSU_SV_EUlSU_E_NS1_11comp_targetILNS1_3genE5ELNS1_11target_archE942ELNS1_3gpuE9ELNS1_3repE0EEENS1_30default_config_static_selectorELNS0_4arch9wavefront6targetE0EEEvT1_
		.amdhsa_group_segment_fixed_size 0
		.amdhsa_private_segment_fixed_size 0
		.amdhsa_kernarg_size 112
		.amdhsa_user_sgpr_count 2
		.amdhsa_user_sgpr_dispatch_ptr 0
		.amdhsa_user_sgpr_queue_ptr 0
		.amdhsa_user_sgpr_kernarg_segment_ptr 1
		.amdhsa_user_sgpr_dispatch_id 0
		.amdhsa_user_sgpr_kernarg_preload_length 0
		.amdhsa_user_sgpr_kernarg_preload_offset 0
		.amdhsa_user_sgpr_private_segment_size 0
		.amdhsa_wavefront_size32 1
		.amdhsa_uses_dynamic_stack 0
		.amdhsa_enable_private_segment 0
		.amdhsa_system_sgpr_workgroup_id_x 1
		.amdhsa_system_sgpr_workgroup_id_y 0
		.amdhsa_system_sgpr_workgroup_id_z 0
		.amdhsa_system_sgpr_workgroup_info 0
		.amdhsa_system_vgpr_workitem_id 0
		.amdhsa_next_free_vgpr 1
		.amdhsa_next_free_sgpr 1
		.amdhsa_named_barrier_count 0
		.amdhsa_reserve_vcc 0
		.amdhsa_float_round_mode_32 0
		.amdhsa_float_round_mode_16_64 0
		.amdhsa_float_denorm_mode_32 3
		.amdhsa_float_denorm_mode_16_64 3
		.amdhsa_fp16_overflow 0
		.amdhsa_memory_ordered 1
		.amdhsa_forward_progress 1
		.amdhsa_inst_pref_size 0
		.amdhsa_round_robin_scheduling 0
		.amdhsa_exception_fp_ieee_invalid_op 0
		.amdhsa_exception_fp_denorm_src 0
		.amdhsa_exception_fp_ieee_div_zero 0
		.amdhsa_exception_fp_ieee_overflow 0
		.amdhsa_exception_fp_ieee_underflow 0
		.amdhsa_exception_fp_ieee_inexact 0
		.amdhsa_exception_int_div_zero 0
	.end_amdhsa_kernel
	.section	.text._ZN7rocprim17ROCPRIM_400000_NS6detail17trampoline_kernelINS0_14default_configENS1_27scan_by_key_config_selectorIjjEEZZNS1_16scan_by_key_implILNS1_25lookback_scan_determinismE0ELb0ES3_N6thrust23THRUST_200600_302600_NS6detail15normal_iteratorINS9_10device_ptrIjEEEESE_SE_jNS9_4plusIvEENS9_8equal_toIvEEjEE10hipError_tPvRmT2_T3_T4_T5_mT6_T7_P12ihipStream_tbENKUlT_T0_E_clISt17integral_constantIbLb0EESY_IbLb1EEEEDaSU_SV_EUlSU_E_NS1_11comp_targetILNS1_3genE5ELNS1_11target_archE942ELNS1_3gpuE9ELNS1_3repE0EEENS1_30default_config_static_selectorELNS0_4arch9wavefront6targetE0EEEvT1_,"axG",@progbits,_ZN7rocprim17ROCPRIM_400000_NS6detail17trampoline_kernelINS0_14default_configENS1_27scan_by_key_config_selectorIjjEEZZNS1_16scan_by_key_implILNS1_25lookback_scan_determinismE0ELb0ES3_N6thrust23THRUST_200600_302600_NS6detail15normal_iteratorINS9_10device_ptrIjEEEESE_SE_jNS9_4plusIvEENS9_8equal_toIvEEjEE10hipError_tPvRmT2_T3_T4_T5_mT6_T7_P12ihipStream_tbENKUlT_T0_E_clISt17integral_constantIbLb0EESY_IbLb1EEEEDaSU_SV_EUlSU_E_NS1_11comp_targetILNS1_3genE5ELNS1_11target_archE942ELNS1_3gpuE9ELNS1_3repE0EEENS1_30default_config_static_selectorELNS0_4arch9wavefront6targetE0EEEvT1_,comdat
.Lfunc_end1858:
	.size	_ZN7rocprim17ROCPRIM_400000_NS6detail17trampoline_kernelINS0_14default_configENS1_27scan_by_key_config_selectorIjjEEZZNS1_16scan_by_key_implILNS1_25lookback_scan_determinismE0ELb0ES3_N6thrust23THRUST_200600_302600_NS6detail15normal_iteratorINS9_10device_ptrIjEEEESE_SE_jNS9_4plusIvEENS9_8equal_toIvEEjEE10hipError_tPvRmT2_T3_T4_T5_mT6_T7_P12ihipStream_tbENKUlT_T0_E_clISt17integral_constantIbLb0EESY_IbLb1EEEEDaSU_SV_EUlSU_E_NS1_11comp_targetILNS1_3genE5ELNS1_11target_archE942ELNS1_3gpuE9ELNS1_3repE0EEENS1_30default_config_static_selectorELNS0_4arch9wavefront6targetE0EEEvT1_, .Lfunc_end1858-_ZN7rocprim17ROCPRIM_400000_NS6detail17trampoline_kernelINS0_14default_configENS1_27scan_by_key_config_selectorIjjEEZZNS1_16scan_by_key_implILNS1_25lookback_scan_determinismE0ELb0ES3_N6thrust23THRUST_200600_302600_NS6detail15normal_iteratorINS9_10device_ptrIjEEEESE_SE_jNS9_4plusIvEENS9_8equal_toIvEEjEE10hipError_tPvRmT2_T3_T4_T5_mT6_T7_P12ihipStream_tbENKUlT_T0_E_clISt17integral_constantIbLb0EESY_IbLb1EEEEDaSU_SV_EUlSU_E_NS1_11comp_targetILNS1_3genE5ELNS1_11target_archE942ELNS1_3gpuE9ELNS1_3repE0EEENS1_30default_config_static_selectorELNS0_4arch9wavefront6targetE0EEEvT1_
                                        ; -- End function
	.set _ZN7rocprim17ROCPRIM_400000_NS6detail17trampoline_kernelINS0_14default_configENS1_27scan_by_key_config_selectorIjjEEZZNS1_16scan_by_key_implILNS1_25lookback_scan_determinismE0ELb0ES3_N6thrust23THRUST_200600_302600_NS6detail15normal_iteratorINS9_10device_ptrIjEEEESE_SE_jNS9_4plusIvEENS9_8equal_toIvEEjEE10hipError_tPvRmT2_T3_T4_T5_mT6_T7_P12ihipStream_tbENKUlT_T0_E_clISt17integral_constantIbLb0EESY_IbLb1EEEEDaSU_SV_EUlSU_E_NS1_11comp_targetILNS1_3genE5ELNS1_11target_archE942ELNS1_3gpuE9ELNS1_3repE0EEENS1_30default_config_static_selectorELNS0_4arch9wavefront6targetE0EEEvT1_.num_vgpr, 0
	.set _ZN7rocprim17ROCPRIM_400000_NS6detail17trampoline_kernelINS0_14default_configENS1_27scan_by_key_config_selectorIjjEEZZNS1_16scan_by_key_implILNS1_25lookback_scan_determinismE0ELb0ES3_N6thrust23THRUST_200600_302600_NS6detail15normal_iteratorINS9_10device_ptrIjEEEESE_SE_jNS9_4plusIvEENS9_8equal_toIvEEjEE10hipError_tPvRmT2_T3_T4_T5_mT6_T7_P12ihipStream_tbENKUlT_T0_E_clISt17integral_constantIbLb0EESY_IbLb1EEEEDaSU_SV_EUlSU_E_NS1_11comp_targetILNS1_3genE5ELNS1_11target_archE942ELNS1_3gpuE9ELNS1_3repE0EEENS1_30default_config_static_selectorELNS0_4arch9wavefront6targetE0EEEvT1_.num_agpr, 0
	.set _ZN7rocprim17ROCPRIM_400000_NS6detail17trampoline_kernelINS0_14default_configENS1_27scan_by_key_config_selectorIjjEEZZNS1_16scan_by_key_implILNS1_25lookback_scan_determinismE0ELb0ES3_N6thrust23THRUST_200600_302600_NS6detail15normal_iteratorINS9_10device_ptrIjEEEESE_SE_jNS9_4plusIvEENS9_8equal_toIvEEjEE10hipError_tPvRmT2_T3_T4_T5_mT6_T7_P12ihipStream_tbENKUlT_T0_E_clISt17integral_constantIbLb0EESY_IbLb1EEEEDaSU_SV_EUlSU_E_NS1_11comp_targetILNS1_3genE5ELNS1_11target_archE942ELNS1_3gpuE9ELNS1_3repE0EEENS1_30default_config_static_selectorELNS0_4arch9wavefront6targetE0EEEvT1_.numbered_sgpr, 0
	.set _ZN7rocprim17ROCPRIM_400000_NS6detail17trampoline_kernelINS0_14default_configENS1_27scan_by_key_config_selectorIjjEEZZNS1_16scan_by_key_implILNS1_25lookback_scan_determinismE0ELb0ES3_N6thrust23THRUST_200600_302600_NS6detail15normal_iteratorINS9_10device_ptrIjEEEESE_SE_jNS9_4plusIvEENS9_8equal_toIvEEjEE10hipError_tPvRmT2_T3_T4_T5_mT6_T7_P12ihipStream_tbENKUlT_T0_E_clISt17integral_constantIbLb0EESY_IbLb1EEEEDaSU_SV_EUlSU_E_NS1_11comp_targetILNS1_3genE5ELNS1_11target_archE942ELNS1_3gpuE9ELNS1_3repE0EEENS1_30default_config_static_selectorELNS0_4arch9wavefront6targetE0EEEvT1_.num_named_barrier, 0
	.set _ZN7rocprim17ROCPRIM_400000_NS6detail17trampoline_kernelINS0_14default_configENS1_27scan_by_key_config_selectorIjjEEZZNS1_16scan_by_key_implILNS1_25lookback_scan_determinismE0ELb0ES3_N6thrust23THRUST_200600_302600_NS6detail15normal_iteratorINS9_10device_ptrIjEEEESE_SE_jNS9_4plusIvEENS9_8equal_toIvEEjEE10hipError_tPvRmT2_T3_T4_T5_mT6_T7_P12ihipStream_tbENKUlT_T0_E_clISt17integral_constantIbLb0EESY_IbLb1EEEEDaSU_SV_EUlSU_E_NS1_11comp_targetILNS1_3genE5ELNS1_11target_archE942ELNS1_3gpuE9ELNS1_3repE0EEENS1_30default_config_static_selectorELNS0_4arch9wavefront6targetE0EEEvT1_.private_seg_size, 0
	.set _ZN7rocprim17ROCPRIM_400000_NS6detail17trampoline_kernelINS0_14default_configENS1_27scan_by_key_config_selectorIjjEEZZNS1_16scan_by_key_implILNS1_25lookback_scan_determinismE0ELb0ES3_N6thrust23THRUST_200600_302600_NS6detail15normal_iteratorINS9_10device_ptrIjEEEESE_SE_jNS9_4plusIvEENS9_8equal_toIvEEjEE10hipError_tPvRmT2_T3_T4_T5_mT6_T7_P12ihipStream_tbENKUlT_T0_E_clISt17integral_constantIbLb0EESY_IbLb1EEEEDaSU_SV_EUlSU_E_NS1_11comp_targetILNS1_3genE5ELNS1_11target_archE942ELNS1_3gpuE9ELNS1_3repE0EEENS1_30default_config_static_selectorELNS0_4arch9wavefront6targetE0EEEvT1_.uses_vcc, 0
	.set _ZN7rocprim17ROCPRIM_400000_NS6detail17trampoline_kernelINS0_14default_configENS1_27scan_by_key_config_selectorIjjEEZZNS1_16scan_by_key_implILNS1_25lookback_scan_determinismE0ELb0ES3_N6thrust23THRUST_200600_302600_NS6detail15normal_iteratorINS9_10device_ptrIjEEEESE_SE_jNS9_4plusIvEENS9_8equal_toIvEEjEE10hipError_tPvRmT2_T3_T4_T5_mT6_T7_P12ihipStream_tbENKUlT_T0_E_clISt17integral_constantIbLb0EESY_IbLb1EEEEDaSU_SV_EUlSU_E_NS1_11comp_targetILNS1_3genE5ELNS1_11target_archE942ELNS1_3gpuE9ELNS1_3repE0EEENS1_30default_config_static_selectorELNS0_4arch9wavefront6targetE0EEEvT1_.uses_flat_scratch, 0
	.set _ZN7rocprim17ROCPRIM_400000_NS6detail17trampoline_kernelINS0_14default_configENS1_27scan_by_key_config_selectorIjjEEZZNS1_16scan_by_key_implILNS1_25lookback_scan_determinismE0ELb0ES3_N6thrust23THRUST_200600_302600_NS6detail15normal_iteratorINS9_10device_ptrIjEEEESE_SE_jNS9_4plusIvEENS9_8equal_toIvEEjEE10hipError_tPvRmT2_T3_T4_T5_mT6_T7_P12ihipStream_tbENKUlT_T0_E_clISt17integral_constantIbLb0EESY_IbLb1EEEEDaSU_SV_EUlSU_E_NS1_11comp_targetILNS1_3genE5ELNS1_11target_archE942ELNS1_3gpuE9ELNS1_3repE0EEENS1_30default_config_static_selectorELNS0_4arch9wavefront6targetE0EEEvT1_.has_dyn_sized_stack, 0
	.set _ZN7rocprim17ROCPRIM_400000_NS6detail17trampoline_kernelINS0_14default_configENS1_27scan_by_key_config_selectorIjjEEZZNS1_16scan_by_key_implILNS1_25lookback_scan_determinismE0ELb0ES3_N6thrust23THRUST_200600_302600_NS6detail15normal_iteratorINS9_10device_ptrIjEEEESE_SE_jNS9_4plusIvEENS9_8equal_toIvEEjEE10hipError_tPvRmT2_T3_T4_T5_mT6_T7_P12ihipStream_tbENKUlT_T0_E_clISt17integral_constantIbLb0EESY_IbLb1EEEEDaSU_SV_EUlSU_E_NS1_11comp_targetILNS1_3genE5ELNS1_11target_archE942ELNS1_3gpuE9ELNS1_3repE0EEENS1_30default_config_static_selectorELNS0_4arch9wavefront6targetE0EEEvT1_.has_recursion, 0
	.set _ZN7rocprim17ROCPRIM_400000_NS6detail17trampoline_kernelINS0_14default_configENS1_27scan_by_key_config_selectorIjjEEZZNS1_16scan_by_key_implILNS1_25lookback_scan_determinismE0ELb0ES3_N6thrust23THRUST_200600_302600_NS6detail15normal_iteratorINS9_10device_ptrIjEEEESE_SE_jNS9_4plusIvEENS9_8equal_toIvEEjEE10hipError_tPvRmT2_T3_T4_T5_mT6_T7_P12ihipStream_tbENKUlT_T0_E_clISt17integral_constantIbLb0EESY_IbLb1EEEEDaSU_SV_EUlSU_E_NS1_11comp_targetILNS1_3genE5ELNS1_11target_archE942ELNS1_3gpuE9ELNS1_3repE0EEENS1_30default_config_static_selectorELNS0_4arch9wavefront6targetE0EEEvT1_.has_indirect_call, 0
	.section	.AMDGPU.csdata,"",@progbits
; Kernel info:
; codeLenInByte = 0
; TotalNumSgprs: 0
; NumVgprs: 0
; ScratchSize: 0
; MemoryBound: 0
; FloatMode: 240
; IeeeMode: 1
; LDSByteSize: 0 bytes/workgroup (compile time only)
; SGPRBlocks: 0
; VGPRBlocks: 0
; NumSGPRsForWavesPerEU: 1
; NumVGPRsForWavesPerEU: 1
; NamedBarCnt: 0
; Occupancy: 16
; WaveLimiterHint : 0
; COMPUTE_PGM_RSRC2:SCRATCH_EN: 0
; COMPUTE_PGM_RSRC2:USER_SGPR: 2
; COMPUTE_PGM_RSRC2:TRAP_HANDLER: 0
; COMPUTE_PGM_RSRC2:TGID_X_EN: 1
; COMPUTE_PGM_RSRC2:TGID_Y_EN: 0
; COMPUTE_PGM_RSRC2:TGID_Z_EN: 0
; COMPUTE_PGM_RSRC2:TIDIG_COMP_CNT: 0
	.section	.text._ZN7rocprim17ROCPRIM_400000_NS6detail17trampoline_kernelINS0_14default_configENS1_27scan_by_key_config_selectorIjjEEZZNS1_16scan_by_key_implILNS1_25lookback_scan_determinismE0ELb0ES3_N6thrust23THRUST_200600_302600_NS6detail15normal_iteratorINS9_10device_ptrIjEEEESE_SE_jNS9_4plusIvEENS9_8equal_toIvEEjEE10hipError_tPvRmT2_T3_T4_T5_mT6_T7_P12ihipStream_tbENKUlT_T0_E_clISt17integral_constantIbLb0EESY_IbLb1EEEEDaSU_SV_EUlSU_E_NS1_11comp_targetILNS1_3genE4ELNS1_11target_archE910ELNS1_3gpuE8ELNS1_3repE0EEENS1_30default_config_static_selectorELNS0_4arch9wavefront6targetE0EEEvT1_,"axG",@progbits,_ZN7rocprim17ROCPRIM_400000_NS6detail17trampoline_kernelINS0_14default_configENS1_27scan_by_key_config_selectorIjjEEZZNS1_16scan_by_key_implILNS1_25lookback_scan_determinismE0ELb0ES3_N6thrust23THRUST_200600_302600_NS6detail15normal_iteratorINS9_10device_ptrIjEEEESE_SE_jNS9_4plusIvEENS9_8equal_toIvEEjEE10hipError_tPvRmT2_T3_T4_T5_mT6_T7_P12ihipStream_tbENKUlT_T0_E_clISt17integral_constantIbLb0EESY_IbLb1EEEEDaSU_SV_EUlSU_E_NS1_11comp_targetILNS1_3genE4ELNS1_11target_archE910ELNS1_3gpuE8ELNS1_3repE0EEENS1_30default_config_static_selectorELNS0_4arch9wavefront6targetE0EEEvT1_,comdat
	.protected	_ZN7rocprim17ROCPRIM_400000_NS6detail17trampoline_kernelINS0_14default_configENS1_27scan_by_key_config_selectorIjjEEZZNS1_16scan_by_key_implILNS1_25lookback_scan_determinismE0ELb0ES3_N6thrust23THRUST_200600_302600_NS6detail15normal_iteratorINS9_10device_ptrIjEEEESE_SE_jNS9_4plusIvEENS9_8equal_toIvEEjEE10hipError_tPvRmT2_T3_T4_T5_mT6_T7_P12ihipStream_tbENKUlT_T0_E_clISt17integral_constantIbLb0EESY_IbLb1EEEEDaSU_SV_EUlSU_E_NS1_11comp_targetILNS1_3genE4ELNS1_11target_archE910ELNS1_3gpuE8ELNS1_3repE0EEENS1_30default_config_static_selectorELNS0_4arch9wavefront6targetE0EEEvT1_ ; -- Begin function _ZN7rocprim17ROCPRIM_400000_NS6detail17trampoline_kernelINS0_14default_configENS1_27scan_by_key_config_selectorIjjEEZZNS1_16scan_by_key_implILNS1_25lookback_scan_determinismE0ELb0ES3_N6thrust23THRUST_200600_302600_NS6detail15normal_iteratorINS9_10device_ptrIjEEEESE_SE_jNS9_4plusIvEENS9_8equal_toIvEEjEE10hipError_tPvRmT2_T3_T4_T5_mT6_T7_P12ihipStream_tbENKUlT_T0_E_clISt17integral_constantIbLb0EESY_IbLb1EEEEDaSU_SV_EUlSU_E_NS1_11comp_targetILNS1_3genE4ELNS1_11target_archE910ELNS1_3gpuE8ELNS1_3repE0EEENS1_30default_config_static_selectorELNS0_4arch9wavefront6targetE0EEEvT1_
	.globl	_ZN7rocprim17ROCPRIM_400000_NS6detail17trampoline_kernelINS0_14default_configENS1_27scan_by_key_config_selectorIjjEEZZNS1_16scan_by_key_implILNS1_25lookback_scan_determinismE0ELb0ES3_N6thrust23THRUST_200600_302600_NS6detail15normal_iteratorINS9_10device_ptrIjEEEESE_SE_jNS9_4plusIvEENS9_8equal_toIvEEjEE10hipError_tPvRmT2_T3_T4_T5_mT6_T7_P12ihipStream_tbENKUlT_T0_E_clISt17integral_constantIbLb0EESY_IbLb1EEEEDaSU_SV_EUlSU_E_NS1_11comp_targetILNS1_3genE4ELNS1_11target_archE910ELNS1_3gpuE8ELNS1_3repE0EEENS1_30default_config_static_selectorELNS0_4arch9wavefront6targetE0EEEvT1_
	.p2align	8
	.type	_ZN7rocprim17ROCPRIM_400000_NS6detail17trampoline_kernelINS0_14default_configENS1_27scan_by_key_config_selectorIjjEEZZNS1_16scan_by_key_implILNS1_25lookback_scan_determinismE0ELb0ES3_N6thrust23THRUST_200600_302600_NS6detail15normal_iteratorINS9_10device_ptrIjEEEESE_SE_jNS9_4plusIvEENS9_8equal_toIvEEjEE10hipError_tPvRmT2_T3_T4_T5_mT6_T7_P12ihipStream_tbENKUlT_T0_E_clISt17integral_constantIbLb0EESY_IbLb1EEEEDaSU_SV_EUlSU_E_NS1_11comp_targetILNS1_3genE4ELNS1_11target_archE910ELNS1_3gpuE8ELNS1_3repE0EEENS1_30default_config_static_selectorELNS0_4arch9wavefront6targetE0EEEvT1_,@function
_ZN7rocprim17ROCPRIM_400000_NS6detail17trampoline_kernelINS0_14default_configENS1_27scan_by_key_config_selectorIjjEEZZNS1_16scan_by_key_implILNS1_25lookback_scan_determinismE0ELb0ES3_N6thrust23THRUST_200600_302600_NS6detail15normal_iteratorINS9_10device_ptrIjEEEESE_SE_jNS9_4plusIvEENS9_8equal_toIvEEjEE10hipError_tPvRmT2_T3_T4_T5_mT6_T7_P12ihipStream_tbENKUlT_T0_E_clISt17integral_constantIbLb0EESY_IbLb1EEEEDaSU_SV_EUlSU_E_NS1_11comp_targetILNS1_3genE4ELNS1_11target_archE910ELNS1_3gpuE8ELNS1_3repE0EEENS1_30default_config_static_selectorELNS0_4arch9wavefront6targetE0EEEvT1_: ; @_ZN7rocprim17ROCPRIM_400000_NS6detail17trampoline_kernelINS0_14default_configENS1_27scan_by_key_config_selectorIjjEEZZNS1_16scan_by_key_implILNS1_25lookback_scan_determinismE0ELb0ES3_N6thrust23THRUST_200600_302600_NS6detail15normal_iteratorINS9_10device_ptrIjEEEESE_SE_jNS9_4plusIvEENS9_8equal_toIvEEjEE10hipError_tPvRmT2_T3_T4_T5_mT6_T7_P12ihipStream_tbENKUlT_T0_E_clISt17integral_constantIbLb0EESY_IbLb1EEEEDaSU_SV_EUlSU_E_NS1_11comp_targetILNS1_3genE4ELNS1_11target_archE910ELNS1_3gpuE8ELNS1_3repE0EEENS1_30default_config_static_selectorELNS0_4arch9wavefront6targetE0EEEvT1_
; %bb.0:
	.section	.rodata,"a",@progbits
	.p2align	6, 0x0
	.amdhsa_kernel _ZN7rocprim17ROCPRIM_400000_NS6detail17trampoline_kernelINS0_14default_configENS1_27scan_by_key_config_selectorIjjEEZZNS1_16scan_by_key_implILNS1_25lookback_scan_determinismE0ELb0ES3_N6thrust23THRUST_200600_302600_NS6detail15normal_iteratorINS9_10device_ptrIjEEEESE_SE_jNS9_4plusIvEENS9_8equal_toIvEEjEE10hipError_tPvRmT2_T3_T4_T5_mT6_T7_P12ihipStream_tbENKUlT_T0_E_clISt17integral_constantIbLb0EESY_IbLb1EEEEDaSU_SV_EUlSU_E_NS1_11comp_targetILNS1_3genE4ELNS1_11target_archE910ELNS1_3gpuE8ELNS1_3repE0EEENS1_30default_config_static_selectorELNS0_4arch9wavefront6targetE0EEEvT1_
		.amdhsa_group_segment_fixed_size 0
		.amdhsa_private_segment_fixed_size 0
		.amdhsa_kernarg_size 112
		.amdhsa_user_sgpr_count 2
		.amdhsa_user_sgpr_dispatch_ptr 0
		.amdhsa_user_sgpr_queue_ptr 0
		.amdhsa_user_sgpr_kernarg_segment_ptr 1
		.amdhsa_user_sgpr_dispatch_id 0
		.amdhsa_user_sgpr_kernarg_preload_length 0
		.amdhsa_user_sgpr_kernarg_preload_offset 0
		.amdhsa_user_sgpr_private_segment_size 0
		.amdhsa_wavefront_size32 1
		.amdhsa_uses_dynamic_stack 0
		.amdhsa_enable_private_segment 0
		.amdhsa_system_sgpr_workgroup_id_x 1
		.amdhsa_system_sgpr_workgroup_id_y 0
		.amdhsa_system_sgpr_workgroup_id_z 0
		.amdhsa_system_sgpr_workgroup_info 0
		.amdhsa_system_vgpr_workitem_id 0
		.amdhsa_next_free_vgpr 1
		.amdhsa_next_free_sgpr 1
		.amdhsa_named_barrier_count 0
		.amdhsa_reserve_vcc 0
		.amdhsa_float_round_mode_32 0
		.amdhsa_float_round_mode_16_64 0
		.amdhsa_float_denorm_mode_32 3
		.amdhsa_float_denorm_mode_16_64 3
		.amdhsa_fp16_overflow 0
		.amdhsa_memory_ordered 1
		.amdhsa_forward_progress 1
		.amdhsa_inst_pref_size 0
		.amdhsa_round_robin_scheduling 0
		.amdhsa_exception_fp_ieee_invalid_op 0
		.amdhsa_exception_fp_denorm_src 0
		.amdhsa_exception_fp_ieee_div_zero 0
		.amdhsa_exception_fp_ieee_overflow 0
		.amdhsa_exception_fp_ieee_underflow 0
		.amdhsa_exception_fp_ieee_inexact 0
		.amdhsa_exception_int_div_zero 0
	.end_amdhsa_kernel
	.section	.text._ZN7rocprim17ROCPRIM_400000_NS6detail17trampoline_kernelINS0_14default_configENS1_27scan_by_key_config_selectorIjjEEZZNS1_16scan_by_key_implILNS1_25lookback_scan_determinismE0ELb0ES3_N6thrust23THRUST_200600_302600_NS6detail15normal_iteratorINS9_10device_ptrIjEEEESE_SE_jNS9_4plusIvEENS9_8equal_toIvEEjEE10hipError_tPvRmT2_T3_T4_T5_mT6_T7_P12ihipStream_tbENKUlT_T0_E_clISt17integral_constantIbLb0EESY_IbLb1EEEEDaSU_SV_EUlSU_E_NS1_11comp_targetILNS1_3genE4ELNS1_11target_archE910ELNS1_3gpuE8ELNS1_3repE0EEENS1_30default_config_static_selectorELNS0_4arch9wavefront6targetE0EEEvT1_,"axG",@progbits,_ZN7rocprim17ROCPRIM_400000_NS6detail17trampoline_kernelINS0_14default_configENS1_27scan_by_key_config_selectorIjjEEZZNS1_16scan_by_key_implILNS1_25lookback_scan_determinismE0ELb0ES3_N6thrust23THRUST_200600_302600_NS6detail15normal_iteratorINS9_10device_ptrIjEEEESE_SE_jNS9_4plusIvEENS9_8equal_toIvEEjEE10hipError_tPvRmT2_T3_T4_T5_mT6_T7_P12ihipStream_tbENKUlT_T0_E_clISt17integral_constantIbLb0EESY_IbLb1EEEEDaSU_SV_EUlSU_E_NS1_11comp_targetILNS1_3genE4ELNS1_11target_archE910ELNS1_3gpuE8ELNS1_3repE0EEENS1_30default_config_static_selectorELNS0_4arch9wavefront6targetE0EEEvT1_,comdat
.Lfunc_end1859:
	.size	_ZN7rocprim17ROCPRIM_400000_NS6detail17trampoline_kernelINS0_14default_configENS1_27scan_by_key_config_selectorIjjEEZZNS1_16scan_by_key_implILNS1_25lookback_scan_determinismE0ELb0ES3_N6thrust23THRUST_200600_302600_NS6detail15normal_iteratorINS9_10device_ptrIjEEEESE_SE_jNS9_4plusIvEENS9_8equal_toIvEEjEE10hipError_tPvRmT2_T3_T4_T5_mT6_T7_P12ihipStream_tbENKUlT_T0_E_clISt17integral_constantIbLb0EESY_IbLb1EEEEDaSU_SV_EUlSU_E_NS1_11comp_targetILNS1_3genE4ELNS1_11target_archE910ELNS1_3gpuE8ELNS1_3repE0EEENS1_30default_config_static_selectorELNS0_4arch9wavefront6targetE0EEEvT1_, .Lfunc_end1859-_ZN7rocprim17ROCPRIM_400000_NS6detail17trampoline_kernelINS0_14default_configENS1_27scan_by_key_config_selectorIjjEEZZNS1_16scan_by_key_implILNS1_25lookback_scan_determinismE0ELb0ES3_N6thrust23THRUST_200600_302600_NS6detail15normal_iteratorINS9_10device_ptrIjEEEESE_SE_jNS9_4plusIvEENS9_8equal_toIvEEjEE10hipError_tPvRmT2_T3_T4_T5_mT6_T7_P12ihipStream_tbENKUlT_T0_E_clISt17integral_constantIbLb0EESY_IbLb1EEEEDaSU_SV_EUlSU_E_NS1_11comp_targetILNS1_3genE4ELNS1_11target_archE910ELNS1_3gpuE8ELNS1_3repE0EEENS1_30default_config_static_selectorELNS0_4arch9wavefront6targetE0EEEvT1_
                                        ; -- End function
	.set _ZN7rocprim17ROCPRIM_400000_NS6detail17trampoline_kernelINS0_14default_configENS1_27scan_by_key_config_selectorIjjEEZZNS1_16scan_by_key_implILNS1_25lookback_scan_determinismE0ELb0ES3_N6thrust23THRUST_200600_302600_NS6detail15normal_iteratorINS9_10device_ptrIjEEEESE_SE_jNS9_4plusIvEENS9_8equal_toIvEEjEE10hipError_tPvRmT2_T3_T4_T5_mT6_T7_P12ihipStream_tbENKUlT_T0_E_clISt17integral_constantIbLb0EESY_IbLb1EEEEDaSU_SV_EUlSU_E_NS1_11comp_targetILNS1_3genE4ELNS1_11target_archE910ELNS1_3gpuE8ELNS1_3repE0EEENS1_30default_config_static_selectorELNS0_4arch9wavefront6targetE0EEEvT1_.num_vgpr, 0
	.set _ZN7rocprim17ROCPRIM_400000_NS6detail17trampoline_kernelINS0_14default_configENS1_27scan_by_key_config_selectorIjjEEZZNS1_16scan_by_key_implILNS1_25lookback_scan_determinismE0ELb0ES3_N6thrust23THRUST_200600_302600_NS6detail15normal_iteratorINS9_10device_ptrIjEEEESE_SE_jNS9_4plusIvEENS9_8equal_toIvEEjEE10hipError_tPvRmT2_T3_T4_T5_mT6_T7_P12ihipStream_tbENKUlT_T0_E_clISt17integral_constantIbLb0EESY_IbLb1EEEEDaSU_SV_EUlSU_E_NS1_11comp_targetILNS1_3genE4ELNS1_11target_archE910ELNS1_3gpuE8ELNS1_3repE0EEENS1_30default_config_static_selectorELNS0_4arch9wavefront6targetE0EEEvT1_.num_agpr, 0
	.set _ZN7rocprim17ROCPRIM_400000_NS6detail17trampoline_kernelINS0_14default_configENS1_27scan_by_key_config_selectorIjjEEZZNS1_16scan_by_key_implILNS1_25lookback_scan_determinismE0ELb0ES3_N6thrust23THRUST_200600_302600_NS6detail15normal_iteratorINS9_10device_ptrIjEEEESE_SE_jNS9_4plusIvEENS9_8equal_toIvEEjEE10hipError_tPvRmT2_T3_T4_T5_mT6_T7_P12ihipStream_tbENKUlT_T0_E_clISt17integral_constantIbLb0EESY_IbLb1EEEEDaSU_SV_EUlSU_E_NS1_11comp_targetILNS1_3genE4ELNS1_11target_archE910ELNS1_3gpuE8ELNS1_3repE0EEENS1_30default_config_static_selectorELNS0_4arch9wavefront6targetE0EEEvT1_.numbered_sgpr, 0
	.set _ZN7rocprim17ROCPRIM_400000_NS6detail17trampoline_kernelINS0_14default_configENS1_27scan_by_key_config_selectorIjjEEZZNS1_16scan_by_key_implILNS1_25lookback_scan_determinismE0ELb0ES3_N6thrust23THRUST_200600_302600_NS6detail15normal_iteratorINS9_10device_ptrIjEEEESE_SE_jNS9_4plusIvEENS9_8equal_toIvEEjEE10hipError_tPvRmT2_T3_T4_T5_mT6_T7_P12ihipStream_tbENKUlT_T0_E_clISt17integral_constantIbLb0EESY_IbLb1EEEEDaSU_SV_EUlSU_E_NS1_11comp_targetILNS1_3genE4ELNS1_11target_archE910ELNS1_3gpuE8ELNS1_3repE0EEENS1_30default_config_static_selectorELNS0_4arch9wavefront6targetE0EEEvT1_.num_named_barrier, 0
	.set _ZN7rocprim17ROCPRIM_400000_NS6detail17trampoline_kernelINS0_14default_configENS1_27scan_by_key_config_selectorIjjEEZZNS1_16scan_by_key_implILNS1_25lookback_scan_determinismE0ELb0ES3_N6thrust23THRUST_200600_302600_NS6detail15normal_iteratorINS9_10device_ptrIjEEEESE_SE_jNS9_4plusIvEENS9_8equal_toIvEEjEE10hipError_tPvRmT2_T3_T4_T5_mT6_T7_P12ihipStream_tbENKUlT_T0_E_clISt17integral_constantIbLb0EESY_IbLb1EEEEDaSU_SV_EUlSU_E_NS1_11comp_targetILNS1_3genE4ELNS1_11target_archE910ELNS1_3gpuE8ELNS1_3repE0EEENS1_30default_config_static_selectorELNS0_4arch9wavefront6targetE0EEEvT1_.private_seg_size, 0
	.set _ZN7rocprim17ROCPRIM_400000_NS6detail17trampoline_kernelINS0_14default_configENS1_27scan_by_key_config_selectorIjjEEZZNS1_16scan_by_key_implILNS1_25lookback_scan_determinismE0ELb0ES3_N6thrust23THRUST_200600_302600_NS6detail15normal_iteratorINS9_10device_ptrIjEEEESE_SE_jNS9_4plusIvEENS9_8equal_toIvEEjEE10hipError_tPvRmT2_T3_T4_T5_mT6_T7_P12ihipStream_tbENKUlT_T0_E_clISt17integral_constantIbLb0EESY_IbLb1EEEEDaSU_SV_EUlSU_E_NS1_11comp_targetILNS1_3genE4ELNS1_11target_archE910ELNS1_3gpuE8ELNS1_3repE0EEENS1_30default_config_static_selectorELNS0_4arch9wavefront6targetE0EEEvT1_.uses_vcc, 0
	.set _ZN7rocprim17ROCPRIM_400000_NS6detail17trampoline_kernelINS0_14default_configENS1_27scan_by_key_config_selectorIjjEEZZNS1_16scan_by_key_implILNS1_25lookback_scan_determinismE0ELb0ES3_N6thrust23THRUST_200600_302600_NS6detail15normal_iteratorINS9_10device_ptrIjEEEESE_SE_jNS9_4plusIvEENS9_8equal_toIvEEjEE10hipError_tPvRmT2_T3_T4_T5_mT6_T7_P12ihipStream_tbENKUlT_T0_E_clISt17integral_constantIbLb0EESY_IbLb1EEEEDaSU_SV_EUlSU_E_NS1_11comp_targetILNS1_3genE4ELNS1_11target_archE910ELNS1_3gpuE8ELNS1_3repE0EEENS1_30default_config_static_selectorELNS0_4arch9wavefront6targetE0EEEvT1_.uses_flat_scratch, 0
	.set _ZN7rocprim17ROCPRIM_400000_NS6detail17trampoline_kernelINS0_14default_configENS1_27scan_by_key_config_selectorIjjEEZZNS1_16scan_by_key_implILNS1_25lookback_scan_determinismE0ELb0ES3_N6thrust23THRUST_200600_302600_NS6detail15normal_iteratorINS9_10device_ptrIjEEEESE_SE_jNS9_4plusIvEENS9_8equal_toIvEEjEE10hipError_tPvRmT2_T3_T4_T5_mT6_T7_P12ihipStream_tbENKUlT_T0_E_clISt17integral_constantIbLb0EESY_IbLb1EEEEDaSU_SV_EUlSU_E_NS1_11comp_targetILNS1_3genE4ELNS1_11target_archE910ELNS1_3gpuE8ELNS1_3repE0EEENS1_30default_config_static_selectorELNS0_4arch9wavefront6targetE0EEEvT1_.has_dyn_sized_stack, 0
	.set _ZN7rocprim17ROCPRIM_400000_NS6detail17trampoline_kernelINS0_14default_configENS1_27scan_by_key_config_selectorIjjEEZZNS1_16scan_by_key_implILNS1_25lookback_scan_determinismE0ELb0ES3_N6thrust23THRUST_200600_302600_NS6detail15normal_iteratorINS9_10device_ptrIjEEEESE_SE_jNS9_4plusIvEENS9_8equal_toIvEEjEE10hipError_tPvRmT2_T3_T4_T5_mT6_T7_P12ihipStream_tbENKUlT_T0_E_clISt17integral_constantIbLb0EESY_IbLb1EEEEDaSU_SV_EUlSU_E_NS1_11comp_targetILNS1_3genE4ELNS1_11target_archE910ELNS1_3gpuE8ELNS1_3repE0EEENS1_30default_config_static_selectorELNS0_4arch9wavefront6targetE0EEEvT1_.has_recursion, 0
	.set _ZN7rocprim17ROCPRIM_400000_NS6detail17trampoline_kernelINS0_14default_configENS1_27scan_by_key_config_selectorIjjEEZZNS1_16scan_by_key_implILNS1_25lookback_scan_determinismE0ELb0ES3_N6thrust23THRUST_200600_302600_NS6detail15normal_iteratorINS9_10device_ptrIjEEEESE_SE_jNS9_4plusIvEENS9_8equal_toIvEEjEE10hipError_tPvRmT2_T3_T4_T5_mT6_T7_P12ihipStream_tbENKUlT_T0_E_clISt17integral_constantIbLb0EESY_IbLb1EEEEDaSU_SV_EUlSU_E_NS1_11comp_targetILNS1_3genE4ELNS1_11target_archE910ELNS1_3gpuE8ELNS1_3repE0EEENS1_30default_config_static_selectorELNS0_4arch9wavefront6targetE0EEEvT1_.has_indirect_call, 0
	.section	.AMDGPU.csdata,"",@progbits
; Kernel info:
; codeLenInByte = 0
; TotalNumSgprs: 0
; NumVgprs: 0
; ScratchSize: 0
; MemoryBound: 0
; FloatMode: 240
; IeeeMode: 1
; LDSByteSize: 0 bytes/workgroup (compile time only)
; SGPRBlocks: 0
; VGPRBlocks: 0
; NumSGPRsForWavesPerEU: 1
; NumVGPRsForWavesPerEU: 1
; NamedBarCnt: 0
; Occupancy: 16
; WaveLimiterHint : 0
; COMPUTE_PGM_RSRC2:SCRATCH_EN: 0
; COMPUTE_PGM_RSRC2:USER_SGPR: 2
; COMPUTE_PGM_RSRC2:TRAP_HANDLER: 0
; COMPUTE_PGM_RSRC2:TGID_X_EN: 1
; COMPUTE_PGM_RSRC2:TGID_Y_EN: 0
; COMPUTE_PGM_RSRC2:TGID_Z_EN: 0
; COMPUTE_PGM_RSRC2:TIDIG_COMP_CNT: 0
	.section	.text._ZN7rocprim17ROCPRIM_400000_NS6detail17trampoline_kernelINS0_14default_configENS1_27scan_by_key_config_selectorIjjEEZZNS1_16scan_by_key_implILNS1_25lookback_scan_determinismE0ELb0ES3_N6thrust23THRUST_200600_302600_NS6detail15normal_iteratorINS9_10device_ptrIjEEEESE_SE_jNS9_4plusIvEENS9_8equal_toIvEEjEE10hipError_tPvRmT2_T3_T4_T5_mT6_T7_P12ihipStream_tbENKUlT_T0_E_clISt17integral_constantIbLb0EESY_IbLb1EEEEDaSU_SV_EUlSU_E_NS1_11comp_targetILNS1_3genE3ELNS1_11target_archE908ELNS1_3gpuE7ELNS1_3repE0EEENS1_30default_config_static_selectorELNS0_4arch9wavefront6targetE0EEEvT1_,"axG",@progbits,_ZN7rocprim17ROCPRIM_400000_NS6detail17trampoline_kernelINS0_14default_configENS1_27scan_by_key_config_selectorIjjEEZZNS1_16scan_by_key_implILNS1_25lookback_scan_determinismE0ELb0ES3_N6thrust23THRUST_200600_302600_NS6detail15normal_iteratorINS9_10device_ptrIjEEEESE_SE_jNS9_4plusIvEENS9_8equal_toIvEEjEE10hipError_tPvRmT2_T3_T4_T5_mT6_T7_P12ihipStream_tbENKUlT_T0_E_clISt17integral_constantIbLb0EESY_IbLb1EEEEDaSU_SV_EUlSU_E_NS1_11comp_targetILNS1_3genE3ELNS1_11target_archE908ELNS1_3gpuE7ELNS1_3repE0EEENS1_30default_config_static_selectorELNS0_4arch9wavefront6targetE0EEEvT1_,comdat
	.protected	_ZN7rocprim17ROCPRIM_400000_NS6detail17trampoline_kernelINS0_14default_configENS1_27scan_by_key_config_selectorIjjEEZZNS1_16scan_by_key_implILNS1_25lookback_scan_determinismE0ELb0ES3_N6thrust23THRUST_200600_302600_NS6detail15normal_iteratorINS9_10device_ptrIjEEEESE_SE_jNS9_4plusIvEENS9_8equal_toIvEEjEE10hipError_tPvRmT2_T3_T4_T5_mT6_T7_P12ihipStream_tbENKUlT_T0_E_clISt17integral_constantIbLb0EESY_IbLb1EEEEDaSU_SV_EUlSU_E_NS1_11comp_targetILNS1_3genE3ELNS1_11target_archE908ELNS1_3gpuE7ELNS1_3repE0EEENS1_30default_config_static_selectorELNS0_4arch9wavefront6targetE0EEEvT1_ ; -- Begin function _ZN7rocprim17ROCPRIM_400000_NS6detail17trampoline_kernelINS0_14default_configENS1_27scan_by_key_config_selectorIjjEEZZNS1_16scan_by_key_implILNS1_25lookback_scan_determinismE0ELb0ES3_N6thrust23THRUST_200600_302600_NS6detail15normal_iteratorINS9_10device_ptrIjEEEESE_SE_jNS9_4plusIvEENS9_8equal_toIvEEjEE10hipError_tPvRmT2_T3_T4_T5_mT6_T7_P12ihipStream_tbENKUlT_T0_E_clISt17integral_constantIbLb0EESY_IbLb1EEEEDaSU_SV_EUlSU_E_NS1_11comp_targetILNS1_3genE3ELNS1_11target_archE908ELNS1_3gpuE7ELNS1_3repE0EEENS1_30default_config_static_selectorELNS0_4arch9wavefront6targetE0EEEvT1_
	.globl	_ZN7rocprim17ROCPRIM_400000_NS6detail17trampoline_kernelINS0_14default_configENS1_27scan_by_key_config_selectorIjjEEZZNS1_16scan_by_key_implILNS1_25lookback_scan_determinismE0ELb0ES3_N6thrust23THRUST_200600_302600_NS6detail15normal_iteratorINS9_10device_ptrIjEEEESE_SE_jNS9_4plusIvEENS9_8equal_toIvEEjEE10hipError_tPvRmT2_T3_T4_T5_mT6_T7_P12ihipStream_tbENKUlT_T0_E_clISt17integral_constantIbLb0EESY_IbLb1EEEEDaSU_SV_EUlSU_E_NS1_11comp_targetILNS1_3genE3ELNS1_11target_archE908ELNS1_3gpuE7ELNS1_3repE0EEENS1_30default_config_static_selectorELNS0_4arch9wavefront6targetE0EEEvT1_
	.p2align	8
	.type	_ZN7rocprim17ROCPRIM_400000_NS6detail17trampoline_kernelINS0_14default_configENS1_27scan_by_key_config_selectorIjjEEZZNS1_16scan_by_key_implILNS1_25lookback_scan_determinismE0ELb0ES3_N6thrust23THRUST_200600_302600_NS6detail15normal_iteratorINS9_10device_ptrIjEEEESE_SE_jNS9_4plusIvEENS9_8equal_toIvEEjEE10hipError_tPvRmT2_T3_T4_T5_mT6_T7_P12ihipStream_tbENKUlT_T0_E_clISt17integral_constantIbLb0EESY_IbLb1EEEEDaSU_SV_EUlSU_E_NS1_11comp_targetILNS1_3genE3ELNS1_11target_archE908ELNS1_3gpuE7ELNS1_3repE0EEENS1_30default_config_static_selectorELNS0_4arch9wavefront6targetE0EEEvT1_,@function
_ZN7rocprim17ROCPRIM_400000_NS6detail17trampoline_kernelINS0_14default_configENS1_27scan_by_key_config_selectorIjjEEZZNS1_16scan_by_key_implILNS1_25lookback_scan_determinismE0ELb0ES3_N6thrust23THRUST_200600_302600_NS6detail15normal_iteratorINS9_10device_ptrIjEEEESE_SE_jNS9_4plusIvEENS9_8equal_toIvEEjEE10hipError_tPvRmT2_T3_T4_T5_mT6_T7_P12ihipStream_tbENKUlT_T0_E_clISt17integral_constantIbLb0EESY_IbLb1EEEEDaSU_SV_EUlSU_E_NS1_11comp_targetILNS1_3genE3ELNS1_11target_archE908ELNS1_3gpuE7ELNS1_3repE0EEENS1_30default_config_static_selectorELNS0_4arch9wavefront6targetE0EEEvT1_: ; @_ZN7rocprim17ROCPRIM_400000_NS6detail17trampoline_kernelINS0_14default_configENS1_27scan_by_key_config_selectorIjjEEZZNS1_16scan_by_key_implILNS1_25lookback_scan_determinismE0ELb0ES3_N6thrust23THRUST_200600_302600_NS6detail15normal_iteratorINS9_10device_ptrIjEEEESE_SE_jNS9_4plusIvEENS9_8equal_toIvEEjEE10hipError_tPvRmT2_T3_T4_T5_mT6_T7_P12ihipStream_tbENKUlT_T0_E_clISt17integral_constantIbLb0EESY_IbLb1EEEEDaSU_SV_EUlSU_E_NS1_11comp_targetILNS1_3genE3ELNS1_11target_archE908ELNS1_3gpuE7ELNS1_3repE0EEENS1_30default_config_static_selectorELNS0_4arch9wavefront6targetE0EEEvT1_
; %bb.0:
	.section	.rodata,"a",@progbits
	.p2align	6, 0x0
	.amdhsa_kernel _ZN7rocprim17ROCPRIM_400000_NS6detail17trampoline_kernelINS0_14default_configENS1_27scan_by_key_config_selectorIjjEEZZNS1_16scan_by_key_implILNS1_25lookback_scan_determinismE0ELb0ES3_N6thrust23THRUST_200600_302600_NS6detail15normal_iteratorINS9_10device_ptrIjEEEESE_SE_jNS9_4plusIvEENS9_8equal_toIvEEjEE10hipError_tPvRmT2_T3_T4_T5_mT6_T7_P12ihipStream_tbENKUlT_T0_E_clISt17integral_constantIbLb0EESY_IbLb1EEEEDaSU_SV_EUlSU_E_NS1_11comp_targetILNS1_3genE3ELNS1_11target_archE908ELNS1_3gpuE7ELNS1_3repE0EEENS1_30default_config_static_selectorELNS0_4arch9wavefront6targetE0EEEvT1_
		.amdhsa_group_segment_fixed_size 0
		.amdhsa_private_segment_fixed_size 0
		.amdhsa_kernarg_size 112
		.amdhsa_user_sgpr_count 2
		.amdhsa_user_sgpr_dispatch_ptr 0
		.amdhsa_user_sgpr_queue_ptr 0
		.amdhsa_user_sgpr_kernarg_segment_ptr 1
		.amdhsa_user_sgpr_dispatch_id 0
		.amdhsa_user_sgpr_kernarg_preload_length 0
		.amdhsa_user_sgpr_kernarg_preload_offset 0
		.amdhsa_user_sgpr_private_segment_size 0
		.amdhsa_wavefront_size32 1
		.amdhsa_uses_dynamic_stack 0
		.amdhsa_enable_private_segment 0
		.amdhsa_system_sgpr_workgroup_id_x 1
		.amdhsa_system_sgpr_workgroup_id_y 0
		.amdhsa_system_sgpr_workgroup_id_z 0
		.amdhsa_system_sgpr_workgroup_info 0
		.amdhsa_system_vgpr_workitem_id 0
		.amdhsa_next_free_vgpr 1
		.amdhsa_next_free_sgpr 1
		.amdhsa_named_barrier_count 0
		.amdhsa_reserve_vcc 0
		.amdhsa_float_round_mode_32 0
		.amdhsa_float_round_mode_16_64 0
		.amdhsa_float_denorm_mode_32 3
		.amdhsa_float_denorm_mode_16_64 3
		.amdhsa_fp16_overflow 0
		.amdhsa_memory_ordered 1
		.amdhsa_forward_progress 1
		.amdhsa_inst_pref_size 0
		.amdhsa_round_robin_scheduling 0
		.amdhsa_exception_fp_ieee_invalid_op 0
		.amdhsa_exception_fp_denorm_src 0
		.amdhsa_exception_fp_ieee_div_zero 0
		.amdhsa_exception_fp_ieee_overflow 0
		.amdhsa_exception_fp_ieee_underflow 0
		.amdhsa_exception_fp_ieee_inexact 0
		.amdhsa_exception_int_div_zero 0
	.end_amdhsa_kernel
	.section	.text._ZN7rocprim17ROCPRIM_400000_NS6detail17trampoline_kernelINS0_14default_configENS1_27scan_by_key_config_selectorIjjEEZZNS1_16scan_by_key_implILNS1_25lookback_scan_determinismE0ELb0ES3_N6thrust23THRUST_200600_302600_NS6detail15normal_iteratorINS9_10device_ptrIjEEEESE_SE_jNS9_4plusIvEENS9_8equal_toIvEEjEE10hipError_tPvRmT2_T3_T4_T5_mT6_T7_P12ihipStream_tbENKUlT_T0_E_clISt17integral_constantIbLb0EESY_IbLb1EEEEDaSU_SV_EUlSU_E_NS1_11comp_targetILNS1_3genE3ELNS1_11target_archE908ELNS1_3gpuE7ELNS1_3repE0EEENS1_30default_config_static_selectorELNS0_4arch9wavefront6targetE0EEEvT1_,"axG",@progbits,_ZN7rocprim17ROCPRIM_400000_NS6detail17trampoline_kernelINS0_14default_configENS1_27scan_by_key_config_selectorIjjEEZZNS1_16scan_by_key_implILNS1_25lookback_scan_determinismE0ELb0ES3_N6thrust23THRUST_200600_302600_NS6detail15normal_iteratorINS9_10device_ptrIjEEEESE_SE_jNS9_4plusIvEENS9_8equal_toIvEEjEE10hipError_tPvRmT2_T3_T4_T5_mT6_T7_P12ihipStream_tbENKUlT_T0_E_clISt17integral_constantIbLb0EESY_IbLb1EEEEDaSU_SV_EUlSU_E_NS1_11comp_targetILNS1_3genE3ELNS1_11target_archE908ELNS1_3gpuE7ELNS1_3repE0EEENS1_30default_config_static_selectorELNS0_4arch9wavefront6targetE0EEEvT1_,comdat
.Lfunc_end1860:
	.size	_ZN7rocprim17ROCPRIM_400000_NS6detail17trampoline_kernelINS0_14default_configENS1_27scan_by_key_config_selectorIjjEEZZNS1_16scan_by_key_implILNS1_25lookback_scan_determinismE0ELb0ES3_N6thrust23THRUST_200600_302600_NS6detail15normal_iteratorINS9_10device_ptrIjEEEESE_SE_jNS9_4plusIvEENS9_8equal_toIvEEjEE10hipError_tPvRmT2_T3_T4_T5_mT6_T7_P12ihipStream_tbENKUlT_T0_E_clISt17integral_constantIbLb0EESY_IbLb1EEEEDaSU_SV_EUlSU_E_NS1_11comp_targetILNS1_3genE3ELNS1_11target_archE908ELNS1_3gpuE7ELNS1_3repE0EEENS1_30default_config_static_selectorELNS0_4arch9wavefront6targetE0EEEvT1_, .Lfunc_end1860-_ZN7rocprim17ROCPRIM_400000_NS6detail17trampoline_kernelINS0_14default_configENS1_27scan_by_key_config_selectorIjjEEZZNS1_16scan_by_key_implILNS1_25lookback_scan_determinismE0ELb0ES3_N6thrust23THRUST_200600_302600_NS6detail15normal_iteratorINS9_10device_ptrIjEEEESE_SE_jNS9_4plusIvEENS9_8equal_toIvEEjEE10hipError_tPvRmT2_T3_T4_T5_mT6_T7_P12ihipStream_tbENKUlT_T0_E_clISt17integral_constantIbLb0EESY_IbLb1EEEEDaSU_SV_EUlSU_E_NS1_11comp_targetILNS1_3genE3ELNS1_11target_archE908ELNS1_3gpuE7ELNS1_3repE0EEENS1_30default_config_static_selectorELNS0_4arch9wavefront6targetE0EEEvT1_
                                        ; -- End function
	.set _ZN7rocprim17ROCPRIM_400000_NS6detail17trampoline_kernelINS0_14default_configENS1_27scan_by_key_config_selectorIjjEEZZNS1_16scan_by_key_implILNS1_25lookback_scan_determinismE0ELb0ES3_N6thrust23THRUST_200600_302600_NS6detail15normal_iteratorINS9_10device_ptrIjEEEESE_SE_jNS9_4plusIvEENS9_8equal_toIvEEjEE10hipError_tPvRmT2_T3_T4_T5_mT6_T7_P12ihipStream_tbENKUlT_T0_E_clISt17integral_constantIbLb0EESY_IbLb1EEEEDaSU_SV_EUlSU_E_NS1_11comp_targetILNS1_3genE3ELNS1_11target_archE908ELNS1_3gpuE7ELNS1_3repE0EEENS1_30default_config_static_selectorELNS0_4arch9wavefront6targetE0EEEvT1_.num_vgpr, 0
	.set _ZN7rocprim17ROCPRIM_400000_NS6detail17trampoline_kernelINS0_14default_configENS1_27scan_by_key_config_selectorIjjEEZZNS1_16scan_by_key_implILNS1_25lookback_scan_determinismE0ELb0ES3_N6thrust23THRUST_200600_302600_NS6detail15normal_iteratorINS9_10device_ptrIjEEEESE_SE_jNS9_4plusIvEENS9_8equal_toIvEEjEE10hipError_tPvRmT2_T3_T4_T5_mT6_T7_P12ihipStream_tbENKUlT_T0_E_clISt17integral_constantIbLb0EESY_IbLb1EEEEDaSU_SV_EUlSU_E_NS1_11comp_targetILNS1_3genE3ELNS1_11target_archE908ELNS1_3gpuE7ELNS1_3repE0EEENS1_30default_config_static_selectorELNS0_4arch9wavefront6targetE0EEEvT1_.num_agpr, 0
	.set _ZN7rocprim17ROCPRIM_400000_NS6detail17trampoline_kernelINS0_14default_configENS1_27scan_by_key_config_selectorIjjEEZZNS1_16scan_by_key_implILNS1_25lookback_scan_determinismE0ELb0ES3_N6thrust23THRUST_200600_302600_NS6detail15normal_iteratorINS9_10device_ptrIjEEEESE_SE_jNS9_4plusIvEENS9_8equal_toIvEEjEE10hipError_tPvRmT2_T3_T4_T5_mT6_T7_P12ihipStream_tbENKUlT_T0_E_clISt17integral_constantIbLb0EESY_IbLb1EEEEDaSU_SV_EUlSU_E_NS1_11comp_targetILNS1_3genE3ELNS1_11target_archE908ELNS1_3gpuE7ELNS1_3repE0EEENS1_30default_config_static_selectorELNS0_4arch9wavefront6targetE0EEEvT1_.numbered_sgpr, 0
	.set _ZN7rocprim17ROCPRIM_400000_NS6detail17trampoline_kernelINS0_14default_configENS1_27scan_by_key_config_selectorIjjEEZZNS1_16scan_by_key_implILNS1_25lookback_scan_determinismE0ELb0ES3_N6thrust23THRUST_200600_302600_NS6detail15normal_iteratorINS9_10device_ptrIjEEEESE_SE_jNS9_4plusIvEENS9_8equal_toIvEEjEE10hipError_tPvRmT2_T3_T4_T5_mT6_T7_P12ihipStream_tbENKUlT_T0_E_clISt17integral_constantIbLb0EESY_IbLb1EEEEDaSU_SV_EUlSU_E_NS1_11comp_targetILNS1_3genE3ELNS1_11target_archE908ELNS1_3gpuE7ELNS1_3repE0EEENS1_30default_config_static_selectorELNS0_4arch9wavefront6targetE0EEEvT1_.num_named_barrier, 0
	.set _ZN7rocprim17ROCPRIM_400000_NS6detail17trampoline_kernelINS0_14default_configENS1_27scan_by_key_config_selectorIjjEEZZNS1_16scan_by_key_implILNS1_25lookback_scan_determinismE0ELb0ES3_N6thrust23THRUST_200600_302600_NS6detail15normal_iteratorINS9_10device_ptrIjEEEESE_SE_jNS9_4plusIvEENS9_8equal_toIvEEjEE10hipError_tPvRmT2_T3_T4_T5_mT6_T7_P12ihipStream_tbENKUlT_T0_E_clISt17integral_constantIbLb0EESY_IbLb1EEEEDaSU_SV_EUlSU_E_NS1_11comp_targetILNS1_3genE3ELNS1_11target_archE908ELNS1_3gpuE7ELNS1_3repE0EEENS1_30default_config_static_selectorELNS0_4arch9wavefront6targetE0EEEvT1_.private_seg_size, 0
	.set _ZN7rocprim17ROCPRIM_400000_NS6detail17trampoline_kernelINS0_14default_configENS1_27scan_by_key_config_selectorIjjEEZZNS1_16scan_by_key_implILNS1_25lookback_scan_determinismE0ELb0ES3_N6thrust23THRUST_200600_302600_NS6detail15normal_iteratorINS9_10device_ptrIjEEEESE_SE_jNS9_4plusIvEENS9_8equal_toIvEEjEE10hipError_tPvRmT2_T3_T4_T5_mT6_T7_P12ihipStream_tbENKUlT_T0_E_clISt17integral_constantIbLb0EESY_IbLb1EEEEDaSU_SV_EUlSU_E_NS1_11comp_targetILNS1_3genE3ELNS1_11target_archE908ELNS1_3gpuE7ELNS1_3repE0EEENS1_30default_config_static_selectorELNS0_4arch9wavefront6targetE0EEEvT1_.uses_vcc, 0
	.set _ZN7rocprim17ROCPRIM_400000_NS6detail17trampoline_kernelINS0_14default_configENS1_27scan_by_key_config_selectorIjjEEZZNS1_16scan_by_key_implILNS1_25lookback_scan_determinismE0ELb0ES3_N6thrust23THRUST_200600_302600_NS6detail15normal_iteratorINS9_10device_ptrIjEEEESE_SE_jNS9_4plusIvEENS9_8equal_toIvEEjEE10hipError_tPvRmT2_T3_T4_T5_mT6_T7_P12ihipStream_tbENKUlT_T0_E_clISt17integral_constantIbLb0EESY_IbLb1EEEEDaSU_SV_EUlSU_E_NS1_11comp_targetILNS1_3genE3ELNS1_11target_archE908ELNS1_3gpuE7ELNS1_3repE0EEENS1_30default_config_static_selectorELNS0_4arch9wavefront6targetE0EEEvT1_.uses_flat_scratch, 0
	.set _ZN7rocprim17ROCPRIM_400000_NS6detail17trampoline_kernelINS0_14default_configENS1_27scan_by_key_config_selectorIjjEEZZNS1_16scan_by_key_implILNS1_25lookback_scan_determinismE0ELb0ES3_N6thrust23THRUST_200600_302600_NS6detail15normal_iteratorINS9_10device_ptrIjEEEESE_SE_jNS9_4plusIvEENS9_8equal_toIvEEjEE10hipError_tPvRmT2_T3_T4_T5_mT6_T7_P12ihipStream_tbENKUlT_T0_E_clISt17integral_constantIbLb0EESY_IbLb1EEEEDaSU_SV_EUlSU_E_NS1_11comp_targetILNS1_3genE3ELNS1_11target_archE908ELNS1_3gpuE7ELNS1_3repE0EEENS1_30default_config_static_selectorELNS0_4arch9wavefront6targetE0EEEvT1_.has_dyn_sized_stack, 0
	.set _ZN7rocprim17ROCPRIM_400000_NS6detail17trampoline_kernelINS0_14default_configENS1_27scan_by_key_config_selectorIjjEEZZNS1_16scan_by_key_implILNS1_25lookback_scan_determinismE0ELb0ES3_N6thrust23THRUST_200600_302600_NS6detail15normal_iteratorINS9_10device_ptrIjEEEESE_SE_jNS9_4plusIvEENS9_8equal_toIvEEjEE10hipError_tPvRmT2_T3_T4_T5_mT6_T7_P12ihipStream_tbENKUlT_T0_E_clISt17integral_constantIbLb0EESY_IbLb1EEEEDaSU_SV_EUlSU_E_NS1_11comp_targetILNS1_3genE3ELNS1_11target_archE908ELNS1_3gpuE7ELNS1_3repE0EEENS1_30default_config_static_selectorELNS0_4arch9wavefront6targetE0EEEvT1_.has_recursion, 0
	.set _ZN7rocprim17ROCPRIM_400000_NS6detail17trampoline_kernelINS0_14default_configENS1_27scan_by_key_config_selectorIjjEEZZNS1_16scan_by_key_implILNS1_25lookback_scan_determinismE0ELb0ES3_N6thrust23THRUST_200600_302600_NS6detail15normal_iteratorINS9_10device_ptrIjEEEESE_SE_jNS9_4plusIvEENS9_8equal_toIvEEjEE10hipError_tPvRmT2_T3_T4_T5_mT6_T7_P12ihipStream_tbENKUlT_T0_E_clISt17integral_constantIbLb0EESY_IbLb1EEEEDaSU_SV_EUlSU_E_NS1_11comp_targetILNS1_3genE3ELNS1_11target_archE908ELNS1_3gpuE7ELNS1_3repE0EEENS1_30default_config_static_selectorELNS0_4arch9wavefront6targetE0EEEvT1_.has_indirect_call, 0
	.section	.AMDGPU.csdata,"",@progbits
; Kernel info:
; codeLenInByte = 0
; TotalNumSgprs: 0
; NumVgprs: 0
; ScratchSize: 0
; MemoryBound: 0
; FloatMode: 240
; IeeeMode: 1
; LDSByteSize: 0 bytes/workgroup (compile time only)
; SGPRBlocks: 0
; VGPRBlocks: 0
; NumSGPRsForWavesPerEU: 1
; NumVGPRsForWavesPerEU: 1
; NamedBarCnt: 0
; Occupancy: 16
; WaveLimiterHint : 0
; COMPUTE_PGM_RSRC2:SCRATCH_EN: 0
; COMPUTE_PGM_RSRC2:USER_SGPR: 2
; COMPUTE_PGM_RSRC2:TRAP_HANDLER: 0
; COMPUTE_PGM_RSRC2:TGID_X_EN: 1
; COMPUTE_PGM_RSRC2:TGID_Y_EN: 0
; COMPUTE_PGM_RSRC2:TGID_Z_EN: 0
; COMPUTE_PGM_RSRC2:TIDIG_COMP_CNT: 0
	.section	.text._ZN7rocprim17ROCPRIM_400000_NS6detail17trampoline_kernelINS0_14default_configENS1_27scan_by_key_config_selectorIjjEEZZNS1_16scan_by_key_implILNS1_25lookback_scan_determinismE0ELb0ES3_N6thrust23THRUST_200600_302600_NS6detail15normal_iteratorINS9_10device_ptrIjEEEESE_SE_jNS9_4plusIvEENS9_8equal_toIvEEjEE10hipError_tPvRmT2_T3_T4_T5_mT6_T7_P12ihipStream_tbENKUlT_T0_E_clISt17integral_constantIbLb0EESY_IbLb1EEEEDaSU_SV_EUlSU_E_NS1_11comp_targetILNS1_3genE2ELNS1_11target_archE906ELNS1_3gpuE6ELNS1_3repE0EEENS1_30default_config_static_selectorELNS0_4arch9wavefront6targetE0EEEvT1_,"axG",@progbits,_ZN7rocprim17ROCPRIM_400000_NS6detail17trampoline_kernelINS0_14default_configENS1_27scan_by_key_config_selectorIjjEEZZNS1_16scan_by_key_implILNS1_25lookback_scan_determinismE0ELb0ES3_N6thrust23THRUST_200600_302600_NS6detail15normal_iteratorINS9_10device_ptrIjEEEESE_SE_jNS9_4plusIvEENS9_8equal_toIvEEjEE10hipError_tPvRmT2_T3_T4_T5_mT6_T7_P12ihipStream_tbENKUlT_T0_E_clISt17integral_constantIbLb0EESY_IbLb1EEEEDaSU_SV_EUlSU_E_NS1_11comp_targetILNS1_3genE2ELNS1_11target_archE906ELNS1_3gpuE6ELNS1_3repE0EEENS1_30default_config_static_selectorELNS0_4arch9wavefront6targetE0EEEvT1_,comdat
	.protected	_ZN7rocprim17ROCPRIM_400000_NS6detail17trampoline_kernelINS0_14default_configENS1_27scan_by_key_config_selectorIjjEEZZNS1_16scan_by_key_implILNS1_25lookback_scan_determinismE0ELb0ES3_N6thrust23THRUST_200600_302600_NS6detail15normal_iteratorINS9_10device_ptrIjEEEESE_SE_jNS9_4plusIvEENS9_8equal_toIvEEjEE10hipError_tPvRmT2_T3_T4_T5_mT6_T7_P12ihipStream_tbENKUlT_T0_E_clISt17integral_constantIbLb0EESY_IbLb1EEEEDaSU_SV_EUlSU_E_NS1_11comp_targetILNS1_3genE2ELNS1_11target_archE906ELNS1_3gpuE6ELNS1_3repE0EEENS1_30default_config_static_selectorELNS0_4arch9wavefront6targetE0EEEvT1_ ; -- Begin function _ZN7rocprim17ROCPRIM_400000_NS6detail17trampoline_kernelINS0_14default_configENS1_27scan_by_key_config_selectorIjjEEZZNS1_16scan_by_key_implILNS1_25lookback_scan_determinismE0ELb0ES3_N6thrust23THRUST_200600_302600_NS6detail15normal_iteratorINS9_10device_ptrIjEEEESE_SE_jNS9_4plusIvEENS9_8equal_toIvEEjEE10hipError_tPvRmT2_T3_T4_T5_mT6_T7_P12ihipStream_tbENKUlT_T0_E_clISt17integral_constantIbLb0EESY_IbLb1EEEEDaSU_SV_EUlSU_E_NS1_11comp_targetILNS1_3genE2ELNS1_11target_archE906ELNS1_3gpuE6ELNS1_3repE0EEENS1_30default_config_static_selectorELNS0_4arch9wavefront6targetE0EEEvT1_
	.globl	_ZN7rocprim17ROCPRIM_400000_NS6detail17trampoline_kernelINS0_14default_configENS1_27scan_by_key_config_selectorIjjEEZZNS1_16scan_by_key_implILNS1_25lookback_scan_determinismE0ELb0ES3_N6thrust23THRUST_200600_302600_NS6detail15normal_iteratorINS9_10device_ptrIjEEEESE_SE_jNS9_4plusIvEENS9_8equal_toIvEEjEE10hipError_tPvRmT2_T3_T4_T5_mT6_T7_P12ihipStream_tbENKUlT_T0_E_clISt17integral_constantIbLb0EESY_IbLb1EEEEDaSU_SV_EUlSU_E_NS1_11comp_targetILNS1_3genE2ELNS1_11target_archE906ELNS1_3gpuE6ELNS1_3repE0EEENS1_30default_config_static_selectorELNS0_4arch9wavefront6targetE0EEEvT1_
	.p2align	8
	.type	_ZN7rocprim17ROCPRIM_400000_NS6detail17trampoline_kernelINS0_14default_configENS1_27scan_by_key_config_selectorIjjEEZZNS1_16scan_by_key_implILNS1_25lookback_scan_determinismE0ELb0ES3_N6thrust23THRUST_200600_302600_NS6detail15normal_iteratorINS9_10device_ptrIjEEEESE_SE_jNS9_4plusIvEENS9_8equal_toIvEEjEE10hipError_tPvRmT2_T3_T4_T5_mT6_T7_P12ihipStream_tbENKUlT_T0_E_clISt17integral_constantIbLb0EESY_IbLb1EEEEDaSU_SV_EUlSU_E_NS1_11comp_targetILNS1_3genE2ELNS1_11target_archE906ELNS1_3gpuE6ELNS1_3repE0EEENS1_30default_config_static_selectorELNS0_4arch9wavefront6targetE0EEEvT1_,@function
_ZN7rocprim17ROCPRIM_400000_NS6detail17trampoline_kernelINS0_14default_configENS1_27scan_by_key_config_selectorIjjEEZZNS1_16scan_by_key_implILNS1_25lookback_scan_determinismE0ELb0ES3_N6thrust23THRUST_200600_302600_NS6detail15normal_iteratorINS9_10device_ptrIjEEEESE_SE_jNS9_4plusIvEENS9_8equal_toIvEEjEE10hipError_tPvRmT2_T3_T4_T5_mT6_T7_P12ihipStream_tbENKUlT_T0_E_clISt17integral_constantIbLb0EESY_IbLb1EEEEDaSU_SV_EUlSU_E_NS1_11comp_targetILNS1_3genE2ELNS1_11target_archE906ELNS1_3gpuE6ELNS1_3repE0EEENS1_30default_config_static_selectorELNS0_4arch9wavefront6targetE0EEEvT1_: ; @_ZN7rocprim17ROCPRIM_400000_NS6detail17trampoline_kernelINS0_14default_configENS1_27scan_by_key_config_selectorIjjEEZZNS1_16scan_by_key_implILNS1_25lookback_scan_determinismE0ELb0ES3_N6thrust23THRUST_200600_302600_NS6detail15normal_iteratorINS9_10device_ptrIjEEEESE_SE_jNS9_4plusIvEENS9_8equal_toIvEEjEE10hipError_tPvRmT2_T3_T4_T5_mT6_T7_P12ihipStream_tbENKUlT_T0_E_clISt17integral_constantIbLb0EESY_IbLb1EEEEDaSU_SV_EUlSU_E_NS1_11comp_targetILNS1_3genE2ELNS1_11target_archE906ELNS1_3gpuE6ELNS1_3repE0EEENS1_30default_config_static_selectorELNS0_4arch9wavefront6targetE0EEEvT1_
; %bb.0:
	.section	.rodata,"a",@progbits
	.p2align	6, 0x0
	.amdhsa_kernel _ZN7rocprim17ROCPRIM_400000_NS6detail17trampoline_kernelINS0_14default_configENS1_27scan_by_key_config_selectorIjjEEZZNS1_16scan_by_key_implILNS1_25lookback_scan_determinismE0ELb0ES3_N6thrust23THRUST_200600_302600_NS6detail15normal_iteratorINS9_10device_ptrIjEEEESE_SE_jNS9_4plusIvEENS9_8equal_toIvEEjEE10hipError_tPvRmT2_T3_T4_T5_mT6_T7_P12ihipStream_tbENKUlT_T0_E_clISt17integral_constantIbLb0EESY_IbLb1EEEEDaSU_SV_EUlSU_E_NS1_11comp_targetILNS1_3genE2ELNS1_11target_archE906ELNS1_3gpuE6ELNS1_3repE0EEENS1_30default_config_static_selectorELNS0_4arch9wavefront6targetE0EEEvT1_
		.amdhsa_group_segment_fixed_size 0
		.amdhsa_private_segment_fixed_size 0
		.amdhsa_kernarg_size 112
		.amdhsa_user_sgpr_count 2
		.amdhsa_user_sgpr_dispatch_ptr 0
		.amdhsa_user_sgpr_queue_ptr 0
		.amdhsa_user_sgpr_kernarg_segment_ptr 1
		.amdhsa_user_sgpr_dispatch_id 0
		.amdhsa_user_sgpr_kernarg_preload_length 0
		.amdhsa_user_sgpr_kernarg_preload_offset 0
		.amdhsa_user_sgpr_private_segment_size 0
		.amdhsa_wavefront_size32 1
		.amdhsa_uses_dynamic_stack 0
		.amdhsa_enable_private_segment 0
		.amdhsa_system_sgpr_workgroup_id_x 1
		.amdhsa_system_sgpr_workgroup_id_y 0
		.amdhsa_system_sgpr_workgroup_id_z 0
		.amdhsa_system_sgpr_workgroup_info 0
		.amdhsa_system_vgpr_workitem_id 0
		.amdhsa_next_free_vgpr 1
		.amdhsa_next_free_sgpr 1
		.amdhsa_named_barrier_count 0
		.amdhsa_reserve_vcc 0
		.amdhsa_float_round_mode_32 0
		.amdhsa_float_round_mode_16_64 0
		.amdhsa_float_denorm_mode_32 3
		.amdhsa_float_denorm_mode_16_64 3
		.amdhsa_fp16_overflow 0
		.amdhsa_memory_ordered 1
		.amdhsa_forward_progress 1
		.amdhsa_inst_pref_size 0
		.amdhsa_round_robin_scheduling 0
		.amdhsa_exception_fp_ieee_invalid_op 0
		.amdhsa_exception_fp_denorm_src 0
		.amdhsa_exception_fp_ieee_div_zero 0
		.amdhsa_exception_fp_ieee_overflow 0
		.amdhsa_exception_fp_ieee_underflow 0
		.amdhsa_exception_fp_ieee_inexact 0
		.amdhsa_exception_int_div_zero 0
	.end_amdhsa_kernel
	.section	.text._ZN7rocprim17ROCPRIM_400000_NS6detail17trampoline_kernelINS0_14default_configENS1_27scan_by_key_config_selectorIjjEEZZNS1_16scan_by_key_implILNS1_25lookback_scan_determinismE0ELb0ES3_N6thrust23THRUST_200600_302600_NS6detail15normal_iteratorINS9_10device_ptrIjEEEESE_SE_jNS9_4plusIvEENS9_8equal_toIvEEjEE10hipError_tPvRmT2_T3_T4_T5_mT6_T7_P12ihipStream_tbENKUlT_T0_E_clISt17integral_constantIbLb0EESY_IbLb1EEEEDaSU_SV_EUlSU_E_NS1_11comp_targetILNS1_3genE2ELNS1_11target_archE906ELNS1_3gpuE6ELNS1_3repE0EEENS1_30default_config_static_selectorELNS0_4arch9wavefront6targetE0EEEvT1_,"axG",@progbits,_ZN7rocprim17ROCPRIM_400000_NS6detail17trampoline_kernelINS0_14default_configENS1_27scan_by_key_config_selectorIjjEEZZNS1_16scan_by_key_implILNS1_25lookback_scan_determinismE0ELb0ES3_N6thrust23THRUST_200600_302600_NS6detail15normal_iteratorINS9_10device_ptrIjEEEESE_SE_jNS9_4plusIvEENS9_8equal_toIvEEjEE10hipError_tPvRmT2_T3_T4_T5_mT6_T7_P12ihipStream_tbENKUlT_T0_E_clISt17integral_constantIbLb0EESY_IbLb1EEEEDaSU_SV_EUlSU_E_NS1_11comp_targetILNS1_3genE2ELNS1_11target_archE906ELNS1_3gpuE6ELNS1_3repE0EEENS1_30default_config_static_selectorELNS0_4arch9wavefront6targetE0EEEvT1_,comdat
.Lfunc_end1861:
	.size	_ZN7rocprim17ROCPRIM_400000_NS6detail17trampoline_kernelINS0_14default_configENS1_27scan_by_key_config_selectorIjjEEZZNS1_16scan_by_key_implILNS1_25lookback_scan_determinismE0ELb0ES3_N6thrust23THRUST_200600_302600_NS6detail15normal_iteratorINS9_10device_ptrIjEEEESE_SE_jNS9_4plusIvEENS9_8equal_toIvEEjEE10hipError_tPvRmT2_T3_T4_T5_mT6_T7_P12ihipStream_tbENKUlT_T0_E_clISt17integral_constantIbLb0EESY_IbLb1EEEEDaSU_SV_EUlSU_E_NS1_11comp_targetILNS1_3genE2ELNS1_11target_archE906ELNS1_3gpuE6ELNS1_3repE0EEENS1_30default_config_static_selectorELNS0_4arch9wavefront6targetE0EEEvT1_, .Lfunc_end1861-_ZN7rocprim17ROCPRIM_400000_NS6detail17trampoline_kernelINS0_14default_configENS1_27scan_by_key_config_selectorIjjEEZZNS1_16scan_by_key_implILNS1_25lookback_scan_determinismE0ELb0ES3_N6thrust23THRUST_200600_302600_NS6detail15normal_iteratorINS9_10device_ptrIjEEEESE_SE_jNS9_4plusIvEENS9_8equal_toIvEEjEE10hipError_tPvRmT2_T3_T4_T5_mT6_T7_P12ihipStream_tbENKUlT_T0_E_clISt17integral_constantIbLb0EESY_IbLb1EEEEDaSU_SV_EUlSU_E_NS1_11comp_targetILNS1_3genE2ELNS1_11target_archE906ELNS1_3gpuE6ELNS1_3repE0EEENS1_30default_config_static_selectorELNS0_4arch9wavefront6targetE0EEEvT1_
                                        ; -- End function
	.set _ZN7rocprim17ROCPRIM_400000_NS6detail17trampoline_kernelINS0_14default_configENS1_27scan_by_key_config_selectorIjjEEZZNS1_16scan_by_key_implILNS1_25lookback_scan_determinismE0ELb0ES3_N6thrust23THRUST_200600_302600_NS6detail15normal_iteratorINS9_10device_ptrIjEEEESE_SE_jNS9_4plusIvEENS9_8equal_toIvEEjEE10hipError_tPvRmT2_T3_T4_T5_mT6_T7_P12ihipStream_tbENKUlT_T0_E_clISt17integral_constantIbLb0EESY_IbLb1EEEEDaSU_SV_EUlSU_E_NS1_11comp_targetILNS1_3genE2ELNS1_11target_archE906ELNS1_3gpuE6ELNS1_3repE0EEENS1_30default_config_static_selectorELNS0_4arch9wavefront6targetE0EEEvT1_.num_vgpr, 0
	.set _ZN7rocprim17ROCPRIM_400000_NS6detail17trampoline_kernelINS0_14default_configENS1_27scan_by_key_config_selectorIjjEEZZNS1_16scan_by_key_implILNS1_25lookback_scan_determinismE0ELb0ES3_N6thrust23THRUST_200600_302600_NS6detail15normal_iteratorINS9_10device_ptrIjEEEESE_SE_jNS9_4plusIvEENS9_8equal_toIvEEjEE10hipError_tPvRmT2_T3_T4_T5_mT6_T7_P12ihipStream_tbENKUlT_T0_E_clISt17integral_constantIbLb0EESY_IbLb1EEEEDaSU_SV_EUlSU_E_NS1_11comp_targetILNS1_3genE2ELNS1_11target_archE906ELNS1_3gpuE6ELNS1_3repE0EEENS1_30default_config_static_selectorELNS0_4arch9wavefront6targetE0EEEvT1_.num_agpr, 0
	.set _ZN7rocprim17ROCPRIM_400000_NS6detail17trampoline_kernelINS0_14default_configENS1_27scan_by_key_config_selectorIjjEEZZNS1_16scan_by_key_implILNS1_25lookback_scan_determinismE0ELb0ES3_N6thrust23THRUST_200600_302600_NS6detail15normal_iteratorINS9_10device_ptrIjEEEESE_SE_jNS9_4plusIvEENS9_8equal_toIvEEjEE10hipError_tPvRmT2_T3_T4_T5_mT6_T7_P12ihipStream_tbENKUlT_T0_E_clISt17integral_constantIbLb0EESY_IbLb1EEEEDaSU_SV_EUlSU_E_NS1_11comp_targetILNS1_3genE2ELNS1_11target_archE906ELNS1_3gpuE6ELNS1_3repE0EEENS1_30default_config_static_selectorELNS0_4arch9wavefront6targetE0EEEvT1_.numbered_sgpr, 0
	.set _ZN7rocprim17ROCPRIM_400000_NS6detail17trampoline_kernelINS0_14default_configENS1_27scan_by_key_config_selectorIjjEEZZNS1_16scan_by_key_implILNS1_25lookback_scan_determinismE0ELb0ES3_N6thrust23THRUST_200600_302600_NS6detail15normal_iteratorINS9_10device_ptrIjEEEESE_SE_jNS9_4plusIvEENS9_8equal_toIvEEjEE10hipError_tPvRmT2_T3_T4_T5_mT6_T7_P12ihipStream_tbENKUlT_T0_E_clISt17integral_constantIbLb0EESY_IbLb1EEEEDaSU_SV_EUlSU_E_NS1_11comp_targetILNS1_3genE2ELNS1_11target_archE906ELNS1_3gpuE6ELNS1_3repE0EEENS1_30default_config_static_selectorELNS0_4arch9wavefront6targetE0EEEvT1_.num_named_barrier, 0
	.set _ZN7rocprim17ROCPRIM_400000_NS6detail17trampoline_kernelINS0_14default_configENS1_27scan_by_key_config_selectorIjjEEZZNS1_16scan_by_key_implILNS1_25lookback_scan_determinismE0ELb0ES3_N6thrust23THRUST_200600_302600_NS6detail15normal_iteratorINS9_10device_ptrIjEEEESE_SE_jNS9_4plusIvEENS9_8equal_toIvEEjEE10hipError_tPvRmT2_T3_T4_T5_mT6_T7_P12ihipStream_tbENKUlT_T0_E_clISt17integral_constantIbLb0EESY_IbLb1EEEEDaSU_SV_EUlSU_E_NS1_11comp_targetILNS1_3genE2ELNS1_11target_archE906ELNS1_3gpuE6ELNS1_3repE0EEENS1_30default_config_static_selectorELNS0_4arch9wavefront6targetE0EEEvT1_.private_seg_size, 0
	.set _ZN7rocprim17ROCPRIM_400000_NS6detail17trampoline_kernelINS0_14default_configENS1_27scan_by_key_config_selectorIjjEEZZNS1_16scan_by_key_implILNS1_25lookback_scan_determinismE0ELb0ES3_N6thrust23THRUST_200600_302600_NS6detail15normal_iteratorINS9_10device_ptrIjEEEESE_SE_jNS9_4plusIvEENS9_8equal_toIvEEjEE10hipError_tPvRmT2_T3_T4_T5_mT6_T7_P12ihipStream_tbENKUlT_T0_E_clISt17integral_constantIbLb0EESY_IbLb1EEEEDaSU_SV_EUlSU_E_NS1_11comp_targetILNS1_3genE2ELNS1_11target_archE906ELNS1_3gpuE6ELNS1_3repE0EEENS1_30default_config_static_selectorELNS0_4arch9wavefront6targetE0EEEvT1_.uses_vcc, 0
	.set _ZN7rocprim17ROCPRIM_400000_NS6detail17trampoline_kernelINS0_14default_configENS1_27scan_by_key_config_selectorIjjEEZZNS1_16scan_by_key_implILNS1_25lookback_scan_determinismE0ELb0ES3_N6thrust23THRUST_200600_302600_NS6detail15normal_iteratorINS9_10device_ptrIjEEEESE_SE_jNS9_4plusIvEENS9_8equal_toIvEEjEE10hipError_tPvRmT2_T3_T4_T5_mT6_T7_P12ihipStream_tbENKUlT_T0_E_clISt17integral_constantIbLb0EESY_IbLb1EEEEDaSU_SV_EUlSU_E_NS1_11comp_targetILNS1_3genE2ELNS1_11target_archE906ELNS1_3gpuE6ELNS1_3repE0EEENS1_30default_config_static_selectorELNS0_4arch9wavefront6targetE0EEEvT1_.uses_flat_scratch, 0
	.set _ZN7rocprim17ROCPRIM_400000_NS6detail17trampoline_kernelINS0_14default_configENS1_27scan_by_key_config_selectorIjjEEZZNS1_16scan_by_key_implILNS1_25lookback_scan_determinismE0ELb0ES3_N6thrust23THRUST_200600_302600_NS6detail15normal_iteratorINS9_10device_ptrIjEEEESE_SE_jNS9_4plusIvEENS9_8equal_toIvEEjEE10hipError_tPvRmT2_T3_T4_T5_mT6_T7_P12ihipStream_tbENKUlT_T0_E_clISt17integral_constantIbLb0EESY_IbLb1EEEEDaSU_SV_EUlSU_E_NS1_11comp_targetILNS1_3genE2ELNS1_11target_archE906ELNS1_3gpuE6ELNS1_3repE0EEENS1_30default_config_static_selectorELNS0_4arch9wavefront6targetE0EEEvT1_.has_dyn_sized_stack, 0
	.set _ZN7rocprim17ROCPRIM_400000_NS6detail17trampoline_kernelINS0_14default_configENS1_27scan_by_key_config_selectorIjjEEZZNS1_16scan_by_key_implILNS1_25lookback_scan_determinismE0ELb0ES3_N6thrust23THRUST_200600_302600_NS6detail15normal_iteratorINS9_10device_ptrIjEEEESE_SE_jNS9_4plusIvEENS9_8equal_toIvEEjEE10hipError_tPvRmT2_T3_T4_T5_mT6_T7_P12ihipStream_tbENKUlT_T0_E_clISt17integral_constantIbLb0EESY_IbLb1EEEEDaSU_SV_EUlSU_E_NS1_11comp_targetILNS1_3genE2ELNS1_11target_archE906ELNS1_3gpuE6ELNS1_3repE0EEENS1_30default_config_static_selectorELNS0_4arch9wavefront6targetE0EEEvT1_.has_recursion, 0
	.set _ZN7rocprim17ROCPRIM_400000_NS6detail17trampoline_kernelINS0_14default_configENS1_27scan_by_key_config_selectorIjjEEZZNS1_16scan_by_key_implILNS1_25lookback_scan_determinismE0ELb0ES3_N6thrust23THRUST_200600_302600_NS6detail15normal_iteratorINS9_10device_ptrIjEEEESE_SE_jNS9_4plusIvEENS9_8equal_toIvEEjEE10hipError_tPvRmT2_T3_T4_T5_mT6_T7_P12ihipStream_tbENKUlT_T0_E_clISt17integral_constantIbLb0EESY_IbLb1EEEEDaSU_SV_EUlSU_E_NS1_11comp_targetILNS1_3genE2ELNS1_11target_archE906ELNS1_3gpuE6ELNS1_3repE0EEENS1_30default_config_static_selectorELNS0_4arch9wavefront6targetE0EEEvT1_.has_indirect_call, 0
	.section	.AMDGPU.csdata,"",@progbits
; Kernel info:
; codeLenInByte = 0
; TotalNumSgprs: 0
; NumVgprs: 0
; ScratchSize: 0
; MemoryBound: 0
; FloatMode: 240
; IeeeMode: 1
; LDSByteSize: 0 bytes/workgroup (compile time only)
; SGPRBlocks: 0
; VGPRBlocks: 0
; NumSGPRsForWavesPerEU: 1
; NumVGPRsForWavesPerEU: 1
; NamedBarCnt: 0
; Occupancy: 16
; WaveLimiterHint : 0
; COMPUTE_PGM_RSRC2:SCRATCH_EN: 0
; COMPUTE_PGM_RSRC2:USER_SGPR: 2
; COMPUTE_PGM_RSRC2:TRAP_HANDLER: 0
; COMPUTE_PGM_RSRC2:TGID_X_EN: 1
; COMPUTE_PGM_RSRC2:TGID_Y_EN: 0
; COMPUTE_PGM_RSRC2:TGID_Z_EN: 0
; COMPUTE_PGM_RSRC2:TIDIG_COMP_CNT: 0
	.section	.text._ZN7rocprim17ROCPRIM_400000_NS6detail17trampoline_kernelINS0_14default_configENS1_27scan_by_key_config_selectorIjjEEZZNS1_16scan_by_key_implILNS1_25lookback_scan_determinismE0ELb0ES3_N6thrust23THRUST_200600_302600_NS6detail15normal_iteratorINS9_10device_ptrIjEEEESE_SE_jNS9_4plusIvEENS9_8equal_toIvEEjEE10hipError_tPvRmT2_T3_T4_T5_mT6_T7_P12ihipStream_tbENKUlT_T0_E_clISt17integral_constantIbLb0EESY_IbLb1EEEEDaSU_SV_EUlSU_E_NS1_11comp_targetILNS1_3genE10ELNS1_11target_archE1200ELNS1_3gpuE4ELNS1_3repE0EEENS1_30default_config_static_selectorELNS0_4arch9wavefront6targetE0EEEvT1_,"axG",@progbits,_ZN7rocprim17ROCPRIM_400000_NS6detail17trampoline_kernelINS0_14default_configENS1_27scan_by_key_config_selectorIjjEEZZNS1_16scan_by_key_implILNS1_25lookback_scan_determinismE0ELb0ES3_N6thrust23THRUST_200600_302600_NS6detail15normal_iteratorINS9_10device_ptrIjEEEESE_SE_jNS9_4plusIvEENS9_8equal_toIvEEjEE10hipError_tPvRmT2_T3_T4_T5_mT6_T7_P12ihipStream_tbENKUlT_T0_E_clISt17integral_constantIbLb0EESY_IbLb1EEEEDaSU_SV_EUlSU_E_NS1_11comp_targetILNS1_3genE10ELNS1_11target_archE1200ELNS1_3gpuE4ELNS1_3repE0EEENS1_30default_config_static_selectorELNS0_4arch9wavefront6targetE0EEEvT1_,comdat
	.protected	_ZN7rocprim17ROCPRIM_400000_NS6detail17trampoline_kernelINS0_14default_configENS1_27scan_by_key_config_selectorIjjEEZZNS1_16scan_by_key_implILNS1_25lookback_scan_determinismE0ELb0ES3_N6thrust23THRUST_200600_302600_NS6detail15normal_iteratorINS9_10device_ptrIjEEEESE_SE_jNS9_4plusIvEENS9_8equal_toIvEEjEE10hipError_tPvRmT2_T3_T4_T5_mT6_T7_P12ihipStream_tbENKUlT_T0_E_clISt17integral_constantIbLb0EESY_IbLb1EEEEDaSU_SV_EUlSU_E_NS1_11comp_targetILNS1_3genE10ELNS1_11target_archE1200ELNS1_3gpuE4ELNS1_3repE0EEENS1_30default_config_static_selectorELNS0_4arch9wavefront6targetE0EEEvT1_ ; -- Begin function _ZN7rocprim17ROCPRIM_400000_NS6detail17trampoline_kernelINS0_14default_configENS1_27scan_by_key_config_selectorIjjEEZZNS1_16scan_by_key_implILNS1_25lookback_scan_determinismE0ELb0ES3_N6thrust23THRUST_200600_302600_NS6detail15normal_iteratorINS9_10device_ptrIjEEEESE_SE_jNS9_4plusIvEENS9_8equal_toIvEEjEE10hipError_tPvRmT2_T3_T4_T5_mT6_T7_P12ihipStream_tbENKUlT_T0_E_clISt17integral_constantIbLb0EESY_IbLb1EEEEDaSU_SV_EUlSU_E_NS1_11comp_targetILNS1_3genE10ELNS1_11target_archE1200ELNS1_3gpuE4ELNS1_3repE0EEENS1_30default_config_static_selectorELNS0_4arch9wavefront6targetE0EEEvT1_
	.globl	_ZN7rocprim17ROCPRIM_400000_NS6detail17trampoline_kernelINS0_14default_configENS1_27scan_by_key_config_selectorIjjEEZZNS1_16scan_by_key_implILNS1_25lookback_scan_determinismE0ELb0ES3_N6thrust23THRUST_200600_302600_NS6detail15normal_iteratorINS9_10device_ptrIjEEEESE_SE_jNS9_4plusIvEENS9_8equal_toIvEEjEE10hipError_tPvRmT2_T3_T4_T5_mT6_T7_P12ihipStream_tbENKUlT_T0_E_clISt17integral_constantIbLb0EESY_IbLb1EEEEDaSU_SV_EUlSU_E_NS1_11comp_targetILNS1_3genE10ELNS1_11target_archE1200ELNS1_3gpuE4ELNS1_3repE0EEENS1_30default_config_static_selectorELNS0_4arch9wavefront6targetE0EEEvT1_
	.p2align	8
	.type	_ZN7rocprim17ROCPRIM_400000_NS6detail17trampoline_kernelINS0_14default_configENS1_27scan_by_key_config_selectorIjjEEZZNS1_16scan_by_key_implILNS1_25lookback_scan_determinismE0ELb0ES3_N6thrust23THRUST_200600_302600_NS6detail15normal_iteratorINS9_10device_ptrIjEEEESE_SE_jNS9_4plusIvEENS9_8equal_toIvEEjEE10hipError_tPvRmT2_T3_T4_T5_mT6_T7_P12ihipStream_tbENKUlT_T0_E_clISt17integral_constantIbLb0EESY_IbLb1EEEEDaSU_SV_EUlSU_E_NS1_11comp_targetILNS1_3genE10ELNS1_11target_archE1200ELNS1_3gpuE4ELNS1_3repE0EEENS1_30default_config_static_selectorELNS0_4arch9wavefront6targetE0EEEvT1_,@function
_ZN7rocprim17ROCPRIM_400000_NS6detail17trampoline_kernelINS0_14default_configENS1_27scan_by_key_config_selectorIjjEEZZNS1_16scan_by_key_implILNS1_25lookback_scan_determinismE0ELb0ES3_N6thrust23THRUST_200600_302600_NS6detail15normal_iteratorINS9_10device_ptrIjEEEESE_SE_jNS9_4plusIvEENS9_8equal_toIvEEjEE10hipError_tPvRmT2_T3_T4_T5_mT6_T7_P12ihipStream_tbENKUlT_T0_E_clISt17integral_constantIbLb0EESY_IbLb1EEEEDaSU_SV_EUlSU_E_NS1_11comp_targetILNS1_3genE10ELNS1_11target_archE1200ELNS1_3gpuE4ELNS1_3repE0EEENS1_30default_config_static_selectorELNS0_4arch9wavefront6targetE0EEEvT1_: ; @_ZN7rocprim17ROCPRIM_400000_NS6detail17trampoline_kernelINS0_14default_configENS1_27scan_by_key_config_selectorIjjEEZZNS1_16scan_by_key_implILNS1_25lookback_scan_determinismE0ELb0ES3_N6thrust23THRUST_200600_302600_NS6detail15normal_iteratorINS9_10device_ptrIjEEEESE_SE_jNS9_4plusIvEENS9_8equal_toIvEEjEE10hipError_tPvRmT2_T3_T4_T5_mT6_T7_P12ihipStream_tbENKUlT_T0_E_clISt17integral_constantIbLb0EESY_IbLb1EEEEDaSU_SV_EUlSU_E_NS1_11comp_targetILNS1_3genE10ELNS1_11target_archE1200ELNS1_3gpuE4ELNS1_3repE0EEENS1_30default_config_static_selectorELNS0_4arch9wavefront6targetE0EEEvT1_
; %bb.0:
	.section	.rodata,"a",@progbits
	.p2align	6, 0x0
	.amdhsa_kernel _ZN7rocprim17ROCPRIM_400000_NS6detail17trampoline_kernelINS0_14default_configENS1_27scan_by_key_config_selectorIjjEEZZNS1_16scan_by_key_implILNS1_25lookback_scan_determinismE0ELb0ES3_N6thrust23THRUST_200600_302600_NS6detail15normal_iteratorINS9_10device_ptrIjEEEESE_SE_jNS9_4plusIvEENS9_8equal_toIvEEjEE10hipError_tPvRmT2_T3_T4_T5_mT6_T7_P12ihipStream_tbENKUlT_T0_E_clISt17integral_constantIbLb0EESY_IbLb1EEEEDaSU_SV_EUlSU_E_NS1_11comp_targetILNS1_3genE10ELNS1_11target_archE1200ELNS1_3gpuE4ELNS1_3repE0EEENS1_30default_config_static_selectorELNS0_4arch9wavefront6targetE0EEEvT1_
		.amdhsa_group_segment_fixed_size 0
		.amdhsa_private_segment_fixed_size 0
		.amdhsa_kernarg_size 112
		.amdhsa_user_sgpr_count 2
		.amdhsa_user_sgpr_dispatch_ptr 0
		.amdhsa_user_sgpr_queue_ptr 0
		.amdhsa_user_sgpr_kernarg_segment_ptr 1
		.amdhsa_user_sgpr_dispatch_id 0
		.amdhsa_user_sgpr_kernarg_preload_length 0
		.amdhsa_user_sgpr_kernarg_preload_offset 0
		.amdhsa_user_sgpr_private_segment_size 0
		.amdhsa_wavefront_size32 1
		.amdhsa_uses_dynamic_stack 0
		.amdhsa_enable_private_segment 0
		.amdhsa_system_sgpr_workgroup_id_x 1
		.amdhsa_system_sgpr_workgroup_id_y 0
		.amdhsa_system_sgpr_workgroup_id_z 0
		.amdhsa_system_sgpr_workgroup_info 0
		.amdhsa_system_vgpr_workitem_id 0
		.amdhsa_next_free_vgpr 1
		.amdhsa_next_free_sgpr 1
		.amdhsa_named_barrier_count 0
		.amdhsa_reserve_vcc 0
		.amdhsa_float_round_mode_32 0
		.amdhsa_float_round_mode_16_64 0
		.amdhsa_float_denorm_mode_32 3
		.amdhsa_float_denorm_mode_16_64 3
		.amdhsa_fp16_overflow 0
		.amdhsa_memory_ordered 1
		.amdhsa_forward_progress 1
		.amdhsa_inst_pref_size 0
		.amdhsa_round_robin_scheduling 0
		.amdhsa_exception_fp_ieee_invalid_op 0
		.amdhsa_exception_fp_denorm_src 0
		.amdhsa_exception_fp_ieee_div_zero 0
		.amdhsa_exception_fp_ieee_overflow 0
		.amdhsa_exception_fp_ieee_underflow 0
		.amdhsa_exception_fp_ieee_inexact 0
		.amdhsa_exception_int_div_zero 0
	.end_amdhsa_kernel
	.section	.text._ZN7rocprim17ROCPRIM_400000_NS6detail17trampoline_kernelINS0_14default_configENS1_27scan_by_key_config_selectorIjjEEZZNS1_16scan_by_key_implILNS1_25lookback_scan_determinismE0ELb0ES3_N6thrust23THRUST_200600_302600_NS6detail15normal_iteratorINS9_10device_ptrIjEEEESE_SE_jNS9_4plusIvEENS9_8equal_toIvEEjEE10hipError_tPvRmT2_T3_T4_T5_mT6_T7_P12ihipStream_tbENKUlT_T0_E_clISt17integral_constantIbLb0EESY_IbLb1EEEEDaSU_SV_EUlSU_E_NS1_11comp_targetILNS1_3genE10ELNS1_11target_archE1200ELNS1_3gpuE4ELNS1_3repE0EEENS1_30default_config_static_selectorELNS0_4arch9wavefront6targetE0EEEvT1_,"axG",@progbits,_ZN7rocprim17ROCPRIM_400000_NS6detail17trampoline_kernelINS0_14default_configENS1_27scan_by_key_config_selectorIjjEEZZNS1_16scan_by_key_implILNS1_25lookback_scan_determinismE0ELb0ES3_N6thrust23THRUST_200600_302600_NS6detail15normal_iteratorINS9_10device_ptrIjEEEESE_SE_jNS9_4plusIvEENS9_8equal_toIvEEjEE10hipError_tPvRmT2_T3_T4_T5_mT6_T7_P12ihipStream_tbENKUlT_T0_E_clISt17integral_constantIbLb0EESY_IbLb1EEEEDaSU_SV_EUlSU_E_NS1_11comp_targetILNS1_3genE10ELNS1_11target_archE1200ELNS1_3gpuE4ELNS1_3repE0EEENS1_30default_config_static_selectorELNS0_4arch9wavefront6targetE0EEEvT1_,comdat
.Lfunc_end1862:
	.size	_ZN7rocprim17ROCPRIM_400000_NS6detail17trampoline_kernelINS0_14default_configENS1_27scan_by_key_config_selectorIjjEEZZNS1_16scan_by_key_implILNS1_25lookback_scan_determinismE0ELb0ES3_N6thrust23THRUST_200600_302600_NS6detail15normal_iteratorINS9_10device_ptrIjEEEESE_SE_jNS9_4plusIvEENS9_8equal_toIvEEjEE10hipError_tPvRmT2_T3_T4_T5_mT6_T7_P12ihipStream_tbENKUlT_T0_E_clISt17integral_constantIbLb0EESY_IbLb1EEEEDaSU_SV_EUlSU_E_NS1_11comp_targetILNS1_3genE10ELNS1_11target_archE1200ELNS1_3gpuE4ELNS1_3repE0EEENS1_30default_config_static_selectorELNS0_4arch9wavefront6targetE0EEEvT1_, .Lfunc_end1862-_ZN7rocprim17ROCPRIM_400000_NS6detail17trampoline_kernelINS0_14default_configENS1_27scan_by_key_config_selectorIjjEEZZNS1_16scan_by_key_implILNS1_25lookback_scan_determinismE0ELb0ES3_N6thrust23THRUST_200600_302600_NS6detail15normal_iteratorINS9_10device_ptrIjEEEESE_SE_jNS9_4plusIvEENS9_8equal_toIvEEjEE10hipError_tPvRmT2_T3_T4_T5_mT6_T7_P12ihipStream_tbENKUlT_T0_E_clISt17integral_constantIbLb0EESY_IbLb1EEEEDaSU_SV_EUlSU_E_NS1_11comp_targetILNS1_3genE10ELNS1_11target_archE1200ELNS1_3gpuE4ELNS1_3repE0EEENS1_30default_config_static_selectorELNS0_4arch9wavefront6targetE0EEEvT1_
                                        ; -- End function
	.set _ZN7rocprim17ROCPRIM_400000_NS6detail17trampoline_kernelINS0_14default_configENS1_27scan_by_key_config_selectorIjjEEZZNS1_16scan_by_key_implILNS1_25lookback_scan_determinismE0ELb0ES3_N6thrust23THRUST_200600_302600_NS6detail15normal_iteratorINS9_10device_ptrIjEEEESE_SE_jNS9_4plusIvEENS9_8equal_toIvEEjEE10hipError_tPvRmT2_T3_T4_T5_mT6_T7_P12ihipStream_tbENKUlT_T0_E_clISt17integral_constantIbLb0EESY_IbLb1EEEEDaSU_SV_EUlSU_E_NS1_11comp_targetILNS1_3genE10ELNS1_11target_archE1200ELNS1_3gpuE4ELNS1_3repE0EEENS1_30default_config_static_selectorELNS0_4arch9wavefront6targetE0EEEvT1_.num_vgpr, 0
	.set _ZN7rocprim17ROCPRIM_400000_NS6detail17trampoline_kernelINS0_14default_configENS1_27scan_by_key_config_selectorIjjEEZZNS1_16scan_by_key_implILNS1_25lookback_scan_determinismE0ELb0ES3_N6thrust23THRUST_200600_302600_NS6detail15normal_iteratorINS9_10device_ptrIjEEEESE_SE_jNS9_4plusIvEENS9_8equal_toIvEEjEE10hipError_tPvRmT2_T3_T4_T5_mT6_T7_P12ihipStream_tbENKUlT_T0_E_clISt17integral_constantIbLb0EESY_IbLb1EEEEDaSU_SV_EUlSU_E_NS1_11comp_targetILNS1_3genE10ELNS1_11target_archE1200ELNS1_3gpuE4ELNS1_3repE0EEENS1_30default_config_static_selectorELNS0_4arch9wavefront6targetE0EEEvT1_.num_agpr, 0
	.set _ZN7rocprim17ROCPRIM_400000_NS6detail17trampoline_kernelINS0_14default_configENS1_27scan_by_key_config_selectorIjjEEZZNS1_16scan_by_key_implILNS1_25lookback_scan_determinismE0ELb0ES3_N6thrust23THRUST_200600_302600_NS6detail15normal_iteratorINS9_10device_ptrIjEEEESE_SE_jNS9_4plusIvEENS9_8equal_toIvEEjEE10hipError_tPvRmT2_T3_T4_T5_mT6_T7_P12ihipStream_tbENKUlT_T0_E_clISt17integral_constantIbLb0EESY_IbLb1EEEEDaSU_SV_EUlSU_E_NS1_11comp_targetILNS1_3genE10ELNS1_11target_archE1200ELNS1_3gpuE4ELNS1_3repE0EEENS1_30default_config_static_selectorELNS0_4arch9wavefront6targetE0EEEvT1_.numbered_sgpr, 0
	.set _ZN7rocprim17ROCPRIM_400000_NS6detail17trampoline_kernelINS0_14default_configENS1_27scan_by_key_config_selectorIjjEEZZNS1_16scan_by_key_implILNS1_25lookback_scan_determinismE0ELb0ES3_N6thrust23THRUST_200600_302600_NS6detail15normal_iteratorINS9_10device_ptrIjEEEESE_SE_jNS9_4plusIvEENS9_8equal_toIvEEjEE10hipError_tPvRmT2_T3_T4_T5_mT6_T7_P12ihipStream_tbENKUlT_T0_E_clISt17integral_constantIbLb0EESY_IbLb1EEEEDaSU_SV_EUlSU_E_NS1_11comp_targetILNS1_3genE10ELNS1_11target_archE1200ELNS1_3gpuE4ELNS1_3repE0EEENS1_30default_config_static_selectorELNS0_4arch9wavefront6targetE0EEEvT1_.num_named_barrier, 0
	.set _ZN7rocprim17ROCPRIM_400000_NS6detail17trampoline_kernelINS0_14default_configENS1_27scan_by_key_config_selectorIjjEEZZNS1_16scan_by_key_implILNS1_25lookback_scan_determinismE0ELb0ES3_N6thrust23THRUST_200600_302600_NS6detail15normal_iteratorINS9_10device_ptrIjEEEESE_SE_jNS9_4plusIvEENS9_8equal_toIvEEjEE10hipError_tPvRmT2_T3_T4_T5_mT6_T7_P12ihipStream_tbENKUlT_T0_E_clISt17integral_constantIbLb0EESY_IbLb1EEEEDaSU_SV_EUlSU_E_NS1_11comp_targetILNS1_3genE10ELNS1_11target_archE1200ELNS1_3gpuE4ELNS1_3repE0EEENS1_30default_config_static_selectorELNS0_4arch9wavefront6targetE0EEEvT1_.private_seg_size, 0
	.set _ZN7rocprim17ROCPRIM_400000_NS6detail17trampoline_kernelINS0_14default_configENS1_27scan_by_key_config_selectorIjjEEZZNS1_16scan_by_key_implILNS1_25lookback_scan_determinismE0ELb0ES3_N6thrust23THRUST_200600_302600_NS6detail15normal_iteratorINS9_10device_ptrIjEEEESE_SE_jNS9_4plusIvEENS9_8equal_toIvEEjEE10hipError_tPvRmT2_T3_T4_T5_mT6_T7_P12ihipStream_tbENKUlT_T0_E_clISt17integral_constantIbLb0EESY_IbLb1EEEEDaSU_SV_EUlSU_E_NS1_11comp_targetILNS1_3genE10ELNS1_11target_archE1200ELNS1_3gpuE4ELNS1_3repE0EEENS1_30default_config_static_selectorELNS0_4arch9wavefront6targetE0EEEvT1_.uses_vcc, 0
	.set _ZN7rocprim17ROCPRIM_400000_NS6detail17trampoline_kernelINS0_14default_configENS1_27scan_by_key_config_selectorIjjEEZZNS1_16scan_by_key_implILNS1_25lookback_scan_determinismE0ELb0ES3_N6thrust23THRUST_200600_302600_NS6detail15normal_iteratorINS9_10device_ptrIjEEEESE_SE_jNS9_4plusIvEENS9_8equal_toIvEEjEE10hipError_tPvRmT2_T3_T4_T5_mT6_T7_P12ihipStream_tbENKUlT_T0_E_clISt17integral_constantIbLb0EESY_IbLb1EEEEDaSU_SV_EUlSU_E_NS1_11comp_targetILNS1_3genE10ELNS1_11target_archE1200ELNS1_3gpuE4ELNS1_3repE0EEENS1_30default_config_static_selectorELNS0_4arch9wavefront6targetE0EEEvT1_.uses_flat_scratch, 0
	.set _ZN7rocprim17ROCPRIM_400000_NS6detail17trampoline_kernelINS0_14default_configENS1_27scan_by_key_config_selectorIjjEEZZNS1_16scan_by_key_implILNS1_25lookback_scan_determinismE0ELb0ES3_N6thrust23THRUST_200600_302600_NS6detail15normal_iteratorINS9_10device_ptrIjEEEESE_SE_jNS9_4plusIvEENS9_8equal_toIvEEjEE10hipError_tPvRmT2_T3_T4_T5_mT6_T7_P12ihipStream_tbENKUlT_T0_E_clISt17integral_constantIbLb0EESY_IbLb1EEEEDaSU_SV_EUlSU_E_NS1_11comp_targetILNS1_3genE10ELNS1_11target_archE1200ELNS1_3gpuE4ELNS1_3repE0EEENS1_30default_config_static_selectorELNS0_4arch9wavefront6targetE0EEEvT1_.has_dyn_sized_stack, 0
	.set _ZN7rocprim17ROCPRIM_400000_NS6detail17trampoline_kernelINS0_14default_configENS1_27scan_by_key_config_selectorIjjEEZZNS1_16scan_by_key_implILNS1_25lookback_scan_determinismE0ELb0ES3_N6thrust23THRUST_200600_302600_NS6detail15normal_iteratorINS9_10device_ptrIjEEEESE_SE_jNS9_4plusIvEENS9_8equal_toIvEEjEE10hipError_tPvRmT2_T3_T4_T5_mT6_T7_P12ihipStream_tbENKUlT_T0_E_clISt17integral_constantIbLb0EESY_IbLb1EEEEDaSU_SV_EUlSU_E_NS1_11comp_targetILNS1_3genE10ELNS1_11target_archE1200ELNS1_3gpuE4ELNS1_3repE0EEENS1_30default_config_static_selectorELNS0_4arch9wavefront6targetE0EEEvT1_.has_recursion, 0
	.set _ZN7rocprim17ROCPRIM_400000_NS6detail17trampoline_kernelINS0_14default_configENS1_27scan_by_key_config_selectorIjjEEZZNS1_16scan_by_key_implILNS1_25lookback_scan_determinismE0ELb0ES3_N6thrust23THRUST_200600_302600_NS6detail15normal_iteratorINS9_10device_ptrIjEEEESE_SE_jNS9_4plusIvEENS9_8equal_toIvEEjEE10hipError_tPvRmT2_T3_T4_T5_mT6_T7_P12ihipStream_tbENKUlT_T0_E_clISt17integral_constantIbLb0EESY_IbLb1EEEEDaSU_SV_EUlSU_E_NS1_11comp_targetILNS1_3genE10ELNS1_11target_archE1200ELNS1_3gpuE4ELNS1_3repE0EEENS1_30default_config_static_selectorELNS0_4arch9wavefront6targetE0EEEvT1_.has_indirect_call, 0
	.section	.AMDGPU.csdata,"",@progbits
; Kernel info:
; codeLenInByte = 0
; TotalNumSgprs: 0
; NumVgprs: 0
; ScratchSize: 0
; MemoryBound: 0
; FloatMode: 240
; IeeeMode: 1
; LDSByteSize: 0 bytes/workgroup (compile time only)
; SGPRBlocks: 0
; VGPRBlocks: 0
; NumSGPRsForWavesPerEU: 1
; NumVGPRsForWavesPerEU: 1
; NamedBarCnt: 0
; Occupancy: 16
; WaveLimiterHint : 0
; COMPUTE_PGM_RSRC2:SCRATCH_EN: 0
; COMPUTE_PGM_RSRC2:USER_SGPR: 2
; COMPUTE_PGM_RSRC2:TRAP_HANDLER: 0
; COMPUTE_PGM_RSRC2:TGID_X_EN: 1
; COMPUTE_PGM_RSRC2:TGID_Y_EN: 0
; COMPUTE_PGM_RSRC2:TGID_Z_EN: 0
; COMPUTE_PGM_RSRC2:TIDIG_COMP_CNT: 0
	.section	.text._ZN7rocprim17ROCPRIM_400000_NS6detail17trampoline_kernelINS0_14default_configENS1_27scan_by_key_config_selectorIjjEEZZNS1_16scan_by_key_implILNS1_25lookback_scan_determinismE0ELb0ES3_N6thrust23THRUST_200600_302600_NS6detail15normal_iteratorINS9_10device_ptrIjEEEESE_SE_jNS9_4plusIvEENS9_8equal_toIvEEjEE10hipError_tPvRmT2_T3_T4_T5_mT6_T7_P12ihipStream_tbENKUlT_T0_E_clISt17integral_constantIbLb0EESY_IbLb1EEEEDaSU_SV_EUlSU_E_NS1_11comp_targetILNS1_3genE9ELNS1_11target_archE1100ELNS1_3gpuE3ELNS1_3repE0EEENS1_30default_config_static_selectorELNS0_4arch9wavefront6targetE0EEEvT1_,"axG",@progbits,_ZN7rocprim17ROCPRIM_400000_NS6detail17trampoline_kernelINS0_14default_configENS1_27scan_by_key_config_selectorIjjEEZZNS1_16scan_by_key_implILNS1_25lookback_scan_determinismE0ELb0ES3_N6thrust23THRUST_200600_302600_NS6detail15normal_iteratorINS9_10device_ptrIjEEEESE_SE_jNS9_4plusIvEENS9_8equal_toIvEEjEE10hipError_tPvRmT2_T3_T4_T5_mT6_T7_P12ihipStream_tbENKUlT_T0_E_clISt17integral_constantIbLb0EESY_IbLb1EEEEDaSU_SV_EUlSU_E_NS1_11comp_targetILNS1_3genE9ELNS1_11target_archE1100ELNS1_3gpuE3ELNS1_3repE0EEENS1_30default_config_static_selectorELNS0_4arch9wavefront6targetE0EEEvT1_,comdat
	.protected	_ZN7rocprim17ROCPRIM_400000_NS6detail17trampoline_kernelINS0_14default_configENS1_27scan_by_key_config_selectorIjjEEZZNS1_16scan_by_key_implILNS1_25lookback_scan_determinismE0ELb0ES3_N6thrust23THRUST_200600_302600_NS6detail15normal_iteratorINS9_10device_ptrIjEEEESE_SE_jNS9_4plusIvEENS9_8equal_toIvEEjEE10hipError_tPvRmT2_T3_T4_T5_mT6_T7_P12ihipStream_tbENKUlT_T0_E_clISt17integral_constantIbLb0EESY_IbLb1EEEEDaSU_SV_EUlSU_E_NS1_11comp_targetILNS1_3genE9ELNS1_11target_archE1100ELNS1_3gpuE3ELNS1_3repE0EEENS1_30default_config_static_selectorELNS0_4arch9wavefront6targetE0EEEvT1_ ; -- Begin function _ZN7rocprim17ROCPRIM_400000_NS6detail17trampoline_kernelINS0_14default_configENS1_27scan_by_key_config_selectorIjjEEZZNS1_16scan_by_key_implILNS1_25lookback_scan_determinismE0ELb0ES3_N6thrust23THRUST_200600_302600_NS6detail15normal_iteratorINS9_10device_ptrIjEEEESE_SE_jNS9_4plusIvEENS9_8equal_toIvEEjEE10hipError_tPvRmT2_T3_T4_T5_mT6_T7_P12ihipStream_tbENKUlT_T0_E_clISt17integral_constantIbLb0EESY_IbLb1EEEEDaSU_SV_EUlSU_E_NS1_11comp_targetILNS1_3genE9ELNS1_11target_archE1100ELNS1_3gpuE3ELNS1_3repE0EEENS1_30default_config_static_selectorELNS0_4arch9wavefront6targetE0EEEvT1_
	.globl	_ZN7rocprim17ROCPRIM_400000_NS6detail17trampoline_kernelINS0_14default_configENS1_27scan_by_key_config_selectorIjjEEZZNS1_16scan_by_key_implILNS1_25lookback_scan_determinismE0ELb0ES3_N6thrust23THRUST_200600_302600_NS6detail15normal_iteratorINS9_10device_ptrIjEEEESE_SE_jNS9_4plusIvEENS9_8equal_toIvEEjEE10hipError_tPvRmT2_T3_T4_T5_mT6_T7_P12ihipStream_tbENKUlT_T0_E_clISt17integral_constantIbLb0EESY_IbLb1EEEEDaSU_SV_EUlSU_E_NS1_11comp_targetILNS1_3genE9ELNS1_11target_archE1100ELNS1_3gpuE3ELNS1_3repE0EEENS1_30default_config_static_selectorELNS0_4arch9wavefront6targetE0EEEvT1_
	.p2align	8
	.type	_ZN7rocprim17ROCPRIM_400000_NS6detail17trampoline_kernelINS0_14default_configENS1_27scan_by_key_config_selectorIjjEEZZNS1_16scan_by_key_implILNS1_25lookback_scan_determinismE0ELb0ES3_N6thrust23THRUST_200600_302600_NS6detail15normal_iteratorINS9_10device_ptrIjEEEESE_SE_jNS9_4plusIvEENS9_8equal_toIvEEjEE10hipError_tPvRmT2_T3_T4_T5_mT6_T7_P12ihipStream_tbENKUlT_T0_E_clISt17integral_constantIbLb0EESY_IbLb1EEEEDaSU_SV_EUlSU_E_NS1_11comp_targetILNS1_3genE9ELNS1_11target_archE1100ELNS1_3gpuE3ELNS1_3repE0EEENS1_30default_config_static_selectorELNS0_4arch9wavefront6targetE0EEEvT1_,@function
_ZN7rocprim17ROCPRIM_400000_NS6detail17trampoline_kernelINS0_14default_configENS1_27scan_by_key_config_selectorIjjEEZZNS1_16scan_by_key_implILNS1_25lookback_scan_determinismE0ELb0ES3_N6thrust23THRUST_200600_302600_NS6detail15normal_iteratorINS9_10device_ptrIjEEEESE_SE_jNS9_4plusIvEENS9_8equal_toIvEEjEE10hipError_tPvRmT2_T3_T4_T5_mT6_T7_P12ihipStream_tbENKUlT_T0_E_clISt17integral_constantIbLb0EESY_IbLb1EEEEDaSU_SV_EUlSU_E_NS1_11comp_targetILNS1_3genE9ELNS1_11target_archE1100ELNS1_3gpuE3ELNS1_3repE0EEENS1_30default_config_static_selectorELNS0_4arch9wavefront6targetE0EEEvT1_: ; @_ZN7rocprim17ROCPRIM_400000_NS6detail17trampoline_kernelINS0_14default_configENS1_27scan_by_key_config_selectorIjjEEZZNS1_16scan_by_key_implILNS1_25lookback_scan_determinismE0ELb0ES3_N6thrust23THRUST_200600_302600_NS6detail15normal_iteratorINS9_10device_ptrIjEEEESE_SE_jNS9_4plusIvEENS9_8equal_toIvEEjEE10hipError_tPvRmT2_T3_T4_T5_mT6_T7_P12ihipStream_tbENKUlT_T0_E_clISt17integral_constantIbLb0EESY_IbLb1EEEEDaSU_SV_EUlSU_E_NS1_11comp_targetILNS1_3genE9ELNS1_11target_archE1100ELNS1_3gpuE3ELNS1_3repE0EEENS1_30default_config_static_selectorELNS0_4arch9wavefront6targetE0EEEvT1_
; %bb.0:
	.section	.rodata,"a",@progbits
	.p2align	6, 0x0
	.amdhsa_kernel _ZN7rocprim17ROCPRIM_400000_NS6detail17trampoline_kernelINS0_14default_configENS1_27scan_by_key_config_selectorIjjEEZZNS1_16scan_by_key_implILNS1_25lookback_scan_determinismE0ELb0ES3_N6thrust23THRUST_200600_302600_NS6detail15normal_iteratorINS9_10device_ptrIjEEEESE_SE_jNS9_4plusIvEENS9_8equal_toIvEEjEE10hipError_tPvRmT2_T3_T4_T5_mT6_T7_P12ihipStream_tbENKUlT_T0_E_clISt17integral_constantIbLb0EESY_IbLb1EEEEDaSU_SV_EUlSU_E_NS1_11comp_targetILNS1_3genE9ELNS1_11target_archE1100ELNS1_3gpuE3ELNS1_3repE0EEENS1_30default_config_static_selectorELNS0_4arch9wavefront6targetE0EEEvT1_
		.amdhsa_group_segment_fixed_size 0
		.amdhsa_private_segment_fixed_size 0
		.amdhsa_kernarg_size 112
		.amdhsa_user_sgpr_count 2
		.amdhsa_user_sgpr_dispatch_ptr 0
		.amdhsa_user_sgpr_queue_ptr 0
		.amdhsa_user_sgpr_kernarg_segment_ptr 1
		.amdhsa_user_sgpr_dispatch_id 0
		.amdhsa_user_sgpr_kernarg_preload_length 0
		.amdhsa_user_sgpr_kernarg_preload_offset 0
		.amdhsa_user_sgpr_private_segment_size 0
		.amdhsa_wavefront_size32 1
		.amdhsa_uses_dynamic_stack 0
		.amdhsa_enable_private_segment 0
		.amdhsa_system_sgpr_workgroup_id_x 1
		.amdhsa_system_sgpr_workgroup_id_y 0
		.amdhsa_system_sgpr_workgroup_id_z 0
		.amdhsa_system_sgpr_workgroup_info 0
		.amdhsa_system_vgpr_workitem_id 0
		.amdhsa_next_free_vgpr 1
		.amdhsa_next_free_sgpr 1
		.amdhsa_named_barrier_count 0
		.amdhsa_reserve_vcc 0
		.amdhsa_float_round_mode_32 0
		.amdhsa_float_round_mode_16_64 0
		.amdhsa_float_denorm_mode_32 3
		.amdhsa_float_denorm_mode_16_64 3
		.amdhsa_fp16_overflow 0
		.amdhsa_memory_ordered 1
		.amdhsa_forward_progress 1
		.amdhsa_inst_pref_size 0
		.amdhsa_round_robin_scheduling 0
		.amdhsa_exception_fp_ieee_invalid_op 0
		.amdhsa_exception_fp_denorm_src 0
		.amdhsa_exception_fp_ieee_div_zero 0
		.amdhsa_exception_fp_ieee_overflow 0
		.amdhsa_exception_fp_ieee_underflow 0
		.amdhsa_exception_fp_ieee_inexact 0
		.amdhsa_exception_int_div_zero 0
	.end_amdhsa_kernel
	.section	.text._ZN7rocprim17ROCPRIM_400000_NS6detail17trampoline_kernelINS0_14default_configENS1_27scan_by_key_config_selectorIjjEEZZNS1_16scan_by_key_implILNS1_25lookback_scan_determinismE0ELb0ES3_N6thrust23THRUST_200600_302600_NS6detail15normal_iteratorINS9_10device_ptrIjEEEESE_SE_jNS9_4plusIvEENS9_8equal_toIvEEjEE10hipError_tPvRmT2_T3_T4_T5_mT6_T7_P12ihipStream_tbENKUlT_T0_E_clISt17integral_constantIbLb0EESY_IbLb1EEEEDaSU_SV_EUlSU_E_NS1_11comp_targetILNS1_3genE9ELNS1_11target_archE1100ELNS1_3gpuE3ELNS1_3repE0EEENS1_30default_config_static_selectorELNS0_4arch9wavefront6targetE0EEEvT1_,"axG",@progbits,_ZN7rocprim17ROCPRIM_400000_NS6detail17trampoline_kernelINS0_14default_configENS1_27scan_by_key_config_selectorIjjEEZZNS1_16scan_by_key_implILNS1_25lookback_scan_determinismE0ELb0ES3_N6thrust23THRUST_200600_302600_NS6detail15normal_iteratorINS9_10device_ptrIjEEEESE_SE_jNS9_4plusIvEENS9_8equal_toIvEEjEE10hipError_tPvRmT2_T3_T4_T5_mT6_T7_P12ihipStream_tbENKUlT_T0_E_clISt17integral_constantIbLb0EESY_IbLb1EEEEDaSU_SV_EUlSU_E_NS1_11comp_targetILNS1_3genE9ELNS1_11target_archE1100ELNS1_3gpuE3ELNS1_3repE0EEENS1_30default_config_static_selectorELNS0_4arch9wavefront6targetE0EEEvT1_,comdat
.Lfunc_end1863:
	.size	_ZN7rocprim17ROCPRIM_400000_NS6detail17trampoline_kernelINS0_14default_configENS1_27scan_by_key_config_selectorIjjEEZZNS1_16scan_by_key_implILNS1_25lookback_scan_determinismE0ELb0ES3_N6thrust23THRUST_200600_302600_NS6detail15normal_iteratorINS9_10device_ptrIjEEEESE_SE_jNS9_4plusIvEENS9_8equal_toIvEEjEE10hipError_tPvRmT2_T3_T4_T5_mT6_T7_P12ihipStream_tbENKUlT_T0_E_clISt17integral_constantIbLb0EESY_IbLb1EEEEDaSU_SV_EUlSU_E_NS1_11comp_targetILNS1_3genE9ELNS1_11target_archE1100ELNS1_3gpuE3ELNS1_3repE0EEENS1_30default_config_static_selectorELNS0_4arch9wavefront6targetE0EEEvT1_, .Lfunc_end1863-_ZN7rocprim17ROCPRIM_400000_NS6detail17trampoline_kernelINS0_14default_configENS1_27scan_by_key_config_selectorIjjEEZZNS1_16scan_by_key_implILNS1_25lookback_scan_determinismE0ELb0ES3_N6thrust23THRUST_200600_302600_NS6detail15normal_iteratorINS9_10device_ptrIjEEEESE_SE_jNS9_4plusIvEENS9_8equal_toIvEEjEE10hipError_tPvRmT2_T3_T4_T5_mT6_T7_P12ihipStream_tbENKUlT_T0_E_clISt17integral_constantIbLb0EESY_IbLb1EEEEDaSU_SV_EUlSU_E_NS1_11comp_targetILNS1_3genE9ELNS1_11target_archE1100ELNS1_3gpuE3ELNS1_3repE0EEENS1_30default_config_static_selectorELNS0_4arch9wavefront6targetE0EEEvT1_
                                        ; -- End function
	.set _ZN7rocprim17ROCPRIM_400000_NS6detail17trampoline_kernelINS0_14default_configENS1_27scan_by_key_config_selectorIjjEEZZNS1_16scan_by_key_implILNS1_25lookback_scan_determinismE0ELb0ES3_N6thrust23THRUST_200600_302600_NS6detail15normal_iteratorINS9_10device_ptrIjEEEESE_SE_jNS9_4plusIvEENS9_8equal_toIvEEjEE10hipError_tPvRmT2_T3_T4_T5_mT6_T7_P12ihipStream_tbENKUlT_T0_E_clISt17integral_constantIbLb0EESY_IbLb1EEEEDaSU_SV_EUlSU_E_NS1_11comp_targetILNS1_3genE9ELNS1_11target_archE1100ELNS1_3gpuE3ELNS1_3repE0EEENS1_30default_config_static_selectorELNS0_4arch9wavefront6targetE0EEEvT1_.num_vgpr, 0
	.set _ZN7rocprim17ROCPRIM_400000_NS6detail17trampoline_kernelINS0_14default_configENS1_27scan_by_key_config_selectorIjjEEZZNS1_16scan_by_key_implILNS1_25lookback_scan_determinismE0ELb0ES3_N6thrust23THRUST_200600_302600_NS6detail15normal_iteratorINS9_10device_ptrIjEEEESE_SE_jNS9_4plusIvEENS9_8equal_toIvEEjEE10hipError_tPvRmT2_T3_T4_T5_mT6_T7_P12ihipStream_tbENKUlT_T0_E_clISt17integral_constantIbLb0EESY_IbLb1EEEEDaSU_SV_EUlSU_E_NS1_11comp_targetILNS1_3genE9ELNS1_11target_archE1100ELNS1_3gpuE3ELNS1_3repE0EEENS1_30default_config_static_selectorELNS0_4arch9wavefront6targetE0EEEvT1_.num_agpr, 0
	.set _ZN7rocprim17ROCPRIM_400000_NS6detail17trampoline_kernelINS0_14default_configENS1_27scan_by_key_config_selectorIjjEEZZNS1_16scan_by_key_implILNS1_25lookback_scan_determinismE0ELb0ES3_N6thrust23THRUST_200600_302600_NS6detail15normal_iteratorINS9_10device_ptrIjEEEESE_SE_jNS9_4plusIvEENS9_8equal_toIvEEjEE10hipError_tPvRmT2_T3_T4_T5_mT6_T7_P12ihipStream_tbENKUlT_T0_E_clISt17integral_constantIbLb0EESY_IbLb1EEEEDaSU_SV_EUlSU_E_NS1_11comp_targetILNS1_3genE9ELNS1_11target_archE1100ELNS1_3gpuE3ELNS1_3repE0EEENS1_30default_config_static_selectorELNS0_4arch9wavefront6targetE0EEEvT1_.numbered_sgpr, 0
	.set _ZN7rocprim17ROCPRIM_400000_NS6detail17trampoline_kernelINS0_14default_configENS1_27scan_by_key_config_selectorIjjEEZZNS1_16scan_by_key_implILNS1_25lookback_scan_determinismE0ELb0ES3_N6thrust23THRUST_200600_302600_NS6detail15normal_iteratorINS9_10device_ptrIjEEEESE_SE_jNS9_4plusIvEENS9_8equal_toIvEEjEE10hipError_tPvRmT2_T3_T4_T5_mT6_T7_P12ihipStream_tbENKUlT_T0_E_clISt17integral_constantIbLb0EESY_IbLb1EEEEDaSU_SV_EUlSU_E_NS1_11comp_targetILNS1_3genE9ELNS1_11target_archE1100ELNS1_3gpuE3ELNS1_3repE0EEENS1_30default_config_static_selectorELNS0_4arch9wavefront6targetE0EEEvT1_.num_named_barrier, 0
	.set _ZN7rocprim17ROCPRIM_400000_NS6detail17trampoline_kernelINS0_14default_configENS1_27scan_by_key_config_selectorIjjEEZZNS1_16scan_by_key_implILNS1_25lookback_scan_determinismE0ELb0ES3_N6thrust23THRUST_200600_302600_NS6detail15normal_iteratorINS9_10device_ptrIjEEEESE_SE_jNS9_4plusIvEENS9_8equal_toIvEEjEE10hipError_tPvRmT2_T3_T4_T5_mT6_T7_P12ihipStream_tbENKUlT_T0_E_clISt17integral_constantIbLb0EESY_IbLb1EEEEDaSU_SV_EUlSU_E_NS1_11comp_targetILNS1_3genE9ELNS1_11target_archE1100ELNS1_3gpuE3ELNS1_3repE0EEENS1_30default_config_static_selectorELNS0_4arch9wavefront6targetE0EEEvT1_.private_seg_size, 0
	.set _ZN7rocprim17ROCPRIM_400000_NS6detail17trampoline_kernelINS0_14default_configENS1_27scan_by_key_config_selectorIjjEEZZNS1_16scan_by_key_implILNS1_25lookback_scan_determinismE0ELb0ES3_N6thrust23THRUST_200600_302600_NS6detail15normal_iteratorINS9_10device_ptrIjEEEESE_SE_jNS9_4plusIvEENS9_8equal_toIvEEjEE10hipError_tPvRmT2_T3_T4_T5_mT6_T7_P12ihipStream_tbENKUlT_T0_E_clISt17integral_constantIbLb0EESY_IbLb1EEEEDaSU_SV_EUlSU_E_NS1_11comp_targetILNS1_3genE9ELNS1_11target_archE1100ELNS1_3gpuE3ELNS1_3repE0EEENS1_30default_config_static_selectorELNS0_4arch9wavefront6targetE0EEEvT1_.uses_vcc, 0
	.set _ZN7rocprim17ROCPRIM_400000_NS6detail17trampoline_kernelINS0_14default_configENS1_27scan_by_key_config_selectorIjjEEZZNS1_16scan_by_key_implILNS1_25lookback_scan_determinismE0ELb0ES3_N6thrust23THRUST_200600_302600_NS6detail15normal_iteratorINS9_10device_ptrIjEEEESE_SE_jNS9_4plusIvEENS9_8equal_toIvEEjEE10hipError_tPvRmT2_T3_T4_T5_mT6_T7_P12ihipStream_tbENKUlT_T0_E_clISt17integral_constantIbLb0EESY_IbLb1EEEEDaSU_SV_EUlSU_E_NS1_11comp_targetILNS1_3genE9ELNS1_11target_archE1100ELNS1_3gpuE3ELNS1_3repE0EEENS1_30default_config_static_selectorELNS0_4arch9wavefront6targetE0EEEvT1_.uses_flat_scratch, 0
	.set _ZN7rocprim17ROCPRIM_400000_NS6detail17trampoline_kernelINS0_14default_configENS1_27scan_by_key_config_selectorIjjEEZZNS1_16scan_by_key_implILNS1_25lookback_scan_determinismE0ELb0ES3_N6thrust23THRUST_200600_302600_NS6detail15normal_iteratorINS9_10device_ptrIjEEEESE_SE_jNS9_4plusIvEENS9_8equal_toIvEEjEE10hipError_tPvRmT2_T3_T4_T5_mT6_T7_P12ihipStream_tbENKUlT_T0_E_clISt17integral_constantIbLb0EESY_IbLb1EEEEDaSU_SV_EUlSU_E_NS1_11comp_targetILNS1_3genE9ELNS1_11target_archE1100ELNS1_3gpuE3ELNS1_3repE0EEENS1_30default_config_static_selectorELNS0_4arch9wavefront6targetE0EEEvT1_.has_dyn_sized_stack, 0
	.set _ZN7rocprim17ROCPRIM_400000_NS6detail17trampoline_kernelINS0_14default_configENS1_27scan_by_key_config_selectorIjjEEZZNS1_16scan_by_key_implILNS1_25lookback_scan_determinismE0ELb0ES3_N6thrust23THRUST_200600_302600_NS6detail15normal_iteratorINS9_10device_ptrIjEEEESE_SE_jNS9_4plusIvEENS9_8equal_toIvEEjEE10hipError_tPvRmT2_T3_T4_T5_mT6_T7_P12ihipStream_tbENKUlT_T0_E_clISt17integral_constantIbLb0EESY_IbLb1EEEEDaSU_SV_EUlSU_E_NS1_11comp_targetILNS1_3genE9ELNS1_11target_archE1100ELNS1_3gpuE3ELNS1_3repE0EEENS1_30default_config_static_selectorELNS0_4arch9wavefront6targetE0EEEvT1_.has_recursion, 0
	.set _ZN7rocprim17ROCPRIM_400000_NS6detail17trampoline_kernelINS0_14default_configENS1_27scan_by_key_config_selectorIjjEEZZNS1_16scan_by_key_implILNS1_25lookback_scan_determinismE0ELb0ES3_N6thrust23THRUST_200600_302600_NS6detail15normal_iteratorINS9_10device_ptrIjEEEESE_SE_jNS9_4plusIvEENS9_8equal_toIvEEjEE10hipError_tPvRmT2_T3_T4_T5_mT6_T7_P12ihipStream_tbENKUlT_T0_E_clISt17integral_constantIbLb0EESY_IbLb1EEEEDaSU_SV_EUlSU_E_NS1_11comp_targetILNS1_3genE9ELNS1_11target_archE1100ELNS1_3gpuE3ELNS1_3repE0EEENS1_30default_config_static_selectorELNS0_4arch9wavefront6targetE0EEEvT1_.has_indirect_call, 0
	.section	.AMDGPU.csdata,"",@progbits
; Kernel info:
; codeLenInByte = 0
; TotalNumSgprs: 0
; NumVgprs: 0
; ScratchSize: 0
; MemoryBound: 0
; FloatMode: 240
; IeeeMode: 1
; LDSByteSize: 0 bytes/workgroup (compile time only)
; SGPRBlocks: 0
; VGPRBlocks: 0
; NumSGPRsForWavesPerEU: 1
; NumVGPRsForWavesPerEU: 1
; NamedBarCnt: 0
; Occupancy: 16
; WaveLimiterHint : 0
; COMPUTE_PGM_RSRC2:SCRATCH_EN: 0
; COMPUTE_PGM_RSRC2:USER_SGPR: 2
; COMPUTE_PGM_RSRC2:TRAP_HANDLER: 0
; COMPUTE_PGM_RSRC2:TGID_X_EN: 1
; COMPUTE_PGM_RSRC2:TGID_Y_EN: 0
; COMPUTE_PGM_RSRC2:TGID_Z_EN: 0
; COMPUTE_PGM_RSRC2:TIDIG_COMP_CNT: 0
	.section	.text._ZN7rocprim17ROCPRIM_400000_NS6detail17trampoline_kernelINS0_14default_configENS1_27scan_by_key_config_selectorIjjEEZZNS1_16scan_by_key_implILNS1_25lookback_scan_determinismE0ELb0ES3_N6thrust23THRUST_200600_302600_NS6detail15normal_iteratorINS9_10device_ptrIjEEEESE_SE_jNS9_4plusIvEENS9_8equal_toIvEEjEE10hipError_tPvRmT2_T3_T4_T5_mT6_T7_P12ihipStream_tbENKUlT_T0_E_clISt17integral_constantIbLb0EESY_IbLb1EEEEDaSU_SV_EUlSU_E_NS1_11comp_targetILNS1_3genE8ELNS1_11target_archE1030ELNS1_3gpuE2ELNS1_3repE0EEENS1_30default_config_static_selectorELNS0_4arch9wavefront6targetE0EEEvT1_,"axG",@progbits,_ZN7rocprim17ROCPRIM_400000_NS6detail17trampoline_kernelINS0_14default_configENS1_27scan_by_key_config_selectorIjjEEZZNS1_16scan_by_key_implILNS1_25lookback_scan_determinismE0ELb0ES3_N6thrust23THRUST_200600_302600_NS6detail15normal_iteratorINS9_10device_ptrIjEEEESE_SE_jNS9_4plusIvEENS9_8equal_toIvEEjEE10hipError_tPvRmT2_T3_T4_T5_mT6_T7_P12ihipStream_tbENKUlT_T0_E_clISt17integral_constantIbLb0EESY_IbLb1EEEEDaSU_SV_EUlSU_E_NS1_11comp_targetILNS1_3genE8ELNS1_11target_archE1030ELNS1_3gpuE2ELNS1_3repE0EEENS1_30default_config_static_selectorELNS0_4arch9wavefront6targetE0EEEvT1_,comdat
	.protected	_ZN7rocprim17ROCPRIM_400000_NS6detail17trampoline_kernelINS0_14default_configENS1_27scan_by_key_config_selectorIjjEEZZNS1_16scan_by_key_implILNS1_25lookback_scan_determinismE0ELb0ES3_N6thrust23THRUST_200600_302600_NS6detail15normal_iteratorINS9_10device_ptrIjEEEESE_SE_jNS9_4plusIvEENS9_8equal_toIvEEjEE10hipError_tPvRmT2_T3_T4_T5_mT6_T7_P12ihipStream_tbENKUlT_T0_E_clISt17integral_constantIbLb0EESY_IbLb1EEEEDaSU_SV_EUlSU_E_NS1_11comp_targetILNS1_3genE8ELNS1_11target_archE1030ELNS1_3gpuE2ELNS1_3repE0EEENS1_30default_config_static_selectorELNS0_4arch9wavefront6targetE0EEEvT1_ ; -- Begin function _ZN7rocprim17ROCPRIM_400000_NS6detail17trampoline_kernelINS0_14default_configENS1_27scan_by_key_config_selectorIjjEEZZNS1_16scan_by_key_implILNS1_25lookback_scan_determinismE0ELb0ES3_N6thrust23THRUST_200600_302600_NS6detail15normal_iteratorINS9_10device_ptrIjEEEESE_SE_jNS9_4plusIvEENS9_8equal_toIvEEjEE10hipError_tPvRmT2_T3_T4_T5_mT6_T7_P12ihipStream_tbENKUlT_T0_E_clISt17integral_constantIbLb0EESY_IbLb1EEEEDaSU_SV_EUlSU_E_NS1_11comp_targetILNS1_3genE8ELNS1_11target_archE1030ELNS1_3gpuE2ELNS1_3repE0EEENS1_30default_config_static_selectorELNS0_4arch9wavefront6targetE0EEEvT1_
	.globl	_ZN7rocprim17ROCPRIM_400000_NS6detail17trampoline_kernelINS0_14default_configENS1_27scan_by_key_config_selectorIjjEEZZNS1_16scan_by_key_implILNS1_25lookback_scan_determinismE0ELb0ES3_N6thrust23THRUST_200600_302600_NS6detail15normal_iteratorINS9_10device_ptrIjEEEESE_SE_jNS9_4plusIvEENS9_8equal_toIvEEjEE10hipError_tPvRmT2_T3_T4_T5_mT6_T7_P12ihipStream_tbENKUlT_T0_E_clISt17integral_constantIbLb0EESY_IbLb1EEEEDaSU_SV_EUlSU_E_NS1_11comp_targetILNS1_3genE8ELNS1_11target_archE1030ELNS1_3gpuE2ELNS1_3repE0EEENS1_30default_config_static_selectorELNS0_4arch9wavefront6targetE0EEEvT1_
	.p2align	8
	.type	_ZN7rocprim17ROCPRIM_400000_NS6detail17trampoline_kernelINS0_14default_configENS1_27scan_by_key_config_selectorIjjEEZZNS1_16scan_by_key_implILNS1_25lookback_scan_determinismE0ELb0ES3_N6thrust23THRUST_200600_302600_NS6detail15normal_iteratorINS9_10device_ptrIjEEEESE_SE_jNS9_4plusIvEENS9_8equal_toIvEEjEE10hipError_tPvRmT2_T3_T4_T5_mT6_T7_P12ihipStream_tbENKUlT_T0_E_clISt17integral_constantIbLb0EESY_IbLb1EEEEDaSU_SV_EUlSU_E_NS1_11comp_targetILNS1_3genE8ELNS1_11target_archE1030ELNS1_3gpuE2ELNS1_3repE0EEENS1_30default_config_static_selectorELNS0_4arch9wavefront6targetE0EEEvT1_,@function
_ZN7rocprim17ROCPRIM_400000_NS6detail17trampoline_kernelINS0_14default_configENS1_27scan_by_key_config_selectorIjjEEZZNS1_16scan_by_key_implILNS1_25lookback_scan_determinismE0ELb0ES3_N6thrust23THRUST_200600_302600_NS6detail15normal_iteratorINS9_10device_ptrIjEEEESE_SE_jNS9_4plusIvEENS9_8equal_toIvEEjEE10hipError_tPvRmT2_T3_T4_T5_mT6_T7_P12ihipStream_tbENKUlT_T0_E_clISt17integral_constantIbLb0EESY_IbLb1EEEEDaSU_SV_EUlSU_E_NS1_11comp_targetILNS1_3genE8ELNS1_11target_archE1030ELNS1_3gpuE2ELNS1_3repE0EEENS1_30default_config_static_selectorELNS0_4arch9wavefront6targetE0EEEvT1_: ; @_ZN7rocprim17ROCPRIM_400000_NS6detail17trampoline_kernelINS0_14default_configENS1_27scan_by_key_config_selectorIjjEEZZNS1_16scan_by_key_implILNS1_25lookback_scan_determinismE0ELb0ES3_N6thrust23THRUST_200600_302600_NS6detail15normal_iteratorINS9_10device_ptrIjEEEESE_SE_jNS9_4plusIvEENS9_8equal_toIvEEjEE10hipError_tPvRmT2_T3_T4_T5_mT6_T7_P12ihipStream_tbENKUlT_T0_E_clISt17integral_constantIbLb0EESY_IbLb1EEEEDaSU_SV_EUlSU_E_NS1_11comp_targetILNS1_3genE8ELNS1_11target_archE1030ELNS1_3gpuE2ELNS1_3repE0EEENS1_30default_config_static_selectorELNS0_4arch9wavefront6targetE0EEEvT1_
; %bb.0:
	.section	.rodata,"a",@progbits
	.p2align	6, 0x0
	.amdhsa_kernel _ZN7rocprim17ROCPRIM_400000_NS6detail17trampoline_kernelINS0_14default_configENS1_27scan_by_key_config_selectorIjjEEZZNS1_16scan_by_key_implILNS1_25lookback_scan_determinismE0ELb0ES3_N6thrust23THRUST_200600_302600_NS6detail15normal_iteratorINS9_10device_ptrIjEEEESE_SE_jNS9_4plusIvEENS9_8equal_toIvEEjEE10hipError_tPvRmT2_T3_T4_T5_mT6_T7_P12ihipStream_tbENKUlT_T0_E_clISt17integral_constantIbLb0EESY_IbLb1EEEEDaSU_SV_EUlSU_E_NS1_11comp_targetILNS1_3genE8ELNS1_11target_archE1030ELNS1_3gpuE2ELNS1_3repE0EEENS1_30default_config_static_selectorELNS0_4arch9wavefront6targetE0EEEvT1_
		.amdhsa_group_segment_fixed_size 0
		.amdhsa_private_segment_fixed_size 0
		.amdhsa_kernarg_size 112
		.amdhsa_user_sgpr_count 2
		.amdhsa_user_sgpr_dispatch_ptr 0
		.amdhsa_user_sgpr_queue_ptr 0
		.amdhsa_user_sgpr_kernarg_segment_ptr 1
		.amdhsa_user_sgpr_dispatch_id 0
		.amdhsa_user_sgpr_kernarg_preload_length 0
		.amdhsa_user_sgpr_kernarg_preload_offset 0
		.amdhsa_user_sgpr_private_segment_size 0
		.amdhsa_wavefront_size32 1
		.amdhsa_uses_dynamic_stack 0
		.amdhsa_enable_private_segment 0
		.amdhsa_system_sgpr_workgroup_id_x 1
		.amdhsa_system_sgpr_workgroup_id_y 0
		.amdhsa_system_sgpr_workgroup_id_z 0
		.amdhsa_system_sgpr_workgroup_info 0
		.amdhsa_system_vgpr_workitem_id 0
		.amdhsa_next_free_vgpr 1
		.amdhsa_next_free_sgpr 1
		.amdhsa_named_barrier_count 0
		.amdhsa_reserve_vcc 0
		.amdhsa_float_round_mode_32 0
		.amdhsa_float_round_mode_16_64 0
		.amdhsa_float_denorm_mode_32 3
		.amdhsa_float_denorm_mode_16_64 3
		.amdhsa_fp16_overflow 0
		.amdhsa_memory_ordered 1
		.amdhsa_forward_progress 1
		.amdhsa_inst_pref_size 0
		.amdhsa_round_robin_scheduling 0
		.amdhsa_exception_fp_ieee_invalid_op 0
		.amdhsa_exception_fp_denorm_src 0
		.amdhsa_exception_fp_ieee_div_zero 0
		.amdhsa_exception_fp_ieee_overflow 0
		.amdhsa_exception_fp_ieee_underflow 0
		.amdhsa_exception_fp_ieee_inexact 0
		.amdhsa_exception_int_div_zero 0
	.end_amdhsa_kernel
	.section	.text._ZN7rocprim17ROCPRIM_400000_NS6detail17trampoline_kernelINS0_14default_configENS1_27scan_by_key_config_selectorIjjEEZZNS1_16scan_by_key_implILNS1_25lookback_scan_determinismE0ELb0ES3_N6thrust23THRUST_200600_302600_NS6detail15normal_iteratorINS9_10device_ptrIjEEEESE_SE_jNS9_4plusIvEENS9_8equal_toIvEEjEE10hipError_tPvRmT2_T3_T4_T5_mT6_T7_P12ihipStream_tbENKUlT_T0_E_clISt17integral_constantIbLb0EESY_IbLb1EEEEDaSU_SV_EUlSU_E_NS1_11comp_targetILNS1_3genE8ELNS1_11target_archE1030ELNS1_3gpuE2ELNS1_3repE0EEENS1_30default_config_static_selectorELNS0_4arch9wavefront6targetE0EEEvT1_,"axG",@progbits,_ZN7rocprim17ROCPRIM_400000_NS6detail17trampoline_kernelINS0_14default_configENS1_27scan_by_key_config_selectorIjjEEZZNS1_16scan_by_key_implILNS1_25lookback_scan_determinismE0ELb0ES3_N6thrust23THRUST_200600_302600_NS6detail15normal_iteratorINS9_10device_ptrIjEEEESE_SE_jNS9_4plusIvEENS9_8equal_toIvEEjEE10hipError_tPvRmT2_T3_T4_T5_mT6_T7_P12ihipStream_tbENKUlT_T0_E_clISt17integral_constantIbLb0EESY_IbLb1EEEEDaSU_SV_EUlSU_E_NS1_11comp_targetILNS1_3genE8ELNS1_11target_archE1030ELNS1_3gpuE2ELNS1_3repE0EEENS1_30default_config_static_selectorELNS0_4arch9wavefront6targetE0EEEvT1_,comdat
.Lfunc_end1864:
	.size	_ZN7rocprim17ROCPRIM_400000_NS6detail17trampoline_kernelINS0_14default_configENS1_27scan_by_key_config_selectorIjjEEZZNS1_16scan_by_key_implILNS1_25lookback_scan_determinismE0ELb0ES3_N6thrust23THRUST_200600_302600_NS6detail15normal_iteratorINS9_10device_ptrIjEEEESE_SE_jNS9_4plusIvEENS9_8equal_toIvEEjEE10hipError_tPvRmT2_T3_T4_T5_mT6_T7_P12ihipStream_tbENKUlT_T0_E_clISt17integral_constantIbLb0EESY_IbLb1EEEEDaSU_SV_EUlSU_E_NS1_11comp_targetILNS1_3genE8ELNS1_11target_archE1030ELNS1_3gpuE2ELNS1_3repE0EEENS1_30default_config_static_selectorELNS0_4arch9wavefront6targetE0EEEvT1_, .Lfunc_end1864-_ZN7rocprim17ROCPRIM_400000_NS6detail17trampoline_kernelINS0_14default_configENS1_27scan_by_key_config_selectorIjjEEZZNS1_16scan_by_key_implILNS1_25lookback_scan_determinismE0ELb0ES3_N6thrust23THRUST_200600_302600_NS6detail15normal_iteratorINS9_10device_ptrIjEEEESE_SE_jNS9_4plusIvEENS9_8equal_toIvEEjEE10hipError_tPvRmT2_T3_T4_T5_mT6_T7_P12ihipStream_tbENKUlT_T0_E_clISt17integral_constantIbLb0EESY_IbLb1EEEEDaSU_SV_EUlSU_E_NS1_11comp_targetILNS1_3genE8ELNS1_11target_archE1030ELNS1_3gpuE2ELNS1_3repE0EEENS1_30default_config_static_selectorELNS0_4arch9wavefront6targetE0EEEvT1_
                                        ; -- End function
	.set _ZN7rocprim17ROCPRIM_400000_NS6detail17trampoline_kernelINS0_14default_configENS1_27scan_by_key_config_selectorIjjEEZZNS1_16scan_by_key_implILNS1_25lookback_scan_determinismE0ELb0ES3_N6thrust23THRUST_200600_302600_NS6detail15normal_iteratorINS9_10device_ptrIjEEEESE_SE_jNS9_4plusIvEENS9_8equal_toIvEEjEE10hipError_tPvRmT2_T3_T4_T5_mT6_T7_P12ihipStream_tbENKUlT_T0_E_clISt17integral_constantIbLb0EESY_IbLb1EEEEDaSU_SV_EUlSU_E_NS1_11comp_targetILNS1_3genE8ELNS1_11target_archE1030ELNS1_3gpuE2ELNS1_3repE0EEENS1_30default_config_static_selectorELNS0_4arch9wavefront6targetE0EEEvT1_.num_vgpr, 0
	.set _ZN7rocprim17ROCPRIM_400000_NS6detail17trampoline_kernelINS0_14default_configENS1_27scan_by_key_config_selectorIjjEEZZNS1_16scan_by_key_implILNS1_25lookback_scan_determinismE0ELb0ES3_N6thrust23THRUST_200600_302600_NS6detail15normal_iteratorINS9_10device_ptrIjEEEESE_SE_jNS9_4plusIvEENS9_8equal_toIvEEjEE10hipError_tPvRmT2_T3_T4_T5_mT6_T7_P12ihipStream_tbENKUlT_T0_E_clISt17integral_constantIbLb0EESY_IbLb1EEEEDaSU_SV_EUlSU_E_NS1_11comp_targetILNS1_3genE8ELNS1_11target_archE1030ELNS1_3gpuE2ELNS1_3repE0EEENS1_30default_config_static_selectorELNS0_4arch9wavefront6targetE0EEEvT1_.num_agpr, 0
	.set _ZN7rocprim17ROCPRIM_400000_NS6detail17trampoline_kernelINS0_14default_configENS1_27scan_by_key_config_selectorIjjEEZZNS1_16scan_by_key_implILNS1_25lookback_scan_determinismE0ELb0ES3_N6thrust23THRUST_200600_302600_NS6detail15normal_iteratorINS9_10device_ptrIjEEEESE_SE_jNS9_4plusIvEENS9_8equal_toIvEEjEE10hipError_tPvRmT2_T3_T4_T5_mT6_T7_P12ihipStream_tbENKUlT_T0_E_clISt17integral_constantIbLb0EESY_IbLb1EEEEDaSU_SV_EUlSU_E_NS1_11comp_targetILNS1_3genE8ELNS1_11target_archE1030ELNS1_3gpuE2ELNS1_3repE0EEENS1_30default_config_static_selectorELNS0_4arch9wavefront6targetE0EEEvT1_.numbered_sgpr, 0
	.set _ZN7rocprim17ROCPRIM_400000_NS6detail17trampoline_kernelINS0_14default_configENS1_27scan_by_key_config_selectorIjjEEZZNS1_16scan_by_key_implILNS1_25lookback_scan_determinismE0ELb0ES3_N6thrust23THRUST_200600_302600_NS6detail15normal_iteratorINS9_10device_ptrIjEEEESE_SE_jNS9_4plusIvEENS9_8equal_toIvEEjEE10hipError_tPvRmT2_T3_T4_T5_mT6_T7_P12ihipStream_tbENKUlT_T0_E_clISt17integral_constantIbLb0EESY_IbLb1EEEEDaSU_SV_EUlSU_E_NS1_11comp_targetILNS1_3genE8ELNS1_11target_archE1030ELNS1_3gpuE2ELNS1_3repE0EEENS1_30default_config_static_selectorELNS0_4arch9wavefront6targetE0EEEvT1_.num_named_barrier, 0
	.set _ZN7rocprim17ROCPRIM_400000_NS6detail17trampoline_kernelINS0_14default_configENS1_27scan_by_key_config_selectorIjjEEZZNS1_16scan_by_key_implILNS1_25lookback_scan_determinismE0ELb0ES3_N6thrust23THRUST_200600_302600_NS6detail15normal_iteratorINS9_10device_ptrIjEEEESE_SE_jNS9_4plusIvEENS9_8equal_toIvEEjEE10hipError_tPvRmT2_T3_T4_T5_mT6_T7_P12ihipStream_tbENKUlT_T0_E_clISt17integral_constantIbLb0EESY_IbLb1EEEEDaSU_SV_EUlSU_E_NS1_11comp_targetILNS1_3genE8ELNS1_11target_archE1030ELNS1_3gpuE2ELNS1_3repE0EEENS1_30default_config_static_selectorELNS0_4arch9wavefront6targetE0EEEvT1_.private_seg_size, 0
	.set _ZN7rocprim17ROCPRIM_400000_NS6detail17trampoline_kernelINS0_14default_configENS1_27scan_by_key_config_selectorIjjEEZZNS1_16scan_by_key_implILNS1_25lookback_scan_determinismE0ELb0ES3_N6thrust23THRUST_200600_302600_NS6detail15normal_iteratorINS9_10device_ptrIjEEEESE_SE_jNS9_4plusIvEENS9_8equal_toIvEEjEE10hipError_tPvRmT2_T3_T4_T5_mT6_T7_P12ihipStream_tbENKUlT_T0_E_clISt17integral_constantIbLb0EESY_IbLb1EEEEDaSU_SV_EUlSU_E_NS1_11comp_targetILNS1_3genE8ELNS1_11target_archE1030ELNS1_3gpuE2ELNS1_3repE0EEENS1_30default_config_static_selectorELNS0_4arch9wavefront6targetE0EEEvT1_.uses_vcc, 0
	.set _ZN7rocprim17ROCPRIM_400000_NS6detail17trampoline_kernelINS0_14default_configENS1_27scan_by_key_config_selectorIjjEEZZNS1_16scan_by_key_implILNS1_25lookback_scan_determinismE0ELb0ES3_N6thrust23THRUST_200600_302600_NS6detail15normal_iteratorINS9_10device_ptrIjEEEESE_SE_jNS9_4plusIvEENS9_8equal_toIvEEjEE10hipError_tPvRmT2_T3_T4_T5_mT6_T7_P12ihipStream_tbENKUlT_T0_E_clISt17integral_constantIbLb0EESY_IbLb1EEEEDaSU_SV_EUlSU_E_NS1_11comp_targetILNS1_3genE8ELNS1_11target_archE1030ELNS1_3gpuE2ELNS1_3repE0EEENS1_30default_config_static_selectorELNS0_4arch9wavefront6targetE0EEEvT1_.uses_flat_scratch, 0
	.set _ZN7rocprim17ROCPRIM_400000_NS6detail17trampoline_kernelINS0_14default_configENS1_27scan_by_key_config_selectorIjjEEZZNS1_16scan_by_key_implILNS1_25lookback_scan_determinismE0ELb0ES3_N6thrust23THRUST_200600_302600_NS6detail15normal_iteratorINS9_10device_ptrIjEEEESE_SE_jNS9_4plusIvEENS9_8equal_toIvEEjEE10hipError_tPvRmT2_T3_T4_T5_mT6_T7_P12ihipStream_tbENKUlT_T0_E_clISt17integral_constantIbLb0EESY_IbLb1EEEEDaSU_SV_EUlSU_E_NS1_11comp_targetILNS1_3genE8ELNS1_11target_archE1030ELNS1_3gpuE2ELNS1_3repE0EEENS1_30default_config_static_selectorELNS0_4arch9wavefront6targetE0EEEvT1_.has_dyn_sized_stack, 0
	.set _ZN7rocprim17ROCPRIM_400000_NS6detail17trampoline_kernelINS0_14default_configENS1_27scan_by_key_config_selectorIjjEEZZNS1_16scan_by_key_implILNS1_25lookback_scan_determinismE0ELb0ES3_N6thrust23THRUST_200600_302600_NS6detail15normal_iteratorINS9_10device_ptrIjEEEESE_SE_jNS9_4plusIvEENS9_8equal_toIvEEjEE10hipError_tPvRmT2_T3_T4_T5_mT6_T7_P12ihipStream_tbENKUlT_T0_E_clISt17integral_constantIbLb0EESY_IbLb1EEEEDaSU_SV_EUlSU_E_NS1_11comp_targetILNS1_3genE8ELNS1_11target_archE1030ELNS1_3gpuE2ELNS1_3repE0EEENS1_30default_config_static_selectorELNS0_4arch9wavefront6targetE0EEEvT1_.has_recursion, 0
	.set _ZN7rocprim17ROCPRIM_400000_NS6detail17trampoline_kernelINS0_14default_configENS1_27scan_by_key_config_selectorIjjEEZZNS1_16scan_by_key_implILNS1_25lookback_scan_determinismE0ELb0ES3_N6thrust23THRUST_200600_302600_NS6detail15normal_iteratorINS9_10device_ptrIjEEEESE_SE_jNS9_4plusIvEENS9_8equal_toIvEEjEE10hipError_tPvRmT2_T3_T4_T5_mT6_T7_P12ihipStream_tbENKUlT_T0_E_clISt17integral_constantIbLb0EESY_IbLb1EEEEDaSU_SV_EUlSU_E_NS1_11comp_targetILNS1_3genE8ELNS1_11target_archE1030ELNS1_3gpuE2ELNS1_3repE0EEENS1_30default_config_static_selectorELNS0_4arch9wavefront6targetE0EEEvT1_.has_indirect_call, 0
	.section	.AMDGPU.csdata,"",@progbits
; Kernel info:
; codeLenInByte = 0
; TotalNumSgprs: 0
; NumVgprs: 0
; ScratchSize: 0
; MemoryBound: 0
; FloatMode: 240
; IeeeMode: 1
; LDSByteSize: 0 bytes/workgroup (compile time only)
; SGPRBlocks: 0
; VGPRBlocks: 0
; NumSGPRsForWavesPerEU: 1
; NumVGPRsForWavesPerEU: 1
; NamedBarCnt: 0
; Occupancy: 16
; WaveLimiterHint : 0
; COMPUTE_PGM_RSRC2:SCRATCH_EN: 0
; COMPUTE_PGM_RSRC2:USER_SGPR: 2
; COMPUTE_PGM_RSRC2:TRAP_HANDLER: 0
; COMPUTE_PGM_RSRC2:TGID_X_EN: 1
; COMPUTE_PGM_RSRC2:TGID_Y_EN: 0
; COMPUTE_PGM_RSRC2:TGID_Z_EN: 0
; COMPUTE_PGM_RSRC2:TIDIG_COMP_CNT: 0
	.section	.text._ZN6thrust23THRUST_200600_302600_NS11hip_rocprim14__parallel_for6kernelILj256ENS1_10for_each_fINS0_10device_ptrI11FixedVectorIiLj1EEEENS0_6detail16wrapped_functionINS9_23allocator_traits_detail5gozerEvEEEElLj1EEEvT0_T1_SG_,"axG",@progbits,_ZN6thrust23THRUST_200600_302600_NS11hip_rocprim14__parallel_for6kernelILj256ENS1_10for_each_fINS0_10device_ptrI11FixedVectorIiLj1EEEENS0_6detail16wrapped_functionINS9_23allocator_traits_detail5gozerEvEEEElLj1EEEvT0_T1_SG_,comdat
	.protected	_ZN6thrust23THRUST_200600_302600_NS11hip_rocprim14__parallel_for6kernelILj256ENS1_10for_each_fINS0_10device_ptrI11FixedVectorIiLj1EEEENS0_6detail16wrapped_functionINS9_23allocator_traits_detail5gozerEvEEEElLj1EEEvT0_T1_SG_ ; -- Begin function _ZN6thrust23THRUST_200600_302600_NS11hip_rocprim14__parallel_for6kernelILj256ENS1_10for_each_fINS0_10device_ptrI11FixedVectorIiLj1EEEENS0_6detail16wrapped_functionINS9_23allocator_traits_detail5gozerEvEEEElLj1EEEvT0_T1_SG_
	.globl	_ZN6thrust23THRUST_200600_302600_NS11hip_rocprim14__parallel_for6kernelILj256ENS1_10for_each_fINS0_10device_ptrI11FixedVectorIiLj1EEEENS0_6detail16wrapped_functionINS9_23allocator_traits_detail5gozerEvEEEElLj1EEEvT0_T1_SG_
	.p2align	8
	.type	_ZN6thrust23THRUST_200600_302600_NS11hip_rocprim14__parallel_for6kernelILj256ENS1_10for_each_fINS0_10device_ptrI11FixedVectorIiLj1EEEENS0_6detail16wrapped_functionINS9_23allocator_traits_detail5gozerEvEEEElLj1EEEvT0_T1_SG_,@function
_ZN6thrust23THRUST_200600_302600_NS11hip_rocprim14__parallel_for6kernelILj256ENS1_10for_each_fINS0_10device_ptrI11FixedVectorIiLj1EEEENS0_6detail16wrapped_functionINS9_23allocator_traits_detail5gozerEvEEEElLj1EEEvT0_T1_SG_: ; @_ZN6thrust23THRUST_200600_302600_NS11hip_rocprim14__parallel_for6kernelILj256ENS1_10for_each_fINS0_10device_ptrI11FixedVectorIiLj1EEEENS0_6detail16wrapped_functionINS9_23allocator_traits_detail5gozerEvEEEElLj1EEEvT0_T1_SG_
; %bb.0:
	s_endpgm
	.section	.rodata,"a",@progbits
	.p2align	6, 0x0
	.amdhsa_kernel _ZN6thrust23THRUST_200600_302600_NS11hip_rocprim14__parallel_for6kernelILj256ENS1_10for_each_fINS0_10device_ptrI11FixedVectorIiLj1EEEENS0_6detail16wrapped_functionINS9_23allocator_traits_detail5gozerEvEEEElLj1EEEvT0_T1_SG_
		.amdhsa_group_segment_fixed_size 0
		.amdhsa_private_segment_fixed_size 0
		.amdhsa_kernarg_size 32
		.amdhsa_user_sgpr_count 2
		.amdhsa_user_sgpr_dispatch_ptr 0
		.amdhsa_user_sgpr_queue_ptr 0
		.amdhsa_user_sgpr_kernarg_segment_ptr 1
		.amdhsa_user_sgpr_dispatch_id 0
		.amdhsa_user_sgpr_kernarg_preload_length 0
		.amdhsa_user_sgpr_kernarg_preload_offset 0
		.amdhsa_user_sgpr_private_segment_size 0
		.amdhsa_wavefront_size32 1
		.amdhsa_uses_dynamic_stack 0
		.amdhsa_enable_private_segment 0
		.amdhsa_system_sgpr_workgroup_id_x 1
		.amdhsa_system_sgpr_workgroup_id_y 0
		.amdhsa_system_sgpr_workgroup_id_z 0
		.amdhsa_system_sgpr_workgroup_info 0
		.amdhsa_system_vgpr_workitem_id 0
		.amdhsa_next_free_vgpr 1
		.amdhsa_next_free_sgpr 1
		.amdhsa_named_barrier_count 0
		.amdhsa_reserve_vcc 0
		.amdhsa_float_round_mode_32 0
		.amdhsa_float_round_mode_16_64 0
		.amdhsa_float_denorm_mode_32 3
		.amdhsa_float_denorm_mode_16_64 3
		.amdhsa_fp16_overflow 0
		.amdhsa_memory_ordered 1
		.amdhsa_forward_progress 1
		.amdhsa_inst_pref_size 1
		.amdhsa_round_robin_scheduling 0
		.amdhsa_exception_fp_ieee_invalid_op 0
		.amdhsa_exception_fp_denorm_src 0
		.amdhsa_exception_fp_ieee_div_zero 0
		.amdhsa_exception_fp_ieee_overflow 0
		.amdhsa_exception_fp_ieee_underflow 0
		.amdhsa_exception_fp_ieee_inexact 0
		.amdhsa_exception_int_div_zero 0
	.end_amdhsa_kernel
	.section	.text._ZN6thrust23THRUST_200600_302600_NS11hip_rocprim14__parallel_for6kernelILj256ENS1_10for_each_fINS0_10device_ptrI11FixedVectorIiLj1EEEENS0_6detail16wrapped_functionINS9_23allocator_traits_detail5gozerEvEEEElLj1EEEvT0_T1_SG_,"axG",@progbits,_ZN6thrust23THRUST_200600_302600_NS11hip_rocprim14__parallel_for6kernelILj256ENS1_10for_each_fINS0_10device_ptrI11FixedVectorIiLj1EEEENS0_6detail16wrapped_functionINS9_23allocator_traits_detail5gozerEvEEEElLj1EEEvT0_T1_SG_,comdat
.Lfunc_end1865:
	.size	_ZN6thrust23THRUST_200600_302600_NS11hip_rocprim14__parallel_for6kernelILj256ENS1_10for_each_fINS0_10device_ptrI11FixedVectorIiLj1EEEENS0_6detail16wrapped_functionINS9_23allocator_traits_detail5gozerEvEEEElLj1EEEvT0_T1_SG_, .Lfunc_end1865-_ZN6thrust23THRUST_200600_302600_NS11hip_rocprim14__parallel_for6kernelILj256ENS1_10for_each_fINS0_10device_ptrI11FixedVectorIiLj1EEEENS0_6detail16wrapped_functionINS9_23allocator_traits_detail5gozerEvEEEElLj1EEEvT0_T1_SG_
                                        ; -- End function
	.set _ZN6thrust23THRUST_200600_302600_NS11hip_rocprim14__parallel_for6kernelILj256ENS1_10for_each_fINS0_10device_ptrI11FixedVectorIiLj1EEEENS0_6detail16wrapped_functionINS9_23allocator_traits_detail5gozerEvEEEElLj1EEEvT0_T1_SG_.num_vgpr, 0
	.set _ZN6thrust23THRUST_200600_302600_NS11hip_rocprim14__parallel_for6kernelILj256ENS1_10for_each_fINS0_10device_ptrI11FixedVectorIiLj1EEEENS0_6detail16wrapped_functionINS9_23allocator_traits_detail5gozerEvEEEElLj1EEEvT0_T1_SG_.num_agpr, 0
	.set _ZN6thrust23THRUST_200600_302600_NS11hip_rocprim14__parallel_for6kernelILj256ENS1_10for_each_fINS0_10device_ptrI11FixedVectorIiLj1EEEENS0_6detail16wrapped_functionINS9_23allocator_traits_detail5gozerEvEEEElLj1EEEvT0_T1_SG_.numbered_sgpr, 0
	.set _ZN6thrust23THRUST_200600_302600_NS11hip_rocprim14__parallel_for6kernelILj256ENS1_10for_each_fINS0_10device_ptrI11FixedVectorIiLj1EEEENS0_6detail16wrapped_functionINS9_23allocator_traits_detail5gozerEvEEEElLj1EEEvT0_T1_SG_.num_named_barrier, 0
	.set _ZN6thrust23THRUST_200600_302600_NS11hip_rocprim14__parallel_for6kernelILj256ENS1_10for_each_fINS0_10device_ptrI11FixedVectorIiLj1EEEENS0_6detail16wrapped_functionINS9_23allocator_traits_detail5gozerEvEEEElLj1EEEvT0_T1_SG_.private_seg_size, 0
	.set _ZN6thrust23THRUST_200600_302600_NS11hip_rocprim14__parallel_for6kernelILj256ENS1_10for_each_fINS0_10device_ptrI11FixedVectorIiLj1EEEENS0_6detail16wrapped_functionINS9_23allocator_traits_detail5gozerEvEEEElLj1EEEvT0_T1_SG_.uses_vcc, 0
	.set _ZN6thrust23THRUST_200600_302600_NS11hip_rocprim14__parallel_for6kernelILj256ENS1_10for_each_fINS0_10device_ptrI11FixedVectorIiLj1EEEENS0_6detail16wrapped_functionINS9_23allocator_traits_detail5gozerEvEEEElLj1EEEvT0_T1_SG_.uses_flat_scratch, 0
	.set _ZN6thrust23THRUST_200600_302600_NS11hip_rocprim14__parallel_for6kernelILj256ENS1_10for_each_fINS0_10device_ptrI11FixedVectorIiLj1EEEENS0_6detail16wrapped_functionINS9_23allocator_traits_detail5gozerEvEEEElLj1EEEvT0_T1_SG_.has_dyn_sized_stack, 0
	.set _ZN6thrust23THRUST_200600_302600_NS11hip_rocprim14__parallel_for6kernelILj256ENS1_10for_each_fINS0_10device_ptrI11FixedVectorIiLj1EEEENS0_6detail16wrapped_functionINS9_23allocator_traits_detail5gozerEvEEEElLj1EEEvT0_T1_SG_.has_recursion, 0
	.set _ZN6thrust23THRUST_200600_302600_NS11hip_rocprim14__parallel_for6kernelILj256ENS1_10for_each_fINS0_10device_ptrI11FixedVectorIiLj1EEEENS0_6detail16wrapped_functionINS9_23allocator_traits_detail5gozerEvEEEElLj1EEEvT0_T1_SG_.has_indirect_call, 0
	.section	.AMDGPU.csdata,"",@progbits
; Kernel info:
; codeLenInByte = 4
; TotalNumSgprs: 0
; NumVgprs: 0
; ScratchSize: 0
; MemoryBound: 0
; FloatMode: 240
; IeeeMode: 1
; LDSByteSize: 0 bytes/workgroup (compile time only)
; SGPRBlocks: 0
; VGPRBlocks: 0
; NumSGPRsForWavesPerEU: 1
; NumVGPRsForWavesPerEU: 1
; NamedBarCnt: 0
; Occupancy: 16
; WaveLimiterHint : 0
; COMPUTE_PGM_RSRC2:SCRATCH_EN: 0
; COMPUTE_PGM_RSRC2:USER_SGPR: 2
; COMPUTE_PGM_RSRC2:TRAP_HANDLER: 0
; COMPUTE_PGM_RSRC2:TGID_X_EN: 1
; COMPUTE_PGM_RSRC2:TGID_Y_EN: 0
; COMPUTE_PGM_RSRC2:TGID_Z_EN: 0
; COMPUTE_PGM_RSRC2:TIDIG_COMP_CNT: 0
	.section	.text._ZN6thrust23THRUST_200600_302600_NS11hip_rocprim14__parallel_for6kernelILj256ENS1_10for_each_fINS0_10device_ptrI11FixedVectorIiLj1EEEENS0_6detail16wrapped_functionINS9_23allocator_traits_detail24construct1_via_allocatorINS0_16device_allocatorIS7_EEEEvEEEEmLj1EEEvT0_T1_SJ_,"axG",@progbits,_ZN6thrust23THRUST_200600_302600_NS11hip_rocprim14__parallel_for6kernelILj256ENS1_10for_each_fINS0_10device_ptrI11FixedVectorIiLj1EEEENS0_6detail16wrapped_functionINS9_23allocator_traits_detail24construct1_via_allocatorINS0_16device_allocatorIS7_EEEEvEEEEmLj1EEEvT0_T1_SJ_,comdat
	.protected	_ZN6thrust23THRUST_200600_302600_NS11hip_rocprim14__parallel_for6kernelILj256ENS1_10for_each_fINS0_10device_ptrI11FixedVectorIiLj1EEEENS0_6detail16wrapped_functionINS9_23allocator_traits_detail24construct1_via_allocatorINS0_16device_allocatorIS7_EEEEvEEEEmLj1EEEvT0_T1_SJ_ ; -- Begin function _ZN6thrust23THRUST_200600_302600_NS11hip_rocprim14__parallel_for6kernelILj256ENS1_10for_each_fINS0_10device_ptrI11FixedVectorIiLj1EEEENS0_6detail16wrapped_functionINS9_23allocator_traits_detail24construct1_via_allocatorINS0_16device_allocatorIS7_EEEEvEEEEmLj1EEEvT0_T1_SJ_
	.globl	_ZN6thrust23THRUST_200600_302600_NS11hip_rocprim14__parallel_for6kernelILj256ENS1_10for_each_fINS0_10device_ptrI11FixedVectorIiLj1EEEENS0_6detail16wrapped_functionINS9_23allocator_traits_detail24construct1_via_allocatorINS0_16device_allocatorIS7_EEEEvEEEEmLj1EEEvT0_T1_SJ_
	.p2align	8
	.type	_ZN6thrust23THRUST_200600_302600_NS11hip_rocprim14__parallel_for6kernelILj256ENS1_10for_each_fINS0_10device_ptrI11FixedVectorIiLj1EEEENS0_6detail16wrapped_functionINS9_23allocator_traits_detail24construct1_via_allocatorINS0_16device_allocatorIS7_EEEEvEEEEmLj1EEEvT0_T1_SJ_,@function
_ZN6thrust23THRUST_200600_302600_NS11hip_rocprim14__parallel_for6kernelILj256ENS1_10for_each_fINS0_10device_ptrI11FixedVectorIiLj1EEEENS0_6detail16wrapped_functionINS9_23allocator_traits_detail24construct1_via_allocatorINS0_16device_allocatorIS7_EEEEvEEEEmLj1EEEvT0_T1_SJ_: ; @_ZN6thrust23THRUST_200600_302600_NS11hip_rocprim14__parallel_for6kernelILj256ENS1_10for_each_fINS0_10device_ptrI11FixedVectorIiLj1EEEENS0_6detail16wrapped_functionINS9_23allocator_traits_detail24construct1_via_allocatorINS0_16device_allocatorIS7_EEEEvEEEEmLj1EEEvT0_T1_SJ_
; %bb.0:
	s_load_b128 s[4:7], s[0:1], 0x10
	s_bfe_u32 s2, ttmp6, 0x4000c
	s_and_b32 s3, ttmp6, 15
	s_add_co_i32 s2, s2, 1
	s_getreg_b32 s8, hwreg(HW_REG_IB_STS2, 6, 4)
	s_mul_i32 s2, ttmp9, s2
	s_wait_xcnt 0x0
	s_load_b64 s[0:1], s[0:1], 0x0
	s_add_co_i32 s3, s3, s2
	s_cmp_eq_u32 s8, 0
	s_cselect_b32 s2, ttmp9, s3
	s_mov_b32 s3, 0
	s_lshl_b32 s2, s2, 8
	s_wait_kmcnt 0x0
	s_add_nc_u64 s[2:3], s[6:7], s[2:3]
	s_delay_alu instid0(SALU_CYCLE_1) | instskip(NEXT) | instid1(SALU_CYCLE_1)
	s_sub_nc_u64 s[4:5], s[4:5], s[2:3]
	v_cmp_lt_u64_e64 s5, 0xff, s[4:5]
	s_and_b32 vcc_lo, exec_lo, s5
	s_mov_b32 s5, -1
	s_cbranch_vccz .LBB1866_3
; %bb.1:
	s_and_not1_b32 vcc_lo, exec_lo, s5
	s_cbranch_vccz .LBB1866_6
.LBB1866_2:
	s_endpgm
.LBB1866_3:
	v_cmp_gt_u32_e32 vcc_lo, s4, v0
	s_and_saveexec_b32 s4, vcc_lo
	s_cbranch_execz .LBB1866_5
; %bb.4:
	v_mov_b32_e32 v1, 0
	s_lshl_b64 s[6:7], s[2:3], 2
	s_delay_alu instid0(SALU_CYCLE_1)
	s_add_nc_u64 s[6:7], s[0:1], s[6:7]
	flat_store_b32 v0, v1, s[6:7] scale_offset
.LBB1866_5:
	s_wait_xcnt 0x0
	s_or_b32 exec_lo, exec_lo, s4
	s_cbranch_execnz .LBB1866_2
.LBB1866_6:
	v_mov_b32_e32 v1, 0
	s_lshl_b64 s[2:3], s[2:3], 2
	s_delay_alu instid0(SALU_CYCLE_1)
	s_add_nc_u64 s[0:1], s[0:1], s[2:3]
	flat_store_b32 v0, v1, s[0:1] scale_offset
	s_endpgm
	.section	.rodata,"a",@progbits
	.p2align	6, 0x0
	.amdhsa_kernel _ZN6thrust23THRUST_200600_302600_NS11hip_rocprim14__parallel_for6kernelILj256ENS1_10for_each_fINS0_10device_ptrI11FixedVectorIiLj1EEEENS0_6detail16wrapped_functionINS9_23allocator_traits_detail24construct1_via_allocatorINS0_16device_allocatorIS7_EEEEvEEEEmLj1EEEvT0_T1_SJ_
		.amdhsa_group_segment_fixed_size 0
		.amdhsa_private_segment_fixed_size 0
		.amdhsa_kernarg_size 32
		.amdhsa_user_sgpr_count 2
		.amdhsa_user_sgpr_dispatch_ptr 0
		.amdhsa_user_sgpr_queue_ptr 0
		.amdhsa_user_sgpr_kernarg_segment_ptr 1
		.amdhsa_user_sgpr_dispatch_id 0
		.amdhsa_user_sgpr_kernarg_preload_length 0
		.amdhsa_user_sgpr_kernarg_preload_offset 0
		.amdhsa_user_sgpr_private_segment_size 0
		.amdhsa_wavefront_size32 1
		.amdhsa_uses_dynamic_stack 0
		.amdhsa_enable_private_segment 0
		.amdhsa_system_sgpr_workgroup_id_x 1
		.amdhsa_system_sgpr_workgroup_id_y 0
		.amdhsa_system_sgpr_workgroup_id_z 0
		.amdhsa_system_sgpr_workgroup_info 0
		.amdhsa_system_vgpr_workitem_id 0
		.amdhsa_next_free_vgpr 2
		.amdhsa_next_free_sgpr 9
		.amdhsa_named_barrier_count 0
		.amdhsa_reserve_vcc 1
		.amdhsa_float_round_mode_32 0
		.amdhsa_float_round_mode_16_64 0
		.amdhsa_float_denorm_mode_32 3
		.amdhsa_float_denorm_mode_16_64 3
		.amdhsa_fp16_overflow 0
		.amdhsa_memory_ordered 1
		.amdhsa_forward_progress 1
		.amdhsa_inst_pref_size 2
		.amdhsa_round_robin_scheduling 0
		.amdhsa_exception_fp_ieee_invalid_op 0
		.amdhsa_exception_fp_denorm_src 0
		.amdhsa_exception_fp_ieee_div_zero 0
		.amdhsa_exception_fp_ieee_overflow 0
		.amdhsa_exception_fp_ieee_underflow 0
		.amdhsa_exception_fp_ieee_inexact 0
		.amdhsa_exception_int_div_zero 0
	.end_amdhsa_kernel
	.section	.text._ZN6thrust23THRUST_200600_302600_NS11hip_rocprim14__parallel_for6kernelILj256ENS1_10for_each_fINS0_10device_ptrI11FixedVectorIiLj1EEEENS0_6detail16wrapped_functionINS9_23allocator_traits_detail24construct1_via_allocatorINS0_16device_allocatorIS7_EEEEvEEEEmLj1EEEvT0_T1_SJ_,"axG",@progbits,_ZN6thrust23THRUST_200600_302600_NS11hip_rocprim14__parallel_for6kernelILj256ENS1_10for_each_fINS0_10device_ptrI11FixedVectorIiLj1EEEENS0_6detail16wrapped_functionINS9_23allocator_traits_detail24construct1_via_allocatorINS0_16device_allocatorIS7_EEEEvEEEEmLj1EEEvT0_T1_SJ_,comdat
.Lfunc_end1866:
	.size	_ZN6thrust23THRUST_200600_302600_NS11hip_rocprim14__parallel_for6kernelILj256ENS1_10for_each_fINS0_10device_ptrI11FixedVectorIiLj1EEEENS0_6detail16wrapped_functionINS9_23allocator_traits_detail24construct1_via_allocatorINS0_16device_allocatorIS7_EEEEvEEEEmLj1EEEvT0_T1_SJ_, .Lfunc_end1866-_ZN6thrust23THRUST_200600_302600_NS11hip_rocprim14__parallel_for6kernelILj256ENS1_10for_each_fINS0_10device_ptrI11FixedVectorIiLj1EEEENS0_6detail16wrapped_functionINS9_23allocator_traits_detail24construct1_via_allocatorINS0_16device_allocatorIS7_EEEEvEEEEmLj1EEEvT0_T1_SJ_
                                        ; -- End function
	.set _ZN6thrust23THRUST_200600_302600_NS11hip_rocprim14__parallel_for6kernelILj256ENS1_10for_each_fINS0_10device_ptrI11FixedVectorIiLj1EEEENS0_6detail16wrapped_functionINS9_23allocator_traits_detail24construct1_via_allocatorINS0_16device_allocatorIS7_EEEEvEEEEmLj1EEEvT0_T1_SJ_.num_vgpr, 2
	.set _ZN6thrust23THRUST_200600_302600_NS11hip_rocprim14__parallel_for6kernelILj256ENS1_10for_each_fINS0_10device_ptrI11FixedVectorIiLj1EEEENS0_6detail16wrapped_functionINS9_23allocator_traits_detail24construct1_via_allocatorINS0_16device_allocatorIS7_EEEEvEEEEmLj1EEEvT0_T1_SJ_.num_agpr, 0
	.set _ZN6thrust23THRUST_200600_302600_NS11hip_rocprim14__parallel_for6kernelILj256ENS1_10for_each_fINS0_10device_ptrI11FixedVectorIiLj1EEEENS0_6detail16wrapped_functionINS9_23allocator_traits_detail24construct1_via_allocatorINS0_16device_allocatorIS7_EEEEvEEEEmLj1EEEvT0_T1_SJ_.numbered_sgpr, 9
	.set _ZN6thrust23THRUST_200600_302600_NS11hip_rocprim14__parallel_for6kernelILj256ENS1_10for_each_fINS0_10device_ptrI11FixedVectorIiLj1EEEENS0_6detail16wrapped_functionINS9_23allocator_traits_detail24construct1_via_allocatorINS0_16device_allocatorIS7_EEEEvEEEEmLj1EEEvT0_T1_SJ_.num_named_barrier, 0
	.set _ZN6thrust23THRUST_200600_302600_NS11hip_rocprim14__parallel_for6kernelILj256ENS1_10for_each_fINS0_10device_ptrI11FixedVectorIiLj1EEEENS0_6detail16wrapped_functionINS9_23allocator_traits_detail24construct1_via_allocatorINS0_16device_allocatorIS7_EEEEvEEEEmLj1EEEvT0_T1_SJ_.private_seg_size, 0
	.set _ZN6thrust23THRUST_200600_302600_NS11hip_rocprim14__parallel_for6kernelILj256ENS1_10for_each_fINS0_10device_ptrI11FixedVectorIiLj1EEEENS0_6detail16wrapped_functionINS9_23allocator_traits_detail24construct1_via_allocatorINS0_16device_allocatorIS7_EEEEvEEEEmLj1EEEvT0_T1_SJ_.uses_vcc, 1
	.set _ZN6thrust23THRUST_200600_302600_NS11hip_rocprim14__parallel_for6kernelILj256ENS1_10for_each_fINS0_10device_ptrI11FixedVectorIiLj1EEEENS0_6detail16wrapped_functionINS9_23allocator_traits_detail24construct1_via_allocatorINS0_16device_allocatorIS7_EEEEvEEEEmLj1EEEvT0_T1_SJ_.uses_flat_scratch, 0
	.set _ZN6thrust23THRUST_200600_302600_NS11hip_rocprim14__parallel_for6kernelILj256ENS1_10for_each_fINS0_10device_ptrI11FixedVectorIiLj1EEEENS0_6detail16wrapped_functionINS9_23allocator_traits_detail24construct1_via_allocatorINS0_16device_allocatorIS7_EEEEvEEEEmLj1EEEvT0_T1_SJ_.has_dyn_sized_stack, 0
	.set _ZN6thrust23THRUST_200600_302600_NS11hip_rocprim14__parallel_for6kernelILj256ENS1_10for_each_fINS0_10device_ptrI11FixedVectorIiLj1EEEENS0_6detail16wrapped_functionINS9_23allocator_traits_detail24construct1_via_allocatorINS0_16device_allocatorIS7_EEEEvEEEEmLj1EEEvT0_T1_SJ_.has_recursion, 0
	.set _ZN6thrust23THRUST_200600_302600_NS11hip_rocprim14__parallel_for6kernelILj256ENS1_10for_each_fINS0_10device_ptrI11FixedVectorIiLj1EEEENS0_6detail16wrapped_functionINS9_23allocator_traits_detail24construct1_via_allocatorINS0_16device_allocatorIS7_EEEEvEEEEmLj1EEEvT0_T1_SJ_.has_indirect_call, 0
	.section	.AMDGPU.csdata,"",@progbits
; Kernel info:
; codeLenInByte = 200
; TotalNumSgprs: 11
; NumVgprs: 2
; ScratchSize: 0
; MemoryBound: 0
; FloatMode: 240
; IeeeMode: 1
; LDSByteSize: 0 bytes/workgroup (compile time only)
; SGPRBlocks: 0
; VGPRBlocks: 0
; NumSGPRsForWavesPerEU: 11
; NumVGPRsForWavesPerEU: 2
; NamedBarCnt: 0
; Occupancy: 16
; WaveLimiterHint : 0
; COMPUTE_PGM_RSRC2:SCRATCH_EN: 0
; COMPUTE_PGM_RSRC2:USER_SGPR: 2
; COMPUTE_PGM_RSRC2:TRAP_HANDLER: 0
; COMPUTE_PGM_RSRC2:TGID_X_EN: 1
; COMPUTE_PGM_RSRC2:TGID_Y_EN: 0
; COMPUTE_PGM_RSRC2:TGID_Z_EN: 0
; COMPUTE_PGM_RSRC2:TIDIG_COMP_CNT: 0
	.section	.text._ZN7rocprim17ROCPRIM_400000_NS6detail30init_device_scan_by_key_kernelINS1_19lookback_scan_stateINS0_5tupleIJ11FixedVectorIiLj1EEbEEELb0ELb1EEEN6thrust23THRUST_200600_302600_NS6detail15normal_iteratorINSA_10device_ptrIjEEEEjNS1_16block_id_wrapperIjLb0EEEEEvT_jjPNSI_10value_typeET0_PNSt15iterator_traitsISL_E10value_typeEmT1_T2_,"axG",@progbits,_ZN7rocprim17ROCPRIM_400000_NS6detail30init_device_scan_by_key_kernelINS1_19lookback_scan_stateINS0_5tupleIJ11FixedVectorIiLj1EEbEEELb0ELb1EEEN6thrust23THRUST_200600_302600_NS6detail15normal_iteratorINSA_10device_ptrIjEEEEjNS1_16block_id_wrapperIjLb0EEEEEvT_jjPNSI_10value_typeET0_PNSt15iterator_traitsISL_E10value_typeEmT1_T2_,comdat
	.protected	_ZN7rocprim17ROCPRIM_400000_NS6detail30init_device_scan_by_key_kernelINS1_19lookback_scan_stateINS0_5tupleIJ11FixedVectorIiLj1EEbEEELb0ELb1EEEN6thrust23THRUST_200600_302600_NS6detail15normal_iteratorINSA_10device_ptrIjEEEEjNS1_16block_id_wrapperIjLb0EEEEEvT_jjPNSI_10value_typeET0_PNSt15iterator_traitsISL_E10value_typeEmT1_T2_ ; -- Begin function _ZN7rocprim17ROCPRIM_400000_NS6detail30init_device_scan_by_key_kernelINS1_19lookback_scan_stateINS0_5tupleIJ11FixedVectorIiLj1EEbEEELb0ELb1EEEN6thrust23THRUST_200600_302600_NS6detail15normal_iteratorINSA_10device_ptrIjEEEEjNS1_16block_id_wrapperIjLb0EEEEEvT_jjPNSI_10value_typeET0_PNSt15iterator_traitsISL_E10value_typeEmT1_T2_
	.globl	_ZN7rocprim17ROCPRIM_400000_NS6detail30init_device_scan_by_key_kernelINS1_19lookback_scan_stateINS0_5tupleIJ11FixedVectorIiLj1EEbEEELb0ELb1EEEN6thrust23THRUST_200600_302600_NS6detail15normal_iteratorINSA_10device_ptrIjEEEEjNS1_16block_id_wrapperIjLb0EEEEEvT_jjPNSI_10value_typeET0_PNSt15iterator_traitsISL_E10value_typeEmT1_T2_
	.p2align	8
	.type	_ZN7rocprim17ROCPRIM_400000_NS6detail30init_device_scan_by_key_kernelINS1_19lookback_scan_stateINS0_5tupleIJ11FixedVectorIiLj1EEbEEELb0ELb1EEEN6thrust23THRUST_200600_302600_NS6detail15normal_iteratorINSA_10device_ptrIjEEEEjNS1_16block_id_wrapperIjLb0EEEEEvT_jjPNSI_10value_typeET0_PNSt15iterator_traitsISL_E10value_typeEmT1_T2_,@function
_ZN7rocprim17ROCPRIM_400000_NS6detail30init_device_scan_by_key_kernelINS1_19lookback_scan_stateINS0_5tupleIJ11FixedVectorIiLj1EEbEEELb0ELb1EEEN6thrust23THRUST_200600_302600_NS6detail15normal_iteratorINSA_10device_ptrIjEEEEjNS1_16block_id_wrapperIjLb0EEEEEvT_jjPNSI_10value_typeET0_PNSt15iterator_traitsISL_E10value_typeEmT1_T2_: ; @_ZN7rocprim17ROCPRIM_400000_NS6detail30init_device_scan_by_key_kernelINS1_19lookback_scan_stateINS0_5tupleIJ11FixedVectorIiLj1EEbEEELb0ELb1EEEN6thrust23THRUST_200600_302600_NS6detail15normal_iteratorINSA_10device_ptrIjEEEEjNS1_16block_id_wrapperIjLb0EEEEEvT_jjPNSI_10value_typeET0_PNSt15iterator_traitsISL_E10value_typeEmT1_T2_
; %bb.0:
	s_clause 0x2
	s_load_b32 s2, s[0:1], 0x44
	s_load_b32 s14, s[0:1], 0x38
	s_load_b256 s[4:11], s[0:1], 0x0
	s_bfe_u32 s3, ttmp6, 0x4000c
	s_and_b32 s12, ttmp6, 15
	s_add_co_i32 s3, s3, 1
	s_getreg_b32 s13, hwreg(HW_REG_IB_STS2, 6, 4)
	s_mul_i32 s3, ttmp9, s3
	s_delay_alu instid0(SALU_CYCLE_1)
	s_add_co_i32 s12, s12, s3
	s_wait_kmcnt 0x0
	s_and_b32 s15, s2, 0xffff
	s_cmp_eq_u32 s13, 0
	s_cselect_b32 s2, ttmp9, s12
	s_cmp_eq_u64 s[8:9], 0
	v_mad_u32 v4, s2, s15, v0
	s_cbranch_scc1 .LBB1867_8
; %bb.1:
	s_cmp_lt_u32 s7, s6
	s_mov_b32 s16, exec_lo
	s_cselect_b32 s2, s7, 0
	s_delay_alu instid0(VALU_DEP_1) | instid1(SALU_CYCLE_1)
	v_cmpx_eq_u32_e64 s2, v4
	s_cbranch_execz .LBB1867_7
; %bb.2:
	s_add_co_i32 s2, s7, 32
	s_mov_b32 s3, 0
	v_mov_b32_e32 v7, 0
	s_lshl_b64 s[12:13], s[2:3], 4
	s_mov_b32 s2, exec_lo
	s_add_nc_u64 s[12:13], s[4:5], s[12:13]
	s_delay_alu instid0(SALU_CYCLE_1) | instskip(SKIP_2) | instid1(VALU_DEP_1)
	v_mov_b64_e32 v[0:1], s[12:13]
	;;#ASMSTART
	global_load_b128 v[0:3], v[0:1] off scope:SCOPE_DEV	
s_wait_loadcnt 0x0
	;;#ASMEND
	v_and_b32_e32 v6, 0xff, v2
	v_cmpx_eq_u64_e32 0, v[6:7]
	s_cbranch_execz .LBB1867_6
; %bb.3:
	v_mov_b64_e32 v[8:9], s[12:13]
.LBB1867_4:                             ; =>This Inner Loop Header: Depth=1
	;;#ASMSTART
	global_load_b128 v[0:3], v[8:9] off scope:SCOPE_DEV	
s_wait_loadcnt 0x0
	;;#ASMEND
	v_and_b32_e32 v6, 0xff, v2
	s_delay_alu instid0(VALU_DEP_1) | instskip(SKIP_1) | instid1(SALU_CYCLE_1)
	v_cmp_ne_u64_e32 vcc_lo, 0, v[6:7]
	s_or_b32 s3, vcc_lo, s3
	s_and_not1_b32 exec_lo, exec_lo, s3
	s_cbranch_execnz .LBB1867_4
; %bb.5:
	s_or_b32 exec_lo, exec_lo, s3
.LBB1867_6:
	s_delay_alu instid0(SALU_CYCLE_1)
	s_or_b32 exec_lo, exec_lo, s2
	v_mov_b32_e32 v2, 0
	s_clause 0x1
	global_store_b32 v2, v0, s[8:9]
	global_store_b8 v2, v1, s[8:9] offset:4
.LBB1867_7:
	s_wait_xcnt 0x0
	s_or_b32 exec_lo, exec_lo, s16
.LBB1867_8:
	s_delay_alu instid0(SALU_CYCLE_1) | instskip(NEXT) | instid1(VALU_DEP_1)
	s_mov_b32 s2, exec_lo
	v_cmpx_gt_u32_e64 s6, v4
	s_cbranch_execz .LBB1867_10
; %bb.9:
	v_dual_mov_b32 v0, 0 :: v_dual_add_nc_u32 v5, 32, v4
	s_delay_alu instid0(VALU_DEP_1)
	v_dual_mov_b32 v1, v0 :: v_dual_mov_b32 v2, v0
	v_mov_b32_e32 v3, v0
	global_store_b128 v5, v[0:3], s[4:5] scale_offset
.LBB1867_10:
	s_wait_xcnt 0x0
	s_or_b32 exec_lo, exec_lo, s2
	v_mov_b32_e32 v5, 0
	s_mov_b32 s2, exec_lo
	v_cmpx_gt_u32_e32 32, v4
	s_cbranch_execz .LBB1867_12
; %bb.11:
	s_delay_alu instid0(VALU_DEP_2)
	v_lshl_add_u64 v[6:7], v[4:5], 4, s[4:5]
	v_dual_mov_b32 v2, 0xff :: v_dual_mov_b32 v1, v5
	v_dual_mov_b32 v0, v5 :: v_dual_mov_b32 v3, v5
	global_store_b128 v[6:7], v[0:3], off
.LBB1867_12:
	s_wait_xcnt 0x0
	s_or_b32 exec_lo, exec_lo, s2
	s_load_b64 s[2:3], s[0:1], 0x28
	s_mov_b32 s4, exec_lo
	s_wait_kmcnt 0x0
	v_cmpx_gt_u64_e64 s[2:3], v[4:5]
	s_cbranch_execz .LBB1867_15
; %bb.13:
	s_clause 0x1
	s_load_b32 s4, s[0:1], 0x30
	s_load_b64 s[6:7], s[0:1], 0x20
	s_mov_b32 s5, 0
	s_wait_xcnt 0x0
	s_mul_i32 s0, s14, s15
	s_mov_b32 s9, s5
	s_mov_b32 s1, s5
	s_wait_kmcnt 0x0
	v_mul_u64_e32 v[0:1], s[4:5], v[4:5]
	s_add_co_i32 s8, s4, -1
	v_lshl_add_u64 v[2:3], v[4:5], 2, s[6:7]
	s_lshl_b64 s[8:9], s[8:9], 2
	s_delay_alu instid0(SALU_CYCLE_1) | instskip(SKIP_1) | instid1(SALU_CYCLE_1)
	s_add_nc_u64 s[8:9], s[10:11], s[8:9]
	s_mul_u64 s[10:11], s[4:5], s[0:1]
	s_lshl_b64 s[6:7], s[10:11], 2
	s_delay_alu instid0(VALU_DEP_2)
	v_lshl_add_u64 v[0:1], v[0:1], 2, s[8:9]
	s_lshl_b64 s[8:9], s[0:1], 2
.LBB1867_14:                            ; =>This Inner Loop Header: Depth=1
	global_load_b32 v6, v[0:1], off
	v_add_nc_u64_e32 v[4:5], s[0:1], v[4:5]
	s_wait_xcnt 0x0
	v_add_nc_u64_e32 v[0:1], s[6:7], v[0:1]
	s_delay_alu instid0(VALU_DEP_2)
	v_cmp_le_u64_e32 vcc_lo, s[2:3], v[4:5]
	s_or_b32 s5, vcc_lo, s5
	s_wait_loadcnt 0x0
	global_store_b32 v[2:3], v6, off
	s_wait_xcnt 0x0
	v_add_nc_u64_e32 v[2:3], s[8:9], v[2:3]
	s_and_not1_b32 exec_lo, exec_lo, s5
	s_cbranch_execnz .LBB1867_14
.LBB1867_15:
	s_endpgm
	.section	.rodata,"a",@progbits
	.p2align	6, 0x0
	.amdhsa_kernel _ZN7rocprim17ROCPRIM_400000_NS6detail30init_device_scan_by_key_kernelINS1_19lookback_scan_stateINS0_5tupleIJ11FixedVectorIiLj1EEbEEELb0ELb1EEEN6thrust23THRUST_200600_302600_NS6detail15normal_iteratorINSA_10device_ptrIjEEEEjNS1_16block_id_wrapperIjLb0EEEEEvT_jjPNSI_10value_typeET0_PNSt15iterator_traitsISL_E10value_typeEmT1_T2_
		.amdhsa_group_segment_fixed_size 0
		.amdhsa_private_segment_fixed_size 0
		.amdhsa_kernarg_size 312
		.amdhsa_user_sgpr_count 2
		.amdhsa_user_sgpr_dispatch_ptr 0
		.amdhsa_user_sgpr_queue_ptr 0
		.amdhsa_user_sgpr_kernarg_segment_ptr 1
		.amdhsa_user_sgpr_dispatch_id 0
		.amdhsa_user_sgpr_kernarg_preload_length 0
		.amdhsa_user_sgpr_kernarg_preload_offset 0
		.amdhsa_user_sgpr_private_segment_size 0
		.amdhsa_wavefront_size32 1
		.amdhsa_uses_dynamic_stack 0
		.amdhsa_enable_private_segment 0
		.amdhsa_system_sgpr_workgroup_id_x 1
		.amdhsa_system_sgpr_workgroup_id_y 0
		.amdhsa_system_sgpr_workgroup_id_z 0
		.amdhsa_system_sgpr_workgroup_info 0
		.amdhsa_system_vgpr_workitem_id 0
		.amdhsa_next_free_vgpr 10
		.amdhsa_next_free_sgpr 17
		.amdhsa_named_barrier_count 0
		.amdhsa_reserve_vcc 1
		.amdhsa_float_round_mode_32 0
		.amdhsa_float_round_mode_16_64 0
		.amdhsa_float_denorm_mode_32 3
		.amdhsa_float_denorm_mode_16_64 3
		.amdhsa_fp16_overflow 0
		.amdhsa_memory_ordered 1
		.amdhsa_forward_progress 1
		.amdhsa_inst_pref_size 5
		.amdhsa_round_robin_scheduling 0
		.amdhsa_exception_fp_ieee_invalid_op 0
		.amdhsa_exception_fp_denorm_src 0
		.amdhsa_exception_fp_ieee_div_zero 0
		.amdhsa_exception_fp_ieee_overflow 0
		.amdhsa_exception_fp_ieee_underflow 0
		.amdhsa_exception_fp_ieee_inexact 0
		.amdhsa_exception_int_div_zero 0
	.end_amdhsa_kernel
	.section	.text._ZN7rocprim17ROCPRIM_400000_NS6detail30init_device_scan_by_key_kernelINS1_19lookback_scan_stateINS0_5tupleIJ11FixedVectorIiLj1EEbEEELb0ELb1EEEN6thrust23THRUST_200600_302600_NS6detail15normal_iteratorINSA_10device_ptrIjEEEEjNS1_16block_id_wrapperIjLb0EEEEEvT_jjPNSI_10value_typeET0_PNSt15iterator_traitsISL_E10value_typeEmT1_T2_,"axG",@progbits,_ZN7rocprim17ROCPRIM_400000_NS6detail30init_device_scan_by_key_kernelINS1_19lookback_scan_stateINS0_5tupleIJ11FixedVectorIiLj1EEbEEELb0ELb1EEEN6thrust23THRUST_200600_302600_NS6detail15normal_iteratorINSA_10device_ptrIjEEEEjNS1_16block_id_wrapperIjLb0EEEEEvT_jjPNSI_10value_typeET0_PNSt15iterator_traitsISL_E10value_typeEmT1_T2_,comdat
.Lfunc_end1867:
	.size	_ZN7rocprim17ROCPRIM_400000_NS6detail30init_device_scan_by_key_kernelINS1_19lookback_scan_stateINS0_5tupleIJ11FixedVectorIiLj1EEbEEELb0ELb1EEEN6thrust23THRUST_200600_302600_NS6detail15normal_iteratorINSA_10device_ptrIjEEEEjNS1_16block_id_wrapperIjLb0EEEEEvT_jjPNSI_10value_typeET0_PNSt15iterator_traitsISL_E10value_typeEmT1_T2_, .Lfunc_end1867-_ZN7rocprim17ROCPRIM_400000_NS6detail30init_device_scan_by_key_kernelINS1_19lookback_scan_stateINS0_5tupleIJ11FixedVectorIiLj1EEbEEELb0ELb1EEEN6thrust23THRUST_200600_302600_NS6detail15normal_iteratorINSA_10device_ptrIjEEEEjNS1_16block_id_wrapperIjLb0EEEEEvT_jjPNSI_10value_typeET0_PNSt15iterator_traitsISL_E10value_typeEmT1_T2_
                                        ; -- End function
	.set _ZN7rocprim17ROCPRIM_400000_NS6detail30init_device_scan_by_key_kernelINS1_19lookback_scan_stateINS0_5tupleIJ11FixedVectorIiLj1EEbEEELb0ELb1EEEN6thrust23THRUST_200600_302600_NS6detail15normal_iteratorINSA_10device_ptrIjEEEEjNS1_16block_id_wrapperIjLb0EEEEEvT_jjPNSI_10value_typeET0_PNSt15iterator_traitsISL_E10value_typeEmT1_T2_.num_vgpr, 10
	.set _ZN7rocprim17ROCPRIM_400000_NS6detail30init_device_scan_by_key_kernelINS1_19lookback_scan_stateINS0_5tupleIJ11FixedVectorIiLj1EEbEEELb0ELb1EEEN6thrust23THRUST_200600_302600_NS6detail15normal_iteratorINSA_10device_ptrIjEEEEjNS1_16block_id_wrapperIjLb0EEEEEvT_jjPNSI_10value_typeET0_PNSt15iterator_traitsISL_E10value_typeEmT1_T2_.num_agpr, 0
	.set _ZN7rocprim17ROCPRIM_400000_NS6detail30init_device_scan_by_key_kernelINS1_19lookback_scan_stateINS0_5tupleIJ11FixedVectorIiLj1EEbEEELb0ELb1EEEN6thrust23THRUST_200600_302600_NS6detail15normal_iteratorINSA_10device_ptrIjEEEEjNS1_16block_id_wrapperIjLb0EEEEEvT_jjPNSI_10value_typeET0_PNSt15iterator_traitsISL_E10value_typeEmT1_T2_.numbered_sgpr, 17
	.set _ZN7rocprim17ROCPRIM_400000_NS6detail30init_device_scan_by_key_kernelINS1_19lookback_scan_stateINS0_5tupleIJ11FixedVectorIiLj1EEbEEELb0ELb1EEEN6thrust23THRUST_200600_302600_NS6detail15normal_iteratorINSA_10device_ptrIjEEEEjNS1_16block_id_wrapperIjLb0EEEEEvT_jjPNSI_10value_typeET0_PNSt15iterator_traitsISL_E10value_typeEmT1_T2_.num_named_barrier, 0
	.set _ZN7rocprim17ROCPRIM_400000_NS6detail30init_device_scan_by_key_kernelINS1_19lookback_scan_stateINS0_5tupleIJ11FixedVectorIiLj1EEbEEELb0ELb1EEEN6thrust23THRUST_200600_302600_NS6detail15normal_iteratorINSA_10device_ptrIjEEEEjNS1_16block_id_wrapperIjLb0EEEEEvT_jjPNSI_10value_typeET0_PNSt15iterator_traitsISL_E10value_typeEmT1_T2_.private_seg_size, 0
	.set _ZN7rocprim17ROCPRIM_400000_NS6detail30init_device_scan_by_key_kernelINS1_19lookback_scan_stateINS0_5tupleIJ11FixedVectorIiLj1EEbEEELb0ELb1EEEN6thrust23THRUST_200600_302600_NS6detail15normal_iteratorINSA_10device_ptrIjEEEEjNS1_16block_id_wrapperIjLb0EEEEEvT_jjPNSI_10value_typeET0_PNSt15iterator_traitsISL_E10value_typeEmT1_T2_.uses_vcc, 1
	.set _ZN7rocprim17ROCPRIM_400000_NS6detail30init_device_scan_by_key_kernelINS1_19lookback_scan_stateINS0_5tupleIJ11FixedVectorIiLj1EEbEEELb0ELb1EEEN6thrust23THRUST_200600_302600_NS6detail15normal_iteratorINSA_10device_ptrIjEEEEjNS1_16block_id_wrapperIjLb0EEEEEvT_jjPNSI_10value_typeET0_PNSt15iterator_traitsISL_E10value_typeEmT1_T2_.uses_flat_scratch, 0
	.set _ZN7rocprim17ROCPRIM_400000_NS6detail30init_device_scan_by_key_kernelINS1_19lookback_scan_stateINS0_5tupleIJ11FixedVectorIiLj1EEbEEELb0ELb1EEEN6thrust23THRUST_200600_302600_NS6detail15normal_iteratorINSA_10device_ptrIjEEEEjNS1_16block_id_wrapperIjLb0EEEEEvT_jjPNSI_10value_typeET0_PNSt15iterator_traitsISL_E10value_typeEmT1_T2_.has_dyn_sized_stack, 0
	.set _ZN7rocprim17ROCPRIM_400000_NS6detail30init_device_scan_by_key_kernelINS1_19lookback_scan_stateINS0_5tupleIJ11FixedVectorIiLj1EEbEEELb0ELb1EEEN6thrust23THRUST_200600_302600_NS6detail15normal_iteratorINSA_10device_ptrIjEEEEjNS1_16block_id_wrapperIjLb0EEEEEvT_jjPNSI_10value_typeET0_PNSt15iterator_traitsISL_E10value_typeEmT1_T2_.has_recursion, 0
	.set _ZN7rocprim17ROCPRIM_400000_NS6detail30init_device_scan_by_key_kernelINS1_19lookback_scan_stateINS0_5tupleIJ11FixedVectorIiLj1EEbEEELb0ELb1EEEN6thrust23THRUST_200600_302600_NS6detail15normal_iteratorINSA_10device_ptrIjEEEEjNS1_16block_id_wrapperIjLb0EEEEEvT_jjPNSI_10value_typeET0_PNSt15iterator_traitsISL_E10value_typeEmT1_T2_.has_indirect_call, 0
	.section	.AMDGPU.csdata,"",@progbits
; Kernel info:
; codeLenInByte = 584
; TotalNumSgprs: 19
; NumVgprs: 10
; ScratchSize: 0
; MemoryBound: 0
; FloatMode: 240
; IeeeMode: 1
; LDSByteSize: 0 bytes/workgroup (compile time only)
; SGPRBlocks: 0
; VGPRBlocks: 0
; NumSGPRsForWavesPerEU: 19
; NumVGPRsForWavesPerEU: 10
; NamedBarCnt: 0
; Occupancy: 16
; WaveLimiterHint : 0
; COMPUTE_PGM_RSRC2:SCRATCH_EN: 0
; COMPUTE_PGM_RSRC2:USER_SGPR: 2
; COMPUTE_PGM_RSRC2:TRAP_HANDLER: 0
; COMPUTE_PGM_RSRC2:TGID_X_EN: 1
; COMPUTE_PGM_RSRC2:TGID_Y_EN: 0
; COMPUTE_PGM_RSRC2:TGID_Z_EN: 0
; COMPUTE_PGM_RSRC2:TIDIG_COMP_CNT: 0
	.section	.text._ZN7rocprim17ROCPRIM_400000_NS6detail30init_device_scan_by_key_kernelINS1_19lookback_scan_stateINS0_5tupleIJ11FixedVectorIiLj1EEbEEELb0ELb1EEENS1_16block_id_wrapperIjLb0EEEEEvT_jjPNSB_10value_typeET0_,"axG",@progbits,_ZN7rocprim17ROCPRIM_400000_NS6detail30init_device_scan_by_key_kernelINS1_19lookback_scan_stateINS0_5tupleIJ11FixedVectorIiLj1EEbEEELb0ELb1EEENS1_16block_id_wrapperIjLb0EEEEEvT_jjPNSB_10value_typeET0_,comdat
	.protected	_ZN7rocprim17ROCPRIM_400000_NS6detail30init_device_scan_by_key_kernelINS1_19lookback_scan_stateINS0_5tupleIJ11FixedVectorIiLj1EEbEEELb0ELb1EEENS1_16block_id_wrapperIjLb0EEEEEvT_jjPNSB_10value_typeET0_ ; -- Begin function _ZN7rocprim17ROCPRIM_400000_NS6detail30init_device_scan_by_key_kernelINS1_19lookback_scan_stateINS0_5tupleIJ11FixedVectorIiLj1EEbEEELb0ELb1EEENS1_16block_id_wrapperIjLb0EEEEEvT_jjPNSB_10value_typeET0_
	.globl	_ZN7rocprim17ROCPRIM_400000_NS6detail30init_device_scan_by_key_kernelINS1_19lookback_scan_stateINS0_5tupleIJ11FixedVectorIiLj1EEbEEELb0ELb1EEENS1_16block_id_wrapperIjLb0EEEEEvT_jjPNSB_10value_typeET0_
	.p2align	8
	.type	_ZN7rocprim17ROCPRIM_400000_NS6detail30init_device_scan_by_key_kernelINS1_19lookback_scan_stateINS0_5tupleIJ11FixedVectorIiLj1EEbEEELb0ELb1EEENS1_16block_id_wrapperIjLb0EEEEEvT_jjPNSB_10value_typeET0_,@function
_ZN7rocprim17ROCPRIM_400000_NS6detail30init_device_scan_by_key_kernelINS1_19lookback_scan_stateINS0_5tupleIJ11FixedVectorIiLj1EEbEEELb0ELb1EEENS1_16block_id_wrapperIjLb0EEEEEvT_jjPNSB_10value_typeET0_: ; @_ZN7rocprim17ROCPRIM_400000_NS6detail30init_device_scan_by_key_kernelINS1_19lookback_scan_stateINS0_5tupleIJ11FixedVectorIiLj1EEbEEELb0ELb1EEENS1_16block_id_wrapperIjLb0EEEEEvT_jjPNSB_10value_typeET0_
; %bb.0:
	s_clause 0x2
	s_load_b32 s8, s[0:1], 0x2c
	s_load_b128 s[4:7], s[0:1], 0x0
	s_load_b64 s[2:3], s[0:1], 0x10
	s_wait_xcnt 0x0
	s_bfe_u32 s0, ttmp6, 0x4000c
	s_and_b32 s1, ttmp6, 15
	s_add_co_i32 s0, s0, 1
	s_getreg_b32 s9, hwreg(HW_REG_IB_STS2, 6, 4)
	s_mul_i32 s0, ttmp9, s0
	s_delay_alu instid0(SALU_CYCLE_1)
	s_add_co_i32 s1, s1, s0
	s_wait_kmcnt 0x0
	s_and_b32 s8, s8, 0xffff
	s_cmp_eq_u32 s9, 0
	s_cselect_b32 s0, ttmp9, s1
	s_cmp_eq_u64 s[2:3], 0
	v_mad_u32 v8, s0, s8, v0
	s_cbranch_scc1 .LBB1868_8
; %bb.1:
	s_cmp_lt_u32 s7, s6
	s_mov_b32 s10, exec_lo
	s_cselect_b32 s0, s7, 0
	s_delay_alu instid0(VALU_DEP_1) | instid1(SALU_CYCLE_1)
	v_cmpx_eq_u32_e64 s0, v8
	s_cbranch_execz .LBB1868_7
; %bb.2:
	s_add_co_i32 s0, s7, 32
	s_mov_b32 s1, 0
	v_mov_b32_e32 v5, 0
	s_lshl_b64 s[8:9], s[0:1], 4
	s_mov_b32 s0, exec_lo
	s_add_nc_u64 s[8:9], s[4:5], s[8:9]
	s_delay_alu instid0(SALU_CYCLE_1) | instskip(SKIP_2) | instid1(VALU_DEP_1)
	v_mov_b64_e32 v[0:1], s[8:9]
	;;#ASMSTART
	global_load_b128 v[0:3], v[0:1] off scope:SCOPE_DEV	
s_wait_loadcnt 0x0
	;;#ASMEND
	v_and_b32_e32 v4, 0xff, v2
	v_cmpx_eq_u64_e32 0, v[4:5]
	s_cbranch_execz .LBB1868_6
; %bb.3:
	v_mov_b64_e32 v[6:7], s[8:9]
.LBB1868_4:                             ; =>This Inner Loop Header: Depth=1
	;;#ASMSTART
	global_load_b128 v[0:3], v[6:7] off scope:SCOPE_DEV	
s_wait_loadcnt 0x0
	;;#ASMEND
	v_and_b32_e32 v4, 0xff, v2
	s_delay_alu instid0(VALU_DEP_1) | instskip(SKIP_1) | instid1(SALU_CYCLE_1)
	v_cmp_ne_u64_e32 vcc_lo, 0, v[4:5]
	s_or_b32 s1, vcc_lo, s1
	s_and_not1_b32 exec_lo, exec_lo, s1
	s_cbranch_execnz .LBB1868_4
; %bb.5:
	s_or_b32 exec_lo, exec_lo, s1
.LBB1868_6:
	s_delay_alu instid0(SALU_CYCLE_1)
	s_or_b32 exec_lo, exec_lo, s0
	v_mov_b32_e32 v2, 0
	s_clause 0x1
	global_store_b32 v2, v0, s[2:3]
	global_store_b8 v2, v1, s[2:3] offset:4
.LBB1868_7:
	s_wait_xcnt 0x0
	s_or_b32 exec_lo, exec_lo, s10
.LBB1868_8:
	s_delay_alu instid0(SALU_CYCLE_1) | instskip(NEXT) | instid1(VALU_DEP_1)
	s_mov_b32 s0, exec_lo
	v_cmpx_gt_u32_e64 s6, v8
	s_cbranch_execz .LBB1868_10
; %bb.9:
	v_dual_mov_b32 v0, 0 :: v_dual_add_nc_u32 v4, 32, v8
	s_delay_alu instid0(VALU_DEP_1)
	v_dual_mov_b32 v1, v0 :: v_dual_mov_b32 v2, v0
	v_mov_b32_e32 v3, v0
	global_store_b128 v4, v[0:3], s[4:5] scale_offset
.LBB1868_10:
	s_wait_xcnt 0x0
	s_or_b32 exec_lo, exec_lo, s0
	s_delay_alu instid0(SALU_CYCLE_1)
	s_mov_b32 s0, exec_lo
	v_cmpx_gt_u32_e32 32, v8
	s_cbranch_execz .LBB1868_12
; %bb.11:
	v_mov_b32_e32 v0, 0
	s_delay_alu instid0(VALU_DEP_1)
	v_dual_mov_b32 v2, 0xff :: v_dual_mov_b32 v1, v0
	v_mov_b32_e32 v3, v0
	global_store_b128 v8, v[0:3], s[4:5] scale_offset
.LBB1868_12:
	s_endpgm
	.section	.rodata,"a",@progbits
	.p2align	6, 0x0
	.amdhsa_kernel _ZN7rocprim17ROCPRIM_400000_NS6detail30init_device_scan_by_key_kernelINS1_19lookback_scan_stateINS0_5tupleIJ11FixedVectorIiLj1EEbEEELb0ELb1EEENS1_16block_id_wrapperIjLb0EEEEEvT_jjPNSB_10value_typeET0_
		.amdhsa_group_segment_fixed_size 0
		.amdhsa_private_segment_fixed_size 0
		.amdhsa_kernarg_size 288
		.amdhsa_user_sgpr_count 2
		.amdhsa_user_sgpr_dispatch_ptr 0
		.amdhsa_user_sgpr_queue_ptr 0
		.amdhsa_user_sgpr_kernarg_segment_ptr 1
		.amdhsa_user_sgpr_dispatch_id 0
		.amdhsa_user_sgpr_kernarg_preload_length 0
		.amdhsa_user_sgpr_kernarg_preload_offset 0
		.amdhsa_user_sgpr_private_segment_size 0
		.amdhsa_wavefront_size32 1
		.amdhsa_uses_dynamic_stack 0
		.amdhsa_enable_private_segment 0
		.amdhsa_system_sgpr_workgroup_id_x 1
		.amdhsa_system_sgpr_workgroup_id_y 0
		.amdhsa_system_sgpr_workgroup_id_z 0
		.amdhsa_system_sgpr_workgroup_info 0
		.amdhsa_system_vgpr_workitem_id 0
		.amdhsa_next_free_vgpr 9
		.amdhsa_next_free_sgpr 11
		.amdhsa_named_barrier_count 0
		.amdhsa_reserve_vcc 1
		.amdhsa_float_round_mode_32 0
		.amdhsa_float_round_mode_16_64 0
		.amdhsa_float_denorm_mode_32 3
		.amdhsa_float_denorm_mode_16_64 3
		.amdhsa_fp16_overflow 0
		.amdhsa_memory_ordered 1
		.amdhsa_forward_progress 1
		.amdhsa_inst_pref_size 3
		.amdhsa_round_robin_scheduling 0
		.amdhsa_exception_fp_ieee_invalid_op 0
		.amdhsa_exception_fp_denorm_src 0
		.amdhsa_exception_fp_ieee_div_zero 0
		.amdhsa_exception_fp_ieee_overflow 0
		.amdhsa_exception_fp_ieee_underflow 0
		.amdhsa_exception_fp_ieee_inexact 0
		.amdhsa_exception_int_div_zero 0
	.end_amdhsa_kernel
	.section	.text._ZN7rocprim17ROCPRIM_400000_NS6detail30init_device_scan_by_key_kernelINS1_19lookback_scan_stateINS0_5tupleIJ11FixedVectorIiLj1EEbEEELb0ELb1EEENS1_16block_id_wrapperIjLb0EEEEEvT_jjPNSB_10value_typeET0_,"axG",@progbits,_ZN7rocprim17ROCPRIM_400000_NS6detail30init_device_scan_by_key_kernelINS1_19lookback_scan_stateINS0_5tupleIJ11FixedVectorIiLj1EEbEEELb0ELb1EEENS1_16block_id_wrapperIjLb0EEEEEvT_jjPNSB_10value_typeET0_,comdat
.Lfunc_end1868:
	.size	_ZN7rocprim17ROCPRIM_400000_NS6detail30init_device_scan_by_key_kernelINS1_19lookback_scan_stateINS0_5tupleIJ11FixedVectorIiLj1EEbEEELb0ELb1EEENS1_16block_id_wrapperIjLb0EEEEEvT_jjPNSB_10value_typeET0_, .Lfunc_end1868-_ZN7rocprim17ROCPRIM_400000_NS6detail30init_device_scan_by_key_kernelINS1_19lookback_scan_stateINS0_5tupleIJ11FixedVectorIiLj1EEbEEELb0ELb1EEENS1_16block_id_wrapperIjLb0EEEEEvT_jjPNSB_10value_typeET0_
                                        ; -- End function
	.set _ZN7rocprim17ROCPRIM_400000_NS6detail30init_device_scan_by_key_kernelINS1_19lookback_scan_stateINS0_5tupleIJ11FixedVectorIiLj1EEbEEELb0ELb1EEENS1_16block_id_wrapperIjLb0EEEEEvT_jjPNSB_10value_typeET0_.num_vgpr, 9
	.set _ZN7rocprim17ROCPRIM_400000_NS6detail30init_device_scan_by_key_kernelINS1_19lookback_scan_stateINS0_5tupleIJ11FixedVectorIiLj1EEbEEELb0ELb1EEENS1_16block_id_wrapperIjLb0EEEEEvT_jjPNSB_10value_typeET0_.num_agpr, 0
	.set _ZN7rocprim17ROCPRIM_400000_NS6detail30init_device_scan_by_key_kernelINS1_19lookback_scan_stateINS0_5tupleIJ11FixedVectorIiLj1EEbEEELb0ELb1EEENS1_16block_id_wrapperIjLb0EEEEEvT_jjPNSB_10value_typeET0_.numbered_sgpr, 11
	.set _ZN7rocprim17ROCPRIM_400000_NS6detail30init_device_scan_by_key_kernelINS1_19lookback_scan_stateINS0_5tupleIJ11FixedVectorIiLj1EEbEEELb0ELb1EEENS1_16block_id_wrapperIjLb0EEEEEvT_jjPNSB_10value_typeET0_.num_named_barrier, 0
	.set _ZN7rocprim17ROCPRIM_400000_NS6detail30init_device_scan_by_key_kernelINS1_19lookback_scan_stateINS0_5tupleIJ11FixedVectorIiLj1EEbEEELb0ELb1EEENS1_16block_id_wrapperIjLb0EEEEEvT_jjPNSB_10value_typeET0_.private_seg_size, 0
	.set _ZN7rocprim17ROCPRIM_400000_NS6detail30init_device_scan_by_key_kernelINS1_19lookback_scan_stateINS0_5tupleIJ11FixedVectorIiLj1EEbEEELb0ELb1EEENS1_16block_id_wrapperIjLb0EEEEEvT_jjPNSB_10value_typeET0_.uses_vcc, 1
	.set _ZN7rocprim17ROCPRIM_400000_NS6detail30init_device_scan_by_key_kernelINS1_19lookback_scan_stateINS0_5tupleIJ11FixedVectorIiLj1EEbEEELb0ELb1EEENS1_16block_id_wrapperIjLb0EEEEEvT_jjPNSB_10value_typeET0_.uses_flat_scratch, 0
	.set _ZN7rocprim17ROCPRIM_400000_NS6detail30init_device_scan_by_key_kernelINS1_19lookback_scan_stateINS0_5tupleIJ11FixedVectorIiLj1EEbEEELb0ELb1EEENS1_16block_id_wrapperIjLb0EEEEEvT_jjPNSB_10value_typeET0_.has_dyn_sized_stack, 0
	.set _ZN7rocprim17ROCPRIM_400000_NS6detail30init_device_scan_by_key_kernelINS1_19lookback_scan_stateINS0_5tupleIJ11FixedVectorIiLj1EEbEEELb0ELb1EEENS1_16block_id_wrapperIjLb0EEEEEvT_jjPNSB_10value_typeET0_.has_recursion, 0
	.set _ZN7rocprim17ROCPRIM_400000_NS6detail30init_device_scan_by_key_kernelINS1_19lookback_scan_stateINS0_5tupleIJ11FixedVectorIiLj1EEbEEELb0ELb1EEENS1_16block_id_wrapperIjLb0EEEEEvT_jjPNSB_10value_typeET0_.has_indirect_call, 0
	.section	.AMDGPU.csdata,"",@progbits
; Kernel info:
; codeLenInByte = 384
; TotalNumSgprs: 13
; NumVgprs: 9
; ScratchSize: 0
; MemoryBound: 0
; FloatMode: 240
; IeeeMode: 1
; LDSByteSize: 0 bytes/workgroup (compile time only)
; SGPRBlocks: 0
; VGPRBlocks: 0
; NumSGPRsForWavesPerEU: 13
; NumVGPRsForWavesPerEU: 9
; NamedBarCnt: 0
; Occupancy: 16
; WaveLimiterHint : 0
; COMPUTE_PGM_RSRC2:SCRATCH_EN: 0
; COMPUTE_PGM_RSRC2:USER_SGPR: 2
; COMPUTE_PGM_RSRC2:TRAP_HANDLER: 0
; COMPUTE_PGM_RSRC2:TGID_X_EN: 1
; COMPUTE_PGM_RSRC2:TGID_Y_EN: 0
; COMPUTE_PGM_RSRC2:TGID_Z_EN: 0
; COMPUTE_PGM_RSRC2:TIDIG_COMP_CNT: 0
	.section	.text._ZN7rocprim17ROCPRIM_400000_NS6detail17trampoline_kernelINS0_14default_configENS1_27scan_by_key_config_selectorIj11FixedVectorIiLj1EEEEZZNS1_16scan_by_key_implILNS1_25lookback_scan_determinismE0ELb0ES3_N6thrust23THRUST_200600_302600_NS6detail15normal_iteratorINSB_10device_ptrIjEEEENSD_INSE_IS6_EEEESI_S6_NSB_4plusIvEENSB_8equal_toIvEES6_EE10hipError_tPvRmT2_T3_T4_T5_mT6_T7_P12ihipStream_tbENKUlT_T0_E_clISt17integral_constantIbLb0EES13_EEDaSY_SZ_EUlSY_E_NS1_11comp_targetILNS1_3genE0ELNS1_11target_archE4294967295ELNS1_3gpuE0ELNS1_3repE0EEENS1_30default_config_static_selectorELNS0_4arch9wavefront6targetE0EEEvT1_,"axG",@progbits,_ZN7rocprim17ROCPRIM_400000_NS6detail17trampoline_kernelINS0_14default_configENS1_27scan_by_key_config_selectorIj11FixedVectorIiLj1EEEEZZNS1_16scan_by_key_implILNS1_25lookback_scan_determinismE0ELb0ES3_N6thrust23THRUST_200600_302600_NS6detail15normal_iteratorINSB_10device_ptrIjEEEENSD_INSE_IS6_EEEESI_S6_NSB_4plusIvEENSB_8equal_toIvEES6_EE10hipError_tPvRmT2_T3_T4_T5_mT6_T7_P12ihipStream_tbENKUlT_T0_E_clISt17integral_constantIbLb0EES13_EEDaSY_SZ_EUlSY_E_NS1_11comp_targetILNS1_3genE0ELNS1_11target_archE4294967295ELNS1_3gpuE0ELNS1_3repE0EEENS1_30default_config_static_selectorELNS0_4arch9wavefront6targetE0EEEvT1_,comdat
	.protected	_ZN7rocprim17ROCPRIM_400000_NS6detail17trampoline_kernelINS0_14default_configENS1_27scan_by_key_config_selectorIj11FixedVectorIiLj1EEEEZZNS1_16scan_by_key_implILNS1_25lookback_scan_determinismE0ELb0ES3_N6thrust23THRUST_200600_302600_NS6detail15normal_iteratorINSB_10device_ptrIjEEEENSD_INSE_IS6_EEEESI_S6_NSB_4plusIvEENSB_8equal_toIvEES6_EE10hipError_tPvRmT2_T3_T4_T5_mT6_T7_P12ihipStream_tbENKUlT_T0_E_clISt17integral_constantIbLb0EES13_EEDaSY_SZ_EUlSY_E_NS1_11comp_targetILNS1_3genE0ELNS1_11target_archE4294967295ELNS1_3gpuE0ELNS1_3repE0EEENS1_30default_config_static_selectorELNS0_4arch9wavefront6targetE0EEEvT1_ ; -- Begin function _ZN7rocprim17ROCPRIM_400000_NS6detail17trampoline_kernelINS0_14default_configENS1_27scan_by_key_config_selectorIj11FixedVectorIiLj1EEEEZZNS1_16scan_by_key_implILNS1_25lookback_scan_determinismE0ELb0ES3_N6thrust23THRUST_200600_302600_NS6detail15normal_iteratorINSB_10device_ptrIjEEEENSD_INSE_IS6_EEEESI_S6_NSB_4plusIvEENSB_8equal_toIvEES6_EE10hipError_tPvRmT2_T3_T4_T5_mT6_T7_P12ihipStream_tbENKUlT_T0_E_clISt17integral_constantIbLb0EES13_EEDaSY_SZ_EUlSY_E_NS1_11comp_targetILNS1_3genE0ELNS1_11target_archE4294967295ELNS1_3gpuE0ELNS1_3repE0EEENS1_30default_config_static_selectorELNS0_4arch9wavefront6targetE0EEEvT1_
	.globl	_ZN7rocprim17ROCPRIM_400000_NS6detail17trampoline_kernelINS0_14default_configENS1_27scan_by_key_config_selectorIj11FixedVectorIiLj1EEEEZZNS1_16scan_by_key_implILNS1_25lookback_scan_determinismE0ELb0ES3_N6thrust23THRUST_200600_302600_NS6detail15normal_iteratorINSB_10device_ptrIjEEEENSD_INSE_IS6_EEEESI_S6_NSB_4plusIvEENSB_8equal_toIvEES6_EE10hipError_tPvRmT2_T3_T4_T5_mT6_T7_P12ihipStream_tbENKUlT_T0_E_clISt17integral_constantIbLb0EES13_EEDaSY_SZ_EUlSY_E_NS1_11comp_targetILNS1_3genE0ELNS1_11target_archE4294967295ELNS1_3gpuE0ELNS1_3repE0EEENS1_30default_config_static_selectorELNS0_4arch9wavefront6targetE0EEEvT1_
	.p2align	8
	.type	_ZN7rocprim17ROCPRIM_400000_NS6detail17trampoline_kernelINS0_14default_configENS1_27scan_by_key_config_selectorIj11FixedVectorIiLj1EEEEZZNS1_16scan_by_key_implILNS1_25lookback_scan_determinismE0ELb0ES3_N6thrust23THRUST_200600_302600_NS6detail15normal_iteratorINSB_10device_ptrIjEEEENSD_INSE_IS6_EEEESI_S6_NSB_4plusIvEENSB_8equal_toIvEES6_EE10hipError_tPvRmT2_T3_T4_T5_mT6_T7_P12ihipStream_tbENKUlT_T0_E_clISt17integral_constantIbLb0EES13_EEDaSY_SZ_EUlSY_E_NS1_11comp_targetILNS1_3genE0ELNS1_11target_archE4294967295ELNS1_3gpuE0ELNS1_3repE0EEENS1_30default_config_static_selectorELNS0_4arch9wavefront6targetE0EEEvT1_,@function
_ZN7rocprim17ROCPRIM_400000_NS6detail17trampoline_kernelINS0_14default_configENS1_27scan_by_key_config_selectorIj11FixedVectorIiLj1EEEEZZNS1_16scan_by_key_implILNS1_25lookback_scan_determinismE0ELb0ES3_N6thrust23THRUST_200600_302600_NS6detail15normal_iteratorINSB_10device_ptrIjEEEENSD_INSE_IS6_EEEESI_S6_NSB_4plusIvEENSB_8equal_toIvEES6_EE10hipError_tPvRmT2_T3_T4_T5_mT6_T7_P12ihipStream_tbENKUlT_T0_E_clISt17integral_constantIbLb0EES13_EEDaSY_SZ_EUlSY_E_NS1_11comp_targetILNS1_3genE0ELNS1_11target_archE4294967295ELNS1_3gpuE0ELNS1_3repE0EEENS1_30default_config_static_selectorELNS0_4arch9wavefront6targetE0EEEvT1_: ; @_ZN7rocprim17ROCPRIM_400000_NS6detail17trampoline_kernelINS0_14default_configENS1_27scan_by_key_config_selectorIj11FixedVectorIiLj1EEEEZZNS1_16scan_by_key_implILNS1_25lookback_scan_determinismE0ELb0ES3_N6thrust23THRUST_200600_302600_NS6detail15normal_iteratorINSB_10device_ptrIjEEEENSD_INSE_IS6_EEEESI_S6_NSB_4plusIvEENSB_8equal_toIvEES6_EE10hipError_tPvRmT2_T3_T4_T5_mT6_T7_P12ihipStream_tbENKUlT_T0_E_clISt17integral_constantIbLb0EES13_EEDaSY_SZ_EUlSY_E_NS1_11comp_targetILNS1_3genE0ELNS1_11target_archE4294967295ELNS1_3gpuE0ELNS1_3repE0EEENS1_30default_config_static_selectorELNS0_4arch9wavefront6targetE0EEEvT1_
; %bb.0:
	s_clause 0x3
	s_load_b256 s[8:15], s[0:1], 0x0
	s_load_b256 s[16:23], s[0:1], 0x48
	s_load_b96 s[28:30], s[0:1], 0x38
	s_load_b128 s[24:27], s[0:1], 0x28
	s_getreg_b32 s4, hwreg(HW_REG_IB_STS2, 6, 4)
	s_wait_xcnt 0x0
	s_mov_b32 s1, 0
	s_barrier_signal -1
	s_barrier_wait -1
	s_wait_kmcnt 0x0
	s_lshl_b64 s[34:35], s[10:11], 2
	s_cmp_lg_u64 s[20:21], 0
	s_mov_b32 s0, s30
	s_cselect_b32 s33, -1, 0
	s_bfe_u32 s2, ttmp6, 0x4000c
	s_and_b32 s5, ttmp6, 15
	s_add_co_i32 s2, s2, 1
	s_mov_b32 s21, s1
	s_mul_i32 s6, ttmp9, s2
	s_add_nc_u64 s[2:3], s[8:9], s[34:35]
	s_add_co_i32 s6, s5, s6
	s_cmp_eq_u32 s4, 0
	s_mul_u64 s[4:5], s[28:29], s[0:1]
	s_cselect_b32 s20, ttmp9, s6
	s_add_nc_u64 s[6:7], s[12:13], s[34:35]
	s_add_nc_u64 s[36:37], s[4:5], s[20:21]
	s_add_nc_u64 s[4:5], s[16:17], -1
	s_mul_i32 s0, s20, 0xc00
	v_cmp_ge_u64_e64 s21, s[36:37], s[4:5]
	s_lshl_b64 s[16:17], s[0:1], 2
	s_mul_i32 s27, s4, 0xfffff400
	s_add_nc_u64 s[30:31], s[2:3], s[16:17]
	s_add_nc_u64 s[12:13], s[6:7], s[16:17]
	s_and_b32 vcc_lo, exec_lo, s21
	s_cbranch_vccz .LBB1869_28
; %bb.1:
	v_mov_b32_e32 v1, 0
	s_add_co_i32 s40, s27, s26
	s_delay_alu instid0(SALU_CYCLE_1)
	v_cmp_gt_u32_e64 s0, s40, v0
	flat_load_b32 v1, v1, s[30:31]
	s_wait_loadcnt_dscnt 0x0
	v_mov_b32_e32 v2, v1
	s_and_saveexec_b32 s1, s0
	s_cbranch_execz .LBB1869_3
; %bb.2:
	flat_load_b32 v2, v0, s[30:31] scale_offset
.LBB1869_3:
	s_wait_xcnt 0x0
	s_or_b32 exec_lo, exec_lo, s1
	v_or_b32_e32 v3, 0x100, v0
	v_mov_b32_e32 v4, v1
	s_delay_alu instid0(VALU_DEP_2)
	v_cmp_gt_u32_e64 s1, s40, v3
	s_and_saveexec_b32 s2, s1
	s_cbranch_execz .LBB1869_5
; %bb.4:
	flat_load_b32 v4, v0, s[30:31] offset:1024 scale_offset
.LBB1869_5:
	s_wait_xcnt 0x0
	s_or_b32 exec_lo, exec_lo, s2
	v_or_b32_e32 v3, 0x200, v0
	v_mov_b32_e32 v5, v1
	s_delay_alu instid0(VALU_DEP_2)
	v_cmp_gt_u32_e64 s2, s40, v3
	s_and_saveexec_b32 s3, s2
	s_cbranch_execz .LBB1869_7
; %bb.6:
	flat_load_b32 v5, v0, s[30:31] offset:2048 scale_offset
.LBB1869_7:
	;; [unrolled: 11-line block ×10, first 2 shown]
	s_wait_xcnt 0x0
	s_or_b32 exec_lo, exec_lo, s11
	v_or_b32_e32 v3, 0xb00, v0
	s_mov_b32 s38, exec_lo
	s_delay_alu instid0(VALU_DEP_1) | instskip(SKIP_2) | instid1(SALU_CYCLE_1)
	v_cmp_gt_u32_e64 s11, s40, v3
	v_cmpx_le_u32_e64 s40, v3
	s_xor_b32 s38, exec_lo, s38
	s_and_not1_saveexec_b32 s38, s38
	s_cbranch_execz .LBB1869_25
; %bb.24:
	flat_load_b32 v1, v0, s[30:31] offset:11264 scale_offset
.LBB1869_25:
	s_wait_xcnt 0x0
	s_or_b32 exec_lo, exec_lo, s38
	v_lshlrev_b32_e32 v3, 2, v0
	s_cmp_eq_u64 s[36:37], 0
	s_mov_b64 s[38:39], s[30:31]
	s_wait_loadcnt_dscnt 0x0
	ds_store_2addr_stride64_b32 v3, v2, v4 offset1:4
	ds_store_2addr_stride64_b32 v3, v5, v6 offset0:8 offset1:12
	ds_store_2addr_stride64_b32 v3, v7, v8 offset0:16 offset1:20
	;; [unrolled: 1-line block ×5, first 2 shown]
	v_mad_u32_u24 v1, v0, 44, v3
	s_wait_dscnt 0x0
	s_barrier_signal -1
	s_barrier_wait -1
	ds_load_b128 v[14:17], v1
	ds_load_b128 v[10:13], v1 offset:16
	ds_load_b128 v[6:9], v1 offset:32
	s_cbranch_scc1 .LBB1869_31
; %bb.26:
	s_and_not1_b32 vcc_lo, exec_lo, s33
	s_cbranch_vccnz .LBB1869_29
; %bb.27:
	s_lshl_b64 s[38:39], s[36:37], 2
	s_mov_b32 s41, 0
	s_add_nc_u64 s[38:39], s[22:23], s[38:39]
	s_delay_alu instid0(SALU_CYCLE_1)
	s_add_nc_u64 s[38:39], s[38:39], -4
	s_branch .LBB1869_30
.LBB1869_28:
                                        ; implicit-def: $sgpr3
                                        ; implicit-def: $vgpr5
                                        ; implicit-def: $vgpr18_vgpr19
                                        ; implicit-def: $vgpr42_vgpr43
                                        ; implicit-def: $vgpr46_vgpr47
                                        ; implicit-def: $vgpr44_vgpr45
                                        ; implicit-def: $vgpr48_vgpr49
                                        ; implicit-def: $vgpr50_vgpr51
                                        ; implicit-def: $vgpr52_vgpr53
                                        ; implicit-def: $vgpr54_vgpr55
                                        ; implicit-def: $vgpr56_vgpr57
                                        ; implicit-def: $vgpr58_vgpr59
                                        ; implicit-def: $vgpr40_vgpr41
                                        ; implicit-def: $vgpr38_vgpr39
                                        ; implicit-def: $vgpr36_vgpr37
                                        ; implicit-def: $vgpr34_vgpr35
                                        ; implicit-def: $vgpr32_vgpr33
                                        ; implicit-def: $vgpr30_vgpr31
                                        ; implicit-def: $vgpr28_vgpr29
                                        ; implicit-def: $vgpr24_vgpr25
                                        ; implicit-def: $vgpr22_vgpr23
                                        ; implicit-def: $vgpr20_vgpr21
	v_lshlrev_b32_e32 v26, 2, v0
	s_cbranch_execnz .LBB1869_78
	s_branch .LBB1869_88
.LBB1869_29:
	s_add_nc_u64 s[38:39], s[30:31], -4
	s_mov_b32 s41, -1
.LBB1869_30:
	s_delay_alu instid0(SALU_CYCLE_1)
	s_and_not1_b32 vcc_lo, exec_lo, s41
.LBB1869_31:
	v_mov_b32_e32 v5, 0
	v_mad_i32_i24 v4, 0xffffffd4, v0, v1
	flat_load_b32 v2, v5, s[38:39]
	s_wait_xcnt 0x0
	s_mov_b32 s38, exec_lo
	s_wait_dscnt 0x1
	ds_store_b32 v4, v9 offset:12288
	s_wait_loadcnt_dscnt 0x0
	s_barrier_signal -1
	s_barrier_wait -1
	v_cmpx_ne_u32_e32 0, v0
; %bb.32:
	v_mul_i32_i24_e32 v2, 0xffffffd4, v0
	s_delay_alu instid0(VALU_DEP_1)
	v_add_nc_u32_e32 v2, v1, v2
	ds_load_b32 v2, v2 offset:12284
; %bb.33:
	s_or_b32 exec_lo, exec_lo, s38
	s_wait_dscnt 0x0
	s_barrier_signal -1
	s_barrier_wait -1
	s_and_saveexec_b32 s38, s0
	s_cbranch_execz .LBB1869_35
; %bb.34:
	flat_load_b32 v5, v0, s[12:13] scale_offset
.LBB1869_35:
	s_wait_xcnt 0x0
	s_or_b32 exec_lo, exec_lo, s38
	v_dual_mov_b32 v18, 0 :: v_dual_mov_b32 v19, 0
	s_and_saveexec_b32 s0, s1
	s_cbranch_execz .LBB1869_37
; %bb.36:
	flat_load_b32 v19, v0, s[12:13] offset:1024 scale_offset
.LBB1869_37:
	s_wait_xcnt 0x0
	s_or_b32 exec_lo, exec_lo, s0
	s_and_saveexec_b32 s0, s2
	s_cbranch_execz .LBB1869_39
; %bb.38:
	flat_load_b32 v18, v0, s[12:13] offset:2048 scale_offset
.LBB1869_39:
	s_wait_xcnt 0x0
	s_or_b32 exec_lo, exec_lo, s0
	v_dual_mov_b32 v20, 0 :: v_dual_mov_b32 v21, 0
	s_and_saveexec_b32 s0, s3
	s_cbranch_execz .LBB1869_41
; %bb.40:
	flat_load_b32 v21, v0, s[12:13] offset:3072 scale_offset
.LBB1869_41:
	s_wait_xcnt 0x0
	s_or_b32 exec_lo, exec_lo, s0
	s_and_saveexec_b32 s0, s4
	s_cbranch_execz .LBB1869_43
; %bb.42:
	flat_load_b32 v20, v0, s[12:13] offset:4096 scale_offset
.LBB1869_43:
	;; [unrolled: 15-line block ×4, first 2 shown]
	s_wait_xcnt 0x0
	s_or_b32 exec_lo, exec_lo, s0
	v_dual_mov_b32 v26, 0 :: v_dual_mov_b32 v27, 0
	s_and_saveexec_b32 s0, s9
	s_cbranch_execnz .LBB1869_81
; %bb.52:
	s_or_b32 exec_lo, exec_lo, s0
	s_and_saveexec_b32 s0, s10
	s_cbranch_execnz .LBB1869_82
.LBB1869_53:
	s_or_b32 exec_lo, exec_lo, s0
	v_mov_b32_e32 v28, 0
	s_and_saveexec_b32 s0, s11
	s_cbranch_execz .LBB1869_55
.LBB1869_54:
	flat_load_b32 v28, v0, s[12:13] offset:11264 scale_offset
.LBB1869_55:
	s_wait_xcnt 0x0
	s_or_b32 exec_lo, exec_lo, s0
	s_wait_loadcnt_dscnt 0x0
	ds_store_2addr_stride64_b32 v3, v5, v19 offset1:4
	ds_store_2addr_stride64_b32 v3, v18, v21 offset0:8 offset1:12
	ds_store_2addr_stride64_b32 v3, v20, v23 offset0:16 offset1:20
	ds_store_2addr_stride64_b32 v3, v22, v25 offset0:24 offset1:28
	ds_store_2addr_stride64_b32 v3, v24, v27 offset0:32 offset1:36
	ds_store_2addr_stride64_b32 v3, v26, v28 offset0:40 offset1:44
	v_mov_b64_e32 v[18:19], 0
	v_mov_b64_e32 v[42:43], 0
	;; [unrolled: 1-line block ×20, first 2 shown]
	v_mul_u32_u24_e32 v4, 12, v0
	s_mov_b32 s2, 0
	s_mov_b32 s1, 0
	s_mov_b32 s4, exec_lo
	s_wait_dscnt 0x0
	s_barrier_signal -1
	s_barrier_wait -1
                                        ; implicit-def: $sgpr3
                                        ; implicit-def: $vgpr5
	v_cmpx_gt_u32_e64 s40, v4
	s_cbranch_execz .LBB1869_77
; %bb.56:
	ds_load_b32 v18, v1
	v_cmp_ne_u32_e32 vcc_lo, v2, v14
	v_mov_b64_e32 v[42:43], 0
	v_mov_b64_e32 v[46:47], 0
	;; [unrolled: 1-line block ×18, first 2 shown]
	v_or_b32_e32 v3, 1, v4
	v_cndmask_b32_e64 v19, 0, 1, vcc_lo
	s_mov_b32 s0, 0
	s_mov_b32 s1, exec_lo
                                        ; implicit-def: $sgpr3
                                        ; implicit-def: $vgpr5
	s_delay_alu instid0(VALU_DEP_2)
	v_cmpx_gt_u32_e64 s40, v3
	s_cbranch_execz .LBB1869_76
; %bb.57:
	ds_load_2addr_b32 v[42:43], v1 offset0:1 offset1:2
	v_cmp_ne_u32_e32 vcc_lo, v14, v15
	v_mov_b64_e32 v[46:47], 0
	v_mov_b64_e32 v[44:45], 0
	;; [unrolled: 1-line block ×16, first 2 shown]
	v_or_b32_e32 v3, 2, v4
	v_cndmask_b32_e64 v2, 0, 1, vcc_lo
	s_mov_b32 s5, exec_lo
                                        ; implicit-def: $sgpr3
                                        ; implicit-def: $vgpr5
	s_delay_alu instid0(VALU_DEP_2)
	v_cmpx_gt_u32_e64 s40, v3
	s_cbranch_execz .LBB1869_75
; %bb.58:
	v_cmp_ne_u32_e32 vcc_lo, v15, v16
	v_mov_b64_e32 v[44:45], 0
	v_mov_b64_e32 v[48:49], 0
	;; [unrolled: 1-line block ×14, first 2 shown]
	v_or_b32_e32 v3, 3, v4
	v_cndmask_b32_e64 v47, 0, 1, vcc_lo
	s_mov_b32 s6, exec_lo
                                        ; implicit-def: $sgpr3
                                        ; implicit-def: $vgpr5
	s_delay_alu instid0(VALU_DEP_2)
	v_cmpx_gt_u32_e64 s40, v3
	s_cbranch_execz .LBB1869_74
; %bb.59:
	ds_load_2addr_b32 v[44:45], v1 offset0:3 offset1:4
	v_add_nc_u32_e32 v5, 4, v4
	v_cmp_ne_u32_e32 vcc_lo, v16, v17
	v_mov_b64_e32 v[48:49], 0
	v_mov_b64_e32 v[50:51], 0
	;; [unrolled: 1-line block ×12, first 2 shown]
	v_cndmask_b32_e64 v3, 0, 1, vcc_lo
	v_cmp_gt_u32_e32 vcc_lo, s40, v5
                                        ; implicit-def: $sgpr3
                                        ; implicit-def: $vgpr5
	s_and_saveexec_b32 s7, vcc_lo
	s_cbranch_execz .LBB1869_73
; %bb.60:
	v_add_nc_u32_e32 v5, 5, v4
	v_cmp_ne_u32_e32 vcc_lo, v17, v10
	v_mov_b64_e32 v[50:51], 0
	v_mov_b64_e32 v[52:53], 0
	;; [unrolled: 1-line block ×10, first 2 shown]
	v_cndmask_b32_e64 v49, 0, 1, vcc_lo
	v_cmp_gt_u32_e32 vcc_lo, s40, v5
                                        ; implicit-def: $sgpr3
                                        ; implicit-def: $vgpr5
	s_and_saveexec_b32 s8, vcc_lo
	s_cbranch_execz .LBB1869_72
; %bb.61:
	ds_load_2addr_b32 v[50:51], v1 offset0:5 offset1:6
	v_add_nc_u32_e32 v5, 6, v4
	v_cmp_ne_u32_e32 vcc_lo, v10, v11
	v_mov_b64_e32 v[52:53], 0
	v_mov_b64_e32 v[54:55], 0
	;; [unrolled: 1-line block ×8, first 2 shown]
	v_cndmask_b32_e64 v10, 0, 1, vcc_lo
	v_cmp_gt_u32_e32 vcc_lo, s40, v5
                                        ; implicit-def: $sgpr3
                                        ; implicit-def: $vgpr5
	s_and_saveexec_b32 s9, vcc_lo
	s_cbranch_execz .LBB1869_71
; %bb.62:
	v_add_nc_u32_e32 v5, 7, v4
	v_cmp_ne_u32_e32 vcc_lo, v11, v12
	v_mov_b64_e32 v[54:55], 0
	v_mov_b64_e32 v[56:57], 0
	;; [unrolled: 1-line block ×6, first 2 shown]
	v_cndmask_b32_e64 v53, 0, 1, vcc_lo
	v_cmp_gt_u32_e32 vcc_lo, s40, v5
                                        ; implicit-def: $sgpr3
                                        ; implicit-def: $vgpr5
	s_and_saveexec_b32 s10, vcc_lo
	s_cbranch_execz .LBB1869_70
; %bb.63:
	ds_load_2addr_b32 v[54:55], v1 offset0:7 offset1:8
	v_add_nc_u32_e32 v5, 8, v4
	v_cmp_ne_u32_e32 vcc_lo, v12, v13
	v_mov_b64_e32 v[56:57], 0
	v_mov_b64_e32 v[58:59], 0
	;; [unrolled: 1-line block ×4, first 2 shown]
	v_cndmask_b32_e64 v11, 0, 1, vcc_lo
	v_cmp_gt_u32_e32 vcc_lo, s40, v5
                                        ; implicit-def: $sgpr3
                                        ; implicit-def: $vgpr5
	s_and_saveexec_b32 s11, vcc_lo
	s_cbranch_execz .LBB1869_69
; %bb.64:
	v_add_nc_u32_e32 v5, 9, v4
	v_cmp_ne_u32_e32 vcc_lo, v13, v6
	v_mov_b64_e32 v[58:59], 0
	v_mov_b64_e32 v[20:21], 0
                                        ; implicit-def: $sgpr3
	v_cndmask_b32_e64 v57, 0, 1, vcc_lo
	v_cmp_gt_u32_e32 vcc_lo, s40, v5
                                        ; implicit-def: $vgpr5
	s_and_saveexec_b32 s38, vcc_lo
	s_cbranch_execz .LBB1869_68
; %bb.65:
	ds_load_2addr_b32 v[58:59], v1 offset0:9 offset1:10
	v_add_nc_u32_e32 v5, 10, v4
	v_cmp_ne_u32_e32 vcc_lo, v6, v7
	v_mov_b64_e32 v[20:21], 0
                                        ; implicit-def: $sgpr3
	v_cndmask_b32_e64 v6, 0, 1, vcc_lo
	s_delay_alu instid0(VALU_DEP_4) | instskip(SKIP_1) | instid1(SALU_CYCLE_1)
	v_cmp_gt_u32_e32 vcc_lo, s40, v5
                                        ; implicit-def: $vgpr5
	s_and_saveexec_b32 s39, vcc_lo
	s_xor_b32 s39, exec_lo, s39
	s_cbranch_execz .LBB1869_67
; %bb.66:
	ds_load_b32 v5, v1 offset:44
	s_wait_dscnt 0x1
	v_dual_mov_b32 v20, v59 :: v_dual_add_nc_u32 v1, 11, v4
	v_cmp_ne_u32_e64 s0, v7, v8
	v_cmp_ne_u32_e64 s3, v8, v9
	s_delay_alu instid0(VALU_DEP_3) | instskip(NEXT) | instid1(VALU_DEP_3)
	v_cmp_gt_u32_e32 vcc_lo, s40, v1
	v_cndmask_b32_e64 v21, 0, 1, s0
	s_and_b32 s0, vcc_lo, exec_lo
.LBB1869_67:
	s_or_b32 exec_lo, exec_lo, s39
	s_wait_dscnt 0x0
	v_mov_b32_e32 v59, v6
	s_and_b32 s0, s0, exec_lo
.LBB1869_68:
	s_or_b32 exec_lo, exec_lo, s38
	s_delay_alu instid0(VALU_DEP_1)
	v_mov_b64_e32 v[22:23], v[58:59]
	s_wait_dscnt 0x0
	v_mov_b32_e32 v56, v55
	s_and_b32 s0, s0, exec_lo
.LBB1869_69:
	s_or_b32 exec_lo, exec_lo, s11
	s_delay_alu instid0(VALU_DEP_1)
	v_mov_b64_e32 v[24:25], v[56:57]
	s_wait_dscnt 0x0
	v_mov_b32_e32 v55, v11
	s_and_b32 s0, s0, exec_lo
.LBB1869_70:
	s_or_b32 exec_lo, exec_lo, s10
	s_delay_alu instid0(VALU_DEP_1)
	v_mov_b64_e32 v[28:29], v[54:55]
	s_wait_dscnt 0x0
	v_mov_b32_e32 v52, v51
	s_and_b32 s0, s0, exec_lo
.LBB1869_71:
	s_or_b32 exec_lo, exec_lo, s9
	s_delay_alu instid0(VALU_DEP_1)
	v_mov_b64_e32 v[30:31], v[52:53]
	s_wait_dscnt 0x0
	v_mov_b32_e32 v51, v10
	s_and_b32 s0, s0, exec_lo
.LBB1869_72:
	s_or_b32 exec_lo, exec_lo, s8
	s_delay_alu instid0(VALU_DEP_1)
	v_mov_b64_e32 v[32:33], v[50:51]
	s_wait_dscnt 0x0
	v_mov_b32_e32 v48, v45
	s_and_b32 s0, s0, exec_lo
.LBB1869_73:
	s_or_b32 exec_lo, exec_lo, s7
	s_delay_alu instid0(VALU_DEP_1)
	v_mov_b64_e32 v[34:35], v[48:49]
	s_wait_dscnt 0x0
	v_mov_b32_e32 v45, v3
	s_and_b32 s0, s0, exec_lo
.LBB1869_74:
	s_or_b32 exec_lo, exec_lo, s6
	s_delay_alu instid0(VALU_DEP_1)
	v_mov_b64_e32 v[36:37], v[44:45]
	s_wait_dscnt 0x0
	v_mov_b32_e32 v46, v43
	s_and_b32 s0, s0, exec_lo
.LBB1869_75:
	s_or_b32 exec_lo, exec_lo, s5
	s_delay_alu instid0(VALU_DEP_1)
	v_mov_b64_e32 v[38:39], v[46:47]
	s_wait_dscnt 0x0
	v_mov_b32_e32 v43, v2
	s_and_b32 s0, s0, exec_lo
.LBB1869_76:
	s_or_b32 exec_lo, exec_lo, s1
	s_delay_alu instid0(VALU_DEP_1)
	v_mov_b64_e32 v[40:41], v[42:43]
	s_and_b32 s1, s0, exec_lo
.LBB1869_77:
	s_or_b32 exec_lo, exec_lo, s4
	v_lshlrev_b32_e32 v26, 2, v0
	s_and_b32 vcc_lo, exec_lo, s2
	s_cbranch_vccz .LBB1869_88
.LBB1869_78:
	s_clause 0xb
	flat_load_b32 v2, v0, s[30:31] scale_offset
	flat_load_b32 v3, v0, s[30:31] offset:1024 scale_offset
	flat_load_b32 v4, v0, s[30:31] offset:2048 scale_offset
	;; [unrolled: 1-line block ×11, first 2 shown]
	v_mad_u32_u24 v1, v0, 44, v26
	v_mov_b32_e32 v14, 0
	s_cmp_eq_u64 s[36:37], 0
	s_wait_loadcnt_dscnt 0xa0a
	ds_store_2addr_stride64_b32 v26, v2, v3 offset1:4
	s_wait_loadcnt_dscnt 0x809
	ds_store_2addr_stride64_b32 v26, v4, v5 offset0:8 offset1:12
	s_wait_loadcnt_dscnt 0x608
	ds_store_2addr_stride64_b32 v26, v6, v7 offset0:16 offset1:20
	;; [unrolled: 2-line block ×5, first 2 shown]
	s_wait_dscnt 0x0
	s_barrier_signal -1
	s_barrier_wait -1
	ds_load_b128 v[2:5], v1
	ds_load_b128 v[10:13], v1 offset:16
	ds_load_b128 v[6:9], v1 offset:32
	s_cbranch_scc1 .LBB1869_85
; %bb.79:
	s_and_not1_b32 vcc_lo, exec_lo, s33
	s_cbranch_vccnz .LBB1869_83
; %bb.80:
	s_lshl_b64 s[0:1], s[36:37], 2
	s_delay_alu instid0(SALU_CYCLE_1) | instskip(NEXT) | instid1(SALU_CYCLE_1)
	s_add_nc_u64 s[0:1], s[22:23], s[0:1]
	s_add_nc_u64 s[30:31], s[0:1], -4
	s_mov_b32 s0, 0
	s_branch .LBB1869_84
.LBB1869_81:
	flat_load_b32 v27, v0, s[12:13] offset:9216 scale_offset
	s_wait_xcnt 0x0
	s_or_b32 exec_lo, exec_lo, s0
	s_and_saveexec_b32 s0, s10
	s_cbranch_execz .LBB1869_53
.LBB1869_82:
	flat_load_b32 v26, v0, s[12:13] offset:10240 scale_offset
	s_wait_xcnt 0x0
	s_or_b32 exec_lo, exec_lo, s0
	v_mov_b32_e32 v28, 0
	s_and_saveexec_b32 s0, s11
	s_cbranch_execnz .LBB1869_54
	s_branch .LBB1869_55
.LBB1869_83:
	s_add_nc_u64 s[30:31], s[30:31], -4
	s_mov_b32 s0, -1
.LBB1869_84:
	s_delay_alu instid0(SALU_CYCLE_1)
	s_and_not1_b32 vcc_lo, exec_lo, s0
.LBB1869_85:
	flat_load_b32 v14, v14, s[30:31]
	v_mad_i32_i24 v15, 0xffffffd4, v0, v1
	s_mov_b32 s0, exec_lo
	s_wait_dscnt 0x1
	ds_store_b32 v15, v9 offset:12288
	s_wait_loadcnt_dscnt 0x0
	s_barrier_signal -1
	s_barrier_wait -1
	v_cmpx_ne_u32_e32 0, v0
; %bb.86:
	v_mul_i32_i24_e32 v14, 0xffffffd4, v0
	s_delay_alu instid0(VALU_DEP_1)
	v_add_nc_u32_e32 v14, v1, v14
	ds_load_b32 v14, v14 offset:12284
; %bb.87:
	s_or_b32 exec_lo, exec_lo, s0
	s_wait_dscnt 0x0
	s_barrier_signal -1
	s_barrier_wait -1
	s_clause 0xb
	flat_load_b32 v15, v0, s[12:13] scale_offset
	flat_load_b32 v16, v0, s[12:13] offset:1024 scale_offset
	flat_load_b32 v17, v0, s[12:13] offset:2048 scale_offset
	;; [unrolled: 1-line block ×11, first 2 shown]
	v_cmp_ne_u32_e32 vcc_lo, v14, v2
	v_cmp_ne_u32_e64 s3, v8, v9
	s_mov_b32 s1, -1
	s_wait_loadcnt_dscnt 0xa0a
	ds_store_2addr_stride64_b32 v26, v15, v16 offset1:4
	s_wait_loadcnt_dscnt 0x809
	ds_store_2addr_stride64_b32 v26, v17, v18 offset0:8 offset1:12
	s_wait_loadcnt_dscnt 0x608
	ds_store_2addr_stride64_b32 v26, v20, v21 offset0:16 offset1:20
	;; [unrolled: 2-line block ×5, first 2 shown]
	v_cndmask_b32_e64 v19, 0, 1, vcc_lo
	v_cmp_ne_u32_e32 vcc_lo, v2, v3
	s_wait_dscnt 0x0
	s_barrier_signal -1
	s_barrier_wait -1
	v_cndmask_b32_e64 v43, 0, 1, vcc_lo
	v_cmp_ne_u32_e32 vcc_lo, v3, v4
	ds_load_b128 v[14:17], v1
	ds_load_b128 v[22:25], v1 offset:16
	v_cndmask_b32_e64 v47, 0, 1, vcc_lo
	v_cmp_ne_u32_e32 vcc_lo, v4, v5
	v_cndmask_b32_e64 v45, 0, 1, vcc_lo
	v_cmp_ne_u32_e32 vcc_lo, v5, v10
	ds_load_b128 v[2:5], v1 offset:32
	v_cndmask_b32_e64 v49, 0, 1, vcc_lo
	v_cmp_ne_u32_e32 vcc_lo, v10, v11
	s_wait_dscnt 0x2
	v_dual_mov_b32 v18, v14 :: v_dual_mov_b32 v42, v15
	v_cndmask_b32_e64 v51, 0, 1, vcc_lo
	v_cmp_ne_u32_e32 vcc_lo, v11, v12
	v_dual_mov_b32 v46, v16 :: v_dual_mov_b32 v44, v17
	s_wait_dscnt 0x1
	v_dual_mov_b32 v48, v22 :: v_dual_mov_b32 v50, v23
	v_cndmask_b32_e64 v53, 0, 1, vcc_lo
	v_cmp_ne_u32_e32 vcc_lo, v12, v13
	v_dual_mov_b32 v52, v24 :: v_dual_mov_b32 v54, v25
	s_wait_dscnt 0x0
	v_dual_mov_b32 v56, v2 :: v_dual_mov_b32 v58, v3
	v_cndmask_b32_e64 v55, 0, 1, vcc_lo
	v_cmp_ne_u32_e32 vcc_lo, v13, v6
	v_mov_b64_e32 v[40:41], v[42:43]
	v_mov_b64_e32 v[38:39], v[46:47]
	;; [unrolled: 1-line block ×4, first 2 shown]
	v_cndmask_b32_e64 v57, 0, 1, vcc_lo
	v_cmp_ne_u32_e32 vcc_lo, v6, v7
	v_mov_b64_e32 v[32:33], v[50:51]
	v_mov_b64_e32 v[30:31], v[52:53]
	;; [unrolled: 1-line block ×4, first 2 shown]
	v_cndmask_b32_e64 v59, 0, 1, vcc_lo
	v_cmp_ne_u32_e32 vcc_lo, v7, v8
	v_mov_b32_e32 v20, v4
	s_delay_alu instid0(VALU_DEP_3)
	v_mov_b64_e32 v[22:23], v[58:59]
	v_cndmask_b32_e64 v21, 0, 1, vcc_lo
.LBB1869_88:
	v_mov_b64_e32 v[14:15], 0
	s_and_saveexec_b32 s0, s1
	s_cbranch_execz .LBB1869_90
; %bb.89:
	v_mov_b64_e32 v[22:23], v[58:59]
	v_mov_b64_e32 v[24:25], v[56:57]
	;; [unrolled: 1-line block ×9, first 2 shown]
	v_cndmask_b32_e64 v15, 0, 1, s3
	v_mov_b32_e32 v14, v5
.LBB1869_90:
	s_or_b32 exec_lo, exec_lo, s0
	v_dual_lshrrev_b32 v1, 2, v0 :: v_dual_bitop2_b32 v17, v29, v25 bitop3:0x54
	v_or_b32_e32 v16, v23, v21
	s_cmp_lg_u32 s20, 0
	s_wait_dscnt 0x0
	v_cmp_gt_u32_e32 vcc_lo, 32, v0
	s_barrier_signal -1
	s_barrier_wait -1
	s_cbranch_scc0 .LBB1869_118
; %bb.91:
	s_mov_b64 s[10:11], 0x100000000
	v_or3_b32 v3, v17, v31, v33
	v_cmp_gt_u64_e64 s0, s[10:11], v[40:41]
	v_cmp_gt_u64_e64 s1, s[10:11], v[38:39]
	;; [unrolled: 1-line block ×7, first 2 shown]
	v_dual_cndmask_b32 v2, 0, v18, s0 :: v_dual_bitop2_b32 v5, 56, v1 bitop3:0x40
	v_cmp_gt_u64_e64 s7, s[10:11], v[24:25]
	v_cmp_gt_u64_e64 s8, s[10:11], v[22:23]
	;; [unrolled: 1-line block ×3, first 2 shown]
	s_delay_alu instid0(VALU_DEP_4) | instskip(SKIP_3) | instid1(VALU_DEP_4)
	v_add_nc_u32_e32 v2, v2, v40
	v_cmp_gt_u64_e64 s10, s[10:11], v[14:15]
	v_or3_b32 v3, v3, v35, v37
	v_lshl_add_u32 v5, v0, 3, v5
	v_cndmask_b32_e64 v2, 0, v2, s1
	s_delay_alu instid0(VALU_DEP_3) | instskip(NEXT) | instid1(VALU_DEP_2)
	v_or3_b32 v3, v3, v39, v41
	v_add_nc_u32_e32 v2, v2, v38
	s_delay_alu instid0(VALU_DEP_2) | instskip(NEXT) | instid1(VALU_DEP_2)
	v_or3_b32 v3, v15, v16, v3
	v_cndmask_b32_e64 v2, 0, v2, s2
	s_delay_alu instid0(VALU_DEP_2) | instskip(NEXT) | instid1(VALU_DEP_2)
	v_and_b32_e32 v3, 0xff, v3
	v_add_nc_u32_e32 v2, v2, v36
	s_delay_alu instid0(VALU_DEP_1) | instskip(NEXT) | instid1(VALU_DEP_1)
	v_cndmask_b32_e64 v2, 0, v2, s3
	v_add_nc_u32_e32 v2, v2, v34
	s_delay_alu instid0(VALU_DEP_1) | instskip(NEXT) | instid1(VALU_DEP_1)
	v_cndmask_b32_e64 v2, 0, v2, s4
	;; [unrolled: 3-line block ×7, first 2 shown]
	v_dual_add_nc_u32 v4, v2, v20 :: v_dual_mov_b32 v2, 0
	s_delay_alu instid0(VALU_DEP_1) | instskip(NEXT) | instid1(VALU_DEP_2)
	v_cndmask_b32_e64 v4, 0, v4, s10
	v_cmp_eq_u64_e64 s11, 0, v[2:3]
	s_delay_alu instid0(VALU_DEP_1)
	v_dual_add_nc_u32 v12, v4, v14 :: v_dual_cndmask_b32 v13, 1, v19, s11
	ds_store_b32 v5, v12
	ds_store_b8 v5, v13 offset:4
	s_wait_dscnt 0x0
	s_barrier_signal -1
	s_barrier_wait -1
	s_and_saveexec_b32 s12, vcc_lo
	s_cbranch_execz .LBB1869_101
; %bb.92:
	v_dual_lshlrev_b32 v2, 1, v0 :: v_dual_lshlrev_b32 v3, 6, v0
	s_mov_b32 s13, exec_lo
	s_delay_alu instid0(VALU_DEP_1) | instskip(NEXT) | instid1(VALU_DEP_1)
	v_and_b32_e32 v2, 0x1f8, v2
	v_add_nc_u32_e32 v4, v2, v3
	ds_load_u8 v5, v4 offset:12
	ds_load_b64 v[2:3], v4
	ds_load_2addr_b32 v[6:7], v4 offset0:2 offset1:4
	ds_load_u8 v10, v4 offset:20
	ds_load_u8 v11, v4 offset:28
	;; [unrolled: 1-line block ×5, first 2 shown]
	ds_load_b32 v44, v4 offset:56
	s_wait_dscnt 0x8
	v_cmp_eq_u16_e64 s11, 0, v5
	s_wait_dscnt 0x5
	s_delay_alu instid0(VALU_DEP_1)
	v_dual_cndmask_b32 v45, 0, v2, s11 :: v_dual_bitop2_b32 v5, v10, v5 bitop3:0x54
	ds_load_2addr_b32 v[8:9], v4 offset0:6 offset1:8
	v_cmp_eq_u16_e64 s11, 0, v10
	s_wait_dscnt 0x4
	v_bitop3_b16 v5, v5, v27, v11 bitop3:0xfe
	v_add_nc_u32_e32 v6, v45, v6
	s_delay_alu instid0(VALU_DEP_1) | instskip(SKIP_1) | instid1(VALU_DEP_2)
	v_cndmask_b32_e64 v6, 0, v6, s11
	v_cmp_eq_u16_e64 s11, 0, v11
	v_add_nc_u32_e32 v6, v6, v7
	s_delay_alu instid0(VALU_DEP_1)
	v_cndmask_b32_e64 v45, 0, v6, s11
	ds_load_2addr_b32 v[6:7], v4 offset0:10 offset1:12
	v_cmp_eq_u16_e64 s11, 0, v27
	s_wait_dscnt 0x1
	v_add_nc_u32_e32 v8, v45, v8
	ds_load_u8 v45, v4 offset:60
	v_cndmask_b32_e64 v8, 0, v8, s11
	v_cmp_eq_u16_e64 s11, 0, v42
	s_delay_alu instid0(VALU_DEP_2) | instskip(SKIP_1) | instid1(VALU_DEP_2)
	v_add_nc_u32_e32 v8, v8, v9
	v_bitop3_b16 v9, v5, v43, v42 bitop3:0xfe
	v_dual_cndmask_b32 v8, 0, v8, s11 :: v_dual_bitop2_b32 v5, 1, v3 bitop3:0x40
	s_delay_alu instid0(VALU_DEP_2) | instskip(SKIP_1) | instid1(VALU_DEP_2)
	v_cmp_eq_u16_e64 s11, 0, v9
	s_wait_dscnt 0x0
	v_dual_add_nc_u32 v6, v8, v6 :: v_dual_bitop2_b32 v8, 1, v45 bitop3:0x40
	s_delay_alu instid0(VALU_DEP_2) | instskip(SKIP_1) | instid1(VALU_DEP_1)
	v_cndmask_b32_e64 v9, 1, v5, s11
	v_cmp_eq_u16_e64 s11, 0, v43
	v_cndmask_b32_e64 v6, 0, v6, s11
	s_delay_alu instid0(VALU_DEP_4) | instskip(SKIP_1) | instid1(VALU_DEP_2)
	v_cmp_eq_u32_e64 s11, 1, v8
	v_mbcnt_lo_u32_b32 v8, -1, 0
	v_cndmask_b32_e64 v9, v9, 1, s11
	v_cmp_eq_u16_e64 s11, 0, v45
	s_delay_alu instid0(VALU_DEP_2) | instskip(SKIP_2) | instid1(VALU_DEP_1)
	v_and_b32_e32 v10, 0xffff, v9
	v_add_nc_u32_e32 v7, v6, v7
	v_and_b32_e32 v6, 0xffffff00, v3
	v_dual_cndmask_b32 v7, 0, v7, s11 :: v_dual_bitop2_b32 v11, v6, v10 bitop3:0x54
	v_and_b32_e32 v10, 15, v8
	s_delay_alu instid0(VALU_DEP_2) | instskip(NEXT) | instid1(VALU_DEP_3)
	v_mov_b32_dpp v42, v11 row_shr:1 row_mask:0xf bank_mask:0xf
	v_add_nc_u32_e32 v7, v7, v44
	s_delay_alu instid0(VALU_DEP_1) | instskip(NEXT) | instid1(VALU_DEP_4)
	v_mov_b32_dpp v27, v7 row_shr:1 row_mask:0xf bank_mask:0xf
	v_cmpx_ne_u32_e32 0, v10
	s_cbranch_execz .LBB1869_94
; %bb.93:
	v_and_b32_e32 v11, 1, v9
	v_and_b32_e32 v42, 1, v42
	s_delay_alu instid0(VALU_DEP_2) | instskip(NEXT) | instid1(VALU_DEP_1)
	v_cmp_eq_u32_e64 s11, 1, v11
	v_cndmask_b32_e64 v42, v42, 1, s11
	v_cmp_eq_u16_e64 s11, 0, v9
	s_delay_alu instid0(VALU_DEP_2) | instskip(NEXT) | instid1(VALU_DEP_2)
	v_and_b32_e32 v11, 0xffff, v42
	v_cndmask_b32_e64 v9, 0, v27, s11
	s_delay_alu instid0(VALU_DEP_2) | instskip(NEXT) | instid1(VALU_DEP_2)
	v_or_b32_e32 v11, v6, v11
	v_dual_add_nc_u32 v7, v9, v7 :: v_dual_mov_b32 v9, v42
.LBB1869_94:
	s_or_b32 exec_lo, exec_lo, s13
	s_delay_alu instid0(VALU_DEP_1) | instskip(NEXT) | instid1(VALU_DEP_3)
	v_mov_b32_dpp v27, v7 row_shr:2 row_mask:0xf bank_mask:0xf
	v_mov_b32_dpp v42, v11 row_shr:2 row_mask:0xf bank_mask:0xf
	s_mov_b32 s13, exec_lo
	v_cmpx_lt_u32_e32 1, v10
	s_cbranch_execz .LBB1869_96
; %bb.95:
	v_and_b32_e32 v11, 1, v9
	v_and_b32_e32 v42, 1, v42
	s_delay_alu instid0(VALU_DEP_2) | instskip(NEXT) | instid1(VALU_DEP_1)
	v_cmp_eq_u32_e64 s11, 1, v11
	v_cndmask_b32_e64 v42, v42, 1, s11
	v_cmp_eq_u16_e64 s11, 0, v9
	s_delay_alu instid0(VALU_DEP_2) | instskip(NEXT) | instid1(VALU_DEP_2)
	v_and_b32_e32 v11, 0xffff, v42
	v_cndmask_b32_e64 v9, 0, v27, s11
	s_delay_alu instid0(VALU_DEP_2) | instskip(NEXT) | instid1(VALU_DEP_2)
	v_or_b32_e32 v11, v6, v11
	v_dual_add_nc_u32 v7, v9, v7 :: v_dual_mov_b32 v9, v42
.LBB1869_96:
	s_or_b32 exec_lo, exec_lo, s13
	s_delay_alu instid0(VALU_DEP_1) | instskip(NEXT) | instid1(VALU_DEP_3)
	v_mov_b32_dpp v27, v7 row_shr:4 row_mask:0xf bank_mask:0xf
	v_mov_b32_dpp v42, v11 row_shr:4 row_mask:0xf bank_mask:0xf
	s_mov_b32 s13, exec_lo
	v_cmpx_lt_u32_e32 3, v10
	;; [unrolled: 21-line block ×3, first 2 shown]
	s_cbranch_execz .LBB1869_100
; %bb.99:
	v_and_b32_e32 v10, 1, v9
	v_and_b32_e32 v11, 1, v42
	s_delay_alu instid0(VALU_DEP_2) | instskip(NEXT) | instid1(VALU_DEP_1)
	v_cmp_eq_u32_e64 s11, 1, v10
	v_cndmask_b32_e64 v10, v11, 1, s11
	v_cmp_eq_u16_e64 s11, 0, v9
	s_delay_alu instid0(VALU_DEP_2) | instskip(NEXT) | instid1(VALU_DEP_2)
	v_and_b32_e32 v11, 0xffff, v10
	v_cndmask_b32_e64 v9, 0, v27, s11
	s_delay_alu instid0(VALU_DEP_2) | instskip(NEXT) | instid1(VALU_DEP_2)
	v_or_b32_e32 v11, v6, v11
	v_dual_add_nc_u32 v7, v9, v7 :: v_dual_mov_b32 v9, v10
.LBB1869_100:
	s_or_b32 exec_lo, exec_lo, s13
	ds_swizzle_b32 v10, v11 offset:swizzle(BROADCAST,32,15)
	ds_swizzle_b32 v11, v7 offset:swizzle(BROADCAST,32,15)
	v_and_b32_e32 v27, 1, v9
	v_bfe_i32 v43, v8, 4, 1
	v_and_b32_e32 v3, 0xff, v3
	; wave barrier
	s_delay_alu instid0(VALU_DEP_3) | instskip(SKIP_2) | instid1(VALU_DEP_1)
	v_cmp_eq_u32_e64 s11, 1, v27
	s_wait_dscnt 0x1
	v_dual_add_nc_u32 v27, -1, v8 :: v_dual_bitop2_b32 v10, 1, v10 bitop3:0x40
	v_cndmask_b32_e64 v10, v10, 1, s11
	v_and_b32_e32 v42, 16, v8
	v_cmp_eq_u16_e64 s11, 0, v9
	s_wait_dscnt 0x0
	s_delay_alu instid0(VALU_DEP_1) | instskip(NEXT) | instid1(VALU_DEP_3)
	v_cndmask_b32_e64 v11, 0, v11, s11
	v_cmp_eq_u32_e64 s11, 0, v42
	s_delay_alu instid0(VALU_DEP_1) | instskip(SKIP_1) | instid1(VALU_DEP_4)
	v_cndmask_b32_e64 v9, v10, v9, s11
	v_cmp_gt_i32_e64 s11, 0, v27
	v_and_b32_e32 v10, v43, v11
	s_delay_alu instid0(VALU_DEP_3) | instskip(NEXT) | instid1(VALU_DEP_2)
	v_and_b32_e32 v9, 0xffff, v9
	v_dual_cndmask_b32 v8, v27, v8, s11 :: v_dual_add_nc_u32 v7, v10, v7
	v_cmp_eq_u16_e64 s11, 0, v3
	s_delay_alu instid0(VALU_DEP_2)
	v_lshlrev_b32_e32 v8, 2, v8
	ds_bpermute_b32 v7, v8, v7
	s_wait_dscnt 0x0
	v_dual_cndmask_b32 v3, 0, v7, s11 :: v_dual_bitop2_b32 v6, v6, v9 bitop3:0x54
	ds_bpermute_b32 v6, v8, v6
	v_cmp_eq_u32_e64 s11, 1, v5
	v_add_nc_u32_e32 v2, v3, v2
	s_wait_dscnt 0x0
	v_and_b32_e32 v6, 1, v6
	s_delay_alu instid0(VALU_DEP_1) | instskip(SKIP_1) | instid1(VALU_DEP_1)
	v_cndmask_b32_e64 v3, v6, 1, s11
	v_cmp_eq_u32_e64 s11, 0, v0
	v_dual_cndmask_b32 v8, v3, v13, s11 :: v_dual_cndmask_b32 v5, v2, v12, s11
	ds_store_b32 v4, v5
	ds_store_b8 v4, v8 offset:4
	; wave barrier
	ds_load_u8 v9, v4 offset:12
	ds_load_2addr_b32 v[2:3], v4 offset0:2 offset1:4
	ds_load_u8 v10, v4 offset:20
	ds_load_u8 v11, v4 offset:28
	;; [unrolled: 1-line block ×5, first 2 shown]
	ds_load_b32 v44, v4 offset:56
	ds_load_u8 v45, v4 offset:60
	ds_load_2addr_b32 v[6:7], v4 offset0:6 offset1:8
	s_wait_dscnt 0x9
	v_cmp_eq_u16_e64 s11, 0, v9
	v_and_b32_e32 v9, 1, v9
	s_delay_alu instid0(VALU_DEP_2) | instskip(SKIP_2) | instid1(VALU_DEP_2)
	v_cndmask_b32_e64 v5, 0, v5, s11
	s_wait_dscnt 0x7
	v_cmp_eq_u16_e64 s11, 0, v10
	v_add_nc_u32_e32 v5, v5, v2
	s_delay_alu instid0(VALU_DEP_1) | instskip(SKIP_2) | instid1(VALU_DEP_2)
	v_cndmask_b32_e64 v2, 0, v5, s11
	s_wait_dscnt 0x6
	v_cmp_eq_u16_e64 s11, 0, v11
	v_add_nc_u32_e32 v46, v2, v3
	ds_load_2addr_b32 v[2:3], v4 offset0:10 offset1:12
	v_cndmask_b32_e64 v47, 0, v46, s11
	s_wait_dscnt 0x6
	v_cmp_eq_u16_e64 s11, 0, v27
	ds_store_2addr_b32 v4, v5, v46 offset0:2 offset1:4
	s_wait_dscnt 0x2
	v_add_nc_u32_e32 v6, v47, v6
	s_delay_alu instid0(VALU_DEP_1) | instskip(SKIP_3) | instid1(VALU_DEP_4)
	v_cndmask_b32_e64 v47, 0, v6, s11
	v_cmp_eq_u32_e64 s11, 1, v9
	v_and_b32_e32 v9, 1, v11
	v_and_b32_e32 v11, 1, v27
	v_dual_add_nc_u32 v7, v47, v7 :: v_dual_bitop2_b32 v10, 1, v10 bitop3:0x40
	s_delay_alu instid0(VALU_DEP_4) | instskip(SKIP_1) | instid1(VALU_DEP_3)
	v_cndmask_b32_e64 v8, v8, 1, s11
	v_and_b32_e32 v47, 1, v45
	v_cmp_eq_u32_e64 s11, 1, v10
	s_delay_alu instid0(VALU_DEP_1) | instskip(SKIP_1) | instid1(VALU_DEP_1)
	v_cndmask_b32_e64 v10, v8, 1, s11
	v_cmp_eq_u16_e64 s11, 0, v42
	v_dual_cndmask_b32 v27, 0, v7, s11 :: v_dual_bitop2_b32 v42, 1, v42 bitop3:0x40
	v_cmp_eq_u32_e64 s11, 1, v9
	s_wait_dscnt 0x1
	s_delay_alu instid0(VALU_DEP_2) | instskip(NEXT) | instid1(VALU_DEP_2)
	v_dual_add_nc_u32 v2, v27, v2 :: v_dual_bitop2_b32 v27, 1, v43 bitop3:0x40
	v_cndmask_b32_e64 v9, v10, 1, s11
	v_cmp_eq_u32_e64 s11, 1, v11
	s_delay_alu instid0(VALU_DEP_1) | instskip(SKIP_1) | instid1(VALU_DEP_1)
	v_cndmask_b32_e64 v11, v9, 1, s11
	v_cmp_eq_u16_e64 s11, 0, v43
	v_cndmask_b32_e64 v43, 0, v2, s11
	v_cmp_eq_u32_e64 s11, 1, v42
	s_delay_alu instid0(VALU_DEP_2) | instskip(NEXT) | instid1(VALU_DEP_2)
	v_add_nc_u32_e32 v3, v43, v3
	v_cndmask_b32_e64 v42, v11, 1, s11
	v_cmp_eq_u32_e64 s11, 1, v27
	ds_store_2addr_b32 v4, v6, v7 offset0:6 offset1:8
	ds_store_2addr_b32 v4, v2, v3 offset0:10 offset1:12
	v_cndmask_b32_e64 v27, v42, 1, s11
	v_cmp_eq_u16_e64 s11, 0, v45
	s_delay_alu instid0(VALU_DEP_1) | instskip(SKIP_1) | instid1(VALU_DEP_2)
	v_cndmask_b32_e64 v5, 0, v3, s11
	v_cmp_eq_u32_e64 s11, 1, v47
	v_add_nc_u32_e32 v2, v5, v44
	s_delay_alu instid0(VALU_DEP_2)
	v_cndmask_b32_e64 v43, v27, 1, s11
	ds_store_b8 v4, v8 offset:12
	ds_store_b8 v4, v10 offset:20
	;; [unrolled: 1-line block ×6, first 2 shown]
	ds_store_b32 v4, v2 offset:56
	ds_store_b8 v4, v43 offset:60
.LBB1869_101:
	s_or_b32 exec_lo, exec_lo, s12
	v_cmp_eq_u32_e64 s11, 0, v0
	s_mov_b32 s13, exec_lo
	s_wait_dscnt 0x0
	s_barrier_signal -1
	s_barrier_wait -1
	v_cmpx_ne_u32_e32 0, v0
	s_cbranch_execz .LBB1869_103
; %bb.102:
	v_add_nc_u32_e32 v2, -1, v0
	s_delay_alu instid0(VALU_DEP_1) | instskip(NEXT) | instid1(VALU_DEP_1)
	v_lshrrev_b32_e32 v3, 2, v2
	v_and_b32_e32 v3, 0x3ffffff8, v3
	s_delay_alu instid0(VALU_DEP_1)
	v_lshl_add_u32 v2, v2, 3, v3
	ds_load_b32 v12, v2
	ds_load_u8 v13, v2 offset:4
.LBB1869_103:
	s_or_b32 exec_lo, exec_lo, s13
	s_and_saveexec_b32 s30, vcc_lo
	s_cbranch_execz .LBB1869_123
; %bb.104:
	v_mov_b32_e32 v5, 0
	v_mbcnt_lo_u32_b32 v27, -1, 0
	s_mov_b32 s23, 0
	ds_load_b64 v[2:3], v5 offset:2096
	v_cmp_eq_u32_e64 s12, 0, v27
	s_and_saveexec_b32 s13, s12
	s_cbranch_execz .LBB1869_106
; %bb.105:
	s_add_co_i32 s22, s20, 32
	v_mov_b32_e32 v4, 1
	s_lshl_b64 s[22:23], s[22:23], 4
	s_delay_alu instid0(SALU_CYCLE_1) | instskip(NEXT) | instid1(SALU_CYCLE_1)
	s_add_nc_u64 s[22:23], s[24:25], s[22:23]
	v_mov_b64_e32 v[6:7], s[22:23]
	s_wait_dscnt 0x0
	;;#ASMSTART
	global_store_b128 v[6:7], v[2:5] off scope:SCOPE_DEV	
s_wait_storecnt 0x0
	;;#ASMEND
.LBB1869_106:
	s_or_b32 exec_lo, exec_lo, s13
	v_xad_u32 v8, v27, -1, s20
	s_mov_b32 s13, exec_lo
	s_delay_alu instid0(VALU_DEP_1) | instskip(NEXT) | instid1(VALU_DEP_1)
	v_add_nc_u32_e32 v4, 32, v8
	v_lshl_add_u64 v[10:11], v[4:5], 4, s[24:25]
	;;#ASMSTART
	global_load_b128 v[4:7], v[10:11] off scope:SCOPE_DEV	
s_wait_loadcnt 0x0
	;;#ASMEND
	v_and_b32_e32 v7, 0xff, v6
	v_and_b32_e32 v5, 0xff, v5
	s_delay_alu instid0(VALU_DEP_2)
	v_cmpx_eq_u16_e32 0, v7
	s_cbranch_execz .LBB1869_110
; %bb.107:
	s_mov_b32 s22, 0
.LBB1869_108:                           ; =>This Inner Loop Header: Depth=1
	;;#ASMSTART
	global_load_b128 v[4:7], v[10:11] off scope:SCOPE_DEV	
s_wait_loadcnt 0x0
	;;#ASMEND
	v_and_b32_e32 v7, 0xff, v6
	s_delay_alu instid0(VALU_DEP_1) | instskip(SKIP_1) | instid1(SALU_CYCLE_1)
	v_cmp_ne_u16_e32 vcc_lo, 0, v7
	s_or_b32 s22, vcc_lo, s22
	s_and_not1_b32 exec_lo, exec_lo, s22
	s_cbranch_execnz .LBB1869_108
; %bb.109:
	s_or_b32 exec_lo, exec_lo, s22
	v_and_b32_e32 v5, 0xff, v5
.LBB1869_110:
	s_or_b32 exec_lo, exec_lo, s13
	v_cmp_ne_u32_e32 vcc_lo, 31, v27
	v_and_b32_e32 v9, 0xff, v6
	v_lshlrev_b32_e64 v43, v27, -1
	s_mov_b64 s[22:23], 0x100000000
	v_lshl_or_b32 v52, v27, 2, 64
	v_add_co_ci_u32_e64 v7, null, 0, v27, vcc_lo
	v_cmp_eq_u16_e32 vcc_lo, 2, v9
	v_cmp_gt_u64_e64 s13, s[22:23], v[4:5]
	s_delay_alu instid0(VALU_DEP_3) | instskip(SKIP_1) | instid1(VALU_DEP_2)
	v_dual_lshlrev_b32 v42, 2, v7 :: v_dual_bitop2_b32 v10, 1, v5 bitop3:0x40
	v_and_or_b32 v9, vcc_lo, v43, 0x80000000
	v_cmp_eq_u32_e32 vcc_lo, 1, v10
	ds_bpermute_b32 v7, v42, v5
	ds_bpermute_b32 v10, v42, v4
	v_ctz_i32_b32_e32 v9, v9
	s_wait_dscnt 0x1
	v_and_b32_e32 v7, 1, v7
	s_delay_alu instid0(VALU_DEP_1) | instskip(SKIP_1) | instid1(VALU_DEP_2)
	v_cndmask_b32_e64 v7, v7, 1, vcc_lo
	v_cmp_gt_u32_e32 vcc_lo, 30, v27
	v_and_b32_e32 v45, 0xffff, v7
	v_cndmask_b32_e64 v11, 0, 2, vcc_lo
	v_cmp_lt_u32_e32 vcc_lo, v27, v9
	s_delay_alu instid0(VALU_DEP_2) | instskip(NEXT) | instid1(VALU_DEP_4)
	v_add_lshl_u32 v44, v11, v27, 2
	v_dual_cndmask_b32 v11, v5, v45, vcc_lo :: v_dual_cndmask_b32 v7, v5, v7, vcc_lo
	s_and_b32 vcc_lo, vcc_lo, s13
	s_wait_dscnt 0x0
	v_dual_cndmask_b32 v10, 0, v10 :: v_dual_add_nc_u32 v45, 2, v27
	ds_bpermute_b32 v5, v44, v11
	v_and_b32_e32 v46, 1, v7
	v_and_b32_e32 v48, 0xff, v7
	v_add_nc_u32_e32 v4, v10, v4
	s_delay_alu instid0(VALU_DEP_3) | instskip(NEXT) | instid1(VALU_DEP_3)
	v_cmp_eq_u32_e32 vcc_lo, 1, v46
	v_cmp_eq_u16_e64 s13, 0, v48
	ds_bpermute_b32 v10, v44, v4
	s_wait_dscnt 0x1
	v_and_b32_e32 v5, 1, v5
	s_delay_alu instid0(VALU_DEP_1) | instskip(SKIP_3) | instid1(VALU_DEP_3)
	v_cndmask_b32_e64 v5, v5, 1, vcc_lo
	v_cmp_gt_u32_e32 vcc_lo, 28, v27
	s_wait_dscnt 0x0
	v_cndmask_b32_e64 v10, 0, v10, s13
	v_and_b32_e32 v47, 0xffff, v5
	v_cndmask_b32_e64 v46, 0, 4, vcc_lo
	v_cmp_gt_u32_e32 vcc_lo, v45, v9
	s_delay_alu instid0(VALU_DEP_2) | instskip(SKIP_3) | instid1(VALU_DEP_3)
	v_add_lshl_u32 v46, v46, v27, 2
	v_cndmask_b32_e32 v5, v5, v7, vcc_lo
	v_cndmask_b32_e64 v10, v10, 0, vcc_lo
	v_cndmask_b32_e32 v7, v47, v11, vcc_lo
	v_dual_add_nc_u32 v47, 4, v27 :: v_dual_bitop2_b32 v48, 1, v5 bitop3:0x40
	s_delay_alu instid0(VALU_DEP_3) | instskip(SKIP_4) | instid1(VALU_DEP_1)
	v_add_nc_u32_e32 v4, v10, v4
	ds_bpermute_b32 v11, v46, v7
	v_cmp_eq_u32_e32 vcc_lo, 1, v48
	ds_bpermute_b32 v10, v46, v4
	v_and_b32_e32 v48, 0xff, v5
	v_cmp_eq_u16_e64 s13, 0, v48
	s_wait_dscnt 0x0
	s_delay_alu instid0(VALU_DEP_1) | instskip(NEXT) | instid1(VALU_DEP_1)
	v_dual_cndmask_b32 v10, 0, v10, s13 :: v_dual_bitop2_b32 v11, 1, v11 bitop3:0x40
	v_cndmask_b32_e64 v11, v11, 1, vcc_lo
	v_cmp_gt_u32_e32 vcc_lo, 24, v27
	s_delay_alu instid0(VALU_DEP_2) | instskip(SKIP_2) | instid1(VALU_DEP_2)
	v_and_b32_e32 v50, 0xffff, v11
	v_cndmask_b32_e64 v49, 0, 8, vcc_lo
	v_cmp_gt_u32_e32 vcc_lo, v47, v9
	v_add_lshl_u32 v48, v49, v27, 2
	s_delay_alu instid0(VALU_DEP_4) | instskip(SKIP_1) | instid1(VALU_DEP_2)
	v_dual_cndmask_b32 v5, v11, v5, vcc_lo :: v_dual_cndmask_b32 v7, v50, v7, vcc_lo
	v_cndmask_b32_e64 v10, v10, 0, vcc_lo
	v_and_b32_e32 v50, 1, v5
	ds_bpermute_b32 v11, v48, v7
	v_add_nc_u32_e32 v4, v10, v4
	v_and_b32_e32 v51, 0xff, v5
	v_cmp_eq_u32_e32 vcc_lo, 1, v50
	ds_bpermute_b32 v10, v48, v4
	s_wait_dscnt 0x1
	v_and_b32_e32 v11, 1, v11
	s_delay_alu instid0(VALU_DEP_1) | instskip(SKIP_2) | instid1(VALU_DEP_3)
	v_cndmask_b32_e64 v11, v11, 1, vcc_lo
	v_add_nc_u32_e32 v49, 8, v27
	v_cmp_eq_u16_e32 vcc_lo, 0, v51
	v_and_b32_e32 v50, 0xffff, v11
	s_wait_dscnt 0x0
	v_cndmask_b32_e32 v10, 0, v10, vcc_lo
	v_cmp_gt_u32_e32 vcc_lo, v49, v9
	s_delay_alu instid0(VALU_DEP_3) | instskip(NEXT) | instid1(VALU_DEP_3)
	v_dual_cndmask_b32 v5, v11, v5, vcc_lo :: v_dual_cndmask_b32 v7, v50, v7, vcc_lo
	v_cndmask_b32_e64 v10, v10, 0, vcc_lo
	s_delay_alu instid0(VALU_DEP_2) | instskip(SKIP_3) | instid1(VALU_DEP_1)
	v_and_b32_e32 v50, 1, v5
	ds_bpermute_b32 v7, v52, v7
	v_add_nc_u32_e32 v4, v10, v4
	v_and_b32_e32 v11, 0xff, v5
	v_cmp_eq_u16_e32 vcc_lo, 0, v11
	s_wait_dscnt 0x0
	v_and_b32_e32 v7, 1, v7
	ds_bpermute_b32 v10, v52, v4
	s_wait_dscnt 0x0
	v_dual_cndmask_b32 v10, 0, v10 :: v_dual_add_nc_u32 v53, 16, v27
	v_cmp_eq_u32_e32 vcc_lo, 1, v50
	v_cndmask_b32_e64 v7, v7, 1, vcc_lo
	s_delay_alu instid0(VALU_DEP_3) | instskip(NEXT) | instid1(VALU_DEP_2)
	v_cmp_gt_u32_e32 vcc_lo, v53, v9
	v_dual_mov_b32 v9, 0 :: v_dual_cndmask_b32 v5, v7, v5, vcc_lo
	v_cndmask_b32_e64 v7, v10, 0, vcc_lo
	s_delay_alu instid0(VALU_DEP_1)
	v_add_nc_u32_e32 v4, v7, v4
	s_branch .LBB1869_114
.LBB1869_111:                           ;   in Loop: Header=BB1869_114 Depth=1
	s_or_b32 exec_lo, exec_lo, s31
	v_and_b32_e32 v5, 0xff, v5
.LBB1869_112:                           ;   in Loop: Header=BB1869_114 Depth=1
	s_or_b32 exec_lo, exec_lo, s13
	ds_bpermute_b32 v7, v42, v5
	v_and_b32_e32 v10, 0xff, v6
	v_cmp_gt_u64_e64 s13, s[22:23], v[4:5]
	v_subrev_nc_u32_e32 v8, 32, v8
	s_delay_alu instid0(VALU_DEP_3) | instskip(SKIP_2) | instid1(VALU_DEP_2)
	v_cmp_eq_u16_e32 vcc_lo, 2, v10
	v_and_b32_e32 v10, 1, v5
	v_and_or_b32 v11, vcc_lo, v43, 0x80000000
	v_cmp_eq_u32_e32 vcc_lo, 1, v10
	s_delay_alu instid0(VALU_DEP_2) | instskip(SKIP_3) | instid1(VALU_DEP_1)
	v_ctz_i32_b32_e32 v10, v11
	ds_bpermute_b32 v11, v42, v4
	s_wait_dscnt 0x1
	v_and_b32_e32 v7, 1, v7
	v_cndmask_b32_e64 v7, v7, 1, vcc_lo
	v_cmp_lt_u32_e32 vcc_lo, v27, v10
	s_delay_alu instid0(VALU_DEP_2) | instskip(NEXT) | instid1(VALU_DEP_1)
	v_and_b32_e32 v54, 0xffff, v7
	v_dual_cndmask_b32 v7, v5, v7 :: v_dual_cndmask_b32 v54, v5, v54
	s_and_b32 vcc_lo, vcc_lo, s13
	s_delay_alu instid0(VALU_DEP_1)
	v_and_b32_e32 v56, 0xff, v7
	v_and_b32_e32 v55, 1, v7
	ds_bpermute_b32 v5, v44, v54
	s_wait_dscnt 0x1
	v_cndmask_b32_e32 v11, 0, v11, vcc_lo
	v_cmp_eq_u16_e64 s13, 0, v56
	v_cmp_eq_u32_e32 vcc_lo, 1, v55
	s_wait_dscnt 0x0
	s_delay_alu instid0(VALU_DEP_3) | instskip(NEXT) | instid1(VALU_DEP_1)
	v_dual_add_nc_u32 v4, v11, v4 :: v_dual_bitop2_b32 v5, 1, v5 bitop3:0x40
	v_cndmask_b32_e64 v5, v5, 1, vcc_lo
	ds_bpermute_b32 v11, v44, v4
	v_cmp_gt_u32_e32 vcc_lo, v45, v10
	v_and_b32_e32 v55, 0xffff, v5
	s_delay_alu instid0(VALU_DEP_1) | instskip(NEXT) | instid1(VALU_DEP_1)
	v_dual_cndmask_b32 v5, v5, v7, vcc_lo :: v_dual_cndmask_b32 v7, v55, v54, vcc_lo
	v_and_b32_e32 v55, 1, v5
	ds_bpermute_b32 v54, v46, v7
	s_wait_dscnt 0x1
	v_cndmask_b32_e64 v11, 0, v11, s13
	s_delay_alu instid0(VALU_DEP_1) | instskip(SKIP_2) | instid1(VALU_DEP_3)
	v_cndmask_b32_e64 v11, v11, 0, vcc_lo
	v_cmp_eq_u32_e32 vcc_lo, 1, v55
	v_and_b32_e32 v55, 0xff, v5
	v_add_nc_u32_e32 v4, v11, v4
	s_delay_alu instid0(VALU_DEP_2)
	v_cmp_eq_u16_e64 s13, 0, v55
	s_wait_dscnt 0x0
	v_and_b32_e32 v54, 1, v54
	ds_bpermute_b32 v11, v46, v4
	v_cndmask_b32_e64 v54, v54, 1, vcc_lo
	v_cmp_gt_u32_e32 vcc_lo, v47, v10
	s_delay_alu instid0(VALU_DEP_2) | instskip(SKIP_3) | instid1(VALU_DEP_1)
	v_and_b32_e32 v56, 0xffff, v54
	s_wait_dscnt 0x0
	v_dual_cndmask_b32 v5, v54, v5, vcc_lo :: v_dual_cndmask_b32 v11, 0, v11, s13
	s_mov_b32 s13, 0
	v_cndmask_b32_e64 v11, v11, 0, vcc_lo
	v_cndmask_b32_e32 v7, v56, v7, vcc_lo
	s_delay_alu instid0(VALU_DEP_3) | instskip(NEXT) | instid1(VALU_DEP_3)
	v_and_b32_e32 v56, 0xff, v5
	v_add_nc_u32_e32 v4, v11, v4
	ds_bpermute_b32 v54, v48, v7
	ds_bpermute_b32 v11, v48, v4
	v_and_b32_e32 v55, 1, v5
	s_delay_alu instid0(VALU_DEP_1) | instskip(SKIP_2) | instid1(VALU_DEP_1)
	v_cmp_eq_u32_e32 vcc_lo, 1, v55
	s_wait_dscnt 0x1
	v_and_b32_e32 v54, 1, v54
	v_cndmask_b32_e64 v54, v54, 1, vcc_lo
	v_cmp_eq_u16_e32 vcc_lo, 0, v56
	s_delay_alu instid0(VALU_DEP_2) | instskip(SKIP_3) | instid1(VALU_DEP_2)
	v_and_b32_e32 v55, 0xffff, v54
	s_wait_dscnt 0x0
	v_cndmask_b32_e32 v11, 0, v11, vcc_lo
	v_cmp_gt_u32_e32 vcc_lo, v49, v10
	v_cndmask_b32_e64 v11, v11, 0, vcc_lo
	v_dual_cndmask_b32 v7, v55, v7, vcc_lo :: v_dual_cndmask_b32 v5, v54, v5, vcc_lo
	s_delay_alu instid0(VALU_DEP_2) | instskip(SKIP_4) | instid1(VALU_DEP_1)
	v_add_nc_u32_e32 v4, v11, v4
	ds_bpermute_b32 v7, v52, v7
	v_and_b32_e32 v55, 0xff, v5
	ds_bpermute_b32 v11, v52, v4
	v_and_b32_e32 v54, 1, v5
	v_cmp_eq_u32_e32 vcc_lo, 1, v54
	s_wait_dscnt 0x1
	v_cndmask_b32_e64 v7, v7, 1, vcc_lo
	v_cmp_eq_u16_e32 vcc_lo, 0, v55
	s_wait_dscnt 0x0
	v_cndmask_b32_e32 v11, 0, v11, vcc_lo
	v_cmp_gt_u32_e32 vcc_lo, v53, v10
	v_and_b32_e32 v10, 0xff, v50
	v_cndmask_b32_e32 v5, v7, v5, vcc_lo
	s_delay_alu instid0(VALU_DEP_4) | instskip(NEXT) | instid1(VALU_DEP_3)
	v_cndmask_b32_e64 v7, v11, 0, vcc_lo
	v_cmp_eq_u16_e32 vcc_lo, 0, v10
	s_delay_alu instid0(VALU_DEP_2) | instskip(NEXT) | instid1(VALU_DEP_1)
	v_dual_add_nc_u32 v4, v7, v4 :: v_dual_bitop2_b32 v7, 1, v50 bitop3:0x40
	v_dual_cndmask_b32 v4, 0, v4, vcc_lo :: v_dual_bitop2_b32 v5, 1, v5 bitop3:0x40
	s_delay_alu instid0(VALU_DEP_2) | instskip(NEXT) | instid1(VALU_DEP_2)
	v_cmp_eq_u32_e32 vcc_lo, 1, v7
	v_add_nc_u32_e32 v4, v4, v51
	s_delay_alu instid0(VALU_DEP_3)
	v_cndmask_b32_e64 v5, v5, 1, vcc_lo
.LBB1869_113:                           ;   in Loop: Header=BB1869_114 Depth=1
	s_and_b32 vcc_lo, exec_lo, s13
	s_cbranch_vccnz .LBB1869_119
.LBB1869_114:                           ; =>This Loop Header: Depth=1
                                        ;     Child Loop BB1869_117 Depth 2
	v_and_b32_e32 v6, 0xff, v6
	s_delay_alu instid0(VALU_DEP_2) | instskip(SKIP_1) | instid1(VALU_DEP_2)
	v_dual_mov_b32 v50, v5 :: v_dual_mov_b32 v51, v4
	s_mov_b32 s13, -1
                                        ; implicit-def: $vgpr5
                                        ; implicit-def: $vgpr4
	v_cmp_ne_u16_e32 vcc_lo, 2, v6
                                        ; implicit-def: $vgpr6
	s_cmp_lg_u32 vcc_lo, exec_lo
	s_cbranch_scc1 .LBB1869_113
; %bb.115:                              ;   in Loop: Header=BB1869_114 Depth=1
	v_lshl_add_u64 v[10:11], v[8:9], 4, s[24:25]
	;;#ASMSTART
	global_load_b128 v[4:7], v[10:11] off scope:SCOPE_DEV	
s_wait_loadcnt 0x0
	;;#ASMEND
	v_and_b32_e32 v7, 0xff, v6
	v_and_b32_e32 v5, 0xff, v5
	s_mov_b32 s13, exec_lo
	s_delay_alu instid0(VALU_DEP_2)
	v_cmpx_eq_u16_e32 0, v7
	s_cbranch_execz .LBB1869_112
; %bb.116:                              ;   in Loop: Header=BB1869_114 Depth=1
	s_mov_b32 s31, 0
.LBB1869_117:                           ;   Parent Loop BB1869_114 Depth=1
                                        ; =>  This Inner Loop Header: Depth=2
	;;#ASMSTART
	global_load_b128 v[4:7], v[10:11] off scope:SCOPE_DEV	
s_wait_loadcnt 0x0
	;;#ASMEND
	v_and_b32_e32 v7, 0xff, v6
	s_delay_alu instid0(VALU_DEP_1) | instskip(SKIP_1) | instid1(SALU_CYCLE_1)
	v_cmp_ne_u16_e32 vcc_lo, 0, v7
	s_or_b32 s31, vcc_lo, s31
	s_and_not1_b32 exec_lo, exec_lo, s31
	s_cbranch_execnz .LBB1869_117
	s_branch .LBB1869_111
.LBB1869_118:
                                        ; implicit-def: $vgpr13
                                        ; implicit-def: $vgpr9
                                        ; implicit-def: $vgpr5
                                        ; implicit-def: $vgpr43
	s_cbranch_execnz .LBB1869_124
	s_branch .LBB1869_141
.LBB1869_119:
	s_and_saveexec_b32 s13, s12
	s_cbranch_execz .LBB1869_121
; %bb.120:
	v_and_b32_e32 v4, 0xff, v3
	s_mov_b32 s23, 0
	s_add_co_i32 s22, s20, 32
	v_and_b32_e32 v5, 1, v50
	s_lshl_b64 s[22:23], s[22:23], 4
	v_cmp_eq_u32_e32 vcc_lo, 0, v4
	s_add_nc_u64 s[22:23], s[24:25], s[22:23]
	s_delay_alu instid0(SALU_CYCLE_1) | instskip(SKIP_1) | instid1(VALU_DEP_1)
	v_mov_b64_e32 v[6:7], s[22:23]
	v_cndmask_b32_e32 v4, 0, v51, vcc_lo
	v_dual_add_nc_u32 v2, v4, v2 :: v_dual_bitop2_b32 v3, 1, v3 bitop3:0x40
	s_delay_alu instid0(VALU_DEP_1)
	v_cmp_eq_u32_e32 vcc_lo, 1, v3
	v_mov_b32_e32 v4, 2
	v_cndmask_b32_e64 v3, v5, 1, vcc_lo
	v_mov_b32_e32 v5, 0
	;;#ASMSTART
	global_store_b128 v[6:7], v[2:5] off scope:SCOPE_DEV	
s_wait_storecnt 0x0
	;;#ASMEND
.LBB1869_121:
	s_or_b32 exec_lo, exec_lo, s13
	s_delay_alu instid0(SALU_CYCLE_1)
	s_and_b32 exec_lo, exec_lo, s11
	s_cbranch_execz .LBB1869_123
; %bb.122:
	v_mov_b32_e32 v2, 0
	ds_store_b32 v2, v51
	ds_store_b8 v2, v50 offset:4
.LBB1869_123:
	s_or_b32 exec_lo, exec_lo, s30
	v_dual_mov_b32 v2, 0 :: v_dual_bitop2_b32 v3, 1, v19 bitop3:0x40
	s_wait_dscnt 0x0
	s_barrier_signal -1
	s_barrier_wait -1
	s_delay_alu instid0(VALU_DEP_1) | instskip(SKIP_4) | instid1(VALU_DEP_2)
	v_cmp_eq_u32_e32 vcc_lo, 1, v3
	ds_load_b32 v2, v2
	s_mov_b64 s[12:13], 0x100000000
	v_cndmask_b32_e64 v3, v13, 1, vcc_lo
	v_cmp_gt_u64_e32 vcc_lo, s[12:13], v[18:19]
	v_dual_cndmask_b32 v3, v3, v19, s11 :: v_dual_cndmask_b32 v4, 0, v12, vcc_lo
	s_delay_alu instid0(VALU_DEP_1) | instskip(NEXT) | instid1(VALU_DEP_2)
	v_and_b32_e32 v3, 0xff, v3
	v_cndmask_b32_e64 v4, v4, 0, s11
	s_delay_alu instid0(VALU_DEP_2) | instskip(SKIP_2) | instid1(VALU_DEP_1)
	v_cmp_eq_u16_e32 vcc_lo, 0, v3
	s_wait_dscnt 0x0
	v_cndmask_b32_e32 v2, 0, v2, vcc_lo
	v_add3_u32 v42, v4, v18, v2
	s_delay_alu instid0(VALU_DEP_1) | instskip(NEXT) | instid1(VALU_DEP_1)
	v_cndmask_b32_e64 v2, 0, v42, s0
	v_add_nc_u32_e32 v43, v2, v40
	s_delay_alu instid0(VALU_DEP_1) | instskip(NEXT) | instid1(VALU_DEP_1)
	v_cndmask_b32_e64 v2, 0, v43, s1
	v_add_nc_u32_e32 v4, v2, v38
	;; [unrolled: 3-line block ×11, first 2 shown]
	v_mov_b64_e32 v[2:3], v[42:43]
	s_branch .LBB1869_141
.LBB1869_124:
	s_cmp_lg_u64 s[28:29], 0
	v_cmp_eq_u32_e32 vcc_lo, 0, v0
	s_cselect_b32 s1, -1, 0
	s_cmp_lg_u64 s[18:19], 0
	v_cmp_ne_u32_e64 s0, 0, v0
	s_cselect_b32 s2, -1, 0
	s_delay_alu instid0(SALU_CYCLE_1) | instskip(NEXT) | instid1(SALU_CYCLE_1)
	s_and_b32 s1, s1, s2
	s_and_b32 s1, vcc_lo, s1
	s_delay_alu instid0(SALU_CYCLE_1)
	s_and_saveexec_b32 s2, s1
	s_cbranch_execz .LBB1869_126
; %bb.125:
	s_mov_b64 s[4:5], 0x100000000
	s_delay_alu instid0(SALU_CYCLE_1)
	v_cmp_gt_u64_e64 s1, s[4:5], v[18:19]
	v_mov_b32_e32 v2, 0
	s_clause 0x1
	global_load_b32 v3, v2, s[18:19]
	global_load_u8 v4, v2, s[18:19] offset:4
	s_wait_loadcnt 0x1
	v_cndmask_b32_e64 v5, 0, v3, s1
	v_and_b32_e32 v3, 1, v19
	s_wait_loadcnt 0x0
	s_delay_alu instid0(VALU_DEP_2) | instskip(NEXT) | instid1(VALU_DEP_2)
	v_dual_add_nc_u32 v18, v5, v18 :: v_dual_bitop2_b32 v4, 1, v4 bitop3:0x40
	v_cmp_eq_u64_e64 s1, 0, v[2:3]
	s_delay_alu instid0(VALU_DEP_1)
	v_cndmask_b32_e64 v19, 1, v4, s1
.LBB1869_126:
	s_or_b32 exec_lo, exec_lo, s2
	s_mov_b64 s[12:13], 0x100000000
	v_or3_b32 v3, v17, v31, v33
	v_cmp_gt_u64_e64 s1, s[12:13], v[40:41]
	v_cmp_gt_u64_e64 s10, s[12:13], v[20:21]
	;; [unrolled: 1-line block ×7, first 2 shown]
	v_cndmask_b32_e64 v2, 0, v18, s1
	v_cmp_gt_u64_e64 s6, s[12:13], v[30:31]
	v_cmp_gt_u64_e64 s7, s[12:13], v[28:29]
	;; [unrolled: 1-line block ×4, first 2 shown]
	v_add_nc_u32_e32 v43, v2, v40
	s_mov_b32 s13, exec_lo
	s_delay_alu instid0(VALU_DEP_1) | instskip(NEXT) | instid1(VALU_DEP_1)
	v_dual_cndmask_b32 v2, 0, v43, s2 :: v_dual_bitop2_b32 v1, 56, v1 bitop3:0x40
	v_lshl_add_u32 v1, v0, 3, v1
	s_delay_alu instid0(VALU_DEP_2) | instskip(NEXT) | instid1(VALU_DEP_1)
	v_add_nc_u32_e32 v4, v2, v38
	v_cndmask_b32_e64 v2, 0, v4, s3
	s_delay_alu instid0(VALU_DEP_1) | instskip(NEXT) | instid1(VALU_DEP_1)
	v_add_nc_u32_e32 v5, v2, v36
	v_cndmask_b32_e64 v2, 0, v5, s4
	s_delay_alu instid0(VALU_DEP_1) | instskip(NEXT) | instid1(VALU_DEP_1)
	;; [unrolled: 3-line block ×6, first 2 shown]
	v_add_nc_u32_e32 v10, v2, v24
	v_cndmask_b32_e64 v2, 0, v10, s9
	s_delay_alu instid0(VALU_DEP_1) | instskip(SKIP_1) | instid1(VALU_DEP_2)
	v_add_nc_u32_e32 v11, v2, v22
	v_or3_b32 v2, v3, v35, v37
	v_cndmask_b32_e64 v3, 0, v11, s10
	s_delay_alu instid0(VALU_DEP_2) | instskip(NEXT) | instid1(VALU_DEP_2)
	v_or3_b32 v2, v2, v39, v41
	v_add_nc_u32_e32 v12, v3, v20
	s_delay_alu instid0(VALU_DEP_2) | instskip(NEXT) | instid1(VALU_DEP_2)
	v_or3_b32 v3, v15, v16, v2
	v_dual_mov_b32 v2, 0 :: v_dual_cndmask_b32 v13, 0, v12, s11
	s_delay_alu instid0(VALU_DEP_2) | instskip(NEXT) | instid1(VALU_DEP_2)
	v_and_b32_e32 v3, 0xff, v3
	v_add_nc_u32_e32 v13, v13, v14
	s_delay_alu instid0(VALU_DEP_2) | instskip(NEXT) | instid1(VALU_DEP_1)
	v_cmp_eq_u64_e64 s12, 0, v[2:3]
	v_cndmask_b32_e64 v15, 1, v19, s12
	ds_store_b32 v1, v13
	ds_store_b8 v1, v15 offset:4
	s_wait_dscnt 0x0
	s_barrier_signal -1
	s_barrier_wait -1
	v_cmpx_gt_u32_e32 32, v0
	s_cbranch_execz .LBB1869_136
; %bb.127:
	v_dual_lshlrev_b32 v1, 1, v0 :: v_dual_lshlrev_b32 v2, 6, v0
	s_mov_b32 s18, exec_lo
	s_delay_alu instid0(VALU_DEP_1) | instskip(NEXT) | instid1(VALU_DEP_1)
	v_and_b32_e32 v1, 0x1f8, v1
	v_add_nc_u32_e32 v1, v1, v2
	ds_load_u8 v21, v1 offset:12
	ds_load_b64 v[2:3], v1
	ds_load_2addr_b32 v[16:17], v1 offset0:2 offset1:4
	ds_load_u8 v23, v1 offset:20
	ds_load_u8 v25, v1 offset:28
	;; [unrolled: 1-line block ×5, first 2 shown]
	ds_load_b32 v33, v1 offset:56
	s_wait_dscnt 0x8
	v_cmp_eq_u16_e64 s12, 0, v21
	s_wait_dscnt 0x7
	s_delay_alu instid0(VALU_DEP_1)
	v_cndmask_b32_e64 v35, 0, v2, s12
	ds_load_2addr_b32 v[46:47], v1 offset0:10 offset1:12
	ds_load_2addr_b32 v[44:45], v1 offset0:6 offset1:8
	s_wait_dscnt 0x7
	v_cmp_eq_u16_e64 s12, 0, v23
	v_add_nc_u32_e32 v16, v35, v16
	ds_load_u8 v35, v1 offset:60
	v_cndmask_b32_e64 v16, 0, v16, s12
	s_wait_dscnt 0x7
	v_cmp_eq_u16_e64 s12, 0, v25
	s_delay_alu instid0(VALU_DEP_2) | instskip(SKIP_2) | instid1(VALU_DEP_1)
	v_add_nc_u32_e32 v16, v16, v17
	v_or_b32_e32 v17, v23, v21
	s_wait_dscnt 0x6
	v_bitop3_b16 v17, v17, v27, v25 bitop3:0xfe
	s_wait_dscnt 0x0
	v_dual_cndmask_b32 v16, 0, v16, s12 :: v_dual_bitop2_b32 v23, 1, v35 bitop3:0x40
	v_cmp_eq_u16_e64 s12, 0, v27
	s_delay_alu instid0(VALU_DEP_3) | instskip(NEXT) | instid1(VALU_DEP_3)
	v_bitop3_b16 v17, v17, v31, v29 bitop3:0xfe
	v_add_nc_u32_e32 v16, v16, v44
	s_delay_alu instid0(VALU_DEP_1) | instskip(SKIP_1) | instid1(VALU_DEP_2)
	v_cndmask_b32_e64 v16, 0, v16, s12
	v_cmp_eq_u16_e64 s12, 0, v29
	v_add_nc_u32_e32 v16, v16, v45
	s_delay_alu instid0(VALU_DEP_1) | instskip(SKIP_1) | instid1(VALU_DEP_1)
	v_dual_cndmask_b32 v21, 0, v16, s12 :: v_dual_bitop2_b32 v16, 1, v3 bitop3:0x40
	v_cmp_eq_u16_e64 s12, 0, v17
	v_dual_add_nc_u32 v21, v21, v46 :: v_dual_cndmask_b32 v17, 1, v16, s12
	v_cmp_eq_u16_e64 s12, 0, v31
	s_delay_alu instid0(VALU_DEP_1) | instskip(SKIP_2) | instid1(VALU_DEP_3)
	v_cndmask_b32_e64 v21, 0, v21, s12
	v_cmp_eq_u32_e64 s12, 1, v23
	v_mbcnt_lo_u32_b32 v23, -1, 0
	v_add_nc_u32_e32 v21, v21, v47
	s_delay_alu instid0(VALU_DEP_3) | instskip(SKIP_2) | instid1(VALU_DEP_3)
	v_cndmask_b32_e64 v25, v17, 1, s12
	v_cmp_eq_u16_e64 s12, 0, v35
	v_and_b32_e32 v17, 0xffffff00, v3
	v_and_b32_e32 v27, 0xffff, v25
	s_delay_alu instid0(VALU_DEP_1) | instskip(NEXT) | instid1(VALU_DEP_1)
	v_dual_cndmask_b32 v21, 0, v21, s12 :: v_dual_bitop2_b32 v29, v17, v27 bitop3:0x54
	v_dual_add_nc_u32 v21, v21, v33 :: v_dual_bitop2_b32 v27, 15, v23 bitop3:0x40
	s_delay_alu instid0(VALU_DEP_2) | instskip(NEXT) | instid1(VALU_DEP_2)
	v_mov_b32_dpp v33, v29 row_shr:1 row_mask:0xf bank_mask:0xf
	v_mov_b32_dpp v31, v21 row_shr:1 row_mask:0xf bank_mask:0xf
	s_delay_alu instid0(VALU_DEP_3)
	v_cmpx_ne_u32_e32 0, v27
	s_cbranch_execz .LBB1869_129
; %bb.128:
	v_and_b32_e32 v29, 1, v25
	v_and_b32_e32 v33, 1, v33
	s_delay_alu instid0(VALU_DEP_2) | instskip(NEXT) | instid1(VALU_DEP_1)
	v_cmp_eq_u32_e64 s12, 1, v29
	v_cndmask_b32_e64 v33, v33, 1, s12
	v_cmp_eq_u16_e64 s12, 0, v25
	s_delay_alu instid0(VALU_DEP_2) | instskip(NEXT) | instid1(VALU_DEP_1)
	v_and_b32_e32 v29, 0xffff, v33
	v_dual_cndmask_b32 v25, 0, v31, s12 :: v_dual_bitop2_b32 v29, v17, v29 bitop3:0x54
	s_delay_alu instid0(VALU_DEP_1)
	v_add_nc_u32_e32 v21, v25, v21
	v_mov_b32_e32 v25, v33
.LBB1869_129:
	s_or_b32 exec_lo, exec_lo, s18
	s_delay_alu instid0(VALU_DEP_2)
	v_mov_b32_dpp v31, v21 row_shr:2 row_mask:0xf bank_mask:0xf
	v_mov_b32_dpp v33, v29 row_shr:2 row_mask:0xf bank_mask:0xf
	s_mov_b32 s18, exec_lo
	v_cmpx_lt_u32_e32 1, v27
	s_cbranch_execz .LBB1869_131
; %bb.130:
	v_and_b32_e32 v29, 1, v25
	v_and_b32_e32 v33, 1, v33
	s_delay_alu instid0(VALU_DEP_2) | instskip(NEXT) | instid1(VALU_DEP_1)
	v_cmp_eq_u32_e64 s12, 1, v29
	v_cndmask_b32_e64 v33, v33, 1, s12
	v_cmp_eq_u16_e64 s12, 0, v25
	s_delay_alu instid0(VALU_DEP_2) | instskip(NEXT) | instid1(VALU_DEP_1)
	v_and_b32_e32 v29, 0xffff, v33
	v_dual_cndmask_b32 v25, 0, v31, s12 :: v_dual_bitop2_b32 v29, v17, v29 bitop3:0x54
	s_delay_alu instid0(VALU_DEP_1)
	v_add_nc_u32_e32 v21, v25, v21
	v_mov_b32_e32 v25, v33
.LBB1869_131:
	s_or_b32 exec_lo, exec_lo, s18
	s_delay_alu instid0(VALU_DEP_2)
	v_mov_b32_dpp v31, v21 row_shr:4 row_mask:0xf bank_mask:0xf
	v_mov_b32_dpp v33, v29 row_shr:4 row_mask:0xf bank_mask:0xf
	s_mov_b32 s18, exec_lo
	v_cmpx_lt_u32_e32 3, v27
	;; [unrolled: 21-line block ×3, first 2 shown]
	s_cbranch_execz .LBB1869_135
; %bb.134:
	v_and_b32_e32 v27, 1, v25
	v_and_b32_e32 v29, 1, v33
	s_delay_alu instid0(VALU_DEP_2) | instskip(NEXT) | instid1(VALU_DEP_1)
	v_cmp_eq_u32_e64 s12, 1, v27
	v_cndmask_b32_e64 v27, v29, 1, s12
	v_cmp_eq_u16_e64 s12, 0, v25
	s_delay_alu instid0(VALU_DEP_2) | instskip(NEXT) | instid1(VALU_DEP_1)
	v_and_b32_e32 v29, 0xffff, v27
	v_dual_cndmask_b32 v25, 0, v31, s12 :: v_dual_bitop2_b32 v29, v17, v29 bitop3:0x54
	s_delay_alu instid0(VALU_DEP_1)
	v_dual_add_nc_u32 v21, v25, v21 :: v_dual_mov_b32 v25, v27
.LBB1869_135:
	s_or_b32 exec_lo, exec_lo, s18
	ds_swizzle_b32 v27, v29 offset:swizzle(BROADCAST,32,15)
	ds_swizzle_b32 v29, v21 offset:swizzle(BROADCAST,32,15)
	v_and_b32_e32 v31, 1, v25
	v_and_b32_e32 v33, 16, v23
	v_bfe_i32 v35, v23, 4, 1
	v_and_b32_e32 v3, 0xff, v3
	s_delay_alu instid0(VALU_DEP_4) | instskip(SKIP_3) | instid1(VALU_DEP_1)
	v_cmp_eq_u32_e64 s12, 1, v31
	v_add_nc_u32_e32 v31, -1, v23
	; wave barrier
	s_wait_dscnt 0x1
	v_and_b32_e32 v27, 1, v27
	v_cndmask_b32_e64 v27, v27, 1, s12
	v_cmp_eq_u16_e64 s12, 0, v25
	s_wait_dscnt 0x0
	s_delay_alu instid0(VALU_DEP_1) | instskip(SKIP_1) | instid1(VALU_DEP_1)
	v_cndmask_b32_e64 v29, 0, v29, s12
	v_cmp_eq_u32_e64 s12, 0, v33
	v_cndmask_b32_e64 v25, v27, v25, s12
	v_cmp_gt_i32_e64 s12, 0, v31
	s_delay_alu instid0(VALU_DEP_2) | instskip(NEXT) | instid1(VALU_DEP_2)
	v_and_b32_e32 v25, 0xffff, v25
	v_cndmask_b32_e64 v23, v31, v23, s12
	v_cmp_eq_u16_e64 s12, 0, v3
	s_delay_alu instid0(VALU_DEP_3) | instskip(NEXT) | instid1(VALU_DEP_3)
	v_or_b32_e32 v17, v17, v25
	v_dual_lshlrev_b32 v23, 2, v23 :: v_dual_bitop2_b32 v27, v35, v29 bitop3:0x40
	s_delay_alu instid0(VALU_DEP_1)
	v_add_nc_u32_e32 v21, v27, v21
	ds_bpermute_b32 v17, v23, v17
	ds_bpermute_b32 v21, v23, v21
	s_wait_dscnt 0x0
	v_cndmask_b32_e64 v3, 0, v21, s12
	v_and_b32_e32 v17, 1, v17
	v_cmp_eq_u32_e64 s12, 1, v16
	s_delay_alu instid0(VALU_DEP_3) | instskip(NEXT) | instid1(VALU_DEP_2)
	v_add_nc_u32_e32 v2, v3, v2
	v_cndmask_b32_e64 v3, v17, 1, s12
	s_delay_alu instid0(VALU_DEP_1)
	v_dual_cndmask_b32 v16, v2, v13 :: v_dual_cndmask_b32 v15, v3, v15
	ds_store_b32 v1, v16
	ds_store_b8 v1, v15 offset:4
	; wave barrier
	ds_load_u8 v21, v1 offset:12
	ds_load_2addr_b32 v[2:3], v1 offset0:2 offset1:4
	ds_load_u8 v23, v1 offset:20
	ds_load_u8 v25, v1 offset:28
	;; [unrolled: 1-line block ×5, first 2 shown]
	ds_load_b32 v33, v1 offset:56
	ds_load_u8 v35, v1 offset:60
	s_wait_dscnt 0x8
	v_cmp_eq_u16_e64 s12, 0, v21
	s_delay_alu instid0(VALU_DEP_1) | instskip(SKIP_4) | instid1(VALU_DEP_1)
	v_cndmask_b32_e64 v37, 0, v16, s12
	ds_load_2addr_b32 v[16:17], v1 offset0:6 offset1:8
	s_wait_dscnt 0x7
	v_cmp_eq_u16_e64 s12, 0, v23
	v_add_nc_u32_e32 v37, v37, v2
	v_cndmask_b32_e64 v2, 0, v37, s12
	s_wait_dscnt 0x6
	v_cmp_eq_u16_e64 s12, 0, v25
	s_delay_alu instid0(VALU_DEP_2)
	v_add_nc_u32_e32 v39, v2, v3
	ds_load_2addr_b32 v[2:3], v1 offset0:10 offset1:12
	v_cndmask_b32_e64 v41, 0, v39, s12
	s_wait_dscnt 0x6
	v_cmp_eq_u16_e64 s12, 0, v27
	s_wait_dscnt 0x1
	s_delay_alu instid0(VALU_DEP_2) | instskip(SKIP_4) | instid1(VALU_DEP_3)
	v_dual_add_nc_u32 v16, v41, v16 :: v_dual_bitop2_b32 v21, 1, v21 bitop3:0x40
	ds_store_2addr_b32 v1, v37, v39 offset0:2 offset1:4
	v_dual_cndmask_b32 v41, 0, v16, s12 :: v_dual_bitop2_b32 v23, 1, v23 bitop3:0x40
	v_cmp_eq_u32_e64 s12, 1, v21
	v_and_b32_e32 v21, 1, v25
	v_dual_add_nc_u32 v17, v41, v17 :: v_dual_bitop2_b32 v41, 1, v35 bitop3:0x40
	s_delay_alu instid0(VALU_DEP_3) | instskip(SKIP_1) | instid1(VALU_DEP_1)
	v_cndmask_b32_e64 v15, v15, 1, s12
	v_cmp_eq_u32_e64 s12, 1, v23
	v_cndmask_b32_e64 v23, v15, 1, s12
	v_cmp_eq_u16_e64 s12, 0, v29
	s_delay_alu instid0(VALU_DEP_1) | instskip(SKIP_1) | instid1(VALU_DEP_1)
	v_dual_cndmask_b32 v27, 0, v17, s12 :: v_dual_bitop2_b32 v25, 1, v27 bitop3:0x40
	s_wait_dscnt 0x1
	v_add_nc_u32_e32 v2, v27, v2
	v_cmp_eq_u32_e64 s12, 1, v21
	v_and_b32_e32 v27, 1, v31
	s_delay_alu instid0(VALU_DEP_2) | instskip(SKIP_1) | instid1(VALU_DEP_1)
	v_cndmask_b32_e64 v21, v23, 1, s12
	v_cmp_eq_u32_e64 s12, 1, v25
	v_cndmask_b32_e64 v25, v21, 1, s12
	v_cmp_eq_u16_e64 s12, 0, v31
	s_delay_alu instid0(VALU_DEP_1) | instskip(NEXT) | instid1(VALU_DEP_1)
	v_dual_cndmask_b32 v31, 0, v2, s12 :: v_dual_bitop2_b32 v29, 1, v29 bitop3:0x40
	v_cmp_eq_u32_e64 s12, 1, v29
	s_delay_alu instid0(VALU_DEP_2) | instskip(NEXT) | instid1(VALU_DEP_2)
	v_add_nc_u32_e32 v3, v31, v3
	v_cndmask_b32_e64 v29, v25, 1, s12
	v_cmp_eq_u32_e64 s12, 1, v27
	ds_store_2addr_b32 v1, v16, v17 offset0:6 offset1:8
	ds_store_2addr_b32 v1, v2, v3 offset0:10 offset1:12
	v_cndmask_b32_e64 v27, v29, 1, s12
	v_cmp_eq_u16_e64 s12, 0, v35
	s_delay_alu instid0(VALU_DEP_1) | instskip(SKIP_1) | instid1(VALU_DEP_2)
	v_cndmask_b32_e64 v31, 0, v3, s12
	v_cmp_eq_u32_e64 s12, 1, v41
	v_add_nc_u32_e32 v2, v31, v33
	s_delay_alu instid0(VALU_DEP_2)
	v_cndmask_b32_e64 v35, v27, 1, s12
	ds_store_b8 v1, v15 offset:12
	ds_store_b8 v1, v23 offset:20
	;; [unrolled: 1-line block ×6, first 2 shown]
	ds_store_b32 v1, v2 offset:56
	ds_store_b8 v1, v35 offset:60
.LBB1869_136:
	s_or_b32 exec_lo, exec_lo, s13
	v_mov_b32_e32 v42, v18
	s_wait_dscnt 0x0
	s_barrier_signal -1
	s_barrier_wait -1
	s_delay_alu instid0(VALU_DEP_1)
	v_mov_b64_e32 v[2:3], v[42:43]
	s_and_saveexec_b32 s12, s0
	s_cbranch_execz .LBB1869_138
; %bb.137:
	v_add_nc_u32_e32 v1, -1, v0
	v_and_b32_e32 v3, 0xff, v19
	s_delay_alu instid0(VALU_DEP_2) | instskip(NEXT) | instid1(VALU_DEP_1)
	v_lshrrev_b32_e32 v2, 2, v1
	v_and_b32_e32 v2, 0x3ffffff8, v2
	s_delay_alu instid0(VALU_DEP_1)
	v_lshl_add_u32 v1, v1, 3, v2
	v_mov_b32_e32 v2, 0
	ds_load_b32 v1, v1
	v_cmp_eq_u64_e64 s0, 0, v[2:3]
	;;#ASMSTART
	;;#ASMEND
	s_wait_dscnt 0x0
	s_delay_alu instid0(VALU_DEP_1) | instskip(NEXT) | instid1(VALU_DEP_1)
	v_cndmask_b32_e64 v1, 0, v1, s0
	v_add_nc_u32_e32 v2, v1, v18
	s_delay_alu instid0(VALU_DEP_1) | instskip(NEXT) | instid1(VALU_DEP_1)
	v_cndmask_b32_e64 v1, 0, v2, s1
	v_dual_mov_b32 v18, v2 :: v_dual_add_nc_u32 v3, v1, v40
	s_delay_alu instid0(VALU_DEP_1) | instskip(NEXT) | instid1(VALU_DEP_1)
	v_dual_cndmask_b32 v1, 0, v3, s2 :: v_dual_mov_b32 v43, v3
	v_add_nc_u32_e32 v4, v1, v38
	s_delay_alu instid0(VALU_DEP_1) | instskip(NEXT) | instid1(VALU_DEP_1)
	v_cndmask_b32_e64 v1, 0, v4, s3
	v_add_nc_u32_e32 v5, v1, v36
	s_delay_alu instid0(VALU_DEP_1) | instskip(NEXT) | instid1(VALU_DEP_1)
	v_cndmask_b32_e64 v1, 0, v5, s4
	;; [unrolled: 3-line block ×9, first 2 shown]
	v_add_nc_u32_e32 v13, v1, v14
.LBB1869_138:
	s_or_b32 exec_lo, exec_lo, s12
	s_and_saveexec_b32 s0, vcc_lo
	s_cbranch_execz .LBB1869_140
; %bb.139:
	v_dual_mov_b32 v17, 0 :: v_dual_mov_b32 v16, 2
	s_add_nc_u64 s[2:3], s[24:25], 0x200
	ds_load_b32 v14, v17 offset:2096
	ds_load_u8 v15, v17 offset:2100
	v_mov_b64_e32 v[20:21], s[2:3]
	s_wait_dscnt 0x0
	;;#ASMSTART
	global_store_b128 v[20:21], v[14:17] off scope:SCOPE_DEV	
s_wait_storecnt 0x0
	;;#ASMEND
.LBB1869_140:
	s_or_b32 exec_lo, exec_lo, s0
	v_mov_b32_e32 v42, v18
.LBB1869_141:
	v_mov_b32_e32 v17, 0
	s_add_nc_u64 s[0:1], s[14:15], s[34:35]
	s_and_b32 vcc_lo, exec_lo, s21
	s_add_nc_u64 s[2:3], s[0:1], s[16:17]
	s_cbranch_vccz .LBB1869_185
; %bb.142:
	v_mul_u32_u24_e32 v1, 12, v0
	v_dual_mov_b32 v16, 0 :: v_dual_mov_b32 v22, 0
	v_dual_mov_b32 v23, 0 :: v_dual_mov_b32 v24, 0
	;; [unrolled: 1-line block ×5, first 2 shown]
	v_mov_b32_e32 v15, 0
	s_add_co_i32 s27, s27, s26
	s_mov_b32 s1, exec_lo
	v_cmpx_gt_u32_e64 s27, v1
	s_cbranch_execz .LBB1869_162
; %bb.143:
	v_dual_mov_b32 v15, 0 :: v_dual_bitop2_b32 v16, 1, v1 bitop3:0x54
	v_dual_mov_b32 v14, 0 :: v_dual_mov_b32 v21, 0
	v_dual_mov_b32 v20, 0 :: v_dual_mov_b32 v19, 0
	s_delay_alu instid0(VALU_DEP_3)
	v_cmp_gt_u32_e32 vcc_lo, s27, v16
	v_dual_mov_b32 v18, 0 :: v_dual_mov_b32 v25, 0
	v_dual_mov_b32 v24, 0 :: v_dual_mov_b32 v23, 0
	;; [unrolled: 1-line block ×3, first 2 shown]
	s_and_saveexec_b32 s4, vcc_lo
	s_cbranch_execz .LBB1869_161
; %bb.144:
	v_dual_mov_b32 v15, 0 :: v_dual_bitop2_b32 v16, 2, v1 bitop3:0x54
	v_dual_mov_b32 v14, 0 :: v_dual_mov_b32 v21, 0
	v_dual_mov_b32 v20, 0 :: v_dual_mov_b32 v19, 0
	s_delay_alu instid0(VALU_DEP_3)
	v_cmp_gt_u32_e32 vcc_lo, s27, v16
	v_dual_mov_b32 v18, 0 :: v_dual_mov_b32 v25, 0
	v_dual_mov_b32 v24, 0 :: v_dual_mov_b32 v16, 0
	v_mov_b32_e32 v17, 0
	s_and_saveexec_b32 s5, vcc_lo
	s_cbranch_execz .LBB1869_160
; %bb.145:
	v_dual_mov_b32 v15, 0 :: v_dual_bitop2_b32 v16, 3, v1 bitop3:0x54
	v_dual_mov_b32 v14, 0 :: v_dual_mov_b32 v21, 0
	v_dual_mov_b32 v20, 0 :: v_dual_mov_b32 v19, 0
	s_delay_alu instid0(VALU_DEP_3)
	v_cmp_gt_u32_e32 vcc_lo, s27, v16
	v_dual_mov_b32 v18, 0 :: v_dual_mov_b32 v25, 0
	v_dual_mov_b32 v16, 0 :: v_dual_mov_b32 v17, 0
	s_and_saveexec_b32 s6, vcc_lo
	s_cbranch_execz .LBB1869_159
; %bb.146:
	v_dual_mov_b32 v15, 0 :: v_dual_add_nc_u32 v16, 4, v1
	v_dual_mov_b32 v14, 0 :: v_dual_mov_b32 v21, 0
	v_dual_mov_b32 v20, 0 :: v_dual_mov_b32 v19, 0
	s_delay_alu instid0(VALU_DEP_3)
	v_cmp_gt_u32_e32 vcc_lo, s27, v16
	v_dual_mov_b32 v18, 0 :: v_dual_mov_b32 v16, 0
	v_mov_b32_e32 v17, 0
	s_and_saveexec_b32 s7, vcc_lo
	s_cbranch_execz .LBB1869_158
; %bb.147:
	v_dual_mov_b32 v15, 0 :: v_dual_add_nc_u32 v16, 5, v1
	v_dual_mov_b32 v14, 0 :: v_dual_mov_b32 v21, 0
	v_dual_mov_b32 v20, 0 :: v_dual_mov_b32 v19, 0
	s_delay_alu instid0(VALU_DEP_3)
	v_cmp_gt_u32_e32 vcc_lo, s27, v16
	v_dual_mov_b32 v16, 0 :: v_dual_mov_b32 v17, 0
	s_and_saveexec_b32 s8, vcc_lo
	s_cbranch_execz .LBB1869_157
; %bb.148:
	v_dual_mov_b32 v15, 0 :: v_dual_add_nc_u32 v16, 6, v1
	v_dual_mov_b32 v14, 0 :: v_dual_mov_b32 v21, 0
	v_mov_b32_e32 v20, 0
	s_delay_alu instid0(VALU_DEP_3)
	v_cmp_gt_u32_e32 vcc_lo, s27, v16
	v_dual_mov_b32 v16, 0 :: v_dual_mov_b32 v17, 0
	s_and_saveexec_b32 s9, vcc_lo
	s_cbranch_execz .LBB1869_156
; %bb.149:
	v_dual_add_nc_u32 v17, 7, v1 :: v_dual_mov_b32 v15, 0
	v_dual_mov_b32 v14, 0 :: v_dual_mov_b32 v21, 0
	v_mov_b32_e32 v16, 0
	s_delay_alu instid0(VALU_DEP_3)
	v_cmp_gt_u32_e32 vcc_lo, s27, v17
	v_mov_b32_e32 v17, 0
	s_and_saveexec_b32 s10, vcc_lo
	s_cbranch_execz .LBB1869_155
; %bb.150:
	v_dual_add_nc_u32 v17, 8, v1 :: v_dual_mov_b32 v15, 0
	v_dual_mov_b32 v14, 0 :: v_dual_mov_b32 v16, 0
	s_delay_alu instid0(VALU_DEP_2)
	v_cmp_gt_u32_e32 vcc_lo, s27, v17
	v_mov_b32_e32 v17, 0
	s_and_saveexec_b32 s11, vcc_lo
	s_cbranch_execz .LBB1869_154
; %bb.151:
	v_dual_mov_b32 v15, 0 :: v_dual_add_nc_u32 v14, 9, v1
	v_dual_mov_b32 v16, 0 :: v_dual_mov_b32 v17, 0
	s_mov_b32 s12, exec_lo
	s_delay_alu instid0(VALU_DEP_2)
	v_cmpx_gt_u32_e64 s27, v14
; %bb.152:
	v_dual_add_nc_u32 v14, 11, v1 :: v_dual_add_nc_u32 v15, 10, v1
	s_delay_alu instid0(VALU_DEP_1) | instskip(NEXT) | instid1(VALU_DEP_2)
	v_cmp_gt_u32_e32 vcc_lo, s27, v14
	v_cmp_gt_u32_e64 s0, s27, v15
	v_mov_b32_e32 v15, v11
	s_and_b32 vcc_lo, s0, vcc_lo
	s_delay_alu instid0(SALU_CYCLE_1)
	v_dual_cndmask_b32 v16, 0, v12, s0 :: v_dual_cndmask_b32 v17, 0, v13, vcc_lo
; %bb.153:
	s_or_b32 exec_lo, exec_lo, s12
	v_mov_b32_e32 v14, v10
.LBB1869_154:
	s_or_b32 exec_lo, exec_lo, s11
	v_mov_b32_e32 v21, v9
.LBB1869_155:
	s_or_b32 exec_lo, exec_lo, s10
	v_mov_b32_e32 v20, v8
.LBB1869_156:
	s_or_b32 exec_lo, exec_lo, s9
	v_mov_b32_e32 v19, v7
.LBB1869_157:
	s_or_b32 exec_lo, exec_lo, s8
	v_mov_b32_e32 v18, v6
.LBB1869_158:
	s_or_b32 exec_lo, exec_lo, s7
	v_mov_b32_e32 v25, v5
.LBB1869_159:
	s_or_b32 exec_lo, exec_lo, s6
	v_mov_b32_e32 v24, v4
.LBB1869_160:
	s_or_b32 exec_lo, exec_lo, s5
	v_mov_b32_e32 v23, v43
.LBB1869_161:
	s_or_b32 exec_lo, exec_lo, s4
	v_mov_b32_e32 v22, v42
.LBB1869_162:
	s_or_b32 exec_lo, exec_lo, s1
	v_dual_lshlrev_b32 v1, 2, v1 :: v_dual_mov_b32 v27, 0
	s_barrier_signal -1
	s_barrier_wait -1
	ds_store_b128 v1, v[22:25]
	ds_store_b128 v1, v[18:21] offset:16
	ds_store_b128 v1, v[14:17] offset:32
	v_mad_i32_i24 v14, 0xffffffd4, v0, v1
	s_wait_dscnt 0x0
	s_barrier_signal -1
	s_barrier_wait -1
	ds_load_2addr_stride64_b32 v[28:29], v14 offset0:4 offset1:8
	ds_load_2addr_stride64_b32 v[24:25], v14 offset0:12 offset1:16
	;; [unrolled: 1-line block ×5, first 2 shown]
	ds_load_b32 v15, v14 offset:11264
	v_add_nc_u64_e32 v[18:19], s[2:3], v[26:27]
	s_mov_b32 s0, exec_lo
	v_cmpx_gt_u32_e64 s27, v0
	s_cbranch_execz .LBB1869_164
; %bb.163:
	v_mul_i32_i24_e32 v14, 0xffffffd4, v0
	s_delay_alu instid0(VALU_DEP_1)
	v_add_nc_u32_e32 v1, v1, v14
	ds_load_b32 v1, v1
	s_wait_dscnt 0x0
	flat_store_b32 v[18:19], v1
.LBB1869_164:
	s_wait_xcnt 0x0
	s_or_b32 exec_lo, exec_lo, s0
	v_or_b32_e32 v1, 0x100, v0
	s_mov_b32 s0, exec_lo
	s_delay_alu instid0(VALU_DEP_1)
	v_cmpx_gt_u32_e64 s27, v1
	s_cbranch_execz .LBB1869_166
; %bb.165:
	s_wait_dscnt 0x5
	flat_store_b32 v[18:19], v28 offset:1024
.LBB1869_166:
	s_wait_xcnt 0x0
	s_or_b32 exec_lo, exec_lo, s0
	v_or_b32_e32 v1, 0x200, v0
	s_mov_b32 s0, exec_lo
	s_delay_alu instid0(VALU_DEP_1)
	v_cmpx_gt_u32_e64 s27, v1
	s_cbranch_execz .LBB1869_168
; %bb.167:
	s_wait_dscnt 0x5
	flat_store_b32 v[18:19], v29 offset:2048
.LBB1869_168:
	;; [unrolled: 11-line block ×10, first 2 shown]
	s_wait_xcnt 0x0
	s_or_b32 exec_lo, exec_lo, s0
	v_or_b32_e32 v1, 0xb00, v0
	s_delay_alu instid0(VALU_DEP_1)
	v_cmp_gt_u32_e64 s0, s27, v1
	s_branch .LBB1869_187
.LBB1869_185:
	s_mov_b32 s0, 0
                                        ; implicit-def: $vgpr15
	s_cbranch_execz .LBB1869_187
; %bb.186:
	v_mul_u32_u24_e32 v1, 48, v0
	v_mul_i32_i24_e32 v14, 0xffffffd4, v0
	s_wait_storecnt_dscnt 0x0
	s_barrier_signal -1
	s_barrier_wait -1
	ds_store_b128 v1, v[2:5]
	ds_store_b128 v1, v[6:9] offset:16
	ds_store_b128 v1, v[10:13] offset:32
	v_mad_u32_u24 v1, v0, 48, v14
	s_wait_dscnt 0x0
	s_barrier_signal -1
	s_barrier_wait -1
	ds_load_2addr_stride64_b32 v[2:3], v1 offset1:4
	ds_load_2addr_stride64_b32 v[4:5], v1 offset0:8 offset1:12
	ds_load_2addr_stride64_b32 v[6:7], v1 offset0:16 offset1:20
	;; [unrolled: 1-line block ×5, first 2 shown]
	s_or_b32 s0, s0, exec_lo
	s_wait_dscnt 0x5
	s_clause 0x1
	flat_store_b32 v0, v2, s[2:3] scale_offset
	flat_store_b32 v0, v3, s[2:3] offset:1024 scale_offset
	s_wait_dscnt 0x6
	s_clause 0x1
	flat_store_b32 v0, v4, s[2:3] offset:2048 scale_offset
	flat_store_b32 v0, v5, s[2:3] offset:3072 scale_offset
	s_wait_dscnt 0x7
	s_clause 0x1
	flat_store_b32 v0, v6, s[2:3] offset:4096 scale_offset
	;; [unrolled: 4-line block ×4, first 2 shown]
	flat_store_b32 v0, v11, s[2:3] offset:9216 scale_offset
	s_wait_dscnt 0xa
	flat_store_b32 v0, v14, s[2:3] offset:10240 scale_offset
.LBB1869_187:
	s_wait_xcnt 0x0
	s_delay_alu instid0(VALU_DEP_1)
	s_and_saveexec_b32 s1, s0
	s_cbranch_execnz .LBB1869_189
; %bb.188:
	s_endpgm
.LBB1869_189:
	s_wait_dscnt 0x0
	flat_store_b32 v0, v15, s[2:3] offset:11264 scale_offset
	s_endpgm
	.section	.rodata,"a",@progbits
	.p2align	6, 0x0
	.amdhsa_kernel _ZN7rocprim17ROCPRIM_400000_NS6detail17trampoline_kernelINS0_14default_configENS1_27scan_by_key_config_selectorIj11FixedVectorIiLj1EEEEZZNS1_16scan_by_key_implILNS1_25lookback_scan_determinismE0ELb0ES3_N6thrust23THRUST_200600_302600_NS6detail15normal_iteratorINSB_10device_ptrIjEEEENSD_INSE_IS6_EEEESI_S6_NSB_4plusIvEENSB_8equal_toIvEES6_EE10hipError_tPvRmT2_T3_T4_T5_mT6_T7_P12ihipStream_tbENKUlT_T0_E_clISt17integral_constantIbLb0EES13_EEDaSY_SZ_EUlSY_E_NS1_11comp_targetILNS1_3genE0ELNS1_11target_archE4294967295ELNS1_3gpuE0ELNS1_3repE0EEENS1_30default_config_static_selectorELNS0_4arch9wavefront6targetE0EEEvT1_
		.amdhsa_group_segment_fixed_size 14336
		.amdhsa_private_segment_fixed_size 0
		.amdhsa_kernarg_size 112
		.amdhsa_user_sgpr_count 2
		.amdhsa_user_sgpr_dispatch_ptr 0
		.amdhsa_user_sgpr_queue_ptr 0
		.amdhsa_user_sgpr_kernarg_segment_ptr 1
		.amdhsa_user_sgpr_dispatch_id 0
		.amdhsa_user_sgpr_kernarg_preload_length 0
		.amdhsa_user_sgpr_kernarg_preload_offset 0
		.amdhsa_user_sgpr_private_segment_size 0
		.amdhsa_wavefront_size32 1
		.amdhsa_uses_dynamic_stack 0
		.amdhsa_enable_private_segment 0
		.amdhsa_system_sgpr_workgroup_id_x 1
		.amdhsa_system_sgpr_workgroup_id_y 0
		.amdhsa_system_sgpr_workgroup_id_z 0
		.amdhsa_system_sgpr_workgroup_info 0
		.amdhsa_system_vgpr_workitem_id 0
		.amdhsa_next_free_vgpr 60
		.amdhsa_next_free_sgpr 42
		.amdhsa_named_barrier_count 0
		.amdhsa_reserve_vcc 1
		.amdhsa_float_round_mode_32 0
		.amdhsa_float_round_mode_16_64 0
		.amdhsa_float_denorm_mode_32 3
		.amdhsa_float_denorm_mode_16_64 3
		.amdhsa_fp16_overflow 0
		.amdhsa_memory_ordered 1
		.amdhsa_forward_progress 1
		.amdhsa_inst_pref_size 97
		.amdhsa_round_robin_scheduling 0
		.amdhsa_exception_fp_ieee_invalid_op 0
		.amdhsa_exception_fp_denorm_src 0
		.amdhsa_exception_fp_ieee_div_zero 0
		.amdhsa_exception_fp_ieee_overflow 0
		.amdhsa_exception_fp_ieee_underflow 0
		.amdhsa_exception_fp_ieee_inexact 0
		.amdhsa_exception_int_div_zero 0
	.end_amdhsa_kernel
	.section	.text._ZN7rocprim17ROCPRIM_400000_NS6detail17trampoline_kernelINS0_14default_configENS1_27scan_by_key_config_selectorIj11FixedVectorIiLj1EEEEZZNS1_16scan_by_key_implILNS1_25lookback_scan_determinismE0ELb0ES3_N6thrust23THRUST_200600_302600_NS6detail15normal_iteratorINSB_10device_ptrIjEEEENSD_INSE_IS6_EEEESI_S6_NSB_4plusIvEENSB_8equal_toIvEES6_EE10hipError_tPvRmT2_T3_T4_T5_mT6_T7_P12ihipStream_tbENKUlT_T0_E_clISt17integral_constantIbLb0EES13_EEDaSY_SZ_EUlSY_E_NS1_11comp_targetILNS1_3genE0ELNS1_11target_archE4294967295ELNS1_3gpuE0ELNS1_3repE0EEENS1_30default_config_static_selectorELNS0_4arch9wavefront6targetE0EEEvT1_,"axG",@progbits,_ZN7rocprim17ROCPRIM_400000_NS6detail17trampoline_kernelINS0_14default_configENS1_27scan_by_key_config_selectorIj11FixedVectorIiLj1EEEEZZNS1_16scan_by_key_implILNS1_25lookback_scan_determinismE0ELb0ES3_N6thrust23THRUST_200600_302600_NS6detail15normal_iteratorINSB_10device_ptrIjEEEENSD_INSE_IS6_EEEESI_S6_NSB_4plusIvEENSB_8equal_toIvEES6_EE10hipError_tPvRmT2_T3_T4_T5_mT6_T7_P12ihipStream_tbENKUlT_T0_E_clISt17integral_constantIbLb0EES13_EEDaSY_SZ_EUlSY_E_NS1_11comp_targetILNS1_3genE0ELNS1_11target_archE4294967295ELNS1_3gpuE0ELNS1_3repE0EEENS1_30default_config_static_selectorELNS0_4arch9wavefront6targetE0EEEvT1_,comdat
.Lfunc_end1869:
	.size	_ZN7rocprim17ROCPRIM_400000_NS6detail17trampoline_kernelINS0_14default_configENS1_27scan_by_key_config_selectorIj11FixedVectorIiLj1EEEEZZNS1_16scan_by_key_implILNS1_25lookback_scan_determinismE0ELb0ES3_N6thrust23THRUST_200600_302600_NS6detail15normal_iteratorINSB_10device_ptrIjEEEENSD_INSE_IS6_EEEESI_S6_NSB_4plusIvEENSB_8equal_toIvEES6_EE10hipError_tPvRmT2_T3_T4_T5_mT6_T7_P12ihipStream_tbENKUlT_T0_E_clISt17integral_constantIbLb0EES13_EEDaSY_SZ_EUlSY_E_NS1_11comp_targetILNS1_3genE0ELNS1_11target_archE4294967295ELNS1_3gpuE0ELNS1_3repE0EEENS1_30default_config_static_selectorELNS0_4arch9wavefront6targetE0EEEvT1_, .Lfunc_end1869-_ZN7rocprim17ROCPRIM_400000_NS6detail17trampoline_kernelINS0_14default_configENS1_27scan_by_key_config_selectorIj11FixedVectorIiLj1EEEEZZNS1_16scan_by_key_implILNS1_25lookback_scan_determinismE0ELb0ES3_N6thrust23THRUST_200600_302600_NS6detail15normal_iteratorINSB_10device_ptrIjEEEENSD_INSE_IS6_EEEESI_S6_NSB_4plusIvEENSB_8equal_toIvEES6_EE10hipError_tPvRmT2_T3_T4_T5_mT6_T7_P12ihipStream_tbENKUlT_T0_E_clISt17integral_constantIbLb0EES13_EEDaSY_SZ_EUlSY_E_NS1_11comp_targetILNS1_3genE0ELNS1_11target_archE4294967295ELNS1_3gpuE0ELNS1_3repE0EEENS1_30default_config_static_selectorELNS0_4arch9wavefront6targetE0EEEvT1_
                                        ; -- End function
	.set _ZN7rocprim17ROCPRIM_400000_NS6detail17trampoline_kernelINS0_14default_configENS1_27scan_by_key_config_selectorIj11FixedVectorIiLj1EEEEZZNS1_16scan_by_key_implILNS1_25lookback_scan_determinismE0ELb0ES3_N6thrust23THRUST_200600_302600_NS6detail15normal_iteratorINSB_10device_ptrIjEEEENSD_INSE_IS6_EEEESI_S6_NSB_4plusIvEENSB_8equal_toIvEES6_EE10hipError_tPvRmT2_T3_T4_T5_mT6_T7_P12ihipStream_tbENKUlT_T0_E_clISt17integral_constantIbLb0EES13_EEDaSY_SZ_EUlSY_E_NS1_11comp_targetILNS1_3genE0ELNS1_11target_archE4294967295ELNS1_3gpuE0ELNS1_3repE0EEENS1_30default_config_static_selectorELNS0_4arch9wavefront6targetE0EEEvT1_.num_vgpr, 60
	.set _ZN7rocprim17ROCPRIM_400000_NS6detail17trampoline_kernelINS0_14default_configENS1_27scan_by_key_config_selectorIj11FixedVectorIiLj1EEEEZZNS1_16scan_by_key_implILNS1_25lookback_scan_determinismE0ELb0ES3_N6thrust23THRUST_200600_302600_NS6detail15normal_iteratorINSB_10device_ptrIjEEEENSD_INSE_IS6_EEEESI_S6_NSB_4plusIvEENSB_8equal_toIvEES6_EE10hipError_tPvRmT2_T3_T4_T5_mT6_T7_P12ihipStream_tbENKUlT_T0_E_clISt17integral_constantIbLb0EES13_EEDaSY_SZ_EUlSY_E_NS1_11comp_targetILNS1_3genE0ELNS1_11target_archE4294967295ELNS1_3gpuE0ELNS1_3repE0EEENS1_30default_config_static_selectorELNS0_4arch9wavefront6targetE0EEEvT1_.num_agpr, 0
	.set _ZN7rocprim17ROCPRIM_400000_NS6detail17trampoline_kernelINS0_14default_configENS1_27scan_by_key_config_selectorIj11FixedVectorIiLj1EEEEZZNS1_16scan_by_key_implILNS1_25lookback_scan_determinismE0ELb0ES3_N6thrust23THRUST_200600_302600_NS6detail15normal_iteratorINSB_10device_ptrIjEEEENSD_INSE_IS6_EEEESI_S6_NSB_4plusIvEENSB_8equal_toIvEES6_EE10hipError_tPvRmT2_T3_T4_T5_mT6_T7_P12ihipStream_tbENKUlT_T0_E_clISt17integral_constantIbLb0EES13_EEDaSY_SZ_EUlSY_E_NS1_11comp_targetILNS1_3genE0ELNS1_11target_archE4294967295ELNS1_3gpuE0ELNS1_3repE0EEENS1_30default_config_static_selectorELNS0_4arch9wavefront6targetE0EEEvT1_.numbered_sgpr, 42
	.set _ZN7rocprim17ROCPRIM_400000_NS6detail17trampoline_kernelINS0_14default_configENS1_27scan_by_key_config_selectorIj11FixedVectorIiLj1EEEEZZNS1_16scan_by_key_implILNS1_25lookback_scan_determinismE0ELb0ES3_N6thrust23THRUST_200600_302600_NS6detail15normal_iteratorINSB_10device_ptrIjEEEENSD_INSE_IS6_EEEESI_S6_NSB_4plusIvEENSB_8equal_toIvEES6_EE10hipError_tPvRmT2_T3_T4_T5_mT6_T7_P12ihipStream_tbENKUlT_T0_E_clISt17integral_constantIbLb0EES13_EEDaSY_SZ_EUlSY_E_NS1_11comp_targetILNS1_3genE0ELNS1_11target_archE4294967295ELNS1_3gpuE0ELNS1_3repE0EEENS1_30default_config_static_selectorELNS0_4arch9wavefront6targetE0EEEvT1_.num_named_barrier, 0
	.set _ZN7rocprim17ROCPRIM_400000_NS6detail17trampoline_kernelINS0_14default_configENS1_27scan_by_key_config_selectorIj11FixedVectorIiLj1EEEEZZNS1_16scan_by_key_implILNS1_25lookback_scan_determinismE0ELb0ES3_N6thrust23THRUST_200600_302600_NS6detail15normal_iteratorINSB_10device_ptrIjEEEENSD_INSE_IS6_EEEESI_S6_NSB_4plusIvEENSB_8equal_toIvEES6_EE10hipError_tPvRmT2_T3_T4_T5_mT6_T7_P12ihipStream_tbENKUlT_T0_E_clISt17integral_constantIbLb0EES13_EEDaSY_SZ_EUlSY_E_NS1_11comp_targetILNS1_3genE0ELNS1_11target_archE4294967295ELNS1_3gpuE0ELNS1_3repE0EEENS1_30default_config_static_selectorELNS0_4arch9wavefront6targetE0EEEvT1_.private_seg_size, 0
	.set _ZN7rocprim17ROCPRIM_400000_NS6detail17trampoline_kernelINS0_14default_configENS1_27scan_by_key_config_selectorIj11FixedVectorIiLj1EEEEZZNS1_16scan_by_key_implILNS1_25lookback_scan_determinismE0ELb0ES3_N6thrust23THRUST_200600_302600_NS6detail15normal_iteratorINSB_10device_ptrIjEEEENSD_INSE_IS6_EEEESI_S6_NSB_4plusIvEENSB_8equal_toIvEES6_EE10hipError_tPvRmT2_T3_T4_T5_mT6_T7_P12ihipStream_tbENKUlT_T0_E_clISt17integral_constantIbLb0EES13_EEDaSY_SZ_EUlSY_E_NS1_11comp_targetILNS1_3genE0ELNS1_11target_archE4294967295ELNS1_3gpuE0ELNS1_3repE0EEENS1_30default_config_static_selectorELNS0_4arch9wavefront6targetE0EEEvT1_.uses_vcc, 1
	.set _ZN7rocprim17ROCPRIM_400000_NS6detail17trampoline_kernelINS0_14default_configENS1_27scan_by_key_config_selectorIj11FixedVectorIiLj1EEEEZZNS1_16scan_by_key_implILNS1_25lookback_scan_determinismE0ELb0ES3_N6thrust23THRUST_200600_302600_NS6detail15normal_iteratorINSB_10device_ptrIjEEEENSD_INSE_IS6_EEEESI_S6_NSB_4plusIvEENSB_8equal_toIvEES6_EE10hipError_tPvRmT2_T3_T4_T5_mT6_T7_P12ihipStream_tbENKUlT_T0_E_clISt17integral_constantIbLb0EES13_EEDaSY_SZ_EUlSY_E_NS1_11comp_targetILNS1_3genE0ELNS1_11target_archE4294967295ELNS1_3gpuE0ELNS1_3repE0EEENS1_30default_config_static_selectorELNS0_4arch9wavefront6targetE0EEEvT1_.uses_flat_scratch, 1
	.set _ZN7rocprim17ROCPRIM_400000_NS6detail17trampoline_kernelINS0_14default_configENS1_27scan_by_key_config_selectorIj11FixedVectorIiLj1EEEEZZNS1_16scan_by_key_implILNS1_25lookback_scan_determinismE0ELb0ES3_N6thrust23THRUST_200600_302600_NS6detail15normal_iteratorINSB_10device_ptrIjEEEENSD_INSE_IS6_EEEESI_S6_NSB_4plusIvEENSB_8equal_toIvEES6_EE10hipError_tPvRmT2_T3_T4_T5_mT6_T7_P12ihipStream_tbENKUlT_T0_E_clISt17integral_constantIbLb0EES13_EEDaSY_SZ_EUlSY_E_NS1_11comp_targetILNS1_3genE0ELNS1_11target_archE4294967295ELNS1_3gpuE0ELNS1_3repE0EEENS1_30default_config_static_selectorELNS0_4arch9wavefront6targetE0EEEvT1_.has_dyn_sized_stack, 0
	.set _ZN7rocprim17ROCPRIM_400000_NS6detail17trampoline_kernelINS0_14default_configENS1_27scan_by_key_config_selectorIj11FixedVectorIiLj1EEEEZZNS1_16scan_by_key_implILNS1_25lookback_scan_determinismE0ELb0ES3_N6thrust23THRUST_200600_302600_NS6detail15normal_iteratorINSB_10device_ptrIjEEEENSD_INSE_IS6_EEEESI_S6_NSB_4plusIvEENSB_8equal_toIvEES6_EE10hipError_tPvRmT2_T3_T4_T5_mT6_T7_P12ihipStream_tbENKUlT_T0_E_clISt17integral_constantIbLb0EES13_EEDaSY_SZ_EUlSY_E_NS1_11comp_targetILNS1_3genE0ELNS1_11target_archE4294967295ELNS1_3gpuE0ELNS1_3repE0EEENS1_30default_config_static_selectorELNS0_4arch9wavefront6targetE0EEEvT1_.has_recursion, 0
	.set _ZN7rocprim17ROCPRIM_400000_NS6detail17trampoline_kernelINS0_14default_configENS1_27scan_by_key_config_selectorIj11FixedVectorIiLj1EEEEZZNS1_16scan_by_key_implILNS1_25lookback_scan_determinismE0ELb0ES3_N6thrust23THRUST_200600_302600_NS6detail15normal_iteratorINSB_10device_ptrIjEEEENSD_INSE_IS6_EEEESI_S6_NSB_4plusIvEENSB_8equal_toIvEES6_EE10hipError_tPvRmT2_T3_T4_T5_mT6_T7_P12ihipStream_tbENKUlT_T0_E_clISt17integral_constantIbLb0EES13_EEDaSY_SZ_EUlSY_E_NS1_11comp_targetILNS1_3genE0ELNS1_11target_archE4294967295ELNS1_3gpuE0ELNS1_3repE0EEENS1_30default_config_static_selectorELNS0_4arch9wavefront6targetE0EEEvT1_.has_indirect_call, 0
	.section	.AMDGPU.csdata,"",@progbits
; Kernel info:
; codeLenInByte = 12292
; TotalNumSgprs: 44
; NumVgprs: 60
; ScratchSize: 0
; MemoryBound: 0
; FloatMode: 240
; IeeeMode: 1
; LDSByteSize: 14336 bytes/workgroup (compile time only)
; SGPRBlocks: 0
; VGPRBlocks: 3
; NumSGPRsForWavesPerEU: 44
; NumVGPRsForWavesPerEU: 60
; NamedBarCnt: 0
; Occupancy: 16
; WaveLimiterHint : 1
; COMPUTE_PGM_RSRC2:SCRATCH_EN: 0
; COMPUTE_PGM_RSRC2:USER_SGPR: 2
; COMPUTE_PGM_RSRC2:TRAP_HANDLER: 0
; COMPUTE_PGM_RSRC2:TGID_X_EN: 1
; COMPUTE_PGM_RSRC2:TGID_Y_EN: 0
; COMPUTE_PGM_RSRC2:TGID_Z_EN: 0
; COMPUTE_PGM_RSRC2:TIDIG_COMP_CNT: 0
	.section	.text._ZN7rocprim17ROCPRIM_400000_NS6detail17trampoline_kernelINS0_14default_configENS1_27scan_by_key_config_selectorIj11FixedVectorIiLj1EEEEZZNS1_16scan_by_key_implILNS1_25lookback_scan_determinismE0ELb0ES3_N6thrust23THRUST_200600_302600_NS6detail15normal_iteratorINSB_10device_ptrIjEEEENSD_INSE_IS6_EEEESI_S6_NSB_4plusIvEENSB_8equal_toIvEES6_EE10hipError_tPvRmT2_T3_T4_T5_mT6_T7_P12ihipStream_tbENKUlT_T0_E_clISt17integral_constantIbLb0EES13_EEDaSY_SZ_EUlSY_E_NS1_11comp_targetILNS1_3genE10ELNS1_11target_archE1201ELNS1_3gpuE5ELNS1_3repE0EEENS1_30default_config_static_selectorELNS0_4arch9wavefront6targetE0EEEvT1_,"axG",@progbits,_ZN7rocprim17ROCPRIM_400000_NS6detail17trampoline_kernelINS0_14default_configENS1_27scan_by_key_config_selectorIj11FixedVectorIiLj1EEEEZZNS1_16scan_by_key_implILNS1_25lookback_scan_determinismE0ELb0ES3_N6thrust23THRUST_200600_302600_NS6detail15normal_iteratorINSB_10device_ptrIjEEEENSD_INSE_IS6_EEEESI_S6_NSB_4plusIvEENSB_8equal_toIvEES6_EE10hipError_tPvRmT2_T3_T4_T5_mT6_T7_P12ihipStream_tbENKUlT_T0_E_clISt17integral_constantIbLb0EES13_EEDaSY_SZ_EUlSY_E_NS1_11comp_targetILNS1_3genE10ELNS1_11target_archE1201ELNS1_3gpuE5ELNS1_3repE0EEENS1_30default_config_static_selectorELNS0_4arch9wavefront6targetE0EEEvT1_,comdat
	.protected	_ZN7rocprim17ROCPRIM_400000_NS6detail17trampoline_kernelINS0_14default_configENS1_27scan_by_key_config_selectorIj11FixedVectorIiLj1EEEEZZNS1_16scan_by_key_implILNS1_25lookback_scan_determinismE0ELb0ES3_N6thrust23THRUST_200600_302600_NS6detail15normal_iteratorINSB_10device_ptrIjEEEENSD_INSE_IS6_EEEESI_S6_NSB_4plusIvEENSB_8equal_toIvEES6_EE10hipError_tPvRmT2_T3_T4_T5_mT6_T7_P12ihipStream_tbENKUlT_T0_E_clISt17integral_constantIbLb0EES13_EEDaSY_SZ_EUlSY_E_NS1_11comp_targetILNS1_3genE10ELNS1_11target_archE1201ELNS1_3gpuE5ELNS1_3repE0EEENS1_30default_config_static_selectorELNS0_4arch9wavefront6targetE0EEEvT1_ ; -- Begin function _ZN7rocprim17ROCPRIM_400000_NS6detail17trampoline_kernelINS0_14default_configENS1_27scan_by_key_config_selectorIj11FixedVectorIiLj1EEEEZZNS1_16scan_by_key_implILNS1_25lookback_scan_determinismE0ELb0ES3_N6thrust23THRUST_200600_302600_NS6detail15normal_iteratorINSB_10device_ptrIjEEEENSD_INSE_IS6_EEEESI_S6_NSB_4plusIvEENSB_8equal_toIvEES6_EE10hipError_tPvRmT2_T3_T4_T5_mT6_T7_P12ihipStream_tbENKUlT_T0_E_clISt17integral_constantIbLb0EES13_EEDaSY_SZ_EUlSY_E_NS1_11comp_targetILNS1_3genE10ELNS1_11target_archE1201ELNS1_3gpuE5ELNS1_3repE0EEENS1_30default_config_static_selectorELNS0_4arch9wavefront6targetE0EEEvT1_
	.globl	_ZN7rocprim17ROCPRIM_400000_NS6detail17trampoline_kernelINS0_14default_configENS1_27scan_by_key_config_selectorIj11FixedVectorIiLj1EEEEZZNS1_16scan_by_key_implILNS1_25lookback_scan_determinismE0ELb0ES3_N6thrust23THRUST_200600_302600_NS6detail15normal_iteratorINSB_10device_ptrIjEEEENSD_INSE_IS6_EEEESI_S6_NSB_4plusIvEENSB_8equal_toIvEES6_EE10hipError_tPvRmT2_T3_T4_T5_mT6_T7_P12ihipStream_tbENKUlT_T0_E_clISt17integral_constantIbLb0EES13_EEDaSY_SZ_EUlSY_E_NS1_11comp_targetILNS1_3genE10ELNS1_11target_archE1201ELNS1_3gpuE5ELNS1_3repE0EEENS1_30default_config_static_selectorELNS0_4arch9wavefront6targetE0EEEvT1_
	.p2align	8
	.type	_ZN7rocprim17ROCPRIM_400000_NS6detail17trampoline_kernelINS0_14default_configENS1_27scan_by_key_config_selectorIj11FixedVectorIiLj1EEEEZZNS1_16scan_by_key_implILNS1_25lookback_scan_determinismE0ELb0ES3_N6thrust23THRUST_200600_302600_NS6detail15normal_iteratorINSB_10device_ptrIjEEEENSD_INSE_IS6_EEEESI_S6_NSB_4plusIvEENSB_8equal_toIvEES6_EE10hipError_tPvRmT2_T3_T4_T5_mT6_T7_P12ihipStream_tbENKUlT_T0_E_clISt17integral_constantIbLb0EES13_EEDaSY_SZ_EUlSY_E_NS1_11comp_targetILNS1_3genE10ELNS1_11target_archE1201ELNS1_3gpuE5ELNS1_3repE0EEENS1_30default_config_static_selectorELNS0_4arch9wavefront6targetE0EEEvT1_,@function
_ZN7rocprim17ROCPRIM_400000_NS6detail17trampoline_kernelINS0_14default_configENS1_27scan_by_key_config_selectorIj11FixedVectorIiLj1EEEEZZNS1_16scan_by_key_implILNS1_25lookback_scan_determinismE0ELb0ES3_N6thrust23THRUST_200600_302600_NS6detail15normal_iteratorINSB_10device_ptrIjEEEENSD_INSE_IS6_EEEESI_S6_NSB_4plusIvEENSB_8equal_toIvEES6_EE10hipError_tPvRmT2_T3_T4_T5_mT6_T7_P12ihipStream_tbENKUlT_T0_E_clISt17integral_constantIbLb0EES13_EEDaSY_SZ_EUlSY_E_NS1_11comp_targetILNS1_3genE10ELNS1_11target_archE1201ELNS1_3gpuE5ELNS1_3repE0EEENS1_30default_config_static_selectorELNS0_4arch9wavefront6targetE0EEEvT1_: ; @_ZN7rocprim17ROCPRIM_400000_NS6detail17trampoline_kernelINS0_14default_configENS1_27scan_by_key_config_selectorIj11FixedVectorIiLj1EEEEZZNS1_16scan_by_key_implILNS1_25lookback_scan_determinismE0ELb0ES3_N6thrust23THRUST_200600_302600_NS6detail15normal_iteratorINSB_10device_ptrIjEEEENSD_INSE_IS6_EEEESI_S6_NSB_4plusIvEENSB_8equal_toIvEES6_EE10hipError_tPvRmT2_T3_T4_T5_mT6_T7_P12ihipStream_tbENKUlT_T0_E_clISt17integral_constantIbLb0EES13_EEDaSY_SZ_EUlSY_E_NS1_11comp_targetILNS1_3genE10ELNS1_11target_archE1201ELNS1_3gpuE5ELNS1_3repE0EEENS1_30default_config_static_selectorELNS0_4arch9wavefront6targetE0EEEvT1_
; %bb.0:
	.section	.rodata,"a",@progbits
	.p2align	6, 0x0
	.amdhsa_kernel _ZN7rocprim17ROCPRIM_400000_NS6detail17trampoline_kernelINS0_14default_configENS1_27scan_by_key_config_selectorIj11FixedVectorIiLj1EEEEZZNS1_16scan_by_key_implILNS1_25lookback_scan_determinismE0ELb0ES3_N6thrust23THRUST_200600_302600_NS6detail15normal_iteratorINSB_10device_ptrIjEEEENSD_INSE_IS6_EEEESI_S6_NSB_4plusIvEENSB_8equal_toIvEES6_EE10hipError_tPvRmT2_T3_T4_T5_mT6_T7_P12ihipStream_tbENKUlT_T0_E_clISt17integral_constantIbLb0EES13_EEDaSY_SZ_EUlSY_E_NS1_11comp_targetILNS1_3genE10ELNS1_11target_archE1201ELNS1_3gpuE5ELNS1_3repE0EEENS1_30default_config_static_selectorELNS0_4arch9wavefront6targetE0EEEvT1_
		.amdhsa_group_segment_fixed_size 0
		.amdhsa_private_segment_fixed_size 0
		.amdhsa_kernarg_size 112
		.amdhsa_user_sgpr_count 2
		.amdhsa_user_sgpr_dispatch_ptr 0
		.amdhsa_user_sgpr_queue_ptr 0
		.amdhsa_user_sgpr_kernarg_segment_ptr 1
		.amdhsa_user_sgpr_dispatch_id 0
		.amdhsa_user_sgpr_kernarg_preload_length 0
		.amdhsa_user_sgpr_kernarg_preload_offset 0
		.amdhsa_user_sgpr_private_segment_size 0
		.amdhsa_wavefront_size32 1
		.amdhsa_uses_dynamic_stack 0
		.amdhsa_enable_private_segment 0
		.amdhsa_system_sgpr_workgroup_id_x 1
		.amdhsa_system_sgpr_workgroup_id_y 0
		.amdhsa_system_sgpr_workgroup_id_z 0
		.amdhsa_system_sgpr_workgroup_info 0
		.amdhsa_system_vgpr_workitem_id 0
		.amdhsa_next_free_vgpr 1
		.amdhsa_next_free_sgpr 1
		.amdhsa_named_barrier_count 0
		.amdhsa_reserve_vcc 0
		.amdhsa_float_round_mode_32 0
		.amdhsa_float_round_mode_16_64 0
		.amdhsa_float_denorm_mode_32 3
		.amdhsa_float_denorm_mode_16_64 3
		.amdhsa_fp16_overflow 0
		.amdhsa_memory_ordered 1
		.amdhsa_forward_progress 1
		.amdhsa_inst_pref_size 0
		.amdhsa_round_robin_scheduling 0
		.amdhsa_exception_fp_ieee_invalid_op 0
		.amdhsa_exception_fp_denorm_src 0
		.amdhsa_exception_fp_ieee_div_zero 0
		.amdhsa_exception_fp_ieee_overflow 0
		.amdhsa_exception_fp_ieee_underflow 0
		.amdhsa_exception_fp_ieee_inexact 0
		.amdhsa_exception_int_div_zero 0
	.end_amdhsa_kernel
	.section	.text._ZN7rocprim17ROCPRIM_400000_NS6detail17trampoline_kernelINS0_14default_configENS1_27scan_by_key_config_selectorIj11FixedVectorIiLj1EEEEZZNS1_16scan_by_key_implILNS1_25lookback_scan_determinismE0ELb0ES3_N6thrust23THRUST_200600_302600_NS6detail15normal_iteratorINSB_10device_ptrIjEEEENSD_INSE_IS6_EEEESI_S6_NSB_4plusIvEENSB_8equal_toIvEES6_EE10hipError_tPvRmT2_T3_T4_T5_mT6_T7_P12ihipStream_tbENKUlT_T0_E_clISt17integral_constantIbLb0EES13_EEDaSY_SZ_EUlSY_E_NS1_11comp_targetILNS1_3genE10ELNS1_11target_archE1201ELNS1_3gpuE5ELNS1_3repE0EEENS1_30default_config_static_selectorELNS0_4arch9wavefront6targetE0EEEvT1_,"axG",@progbits,_ZN7rocprim17ROCPRIM_400000_NS6detail17trampoline_kernelINS0_14default_configENS1_27scan_by_key_config_selectorIj11FixedVectorIiLj1EEEEZZNS1_16scan_by_key_implILNS1_25lookback_scan_determinismE0ELb0ES3_N6thrust23THRUST_200600_302600_NS6detail15normal_iteratorINSB_10device_ptrIjEEEENSD_INSE_IS6_EEEESI_S6_NSB_4plusIvEENSB_8equal_toIvEES6_EE10hipError_tPvRmT2_T3_T4_T5_mT6_T7_P12ihipStream_tbENKUlT_T0_E_clISt17integral_constantIbLb0EES13_EEDaSY_SZ_EUlSY_E_NS1_11comp_targetILNS1_3genE10ELNS1_11target_archE1201ELNS1_3gpuE5ELNS1_3repE0EEENS1_30default_config_static_selectorELNS0_4arch9wavefront6targetE0EEEvT1_,comdat
.Lfunc_end1870:
	.size	_ZN7rocprim17ROCPRIM_400000_NS6detail17trampoline_kernelINS0_14default_configENS1_27scan_by_key_config_selectorIj11FixedVectorIiLj1EEEEZZNS1_16scan_by_key_implILNS1_25lookback_scan_determinismE0ELb0ES3_N6thrust23THRUST_200600_302600_NS6detail15normal_iteratorINSB_10device_ptrIjEEEENSD_INSE_IS6_EEEESI_S6_NSB_4plusIvEENSB_8equal_toIvEES6_EE10hipError_tPvRmT2_T3_T4_T5_mT6_T7_P12ihipStream_tbENKUlT_T0_E_clISt17integral_constantIbLb0EES13_EEDaSY_SZ_EUlSY_E_NS1_11comp_targetILNS1_3genE10ELNS1_11target_archE1201ELNS1_3gpuE5ELNS1_3repE0EEENS1_30default_config_static_selectorELNS0_4arch9wavefront6targetE0EEEvT1_, .Lfunc_end1870-_ZN7rocprim17ROCPRIM_400000_NS6detail17trampoline_kernelINS0_14default_configENS1_27scan_by_key_config_selectorIj11FixedVectorIiLj1EEEEZZNS1_16scan_by_key_implILNS1_25lookback_scan_determinismE0ELb0ES3_N6thrust23THRUST_200600_302600_NS6detail15normal_iteratorINSB_10device_ptrIjEEEENSD_INSE_IS6_EEEESI_S6_NSB_4plusIvEENSB_8equal_toIvEES6_EE10hipError_tPvRmT2_T3_T4_T5_mT6_T7_P12ihipStream_tbENKUlT_T0_E_clISt17integral_constantIbLb0EES13_EEDaSY_SZ_EUlSY_E_NS1_11comp_targetILNS1_3genE10ELNS1_11target_archE1201ELNS1_3gpuE5ELNS1_3repE0EEENS1_30default_config_static_selectorELNS0_4arch9wavefront6targetE0EEEvT1_
                                        ; -- End function
	.set _ZN7rocprim17ROCPRIM_400000_NS6detail17trampoline_kernelINS0_14default_configENS1_27scan_by_key_config_selectorIj11FixedVectorIiLj1EEEEZZNS1_16scan_by_key_implILNS1_25lookback_scan_determinismE0ELb0ES3_N6thrust23THRUST_200600_302600_NS6detail15normal_iteratorINSB_10device_ptrIjEEEENSD_INSE_IS6_EEEESI_S6_NSB_4plusIvEENSB_8equal_toIvEES6_EE10hipError_tPvRmT2_T3_T4_T5_mT6_T7_P12ihipStream_tbENKUlT_T0_E_clISt17integral_constantIbLb0EES13_EEDaSY_SZ_EUlSY_E_NS1_11comp_targetILNS1_3genE10ELNS1_11target_archE1201ELNS1_3gpuE5ELNS1_3repE0EEENS1_30default_config_static_selectorELNS0_4arch9wavefront6targetE0EEEvT1_.num_vgpr, 0
	.set _ZN7rocprim17ROCPRIM_400000_NS6detail17trampoline_kernelINS0_14default_configENS1_27scan_by_key_config_selectorIj11FixedVectorIiLj1EEEEZZNS1_16scan_by_key_implILNS1_25lookback_scan_determinismE0ELb0ES3_N6thrust23THRUST_200600_302600_NS6detail15normal_iteratorINSB_10device_ptrIjEEEENSD_INSE_IS6_EEEESI_S6_NSB_4plusIvEENSB_8equal_toIvEES6_EE10hipError_tPvRmT2_T3_T4_T5_mT6_T7_P12ihipStream_tbENKUlT_T0_E_clISt17integral_constantIbLb0EES13_EEDaSY_SZ_EUlSY_E_NS1_11comp_targetILNS1_3genE10ELNS1_11target_archE1201ELNS1_3gpuE5ELNS1_3repE0EEENS1_30default_config_static_selectorELNS0_4arch9wavefront6targetE0EEEvT1_.num_agpr, 0
	.set _ZN7rocprim17ROCPRIM_400000_NS6detail17trampoline_kernelINS0_14default_configENS1_27scan_by_key_config_selectorIj11FixedVectorIiLj1EEEEZZNS1_16scan_by_key_implILNS1_25lookback_scan_determinismE0ELb0ES3_N6thrust23THRUST_200600_302600_NS6detail15normal_iteratorINSB_10device_ptrIjEEEENSD_INSE_IS6_EEEESI_S6_NSB_4plusIvEENSB_8equal_toIvEES6_EE10hipError_tPvRmT2_T3_T4_T5_mT6_T7_P12ihipStream_tbENKUlT_T0_E_clISt17integral_constantIbLb0EES13_EEDaSY_SZ_EUlSY_E_NS1_11comp_targetILNS1_3genE10ELNS1_11target_archE1201ELNS1_3gpuE5ELNS1_3repE0EEENS1_30default_config_static_selectorELNS0_4arch9wavefront6targetE0EEEvT1_.numbered_sgpr, 0
	.set _ZN7rocprim17ROCPRIM_400000_NS6detail17trampoline_kernelINS0_14default_configENS1_27scan_by_key_config_selectorIj11FixedVectorIiLj1EEEEZZNS1_16scan_by_key_implILNS1_25lookback_scan_determinismE0ELb0ES3_N6thrust23THRUST_200600_302600_NS6detail15normal_iteratorINSB_10device_ptrIjEEEENSD_INSE_IS6_EEEESI_S6_NSB_4plusIvEENSB_8equal_toIvEES6_EE10hipError_tPvRmT2_T3_T4_T5_mT6_T7_P12ihipStream_tbENKUlT_T0_E_clISt17integral_constantIbLb0EES13_EEDaSY_SZ_EUlSY_E_NS1_11comp_targetILNS1_3genE10ELNS1_11target_archE1201ELNS1_3gpuE5ELNS1_3repE0EEENS1_30default_config_static_selectorELNS0_4arch9wavefront6targetE0EEEvT1_.num_named_barrier, 0
	.set _ZN7rocprim17ROCPRIM_400000_NS6detail17trampoline_kernelINS0_14default_configENS1_27scan_by_key_config_selectorIj11FixedVectorIiLj1EEEEZZNS1_16scan_by_key_implILNS1_25lookback_scan_determinismE0ELb0ES3_N6thrust23THRUST_200600_302600_NS6detail15normal_iteratorINSB_10device_ptrIjEEEENSD_INSE_IS6_EEEESI_S6_NSB_4plusIvEENSB_8equal_toIvEES6_EE10hipError_tPvRmT2_T3_T4_T5_mT6_T7_P12ihipStream_tbENKUlT_T0_E_clISt17integral_constantIbLb0EES13_EEDaSY_SZ_EUlSY_E_NS1_11comp_targetILNS1_3genE10ELNS1_11target_archE1201ELNS1_3gpuE5ELNS1_3repE0EEENS1_30default_config_static_selectorELNS0_4arch9wavefront6targetE0EEEvT1_.private_seg_size, 0
	.set _ZN7rocprim17ROCPRIM_400000_NS6detail17trampoline_kernelINS0_14default_configENS1_27scan_by_key_config_selectorIj11FixedVectorIiLj1EEEEZZNS1_16scan_by_key_implILNS1_25lookback_scan_determinismE0ELb0ES3_N6thrust23THRUST_200600_302600_NS6detail15normal_iteratorINSB_10device_ptrIjEEEENSD_INSE_IS6_EEEESI_S6_NSB_4plusIvEENSB_8equal_toIvEES6_EE10hipError_tPvRmT2_T3_T4_T5_mT6_T7_P12ihipStream_tbENKUlT_T0_E_clISt17integral_constantIbLb0EES13_EEDaSY_SZ_EUlSY_E_NS1_11comp_targetILNS1_3genE10ELNS1_11target_archE1201ELNS1_3gpuE5ELNS1_3repE0EEENS1_30default_config_static_selectorELNS0_4arch9wavefront6targetE0EEEvT1_.uses_vcc, 0
	.set _ZN7rocprim17ROCPRIM_400000_NS6detail17trampoline_kernelINS0_14default_configENS1_27scan_by_key_config_selectorIj11FixedVectorIiLj1EEEEZZNS1_16scan_by_key_implILNS1_25lookback_scan_determinismE0ELb0ES3_N6thrust23THRUST_200600_302600_NS6detail15normal_iteratorINSB_10device_ptrIjEEEENSD_INSE_IS6_EEEESI_S6_NSB_4plusIvEENSB_8equal_toIvEES6_EE10hipError_tPvRmT2_T3_T4_T5_mT6_T7_P12ihipStream_tbENKUlT_T0_E_clISt17integral_constantIbLb0EES13_EEDaSY_SZ_EUlSY_E_NS1_11comp_targetILNS1_3genE10ELNS1_11target_archE1201ELNS1_3gpuE5ELNS1_3repE0EEENS1_30default_config_static_selectorELNS0_4arch9wavefront6targetE0EEEvT1_.uses_flat_scratch, 0
	.set _ZN7rocprim17ROCPRIM_400000_NS6detail17trampoline_kernelINS0_14default_configENS1_27scan_by_key_config_selectorIj11FixedVectorIiLj1EEEEZZNS1_16scan_by_key_implILNS1_25lookback_scan_determinismE0ELb0ES3_N6thrust23THRUST_200600_302600_NS6detail15normal_iteratorINSB_10device_ptrIjEEEENSD_INSE_IS6_EEEESI_S6_NSB_4plusIvEENSB_8equal_toIvEES6_EE10hipError_tPvRmT2_T3_T4_T5_mT6_T7_P12ihipStream_tbENKUlT_T0_E_clISt17integral_constantIbLb0EES13_EEDaSY_SZ_EUlSY_E_NS1_11comp_targetILNS1_3genE10ELNS1_11target_archE1201ELNS1_3gpuE5ELNS1_3repE0EEENS1_30default_config_static_selectorELNS0_4arch9wavefront6targetE0EEEvT1_.has_dyn_sized_stack, 0
	.set _ZN7rocprim17ROCPRIM_400000_NS6detail17trampoline_kernelINS0_14default_configENS1_27scan_by_key_config_selectorIj11FixedVectorIiLj1EEEEZZNS1_16scan_by_key_implILNS1_25lookback_scan_determinismE0ELb0ES3_N6thrust23THRUST_200600_302600_NS6detail15normal_iteratorINSB_10device_ptrIjEEEENSD_INSE_IS6_EEEESI_S6_NSB_4plusIvEENSB_8equal_toIvEES6_EE10hipError_tPvRmT2_T3_T4_T5_mT6_T7_P12ihipStream_tbENKUlT_T0_E_clISt17integral_constantIbLb0EES13_EEDaSY_SZ_EUlSY_E_NS1_11comp_targetILNS1_3genE10ELNS1_11target_archE1201ELNS1_3gpuE5ELNS1_3repE0EEENS1_30default_config_static_selectorELNS0_4arch9wavefront6targetE0EEEvT1_.has_recursion, 0
	.set _ZN7rocprim17ROCPRIM_400000_NS6detail17trampoline_kernelINS0_14default_configENS1_27scan_by_key_config_selectorIj11FixedVectorIiLj1EEEEZZNS1_16scan_by_key_implILNS1_25lookback_scan_determinismE0ELb0ES3_N6thrust23THRUST_200600_302600_NS6detail15normal_iteratorINSB_10device_ptrIjEEEENSD_INSE_IS6_EEEESI_S6_NSB_4plusIvEENSB_8equal_toIvEES6_EE10hipError_tPvRmT2_T3_T4_T5_mT6_T7_P12ihipStream_tbENKUlT_T0_E_clISt17integral_constantIbLb0EES13_EEDaSY_SZ_EUlSY_E_NS1_11comp_targetILNS1_3genE10ELNS1_11target_archE1201ELNS1_3gpuE5ELNS1_3repE0EEENS1_30default_config_static_selectorELNS0_4arch9wavefront6targetE0EEEvT1_.has_indirect_call, 0
	.section	.AMDGPU.csdata,"",@progbits
; Kernel info:
; codeLenInByte = 0
; TotalNumSgprs: 0
; NumVgprs: 0
; ScratchSize: 0
; MemoryBound: 0
; FloatMode: 240
; IeeeMode: 1
; LDSByteSize: 0 bytes/workgroup (compile time only)
; SGPRBlocks: 0
; VGPRBlocks: 0
; NumSGPRsForWavesPerEU: 1
; NumVGPRsForWavesPerEU: 1
; NamedBarCnt: 0
; Occupancy: 16
; WaveLimiterHint : 0
; COMPUTE_PGM_RSRC2:SCRATCH_EN: 0
; COMPUTE_PGM_RSRC2:USER_SGPR: 2
; COMPUTE_PGM_RSRC2:TRAP_HANDLER: 0
; COMPUTE_PGM_RSRC2:TGID_X_EN: 1
; COMPUTE_PGM_RSRC2:TGID_Y_EN: 0
; COMPUTE_PGM_RSRC2:TGID_Z_EN: 0
; COMPUTE_PGM_RSRC2:TIDIG_COMP_CNT: 0
	.section	.text._ZN7rocprim17ROCPRIM_400000_NS6detail17trampoline_kernelINS0_14default_configENS1_27scan_by_key_config_selectorIj11FixedVectorIiLj1EEEEZZNS1_16scan_by_key_implILNS1_25lookback_scan_determinismE0ELb0ES3_N6thrust23THRUST_200600_302600_NS6detail15normal_iteratorINSB_10device_ptrIjEEEENSD_INSE_IS6_EEEESI_S6_NSB_4plusIvEENSB_8equal_toIvEES6_EE10hipError_tPvRmT2_T3_T4_T5_mT6_T7_P12ihipStream_tbENKUlT_T0_E_clISt17integral_constantIbLb0EES13_EEDaSY_SZ_EUlSY_E_NS1_11comp_targetILNS1_3genE5ELNS1_11target_archE942ELNS1_3gpuE9ELNS1_3repE0EEENS1_30default_config_static_selectorELNS0_4arch9wavefront6targetE0EEEvT1_,"axG",@progbits,_ZN7rocprim17ROCPRIM_400000_NS6detail17trampoline_kernelINS0_14default_configENS1_27scan_by_key_config_selectorIj11FixedVectorIiLj1EEEEZZNS1_16scan_by_key_implILNS1_25lookback_scan_determinismE0ELb0ES3_N6thrust23THRUST_200600_302600_NS6detail15normal_iteratorINSB_10device_ptrIjEEEENSD_INSE_IS6_EEEESI_S6_NSB_4plusIvEENSB_8equal_toIvEES6_EE10hipError_tPvRmT2_T3_T4_T5_mT6_T7_P12ihipStream_tbENKUlT_T0_E_clISt17integral_constantIbLb0EES13_EEDaSY_SZ_EUlSY_E_NS1_11comp_targetILNS1_3genE5ELNS1_11target_archE942ELNS1_3gpuE9ELNS1_3repE0EEENS1_30default_config_static_selectorELNS0_4arch9wavefront6targetE0EEEvT1_,comdat
	.protected	_ZN7rocprim17ROCPRIM_400000_NS6detail17trampoline_kernelINS0_14default_configENS1_27scan_by_key_config_selectorIj11FixedVectorIiLj1EEEEZZNS1_16scan_by_key_implILNS1_25lookback_scan_determinismE0ELb0ES3_N6thrust23THRUST_200600_302600_NS6detail15normal_iteratorINSB_10device_ptrIjEEEENSD_INSE_IS6_EEEESI_S6_NSB_4plusIvEENSB_8equal_toIvEES6_EE10hipError_tPvRmT2_T3_T4_T5_mT6_T7_P12ihipStream_tbENKUlT_T0_E_clISt17integral_constantIbLb0EES13_EEDaSY_SZ_EUlSY_E_NS1_11comp_targetILNS1_3genE5ELNS1_11target_archE942ELNS1_3gpuE9ELNS1_3repE0EEENS1_30default_config_static_selectorELNS0_4arch9wavefront6targetE0EEEvT1_ ; -- Begin function _ZN7rocprim17ROCPRIM_400000_NS6detail17trampoline_kernelINS0_14default_configENS1_27scan_by_key_config_selectorIj11FixedVectorIiLj1EEEEZZNS1_16scan_by_key_implILNS1_25lookback_scan_determinismE0ELb0ES3_N6thrust23THRUST_200600_302600_NS6detail15normal_iteratorINSB_10device_ptrIjEEEENSD_INSE_IS6_EEEESI_S6_NSB_4plusIvEENSB_8equal_toIvEES6_EE10hipError_tPvRmT2_T3_T4_T5_mT6_T7_P12ihipStream_tbENKUlT_T0_E_clISt17integral_constantIbLb0EES13_EEDaSY_SZ_EUlSY_E_NS1_11comp_targetILNS1_3genE5ELNS1_11target_archE942ELNS1_3gpuE9ELNS1_3repE0EEENS1_30default_config_static_selectorELNS0_4arch9wavefront6targetE0EEEvT1_
	.globl	_ZN7rocprim17ROCPRIM_400000_NS6detail17trampoline_kernelINS0_14default_configENS1_27scan_by_key_config_selectorIj11FixedVectorIiLj1EEEEZZNS1_16scan_by_key_implILNS1_25lookback_scan_determinismE0ELb0ES3_N6thrust23THRUST_200600_302600_NS6detail15normal_iteratorINSB_10device_ptrIjEEEENSD_INSE_IS6_EEEESI_S6_NSB_4plusIvEENSB_8equal_toIvEES6_EE10hipError_tPvRmT2_T3_T4_T5_mT6_T7_P12ihipStream_tbENKUlT_T0_E_clISt17integral_constantIbLb0EES13_EEDaSY_SZ_EUlSY_E_NS1_11comp_targetILNS1_3genE5ELNS1_11target_archE942ELNS1_3gpuE9ELNS1_3repE0EEENS1_30default_config_static_selectorELNS0_4arch9wavefront6targetE0EEEvT1_
	.p2align	8
	.type	_ZN7rocprim17ROCPRIM_400000_NS6detail17trampoline_kernelINS0_14default_configENS1_27scan_by_key_config_selectorIj11FixedVectorIiLj1EEEEZZNS1_16scan_by_key_implILNS1_25lookback_scan_determinismE0ELb0ES3_N6thrust23THRUST_200600_302600_NS6detail15normal_iteratorINSB_10device_ptrIjEEEENSD_INSE_IS6_EEEESI_S6_NSB_4plusIvEENSB_8equal_toIvEES6_EE10hipError_tPvRmT2_T3_T4_T5_mT6_T7_P12ihipStream_tbENKUlT_T0_E_clISt17integral_constantIbLb0EES13_EEDaSY_SZ_EUlSY_E_NS1_11comp_targetILNS1_3genE5ELNS1_11target_archE942ELNS1_3gpuE9ELNS1_3repE0EEENS1_30default_config_static_selectorELNS0_4arch9wavefront6targetE0EEEvT1_,@function
_ZN7rocprim17ROCPRIM_400000_NS6detail17trampoline_kernelINS0_14default_configENS1_27scan_by_key_config_selectorIj11FixedVectorIiLj1EEEEZZNS1_16scan_by_key_implILNS1_25lookback_scan_determinismE0ELb0ES3_N6thrust23THRUST_200600_302600_NS6detail15normal_iteratorINSB_10device_ptrIjEEEENSD_INSE_IS6_EEEESI_S6_NSB_4plusIvEENSB_8equal_toIvEES6_EE10hipError_tPvRmT2_T3_T4_T5_mT6_T7_P12ihipStream_tbENKUlT_T0_E_clISt17integral_constantIbLb0EES13_EEDaSY_SZ_EUlSY_E_NS1_11comp_targetILNS1_3genE5ELNS1_11target_archE942ELNS1_3gpuE9ELNS1_3repE0EEENS1_30default_config_static_selectorELNS0_4arch9wavefront6targetE0EEEvT1_: ; @_ZN7rocprim17ROCPRIM_400000_NS6detail17trampoline_kernelINS0_14default_configENS1_27scan_by_key_config_selectorIj11FixedVectorIiLj1EEEEZZNS1_16scan_by_key_implILNS1_25lookback_scan_determinismE0ELb0ES3_N6thrust23THRUST_200600_302600_NS6detail15normal_iteratorINSB_10device_ptrIjEEEENSD_INSE_IS6_EEEESI_S6_NSB_4plusIvEENSB_8equal_toIvEES6_EE10hipError_tPvRmT2_T3_T4_T5_mT6_T7_P12ihipStream_tbENKUlT_T0_E_clISt17integral_constantIbLb0EES13_EEDaSY_SZ_EUlSY_E_NS1_11comp_targetILNS1_3genE5ELNS1_11target_archE942ELNS1_3gpuE9ELNS1_3repE0EEENS1_30default_config_static_selectorELNS0_4arch9wavefront6targetE0EEEvT1_
; %bb.0:
	.section	.rodata,"a",@progbits
	.p2align	6, 0x0
	.amdhsa_kernel _ZN7rocprim17ROCPRIM_400000_NS6detail17trampoline_kernelINS0_14default_configENS1_27scan_by_key_config_selectorIj11FixedVectorIiLj1EEEEZZNS1_16scan_by_key_implILNS1_25lookback_scan_determinismE0ELb0ES3_N6thrust23THRUST_200600_302600_NS6detail15normal_iteratorINSB_10device_ptrIjEEEENSD_INSE_IS6_EEEESI_S6_NSB_4plusIvEENSB_8equal_toIvEES6_EE10hipError_tPvRmT2_T3_T4_T5_mT6_T7_P12ihipStream_tbENKUlT_T0_E_clISt17integral_constantIbLb0EES13_EEDaSY_SZ_EUlSY_E_NS1_11comp_targetILNS1_3genE5ELNS1_11target_archE942ELNS1_3gpuE9ELNS1_3repE0EEENS1_30default_config_static_selectorELNS0_4arch9wavefront6targetE0EEEvT1_
		.amdhsa_group_segment_fixed_size 0
		.amdhsa_private_segment_fixed_size 0
		.amdhsa_kernarg_size 112
		.amdhsa_user_sgpr_count 2
		.amdhsa_user_sgpr_dispatch_ptr 0
		.amdhsa_user_sgpr_queue_ptr 0
		.amdhsa_user_sgpr_kernarg_segment_ptr 1
		.amdhsa_user_sgpr_dispatch_id 0
		.amdhsa_user_sgpr_kernarg_preload_length 0
		.amdhsa_user_sgpr_kernarg_preload_offset 0
		.amdhsa_user_sgpr_private_segment_size 0
		.amdhsa_wavefront_size32 1
		.amdhsa_uses_dynamic_stack 0
		.amdhsa_enable_private_segment 0
		.amdhsa_system_sgpr_workgroup_id_x 1
		.amdhsa_system_sgpr_workgroup_id_y 0
		.amdhsa_system_sgpr_workgroup_id_z 0
		.amdhsa_system_sgpr_workgroup_info 0
		.amdhsa_system_vgpr_workitem_id 0
		.amdhsa_next_free_vgpr 1
		.amdhsa_next_free_sgpr 1
		.amdhsa_named_barrier_count 0
		.amdhsa_reserve_vcc 0
		.amdhsa_float_round_mode_32 0
		.amdhsa_float_round_mode_16_64 0
		.amdhsa_float_denorm_mode_32 3
		.amdhsa_float_denorm_mode_16_64 3
		.amdhsa_fp16_overflow 0
		.amdhsa_memory_ordered 1
		.amdhsa_forward_progress 1
		.amdhsa_inst_pref_size 0
		.amdhsa_round_robin_scheduling 0
		.amdhsa_exception_fp_ieee_invalid_op 0
		.amdhsa_exception_fp_denorm_src 0
		.amdhsa_exception_fp_ieee_div_zero 0
		.amdhsa_exception_fp_ieee_overflow 0
		.amdhsa_exception_fp_ieee_underflow 0
		.amdhsa_exception_fp_ieee_inexact 0
		.amdhsa_exception_int_div_zero 0
	.end_amdhsa_kernel
	.section	.text._ZN7rocprim17ROCPRIM_400000_NS6detail17trampoline_kernelINS0_14default_configENS1_27scan_by_key_config_selectorIj11FixedVectorIiLj1EEEEZZNS1_16scan_by_key_implILNS1_25lookback_scan_determinismE0ELb0ES3_N6thrust23THRUST_200600_302600_NS6detail15normal_iteratorINSB_10device_ptrIjEEEENSD_INSE_IS6_EEEESI_S6_NSB_4plusIvEENSB_8equal_toIvEES6_EE10hipError_tPvRmT2_T3_T4_T5_mT6_T7_P12ihipStream_tbENKUlT_T0_E_clISt17integral_constantIbLb0EES13_EEDaSY_SZ_EUlSY_E_NS1_11comp_targetILNS1_3genE5ELNS1_11target_archE942ELNS1_3gpuE9ELNS1_3repE0EEENS1_30default_config_static_selectorELNS0_4arch9wavefront6targetE0EEEvT1_,"axG",@progbits,_ZN7rocprim17ROCPRIM_400000_NS6detail17trampoline_kernelINS0_14default_configENS1_27scan_by_key_config_selectorIj11FixedVectorIiLj1EEEEZZNS1_16scan_by_key_implILNS1_25lookback_scan_determinismE0ELb0ES3_N6thrust23THRUST_200600_302600_NS6detail15normal_iteratorINSB_10device_ptrIjEEEENSD_INSE_IS6_EEEESI_S6_NSB_4plusIvEENSB_8equal_toIvEES6_EE10hipError_tPvRmT2_T3_T4_T5_mT6_T7_P12ihipStream_tbENKUlT_T0_E_clISt17integral_constantIbLb0EES13_EEDaSY_SZ_EUlSY_E_NS1_11comp_targetILNS1_3genE5ELNS1_11target_archE942ELNS1_3gpuE9ELNS1_3repE0EEENS1_30default_config_static_selectorELNS0_4arch9wavefront6targetE0EEEvT1_,comdat
.Lfunc_end1871:
	.size	_ZN7rocprim17ROCPRIM_400000_NS6detail17trampoline_kernelINS0_14default_configENS1_27scan_by_key_config_selectorIj11FixedVectorIiLj1EEEEZZNS1_16scan_by_key_implILNS1_25lookback_scan_determinismE0ELb0ES3_N6thrust23THRUST_200600_302600_NS6detail15normal_iteratorINSB_10device_ptrIjEEEENSD_INSE_IS6_EEEESI_S6_NSB_4plusIvEENSB_8equal_toIvEES6_EE10hipError_tPvRmT2_T3_T4_T5_mT6_T7_P12ihipStream_tbENKUlT_T0_E_clISt17integral_constantIbLb0EES13_EEDaSY_SZ_EUlSY_E_NS1_11comp_targetILNS1_3genE5ELNS1_11target_archE942ELNS1_3gpuE9ELNS1_3repE0EEENS1_30default_config_static_selectorELNS0_4arch9wavefront6targetE0EEEvT1_, .Lfunc_end1871-_ZN7rocprim17ROCPRIM_400000_NS6detail17trampoline_kernelINS0_14default_configENS1_27scan_by_key_config_selectorIj11FixedVectorIiLj1EEEEZZNS1_16scan_by_key_implILNS1_25lookback_scan_determinismE0ELb0ES3_N6thrust23THRUST_200600_302600_NS6detail15normal_iteratorINSB_10device_ptrIjEEEENSD_INSE_IS6_EEEESI_S6_NSB_4plusIvEENSB_8equal_toIvEES6_EE10hipError_tPvRmT2_T3_T4_T5_mT6_T7_P12ihipStream_tbENKUlT_T0_E_clISt17integral_constantIbLb0EES13_EEDaSY_SZ_EUlSY_E_NS1_11comp_targetILNS1_3genE5ELNS1_11target_archE942ELNS1_3gpuE9ELNS1_3repE0EEENS1_30default_config_static_selectorELNS0_4arch9wavefront6targetE0EEEvT1_
                                        ; -- End function
	.set _ZN7rocprim17ROCPRIM_400000_NS6detail17trampoline_kernelINS0_14default_configENS1_27scan_by_key_config_selectorIj11FixedVectorIiLj1EEEEZZNS1_16scan_by_key_implILNS1_25lookback_scan_determinismE0ELb0ES3_N6thrust23THRUST_200600_302600_NS6detail15normal_iteratorINSB_10device_ptrIjEEEENSD_INSE_IS6_EEEESI_S6_NSB_4plusIvEENSB_8equal_toIvEES6_EE10hipError_tPvRmT2_T3_T4_T5_mT6_T7_P12ihipStream_tbENKUlT_T0_E_clISt17integral_constantIbLb0EES13_EEDaSY_SZ_EUlSY_E_NS1_11comp_targetILNS1_3genE5ELNS1_11target_archE942ELNS1_3gpuE9ELNS1_3repE0EEENS1_30default_config_static_selectorELNS0_4arch9wavefront6targetE0EEEvT1_.num_vgpr, 0
	.set _ZN7rocprim17ROCPRIM_400000_NS6detail17trampoline_kernelINS0_14default_configENS1_27scan_by_key_config_selectorIj11FixedVectorIiLj1EEEEZZNS1_16scan_by_key_implILNS1_25lookback_scan_determinismE0ELb0ES3_N6thrust23THRUST_200600_302600_NS6detail15normal_iteratorINSB_10device_ptrIjEEEENSD_INSE_IS6_EEEESI_S6_NSB_4plusIvEENSB_8equal_toIvEES6_EE10hipError_tPvRmT2_T3_T4_T5_mT6_T7_P12ihipStream_tbENKUlT_T0_E_clISt17integral_constantIbLb0EES13_EEDaSY_SZ_EUlSY_E_NS1_11comp_targetILNS1_3genE5ELNS1_11target_archE942ELNS1_3gpuE9ELNS1_3repE0EEENS1_30default_config_static_selectorELNS0_4arch9wavefront6targetE0EEEvT1_.num_agpr, 0
	.set _ZN7rocprim17ROCPRIM_400000_NS6detail17trampoline_kernelINS0_14default_configENS1_27scan_by_key_config_selectorIj11FixedVectorIiLj1EEEEZZNS1_16scan_by_key_implILNS1_25lookback_scan_determinismE0ELb0ES3_N6thrust23THRUST_200600_302600_NS6detail15normal_iteratorINSB_10device_ptrIjEEEENSD_INSE_IS6_EEEESI_S6_NSB_4plusIvEENSB_8equal_toIvEES6_EE10hipError_tPvRmT2_T3_T4_T5_mT6_T7_P12ihipStream_tbENKUlT_T0_E_clISt17integral_constantIbLb0EES13_EEDaSY_SZ_EUlSY_E_NS1_11comp_targetILNS1_3genE5ELNS1_11target_archE942ELNS1_3gpuE9ELNS1_3repE0EEENS1_30default_config_static_selectorELNS0_4arch9wavefront6targetE0EEEvT1_.numbered_sgpr, 0
	.set _ZN7rocprim17ROCPRIM_400000_NS6detail17trampoline_kernelINS0_14default_configENS1_27scan_by_key_config_selectorIj11FixedVectorIiLj1EEEEZZNS1_16scan_by_key_implILNS1_25lookback_scan_determinismE0ELb0ES3_N6thrust23THRUST_200600_302600_NS6detail15normal_iteratorINSB_10device_ptrIjEEEENSD_INSE_IS6_EEEESI_S6_NSB_4plusIvEENSB_8equal_toIvEES6_EE10hipError_tPvRmT2_T3_T4_T5_mT6_T7_P12ihipStream_tbENKUlT_T0_E_clISt17integral_constantIbLb0EES13_EEDaSY_SZ_EUlSY_E_NS1_11comp_targetILNS1_3genE5ELNS1_11target_archE942ELNS1_3gpuE9ELNS1_3repE0EEENS1_30default_config_static_selectorELNS0_4arch9wavefront6targetE0EEEvT1_.num_named_barrier, 0
	.set _ZN7rocprim17ROCPRIM_400000_NS6detail17trampoline_kernelINS0_14default_configENS1_27scan_by_key_config_selectorIj11FixedVectorIiLj1EEEEZZNS1_16scan_by_key_implILNS1_25lookback_scan_determinismE0ELb0ES3_N6thrust23THRUST_200600_302600_NS6detail15normal_iteratorINSB_10device_ptrIjEEEENSD_INSE_IS6_EEEESI_S6_NSB_4plusIvEENSB_8equal_toIvEES6_EE10hipError_tPvRmT2_T3_T4_T5_mT6_T7_P12ihipStream_tbENKUlT_T0_E_clISt17integral_constantIbLb0EES13_EEDaSY_SZ_EUlSY_E_NS1_11comp_targetILNS1_3genE5ELNS1_11target_archE942ELNS1_3gpuE9ELNS1_3repE0EEENS1_30default_config_static_selectorELNS0_4arch9wavefront6targetE0EEEvT1_.private_seg_size, 0
	.set _ZN7rocprim17ROCPRIM_400000_NS6detail17trampoline_kernelINS0_14default_configENS1_27scan_by_key_config_selectorIj11FixedVectorIiLj1EEEEZZNS1_16scan_by_key_implILNS1_25lookback_scan_determinismE0ELb0ES3_N6thrust23THRUST_200600_302600_NS6detail15normal_iteratorINSB_10device_ptrIjEEEENSD_INSE_IS6_EEEESI_S6_NSB_4plusIvEENSB_8equal_toIvEES6_EE10hipError_tPvRmT2_T3_T4_T5_mT6_T7_P12ihipStream_tbENKUlT_T0_E_clISt17integral_constantIbLb0EES13_EEDaSY_SZ_EUlSY_E_NS1_11comp_targetILNS1_3genE5ELNS1_11target_archE942ELNS1_3gpuE9ELNS1_3repE0EEENS1_30default_config_static_selectorELNS0_4arch9wavefront6targetE0EEEvT1_.uses_vcc, 0
	.set _ZN7rocprim17ROCPRIM_400000_NS6detail17trampoline_kernelINS0_14default_configENS1_27scan_by_key_config_selectorIj11FixedVectorIiLj1EEEEZZNS1_16scan_by_key_implILNS1_25lookback_scan_determinismE0ELb0ES3_N6thrust23THRUST_200600_302600_NS6detail15normal_iteratorINSB_10device_ptrIjEEEENSD_INSE_IS6_EEEESI_S6_NSB_4plusIvEENSB_8equal_toIvEES6_EE10hipError_tPvRmT2_T3_T4_T5_mT6_T7_P12ihipStream_tbENKUlT_T0_E_clISt17integral_constantIbLb0EES13_EEDaSY_SZ_EUlSY_E_NS1_11comp_targetILNS1_3genE5ELNS1_11target_archE942ELNS1_3gpuE9ELNS1_3repE0EEENS1_30default_config_static_selectorELNS0_4arch9wavefront6targetE0EEEvT1_.uses_flat_scratch, 0
	.set _ZN7rocprim17ROCPRIM_400000_NS6detail17trampoline_kernelINS0_14default_configENS1_27scan_by_key_config_selectorIj11FixedVectorIiLj1EEEEZZNS1_16scan_by_key_implILNS1_25lookback_scan_determinismE0ELb0ES3_N6thrust23THRUST_200600_302600_NS6detail15normal_iteratorINSB_10device_ptrIjEEEENSD_INSE_IS6_EEEESI_S6_NSB_4plusIvEENSB_8equal_toIvEES6_EE10hipError_tPvRmT2_T3_T4_T5_mT6_T7_P12ihipStream_tbENKUlT_T0_E_clISt17integral_constantIbLb0EES13_EEDaSY_SZ_EUlSY_E_NS1_11comp_targetILNS1_3genE5ELNS1_11target_archE942ELNS1_3gpuE9ELNS1_3repE0EEENS1_30default_config_static_selectorELNS0_4arch9wavefront6targetE0EEEvT1_.has_dyn_sized_stack, 0
	.set _ZN7rocprim17ROCPRIM_400000_NS6detail17trampoline_kernelINS0_14default_configENS1_27scan_by_key_config_selectorIj11FixedVectorIiLj1EEEEZZNS1_16scan_by_key_implILNS1_25lookback_scan_determinismE0ELb0ES3_N6thrust23THRUST_200600_302600_NS6detail15normal_iteratorINSB_10device_ptrIjEEEENSD_INSE_IS6_EEEESI_S6_NSB_4plusIvEENSB_8equal_toIvEES6_EE10hipError_tPvRmT2_T3_T4_T5_mT6_T7_P12ihipStream_tbENKUlT_T0_E_clISt17integral_constantIbLb0EES13_EEDaSY_SZ_EUlSY_E_NS1_11comp_targetILNS1_3genE5ELNS1_11target_archE942ELNS1_3gpuE9ELNS1_3repE0EEENS1_30default_config_static_selectorELNS0_4arch9wavefront6targetE0EEEvT1_.has_recursion, 0
	.set _ZN7rocprim17ROCPRIM_400000_NS6detail17trampoline_kernelINS0_14default_configENS1_27scan_by_key_config_selectorIj11FixedVectorIiLj1EEEEZZNS1_16scan_by_key_implILNS1_25lookback_scan_determinismE0ELb0ES3_N6thrust23THRUST_200600_302600_NS6detail15normal_iteratorINSB_10device_ptrIjEEEENSD_INSE_IS6_EEEESI_S6_NSB_4plusIvEENSB_8equal_toIvEES6_EE10hipError_tPvRmT2_T3_T4_T5_mT6_T7_P12ihipStream_tbENKUlT_T0_E_clISt17integral_constantIbLb0EES13_EEDaSY_SZ_EUlSY_E_NS1_11comp_targetILNS1_3genE5ELNS1_11target_archE942ELNS1_3gpuE9ELNS1_3repE0EEENS1_30default_config_static_selectorELNS0_4arch9wavefront6targetE0EEEvT1_.has_indirect_call, 0
	.section	.AMDGPU.csdata,"",@progbits
; Kernel info:
; codeLenInByte = 0
; TotalNumSgprs: 0
; NumVgprs: 0
; ScratchSize: 0
; MemoryBound: 0
; FloatMode: 240
; IeeeMode: 1
; LDSByteSize: 0 bytes/workgroup (compile time only)
; SGPRBlocks: 0
; VGPRBlocks: 0
; NumSGPRsForWavesPerEU: 1
; NumVGPRsForWavesPerEU: 1
; NamedBarCnt: 0
; Occupancy: 16
; WaveLimiterHint : 0
; COMPUTE_PGM_RSRC2:SCRATCH_EN: 0
; COMPUTE_PGM_RSRC2:USER_SGPR: 2
; COMPUTE_PGM_RSRC2:TRAP_HANDLER: 0
; COMPUTE_PGM_RSRC2:TGID_X_EN: 1
; COMPUTE_PGM_RSRC2:TGID_Y_EN: 0
; COMPUTE_PGM_RSRC2:TGID_Z_EN: 0
; COMPUTE_PGM_RSRC2:TIDIG_COMP_CNT: 0
	.section	.text._ZN7rocprim17ROCPRIM_400000_NS6detail17trampoline_kernelINS0_14default_configENS1_27scan_by_key_config_selectorIj11FixedVectorIiLj1EEEEZZNS1_16scan_by_key_implILNS1_25lookback_scan_determinismE0ELb0ES3_N6thrust23THRUST_200600_302600_NS6detail15normal_iteratorINSB_10device_ptrIjEEEENSD_INSE_IS6_EEEESI_S6_NSB_4plusIvEENSB_8equal_toIvEES6_EE10hipError_tPvRmT2_T3_T4_T5_mT6_T7_P12ihipStream_tbENKUlT_T0_E_clISt17integral_constantIbLb0EES13_EEDaSY_SZ_EUlSY_E_NS1_11comp_targetILNS1_3genE4ELNS1_11target_archE910ELNS1_3gpuE8ELNS1_3repE0EEENS1_30default_config_static_selectorELNS0_4arch9wavefront6targetE0EEEvT1_,"axG",@progbits,_ZN7rocprim17ROCPRIM_400000_NS6detail17trampoline_kernelINS0_14default_configENS1_27scan_by_key_config_selectorIj11FixedVectorIiLj1EEEEZZNS1_16scan_by_key_implILNS1_25lookback_scan_determinismE0ELb0ES3_N6thrust23THRUST_200600_302600_NS6detail15normal_iteratorINSB_10device_ptrIjEEEENSD_INSE_IS6_EEEESI_S6_NSB_4plusIvEENSB_8equal_toIvEES6_EE10hipError_tPvRmT2_T3_T4_T5_mT6_T7_P12ihipStream_tbENKUlT_T0_E_clISt17integral_constantIbLb0EES13_EEDaSY_SZ_EUlSY_E_NS1_11comp_targetILNS1_3genE4ELNS1_11target_archE910ELNS1_3gpuE8ELNS1_3repE0EEENS1_30default_config_static_selectorELNS0_4arch9wavefront6targetE0EEEvT1_,comdat
	.protected	_ZN7rocprim17ROCPRIM_400000_NS6detail17trampoline_kernelINS0_14default_configENS1_27scan_by_key_config_selectorIj11FixedVectorIiLj1EEEEZZNS1_16scan_by_key_implILNS1_25lookback_scan_determinismE0ELb0ES3_N6thrust23THRUST_200600_302600_NS6detail15normal_iteratorINSB_10device_ptrIjEEEENSD_INSE_IS6_EEEESI_S6_NSB_4plusIvEENSB_8equal_toIvEES6_EE10hipError_tPvRmT2_T3_T4_T5_mT6_T7_P12ihipStream_tbENKUlT_T0_E_clISt17integral_constantIbLb0EES13_EEDaSY_SZ_EUlSY_E_NS1_11comp_targetILNS1_3genE4ELNS1_11target_archE910ELNS1_3gpuE8ELNS1_3repE0EEENS1_30default_config_static_selectorELNS0_4arch9wavefront6targetE0EEEvT1_ ; -- Begin function _ZN7rocprim17ROCPRIM_400000_NS6detail17trampoline_kernelINS0_14default_configENS1_27scan_by_key_config_selectorIj11FixedVectorIiLj1EEEEZZNS1_16scan_by_key_implILNS1_25lookback_scan_determinismE0ELb0ES3_N6thrust23THRUST_200600_302600_NS6detail15normal_iteratorINSB_10device_ptrIjEEEENSD_INSE_IS6_EEEESI_S6_NSB_4plusIvEENSB_8equal_toIvEES6_EE10hipError_tPvRmT2_T3_T4_T5_mT6_T7_P12ihipStream_tbENKUlT_T0_E_clISt17integral_constantIbLb0EES13_EEDaSY_SZ_EUlSY_E_NS1_11comp_targetILNS1_3genE4ELNS1_11target_archE910ELNS1_3gpuE8ELNS1_3repE0EEENS1_30default_config_static_selectorELNS0_4arch9wavefront6targetE0EEEvT1_
	.globl	_ZN7rocprim17ROCPRIM_400000_NS6detail17trampoline_kernelINS0_14default_configENS1_27scan_by_key_config_selectorIj11FixedVectorIiLj1EEEEZZNS1_16scan_by_key_implILNS1_25lookback_scan_determinismE0ELb0ES3_N6thrust23THRUST_200600_302600_NS6detail15normal_iteratorINSB_10device_ptrIjEEEENSD_INSE_IS6_EEEESI_S6_NSB_4plusIvEENSB_8equal_toIvEES6_EE10hipError_tPvRmT2_T3_T4_T5_mT6_T7_P12ihipStream_tbENKUlT_T0_E_clISt17integral_constantIbLb0EES13_EEDaSY_SZ_EUlSY_E_NS1_11comp_targetILNS1_3genE4ELNS1_11target_archE910ELNS1_3gpuE8ELNS1_3repE0EEENS1_30default_config_static_selectorELNS0_4arch9wavefront6targetE0EEEvT1_
	.p2align	8
	.type	_ZN7rocprim17ROCPRIM_400000_NS6detail17trampoline_kernelINS0_14default_configENS1_27scan_by_key_config_selectorIj11FixedVectorIiLj1EEEEZZNS1_16scan_by_key_implILNS1_25lookback_scan_determinismE0ELb0ES3_N6thrust23THRUST_200600_302600_NS6detail15normal_iteratorINSB_10device_ptrIjEEEENSD_INSE_IS6_EEEESI_S6_NSB_4plusIvEENSB_8equal_toIvEES6_EE10hipError_tPvRmT2_T3_T4_T5_mT6_T7_P12ihipStream_tbENKUlT_T0_E_clISt17integral_constantIbLb0EES13_EEDaSY_SZ_EUlSY_E_NS1_11comp_targetILNS1_3genE4ELNS1_11target_archE910ELNS1_3gpuE8ELNS1_3repE0EEENS1_30default_config_static_selectorELNS0_4arch9wavefront6targetE0EEEvT1_,@function
_ZN7rocprim17ROCPRIM_400000_NS6detail17trampoline_kernelINS0_14default_configENS1_27scan_by_key_config_selectorIj11FixedVectorIiLj1EEEEZZNS1_16scan_by_key_implILNS1_25lookback_scan_determinismE0ELb0ES3_N6thrust23THRUST_200600_302600_NS6detail15normal_iteratorINSB_10device_ptrIjEEEENSD_INSE_IS6_EEEESI_S6_NSB_4plusIvEENSB_8equal_toIvEES6_EE10hipError_tPvRmT2_T3_T4_T5_mT6_T7_P12ihipStream_tbENKUlT_T0_E_clISt17integral_constantIbLb0EES13_EEDaSY_SZ_EUlSY_E_NS1_11comp_targetILNS1_3genE4ELNS1_11target_archE910ELNS1_3gpuE8ELNS1_3repE0EEENS1_30default_config_static_selectorELNS0_4arch9wavefront6targetE0EEEvT1_: ; @_ZN7rocprim17ROCPRIM_400000_NS6detail17trampoline_kernelINS0_14default_configENS1_27scan_by_key_config_selectorIj11FixedVectorIiLj1EEEEZZNS1_16scan_by_key_implILNS1_25lookback_scan_determinismE0ELb0ES3_N6thrust23THRUST_200600_302600_NS6detail15normal_iteratorINSB_10device_ptrIjEEEENSD_INSE_IS6_EEEESI_S6_NSB_4plusIvEENSB_8equal_toIvEES6_EE10hipError_tPvRmT2_T3_T4_T5_mT6_T7_P12ihipStream_tbENKUlT_T0_E_clISt17integral_constantIbLb0EES13_EEDaSY_SZ_EUlSY_E_NS1_11comp_targetILNS1_3genE4ELNS1_11target_archE910ELNS1_3gpuE8ELNS1_3repE0EEENS1_30default_config_static_selectorELNS0_4arch9wavefront6targetE0EEEvT1_
; %bb.0:
	.section	.rodata,"a",@progbits
	.p2align	6, 0x0
	.amdhsa_kernel _ZN7rocprim17ROCPRIM_400000_NS6detail17trampoline_kernelINS0_14default_configENS1_27scan_by_key_config_selectorIj11FixedVectorIiLj1EEEEZZNS1_16scan_by_key_implILNS1_25lookback_scan_determinismE0ELb0ES3_N6thrust23THRUST_200600_302600_NS6detail15normal_iteratorINSB_10device_ptrIjEEEENSD_INSE_IS6_EEEESI_S6_NSB_4plusIvEENSB_8equal_toIvEES6_EE10hipError_tPvRmT2_T3_T4_T5_mT6_T7_P12ihipStream_tbENKUlT_T0_E_clISt17integral_constantIbLb0EES13_EEDaSY_SZ_EUlSY_E_NS1_11comp_targetILNS1_3genE4ELNS1_11target_archE910ELNS1_3gpuE8ELNS1_3repE0EEENS1_30default_config_static_selectorELNS0_4arch9wavefront6targetE0EEEvT1_
		.amdhsa_group_segment_fixed_size 0
		.amdhsa_private_segment_fixed_size 0
		.amdhsa_kernarg_size 112
		.amdhsa_user_sgpr_count 2
		.amdhsa_user_sgpr_dispatch_ptr 0
		.amdhsa_user_sgpr_queue_ptr 0
		.amdhsa_user_sgpr_kernarg_segment_ptr 1
		.amdhsa_user_sgpr_dispatch_id 0
		.amdhsa_user_sgpr_kernarg_preload_length 0
		.amdhsa_user_sgpr_kernarg_preload_offset 0
		.amdhsa_user_sgpr_private_segment_size 0
		.amdhsa_wavefront_size32 1
		.amdhsa_uses_dynamic_stack 0
		.amdhsa_enable_private_segment 0
		.amdhsa_system_sgpr_workgroup_id_x 1
		.amdhsa_system_sgpr_workgroup_id_y 0
		.amdhsa_system_sgpr_workgroup_id_z 0
		.amdhsa_system_sgpr_workgroup_info 0
		.amdhsa_system_vgpr_workitem_id 0
		.amdhsa_next_free_vgpr 1
		.amdhsa_next_free_sgpr 1
		.amdhsa_named_barrier_count 0
		.amdhsa_reserve_vcc 0
		.amdhsa_float_round_mode_32 0
		.amdhsa_float_round_mode_16_64 0
		.amdhsa_float_denorm_mode_32 3
		.amdhsa_float_denorm_mode_16_64 3
		.amdhsa_fp16_overflow 0
		.amdhsa_memory_ordered 1
		.amdhsa_forward_progress 1
		.amdhsa_inst_pref_size 0
		.amdhsa_round_robin_scheduling 0
		.amdhsa_exception_fp_ieee_invalid_op 0
		.amdhsa_exception_fp_denorm_src 0
		.amdhsa_exception_fp_ieee_div_zero 0
		.amdhsa_exception_fp_ieee_overflow 0
		.amdhsa_exception_fp_ieee_underflow 0
		.amdhsa_exception_fp_ieee_inexact 0
		.amdhsa_exception_int_div_zero 0
	.end_amdhsa_kernel
	.section	.text._ZN7rocprim17ROCPRIM_400000_NS6detail17trampoline_kernelINS0_14default_configENS1_27scan_by_key_config_selectorIj11FixedVectorIiLj1EEEEZZNS1_16scan_by_key_implILNS1_25lookback_scan_determinismE0ELb0ES3_N6thrust23THRUST_200600_302600_NS6detail15normal_iteratorINSB_10device_ptrIjEEEENSD_INSE_IS6_EEEESI_S6_NSB_4plusIvEENSB_8equal_toIvEES6_EE10hipError_tPvRmT2_T3_T4_T5_mT6_T7_P12ihipStream_tbENKUlT_T0_E_clISt17integral_constantIbLb0EES13_EEDaSY_SZ_EUlSY_E_NS1_11comp_targetILNS1_3genE4ELNS1_11target_archE910ELNS1_3gpuE8ELNS1_3repE0EEENS1_30default_config_static_selectorELNS0_4arch9wavefront6targetE0EEEvT1_,"axG",@progbits,_ZN7rocprim17ROCPRIM_400000_NS6detail17trampoline_kernelINS0_14default_configENS1_27scan_by_key_config_selectorIj11FixedVectorIiLj1EEEEZZNS1_16scan_by_key_implILNS1_25lookback_scan_determinismE0ELb0ES3_N6thrust23THRUST_200600_302600_NS6detail15normal_iteratorINSB_10device_ptrIjEEEENSD_INSE_IS6_EEEESI_S6_NSB_4plusIvEENSB_8equal_toIvEES6_EE10hipError_tPvRmT2_T3_T4_T5_mT6_T7_P12ihipStream_tbENKUlT_T0_E_clISt17integral_constantIbLb0EES13_EEDaSY_SZ_EUlSY_E_NS1_11comp_targetILNS1_3genE4ELNS1_11target_archE910ELNS1_3gpuE8ELNS1_3repE0EEENS1_30default_config_static_selectorELNS0_4arch9wavefront6targetE0EEEvT1_,comdat
.Lfunc_end1872:
	.size	_ZN7rocprim17ROCPRIM_400000_NS6detail17trampoline_kernelINS0_14default_configENS1_27scan_by_key_config_selectorIj11FixedVectorIiLj1EEEEZZNS1_16scan_by_key_implILNS1_25lookback_scan_determinismE0ELb0ES3_N6thrust23THRUST_200600_302600_NS6detail15normal_iteratorINSB_10device_ptrIjEEEENSD_INSE_IS6_EEEESI_S6_NSB_4plusIvEENSB_8equal_toIvEES6_EE10hipError_tPvRmT2_T3_T4_T5_mT6_T7_P12ihipStream_tbENKUlT_T0_E_clISt17integral_constantIbLb0EES13_EEDaSY_SZ_EUlSY_E_NS1_11comp_targetILNS1_3genE4ELNS1_11target_archE910ELNS1_3gpuE8ELNS1_3repE0EEENS1_30default_config_static_selectorELNS0_4arch9wavefront6targetE0EEEvT1_, .Lfunc_end1872-_ZN7rocprim17ROCPRIM_400000_NS6detail17trampoline_kernelINS0_14default_configENS1_27scan_by_key_config_selectorIj11FixedVectorIiLj1EEEEZZNS1_16scan_by_key_implILNS1_25lookback_scan_determinismE0ELb0ES3_N6thrust23THRUST_200600_302600_NS6detail15normal_iteratorINSB_10device_ptrIjEEEENSD_INSE_IS6_EEEESI_S6_NSB_4plusIvEENSB_8equal_toIvEES6_EE10hipError_tPvRmT2_T3_T4_T5_mT6_T7_P12ihipStream_tbENKUlT_T0_E_clISt17integral_constantIbLb0EES13_EEDaSY_SZ_EUlSY_E_NS1_11comp_targetILNS1_3genE4ELNS1_11target_archE910ELNS1_3gpuE8ELNS1_3repE0EEENS1_30default_config_static_selectorELNS0_4arch9wavefront6targetE0EEEvT1_
                                        ; -- End function
	.set _ZN7rocprim17ROCPRIM_400000_NS6detail17trampoline_kernelINS0_14default_configENS1_27scan_by_key_config_selectorIj11FixedVectorIiLj1EEEEZZNS1_16scan_by_key_implILNS1_25lookback_scan_determinismE0ELb0ES3_N6thrust23THRUST_200600_302600_NS6detail15normal_iteratorINSB_10device_ptrIjEEEENSD_INSE_IS6_EEEESI_S6_NSB_4plusIvEENSB_8equal_toIvEES6_EE10hipError_tPvRmT2_T3_T4_T5_mT6_T7_P12ihipStream_tbENKUlT_T0_E_clISt17integral_constantIbLb0EES13_EEDaSY_SZ_EUlSY_E_NS1_11comp_targetILNS1_3genE4ELNS1_11target_archE910ELNS1_3gpuE8ELNS1_3repE0EEENS1_30default_config_static_selectorELNS0_4arch9wavefront6targetE0EEEvT1_.num_vgpr, 0
	.set _ZN7rocprim17ROCPRIM_400000_NS6detail17trampoline_kernelINS0_14default_configENS1_27scan_by_key_config_selectorIj11FixedVectorIiLj1EEEEZZNS1_16scan_by_key_implILNS1_25lookback_scan_determinismE0ELb0ES3_N6thrust23THRUST_200600_302600_NS6detail15normal_iteratorINSB_10device_ptrIjEEEENSD_INSE_IS6_EEEESI_S6_NSB_4plusIvEENSB_8equal_toIvEES6_EE10hipError_tPvRmT2_T3_T4_T5_mT6_T7_P12ihipStream_tbENKUlT_T0_E_clISt17integral_constantIbLb0EES13_EEDaSY_SZ_EUlSY_E_NS1_11comp_targetILNS1_3genE4ELNS1_11target_archE910ELNS1_3gpuE8ELNS1_3repE0EEENS1_30default_config_static_selectorELNS0_4arch9wavefront6targetE0EEEvT1_.num_agpr, 0
	.set _ZN7rocprim17ROCPRIM_400000_NS6detail17trampoline_kernelINS0_14default_configENS1_27scan_by_key_config_selectorIj11FixedVectorIiLj1EEEEZZNS1_16scan_by_key_implILNS1_25lookback_scan_determinismE0ELb0ES3_N6thrust23THRUST_200600_302600_NS6detail15normal_iteratorINSB_10device_ptrIjEEEENSD_INSE_IS6_EEEESI_S6_NSB_4plusIvEENSB_8equal_toIvEES6_EE10hipError_tPvRmT2_T3_T4_T5_mT6_T7_P12ihipStream_tbENKUlT_T0_E_clISt17integral_constantIbLb0EES13_EEDaSY_SZ_EUlSY_E_NS1_11comp_targetILNS1_3genE4ELNS1_11target_archE910ELNS1_3gpuE8ELNS1_3repE0EEENS1_30default_config_static_selectorELNS0_4arch9wavefront6targetE0EEEvT1_.numbered_sgpr, 0
	.set _ZN7rocprim17ROCPRIM_400000_NS6detail17trampoline_kernelINS0_14default_configENS1_27scan_by_key_config_selectorIj11FixedVectorIiLj1EEEEZZNS1_16scan_by_key_implILNS1_25lookback_scan_determinismE0ELb0ES3_N6thrust23THRUST_200600_302600_NS6detail15normal_iteratorINSB_10device_ptrIjEEEENSD_INSE_IS6_EEEESI_S6_NSB_4plusIvEENSB_8equal_toIvEES6_EE10hipError_tPvRmT2_T3_T4_T5_mT6_T7_P12ihipStream_tbENKUlT_T0_E_clISt17integral_constantIbLb0EES13_EEDaSY_SZ_EUlSY_E_NS1_11comp_targetILNS1_3genE4ELNS1_11target_archE910ELNS1_3gpuE8ELNS1_3repE0EEENS1_30default_config_static_selectorELNS0_4arch9wavefront6targetE0EEEvT1_.num_named_barrier, 0
	.set _ZN7rocprim17ROCPRIM_400000_NS6detail17trampoline_kernelINS0_14default_configENS1_27scan_by_key_config_selectorIj11FixedVectorIiLj1EEEEZZNS1_16scan_by_key_implILNS1_25lookback_scan_determinismE0ELb0ES3_N6thrust23THRUST_200600_302600_NS6detail15normal_iteratorINSB_10device_ptrIjEEEENSD_INSE_IS6_EEEESI_S6_NSB_4plusIvEENSB_8equal_toIvEES6_EE10hipError_tPvRmT2_T3_T4_T5_mT6_T7_P12ihipStream_tbENKUlT_T0_E_clISt17integral_constantIbLb0EES13_EEDaSY_SZ_EUlSY_E_NS1_11comp_targetILNS1_3genE4ELNS1_11target_archE910ELNS1_3gpuE8ELNS1_3repE0EEENS1_30default_config_static_selectorELNS0_4arch9wavefront6targetE0EEEvT1_.private_seg_size, 0
	.set _ZN7rocprim17ROCPRIM_400000_NS6detail17trampoline_kernelINS0_14default_configENS1_27scan_by_key_config_selectorIj11FixedVectorIiLj1EEEEZZNS1_16scan_by_key_implILNS1_25lookback_scan_determinismE0ELb0ES3_N6thrust23THRUST_200600_302600_NS6detail15normal_iteratorINSB_10device_ptrIjEEEENSD_INSE_IS6_EEEESI_S6_NSB_4plusIvEENSB_8equal_toIvEES6_EE10hipError_tPvRmT2_T3_T4_T5_mT6_T7_P12ihipStream_tbENKUlT_T0_E_clISt17integral_constantIbLb0EES13_EEDaSY_SZ_EUlSY_E_NS1_11comp_targetILNS1_3genE4ELNS1_11target_archE910ELNS1_3gpuE8ELNS1_3repE0EEENS1_30default_config_static_selectorELNS0_4arch9wavefront6targetE0EEEvT1_.uses_vcc, 0
	.set _ZN7rocprim17ROCPRIM_400000_NS6detail17trampoline_kernelINS0_14default_configENS1_27scan_by_key_config_selectorIj11FixedVectorIiLj1EEEEZZNS1_16scan_by_key_implILNS1_25lookback_scan_determinismE0ELb0ES3_N6thrust23THRUST_200600_302600_NS6detail15normal_iteratorINSB_10device_ptrIjEEEENSD_INSE_IS6_EEEESI_S6_NSB_4plusIvEENSB_8equal_toIvEES6_EE10hipError_tPvRmT2_T3_T4_T5_mT6_T7_P12ihipStream_tbENKUlT_T0_E_clISt17integral_constantIbLb0EES13_EEDaSY_SZ_EUlSY_E_NS1_11comp_targetILNS1_3genE4ELNS1_11target_archE910ELNS1_3gpuE8ELNS1_3repE0EEENS1_30default_config_static_selectorELNS0_4arch9wavefront6targetE0EEEvT1_.uses_flat_scratch, 0
	.set _ZN7rocprim17ROCPRIM_400000_NS6detail17trampoline_kernelINS0_14default_configENS1_27scan_by_key_config_selectorIj11FixedVectorIiLj1EEEEZZNS1_16scan_by_key_implILNS1_25lookback_scan_determinismE0ELb0ES3_N6thrust23THRUST_200600_302600_NS6detail15normal_iteratorINSB_10device_ptrIjEEEENSD_INSE_IS6_EEEESI_S6_NSB_4plusIvEENSB_8equal_toIvEES6_EE10hipError_tPvRmT2_T3_T4_T5_mT6_T7_P12ihipStream_tbENKUlT_T0_E_clISt17integral_constantIbLb0EES13_EEDaSY_SZ_EUlSY_E_NS1_11comp_targetILNS1_3genE4ELNS1_11target_archE910ELNS1_3gpuE8ELNS1_3repE0EEENS1_30default_config_static_selectorELNS0_4arch9wavefront6targetE0EEEvT1_.has_dyn_sized_stack, 0
	.set _ZN7rocprim17ROCPRIM_400000_NS6detail17trampoline_kernelINS0_14default_configENS1_27scan_by_key_config_selectorIj11FixedVectorIiLj1EEEEZZNS1_16scan_by_key_implILNS1_25lookback_scan_determinismE0ELb0ES3_N6thrust23THRUST_200600_302600_NS6detail15normal_iteratorINSB_10device_ptrIjEEEENSD_INSE_IS6_EEEESI_S6_NSB_4plusIvEENSB_8equal_toIvEES6_EE10hipError_tPvRmT2_T3_T4_T5_mT6_T7_P12ihipStream_tbENKUlT_T0_E_clISt17integral_constantIbLb0EES13_EEDaSY_SZ_EUlSY_E_NS1_11comp_targetILNS1_3genE4ELNS1_11target_archE910ELNS1_3gpuE8ELNS1_3repE0EEENS1_30default_config_static_selectorELNS0_4arch9wavefront6targetE0EEEvT1_.has_recursion, 0
	.set _ZN7rocprim17ROCPRIM_400000_NS6detail17trampoline_kernelINS0_14default_configENS1_27scan_by_key_config_selectorIj11FixedVectorIiLj1EEEEZZNS1_16scan_by_key_implILNS1_25lookback_scan_determinismE0ELb0ES3_N6thrust23THRUST_200600_302600_NS6detail15normal_iteratorINSB_10device_ptrIjEEEENSD_INSE_IS6_EEEESI_S6_NSB_4plusIvEENSB_8equal_toIvEES6_EE10hipError_tPvRmT2_T3_T4_T5_mT6_T7_P12ihipStream_tbENKUlT_T0_E_clISt17integral_constantIbLb0EES13_EEDaSY_SZ_EUlSY_E_NS1_11comp_targetILNS1_3genE4ELNS1_11target_archE910ELNS1_3gpuE8ELNS1_3repE0EEENS1_30default_config_static_selectorELNS0_4arch9wavefront6targetE0EEEvT1_.has_indirect_call, 0
	.section	.AMDGPU.csdata,"",@progbits
; Kernel info:
; codeLenInByte = 0
; TotalNumSgprs: 0
; NumVgprs: 0
; ScratchSize: 0
; MemoryBound: 0
; FloatMode: 240
; IeeeMode: 1
; LDSByteSize: 0 bytes/workgroup (compile time only)
; SGPRBlocks: 0
; VGPRBlocks: 0
; NumSGPRsForWavesPerEU: 1
; NumVGPRsForWavesPerEU: 1
; NamedBarCnt: 0
; Occupancy: 16
; WaveLimiterHint : 0
; COMPUTE_PGM_RSRC2:SCRATCH_EN: 0
; COMPUTE_PGM_RSRC2:USER_SGPR: 2
; COMPUTE_PGM_RSRC2:TRAP_HANDLER: 0
; COMPUTE_PGM_RSRC2:TGID_X_EN: 1
; COMPUTE_PGM_RSRC2:TGID_Y_EN: 0
; COMPUTE_PGM_RSRC2:TGID_Z_EN: 0
; COMPUTE_PGM_RSRC2:TIDIG_COMP_CNT: 0
	.section	.text._ZN7rocprim17ROCPRIM_400000_NS6detail17trampoline_kernelINS0_14default_configENS1_27scan_by_key_config_selectorIj11FixedVectorIiLj1EEEEZZNS1_16scan_by_key_implILNS1_25lookback_scan_determinismE0ELb0ES3_N6thrust23THRUST_200600_302600_NS6detail15normal_iteratorINSB_10device_ptrIjEEEENSD_INSE_IS6_EEEESI_S6_NSB_4plusIvEENSB_8equal_toIvEES6_EE10hipError_tPvRmT2_T3_T4_T5_mT6_T7_P12ihipStream_tbENKUlT_T0_E_clISt17integral_constantIbLb0EES13_EEDaSY_SZ_EUlSY_E_NS1_11comp_targetILNS1_3genE3ELNS1_11target_archE908ELNS1_3gpuE7ELNS1_3repE0EEENS1_30default_config_static_selectorELNS0_4arch9wavefront6targetE0EEEvT1_,"axG",@progbits,_ZN7rocprim17ROCPRIM_400000_NS6detail17trampoline_kernelINS0_14default_configENS1_27scan_by_key_config_selectorIj11FixedVectorIiLj1EEEEZZNS1_16scan_by_key_implILNS1_25lookback_scan_determinismE0ELb0ES3_N6thrust23THRUST_200600_302600_NS6detail15normal_iteratorINSB_10device_ptrIjEEEENSD_INSE_IS6_EEEESI_S6_NSB_4plusIvEENSB_8equal_toIvEES6_EE10hipError_tPvRmT2_T3_T4_T5_mT6_T7_P12ihipStream_tbENKUlT_T0_E_clISt17integral_constantIbLb0EES13_EEDaSY_SZ_EUlSY_E_NS1_11comp_targetILNS1_3genE3ELNS1_11target_archE908ELNS1_3gpuE7ELNS1_3repE0EEENS1_30default_config_static_selectorELNS0_4arch9wavefront6targetE0EEEvT1_,comdat
	.protected	_ZN7rocprim17ROCPRIM_400000_NS6detail17trampoline_kernelINS0_14default_configENS1_27scan_by_key_config_selectorIj11FixedVectorIiLj1EEEEZZNS1_16scan_by_key_implILNS1_25lookback_scan_determinismE0ELb0ES3_N6thrust23THRUST_200600_302600_NS6detail15normal_iteratorINSB_10device_ptrIjEEEENSD_INSE_IS6_EEEESI_S6_NSB_4plusIvEENSB_8equal_toIvEES6_EE10hipError_tPvRmT2_T3_T4_T5_mT6_T7_P12ihipStream_tbENKUlT_T0_E_clISt17integral_constantIbLb0EES13_EEDaSY_SZ_EUlSY_E_NS1_11comp_targetILNS1_3genE3ELNS1_11target_archE908ELNS1_3gpuE7ELNS1_3repE0EEENS1_30default_config_static_selectorELNS0_4arch9wavefront6targetE0EEEvT1_ ; -- Begin function _ZN7rocprim17ROCPRIM_400000_NS6detail17trampoline_kernelINS0_14default_configENS1_27scan_by_key_config_selectorIj11FixedVectorIiLj1EEEEZZNS1_16scan_by_key_implILNS1_25lookback_scan_determinismE0ELb0ES3_N6thrust23THRUST_200600_302600_NS6detail15normal_iteratorINSB_10device_ptrIjEEEENSD_INSE_IS6_EEEESI_S6_NSB_4plusIvEENSB_8equal_toIvEES6_EE10hipError_tPvRmT2_T3_T4_T5_mT6_T7_P12ihipStream_tbENKUlT_T0_E_clISt17integral_constantIbLb0EES13_EEDaSY_SZ_EUlSY_E_NS1_11comp_targetILNS1_3genE3ELNS1_11target_archE908ELNS1_3gpuE7ELNS1_3repE0EEENS1_30default_config_static_selectorELNS0_4arch9wavefront6targetE0EEEvT1_
	.globl	_ZN7rocprim17ROCPRIM_400000_NS6detail17trampoline_kernelINS0_14default_configENS1_27scan_by_key_config_selectorIj11FixedVectorIiLj1EEEEZZNS1_16scan_by_key_implILNS1_25lookback_scan_determinismE0ELb0ES3_N6thrust23THRUST_200600_302600_NS6detail15normal_iteratorINSB_10device_ptrIjEEEENSD_INSE_IS6_EEEESI_S6_NSB_4plusIvEENSB_8equal_toIvEES6_EE10hipError_tPvRmT2_T3_T4_T5_mT6_T7_P12ihipStream_tbENKUlT_T0_E_clISt17integral_constantIbLb0EES13_EEDaSY_SZ_EUlSY_E_NS1_11comp_targetILNS1_3genE3ELNS1_11target_archE908ELNS1_3gpuE7ELNS1_3repE0EEENS1_30default_config_static_selectorELNS0_4arch9wavefront6targetE0EEEvT1_
	.p2align	8
	.type	_ZN7rocprim17ROCPRIM_400000_NS6detail17trampoline_kernelINS0_14default_configENS1_27scan_by_key_config_selectorIj11FixedVectorIiLj1EEEEZZNS1_16scan_by_key_implILNS1_25lookback_scan_determinismE0ELb0ES3_N6thrust23THRUST_200600_302600_NS6detail15normal_iteratorINSB_10device_ptrIjEEEENSD_INSE_IS6_EEEESI_S6_NSB_4plusIvEENSB_8equal_toIvEES6_EE10hipError_tPvRmT2_T3_T4_T5_mT6_T7_P12ihipStream_tbENKUlT_T0_E_clISt17integral_constantIbLb0EES13_EEDaSY_SZ_EUlSY_E_NS1_11comp_targetILNS1_3genE3ELNS1_11target_archE908ELNS1_3gpuE7ELNS1_3repE0EEENS1_30default_config_static_selectorELNS0_4arch9wavefront6targetE0EEEvT1_,@function
_ZN7rocprim17ROCPRIM_400000_NS6detail17trampoline_kernelINS0_14default_configENS1_27scan_by_key_config_selectorIj11FixedVectorIiLj1EEEEZZNS1_16scan_by_key_implILNS1_25lookback_scan_determinismE0ELb0ES3_N6thrust23THRUST_200600_302600_NS6detail15normal_iteratorINSB_10device_ptrIjEEEENSD_INSE_IS6_EEEESI_S6_NSB_4plusIvEENSB_8equal_toIvEES6_EE10hipError_tPvRmT2_T3_T4_T5_mT6_T7_P12ihipStream_tbENKUlT_T0_E_clISt17integral_constantIbLb0EES13_EEDaSY_SZ_EUlSY_E_NS1_11comp_targetILNS1_3genE3ELNS1_11target_archE908ELNS1_3gpuE7ELNS1_3repE0EEENS1_30default_config_static_selectorELNS0_4arch9wavefront6targetE0EEEvT1_: ; @_ZN7rocprim17ROCPRIM_400000_NS6detail17trampoline_kernelINS0_14default_configENS1_27scan_by_key_config_selectorIj11FixedVectorIiLj1EEEEZZNS1_16scan_by_key_implILNS1_25lookback_scan_determinismE0ELb0ES3_N6thrust23THRUST_200600_302600_NS6detail15normal_iteratorINSB_10device_ptrIjEEEENSD_INSE_IS6_EEEESI_S6_NSB_4plusIvEENSB_8equal_toIvEES6_EE10hipError_tPvRmT2_T3_T4_T5_mT6_T7_P12ihipStream_tbENKUlT_T0_E_clISt17integral_constantIbLb0EES13_EEDaSY_SZ_EUlSY_E_NS1_11comp_targetILNS1_3genE3ELNS1_11target_archE908ELNS1_3gpuE7ELNS1_3repE0EEENS1_30default_config_static_selectorELNS0_4arch9wavefront6targetE0EEEvT1_
; %bb.0:
	.section	.rodata,"a",@progbits
	.p2align	6, 0x0
	.amdhsa_kernel _ZN7rocprim17ROCPRIM_400000_NS6detail17trampoline_kernelINS0_14default_configENS1_27scan_by_key_config_selectorIj11FixedVectorIiLj1EEEEZZNS1_16scan_by_key_implILNS1_25lookback_scan_determinismE0ELb0ES3_N6thrust23THRUST_200600_302600_NS6detail15normal_iteratorINSB_10device_ptrIjEEEENSD_INSE_IS6_EEEESI_S6_NSB_4plusIvEENSB_8equal_toIvEES6_EE10hipError_tPvRmT2_T3_T4_T5_mT6_T7_P12ihipStream_tbENKUlT_T0_E_clISt17integral_constantIbLb0EES13_EEDaSY_SZ_EUlSY_E_NS1_11comp_targetILNS1_3genE3ELNS1_11target_archE908ELNS1_3gpuE7ELNS1_3repE0EEENS1_30default_config_static_selectorELNS0_4arch9wavefront6targetE0EEEvT1_
		.amdhsa_group_segment_fixed_size 0
		.amdhsa_private_segment_fixed_size 0
		.amdhsa_kernarg_size 112
		.amdhsa_user_sgpr_count 2
		.amdhsa_user_sgpr_dispatch_ptr 0
		.amdhsa_user_sgpr_queue_ptr 0
		.amdhsa_user_sgpr_kernarg_segment_ptr 1
		.amdhsa_user_sgpr_dispatch_id 0
		.amdhsa_user_sgpr_kernarg_preload_length 0
		.amdhsa_user_sgpr_kernarg_preload_offset 0
		.amdhsa_user_sgpr_private_segment_size 0
		.amdhsa_wavefront_size32 1
		.amdhsa_uses_dynamic_stack 0
		.amdhsa_enable_private_segment 0
		.amdhsa_system_sgpr_workgroup_id_x 1
		.amdhsa_system_sgpr_workgroup_id_y 0
		.amdhsa_system_sgpr_workgroup_id_z 0
		.amdhsa_system_sgpr_workgroup_info 0
		.amdhsa_system_vgpr_workitem_id 0
		.amdhsa_next_free_vgpr 1
		.amdhsa_next_free_sgpr 1
		.amdhsa_named_barrier_count 0
		.amdhsa_reserve_vcc 0
		.amdhsa_float_round_mode_32 0
		.amdhsa_float_round_mode_16_64 0
		.amdhsa_float_denorm_mode_32 3
		.amdhsa_float_denorm_mode_16_64 3
		.amdhsa_fp16_overflow 0
		.amdhsa_memory_ordered 1
		.amdhsa_forward_progress 1
		.amdhsa_inst_pref_size 0
		.amdhsa_round_robin_scheduling 0
		.amdhsa_exception_fp_ieee_invalid_op 0
		.amdhsa_exception_fp_denorm_src 0
		.amdhsa_exception_fp_ieee_div_zero 0
		.amdhsa_exception_fp_ieee_overflow 0
		.amdhsa_exception_fp_ieee_underflow 0
		.amdhsa_exception_fp_ieee_inexact 0
		.amdhsa_exception_int_div_zero 0
	.end_amdhsa_kernel
	.section	.text._ZN7rocprim17ROCPRIM_400000_NS6detail17trampoline_kernelINS0_14default_configENS1_27scan_by_key_config_selectorIj11FixedVectorIiLj1EEEEZZNS1_16scan_by_key_implILNS1_25lookback_scan_determinismE0ELb0ES3_N6thrust23THRUST_200600_302600_NS6detail15normal_iteratorINSB_10device_ptrIjEEEENSD_INSE_IS6_EEEESI_S6_NSB_4plusIvEENSB_8equal_toIvEES6_EE10hipError_tPvRmT2_T3_T4_T5_mT6_T7_P12ihipStream_tbENKUlT_T0_E_clISt17integral_constantIbLb0EES13_EEDaSY_SZ_EUlSY_E_NS1_11comp_targetILNS1_3genE3ELNS1_11target_archE908ELNS1_3gpuE7ELNS1_3repE0EEENS1_30default_config_static_selectorELNS0_4arch9wavefront6targetE0EEEvT1_,"axG",@progbits,_ZN7rocprim17ROCPRIM_400000_NS6detail17trampoline_kernelINS0_14default_configENS1_27scan_by_key_config_selectorIj11FixedVectorIiLj1EEEEZZNS1_16scan_by_key_implILNS1_25lookback_scan_determinismE0ELb0ES3_N6thrust23THRUST_200600_302600_NS6detail15normal_iteratorINSB_10device_ptrIjEEEENSD_INSE_IS6_EEEESI_S6_NSB_4plusIvEENSB_8equal_toIvEES6_EE10hipError_tPvRmT2_T3_T4_T5_mT6_T7_P12ihipStream_tbENKUlT_T0_E_clISt17integral_constantIbLb0EES13_EEDaSY_SZ_EUlSY_E_NS1_11comp_targetILNS1_3genE3ELNS1_11target_archE908ELNS1_3gpuE7ELNS1_3repE0EEENS1_30default_config_static_selectorELNS0_4arch9wavefront6targetE0EEEvT1_,comdat
.Lfunc_end1873:
	.size	_ZN7rocprim17ROCPRIM_400000_NS6detail17trampoline_kernelINS0_14default_configENS1_27scan_by_key_config_selectorIj11FixedVectorIiLj1EEEEZZNS1_16scan_by_key_implILNS1_25lookback_scan_determinismE0ELb0ES3_N6thrust23THRUST_200600_302600_NS6detail15normal_iteratorINSB_10device_ptrIjEEEENSD_INSE_IS6_EEEESI_S6_NSB_4plusIvEENSB_8equal_toIvEES6_EE10hipError_tPvRmT2_T3_T4_T5_mT6_T7_P12ihipStream_tbENKUlT_T0_E_clISt17integral_constantIbLb0EES13_EEDaSY_SZ_EUlSY_E_NS1_11comp_targetILNS1_3genE3ELNS1_11target_archE908ELNS1_3gpuE7ELNS1_3repE0EEENS1_30default_config_static_selectorELNS0_4arch9wavefront6targetE0EEEvT1_, .Lfunc_end1873-_ZN7rocprim17ROCPRIM_400000_NS6detail17trampoline_kernelINS0_14default_configENS1_27scan_by_key_config_selectorIj11FixedVectorIiLj1EEEEZZNS1_16scan_by_key_implILNS1_25lookback_scan_determinismE0ELb0ES3_N6thrust23THRUST_200600_302600_NS6detail15normal_iteratorINSB_10device_ptrIjEEEENSD_INSE_IS6_EEEESI_S6_NSB_4plusIvEENSB_8equal_toIvEES6_EE10hipError_tPvRmT2_T3_T4_T5_mT6_T7_P12ihipStream_tbENKUlT_T0_E_clISt17integral_constantIbLb0EES13_EEDaSY_SZ_EUlSY_E_NS1_11comp_targetILNS1_3genE3ELNS1_11target_archE908ELNS1_3gpuE7ELNS1_3repE0EEENS1_30default_config_static_selectorELNS0_4arch9wavefront6targetE0EEEvT1_
                                        ; -- End function
	.set _ZN7rocprim17ROCPRIM_400000_NS6detail17trampoline_kernelINS0_14default_configENS1_27scan_by_key_config_selectorIj11FixedVectorIiLj1EEEEZZNS1_16scan_by_key_implILNS1_25lookback_scan_determinismE0ELb0ES3_N6thrust23THRUST_200600_302600_NS6detail15normal_iteratorINSB_10device_ptrIjEEEENSD_INSE_IS6_EEEESI_S6_NSB_4plusIvEENSB_8equal_toIvEES6_EE10hipError_tPvRmT2_T3_T4_T5_mT6_T7_P12ihipStream_tbENKUlT_T0_E_clISt17integral_constantIbLb0EES13_EEDaSY_SZ_EUlSY_E_NS1_11comp_targetILNS1_3genE3ELNS1_11target_archE908ELNS1_3gpuE7ELNS1_3repE0EEENS1_30default_config_static_selectorELNS0_4arch9wavefront6targetE0EEEvT1_.num_vgpr, 0
	.set _ZN7rocprim17ROCPRIM_400000_NS6detail17trampoline_kernelINS0_14default_configENS1_27scan_by_key_config_selectorIj11FixedVectorIiLj1EEEEZZNS1_16scan_by_key_implILNS1_25lookback_scan_determinismE0ELb0ES3_N6thrust23THRUST_200600_302600_NS6detail15normal_iteratorINSB_10device_ptrIjEEEENSD_INSE_IS6_EEEESI_S6_NSB_4plusIvEENSB_8equal_toIvEES6_EE10hipError_tPvRmT2_T3_T4_T5_mT6_T7_P12ihipStream_tbENKUlT_T0_E_clISt17integral_constantIbLb0EES13_EEDaSY_SZ_EUlSY_E_NS1_11comp_targetILNS1_3genE3ELNS1_11target_archE908ELNS1_3gpuE7ELNS1_3repE0EEENS1_30default_config_static_selectorELNS0_4arch9wavefront6targetE0EEEvT1_.num_agpr, 0
	.set _ZN7rocprim17ROCPRIM_400000_NS6detail17trampoline_kernelINS0_14default_configENS1_27scan_by_key_config_selectorIj11FixedVectorIiLj1EEEEZZNS1_16scan_by_key_implILNS1_25lookback_scan_determinismE0ELb0ES3_N6thrust23THRUST_200600_302600_NS6detail15normal_iteratorINSB_10device_ptrIjEEEENSD_INSE_IS6_EEEESI_S6_NSB_4plusIvEENSB_8equal_toIvEES6_EE10hipError_tPvRmT2_T3_T4_T5_mT6_T7_P12ihipStream_tbENKUlT_T0_E_clISt17integral_constantIbLb0EES13_EEDaSY_SZ_EUlSY_E_NS1_11comp_targetILNS1_3genE3ELNS1_11target_archE908ELNS1_3gpuE7ELNS1_3repE0EEENS1_30default_config_static_selectorELNS0_4arch9wavefront6targetE0EEEvT1_.numbered_sgpr, 0
	.set _ZN7rocprim17ROCPRIM_400000_NS6detail17trampoline_kernelINS0_14default_configENS1_27scan_by_key_config_selectorIj11FixedVectorIiLj1EEEEZZNS1_16scan_by_key_implILNS1_25lookback_scan_determinismE0ELb0ES3_N6thrust23THRUST_200600_302600_NS6detail15normal_iteratorINSB_10device_ptrIjEEEENSD_INSE_IS6_EEEESI_S6_NSB_4plusIvEENSB_8equal_toIvEES6_EE10hipError_tPvRmT2_T3_T4_T5_mT6_T7_P12ihipStream_tbENKUlT_T0_E_clISt17integral_constantIbLb0EES13_EEDaSY_SZ_EUlSY_E_NS1_11comp_targetILNS1_3genE3ELNS1_11target_archE908ELNS1_3gpuE7ELNS1_3repE0EEENS1_30default_config_static_selectorELNS0_4arch9wavefront6targetE0EEEvT1_.num_named_barrier, 0
	.set _ZN7rocprim17ROCPRIM_400000_NS6detail17trampoline_kernelINS0_14default_configENS1_27scan_by_key_config_selectorIj11FixedVectorIiLj1EEEEZZNS1_16scan_by_key_implILNS1_25lookback_scan_determinismE0ELb0ES3_N6thrust23THRUST_200600_302600_NS6detail15normal_iteratorINSB_10device_ptrIjEEEENSD_INSE_IS6_EEEESI_S6_NSB_4plusIvEENSB_8equal_toIvEES6_EE10hipError_tPvRmT2_T3_T4_T5_mT6_T7_P12ihipStream_tbENKUlT_T0_E_clISt17integral_constantIbLb0EES13_EEDaSY_SZ_EUlSY_E_NS1_11comp_targetILNS1_3genE3ELNS1_11target_archE908ELNS1_3gpuE7ELNS1_3repE0EEENS1_30default_config_static_selectorELNS0_4arch9wavefront6targetE0EEEvT1_.private_seg_size, 0
	.set _ZN7rocprim17ROCPRIM_400000_NS6detail17trampoline_kernelINS0_14default_configENS1_27scan_by_key_config_selectorIj11FixedVectorIiLj1EEEEZZNS1_16scan_by_key_implILNS1_25lookback_scan_determinismE0ELb0ES3_N6thrust23THRUST_200600_302600_NS6detail15normal_iteratorINSB_10device_ptrIjEEEENSD_INSE_IS6_EEEESI_S6_NSB_4plusIvEENSB_8equal_toIvEES6_EE10hipError_tPvRmT2_T3_T4_T5_mT6_T7_P12ihipStream_tbENKUlT_T0_E_clISt17integral_constantIbLb0EES13_EEDaSY_SZ_EUlSY_E_NS1_11comp_targetILNS1_3genE3ELNS1_11target_archE908ELNS1_3gpuE7ELNS1_3repE0EEENS1_30default_config_static_selectorELNS0_4arch9wavefront6targetE0EEEvT1_.uses_vcc, 0
	.set _ZN7rocprim17ROCPRIM_400000_NS6detail17trampoline_kernelINS0_14default_configENS1_27scan_by_key_config_selectorIj11FixedVectorIiLj1EEEEZZNS1_16scan_by_key_implILNS1_25lookback_scan_determinismE0ELb0ES3_N6thrust23THRUST_200600_302600_NS6detail15normal_iteratorINSB_10device_ptrIjEEEENSD_INSE_IS6_EEEESI_S6_NSB_4plusIvEENSB_8equal_toIvEES6_EE10hipError_tPvRmT2_T3_T4_T5_mT6_T7_P12ihipStream_tbENKUlT_T0_E_clISt17integral_constantIbLb0EES13_EEDaSY_SZ_EUlSY_E_NS1_11comp_targetILNS1_3genE3ELNS1_11target_archE908ELNS1_3gpuE7ELNS1_3repE0EEENS1_30default_config_static_selectorELNS0_4arch9wavefront6targetE0EEEvT1_.uses_flat_scratch, 0
	.set _ZN7rocprim17ROCPRIM_400000_NS6detail17trampoline_kernelINS0_14default_configENS1_27scan_by_key_config_selectorIj11FixedVectorIiLj1EEEEZZNS1_16scan_by_key_implILNS1_25lookback_scan_determinismE0ELb0ES3_N6thrust23THRUST_200600_302600_NS6detail15normal_iteratorINSB_10device_ptrIjEEEENSD_INSE_IS6_EEEESI_S6_NSB_4plusIvEENSB_8equal_toIvEES6_EE10hipError_tPvRmT2_T3_T4_T5_mT6_T7_P12ihipStream_tbENKUlT_T0_E_clISt17integral_constantIbLb0EES13_EEDaSY_SZ_EUlSY_E_NS1_11comp_targetILNS1_3genE3ELNS1_11target_archE908ELNS1_3gpuE7ELNS1_3repE0EEENS1_30default_config_static_selectorELNS0_4arch9wavefront6targetE0EEEvT1_.has_dyn_sized_stack, 0
	.set _ZN7rocprim17ROCPRIM_400000_NS6detail17trampoline_kernelINS0_14default_configENS1_27scan_by_key_config_selectorIj11FixedVectorIiLj1EEEEZZNS1_16scan_by_key_implILNS1_25lookback_scan_determinismE0ELb0ES3_N6thrust23THRUST_200600_302600_NS6detail15normal_iteratorINSB_10device_ptrIjEEEENSD_INSE_IS6_EEEESI_S6_NSB_4plusIvEENSB_8equal_toIvEES6_EE10hipError_tPvRmT2_T3_T4_T5_mT6_T7_P12ihipStream_tbENKUlT_T0_E_clISt17integral_constantIbLb0EES13_EEDaSY_SZ_EUlSY_E_NS1_11comp_targetILNS1_3genE3ELNS1_11target_archE908ELNS1_3gpuE7ELNS1_3repE0EEENS1_30default_config_static_selectorELNS0_4arch9wavefront6targetE0EEEvT1_.has_recursion, 0
	.set _ZN7rocprim17ROCPRIM_400000_NS6detail17trampoline_kernelINS0_14default_configENS1_27scan_by_key_config_selectorIj11FixedVectorIiLj1EEEEZZNS1_16scan_by_key_implILNS1_25lookback_scan_determinismE0ELb0ES3_N6thrust23THRUST_200600_302600_NS6detail15normal_iteratorINSB_10device_ptrIjEEEENSD_INSE_IS6_EEEESI_S6_NSB_4plusIvEENSB_8equal_toIvEES6_EE10hipError_tPvRmT2_T3_T4_T5_mT6_T7_P12ihipStream_tbENKUlT_T0_E_clISt17integral_constantIbLb0EES13_EEDaSY_SZ_EUlSY_E_NS1_11comp_targetILNS1_3genE3ELNS1_11target_archE908ELNS1_3gpuE7ELNS1_3repE0EEENS1_30default_config_static_selectorELNS0_4arch9wavefront6targetE0EEEvT1_.has_indirect_call, 0
	.section	.AMDGPU.csdata,"",@progbits
; Kernel info:
; codeLenInByte = 0
; TotalNumSgprs: 0
; NumVgprs: 0
; ScratchSize: 0
; MemoryBound: 0
; FloatMode: 240
; IeeeMode: 1
; LDSByteSize: 0 bytes/workgroup (compile time only)
; SGPRBlocks: 0
; VGPRBlocks: 0
; NumSGPRsForWavesPerEU: 1
; NumVGPRsForWavesPerEU: 1
; NamedBarCnt: 0
; Occupancy: 16
; WaveLimiterHint : 0
; COMPUTE_PGM_RSRC2:SCRATCH_EN: 0
; COMPUTE_PGM_RSRC2:USER_SGPR: 2
; COMPUTE_PGM_RSRC2:TRAP_HANDLER: 0
; COMPUTE_PGM_RSRC2:TGID_X_EN: 1
; COMPUTE_PGM_RSRC2:TGID_Y_EN: 0
; COMPUTE_PGM_RSRC2:TGID_Z_EN: 0
; COMPUTE_PGM_RSRC2:TIDIG_COMP_CNT: 0
	.section	.text._ZN7rocprim17ROCPRIM_400000_NS6detail17trampoline_kernelINS0_14default_configENS1_27scan_by_key_config_selectorIj11FixedVectorIiLj1EEEEZZNS1_16scan_by_key_implILNS1_25lookback_scan_determinismE0ELb0ES3_N6thrust23THRUST_200600_302600_NS6detail15normal_iteratorINSB_10device_ptrIjEEEENSD_INSE_IS6_EEEESI_S6_NSB_4plusIvEENSB_8equal_toIvEES6_EE10hipError_tPvRmT2_T3_T4_T5_mT6_T7_P12ihipStream_tbENKUlT_T0_E_clISt17integral_constantIbLb0EES13_EEDaSY_SZ_EUlSY_E_NS1_11comp_targetILNS1_3genE2ELNS1_11target_archE906ELNS1_3gpuE6ELNS1_3repE0EEENS1_30default_config_static_selectorELNS0_4arch9wavefront6targetE0EEEvT1_,"axG",@progbits,_ZN7rocprim17ROCPRIM_400000_NS6detail17trampoline_kernelINS0_14default_configENS1_27scan_by_key_config_selectorIj11FixedVectorIiLj1EEEEZZNS1_16scan_by_key_implILNS1_25lookback_scan_determinismE0ELb0ES3_N6thrust23THRUST_200600_302600_NS6detail15normal_iteratorINSB_10device_ptrIjEEEENSD_INSE_IS6_EEEESI_S6_NSB_4plusIvEENSB_8equal_toIvEES6_EE10hipError_tPvRmT2_T3_T4_T5_mT6_T7_P12ihipStream_tbENKUlT_T0_E_clISt17integral_constantIbLb0EES13_EEDaSY_SZ_EUlSY_E_NS1_11comp_targetILNS1_3genE2ELNS1_11target_archE906ELNS1_3gpuE6ELNS1_3repE0EEENS1_30default_config_static_selectorELNS0_4arch9wavefront6targetE0EEEvT1_,comdat
	.protected	_ZN7rocprim17ROCPRIM_400000_NS6detail17trampoline_kernelINS0_14default_configENS1_27scan_by_key_config_selectorIj11FixedVectorIiLj1EEEEZZNS1_16scan_by_key_implILNS1_25lookback_scan_determinismE0ELb0ES3_N6thrust23THRUST_200600_302600_NS6detail15normal_iteratorINSB_10device_ptrIjEEEENSD_INSE_IS6_EEEESI_S6_NSB_4plusIvEENSB_8equal_toIvEES6_EE10hipError_tPvRmT2_T3_T4_T5_mT6_T7_P12ihipStream_tbENKUlT_T0_E_clISt17integral_constantIbLb0EES13_EEDaSY_SZ_EUlSY_E_NS1_11comp_targetILNS1_3genE2ELNS1_11target_archE906ELNS1_3gpuE6ELNS1_3repE0EEENS1_30default_config_static_selectorELNS0_4arch9wavefront6targetE0EEEvT1_ ; -- Begin function _ZN7rocprim17ROCPRIM_400000_NS6detail17trampoline_kernelINS0_14default_configENS1_27scan_by_key_config_selectorIj11FixedVectorIiLj1EEEEZZNS1_16scan_by_key_implILNS1_25lookback_scan_determinismE0ELb0ES3_N6thrust23THRUST_200600_302600_NS6detail15normal_iteratorINSB_10device_ptrIjEEEENSD_INSE_IS6_EEEESI_S6_NSB_4plusIvEENSB_8equal_toIvEES6_EE10hipError_tPvRmT2_T3_T4_T5_mT6_T7_P12ihipStream_tbENKUlT_T0_E_clISt17integral_constantIbLb0EES13_EEDaSY_SZ_EUlSY_E_NS1_11comp_targetILNS1_3genE2ELNS1_11target_archE906ELNS1_3gpuE6ELNS1_3repE0EEENS1_30default_config_static_selectorELNS0_4arch9wavefront6targetE0EEEvT1_
	.globl	_ZN7rocprim17ROCPRIM_400000_NS6detail17trampoline_kernelINS0_14default_configENS1_27scan_by_key_config_selectorIj11FixedVectorIiLj1EEEEZZNS1_16scan_by_key_implILNS1_25lookback_scan_determinismE0ELb0ES3_N6thrust23THRUST_200600_302600_NS6detail15normal_iteratorINSB_10device_ptrIjEEEENSD_INSE_IS6_EEEESI_S6_NSB_4plusIvEENSB_8equal_toIvEES6_EE10hipError_tPvRmT2_T3_T4_T5_mT6_T7_P12ihipStream_tbENKUlT_T0_E_clISt17integral_constantIbLb0EES13_EEDaSY_SZ_EUlSY_E_NS1_11comp_targetILNS1_3genE2ELNS1_11target_archE906ELNS1_3gpuE6ELNS1_3repE0EEENS1_30default_config_static_selectorELNS0_4arch9wavefront6targetE0EEEvT1_
	.p2align	8
	.type	_ZN7rocprim17ROCPRIM_400000_NS6detail17trampoline_kernelINS0_14default_configENS1_27scan_by_key_config_selectorIj11FixedVectorIiLj1EEEEZZNS1_16scan_by_key_implILNS1_25lookback_scan_determinismE0ELb0ES3_N6thrust23THRUST_200600_302600_NS6detail15normal_iteratorINSB_10device_ptrIjEEEENSD_INSE_IS6_EEEESI_S6_NSB_4plusIvEENSB_8equal_toIvEES6_EE10hipError_tPvRmT2_T3_T4_T5_mT6_T7_P12ihipStream_tbENKUlT_T0_E_clISt17integral_constantIbLb0EES13_EEDaSY_SZ_EUlSY_E_NS1_11comp_targetILNS1_3genE2ELNS1_11target_archE906ELNS1_3gpuE6ELNS1_3repE0EEENS1_30default_config_static_selectorELNS0_4arch9wavefront6targetE0EEEvT1_,@function
_ZN7rocprim17ROCPRIM_400000_NS6detail17trampoline_kernelINS0_14default_configENS1_27scan_by_key_config_selectorIj11FixedVectorIiLj1EEEEZZNS1_16scan_by_key_implILNS1_25lookback_scan_determinismE0ELb0ES3_N6thrust23THRUST_200600_302600_NS6detail15normal_iteratorINSB_10device_ptrIjEEEENSD_INSE_IS6_EEEESI_S6_NSB_4plusIvEENSB_8equal_toIvEES6_EE10hipError_tPvRmT2_T3_T4_T5_mT6_T7_P12ihipStream_tbENKUlT_T0_E_clISt17integral_constantIbLb0EES13_EEDaSY_SZ_EUlSY_E_NS1_11comp_targetILNS1_3genE2ELNS1_11target_archE906ELNS1_3gpuE6ELNS1_3repE0EEENS1_30default_config_static_selectorELNS0_4arch9wavefront6targetE0EEEvT1_: ; @_ZN7rocprim17ROCPRIM_400000_NS6detail17trampoline_kernelINS0_14default_configENS1_27scan_by_key_config_selectorIj11FixedVectorIiLj1EEEEZZNS1_16scan_by_key_implILNS1_25lookback_scan_determinismE0ELb0ES3_N6thrust23THRUST_200600_302600_NS6detail15normal_iteratorINSB_10device_ptrIjEEEENSD_INSE_IS6_EEEESI_S6_NSB_4plusIvEENSB_8equal_toIvEES6_EE10hipError_tPvRmT2_T3_T4_T5_mT6_T7_P12ihipStream_tbENKUlT_T0_E_clISt17integral_constantIbLb0EES13_EEDaSY_SZ_EUlSY_E_NS1_11comp_targetILNS1_3genE2ELNS1_11target_archE906ELNS1_3gpuE6ELNS1_3repE0EEENS1_30default_config_static_selectorELNS0_4arch9wavefront6targetE0EEEvT1_
; %bb.0:
	.section	.rodata,"a",@progbits
	.p2align	6, 0x0
	.amdhsa_kernel _ZN7rocprim17ROCPRIM_400000_NS6detail17trampoline_kernelINS0_14default_configENS1_27scan_by_key_config_selectorIj11FixedVectorIiLj1EEEEZZNS1_16scan_by_key_implILNS1_25lookback_scan_determinismE0ELb0ES3_N6thrust23THRUST_200600_302600_NS6detail15normal_iteratorINSB_10device_ptrIjEEEENSD_INSE_IS6_EEEESI_S6_NSB_4plusIvEENSB_8equal_toIvEES6_EE10hipError_tPvRmT2_T3_T4_T5_mT6_T7_P12ihipStream_tbENKUlT_T0_E_clISt17integral_constantIbLb0EES13_EEDaSY_SZ_EUlSY_E_NS1_11comp_targetILNS1_3genE2ELNS1_11target_archE906ELNS1_3gpuE6ELNS1_3repE0EEENS1_30default_config_static_selectorELNS0_4arch9wavefront6targetE0EEEvT1_
		.amdhsa_group_segment_fixed_size 0
		.amdhsa_private_segment_fixed_size 0
		.amdhsa_kernarg_size 112
		.amdhsa_user_sgpr_count 2
		.amdhsa_user_sgpr_dispatch_ptr 0
		.amdhsa_user_sgpr_queue_ptr 0
		.amdhsa_user_sgpr_kernarg_segment_ptr 1
		.amdhsa_user_sgpr_dispatch_id 0
		.amdhsa_user_sgpr_kernarg_preload_length 0
		.amdhsa_user_sgpr_kernarg_preload_offset 0
		.amdhsa_user_sgpr_private_segment_size 0
		.amdhsa_wavefront_size32 1
		.amdhsa_uses_dynamic_stack 0
		.amdhsa_enable_private_segment 0
		.amdhsa_system_sgpr_workgroup_id_x 1
		.amdhsa_system_sgpr_workgroup_id_y 0
		.amdhsa_system_sgpr_workgroup_id_z 0
		.amdhsa_system_sgpr_workgroup_info 0
		.amdhsa_system_vgpr_workitem_id 0
		.amdhsa_next_free_vgpr 1
		.amdhsa_next_free_sgpr 1
		.amdhsa_named_barrier_count 0
		.amdhsa_reserve_vcc 0
		.amdhsa_float_round_mode_32 0
		.amdhsa_float_round_mode_16_64 0
		.amdhsa_float_denorm_mode_32 3
		.amdhsa_float_denorm_mode_16_64 3
		.amdhsa_fp16_overflow 0
		.amdhsa_memory_ordered 1
		.amdhsa_forward_progress 1
		.amdhsa_inst_pref_size 0
		.amdhsa_round_robin_scheduling 0
		.amdhsa_exception_fp_ieee_invalid_op 0
		.amdhsa_exception_fp_denorm_src 0
		.amdhsa_exception_fp_ieee_div_zero 0
		.amdhsa_exception_fp_ieee_overflow 0
		.amdhsa_exception_fp_ieee_underflow 0
		.amdhsa_exception_fp_ieee_inexact 0
		.amdhsa_exception_int_div_zero 0
	.end_amdhsa_kernel
	.section	.text._ZN7rocprim17ROCPRIM_400000_NS6detail17trampoline_kernelINS0_14default_configENS1_27scan_by_key_config_selectorIj11FixedVectorIiLj1EEEEZZNS1_16scan_by_key_implILNS1_25lookback_scan_determinismE0ELb0ES3_N6thrust23THRUST_200600_302600_NS6detail15normal_iteratorINSB_10device_ptrIjEEEENSD_INSE_IS6_EEEESI_S6_NSB_4plusIvEENSB_8equal_toIvEES6_EE10hipError_tPvRmT2_T3_T4_T5_mT6_T7_P12ihipStream_tbENKUlT_T0_E_clISt17integral_constantIbLb0EES13_EEDaSY_SZ_EUlSY_E_NS1_11comp_targetILNS1_3genE2ELNS1_11target_archE906ELNS1_3gpuE6ELNS1_3repE0EEENS1_30default_config_static_selectorELNS0_4arch9wavefront6targetE0EEEvT1_,"axG",@progbits,_ZN7rocprim17ROCPRIM_400000_NS6detail17trampoline_kernelINS0_14default_configENS1_27scan_by_key_config_selectorIj11FixedVectorIiLj1EEEEZZNS1_16scan_by_key_implILNS1_25lookback_scan_determinismE0ELb0ES3_N6thrust23THRUST_200600_302600_NS6detail15normal_iteratorINSB_10device_ptrIjEEEENSD_INSE_IS6_EEEESI_S6_NSB_4plusIvEENSB_8equal_toIvEES6_EE10hipError_tPvRmT2_T3_T4_T5_mT6_T7_P12ihipStream_tbENKUlT_T0_E_clISt17integral_constantIbLb0EES13_EEDaSY_SZ_EUlSY_E_NS1_11comp_targetILNS1_3genE2ELNS1_11target_archE906ELNS1_3gpuE6ELNS1_3repE0EEENS1_30default_config_static_selectorELNS0_4arch9wavefront6targetE0EEEvT1_,comdat
.Lfunc_end1874:
	.size	_ZN7rocprim17ROCPRIM_400000_NS6detail17trampoline_kernelINS0_14default_configENS1_27scan_by_key_config_selectorIj11FixedVectorIiLj1EEEEZZNS1_16scan_by_key_implILNS1_25lookback_scan_determinismE0ELb0ES3_N6thrust23THRUST_200600_302600_NS6detail15normal_iteratorINSB_10device_ptrIjEEEENSD_INSE_IS6_EEEESI_S6_NSB_4plusIvEENSB_8equal_toIvEES6_EE10hipError_tPvRmT2_T3_T4_T5_mT6_T7_P12ihipStream_tbENKUlT_T0_E_clISt17integral_constantIbLb0EES13_EEDaSY_SZ_EUlSY_E_NS1_11comp_targetILNS1_3genE2ELNS1_11target_archE906ELNS1_3gpuE6ELNS1_3repE0EEENS1_30default_config_static_selectorELNS0_4arch9wavefront6targetE0EEEvT1_, .Lfunc_end1874-_ZN7rocprim17ROCPRIM_400000_NS6detail17trampoline_kernelINS0_14default_configENS1_27scan_by_key_config_selectorIj11FixedVectorIiLj1EEEEZZNS1_16scan_by_key_implILNS1_25lookback_scan_determinismE0ELb0ES3_N6thrust23THRUST_200600_302600_NS6detail15normal_iteratorINSB_10device_ptrIjEEEENSD_INSE_IS6_EEEESI_S6_NSB_4plusIvEENSB_8equal_toIvEES6_EE10hipError_tPvRmT2_T3_T4_T5_mT6_T7_P12ihipStream_tbENKUlT_T0_E_clISt17integral_constantIbLb0EES13_EEDaSY_SZ_EUlSY_E_NS1_11comp_targetILNS1_3genE2ELNS1_11target_archE906ELNS1_3gpuE6ELNS1_3repE0EEENS1_30default_config_static_selectorELNS0_4arch9wavefront6targetE0EEEvT1_
                                        ; -- End function
	.set _ZN7rocprim17ROCPRIM_400000_NS6detail17trampoline_kernelINS0_14default_configENS1_27scan_by_key_config_selectorIj11FixedVectorIiLj1EEEEZZNS1_16scan_by_key_implILNS1_25lookback_scan_determinismE0ELb0ES3_N6thrust23THRUST_200600_302600_NS6detail15normal_iteratorINSB_10device_ptrIjEEEENSD_INSE_IS6_EEEESI_S6_NSB_4plusIvEENSB_8equal_toIvEES6_EE10hipError_tPvRmT2_T3_T4_T5_mT6_T7_P12ihipStream_tbENKUlT_T0_E_clISt17integral_constantIbLb0EES13_EEDaSY_SZ_EUlSY_E_NS1_11comp_targetILNS1_3genE2ELNS1_11target_archE906ELNS1_3gpuE6ELNS1_3repE0EEENS1_30default_config_static_selectorELNS0_4arch9wavefront6targetE0EEEvT1_.num_vgpr, 0
	.set _ZN7rocprim17ROCPRIM_400000_NS6detail17trampoline_kernelINS0_14default_configENS1_27scan_by_key_config_selectorIj11FixedVectorIiLj1EEEEZZNS1_16scan_by_key_implILNS1_25lookback_scan_determinismE0ELb0ES3_N6thrust23THRUST_200600_302600_NS6detail15normal_iteratorINSB_10device_ptrIjEEEENSD_INSE_IS6_EEEESI_S6_NSB_4plusIvEENSB_8equal_toIvEES6_EE10hipError_tPvRmT2_T3_T4_T5_mT6_T7_P12ihipStream_tbENKUlT_T0_E_clISt17integral_constantIbLb0EES13_EEDaSY_SZ_EUlSY_E_NS1_11comp_targetILNS1_3genE2ELNS1_11target_archE906ELNS1_3gpuE6ELNS1_3repE0EEENS1_30default_config_static_selectorELNS0_4arch9wavefront6targetE0EEEvT1_.num_agpr, 0
	.set _ZN7rocprim17ROCPRIM_400000_NS6detail17trampoline_kernelINS0_14default_configENS1_27scan_by_key_config_selectorIj11FixedVectorIiLj1EEEEZZNS1_16scan_by_key_implILNS1_25lookback_scan_determinismE0ELb0ES3_N6thrust23THRUST_200600_302600_NS6detail15normal_iteratorINSB_10device_ptrIjEEEENSD_INSE_IS6_EEEESI_S6_NSB_4plusIvEENSB_8equal_toIvEES6_EE10hipError_tPvRmT2_T3_T4_T5_mT6_T7_P12ihipStream_tbENKUlT_T0_E_clISt17integral_constantIbLb0EES13_EEDaSY_SZ_EUlSY_E_NS1_11comp_targetILNS1_3genE2ELNS1_11target_archE906ELNS1_3gpuE6ELNS1_3repE0EEENS1_30default_config_static_selectorELNS0_4arch9wavefront6targetE0EEEvT1_.numbered_sgpr, 0
	.set _ZN7rocprim17ROCPRIM_400000_NS6detail17trampoline_kernelINS0_14default_configENS1_27scan_by_key_config_selectorIj11FixedVectorIiLj1EEEEZZNS1_16scan_by_key_implILNS1_25lookback_scan_determinismE0ELb0ES3_N6thrust23THRUST_200600_302600_NS6detail15normal_iteratorINSB_10device_ptrIjEEEENSD_INSE_IS6_EEEESI_S6_NSB_4plusIvEENSB_8equal_toIvEES6_EE10hipError_tPvRmT2_T3_T4_T5_mT6_T7_P12ihipStream_tbENKUlT_T0_E_clISt17integral_constantIbLb0EES13_EEDaSY_SZ_EUlSY_E_NS1_11comp_targetILNS1_3genE2ELNS1_11target_archE906ELNS1_3gpuE6ELNS1_3repE0EEENS1_30default_config_static_selectorELNS0_4arch9wavefront6targetE0EEEvT1_.num_named_barrier, 0
	.set _ZN7rocprim17ROCPRIM_400000_NS6detail17trampoline_kernelINS0_14default_configENS1_27scan_by_key_config_selectorIj11FixedVectorIiLj1EEEEZZNS1_16scan_by_key_implILNS1_25lookback_scan_determinismE0ELb0ES3_N6thrust23THRUST_200600_302600_NS6detail15normal_iteratorINSB_10device_ptrIjEEEENSD_INSE_IS6_EEEESI_S6_NSB_4plusIvEENSB_8equal_toIvEES6_EE10hipError_tPvRmT2_T3_T4_T5_mT6_T7_P12ihipStream_tbENKUlT_T0_E_clISt17integral_constantIbLb0EES13_EEDaSY_SZ_EUlSY_E_NS1_11comp_targetILNS1_3genE2ELNS1_11target_archE906ELNS1_3gpuE6ELNS1_3repE0EEENS1_30default_config_static_selectorELNS0_4arch9wavefront6targetE0EEEvT1_.private_seg_size, 0
	.set _ZN7rocprim17ROCPRIM_400000_NS6detail17trampoline_kernelINS0_14default_configENS1_27scan_by_key_config_selectorIj11FixedVectorIiLj1EEEEZZNS1_16scan_by_key_implILNS1_25lookback_scan_determinismE0ELb0ES3_N6thrust23THRUST_200600_302600_NS6detail15normal_iteratorINSB_10device_ptrIjEEEENSD_INSE_IS6_EEEESI_S6_NSB_4plusIvEENSB_8equal_toIvEES6_EE10hipError_tPvRmT2_T3_T4_T5_mT6_T7_P12ihipStream_tbENKUlT_T0_E_clISt17integral_constantIbLb0EES13_EEDaSY_SZ_EUlSY_E_NS1_11comp_targetILNS1_3genE2ELNS1_11target_archE906ELNS1_3gpuE6ELNS1_3repE0EEENS1_30default_config_static_selectorELNS0_4arch9wavefront6targetE0EEEvT1_.uses_vcc, 0
	.set _ZN7rocprim17ROCPRIM_400000_NS6detail17trampoline_kernelINS0_14default_configENS1_27scan_by_key_config_selectorIj11FixedVectorIiLj1EEEEZZNS1_16scan_by_key_implILNS1_25lookback_scan_determinismE0ELb0ES3_N6thrust23THRUST_200600_302600_NS6detail15normal_iteratorINSB_10device_ptrIjEEEENSD_INSE_IS6_EEEESI_S6_NSB_4plusIvEENSB_8equal_toIvEES6_EE10hipError_tPvRmT2_T3_T4_T5_mT6_T7_P12ihipStream_tbENKUlT_T0_E_clISt17integral_constantIbLb0EES13_EEDaSY_SZ_EUlSY_E_NS1_11comp_targetILNS1_3genE2ELNS1_11target_archE906ELNS1_3gpuE6ELNS1_3repE0EEENS1_30default_config_static_selectorELNS0_4arch9wavefront6targetE0EEEvT1_.uses_flat_scratch, 0
	.set _ZN7rocprim17ROCPRIM_400000_NS6detail17trampoline_kernelINS0_14default_configENS1_27scan_by_key_config_selectorIj11FixedVectorIiLj1EEEEZZNS1_16scan_by_key_implILNS1_25lookback_scan_determinismE0ELb0ES3_N6thrust23THRUST_200600_302600_NS6detail15normal_iteratorINSB_10device_ptrIjEEEENSD_INSE_IS6_EEEESI_S6_NSB_4plusIvEENSB_8equal_toIvEES6_EE10hipError_tPvRmT2_T3_T4_T5_mT6_T7_P12ihipStream_tbENKUlT_T0_E_clISt17integral_constantIbLb0EES13_EEDaSY_SZ_EUlSY_E_NS1_11comp_targetILNS1_3genE2ELNS1_11target_archE906ELNS1_3gpuE6ELNS1_3repE0EEENS1_30default_config_static_selectorELNS0_4arch9wavefront6targetE0EEEvT1_.has_dyn_sized_stack, 0
	.set _ZN7rocprim17ROCPRIM_400000_NS6detail17trampoline_kernelINS0_14default_configENS1_27scan_by_key_config_selectorIj11FixedVectorIiLj1EEEEZZNS1_16scan_by_key_implILNS1_25lookback_scan_determinismE0ELb0ES3_N6thrust23THRUST_200600_302600_NS6detail15normal_iteratorINSB_10device_ptrIjEEEENSD_INSE_IS6_EEEESI_S6_NSB_4plusIvEENSB_8equal_toIvEES6_EE10hipError_tPvRmT2_T3_T4_T5_mT6_T7_P12ihipStream_tbENKUlT_T0_E_clISt17integral_constantIbLb0EES13_EEDaSY_SZ_EUlSY_E_NS1_11comp_targetILNS1_3genE2ELNS1_11target_archE906ELNS1_3gpuE6ELNS1_3repE0EEENS1_30default_config_static_selectorELNS0_4arch9wavefront6targetE0EEEvT1_.has_recursion, 0
	.set _ZN7rocprim17ROCPRIM_400000_NS6detail17trampoline_kernelINS0_14default_configENS1_27scan_by_key_config_selectorIj11FixedVectorIiLj1EEEEZZNS1_16scan_by_key_implILNS1_25lookback_scan_determinismE0ELb0ES3_N6thrust23THRUST_200600_302600_NS6detail15normal_iteratorINSB_10device_ptrIjEEEENSD_INSE_IS6_EEEESI_S6_NSB_4plusIvEENSB_8equal_toIvEES6_EE10hipError_tPvRmT2_T3_T4_T5_mT6_T7_P12ihipStream_tbENKUlT_T0_E_clISt17integral_constantIbLb0EES13_EEDaSY_SZ_EUlSY_E_NS1_11comp_targetILNS1_3genE2ELNS1_11target_archE906ELNS1_3gpuE6ELNS1_3repE0EEENS1_30default_config_static_selectorELNS0_4arch9wavefront6targetE0EEEvT1_.has_indirect_call, 0
	.section	.AMDGPU.csdata,"",@progbits
; Kernel info:
; codeLenInByte = 0
; TotalNumSgprs: 0
; NumVgprs: 0
; ScratchSize: 0
; MemoryBound: 0
; FloatMode: 240
; IeeeMode: 1
; LDSByteSize: 0 bytes/workgroup (compile time only)
; SGPRBlocks: 0
; VGPRBlocks: 0
; NumSGPRsForWavesPerEU: 1
; NumVGPRsForWavesPerEU: 1
; NamedBarCnt: 0
; Occupancy: 16
; WaveLimiterHint : 0
; COMPUTE_PGM_RSRC2:SCRATCH_EN: 0
; COMPUTE_PGM_RSRC2:USER_SGPR: 2
; COMPUTE_PGM_RSRC2:TRAP_HANDLER: 0
; COMPUTE_PGM_RSRC2:TGID_X_EN: 1
; COMPUTE_PGM_RSRC2:TGID_Y_EN: 0
; COMPUTE_PGM_RSRC2:TGID_Z_EN: 0
; COMPUTE_PGM_RSRC2:TIDIG_COMP_CNT: 0
	.section	.text._ZN7rocprim17ROCPRIM_400000_NS6detail17trampoline_kernelINS0_14default_configENS1_27scan_by_key_config_selectorIj11FixedVectorIiLj1EEEEZZNS1_16scan_by_key_implILNS1_25lookback_scan_determinismE0ELb0ES3_N6thrust23THRUST_200600_302600_NS6detail15normal_iteratorINSB_10device_ptrIjEEEENSD_INSE_IS6_EEEESI_S6_NSB_4plusIvEENSB_8equal_toIvEES6_EE10hipError_tPvRmT2_T3_T4_T5_mT6_T7_P12ihipStream_tbENKUlT_T0_E_clISt17integral_constantIbLb0EES13_EEDaSY_SZ_EUlSY_E_NS1_11comp_targetILNS1_3genE10ELNS1_11target_archE1200ELNS1_3gpuE4ELNS1_3repE0EEENS1_30default_config_static_selectorELNS0_4arch9wavefront6targetE0EEEvT1_,"axG",@progbits,_ZN7rocprim17ROCPRIM_400000_NS6detail17trampoline_kernelINS0_14default_configENS1_27scan_by_key_config_selectorIj11FixedVectorIiLj1EEEEZZNS1_16scan_by_key_implILNS1_25lookback_scan_determinismE0ELb0ES3_N6thrust23THRUST_200600_302600_NS6detail15normal_iteratorINSB_10device_ptrIjEEEENSD_INSE_IS6_EEEESI_S6_NSB_4plusIvEENSB_8equal_toIvEES6_EE10hipError_tPvRmT2_T3_T4_T5_mT6_T7_P12ihipStream_tbENKUlT_T0_E_clISt17integral_constantIbLb0EES13_EEDaSY_SZ_EUlSY_E_NS1_11comp_targetILNS1_3genE10ELNS1_11target_archE1200ELNS1_3gpuE4ELNS1_3repE0EEENS1_30default_config_static_selectorELNS0_4arch9wavefront6targetE0EEEvT1_,comdat
	.protected	_ZN7rocprim17ROCPRIM_400000_NS6detail17trampoline_kernelINS0_14default_configENS1_27scan_by_key_config_selectorIj11FixedVectorIiLj1EEEEZZNS1_16scan_by_key_implILNS1_25lookback_scan_determinismE0ELb0ES3_N6thrust23THRUST_200600_302600_NS6detail15normal_iteratorINSB_10device_ptrIjEEEENSD_INSE_IS6_EEEESI_S6_NSB_4plusIvEENSB_8equal_toIvEES6_EE10hipError_tPvRmT2_T3_T4_T5_mT6_T7_P12ihipStream_tbENKUlT_T0_E_clISt17integral_constantIbLb0EES13_EEDaSY_SZ_EUlSY_E_NS1_11comp_targetILNS1_3genE10ELNS1_11target_archE1200ELNS1_3gpuE4ELNS1_3repE0EEENS1_30default_config_static_selectorELNS0_4arch9wavefront6targetE0EEEvT1_ ; -- Begin function _ZN7rocprim17ROCPRIM_400000_NS6detail17trampoline_kernelINS0_14default_configENS1_27scan_by_key_config_selectorIj11FixedVectorIiLj1EEEEZZNS1_16scan_by_key_implILNS1_25lookback_scan_determinismE0ELb0ES3_N6thrust23THRUST_200600_302600_NS6detail15normal_iteratorINSB_10device_ptrIjEEEENSD_INSE_IS6_EEEESI_S6_NSB_4plusIvEENSB_8equal_toIvEES6_EE10hipError_tPvRmT2_T3_T4_T5_mT6_T7_P12ihipStream_tbENKUlT_T0_E_clISt17integral_constantIbLb0EES13_EEDaSY_SZ_EUlSY_E_NS1_11comp_targetILNS1_3genE10ELNS1_11target_archE1200ELNS1_3gpuE4ELNS1_3repE0EEENS1_30default_config_static_selectorELNS0_4arch9wavefront6targetE0EEEvT1_
	.globl	_ZN7rocprim17ROCPRIM_400000_NS6detail17trampoline_kernelINS0_14default_configENS1_27scan_by_key_config_selectorIj11FixedVectorIiLj1EEEEZZNS1_16scan_by_key_implILNS1_25lookback_scan_determinismE0ELb0ES3_N6thrust23THRUST_200600_302600_NS6detail15normal_iteratorINSB_10device_ptrIjEEEENSD_INSE_IS6_EEEESI_S6_NSB_4plusIvEENSB_8equal_toIvEES6_EE10hipError_tPvRmT2_T3_T4_T5_mT6_T7_P12ihipStream_tbENKUlT_T0_E_clISt17integral_constantIbLb0EES13_EEDaSY_SZ_EUlSY_E_NS1_11comp_targetILNS1_3genE10ELNS1_11target_archE1200ELNS1_3gpuE4ELNS1_3repE0EEENS1_30default_config_static_selectorELNS0_4arch9wavefront6targetE0EEEvT1_
	.p2align	8
	.type	_ZN7rocprim17ROCPRIM_400000_NS6detail17trampoline_kernelINS0_14default_configENS1_27scan_by_key_config_selectorIj11FixedVectorIiLj1EEEEZZNS1_16scan_by_key_implILNS1_25lookback_scan_determinismE0ELb0ES3_N6thrust23THRUST_200600_302600_NS6detail15normal_iteratorINSB_10device_ptrIjEEEENSD_INSE_IS6_EEEESI_S6_NSB_4plusIvEENSB_8equal_toIvEES6_EE10hipError_tPvRmT2_T3_T4_T5_mT6_T7_P12ihipStream_tbENKUlT_T0_E_clISt17integral_constantIbLb0EES13_EEDaSY_SZ_EUlSY_E_NS1_11comp_targetILNS1_3genE10ELNS1_11target_archE1200ELNS1_3gpuE4ELNS1_3repE0EEENS1_30default_config_static_selectorELNS0_4arch9wavefront6targetE0EEEvT1_,@function
_ZN7rocprim17ROCPRIM_400000_NS6detail17trampoline_kernelINS0_14default_configENS1_27scan_by_key_config_selectorIj11FixedVectorIiLj1EEEEZZNS1_16scan_by_key_implILNS1_25lookback_scan_determinismE0ELb0ES3_N6thrust23THRUST_200600_302600_NS6detail15normal_iteratorINSB_10device_ptrIjEEEENSD_INSE_IS6_EEEESI_S6_NSB_4plusIvEENSB_8equal_toIvEES6_EE10hipError_tPvRmT2_T3_T4_T5_mT6_T7_P12ihipStream_tbENKUlT_T0_E_clISt17integral_constantIbLb0EES13_EEDaSY_SZ_EUlSY_E_NS1_11comp_targetILNS1_3genE10ELNS1_11target_archE1200ELNS1_3gpuE4ELNS1_3repE0EEENS1_30default_config_static_selectorELNS0_4arch9wavefront6targetE0EEEvT1_: ; @_ZN7rocprim17ROCPRIM_400000_NS6detail17trampoline_kernelINS0_14default_configENS1_27scan_by_key_config_selectorIj11FixedVectorIiLj1EEEEZZNS1_16scan_by_key_implILNS1_25lookback_scan_determinismE0ELb0ES3_N6thrust23THRUST_200600_302600_NS6detail15normal_iteratorINSB_10device_ptrIjEEEENSD_INSE_IS6_EEEESI_S6_NSB_4plusIvEENSB_8equal_toIvEES6_EE10hipError_tPvRmT2_T3_T4_T5_mT6_T7_P12ihipStream_tbENKUlT_T0_E_clISt17integral_constantIbLb0EES13_EEDaSY_SZ_EUlSY_E_NS1_11comp_targetILNS1_3genE10ELNS1_11target_archE1200ELNS1_3gpuE4ELNS1_3repE0EEENS1_30default_config_static_selectorELNS0_4arch9wavefront6targetE0EEEvT1_
; %bb.0:
	.section	.rodata,"a",@progbits
	.p2align	6, 0x0
	.amdhsa_kernel _ZN7rocprim17ROCPRIM_400000_NS6detail17trampoline_kernelINS0_14default_configENS1_27scan_by_key_config_selectorIj11FixedVectorIiLj1EEEEZZNS1_16scan_by_key_implILNS1_25lookback_scan_determinismE0ELb0ES3_N6thrust23THRUST_200600_302600_NS6detail15normal_iteratorINSB_10device_ptrIjEEEENSD_INSE_IS6_EEEESI_S6_NSB_4plusIvEENSB_8equal_toIvEES6_EE10hipError_tPvRmT2_T3_T4_T5_mT6_T7_P12ihipStream_tbENKUlT_T0_E_clISt17integral_constantIbLb0EES13_EEDaSY_SZ_EUlSY_E_NS1_11comp_targetILNS1_3genE10ELNS1_11target_archE1200ELNS1_3gpuE4ELNS1_3repE0EEENS1_30default_config_static_selectorELNS0_4arch9wavefront6targetE0EEEvT1_
		.amdhsa_group_segment_fixed_size 0
		.amdhsa_private_segment_fixed_size 0
		.amdhsa_kernarg_size 112
		.amdhsa_user_sgpr_count 2
		.amdhsa_user_sgpr_dispatch_ptr 0
		.amdhsa_user_sgpr_queue_ptr 0
		.amdhsa_user_sgpr_kernarg_segment_ptr 1
		.amdhsa_user_sgpr_dispatch_id 0
		.amdhsa_user_sgpr_kernarg_preload_length 0
		.amdhsa_user_sgpr_kernarg_preload_offset 0
		.amdhsa_user_sgpr_private_segment_size 0
		.amdhsa_wavefront_size32 1
		.amdhsa_uses_dynamic_stack 0
		.amdhsa_enable_private_segment 0
		.amdhsa_system_sgpr_workgroup_id_x 1
		.amdhsa_system_sgpr_workgroup_id_y 0
		.amdhsa_system_sgpr_workgroup_id_z 0
		.amdhsa_system_sgpr_workgroup_info 0
		.amdhsa_system_vgpr_workitem_id 0
		.amdhsa_next_free_vgpr 1
		.amdhsa_next_free_sgpr 1
		.amdhsa_named_barrier_count 0
		.amdhsa_reserve_vcc 0
		.amdhsa_float_round_mode_32 0
		.amdhsa_float_round_mode_16_64 0
		.amdhsa_float_denorm_mode_32 3
		.amdhsa_float_denorm_mode_16_64 3
		.amdhsa_fp16_overflow 0
		.amdhsa_memory_ordered 1
		.amdhsa_forward_progress 1
		.amdhsa_inst_pref_size 0
		.amdhsa_round_robin_scheduling 0
		.amdhsa_exception_fp_ieee_invalid_op 0
		.amdhsa_exception_fp_denorm_src 0
		.amdhsa_exception_fp_ieee_div_zero 0
		.amdhsa_exception_fp_ieee_overflow 0
		.amdhsa_exception_fp_ieee_underflow 0
		.amdhsa_exception_fp_ieee_inexact 0
		.amdhsa_exception_int_div_zero 0
	.end_amdhsa_kernel
	.section	.text._ZN7rocprim17ROCPRIM_400000_NS6detail17trampoline_kernelINS0_14default_configENS1_27scan_by_key_config_selectorIj11FixedVectorIiLj1EEEEZZNS1_16scan_by_key_implILNS1_25lookback_scan_determinismE0ELb0ES3_N6thrust23THRUST_200600_302600_NS6detail15normal_iteratorINSB_10device_ptrIjEEEENSD_INSE_IS6_EEEESI_S6_NSB_4plusIvEENSB_8equal_toIvEES6_EE10hipError_tPvRmT2_T3_T4_T5_mT6_T7_P12ihipStream_tbENKUlT_T0_E_clISt17integral_constantIbLb0EES13_EEDaSY_SZ_EUlSY_E_NS1_11comp_targetILNS1_3genE10ELNS1_11target_archE1200ELNS1_3gpuE4ELNS1_3repE0EEENS1_30default_config_static_selectorELNS0_4arch9wavefront6targetE0EEEvT1_,"axG",@progbits,_ZN7rocprim17ROCPRIM_400000_NS6detail17trampoline_kernelINS0_14default_configENS1_27scan_by_key_config_selectorIj11FixedVectorIiLj1EEEEZZNS1_16scan_by_key_implILNS1_25lookback_scan_determinismE0ELb0ES3_N6thrust23THRUST_200600_302600_NS6detail15normal_iteratorINSB_10device_ptrIjEEEENSD_INSE_IS6_EEEESI_S6_NSB_4plusIvEENSB_8equal_toIvEES6_EE10hipError_tPvRmT2_T3_T4_T5_mT6_T7_P12ihipStream_tbENKUlT_T0_E_clISt17integral_constantIbLb0EES13_EEDaSY_SZ_EUlSY_E_NS1_11comp_targetILNS1_3genE10ELNS1_11target_archE1200ELNS1_3gpuE4ELNS1_3repE0EEENS1_30default_config_static_selectorELNS0_4arch9wavefront6targetE0EEEvT1_,comdat
.Lfunc_end1875:
	.size	_ZN7rocprim17ROCPRIM_400000_NS6detail17trampoline_kernelINS0_14default_configENS1_27scan_by_key_config_selectorIj11FixedVectorIiLj1EEEEZZNS1_16scan_by_key_implILNS1_25lookback_scan_determinismE0ELb0ES3_N6thrust23THRUST_200600_302600_NS6detail15normal_iteratorINSB_10device_ptrIjEEEENSD_INSE_IS6_EEEESI_S6_NSB_4plusIvEENSB_8equal_toIvEES6_EE10hipError_tPvRmT2_T3_T4_T5_mT6_T7_P12ihipStream_tbENKUlT_T0_E_clISt17integral_constantIbLb0EES13_EEDaSY_SZ_EUlSY_E_NS1_11comp_targetILNS1_3genE10ELNS1_11target_archE1200ELNS1_3gpuE4ELNS1_3repE0EEENS1_30default_config_static_selectorELNS0_4arch9wavefront6targetE0EEEvT1_, .Lfunc_end1875-_ZN7rocprim17ROCPRIM_400000_NS6detail17trampoline_kernelINS0_14default_configENS1_27scan_by_key_config_selectorIj11FixedVectorIiLj1EEEEZZNS1_16scan_by_key_implILNS1_25lookback_scan_determinismE0ELb0ES3_N6thrust23THRUST_200600_302600_NS6detail15normal_iteratorINSB_10device_ptrIjEEEENSD_INSE_IS6_EEEESI_S6_NSB_4plusIvEENSB_8equal_toIvEES6_EE10hipError_tPvRmT2_T3_T4_T5_mT6_T7_P12ihipStream_tbENKUlT_T0_E_clISt17integral_constantIbLb0EES13_EEDaSY_SZ_EUlSY_E_NS1_11comp_targetILNS1_3genE10ELNS1_11target_archE1200ELNS1_3gpuE4ELNS1_3repE0EEENS1_30default_config_static_selectorELNS0_4arch9wavefront6targetE0EEEvT1_
                                        ; -- End function
	.set _ZN7rocprim17ROCPRIM_400000_NS6detail17trampoline_kernelINS0_14default_configENS1_27scan_by_key_config_selectorIj11FixedVectorIiLj1EEEEZZNS1_16scan_by_key_implILNS1_25lookback_scan_determinismE0ELb0ES3_N6thrust23THRUST_200600_302600_NS6detail15normal_iteratorINSB_10device_ptrIjEEEENSD_INSE_IS6_EEEESI_S6_NSB_4plusIvEENSB_8equal_toIvEES6_EE10hipError_tPvRmT2_T3_T4_T5_mT6_T7_P12ihipStream_tbENKUlT_T0_E_clISt17integral_constantIbLb0EES13_EEDaSY_SZ_EUlSY_E_NS1_11comp_targetILNS1_3genE10ELNS1_11target_archE1200ELNS1_3gpuE4ELNS1_3repE0EEENS1_30default_config_static_selectorELNS0_4arch9wavefront6targetE0EEEvT1_.num_vgpr, 0
	.set _ZN7rocprim17ROCPRIM_400000_NS6detail17trampoline_kernelINS0_14default_configENS1_27scan_by_key_config_selectorIj11FixedVectorIiLj1EEEEZZNS1_16scan_by_key_implILNS1_25lookback_scan_determinismE0ELb0ES3_N6thrust23THRUST_200600_302600_NS6detail15normal_iteratorINSB_10device_ptrIjEEEENSD_INSE_IS6_EEEESI_S6_NSB_4plusIvEENSB_8equal_toIvEES6_EE10hipError_tPvRmT2_T3_T4_T5_mT6_T7_P12ihipStream_tbENKUlT_T0_E_clISt17integral_constantIbLb0EES13_EEDaSY_SZ_EUlSY_E_NS1_11comp_targetILNS1_3genE10ELNS1_11target_archE1200ELNS1_3gpuE4ELNS1_3repE0EEENS1_30default_config_static_selectorELNS0_4arch9wavefront6targetE0EEEvT1_.num_agpr, 0
	.set _ZN7rocprim17ROCPRIM_400000_NS6detail17trampoline_kernelINS0_14default_configENS1_27scan_by_key_config_selectorIj11FixedVectorIiLj1EEEEZZNS1_16scan_by_key_implILNS1_25lookback_scan_determinismE0ELb0ES3_N6thrust23THRUST_200600_302600_NS6detail15normal_iteratorINSB_10device_ptrIjEEEENSD_INSE_IS6_EEEESI_S6_NSB_4plusIvEENSB_8equal_toIvEES6_EE10hipError_tPvRmT2_T3_T4_T5_mT6_T7_P12ihipStream_tbENKUlT_T0_E_clISt17integral_constantIbLb0EES13_EEDaSY_SZ_EUlSY_E_NS1_11comp_targetILNS1_3genE10ELNS1_11target_archE1200ELNS1_3gpuE4ELNS1_3repE0EEENS1_30default_config_static_selectorELNS0_4arch9wavefront6targetE0EEEvT1_.numbered_sgpr, 0
	.set _ZN7rocprim17ROCPRIM_400000_NS6detail17trampoline_kernelINS0_14default_configENS1_27scan_by_key_config_selectorIj11FixedVectorIiLj1EEEEZZNS1_16scan_by_key_implILNS1_25lookback_scan_determinismE0ELb0ES3_N6thrust23THRUST_200600_302600_NS6detail15normal_iteratorINSB_10device_ptrIjEEEENSD_INSE_IS6_EEEESI_S6_NSB_4plusIvEENSB_8equal_toIvEES6_EE10hipError_tPvRmT2_T3_T4_T5_mT6_T7_P12ihipStream_tbENKUlT_T0_E_clISt17integral_constantIbLb0EES13_EEDaSY_SZ_EUlSY_E_NS1_11comp_targetILNS1_3genE10ELNS1_11target_archE1200ELNS1_3gpuE4ELNS1_3repE0EEENS1_30default_config_static_selectorELNS0_4arch9wavefront6targetE0EEEvT1_.num_named_barrier, 0
	.set _ZN7rocprim17ROCPRIM_400000_NS6detail17trampoline_kernelINS0_14default_configENS1_27scan_by_key_config_selectorIj11FixedVectorIiLj1EEEEZZNS1_16scan_by_key_implILNS1_25lookback_scan_determinismE0ELb0ES3_N6thrust23THRUST_200600_302600_NS6detail15normal_iteratorINSB_10device_ptrIjEEEENSD_INSE_IS6_EEEESI_S6_NSB_4plusIvEENSB_8equal_toIvEES6_EE10hipError_tPvRmT2_T3_T4_T5_mT6_T7_P12ihipStream_tbENKUlT_T0_E_clISt17integral_constantIbLb0EES13_EEDaSY_SZ_EUlSY_E_NS1_11comp_targetILNS1_3genE10ELNS1_11target_archE1200ELNS1_3gpuE4ELNS1_3repE0EEENS1_30default_config_static_selectorELNS0_4arch9wavefront6targetE0EEEvT1_.private_seg_size, 0
	.set _ZN7rocprim17ROCPRIM_400000_NS6detail17trampoline_kernelINS0_14default_configENS1_27scan_by_key_config_selectorIj11FixedVectorIiLj1EEEEZZNS1_16scan_by_key_implILNS1_25lookback_scan_determinismE0ELb0ES3_N6thrust23THRUST_200600_302600_NS6detail15normal_iteratorINSB_10device_ptrIjEEEENSD_INSE_IS6_EEEESI_S6_NSB_4plusIvEENSB_8equal_toIvEES6_EE10hipError_tPvRmT2_T3_T4_T5_mT6_T7_P12ihipStream_tbENKUlT_T0_E_clISt17integral_constantIbLb0EES13_EEDaSY_SZ_EUlSY_E_NS1_11comp_targetILNS1_3genE10ELNS1_11target_archE1200ELNS1_3gpuE4ELNS1_3repE0EEENS1_30default_config_static_selectorELNS0_4arch9wavefront6targetE0EEEvT1_.uses_vcc, 0
	.set _ZN7rocprim17ROCPRIM_400000_NS6detail17trampoline_kernelINS0_14default_configENS1_27scan_by_key_config_selectorIj11FixedVectorIiLj1EEEEZZNS1_16scan_by_key_implILNS1_25lookback_scan_determinismE0ELb0ES3_N6thrust23THRUST_200600_302600_NS6detail15normal_iteratorINSB_10device_ptrIjEEEENSD_INSE_IS6_EEEESI_S6_NSB_4plusIvEENSB_8equal_toIvEES6_EE10hipError_tPvRmT2_T3_T4_T5_mT6_T7_P12ihipStream_tbENKUlT_T0_E_clISt17integral_constantIbLb0EES13_EEDaSY_SZ_EUlSY_E_NS1_11comp_targetILNS1_3genE10ELNS1_11target_archE1200ELNS1_3gpuE4ELNS1_3repE0EEENS1_30default_config_static_selectorELNS0_4arch9wavefront6targetE0EEEvT1_.uses_flat_scratch, 0
	.set _ZN7rocprim17ROCPRIM_400000_NS6detail17trampoline_kernelINS0_14default_configENS1_27scan_by_key_config_selectorIj11FixedVectorIiLj1EEEEZZNS1_16scan_by_key_implILNS1_25lookback_scan_determinismE0ELb0ES3_N6thrust23THRUST_200600_302600_NS6detail15normal_iteratorINSB_10device_ptrIjEEEENSD_INSE_IS6_EEEESI_S6_NSB_4plusIvEENSB_8equal_toIvEES6_EE10hipError_tPvRmT2_T3_T4_T5_mT6_T7_P12ihipStream_tbENKUlT_T0_E_clISt17integral_constantIbLb0EES13_EEDaSY_SZ_EUlSY_E_NS1_11comp_targetILNS1_3genE10ELNS1_11target_archE1200ELNS1_3gpuE4ELNS1_3repE0EEENS1_30default_config_static_selectorELNS0_4arch9wavefront6targetE0EEEvT1_.has_dyn_sized_stack, 0
	.set _ZN7rocprim17ROCPRIM_400000_NS6detail17trampoline_kernelINS0_14default_configENS1_27scan_by_key_config_selectorIj11FixedVectorIiLj1EEEEZZNS1_16scan_by_key_implILNS1_25lookback_scan_determinismE0ELb0ES3_N6thrust23THRUST_200600_302600_NS6detail15normal_iteratorINSB_10device_ptrIjEEEENSD_INSE_IS6_EEEESI_S6_NSB_4plusIvEENSB_8equal_toIvEES6_EE10hipError_tPvRmT2_T3_T4_T5_mT6_T7_P12ihipStream_tbENKUlT_T0_E_clISt17integral_constantIbLb0EES13_EEDaSY_SZ_EUlSY_E_NS1_11comp_targetILNS1_3genE10ELNS1_11target_archE1200ELNS1_3gpuE4ELNS1_3repE0EEENS1_30default_config_static_selectorELNS0_4arch9wavefront6targetE0EEEvT1_.has_recursion, 0
	.set _ZN7rocprim17ROCPRIM_400000_NS6detail17trampoline_kernelINS0_14default_configENS1_27scan_by_key_config_selectorIj11FixedVectorIiLj1EEEEZZNS1_16scan_by_key_implILNS1_25lookback_scan_determinismE0ELb0ES3_N6thrust23THRUST_200600_302600_NS6detail15normal_iteratorINSB_10device_ptrIjEEEENSD_INSE_IS6_EEEESI_S6_NSB_4plusIvEENSB_8equal_toIvEES6_EE10hipError_tPvRmT2_T3_T4_T5_mT6_T7_P12ihipStream_tbENKUlT_T0_E_clISt17integral_constantIbLb0EES13_EEDaSY_SZ_EUlSY_E_NS1_11comp_targetILNS1_3genE10ELNS1_11target_archE1200ELNS1_3gpuE4ELNS1_3repE0EEENS1_30default_config_static_selectorELNS0_4arch9wavefront6targetE0EEEvT1_.has_indirect_call, 0
	.section	.AMDGPU.csdata,"",@progbits
; Kernel info:
; codeLenInByte = 0
; TotalNumSgprs: 0
; NumVgprs: 0
; ScratchSize: 0
; MemoryBound: 0
; FloatMode: 240
; IeeeMode: 1
; LDSByteSize: 0 bytes/workgroup (compile time only)
; SGPRBlocks: 0
; VGPRBlocks: 0
; NumSGPRsForWavesPerEU: 1
; NumVGPRsForWavesPerEU: 1
; NamedBarCnt: 0
; Occupancy: 16
; WaveLimiterHint : 0
; COMPUTE_PGM_RSRC2:SCRATCH_EN: 0
; COMPUTE_PGM_RSRC2:USER_SGPR: 2
; COMPUTE_PGM_RSRC2:TRAP_HANDLER: 0
; COMPUTE_PGM_RSRC2:TGID_X_EN: 1
; COMPUTE_PGM_RSRC2:TGID_Y_EN: 0
; COMPUTE_PGM_RSRC2:TGID_Z_EN: 0
; COMPUTE_PGM_RSRC2:TIDIG_COMP_CNT: 0
	.section	.text._ZN7rocprim17ROCPRIM_400000_NS6detail17trampoline_kernelINS0_14default_configENS1_27scan_by_key_config_selectorIj11FixedVectorIiLj1EEEEZZNS1_16scan_by_key_implILNS1_25lookback_scan_determinismE0ELb0ES3_N6thrust23THRUST_200600_302600_NS6detail15normal_iteratorINSB_10device_ptrIjEEEENSD_INSE_IS6_EEEESI_S6_NSB_4plusIvEENSB_8equal_toIvEES6_EE10hipError_tPvRmT2_T3_T4_T5_mT6_T7_P12ihipStream_tbENKUlT_T0_E_clISt17integral_constantIbLb0EES13_EEDaSY_SZ_EUlSY_E_NS1_11comp_targetILNS1_3genE9ELNS1_11target_archE1100ELNS1_3gpuE3ELNS1_3repE0EEENS1_30default_config_static_selectorELNS0_4arch9wavefront6targetE0EEEvT1_,"axG",@progbits,_ZN7rocprim17ROCPRIM_400000_NS6detail17trampoline_kernelINS0_14default_configENS1_27scan_by_key_config_selectorIj11FixedVectorIiLj1EEEEZZNS1_16scan_by_key_implILNS1_25lookback_scan_determinismE0ELb0ES3_N6thrust23THRUST_200600_302600_NS6detail15normal_iteratorINSB_10device_ptrIjEEEENSD_INSE_IS6_EEEESI_S6_NSB_4plusIvEENSB_8equal_toIvEES6_EE10hipError_tPvRmT2_T3_T4_T5_mT6_T7_P12ihipStream_tbENKUlT_T0_E_clISt17integral_constantIbLb0EES13_EEDaSY_SZ_EUlSY_E_NS1_11comp_targetILNS1_3genE9ELNS1_11target_archE1100ELNS1_3gpuE3ELNS1_3repE0EEENS1_30default_config_static_selectorELNS0_4arch9wavefront6targetE0EEEvT1_,comdat
	.protected	_ZN7rocprim17ROCPRIM_400000_NS6detail17trampoline_kernelINS0_14default_configENS1_27scan_by_key_config_selectorIj11FixedVectorIiLj1EEEEZZNS1_16scan_by_key_implILNS1_25lookback_scan_determinismE0ELb0ES3_N6thrust23THRUST_200600_302600_NS6detail15normal_iteratorINSB_10device_ptrIjEEEENSD_INSE_IS6_EEEESI_S6_NSB_4plusIvEENSB_8equal_toIvEES6_EE10hipError_tPvRmT2_T3_T4_T5_mT6_T7_P12ihipStream_tbENKUlT_T0_E_clISt17integral_constantIbLb0EES13_EEDaSY_SZ_EUlSY_E_NS1_11comp_targetILNS1_3genE9ELNS1_11target_archE1100ELNS1_3gpuE3ELNS1_3repE0EEENS1_30default_config_static_selectorELNS0_4arch9wavefront6targetE0EEEvT1_ ; -- Begin function _ZN7rocprim17ROCPRIM_400000_NS6detail17trampoline_kernelINS0_14default_configENS1_27scan_by_key_config_selectorIj11FixedVectorIiLj1EEEEZZNS1_16scan_by_key_implILNS1_25lookback_scan_determinismE0ELb0ES3_N6thrust23THRUST_200600_302600_NS6detail15normal_iteratorINSB_10device_ptrIjEEEENSD_INSE_IS6_EEEESI_S6_NSB_4plusIvEENSB_8equal_toIvEES6_EE10hipError_tPvRmT2_T3_T4_T5_mT6_T7_P12ihipStream_tbENKUlT_T0_E_clISt17integral_constantIbLb0EES13_EEDaSY_SZ_EUlSY_E_NS1_11comp_targetILNS1_3genE9ELNS1_11target_archE1100ELNS1_3gpuE3ELNS1_3repE0EEENS1_30default_config_static_selectorELNS0_4arch9wavefront6targetE0EEEvT1_
	.globl	_ZN7rocprim17ROCPRIM_400000_NS6detail17trampoline_kernelINS0_14default_configENS1_27scan_by_key_config_selectorIj11FixedVectorIiLj1EEEEZZNS1_16scan_by_key_implILNS1_25lookback_scan_determinismE0ELb0ES3_N6thrust23THRUST_200600_302600_NS6detail15normal_iteratorINSB_10device_ptrIjEEEENSD_INSE_IS6_EEEESI_S6_NSB_4plusIvEENSB_8equal_toIvEES6_EE10hipError_tPvRmT2_T3_T4_T5_mT6_T7_P12ihipStream_tbENKUlT_T0_E_clISt17integral_constantIbLb0EES13_EEDaSY_SZ_EUlSY_E_NS1_11comp_targetILNS1_3genE9ELNS1_11target_archE1100ELNS1_3gpuE3ELNS1_3repE0EEENS1_30default_config_static_selectorELNS0_4arch9wavefront6targetE0EEEvT1_
	.p2align	8
	.type	_ZN7rocprim17ROCPRIM_400000_NS6detail17trampoline_kernelINS0_14default_configENS1_27scan_by_key_config_selectorIj11FixedVectorIiLj1EEEEZZNS1_16scan_by_key_implILNS1_25lookback_scan_determinismE0ELb0ES3_N6thrust23THRUST_200600_302600_NS6detail15normal_iteratorINSB_10device_ptrIjEEEENSD_INSE_IS6_EEEESI_S6_NSB_4plusIvEENSB_8equal_toIvEES6_EE10hipError_tPvRmT2_T3_T4_T5_mT6_T7_P12ihipStream_tbENKUlT_T0_E_clISt17integral_constantIbLb0EES13_EEDaSY_SZ_EUlSY_E_NS1_11comp_targetILNS1_3genE9ELNS1_11target_archE1100ELNS1_3gpuE3ELNS1_3repE0EEENS1_30default_config_static_selectorELNS0_4arch9wavefront6targetE0EEEvT1_,@function
_ZN7rocprim17ROCPRIM_400000_NS6detail17trampoline_kernelINS0_14default_configENS1_27scan_by_key_config_selectorIj11FixedVectorIiLj1EEEEZZNS1_16scan_by_key_implILNS1_25lookback_scan_determinismE0ELb0ES3_N6thrust23THRUST_200600_302600_NS6detail15normal_iteratorINSB_10device_ptrIjEEEENSD_INSE_IS6_EEEESI_S6_NSB_4plusIvEENSB_8equal_toIvEES6_EE10hipError_tPvRmT2_T3_T4_T5_mT6_T7_P12ihipStream_tbENKUlT_T0_E_clISt17integral_constantIbLb0EES13_EEDaSY_SZ_EUlSY_E_NS1_11comp_targetILNS1_3genE9ELNS1_11target_archE1100ELNS1_3gpuE3ELNS1_3repE0EEENS1_30default_config_static_selectorELNS0_4arch9wavefront6targetE0EEEvT1_: ; @_ZN7rocprim17ROCPRIM_400000_NS6detail17trampoline_kernelINS0_14default_configENS1_27scan_by_key_config_selectorIj11FixedVectorIiLj1EEEEZZNS1_16scan_by_key_implILNS1_25lookback_scan_determinismE0ELb0ES3_N6thrust23THRUST_200600_302600_NS6detail15normal_iteratorINSB_10device_ptrIjEEEENSD_INSE_IS6_EEEESI_S6_NSB_4plusIvEENSB_8equal_toIvEES6_EE10hipError_tPvRmT2_T3_T4_T5_mT6_T7_P12ihipStream_tbENKUlT_T0_E_clISt17integral_constantIbLb0EES13_EEDaSY_SZ_EUlSY_E_NS1_11comp_targetILNS1_3genE9ELNS1_11target_archE1100ELNS1_3gpuE3ELNS1_3repE0EEENS1_30default_config_static_selectorELNS0_4arch9wavefront6targetE0EEEvT1_
; %bb.0:
	.section	.rodata,"a",@progbits
	.p2align	6, 0x0
	.amdhsa_kernel _ZN7rocprim17ROCPRIM_400000_NS6detail17trampoline_kernelINS0_14default_configENS1_27scan_by_key_config_selectorIj11FixedVectorIiLj1EEEEZZNS1_16scan_by_key_implILNS1_25lookback_scan_determinismE0ELb0ES3_N6thrust23THRUST_200600_302600_NS6detail15normal_iteratorINSB_10device_ptrIjEEEENSD_INSE_IS6_EEEESI_S6_NSB_4plusIvEENSB_8equal_toIvEES6_EE10hipError_tPvRmT2_T3_T4_T5_mT6_T7_P12ihipStream_tbENKUlT_T0_E_clISt17integral_constantIbLb0EES13_EEDaSY_SZ_EUlSY_E_NS1_11comp_targetILNS1_3genE9ELNS1_11target_archE1100ELNS1_3gpuE3ELNS1_3repE0EEENS1_30default_config_static_selectorELNS0_4arch9wavefront6targetE0EEEvT1_
		.amdhsa_group_segment_fixed_size 0
		.amdhsa_private_segment_fixed_size 0
		.amdhsa_kernarg_size 112
		.amdhsa_user_sgpr_count 2
		.amdhsa_user_sgpr_dispatch_ptr 0
		.amdhsa_user_sgpr_queue_ptr 0
		.amdhsa_user_sgpr_kernarg_segment_ptr 1
		.amdhsa_user_sgpr_dispatch_id 0
		.amdhsa_user_sgpr_kernarg_preload_length 0
		.amdhsa_user_sgpr_kernarg_preload_offset 0
		.amdhsa_user_sgpr_private_segment_size 0
		.amdhsa_wavefront_size32 1
		.amdhsa_uses_dynamic_stack 0
		.amdhsa_enable_private_segment 0
		.amdhsa_system_sgpr_workgroup_id_x 1
		.amdhsa_system_sgpr_workgroup_id_y 0
		.amdhsa_system_sgpr_workgroup_id_z 0
		.amdhsa_system_sgpr_workgroup_info 0
		.amdhsa_system_vgpr_workitem_id 0
		.amdhsa_next_free_vgpr 1
		.amdhsa_next_free_sgpr 1
		.amdhsa_named_barrier_count 0
		.amdhsa_reserve_vcc 0
		.amdhsa_float_round_mode_32 0
		.amdhsa_float_round_mode_16_64 0
		.amdhsa_float_denorm_mode_32 3
		.amdhsa_float_denorm_mode_16_64 3
		.amdhsa_fp16_overflow 0
		.amdhsa_memory_ordered 1
		.amdhsa_forward_progress 1
		.amdhsa_inst_pref_size 0
		.amdhsa_round_robin_scheduling 0
		.amdhsa_exception_fp_ieee_invalid_op 0
		.amdhsa_exception_fp_denorm_src 0
		.amdhsa_exception_fp_ieee_div_zero 0
		.amdhsa_exception_fp_ieee_overflow 0
		.amdhsa_exception_fp_ieee_underflow 0
		.amdhsa_exception_fp_ieee_inexact 0
		.amdhsa_exception_int_div_zero 0
	.end_amdhsa_kernel
	.section	.text._ZN7rocprim17ROCPRIM_400000_NS6detail17trampoline_kernelINS0_14default_configENS1_27scan_by_key_config_selectorIj11FixedVectorIiLj1EEEEZZNS1_16scan_by_key_implILNS1_25lookback_scan_determinismE0ELb0ES3_N6thrust23THRUST_200600_302600_NS6detail15normal_iteratorINSB_10device_ptrIjEEEENSD_INSE_IS6_EEEESI_S6_NSB_4plusIvEENSB_8equal_toIvEES6_EE10hipError_tPvRmT2_T3_T4_T5_mT6_T7_P12ihipStream_tbENKUlT_T0_E_clISt17integral_constantIbLb0EES13_EEDaSY_SZ_EUlSY_E_NS1_11comp_targetILNS1_3genE9ELNS1_11target_archE1100ELNS1_3gpuE3ELNS1_3repE0EEENS1_30default_config_static_selectorELNS0_4arch9wavefront6targetE0EEEvT1_,"axG",@progbits,_ZN7rocprim17ROCPRIM_400000_NS6detail17trampoline_kernelINS0_14default_configENS1_27scan_by_key_config_selectorIj11FixedVectorIiLj1EEEEZZNS1_16scan_by_key_implILNS1_25lookback_scan_determinismE0ELb0ES3_N6thrust23THRUST_200600_302600_NS6detail15normal_iteratorINSB_10device_ptrIjEEEENSD_INSE_IS6_EEEESI_S6_NSB_4plusIvEENSB_8equal_toIvEES6_EE10hipError_tPvRmT2_T3_T4_T5_mT6_T7_P12ihipStream_tbENKUlT_T0_E_clISt17integral_constantIbLb0EES13_EEDaSY_SZ_EUlSY_E_NS1_11comp_targetILNS1_3genE9ELNS1_11target_archE1100ELNS1_3gpuE3ELNS1_3repE0EEENS1_30default_config_static_selectorELNS0_4arch9wavefront6targetE0EEEvT1_,comdat
.Lfunc_end1876:
	.size	_ZN7rocprim17ROCPRIM_400000_NS6detail17trampoline_kernelINS0_14default_configENS1_27scan_by_key_config_selectorIj11FixedVectorIiLj1EEEEZZNS1_16scan_by_key_implILNS1_25lookback_scan_determinismE0ELb0ES3_N6thrust23THRUST_200600_302600_NS6detail15normal_iteratorINSB_10device_ptrIjEEEENSD_INSE_IS6_EEEESI_S6_NSB_4plusIvEENSB_8equal_toIvEES6_EE10hipError_tPvRmT2_T3_T4_T5_mT6_T7_P12ihipStream_tbENKUlT_T0_E_clISt17integral_constantIbLb0EES13_EEDaSY_SZ_EUlSY_E_NS1_11comp_targetILNS1_3genE9ELNS1_11target_archE1100ELNS1_3gpuE3ELNS1_3repE0EEENS1_30default_config_static_selectorELNS0_4arch9wavefront6targetE0EEEvT1_, .Lfunc_end1876-_ZN7rocprim17ROCPRIM_400000_NS6detail17trampoline_kernelINS0_14default_configENS1_27scan_by_key_config_selectorIj11FixedVectorIiLj1EEEEZZNS1_16scan_by_key_implILNS1_25lookback_scan_determinismE0ELb0ES3_N6thrust23THRUST_200600_302600_NS6detail15normal_iteratorINSB_10device_ptrIjEEEENSD_INSE_IS6_EEEESI_S6_NSB_4plusIvEENSB_8equal_toIvEES6_EE10hipError_tPvRmT2_T3_T4_T5_mT6_T7_P12ihipStream_tbENKUlT_T0_E_clISt17integral_constantIbLb0EES13_EEDaSY_SZ_EUlSY_E_NS1_11comp_targetILNS1_3genE9ELNS1_11target_archE1100ELNS1_3gpuE3ELNS1_3repE0EEENS1_30default_config_static_selectorELNS0_4arch9wavefront6targetE0EEEvT1_
                                        ; -- End function
	.set _ZN7rocprim17ROCPRIM_400000_NS6detail17trampoline_kernelINS0_14default_configENS1_27scan_by_key_config_selectorIj11FixedVectorIiLj1EEEEZZNS1_16scan_by_key_implILNS1_25lookback_scan_determinismE0ELb0ES3_N6thrust23THRUST_200600_302600_NS6detail15normal_iteratorINSB_10device_ptrIjEEEENSD_INSE_IS6_EEEESI_S6_NSB_4plusIvEENSB_8equal_toIvEES6_EE10hipError_tPvRmT2_T3_T4_T5_mT6_T7_P12ihipStream_tbENKUlT_T0_E_clISt17integral_constantIbLb0EES13_EEDaSY_SZ_EUlSY_E_NS1_11comp_targetILNS1_3genE9ELNS1_11target_archE1100ELNS1_3gpuE3ELNS1_3repE0EEENS1_30default_config_static_selectorELNS0_4arch9wavefront6targetE0EEEvT1_.num_vgpr, 0
	.set _ZN7rocprim17ROCPRIM_400000_NS6detail17trampoline_kernelINS0_14default_configENS1_27scan_by_key_config_selectorIj11FixedVectorIiLj1EEEEZZNS1_16scan_by_key_implILNS1_25lookback_scan_determinismE0ELb0ES3_N6thrust23THRUST_200600_302600_NS6detail15normal_iteratorINSB_10device_ptrIjEEEENSD_INSE_IS6_EEEESI_S6_NSB_4plusIvEENSB_8equal_toIvEES6_EE10hipError_tPvRmT2_T3_T4_T5_mT6_T7_P12ihipStream_tbENKUlT_T0_E_clISt17integral_constantIbLb0EES13_EEDaSY_SZ_EUlSY_E_NS1_11comp_targetILNS1_3genE9ELNS1_11target_archE1100ELNS1_3gpuE3ELNS1_3repE0EEENS1_30default_config_static_selectorELNS0_4arch9wavefront6targetE0EEEvT1_.num_agpr, 0
	.set _ZN7rocprim17ROCPRIM_400000_NS6detail17trampoline_kernelINS0_14default_configENS1_27scan_by_key_config_selectorIj11FixedVectorIiLj1EEEEZZNS1_16scan_by_key_implILNS1_25lookback_scan_determinismE0ELb0ES3_N6thrust23THRUST_200600_302600_NS6detail15normal_iteratorINSB_10device_ptrIjEEEENSD_INSE_IS6_EEEESI_S6_NSB_4plusIvEENSB_8equal_toIvEES6_EE10hipError_tPvRmT2_T3_T4_T5_mT6_T7_P12ihipStream_tbENKUlT_T0_E_clISt17integral_constantIbLb0EES13_EEDaSY_SZ_EUlSY_E_NS1_11comp_targetILNS1_3genE9ELNS1_11target_archE1100ELNS1_3gpuE3ELNS1_3repE0EEENS1_30default_config_static_selectorELNS0_4arch9wavefront6targetE0EEEvT1_.numbered_sgpr, 0
	.set _ZN7rocprim17ROCPRIM_400000_NS6detail17trampoline_kernelINS0_14default_configENS1_27scan_by_key_config_selectorIj11FixedVectorIiLj1EEEEZZNS1_16scan_by_key_implILNS1_25lookback_scan_determinismE0ELb0ES3_N6thrust23THRUST_200600_302600_NS6detail15normal_iteratorINSB_10device_ptrIjEEEENSD_INSE_IS6_EEEESI_S6_NSB_4plusIvEENSB_8equal_toIvEES6_EE10hipError_tPvRmT2_T3_T4_T5_mT6_T7_P12ihipStream_tbENKUlT_T0_E_clISt17integral_constantIbLb0EES13_EEDaSY_SZ_EUlSY_E_NS1_11comp_targetILNS1_3genE9ELNS1_11target_archE1100ELNS1_3gpuE3ELNS1_3repE0EEENS1_30default_config_static_selectorELNS0_4arch9wavefront6targetE0EEEvT1_.num_named_barrier, 0
	.set _ZN7rocprim17ROCPRIM_400000_NS6detail17trampoline_kernelINS0_14default_configENS1_27scan_by_key_config_selectorIj11FixedVectorIiLj1EEEEZZNS1_16scan_by_key_implILNS1_25lookback_scan_determinismE0ELb0ES3_N6thrust23THRUST_200600_302600_NS6detail15normal_iteratorINSB_10device_ptrIjEEEENSD_INSE_IS6_EEEESI_S6_NSB_4plusIvEENSB_8equal_toIvEES6_EE10hipError_tPvRmT2_T3_T4_T5_mT6_T7_P12ihipStream_tbENKUlT_T0_E_clISt17integral_constantIbLb0EES13_EEDaSY_SZ_EUlSY_E_NS1_11comp_targetILNS1_3genE9ELNS1_11target_archE1100ELNS1_3gpuE3ELNS1_3repE0EEENS1_30default_config_static_selectorELNS0_4arch9wavefront6targetE0EEEvT1_.private_seg_size, 0
	.set _ZN7rocprim17ROCPRIM_400000_NS6detail17trampoline_kernelINS0_14default_configENS1_27scan_by_key_config_selectorIj11FixedVectorIiLj1EEEEZZNS1_16scan_by_key_implILNS1_25lookback_scan_determinismE0ELb0ES3_N6thrust23THRUST_200600_302600_NS6detail15normal_iteratorINSB_10device_ptrIjEEEENSD_INSE_IS6_EEEESI_S6_NSB_4plusIvEENSB_8equal_toIvEES6_EE10hipError_tPvRmT2_T3_T4_T5_mT6_T7_P12ihipStream_tbENKUlT_T0_E_clISt17integral_constantIbLb0EES13_EEDaSY_SZ_EUlSY_E_NS1_11comp_targetILNS1_3genE9ELNS1_11target_archE1100ELNS1_3gpuE3ELNS1_3repE0EEENS1_30default_config_static_selectorELNS0_4arch9wavefront6targetE0EEEvT1_.uses_vcc, 0
	.set _ZN7rocprim17ROCPRIM_400000_NS6detail17trampoline_kernelINS0_14default_configENS1_27scan_by_key_config_selectorIj11FixedVectorIiLj1EEEEZZNS1_16scan_by_key_implILNS1_25lookback_scan_determinismE0ELb0ES3_N6thrust23THRUST_200600_302600_NS6detail15normal_iteratorINSB_10device_ptrIjEEEENSD_INSE_IS6_EEEESI_S6_NSB_4plusIvEENSB_8equal_toIvEES6_EE10hipError_tPvRmT2_T3_T4_T5_mT6_T7_P12ihipStream_tbENKUlT_T0_E_clISt17integral_constantIbLb0EES13_EEDaSY_SZ_EUlSY_E_NS1_11comp_targetILNS1_3genE9ELNS1_11target_archE1100ELNS1_3gpuE3ELNS1_3repE0EEENS1_30default_config_static_selectorELNS0_4arch9wavefront6targetE0EEEvT1_.uses_flat_scratch, 0
	.set _ZN7rocprim17ROCPRIM_400000_NS6detail17trampoline_kernelINS0_14default_configENS1_27scan_by_key_config_selectorIj11FixedVectorIiLj1EEEEZZNS1_16scan_by_key_implILNS1_25lookback_scan_determinismE0ELb0ES3_N6thrust23THRUST_200600_302600_NS6detail15normal_iteratorINSB_10device_ptrIjEEEENSD_INSE_IS6_EEEESI_S6_NSB_4plusIvEENSB_8equal_toIvEES6_EE10hipError_tPvRmT2_T3_T4_T5_mT6_T7_P12ihipStream_tbENKUlT_T0_E_clISt17integral_constantIbLb0EES13_EEDaSY_SZ_EUlSY_E_NS1_11comp_targetILNS1_3genE9ELNS1_11target_archE1100ELNS1_3gpuE3ELNS1_3repE0EEENS1_30default_config_static_selectorELNS0_4arch9wavefront6targetE0EEEvT1_.has_dyn_sized_stack, 0
	.set _ZN7rocprim17ROCPRIM_400000_NS6detail17trampoline_kernelINS0_14default_configENS1_27scan_by_key_config_selectorIj11FixedVectorIiLj1EEEEZZNS1_16scan_by_key_implILNS1_25lookback_scan_determinismE0ELb0ES3_N6thrust23THRUST_200600_302600_NS6detail15normal_iteratorINSB_10device_ptrIjEEEENSD_INSE_IS6_EEEESI_S6_NSB_4plusIvEENSB_8equal_toIvEES6_EE10hipError_tPvRmT2_T3_T4_T5_mT6_T7_P12ihipStream_tbENKUlT_T0_E_clISt17integral_constantIbLb0EES13_EEDaSY_SZ_EUlSY_E_NS1_11comp_targetILNS1_3genE9ELNS1_11target_archE1100ELNS1_3gpuE3ELNS1_3repE0EEENS1_30default_config_static_selectorELNS0_4arch9wavefront6targetE0EEEvT1_.has_recursion, 0
	.set _ZN7rocprim17ROCPRIM_400000_NS6detail17trampoline_kernelINS0_14default_configENS1_27scan_by_key_config_selectorIj11FixedVectorIiLj1EEEEZZNS1_16scan_by_key_implILNS1_25lookback_scan_determinismE0ELb0ES3_N6thrust23THRUST_200600_302600_NS6detail15normal_iteratorINSB_10device_ptrIjEEEENSD_INSE_IS6_EEEESI_S6_NSB_4plusIvEENSB_8equal_toIvEES6_EE10hipError_tPvRmT2_T3_T4_T5_mT6_T7_P12ihipStream_tbENKUlT_T0_E_clISt17integral_constantIbLb0EES13_EEDaSY_SZ_EUlSY_E_NS1_11comp_targetILNS1_3genE9ELNS1_11target_archE1100ELNS1_3gpuE3ELNS1_3repE0EEENS1_30default_config_static_selectorELNS0_4arch9wavefront6targetE0EEEvT1_.has_indirect_call, 0
	.section	.AMDGPU.csdata,"",@progbits
; Kernel info:
; codeLenInByte = 0
; TotalNumSgprs: 0
; NumVgprs: 0
; ScratchSize: 0
; MemoryBound: 0
; FloatMode: 240
; IeeeMode: 1
; LDSByteSize: 0 bytes/workgroup (compile time only)
; SGPRBlocks: 0
; VGPRBlocks: 0
; NumSGPRsForWavesPerEU: 1
; NumVGPRsForWavesPerEU: 1
; NamedBarCnt: 0
; Occupancy: 16
; WaveLimiterHint : 0
; COMPUTE_PGM_RSRC2:SCRATCH_EN: 0
; COMPUTE_PGM_RSRC2:USER_SGPR: 2
; COMPUTE_PGM_RSRC2:TRAP_HANDLER: 0
; COMPUTE_PGM_RSRC2:TGID_X_EN: 1
; COMPUTE_PGM_RSRC2:TGID_Y_EN: 0
; COMPUTE_PGM_RSRC2:TGID_Z_EN: 0
; COMPUTE_PGM_RSRC2:TIDIG_COMP_CNT: 0
	.section	.text._ZN7rocprim17ROCPRIM_400000_NS6detail17trampoline_kernelINS0_14default_configENS1_27scan_by_key_config_selectorIj11FixedVectorIiLj1EEEEZZNS1_16scan_by_key_implILNS1_25lookback_scan_determinismE0ELb0ES3_N6thrust23THRUST_200600_302600_NS6detail15normal_iteratorINSB_10device_ptrIjEEEENSD_INSE_IS6_EEEESI_S6_NSB_4plusIvEENSB_8equal_toIvEES6_EE10hipError_tPvRmT2_T3_T4_T5_mT6_T7_P12ihipStream_tbENKUlT_T0_E_clISt17integral_constantIbLb0EES13_EEDaSY_SZ_EUlSY_E_NS1_11comp_targetILNS1_3genE8ELNS1_11target_archE1030ELNS1_3gpuE2ELNS1_3repE0EEENS1_30default_config_static_selectorELNS0_4arch9wavefront6targetE0EEEvT1_,"axG",@progbits,_ZN7rocprim17ROCPRIM_400000_NS6detail17trampoline_kernelINS0_14default_configENS1_27scan_by_key_config_selectorIj11FixedVectorIiLj1EEEEZZNS1_16scan_by_key_implILNS1_25lookback_scan_determinismE0ELb0ES3_N6thrust23THRUST_200600_302600_NS6detail15normal_iteratorINSB_10device_ptrIjEEEENSD_INSE_IS6_EEEESI_S6_NSB_4plusIvEENSB_8equal_toIvEES6_EE10hipError_tPvRmT2_T3_T4_T5_mT6_T7_P12ihipStream_tbENKUlT_T0_E_clISt17integral_constantIbLb0EES13_EEDaSY_SZ_EUlSY_E_NS1_11comp_targetILNS1_3genE8ELNS1_11target_archE1030ELNS1_3gpuE2ELNS1_3repE0EEENS1_30default_config_static_selectorELNS0_4arch9wavefront6targetE0EEEvT1_,comdat
	.protected	_ZN7rocprim17ROCPRIM_400000_NS6detail17trampoline_kernelINS0_14default_configENS1_27scan_by_key_config_selectorIj11FixedVectorIiLj1EEEEZZNS1_16scan_by_key_implILNS1_25lookback_scan_determinismE0ELb0ES3_N6thrust23THRUST_200600_302600_NS6detail15normal_iteratorINSB_10device_ptrIjEEEENSD_INSE_IS6_EEEESI_S6_NSB_4plusIvEENSB_8equal_toIvEES6_EE10hipError_tPvRmT2_T3_T4_T5_mT6_T7_P12ihipStream_tbENKUlT_T0_E_clISt17integral_constantIbLb0EES13_EEDaSY_SZ_EUlSY_E_NS1_11comp_targetILNS1_3genE8ELNS1_11target_archE1030ELNS1_3gpuE2ELNS1_3repE0EEENS1_30default_config_static_selectorELNS0_4arch9wavefront6targetE0EEEvT1_ ; -- Begin function _ZN7rocprim17ROCPRIM_400000_NS6detail17trampoline_kernelINS0_14default_configENS1_27scan_by_key_config_selectorIj11FixedVectorIiLj1EEEEZZNS1_16scan_by_key_implILNS1_25lookback_scan_determinismE0ELb0ES3_N6thrust23THRUST_200600_302600_NS6detail15normal_iteratorINSB_10device_ptrIjEEEENSD_INSE_IS6_EEEESI_S6_NSB_4plusIvEENSB_8equal_toIvEES6_EE10hipError_tPvRmT2_T3_T4_T5_mT6_T7_P12ihipStream_tbENKUlT_T0_E_clISt17integral_constantIbLb0EES13_EEDaSY_SZ_EUlSY_E_NS1_11comp_targetILNS1_3genE8ELNS1_11target_archE1030ELNS1_3gpuE2ELNS1_3repE0EEENS1_30default_config_static_selectorELNS0_4arch9wavefront6targetE0EEEvT1_
	.globl	_ZN7rocprim17ROCPRIM_400000_NS6detail17trampoline_kernelINS0_14default_configENS1_27scan_by_key_config_selectorIj11FixedVectorIiLj1EEEEZZNS1_16scan_by_key_implILNS1_25lookback_scan_determinismE0ELb0ES3_N6thrust23THRUST_200600_302600_NS6detail15normal_iteratorINSB_10device_ptrIjEEEENSD_INSE_IS6_EEEESI_S6_NSB_4plusIvEENSB_8equal_toIvEES6_EE10hipError_tPvRmT2_T3_T4_T5_mT6_T7_P12ihipStream_tbENKUlT_T0_E_clISt17integral_constantIbLb0EES13_EEDaSY_SZ_EUlSY_E_NS1_11comp_targetILNS1_3genE8ELNS1_11target_archE1030ELNS1_3gpuE2ELNS1_3repE0EEENS1_30default_config_static_selectorELNS0_4arch9wavefront6targetE0EEEvT1_
	.p2align	8
	.type	_ZN7rocprim17ROCPRIM_400000_NS6detail17trampoline_kernelINS0_14default_configENS1_27scan_by_key_config_selectorIj11FixedVectorIiLj1EEEEZZNS1_16scan_by_key_implILNS1_25lookback_scan_determinismE0ELb0ES3_N6thrust23THRUST_200600_302600_NS6detail15normal_iteratorINSB_10device_ptrIjEEEENSD_INSE_IS6_EEEESI_S6_NSB_4plusIvEENSB_8equal_toIvEES6_EE10hipError_tPvRmT2_T3_T4_T5_mT6_T7_P12ihipStream_tbENKUlT_T0_E_clISt17integral_constantIbLb0EES13_EEDaSY_SZ_EUlSY_E_NS1_11comp_targetILNS1_3genE8ELNS1_11target_archE1030ELNS1_3gpuE2ELNS1_3repE0EEENS1_30default_config_static_selectorELNS0_4arch9wavefront6targetE0EEEvT1_,@function
_ZN7rocprim17ROCPRIM_400000_NS6detail17trampoline_kernelINS0_14default_configENS1_27scan_by_key_config_selectorIj11FixedVectorIiLj1EEEEZZNS1_16scan_by_key_implILNS1_25lookback_scan_determinismE0ELb0ES3_N6thrust23THRUST_200600_302600_NS6detail15normal_iteratorINSB_10device_ptrIjEEEENSD_INSE_IS6_EEEESI_S6_NSB_4plusIvEENSB_8equal_toIvEES6_EE10hipError_tPvRmT2_T3_T4_T5_mT6_T7_P12ihipStream_tbENKUlT_T0_E_clISt17integral_constantIbLb0EES13_EEDaSY_SZ_EUlSY_E_NS1_11comp_targetILNS1_3genE8ELNS1_11target_archE1030ELNS1_3gpuE2ELNS1_3repE0EEENS1_30default_config_static_selectorELNS0_4arch9wavefront6targetE0EEEvT1_: ; @_ZN7rocprim17ROCPRIM_400000_NS6detail17trampoline_kernelINS0_14default_configENS1_27scan_by_key_config_selectorIj11FixedVectorIiLj1EEEEZZNS1_16scan_by_key_implILNS1_25lookback_scan_determinismE0ELb0ES3_N6thrust23THRUST_200600_302600_NS6detail15normal_iteratorINSB_10device_ptrIjEEEENSD_INSE_IS6_EEEESI_S6_NSB_4plusIvEENSB_8equal_toIvEES6_EE10hipError_tPvRmT2_T3_T4_T5_mT6_T7_P12ihipStream_tbENKUlT_T0_E_clISt17integral_constantIbLb0EES13_EEDaSY_SZ_EUlSY_E_NS1_11comp_targetILNS1_3genE8ELNS1_11target_archE1030ELNS1_3gpuE2ELNS1_3repE0EEENS1_30default_config_static_selectorELNS0_4arch9wavefront6targetE0EEEvT1_
; %bb.0:
	.section	.rodata,"a",@progbits
	.p2align	6, 0x0
	.amdhsa_kernel _ZN7rocprim17ROCPRIM_400000_NS6detail17trampoline_kernelINS0_14default_configENS1_27scan_by_key_config_selectorIj11FixedVectorIiLj1EEEEZZNS1_16scan_by_key_implILNS1_25lookback_scan_determinismE0ELb0ES3_N6thrust23THRUST_200600_302600_NS6detail15normal_iteratorINSB_10device_ptrIjEEEENSD_INSE_IS6_EEEESI_S6_NSB_4plusIvEENSB_8equal_toIvEES6_EE10hipError_tPvRmT2_T3_T4_T5_mT6_T7_P12ihipStream_tbENKUlT_T0_E_clISt17integral_constantIbLb0EES13_EEDaSY_SZ_EUlSY_E_NS1_11comp_targetILNS1_3genE8ELNS1_11target_archE1030ELNS1_3gpuE2ELNS1_3repE0EEENS1_30default_config_static_selectorELNS0_4arch9wavefront6targetE0EEEvT1_
		.amdhsa_group_segment_fixed_size 0
		.amdhsa_private_segment_fixed_size 0
		.amdhsa_kernarg_size 112
		.amdhsa_user_sgpr_count 2
		.amdhsa_user_sgpr_dispatch_ptr 0
		.amdhsa_user_sgpr_queue_ptr 0
		.amdhsa_user_sgpr_kernarg_segment_ptr 1
		.amdhsa_user_sgpr_dispatch_id 0
		.amdhsa_user_sgpr_kernarg_preload_length 0
		.amdhsa_user_sgpr_kernarg_preload_offset 0
		.amdhsa_user_sgpr_private_segment_size 0
		.amdhsa_wavefront_size32 1
		.amdhsa_uses_dynamic_stack 0
		.amdhsa_enable_private_segment 0
		.amdhsa_system_sgpr_workgroup_id_x 1
		.amdhsa_system_sgpr_workgroup_id_y 0
		.amdhsa_system_sgpr_workgroup_id_z 0
		.amdhsa_system_sgpr_workgroup_info 0
		.amdhsa_system_vgpr_workitem_id 0
		.amdhsa_next_free_vgpr 1
		.amdhsa_next_free_sgpr 1
		.amdhsa_named_barrier_count 0
		.amdhsa_reserve_vcc 0
		.amdhsa_float_round_mode_32 0
		.amdhsa_float_round_mode_16_64 0
		.amdhsa_float_denorm_mode_32 3
		.amdhsa_float_denorm_mode_16_64 3
		.amdhsa_fp16_overflow 0
		.amdhsa_memory_ordered 1
		.amdhsa_forward_progress 1
		.amdhsa_inst_pref_size 0
		.amdhsa_round_robin_scheduling 0
		.amdhsa_exception_fp_ieee_invalid_op 0
		.amdhsa_exception_fp_denorm_src 0
		.amdhsa_exception_fp_ieee_div_zero 0
		.amdhsa_exception_fp_ieee_overflow 0
		.amdhsa_exception_fp_ieee_underflow 0
		.amdhsa_exception_fp_ieee_inexact 0
		.amdhsa_exception_int_div_zero 0
	.end_amdhsa_kernel
	.section	.text._ZN7rocprim17ROCPRIM_400000_NS6detail17trampoline_kernelINS0_14default_configENS1_27scan_by_key_config_selectorIj11FixedVectorIiLj1EEEEZZNS1_16scan_by_key_implILNS1_25lookback_scan_determinismE0ELb0ES3_N6thrust23THRUST_200600_302600_NS6detail15normal_iteratorINSB_10device_ptrIjEEEENSD_INSE_IS6_EEEESI_S6_NSB_4plusIvEENSB_8equal_toIvEES6_EE10hipError_tPvRmT2_T3_T4_T5_mT6_T7_P12ihipStream_tbENKUlT_T0_E_clISt17integral_constantIbLb0EES13_EEDaSY_SZ_EUlSY_E_NS1_11comp_targetILNS1_3genE8ELNS1_11target_archE1030ELNS1_3gpuE2ELNS1_3repE0EEENS1_30default_config_static_selectorELNS0_4arch9wavefront6targetE0EEEvT1_,"axG",@progbits,_ZN7rocprim17ROCPRIM_400000_NS6detail17trampoline_kernelINS0_14default_configENS1_27scan_by_key_config_selectorIj11FixedVectorIiLj1EEEEZZNS1_16scan_by_key_implILNS1_25lookback_scan_determinismE0ELb0ES3_N6thrust23THRUST_200600_302600_NS6detail15normal_iteratorINSB_10device_ptrIjEEEENSD_INSE_IS6_EEEESI_S6_NSB_4plusIvEENSB_8equal_toIvEES6_EE10hipError_tPvRmT2_T3_T4_T5_mT6_T7_P12ihipStream_tbENKUlT_T0_E_clISt17integral_constantIbLb0EES13_EEDaSY_SZ_EUlSY_E_NS1_11comp_targetILNS1_3genE8ELNS1_11target_archE1030ELNS1_3gpuE2ELNS1_3repE0EEENS1_30default_config_static_selectorELNS0_4arch9wavefront6targetE0EEEvT1_,comdat
.Lfunc_end1877:
	.size	_ZN7rocprim17ROCPRIM_400000_NS6detail17trampoline_kernelINS0_14default_configENS1_27scan_by_key_config_selectorIj11FixedVectorIiLj1EEEEZZNS1_16scan_by_key_implILNS1_25lookback_scan_determinismE0ELb0ES3_N6thrust23THRUST_200600_302600_NS6detail15normal_iteratorINSB_10device_ptrIjEEEENSD_INSE_IS6_EEEESI_S6_NSB_4plusIvEENSB_8equal_toIvEES6_EE10hipError_tPvRmT2_T3_T4_T5_mT6_T7_P12ihipStream_tbENKUlT_T0_E_clISt17integral_constantIbLb0EES13_EEDaSY_SZ_EUlSY_E_NS1_11comp_targetILNS1_3genE8ELNS1_11target_archE1030ELNS1_3gpuE2ELNS1_3repE0EEENS1_30default_config_static_selectorELNS0_4arch9wavefront6targetE0EEEvT1_, .Lfunc_end1877-_ZN7rocprim17ROCPRIM_400000_NS6detail17trampoline_kernelINS0_14default_configENS1_27scan_by_key_config_selectorIj11FixedVectorIiLj1EEEEZZNS1_16scan_by_key_implILNS1_25lookback_scan_determinismE0ELb0ES3_N6thrust23THRUST_200600_302600_NS6detail15normal_iteratorINSB_10device_ptrIjEEEENSD_INSE_IS6_EEEESI_S6_NSB_4plusIvEENSB_8equal_toIvEES6_EE10hipError_tPvRmT2_T3_T4_T5_mT6_T7_P12ihipStream_tbENKUlT_T0_E_clISt17integral_constantIbLb0EES13_EEDaSY_SZ_EUlSY_E_NS1_11comp_targetILNS1_3genE8ELNS1_11target_archE1030ELNS1_3gpuE2ELNS1_3repE0EEENS1_30default_config_static_selectorELNS0_4arch9wavefront6targetE0EEEvT1_
                                        ; -- End function
	.set _ZN7rocprim17ROCPRIM_400000_NS6detail17trampoline_kernelINS0_14default_configENS1_27scan_by_key_config_selectorIj11FixedVectorIiLj1EEEEZZNS1_16scan_by_key_implILNS1_25lookback_scan_determinismE0ELb0ES3_N6thrust23THRUST_200600_302600_NS6detail15normal_iteratorINSB_10device_ptrIjEEEENSD_INSE_IS6_EEEESI_S6_NSB_4plusIvEENSB_8equal_toIvEES6_EE10hipError_tPvRmT2_T3_T4_T5_mT6_T7_P12ihipStream_tbENKUlT_T0_E_clISt17integral_constantIbLb0EES13_EEDaSY_SZ_EUlSY_E_NS1_11comp_targetILNS1_3genE8ELNS1_11target_archE1030ELNS1_3gpuE2ELNS1_3repE0EEENS1_30default_config_static_selectorELNS0_4arch9wavefront6targetE0EEEvT1_.num_vgpr, 0
	.set _ZN7rocprim17ROCPRIM_400000_NS6detail17trampoline_kernelINS0_14default_configENS1_27scan_by_key_config_selectorIj11FixedVectorIiLj1EEEEZZNS1_16scan_by_key_implILNS1_25lookback_scan_determinismE0ELb0ES3_N6thrust23THRUST_200600_302600_NS6detail15normal_iteratorINSB_10device_ptrIjEEEENSD_INSE_IS6_EEEESI_S6_NSB_4plusIvEENSB_8equal_toIvEES6_EE10hipError_tPvRmT2_T3_T4_T5_mT6_T7_P12ihipStream_tbENKUlT_T0_E_clISt17integral_constantIbLb0EES13_EEDaSY_SZ_EUlSY_E_NS1_11comp_targetILNS1_3genE8ELNS1_11target_archE1030ELNS1_3gpuE2ELNS1_3repE0EEENS1_30default_config_static_selectorELNS0_4arch9wavefront6targetE0EEEvT1_.num_agpr, 0
	.set _ZN7rocprim17ROCPRIM_400000_NS6detail17trampoline_kernelINS0_14default_configENS1_27scan_by_key_config_selectorIj11FixedVectorIiLj1EEEEZZNS1_16scan_by_key_implILNS1_25lookback_scan_determinismE0ELb0ES3_N6thrust23THRUST_200600_302600_NS6detail15normal_iteratorINSB_10device_ptrIjEEEENSD_INSE_IS6_EEEESI_S6_NSB_4plusIvEENSB_8equal_toIvEES6_EE10hipError_tPvRmT2_T3_T4_T5_mT6_T7_P12ihipStream_tbENKUlT_T0_E_clISt17integral_constantIbLb0EES13_EEDaSY_SZ_EUlSY_E_NS1_11comp_targetILNS1_3genE8ELNS1_11target_archE1030ELNS1_3gpuE2ELNS1_3repE0EEENS1_30default_config_static_selectorELNS0_4arch9wavefront6targetE0EEEvT1_.numbered_sgpr, 0
	.set _ZN7rocprim17ROCPRIM_400000_NS6detail17trampoline_kernelINS0_14default_configENS1_27scan_by_key_config_selectorIj11FixedVectorIiLj1EEEEZZNS1_16scan_by_key_implILNS1_25lookback_scan_determinismE0ELb0ES3_N6thrust23THRUST_200600_302600_NS6detail15normal_iteratorINSB_10device_ptrIjEEEENSD_INSE_IS6_EEEESI_S6_NSB_4plusIvEENSB_8equal_toIvEES6_EE10hipError_tPvRmT2_T3_T4_T5_mT6_T7_P12ihipStream_tbENKUlT_T0_E_clISt17integral_constantIbLb0EES13_EEDaSY_SZ_EUlSY_E_NS1_11comp_targetILNS1_3genE8ELNS1_11target_archE1030ELNS1_3gpuE2ELNS1_3repE0EEENS1_30default_config_static_selectorELNS0_4arch9wavefront6targetE0EEEvT1_.num_named_barrier, 0
	.set _ZN7rocprim17ROCPRIM_400000_NS6detail17trampoline_kernelINS0_14default_configENS1_27scan_by_key_config_selectorIj11FixedVectorIiLj1EEEEZZNS1_16scan_by_key_implILNS1_25lookback_scan_determinismE0ELb0ES3_N6thrust23THRUST_200600_302600_NS6detail15normal_iteratorINSB_10device_ptrIjEEEENSD_INSE_IS6_EEEESI_S6_NSB_4plusIvEENSB_8equal_toIvEES6_EE10hipError_tPvRmT2_T3_T4_T5_mT6_T7_P12ihipStream_tbENKUlT_T0_E_clISt17integral_constantIbLb0EES13_EEDaSY_SZ_EUlSY_E_NS1_11comp_targetILNS1_3genE8ELNS1_11target_archE1030ELNS1_3gpuE2ELNS1_3repE0EEENS1_30default_config_static_selectorELNS0_4arch9wavefront6targetE0EEEvT1_.private_seg_size, 0
	.set _ZN7rocprim17ROCPRIM_400000_NS6detail17trampoline_kernelINS0_14default_configENS1_27scan_by_key_config_selectorIj11FixedVectorIiLj1EEEEZZNS1_16scan_by_key_implILNS1_25lookback_scan_determinismE0ELb0ES3_N6thrust23THRUST_200600_302600_NS6detail15normal_iteratorINSB_10device_ptrIjEEEENSD_INSE_IS6_EEEESI_S6_NSB_4plusIvEENSB_8equal_toIvEES6_EE10hipError_tPvRmT2_T3_T4_T5_mT6_T7_P12ihipStream_tbENKUlT_T0_E_clISt17integral_constantIbLb0EES13_EEDaSY_SZ_EUlSY_E_NS1_11comp_targetILNS1_3genE8ELNS1_11target_archE1030ELNS1_3gpuE2ELNS1_3repE0EEENS1_30default_config_static_selectorELNS0_4arch9wavefront6targetE0EEEvT1_.uses_vcc, 0
	.set _ZN7rocprim17ROCPRIM_400000_NS6detail17trampoline_kernelINS0_14default_configENS1_27scan_by_key_config_selectorIj11FixedVectorIiLj1EEEEZZNS1_16scan_by_key_implILNS1_25lookback_scan_determinismE0ELb0ES3_N6thrust23THRUST_200600_302600_NS6detail15normal_iteratorINSB_10device_ptrIjEEEENSD_INSE_IS6_EEEESI_S6_NSB_4plusIvEENSB_8equal_toIvEES6_EE10hipError_tPvRmT2_T3_T4_T5_mT6_T7_P12ihipStream_tbENKUlT_T0_E_clISt17integral_constantIbLb0EES13_EEDaSY_SZ_EUlSY_E_NS1_11comp_targetILNS1_3genE8ELNS1_11target_archE1030ELNS1_3gpuE2ELNS1_3repE0EEENS1_30default_config_static_selectorELNS0_4arch9wavefront6targetE0EEEvT1_.uses_flat_scratch, 0
	.set _ZN7rocprim17ROCPRIM_400000_NS6detail17trampoline_kernelINS0_14default_configENS1_27scan_by_key_config_selectorIj11FixedVectorIiLj1EEEEZZNS1_16scan_by_key_implILNS1_25lookback_scan_determinismE0ELb0ES3_N6thrust23THRUST_200600_302600_NS6detail15normal_iteratorINSB_10device_ptrIjEEEENSD_INSE_IS6_EEEESI_S6_NSB_4plusIvEENSB_8equal_toIvEES6_EE10hipError_tPvRmT2_T3_T4_T5_mT6_T7_P12ihipStream_tbENKUlT_T0_E_clISt17integral_constantIbLb0EES13_EEDaSY_SZ_EUlSY_E_NS1_11comp_targetILNS1_3genE8ELNS1_11target_archE1030ELNS1_3gpuE2ELNS1_3repE0EEENS1_30default_config_static_selectorELNS0_4arch9wavefront6targetE0EEEvT1_.has_dyn_sized_stack, 0
	.set _ZN7rocprim17ROCPRIM_400000_NS6detail17trampoline_kernelINS0_14default_configENS1_27scan_by_key_config_selectorIj11FixedVectorIiLj1EEEEZZNS1_16scan_by_key_implILNS1_25lookback_scan_determinismE0ELb0ES3_N6thrust23THRUST_200600_302600_NS6detail15normal_iteratorINSB_10device_ptrIjEEEENSD_INSE_IS6_EEEESI_S6_NSB_4plusIvEENSB_8equal_toIvEES6_EE10hipError_tPvRmT2_T3_T4_T5_mT6_T7_P12ihipStream_tbENKUlT_T0_E_clISt17integral_constantIbLb0EES13_EEDaSY_SZ_EUlSY_E_NS1_11comp_targetILNS1_3genE8ELNS1_11target_archE1030ELNS1_3gpuE2ELNS1_3repE0EEENS1_30default_config_static_selectorELNS0_4arch9wavefront6targetE0EEEvT1_.has_recursion, 0
	.set _ZN7rocprim17ROCPRIM_400000_NS6detail17trampoline_kernelINS0_14default_configENS1_27scan_by_key_config_selectorIj11FixedVectorIiLj1EEEEZZNS1_16scan_by_key_implILNS1_25lookback_scan_determinismE0ELb0ES3_N6thrust23THRUST_200600_302600_NS6detail15normal_iteratorINSB_10device_ptrIjEEEENSD_INSE_IS6_EEEESI_S6_NSB_4plusIvEENSB_8equal_toIvEES6_EE10hipError_tPvRmT2_T3_T4_T5_mT6_T7_P12ihipStream_tbENKUlT_T0_E_clISt17integral_constantIbLb0EES13_EEDaSY_SZ_EUlSY_E_NS1_11comp_targetILNS1_3genE8ELNS1_11target_archE1030ELNS1_3gpuE2ELNS1_3repE0EEENS1_30default_config_static_selectorELNS0_4arch9wavefront6targetE0EEEvT1_.has_indirect_call, 0
	.section	.AMDGPU.csdata,"",@progbits
; Kernel info:
; codeLenInByte = 0
; TotalNumSgprs: 0
; NumVgprs: 0
; ScratchSize: 0
; MemoryBound: 0
; FloatMode: 240
; IeeeMode: 1
; LDSByteSize: 0 bytes/workgroup (compile time only)
; SGPRBlocks: 0
; VGPRBlocks: 0
; NumSGPRsForWavesPerEU: 1
; NumVGPRsForWavesPerEU: 1
; NamedBarCnt: 0
; Occupancy: 16
; WaveLimiterHint : 0
; COMPUTE_PGM_RSRC2:SCRATCH_EN: 0
; COMPUTE_PGM_RSRC2:USER_SGPR: 2
; COMPUTE_PGM_RSRC2:TRAP_HANDLER: 0
; COMPUTE_PGM_RSRC2:TGID_X_EN: 1
; COMPUTE_PGM_RSRC2:TGID_Y_EN: 0
; COMPUTE_PGM_RSRC2:TGID_Z_EN: 0
; COMPUTE_PGM_RSRC2:TIDIG_COMP_CNT: 0
	.section	.text._ZN7rocprim17ROCPRIM_400000_NS6detail30init_device_scan_by_key_kernelINS1_19lookback_scan_stateINS0_5tupleIJ11FixedVectorIiLj1EEbEEELb1ELb1EEEN6thrust23THRUST_200600_302600_NS6detail15normal_iteratorINSA_10device_ptrIjEEEEjNS1_16block_id_wrapperIjLb1EEEEEvT_jjPNSI_10value_typeET0_PNSt15iterator_traitsISL_E10value_typeEmT1_T2_,"axG",@progbits,_ZN7rocprim17ROCPRIM_400000_NS6detail30init_device_scan_by_key_kernelINS1_19lookback_scan_stateINS0_5tupleIJ11FixedVectorIiLj1EEbEEELb1ELb1EEEN6thrust23THRUST_200600_302600_NS6detail15normal_iteratorINSA_10device_ptrIjEEEEjNS1_16block_id_wrapperIjLb1EEEEEvT_jjPNSI_10value_typeET0_PNSt15iterator_traitsISL_E10value_typeEmT1_T2_,comdat
	.protected	_ZN7rocprim17ROCPRIM_400000_NS6detail30init_device_scan_by_key_kernelINS1_19lookback_scan_stateINS0_5tupleIJ11FixedVectorIiLj1EEbEEELb1ELb1EEEN6thrust23THRUST_200600_302600_NS6detail15normal_iteratorINSA_10device_ptrIjEEEEjNS1_16block_id_wrapperIjLb1EEEEEvT_jjPNSI_10value_typeET0_PNSt15iterator_traitsISL_E10value_typeEmT1_T2_ ; -- Begin function _ZN7rocprim17ROCPRIM_400000_NS6detail30init_device_scan_by_key_kernelINS1_19lookback_scan_stateINS0_5tupleIJ11FixedVectorIiLj1EEbEEELb1ELb1EEEN6thrust23THRUST_200600_302600_NS6detail15normal_iteratorINSA_10device_ptrIjEEEEjNS1_16block_id_wrapperIjLb1EEEEEvT_jjPNSI_10value_typeET0_PNSt15iterator_traitsISL_E10value_typeEmT1_T2_
	.globl	_ZN7rocprim17ROCPRIM_400000_NS6detail30init_device_scan_by_key_kernelINS1_19lookback_scan_stateINS0_5tupleIJ11FixedVectorIiLj1EEbEEELb1ELb1EEEN6thrust23THRUST_200600_302600_NS6detail15normal_iteratorINSA_10device_ptrIjEEEEjNS1_16block_id_wrapperIjLb1EEEEEvT_jjPNSI_10value_typeET0_PNSt15iterator_traitsISL_E10value_typeEmT1_T2_
	.p2align	8
	.type	_ZN7rocprim17ROCPRIM_400000_NS6detail30init_device_scan_by_key_kernelINS1_19lookback_scan_stateINS0_5tupleIJ11FixedVectorIiLj1EEbEEELb1ELb1EEEN6thrust23THRUST_200600_302600_NS6detail15normal_iteratorINSA_10device_ptrIjEEEEjNS1_16block_id_wrapperIjLb1EEEEEvT_jjPNSI_10value_typeET0_PNSt15iterator_traitsISL_E10value_typeEmT1_T2_,@function
_ZN7rocprim17ROCPRIM_400000_NS6detail30init_device_scan_by_key_kernelINS1_19lookback_scan_stateINS0_5tupleIJ11FixedVectorIiLj1EEbEEELb1ELb1EEEN6thrust23THRUST_200600_302600_NS6detail15normal_iteratorINSA_10device_ptrIjEEEEjNS1_16block_id_wrapperIjLb1EEEEEvT_jjPNSI_10value_typeET0_PNSt15iterator_traitsISL_E10value_typeEmT1_T2_: ; @_ZN7rocprim17ROCPRIM_400000_NS6detail30init_device_scan_by_key_kernelINS1_19lookback_scan_stateINS0_5tupleIJ11FixedVectorIiLj1EEbEEELb1ELb1EEEN6thrust23THRUST_200600_302600_NS6detail15normal_iteratorINSA_10device_ptrIjEEEEjNS1_16block_id_wrapperIjLb1EEEEEvT_jjPNSI_10value_typeET0_PNSt15iterator_traitsISL_E10value_typeEmT1_T2_
; %bb.0:
	s_clause 0x2
	s_load_b32 s2, s[0:1], 0x4c
	s_load_b32 s14, s[0:1], 0x40
	s_load_b256 s[4:11], s[0:1], 0x0
	s_bfe_u32 s3, ttmp6, 0x4000c
	s_and_b32 s12, ttmp6, 15
	s_add_co_i32 s3, s3, 1
	s_getreg_b32 s13, hwreg(HW_REG_IB_STS2, 6, 4)
	s_mul_i32 s3, ttmp9, s3
	s_delay_alu instid0(SALU_CYCLE_1)
	s_add_co_i32 s12, s12, s3
	s_wait_kmcnt 0x0
	s_and_b32 s15, s2, 0xffff
	s_cmp_eq_u32 s13, 0
	s_cselect_b32 s2, ttmp9, s12
	s_cmp_eq_u64 s[8:9], 0
	v_mad_u32 v4, s2, s15, v0
	s_cbranch_scc1 .LBB1878_10
; %bb.1:
	s_cmp_lt_u32 s7, s6
	s_mov_b32 s16, exec_lo
	s_cselect_b32 s2, s7, 0
	s_delay_alu instid0(VALU_DEP_1) | instid1(SALU_CYCLE_1)
	v_cmpx_eq_u32_e64 s2, v4
	s_cbranch_execz .LBB1878_9
; %bb.2:
	s_add_co_i32 s2, s7, 32
	s_mov_b32 s3, 0
	v_mov_b32_e32 v7, 0
	s_lshl_b64 s[12:13], s[2:3], 4
	s_mov_b32 s2, exec_lo
	s_add_nc_u64 s[12:13], s[4:5], s[12:13]
	s_delay_alu instid0(SALU_CYCLE_1) | instskip(SKIP_2) | instid1(VALU_DEP_1)
	v_mov_b64_e32 v[0:1], s[12:13]
	;;#ASMSTART
	global_load_b128 v[0:3], v[0:1] off scope:SCOPE_DEV	
s_wait_loadcnt 0x0
	;;#ASMEND
	v_and_b32_e32 v6, 0xff, v2
	v_cmpx_eq_u64_e32 0, v[6:7]
	s_cbranch_execz .LBB1878_8
; %bb.3:
	v_mov_b64_e32 v[8:9], s[12:13]
	s_mov_b32 s7, 1
.LBB1878_4:                             ; =>This Loop Header: Depth=1
                                        ;     Child Loop BB1878_5 Depth 2
	s_delay_alu instid0(SALU_CYCLE_1)
	s_mov_b32 s12, s7
.LBB1878_5:                             ;   Parent Loop BB1878_4 Depth=1
                                        ; =>  This Inner Loop Header: Depth=2
	s_delay_alu instid0(SALU_CYCLE_1)
	s_add_co_i32 s12, s12, -1
	s_sleep 1
	s_cmp_eq_u32 s12, 0
	s_cbranch_scc0 .LBB1878_5
; %bb.6:                                ;   in Loop: Header=BB1878_4 Depth=1
	;;#ASMSTART
	global_load_b128 v[0:3], v[8:9] off scope:SCOPE_DEV	
s_wait_loadcnt 0x0
	;;#ASMEND
	v_and_b32_e32 v6, 0xff, v2
	s_cmp_lt_u32 s7, 32
	s_cselect_b32 s12, -1, 0
	s_delay_alu instid0(VALU_DEP_1) | instskip(SKIP_3) | instid1(SALU_CYCLE_1)
	v_cmp_ne_u64_e32 vcc_lo, 0, v[6:7]
	s_cmp_lg_u32 s12, 0
	s_add_co_ci_u32 s7, s7, 0
	s_or_b32 s3, vcc_lo, s3
	s_and_not1_b32 exec_lo, exec_lo, s3
	s_cbranch_execnz .LBB1878_4
; %bb.7:
	s_or_b32 exec_lo, exec_lo, s3
.LBB1878_8:
	s_delay_alu instid0(SALU_CYCLE_1)
	s_or_b32 exec_lo, exec_lo, s2
	v_mov_b32_e32 v2, 0
	s_clause 0x1
	global_store_b32 v2, v0, s[8:9]
	global_store_b8 v2, v1, s[8:9] offset:4
.LBB1878_9:
	s_wait_xcnt 0x0
	s_or_b32 exec_lo, exec_lo, s16
.LBB1878_10:
	s_delay_alu instid0(SALU_CYCLE_1) | instskip(NEXT) | instid1(VALU_DEP_1)
	s_mov_b32 s2, exec_lo
	v_cmpx_eq_u32_e32 0, v4
	s_cbranch_execz .LBB1878_12
; %bb.11:
	s_load_b64 s[8:9], s[0:1], 0x38
	v_mov_b32_e32 v0, 0
	s_wait_kmcnt 0x0
	global_store_b32 v0, v0, s[8:9]
.LBB1878_12:
	s_wait_xcnt 0x0
	s_or_b32 exec_lo, exec_lo, s2
	s_delay_alu instid0(SALU_CYCLE_1)
	s_mov_b32 s2, exec_lo
	v_cmpx_gt_u32_e64 s6, v4
	s_cbranch_execz .LBB1878_14
; %bb.13:
	v_dual_mov_b32 v0, 0 :: v_dual_add_nc_u32 v5, 32, v4
	s_delay_alu instid0(VALU_DEP_1)
	v_dual_mov_b32 v1, v0 :: v_dual_mov_b32 v2, v0
	v_mov_b32_e32 v3, v0
	global_store_b128 v5, v[0:3], s[4:5] scale_offset
.LBB1878_14:
	s_wait_xcnt 0x0
	s_or_b32 exec_lo, exec_lo, s2
	v_mov_b32_e32 v5, 0
	s_mov_b32 s2, exec_lo
	v_cmpx_gt_u32_e32 32, v4
	s_cbranch_execz .LBB1878_16
; %bb.15:
	s_delay_alu instid0(VALU_DEP_2)
	v_lshl_add_u64 v[6:7], v[4:5], 4, s[4:5]
	v_dual_mov_b32 v2, 0xff :: v_dual_mov_b32 v1, v5
	v_dual_mov_b32 v0, v5 :: v_dual_mov_b32 v3, v5
	global_store_b128 v[6:7], v[0:3], off
.LBB1878_16:
	s_wait_xcnt 0x0
	s_or_b32 exec_lo, exec_lo, s2
	s_load_b64 s[2:3], s[0:1], 0x28
	s_mov_b32 s4, exec_lo
	s_wait_kmcnt 0x0
	v_cmpx_gt_u64_e64 s[2:3], v[4:5]
	s_cbranch_execz .LBB1878_19
; %bb.17:
	s_clause 0x1
	s_load_b32 s4, s[0:1], 0x30
	s_load_b64 s[6:7], s[0:1], 0x20
	s_mov_b32 s5, 0
	s_wait_xcnt 0x0
	s_mul_i32 s0, s14, s15
	s_mov_b32 s9, s5
	s_mov_b32 s1, s5
	s_wait_kmcnt 0x0
	v_mul_u64_e32 v[0:1], s[4:5], v[4:5]
	s_add_co_i32 s8, s4, -1
	v_lshl_add_u64 v[2:3], v[4:5], 2, s[6:7]
	s_lshl_b64 s[8:9], s[8:9], 2
	s_delay_alu instid0(SALU_CYCLE_1) | instskip(SKIP_1) | instid1(SALU_CYCLE_1)
	s_add_nc_u64 s[8:9], s[10:11], s[8:9]
	s_mul_u64 s[10:11], s[4:5], s[0:1]
	s_lshl_b64 s[6:7], s[10:11], 2
	s_delay_alu instid0(VALU_DEP_2)
	v_lshl_add_u64 v[0:1], v[0:1], 2, s[8:9]
	s_lshl_b64 s[8:9], s[0:1], 2
.LBB1878_18:                            ; =>This Inner Loop Header: Depth=1
	global_load_b32 v6, v[0:1], off
	v_add_nc_u64_e32 v[4:5], s[0:1], v[4:5]
	s_wait_xcnt 0x0
	v_add_nc_u64_e32 v[0:1], s[6:7], v[0:1]
	s_delay_alu instid0(VALU_DEP_2)
	v_cmp_le_u64_e32 vcc_lo, s[2:3], v[4:5]
	s_or_b32 s5, vcc_lo, s5
	s_wait_loadcnt 0x0
	global_store_b32 v[2:3], v6, off
	s_wait_xcnt 0x0
	v_add_nc_u64_e32 v[2:3], s[8:9], v[2:3]
	s_and_not1_b32 exec_lo, exec_lo, s5
	s_cbranch_execnz .LBB1878_18
.LBB1878_19:
	s_endpgm
	.section	.rodata,"a",@progbits
	.p2align	6, 0x0
	.amdhsa_kernel _ZN7rocprim17ROCPRIM_400000_NS6detail30init_device_scan_by_key_kernelINS1_19lookback_scan_stateINS0_5tupleIJ11FixedVectorIiLj1EEbEEELb1ELb1EEEN6thrust23THRUST_200600_302600_NS6detail15normal_iteratorINSA_10device_ptrIjEEEEjNS1_16block_id_wrapperIjLb1EEEEEvT_jjPNSI_10value_typeET0_PNSt15iterator_traitsISL_E10value_typeEmT1_T2_
		.amdhsa_group_segment_fixed_size 0
		.amdhsa_private_segment_fixed_size 0
		.amdhsa_kernarg_size 320
		.amdhsa_user_sgpr_count 2
		.amdhsa_user_sgpr_dispatch_ptr 0
		.amdhsa_user_sgpr_queue_ptr 0
		.amdhsa_user_sgpr_kernarg_segment_ptr 1
		.amdhsa_user_sgpr_dispatch_id 0
		.amdhsa_user_sgpr_kernarg_preload_length 0
		.amdhsa_user_sgpr_kernarg_preload_offset 0
		.amdhsa_user_sgpr_private_segment_size 0
		.amdhsa_wavefront_size32 1
		.amdhsa_uses_dynamic_stack 0
		.amdhsa_enable_private_segment 0
		.amdhsa_system_sgpr_workgroup_id_x 1
		.amdhsa_system_sgpr_workgroup_id_y 0
		.amdhsa_system_sgpr_workgroup_id_z 0
		.amdhsa_system_sgpr_workgroup_info 0
		.amdhsa_system_vgpr_workitem_id 0
		.amdhsa_next_free_vgpr 10
		.amdhsa_next_free_sgpr 17
		.amdhsa_named_barrier_count 0
		.amdhsa_reserve_vcc 1
		.amdhsa_float_round_mode_32 0
		.amdhsa_float_round_mode_16_64 0
		.amdhsa_float_denorm_mode_32 3
		.amdhsa_float_denorm_mode_16_64 3
		.amdhsa_fp16_overflow 0
		.amdhsa_memory_ordered 1
		.amdhsa_forward_progress 1
		.amdhsa_inst_pref_size 6
		.amdhsa_round_robin_scheduling 0
		.amdhsa_exception_fp_ieee_invalid_op 0
		.amdhsa_exception_fp_denorm_src 0
		.amdhsa_exception_fp_ieee_div_zero 0
		.amdhsa_exception_fp_ieee_overflow 0
		.amdhsa_exception_fp_ieee_underflow 0
		.amdhsa_exception_fp_ieee_inexact 0
		.amdhsa_exception_int_div_zero 0
	.end_amdhsa_kernel
	.section	.text._ZN7rocprim17ROCPRIM_400000_NS6detail30init_device_scan_by_key_kernelINS1_19lookback_scan_stateINS0_5tupleIJ11FixedVectorIiLj1EEbEEELb1ELb1EEEN6thrust23THRUST_200600_302600_NS6detail15normal_iteratorINSA_10device_ptrIjEEEEjNS1_16block_id_wrapperIjLb1EEEEEvT_jjPNSI_10value_typeET0_PNSt15iterator_traitsISL_E10value_typeEmT1_T2_,"axG",@progbits,_ZN7rocprim17ROCPRIM_400000_NS6detail30init_device_scan_by_key_kernelINS1_19lookback_scan_stateINS0_5tupleIJ11FixedVectorIiLj1EEbEEELb1ELb1EEEN6thrust23THRUST_200600_302600_NS6detail15normal_iteratorINSA_10device_ptrIjEEEEjNS1_16block_id_wrapperIjLb1EEEEEvT_jjPNSI_10value_typeET0_PNSt15iterator_traitsISL_E10value_typeEmT1_T2_,comdat
.Lfunc_end1878:
	.size	_ZN7rocprim17ROCPRIM_400000_NS6detail30init_device_scan_by_key_kernelINS1_19lookback_scan_stateINS0_5tupleIJ11FixedVectorIiLj1EEbEEELb1ELb1EEEN6thrust23THRUST_200600_302600_NS6detail15normal_iteratorINSA_10device_ptrIjEEEEjNS1_16block_id_wrapperIjLb1EEEEEvT_jjPNSI_10value_typeET0_PNSt15iterator_traitsISL_E10value_typeEmT1_T2_, .Lfunc_end1878-_ZN7rocprim17ROCPRIM_400000_NS6detail30init_device_scan_by_key_kernelINS1_19lookback_scan_stateINS0_5tupleIJ11FixedVectorIiLj1EEbEEELb1ELb1EEEN6thrust23THRUST_200600_302600_NS6detail15normal_iteratorINSA_10device_ptrIjEEEEjNS1_16block_id_wrapperIjLb1EEEEEvT_jjPNSI_10value_typeET0_PNSt15iterator_traitsISL_E10value_typeEmT1_T2_
                                        ; -- End function
	.set _ZN7rocprim17ROCPRIM_400000_NS6detail30init_device_scan_by_key_kernelINS1_19lookback_scan_stateINS0_5tupleIJ11FixedVectorIiLj1EEbEEELb1ELb1EEEN6thrust23THRUST_200600_302600_NS6detail15normal_iteratorINSA_10device_ptrIjEEEEjNS1_16block_id_wrapperIjLb1EEEEEvT_jjPNSI_10value_typeET0_PNSt15iterator_traitsISL_E10value_typeEmT1_T2_.num_vgpr, 10
	.set _ZN7rocprim17ROCPRIM_400000_NS6detail30init_device_scan_by_key_kernelINS1_19lookback_scan_stateINS0_5tupleIJ11FixedVectorIiLj1EEbEEELb1ELb1EEEN6thrust23THRUST_200600_302600_NS6detail15normal_iteratorINSA_10device_ptrIjEEEEjNS1_16block_id_wrapperIjLb1EEEEEvT_jjPNSI_10value_typeET0_PNSt15iterator_traitsISL_E10value_typeEmT1_T2_.num_agpr, 0
	.set _ZN7rocprim17ROCPRIM_400000_NS6detail30init_device_scan_by_key_kernelINS1_19lookback_scan_stateINS0_5tupleIJ11FixedVectorIiLj1EEbEEELb1ELb1EEEN6thrust23THRUST_200600_302600_NS6detail15normal_iteratorINSA_10device_ptrIjEEEEjNS1_16block_id_wrapperIjLb1EEEEEvT_jjPNSI_10value_typeET0_PNSt15iterator_traitsISL_E10value_typeEmT1_T2_.numbered_sgpr, 17
	.set _ZN7rocprim17ROCPRIM_400000_NS6detail30init_device_scan_by_key_kernelINS1_19lookback_scan_stateINS0_5tupleIJ11FixedVectorIiLj1EEbEEELb1ELb1EEEN6thrust23THRUST_200600_302600_NS6detail15normal_iteratorINSA_10device_ptrIjEEEEjNS1_16block_id_wrapperIjLb1EEEEEvT_jjPNSI_10value_typeET0_PNSt15iterator_traitsISL_E10value_typeEmT1_T2_.num_named_barrier, 0
	.set _ZN7rocprim17ROCPRIM_400000_NS6detail30init_device_scan_by_key_kernelINS1_19lookback_scan_stateINS0_5tupleIJ11FixedVectorIiLj1EEbEEELb1ELb1EEEN6thrust23THRUST_200600_302600_NS6detail15normal_iteratorINSA_10device_ptrIjEEEEjNS1_16block_id_wrapperIjLb1EEEEEvT_jjPNSI_10value_typeET0_PNSt15iterator_traitsISL_E10value_typeEmT1_T2_.private_seg_size, 0
	.set _ZN7rocprim17ROCPRIM_400000_NS6detail30init_device_scan_by_key_kernelINS1_19lookback_scan_stateINS0_5tupleIJ11FixedVectorIiLj1EEbEEELb1ELb1EEEN6thrust23THRUST_200600_302600_NS6detail15normal_iteratorINSA_10device_ptrIjEEEEjNS1_16block_id_wrapperIjLb1EEEEEvT_jjPNSI_10value_typeET0_PNSt15iterator_traitsISL_E10value_typeEmT1_T2_.uses_vcc, 1
	.set _ZN7rocprim17ROCPRIM_400000_NS6detail30init_device_scan_by_key_kernelINS1_19lookback_scan_stateINS0_5tupleIJ11FixedVectorIiLj1EEbEEELb1ELb1EEEN6thrust23THRUST_200600_302600_NS6detail15normal_iteratorINSA_10device_ptrIjEEEEjNS1_16block_id_wrapperIjLb1EEEEEvT_jjPNSI_10value_typeET0_PNSt15iterator_traitsISL_E10value_typeEmT1_T2_.uses_flat_scratch, 0
	.set _ZN7rocprim17ROCPRIM_400000_NS6detail30init_device_scan_by_key_kernelINS1_19lookback_scan_stateINS0_5tupleIJ11FixedVectorIiLj1EEbEEELb1ELb1EEEN6thrust23THRUST_200600_302600_NS6detail15normal_iteratorINSA_10device_ptrIjEEEEjNS1_16block_id_wrapperIjLb1EEEEEvT_jjPNSI_10value_typeET0_PNSt15iterator_traitsISL_E10value_typeEmT1_T2_.has_dyn_sized_stack, 0
	.set _ZN7rocprim17ROCPRIM_400000_NS6detail30init_device_scan_by_key_kernelINS1_19lookback_scan_stateINS0_5tupleIJ11FixedVectorIiLj1EEbEEELb1ELb1EEEN6thrust23THRUST_200600_302600_NS6detail15normal_iteratorINSA_10device_ptrIjEEEEjNS1_16block_id_wrapperIjLb1EEEEEvT_jjPNSI_10value_typeET0_PNSt15iterator_traitsISL_E10value_typeEmT1_T2_.has_recursion, 0
	.set _ZN7rocprim17ROCPRIM_400000_NS6detail30init_device_scan_by_key_kernelINS1_19lookback_scan_stateINS0_5tupleIJ11FixedVectorIiLj1EEbEEELb1ELb1EEEN6thrust23THRUST_200600_302600_NS6detail15normal_iteratorINSA_10device_ptrIjEEEEjNS1_16block_id_wrapperIjLb1EEEEEvT_jjPNSI_10value_typeET0_PNSt15iterator_traitsISL_E10value_typeEmT1_T2_.has_indirect_call, 0
	.section	.AMDGPU.csdata,"",@progbits
; Kernel info:
; codeLenInByte = 684
; TotalNumSgprs: 19
; NumVgprs: 10
; ScratchSize: 0
; MemoryBound: 0
; FloatMode: 240
; IeeeMode: 1
; LDSByteSize: 0 bytes/workgroup (compile time only)
; SGPRBlocks: 0
; VGPRBlocks: 0
; NumSGPRsForWavesPerEU: 19
; NumVGPRsForWavesPerEU: 10
; NamedBarCnt: 0
; Occupancy: 16
; WaveLimiterHint : 0
; COMPUTE_PGM_RSRC2:SCRATCH_EN: 0
; COMPUTE_PGM_RSRC2:USER_SGPR: 2
; COMPUTE_PGM_RSRC2:TRAP_HANDLER: 0
; COMPUTE_PGM_RSRC2:TGID_X_EN: 1
; COMPUTE_PGM_RSRC2:TGID_Y_EN: 0
; COMPUTE_PGM_RSRC2:TGID_Z_EN: 0
; COMPUTE_PGM_RSRC2:TIDIG_COMP_CNT: 0
	.section	.text._ZN7rocprim17ROCPRIM_400000_NS6detail30init_device_scan_by_key_kernelINS1_19lookback_scan_stateINS0_5tupleIJ11FixedVectorIiLj1EEbEEELb1ELb1EEENS1_16block_id_wrapperIjLb1EEEEEvT_jjPNSB_10value_typeET0_,"axG",@progbits,_ZN7rocprim17ROCPRIM_400000_NS6detail30init_device_scan_by_key_kernelINS1_19lookback_scan_stateINS0_5tupleIJ11FixedVectorIiLj1EEbEEELb1ELb1EEENS1_16block_id_wrapperIjLb1EEEEEvT_jjPNSB_10value_typeET0_,comdat
	.protected	_ZN7rocprim17ROCPRIM_400000_NS6detail30init_device_scan_by_key_kernelINS1_19lookback_scan_stateINS0_5tupleIJ11FixedVectorIiLj1EEbEEELb1ELb1EEENS1_16block_id_wrapperIjLb1EEEEEvT_jjPNSB_10value_typeET0_ ; -- Begin function _ZN7rocprim17ROCPRIM_400000_NS6detail30init_device_scan_by_key_kernelINS1_19lookback_scan_stateINS0_5tupleIJ11FixedVectorIiLj1EEbEEELb1ELb1EEENS1_16block_id_wrapperIjLb1EEEEEvT_jjPNSB_10value_typeET0_
	.globl	_ZN7rocprim17ROCPRIM_400000_NS6detail30init_device_scan_by_key_kernelINS1_19lookback_scan_stateINS0_5tupleIJ11FixedVectorIiLj1EEbEEELb1ELb1EEENS1_16block_id_wrapperIjLb1EEEEEvT_jjPNSB_10value_typeET0_
	.p2align	8
	.type	_ZN7rocprim17ROCPRIM_400000_NS6detail30init_device_scan_by_key_kernelINS1_19lookback_scan_stateINS0_5tupleIJ11FixedVectorIiLj1EEbEEELb1ELb1EEENS1_16block_id_wrapperIjLb1EEEEEvT_jjPNSB_10value_typeET0_,@function
_ZN7rocprim17ROCPRIM_400000_NS6detail30init_device_scan_by_key_kernelINS1_19lookback_scan_stateINS0_5tupleIJ11FixedVectorIiLj1EEbEEELb1ELb1EEENS1_16block_id_wrapperIjLb1EEEEEvT_jjPNSB_10value_typeET0_: ; @_ZN7rocprim17ROCPRIM_400000_NS6detail30init_device_scan_by_key_kernelINS1_19lookback_scan_stateINS0_5tupleIJ11FixedVectorIiLj1EEbEEELb1ELb1EEENS1_16block_id_wrapperIjLb1EEEEEvT_jjPNSB_10value_typeET0_
; %bb.0:
	s_clause 0x1
	s_load_b32 s2, s[0:1], 0x2c
	s_load_b256 s[4:11], s[0:1], 0x0
	s_wait_xcnt 0x0
	s_bfe_u32 s0, ttmp6, 0x4000c
	s_and_b32 s1, ttmp6, 15
	s_add_co_i32 s0, s0, 1
	s_getreg_b32 s3, hwreg(HW_REG_IB_STS2, 6, 4)
	s_mul_i32 s0, ttmp9, s0
	s_delay_alu instid0(SALU_CYCLE_1)
	s_add_co_i32 s1, s1, s0
	s_wait_kmcnt 0x0
	s_and_b32 s2, s2, 0xffff
	s_cmp_eq_u32 s3, 0
	s_cselect_b32 s0, ttmp9, s1
	s_cmp_eq_u64 s[8:9], 0
	v_mad_u32 v8, s0, s2, v0
	s_cbranch_scc1 .LBB1879_10
; %bb.1:
	s_cmp_lt_u32 s7, s6
	s_mov_b32 s12, exec_lo
	s_cselect_b32 s0, s7, 0
	s_delay_alu instid0(VALU_DEP_1) | instid1(SALU_CYCLE_1)
	v_cmpx_eq_u32_e64 s0, v8
	s_cbranch_execz .LBB1879_9
; %bb.2:
	s_add_co_i32 s0, s7, 32
	s_mov_b32 s1, 0
	v_mov_b32_e32 v5, 0
	s_lshl_b64 s[2:3], s[0:1], 4
	s_mov_b32 s0, exec_lo
	s_add_nc_u64 s[2:3], s[4:5], s[2:3]
	s_delay_alu instid0(SALU_CYCLE_1) | instskip(SKIP_2) | instid1(VALU_DEP_1)
	v_mov_b64_e32 v[0:1], s[2:3]
	;;#ASMSTART
	global_load_b128 v[0:3], v[0:1] off scope:SCOPE_DEV	
s_wait_loadcnt 0x0
	;;#ASMEND
	v_and_b32_e32 v4, 0xff, v2
	v_cmpx_eq_u64_e32 0, v[4:5]
	s_cbranch_execz .LBB1879_8
; %bb.3:
	v_mov_b64_e32 v[6:7], s[2:3]
	s_mov_b32 s2, 1
.LBB1879_4:                             ; =>This Loop Header: Depth=1
                                        ;     Child Loop BB1879_5 Depth 2
	s_delay_alu instid0(SALU_CYCLE_1)
	s_mov_b32 s3, s2
.LBB1879_5:                             ;   Parent Loop BB1879_4 Depth=1
                                        ; =>  This Inner Loop Header: Depth=2
	s_delay_alu instid0(SALU_CYCLE_1)
	s_add_co_i32 s3, s3, -1
	s_sleep 1
	s_cmp_eq_u32 s3, 0
	s_cbranch_scc0 .LBB1879_5
; %bb.6:                                ;   in Loop: Header=BB1879_4 Depth=1
	;;#ASMSTART
	global_load_b128 v[0:3], v[6:7] off scope:SCOPE_DEV	
s_wait_loadcnt 0x0
	;;#ASMEND
	v_and_b32_e32 v4, 0xff, v2
	s_cmp_lt_u32 s2, 32
	s_cselect_b32 s3, -1, 0
	s_delay_alu instid0(VALU_DEP_1) | instskip(SKIP_3) | instid1(SALU_CYCLE_1)
	v_cmp_ne_u64_e32 vcc_lo, 0, v[4:5]
	s_cmp_lg_u32 s3, 0
	s_add_co_ci_u32 s2, s2, 0
	s_or_b32 s1, vcc_lo, s1
	s_and_not1_b32 exec_lo, exec_lo, s1
	s_cbranch_execnz .LBB1879_4
; %bb.7:
	s_or_b32 exec_lo, exec_lo, s1
.LBB1879_8:
	s_delay_alu instid0(SALU_CYCLE_1)
	s_or_b32 exec_lo, exec_lo, s0
	v_mov_b32_e32 v2, 0
	s_clause 0x1
	global_store_b32 v2, v0, s[8:9]
	global_store_b8 v2, v1, s[8:9] offset:4
.LBB1879_9:
	s_wait_xcnt 0x0
	s_or_b32 exec_lo, exec_lo, s12
.LBB1879_10:
	s_delay_alu instid0(SALU_CYCLE_1) | instskip(NEXT) | instid1(VALU_DEP_1)
	s_mov_b32 s0, exec_lo
	v_cmpx_eq_u32_e32 0, v8
	s_cbranch_execz .LBB1879_12
; %bb.11:
	v_mov_b32_e32 v0, 0
	global_store_b32 v0, v0, s[10:11]
.LBB1879_12:
	s_wait_xcnt 0x0
	s_or_b32 exec_lo, exec_lo, s0
	s_delay_alu instid0(SALU_CYCLE_1)
	s_mov_b32 s0, exec_lo
	v_cmpx_gt_u32_e64 s6, v8
	s_cbranch_execz .LBB1879_14
; %bb.13:
	v_dual_mov_b32 v0, 0 :: v_dual_add_nc_u32 v4, 32, v8
	s_delay_alu instid0(VALU_DEP_1)
	v_dual_mov_b32 v1, v0 :: v_dual_mov_b32 v2, v0
	v_mov_b32_e32 v3, v0
	global_store_b128 v4, v[0:3], s[4:5] scale_offset
.LBB1879_14:
	s_wait_xcnt 0x0
	s_or_b32 exec_lo, exec_lo, s0
	s_delay_alu instid0(SALU_CYCLE_1)
	s_mov_b32 s0, exec_lo
	v_cmpx_gt_u32_e32 32, v8
	s_cbranch_execz .LBB1879_16
; %bb.15:
	v_mov_b32_e32 v0, 0
	s_delay_alu instid0(VALU_DEP_1)
	v_dual_mov_b32 v2, 0xff :: v_dual_mov_b32 v1, v0
	v_mov_b32_e32 v3, v0
	global_store_b128 v8, v[0:3], s[4:5] scale_offset
.LBB1879_16:
	s_endpgm
	.section	.rodata,"a",@progbits
	.p2align	6, 0x0
	.amdhsa_kernel _ZN7rocprim17ROCPRIM_400000_NS6detail30init_device_scan_by_key_kernelINS1_19lookback_scan_stateINS0_5tupleIJ11FixedVectorIiLj1EEbEEELb1ELb1EEENS1_16block_id_wrapperIjLb1EEEEEvT_jjPNSB_10value_typeET0_
		.amdhsa_group_segment_fixed_size 0
		.amdhsa_private_segment_fixed_size 0
		.amdhsa_kernarg_size 288
		.amdhsa_user_sgpr_count 2
		.amdhsa_user_sgpr_dispatch_ptr 0
		.amdhsa_user_sgpr_queue_ptr 0
		.amdhsa_user_sgpr_kernarg_segment_ptr 1
		.amdhsa_user_sgpr_dispatch_id 0
		.amdhsa_user_sgpr_kernarg_preload_length 0
		.amdhsa_user_sgpr_kernarg_preload_offset 0
		.amdhsa_user_sgpr_private_segment_size 0
		.amdhsa_wavefront_size32 1
		.amdhsa_uses_dynamic_stack 0
		.amdhsa_enable_private_segment 0
		.amdhsa_system_sgpr_workgroup_id_x 1
		.amdhsa_system_sgpr_workgroup_id_y 0
		.amdhsa_system_sgpr_workgroup_id_z 0
		.amdhsa_system_sgpr_workgroup_info 0
		.amdhsa_system_vgpr_workitem_id 0
		.amdhsa_next_free_vgpr 9
		.amdhsa_next_free_sgpr 13
		.amdhsa_named_barrier_count 0
		.amdhsa_reserve_vcc 1
		.amdhsa_float_round_mode_32 0
		.amdhsa_float_round_mode_16_64 0
		.amdhsa_float_denorm_mode_32 3
		.amdhsa_float_denorm_mode_16_64 3
		.amdhsa_fp16_overflow 0
		.amdhsa_memory_ordered 1
		.amdhsa_forward_progress 1
		.amdhsa_inst_pref_size 4
		.amdhsa_round_robin_scheduling 0
		.amdhsa_exception_fp_ieee_invalid_op 0
		.amdhsa_exception_fp_denorm_src 0
		.amdhsa_exception_fp_ieee_div_zero 0
		.amdhsa_exception_fp_ieee_overflow 0
		.amdhsa_exception_fp_ieee_underflow 0
		.amdhsa_exception_fp_ieee_inexact 0
		.amdhsa_exception_int_div_zero 0
	.end_amdhsa_kernel
	.section	.text._ZN7rocprim17ROCPRIM_400000_NS6detail30init_device_scan_by_key_kernelINS1_19lookback_scan_stateINS0_5tupleIJ11FixedVectorIiLj1EEbEEELb1ELb1EEENS1_16block_id_wrapperIjLb1EEEEEvT_jjPNSB_10value_typeET0_,"axG",@progbits,_ZN7rocprim17ROCPRIM_400000_NS6detail30init_device_scan_by_key_kernelINS1_19lookback_scan_stateINS0_5tupleIJ11FixedVectorIiLj1EEbEEELb1ELb1EEENS1_16block_id_wrapperIjLb1EEEEEvT_jjPNSB_10value_typeET0_,comdat
.Lfunc_end1879:
	.size	_ZN7rocprim17ROCPRIM_400000_NS6detail30init_device_scan_by_key_kernelINS1_19lookback_scan_stateINS0_5tupleIJ11FixedVectorIiLj1EEbEEELb1ELb1EEENS1_16block_id_wrapperIjLb1EEEEEvT_jjPNSB_10value_typeET0_, .Lfunc_end1879-_ZN7rocprim17ROCPRIM_400000_NS6detail30init_device_scan_by_key_kernelINS1_19lookback_scan_stateINS0_5tupleIJ11FixedVectorIiLj1EEbEEELb1ELb1EEENS1_16block_id_wrapperIjLb1EEEEEvT_jjPNSB_10value_typeET0_
                                        ; -- End function
	.set _ZN7rocprim17ROCPRIM_400000_NS6detail30init_device_scan_by_key_kernelINS1_19lookback_scan_stateINS0_5tupleIJ11FixedVectorIiLj1EEbEEELb1ELb1EEENS1_16block_id_wrapperIjLb1EEEEEvT_jjPNSB_10value_typeET0_.num_vgpr, 9
	.set _ZN7rocprim17ROCPRIM_400000_NS6detail30init_device_scan_by_key_kernelINS1_19lookback_scan_stateINS0_5tupleIJ11FixedVectorIiLj1EEbEEELb1ELb1EEENS1_16block_id_wrapperIjLb1EEEEEvT_jjPNSB_10value_typeET0_.num_agpr, 0
	.set _ZN7rocprim17ROCPRIM_400000_NS6detail30init_device_scan_by_key_kernelINS1_19lookback_scan_stateINS0_5tupleIJ11FixedVectorIiLj1EEbEEELb1ELb1EEENS1_16block_id_wrapperIjLb1EEEEEvT_jjPNSB_10value_typeET0_.numbered_sgpr, 13
	.set _ZN7rocprim17ROCPRIM_400000_NS6detail30init_device_scan_by_key_kernelINS1_19lookback_scan_stateINS0_5tupleIJ11FixedVectorIiLj1EEbEEELb1ELb1EEENS1_16block_id_wrapperIjLb1EEEEEvT_jjPNSB_10value_typeET0_.num_named_barrier, 0
	.set _ZN7rocprim17ROCPRIM_400000_NS6detail30init_device_scan_by_key_kernelINS1_19lookback_scan_stateINS0_5tupleIJ11FixedVectorIiLj1EEbEEELb1ELb1EEENS1_16block_id_wrapperIjLb1EEEEEvT_jjPNSB_10value_typeET0_.private_seg_size, 0
	.set _ZN7rocprim17ROCPRIM_400000_NS6detail30init_device_scan_by_key_kernelINS1_19lookback_scan_stateINS0_5tupleIJ11FixedVectorIiLj1EEbEEELb1ELb1EEENS1_16block_id_wrapperIjLb1EEEEEvT_jjPNSB_10value_typeET0_.uses_vcc, 1
	.set _ZN7rocprim17ROCPRIM_400000_NS6detail30init_device_scan_by_key_kernelINS1_19lookback_scan_stateINS0_5tupleIJ11FixedVectorIiLj1EEbEEELb1ELb1EEENS1_16block_id_wrapperIjLb1EEEEEvT_jjPNSB_10value_typeET0_.uses_flat_scratch, 0
	.set _ZN7rocprim17ROCPRIM_400000_NS6detail30init_device_scan_by_key_kernelINS1_19lookback_scan_stateINS0_5tupleIJ11FixedVectorIiLj1EEbEEELb1ELb1EEENS1_16block_id_wrapperIjLb1EEEEEvT_jjPNSB_10value_typeET0_.has_dyn_sized_stack, 0
	.set _ZN7rocprim17ROCPRIM_400000_NS6detail30init_device_scan_by_key_kernelINS1_19lookback_scan_stateINS0_5tupleIJ11FixedVectorIiLj1EEbEEELb1ELb1EEENS1_16block_id_wrapperIjLb1EEEEEvT_jjPNSB_10value_typeET0_.has_recursion, 0
	.set _ZN7rocprim17ROCPRIM_400000_NS6detail30init_device_scan_by_key_kernelINS1_19lookback_scan_stateINS0_5tupleIJ11FixedVectorIiLj1EEbEEELb1ELb1EEENS1_16block_id_wrapperIjLb1EEEEEvT_jjPNSB_10value_typeET0_.has_indirect_call, 0
	.section	.AMDGPU.csdata,"",@progbits
; Kernel info:
; codeLenInByte = 464
; TotalNumSgprs: 15
; NumVgprs: 9
; ScratchSize: 0
; MemoryBound: 0
; FloatMode: 240
; IeeeMode: 1
; LDSByteSize: 0 bytes/workgroup (compile time only)
; SGPRBlocks: 0
; VGPRBlocks: 0
; NumSGPRsForWavesPerEU: 15
; NumVGPRsForWavesPerEU: 9
; NamedBarCnt: 0
; Occupancy: 16
; WaveLimiterHint : 0
; COMPUTE_PGM_RSRC2:SCRATCH_EN: 0
; COMPUTE_PGM_RSRC2:USER_SGPR: 2
; COMPUTE_PGM_RSRC2:TRAP_HANDLER: 0
; COMPUTE_PGM_RSRC2:TGID_X_EN: 1
; COMPUTE_PGM_RSRC2:TGID_Y_EN: 0
; COMPUTE_PGM_RSRC2:TGID_Z_EN: 0
; COMPUTE_PGM_RSRC2:TIDIG_COMP_CNT: 0
	.section	.text._ZN7rocprim17ROCPRIM_400000_NS6detail17trampoline_kernelINS0_14default_configENS1_27scan_by_key_config_selectorIj11FixedVectorIiLj1EEEEZZNS1_16scan_by_key_implILNS1_25lookback_scan_determinismE0ELb0ES3_N6thrust23THRUST_200600_302600_NS6detail15normal_iteratorINSB_10device_ptrIjEEEENSD_INSE_IS6_EEEESI_S6_NSB_4plusIvEENSB_8equal_toIvEES6_EE10hipError_tPvRmT2_T3_T4_T5_mT6_T7_P12ihipStream_tbENKUlT_T0_E_clISt17integral_constantIbLb1EES13_EEDaSY_SZ_EUlSY_E_NS1_11comp_targetILNS1_3genE0ELNS1_11target_archE4294967295ELNS1_3gpuE0ELNS1_3repE0EEENS1_30default_config_static_selectorELNS0_4arch9wavefront6targetE0EEEvT1_,"axG",@progbits,_ZN7rocprim17ROCPRIM_400000_NS6detail17trampoline_kernelINS0_14default_configENS1_27scan_by_key_config_selectorIj11FixedVectorIiLj1EEEEZZNS1_16scan_by_key_implILNS1_25lookback_scan_determinismE0ELb0ES3_N6thrust23THRUST_200600_302600_NS6detail15normal_iteratorINSB_10device_ptrIjEEEENSD_INSE_IS6_EEEESI_S6_NSB_4plusIvEENSB_8equal_toIvEES6_EE10hipError_tPvRmT2_T3_T4_T5_mT6_T7_P12ihipStream_tbENKUlT_T0_E_clISt17integral_constantIbLb1EES13_EEDaSY_SZ_EUlSY_E_NS1_11comp_targetILNS1_3genE0ELNS1_11target_archE4294967295ELNS1_3gpuE0ELNS1_3repE0EEENS1_30default_config_static_selectorELNS0_4arch9wavefront6targetE0EEEvT1_,comdat
	.protected	_ZN7rocprim17ROCPRIM_400000_NS6detail17trampoline_kernelINS0_14default_configENS1_27scan_by_key_config_selectorIj11FixedVectorIiLj1EEEEZZNS1_16scan_by_key_implILNS1_25lookback_scan_determinismE0ELb0ES3_N6thrust23THRUST_200600_302600_NS6detail15normal_iteratorINSB_10device_ptrIjEEEENSD_INSE_IS6_EEEESI_S6_NSB_4plusIvEENSB_8equal_toIvEES6_EE10hipError_tPvRmT2_T3_T4_T5_mT6_T7_P12ihipStream_tbENKUlT_T0_E_clISt17integral_constantIbLb1EES13_EEDaSY_SZ_EUlSY_E_NS1_11comp_targetILNS1_3genE0ELNS1_11target_archE4294967295ELNS1_3gpuE0ELNS1_3repE0EEENS1_30default_config_static_selectorELNS0_4arch9wavefront6targetE0EEEvT1_ ; -- Begin function _ZN7rocprim17ROCPRIM_400000_NS6detail17trampoline_kernelINS0_14default_configENS1_27scan_by_key_config_selectorIj11FixedVectorIiLj1EEEEZZNS1_16scan_by_key_implILNS1_25lookback_scan_determinismE0ELb0ES3_N6thrust23THRUST_200600_302600_NS6detail15normal_iteratorINSB_10device_ptrIjEEEENSD_INSE_IS6_EEEESI_S6_NSB_4plusIvEENSB_8equal_toIvEES6_EE10hipError_tPvRmT2_T3_T4_T5_mT6_T7_P12ihipStream_tbENKUlT_T0_E_clISt17integral_constantIbLb1EES13_EEDaSY_SZ_EUlSY_E_NS1_11comp_targetILNS1_3genE0ELNS1_11target_archE4294967295ELNS1_3gpuE0ELNS1_3repE0EEENS1_30default_config_static_selectorELNS0_4arch9wavefront6targetE0EEEvT1_
	.globl	_ZN7rocprim17ROCPRIM_400000_NS6detail17trampoline_kernelINS0_14default_configENS1_27scan_by_key_config_selectorIj11FixedVectorIiLj1EEEEZZNS1_16scan_by_key_implILNS1_25lookback_scan_determinismE0ELb0ES3_N6thrust23THRUST_200600_302600_NS6detail15normal_iteratorINSB_10device_ptrIjEEEENSD_INSE_IS6_EEEESI_S6_NSB_4plusIvEENSB_8equal_toIvEES6_EE10hipError_tPvRmT2_T3_T4_T5_mT6_T7_P12ihipStream_tbENKUlT_T0_E_clISt17integral_constantIbLb1EES13_EEDaSY_SZ_EUlSY_E_NS1_11comp_targetILNS1_3genE0ELNS1_11target_archE4294967295ELNS1_3gpuE0ELNS1_3repE0EEENS1_30default_config_static_selectorELNS0_4arch9wavefront6targetE0EEEvT1_
	.p2align	8
	.type	_ZN7rocprim17ROCPRIM_400000_NS6detail17trampoline_kernelINS0_14default_configENS1_27scan_by_key_config_selectorIj11FixedVectorIiLj1EEEEZZNS1_16scan_by_key_implILNS1_25lookback_scan_determinismE0ELb0ES3_N6thrust23THRUST_200600_302600_NS6detail15normal_iteratorINSB_10device_ptrIjEEEENSD_INSE_IS6_EEEESI_S6_NSB_4plusIvEENSB_8equal_toIvEES6_EE10hipError_tPvRmT2_T3_T4_T5_mT6_T7_P12ihipStream_tbENKUlT_T0_E_clISt17integral_constantIbLb1EES13_EEDaSY_SZ_EUlSY_E_NS1_11comp_targetILNS1_3genE0ELNS1_11target_archE4294967295ELNS1_3gpuE0ELNS1_3repE0EEENS1_30default_config_static_selectorELNS0_4arch9wavefront6targetE0EEEvT1_,@function
_ZN7rocprim17ROCPRIM_400000_NS6detail17trampoline_kernelINS0_14default_configENS1_27scan_by_key_config_selectorIj11FixedVectorIiLj1EEEEZZNS1_16scan_by_key_implILNS1_25lookback_scan_determinismE0ELb0ES3_N6thrust23THRUST_200600_302600_NS6detail15normal_iteratorINSB_10device_ptrIjEEEENSD_INSE_IS6_EEEESI_S6_NSB_4plusIvEENSB_8equal_toIvEES6_EE10hipError_tPvRmT2_T3_T4_T5_mT6_T7_P12ihipStream_tbENKUlT_T0_E_clISt17integral_constantIbLb1EES13_EEDaSY_SZ_EUlSY_E_NS1_11comp_targetILNS1_3genE0ELNS1_11target_archE4294967295ELNS1_3gpuE0ELNS1_3repE0EEENS1_30default_config_static_selectorELNS0_4arch9wavefront6targetE0EEEvT1_: ; @_ZN7rocprim17ROCPRIM_400000_NS6detail17trampoline_kernelINS0_14default_configENS1_27scan_by_key_config_selectorIj11FixedVectorIiLj1EEEEZZNS1_16scan_by_key_implILNS1_25lookback_scan_determinismE0ELb0ES3_N6thrust23THRUST_200600_302600_NS6detail15normal_iteratorINSB_10device_ptrIjEEEENSD_INSE_IS6_EEEESI_S6_NSB_4plusIvEENSB_8equal_toIvEES6_EE10hipError_tPvRmT2_T3_T4_T5_mT6_T7_P12ihipStream_tbENKUlT_T0_E_clISt17integral_constantIbLb1EES13_EEDaSY_SZ_EUlSY_E_NS1_11comp_targetILNS1_3genE0ELNS1_11target_archE4294967295ELNS1_3gpuE0ELNS1_3repE0EEENS1_30default_config_static_selectorELNS0_4arch9wavefront6targetE0EEEvT1_
; %bb.0:
	s_endpgm
	.section	.rodata,"a",@progbits
	.p2align	6, 0x0
	.amdhsa_kernel _ZN7rocprim17ROCPRIM_400000_NS6detail17trampoline_kernelINS0_14default_configENS1_27scan_by_key_config_selectorIj11FixedVectorIiLj1EEEEZZNS1_16scan_by_key_implILNS1_25lookback_scan_determinismE0ELb0ES3_N6thrust23THRUST_200600_302600_NS6detail15normal_iteratorINSB_10device_ptrIjEEEENSD_INSE_IS6_EEEESI_S6_NSB_4plusIvEENSB_8equal_toIvEES6_EE10hipError_tPvRmT2_T3_T4_T5_mT6_T7_P12ihipStream_tbENKUlT_T0_E_clISt17integral_constantIbLb1EES13_EEDaSY_SZ_EUlSY_E_NS1_11comp_targetILNS1_3genE0ELNS1_11target_archE4294967295ELNS1_3gpuE0ELNS1_3repE0EEENS1_30default_config_static_selectorELNS0_4arch9wavefront6targetE0EEEvT1_
		.amdhsa_group_segment_fixed_size 0
		.amdhsa_private_segment_fixed_size 0
		.amdhsa_kernarg_size 112
		.amdhsa_user_sgpr_count 2
		.amdhsa_user_sgpr_dispatch_ptr 0
		.amdhsa_user_sgpr_queue_ptr 0
		.amdhsa_user_sgpr_kernarg_segment_ptr 1
		.amdhsa_user_sgpr_dispatch_id 0
		.amdhsa_user_sgpr_kernarg_preload_length 0
		.amdhsa_user_sgpr_kernarg_preload_offset 0
		.amdhsa_user_sgpr_private_segment_size 0
		.amdhsa_wavefront_size32 1
		.amdhsa_uses_dynamic_stack 0
		.amdhsa_enable_private_segment 0
		.amdhsa_system_sgpr_workgroup_id_x 1
		.amdhsa_system_sgpr_workgroup_id_y 0
		.amdhsa_system_sgpr_workgroup_id_z 0
		.amdhsa_system_sgpr_workgroup_info 0
		.amdhsa_system_vgpr_workitem_id 0
		.amdhsa_next_free_vgpr 1
		.amdhsa_next_free_sgpr 1
		.amdhsa_named_barrier_count 0
		.amdhsa_reserve_vcc 0
		.amdhsa_float_round_mode_32 0
		.amdhsa_float_round_mode_16_64 0
		.amdhsa_float_denorm_mode_32 3
		.amdhsa_float_denorm_mode_16_64 3
		.amdhsa_fp16_overflow 0
		.amdhsa_memory_ordered 1
		.amdhsa_forward_progress 1
		.amdhsa_inst_pref_size 1
		.amdhsa_round_robin_scheduling 0
		.amdhsa_exception_fp_ieee_invalid_op 0
		.amdhsa_exception_fp_denorm_src 0
		.amdhsa_exception_fp_ieee_div_zero 0
		.amdhsa_exception_fp_ieee_overflow 0
		.amdhsa_exception_fp_ieee_underflow 0
		.amdhsa_exception_fp_ieee_inexact 0
		.amdhsa_exception_int_div_zero 0
	.end_amdhsa_kernel
	.section	.text._ZN7rocprim17ROCPRIM_400000_NS6detail17trampoline_kernelINS0_14default_configENS1_27scan_by_key_config_selectorIj11FixedVectorIiLj1EEEEZZNS1_16scan_by_key_implILNS1_25lookback_scan_determinismE0ELb0ES3_N6thrust23THRUST_200600_302600_NS6detail15normal_iteratorINSB_10device_ptrIjEEEENSD_INSE_IS6_EEEESI_S6_NSB_4plusIvEENSB_8equal_toIvEES6_EE10hipError_tPvRmT2_T3_T4_T5_mT6_T7_P12ihipStream_tbENKUlT_T0_E_clISt17integral_constantIbLb1EES13_EEDaSY_SZ_EUlSY_E_NS1_11comp_targetILNS1_3genE0ELNS1_11target_archE4294967295ELNS1_3gpuE0ELNS1_3repE0EEENS1_30default_config_static_selectorELNS0_4arch9wavefront6targetE0EEEvT1_,"axG",@progbits,_ZN7rocprim17ROCPRIM_400000_NS6detail17trampoline_kernelINS0_14default_configENS1_27scan_by_key_config_selectorIj11FixedVectorIiLj1EEEEZZNS1_16scan_by_key_implILNS1_25lookback_scan_determinismE0ELb0ES3_N6thrust23THRUST_200600_302600_NS6detail15normal_iteratorINSB_10device_ptrIjEEEENSD_INSE_IS6_EEEESI_S6_NSB_4plusIvEENSB_8equal_toIvEES6_EE10hipError_tPvRmT2_T3_T4_T5_mT6_T7_P12ihipStream_tbENKUlT_T0_E_clISt17integral_constantIbLb1EES13_EEDaSY_SZ_EUlSY_E_NS1_11comp_targetILNS1_3genE0ELNS1_11target_archE4294967295ELNS1_3gpuE0ELNS1_3repE0EEENS1_30default_config_static_selectorELNS0_4arch9wavefront6targetE0EEEvT1_,comdat
.Lfunc_end1880:
	.size	_ZN7rocprim17ROCPRIM_400000_NS6detail17trampoline_kernelINS0_14default_configENS1_27scan_by_key_config_selectorIj11FixedVectorIiLj1EEEEZZNS1_16scan_by_key_implILNS1_25lookback_scan_determinismE0ELb0ES3_N6thrust23THRUST_200600_302600_NS6detail15normal_iteratorINSB_10device_ptrIjEEEENSD_INSE_IS6_EEEESI_S6_NSB_4plusIvEENSB_8equal_toIvEES6_EE10hipError_tPvRmT2_T3_T4_T5_mT6_T7_P12ihipStream_tbENKUlT_T0_E_clISt17integral_constantIbLb1EES13_EEDaSY_SZ_EUlSY_E_NS1_11comp_targetILNS1_3genE0ELNS1_11target_archE4294967295ELNS1_3gpuE0ELNS1_3repE0EEENS1_30default_config_static_selectorELNS0_4arch9wavefront6targetE0EEEvT1_, .Lfunc_end1880-_ZN7rocprim17ROCPRIM_400000_NS6detail17trampoline_kernelINS0_14default_configENS1_27scan_by_key_config_selectorIj11FixedVectorIiLj1EEEEZZNS1_16scan_by_key_implILNS1_25lookback_scan_determinismE0ELb0ES3_N6thrust23THRUST_200600_302600_NS6detail15normal_iteratorINSB_10device_ptrIjEEEENSD_INSE_IS6_EEEESI_S6_NSB_4plusIvEENSB_8equal_toIvEES6_EE10hipError_tPvRmT2_T3_T4_T5_mT6_T7_P12ihipStream_tbENKUlT_T0_E_clISt17integral_constantIbLb1EES13_EEDaSY_SZ_EUlSY_E_NS1_11comp_targetILNS1_3genE0ELNS1_11target_archE4294967295ELNS1_3gpuE0ELNS1_3repE0EEENS1_30default_config_static_selectorELNS0_4arch9wavefront6targetE0EEEvT1_
                                        ; -- End function
	.set _ZN7rocprim17ROCPRIM_400000_NS6detail17trampoline_kernelINS0_14default_configENS1_27scan_by_key_config_selectorIj11FixedVectorIiLj1EEEEZZNS1_16scan_by_key_implILNS1_25lookback_scan_determinismE0ELb0ES3_N6thrust23THRUST_200600_302600_NS6detail15normal_iteratorINSB_10device_ptrIjEEEENSD_INSE_IS6_EEEESI_S6_NSB_4plusIvEENSB_8equal_toIvEES6_EE10hipError_tPvRmT2_T3_T4_T5_mT6_T7_P12ihipStream_tbENKUlT_T0_E_clISt17integral_constantIbLb1EES13_EEDaSY_SZ_EUlSY_E_NS1_11comp_targetILNS1_3genE0ELNS1_11target_archE4294967295ELNS1_3gpuE0ELNS1_3repE0EEENS1_30default_config_static_selectorELNS0_4arch9wavefront6targetE0EEEvT1_.num_vgpr, 0
	.set _ZN7rocprim17ROCPRIM_400000_NS6detail17trampoline_kernelINS0_14default_configENS1_27scan_by_key_config_selectorIj11FixedVectorIiLj1EEEEZZNS1_16scan_by_key_implILNS1_25lookback_scan_determinismE0ELb0ES3_N6thrust23THRUST_200600_302600_NS6detail15normal_iteratorINSB_10device_ptrIjEEEENSD_INSE_IS6_EEEESI_S6_NSB_4plusIvEENSB_8equal_toIvEES6_EE10hipError_tPvRmT2_T3_T4_T5_mT6_T7_P12ihipStream_tbENKUlT_T0_E_clISt17integral_constantIbLb1EES13_EEDaSY_SZ_EUlSY_E_NS1_11comp_targetILNS1_3genE0ELNS1_11target_archE4294967295ELNS1_3gpuE0ELNS1_3repE0EEENS1_30default_config_static_selectorELNS0_4arch9wavefront6targetE0EEEvT1_.num_agpr, 0
	.set _ZN7rocprim17ROCPRIM_400000_NS6detail17trampoline_kernelINS0_14default_configENS1_27scan_by_key_config_selectorIj11FixedVectorIiLj1EEEEZZNS1_16scan_by_key_implILNS1_25lookback_scan_determinismE0ELb0ES3_N6thrust23THRUST_200600_302600_NS6detail15normal_iteratorINSB_10device_ptrIjEEEENSD_INSE_IS6_EEEESI_S6_NSB_4plusIvEENSB_8equal_toIvEES6_EE10hipError_tPvRmT2_T3_T4_T5_mT6_T7_P12ihipStream_tbENKUlT_T0_E_clISt17integral_constantIbLb1EES13_EEDaSY_SZ_EUlSY_E_NS1_11comp_targetILNS1_3genE0ELNS1_11target_archE4294967295ELNS1_3gpuE0ELNS1_3repE0EEENS1_30default_config_static_selectorELNS0_4arch9wavefront6targetE0EEEvT1_.numbered_sgpr, 0
	.set _ZN7rocprim17ROCPRIM_400000_NS6detail17trampoline_kernelINS0_14default_configENS1_27scan_by_key_config_selectorIj11FixedVectorIiLj1EEEEZZNS1_16scan_by_key_implILNS1_25lookback_scan_determinismE0ELb0ES3_N6thrust23THRUST_200600_302600_NS6detail15normal_iteratorINSB_10device_ptrIjEEEENSD_INSE_IS6_EEEESI_S6_NSB_4plusIvEENSB_8equal_toIvEES6_EE10hipError_tPvRmT2_T3_T4_T5_mT6_T7_P12ihipStream_tbENKUlT_T0_E_clISt17integral_constantIbLb1EES13_EEDaSY_SZ_EUlSY_E_NS1_11comp_targetILNS1_3genE0ELNS1_11target_archE4294967295ELNS1_3gpuE0ELNS1_3repE0EEENS1_30default_config_static_selectorELNS0_4arch9wavefront6targetE0EEEvT1_.num_named_barrier, 0
	.set _ZN7rocprim17ROCPRIM_400000_NS6detail17trampoline_kernelINS0_14default_configENS1_27scan_by_key_config_selectorIj11FixedVectorIiLj1EEEEZZNS1_16scan_by_key_implILNS1_25lookback_scan_determinismE0ELb0ES3_N6thrust23THRUST_200600_302600_NS6detail15normal_iteratorINSB_10device_ptrIjEEEENSD_INSE_IS6_EEEESI_S6_NSB_4plusIvEENSB_8equal_toIvEES6_EE10hipError_tPvRmT2_T3_T4_T5_mT6_T7_P12ihipStream_tbENKUlT_T0_E_clISt17integral_constantIbLb1EES13_EEDaSY_SZ_EUlSY_E_NS1_11comp_targetILNS1_3genE0ELNS1_11target_archE4294967295ELNS1_3gpuE0ELNS1_3repE0EEENS1_30default_config_static_selectorELNS0_4arch9wavefront6targetE0EEEvT1_.private_seg_size, 0
	.set _ZN7rocprim17ROCPRIM_400000_NS6detail17trampoline_kernelINS0_14default_configENS1_27scan_by_key_config_selectorIj11FixedVectorIiLj1EEEEZZNS1_16scan_by_key_implILNS1_25lookback_scan_determinismE0ELb0ES3_N6thrust23THRUST_200600_302600_NS6detail15normal_iteratorINSB_10device_ptrIjEEEENSD_INSE_IS6_EEEESI_S6_NSB_4plusIvEENSB_8equal_toIvEES6_EE10hipError_tPvRmT2_T3_T4_T5_mT6_T7_P12ihipStream_tbENKUlT_T0_E_clISt17integral_constantIbLb1EES13_EEDaSY_SZ_EUlSY_E_NS1_11comp_targetILNS1_3genE0ELNS1_11target_archE4294967295ELNS1_3gpuE0ELNS1_3repE0EEENS1_30default_config_static_selectorELNS0_4arch9wavefront6targetE0EEEvT1_.uses_vcc, 0
	.set _ZN7rocprim17ROCPRIM_400000_NS6detail17trampoline_kernelINS0_14default_configENS1_27scan_by_key_config_selectorIj11FixedVectorIiLj1EEEEZZNS1_16scan_by_key_implILNS1_25lookback_scan_determinismE0ELb0ES3_N6thrust23THRUST_200600_302600_NS6detail15normal_iteratorINSB_10device_ptrIjEEEENSD_INSE_IS6_EEEESI_S6_NSB_4plusIvEENSB_8equal_toIvEES6_EE10hipError_tPvRmT2_T3_T4_T5_mT6_T7_P12ihipStream_tbENKUlT_T0_E_clISt17integral_constantIbLb1EES13_EEDaSY_SZ_EUlSY_E_NS1_11comp_targetILNS1_3genE0ELNS1_11target_archE4294967295ELNS1_3gpuE0ELNS1_3repE0EEENS1_30default_config_static_selectorELNS0_4arch9wavefront6targetE0EEEvT1_.uses_flat_scratch, 0
	.set _ZN7rocprim17ROCPRIM_400000_NS6detail17trampoline_kernelINS0_14default_configENS1_27scan_by_key_config_selectorIj11FixedVectorIiLj1EEEEZZNS1_16scan_by_key_implILNS1_25lookback_scan_determinismE0ELb0ES3_N6thrust23THRUST_200600_302600_NS6detail15normal_iteratorINSB_10device_ptrIjEEEENSD_INSE_IS6_EEEESI_S6_NSB_4plusIvEENSB_8equal_toIvEES6_EE10hipError_tPvRmT2_T3_T4_T5_mT6_T7_P12ihipStream_tbENKUlT_T0_E_clISt17integral_constantIbLb1EES13_EEDaSY_SZ_EUlSY_E_NS1_11comp_targetILNS1_3genE0ELNS1_11target_archE4294967295ELNS1_3gpuE0ELNS1_3repE0EEENS1_30default_config_static_selectorELNS0_4arch9wavefront6targetE0EEEvT1_.has_dyn_sized_stack, 0
	.set _ZN7rocprim17ROCPRIM_400000_NS6detail17trampoline_kernelINS0_14default_configENS1_27scan_by_key_config_selectorIj11FixedVectorIiLj1EEEEZZNS1_16scan_by_key_implILNS1_25lookback_scan_determinismE0ELb0ES3_N6thrust23THRUST_200600_302600_NS6detail15normal_iteratorINSB_10device_ptrIjEEEENSD_INSE_IS6_EEEESI_S6_NSB_4plusIvEENSB_8equal_toIvEES6_EE10hipError_tPvRmT2_T3_T4_T5_mT6_T7_P12ihipStream_tbENKUlT_T0_E_clISt17integral_constantIbLb1EES13_EEDaSY_SZ_EUlSY_E_NS1_11comp_targetILNS1_3genE0ELNS1_11target_archE4294967295ELNS1_3gpuE0ELNS1_3repE0EEENS1_30default_config_static_selectorELNS0_4arch9wavefront6targetE0EEEvT1_.has_recursion, 0
	.set _ZN7rocprim17ROCPRIM_400000_NS6detail17trampoline_kernelINS0_14default_configENS1_27scan_by_key_config_selectorIj11FixedVectorIiLj1EEEEZZNS1_16scan_by_key_implILNS1_25lookback_scan_determinismE0ELb0ES3_N6thrust23THRUST_200600_302600_NS6detail15normal_iteratorINSB_10device_ptrIjEEEENSD_INSE_IS6_EEEESI_S6_NSB_4plusIvEENSB_8equal_toIvEES6_EE10hipError_tPvRmT2_T3_T4_T5_mT6_T7_P12ihipStream_tbENKUlT_T0_E_clISt17integral_constantIbLb1EES13_EEDaSY_SZ_EUlSY_E_NS1_11comp_targetILNS1_3genE0ELNS1_11target_archE4294967295ELNS1_3gpuE0ELNS1_3repE0EEENS1_30default_config_static_selectorELNS0_4arch9wavefront6targetE0EEEvT1_.has_indirect_call, 0
	.section	.AMDGPU.csdata,"",@progbits
; Kernel info:
; codeLenInByte = 4
; TotalNumSgprs: 0
; NumVgprs: 0
; ScratchSize: 0
; MemoryBound: 0
; FloatMode: 240
; IeeeMode: 1
; LDSByteSize: 0 bytes/workgroup (compile time only)
; SGPRBlocks: 0
; VGPRBlocks: 0
; NumSGPRsForWavesPerEU: 1
; NumVGPRsForWavesPerEU: 1
; NamedBarCnt: 0
; Occupancy: 16
; WaveLimiterHint : 0
; COMPUTE_PGM_RSRC2:SCRATCH_EN: 0
; COMPUTE_PGM_RSRC2:USER_SGPR: 2
; COMPUTE_PGM_RSRC2:TRAP_HANDLER: 0
; COMPUTE_PGM_RSRC2:TGID_X_EN: 1
; COMPUTE_PGM_RSRC2:TGID_Y_EN: 0
; COMPUTE_PGM_RSRC2:TGID_Z_EN: 0
; COMPUTE_PGM_RSRC2:TIDIG_COMP_CNT: 0
	.section	.text._ZN7rocprim17ROCPRIM_400000_NS6detail17trampoline_kernelINS0_14default_configENS1_27scan_by_key_config_selectorIj11FixedVectorIiLj1EEEEZZNS1_16scan_by_key_implILNS1_25lookback_scan_determinismE0ELb0ES3_N6thrust23THRUST_200600_302600_NS6detail15normal_iteratorINSB_10device_ptrIjEEEENSD_INSE_IS6_EEEESI_S6_NSB_4plusIvEENSB_8equal_toIvEES6_EE10hipError_tPvRmT2_T3_T4_T5_mT6_T7_P12ihipStream_tbENKUlT_T0_E_clISt17integral_constantIbLb1EES13_EEDaSY_SZ_EUlSY_E_NS1_11comp_targetILNS1_3genE10ELNS1_11target_archE1201ELNS1_3gpuE5ELNS1_3repE0EEENS1_30default_config_static_selectorELNS0_4arch9wavefront6targetE0EEEvT1_,"axG",@progbits,_ZN7rocprim17ROCPRIM_400000_NS6detail17trampoline_kernelINS0_14default_configENS1_27scan_by_key_config_selectorIj11FixedVectorIiLj1EEEEZZNS1_16scan_by_key_implILNS1_25lookback_scan_determinismE0ELb0ES3_N6thrust23THRUST_200600_302600_NS6detail15normal_iteratorINSB_10device_ptrIjEEEENSD_INSE_IS6_EEEESI_S6_NSB_4plusIvEENSB_8equal_toIvEES6_EE10hipError_tPvRmT2_T3_T4_T5_mT6_T7_P12ihipStream_tbENKUlT_T0_E_clISt17integral_constantIbLb1EES13_EEDaSY_SZ_EUlSY_E_NS1_11comp_targetILNS1_3genE10ELNS1_11target_archE1201ELNS1_3gpuE5ELNS1_3repE0EEENS1_30default_config_static_selectorELNS0_4arch9wavefront6targetE0EEEvT1_,comdat
	.protected	_ZN7rocprim17ROCPRIM_400000_NS6detail17trampoline_kernelINS0_14default_configENS1_27scan_by_key_config_selectorIj11FixedVectorIiLj1EEEEZZNS1_16scan_by_key_implILNS1_25lookback_scan_determinismE0ELb0ES3_N6thrust23THRUST_200600_302600_NS6detail15normal_iteratorINSB_10device_ptrIjEEEENSD_INSE_IS6_EEEESI_S6_NSB_4plusIvEENSB_8equal_toIvEES6_EE10hipError_tPvRmT2_T3_T4_T5_mT6_T7_P12ihipStream_tbENKUlT_T0_E_clISt17integral_constantIbLb1EES13_EEDaSY_SZ_EUlSY_E_NS1_11comp_targetILNS1_3genE10ELNS1_11target_archE1201ELNS1_3gpuE5ELNS1_3repE0EEENS1_30default_config_static_selectorELNS0_4arch9wavefront6targetE0EEEvT1_ ; -- Begin function _ZN7rocprim17ROCPRIM_400000_NS6detail17trampoline_kernelINS0_14default_configENS1_27scan_by_key_config_selectorIj11FixedVectorIiLj1EEEEZZNS1_16scan_by_key_implILNS1_25lookback_scan_determinismE0ELb0ES3_N6thrust23THRUST_200600_302600_NS6detail15normal_iteratorINSB_10device_ptrIjEEEENSD_INSE_IS6_EEEESI_S6_NSB_4plusIvEENSB_8equal_toIvEES6_EE10hipError_tPvRmT2_T3_T4_T5_mT6_T7_P12ihipStream_tbENKUlT_T0_E_clISt17integral_constantIbLb1EES13_EEDaSY_SZ_EUlSY_E_NS1_11comp_targetILNS1_3genE10ELNS1_11target_archE1201ELNS1_3gpuE5ELNS1_3repE0EEENS1_30default_config_static_selectorELNS0_4arch9wavefront6targetE0EEEvT1_
	.globl	_ZN7rocprim17ROCPRIM_400000_NS6detail17trampoline_kernelINS0_14default_configENS1_27scan_by_key_config_selectorIj11FixedVectorIiLj1EEEEZZNS1_16scan_by_key_implILNS1_25lookback_scan_determinismE0ELb0ES3_N6thrust23THRUST_200600_302600_NS6detail15normal_iteratorINSB_10device_ptrIjEEEENSD_INSE_IS6_EEEESI_S6_NSB_4plusIvEENSB_8equal_toIvEES6_EE10hipError_tPvRmT2_T3_T4_T5_mT6_T7_P12ihipStream_tbENKUlT_T0_E_clISt17integral_constantIbLb1EES13_EEDaSY_SZ_EUlSY_E_NS1_11comp_targetILNS1_3genE10ELNS1_11target_archE1201ELNS1_3gpuE5ELNS1_3repE0EEENS1_30default_config_static_selectorELNS0_4arch9wavefront6targetE0EEEvT1_
	.p2align	8
	.type	_ZN7rocprim17ROCPRIM_400000_NS6detail17trampoline_kernelINS0_14default_configENS1_27scan_by_key_config_selectorIj11FixedVectorIiLj1EEEEZZNS1_16scan_by_key_implILNS1_25lookback_scan_determinismE0ELb0ES3_N6thrust23THRUST_200600_302600_NS6detail15normal_iteratorINSB_10device_ptrIjEEEENSD_INSE_IS6_EEEESI_S6_NSB_4plusIvEENSB_8equal_toIvEES6_EE10hipError_tPvRmT2_T3_T4_T5_mT6_T7_P12ihipStream_tbENKUlT_T0_E_clISt17integral_constantIbLb1EES13_EEDaSY_SZ_EUlSY_E_NS1_11comp_targetILNS1_3genE10ELNS1_11target_archE1201ELNS1_3gpuE5ELNS1_3repE0EEENS1_30default_config_static_selectorELNS0_4arch9wavefront6targetE0EEEvT1_,@function
_ZN7rocprim17ROCPRIM_400000_NS6detail17trampoline_kernelINS0_14default_configENS1_27scan_by_key_config_selectorIj11FixedVectorIiLj1EEEEZZNS1_16scan_by_key_implILNS1_25lookback_scan_determinismE0ELb0ES3_N6thrust23THRUST_200600_302600_NS6detail15normal_iteratorINSB_10device_ptrIjEEEENSD_INSE_IS6_EEEESI_S6_NSB_4plusIvEENSB_8equal_toIvEES6_EE10hipError_tPvRmT2_T3_T4_T5_mT6_T7_P12ihipStream_tbENKUlT_T0_E_clISt17integral_constantIbLb1EES13_EEDaSY_SZ_EUlSY_E_NS1_11comp_targetILNS1_3genE10ELNS1_11target_archE1201ELNS1_3gpuE5ELNS1_3repE0EEENS1_30default_config_static_selectorELNS0_4arch9wavefront6targetE0EEEvT1_: ; @_ZN7rocprim17ROCPRIM_400000_NS6detail17trampoline_kernelINS0_14default_configENS1_27scan_by_key_config_selectorIj11FixedVectorIiLj1EEEEZZNS1_16scan_by_key_implILNS1_25lookback_scan_determinismE0ELb0ES3_N6thrust23THRUST_200600_302600_NS6detail15normal_iteratorINSB_10device_ptrIjEEEENSD_INSE_IS6_EEEESI_S6_NSB_4plusIvEENSB_8equal_toIvEES6_EE10hipError_tPvRmT2_T3_T4_T5_mT6_T7_P12ihipStream_tbENKUlT_T0_E_clISt17integral_constantIbLb1EES13_EEDaSY_SZ_EUlSY_E_NS1_11comp_targetILNS1_3genE10ELNS1_11target_archE1201ELNS1_3gpuE5ELNS1_3repE0EEENS1_30default_config_static_selectorELNS0_4arch9wavefront6targetE0EEEvT1_
; %bb.0:
	.section	.rodata,"a",@progbits
	.p2align	6, 0x0
	.amdhsa_kernel _ZN7rocprim17ROCPRIM_400000_NS6detail17trampoline_kernelINS0_14default_configENS1_27scan_by_key_config_selectorIj11FixedVectorIiLj1EEEEZZNS1_16scan_by_key_implILNS1_25lookback_scan_determinismE0ELb0ES3_N6thrust23THRUST_200600_302600_NS6detail15normal_iteratorINSB_10device_ptrIjEEEENSD_INSE_IS6_EEEESI_S6_NSB_4plusIvEENSB_8equal_toIvEES6_EE10hipError_tPvRmT2_T3_T4_T5_mT6_T7_P12ihipStream_tbENKUlT_T0_E_clISt17integral_constantIbLb1EES13_EEDaSY_SZ_EUlSY_E_NS1_11comp_targetILNS1_3genE10ELNS1_11target_archE1201ELNS1_3gpuE5ELNS1_3repE0EEENS1_30default_config_static_selectorELNS0_4arch9wavefront6targetE0EEEvT1_
		.amdhsa_group_segment_fixed_size 0
		.amdhsa_private_segment_fixed_size 0
		.amdhsa_kernarg_size 112
		.amdhsa_user_sgpr_count 2
		.amdhsa_user_sgpr_dispatch_ptr 0
		.amdhsa_user_sgpr_queue_ptr 0
		.amdhsa_user_sgpr_kernarg_segment_ptr 1
		.amdhsa_user_sgpr_dispatch_id 0
		.amdhsa_user_sgpr_kernarg_preload_length 0
		.amdhsa_user_sgpr_kernarg_preload_offset 0
		.amdhsa_user_sgpr_private_segment_size 0
		.amdhsa_wavefront_size32 1
		.amdhsa_uses_dynamic_stack 0
		.amdhsa_enable_private_segment 0
		.amdhsa_system_sgpr_workgroup_id_x 1
		.amdhsa_system_sgpr_workgroup_id_y 0
		.amdhsa_system_sgpr_workgroup_id_z 0
		.amdhsa_system_sgpr_workgroup_info 0
		.amdhsa_system_vgpr_workitem_id 0
		.amdhsa_next_free_vgpr 1
		.amdhsa_next_free_sgpr 1
		.amdhsa_named_barrier_count 0
		.amdhsa_reserve_vcc 0
		.amdhsa_float_round_mode_32 0
		.amdhsa_float_round_mode_16_64 0
		.amdhsa_float_denorm_mode_32 3
		.amdhsa_float_denorm_mode_16_64 3
		.amdhsa_fp16_overflow 0
		.amdhsa_memory_ordered 1
		.amdhsa_forward_progress 1
		.amdhsa_inst_pref_size 0
		.amdhsa_round_robin_scheduling 0
		.amdhsa_exception_fp_ieee_invalid_op 0
		.amdhsa_exception_fp_denorm_src 0
		.amdhsa_exception_fp_ieee_div_zero 0
		.amdhsa_exception_fp_ieee_overflow 0
		.amdhsa_exception_fp_ieee_underflow 0
		.amdhsa_exception_fp_ieee_inexact 0
		.amdhsa_exception_int_div_zero 0
	.end_amdhsa_kernel
	.section	.text._ZN7rocprim17ROCPRIM_400000_NS6detail17trampoline_kernelINS0_14default_configENS1_27scan_by_key_config_selectorIj11FixedVectorIiLj1EEEEZZNS1_16scan_by_key_implILNS1_25lookback_scan_determinismE0ELb0ES3_N6thrust23THRUST_200600_302600_NS6detail15normal_iteratorINSB_10device_ptrIjEEEENSD_INSE_IS6_EEEESI_S6_NSB_4plusIvEENSB_8equal_toIvEES6_EE10hipError_tPvRmT2_T3_T4_T5_mT6_T7_P12ihipStream_tbENKUlT_T0_E_clISt17integral_constantIbLb1EES13_EEDaSY_SZ_EUlSY_E_NS1_11comp_targetILNS1_3genE10ELNS1_11target_archE1201ELNS1_3gpuE5ELNS1_3repE0EEENS1_30default_config_static_selectorELNS0_4arch9wavefront6targetE0EEEvT1_,"axG",@progbits,_ZN7rocprim17ROCPRIM_400000_NS6detail17trampoline_kernelINS0_14default_configENS1_27scan_by_key_config_selectorIj11FixedVectorIiLj1EEEEZZNS1_16scan_by_key_implILNS1_25lookback_scan_determinismE0ELb0ES3_N6thrust23THRUST_200600_302600_NS6detail15normal_iteratorINSB_10device_ptrIjEEEENSD_INSE_IS6_EEEESI_S6_NSB_4plusIvEENSB_8equal_toIvEES6_EE10hipError_tPvRmT2_T3_T4_T5_mT6_T7_P12ihipStream_tbENKUlT_T0_E_clISt17integral_constantIbLb1EES13_EEDaSY_SZ_EUlSY_E_NS1_11comp_targetILNS1_3genE10ELNS1_11target_archE1201ELNS1_3gpuE5ELNS1_3repE0EEENS1_30default_config_static_selectorELNS0_4arch9wavefront6targetE0EEEvT1_,comdat
.Lfunc_end1881:
	.size	_ZN7rocprim17ROCPRIM_400000_NS6detail17trampoline_kernelINS0_14default_configENS1_27scan_by_key_config_selectorIj11FixedVectorIiLj1EEEEZZNS1_16scan_by_key_implILNS1_25lookback_scan_determinismE0ELb0ES3_N6thrust23THRUST_200600_302600_NS6detail15normal_iteratorINSB_10device_ptrIjEEEENSD_INSE_IS6_EEEESI_S6_NSB_4plusIvEENSB_8equal_toIvEES6_EE10hipError_tPvRmT2_T3_T4_T5_mT6_T7_P12ihipStream_tbENKUlT_T0_E_clISt17integral_constantIbLb1EES13_EEDaSY_SZ_EUlSY_E_NS1_11comp_targetILNS1_3genE10ELNS1_11target_archE1201ELNS1_3gpuE5ELNS1_3repE0EEENS1_30default_config_static_selectorELNS0_4arch9wavefront6targetE0EEEvT1_, .Lfunc_end1881-_ZN7rocprim17ROCPRIM_400000_NS6detail17trampoline_kernelINS0_14default_configENS1_27scan_by_key_config_selectorIj11FixedVectorIiLj1EEEEZZNS1_16scan_by_key_implILNS1_25lookback_scan_determinismE0ELb0ES3_N6thrust23THRUST_200600_302600_NS6detail15normal_iteratorINSB_10device_ptrIjEEEENSD_INSE_IS6_EEEESI_S6_NSB_4plusIvEENSB_8equal_toIvEES6_EE10hipError_tPvRmT2_T3_T4_T5_mT6_T7_P12ihipStream_tbENKUlT_T0_E_clISt17integral_constantIbLb1EES13_EEDaSY_SZ_EUlSY_E_NS1_11comp_targetILNS1_3genE10ELNS1_11target_archE1201ELNS1_3gpuE5ELNS1_3repE0EEENS1_30default_config_static_selectorELNS0_4arch9wavefront6targetE0EEEvT1_
                                        ; -- End function
	.set _ZN7rocprim17ROCPRIM_400000_NS6detail17trampoline_kernelINS0_14default_configENS1_27scan_by_key_config_selectorIj11FixedVectorIiLj1EEEEZZNS1_16scan_by_key_implILNS1_25lookback_scan_determinismE0ELb0ES3_N6thrust23THRUST_200600_302600_NS6detail15normal_iteratorINSB_10device_ptrIjEEEENSD_INSE_IS6_EEEESI_S6_NSB_4plusIvEENSB_8equal_toIvEES6_EE10hipError_tPvRmT2_T3_T4_T5_mT6_T7_P12ihipStream_tbENKUlT_T0_E_clISt17integral_constantIbLb1EES13_EEDaSY_SZ_EUlSY_E_NS1_11comp_targetILNS1_3genE10ELNS1_11target_archE1201ELNS1_3gpuE5ELNS1_3repE0EEENS1_30default_config_static_selectorELNS0_4arch9wavefront6targetE0EEEvT1_.num_vgpr, 0
	.set _ZN7rocprim17ROCPRIM_400000_NS6detail17trampoline_kernelINS0_14default_configENS1_27scan_by_key_config_selectorIj11FixedVectorIiLj1EEEEZZNS1_16scan_by_key_implILNS1_25lookback_scan_determinismE0ELb0ES3_N6thrust23THRUST_200600_302600_NS6detail15normal_iteratorINSB_10device_ptrIjEEEENSD_INSE_IS6_EEEESI_S6_NSB_4plusIvEENSB_8equal_toIvEES6_EE10hipError_tPvRmT2_T3_T4_T5_mT6_T7_P12ihipStream_tbENKUlT_T0_E_clISt17integral_constantIbLb1EES13_EEDaSY_SZ_EUlSY_E_NS1_11comp_targetILNS1_3genE10ELNS1_11target_archE1201ELNS1_3gpuE5ELNS1_3repE0EEENS1_30default_config_static_selectorELNS0_4arch9wavefront6targetE0EEEvT1_.num_agpr, 0
	.set _ZN7rocprim17ROCPRIM_400000_NS6detail17trampoline_kernelINS0_14default_configENS1_27scan_by_key_config_selectorIj11FixedVectorIiLj1EEEEZZNS1_16scan_by_key_implILNS1_25lookback_scan_determinismE0ELb0ES3_N6thrust23THRUST_200600_302600_NS6detail15normal_iteratorINSB_10device_ptrIjEEEENSD_INSE_IS6_EEEESI_S6_NSB_4plusIvEENSB_8equal_toIvEES6_EE10hipError_tPvRmT2_T3_T4_T5_mT6_T7_P12ihipStream_tbENKUlT_T0_E_clISt17integral_constantIbLb1EES13_EEDaSY_SZ_EUlSY_E_NS1_11comp_targetILNS1_3genE10ELNS1_11target_archE1201ELNS1_3gpuE5ELNS1_3repE0EEENS1_30default_config_static_selectorELNS0_4arch9wavefront6targetE0EEEvT1_.numbered_sgpr, 0
	.set _ZN7rocprim17ROCPRIM_400000_NS6detail17trampoline_kernelINS0_14default_configENS1_27scan_by_key_config_selectorIj11FixedVectorIiLj1EEEEZZNS1_16scan_by_key_implILNS1_25lookback_scan_determinismE0ELb0ES3_N6thrust23THRUST_200600_302600_NS6detail15normal_iteratorINSB_10device_ptrIjEEEENSD_INSE_IS6_EEEESI_S6_NSB_4plusIvEENSB_8equal_toIvEES6_EE10hipError_tPvRmT2_T3_T4_T5_mT6_T7_P12ihipStream_tbENKUlT_T0_E_clISt17integral_constantIbLb1EES13_EEDaSY_SZ_EUlSY_E_NS1_11comp_targetILNS1_3genE10ELNS1_11target_archE1201ELNS1_3gpuE5ELNS1_3repE0EEENS1_30default_config_static_selectorELNS0_4arch9wavefront6targetE0EEEvT1_.num_named_barrier, 0
	.set _ZN7rocprim17ROCPRIM_400000_NS6detail17trampoline_kernelINS0_14default_configENS1_27scan_by_key_config_selectorIj11FixedVectorIiLj1EEEEZZNS1_16scan_by_key_implILNS1_25lookback_scan_determinismE0ELb0ES3_N6thrust23THRUST_200600_302600_NS6detail15normal_iteratorINSB_10device_ptrIjEEEENSD_INSE_IS6_EEEESI_S6_NSB_4plusIvEENSB_8equal_toIvEES6_EE10hipError_tPvRmT2_T3_T4_T5_mT6_T7_P12ihipStream_tbENKUlT_T0_E_clISt17integral_constantIbLb1EES13_EEDaSY_SZ_EUlSY_E_NS1_11comp_targetILNS1_3genE10ELNS1_11target_archE1201ELNS1_3gpuE5ELNS1_3repE0EEENS1_30default_config_static_selectorELNS0_4arch9wavefront6targetE0EEEvT1_.private_seg_size, 0
	.set _ZN7rocprim17ROCPRIM_400000_NS6detail17trampoline_kernelINS0_14default_configENS1_27scan_by_key_config_selectorIj11FixedVectorIiLj1EEEEZZNS1_16scan_by_key_implILNS1_25lookback_scan_determinismE0ELb0ES3_N6thrust23THRUST_200600_302600_NS6detail15normal_iteratorINSB_10device_ptrIjEEEENSD_INSE_IS6_EEEESI_S6_NSB_4plusIvEENSB_8equal_toIvEES6_EE10hipError_tPvRmT2_T3_T4_T5_mT6_T7_P12ihipStream_tbENKUlT_T0_E_clISt17integral_constantIbLb1EES13_EEDaSY_SZ_EUlSY_E_NS1_11comp_targetILNS1_3genE10ELNS1_11target_archE1201ELNS1_3gpuE5ELNS1_3repE0EEENS1_30default_config_static_selectorELNS0_4arch9wavefront6targetE0EEEvT1_.uses_vcc, 0
	.set _ZN7rocprim17ROCPRIM_400000_NS6detail17trampoline_kernelINS0_14default_configENS1_27scan_by_key_config_selectorIj11FixedVectorIiLj1EEEEZZNS1_16scan_by_key_implILNS1_25lookback_scan_determinismE0ELb0ES3_N6thrust23THRUST_200600_302600_NS6detail15normal_iteratorINSB_10device_ptrIjEEEENSD_INSE_IS6_EEEESI_S6_NSB_4plusIvEENSB_8equal_toIvEES6_EE10hipError_tPvRmT2_T3_T4_T5_mT6_T7_P12ihipStream_tbENKUlT_T0_E_clISt17integral_constantIbLb1EES13_EEDaSY_SZ_EUlSY_E_NS1_11comp_targetILNS1_3genE10ELNS1_11target_archE1201ELNS1_3gpuE5ELNS1_3repE0EEENS1_30default_config_static_selectorELNS0_4arch9wavefront6targetE0EEEvT1_.uses_flat_scratch, 0
	.set _ZN7rocprim17ROCPRIM_400000_NS6detail17trampoline_kernelINS0_14default_configENS1_27scan_by_key_config_selectorIj11FixedVectorIiLj1EEEEZZNS1_16scan_by_key_implILNS1_25lookback_scan_determinismE0ELb0ES3_N6thrust23THRUST_200600_302600_NS6detail15normal_iteratorINSB_10device_ptrIjEEEENSD_INSE_IS6_EEEESI_S6_NSB_4plusIvEENSB_8equal_toIvEES6_EE10hipError_tPvRmT2_T3_T4_T5_mT6_T7_P12ihipStream_tbENKUlT_T0_E_clISt17integral_constantIbLb1EES13_EEDaSY_SZ_EUlSY_E_NS1_11comp_targetILNS1_3genE10ELNS1_11target_archE1201ELNS1_3gpuE5ELNS1_3repE0EEENS1_30default_config_static_selectorELNS0_4arch9wavefront6targetE0EEEvT1_.has_dyn_sized_stack, 0
	.set _ZN7rocprim17ROCPRIM_400000_NS6detail17trampoline_kernelINS0_14default_configENS1_27scan_by_key_config_selectorIj11FixedVectorIiLj1EEEEZZNS1_16scan_by_key_implILNS1_25lookback_scan_determinismE0ELb0ES3_N6thrust23THRUST_200600_302600_NS6detail15normal_iteratorINSB_10device_ptrIjEEEENSD_INSE_IS6_EEEESI_S6_NSB_4plusIvEENSB_8equal_toIvEES6_EE10hipError_tPvRmT2_T3_T4_T5_mT6_T7_P12ihipStream_tbENKUlT_T0_E_clISt17integral_constantIbLb1EES13_EEDaSY_SZ_EUlSY_E_NS1_11comp_targetILNS1_3genE10ELNS1_11target_archE1201ELNS1_3gpuE5ELNS1_3repE0EEENS1_30default_config_static_selectorELNS0_4arch9wavefront6targetE0EEEvT1_.has_recursion, 0
	.set _ZN7rocprim17ROCPRIM_400000_NS6detail17trampoline_kernelINS0_14default_configENS1_27scan_by_key_config_selectorIj11FixedVectorIiLj1EEEEZZNS1_16scan_by_key_implILNS1_25lookback_scan_determinismE0ELb0ES3_N6thrust23THRUST_200600_302600_NS6detail15normal_iteratorINSB_10device_ptrIjEEEENSD_INSE_IS6_EEEESI_S6_NSB_4plusIvEENSB_8equal_toIvEES6_EE10hipError_tPvRmT2_T3_T4_T5_mT6_T7_P12ihipStream_tbENKUlT_T0_E_clISt17integral_constantIbLb1EES13_EEDaSY_SZ_EUlSY_E_NS1_11comp_targetILNS1_3genE10ELNS1_11target_archE1201ELNS1_3gpuE5ELNS1_3repE0EEENS1_30default_config_static_selectorELNS0_4arch9wavefront6targetE0EEEvT1_.has_indirect_call, 0
	.section	.AMDGPU.csdata,"",@progbits
; Kernel info:
; codeLenInByte = 0
; TotalNumSgprs: 0
; NumVgprs: 0
; ScratchSize: 0
; MemoryBound: 0
; FloatMode: 240
; IeeeMode: 1
; LDSByteSize: 0 bytes/workgroup (compile time only)
; SGPRBlocks: 0
; VGPRBlocks: 0
; NumSGPRsForWavesPerEU: 1
; NumVGPRsForWavesPerEU: 1
; NamedBarCnt: 0
; Occupancy: 16
; WaveLimiterHint : 0
; COMPUTE_PGM_RSRC2:SCRATCH_EN: 0
; COMPUTE_PGM_RSRC2:USER_SGPR: 2
; COMPUTE_PGM_RSRC2:TRAP_HANDLER: 0
; COMPUTE_PGM_RSRC2:TGID_X_EN: 1
; COMPUTE_PGM_RSRC2:TGID_Y_EN: 0
; COMPUTE_PGM_RSRC2:TGID_Z_EN: 0
; COMPUTE_PGM_RSRC2:TIDIG_COMP_CNT: 0
	.section	.text._ZN7rocprim17ROCPRIM_400000_NS6detail17trampoline_kernelINS0_14default_configENS1_27scan_by_key_config_selectorIj11FixedVectorIiLj1EEEEZZNS1_16scan_by_key_implILNS1_25lookback_scan_determinismE0ELb0ES3_N6thrust23THRUST_200600_302600_NS6detail15normal_iteratorINSB_10device_ptrIjEEEENSD_INSE_IS6_EEEESI_S6_NSB_4plusIvEENSB_8equal_toIvEES6_EE10hipError_tPvRmT2_T3_T4_T5_mT6_T7_P12ihipStream_tbENKUlT_T0_E_clISt17integral_constantIbLb1EES13_EEDaSY_SZ_EUlSY_E_NS1_11comp_targetILNS1_3genE5ELNS1_11target_archE942ELNS1_3gpuE9ELNS1_3repE0EEENS1_30default_config_static_selectorELNS0_4arch9wavefront6targetE0EEEvT1_,"axG",@progbits,_ZN7rocprim17ROCPRIM_400000_NS6detail17trampoline_kernelINS0_14default_configENS1_27scan_by_key_config_selectorIj11FixedVectorIiLj1EEEEZZNS1_16scan_by_key_implILNS1_25lookback_scan_determinismE0ELb0ES3_N6thrust23THRUST_200600_302600_NS6detail15normal_iteratorINSB_10device_ptrIjEEEENSD_INSE_IS6_EEEESI_S6_NSB_4plusIvEENSB_8equal_toIvEES6_EE10hipError_tPvRmT2_T3_T4_T5_mT6_T7_P12ihipStream_tbENKUlT_T0_E_clISt17integral_constantIbLb1EES13_EEDaSY_SZ_EUlSY_E_NS1_11comp_targetILNS1_3genE5ELNS1_11target_archE942ELNS1_3gpuE9ELNS1_3repE0EEENS1_30default_config_static_selectorELNS0_4arch9wavefront6targetE0EEEvT1_,comdat
	.protected	_ZN7rocprim17ROCPRIM_400000_NS6detail17trampoline_kernelINS0_14default_configENS1_27scan_by_key_config_selectorIj11FixedVectorIiLj1EEEEZZNS1_16scan_by_key_implILNS1_25lookback_scan_determinismE0ELb0ES3_N6thrust23THRUST_200600_302600_NS6detail15normal_iteratorINSB_10device_ptrIjEEEENSD_INSE_IS6_EEEESI_S6_NSB_4plusIvEENSB_8equal_toIvEES6_EE10hipError_tPvRmT2_T3_T4_T5_mT6_T7_P12ihipStream_tbENKUlT_T0_E_clISt17integral_constantIbLb1EES13_EEDaSY_SZ_EUlSY_E_NS1_11comp_targetILNS1_3genE5ELNS1_11target_archE942ELNS1_3gpuE9ELNS1_3repE0EEENS1_30default_config_static_selectorELNS0_4arch9wavefront6targetE0EEEvT1_ ; -- Begin function _ZN7rocprim17ROCPRIM_400000_NS6detail17trampoline_kernelINS0_14default_configENS1_27scan_by_key_config_selectorIj11FixedVectorIiLj1EEEEZZNS1_16scan_by_key_implILNS1_25lookback_scan_determinismE0ELb0ES3_N6thrust23THRUST_200600_302600_NS6detail15normal_iteratorINSB_10device_ptrIjEEEENSD_INSE_IS6_EEEESI_S6_NSB_4plusIvEENSB_8equal_toIvEES6_EE10hipError_tPvRmT2_T3_T4_T5_mT6_T7_P12ihipStream_tbENKUlT_T0_E_clISt17integral_constantIbLb1EES13_EEDaSY_SZ_EUlSY_E_NS1_11comp_targetILNS1_3genE5ELNS1_11target_archE942ELNS1_3gpuE9ELNS1_3repE0EEENS1_30default_config_static_selectorELNS0_4arch9wavefront6targetE0EEEvT1_
	.globl	_ZN7rocprim17ROCPRIM_400000_NS6detail17trampoline_kernelINS0_14default_configENS1_27scan_by_key_config_selectorIj11FixedVectorIiLj1EEEEZZNS1_16scan_by_key_implILNS1_25lookback_scan_determinismE0ELb0ES3_N6thrust23THRUST_200600_302600_NS6detail15normal_iteratorINSB_10device_ptrIjEEEENSD_INSE_IS6_EEEESI_S6_NSB_4plusIvEENSB_8equal_toIvEES6_EE10hipError_tPvRmT2_T3_T4_T5_mT6_T7_P12ihipStream_tbENKUlT_T0_E_clISt17integral_constantIbLb1EES13_EEDaSY_SZ_EUlSY_E_NS1_11comp_targetILNS1_3genE5ELNS1_11target_archE942ELNS1_3gpuE9ELNS1_3repE0EEENS1_30default_config_static_selectorELNS0_4arch9wavefront6targetE0EEEvT1_
	.p2align	8
	.type	_ZN7rocprim17ROCPRIM_400000_NS6detail17trampoline_kernelINS0_14default_configENS1_27scan_by_key_config_selectorIj11FixedVectorIiLj1EEEEZZNS1_16scan_by_key_implILNS1_25lookback_scan_determinismE0ELb0ES3_N6thrust23THRUST_200600_302600_NS6detail15normal_iteratorINSB_10device_ptrIjEEEENSD_INSE_IS6_EEEESI_S6_NSB_4plusIvEENSB_8equal_toIvEES6_EE10hipError_tPvRmT2_T3_T4_T5_mT6_T7_P12ihipStream_tbENKUlT_T0_E_clISt17integral_constantIbLb1EES13_EEDaSY_SZ_EUlSY_E_NS1_11comp_targetILNS1_3genE5ELNS1_11target_archE942ELNS1_3gpuE9ELNS1_3repE0EEENS1_30default_config_static_selectorELNS0_4arch9wavefront6targetE0EEEvT1_,@function
_ZN7rocprim17ROCPRIM_400000_NS6detail17trampoline_kernelINS0_14default_configENS1_27scan_by_key_config_selectorIj11FixedVectorIiLj1EEEEZZNS1_16scan_by_key_implILNS1_25lookback_scan_determinismE0ELb0ES3_N6thrust23THRUST_200600_302600_NS6detail15normal_iteratorINSB_10device_ptrIjEEEENSD_INSE_IS6_EEEESI_S6_NSB_4plusIvEENSB_8equal_toIvEES6_EE10hipError_tPvRmT2_T3_T4_T5_mT6_T7_P12ihipStream_tbENKUlT_T0_E_clISt17integral_constantIbLb1EES13_EEDaSY_SZ_EUlSY_E_NS1_11comp_targetILNS1_3genE5ELNS1_11target_archE942ELNS1_3gpuE9ELNS1_3repE0EEENS1_30default_config_static_selectorELNS0_4arch9wavefront6targetE0EEEvT1_: ; @_ZN7rocprim17ROCPRIM_400000_NS6detail17trampoline_kernelINS0_14default_configENS1_27scan_by_key_config_selectorIj11FixedVectorIiLj1EEEEZZNS1_16scan_by_key_implILNS1_25lookback_scan_determinismE0ELb0ES3_N6thrust23THRUST_200600_302600_NS6detail15normal_iteratorINSB_10device_ptrIjEEEENSD_INSE_IS6_EEEESI_S6_NSB_4plusIvEENSB_8equal_toIvEES6_EE10hipError_tPvRmT2_T3_T4_T5_mT6_T7_P12ihipStream_tbENKUlT_T0_E_clISt17integral_constantIbLb1EES13_EEDaSY_SZ_EUlSY_E_NS1_11comp_targetILNS1_3genE5ELNS1_11target_archE942ELNS1_3gpuE9ELNS1_3repE0EEENS1_30default_config_static_selectorELNS0_4arch9wavefront6targetE0EEEvT1_
; %bb.0:
	.section	.rodata,"a",@progbits
	.p2align	6, 0x0
	.amdhsa_kernel _ZN7rocprim17ROCPRIM_400000_NS6detail17trampoline_kernelINS0_14default_configENS1_27scan_by_key_config_selectorIj11FixedVectorIiLj1EEEEZZNS1_16scan_by_key_implILNS1_25lookback_scan_determinismE0ELb0ES3_N6thrust23THRUST_200600_302600_NS6detail15normal_iteratorINSB_10device_ptrIjEEEENSD_INSE_IS6_EEEESI_S6_NSB_4plusIvEENSB_8equal_toIvEES6_EE10hipError_tPvRmT2_T3_T4_T5_mT6_T7_P12ihipStream_tbENKUlT_T0_E_clISt17integral_constantIbLb1EES13_EEDaSY_SZ_EUlSY_E_NS1_11comp_targetILNS1_3genE5ELNS1_11target_archE942ELNS1_3gpuE9ELNS1_3repE0EEENS1_30default_config_static_selectorELNS0_4arch9wavefront6targetE0EEEvT1_
		.amdhsa_group_segment_fixed_size 0
		.amdhsa_private_segment_fixed_size 0
		.amdhsa_kernarg_size 112
		.amdhsa_user_sgpr_count 2
		.amdhsa_user_sgpr_dispatch_ptr 0
		.amdhsa_user_sgpr_queue_ptr 0
		.amdhsa_user_sgpr_kernarg_segment_ptr 1
		.amdhsa_user_sgpr_dispatch_id 0
		.amdhsa_user_sgpr_kernarg_preload_length 0
		.amdhsa_user_sgpr_kernarg_preload_offset 0
		.amdhsa_user_sgpr_private_segment_size 0
		.amdhsa_wavefront_size32 1
		.amdhsa_uses_dynamic_stack 0
		.amdhsa_enable_private_segment 0
		.amdhsa_system_sgpr_workgroup_id_x 1
		.amdhsa_system_sgpr_workgroup_id_y 0
		.amdhsa_system_sgpr_workgroup_id_z 0
		.amdhsa_system_sgpr_workgroup_info 0
		.amdhsa_system_vgpr_workitem_id 0
		.amdhsa_next_free_vgpr 1
		.amdhsa_next_free_sgpr 1
		.amdhsa_named_barrier_count 0
		.amdhsa_reserve_vcc 0
		.amdhsa_float_round_mode_32 0
		.amdhsa_float_round_mode_16_64 0
		.amdhsa_float_denorm_mode_32 3
		.amdhsa_float_denorm_mode_16_64 3
		.amdhsa_fp16_overflow 0
		.amdhsa_memory_ordered 1
		.amdhsa_forward_progress 1
		.amdhsa_inst_pref_size 0
		.amdhsa_round_robin_scheduling 0
		.amdhsa_exception_fp_ieee_invalid_op 0
		.amdhsa_exception_fp_denorm_src 0
		.amdhsa_exception_fp_ieee_div_zero 0
		.amdhsa_exception_fp_ieee_overflow 0
		.amdhsa_exception_fp_ieee_underflow 0
		.amdhsa_exception_fp_ieee_inexact 0
		.amdhsa_exception_int_div_zero 0
	.end_amdhsa_kernel
	.section	.text._ZN7rocprim17ROCPRIM_400000_NS6detail17trampoline_kernelINS0_14default_configENS1_27scan_by_key_config_selectorIj11FixedVectorIiLj1EEEEZZNS1_16scan_by_key_implILNS1_25lookback_scan_determinismE0ELb0ES3_N6thrust23THRUST_200600_302600_NS6detail15normal_iteratorINSB_10device_ptrIjEEEENSD_INSE_IS6_EEEESI_S6_NSB_4plusIvEENSB_8equal_toIvEES6_EE10hipError_tPvRmT2_T3_T4_T5_mT6_T7_P12ihipStream_tbENKUlT_T0_E_clISt17integral_constantIbLb1EES13_EEDaSY_SZ_EUlSY_E_NS1_11comp_targetILNS1_3genE5ELNS1_11target_archE942ELNS1_3gpuE9ELNS1_3repE0EEENS1_30default_config_static_selectorELNS0_4arch9wavefront6targetE0EEEvT1_,"axG",@progbits,_ZN7rocprim17ROCPRIM_400000_NS6detail17trampoline_kernelINS0_14default_configENS1_27scan_by_key_config_selectorIj11FixedVectorIiLj1EEEEZZNS1_16scan_by_key_implILNS1_25lookback_scan_determinismE0ELb0ES3_N6thrust23THRUST_200600_302600_NS6detail15normal_iteratorINSB_10device_ptrIjEEEENSD_INSE_IS6_EEEESI_S6_NSB_4plusIvEENSB_8equal_toIvEES6_EE10hipError_tPvRmT2_T3_T4_T5_mT6_T7_P12ihipStream_tbENKUlT_T0_E_clISt17integral_constantIbLb1EES13_EEDaSY_SZ_EUlSY_E_NS1_11comp_targetILNS1_3genE5ELNS1_11target_archE942ELNS1_3gpuE9ELNS1_3repE0EEENS1_30default_config_static_selectorELNS0_4arch9wavefront6targetE0EEEvT1_,comdat
.Lfunc_end1882:
	.size	_ZN7rocprim17ROCPRIM_400000_NS6detail17trampoline_kernelINS0_14default_configENS1_27scan_by_key_config_selectorIj11FixedVectorIiLj1EEEEZZNS1_16scan_by_key_implILNS1_25lookback_scan_determinismE0ELb0ES3_N6thrust23THRUST_200600_302600_NS6detail15normal_iteratorINSB_10device_ptrIjEEEENSD_INSE_IS6_EEEESI_S6_NSB_4plusIvEENSB_8equal_toIvEES6_EE10hipError_tPvRmT2_T3_T4_T5_mT6_T7_P12ihipStream_tbENKUlT_T0_E_clISt17integral_constantIbLb1EES13_EEDaSY_SZ_EUlSY_E_NS1_11comp_targetILNS1_3genE5ELNS1_11target_archE942ELNS1_3gpuE9ELNS1_3repE0EEENS1_30default_config_static_selectorELNS0_4arch9wavefront6targetE0EEEvT1_, .Lfunc_end1882-_ZN7rocprim17ROCPRIM_400000_NS6detail17trampoline_kernelINS0_14default_configENS1_27scan_by_key_config_selectorIj11FixedVectorIiLj1EEEEZZNS1_16scan_by_key_implILNS1_25lookback_scan_determinismE0ELb0ES3_N6thrust23THRUST_200600_302600_NS6detail15normal_iteratorINSB_10device_ptrIjEEEENSD_INSE_IS6_EEEESI_S6_NSB_4plusIvEENSB_8equal_toIvEES6_EE10hipError_tPvRmT2_T3_T4_T5_mT6_T7_P12ihipStream_tbENKUlT_T0_E_clISt17integral_constantIbLb1EES13_EEDaSY_SZ_EUlSY_E_NS1_11comp_targetILNS1_3genE5ELNS1_11target_archE942ELNS1_3gpuE9ELNS1_3repE0EEENS1_30default_config_static_selectorELNS0_4arch9wavefront6targetE0EEEvT1_
                                        ; -- End function
	.set _ZN7rocprim17ROCPRIM_400000_NS6detail17trampoline_kernelINS0_14default_configENS1_27scan_by_key_config_selectorIj11FixedVectorIiLj1EEEEZZNS1_16scan_by_key_implILNS1_25lookback_scan_determinismE0ELb0ES3_N6thrust23THRUST_200600_302600_NS6detail15normal_iteratorINSB_10device_ptrIjEEEENSD_INSE_IS6_EEEESI_S6_NSB_4plusIvEENSB_8equal_toIvEES6_EE10hipError_tPvRmT2_T3_T4_T5_mT6_T7_P12ihipStream_tbENKUlT_T0_E_clISt17integral_constantIbLb1EES13_EEDaSY_SZ_EUlSY_E_NS1_11comp_targetILNS1_3genE5ELNS1_11target_archE942ELNS1_3gpuE9ELNS1_3repE0EEENS1_30default_config_static_selectorELNS0_4arch9wavefront6targetE0EEEvT1_.num_vgpr, 0
	.set _ZN7rocprim17ROCPRIM_400000_NS6detail17trampoline_kernelINS0_14default_configENS1_27scan_by_key_config_selectorIj11FixedVectorIiLj1EEEEZZNS1_16scan_by_key_implILNS1_25lookback_scan_determinismE0ELb0ES3_N6thrust23THRUST_200600_302600_NS6detail15normal_iteratorINSB_10device_ptrIjEEEENSD_INSE_IS6_EEEESI_S6_NSB_4plusIvEENSB_8equal_toIvEES6_EE10hipError_tPvRmT2_T3_T4_T5_mT6_T7_P12ihipStream_tbENKUlT_T0_E_clISt17integral_constantIbLb1EES13_EEDaSY_SZ_EUlSY_E_NS1_11comp_targetILNS1_3genE5ELNS1_11target_archE942ELNS1_3gpuE9ELNS1_3repE0EEENS1_30default_config_static_selectorELNS0_4arch9wavefront6targetE0EEEvT1_.num_agpr, 0
	.set _ZN7rocprim17ROCPRIM_400000_NS6detail17trampoline_kernelINS0_14default_configENS1_27scan_by_key_config_selectorIj11FixedVectorIiLj1EEEEZZNS1_16scan_by_key_implILNS1_25lookback_scan_determinismE0ELb0ES3_N6thrust23THRUST_200600_302600_NS6detail15normal_iteratorINSB_10device_ptrIjEEEENSD_INSE_IS6_EEEESI_S6_NSB_4plusIvEENSB_8equal_toIvEES6_EE10hipError_tPvRmT2_T3_T4_T5_mT6_T7_P12ihipStream_tbENKUlT_T0_E_clISt17integral_constantIbLb1EES13_EEDaSY_SZ_EUlSY_E_NS1_11comp_targetILNS1_3genE5ELNS1_11target_archE942ELNS1_3gpuE9ELNS1_3repE0EEENS1_30default_config_static_selectorELNS0_4arch9wavefront6targetE0EEEvT1_.numbered_sgpr, 0
	.set _ZN7rocprim17ROCPRIM_400000_NS6detail17trampoline_kernelINS0_14default_configENS1_27scan_by_key_config_selectorIj11FixedVectorIiLj1EEEEZZNS1_16scan_by_key_implILNS1_25lookback_scan_determinismE0ELb0ES3_N6thrust23THRUST_200600_302600_NS6detail15normal_iteratorINSB_10device_ptrIjEEEENSD_INSE_IS6_EEEESI_S6_NSB_4plusIvEENSB_8equal_toIvEES6_EE10hipError_tPvRmT2_T3_T4_T5_mT6_T7_P12ihipStream_tbENKUlT_T0_E_clISt17integral_constantIbLb1EES13_EEDaSY_SZ_EUlSY_E_NS1_11comp_targetILNS1_3genE5ELNS1_11target_archE942ELNS1_3gpuE9ELNS1_3repE0EEENS1_30default_config_static_selectorELNS0_4arch9wavefront6targetE0EEEvT1_.num_named_barrier, 0
	.set _ZN7rocprim17ROCPRIM_400000_NS6detail17trampoline_kernelINS0_14default_configENS1_27scan_by_key_config_selectorIj11FixedVectorIiLj1EEEEZZNS1_16scan_by_key_implILNS1_25lookback_scan_determinismE0ELb0ES3_N6thrust23THRUST_200600_302600_NS6detail15normal_iteratorINSB_10device_ptrIjEEEENSD_INSE_IS6_EEEESI_S6_NSB_4plusIvEENSB_8equal_toIvEES6_EE10hipError_tPvRmT2_T3_T4_T5_mT6_T7_P12ihipStream_tbENKUlT_T0_E_clISt17integral_constantIbLb1EES13_EEDaSY_SZ_EUlSY_E_NS1_11comp_targetILNS1_3genE5ELNS1_11target_archE942ELNS1_3gpuE9ELNS1_3repE0EEENS1_30default_config_static_selectorELNS0_4arch9wavefront6targetE0EEEvT1_.private_seg_size, 0
	.set _ZN7rocprim17ROCPRIM_400000_NS6detail17trampoline_kernelINS0_14default_configENS1_27scan_by_key_config_selectorIj11FixedVectorIiLj1EEEEZZNS1_16scan_by_key_implILNS1_25lookback_scan_determinismE0ELb0ES3_N6thrust23THRUST_200600_302600_NS6detail15normal_iteratorINSB_10device_ptrIjEEEENSD_INSE_IS6_EEEESI_S6_NSB_4plusIvEENSB_8equal_toIvEES6_EE10hipError_tPvRmT2_T3_T4_T5_mT6_T7_P12ihipStream_tbENKUlT_T0_E_clISt17integral_constantIbLb1EES13_EEDaSY_SZ_EUlSY_E_NS1_11comp_targetILNS1_3genE5ELNS1_11target_archE942ELNS1_3gpuE9ELNS1_3repE0EEENS1_30default_config_static_selectorELNS0_4arch9wavefront6targetE0EEEvT1_.uses_vcc, 0
	.set _ZN7rocprim17ROCPRIM_400000_NS6detail17trampoline_kernelINS0_14default_configENS1_27scan_by_key_config_selectorIj11FixedVectorIiLj1EEEEZZNS1_16scan_by_key_implILNS1_25lookback_scan_determinismE0ELb0ES3_N6thrust23THRUST_200600_302600_NS6detail15normal_iteratorINSB_10device_ptrIjEEEENSD_INSE_IS6_EEEESI_S6_NSB_4plusIvEENSB_8equal_toIvEES6_EE10hipError_tPvRmT2_T3_T4_T5_mT6_T7_P12ihipStream_tbENKUlT_T0_E_clISt17integral_constantIbLb1EES13_EEDaSY_SZ_EUlSY_E_NS1_11comp_targetILNS1_3genE5ELNS1_11target_archE942ELNS1_3gpuE9ELNS1_3repE0EEENS1_30default_config_static_selectorELNS0_4arch9wavefront6targetE0EEEvT1_.uses_flat_scratch, 0
	.set _ZN7rocprim17ROCPRIM_400000_NS6detail17trampoline_kernelINS0_14default_configENS1_27scan_by_key_config_selectorIj11FixedVectorIiLj1EEEEZZNS1_16scan_by_key_implILNS1_25lookback_scan_determinismE0ELb0ES3_N6thrust23THRUST_200600_302600_NS6detail15normal_iteratorINSB_10device_ptrIjEEEENSD_INSE_IS6_EEEESI_S6_NSB_4plusIvEENSB_8equal_toIvEES6_EE10hipError_tPvRmT2_T3_T4_T5_mT6_T7_P12ihipStream_tbENKUlT_T0_E_clISt17integral_constantIbLb1EES13_EEDaSY_SZ_EUlSY_E_NS1_11comp_targetILNS1_3genE5ELNS1_11target_archE942ELNS1_3gpuE9ELNS1_3repE0EEENS1_30default_config_static_selectorELNS0_4arch9wavefront6targetE0EEEvT1_.has_dyn_sized_stack, 0
	.set _ZN7rocprim17ROCPRIM_400000_NS6detail17trampoline_kernelINS0_14default_configENS1_27scan_by_key_config_selectorIj11FixedVectorIiLj1EEEEZZNS1_16scan_by_key_implILNS1_25lookback_scan_determinismE0ELb0ES3_N6thrust23THRUST_200600_302600_NS6detail15normal_iteratorINSB_10device_ptrIjEEEENSD_INSE_IS6_EEEESI_S6_NSB_4plusIvEENSB_8equal_toIvEES6_EE10hipError_tPvRmT2_T3_T4_T5_mT6_T7_P12ihipStream_tbENKUlT_T0_E_clISt17integral_constantIbLb1EES13_EEDaSY_SZ_EUlSY_E_NS1_11comp_targetILNS1_3genE5ELNS1_11target_archE942ELNS1_3gpuE9ELNS1_3repE0EEENS1_30default_config_static_selectorELNS0_4arch9wavefront6targetE0EEEvT1_.has_recursion, 0
	.set _ZN7rocprim17ROCPRIM_400000_NS6detail17trampoline_kernelINS0_14default_configENS1_27scan_by_key_config_selectorIj11FixedVectorIiLj1EEEEZZNS1_16scan_by_key_implILNS1_25lookback_scan_determinismE0ELb0ES3_N6thrust23THRUST_200600_302600_NS6detail15normal_iteratorINSB_10device_ptrIjEEEENSD_INSE_IS6_EEEESI_S6_NSB_4plusIvEENSB_8equal_toIvEES6_EE10hipError_tPvRmT2_T3_T4_T5_mT6_T7_P12ihipStream_tbENKUlT_T0_E_clISt17integral_constantIbLb1EES13_EEDaSY_SZ_EUlSY_E_NS1_11comp_targetILNS1_3genE5ELNS1_11target_archE942ELNS1_3gpuE9ELNS1_3repE0EEENS1_30default_config_static_selectorELNS0_4arch9wavefront6targetE0EEEvT1_.has_indirect_call, 0
	.section	.AMDGPU.csdata,"",@progbits
; Kernel info:
; codeLenInByte = 0
; TotalNumSgprs: 0
; NumVgprs: 0
; ScratchSize: 0
; MemoryBound: 0
; FloatMode: 240
; IeeeMode: 1
; LDSByteSize: 0 bytes/workgroup (compile time only)
; SGPRBlocks: 0
; VGPRBlocks: 0
; NumSGPRsForWavesPerEU: 1
; NumVGPRsForWavesPerEU: 1
; NamedBarCnt: 0
; Occupancy: 16
; WaveLimiterHint : 0
; COMPUTE_PGM_RSRC2:SCRATCH_EN: 0
; COMPUTE_PGM_RSRC2:USER_SGPR: 2
; COMPUTE_PGM_RSRC2:TRAP_HANDLER: 0
; COMPUTE_PGM_RSRC2:TGID_X_EN: 1
; COMPUTE_PGM_RSRC2:TGID_Y_EN: 0
; COMPUTE_PGM_RSRC2:TGID_Z_EN: 0
; COMPUTE_PGM_RSRC2:TIDIG_COMP_CNT: 0
	.section	.text._ZN7rocprim17ROCPRIM_400000_NS6detail17trampoline_kernelINS0_14default_configENS1_27scan_by_key_config_selectorIj11FixedVectorIiLj1EEEEZZNS1_16scan_by_key_implILNS1_25lookback_scan_determinismE0ELb0ES3_N6thrust23THRUST_200600_302600_NS6detail15normal_iteratorINSB_10device_ptrIjEEEENSD_INSE_IS6_EEEESI_S6_NSB_4plusIvEENSB_8equal_toIvEES6_EE10hipError_tPvRmT2_T3_T4_T5_mT6_T7_P12ihipStream_tbENKUlT_T0_E_clISt17integral_constantIbLb1EES13_EEDaSY_SZ_EUlSY_E_NS1_11comp_targetILNS1_3genE4ELNS1_11target_archE910ELNS1_3gpuE8ELNS1_3repE0EEENS1_30default_config_static_selectorELNS0_4arch9wavefront6targetE0EEEvT1_,"axG",@progbits,_ZN7rocprim17ROCPRIM_400000_NS6detail17trampoline_kernelINS0_14default_configENS1_27scan_by_key_config_selectorIj11FixedVectorIiLj1EEEEZZNS1_16scan_by_key_implILNS1_25lookback_scan_determinismE0ELb0ES3_N6thrust23THRUST_200600_302600_NS6detail15normal_iteratorINSB_10device_ptrIjEEEENSD_INSE_IS6_EEEESI_S6_NSB_4plusIvEENSB_8equal_toIvEES6_EE10hipError_tPvRmT2_T3_T4_T5_mT6_T7_P12ihipStream_tbENKUlT_T0_E_clISt17integral_constantIbLb1EES13_EEDaSY_SZ_EUlSY_E_NS1_11comp_targetILNS1_3genE4ELNS1_11target_archE910ELNS1_3gpuE8ELNS1_3repE0EEENS1_30default_config_static_selectorELNS0_4arch9wavefront6targetE0EEEvT1_,comdat
	.protected	_ZN7rocprim17ROCPRIM_400000_NS6detail17trampoline_kernelINS0_14default_configENS1_27scan_by_key_config_selectorIj11FixedVectorIiLj1EEEEZZNS1_16scan_by_key_implILNS1_25lookback_scan_determinismE0ELb0ES3_N6thrust23THRUST_200600_302600_NS6detail15normal_iteratorINSB_10device_ptrIjEEEENSD_INSE_IS6_EEEESI_S6_NSB_4plusIvEENSB_8equal_toIvEES6_EE10hipError_tPvRmT2_T3_T4_T5_mT6_T7_P12ihipStream_tbENKUlT_T0_E_clISt17integral_constantIbLb1EES13_EEDaSY_SZ_EUlSY_E_NS1_11comp_targetILNS1_3genE4ELNS1_11target_archE910ELNS1_3gpuE8ELNS1_3repE0EEENS1_30default_config_static_selectorELNS0_4arch9wavefront6targetE0EEEvT1_ ; -- Begin function _ZN7rocprim17ROCPRIM_400000_NS6detail17trampoline_kernelINS0_14default_configENS1_27scan_by_key_config_selectorIj11FixedVectorIiLj1EEEEZZNS1_16scan_by_key_implILNS1_25lookback_scan_determinismE0ELb0ES3_N6thrust23THRUST_200600_302600_NS6detail15normal_iteratorINSB_10device_ptrIjEEEENSD_INSE_IS6_EEEESI_S6_NSB_4plusIvEENSB_8equal_toIvEES6_EE10hipError_tPvRmT2_T3_T4_T5_mT6_T7_P12ihipStream_tbENKUlT_T0_E_clISt17integral_constantIbLb1EES13_EEDaSY_SZ_EUlSY_E_NS1_11comp_targetILNS1_3genE4ELNS1_11target_archE910ELNS1_3gpuE8ELNS1_3repE0EEENS1_30default_config_static_selectorELNS0_4arch9wavefront6targetE0EEEvT1_
	.globl	_ZN7rocprim17ROCPRIM_400000_NS6detail17trampoline_kernelINS0_14default_configENS1_27scan_by_key_config_selectorIj11FixedVectorIiLj1EEEEZZNS1_16scan_by_key_implILNS1_25lookback_scan_determinismE0ELb0ES3_N6thrust23THRUST_200600_302600_NS6detail15normal_iteratorINSB_10device_ptrIjEEEENSD_INSE_IS6_EEEESI_S6_NSB_4plusIvEENSB_8equal_toIvEES6_EE10hipError_tPvRmT2_T3_T4_T5_mT6_T7_P12ihipStream_tbENKUlT_T0_E_clISt17integral_constantIbLb1EES13_EEDaSY_SZ_EUlSY_E_NS1_11comp_targetILNS1_3genE4ELNS1_11target_archE910ELNS1_3gpuE8ELNS1_3repE0EEENS1_30default_config_static_selectorELNS0_4arch9wavefront6targetE0EEEvT1_
	.p2align	8
	.type	_ZN7rocprim17ROCPRIM_400000_NS6detail17trampoline_kernelINS0_14default_configENS1_27scan_by_key_config_selectorIj11FixedVectorIiLj1EEEEZZNS1_16scan_by_key_implILNS1_25lookback_scan_determinismE0ELb0ES3_N6thrust23THRUST_200600_302600_NS6detail15normal_iteratorINSB_10device_ptrIjEEEENSD_INSE_IS6_EEEESI_S6_NSB_4plusIvEENSB_8equal_toIvEES6_EE10hipError_tPvRmT2_T3_T4_T5_mT6_T7_P12ihipStream_tbENKUlT_T0_E_clISt17integral_constantIbLb1EES13_EEDaSY_SZ_EUlSY_E_NS1_11comp_targetILNS1_3genE4ELNS1_11target_archE910ELNS1_3gpuE8ELNS1_3repE0EEENS1_30default_config_static_selectorELNS0_4arch9wavefront6targetE0EEEvT1_,@function
_ZN7rocprim17ROCPRIM_400000_NS6detail17trampoline_kernelINS0_14default_configENS1_27scan_by_key_config_selectorIj11FixedVectorIiLj1EEEEZZNS1_16scan_by_key_implILNS1_25lookback_scan_determinismE0ELb0ES3_N6thrust23THRUST_200600_302600_NS6detail15normal_iteratorINSB_10device_ptrIjEEEENSD_INSE_IS6_EEEESI_S6_NSB_4plusIvEENSB_8equal_toIvEES6_EE10hipError_tPvRmT2_T3_T4_T5_mT6_T7_P12ihipStream_tbENKUlT_T0_E_clISt17integral_constantIbLb1EES13_EEDaSY_SZ_EUlSY_E_NS1_11comp_targetILNS1_3genE4ELNS1_11target_archE910ELNS1_3gpuE8ELNS1_3repE0EEENS1_30default_config_static_selectorELNS0_4arch9wavefront6targetE0EEEvT1_: ; @_ZN7rocprim17ROCPRIM_400000_NS6detail17trampoline_kernelINS0_14default_configENS1_27scan_by_key_config_selectorIj11FixedVectorIiLj1EEEEZZNS1_16scan_by_key_implILNS1_25lookback_scan_determinismE0ELb0ES3_N6thrust23THRUST_200600_302600_NS6detail15normal_iteratorINSB_10device_ptrIjEEEENSD_INSE_IS6_EEEESI_S6_NSB_4plusIvEENSB_8equal_toIvEES6_EE10hipError_tPvRmT2_T3_T4_T5_mT6_T7_P12ihipStream_tbENKUlT_T0_E_clISt17integral_constantIbLb1EES13_EEDaSY_SZ_EUlSY_E_NS1_11comp_targetILNS1_3genE4ELNS1_11target_archE910ELNS1_3gpuE8ELNS1_3repE0EEENS1_30default_config_static_selectorELNS0_4arch9wavefront6targetE0EEEvT1_
; %bb.0:
	.section	.rodata,"a",@progbits
	.p2align	6, 0x0
	.amdhsa_kernel _ZN7rocprim17ROCPRIM_400000_NS6detail17trampoline_kernelINS0_14default_configENS1_27scan_by_key_config_selectorIj11FixedVectorIiLj1EEEEZZNS1_16scan_by_key_implILNS1_25lookback_scan_determinismE0ELb0ES3_N6thrust23THRUST_200600_302600_NS6detail15normal_iteratorINSB_10device_ptrIjEEEENSD_INSE_IS6_EEEESI_S6_NSB_4plusIvEENSB_8equal_toIvEES6_EE10hipError_tPvRmT2_T3_T4_T5_mT6_T7_P12ihipStream_tbENKUlT_T0_E_clISt17integral_constantIbLb1EES13_EEDaSY_SZ_EUlSY_E_NS1_11comp_targetILNS1_3genE4ELNS1_11target_archE910ELNS1_3gpuE8ELNS1_3repE0EEENS1_30default_config_static_selectorELNS0_4arch9wavefront6targetE0EEEvT1_
		.amdhsa_group_segment_fixed_size 0
		.amdhsa_private_segment_fixed_size 0
		.amdhsa_kernarg_size 112
		.amdhsa_user_sgpr_count 2
		.amdhsa_user_sgpr_dispatch_ptr 0
		.amdhsa_user_sgpr_queue_ptr 0
		.amdhsa_user_sgpr_kernarg_segment_ptr 1
		.amdhsa_user_sgpr_dispatch_id 0
		.amdhsa_user_sgpr_kernarg_preload_length 0
		.amdhsa_user_sgpr_kernarg_preload_offset 0
		.amdhsa_user_sgpr_private_segment_size 0
		.amdhsa_wavefront_size32 1
		.amdhsa_uses_dynamic_stack 0
		.amdhsa_enable_private_segment 0
		.amdhsa_system_sgpr_workgroup_id_x 1
		.amdhsa_system_sgpr_workgroup_id_y 0
		.amdhsa_system_sgpr_workgroup_id_z 0
		.amdhsa_system_sgpr_workgroup_info 0
		.amdhsa_system_vgpr_workitem_id 0
		.amdhsa_next_free_vgpr 1
		.amdhsa_next_free_sgpr 1
		.amdhsa_named_barrier_count 0
		.amdhsa_reserve_vcc 0
		.amdhsa_float_round_mode_32 0
		.amdhsa_float_round_mode_16_64 0
		.amdhsa_float_denorm_mode_32 3
		.amdhsa_float_denorm_mode_16_64 3
		.amdhsa_fp16_overflow 0
		.amdhsa_memory_ordered 1
		.amdhsa_forward_progress 1
		.amdhsa_inst_pref_size 0
		.amdhsa_round_robin_scheduling 0
		.amdhsa_exception_fp_ieee_invalid_op 0
		.amdhsa_exception_fp_denorm_src 0
		.amdhsa_exception_fp_ieee_div_zero 0
		.amdhsa_exception_fp_ieee_overflow 0
		.amdhsa_exception_fp_ieee_underflow 0
		.amdhsa_exception_fp_ieee_inexact 0
		.amdhsa_exception_int_div_zero 0
	.end_amdhsa_kernel
	.section	.text._ZN7rocprim17ROCPRIM_400000_NS6detail17trampoline_kernelINS0_14default_configENS1_27scan_by_key_config_selectorIj11FixedVectorIiLj1EEEEZZNS1_16scan_by_key_implILNS1_25lookback_scan_determinismE0ELb0ES3_N6thrust23THRUST_200600_302600_NS6detail15normal_iteratorINSB_10device_ptrIjEEEENSD_INSE_IS6_EEEESI_S6_NSB_4plusIvEENSB_8equal_toIvEES6_EE10hipError_tPvRmT2_T3_T4_T5_mT6_T7_P12ihipStream_tbENKUlT_T0_E_clISt17integral_constantIbLb1EES13_EEDaSY_SZ_EUlSY_E_NS1_11comp_targetILNS1_3genE4ELNS1_11target_archE910ELNS1_3gpuE8ELNS1_3repE0EEENS1_30default_config_static_selectorELNS0_4arch9wavefront6targetE0EEEvT1_,"axG",@progbits,_ZN7rocprim17ROCPRIM_400000_NS6detail17trampoline_kernelINS0_14default_configENS1_27scan_by_key_config_selectorIj11FixedVectorIiLj1EEEEZZNS1_16scan_by_key_implILNS1_25lookback_scan_determinismE0ELb0ES3_N6thrust23THRUST_200600_302600_NS6detail15normal_iteratorINSB_10device_ptrIjEEEENSD_INSE_IS6_EEEESI_S6_NSB_4plusIvEENSB_8equal_toIvEES6_EE10hipError_tPvRmT2_T3_T4_T5_mT6_T7_P12ihipStream_tbENKUlT_T0_E_clISt17integral_constantIbLb1EES13_EEDaSY_SZ_EUlSY_E_NS1_11comp_targetILNS1_3genE4ELNS1_11target_archE910ELNS1_3gpuE8ELNS1_3repE0EEENS1_30default_config_static_selectorELNS0_4arch9wavefront6targetE0EEEvT1_,comdat
.Lfunc_end1883:
	.size	_ZN7rocprim17ROCPRIM_400000_NS6detail17trampoline_kernelINS0_14default_configENS1_27scan_by_key_config_selectorIj11FixedVectorIiLj1EEEEZZNS1_16scan_by_key_implILNS1_25lookback_scan_determinismE0ELb0ES3_N6thrust23THRUST_200600_302600_NS6detail15normal_iteratorINSB_10device_ptrIjEEEENSD_INSE_IS6_EEEESI_S6_NSB_4plusIvEENSB_8equal_toIvEES6_EE10hipError_tPvRmT2_T3_T4_T5_mT6_T7_P12ihipStream_tbENKUlT_T0_E_clISt17integral_constantIbLb1EES13_EEDaSY_SZ_EUlSY_E_NS1_11comp_targetILNS1_3genE4ELNS1_11target_archE910ELNS1_3gpuE8ELNS1_3repE0EEENS1_30default_config_static_selectorELNS0_4arch9wavefront6targetE0EEEvT1_, .Lfunc_end1883-_ZN7rocprim17ROCPRIM_400000_NS6detail17trampoline_kernelINS0_14default_configENS1_27scan_by_key_config_selectorIj11FixedVectorIiLj1EEEEZZNS1_16scan_by_key_implILNS1_25lookback_scan_determinismE0ELb0ES3_N6thrust23THRUST_200600_302600_NS6detail15normal_iteratorINSB_10device_ptrIjEEEENSD_INSE_IS6_EEEESI_S6_NSB_4plusIvEENSB_8equal_toIvEES6_EE10hipError_tPvRmT2_T3_T4_T5_mT6_T7_P12ihipStream_tbENKUlT_T0_E_clISt17integral_constantIbLb1EES13_EEDaSY_SZ_EUlSY_E_NS1_11comp_targetILNS1_3genE4ELNS1_11target_archE910ELNS1_3gpuE8ELNS1_3repE0EEENS1_30default_config_static_selectorELNS0_4arch9wavefront6targetE0EEEvT1_
                                        ; -- End function
	.set _ZN7rocprim17ROCPRIM_400000_NS6detail17trampoline_kernelINS0_14default_configENS1_27scan_by_key_config_selectorIj11FixedVectorIiLj1EEEEZZNS1_16scan_by_key_implILNS1_25lookback_scan_determinismE0ELb0ES3_N6thrust23THRUST_200600_302600_NS6detail15normal_iteratorINSB_10device_ptrIjEEEENSD_INSE_IS6_EEEESI_S6_NSB_4plusIvEENSB_8equal_toIvEES6_EE10hipError_tPvRmT2_T3_T4_T5_mT6_T7_P12ihipStream_tbENKUlT_T0_E_clISt17integral_constantIbLb1EES13_EEDaSY_SZ_EUlSY_E_NS1_11comp_targetILNS1_3genE4ELNS1_11target_archE910ELNS1_3gpuE8ELNS1_3repE0EEENS1_30default_config_static_selectorELNS0_4arch9wavefront6targetE0EEEvT1_.num_vgpr, 0
	.set _ZN7rocprim17ROCPRIM_400000_NS6detail17trampoline_kernelINS0_14default_configENS1_27scan_by_key_config_selectorIj11FixedVectorIiLj1EEEEZZNS1_16scan_by_key_implILNS1_25lookback_scan_determinismE0ELb0ES3_N6thrust23THRUST_200600_302600_NS6detail15normal_iteratorINSB_10device_ptrIjEEEENSD_INSE_IS6_EEEESI_S6_NSB_4plusIvEENSB_8equal_toIvEES6_EE10hipError_tPvRmT2_T3_T4_T5_mT6_T7_P12ihipStream_tbENKUlT_T0_E_clISt17integral_constantIbLb1EES13_EEDaSY_SZ_EUlSY_E_NS1_11comp_targetILNS1_3genE4ELNS1_11target_archE910ELNS1_3gpuE8ELNS1_3repE0EEENS1_30default_config_static_selectorELNS0_4arch9wavefront6targetE0EEEvT1_.num_agpr, 0
	.set _ZN7rocprim17ROCPRIM_400000_NS6detail17trampoline_kernelINS0_14default_configENS1_27scan_by_key_config_selectorIj11FixedVectorIiLj1EEEEZZNS1_16scan_by_key_implILNS1_25lookback_scan_determinismE0ELb0ES3_N6thrust23THRUST_200600_302600_NS6detail15normal_iteratorINSB_10device_ptrIjEEEENSD_INSE_IS6_EEEESI_S6_NSB_4plusIvEENSB_8equal_toIvEES6_EE10hipError_tPvRmT2_T3_T4_T5_mT6_T7_P12ihipStream_tbENKUlT_T0_E_clISt17integral_constantIbLb1EES13_EEDaSY_SZ_EUlSY_E_NS1_11comp_targetILNS1_3genE4ELNS1_11target_archE910ELNS1_3gpuE8ELNS1_3repE0EEENS1_30default_config_static_selectorELNS0_4arch9wavefront6targetE0EEEvT1_.numbered_sgpr, 0
	.set _ZN7rocprim17ROCPRIM_400000_NS6detail17trampoline_kernelINS0_14default_configENS1_27scan_by_key_config_selectorIj11FixedVectorIiLj1EEEEZZNS1_16scan_by_key_implILNS1_25lookback_scan_determinismE0ELb0ES3_N6thrust23THRUST_200600_302600_NS6detail15normal_iteratorINSB_10device_ptrIjEEEENSD_INSE_IS6_EEEESI_S6_NSB_4plusIvEENSB_8equal_toIvEES6_EE10hipError_tPvRmT2_T3_T4_T5_mT6_T7_P12ihipStream_tbENKUlT_T0_E_clISt17integral_constantIbLb1EES13_EEDaSY_SZ_EUlSY_E_NS1_11comp_targetILNS1_3genE4ELNS1_11target_archE910ELNS1_3gpuE8ELNS1_3repE0EEENS1_30default_config_static_selectorELNS0_4arch9wavefront6targetE0EEEvT1_.num_named_barrier, 0
	.set _ZN7rocprim17ROCPRIM_400000_NS6detail17trampoline_kernelINS0_14default_configENS1_27scan_by_key_config_selectorIj11FixedVectorIiLj1EEEEZZNS1_16scan_by_key_implILNS1_25lookback_scan_determinismE0ELb0ES3_N6thrust23THRUST_200600_302600_NS6detail15normal_iteratorINSB_10device_ptrIjEEEENSD_INSE_IS6_EEEESI_S6_NSB_4plusIvEENSB_8equal_toIvEES6_EE10hipError_tPvRmT2_T3_T4_T5_mT6_T7_P12ihipStream_tbENKUlT_T0_E_clISt17integral_constantIbLb1EES13_EEDaSY_SZ_EUlSY_E_NS1_11comp_targetILNS1_3genE4ELNS1_11target_archE910ELNS1_3gpuE8ELNS1_3repE0EEENS1_30default_config_static_selectorELNS0_4arch9wavefront6targetE0EEEvT1_.private_seg_size, 0
	.set _ZN7rocprim17ROCPRIM_400000_NS6detail17trampoline_kernelINS0_14default_configENS1_27scan_by_key_config_selectorIj11FixedVectorIiLj1EEEEZZNS1_16scan_by_key_implILNS1_25lookback_scan_determinismE0ELb0ES3_N6thrust23THRUST_200600_302600_NS6detail15normal_iteratorINSB_10device_ptrIjEEEENSD_INSE_IS6_EEEESI_S6_NSB_4plusIvEENSB_8equal_toIvEES6_EE10hipError_tPvRmT2_T3_T4_T5_mT6_T7_P12ihipStream_tbENKUlT_T0_E_clISt17integral_constantIbLb1EES13_EEDaSY_SZ_EUlSY_E_NS1_11comp_targetILNS1_3genE4ELNS1_11target_archE910ELNS1_3gpuE8ELNS1_3repE0EEENS1_30default_config_static_selectorELNS0_4arch9wavefront6targetE0EEEvT1_.uses_vcc, 0
	.set _ZN7rocprim17ROCPRIM_400000_NS6detail17trampoline_kernelINS0_14default_configENS1_27scan_by_key_config_selectorIj11FixedVectorIiLj1EEEEZZNS1_16scan_by_key_implILNS1_25lookback_scan_determinismE0ELb0ES3_N6thrust23THRUST_200600_302600_NS6detail15normal_iteratorINSB_10device_ptrIjEEEENSD_INSE_IS6_EEEESI_S6_NSB_4plusIvEENSB_8equal_toIvEES6_EE10hipError_tPvRmT2_T3_T4_T5_mT6_T7_P12ihipStream_tbENKUlT_T0_E_clISt17integral_constantIbLb1EES13_EEDaSY_SZ_EUlSY_E_NS1_11comp_targetILNS1_3genE4ELNS1_11target_archE910ELNS1_3gpuE8ELNS1_3repE0EEENS1_30default_config_static_selectorELNS0_4arch9wavefront6targetE0EEEvT1_.uses_flat_scratch, 0
	.set _ZN7rocprim17ROCPRIM_400000_NS6detail17trampoline_kernelINS0_14default_configENS1_27scan_by_key_config_selectorIj11FixedVectorIiLj1EEEEZZNS1_16scan_by_key_implILNS1_25lookback_scan_determinismE0ELb0ES3_N6thrust23THRUST_200600_302600_NS6detail15normal_iteratorINSB_10device_ptrIjEEEENSD_INSE_IS6_EEEESI_S6_NSB_4plusIvEENSB_8equal_toIvEES6_EE10hipError_tPvRmT2_T3_T4_T5_mT6_T7_P12ihipStream_tbENKUlT_T0_E_clISt17integral_constantIbLb1EES13_EEDaSY_SZ_EUlSY_E_NS1_11comp_targetILNS1_3genE4ELNS1_11target_archE910ELNS1_3gpuE8ELNS1_3repE0EEENS1_30default_config_static_selectorELNS0_4arch9wavefront6targetE0EEEvT1_.has_dyn_sized_stack, 0
	.set _ZN7rocprim17ROCPRIM_400000_NS6detail17trampoline_kernelINS0_14default_configENS1_27scan_by_key_config_selectorIj11FixedVectorIiLj1EEEEZZNS1_16scan_by_key_implILNS1_25lookback_scan_determinismE0ELb0ES3_N6thrust23THRUST_200600_302600_NS6detail15normal_iteratorINSB_10device_ptrIjEEEENSD_INSE_IS6_EEEESI_S6_NSB_4plusIvEENSB_8equal_toIvEES6_EE10hipError_tPvRmT2_T3_T4_T5_mT6_T7_P12ihipStream_tbENKUlT_T0_E_clISt17integral_constantIbLb1EES13_EEDaSY_SZ_EUlSY_E_NS1_11comp_targetILNS1_3genE4ELNS1_11target_archE910ELNS1_3gpuE8ELNS1_3repE0EEENS1_30default_config_static_selectorELNS0_4arch9wavefront6targetE0EEEvT1_.has_recursion, 0
	.set _ZN7rocprim17ROCPRIM_400000_NS6detail17trampoline_kernelINS0_14default_configENS1_27scan_by_key_config_selectorIj11FixedVectorIiLj1EEEEZZNS1_16scan_by_key_implILNS1_25lookback_scan_determinismE0ELb0ES3_N6thrust23THRUST_200600_302600_NS6detail15normal_iteratorINSB_10device_ptrIjEEEENSD_INSE_IS6_EEEESI_S6_NSB_4plusIvEENSB_8equal_toIvEES6_EE10hipError_tPvRmT2_T3_T4_T5_mT6_T7_P12ihipStream_tbENKUlT_T0_E_clISt17integral_constantIbLb1EES13_EEDaSY_SZ_EUlSY_E_NS1_11comp_targetILNS1_3genE4ELNS1_11target_archE910ELNS1_3gpuE8ELNS1_3repE0EEENS1_30default_config_static_selectorELNS0_4arch9wavefront6targetE0EEEvT1_.has_indirect_call, 0
	.section	.AMDGPU.csdata,"",@progbits
; Kernel info:
; codeLenInByte = 0
; TotalNumSgprs: 0
; NumVgprs: 0
; ScratchSize: 0
; MemoryBound: 0
; FloatMode: 240
; IeeeMode: 1
; LDSByteSize: 0 bytes/workgroup (compile time only)
; SGPRBlocks: 0
; VGPRBlocks: 0
; NumSGPRsForWavesPerEU: 1
; NumVGPRsForWavesPerEU: 1
; NamedBarCnt: 0
; Occupancy: 16
; WaveLimiterHint : 0
; COMPUTE_PGM_RSRC2:SCRATCH_EN: 0
; COMPUTE_PGM_RSRC2:USER_SGPR: 2
; COMPUTE_PGM_RSRC2:TRAP_HANDLER: 0
; COMPUTE_PGM_RSRC2:TGID_X_EN: 1
; COMPUTE_PGM_RSRC2:TGID_Y_EN: 0
; COMPUTE_PGM_RSRC2:TGID_Z_EN: 0
; COMPUTE_PGM_RSRC2:TIDIG_COMP_CNT: 0
	.section	.text._ZN7rocprim17ROCPRIM_400000_NS6detail17trampoline_kernelINS0_14default_configENS1_27scan_by_key_config_selectorIj11FixedVectorIiLj1EEEEZZNS1_16scan_by_key_implILNS1_25lookback_scan_determinismE0ELb0ES3_N6thrust23THRUST_200600_302600_NS6detail15normal_iteratorINSB_10device_ptrIjEEEENSD_INSE_IS6_EEEESI_S6_NSB_4plusIvEENSB_8equal_toIvEES6_EE10hipError_tPvRmT2_T3_T4_T5_mT6_T7_P12ihipStream_tbENKUlT_T0_E_clISt17integral_constantIbLb1EES13_EEDaSY_SZ_EUlSY_E_NS1_11comp_targetILNS1_3genE3ELNS1_11target_archE908ELNS1_3gpuE7ELNS1_3repE0EEENS1_30default_config_static_selectorELNS0_4arch9wavefront6targetE0EEEvT1_,"axG",@progbits,_ZN7rocprim17ROCPRIM_400000_NS6detail17trampoline_kernelINS0_14default_configENS1_27scan_by_key_config_selectorIj11FixedVectorIiLj1EEEEZZNS1_16scan_by_key_implILNS1_25lookback_scan_determinismE0ELb0ES3_N6thrust23THRUST_200600_302600_NS6detail15normal_iteratorINSB_10device_ptrIjEEEENSD_INSE_IS6_EEEESI_S6_NSB_4plusIvEENSB_8equal_toIvEES6_EE10hipError_tPvRmT2_T3_T4_T5_mT6_T7_P12ihipStream_tbENKUlT_T0_E_clISt17integral_constantIbLb1EES13_EEDaSY_SZ_EUlSY_E_NS1_11comp_targetILNS1_3genE3ELNS1_11target_archE908ELNS1_3gpuE7ELNS1_3repE0EEENS1_30default_config_static_selectorELNS0_4arch9wavefront6targetE0EEEvT1_,comdat
	.protected	_ZN7rocprim17ROCPRIM_400000_NS6detail17trampoline_kernelINS0_14default_configENS1_27scan_by_key_config_selectorIj11FixedVectorIiLj1EEEEZZNS1_16scan_by_key_implILNS1_25lookback_scan_determinismE0ELb0ES3_N6thrust23THRUST_200600_302600_NS6detail15normal_iteratorINSB_10device_ptrIjEEEENSD_INSE_IS6_EEEESI_S6_NSB_4plusIvEENSB_8equal_toIvEES6_EE10hipError_tPvRmT2_T3_T4_T5_mT6_T7_P12ihipStream_tbENKUlT_T0_E_clISt17integral_constantIbLb1EES13_EEDaSY_SZ_EUlSY_E_NS1_11comp_targetILNS1_3genE3ELNS1_11target_archE908ELNS1_3gpuE7ELNS1_3repE0EEENS1_30default_config_static_selectorELNS0_4arch9wavefront6targetE0EEEvT1_ ; -- Begin function _ZN7rocprim17ROCPRIM_400000_NS6detail17trampoline_kernelINS0_14default_configENS1_27scan_by_key_config_selectorIj11FixedVectorIiLj1EEEEZZNS1_16scan_by_key_implILNS1_25lookback_scan_determinismE0ELb0ES3_N6thrust23THRUST_200600_302600_NS6detail15normal_iteratorINSB_10device_ptrIjEEEENSD_INSE_IS6_EEEESI_S6_NSB_4plusIvEENSB_8equal_toIvEES6_EE10hipError_tPvRmT2_T3_T4_T5_mT6_T7_P12ihipStream_tbENKUlT_T0_E_clISt17integral_constantIbLb1EES13_EEDaSY_SZ_EUlSY_E_NS1_11comp_targetILNS1_3genE3ELNS1_11target_archE908ELNS1_3gpuE7ELNS1_3repE0EEENS1_30default_config_static_selectorELNS0_4arch9wavefront6targetE0EEEvT1_
	.globl	_ZN7rocprim17ROCPRIM_400000_NS6detail17trampoline_kernelINS0_14default_configENS1_27scan_by_key_config_selectorIj11FixedVectorIiLj1EEEEZZNS1_16scan_by_key_implILNS1_25lookback_scan_determinismE0ELb0ES3_N6thrust23THRUST_200600_302600_NS6detail15normal_iteratorINSB_10device_ptrIjEEEENSD_INSE_IS6_EEEESI_S6_NSB_4plusIvEENSB_8equal_toIvEES6_EE10hipError_tPvRmT2_T3_T4_T5_mT6_T7_P12ihipStream_tbENKUlT_T0_E_clISt17integral_constantIbLb1EES13_EEDaSY_SZ_EUlSY_E_NS1_11comp_targetILNS1_3genE3ELNS1_11target_archE908ELNS1_3gpuE7ELNS1_3repE0EEENS1_30default_config_static_selectorELNS0_4arch9wavefront6targetE0EEEvT1_
	.p2align	8
	.type	_ZN7rocprim17ROCPRIM_400000_NS6detail17trampoline_kernelINS0_14default_configENS1_27scan_by_key_config_selectorIj11FixedVectorIiLj1EEEEZZNS1_16scan_by_key_implILNS1_25lookback_scan_determinismE0ELb0ES3_N6thrust23THRUST_200600_302600_NS6detail15normal_iteratorINSB_10device_ptrIjEEEENSD_INSE_IS6_EEEESI_S6_NSB_4plusIvEENSB_8equal_toIvEES6_EE10hipError_tPvRmT2_T3_T4_T5_mT6_T7_P12ihipStream_tbENKUlT_T0_E_clISt17integral_constantIbLb1EES13_EEDaSY_SZ_EUlSY_E_NS1_11comp_targetILNS1_3genE3ELNS1_11target_archE908ELNS1_3gpuE7ELNS1_3repE0EEENS1_30default_config_static_selectorELNS0_4arch9wavefront6targetE0EEEvT1_,@function
_ZN7rocprim17ROCPRIM_400000_NS6detail17trampoline_kernelINS0_14default_configENS1_27scan_by_key_config_selectorIj11FixedVectorIiLj1EEEEZZNS1_16scan_by_key_implILNS1_25lookback_scan_determinismE0ELb0ES3_N6thrust23THRUST_200600_302600_NS6detail15normal_iteratorINSB_10device_ptrIjEEEENSD_INSE_IS6_EEEESI_S6_NSB_4plusIvEENSB_8equal_toIvEES6_EE10hipError_tPvRmT2_T3_T4_T5_mT6_T7_P12ihipStream_tbENKUlT_T0_E_clISt17integral_constantIbLb1EES13_EEDaSY_SZ_EUlSY_E_NS1_11comp_targetILNS1_3genE3ELNS1_11target_archE908ELNS1_3gpuE7ELNS1_3repE0EEENS1_30default_config_static_selectorELNS0_4arch9wavefront6targetE0EEEvT1_: ; @_ZN7rocprim17ROCPRIM_400000_NS6detail17trampoline_kernelINS0_14default_configENS1_27scan_by_key_config_selectorIj11FixedVectorIiLj1EEEEZZNS1_16scan_by_key_implILNS1_25lookback_scan_determinismE0ELb0ES3_N6thrust23THRUST_200600_302600_NS6detail15normal_iteratorINSB_10device_ptrIjEEEENSD_INSE_IS6_EEEESI_S6_NSB_4plusIvEENSB_8equal_toIvEES6_EE10hipError_tPvRmT2_T3_T4_T5_mT6_T7_P12ihipStream_tbENKUlT_T0_E_clISt17integral_constantIbLb1EES13_EEDaSY_SZ_EUlSY_E_NS1_11comp_targetILNS1_3genE3ELNS1_11target_archE908ELNS1_3gpuE7ELNS1_3repE0EEENS1_30default_config_static_selectorELNS0_4arch9wavefront6targetE0EEEvT1_
; %bb.0:
	.section	.rodata,"a",@progbits
	.p2align	6, 0x0
	.amdhsa_kernel _ZN7rocprim17ROCPRIM_400000_NS6detail17trampoline_kernelINS0_14default_configENS1_27scan_by_key_config_selectorIj11FixedVectorIiLj1EEEEZZNS1_16scan_by_key_implILNS1_25lookback_scan_determinismE0ELb0ES3_N6thrust23THRUST_200600_302600_NS6detail15normal_iteratorINSB_10device_ptrIjEEEENSD_INSE_IS6_EEEESI_S6_NSB_4plusIvEENSB_8equal_toIvEES6_EE10hipError_tPvRmT2_T3_T4_T5_mT6_T7_P12ihipStream_tbENKUlT_T0_E_clISt17integral_constantIbLb1EES13_EEDaSY_SZ_EUlSY_E_NS1_11comp_targetILNS1_3genE3ELNS1_11target_archE908ELNS1_3gpuE7ELNS1_3repE0EEENS1_30default_config_static_selectorELNS0_4arch9wavefront6targetE0EEEvT1_
		.amdhsa_group_segment_fixed_size 0
		.amdhsa_private_segment_fixed_size 0
		.amdhsa_kernarg_size 112
		.amdhsa_user_sgpr_count 2
		.amdhsa_user_sgpr_dispatch_ptr 0
		.amdhsa_user_sgpr_queue_ptr 0
		.amdhsa_user_sgpr_kernarg_segment_ptr 1
		.amdhsa_user_sgpr_dispatch_id 0
		.amdhsa_user_sgpr_kernarg_preload_length 0
		.amdhsa_user_sgpr_kernarg_preload_offset 0
		.amdhsa_user_sgpr_private_segment_size 0
		.amdhsa_wavefront_size32 1
		.amdhsa_uses_dynamic_stack 0
		.amdhsa_enable_private_segment 0
		.amdhsa_system_sgpr_workgroup_id_x 1
		.amdhsa_system_sgpr_workgroup_id_y 0
		.amdhsa_system_sgpr_workgroup_id_z 0
		.amdhsa_system_sgpr_workgroup_info 0
		.amdhsa_system_vgpr_workitem_id 0
		.amdhsa_next_free_vgpr 1
		.amdhsa_next_free_sgpr 1
		.amdhsa_named_barrier_count 0
		.amdhsa_reserve_vcc 0
		.amdhsa_float_round_mode_32 0
		.amdhsa_float_round_mode_16_64 0
		.amdhsa_float_denorm_mode_32 3
		.amdhsa_float_denorm_mode_16_64 3
		.amdhsa_fp16_overflow 0
		.amdhsa_memory_ordered 1
		.amdhsa_forward_progress 1
		.amdhsa_inst_pref_size 0
		.amdhsa_round_robin_scheduling 0
		.amdhsa_exception_fp_ieee_invalid_op 0
		.amdhsa_exception_fp_denorm_src 0
		.amdhsa_exception_fp_ieee_div_zero 0
		.amdhsa_exception_fp_ieee_overflow 0
		.amdhsa_exception_fp_ieee_underflow 0
		.amdhsa_exception_fp_ieee_inexact 0
		.amdhsa_exception_int_div_zero 0
	.end_amdhsa_kernel
	.section	.text._ZN7rocprim17ROCPRIM_400000_NS6detail17trampoline_kernelINS0_14default_configENS1_27scan_by_key_config_selectorIj11FixedVectorIiLj1EEEEZZNS1_16scan_by_key_implILNS1_25lookback_scan_determinismE0ELb0ES3_N6thrust23THRUST_200600_302600_NS6detail15normal_iteratorINSB_10device_ptrIjEEEENSD_INSE_IS6_EEEESI_S6_NSB_4plusIvEENSB_8equal_toIvEES6_EE10hipError_tPvRmT2_T3_T4_T5_mT6_T7_P12ihipStream_tbENKUlT_T0_E_clISt17integral_constantIbLb1EES13_EEDaSY_SZ_EUlSY_E_NS1_11comp_targetILNS1_3genE3ELNS1_11target_archE908ELNS1_3gpuE7ELNS1_3repE0EEENS1_30default_config_static_selectorELNS0_4arch9wavefront6targetE0EEEvT1_,"axG",@progbits,_ZN7rocprim17ROCPRIM_400000_NS6detail17trampoline_kernelINS0_14default_configENS1_27scan_by_key_config_selectorIj11FixedVectorIiLj1EEEEZZNS1_16scan_by_key_implILNS1_25lookback_scan_determinismE0ELb0ES3_N6thrust23THRUST_200600_302600_NS6detail15normal_iteratorINSB_10device_ptrIjEEEENSD_INSE_IS6_EEEESI_S6_NSB_4plusIvEENSB_8equal_toIvEES6_EE10hipError_tPvRmT2_T3_T4_T5_mT6_T7_P12ihipStream_tbENKUlT_T0_E_clISt17integral_constantIbLb1EES13_EEDaSY_SZ_EUlSY_E_NS1_11comp_targetILNS1_3genE3ELNS1_11target_archE908ELNS1_3gpuE7ELNS1_3repE0EEENS1_30default_config_static_selectorELNS0_4arch9wavefront6targetE0EEEvT1_,comdat
.Lfunc_end1884:
	.size	_ZN7rocprim17ROCPRIM_400000_NS6detail17trampoline_kernelINS0_14default_configENS1_27scan_by_key_config_selectorIj11FixedVectorIiLj1EEEEZZNS1_16scan_by_key_implILNS1_25lookback_scan_determinismE0ELb0ES3_N6thrust23THRUST_200600_302600_NS6detail15normal_iteratorINSB_10device_ptrIjEEEENSD_INSE_IS6_EEEESI_S6_NSB_4plusIvEENSB_8equal_toIvEES6_EE10hipError_tPvRmT2_T3_T4_T5_mT6_T7_P12ihipStream_tbENKUlT_T0_E_clISt17integral_constantIbLb1EES13_EEDaSY_SZ_EUlSY_E_NS1_11comp_targetILNS1_3genE3ELNS1_11target_archE908ELNS1_3gpuE7ELNS1_3repE0EEENS1_30default_config_static_selectorELNS0_4arch9wavefront6targetE0EEEvT1_, .Lfunc_end1884-_ZN7rocprim17ROCPRIM_400000_NS6detail17trampoline_kernelINS0_14default_configENS1_27scan_by_key_config_selectorIj11FixedVectorIiLj1EEEEZZNS1_16scan_by_key_implILNS1_25lookback_scan_determinismE0ELb0ES3_N6thrust23THRUST_200600_302600_NS6detail15normal_iteratorINSB_10device_ptrIjEEEENSD_INSE_IS6_EEEESI_S6_NSB_4plusIvEENSB_8equal_toIvEES6_EE10hipError_tPvRmT2_T3_T4_T5_mT6_T7_P12ihipStream_tbENKUlT_T0_E_clISt17integral_constantIbLb1EES13_EEDaSY_SZ_EUlSY_E_NS1_11comp_targetILNS1_3genE3ELNS1_11target_archE908ELNS1_3gpuE7ELNS1_3repE0EEENS1_30default_config_static_selectorELNS0_4arch9wavefront6targetE0EEEvT1_
                                        ; -- End function
	.set _ZN7rocprim17ROCPRIM_400000_NS6detail17trampoline_kernelINS0_14default_configENS1_27scan_by_key_config_selectorIj11FixedVectorIiLj1EEEEZZNS1_16scan_by_key_implILNS1_25lookback_scan_determinismE0ELb0ES3_N6thrust23THRUST_200600_302600_NS6detail15normal_iteratorINSB_10device_ptrIjEEEENSD_INSE_IS6_EEEESI_S6_NSB_4plusIvEENSB_8equal_toIvEES6_EE10hipError_tPvRmT2_T3_T4_T5_mT6_T7_P12ihipStream_tbENKUlT_T0_E_clISt17integral_constantIbLb1EES13_EEDaSY_SZ_EUlSY_E_NS1_11comp_targetILNS1_3genE3ELNS1_11target_archE908ELNS1_3gpuE7ELNS1_3repE0EEENS1_30default_config_static_selectorELNS0_4arch9wavefront6targetE0EEEvT1_.num_vgpr, 0
	.set _ZN7rocprim17ROCPRIM_400000_NS6detail17trampoline_kernelINS0_14default_configENS1_27scan_by_key_config_selectorIj11FixedVectorIiLj1EEEEZZNS1_16scan_by_key_implILNS1_25lookback_scan_determinismE0ELb0ES3_N6thrust23THRUST_200600_302600_NS6detail15normal_iteratorINSB_10device_ptrIjEEEENSD_INSE_IS6_EEEESI_S6_NSB_4plusIvEENSB_8equal_toIvEES6_EE10hipError_tPvRmT2_T3_T4_T5_mT6_T7_P12ihipStream_tbENKUlT_T0_E_clISt17integral_constantIbLb1EES13_EEDaSY_SZ_EUlSY_E_NS1_11comp_targetILNS1_3genE3ELNS1_11target_archE908ELNS1_3gpuE7ELNS1_3repE0EEENS1_30default_config_static_selectorELNS0_4arch9wavefront6targetE0EEEvT1_.num_agpr, 0
	.set _ZN7rocprim17ROCPRIM_400000_NS6detail17trampoline_kernelINS0_14default_configENS1_27scan_by_key_config_selectorIj11FixedVectorIiLj1EEEEZZNS1_16scan_by_key_implILNS1_25lookback_scan_determinismE0ELb0ES3_N6thrust23THRUST_200600_302600_NS6detail15normal_iteratorINSB_10device_ptrIjEEEENSD_INSE_IS6_EEEESI_S6_NSB_4plusIvEENSB_8equal_toIvEES6_EE10hipError_tPvRmT2_T3_T4_T5_mT6_T7_P12ihipStream_tbENKUlT_T0_E_clISt17integral_constantIbLb1EES13_EEDaSY_SZ_EUlSY_E_NS1_11comp_targetILNS1_3genE3ELNS1_11target_archE908ELNS1_3gpuE7ELNS1_3repE0EEENS1_30default_config_static_selectorELNS0_4arch9wavefront6targetE0EEEvT1_.numbered_sgpr, 0
	.set _ZN7rocprim17ROCPRIM_400000_NS6detail17trampoline_kernelINS0_14default_configENS1_27scan_by_key_config_selectorIj11FixedVectorIiLj1EEEEZZNS1_16scan_by_key_implILNS1_25lookback_scan_determinismE0ELb0ES3_N6thrust23THRUST_200600_302600_NS6detail15normal_iteratorINSB_10device_ptrIjEEEENSD_INSE_IS6_EEEESI_S6_NSB_4plusIvEENSB_8equal_toIvEES6_EE10hipError_tPvRmT2_T3_T4_T5_mT6_T7_P12ihipStream_tbENKUlT_T0_E_clISt17integral_constantIbLb1EES13_EEDaSY_SZ_EUlSY_E_NS1_11comp_targetILNS1_3genE3ELNS1_11target_archE908ELNS1_3gpuE7ELNS1_3repE0EEENS1_30default_config_static_selectorELNS0_4arch9wavefront6targetE0EEEvT1_.num_named_barrier, 0
	.set _ZN7rocprim17ROCPRIM_400000_NS6detail17trampoline_kernelINS0_14default_configENS1_27scan_by_key_config_selectorIj11FixedVectorIiLj1EEEEZZNS1_16scan_by_key_implILNS1_25lookback_scan_determinismE0ELb0ES3_N6thrust23THRUST_200600_302600_NS6detail15normal_iteratorINSB_10device_ptrIjEEEENSD_INSE_IS6_EEEESI_S6_NSB_4plusIvEENSB_8equal_toIvEES6_EE10hipError_tPvRmT2_T3_T4_T5_mT6_T7_P12ihipStream_tbENKUlT_T0_E_clISt17integral_constantIbLb1EES13_EEDaSY_SZ_EUlSY_E_NS1_11comp_targetILNS1_3genE3ELNS1_11target_archE908ELNS1_3gpuE7ELNS1_3repE0EEENS1_30default_config_static_selectorELNS0_4arch9wavefront6targetE0EEEvT1_.private_seg_size, 0
	.set _ZN7rocprim17ROCPRIM_400000_NS6detail17trampoline_kernelINS0_14default_configENS1_27scan_by_key_config_selectorIj11FixedVectorIiLj1EEEEZZNS1_16scan_by_key_implILNS1_25lookback_scan_determinismE0ELb0ES3_N6thrust23THRUST_200600_302600_NS6detail15normal_iteratorINSB_10device_ptrIjEEEENSD_INSE_IS6_EEEESI_S6_NSB_4plusIvEENSB_8equal_toIvEES6_EE10hipError_tPvRmT2_T3_T4_T5_mT6_T7_P12ihipStream_tbENKUlT_T0_E_clISt17integral_constantIbLb1EES13_EEDaSY_SZ_EUlSY_E_NS1_11comp_targetILNS1_3genE3ELNS1_11target_archE908ELNS1_3gpuE7ELNS1_3repE0EEENS1_30default_config_static_selectorELNS0_4arch9wavefront6targetE0EEEvT1_.uses_vcc, 0
	.set _ZN7rocprim17ROCPRIM_400000_NS6detail17trampoline_kernelINS0_14default_configENS1_27scan_by_key_config_selectorIj11FixedVectorIiLj1EEEEZZNS1_16scan_by_key_implILNS1_25lookback_scan_determinismE0ELb0ES3_N6thrust23THRUST_200600_302600_NS6detail15normal_iteratorINSB_10device_ptrIjEEEENSD_INSE_IS6_EEEESI_S6_NSB_4plusIvEENSB_8equal_toIvEES6_EE10hipError_tPvRmT2_T3_T4_T5_mT6_T7_P12ihipStream_tbENKUlT_T0_E_clISt17integral_constantIbLb1EES13_EEDaSY_SZ_EUlSY_E_NS1_11comp_targetILNS1_3genE3ELNS1_11target_archE908ELNS1_3gpuE7ELNS1_3repE0EEENS1_30default_config_static_selectorELNS0_4arch9wavefront6targetE0EEEvT1_.uses_flat_scratch, 0
	.set _ZN7rocprim17ROCPRIM_400000_NS6detail17trampoline_kernelINS0_14default_configENS1_27scan_by_key_config_selectorIj11FixedVectorIiLj1EEEEZZNS1_16scan_by_key_implILNS1_25lookback_scan_determinismE0ELb0ES3_N6thrust23THRUST_200600_302600_NS6detail15normal_iteratorINSB_10device_ptrIjEEEENSD_INSE_IS6_EEEESI_S6_NSB_4plusIvEENSB_8equal_toIvEES6_EE10hipError_tPvRmT2_T3_T4_T5_mT6_T7_P12ihipStream_tbENKUlT_T0_E_clISt17integral_constantIbLb1EES13_EEDaSY_SZ_EUlSY_E_NS1_11comp_targetILNS1_3genE3ELNS1_11target_archE908ELNS1_3gpuE7ELNS1_3repE0EEENS1_30default_config_static_selectorELNS0_4arch9wavefront6targetE0EEEvT1_.has_dyn_sized_stack, 0
	.set _ZN7rocprim17ROCPRIM_400000_NS6detail17trampoline_kernelINS0_14default_configENS1_27scan_by_key_config_selectorIj11FixedVectorIiLj1EEEEZZNS1_16scan_by_key_implILNS1_25lookback_scan_determinismE0ELb0ES3_N6thrust23THRUST_200600_302600_NS6detail15normal_iteratorINSB_10device_ptrIjEEEENSD_INSE_IS6_EEEESI_S6_NSB_4plusIvEENSB_8equal_toIvEES6_EE10hipError_tPvRmT2_T3_T4_T5_mT6_T7_P12ihipStream_tbENKUlT_T0_E_clISt17integral_constantIbLb1EES13_EEDaSY_SZ_EUlSY_E_NS1_11comp_targetILNS1_3genE3ELNS1_11target_archE908ELNS1_3gpuE7ELNS1_3repE0EEENS1_30default_config_static_selectorELNS0_4arch9wavefront6targetE0EEEvT1_.has_recursion, 0
	.set _ZN7rocprim17ROCPRIM_400000_NS6detail17trampoline_kernelINS0_14default_configENS1_27scan_by_key_config_selectorIj11FixedVectorIiLj1EEEEZZNS1_16scan_by_key_implILNS1_25lookback_scan_determinismE0ELb0ES3_N6thrust23THRUST_200600_302600_NS6detail15normal_iteratorINSB_10device_ptrIjEEEENSD_INSE_IS6_EEEESI_S6_NSB_4plusIvEENSB_8equal_toIvEES6_EE10hipError_tPvRmT2_T3_T4_T5_mT6_T7_P12ihipStream_tbENKUlT_T0_E_clISt17integral_constantIbLb1EES13_EEDaSY_SZ_EUlSY_E_NS1_11comp_targetILNS1_3genE3ELNS1_11target_archE908ELNS1_3gpuE7ELNS1_3repE0EEENS1_30default_config_static_selectorELNS0_4arch9wavefront6targetE0EEEvT1_.has_indirect_call, 0
	.section	.AMDGPU.csdata,"",@progbits
; Kernel info:
; codeLenInByte = 0
; TotalNumSgprs: 0
; NumVgprs: 0
; ScratchSize: 0
; MemoryBound: 0
; FloatMode: 240
; IeeeMode: 1
; LDSByteSize: 0 bytes/workgroup (compile time only)
; SGPRBlocks: 0
; VGPRBlocks: 0
; NumSGPRsForWavesPerEU: 1
; NumVGPRsForWavesPerEU: 1
; NamedBarCnt: 0
; Occupancy: 16
; WaveLimiterHint : 0
; COMPUTE_PGM_RSRC2:SCRATCH_EN: 0
; COMPUTE_PGM_RSRC2:USER_SGPR: 2
; COMPUTE_PGM_RSRC2:TRAP_HANDLER: 0
; COMPUTE_PGM_RSRC2:TGID_X_EN: 1
; COMPUTE_PGM_RSRC2:TGID_Y_EN: 0
; COMPUTE_PGM_RSRC2:TGID_Z_EN: 0
; COMPUTE_PGM_RSRC2:TIDIG_COMP_CNT: 0
	.section	.text._ZN7rocprim17ROCPRIM_400000_NS6detail17trampoline_kernelINS0_14default_configENS1_27scan_by_key_config_selectorIj11FixedVectorIiLj1EEEEZZNS1_16scan_by_key_implILNS1_25lookback_scan_determinismE0ELb0ES3_N6thrust23THRUST_200600_302600_NS6detail15normal_iteratorINSB_10device_ptrIjEEEENSD_INSE_IS6_EEEESI_S6_NSB_4plusIvEENSB_8equal_toIvEES6_EE10hipError_tPvRmT2_T3_T4_T5_mT6_T7_P12ihipStream_tbENKUlT_T0_E_clISt17integral_constantIbLb1EES13_EEDaSY_SZ_EUlSY_E_NS1_11comp_targetILNS1_3genE2ELNS1_11target_archE906ELNS1_3gpuE6ELNS1_3repE0EEENS1_30default_config_static_selectorELNS0_4arch9wavefront6targetE0EEEvT1_,"axG",@progbits,_ZN7rocprim17ROCPRIM_400000_NS6detail17trampoline_kernelINS0_14default_configENS1_27scan_by_key_config_selectorIj11FixedVectorIiLj1EEEEZZNS1_16scan_by_key_implILNS1_25lookback_scan_determinismE0ELb0ES3_N6thrust23THRUST_200600_302600_NS6detail15normal_iteratorINSB_10device_ptrIjEEEENSD_INSE_IS6_EEEESI_S6_NSB_4plusIvEENSB_8equal_toIvEES6_EE10hipError_tPvRmT2_T3_T4_T5_mT6_T7_P12ihipStream_tbENKUlT_T0_E_clISt17integral_constantIbLb1EES13_EEDaSY_SZ_EUlSY_E_NS1_11comp_targetILNS1_3genE2ELNS1_11target_archE906ELNS1_3gpuE6ELNS1_3repE0EEENS1_30default_config_static_selectorELNS0_4arch9wavefront6targetE0EEEvT1_,comdat
	.protected	_ZN7rocprim17ROCPRIM_400000_NS6detail17trampoline_kernelINS0_14default_configENS1_27scan_by_key_config_selectorIj11FixedVectorIiLj1EEEEZZNS1_16scan_by_key_implILNS1_25lookback_scan_determinismE0ELb0ES3_N6thrust23THRUST_200600_302600_NS6detail15normal_iteratorINSB_10device_ptrIjEEEENSD_INSE_IS6_EEEESI_S6_NSB_4plusIvEENSB_8equal_toIvEES6_EE10hipError_tPvRmT2_T3_T4_T5_mT6_T7_P12ihipStream_tbENKUlT_T0_E_clISt17integral_constantIbLb1EES13_EEDaSY_SZ_EUlSY_E_NS1_11comp_targetILNS1_3genE2ELNS1_11target_archE906ELNS1_3gpuE6ELNS1_3repE0EEENS1_30default_config_static_selectorELNS0_4arch9wavefront6targetE0EEEvT1_ ; -- Begin function _ZN7rocprim17ROCPRIM_400000_NS6detail17trampoline_kernelINS0_14default_configENS1_27scan_by_key_config_selectorIj11FixedVectorIiLj1EEEEZZNS1_16scan_by_key_implILNS1_25lookback_scan_determinismE0ELb0ES3_N6thrust23THRUST_200600_302600_NS6detail15normal_iteratorINSB_10device_ptrIjEEEENSD_INSE_IS6_EEEESI_S6_NSB_4plusIvEENSB_8equal_toIvEES6_EE10hipError_tPvRmT2_T3_T4_T5_mT6_T7_P12ihipStream_tbENKUlT_T0_E_clISt17integral_constantIbLb1EES13_EEDaSY_SZ_EUlSY_E_NS1_11comp_targetILNS1_3genE2ELNS1_11target_archE906ELNS1_3gpuE6ELNS1_3repE0EEENS1_30default_config_static_selectorELNS0_4arch9wavefront6targetE0EEEvT1_
	.globl	_ZN7rocprim17ROCPRIM_400000_NS6detail17trampoline_kernelINS0_14default_configENS1_27scan_by_key_config_selectorIj11FixedVectorIiLj1EEEEZZNS1_16scan_by_key_implILNS1_25lookback_scan_determinismE0ELb0ES3_N6thrust23THRUST_200600_302600_NS6detail15normal_iteratorINSB_10device_ptrIjEEEENSD_INSE_IS6_EEEESI_S6_NSB_4plusIvEENSB_8equal_toIvEES6_EE10hipError_tPvRmT2_T3_T4_T5_mT6_T7_P12ihipStream_tbENKUlT_T0_E_clISt17integral_constantIbLb1EES13_EEDaSY_SZ_EUlSY_E_NS1_11comp_targetILNS1_3genE2ELNS1_11target_archE906ELNS1_3gpuE6ELNS1_3repE0EEENS1_30default_config_static_selectorELNS0_4arch9wavefront6targetE0EEEvT1_
	.p2align	8
	.type	_ZN7rocprim17ROCPRIM_400000_NS6detail17trampoline_kernelINS0_14default_configENS1_27scan_by_key_config_selectorIj11FixedVectorIiLj1EEEEZZNS1_16scan_by_key_implILNS1_25lookback_scan_determinismE0ELb0ES3_N6thrust23THRUST_200600_302600_NS6detail15normal_iteratorINSB_10device_ptrIjEEEENSD_INSE_IS6_EEEESI_S6_NSB_4plusIvEENSB_8equal_toIvEES6_EE10hipError_tPvRmT2_T3_T4_T5_mT6_T7_P12ihipStream_tbENKUlT_T0_E_clISt17integral_constantIbLb1EES13_EEDaSY_SZ_EUlSY_E_NS1_11comp_targetILNS1_3genE2ELNS1_11target_archE906ELNS1_3gpuE6ELNS1_3repE0EEENS1_30default_config_static_selectorELNS0_4arch9wavefront6targetE0EEEvT1_,@function
_ZN7rocprim17ROCPRIM_400000_NS6detail17trampoline_kernelINS0_14default_configENS1_27scan_by_key_config_selectorIj11FixedVectorIiLj1EEEEZZNS1_16scan_by_key_implILNS1_25lookback_scan_determinismE0ELb0ES3_N6thrust23THRUST_200600_302600_NS6detail15normal_iteratorINSB_10device_ptrIjEEEENSD_INSE_IS6_EEEESI_S6_NSB_4plusIvEENSB_8equal_toIvEES6_EE10hipError_tPvRmT2_T3_T4_T5_mT6_T7_P12ihipStream_tbENKUlT_T0_E_clISt17integral_constantIbLb1EES13_EEDaSY_SZ_EUlSY_E_NS1_11comp_targetILNS1_3genE2ELNS1_11target_archE906ELNS1_3gpuE6ELNS1_3repE0EEENS1_30default_config_static_selectorELNS0_4arch9wavefront6targetE0EEEvT1_: ; @_ZN7rocprim17ROCPRIM_400000_NS6detail17trampoline_kernelINS0_14default_configENS1_27scan_by_key_config_selectorIj11FixedVectorIiLj1EEEEZZNS1_16scan_by_key_implILNS1_25lookback_scan_determinismE0ELb0ES3_N6thrust23THRUST_200600_302600_NS6detail15normal_iteratorINSB_10device_ptrIjEEEENSD_INSE_IS6_EEEESI_S6_NSB_4plusIvEENSB_8equal_toIvEES6_EE10hipError_tPvRmT2_T3_T4_T5_mT6_T7_P12ihipStream_tbENKUlT_T0_E_clISt17integral_constantIbLb1EES13_EEDaSY_SZ_EUlSY_E_NS1_11comp_targetILNS1_3genE2ELNS1_11target_archE906ELNS1_3gpuE6ELNS1_3repE0EEENS1_30default_config_static_selectorELNS0_4arch9wavefront6targetE0EEEvT1_
; %bb.0:
	.section	.rodata,"a",@progbits
	.p2align	6, 0x0
	.amdhsa_kernel _ZN7rocprim17ROCPRIM_400000_NS6detail17trampoline_kernelINS0_14default_configENS1_27scan_by_key_config_selectorIj11FixedVectorIiLj1EEEEZZNS1_16scan_by_key_implILNS1_25lookback_scan_determinismE0ELb0ES3_N6thrust23THRUST_200600_302600_NS6detail15normal_iteratorINSB_10device_ptrIjEEEENSD_INSE_IS6_EEEESI_S6_NSB_4plusIvEENSB_8equal_toIvEES6_EE10hipError_tPvRmT2_T3_T4_T5_mT6_T7_P12ihipStream_tbENKUlT_T0_E_clISt17integral_constantIbLb1EES13_EEDaSY_SZ_EUlSY_E_NS1_11comp_targetILNS1_3genE2ELNS1_11target_archE906ELNS1_3gpuE6ELNS1_3repE0EEENS1_30default_config_static_selectorELNS0_4arch9wavefront6targetE0EEEvT1_
		.amdhsa_group_segment_fixed_size 0
		.amdhsa_private_segment_fixed_size 0
		.amdhsa_kernarg_size 112
		.amdhsa_user_sgpr_count 2
		.amdhsa_user_sgpr_dispatch_ptr 0
		.amdhsa_user_sgpr_queue_ptr 0
		.amdhsa_user_sgpr_kernarg_segment_ptr 1
		.amdhsa_user_sgpr_dispatch_id 0
		.amdhsa_user_sgpr_kernarg_preload_length 0
		.amdhsa_user_sgpr_kernarg_preload_offset 0
		.amdhsa_user_sgpr_private_segment_size 0
		.amdhsa_wavefront_size32 1
		.amdhsa_uses_dynamic_stack 0
		.amdhsa_enable_private_segment 0
		.amdhsa_system_sgpr_workgroup_id_x 1
		.amdhsa_system_sgpr_workgroup_id_y 0
		.amdhsa_system_sgpr_workgroup_id_z 0
		.amdhsa_system_sgpr_workgroup_info 0
		.amdhsa_system_vgpr_workitem_id 0
		.amdhsa_next_free_vgpr 1
		.amdhsa_next_free_sgpr 1
		.amdhsa_named_barrier_count 0
		.amdhsa_reserve_vcc 0
		.amdhsa_float_round_mode_32 0
		.amdhsa_float_round_mode_16_64 0
		.amdhsa_float_denorm_mode_32 3
		.amdhsa_float_denorm_mode_16_64 3
		.amdhsa_fp16_overflow 0
		.amdhsa_memory_ordered 1
		.amdhsa_forward_progress 1
		.amdhsa_inst_pref_size 0
		.amdhsa_round_robin_scheduling 0
		.amdhsa_exception_fp_ieee_invalid_op 0
		.amdhsa_exception_fp_denorm_src 0
		.amdhsa_exception_fp_ieee_div_zero 0
		.amdhsa_exception_fp_ieee_overflow 0
		.amdhsa_exception_fp_ieee_underflow 0
		.amdhsa_exception_fp_ieee_inexact 0
		.amdhsa_exception_int_div_zero 0
	.end_amdhsa_kernel
	.section	.text._ZN7rocprim17ROCPRIM_400000_NS6detail17trampoline_kernelINS0_14default_configENS1_27scan_by_key_config_selectorIj11FixedVectorIiLj1EEEEZZNS1_16scan_by_key_implILNS1_25lookback_scan_determinismE0ELb0ES3_N6thrust23THRUST_200600_302600_NS6detail15normal_iteratorINSB_10device_ptrIjEEEENSD_INSE_IS6_EEEESI_S6_NSB_4plusIvEENSB_8equal_toIvEES6_EE10hipError_tPvRmT2_T3_T4_T5_mT6_T7_P12ihipStream_tbENKUlT_T0_E_clISt17integral_constantIbLb1EES13_EEDaSY_SZ_EUlSY_E_NS1_11comp_targetILNS1_3genE2ELNS1_11target_archE906ELNS1_3gpuE6ELNS1_3repE0EEENS1_30default_config_static_selectorELNS0_4arch9wavefront6targetE0EEEvT1_,"axG",@progbits,_ZN7rocprim17ROCPRIM_400000_NS6detail17trampoline_kernelINS0_14default_configENS1_27scan_by_key_config_selectorIj11FixedVectorIiLj1EEEEZZNS1_16scan_by_key_implILNS1_25lookback_scan_determinismE0ELb0ES3_N6thrust23THRUST_200600_302600_NS6detail15normal_iteratorINSB_10device_ptrIjEEEENSD_INSE_IS6_EEEESI_S6_NSB_4plusIvEENSB_8equal_toIvEES6_EE10hipError_tPvRmT2_T3_T4_T5_mT6_T7_P12ihipStream_tbENKUlT_T0_E_clISt17integral_constantIbLb1EES13_EEDaSY_SZ_EUlSY_E_NS1_11comp_targetILNS1_3genE2ELNS1_11target_archE906ELNS1_3gpuE6ELNS1_3repE0EEENS1_30default_config_static_selectorELNS0_4arch9wavefront6targetE0EEEvT1_,comdat
.Lfunc_end1885:
	.size	_ZN7rocprim17ROCPRIM_400000_NS6detail17trampoline_kernelINS0_14default_configENS1_27scan_by_key_config_selectorIj11FixedVectorIiLj1EEEEZZNS1_16scan_by_key_implILNS1_25lookback_scan_determinismE0ELb0ES3_N6thrust23THRUST_200600_302600_NS6detail15normal_iteratorINSB_10device_ptrIjEEEENSD_INSE_IS6_EEEESI_S6_NSB_4plusIvEENSB_8equal_toIvEES6_EE10hipError_tPvRmT2_T3_T4_T5_mT6_T7_P12ihipStream_tbENKUlT_T0_E_clISt17integral_constantIbLb1EES13_EEDaSY_SZ_EUlSY_E_NS1_11comp_targetILNS1_3genE2ELNS1_11target_archE906ELNS1_3gpuE6ELNS1_3repE0EEENS1_30default_config_static_selectorELNS0_4arch9wavefront6targetE0EEEvT1_, .Lfunc_end1885-_ZN7rocprim17ROCPRIM_400000_NS6detail17trampoline_kernelINS0_14default_configENS1_27scan_by_key_config_selectorIj11FixedVectorIiLj1EEEEZZNS1_16scan_by_key_implILNS1_25lookback_scan_determinismE0ELb0ES3_N6thrust23THRUST_200600_302600_NS6detail15normal_iteratorINSB_10device_ptrIjEEEENSD_INSE_IS6_EEEESI_S6_NSB_4plusIvEENSB_8equal_toIvEES6_EE10hipError_tPvRmT2_T3_T4_T5_mT6_T7_P12ihipStream_tbENKUlT_T0_E_clISt17integral_constantIbLb1EES13_EEDaSY_SZ_EUlSY_E_NS1_11comp_targetILNS1_3genE2ELNS1_11target_archE906ELNS1_3gpuE6ELNS1_3repE0EEENS1_30default_config_static_selectorELNS0_4arch9wavefront6targetE0EEEvT1_
                                        ; -- End function
	.set _ZN7rocprim17ROCPRIM_400000_NS6detail17trampoline_kernelINS0_14default_configENS1_27scan_by_key_config_selectorIj11FixedVectorIiLj1EEEEZZNS1_16scan_by_key_implILNS1_25lookback_scan_determinismE0ELb0ES3_N6thrust23THRUST_200600_302600_NS6detail15normal_iteratorINSB_10device_ptrIjEEEENSD_INSE_IS6_EEEESI_S6_NSB_4plusIvEENSB_8equal_toIvEES6_EE10hipError_tPvRmT2_T3_T4_T5_mT6_T7_P12ihipStream_tbENKUlT_T0_E_clISt17integral_constantIbLb1EES13_EEDaSY_SZ_EUlSY_E_NS1_11comp_targetILNS1_3genE2ELNS1_11target_archE906ELNS1_3gpuE6ELNS1_3repE0EEENS1_30default_config_static_selectorELNS0_4arch9wavefront6targetE0EEEvT1_.num_vgpr, 0
	.set _ZN7rocprim17ROCPRIM_400000_NS6detail17trampoline_kernelINS0_14default_configENS1_27scan_by_key_config_selectorIj11FixedVectorIiLj1EEEEZZNS1_16scan_by_key_implILNS1_25lookback_scan_determinismE0ELb0ES3_N6thrust23THRUST_200600_302600_NS6detail15normal_iteratorINSB_10device_ptrIjEEEENSD_INSE_IS6_EEEESI_S6_NSB_4plusIvEENSB_8equal_toIvEES6_EE10hipError_tPvRmT2_T3_T4_T5_mT6_T7_P12ihipStream_tbENKUlT_T0_E_clISt17integral_constantIbLb1EES13_EEDaSY_SZ_EUlSY_E_NS1_11comp_targetILNS1_3genE2ELNS1_11target_archE906ELNS1_3gpuE6ELNS1_3repE0EEENS1_30default_config_static_selectorELNS0_4arch9wavefront6targetE0EEEvT1_.num_agpr, 0
	.set _ZN7rocprim17ROCPRIM_400000_NS6detail17trampoline_kernelINS0_14default_configENS1_27scan_by_key_config_selectorIj11FixedVectorIiLj1EEEEZZNS1_16scan_by_key_implILNS1_25lookback_scan_determinismE0ELb0ES3_N6thrust23THRUST_200600_302600_NS6detail15normal_iteratorINSB_10device_ptrIjEEEENSD_INSE_IS6_EEEESI_S6_NSB_4plusIvEENSB_8equal_toIvEES6_EE10hipError_tPvRmT2_T3_T4_T5_mT6_T7_P12ihipStream_tbENKUlT_T0_E_clISt17integral_constantIbLb1EES13_EEDaSY_SZ_EUlSY_E_NS1_11comp_targetILNS1_3genE2ELNS1_11target_archE906ELNS1_3gpuE6ELNS1_3repE0EEENS1_30default_config_static_selectorELNS0_4arch9wavefront6targetE0EEEvT1_.numbered_sgpr, 0
	.set _ZN7rocprim17ROCPRIM_400000_NS6detail17trampoline_kernelINS0_14default_configENS1_27scan_by_key_config_selectorIj11FixedVectorIiLj1EEEEZZNS1_16scan_by_key_implILNS1_25lookback_scan_determinismE0ELb0ES3_N6thrust23THRUST_200600_302600_NS6detail15normal_iteratorINSB_10device_ptrIjEEEENSD_INSE_IS6_EEEESI_S6_NSB_4plusIvEENSB_8equal_toIvEES6_EE10hipError_tPvRmT2_T3_T4_T5_mT6_T7_P12ihipStream_tbENKUlT_T0_E_clISt17integral_constantIbLb1EES13_EEDaSY_SZ_EUlSY_E_NS1_11comp_targetILNS1_3genE2ELNS1_11target_archE906ELNS1_3gpuE6ELNS1_3repE0EEENS1_30default_config_static_selectorELNS0_4arch9wavefront6targetE0EEEvT1_.num_named_barrier, 0
	.set _ZN7rocprim17ROCPRIM_400000_NS6detail17trampoline_kernelINS0_14default_configENS1_27scan_by_key_config_selectorIj11FixedVectorIiLj1EEEEZZNS1_16scan_by_key_implILNS1_25lookback_scan_determinismE0ELb0ES3_N6thrust23THRUST_200600_302600_NS6detail15normal_iteratorINSB_10device_ptrIjEEEENSD_INSE_IS6_EEEESI_S6_NSB_4plusIvEENSB_8equal_toIvEES6_EE10hipError_tPvRmT2_T3_T4_T5_mT6_T7_P12ihipStream_tbENKUlT_T0_E_clISt17integral_constantIbLb1EES13_EEDaSY_SZ_EUlSY_E_NS1_11comp_targetILNS1_3genE2ELNS1_11target_archE906ELNS1_3gpuE6ELNS1_3repE0EEENS1_30default_config_static_selectorELNS0_4arch9wavefront6targetE0EEEvT1_.private_seg_size, 0
	.set _ZN7rocprim17ROCPRIM_400000_NS6detail17trampoline_kernelINS0_14default_configENS1_27scan_by_key_config_selectorIj11FixedVectorIiLj1EEEEZZNS1_16scan_by_key_implILNS1_25lookback_scan_determinismE0ELb0ES3_N6thrust23THRUST_200600_302600_NS6detail15normal_iteratorINSB_10device_ptrIjEEEENSD_INSE_IS6_EEEESI_S6_NSB_4plusIvEENSB_8equal_toIvEES6_EE10hipError_tPvRmT2_T3_T4_T5_mT6_T7_P12ihipStream_tbENKUlT_T0_E_clISt17integral_constantIbLb1EES13_EEDaSY_SZ_EUlSY_E_NS1_11comp_targetILNS1_3genE2ELNS1_11target_archE906ELNS1_3gpuE6ELNS1_3repE0EEENS1_30default_config_static_selectorELNS0_4arch9wavefront6targetE0EEEvT1_.uses_vcc, 0
	.set _ZN7rocprim17ROCPRIM_400000_NS6detail17trampoline_kernelINS0_14default_configENS1_27scan_by_key_config_selectorIj11FixedVectorIiLj1EEEEZZNS1_16scan_by_key_implILNS1_25lookback_scan_determinismE0ELb0ES3_N6thrust23THRUST_200600_302600_NS6detail15normal_iteratorINSB_10device_ptrIjEEEENSD_INSE_IS6_EEEESI_S6_NSB_4plusIvEENSB_8equal_toIvEES6_EE10hipError_tPvRmT2_T3_T4_T5_mT6_T7_P12ihipStream_tbENKUlT_T0_E_clISt17integral_constantIbLb1EES13_EEDaSY_SZ_EUlSY_E_NS1_11comp_targetILNS1_3genE2ELNS1_11target_archE906ELNS1_3gpuE6ELNS1_3repE0EEENS1_30default_config_static_selectorELNS0_4arch9wavefront6targetE0EEEvT1_.uses_flat_scratch, 0
	.set _ZN7rocprim17ROCPRIM_400000_NS6detail17trampoline_kernelINS0_14default_configENS1_27scan_by_key_config_selectorIj11FixedVectorIiLj1EEEEZZNS1_16scan_by_key_implILNS1_25lookback_scan_determinismE0ELb0ES3_N6thrust23THRUST_200600_302600_NS6detail15normal_iteratorINSB_10device_ptrIjEEEENSD_INSE_IS6_EEEESI_S6_NSB_4plusIvEENSB_8equal_toIvEES6_EE10hipError_tPvRmT2_T3_T4_T5_mT6_T7_P12ihipStream_tbENKUlT_T0_E_clISt17integral_constantIbLb1EES13_EEDaSY_SZ_EUlSY_E_NS1_11comp_targetILNS1_3genE2ELNS1_11target_archE906ELNS1_3gpuE6ELNS1_3repE0EEENS1_30default_config_static_selectorELNS0_4arch9wavefront6targetE0EEEvT1_.has_dyn_sized_stack, 0
	.set _ZN7rocprim17ROCPRIM_400000_NS6detail17trampoline_kernelINS0_14default_configENS1_27scan_by_key_config_selectorIj11FixedVectorIiLj1EEEEZZNS1_16scan_by_key_implILNS1_25lookback_scan_determinismE0ELb0ES3_N6thrust23THRUST_200600_302600_NS6detail15normal_iteratorINSB_10device_ptrIjEEEENSD_INSE_IS6_EEEESI_S6_NSB_4plusIvEENSB_8equal_toIvEES6_EE10hipError_tPvRmT2_T3_T4_T5_mT6_T7_P12ihipStream_tbENKUlT_T0_E_clISt17integral_constantIbLb1EES13_EEDaSY_SZ_EUlSY_E_NS1_11comp_targetILNS1_3genE2ELNS1_11target_archE906ELNS1_3gpuE6ELNS1_3repE0EEENS1_30default_config_static_selectorELNS0_4arch9wavefront6targetE0EEEvT1_.has_recursion, 0
	.set _ZN7rocprim17ROCPRIM_400000_NS6detail17trampoline_kernelINS0_14default_configENS1_27scan_by_key_config_selectorIj11FixedVectorIiLj1EEEEZZNS1_16scan_by_key_implILNS1_25lookback_scan_determinismE0ELb0ES3_N6thrust23THRUST_200600_302600_NS6detail15normal_iteratorINSB_10device_ptrIjEEEENSD_INSE_IS6_EEEESI_S6_NSB_4plusIvEENSB_8equal_toIvEES6_EE10hipError_tPvRmT2_T3_T4_T5_mT6_T7_P12ihipStream_tbENKUlT_T0_E_clISt17integral_constantIbLb1EES13_EEDaSY_SZ_EUlSY_E_NS1_11comp_targetILNS1_3genE2ELNS1_11target_archE906ELNS1_3gpuE6ELNS1_3repE0EEENS1_30default_config_static_selectorELNS0_4arch9wavefront6targetE0EEEvT1_.has_indirect_call, 0
	.section	.AMDGPU.csdata,"",@progbits
; Kernel info:
; codeLenInByte = 0
; TotalNumSgprs: 0
; NumVgprs: 0
; ScratchSize: 0
; MemoryBound: 0
; FloatMode: 240
; IeeeMode: 1
; LDSByteSize: 0 bytes/workgroup (compile time only)
; SGPRBlocks: 0
; VGPRBlocks: 0
; NumSGPRsForWavesPerEU: 1
; NumVGPRsForWavesPerEU: 1
; NamedBarCnt: 0
; Occupancy: 16
; WaveLimiterHint : 0
; COMPUTE_PGM_RSRC2:SCRATCH_EN: 0
; COMPUTE_PGM_RSRC2:USER_SGPR: 2
; COMPUTE_PGM_RSRC2:TRAP_HANDLER: 0
; COMPUTE_PGM_RSRC2:TGID_X_EN: 1
; COMPUTE_PGM_RSRC2:TGID_Y_EN: 0
; COMPUTE_PGM_RSRC2:TGID_Z_EN: 0
; COMPUTE_PGM_RSRC2:TIDIG_COMP_CNT: 0
	.section	.text._ZN7rocprim17ROCPRIM_400000_NS6detail17trampoline_kernelINS0_14default_configENS1_27scan_by_key_config_selectorIj11FixedVectorIiLj1EEEEZZNS1_16scan_by_key_implILNS1_25lookback_scan_determinismE0ELb0ES3_N6thrust23THRUST_200600_302600_NS6detail15normal_iteratorINSB_10device_ptrIjEEEENSD_INSE_IS6_EEEESI_S6_NSB_4plusIvEENSB_8equal_toIvEES6_EE10hipError_tPvRmT2_T3_T4_T5_mT6_T7_P12ihipStream_tbENKUlT_T0_E_clISt17integral_constantIbLb1EES13_EEDaSY_SZ_EUlSY_E_NS1_11comp_targetILNS1_3genE10ELNS1_11target_archE1200ELNS1_3gpuE4ELNS1_3repE0EEENS1_30default_config_static_selectorELNS0_4arch9wavefront6targetE0EEEvT1_,"axG",@progbits,_ZN7rocprim17ROCPRIM_400000_NS6detail17trampoline_kernelINS0_14default_configENS1_27scan_by_key_config_selectorIj11FixedVectorIiLj1EEEEZZNS1_16scan_by_key_implILNS1_25lookback_scan_determinismE0ELb0ES3_N6thrust23THRUST_200600_302600_NS6detail15normal_iteratorINSB_10device_ptrIjEEEENSD_INSE_IS6_EEEESI_S6_NSB_4plusIvEENSB_8equal_toIvEES6_EE10hipError_tPvRmT2_T3_T4_T5_mT6_T7_P12ihipStream_tbENKUlT_T0_E_clISt17integral_constantIbLb1EES13_EEDaSY_SZ_EUlSY_E_NS1_11comp_targetILNS1_3genE10ELNS1_11target_archE1200ELNS1_3gpuE4ELNS1_3repE0EEENS1_30default_config_static_selectorELNS0_4arch9wavefront6targetE0EEEvT1_,comdat
	.protected	_ZN7rocprim17ROCPRIM_400000_NS6detail17trampoline_kernelINS0_14default_configENS1_27scan_by_key_config_selectorIj11FixedVectorIiLj1EEEEZZNS1_16scan_by_key_implILNS1_25lookback_scan_determinismE0ELb0ES3_N6thrust23THRUST_200600_302600_NS6detail15normal_iteratorINSB_10device_ptrIjEEEENSD_INSE_IS6_EEEESI_S6_NSB_4plusIvEENSB_8equal_toIvEES6_EE10hipError_tPvRmT2_T3_T4_T5_mT6_T7_P12ihipStream_tbENKUlT_T0_E_clISt17integral_constantIbLb1EES13_EEDaSY_SZ_EUlSY_E_NS1_11comp_targetILNS1_3genE10ELNS1_11target_archE1200ELNS1_3gpuE4ELNS1_3repE0EEENS1_30default_config_static_selectorELNS0_4arch9wavefront6targetE0EEEvT1_ ; -- Begin function _ZN7rocprim17ROCPRIM_400000_NS6detail17trampoline_kernelINS0_14default_configENS1_27scan_by_key_config_selectorIj11FixedVectorIiLj1EEEEZZNS1_16scan_by_key_implILNS1_25lookback_scan_determinismE0ELb0ES3_N6thrust23THRUST_200600_302600_NS6detail15normal_iteratorINSB_10device_ptrIjEEEENSD_INSE_IS6_EEEESI_S6_NSB_4plusIvEENSB_8equal_toIvEES6_EE10hipError_tPvRmT2_T3_T4_T5_mT6_T7_P12ihipStream_tbENKUlT_T0_E_clISt17integral_constantIbLb1EES13_EEDaSY_SZ_EUlSY_E_NS1_11comp_targetILNS1_3genE10ELNS1_11target_archE1200ELNS1_3gpuE4ELNS1_3repE0EEENS1_30default_config_static_selectorELNS0_4arch9wavefront6targetE0EEEvT1_
	.globl	_ZN7rocprim17ROCPRIM_400000_NS6detail17trampoline_kernelINS0_14default_configENS1_27scan_by_key_config_selectorIj11FixedVectorIiLj1EEEEZZNS1_16scan_by_key_implILNS1_25lookback_scan_determinismE0ELb0ES3_N6thrust23THRUST_200600_302600_NS6detail15normal_iteratorINSB_10device_ptrIjEEEENSD_INSE_IS6_EEEESI_S6_NSB_4plusIvEENSB_8equal_toIvEES6_EE10hipError_tPvRmT2_T3_T4_T5_mT6_T7_P12ihipStream_tbENKUlT_T0_E_clISt17integral_constantIbLb1EES13_EEDaSY_SZ_EUlSY_E_NS1_11comp_targetILNS1_3genE10ELNS1_11target_archE1200ELNS1_3gpuE4ELNS1_3repE0EEENS1_30default_config_static_selectorELNS0_4arch9wavefront6targetE0EEEvT1_
	.p2align	8
	.type	_ZN7rocprim17ROCPRIM_400000_NS6detail17trampoline_kernelINS0_14default_configENS1_27scan_by_key_config_selectorIj11FixedVectorIiLj1EEEEZZNS1_16scan_by_key_implILNS1_25lookback_scan_determinismE0ELb0ES3_N6thrust23THRUST_200600_302600_NS6detail15normal_iteratorINSB_10device_ptrIjEEEENSD_INSE_IS6_EEEESI_S6_NSB_4plusIvEENSB_8equal_toIvEES6_EE10hipError_tPvRmT2_T3_T4_T5_mT6_T7_P12ihipStream_tbENKUlT_T0_E_clISt17integral_constantIbLb1EES13_EEDaSY_SZ_EUlSY_E_NS1_11comp_targetILNS1_3genE10ELNS1_11target_archE1200ELNS1_3gpuE4ELNS1_3repE0EEENS1_30default_config_static_selectorELNS0_4arch9wavefront6targetE0EEEvT1_,@function
_ZN7rocprim17ROCPRIM_400000_NS6detail17trampoline_kernelINS0_14default_configENS1_27scan_by_key_config_selectorIj11FixedVectorIiLj1EEEEZZNS1_16scan_by_key_implILNS1_25lookback_scan_determinismE0ELb0ES3_N6thrust23THRUST_200600_302600_NS6detail15normal_iteratorINSB_10device_ptrIjEEEENSD_INSE_IS6_EEEESI_S6_NSB_4plusIvEENSB_8equal_toIvEES6_EE10hipError_tPvRmT2_T3_T4_T5_mT6_T7_P12ihipStream_tbENKUlT_T0_E_clISt17integral_constantIbLb1EES13_EEDaSY_SZ_EUlSY_E_NS1_11comp_targetILNS1_3genE10ELNS1_11target_archE1200ELNS1_3gpuE4ELNS1_3repE0EEENS1_30default_config_static_selectorELNS0_4arch9wavefront6targetE0EEEvT1_: ; @_ZN7rocprim17ROCPRIM_400000_NS6detail17trampoline_kernelINS0_14default_configENS1_27scan_by_key_config_selectorIj11FixedVectorIiLj1EEEEZZNS1_16scan_by_key_implILNS1_25lookback_scan_determinismE0ELb0ES3_N6thrust23THRUST_200600_302600_NS6detail15normal_iteratorINSB_10device_ptrIjEEEENSD_INSE_IS6_EEEESI_S6_NSB_4plusIvEENSB_8equal_toIvEES6_EE10hipError_tPvRmT2_T3_T4_T5_mT6_T7_P12ihipStream_tbENKUlT_T0_E_clISt17integral_constantIbLb1EES13_EEDaSY_SZ_EUlSY_E_NS1_11comp_targetILNS1_3genE10ELNS1_11target_archE1200ELNS1_3gpuE4ELNS1_3repE0EEENS1_30default_config_static_selectorELNS0_4arch9wavefront6targetE0EEEvT1_
; %bb.0:
	.section	.rodata,"a",@progbits
	.p2align	6, 0x0
	.amdhsa_kernel _ZN7rocprim17ROCPRIM_400000_NS6detail17trampoline_kernelINS0_14default_configENS1_27scan_by_key_config_selectorIj11FixedVectorIiLj1EEEEZZNS1_16scan_by_key_implILNS1_25lookback_scan_determinismE0ELb0ES3_N6thrust23THRUST_200600_302600_NS6detail15normal_iteratorINSB_10device_ptrIjEEEENSD_INSE_IS6_EEEESI_S6_NSB_4plusIvEENSB_8equal_toIvEES6_EE10hipError_tPvRmT2_T3_T4_T5_mT6_T7_P12ihipStream_tbENKUlT_T0_E_clISt17integral_constantIbLb1EES13_EEDaSY_SZ_EUlSY_E_NS1_11comp_targetILNS1_3genE10ELNS1_11target_archE1200ELNS1_3gpuE4ELNS1_3repE0EEENS1_30default_config_static_selectorELNS0_4arch9wavefront6targetE0EEEvT1_
		.amdhsa_group_segment_fixed_size 0
		.amdhsa_private_segment_fixed_size 0
		.amdhsa_kernarg_size 112
		.amdhsa_user_sgpr_count 2
		.amdhsa_user_sgpr_dispatch_ptr 0
		.amdhsa_user_sgpr_queue_ptr 0
		.amdhsa_user_sgpr_kernarg_segment_ptr 1
		.amdhsa_user_sgpr_dispatch_id 0
		.amdhsa_user_sgpr_kernarg_preload_length 0
		.amdhsa_user_sgpr_kernarg_preload_offset 0
		.amdhsa_user_sgpr_private_segment_size 0
		.amdhsa_wavefront_size32 1
		.amdhsa_uses_dynamic_stack 0
		.amdhsa_enable_private_segment 0
		.amdhsa_system_sgpr_workgroup_id_x 1
		.amdhsa_system_sgpr_workgroup_id_y 0
		.amdhsa_system_sgpr_workgroup_id_z 0
		.amdhsa_system_sgpr_workgroup_info 0
		.amdhsa_system_vgpr_workitem_id 0
		.amdhsa_next_free_vgpr 1
		.amdhsa_next_free_sgpr 1
		.amdhsa_named_barrier_count 0
		.amdhsa_reserve_vcc 0
		.amdhsa_float_round_mode_32 0
		.amdhsa_float_round_mode_16_64 0
		.amdhsa_float_denorm_mode_32 3
		.amdhsa_float_denorm_mode_16_64 3
		.amdhsa_fp16_overflow 0
		.amdhsa_memory_ordered 1
		.amdhsa_forward_progress 1
		.amdhsa_inst_pref_size 0
		.amdhsa_round_robin_scheduling 0
		.amdhsa_exception_fp_ieee_invalid_op 0
		.amdhsa_exception_fp_denorm_src 0
		.amdhsa_exception_fp_ieee_div_zero 0
		.amdhsa_exception_fp_ieee_overflow 0
		.amdhsa_exception_fp_ieee_underflow 0
		.amdhsa_exception_fp_ieee_inexact 0
		.amdhsa_exception_int_div_zero 0
	.end_amdhsa_kernel
	.section	.text._ZN7rocprim17ROCPRIM_400000_NS6detail17trampoline_kernelINS0_14default_configENS1_27scan_by_key_config_selectorIj11FixedVectorIiLj1EEEEZZNS1_16scan_by_key_implILNS1_25lookback_scan_determinismE0ELb0ES3_N6thrust23THRUST_200600_302600_NS6detail15normal_iteratorINSB_10device_ptrIjEEEENSD_INSE_IS6_EEEESI_S6_NSB_4plusIvEENSB_8equal_toIvEES6_EE10hipError_tPvRmT2_T3_T4_T5_mT6_T7_P12ihipStream_tbENKUlT_T0_E_clISt17integral_constantIbLb1EES13_EEDaSY_SZ_EUlSY_E_NS1_11comp_targetILNS1_3genE10ELNS1_11target_archE1200ELNS1_3gpuE4ELNS1_3repE0EEENS1_30default_config_static_selectorELNS0_4arch9wavefront6targetE0EEEvT1_,"axG",@progbits,_ZN7rocprim17ROCPRIM_400000_NS6detail17trampoline_kernelINS0_14default_configENS1_27scan_by_key_config_selectorIj11FixedVectorIiLj1EEEEZZNS1_16scan_by_key_implILNS1_25lookback_scan_determinismE0ELb0ES3_N6thrust23THRUST_200600_302600_NS6detail15normal_iteratorINSB_10device_ptrIjEEEENSD_INSE_IS6_EEEESI_S6_NSB_4plusIvEENSB_8equal_toIvEES6_EE10hipError_tPvRmT2_T3_T4_T5_mT6_T7_P12ihipStream_tbENKUlT_T0_E_clISt17integral_constantIbLb1EES13_EEDaSY_SZ_EUlSY_E_NS1_11comp_targetILNS1_3genE10ELNS1_11target_archE1200ELNS1_3gpuE4ELNS1_3repE0EEENS1_30default_config_static_selectorELNS0_4arch9wavefront6targetE0EEEvT1_,comdat
.Lfunc_end1886:
	.size	_ZN7rocprim17ROCPRIM_400000_NS6detail17trampoline_kernelINS0_14default_configENS1_27scan_by_key_config_selectorIj11FixedVectorIiLj1EEEEZZNS1_16scan_by_key_implILNS1_25lookback_scan_determinismE0ELb0ES3_N6thrust23THRUST_200600_302600_NS6detail15normal_iteratorINSB_10device_ptrIjEEEENSD_INSE_IS6_EEEESI_S6_NSB_4plusIvEENSB_8equal_toIvEES6_EE10hipError_tPvRmT2_T3_T4_T5_mT6_T7_P12ihipStream_tbENKUlT_T0_E_clISt17integral_constantIbLb1EES13_EEDaSY_SZ_EUlSY_E_NS1_11comp_targetILNS1_3genE10ELNS1_11target_archE1200ELNS1_3gpuE4ELNS1_3repE0EEENS1_30default_config_static_selectorELNS0_4arch9wavefront6targetE0EEEvT1_, .Lfunc_end1886-_ZN7rocprim17ROCPRIM_400000_NS6detail17trampoline_kernelINS0_14default_configENS1_27scan_by_key_config_selectorIj11FixedVectorIiLj1EEEEZZNS1_16scan_by_key_implILNS1_25lookback_scan_determinismE0ELb0ES3_N6thrust23THRUST_200600_302600_NS6detail15normal_iteratorINSB_10device_ptrIjEEEENSD_INSE_IS6_EEEESI_S6_NSB_4plusIvEENSB_8equal_toIvEES6_EE10hipError_tPvRmT2_T3_T4_T5_mT6_T7_P12ihipStream_tbENKUlT_T0_E_clISt17integral_constantIbLb1EES13_EEDaSY_SZ_EUlSY_E_NS1_11comp_targetILNS1_3genE10ELNS1_11target_archE1200ELNS1_3gpuE4ELNS1_3repE0EEENS1_30default_config_static_selectorELNS0_4arch9wavefront6targetE0EEEvT1_
                                        ; -- End function
	.set _ZN7rocprim17ROCPRIM_400000_NS6detail17trampoline_kernelINS0_14default_configENS1_27scan_by_key_config_selectorIj11FixedVectorIiLj1EEEEZZNS1_16scan_by_key_implILNS1_25lookback_scan_determinismE0ELb0ES3_N6thrust23THRUST_200600_302600_NS6detail15normal_iteratorINSB_10device_ptrIjEEEENSD_INSE_IS6_EEEESI_S6_NSB_4plusIvEENSB_8equal_toIvEES6_EE10hipError_tPvRmT2_T3_T4_T5_mT6_T7_P12ihipStream_tbENKUlT_T0_E_clISt17integral_constantIbLb1EES13_EEDaSY_SZ_EUlSY_E_NS1_11comp_targetILNS1_3genE10ELNS1_11target_archE1200ELNS1_3gpuE4ELNS1_3repE0EEENS1_30default_config_static_selectorELNS0_4arch9wavefront6targetE0EEEvT1_.num_vgpr, 0
	.set _ZN7rocprim17ROCPRIM_400000_NS6detail17trampoline_kernelINS0_14default_configENS1_27scan_by_key_config_selectorIj11FixedVectorIiLj1EEEEZZNS1_16scan_by_key_implILNS1_25lookback_scan_determinismE0ELb0ES3_N6thrust23THRUST_200600_302600_NS6detail15normal_iteratorINSB_10device_ptrIjEEEENSD_INSE_IS6_EEEESI_S6_NSB_4plusIvEENSB_8equal_toIvEES6_EE10hipError_tPvRmT2_T3_T4_T5_mT6_T7_P12ihipStream_tbENKUlT_T0_E_clISt17integral_constantIbLb1EES13_EEDaSY_SZ_EUlSY_E_NS1_11comp_targetILNS1_3genE10ELNS1_11target_archE1200ELNS1_3gpuE4ELNS1_3repE0EEENS1_30default_config_static_selectorELNS0_4arch9wavefront6targetE0EEEvT1_.num_agpr, 0
	.set _ZN7rocprim17ROCPRIM_400000_NS6detail17trampoline_kernelINS0_14default_configENS1_27scan_by_key_config_selectorIj11FixedVectorIiLj1EEEEZZNS1_16scan_by_key_implILNS1_25lookback_scan_determinismE0ELb0ES3_N6thrust23THRUST_200600_302600_NS6detail15normal_iteratorINSB_10device_ptrIjEEEENSD_INSE_IS6_EEEESI_S6_NSB_4plusIvEENSB_8equal_toIvEES6_EE10hipError_tPvRmT2_T3_T4_T5_mT6_T7_P12ihipStream_tbENKUlT_T0_E_clISt17integral_constantIbLb1EES13_EEDaSY_SZ_EUlSY_E_NS1_11comp_targetILNS1_3genE10ELNS1_11target_archE1200ELNS1_3gpuE4ELNS1_3repE0EEENS1_30default_config_static_selectorELNS0_4arch9wavefront6targetE0EEEvT1_.numbered_sgpr, 0
	.set _ZN7rocprim17ROCPRIM_400000_NS6detail17trampoline_kernelINS0_14default_configENS1_27scan_by_key_config_selectorIj11FixedVectorIiLj1EEEEZZNS1_16scan_by_key_implILNS1_25lookback_scan_determinismE0ELb0ES3_N6thrust23THRUST_200600_302600_NS6detail15normal_iteratorINSB_10device_ptrIjEEEENSD_INSE_IS6_EEEESI_S6_NSB_4plusIvEENSB_8equal_toIvEES6_EE10hipError_tPvRmT2_T3_T4_T5_mT6_T7_P12ihipStream_tbENKUlT_T0_E_clISt17integral_constantIbLb1EES13_EEDaSY_SZ_EUlSY_E_NS1_11comp_targetILNS1_3genE10ELNS1_11target_archE1200ELNS1_3gpuE4ELNS1_3repE0EEENS1_30default_config_static_selectorELNS0_4arch9wavefront6targetE0EEEvT1_.num_named_barrier, 0
	.set _ZN7rocprim17ROCPRIM_400000_NS6detail17trampoline_kernelINS0_14default_configENS1_27scan_by_key_config_selectorIj11FixedVectorIiLj1EEEEZZNS1_16scan_by_key_implILNS1_25lookback_scan_determinismE0ELb0ES3_N6thrust23THRUST_200600_302600_NS6detail15normal_iteratorINSB_10device_ptrIjEEEENSD_INSE_IS6_EEEESI_S6_NSB_4plusIvEENSB_8equal_toIvEES6_EE10hipError_tPvRmT2_T3_T4_T5_mT6_T7_P12ihipStream_tbENKUlT_T0_E_clISt17integral_constantIbLb1EES13_EEDaSY_SZ_EUlSY_E_NS1_11comp_targetILNS1_3genE10ELNS1_11target_archE1200ELNS1_3gpuE4ELNS1_3repE0EEENS1_30default_config_static_selectorELNS0_4arch9wavefront6targetE0EEEvT1_.private_seg_size, 0
	.set _ZN7rocprim17ROCPRIM_400000_NS6detail17trampoline_kernelINS0_14default_configENS1_27scan_by_key_config_selectorIj11FixedVectorIiLj1EEEEZZNS1_16scan_by_key_implILNS1_25lookback_scan_determinismE0ELb0ES3_N6thrust23THRUST_200600_302600_NS6detail15normal_iteratorINSB_10device_ptrIjEEEENSD_INSE_IS6_EEEESI_S6_NSB_4plusIvEENSB_8equal_toIvEES6_EE10hipError_tPvRmT2_T3_T4_T5_mT6_T7_P12ihipStream_tbENKUlT_T0_E_clISt17integral_constantIbLb1EES13_EEDaSY_SZ_EUlSY_E_NS1_11comp_targetILNS1_3genE10ELNS1_11target_archE1200ELNS1_3gpuE4ELNS1_3repE0EEENS1_30default_config_static_selectorELNS0_4arch9wavefront6targetE0EEEvT1_.uses_vcc, 0
	.set _ZN7rocprim17ROCPRIM_400000_NS6detail17trampoline_kernelINS0_14default_configENS1_27scan_by_key_config_selectorIj11FixedVectorIiLj1EEEEZZNS1_16scan_by_key_implILNS1_25lookback_scan_determinismE0ELb0ES3_N6thrust23THRUST_200600_302600_NS6detail15normal_iteratorINSB_10device_ptrIjEEEENSD_INSE_IS6_EEEESI_S6_NSB_4plusIvEENSB_8equal_toIvEES6_EE10hipError_tPvRmT2_T3_T4_T5_mT6_T7_P12ihipStream_tbENKUlT_T0_E_clISt17integral_constantIbLb1EES13_EEDaSY_SZ_EUlSY_E_NS1_11comp_targetILNS1_3genE10ELNS1_11target_archE1200ELNS1_3gpuE4ELNS1_3repE0EEENS1_30default_config_static_selectorELNS0_4arch9wavefront6targetE0EEEvT1_.uses_flat_scratch, 0
	.set _ZN7rocprim17ROCPRIM_400000_NS6detail17trampoline_kernelINS0_14default_configENS1_27scan_by_key_config_selectorIj11FixedVectorIiLj1EEEEZZNS1_16scan_by_key_implILNS1_25lookback_scan_determinismE0ELb0ES3_N6thrust23THRUST_200600_302600_NS6detail15normal_iteratorINSB_10device_ptrIjEEEENSD_INSE_IS6_EEEESI_S6_NSB_4plusIvEENSB_8equal_toIvEES6_EE10hipError_tPvRmT2_T3_T4_T5_mT6_T7_P12ihipStream_tbENKUlT_T0_E_clISt17integral_constantIbLb1EES13_EEDaSY_SZ_EUlSY_E_NS1_11comp_targetILNS1_3genE10ELNS1_11target_archE1200ELNS1_3gpuE4ELNS1_3repE0EEENS1_30default_config_static_selectorELNS0_4arch9wavefront6targetE0EEEvT1_.has_dyn_sized_stack, 0
	.set _ZN7rocprim17ROCPRIM_400000_NS6detail17trampoline_kernelINS0_14default_configENS1_27scan_by_key_config_selectorIj11FixedVectorIiLj1EEEEZZNS1_16scan_by_key_implILNS1_25lookback_scan_determinismE0ELb0ES3_N6thrust23THRUST_200600_302600_NS6detail15normal_iteratorINSB_10device_ptrIjEEEENSD_INSE_IS6_EEEESI_S6_NSB_4plusIvEENSB_8equal_toIvEES6_EE10hipError_tPvRmT2_T3_T4_T5_mT6_T7_P12ihipStream_tbENKUlT_T0_E_clISt17integral_constantIbLb1EES13_EEDaSY_SZ_EUlSY_E_NS1_11comp_targetILNS1_3genE10ELNS1_11target_archE1200ELNS1_3gpuE4ELNS1_3repE0EEENS1_30default_config_static_selectorELNS0_4arch9wavefront6targetE0EEEvT1_.has_recursion, 0
	.set _ZN7rocprim17ROCPRIM_400000_NS6detail17trampoline_kernelINS0_14default_configENS1_27scan_by_key_config_selectorIj11FixedVectorIiLj1EEEEZZNS1_16scan_by_key_implILNS1_25lookback_scan_determinismE0ELb0ES3_N6thrust23THRUST_200600_302600_NS6detail15normal_iteratorINSB_10device_ptrIjEEEENSD_INSE_IS6_EEEESI_S6_NSB_4plusIvEENSB_8equal_toIvEES6_EE10hipError_tPvRmT2_T3_T4_T5_mT6_T7_P12ihipStream_tbENKUlT_T0_E_clISt17integral_constantIbLb1EES13_EEDaSY_SZ_EUlSY_E_NS1_11comp_targetILNS1_3genE10ELNS1_11target_archE1200ELNS1_3gpuE4ELNS1_3repE0EEENS1_30default_config_static_selectorELNS0_4arch9wavefront6targetE0EEEvT1_.has_indirect_call, 0
	.section	.AMDGPU.csdata,"",@progbits
; Kernel info:
; codeLenInByte = 0
; TotalNumSgprs: 0
; NumVgprs: 0
; ScratchSize: 0
; MemoryBound: 0
; FloatMode: 240
; IeeeMode: 1
; LDSByteSize: 0 bytes/workgroup (compile time only)
; SGPRBlocks: 0
; VGPRBlocks: 0
; NumSGPRsForWavesPerEU: 1
; NumVGPRsForWavesPerEU: 1
; NamedBarCnt: 0
; Occupancy: 16
; WaveLimiterHint : 0
; COMPUTE_PGM_RSRC2:SCRATCH_EN: 0
; COMPUTE_PGM_RSRC2:USER_SGPR: 2
; COMPUTE_PGM_RSRC2:TRAP_HANDLER: 0
; COMPUTE_PGM_RSRC2:TGID_X_EN: 1
; COMPUTE_PGM_RSRC2:TGID_Y_EN: 0
; COMPUTE_PGM_RSRC2:TGID_Z_EN: 0
; COMPUTE_PGM_RSRC2:TIDIG_COMP_CNT: 0
	.section	.text._ZN7rocprim17ROCPRIM_400000_NS6detail17trampoline_kernelINS0_14default_configENS1_27scan_by_key_config_selectorIj11FixedVectorIiLj1EEEEZZNS1_16scan_by_key_implILNS1_25lookback_scan_determinismE0ELb0ES3_N6thrust23THRUST_200600_302600_NS6detail15normal_iteratorINSB_10device_ptrIjEEEENSD_INSE_IS6_EEEESI_S6_NSB_4plusIvEENSB_8equal_toIvEES6_EE10hipError_tPvRmT2_T3_T4_T5_mT6_T7_P12ihipStream_tbENKUlT_T0_E_clISt17integral_constantIbLb1EES13_EEDaSY_SZ_EUlSY_E_NS1_11comp_targetILNS1_3genE9ELNS1_11target_archE1100ELNS1_3gpuE3ELNS1_3repE0EEENS1_30default_config_static_selectorELNS0_4arch9wavefront6targetE0EEEvT1_,"axG",@progbits,_ZN7rocprim17ROCPRIM_400000_NS6detail17trampoline_kernelINS0_14default_configENS1_27scan_by_key_config_selectorIj11FixedVectorIiLj1EEEEZZNS1_16scan_by_key_implILNS1_25lookback_scan_determinismE0ELb0ES3_N6thrust23THRUST_200600_302600_NS6detail15normal_iteratorINSB_10device_ptrIjEEEENSD_INSE_IS6_EEEESI_S6_NSB_4plusIvEENSB_8equal_toIvEES6_EE10hipError_tPvRmT2_T3_T4_T5_mT6_T7_P12ihipStream_tbENKUlT_T0_E_clISt17integral_constantIbLb1EES13_EEDaSY_SZ_EUlSY_E_NS1_11comp_targetILNS1_3genE9ELNS1_11target_archE1100ELNS1_3gpuE3ELNS1_3repE0EEENS1_30default_config_static_selectorELNS0_4arch9wavefront6targetE0EEEvT1_,comdat
	.protected	_ZN7rocprim17ROCPRIM_400000_NS6detail17trampoline_kernelINS0_14default_configENS1_27scan_by_key_config_selectorIj11FixedVectorIiLj1EEEEZZNS1_16scan_by_key_implILNS1_25lookback_scan_determinismE0ELb0ES3_N6thrust23THRUST_200600_302600_NS6detail15normal_iteratorINSB_10device_ptrIjEEEENSD_INSE_IS6_EEEESI_S6_NSB_4plusIvEENSB_8equal_toIvEES6_EE10hipError_tPvRmT2_T3_T4_T5_mT6_T7_P12ihipStream_tbENKUlT_T0_E_clISt17integral_constantIbLb1EES13_EEDaSY_SZ_EUlSY_E_NS1_11comp_targetILNS1_3genE9ELNS1_11target_archE1100ELNS1_3gpuE3ELNS1_3repE0EEENS1_30default_config_static_selectorELNS0_4arch9wavefront6targetE0EEEvT1_ ; -- Begin function _ZN7rocprim17ROCPRIM_400000_NS6detail17trampoline_kernelINS0_14default_configENS1_27scan_by_key_config_selectorIj11FixedVectorIiLj1EEEEZZNS1_16scan_by_key_implILNS1_25lookback_scan_determinismE0ELb0ES3_N6thrust23THRUST_200600_302600_NS6detail15normal_iteratorINSB_10device_ptrIjEEEENSD_INSE_IS6_EEEESI_S6_NSB_4plusIvEENSB_8equal_toIvEES6_EE10hipError_tPvRmT2_T3_T4_T5_mT6_T7_P12ihipStream_tbENKUlT_T0_E_clISt17integral_constantIbLb1EES13_EEDaSY_SZ_EUlSY_E_NS1_11comp_targetILNS1_3genE9ELNS1_11target_archE1100ELNS1_3gpuE3ELNS1_3repE0EEENS1_30default_config_static_selectorELNS0_4arch9wavefront6targetE0EEEvT1_
	.globl	_ZN7rocprim17ROCPRIM_400000_NS6detail17trampoline_kernelINS0_14default_configENS1_27scan_by_key_config_selectorIj11FixedVectorIiLj1EEEEZZNS1_16scan_by_key_implILNS1_25lookback_scan_determinismE0ELb0ES3_N6thrust23THRUST_200600_302600_NS6detail15normal_iteratorINSB_10device_ptrIjEEEENSD_INSE_IS6_EEEESI_S6_NSB_4plusIvEENSB_8equal_toIvEES6_EE10hipError_tPvRmT2_T3_T4_T5_mT6_T7_P12ihipStream_tbENKUlT_T0_E_clISt17integral_constantIbLb1EES13_EEDaSY_SZ_EUlSY_E_NS1_11comp_targetILNS1_3genE9ELNS1_11target_archE1100ELNS1_3gpuE3ELNS1_3repE0EEENS1_30default_config_static_selectorELNS0_4arch9wavefront6targetE0EEEvT1_
	.p2align	8
	.type	_ZN7rocprim17ROCPRIM_400000_NS6detail17trampoline_kernelINS0_14default_configENS1_27scan_by_key_config_selectorIj11FixedVectorIiLj1EEEEZZNS1_16scan_by_key_implILNS1_25lookback_scan_determinismE0ELb0ES3_N6thrust23THRUST_200600_302600_NS6detail15normal_iteratorINSB_10device_ptrIjEEEENSD_INSE_IS6_EEEESI_S6_NSB_4plusIvEENSB_8equal_toIvEES6_EE10hipError_tPvRmT2_T3_T4_T5_mT6_T7_P12ihipStream_tbENKUlT_T0_E_clISt17integral_constantIbLb1EES13_EEDaSY_SZ_EUlSY_E_NS1_11comp_targetILNS1_3genE9ELNS1_11target_archE1100ELNS1_3gpuE3ELNS1_3repE0EEENS1_30default_config_static_selectorELNS0_4arch9wavefront6targetE0EEEvT1_,@function
_ZN7rocprim17ROCPRIM_400000_NS6detail17trampoline_kernelINS0_14default_configENS1_27scan_by_key_config_selectorIj11FixedVectorIiLj1EEEEZZNS1_16scan_by_key_implILNS1_25lookback_scan_determinismE0ELb0ES3_N6thrust23THRUST_200600_302600_NS6detail15normal_iteratorINSB_10device_ptrIjEEEENSD_INSE_IS6_EEEESI_S6_NSB_4plusIvEENSB_8equal_toIvEES6_EE10hipError_tPvRmT2_T3_T4_T5_mT6_T7_P12ihipStream_tbENKUlT_T0_E_clISt17integral_constantIbLb1EES13_EEDaSY_SZ_EUlSY_E_NS1_11comp_targetILNS1_3genE9ELNS1_11target_archE1100ELNS1_3gpuE3ELNS1_3repE0EEENS1_30default_config_static_selectorELNS0_4arch9wavefront6targetE0EEEvT1_: ; @_ZN7rocprim17ROCPRIM_400000_NS6detail17trampoline_kernelINS0_14default_configENS1_27scan_by_key_config_selectorIj11FixedVectorIiLj1EEEEZZNS1_16scan_by_key_implILNS1_25lookback_scan_determinismE0ELb0ES3_N6thrust23THRUST_200600_302600_NS6detail15normal_iteratorINSB_10device_ptrIjEEEENSD_INSE_IS6_EEEESI_S6_NSB_4plusIvEENSB_8equal_toIvEES6_EE10hipError_tPvRmT2_T3_T4_T5_mT6_T7_P12ihipStream_tbENKUlT_T0_E_clISt17integral_constantIbLb1EES13_EEDaSY_SZ_EUlSY_E_NS1_11comp_targetILNS1_3genE9ELNS1_11target_archE1100ELNS1_3gpuE3ELNS1_3repE0EEENS1_30default_config_static_selectorELNS0_4arch9wavefront6targetE0EEEvT1_
; %bb.0:
	.section	.rodata,"a",@progbits
	.p2align	6, 0x0
	.amdhsa_kernel _ZN7rocprim17ROCPRIM_400000_NS6detail17trampoline_kernelINS0_14default_configENS1_27scan_by_key_config_selectorIj11FixedVectorIiLj1EEEEZZNS1_16scan_by_key_implILNS1_25lookback_scan_determinismE0ELb0ES3_N6thrust23THRUST_200600_302600_NS6detail15normal_iteratorINSB_10device_ptrIjEEEENSD_INSE_IS6_EEEESI_S6_NSB_4plusIvEENSB_8equal_toIvEES6_EE10hipError_tPvRmT2_T3_T4_T5_mT6_T7_P12ihipStream_tbENKUlT_T0_E_clISt17integral_constantIbLb1EES13_EEDaSY_SZ_EUlSY_E_NS1_11comp_targetILNS1_3genE9ELNS1_11target_archE1100ELNS1_3gpuE3ELNS1_3repE0EEENS1_30default_config_static_selectorELNS0_4arch9wavefront6targetE0EEEvT1_
		.amdhsa_group_segment_fixed_size 0
		.amdhsa_private_segment_fixed_size 0
		.amdhsa_kernarg_size 112
		.amdhsa_user_sgpr_count 2
		.amdhsa_user_sgpr_dispatch_ptr 0
		.amdhsa_user_sgpr_queue_ptr 0
		.amdhsa_user_sgpr_kernarg_segment_ptr 1
		.amdhsa_user_sgpr_dispatch_id 0
		.amdhsa_user_sgpr_kernarg_preload_length 0
		.amdhsa_user_sgpr_kernarg_preload_offset 0
		.amdhsa_user_sgpr_private_segment_size 0
		.amdhsa_wavefront_size32 1
		.amdhsa_uses_dynamic_stack 0
		.amdhsa_enable_private_segment 0
		.amdhsa_system_sgpr_workgroup_id_x 1
		.amdhsa_system_sgpr_workgroup_id_y 0
		.amdhsa_system_sgpr_workgroup_id_z 0
		.amdhsa_system_sgpr_workgroup_info 0
		.amdhsa_system_vgpr_workitem_id 0
		.amdhsa_next_free_vgpr 1
		.amdhsa_next_free_sgpr 1
		.amdhsa_named_barrier_count 0
		.amdhsa_reserve_vcc 0
		.amdhsa_float_round_mode_32 0
		.amdhsa_float_round_mode_16_64 0
		.amdhsa_float_denorm_mode_32 3
		.amdhsa_float_denorm_mode_16_64 3
		.amdhsa_fp16_overflow 0
		.amdhsa_memory_ordered 1
		.amdhsa_forward_progress 1
		.amdhsa_inst_pref_size 0
		.amdhsa_round_robin_scheduling 0
		.amdhsa_exception_fp_ieee_invalid_op 0
		.amdhsa_exception_fp_denorm_src 0
		.amdhsa_exception_fp_ieee_div_zero 0
		.amdhsa_exception_fp_ieee_overflow 0
		.amdhsa_exception_fp_ieee_underflow 0
		.amdhsa_exception_fp_ieee_inexact 0
		.amdhsa_exception_int_div_zero 0
	.end_amdhsa_kernel
	.section	.text._ZN7rocprim17ROCPRIM_400000_NS6detail17trampoline_kernelINS0_14default_configENS1_27scan_by_key_config_selectorIj11FixedVectorIiLj1EEEEZZNS1_16scan_by_key_implILNS1_25lookback_scan_determinismE0ELb0ES3_N6thrust23THRUST_200600_302600_NS6detail15normal_iteratorINSB_10device_ptrIjEEEENSD_INSE_IS6_EEEESI_S6_NSB_4plusIvEENSB_8equal_toIvEES6_EE10hipError_tPvRmT2_T3_T4_T5_mT6_T7_P12ihipStream_tbENKUlT_T0_E_clISt17integral_constantIbLb1EES13_EEDaSY_SZ_EUlSY_E_NS1_11comp_targetILNS1_3genE9ELNS1_11target_archE1100ELNS1_3gpuE3ELNS1_3repE0EEENS1_30default_config_static_selectorELNS0_4arch9wavefront6targetE0EEEvT1_,"axG",@progbits,_ZN7rocprim17ROCPRIM_400000_NS6detail17trampoline_kernelINS0_14default_configENS1_27scan_by_key_config_selectorIj11FixedVectorIiLj1EEEEZZNS1_16scan_by_key_implILNS1_25lookback_scan_determinismE0ELb0ES3_N6thrust23THRUST_200600_302600_NS6detail15normal_iteratorINSB_10device_ptrIjEEEENSD_INSE_IS6_EEEESI_S6_NSB_4plusIvEENSB_8equal_toIvEES6_EE10hipError_tPvRmT2_T3_T4_T5_mT6_T7_P12ihipStream_tbENKUlT_T0_E_clISt17integral_constantIbLb1EES13_EEDaSY_SZ_EUlSY_E_NS1_11comp_targetILNS1_3genE9ELNS1_11target_archE1100ELNS1_3gpuE3ELNS1_3repE0EEENS1_30default_config_static_selectorELNS0_4arch9wavefront6targetE0EEEvT1_,comdat
.Lfunc_end1887:
	.size	_ZN7rocprim17ROCPRIM_400000_NS6detail17trampoline_kernelINS0_14default_configENS1_27scan_by_key_config_selectorIj11FixedVectorIiLj1EEEEZZNS1_16scan_by_key_implILNS1_25lookback_scan_determinismE0ELb0ES3_N6thrust23THRUST_200600_302600_NS6detail15normal_iteratorINSB_10device_ptrIjEEEENSD_INSE_IS6_EEEESI_S6_NSB_4plusIvEENSB_8equal_toIvEES6_EE10hipError_tPvRmT2_T3_T4_T5_mT6_T7_P12ihipStream_tbENKUlT_T0_E_clISt17integral_constantIbLb1EES13_EEDaSY_SZ_EUlSY_E_NS1_11comp_targetILNS1_3genE9ELNS1_11target_archE1100ELNS1_3gpuE3ELNS1_3repE0EEENS1_30default_config_static_selectorELNS0_4arch9wavefront6targetE0EEEvT1_, .Lfunc_end1887-_ZN7rocprim17ROCPRIM_400000_NS6detail17trampoline_kernelINS0_14default_configENS1_27scan_by_key_config_selectorIj11FixedVectorIiLj1EEEEZZNS1_16scan_by_key_implILNS1_25lookback_scan_determinismE0ELb0ES3_N6thrust23THRUST_200600_302600_NS6detail15normal_iteratorINSB_10device_ptrIjEEEENSD_INSE_IS6_EEEESI_S6_NSB_4plusIvEENSB_8equal_toIvEES6_EE10hipError_tPvRmT2_T3_T4_T5_mT6_T7_P12ihipStream_tbENKUlT_T0_E_clISt17integral_constantIbLb1EES13_EEDaSY_SZ_EUlSY_E_NS1_11comp_targetILNS1_3genE9ELNS1_11target_archE1100ELNS1_3gpuE3ELNS1_3repE0EEENS1_30default_config_static_selectorELNS0_4arch9wavefront6targetE0EEEvT1_
                                        ; -- End function
	.set _ZN7rocprim17ROCPRIM_400000_NS6detail17trampoline_kernelINS0_14default_configENS1_27scan_by_key_config_selectorIj11FixedVectorIiLj1EEEEZZNS1_16scan_by_key_implILNS1_25lookback_scan_determinismE0ELb0ES3_N6thrust23THRUST_200600_302600_NS6detail15normal_iteratorINSB_10device_ptrIjEEEENSD_INSE_IS6_EEEESI_S6_NSB_4plusIvEENSB_8equal_toIvEES6_EE10hipError_tPvRmT2_T3_T4_T5_mT6_T7_P12ihipStream_tbENKUlT_T0_E_clISt17integral_constantIbLb1EES13_EEDaSY_SZ_EUlSY_E_NS1_11comp_targetILNS1_3genE9ELNS1_11target_archE1100ELNS1_3gpuE3ELNS1_3repE0EEENS1_30default_config_static_selectorELNS0_4arch9wavefront6targetE0EEEvT1_.num_vgpr, 0
	.set _ZN7rocprim17ROCPRIM_400000_NS6detail17trampoline_kernelINS0_14default_configENS1_27scan_by_key_config_selectorIj11FixedVectorIiLj1EEEEZZNS1_16scan_by_key_implILNS1_25lookback_scan_determinismE0ELb0ES3_N6thrust23THRUST_200600_302600_NS6detail15normal_iteratorINSB_10device_ptrIjEEEENSD_INSE_IS6_EEEESI_S6_NSB_4plusIvEENSB_8equal_toIvEES6_EE10hipError_tPvRmT2_T3_T4_T5_mT6_T7_P12ihipStream_tbENKUlT_T0_E_clISt17integral_constantIbLb1EES13_EEDaSY_SZ_EUlSY_E_NS1_11comp_targetILNS1_3genE9ELNS1_11target_archE1100ELNS1_3gpuE3ELNS1_3repE0EEENS1_30default_config_static_selectorELNS0_4arch9wavefront6targetE0EEEvT1_.num_agpr, 0
	.set _ZN7rocprim17ROCPRIM_400000_NS6detail17trampoline_kernelINS0_14default_configENS1_27scan_by_key_config_selectorIj11FixedVectorIiLj1EEEEZZNS1_16scan_by_key_implILNS1_25lookback_scan_determinismE0ELb0ES3_N6thrust23THRUST_200600_302600_NS6detail15normal_iteratorINSB_10device_ptrIjEEEENSD_INSE_IS6_EEEESI_S6_NSB_4plusIvEENSB_8equal_toIvEES6_EE10hipError_tPvRmT2_T3_T4_T5_mT6_T7_P12ihipStream_tbENKUlT_T0_E_clISt17integral_constantIbLb1EES13_EEDaSY_SZ_EUlSY_E_NS1_11comp_targetILNS1_3genE9ELNS1_11target_archE1100ELNS1_3gpuE3ELNS1_3repE0EEENS1_30default_config_static_selectorELNS0_4arch9wavefront6targetE0EEEvT1_.numbered_sgpr, 0
	.set _ZN7rocprim17ROCPRIM_400000_NS6detail17trampoline_kernelINS0_14default_configENS1_27scan_by_key_config_selectorIj11FixedVectorIiLj1EEEEZZNS1_16scan_by_key_implILNS1_25lookback_scan_determinismE0ELb0ES3_N6thrust23THRUST_200600_302600_NS6detail15normal_iteratorINSB_10device_ptrIjEEEENSD_INSE_IS6_EEEESI_S6_NSB_4plusIvEENSB_8equal_toIvEES6_EE10hipError_tPvRmT2_T3_T4_T5_mT6_T7_P12ihipStream_tbENKUlT_T0_E_clISt17integral_constantIbLb1EES13_EEDaSY_SZ_EUlSY_E_NS1_11comp_targetILNS1_3genE9ELNS1_11target_archE1100ELNS1_3gpuE3ELNS1_3repE0EEENS1_30default_config_static_selectorELNS0_4arch9wavefront6targetE0EEEvT1_.num_named_barrier, 0
	.set _ZN7rocprim17ROCPRIM_400000_NS6detail17trampoline_kernelINS0_14default_configENS1_27scan_by_key_config_selectorIj11FixedVectorIiLj1EEEEZZNS1_16scan_by_key_implILNS1_25lookback_scan_determinismE0ELb0ES3_N6thrust23THRUST_200600_302600_NS6detail15normal_iteratorINSB_10device_ptrIjEEEENSD_INSE_IS6_EEEESI_S6_NSB_4plusIvEENSB_8equal_toIvEES6_EE10hipError_tPvRmT2_T3_T4_T5_mT6_T7_P12ihipStream_tbENKUlT_T0_E_clISt17integral_constantIbLb1EES13_EEDaSY_SZ_EUlSY_E_NS1_11comp_targetILNS1_3genE9ELNS1_11target_archE1100ELNS1_3gpuE3ELNS1_3repE0EEENS1_30default_config_static_selectorELNS0_4arch9wavefront6targetE0EEEvT1_.private_seg_size, 0
	.set _ZN7rocprim17ROCPRIM_400000_NS6detail17trampoline_kernelINS0_14default_configENS1_27scan_by_key_config_selectorIj11FixedVectorIiLj1EEEEZZNS1_16scan_by_key_implILNS1_25lookback_scan_determinismE0ELb0ES3_N6thrust23THRUST_200600_302600_NS6detail15normal_iteratorINSB_10device_ptrIjEEEENSD_INSE_IS6_EEEESI_S6_NSB_4plusIvEENSB_8equal_toIvEES6_EE10hipError_tPvRmT2_T3_T4_T5_mT6_T7_P12ihipStream_tbENKUlT_T0_E_clISt17integral_constantIbLb1EES13_EEDaSY_SZ_EUlSY_E_NS1_11comp_targetILNS1_3genE9ELNS1_11target_archE1100ELNS1_3gpuE3ELNS1_3repE0EEENS1_30default_config_static_selectorELNS0_4arch9wavefront6targetE0EEEvT1_.uses_vcc, 0
	.set _ZN7rocprim17ROCPRIM_400000_NS6detail17trampoline_kernelINS0_14default_configENS1_27scan_by_key_config_selectorIj11FixedVectorIiLj1EEEEZZNS1_16scan_by_key_implILNS1_25lookback_scan_determinismE0ELb0ES3_N6thrust23THRUST_200600_302600_NS6detail15normal_iteratorINSB_10device_ptrIjEEEENSD_INSE_IS6_EEEESI_S6_NSB_4plusIvEENSB_8equal_toIvEES6_EE10hipError_tPvRmT2_T3_T4_T5_mT6_T7_P12ihipStream_tbENKUlT_T0_E_clISt17integral_constantIbLb1EES13_EEDaSY_SZ_EUlSY_E_NS1_11comp_targetILNS1_3genE9ELNS1_11target_archE1100ELNS1_3gpuE3ELNS1_3repE0EEENS1_30default_config_static_selectorELNS0_4arch9wavefront6targetE0EEEvT1_.uses_flat_scratch, 0
	.set _ZN7rocprim17ROCPRIM_400000_NS6detail17trampoline_kernelINS0_14default_configENS1_27scan_by_key_config_selectorIj11FixedVectorIiLj1EEEEZZNS1_16scan_by_key_implILNS1_25lookback_scan_determinismE0ELb0ES3_N6thrust23THRUST_200600_302600_NS6detail15normal_iteratorINSB_10device_ptrIjEEEENSD_INSE_IS6_EEEESI_S6_NSB_4plusIvEENSB_8equal_toIvEES6_EE10hipError_tPvRmT2_T3_T4_T5_mT6_T7_P12ihipStream_tbENKUlT_T0_E_clISt17integral_constantIbLb1EES13_EEDaSY_SZ_EUlSY_E_NS1_11comp_targetILNS1_3genE9ELNS1_11target_archE1100ELNS1_3gpuE3ELNS1_3repE0EEENS1_30default_config_static_selectorELNS0_4arch9wavefront6targetE0EEEvT1_.has_dyn_sized_stack, 0
	.set _ZN7rocprim17ROCPRIM_400000_NS6detail17trampoline_kernelINS0_14default_configENS1_27scan_by_key_config_selectorIj11FixedVectorIiLj1EEEEZZNS1_16scan_by_key_implILNS1_25lookback_scan_determinismE0ELb0ES3_N6thrust23THRUST_200600_302600_NS6detail15normal_iteratorINSB_10device_ptrIjEEEENSD_INSE_IS6_EEEESI_S6_NSB_4plusIvEENSB_8equal_toIvEES6_EE10hipError_tPvRmT2_T3_T4_T5_mT6_T7_P12ihipStream_tbENKUlT_T0_E_clISt17integral_constantIbLb1EES13_EEDaSY_SZ_EUlSY_E_NS1_11comp_targetILNS1_3genE9ELNS1_11target_archE1100ELNS1_3gpuE3ELNS1_3repE0EEENS1_30default_config_static_selectorELNS0_4arch9wavefront6targetE0EEEvT1_.has_recursion, 0
	.set _ZN7rocprim17ROCPRIM_400000_NS6detail17trampoline_kernelINS0_14default_configENS1_27scan_by_key_config_selectorIj11FixedVectorIiLj1EEEEZZNS1_16scan_by_key_implILNS1_25lookback_scan_determinismE0ELb0ES3_N6thrust23THRUST_200600_302600_NS6detail15normal_iteratorINSB_10device_ptrIjEEEENSD_INSE_IS6_EEEESI_S6_NSB_4plusIvEENSB_8equal_toIvEES6_EE10hipError_tPvRmT2_T3_T4_T5_mT6_T7_P12ihipStream_tbENKUlT_T0_E_clISt17integral_constantIbLb1EES13_EEDaSY_SZ_EUlSY_E_NS1_11comp_targetILNS1_3genE9ELNS1_11target_archE1100ELNS1_3gpuE3ELNS1_3repE0EEENS1_30default_config_static_selectorELNS0_4arch9wavefront6targetE0EEEvT1_.has_indirect_call, 0
	.section	.AMDGPU.csdata,"",@progbits
; Kernel info:
; codeLenInByte = 0
; TotalNumSgprs: 0
; NumVgprs: 0
; ScratchSize: 0
; MemoryBound: 0
; FloatMode: 240
; IeeeMode: 1
; LDSByteSize: 0 bytes/workgroup (compile time only)
; SGPRBlocks: 0
; VGPRBlocks: 0
; NumSGPRsForWavesPerEU: 1
; NumVGPRsForWavesPerEU: 1
; NamedBarCnt: 0
; Occupancy: 16
; WaveLimiterHint : 0
; COMPUTE_PGM_RSRC2:SCRATCH_EN: 0
; COMPUTE_PGM_RSRC2:USER_SGPR: 2
; COMPUTE_PGM_RSRC2:TRAP_HANDLER: 0
; COMPUTE_PGM_RSRC2:TGID_X_EN: 1
; COMPUTE_PGM_RSRC2:TGID_Y_EN: 0
; COMPUTE_PGM_RSRC2:TGID_Z_EN: 0
; COMPUTE_PGM_RSRC2:TIDIG_COMP_CNT: 0
	.section	.text._ZN7rocprim17ROCPRIM_400000_NS6detail17trampoline_kernelINS0_14default_configENS1_27scan_by_key_config_selectorIj11FixedVectorIiLj1EEEEZZNS1_16scan_by_key_implILNS1_25lookback_scan_determinismE0ELb0ES3_N6thrust23THRUST_200600_302600_NS6detail15normal_iteratorINSB_10device_ptrIjEEEENSD_INSE_IS6_EEEESI_S6_NSB_4plusIvEENSB_8equal_toIvEES6_EE10hipError_tPvRmT2_T3_T4_T5_mT6_T7_P12ihipStream_tbENKUlT_T0_E_clISt17integral_constantIbLb1EES13_EEDaSY_SZ_EUlSY_E_NS1_11comp_targetILNS1_3genE8ELNS1_11target_archE1030ELNS1_3gpuE2ELNS1_3repE0EEENS1_30default_config_static_selectorELNS0_4arch9wavefront6targetE0EEEvT1_,"axG",@progbits,_ZN7rocprim17ROCPRIM_400000_NS6detail17trampoline_kernelINS0_14default_configENS1_27scan_by_key_config_selectorIj11FixedVectorIiLj1EEEEZZNS1_16scan_by_key_implILNS1_25lookback_scan_determinismE0ELb0ES3_N6thrust23THRUST_200600_302600_NS6detail15normal_iteratorINSB_10device_ptrIjEEEENSD_INSE_IS6_EEEESI_S6_NSB_4plusIvEENSB_8equal_toIvEES6_EE10hipError_tPvRmT2_T3_T4_T5_mT6_T7_P12ihipStream_tbENKUlT_T0_E_clISt17integral_constantIbLb1EES13_EEDaSY_SZ_EUlSY_E_NS1_11comp_targetILNS1_3genE8ELNS1_11target_archE1030ELNS1_3gpuE2ELNS1_3repE0EEENS1_30default_config_static_selectorELNS0_4arch9wavefront6targetE0EEEvT1_,comdat
	.protected	_ZN7rocprim17ROCPRIM_400000_NS6detail17trampoline_kernelINS0_14default_configENS1_27scan_by_key_config_selectorIj11FixedVectorIiLj1EEEEZZNS1_16scan_by_key_implILNS1_25lookback_scan_determinismE0ELb0ES3_N6thrust23THRUST_200600_302600_NS6detail15normal_iteratorINSB_10device_ptrIjEEEENSD_INSE_IS6_EEEESI_S6_NSB_4plusIvEENSB_8equal_toIvEES6_EE10hipError_tPvRmT2_T3_T4_T5_mT6_T7_P12ihipStream_tbENKUlT_T0_E_clISt17integral_constantIbLb1EES13_EEDaSY_SZ_EUlSY_E_NS1_11comp_targetILNS1_3genE8ELNS1_11target_archE1030ELNS1_3gpuE2ELNS1_3repE0EEENS1_30default_config_static_selectorELNS0_4arch9wavefront6targetE0EEEvT1_ ; -- Begin function _ZN7rocprim17ROCPRIM_400000_NS6detail17trampoline_kernelINS0_14default_configENS1_27scan_by_key_config_selectorIj11FixedVectorIiLj1EEEEZZNS1_16scan_by_key_implILNS1_25lookback_scan_determinismE0ELb0ES3_N6thrust23THRUST_200600_302600_NS6detail15normal_iteratorINSB_10device_ptrIjEEEENSD_INSE_IS6_EEEESI_S6_NSB_4plusIvEENSB_8equal_toIvEES6_EE10hipError_tPvRmT2_T3_T4_T5_mT6_T7_P12ihipStream_tbENKUlT_T0_E_clISt17integral_constantIbLb1EES13_EEDaSY_SZ_EUlSY_E_NS1_11comp_targetILNS1_3genE8ELNS1_11target_archE1030ELNS1_3gpuE2ELNS1_3repE0EEENS1_30default_config_static_selectorELNS0_4arch9wavefront6targetE0EEEvT1_
	.globl	_ZN7rocprim17ROCPRIM_400000_NS6detail17trampoline_kernelINS0_14default_configENS1_27scan_by_key_config_selectorIj11FixedVectorIiLj1EEEEZZNS1_16scan_by_key_implILNS1_25lookback_scan_determinismE0ELb0ES3_N6thrust23THRUST_200600_302600_NS6detail15normal_iteratorINSB_10device_ptrIjEEEENSD_INSE_IS6_EEEESI_S6_NSB_4plusIvEENSB_8equal_toIvEES6_EE10hipError_tPvRmT2_T3_T4_T5_mT6_T7_P12ihipStream_tbENKUlT_T0_E_clISt17integral_constantIbLb1EES13_EEDaSY_SZ_EUlSY_E_NS1_11comp_targetILNS1_3genE8ELNS1_11target_archE1030ELNS1_3gpuE2ELNS1_3repE0EEENS1_30default_config_static_selectorELNS0_4arch9wavefront6targetE0EEEvT1_
	.p2align	8
	.type	_ZN7rocprim17ROCPRIM_400000_NS6detail17trampoline_kernelINS0_14default_configENS1_27scan_by_key_config_selectorIj11FixedVectorIiLj1EEEEZZNS1_16scan_by_key_implILNS1_25lookback_scan_determinismE0ELb0ES3_N6thrust23THRUST_200600_302600_NS6detail15normal_iteratorINSB_10device_ptrIjEEEENSD_INSE_IS6_EEEESI_S6_NSB_4plusIvEENSB_8equal_toIvEES6_EE10hipError_tPvRmT2_T3_T4_T5_mT6_T7_P12ihipStream_tbENKUlT_T0_E_clISt17integral_constantIbLb1EES13_EEDaSY_SZ_EUlSY_E_NS1_11comp_targetILNS1_3genE8ELNS1_11target_archE1030ELNS1_3gpuE2ELNS1_3repE0EEENS1_30default_config_static_selectorELNS0_4arch9wavefront6targetE0EEEvT1_,@function
_ZN7rocprim17ROCPRIM_400000_NS6detail17trampoline_kernelINS0_14default_configENS1_27scan_by_key_config_selectorIj11FixedVectorIiLj1EEEEZZNS1_16scan_by_key_implILNS1_25lookback_scan_determinismE0ELb0ES3_N6thrust23THRUST_200600_302600_NS6detail15normal_iteratorINSB_10device_ptrIjEEEENSD_INSE_IS6_EEEESI_S6_NSB_4plusIvEENSB_8equal_toIvEES6_EE10hipError_tPvRmT2_T3_T4_T5_mT6_T7_P12ihipStream_tbENKUlT_T0_E_clISt17integral_constantIbLb1EES13_EEDaSY_SZ_EUlSY_E_NS1_11comp_targetILNS1_3genE8ELNS1_11target_archE1030ELNS1_3gpuE2ELNS1_3repE0EEENS1_30default_config_static_selectorELNS0_4arch9wavefront6targetE0EEEvT1_: ; @_ZN7rocprim17ROCPRIM_400000_NS6detail17trampoline_kernelINS0_14default_configENS1_27scan_by_key_config_selectorIj11FixedVectorIiLj1EEEEZZNS1_16scan_by_key_implILNS1_25lookback_scan_determinismE0ELb0ES3_N6thrust23THRUST_200600_302600_NS6detail15normal_iteratorINSB_10device_ptrIjEEEENSD_INSE_IS6_EEEESI_S6_NSB_4plusIvEENSB_8equal_toIvEES6_EE10hipError_tPvRmT2_T3_T4_T5_mT6_T7_P12ihipStream_tbENKUlT_T0_E_clISt17integral_constantIbLb1EES13_EEDaSY_SZ_EUlSY_E_NS1_11comp_targetILNS1_3genE8ELNS1_11target_archE1030ELNS1_3gpuE2ELNS1_3repE0EEENS1_30default_config_static_selectorELNS0_4arch9wavefront6targetE0EEEvT1_
; %bb.0:
	.section	.rodata,"a",@progbits
	.p2align	6, 0x0
	.amdhsa_kernel _ZN7rocprim17ROCPRIM_400000_NS6detail17trampoline_kernelINS0_14default_configENS1_27scan_by_key_config_selectorIj11FixedVectorIiLj1EEEEZZNS1_16scan_by_key_implILNS1_25lookback_scan_determinismE0ELb0ES3_N6thrust23THRUST_200600_302600_NS6detail15normal_iteratorINSB_10device_ptrIjEEEENSD_INSE_IS6_EEEESI_S6_NSB_4plusIvEENSB_8equal_toIvEES6_EE10hipError_tPvRmT2_T3_T4_T5_mT6_T7_P12ihipStream_tbENKUlT_T0_E_clISt17integral_constantIbLb1EES13_EEDaSY_SZ_EUlSY_E_NS1_11comp_targetILNS1_3genE8ELNS1_11target_archE1030ELNS1_3gpuE2ELNS1_3repE0EEENS1_30default_config_static_selectorELNS0_4arch9wavefront6targetE0EEEvT1_
		.amdhsa_group_segment_fixed_size 0
		.amdhsa_private_segment_fixed_size 0
		.amdhsa_kernarg_size 112
		.amdhsa_user_sgpr_count 2
		.amdhsa_user_sgpr_dispatch_ptr 0
		.amdhsa_user_sgpr_queue_ptr 0
		.amdhsa_user_sgpr_kernarg_segment_ptr 1
		.amdhsa_user_sgpr_dispatch_id 0
		.amdhsa_user_sgpr_kernarg_preload_length 0
		.amdhsa_user_sgpr_kernarg_preload_offset 0
		.amdhsa_user_sgpr_private_segment_size 0
		.amdhsa_wavefront_size32 1
		.amdhsa_uses_dynamic_stack 0
		.amdhsa_enable_private_segment 0
		.amdhsa_system_sgpr_workgroup_id_x 1
		.amdhsa_system_sgpr_workgroup_id_y 0
		.amdhsa_system_sgpr_workgroup_id_z 0
		.amdhsa_system_sgpr_workgroup_info 0
		.amdhsa_system_vgpr_workitem_id 0
		.amdhsa_next_free_vgpr 1
		.amdhsa_next_free_sgpr 1
		.amdhsa_named_barrier_count 0
		.amdhsa_reserve_vcc 0
		.amdhsa_float_round_mode_32 0
		.amdhsa_float_round_mode_16_64 0
		.amdhsa_float_denorm_mode_32 3
		.amdhsa_float_denorm_mode_16_64 3
		.amdhsa_fp16_overflow 0
		.amdhsa_memory_ordered 1
		.amdhsa_forward_progress 1
		.amdhsa_inst_pref_size 0
		.amdhsa_round_robin_scheduling 0
		.amdhsa_exception_fp_ieee_invalid_op 0
		.amdhsa_exception_fp_denorm_src 0
		.amdhsa_exception_fp_ieee_div_zero 0
		.amdhsa_exception_fp_ieee_overflow 0
		.amdhsa_exception_fp_ieee_underflow 0
		.amdhsa_exception_fp_ieee_inexact 0
		.amdhsa_exception_int_div_zero 0
	.end_amdhsa_kernel
	.section	.text._ZN7rocprim17ROCPRIM_400000_NS6detail17trampoline_kernelINS0_14default_configENS1_27scan_by_key_config_selectorIj11FixedVectorIiLj1EEEEZZNS1_16scan_by_key_implILNS1_25lookback_scan_determinismE0ELb0ES3_N6thrust23THRUST_200600_302600_NS6detail15normal_iteratorINSB_10device_ptrIjEEEENSD_INSE_IS6_EEEESI_S6_NSB_4plusIvEENSB_8equal_toIvEES6_EE10hipError_tPvRmT2_T3_T4_T5_mT6_T7_P12ihipStream_tbENKUlT_T0_E_clISt17integral_constantIbLb1EES13_EEDaSY_SZ_EUlSY_E_NS1_11comp_targetILNS1_3genE8ELNS1_11target_archE1030ELNS1_3gpuE2ELNS1_3repE0EEENS1_30default_config_static_selectorELNS0_4arch9wavefront6targetE0EEEvT1_,"axG",@progbits,_ZN7rocprim17ROCPRIM_400000_NS6detail17trampoline_kernelINS0_14default_configENS1_27scan_by_key_config_selectorIj11FixedVectorIiLj1EEEEZZNS1_16scan_by_key_implILNS1_25lookback_scan_determinismE0ELb0ES3_N6thrust23THRUST_200600_302600_NS6detail15normal_iteratorINSB_10device_ptrIjEEEENSD_INSE_IS6_EEEESI_S6_NSB_4plusIvEENSB_8equal_toIvEES6_EE10hipError_tPvRmT2_T3_T4_T5_mT6_T7_P12ihipStream_tbENKUlT_T0_E_clISt17integral_constantIbLb1EES13_EEDaSY_SZ_EUlSY_E_NS1_11comp_targetILNS1_3genE8ELNS1_11target_archE1030ELNS1_3gpuE2ELNS1_3repE0EEENS1_30default_config_static_selectorELNS0_4arch9wavefront6targetE0EEEvT1_,comdat
.Lfunc_end1888:
	.size	_ZN7rocprim17ROCPRIM_400000_NS6detail17trampoline_kernelINS0_14default_configENS1_27scan_by_key_config_selectorIj11FixedVectorIiLj1EEEEZZNS1_16scan_by_key_implILNS1_25lookback_scan_determinismE0ELb0ES3_N6thrust23THRUST_200600_302600_NS6detail15normal_iteratorINSB_10device_ptrIjEEEENSD_INSE_IS6_EEEESI_S6_NSB_4plusIvEENSB_8equal_toIvEES6_EE10hipError_tPvRmT2_T3_T4_T5_mT6_T7_P12ihipStream_tbENKUlT_T0_E_clISt17integral_constantIbLb1EES13_EEDaSY_SZ_EUlSY_E_NS1_11comp_targetILNS1_3genE8ELNS1_11target_archE1030ELNS1_3gpuE2ELNS1_3repE0EEENS1_30default_config_static_selectorELNS0_4arch9wavefront6targetE0EEEvT1_, .Lfunc_end1888-_ZN7rocprim17ROCPRIM_400000_NS6detail17trampoline_kernelINS0_14default_configENS1_27scan_by_key_config_selectorIj11FixedVectorIiLj1EEEEZZNS1_16scan_by_key_implILNS1_25lookback_scan_determinismE0ELb0ES3_N6thrust23THRUST_200600_302600_NS6detail15normal_iteratorINSB_10device_ptrIjEEEENSD_INSE_IS6_EEEESI_S6_NSB_4plusIvEENSB_8equal_toIvEES6_EE10hipError_tPvRmT2_T3_T4_T5_mT6_T7_P12ihipStream_tbENKUlT_T0_E_clISt17integral_constantIbLb1EES13_EEDaSY_SZ_EUlSY_E_NS1_11comp_targetILNS1_3genE8ELNS1_11target_archE1030ELNS1_3gpuE2ELNS1_3repE0EEENS1_30default_config_static_selectorELNS0_4arch9wavefront6targetE0EEEvT1_
                                        ; -- End function
	.set _ZN7rocprim17ROCPRIM_400000_NS6detail17trampoline_kernelINS0_14default_configENS1_27scan_by_key_config_selectorIj11FixedVectorIiLj1EEEEZZNS1_16scan_by_key_implILNS1_25lookback_scan_determinismE0ELb0ES3_N6thrust23THRUST_200600_302600_NS6detail15normal_iteratorINSB_10device_ptrIjEEEENSD_INSE_IS6_EEEESI_S6_NSB_4plusIvEENSB_8equal_toIvEES6_EE10hipError_tPvRmT2_T3_T4_T5_mT6_T7_P12ihipStream_tbENKUlT_T0_E_clISt17integral_constantIbLb1EES13_EEDaSY_SZ_EUlSY_E_NS1_11comp_targetILNS1_3genE8ELNS1_11target_archE1030ELNS1_3gpuE2ELNS1_3repE0EEENS1_30default_config_static_selectorELNS0_4arch9wavefront6targetE0EEEvT1_.num_vgpr, 0
	.set _ZN7rocprim17ROCPRIM_400000_NS6detail17trampoline_kernelINS0_14default_configENS1_27scan_by_key_config_selectorIj11FixedVectorIiLj1EEEEZZNS1_16scan_by_key_implILNS1_25lookback_scan_determinismE0ELb0ES3_N6thrust23THRUST_200600_302600_NS6detail15normal_iteratorINSB_10device_ptrIjEEEENSD_INSE_IS6_EEEESI_S6_NSB_4plusIvEENSB_8equal_toIvEES6_EE10hipError_tPvRmT2_T3_T4_T5_mT6_T7_P12ihipStream_tbENKUlT_T0_E_clISt17integral_constantIbLb1EES13_EEDaSY_SZ_EUlSY_E_NS1_11comp_targetILNS1_3genE8ELNS1_11target_archE1030ELNS1_3gpuE2ELNS1_3repE0EEENS1_30default_config_static_selectorELNS0_4arch9wavefront6targetE0EEEvT1_.num_agpr, 0
	.set _ZN7rocprim17ROCPRIM_400000_NS6detail17trampoline_kernelINS0_14default_configENS1_27scan_by_key_config_selectorIj11FixedVectorIiLj1EEEEZZNS1_16scan_by_key_implILNS1_25lookback_scan_determinismE0ELb0ES3_N6thrust23THRUST_200600_302600_NS6detail15normal_iteratorINSB_10device_ptrIjEEEENSD_INSE_IS6_EEEESI_S6_NSB_4plusIvEENSB_8equal_toIvEES6_EE10hipError_tPvRmT2_T3_T4_T5_mT6_T7_P12ihipStream_tbENKUlT_T0_E_clISt17integral_constantIbLb1EES13_EEDaSY_SZ_EUlSY_E_NS1_11comp_targetILNS1_3genE8ELNS1_11target_archE1030ELNS1_3gpuE2ELNS1_3repE0EEENS1_30default_config_static_selectorELNS0_4arch9wavefront6targetE0EEEvT1_.numbered_sgpr, 0
	.set _ZN7rocprim17ROCPRIM_400000_NS6detail17trampoline_kernelINS0_14default_configENS1_27scan_by_key_config_selectorIj11FixedVectorIiLj1EEEEZZNS1_16scan_by_key_implILNS1_25lookback_scan_determinismE0ELb0ES3_N6thrust23THRUST_200600_302600_NS6detail15normal_iteratorINSB_10device_ptrIjEEEENSD_INSE_IS6_EEEESI_S6_NSB_4plusIvEENSB_8equal_toIvEES6_EE10hipError_tPvRmT2_T3_T4_T5_mT6_T7_P12ihipStream_tbENKUlT_T0_E_clISt17integral_constantIbLb1EES13_EEDaSY_SZ_EUlSY_E_NS1_11comp_targetILNS1_3genE8ELNS1_11target_archE1030ELNS1_3gpuE2ELNS1_3repE0EEENS1_30default_config_static_selectorELNS0_4arch9wavefront6targetE0EEEvT1_.num_named_barrier, 0
	.set _ZN7rocprim17ROCPRIM_400000_NS6detail17trampoline_kernelINS0_14default_configENS1_27scan_by_key_config_selectorIj11FixedVectorIiLj1EEEEZZNS1_16scan_by_key_implILNS1_25lookback_scan_determinismE0ELb0ES3_N6thrust23THRUST_200600_302600_NS6detail15normal_iteratorINSB_10device_ptrIjEEEENSD_INSE_IS6_EEEESI_S6_NSB_4plusIvEENSB_8equal_toIvEES6_EE10hipError_tPvRmT2_T3_T4_T5_mT6_T7_P12ihipStream_tbENKUlT_T0_E_clISt17integral_constantIbLb1EES13_EEDaSY_SZ_EUlSY_E_NS1_11comp_targetILNS1_3genE8ELNS1_11target_archE1030ELNS1_3gpuE2ELNS1_3repE0EEENS1_30default_config_static_selectorELNS0_4arch9wavefront6targetE0EEEvT1_.private_seg_size, 0
	.set _ZN7rocprim17ROCPRIM_400000_NS6detail17trampoline_kernelINS0_14default_configENS1_27scan_by_key_config_selectorIj11FixedVectorIiLj1EEEEZZNS1_16scan_by_key_implILNS1_25lookback_scan_determinismE0ELb0ES3_N6thrust23THRUST_200600_302600_NS6detail15normal_iteratorINSB_10device_ptrIjEEEENSD_INSE_IS6_EEEESI_S6_NSB_4plusIvEENSB_8equal_toIvEES6_EE10hipError_tPvRmT2_T3_T4_T5_mT6_T7_P12ihipStream_tbENKUlT_T0_E_clISt17integral_constantIbLb1EES13_EEDaSY_SZ_EUlSY_E_NS1_11comp_targetILNS1_3genE8ELNS1_11target_archE1030ELNS1_3gpuE2ELNS1_3repE0EEENS1_30default_config_static_selectorELNS0_4arch9wavefront6targetE0EEEvT1_.uses_vcc, 0
	.set _ZN7rocprim17ROCPRIM_400000_NS6detail17trampoline_kernelINS0_14default_configENS1_27scan_by_key_config_selectorIj11FixedVectorIiLj1EEEEZZNS1_16scan_by_key_implILNS1_25lookback_scan_determinismE0ELb0ES3_N6thrust23THRUST_200600_302600_NS6detail15normal_iteratorINSB_10device_ptrIjEEEENSD_INSE_IS6_EEEESI_S6_NSB_4plusIvEENSB_8equal_toIvEES6_EE10hipError_tPvRmT2_T3_T4_T5_mT6_T7_P12ihipStream_tbENKUlT_T0_E_clISt17integral_constantIbLb1EES13_EEDaSY_SZ_EUlSY_E_NS1_11comp_targetILNS1_3genE8ELNS1_11target_archE1030ELNS1_3gpuE2ELNS1_3repE0EEENS1_30default_config_static_selectorELNS0_4arch9wavefront6targetE0EEEvT1_.uses_flat_scratch, 0
	.set _ZN7rocprim17ROCPRIM_400000_NS6detail17trampoline_kernelINS0_14default_configENS1_27scan_by_key_config_selectorIj11FixedVectorIiLj1EEEEZZNS1_16scan_by_key_implILNS1_25lookback_scan_determinismE0ELb0ES3_N6thrust23THRUST_200600_302600_NS6detail15normal_iteratorINSB_10device_ptrIjEEEENSD_INSE_IS6_EEEESI_S6_NSB_4plusIvEENSB_8equal_toIvEES6_EE10hipError_tPvRmT2_T3_T4_T5_mT6_T7_P12ihipStream_tbENKUlT_T0_E_clISt17integral_constantIbLb1EES13_EEDaSY_SZ_EUlSY_E_NS1_11comp_targetILNS1_3genE8ELNS1_11target_archE1030ELNS1_3gpuE2ELNS1_3repE0EEENS1_30default_config_static_selectorELNS0_4arch9wavefront6targetE0EEEvT1_.has_dyn_sized_stack, 0
	.set _ZN7rocprim17ROCPRIM_400000_NS6detail17trampoline_kernelINS0_14default_configENS1_27scan_by_key_config_selectorIj11FixedVectorIiLj1EEEEZZNS1_16scan_by_key_implILNS1_25lookback_scan_determinismE0ELb0ES3_N6thrust23THRUST_200600_302600_NS6detail15normal_iteratorINSB_10device_ptrIjEEEENSD_INSE_IS6_EEEESI_S6_NSB_4plusIvEENSB_8equal_toIvEES6_EE10hipError_tPvRmT2_T3_T4_T5_mT6_T7_P12ihipStream_tbENKUlT_T0_E_clISt17integral_constantIbLb1EES13_EEDaSY_SZ_EUlSY_E_NS1_11comp_targetILNS1_3genE8ELNS1_11target_archE1030ELNS1_3gpuE2ELNS1_3repE0EEENS1_30default_config_static_selectorELNS0_4arch9wavefront6targetE0EEEvT1_.has_recursion, 0
	.set _ZN7rocprim17ROCPRIM_400000_NS6detail17trampoline_kernelINS0_14default_configENS1_27scan_by_key_config_selectorIj11FixedVectorIiLj1EEEEZZNS1_16scan_by_key_implILNS1_25lookback_scan_determinismE0ELb0ES3_N6thrust23THRUST_200600_302600_NS6detail15normal_iteratorINSB_10device_ptrIjEEEENSD_INSE_IS6_EEEESI_S6_NSB_4plusIvEENSB_8equal_toIvEES6_EE10hipError_tPvRmT2_T3_T4_T5_mT6_T7_P12ihipStream_tbENKUlT_T0_E_clISt17integral_constantIbLb1EES13_EEDaSY_SZ_EUlSY_E_NS1_11comp_targetILNS1_3genE8ELNS1_11target_archE1030ELNS1_3gpuE2ELNS1_3repE0EEENS1_30default_config_static_selectorELNS0_4arch9wavefront6targetE0EEEvT1_.has_indirect_call, 0
	.section	.AMDGPU.csdata,"",@progbits
; Kernel info:
; codeLenInByte = 0
; TotalNumSgprs: 0
; NumVgprs: 0
; ScratchSize: 0
; MemoryBound: 0
; FloatMode: 240
; IeeeMode: 1
; LDSByteSize: 0 bytes/workgroup (compile time only)
; SGPRBlocks: 0
; VGPRBlocks: 0
; NumSGPRsForWavesPerEU: 1
; NumVGPRsForWavesPerEU: 1
; NamedBarCnt: 0
; Occupancy: 16
; WaveLimiterHint : 0
; COMPUTE_PGM_RSRC2:SCRATCH_EN: 0
; COMPUTE_PGM_RSRC2:USER_SGPR: 2
; COMPUTE_PGM_RSRC2:TRAP_HANDLER: 0
; COMPUTE_PGM_RSRC2:TGID_X_EN: 1
; COMPUTE_PGM_RSRC2:TGID_Y_EN: 0
; COMPUTE_PGM_RSRC2:TGID_Z_EN: 0
; COMPUTE_PGM_RSRC2:TIDIG_COMP_CNT: 0
	.section	.text._ZN7rocprim17ROCPRIM_400000_NS6detail30init_device_scan_by_key_kernelINS1_19lookback_scan_stateINS0_5tupleIJ11FixedVectorIiLj1EEbEEELb1ELb1EEEN6thrust23THRUST_200600_302600_NS6detail15normal_iteratorINSA_10device_ptrIjEEEEjNS1_16block_id_wrapperIjLb0EEEEEvT_jjPNSI_10value_typeET0_PNSt15iterator_traitsISL_E10value_typeEmT1_T2_,"axG",@progbits,_ZN7rocprim17ROCPRIM_400000_NS6detail30init_device_scan_by_key_kernelINS1_19lookback_scan_stateINS0_5tupleIJ11FixedVectorIiLj1EEbEEELb1ELb1EEEN6thrust23THRUST_200600_302600_NS6detail15normal_iteratorINSA_10device_ptrIjEEEEjNS1_16block_id_wrapperIjLb0EEEEEvT_jjPNSI_10value_typeET0_PNSt15iterator_traitsISL_E10value_typeEmT1_T2_,comdat
	.protected	_ZN7rocprim17ROCPRIM_400000_NS6detail30init_device_scan_by_key_kernelINS1_19lookback_scan_stateINS0_5tupleIJ11FixedVectorIiLj1EEbEEELb1ELb1EEEN6thrust23THRUST_200600_302600_NS6detail15normal_iteratorINSA_10device_ptrIjEEEEjNS1_16block_id_wrapperIjLb0EEEEEvT_jjPNSI_10value_typeET0_PNSt15iterator_traitsISL_E10value_typeEmT1_T2_ ; -- Begin function _ZN7rocprim17ROCPRIM_400000_NS6detail30init_device_scan_by_key_kernelINS1_19lookback_scan_stateINS0_5tupleIJ11FixedVectorIiLj1EEbEEELb1ELb1EEEN6thrust23THRUST_200600_302600_NS6detail15normal_iteratorINSA_10device_ptrIjEEEEjNS1_16block_id_wrapperIjLb0EEEEEvT_jjPNSI_10value_typeET0_PNSt15iterator_traitsISL_E10value_typeEmT1_T2_
	.globl	_ZN7rocprim17ROCPRIM_400000_NS6detail30init_device_scan_by_key_kernelINS1_19lookback_scan_stateINS0_5tupleIJ11FixedVectorIiLj1EEbEEELb1ELb1EEEN6thrust23THRUST_200600_302600_NS6detail15normal_iteratorINSA_10device_ptrIjEEEEjNS1_16block_id_wrapperIjLb0EEEEEvT_jjPNSI_10value_typeET0_PNSt15iterator_traitsISL_E10value_typeEmT1_T2_
	.p2align	8
	.type	_ZN7rocprim17ROCPRIM_400000_NS6detail30init_device_scan_by_key_kernelINS1_19lookback_scan_stateINS0_5tupleIJ11FixedVectorIiLj1EEbEEELb1ELb1EEEN6thrust23THRUST_200600_302600_NS6detail15normal_iteratorINSA_10device_ptrIjEEEEjNS1_16block_id_wrapperIjLb0EEEEEvT_jjPNSI_10value_typeET0_PNSt15iterator_traitsISL_E10value_typeEmT1_T2_,@function
_ZN7rocprim17ROCPRIM_400000_NS6detail30init_device_scan_by_key_kernelINS1_19lookback_scan_stateINS0_5tupleIJ11FixedVectorIiLj1EEbEEELb1ELb1EEEN6thrust23THRUST_200600_302600_NS6detail15normal_iteratorINSA_10device_ptrIjEEEEjNS1_16block_id_wrapperIjLb0EEEEEvT_jjPNSI_10value_typeET0_PNSt15iterator_traitsISL_E10value_typeEmT1_T2_: ; @_ZN7rocprim17ROCPRIM_400000_NS6detail30init_device_scan_by_key_kernelINS1_19lookback_scan_stateINS0_5tupleIJ11FixedVectorIiLj1EEbEEELb1ELb1EEEN6thrust23THRUST_200600_302600_NS6detail15normal_iteratorINSA_10device_ptrIjEEEEjNS1_16block_id_wrapperIjLb0EEEEEvT_jjPNSI_10value_typeET0_PNSt15iterator_traitsISL_E10value_typeEmT1_T2_
; %bb.0:
	s_clause 0x2
	s_load_b32 s2, s[0:1], 0x44
	s_load_b32 s14, s[0:1], 0x38
	s_load_b256 s[4:11], s[0:1], 0x0
	s_bfe_u32 s3, ttmp6, 0x4000c
	s_and_b32 s12, ttmp6, 15
	s_add_co_i32 s3, s3, 1
	s_getreg_b32 s13, hwreg(HW_REG_IB_STS2, 6, 4)
	s_mul_i32 s3, ttmp9, s3
	s_delay_alu instid0(SALU_CYCLE_1)
	s_add_co_i32 s12, s12, s3
	s_wait_kmcnt 0x0
	s_and_b32 s15, s2, 0xffff
	s_cmp_eq_u32 s13, 0
	s_cselect_b32 s2, ttmp9, s12
	s_cmp_eq_u64 s[8:9], 0
	v_mad_u32 v4, s2, s15, v0
	s_cbranch_scc1 .LBB1889_10
; %bb.1:
	s_cmp_lt_u32 s7, s6
	s_mov_b32 s16, exec_lo
	s_cselect_b32 s2, s7, 0
	s_delay_alu instid0(VALU_DEP_1) | instid1(SALU_CYCLE_1)
	v_cmpx_eq_u32_e64 s2, v4
	s_cbranch_execz .LBB1889_9
; %bb.2:
	s_add_co_i32 s2, s7, 32
	s_mov_b32 s3, 0
	v_mov_b32_e32 v7, 0
	s_lshl_b64 s[12:13], s[2:3], 4
	s_mov_b32 s2, exec_lo
	s_add_nc_u64 s[12:13], s[4:5], s[12:13]
	s_delay_alu instid0(SALU_CYCLE_1) | instskip(SKIP_2) | instid1(VALU_DEP_1)
	v_mov_b64_e32 v[0:1], s[12:13]
	;;#ASMSTART
	global_load_b128 v[0:3], v[0:1] off scope:SCOPE_DEV	
s_wait_loadcnt 0x0
	;;#ASMEND
	v_and_b32_e32 v6, 0xff, v2
	v_cmpx_eq_u64_e32 0, v[6:7]
	s_cbranch_execz .LBB1889_8
; %bb.3:
	v_mov_b64_e32 v[8:9], s[12:13]
	s_mov_b32 s7, 1
.LBB1889_4:                             ; =>This Loop Header: Depth=1
                                        ;     Child Loop BB1889_5 Depth 2
	s_delay_alu instid0(SALU_CYCLE_1)
	s_mov_b32 s12, s7
.LBB1889_5:                             ;   Parent Loop BB1889_4 Depth=1
                                        ; =>  This Inner Loop Header: Depth=2
	s_delay_alu instid0(SALU_CYCLE_1)
	s_add_co_i32 s12, s12, -1
	s_sleep 1
	s_cmp_eq_u32 s12, 0
	s_cbranch_scc0 .LBB1889_5
; %bb.6:                                ;   in Loop: Header=BB1889_4 Depth=1
	;;#ASMSTART
	global_load_b128 v[0:3], v[8:9] off scope:SCOPE_DEV	
s_wait_loadcnt 0x0
	;;#ASMEND
	v_and_b32_e32 v6, 0xff, v2
	s_cmp_lt_u32 s7, 32
	s_cselect_b32 s12, -1, 0
	s_delay_alu instid0(VALU_DEP_1) | instskip(SKIP_3) | instid1(SALU_CYCLE_1)
	v_cmp_ne_u64_e32 vcc_lo, 0, v[6:7]
	s_cmp_lg_u32 s12, 0
	s_add_co_ci_u32 s7, s7, 0
	s_or_b32 s3, vcc_lo, s3
	s_and_not1_b32 exec_lo, exec_lo, s3
	s_cbranch_execnz .LBB1889_4
; %bb.7:
	s_or_b32 exec_lo, exec_lo, s3
.LBB1889_8:
	s_delay_alu instid0(SALU_CYCLE_1)
	s_or_b32 exec_lo, exec_lo, s2
	v_mov_b32_e32 v2, 0
	s_clause 0x1
	global_store_b32 v2, v0, s[8:9]
	global_store_b8 v2, v1, s[8:9] offset:4
.LBB1889_9:
	s_wait_xcnt 0x0
	s_or_b32 exec_lo, exec_lo, s16
.LBB1889_10:
	s_delay_alu instid0(SALU_CYCLE_1) | instskip(NEXT) | instid1(VALU_DEP_1)
	s_mov_b32 s2, exec_lo
	v_cmpx_gt_u32_e64 s6, v4
	s_cbranch_execz .LBB1889_12
; %bb.11:
	v_dual_mov_b32 v0, 0 :: v_dual_add_nc_u32 v5, 32, v4
	s_delay_alu instid0(VALU_DEP_1)
	v_dual_mov_b32 v1, v0 :: v_dual_mov_b32 v2, v0
	v_mov_b32_e32 v3, v0
	global_store_b128 v5, v[0:3], s[4:5] scale_offset
.LBB1889_12:
	s_wait_xcnt 0x0
	s_or_b32 exec_lo, exec_lo, s2
	v_mov_b32_e32 v5, 0
	s_mov_b32 s2, exec_lo
	v_cmpx_gt_u32_e32 32, v4
	s_cbranch_execz .LBB1889_14
; %bb.13:
	s_delay_alu instid0(VALU_DEP_2)
	v_lshl_add_u64 v[6:7], v[4:5], 4, s[4:5]
	v_dual_mov_b32 v2, 0xff :: v_dual_mov_b32 v1, v5
	v_dual_mov_b32 v0, v5 :: v_dual_mov_b32 v3, v5
	global_store_b128 v[6:7], v[0:3], off
.LBB1889_14:
	s_wait_xcnt 0x0
	s_or_b32 exec_lo, exec_lo, s2
	s_load_b64 s[2:3], s[0:1], 0x28
	s_mov_b32 s4, exec_lo
	s_wait_kmcnt 0x0
	v_cmpx_gt_u64_e64 s[2:3], v[4:5]
	s_cbranch_execz .LBB1889_17
; %bb.15:
	s_clause 0x1
	s_load_b32 s4, s[0:1], 0x30
	s_load_b64 s[6:7], s[0:1], 0x20
	s_mov_b32 s5, 0
	s_wait_xcnt 0x0
	s_mul_i32 s0, s14, s15
	s_mov_b32 s9, s5
	s_mov_b32 s1, s5
	s_wait_kmcnt 0x0
	v_mul_u64_e32 v[0:1], s[4:5], v[4:5]
	s_add_co_i32 s8, s4, -1
	v_lshl_add_u64 v[2:3], v[4:5], 2, s[6:7]
	s_lshl_b64 s[8:9], s[8:9], 2
	s_delay_alu instid0(SALU_CYCLE_1) | instskip(SKIP_1) | instid1(SALU_CYCLE_1)
	s_add_nc_u64 s[8:9], s[10:11], s[8:9]
	s_mul_u64 s[10:11], s[4:5], s[0:1]
	s_lshl_b64 s[6:7], s[10:11], 2
	s_delay_alu instid0(VALU_DEP_2)
	v_lshl_add_u64 v[0:1], v[0:1], 2, s[8:9]
	s_lshl_b64 s[8:9], s[0:1], 2
.LBB1889_16:                            ; =>This Inner Loop Header: Depth=1
	global_load_b32 v6, v[0:1], off
	v_add_nc_u64_e32 v[4:5], s[0:1], v[4:5]
	s_wait_xcnt 0x0
	v_add_nc_u64_e32 v[0:1], s[6:7], v[0:1]
	s_delay_alu instid0(VALU_DEP_2)
	v_cmp_le_u64_e32 vcc_lo, s[2:3], v[4:5]
	s_or_b32 s5, vcc_lo, s5
	s_wait_loadcnt 0x0
	global_store_b32 v[2:3], v6, off
	s_wait_xcnt 0x0
	v_add_nc_u64_e32 v[2:3], s[8:9], v[2:3]
	s_and_not1_b32 exec_lo, exec_lo, s5
	s_cbranch_execnz .LBB1889_16
.LBB1889_17:
	s_endpgm
	.section	.rodata,"a",@progbits
	.p2align	6, 0x0
	.amdhsa_kernel _ZN7rocprim17ROCPRIM_400000_NS6detail30init_device_scan_by_key_kernelINS1_19lookback_scan_stateINS0_5tupleIJ11FixedVectorIiLj1EEbEEELb1ELb1EEEN6thrust23THRUST_200600_302600_NS6detail15normal_iteratorINSA_10device_ptrIjEEEEjNS1_16block_id_wrapperIjLb0EEEEEvT_jjPNSI_10value_typeET0_PNSt15iterator_traitsISL_E10value_typeEmT1_T2_
		.amdhsa_group_segment_fixed_size 0
		.amdhsa_private_segment_fixed_size 0
		.amdhsa_kernarg_size 312
		.amdhsa_user_sgpr_count 2
		.amdhsa_user_sgpr_dispatch_ptr 0
		.amdhsa_user_sgpr_queue_ptr 0
		.amdhsa_user_sgpr_kernarg_segment_ptr 1
		.amdhsa_user_sgpr_dispatch_id 0
		.amdhsa_user_sgpr_kernarg_preload_length 0
		.amdhsa_user_sgpr_kernarg_preload_offset 0
		.amdhsa_user_sgpr_private_segment_size 0
		.amdhsa_wavefront_size32 1
		.amdhsa_uses_dynamic_stack 0
		.amdhsa_enable_private_segment 0
		.amdhsa_system_sgpr_workgroup_id_x 1
		.amdhsa_system_sgpr_workgroup_id_y 0
		.amdhsa_system_sgpr_workgroup_id_z 0
		.amdhsa_system_sgpr_workgroup_info 0
		.amdhsa_system_vgpr_workitem_id 0
		.amdhsa_next_free_vgpr 10
		.amdhsa_next_free_sgpr 17
		.amdhsa_named_barrier_count 0
		.amdhsa_reserve_vcc 1
		.amdhsa_float_round_mode_32 0
		.amdhsa_float_round_mode_16_64 0
		.amdhsa_float_denorm_mode_32 3
		.amdhsa_float_denorm_mode_16_64 3
		.amdhsa_fp16_overflow 0
		.amdhsa_memory_ordered 1
		.amdhsa_forward_progress 1
		.amdhsa_inst_pref_size 5
		.amdhsa_round_robin_scheduling 0
		.amdhsa_exception_fp_ieee_invalid_op 0
		.amdhsa_exception_fp_denorm_src 0
		.amdhsa_exception_fp_ieee_div_zero 0
		.amdhsa_exception_fp_ieee_overflow 0
		.amdhsa_exception_fp_ieee_underflow 0
		.amdhsa_exception_fp_ieee_inexact 0
		.amdhsa_exception_int_div_zero 0
	.end_amdhsa_kernel
	.section	.text._ZN7rocprim17ROCPRIM_400000_NS6detail30init_device_scan_by_key_kernelINS1_19lookback_scan_stateINS0_5tupleIJ11FixedVectorIiLj1EEbEEELb1ELb1EEEN6thrust23THRUST_200600_302600_NS6detail15normal_iteratorINSA_10device_ptrIjEEEEjNS1_16block_id_wrapperIjLb0EEEEEvT_jjPNSI_10value_typeET0_PNSt15iterator_traitsISL_E10value_typeEmT1_T2_,"axG",@progbits,_ZN7rocprim17ROCPRIM_400000_NS6detail30init_device_scan_by_key_kernelINS1_19lookback_scan_stateINS0_5tupleIJ11FixedVectorIiLj1EEbEEELb1ELb1EEEN6thrust23THRUST_200600_302600_NS6detail15normal_iteratorINSA_10device_ptrIjEEEEjNS1_16block_id_wrapperIjLb0EEEEEvT_jjPNSI_10value_typeET0_PNSt15iterator_traitsISL_E10value_typeEmT1_T2_,comdat
.Lfunc_end1889:
	.size	_ZN7rocprim17ROCPRIM_400000_NS6detail30init_device_scan_by_key_kernelINS1_19lookback_scan_stateINS0_5tupleIJ11FixedVectorIiLj1EEbEEELb1ELb1EEEN6thrust23THRUST_200600_302600_NS6detail15normal_iteratorINSA_10device_ptrIjEEEEjNS1_16block_id_wrapperIjLb0EEEEEvT_jjPNSI_10value_typeET0_PNSt15iterator_traitsISL_E10value_typeEmT1_T2_, .Lfunc_end1889-_ZN7rocprim17ROCPRIM_400000_NS6detail30init_device_scan_by_key_kernelINS1_19lookback_scan_stateINS0_5tupleIJ11FixedVectorIiLj1EEbEEELb1ELb1EEEN6thrust23THRUST_200600_302600_NS6detail15normal_iteratorINSA_10device_ptrIjEEEEjNS1_16block_id_wrapperIjLb0EEEEEvT_jjPNSI_10value_typeET0_PNSt15iterator_traitsISL_E10value_typeEmT1_T2_
                                        ; -- End function
	.set _ZN7rocprim17ROCPRIM_400000_NS6detail30init_device_scan_by_key_kernelINS1_19lookback_scan_stateINS0_5tupleIJ11FixedVectorIiLj1EEbEEELb1ELb1EEEN6thrust23THRUST_200600_302600_NS6detail15normal_iteratorINSA_10device_ptrIjEEEEjNS1_16block_id_wrapperIjLb0EEEEEvT_jjPNSI_10value_typeET0_PNSt15iterator_traitsISL_E10value_typeEmT1_T2_.num_vgpr, 10
	.set _ZN7rocprim17ROCPRIM_400000_NS6detail30init_device_scan_by_key_kernelINS1_19lookback_scan_stateINS0_5tupleIJ11FixedVectorIiLj1EEbEEELb1ELb1EEEN6thrust23THRUST_200600_302600_NS6detail15normal_iteratorINSA_10device_ptrIjEEEEjNS1_16block_id_wrapperIjLb0EEEEEvT_jjPNSI_10value_typeET0_PNSt15iterator_traitsISL_E10value_typeEmT1_T2_.num_agpr, 0
	.set _ZN7rocprim17ROCPRIM_400000_NS6detail30init_device_scan_by_key_kernelINS1_19lookback_scan_stateINS0_5tupleIJ11FixedVectorIiLj1EEbEEELb1ELb1EEEN6thrust23THRUST_200600_302600_NS6detail15normal_iteratorINSA_10device_ptrIjEEEEjNS1_16block_id_wrapperIjLb0EEEEEvT_jjPNSI_10value_typeET0_PNSt15iterator_traitsISL_E10value_typeEmT1_T2_.numbered_sgpr, 17
	.set _ZN7rocprim17ROCPRIM_400000_NS6detail30init_device_scan_by_key_kernelINS1_19lookback_scan_stateINS0_5tupleIJ11FixedVectorIiLj1EEbEEELb1ELb1EEEN6thrust23THRUST_200600_302600_NS6detail15normal_iteratorINSA_10device_ptrIjEEEEjNS1_16block_id_wrapperIjLb0EEEEEvT_jjPNSI_10value_typeET0_PNSt15iterator_traitsISL_E10value_typeEmT1_T2_.num_named_barrier, 0
	.set _ZN7rocprim17ROCPRIM_400000_NS6detail30init_device_scan_by_key_kernelINS1_19lookback_scan_stateINS0_5tupleIJ11FixedVectorIiLj1EEbEEELb1ELb1EEEN6thrust23THRUST_200600_302600_NS6detail15normal_iteratorINSA_10device_ptrIjEEEEjNS1_16block_id_wrapperIjLb0EEEEEvT_jjPNSI_10value_typeET0_PNSt15iterator_traitsISL_E10value_typeEmT1_T2_.private_seg_size, 0
	.set _ZN7rocprim17ROCPRIM_400000_NS6detail30init_device_scan_by_key_kernelINS1_19lookback_scan_stateINS0_5tupleIJ11FixedVectorIiLj1EEbEEELb1ELb1EEEN6thrust23THRUST_200600_302600_NS6detail15normal_iteratorINSA_10device_ptrIjEEEEjNS1_16block_id_wrapperIjLb0EEEEEvT_jjPNSI_10value_typeET0_PNSt15iterator_traitsISL_E10value_typeEmT1_T2_.uses_vcc, 1
	.set _ZN7rocprim17ROCPRIM_400000_NS6detail30init_device_scan_by_key_kernelINS1_19lookback_scan_stateINS0_5tupleIJ11FixedVectorIiLj1EEbEEELb1ELb1EEEN6thrust23THRUST_200600_302600_NS6detail15normal_iteratorINSA_10device_ptrIjEEEEjNS1_16block_id_wrapperIjLb0EEEEEvT_jjPNSI_10value_typeET0_PNSt15iterator_traitsISL_E10value_typeEmT1_T2_.uses_flat_scratch, 0
	.set _ZN7rocprim17ROCPRIM_400000_NS6detail30init_device_scan_by_key_kernelINS1_19lookback_scan_stateINS0_5tupleIJ11FixedVectorIiLj1EEbEEELb1ELb1EEEN6thrust23THRUST_200600_302600_NS6detail15normal_iteratorINSA_10device_ptrIjEEEEjNS1_16block_id_wrapperIjLb0EEEEEvT_jjPNSI_10value_typeET0_PNSt15iterator_traitsISL_E10value_typeEmT1_T2_.has_dyn_sized_stack, 0
	.set _ZN7rocprim17ROCPRIM_400000_NS6detail30init_device_scan_by_key_kernelINS1_19lookback_scan_stateINS0_5tupleIJ11FixedVectorIiLj1EEbEEELb1ELb1EEEN6thrust23THRUST_200600_302600_NS6detail15normal_iteratorINSA_10device_ptrIjEEEEjNS1_16block_id_wrapperIjLb0EEEEEvT_jjPNSI_10value_typeET0_PNSt15iterator_traitsISL_E10value_typeEmT1_T2_.has_recursion, 0
	.set _ZN7rocprim17ROCPRIM_400000_NS6detail30init_device_scan_by_key_kernelINS1_19lookback_scan_stateINS0_5tupleIJ11FixedVectorIiLj1EEbEEELb1ELb1EEEN6thrust23THRUST_200600_302600_NS6detail15normal_iteratorINSA_10device_ptrIjEEEEjNS1_16block_id_wrapperIjLb0EEEEEvT_jjPNSI_10value_typeET0_PNSt15iterator_traitsISL_E10value_typeEmT1_T2_.has_indirect_call, 0
	.section	.AMDGPU.csdata,"",@progbits
; Kernel info:
; codeLenInByte = 632
; TotalNumSgprs: 19
; NumVgprs: 10
; ScratchSize: 0
; MemoryBound: 0
; FloatMode: 240
; IeeeMode: 1
; LDSByteSize: 0 bytes/workgroup (compile time only)
; SGPRBlocks: 0
; VGPRBlocks: 0
; NumSGPRsForWavesPerEU: 19
; NumVGPRsForWavesPerEU: 10
; NamedBarCnt: 0
; Occupancy: 16
; WaveLimiterHint : 0
; COMPUTE_PGM_RSRC2:SCRATCH_EN: 0
; COMPUTE_PGM_RSRC2:USER_SGPR: 2
; COMPUTE_PGM_RSRC2:TRAP_HANDLER: 0
; COMPUTE_PGM_RSRC2:TGID_X_EN: 1
; COMPUTE_PGM_RSRC2:TGID_Y_EN: 0
; COMPUTE_PGM_RSRC2:TGID_Z_EN: 0
; COMPUTE_PGM_RSRC2:TIDIG_COMP_CNT: 0
	.section	.text._ZN7rocprim17ROCPRIM_400000_NS6detail30init_device_scan_by_key_kernelINS1_19lookback_scan_stateINS0_5tupleIJ11FixedVectorIiLj1EEbEEELb1ELb1EEENS1_16block_id_wrapperIjLb0EEEEEvT_jjPNSB_10value_typeET0_,"axG",@progbits,_ZN7rocprim17ROCPRIM_400000_NS6detail30init_device_scan_by_key_kernelINS1_19lookback_scan_stateINS0_5tupleIJ11FixedVectorIiLj1EEbEEELb1ELb1EEENS1_16block_id_wrapperIjLb0EEEEEvT_jjPNSB_10value_typeET0_,comdat
	.protected	_ZN7rocprim17ROCPRIM_400000_NS6detail30init_device_scan_by_key_kernelINS1_19lookback_scan_stateINS0_5tupleIJ11FixedVectorIiLj1EEbEEELb1ELb1EEENS1_16block_id_wrapperIjLb0EEEEEvT_jjPNSB_10value_typeET0_ ; -- Begin function _ZN7rocprim17ROCPRIM_400000_NS6detail30init_device_scan_by_key_kernelINS1_19lookback_scan_stateINS0_5tupleIJ11FixedVectorIiLj1EEbEEELb1ELb1EEENS1_16block_id_wrapperIjLb0EEEEEvT_jjPNSB_10value_typeET0_
	.globl	_ZN7rocprim17ROCPRIM_400000_NS6detail30init_device_scan_by_key_kernelINS1_19lookback_scan_stateINS0_5tupleIJ11FixedVectorIiLj1EEbEEELb1ELb1EEENS1_16block_id_wrapperIjLb0EEEEEvT_jjPNSB_10value_typeET0_
	.p2align	8
	.type	_ZN7rocprim17ROCPRIM_400000_NS6detail30init_device_scan_by_key_kernelINS1_19lookback_scan_stateINS0_5tupleIJ11FixedVectorIiLj1EEbEEELb1ELb1EEENS1_16block_id_wrapperIjLb0EEEEEvT_jjPNSB_10value_typeET0_,@function
_ZN7rocprim17ROCPRIM_400000_NS6detail30init_device_scan_by_key_kernelINS1_19lookback_scan_stateINS0_5tupleIJ11FixedVectorIiLj1EEbEEELb1ELb1EEENS1_16block_id_wrapperIjLb0EEEEEvT_jjPNSB_10value_typeET0_: ; @_ZN7rocprim17ROCPRIM_400000_NS6detail30init_device_scan_by_key_kernelINS1_19lookback_scan_stateINS0_5tupleIJ11FixedVectorIiLj1EEbEEELb1ELb1EEENS1_16block_id_wrapperIjLb0EEEEEvT_jjPNSB_10value_typeET0_
; %bb.0:
	s_clause 0x2
	s_load_b32 s8, s[0:1], 0x2c
	s_load_b128 s[4:7], s[0:1], 0x0
	s_load_b64 s[2:3], s[0:1], 0x10
	s_wait_xcnt 0x0
	s_bfe_u32 s0, ttmp6, 0x4000c
	s_and_b32 s1, ttmp6, 15
	s_add_co_i32 s0, s0, 1
	s_getreg_b32 s9, hwreg(HW_REG_IB_STS2, 6, 4)
	s_mul_i32 s0, ttmp9, s0
	s_delay_alu instid0(SALU_CYCLE_1)
	s_add_co_i32 s1, s1, s0
	s_wait_kmcnt 0x0
	s_and_b32 s8, s8, 0xffff
	s_cmp_eq_u32 s9, 0
	s_cselect_b32 s0, ttmp9, s1
	s_cmp_eq_u64 s[2:3], 0
	v_mad_u32 v8, s0, s8, v0
	s_cbranch_scc1 .LBB1890_10
; %bb.1:
	s_cmp_lt_u32 s7, s6
	s_mov_b32 s10, exec_lo
	s_cselect_b32 s0, s7, 0
	s_delay_alu instid0(VALU_DEP_1) | instid1(SALU_CYCLE_1)
	v_cmpx_eq_u32_e64 s0, v8
	s_cbranch_execz .LBB1890_9
; %bb.2:
	s_add_co_i32 s0, s7, 32
	s_mov_b32 s1, 0
	v_mov_b32_e32 v5, 0
	s_lshl_b64 s[8:9], s[0:1], 4
	s_mov_b32 s0, exec_lo
	s_add_nc_u64 s[8:9], s[4:5], s[8:9]
	s_delay_alu instid0(SALU_CYCLE_1) | instskip(SKIP_2) | instid1(VALU_DEP_1)
	v_mov_b64_e32 v[0:1], s[8:9]
	;;#ASMSTART
	global_load_b128 v[0:3], v[0:1] off scope:SCOPE_DEV	
s_wait_loadcnt 0x0
	;;#ASMEND
	v_and_b32_e32 v4, 0xff, v2
	v_cmpx_eq_u64_e32 0, v[4:5]
	s_cbranch_execz .LBB1890_8
; %bb.3:
	v_mov_b64_e32 v[6:7], s[8:9]
	s_mov_b32 s7, 1
.LBB1890_4:                             ; =>This Loop Header: Depth=1
                                        ;     Child Loop BB1890_5 Depth 2
	s_delay_alu instid0(SALU_CYCLE_1)
	s_mov_b32 s8, s7
.LBB1890_5:                             ;   Parent Loop BB1890_4 Depth=1
                                        ; =>  This Inner Loop Header: Depth=2
	s_delay_alu instid0(SALU_CYCLE_1)
	s_add_co_i32 s8, s8, -1
	s_sleep 1
	s_cmp_eq_u32 s8, 0
	s_cbranch_scc0 .LBB1890_5
; %bb.6:                                ;   in Loop: Header=BB1890_4 Depth=1
	;;#ASMSTART
	global_load_b128 v[0:3], v[6:7] off scope:SCOPE_DEV	
s_wait_loadcnt 0x0
	;;#ASMEND
	v_and_b32_e32 v4, 0xff, v2
	s_cmp_lt_u32 s7, 32
	s_cselect_b32 s8, -1, 0
	s_delay_alu instid0(VALU_DEP_1) | instskip(SKIP_3) | instid1(SALU_CYCLE_1)
	v_cmp_ne_u64_e32 vcc_lo, 0, v[4:5]
	s_cmp_lg_u32 s8, 0
	s_add_co_ci_u32 s7, s7, 0
	s_or_b32 s1, vcc_lo, s1
	s_and_not1_b32 exec_lo, exec_lo, s1
	s_cbranch_execnz .LBB1890_4
; %bb.7:
	s_or_b32 exec_lo, exec_lo, s1
.LBB1890_8:
	s_delay_alu instid0(SALU_CYCLE_1)
	s_or_b32 exec_lo, exec_lo, s0
	v_mov_b32_e32 v2, 0
	s_clause 0x1
	global_store_b32 v2, v0, s[2:3]
	global_store_b8 v2, v1, s[2:3] offset:4
.LBB1890_9:
	s_wait_xcnt 0x0
	s_or_b32 exec_lo, exec_lo, s10
.LBB1890_10:
	s_delay_alu instid0(SALU_CYCLE_1) | instskip(NEXT) | instid1(VALU_DEP_1)
	s_mov_b32 s0, exec_lo
	v_cmpx_gt_u32_e64 s6, v8
	s_cbranch_execz .LBB1890_12
; %bb.11:
	v_dual_mov_b32 v0, 0 :: v_dual_add_nc_u32 v4, 32, v8
	s_delay_alu instid0(VALU_DEP_1)
	v_dual_mov_b32 v1, v0 :: v_dual_mov_b32 v2, v0
	v_mov_b32_e32 v3, v0
	global_store_b128 v4, v[0:3], s[4:5] scale_offset
.LBB1890_12:
	s_wait_xcnt 0x0
	s_or_b32 exec_lo, exec_lo, s0
	s_delay_alu instid0(SALU_CYCLE_1)
	s_mov_b32 s0, exec_lo
	v_cmpx_gt_u32_e32 32, v8
	s_cbranch_execz .LBB1890_14
; %bb.13:
	v_mov_b32_e32 v0, 0
	s_delay_alu instid0(VALU_DEP_1)
	v_dual_mov_b32 v2, 0xff :: v_dual_mov_b32 v1, v0
	v_mov_b32_e32 v3, v0
	global_store_b128 v8, v[0:3], s[4:5] scale_offset
.LBB1890_14:
	s_endpgm
	.section	.rodata,"a",@progbits
	.p2align	6, 0x0
	.amdhsa_kernel _ZN7rocprim17ROCPRIM_400000_NS6detail30init_device_scan_by_key_kernelINS1_19lookback_scan_stateINS0_5tupleIJ11FixedVectorIiLj1EEbEEELb1ELb1EEENS1_16block_id_wrapperIjLb0EEEEEvT_jjPNSB_10value_typeET0_
		.amdhsa_group_segment_fixed_size 0
		.amdhsa_private_segment_fixed_size 0
		.amdhsa_kernarg_size 288
		.amdhsa_user_sgpr_count 2
		.amdhsa_user_sgpr_dispatch_ptr 0
		.amdhsa_user_sgpr_queue_ptr 0
		.amdhsa_user_sgpr_kernarg_segment_ptr 1
		.amdhsa_user_sgpr_dispatch_id 0
		.amdhsa_user_sgpr_kernarg_preload_length 0
		.amdhsa_user_sgpr_kernarg_preload_offset 0
		.amdhsa_user_sgpr_private_segment_size 0
		.amdhsa_wavefront_size32 1
		.amdhsa_uses_dynamic_stack 0
		.amdhsa_enable_private_segment 0
		.amdhsa_system_sgpr_workgroup_id_x 1
		.amdhsa_system_sgpr_workgroup_id_y 0
		.amdhsa_system_sgpr_workgroup_id_z 0
		.amdhsa_system_sgpr_workgroup_info 0
		.amdhsa_system_vgpr_workitem_id 0
		.amdhsa_next_free_vgpr 9
		.amdhsa_next_free_sgpr 11
		.amdhsa_named_barrier_count 0
		.amdhsa_reserve_vcc 1
		.amdhsa_float_round_mode_32 0
		.amdhsa_float_round_mode_16_64 0
		.amdhsa_float_denorm_mode_32 3
		.amdhsa_float_denorm_mode_16_64 3
		.amdhsa_fp16_overflow 0
		.amdhsa_memory_ordered 1
		.amdhsa_forward_progress 1
		.amdhsa_inst_pref_size 4
		.amdhsa_round_robin_scheduling 0
		.amdhsa_exception_fp_ieee_invalid_op 0
		.amdhsa_exception_fp_denorm_src 0
		.amdhsa_exception_fp_ieee_div_zero 0
		.amdhsa_exception_fp_ieee_overflow 0
		.amdhsa_exception_fp_ieee_underflow 0
		.amdhsa_exception_fp_ieee_inexact 0
		.amdhsa_exception_int_div_zero 0
	.end_amdhsa_kernel
	.section	.text._ZN7rocprim17ROCPRIM_400000_NS6detail30init_device_scan_by_key_kernelINS1_19lookback_scan_stateINS0_5tupleIJ11FixedVectorIiLj1EEbEEELb1ELb1EEENS1_16block_id_wrapperIjLb0EEEEEvT_jjPNSB_10value_typeET0_,"axG",@progbits,_ZN7rocprim17ROCPRIM_400000_NS6detail30init_device_scan_by_key_kernelINS1_19lookback_scan_stateINS0_5tupleIJ11FixedVectorIiLj1EEbEEELb1ELb1EEENS1_16block_id_wrapperIjLb0EEEEEvT_jjPNSB_10value_typeET0_,comdat
.Lfunc_end1890:
	.size	_ZN7rocprim17ROCPRIM_400000_NS6detail30init_device_scan_by_key_kernelINS1_19lookback_scan_stateINS0_5tupleIJ11FixedVectorIiLj1EEbEEELb1ELb1EEENS1_16block_id_wrapperIjLb0EEEEEvT_jjPNSB_10value_typeET0_, .Lfunc_end1890-_ZN7rocprim17ROCPRIM_400000_NS6detail30init_device_scan_by_key_kernelINS1_19lookback_scan_stateINS0_5tupleIJ11FixedVectorIiLj1EEbEEELb1ELb1EEENS1_16block_id_wrapperIjLb0EEEEEvT_jjPNSB_10value_typeET0_
                                        ; -- End function
	.set _ZN7rocprim17ROCPRIM_400000_NS6detail30init_device_scan_by_key_kernelINS1_19lookback_scan_stateINS0_5tupleIJ11FixedVectorIiLj1EEbEEELb1ELb1EEENS1_16block_id_wrapperIjLb0EEEEEvT_jjPNSB_10value_typeET0_.num_vgpr, 9
	.set _ZN7rocprim17ROCPRIM_400000_NS6detail30init_device_scan_by_key_kernelINS1_19lookback_scan_stateINS0_5tupleIJ11FixedVectorIiLj1EEbEEELb1ELb1EEENS1_16block_id_wrapperIjLb0EEEEEvT_jjPNSB_10value_typeET0_.num_agpr, 0
	.set _ZN7rocprim17ROCPRIM_400000_NS6detail30init_device_scan_by_key_kernelINS1_19lookback_scan_stateINS0_5tupleIJ11FixedVectorIiLj1EEbEEELb1ELb1EEENS1_16block_id_wrapperIjLb0EEEEEvT_jjPNSB_10value_typeET0_.numbered_sgpr, 11
	.set _ZN7rocprim17ROCPRIM_400000_NS6detail30init_device_scan_by_key_kernelINS1_19lookback_scan_stateINS0_5tupleIJ11FixedVectorIiLj1EEbEEELb1ELb1EEENS1_16block_id_wrapperIjLb0EEEEEvT_jjPNSB_10value_typeET0_.num_named_barrier, 0
	.set _ZN7rocprim17ROCPRIM_400000_NS6detail30init_device_scan_by_key_kernelINS1_19lookback_scan_stateINS0_5tupleIJ11FixedVectorIiLj1EEbEEELb1ELb1EEENS1_16block_id_wrapperIjLb0EEEEEvT_jjPNSB_10value_typeET0_.private_seg_size, 0
	.set _ZN7rocprim17ROCPRIM_400000_NS6detail30init_device_scan_by_key_kernelINS1_19lookback_scan_stateINS0_5tupleIJ11FixedVectorIiLj1EEbEEELb1ELb1EEENS1_16block_id_wrapperIjLb0EEEEEvT_jjPNSB_10value_typeET0_.uses_vcc, 1
	.set _ZN7rocprim17ROCPRIM_400000_NS6detail30init_device_scan_by_key_kernelINS1_19lookback_scan_stateINS0_5tupleIJ11FixedVectorIiLj1EEbEEELb1ELb1EEENS1_16block_id_wrapperIjLb0EEEEEvT_jjPNSB_10value_typeET0_.uses_flat_scratch, 0
	.set _ZN7rocprim17ROCPRIM_400000_NS6detail30init_device_scan_by_key_kernelINS1_19lookback_scan_stateINS0_5tupleIJ11FixedVectorIiLj1EEbEEELb1ELb1EEENS1_16block_id_wrapperIjLb0EEEEEvT_jjPNSB_10value_typeET0_.has_dyn_sized_stack, 0
	.set _ZN7rocprim17ROCPRIM_400000_NS6detail30init_device_scan_by_key_kernelINS1_19lookback_scan_stateINS0_5tupleIJ11FixedVectorIiLj1EEbEEELb1ELb1EEENS1_16block_id_wrapperIjLb0EEEEEvT_jjPNSB_10value_typeET0_.has_recursion, 0
	.set _ZN7rocprim17ROCPRIM_400000_NS6detail30init_device_scan_by_key_kernelINS1_19lookback_scan_stateINS0_5tupleIJ11FixedVectorIiLj1EEbEEELb1ELb1EEENS1_16block_id_wrapperIjLb0EEEEEvT_jjPNSB_10value_typeET0_.has_indirect_call, 0
	.section	.AMDGPU.csdata,"",@progbits
; Kernel info:
; codeLenInByte = 432
; TotalNumSgprs: 13
; NumVgprs: 9
; ScratchSize: 0
; MemoryBound: 0
; FloatMode: 240
; IeeeMode: 1
; LDSByteSize: 0 bytes/workgroup (compile time only)
; SGPRBlocks: 0
; VGPRBlocks: 0
; NumSGPRsForWavesPerEU: 13
; NumVGPRsForWavesPerEU: 9
; NamedBarCnt: 0
; Occupancy: 16
; WaveLimiterHint : 0
; COMPUTE_PGM_RSRC2:SCRATCH_EN: 0
; COMPUTE_PGM_RSRC2:USER_SGPR: 2
; COMPUTE_PGM_RSRC2:TRAP_HANDLER: 0
; COMPUTE_PGM_RSRC2:TGID_X_EN: 1
; COMPUTE_PGM_RSRC2:TGID_Y_EN: 0
; COMPUTE_PGM_RSRC2:TGID_Z_EN: 0
; COMPUTE_PGM_RSRC2:TIDIG_COMP_CNT: 0
	.section	.text._ZN7rocprim17ROCPRIM_400000_NS6detail17trampoline_kernelINS0_14default_configENS1_27scan_by_key_config_selectorIj11FixedVectorIiLj1EEEEZZNS1_16scan_by_key_implILNS1_25lookback_scan_determinismE0ELb0ES3_N6thrust23THRUST_200600_302600_NS6detail15normal_iteratorINSB_10device_ptrIjEEEENSD_INSE_IS6_EEEESI_S6_NSB_4plusIvEENSB_8equal_toIvEES6_EE10hipError_tPvRmT2_T3_T4_T5_mT6_T7_P12ihipStream_tbENKUlT_T0_E_clISt17integral_constantIbLb1EES12_IbLb0EEEEDaSY_SZ_EUlSY_E_NS1_11comp_targetILNS1_3genE0ELNS1_11target_archE4294967295ELNS1_3gpuE0ELNS1_3repE0EEENS1_30default_config_static_selectorELNS0_4arch9wavefront6targetE0EEEvT1_,"axG",@progbits,_ZN7rocprim17ROCPRIM_400000_NS6detail17trampoline_kernelINS0_14default_configENS1_27scan_by_key_config_selectorIj11FixedVectorIiLj1EEEEZZNS1_16scan_by_key_implILNS1_25lookback_scan_determinismE0ELb0ES3_N6thrust23THRUST_200600_302600_NS6detail15normal_iteratorINSB_10device_ptrIjEEEENSD_INSE_IS6_EEEESI_S6_NSB_4plusIvEENSB_8equal_toIvEES6_EE10hipError_tPvRmT2_T3_T4_T5_mT6_T7_P12ihipStream_tbENKUlT_T0_E_clISt17integral_constantIbLb1EES12_IbLb0EEEEDaSY_SZ_EUlSY_E_NS1_11comp_targetILNS1_3genE0ELNS1_11target_archE4294967295ELNS1_3gpuE0ELNS1_3repE0EEENS1_30default_config_static_selectorELNS0_4arch9wavefront6targetE0EEEvT1_,comdat
	.protected	_ZN7rocprim17ROCPRIM_400000_NS6detail17trampoline_kernelINS0_14default_configENS1_27scan_by_key_config_selectorIj11FixedVectorIiLj1EEEEZZNS1_16scan_by_key_implILNS1_25lookback_scan_determinismE0ELb0ES3_N6thrust23THRUST_200600_302600_NS6detail15normal_iteratorINSB_10device_ptrIjEEEENSD_INSE_IS6_EEEESI_S6_NSB_4plusIvEENSB_8equal_toIvEES6_EE10hipError_tPvRmT2_T3_T4_T5_mT6_T7_P12ihipStream_tbENKUlT_T0_E_clISt17integral_constantIbLb1EES12_IbLb0EEEEDaSY_SZ_EUlSY_E_NS1_11comp_targetILNS1_3genE0ELNS1_11target_archE4294967295ELNS1_3gpuE0ELNS1_3repE0EEENS1_30default_config_static_selectorELNS0_4arch9wavefront6targetE0EEEvT1_ ; -- Begin function _ZN7rocprim17ROCPRIM_400000_NS6detail17trampoline_kernelINS0_14default_configENS1_27scan_by_key_config_selectorIj11FixedVectorIiLj1EEEEZZNS1_16scan_by_key_implILNS1_25lookback_scan_determinismE0ELb0ES3_N6thrust23THRUST_200600_302600_NS6detail15normal_iteratorINSB_10device_ptrIjEEEENSD_INSE_IS6_EEEESI_S6_NSB_4plusIvEENSB_8equal_toIvEES6_EE10hipError_tPvRmT2_T3_T4_T5_mT6_T7_P12ihipStream_tbENKUlT_T0_E_clISt17integral_constantIbLb1EES12_IbLb0EEEEDaSY_SZ_EUlSY_E_NS1_11comp_targetILNS1_3genE0ELNS1_11target_archE4294967295ELNS1_3gpuE0ELNS1_3repE0EEENS1_30default_config_static_selectorELNS0_4arch9wavefront6targetE0EEEvT1_
	.globl	_ZN7rocprim17ROCPRIM_400000_NS6detail17trampoline_kernelINS0_14default_configENS1_27scan_by_key_config_selectorIj11FixedVectorIiLj1EEEEZZNS1_16scan_by_key_implILNS1_25lookback_scan_determinismE0ELb0ES3_N6thrust23THRUST_200600_302600_NS6detail15normal_iteratorINSB_10device_ptrIjEEEENSD_INSE_IS6_EEEESI_S6_NSB_4plusIvEENSB_8equal_toIvEES6_EE10hipError_tPvRmT2_T3_T4_T5_mT6_T7_P12ihipStream_tbENKUlT_T0_E_clISt17integral_constantIbLb1EES12_IbLb0EEEEDaSY_SZ_EUlSY_E_NS1_11comp_targetILNS1_3genE0ELNS1_11target_archE4294967295ELNS1_3gpuE0ELNS1_3repE0EEENS1_30default_config_static_selectorELNS0_4arch9wavefront6targetE0EEEvT1_
	.p2align	8
	.type	_ZN7rocprim17ROCPRIM_400000_NS6detail17trampoline_kernelINS0_14default_configENS1_27scan_by_key_config_selectorIj11FixedVectorIiLj1EEEEZZNS1_16scan_by_key_implILNS1_25lookback_scan_determinismE0ELb0ES3_N6thrust23THRUST_200600_302600_NS6detail15normal_iteratorINSB_10device_ptrIjEEEENSD_INSE_IS6_EEEESI_S6_NSB_4plusIvEENSB_8equal_toIvEES6_EE10hipError_tPvRmT2_T3_T4_T5_mT6_T7_P12ihipStream_tbENKUlT_T0_E_clISt17integral_constantIbLb1EES12_IbLb0EEEEDaSY_SZ_EUlSY_E_NS1_11comp_targetILNS1_3genE0ELNS1_11target_archE4294967295ELNS1_3gpuE0ELNS1_3repE0EEENS1_30default_config_static_selectorELNS0_4arch9wavefront6targetE0EEEvT1_,@function
_ZN7rocprim17ROCPRIM_400000_NS6detail17trampoline_kernelINS0_14default_configENS1_27scan_by_key_config_selectorIj11FixedVectorIiLj1EEEEZZNS1_16scan_by_key_implILNS1_25lookback_scan_determinismE0ELb0ES3_N6thrust23THRUST_200600_302600_NS6detail15normal_iteratorINSB_10device_ptrIjEEEENSD_INSE_IS6_EEEESI_S6_NSB_4plusIvEENSB_8equal_toIvEES6_EE10hipError_tPvRmT2_T3_T4_T5_mT6_T7_P12ihipStream_tbENKUlT_T0_E_clISt17integral_constantIbLb1EES12_IbLb0EEEEDaSY_SZ_EUlSY_E_NS1_11comp_targetILNS1_3genE0ELNS1_11target_archE4294967295ELNS1_3gpuE0ELNS1_3repE0EEENS1_30default_config_static_selectorELNS0_4arch9wavefront6targetE0EEEvT1_: ; @_ZN7rocprim17ROCPRIM_400000_NS6detail17trampoline_kernelINS0_14default_configENS1_27scan_by_key_config_selectorIj11FixedVectorIiLj1EEEEZZNS1_16scan_by_key_implILNS1_25lookback_scan_determinismE0ELb0ES3_N6thrust23THRUST_200600_302600_NS6detail15normal_iteratorINSB_10device_ptrIjEEEENSD_INSE_IS6_EEEESI_S6_NSB_4plusIvEENSB_8equal_toIvEES6_EE10hipError_tPvRmT2_T3_T4_T5_mT6_T7_P12ihipStream_tbENKUlT_T0_E_clISt17integral_constantIbLb1EES12_IbLb0EEEEDaSY_SZ_EUlSY_E_NS1_11comp_targetILNS1_3genE0ELNS1_11target_archE4294967295ELNS1_3gpuE0ELNS1_3repE0EEENS1_30default_config_static_selectorELNS0_4arch9wavefront6targetE0EEEvT1_
; %bb.0:
	s_endpgm
	.section	.rodata,"a",@progbits
	.p2align	6, 0x0
	.amdhsa_kernel _ZN7rocprim17ROCPRIM_400000_NS6detail17trampoline_kernelINS0_14default_configENS1_27scan_by_key_config_selectorIj11FixedVectorIiLj1EEEEZZNS1_16scan_by_key_implILNS1_25lookback_scan_determinismE0ELb0ES3_N6thrust23THRUST_200600_302600_NS6detail15normal_iteratorINSB_10device_ptrIjEEEENSD_INSE_IS6_EEEESI_S6_NSB_4plusIvEENSB_8equal_toIvEES6_EE10hipError_tPvRmT2_T3_T4_T5_mT6_T7_P12ihipStream_tbENKUlT_T0_E_clISt17integral_constantIbLb1EES12_IbLb0EEEEDaSY_SZ_EUlSY_E_NS1_11comp_targetILNS1_3genE0ELNS1_11target_archE4294967295ELNS1_3gpuE0ELNS1_3repE0EEENS1_30default_config_static_selectorELNS0_4arch9wavefront6targetE0EEEvT1_
		.amdhsa_group_segment_fixed_size 0
		.amdhsa_private_segment_fixed_size 0
		.amdhsa_kernarg_size 112
		.amdhsa_user_sgpr_count 2
		.amdhsa_user_sgpr_dispatch_ptr 0
		.amdhsa_user_sgpr_queue_ptr 0
		.amdhsa_user_sgpr_kernarg_segment_ptr 1
		.amdhsa_user_sgpr_dispatch_id 0
		.amdhsa_user_sgpr_kernarg_preload_length 0
		.amdhsa_user_sgpr_kernarg_preload_offset 0
		.amdhsa_user_sgpr_private_segment_size 0
		.amdhsa_wavefront_size32 1
		.amdhsa_uses_dynamic_stack 0
		.amdhsa_enable_private_segment 0
		.amdhsa_system_sgpr_workgroup_id_x 1
		.amdhsa_system_sgpr_workgroup_id_y 0
		.amdhsa_system_sgpr_workgroup_id_z 0
		.amdhsa_system_sgpr_workgroup_info 0
		.amdhsa_system_vgpr_workitem_id 0
		.amdhsa_next_free_vgpr 1
		.amdhsa_next_free_sgpr 1
		.amdhsa_named_barrier_count 0
		.amdhsa_reserve_vcc 0
		.amdhsa_float_round_mode_32 0
		.amdhsa_float_round_mode_16_64 0
		.amdhsa_float_denorm_mode_32 3
		.amdhsa_float_denorm_mode_16_64 3
		.amdhsa_fp16_overflow 0
		.amdhsa_memory_ordered 1
		.amdhsa_forward_progress 1
		.amdhsa_inst_pref_size 1
		.amdhsa_round_robin_scheduling 0
		.amdhsa_exception_fp_ieee_invalid_op 0
		.amdhsa_exception_fp_denorm_src 0
		.amdhsa_exception_fp_ieee_div_zero 0
		.amdhsa_exception_fp_ieee_overflow 0
		.amdhsa_exception_fp_ieee_underflow 0
		.amdhsa_exception_fp_ieee_inexact 0
		.amdhsa_exception_int_div_zero 0
	.end_amdhsa_kernel
	.section	.text._ZN7rocprim17ROCPRIM_400000_NS6detail17trampoline_kernelINS0_14default_configENS1_27scan_by_key_config_selectorIj11FixedVectorIiLj1EEEEZZNS1_16scan_by_key_implILNS1_25lookback_scan_determinismE0ELb0ES3_N6thrust23THRUST_200600_302600_NS6detail15normal_iteratorINSB_10device_ptrIjEEEENSD_INSE_IS6_EEEESI_S6_NSB_4plusIvEENSB_8equal_toIvEES6_EE10hipError_tPvRmT2_T3_T4_T5_mT6_T7_P12ihipStream_tbENKUlT_T0_E_clISt17integral_constantIbLb1EES12_IbLb0EEEEDaSY_SZ_EUlSY_E_NS1_11comp_targetILNS1_3genE0ELNS1_11target_archE4294967295ELNS1_3gpuE0ELNS1_3repE0EEENS1_30default_config_static_selectorELNS0_4arch9wavefront6targetE0EEEvT1_,"axG",@progbits,_ZN7rocprim17ROCPRIM_400000_NS6detail17trampoline_kernelINS0_14default_configENS1_27scan_by_key_config_selectorIj11FixedVectorIiLj1EEEEZZNS1_16scan_by_key_implILNS1_25lookback_scan_determinismE0ELb0ES3_N6thrust23THRUST_200600_302600_NS6detail15normal_iteratorINSB_10device_ptrIjEEEENSD_INSE_IS6_EEEESI_S6_NSB_4plusIvEENSB_8equal_toIvEES6_EE10hipError_tPvRmT2_T3_T4_T5_mT6_T7_P12ihipStream_tbENKUlT_T0_E_clISt17integral_constantIbLb1EES12_IbLb0EEEEDaSY_SZ_EUlSY_E_NS1_11comp_targetILNS1_3genE0ELNS1_11target_archE4294967295ELNS1_3gpuE0ELNS1_3repE0EEENS1_30default_config_static_selectorELNS0_4arch9wavefront6targetE0EEEvT1_,comdat
.Lfunc_end1891:
	.size	_ZN7rocprim17ROCPRIM_400000_NS6detail17trampoline_kernelINS0_14default_configENS1_27scan_by_key_config_selectorIj11FixedVectorIiLj1EEEEZZNS1_16scan_by_key_implILNS1_25lookback_scan_determinismE0ELb0ES3_N6thrust23THRUST_200600_302600_NS6detail15normal_iteratorINSB_10device_ptrIjEEEENSD_INSE_IS6_EEEESI_S6_NSB_4plusIvEENSB_8equal_toIvEES6_EE10hipError_tPvRmT2_T3_T4_T5_mT6_T7_P12ihipStream_tbENKUlT_T0_E_clISt17integral_constantIbLb1EES12_IbLb0EEEEDaSY_SZ_EUlSY_E_NS1_11comp_targetILNS1_3genE0ELNS1_11target_archE4294967295ELNS1_3gpuE0ELNS1_3repE0EEENS1_30default_config_static_selectorELNS0_4arch9wavefront6targetE0EEEvT1_, .Lfunc_end1891-_ZN7rocprim17ROCPRIM_400000_NS6detail17trampoline_kernelINS0_14default_configENS1_27scan_by_key_config_selectorIj11FixedVectorIiLj1EEEEZZNS1_16scan_by_key_implILNS1_25lookback_scan_determinismE0ELb0ES3_N6thrust23THRUST_200600_302600_NS6detail15normal_iteratorINSB_10device_ptrIjEEEENSD_INSE_IS6_EEEESI_S6_NSB_4plusIvEENSB_8equal_toIvEES6_EE10hipError_tPvRmT2_T3_T4_T5_mT6_T7_P12ihipStream_tbENKUlT_T0_E_clISt17integral_constantIbLb1EES12_IbLb0EEEEDaSY_SZ_EUlSY_E_NS1_11comp_targetILNS1_3genE0ELNS1_11target_archE4294967295ELNS1_3gpuE0ELNS1_3repE0EEENS1_30default_config_static_selectorELNS0_4arch9wavefront6targetE0EEEvT1_
                                        ; -- End function
	.set _ZN7rocprim17ROCPRIM_400000_NS6detail17trampoline_kernelINS0_14default_configENS1_27scan_by_key_config_selectorIj11FixedVectorIiLj1EEEEZZNS1_16scan_by_key_implILNS1_25lookback_scan_determinismE0ELb0ES3_N6thrust23THRUST_200600_302600_NS6detail15normal_iteratorINSB_10device_ptrIjEEEENSD_INSE_IS6_EEEESI_S6_NSB_4plusIvEENSB_8equal_toIvEES6_EE10hipError_tPvRmT2_T3_T4_T5_mT6_T7_P12ihipStream_tbENKUlT_T0_E_clISt17integral_constantIbLb1EES12_IbLb0EEEEDaSY_SZ_EUlSY_E_NS1_11comp_targetILNS1_3genE0ELNS1_11target_archE4294967295ELNS1_3gpuE0ELNS1_3repE0EEENS1_30default_config_static_selectorELNS0_4arch9wavefront6targetE0EEEvT1_.num_vgpr, 0
	.set _ZN7rocprim17ROCPRIM_400000_NS6detail17trampoline_kernelINS0_14default_configENS1_27scan_by_key_config_selectorIj11FixedVectorIiLj1EEEEZZNS1_16scan_by_key_implILNS1_25lookback_scan_determinismE0ELb0ES3_N6thrust23THRUST_200600_302600_NS6detail15normal_iteratorINSB_10device_ptrIjEEEENSD_INSE_IS6_EEEESI_S6_NSB_4plusIvEENSB_8equal_toIvEES6_EE10hipError_tPvRmT2_T3_T4_T5_mT6_T7_P12ihipStream_tbENKUlT_T0_E_clISt17integral_constantIbLb1EES12_IbLb0EEEEDaSY_SZ_EUlSY_E_NS1_11comp_targetILNS1_3genE0ELNS1_11target_archE4294967295ELNS1_3gpuE0ELNS1_3repE0EEENS1_30default_config_static_selectorELNS0_4arch9wavefront6targetE0EEEvT1_.num_agpr, 0
	.set _ZN7rocprim17ROCPRIM_400000_NS6detail17trampoline_kernelINS0_14default_configENS1_27scan_by_key_config_selectorIj11FixedVectorIiLj1EEEEZZNS1_16scan_by_key_implILNS1_25lookback_scan_determinismE0ELb0ES3_N6thrust23THRUST_200600_302600_NS6detail15normal_iteratorINSB_10device_ptrIjEEEENSD_INSE_IS6_EEEESI_S6_NSB_4plusIvEENSB_8equal_toIvEES6_EE10hipError_tPvRmT2_T3_T4_T5_mT6_T7_P12ihipStream_tbENKUlT_T0_E_clISt17integral_constantIbLb1EES12_IbLb0EEEEDaSY_SZ_EUlSY_E_NS1_11comp_targetILNS1_3genE0ELNS1_11target_archE4294967295ELNS1_3gpuE0ELNS1_3repE0EEENS1_30default_config_static_selectorELNS0_4arch9wavefront6targetE0EEEvT1_.numbered_sgpr, 0
	.set _ZN7rocprim17ROCPRIM_400000_NS6detail17trampoline_kernelINS0_14default_configENS1_27scan_by_key_config_selectorIj11FixedVectorIiLj1EEEEZZNS1_16scan_by_key_implILNS1_25lookback_scan_determinismE0ELb0ES3_N6thrust23THRUST_200600_302600_NS6detail15normal_iteratorINSB_10device_ptrIjEEEENSD_INSE_IS6_EEEESI_S6_NSB_4plusIvEENSB_8equal_toIvEES6_EE10hipError_tPvRmT2_T3_T4_T5_mT6_T7_P12ihipStream_tbENKUlT_T0_E_clISt17integral_constantIbLb1EES12_IbLb0EEEEDaSY_SZ_EUlSY_E_NS1_11comp_targetILNS1_3genE0ELNS1_11target_archE4294967295ELNS1_3gpuE0ELNS1_3repE0EEENS1_30default_config_static_selectorELNS0_4arch9wavefront6targetE0EEEvT1_.num_named_barrier, 0
	.set _ZN7rocprim17ROCPRIM_400000_NS6detail17trampoline_kernelINS0_14default_configENS1_27scan_by_key_config_selectorIj11FixedVectorIiLj1EEEEZZNS1_16scan_by_key_implILNS1_25lookback_scan_determinismE0ELb0ES3_N6thrust23THRUST_200600_302600_NS6detail15normal_iteratorINSB_10device_ptrIjEEEENSD_INSE_IS6_EEEESI_S6_NSB_4plusIvEENSB_8equal_toIvEES6_EE10hipError_tPvRmT2_T3_T4_T5_mT6_T7_P12ihipStream_tbENKUlT_T0_E_clISt17integral_constantIbLb1EES12_IbLb0EEEEDaSY_SZ_EUlSY_E_NS1_11comp_targetILNS1_3genE0ELNS1_11target_archE4294967295ELNS1_3gpuE0ELNS1_3repE0EEENS1_30default_config_static_selectorELNS0_4arch9wavefront6targetE0EEEvT1_.private_seg_size, 0
	.set _ZN7rocprim17ROCPRIM_400000_NS6detail17trampoline_kernelINS0_14default_configENS1_27scan_by_key_config_selectorIj11FixedVectorIiLj1EEEEZZNS1_16scan_by_key_implILNS1_25lookback_scan_determinismE0ELb0ES3_N6thrust23THRUST_200600_302600_NS6detail15normal_iteratorINSB_10device_ptrIjEEEENSD_INSE_IS6_EEEESI_S6_NSB_4plusIvEENSB_8equal_toIvEES6_EE10hipError_tPvRmT2_T3_T4_T5_mT6_T7_P12ihipStream_tbENKUlT_T0_E_clISt17integral_constantIbLb1EES12_IbLb0EEEEDaSY_SZ_EUlSY_E_NS1_11comp_targetILNS1_3genE0ELNS1_11target_archE4294967295ELNS1_3gpuE0ELNS1_3repE0EEENS1_30default_config_static_selectorELNS0_4arch9wavefront6targetE0EEEvT1_.uses_vcc, 0
	.set _ZN7rocprim17ROCPRIM_400000_NS6detail17trampoline_kernelINS0_14default_configENS1_27scan_by_key_config_selectorIj11FixedVectorIiLj1EEEEZZNS1_16scan_by_key_implILNS1_25lookback_scan_determinismE0ELb0ES3_N6thrust23THRUST_200600_302600_NS6detail15normal_iteratorINSB_10device_ptrIjEEEENSD_INSE_IS6_EEEESI_S6_NSB_4plusIvEENSB_8equal_toIvEES6_EE10hipError_tPvRmT2_T3_T4_T5_mT6_T7_P12ihipStream_tbENKUlT_T0_E_clISt17integral_constantIbLb1EES12_IbLb0EEEEDaSY_SZ_EUlSY_E_NS1_11comp_targetILNS1_3genE0ELNS1_11target_archE4294967295ELNS1_3gpuE0ELNS1_3repE0EEENS1_30default_config_static_selectorELNS0_4arch9wavefront6targetE0EEEvT1_.uses_flat_scratch, 0
	.set _ZN7rocprim17ROCPRIM_400000_NS6detail17trampoline_kernelINS0_14default_configENS1_27scan_by_key_config_selectorIj11FixedVectorIiLj1EEEEZZNS1_16scan_by_key_implILNS1_25lookback_scan_determinismE0ELb0ES3_N6thrust23THRUST_200600_302600_NS6detail15normal_iteratorINSB_10device_ptrIjEEEENSD_INSE_IS6_EEEESI_S6_NSB_4plusIvEENSB_8equal_toIvEES6_EE10hipError_tPvRmT2_T3_T4_T5_mT6_T7_P12ihipStream_tbENKUlT_T0_E_clISt17integral_constantIbLb1EES12_IbLb0EEEEDaSY_SZ_EUlSY_E_NS1_11comp_targetILNS1_3genE0ELNS1_11target_archE4294967295ELNS1_3gpuE0ELNS1_3repE0EEENS1_30default_config_static_selectorELNS0_4arch9wavefront6targetE0EEEvT1_.has_dyn_sized_stack, 0
	.set _ZN7rocprim17ROCPRIM_400000_NS6detail17trampoline_kernelINS0_14default_configENS1_27scan_by_key_config_selectorIj11FixedVectorIiLj1EEEEZZNS1_16scan_by_key_implILNS1_25lookback_scan_determinismE0ELb0ES3_N6thrust23THRUST_200600_302600_NS6detail15normal_iteratorINSB_10device_ptrIjEEEENSD_INSE_IS6_EEEESI_S6_NSB_4plusIvEENSB_8equal_toIvEES6_EE10hipError_tPvRmT2_T3_T4_T5_mT6_T7_P12ihipStream_tbENKUlT_T0_E_clISt17integral_constantIbLb1EES12_IbLb0EEEEDaSY_SZ_EUlSY_E_NS1_11comp_targetILNS1_3genE0ELNS1_11target_archE4294967295ELNS1_3gpuE0ELNS1_3repE0EEENS1_30default_config_static_selectorELNS0_4arch9wavefront6targetE0EEEvT1_.has_recursion, 0
	.set _ZN7rocprim17ROCPRIM_400000_NS6detail17trampoline_kernelINS0_14default_configENS1_27scan_by_key_config_selectorIj11FixedVectorIiLj1EEEEZZNS1_16scan_by_key_implILNS1_25lookback_scan_determinismE0ELb0ES3_N6thrust23THRUST_200600_302600_NS6detail15normal_iteratorINSB_10device_ptrIjEEEENSD_INSE_IS6_EEEESI_S6_NSB_4plusIvEENSB_8equal_toIvEES6_EE10hipError_tPvRmT2_T3_T4_T5_mT6_T7_P12ihipStream_tbENKUlT_T0_E_clISt17integral_constantIbLb1EES12_IbLb0EEEEDaSY_SZ_EUlSY_E_NS1_11comp_targetILNS1_3genE0ELNS1_11target_archE4294967295ELNS1_3gpuE0ELNS1_3repE0EEENS1_30default_config_static_selectorELNS0_4arch9wavefront6targetE0EEEvT1_.has_indirect_call, 0
	.section	.AMDGPU.csdata,"",@progbits
; Kernel info:
; codeLenInByte = 4
; TotalNumSgprs: 0
; NumVgprs: 0
; ScratchSize: 0
; MemoryBound: 0
; FloatMode: 240
; IeeeMode: 1
; LDSByteSize: 0 bytes/workgroup (compile time only)
; SGPRBlocks: 0
; VGPRBlocks: 0
; NumSGPRsForWavesPerEU: 1
; NumVGPRsForWavesPerEU: 1
; NamedBarCnt: 0
; Occupancy: 16
; WaveLimiterHint : 0
; COMPUTE_PGM_RSRC2:SCRATCH_EN: 0
; COMPUTE_PGM_RSRC2:USER_SGPR: 2
; COMPUTE_PGM_RSRC2:TRAP_HANDLER: 0
; COMPUTE_PGM_RSRC2:TGID_X_EN: 1
; COMPUTE_PGM_RSRC2:TGID_Y_EN: 0
; COMPUTE_PGM_RSRC2:TGID_Z_EN: 0
; COMPUTE_PGM_RSRC2:TIDIG_COMP_CNT: 0
	.section	.text._ZN7rocprim17ROCPRIM_400000_NS6detail17trampoline_kernelINS0_14default_configENS1_27scan_by_key_config_selectorIj11FixedVectorIiLj1EEEEZZNS1_16scan_by_key_implILNS1_25lookback_scan_determinismE0ELb0ES3_N6thrust23THRUST_200600_302600_NS6detail15normal_iteratorINSB_10device_ptrIjEEEENSD_INSE_IS6_EEEESI_S6_NSB_4plusIvEENSB_8equal_toIvEES6_EE10hipError_tPvRmT2_T3_T4_T5_mT6_T7_P12ihipStream_tbENKUlT_T0_E_clISt17integral_constantIbLb1EES12_IbLb0EEEEDaSY_SZ_EUlSY_E_NS1_11comp_targetILNS1_3genE10ELNS1_11target_archE1201ELNS1_3gpuE5ELNS1_3repE0EEENS1_30default_config_static_selectorELNS0_4arch9wavefront6targetE0EEEvT1_,"axG",@progbits,_ZN7rocprim17ROCPRIM_400000_NS6detail17trampoline_kernelINS0_14default_configENS1_27scan_by_key_config_selectorIj11FixedVectorIiLj1EEEEZZNS1_16scan_by_key_implILNS1_25lookback_scan_determinismE0ELb0ES3_N6thrust23THRUST_200600_302600_NS6detail15normal_iteratorINSB_10device_ptrIjEEEENSD_INSE_IS6_EEEESI_S6_NSB_4plusIvEENSB_8equal_toIvEES6_EE10hipError_tPvRmT2_T3_T4_T5_mT6_T7_P12ihipStream_tbENKUlT_T0_E_clISt17integral_constantIbLb1EES12_IbLb0EEEEDaSY_SZ_EUlSY_E_NS1_11comp_targetILNS1_3genE10ELNS1_11target_archE1201ELNS1_3gpuE5ELNS1_3repE0EEENS1_30default_config_static_selectorELNS0_4arch9wavefront6targetE0EEEvT1_,comdat
	.protected	_ZN7rocprim17ROCPRIM_400000_NS6detail17trampoline_kernelINS0_14default_configENS1_27scan_by_key_config_selectorIj11FixedVectorIiLj1EEEEZZNS1_16scan_by_key_implILNS1_25lookback_scan_determinismE0ELb0ES3_N6thrust23THRUST_200600_302600_NS6detail15normal_iteratorINSB_10device_ptrIjEEEENSD_INSE_IS6_EEEESI_S6_NSB_4plusIvEENSB_8equal_toIvEES6_EE10hipError_tPvRmT2_T3_T4_T5_mT6_T7_P12ihipStream_tbENKUlT_T0_E_clISt17integral_constantIbLb1EES12_IbLb0EEEEDaSY_SZ_EUlSY_E_NS1_11comp_targetILNS1_3genE10ELNS1_11target_archE1201ELNS1_3gpuE5ELNS1_3repE0EEENS1_30default_config_static_selectorELNS0_4arch9wavefront6targetE0EEEvT1_ ; -- Begin function _ZN7rocprim17ROCPRIM_400000_NS6detail17trampoline_kernelINS0_14default_configENS1_27scan_by_key_config_selectorIj11FixedVectorIiLj1EEEEZZNS1_16scan_by_key_implILNS1_25lookback_scan_determinismE0ELb0ES3_N6thrust23THRUST_200600_302600_NS6detail15normal_iteratorINSB_10device_ptrIjEEEENSD_INSE_IS6_EEEESI_S6_NSB_4plusIvEENSB_8equal_toIvEES6_EE10hipError_tPvRmT2_T3_T4_T5_mT6_T7_P12ihipStream_tbENKUlT_T0_E_clISt17integral_constantIbLb1EES12_IbLb0EEEEDaSY_SZ_EUlSY_E_NS1_11comp_targetILNS1_3genE10ELNS1_11target_archE1201ELNS1_3gpuE5ELNS1_3repE0EEENS1_30default_config_static_selectorELNS0_4arch9wavefront6targetE0EEEvT1_
	.globl	_ZN7rocprim17ROCPRIM_400000_NS6detail17trampoline_kernelINS0_14default_configENS1_27scan_by_key_config_selectorIj11FixedVectorIiLj1EEEEZZNS1_16scan_by_key_implILNS1_25lookback_scan_determinismE0ELb0ES3_N6thrust23THRUST_200600_302600_NS6detail15normal_iteratorINSB_10device_ptrIjEEEENSD_INSE_IS6_EEEESI_S6_NSB_4plusIvEENSB_8equal_toIvEES6_EE10hipError_tPvRmT2_T3_T4_T5_mT6_T7_P12ihipStream_tbENKUlT_T0_E_clISt17integral_constantIbLb1EES12_IbLb0EEEEDaSY_SZ_EUlSY_E_NS1_11comp_targetILNS1_3genE10ELNS1_11target_archE1201ELNS1_3gpuE5ELNS1_3repE0EEENS1_30default_config_static_selectorELNS0_4arch9wavefront6targetE0EEEvT1_
	.p2align	8
	.type	_ZN7rocprim17ROCPRIM_400000_NS6detail17trampoline_kernelINS0_14default_configENS1_27scan_by_key_config_selectorIj11FixedVectorIiLj1EEEEZZNS1_16scan_by_key_implILNS1_25lookback_scan_determinismE0ELb0ES3_N6thrust23THRUST_200600_302600_NS6detail15normal_iteratorINSB_10device_ptrIjEEEENSD_INSE_IS6_EEEESI_S6_NSB_4plusIvEENSB_8equal_toIvEES6_EE10hipError_tPvRmT2_T3_T4_T5_mT6_T7_P12ihipStream_tbENKUlT_T0_E_clISt17integral_constantIbLb1EES12_IbLb0EEEEDaSY_SZ_EUlSY_E_NS1_11comp_targetILNS1_3genE10ELNS1_11target_archE1201ELNS1_3gpuE5ELNS1_3repE0EEENS1_30default_config_static_selectorELNS0_4arch9wavefront6targetE0EEEvT1_,@function
_ZN7rocprim17ROCPRIM_400000_NS6detail17trampoline_kernelINS0_14default_configENS1_27scan_by_key_config_selectorIj11FixedVectorIiLj1EEEEZZNS1_16scan_by_key_implILNS1_25lookback_scan_determinismE0ELb0ES3_N6thrust23THRUST_200600_302600_NS6detail15normal_iteratorINSB_10device_ptrIjEEEENSD_INSE_IS6_EEEESI_S6_NSB_4plusIvEENSB_8equal_toIvEES6_EE10hipError_tPvRmT2_T3_T4_T5_mT6_T7_P12ihipStream_tbENKUlT_T0_E_clISt17integral_constantIbLb1EES12_IbLb0EEEEDaSY_SZ_EUlSY_E_NS1_11comp_targetILNS1_3genE10ELNS1_11target_archE1201ELNS1_3gpuE5ELNS1_3repE0EEENS1_30default_config_static_selectorELNS0_4arch9wavefront6targetE0EEEvT1_: ; @_ZN7rocprim17ROCPRIM_400000_NS6detail17trampoline_kernelINS0_14default_configENS1_27scan_by_key_config_selectorIj11FixedVectorIiLj1EEEEZZNS1_16scan_by_key_implILNS1_25lookback_scan_determinismE0ELb0ES3_N6thrust23THRUST_200600_302600_NS6detail15normal_iteratorINSB_10device_ptrIjEEEENSD_INSE_IS6_EEEESI_S6_NSB_4plusIvEENSB_8equal_toIvEES6_EE10hipError_tPvRmT2_T3_T4_T5_mT6_T7_P12ihipStream_tbENKUlT_T0_E_clISt17integral_constantIbLb1EES12_IbLb0EEEEDaSY_SZ_EUlSY_E_NS1_11comp_targetILNS1_3genE10ELNS1_11target_archE1201ELNS1_3gpuE5ELNS1_3repE0EEENS1_30default_config_static_selectorELNS0_4arch9wavefront6targetE0EEEvT1_
; %bb.0:
	.section	.rodata,"a",@progbits
	.p2align	6, 0x0
	.amdhsa_kernel _ZN7rocprim17ROCPRIM_400000_NS6detail17trampoline_kernelINS0_14default_configENS1_27scan_by_key_config_selectorIj11FixedVectorIiLj1EEEEZZNS1_16scan_by_key_implILNS1_25lookback_scan_determinismE0ELb0ES3_N6thrust23THRUST_200600_302600_NS6detail15normal_iteratorINSB_10device_ptrIjEEEENSD_INSE_IS6_EEEESI_S6_NSB_4plusIvEENSB_8equal_toIvEES6_EE10hipError_tPvRmT2_T3_T4_T5_mT6_T7_P12ihipStream_tbENKUlT_T0_E_clISt17integral_constantIbLb1EES12_IbLb0EEEEDaSY_SZ_EUlSY_E_NS1_11comp_targetILNS1_3genE10ELNS1_11target_archE1201ELNS1_3gpuE5ELNS1_3repE0EEENS1_30default_config_static_selectorELNS0_4arch9wavefront6targetE0EEEvT1_
		.amdhsa_group_segment_fixed_size 0
		.amdhsa_private_segment_fixed_size 0
		.amdhsa_kernarg_size 112
		.amdhsa_user_sgpr_count 2
		.amdhsa_user_sgpr_dispatch_ptr 0
		.amdhsa_user_sgpr_queue_ptr 0
		.amdhsa_user_sgpr_kernarg_segment_ptr 1
		.amdhsa_user_sgpr_dispatch_id 0
		.amdhsa_user_sgpr_kernarg_preload_length 0
		.amdhsa_user_sgpr_kernarg_preload_offset 0
		.amdhsa_user_sgpr_private_segment_size 0
		.amdhsa_wavefront_size32 1
		.amdhsa_uses_dynamic_stack 0
		.amdhsa_enable_private_segment 0
		.amdhsa_system_sgpr_workgroup_id_x 1
		.amdhsa_system_sgpr_workgroup_id_y 0
		.amdhsa_system_sgpr_workgroup_id_z 0
		.amdhsa_system_sgpr_workgroup_info 0
		.amdhsa_system_vgpr_workitem_id 0
		.amdhsa_next_free_vgpr 1
		.amdhsa_next_free_sgpr 1
		.amdhsa_named_barrier_count 0
		.amdhsa_reserve_vcc 0
		.amdhsa_float_round_mode_32 0
		.amdhsa_float_round_mode_16_64 0
		.amdhsa_float_denorm_mode_32 3
		.amdhsa_float_denorm_mode_16_64 3
		.amdhsa_fp16_overflow 0
		.amdhsa_memory_ordered 1
		.amdhsa_forward_progress 1
		.amdhsa_inst_pref_size 0
		.amdhsa_round_robin_scheduling 0
		.amdhsa_exception_fp_ieee_invalid_op 0
		.amdhsa_exception_fp_denorm_src 0
		.amdhsa_exception_fp_ieee_div_zero 0
		.amdhsa_exception_fp_ieee_overflow 0
		.amdhsa_exception_fp_ieee_underflow 0
		.amdhsa_exception_fp_ieee_inexact 0
		.amdhsa_exception_int_div_zero 0
	.end_amdhsa_kernel
	.section	.text._ZN7rocprim17ROCPRIM_400000_NS6detail17trampoline_kernelINS0_14default_configENS1_27scan_by_key_config_selectorIj11FixedVectorIiLj1EEEEZZNS1_16scan_by_key_implILNS1_25lookback_scan_determinismE0ELb0ES3_N6thrust23THRUST_200600_302600_NS6detail15normal_iteratorINSB_10device_ptrIjEEEENSD_INSE_IS6_EEEESI_S6_NSB_4plusIvEENSB_8equal_toIvEES6_EE10hipError_tPvRmT2_T3_T4_T5_mT6_T7_P12ihipStream_tbENKUlT_T0_E_clISt17integral_constantIbLb1EES12_IbLb0EEEEDaSY_SZ_EUlSY_E_NS1_11comp_targetILNS1_3genE10ELNS1_11target_archE1201ELNS1_3gpuE5ELNS1_3repE0EEENS1_30default_config_static_selectorELNS0_4arch9wavefront6targetE0EEEvT1_,"axG",@progbits,_ZN7rocprim17ROCPRIM_400000_NS6detail17trampoline_kernelINS0_14default_configENS1_27scan_by_key_config_selectorIj11FixedVectorIiLj1EEEEZZNS1_16scan_by_key_implILNS1_25lookback_scan_determinismE0ELb0ES3_N6thrust23THRUST_200600_302600_NS6detail15normal_iteratorINSB_10device_ptrIjEEEENSD_INSE_IS6_EEEESI_S6_NSB_4plusIvEENSB_8equal_toIvEES6_EE10hipError_tPvRmT2_T3_T4_T5_mT6_T7_P12ihipStream_tbENKUlT_T0_E_clISt17integral_constantIbLb1EES12_IbLb0EEEEDaSY_SZ_EUlSY_E_NS1_11comp_targetILNS1_3genE10ELNS1_11target_archE1201ELNS1_3gpuE5ELNS1_3repE0EEENS1_30default_config_static_selectorELNS0_4arch9wavefront6targetE0EEEvT1_,comdat
.Lfunc_end1892:
	.size	_ZN7rocprim17ROCPRIM_400000_NS6detail17trampoline_kernelINS0_14default_configENS1_27scan_by_key_config_selectorIj11FixedVectorIiLj1EEEEZZNS1_16scan_by_key_implILNS1_25lookback_scan_determinismE0ELb0ES3_N6thrust23THRUST_200600_302600_NS6detail15normal_iteratorINSB_10device_ptrIjEEEENSD_INSE_IS6_EEEESI_S6_NSB_4plusIvEENSB_8equal_toIvEES6_EE10hipError_tPvRmT2_T3_T4_T5_mT6_T7_P12ihipStream_tbENKUlT_T0_E_clISt17integral_constantIbLb1EES12_IbLb0EEEEDaSY_SZ_EUlSY_E_NS1_11comp_targetILNS1_3genE10ELNS1_11target_archE1201ELNS1_3gpuE5ELNS1_3repE0EEENS1_30default_config_static_selectorELNS0_4arch9wavefront6targetE0EEEvT1_, .Lfunc_end1892-_ZN7rocprim17ROCPRIM_400000_NS6detail17trampoline_kernelINS0_14default_configENS1_27scan_by_key_config_selectorIj11FixedVectorIiLj1EEEEZZNS1_16scan_by_key_implILNS1_25lookback_scan_determinismE0ELb0ES3_N6thrust23THRUST_200600_302600_NS6detail15normal_iteratorINSB_10device_ptrIjEEEENSD_INSE_IS6_EEEESI_S6_NSB_4plusIvEENSB_8equal_toIvEES6_EE10hipError_tPvRmT2_T3_T4_T5_mT6_T7_P12ihipStream_tbENKUlT_T0_E_clISt17integral_constantIbLb1EES12_IbLb0EEEEDaSY_SZ_EUlSY_E_NS1_11comp_targetILNS1_3genE10ELNS1_11target_archE1201ELNS1_3gpuE5ELNS1_3repE0EEENS1_30default_config_static_selectorELNS0_4arch9wavefront6targetE0EEEvT1_
                                        ; -- End function
	.set _ZN7rocprim17ROCPRIM_400000_NS6detail17trampoline_kernelINS0_14default_configENS1_27scan_by_key_config_selectorIj11FixedVectorIiLj1EEEEZZNS1_16scan_by_key_implILNS1_25lookback_scan_determinismE0ELb0ES3_N6thrust23THRUST_200600_302600_NS6detail15normal_iteratorINSB_10device_ptrIjEEEENSD_INSE_IS6_EEEESI_S6_NSB_4plusIvEENSB_8equal_toIvEES6_EE10hipError_tPvRmT2_T3_T4_T5_mT6_T7_P12ihipStream_tbENKUlT_T0_E_clISt17integral_constantIbLb1EES12_IbLb0EEEEDaSY_SZ_EUlSY_E_NS1_11comp_targetILNS1_3genE10ELNS1_11target_archE1201ELNS1_3gpuE5ELNS1_3repE0EEENS1_30default_config_static_selectorELNS0_4arch9wavefront6targetE0EEEvT1_.num_vgpr, 0
	.set _ZN7rocprim17ROCPRIM_400000_NS6detail17trampoline_kernelINS0_14default_configENS1_27scan_by_key_config_selectorIj11FixedVectorIiLj1EEEEZZNS1_16scan_by_key_implILNS1_25lookback_scan_determinismE0ELb0ES3_N6thrust23THRUST_200600_302600_NS6detail15normal_iteratorINSB_10device_ptrIjEEEENSD_INSE_IS6_EEEESI_S6_NSB_4plusIvEENSB_8equal_toIvEES6_EE10hipError_tPvRmT2_T3_T4_T5_mT6_T7_P12ihipStream_tbENKUlT_T0_E_clISt17integral_constantIbLb1EES12_IbLb0EEEEDaSY_SZ_EUlSY_E_NS1_11comp_targetILNS1_3genE10ELNS1_11target_archE1201ELNS1_3gpuE5ELNS1_3repE0EEENS1_30default_config_static_selectorELNS0_4arch9wavefront6targetE0EEEvT1_.num_agpr, 0
	.set _ZN7rocprim17ROCPRIM_400000_NS6detail17trampoline_kernelINS0_14default_configENS1_27scan_by_key_config_selectorIj11FixedVectorIiLj1EEEEZZNS1_16scan_by_key_implILNS1_25lookback_scan_determinismE0ELb0ES3_N6thrust23THRUST_200600_302600_NS6detail15normal_iteratorINSB_10device_ptrIjEEEENSD_INSE_IS6_EEEESI_S6_NSB_4plusIvEENSB_8equal_toIvEES6_EE10hipError_tPvRmT2_T3_T4_T5_mT6_T7_P12ihipStream_tbENKUlT_T0_E_clISt17integral_constantIbLb1EES12_IbLb0EEEEDaSY_SZ_EUlSY_E_NS1_11comp_targetILNS1_3genE10ELNS1_11target_archE1201ELNS1_3gpuE5ELNS1_3repE0EEENS1_30default_config_static_selectorELNS0_4arch9wavefront6targetE0EEEvT1_.numbered_sgpr, 0
	.set _ZN7rocprim17ROCPRIM_400000_NS6detail17trampoline_kernelINS0_14default_configENS1_27scan_by_key_config_selectorIj11FixedVectorIiLj1EEEEZZNS1_16scan_by_key_implILNS1_25lookback_scan_determinismE0ELb0ES3_N6thrust23THRUST_200600_302600_NS6detail15normal_iteratorINSB_10device_ptrIjEEEENSD_INSE_IS6_EEEESI_S6_NSB_4plusIvEENSB_8equal_toIvEES6_EE10hipError_tPvRmT2_T3_T4_T5_mT6_T7_P12ihipStream_tbENKUlT_T0_E_clISt17integral_constantIbLb1EES12_IbLb0EEEEDaSY_SZ_EUlSY_E_NS1_11comp_targetILNS1_3genE10ELNS1_11target_archE1201ELNS1_3gpuE5ELNS1_3repE0EEENS1_30default_config_static_selectorELNS0_4arch9wavefront6targetE0EEEvT1_.num_named_barrier, 0
	.set _ZN7rocprim17ROCPRIM_400000_NS6detail17trampoline_kernelINS0_14default_configENS1_27scan_by_key_config_selectorIj11FixedVectorIiLj1EEEEZZNS1_16scan_by_key_implILNS1_25lookback_scan_determinismE0ELb0ES3_N6thrust23THRUST_200600_302600_NS6detail15normal_iteratorINSB_10device_ptrIjEEEENSD_INSE_IS6_EEEESI_S6_NSB_4plusIvEENSB_8equal_toIvEES6_EE10hipError_tPvRmT2_T3_T4_T5_mT6_T7_P12ihipStream_tbENKUlT_T0_E_clISt17integral_constantIbLb1EES12_IbLb0EEEEDaSY_SZ_EUlSY_E_NS1_11comp_targetILNS1_3genE10ELNS1_11target_archE1201ELNS1_3gpuE5ELNS1_3repE0EEENS1_30default_config_static_selectorELNS0_4arch9wavefront6targetE0EEEvT1_.private_seg_size, 0
	.set _ZN7rocprim17ROCPRIM_400000_NS6detail17trampoline_kernelINS0_14default_configENS1_27scan_by_key_config_selectorIj11FixedVectorIiLj1EEEEZZNS1_16scan_by_key_implILNS1_25lookback_scan_determinismE0ELb0ES3_N6thrust23THRUST_200600_302600_NS6detail15normal_iteratorINSB_10device_ptrIjEEEENSD_INSE_IS6_EEEESI_S6_NSB_4plusIvEENSB_8equal_toIvEES6_EE10hipError_tPvRmT2_T3_T4_T5_mT6_T7_P12ihipStream_tbENKUlT_T0_E_clISt17integral_constantIbLb1EES12_IbLb0EEEEDaSY_SZ_EUlSY_E_NS1_11comp_targetILNS1_3genE10ELNS1_11target_archE1201ELNS1_3gpuE5ELNS1_3repE0EEENS1_30default_config_static_selectorELNS0_4arch9wavefront6targetE0EEEvT1_.uses_vcc, 0
	.set _ZN7rocprim17ROCPRIM_400000_NS6detail17trampoline_kernelINS0_14default_configENS1_27scan_by_key_config_selectorIj11FixedVectorIiLj1EEEEZZNS1_16scan_by_key_implILNS1_25lookback_scan_determinismE0ELb0ES3_N6thrust23THRUST_200600_302600_NS6detail15normal_iteratorINSB_10device_ptrIjEEEENSD_INSE_IS6_EEEESI_S6_NSB_4plusIvEENSB_8equal_toIvEES6_EE10hipError_tPvRmT2_T3_T4_T5_mT6_T7_P12ihipStream_tbENKUlT_T0_E_clISt17integral_constantIbLb1EES12_IbLb0EEEEDaSY_SZ_EUlSY_E_NS1_11comp_targetILNS1_3genE10ELNS1_11target_archE1201ELNS1_3gpuE5ELNS1_3repE0EEENS1_30default_config_static_selectorELNS0_4arch9wavefront6targetE0EEEvT1_.uses_flat_scratch, 0
	.set _ZN7rocprim17ROCPRIM_400000_NS6detail17trampoline_kernelINS0_14default_configENS1_27scan_by_key_config_selectorIj11FixedVectorIiLj1EEEEZZNS1_16scan_by_key_implILNS1_25lookback_scan_determinismE0ELb0ES3_N6thrust23THRUST_200600_302600_NS6detail15normal_iteratorINSB_10device_ptrIjEEEENSD_INSE_IS6_EEEESI_S6_NSB_4plusIvEENSB_8equal_toIvEES6_EE10hipError_tPvRmT2_T3_T4_T5_mT6_T7_P12ihipStream_tbENKUlT_T0_E_clISt17integral_constantIbLb1EES12_IbLb0EEEEDaSY_SZ_EUlSY_E_NS1_11comp_targetILNS1_3genE10ELNS1_11target_archE1201ELNS1_3gpuE5ELNS1_3repE0EEENS1_30default_config_static_selectorELNS0_4arch9wavefront6targetE0EEEvT1_.has_dyn_sized_stack, 0
	.set _ZN7rocprim17ROCPRIM_400000_NS6detail17trampoline_kernelINS0_14default_configENS1_27scan_by_key_config_selectorIj11FixedVectorIiLj1EEEEZZNS1_16scan_by_key_implILNS1_25lookback_scan_determinismE0ELb0ES3_N6thrust23THRUST_200600_302600_NS6detail15normal_iteratorINSB_10device_ptrIjEEEENSD_INSE_IS6_EEEESI_S6_NSB_4plusIvEENSB_8equal_toIvEES6_EE10hipError_tPvRmT2_T3_T4_T5_mT6_T7_P12ihipStream_tbENKUlT_T0_E_clISt17integral_constantIbLb1EES12_IbLb0EEEEDaSY_SZ_EUlSY_E_NS1_11comp_targetILNS1_3genE10ELNS1_11target_archE1201ELNS1_3gpuE5ELNS1_3repE0EEENS1_30default_config_static_selectorELNS0_4arch9wavefront6targetE0EEEvT1_.has_recursion, 0
	.set _ZN7rocprim17ROCPRIM_400000_NS6detail17trampoline_kernelINS0_14default_configENS1_27scan_by_key_config_selectorIj11FixedVectorIiLj1EEEEZZNS1_16scan_by_key_implILNS1_25lookback_scan_determinismE0ELb0ES3_N6thrust23THRUST_200600_302600_NS6detail15normal_iteratorINSB_10device_ptrIjEEEENSD_INSE_IS6_EEEESI_S6_NSB_4plusIvEENSB_8equal_toIvEES6_EE10hipError_tPvRmT2_T3_T4_T5_mT6_T7_P12ihipStream_tbENKUlT_T0_E_clISt17integral_constantIbLb1EES12_IbLb0EEEEDaSY_SZ_EUlSY_E_NS1_11comp_targetILNS1_3genE10ELNS1_11target_archE1201ELNS1_3gpuE5ELNS1_3repE0EEENS1_30default_config_static_selectorELNS0_4arch9wavefront6targetE0EEEvT1_.has_indirect_call, 0
	.section	.AMDGPU.csdata,"",@progbits
; Kernel info:
; codeLenInByte = 0
; TotalNumSgprs: 0
; NumVgprs: 0
; ScratchSize: 0
; MemoryBound: 0
; FloatMode: 240
; IeeeMode: 1
; LDSByteSize: 0 bytes/workgroup (compile time only)
; SGPRBlocks: 0
; VGPRBlocks: 0
; NumSGPRsForWavesPerEU: 1
; NumVGPRsForWavesPerEU: 1
; NamedBarCnt: 0
; Occupancy: 16
; WaveLimiterHint : 0
; COMPUTE_PGM_RSRC2:SCRATCH_EN: 0
; COMPUTE_PGM_RSRC2:USER_SGPR: 2
; COMPUTE_PGM_RSRC2:TRAP_HANDLER: 0
; COMPUTE_PGM_RSRC2:TGID_X_EN: 1
; COMPUTE_PGM_RSRC2:TGID_Y_EN: 0
; COMPUTE_PGM_RSRC2:TGID_Z_EN: 0
; COMPUTE_PGM_RSRC2:TIDIG_COMP_CNT: 0
	.section	.text._ZN7rocprim17ROCPRIM_400000_NS6detail17trampoline_kernelINS0_14default_configENS1_27scan_by_key_config_selectorIj11FixedVectorIiLj1EEEEZZNS1_16scan_by_key_implILNS1_25lookback_scan_determinismE0ELb0ES3_N6thrust23THRUST_200600_302600_NS6detail15normal_iteratorINSB_10device_ptrIjEEEENSD_INSE_IS6_EEEESI_S6_NSB_4plusIvEENSB_8equal_toIvEES6_EE10hipError_tPvRmT2_T3_T4_T5_mT6_T7_P12ihipStream_tbENKUlT_T0_E_clISt17integral_constantIbLb1EES12_IbLb0EEEEDaSY_SZ_EUlSY_E_NS1_11comp_targetILNS1_3genE5ELNS1_11target_archE942ELNS1_3gpuE9ELNS1_3repE0EEENS1_30default_config_static_selectorELNS0_4arch9wavefront6targetE0EEEvT1_,"axG",@progbits,_ZN7rocprim17ROCPRIM_400000_NS6detail17trampoline_kernelINS0_14default_configENS1_27scan_by_key_config_selectorIj11FixedVectorIiLj1EEEEZZNS1_16scan_by_key_implILNS1_25lookback_scan_determinismE0ELb0ES3_N6thrust23THRUST_200600_302600_NS6detail15normal_iteratorINSB_10device_ptrIjEEEENSD_INSE_IS6_EEEESI_S6_NSB_4plusIvEENSB_8equal_toIvEES6_EE10hipError_tPvRmT2_T3_T4_T5_mT6_T7_P12ihipStream_tbENKUlT_T0_E_clISt17integral_constantIbLb1EES12_IbLb0EEEEDaSY_SZ_EUlSY_E_NS1_11comp_targetILNS1_3genE5ELNS1_11target_archE942ELNS1_3gpuE9ELNS1_3repE0EEENS1_30default_config_static_selectorELNS0_4arch9wavefront6targetE0EEEvT1_,comdat
	.protected	_ZN7rocprim17ROCPRIM_400000_NS6detail17trampoline_kernelINS0_14default_configENS1_27scan_by_key_config_selectorIj11FixedVectorIiLj1EEEEZZNS1_16scan_by_key_implILNS1_25lookback_scan_determinismE0ELb0ES3_N6thrust23THRUST_200600_302600_NS6detail15normal_iteratorINSB_10device_ptrIjEEEENSD_INSE_IS6_EEEESI_S6_NSB_4plusIvEENSB_8equal_toIvEES6_EE10hipError_tPvRmT2_T3_T4_T5_mT6_T7_P12ihipStream_tbENKUlT_T0_E_clISt17integral_constantIbLb1EES12_IbLb0EEEEDaSY_SZ_EUlSY_E_NS1_11comp_targetILNS1_3genE5ELNS1_11target_archE942ELNS1_3gpuE9ELNS1_3repE0EEENS1_30default_config_static_selectorELNS0_4arch9wavefront6targetE0EEEvT1_ ; -- Begin function _ZN7rocprim17ROCPRIM_400000_NS6detail17trampoline_kernelINS0_14default_configENS1_27scan_by_key_config_selectorIj11FixedVectorIiLj1EEEEZZNS1_16scan_by_key_implILNS1_25lookback_scan_determinismE0ELb0ES3_N6thrust23THRUST_200600_302600_NS6detail15normal_iteratorINSB_10device_ptrIjEEEENSD_INSE_IS6_EEEESI_S6_NSB_4plusIvEENSB_8equal_toIvEES6_EE10hipError_tPvRmT2_T3_T4_T5_mT6_T7_P12ihipStream_tbENKUlT_T0_E_clISt17integral_constantIbLb1EES12_IbLb0EEEEDaSY_SZ_EUlSY_E_NS1_11comp_targetILNS1_3genE5ELNS1_11target_archE942ELNS1_3gpuE9ELNS1_3repE0EEENS1_30default_config_static_selectorELNS0_4arch9wavefront6targetE0EEEvT1_
	.globl	_ZN7rocprim17ROCPRIM_400000_NS6detail17trampoline_kernelINS0_14default_configENS1_27scan_by_key_config_selectorIj11FixedVectorIiLj1EEEEZZNS1_16scan_by_key_implILNS1_25lookback_scan_determinismE0ELb0ES3_N6thrust23THRUST_200600_302600_NS6detail15normal_iteratorINSB_10device_ptrIjEEEENSD_INSE_IS6_EEEESI_S6_NSB_4plusIvEENSB_8equal_toIvEES6_EE10hipError_tPvRmT2_T3_T4_T5_mT6_T7_P12ihipStream_tbENKUlT_T0_E_clISt17integral_constantIbLb1EES12_IbLb0EEEEDaSY_SZ_EUlSY_E_NS1_11comp_targetILNS1_3genE5ELNS1_11target_archE942ELNS1_3gpuE9ELNS1_3repE0EEENS1_30default_config_static_selectorELNS0_4arch9wavefront6targetE0EEEvT1_
	.p2align	8
	.type	_ZN7rocprim17ROCPRIM_400000_NS6detail17trampoline_kernelINS0_14default_configENS1_27scan_by_key_config_selectorIj11FixedVectorIiLj1EEEEZZNS1_16scan_by_key_implILNS1_25lookback_scan_determinismE0ELb0ES3_N6thrust23THRUST_200600_302600_NS6detail15normal_iteratorINSB_10device_ptrIjEEEENSD_INSE_IS6_EEEESI_S6_NSB_4plusIvEENSB_8equal_toIvEES6_EE10hipError_tPvRmT2_T3_T4_T5_mT6_T7_P12ihipStream_tbENKUlT_T0_E_clISt17integral_constantIbLb1EES12_IbLb0EEEEDaSY_SZ_EUlSY_E_NS1_11comp_targetILNS1_3genE5ELNS1_11target_archE942ELNS1_3gpuE9ELNS1_3repE0EEENS1_30default_config_static_selectorELNS0_4arch9wavefront6targetE0EEEvT1_,@function
_ZN7rocprim17ROCPRIM_400000_NS6detail17trampoline_kernelINS0_14default_configENS1_27scan_by_key_config_selectorIj11FixedVectorIiLj1EEEEZZNS1_16scan_by_key_implILNS1_25lookback_scan_determinismE0ELb0ES3_N6thrust23THRUST_200600_302600_NS6detail15normal_iteratorINSB_10device_ptrIjEEEENSD_INSE_IS6_EEEESI_S6_NSB_4plusIvEENSB_8equal_toIvEES6_EE10hipError_tPvRmT2_T3_T4_T5_mT6_T7_P12ihipStream_tbENKUlT_T0_E_clISt17integral_constantIbLb1EES12_IbLb0EEEEDaSY_SZ_EUlSY_E_NS1_11comp_targetILNS1_3genE5ELNS1_11target_archE942ELNS1_3gpuE9ELNS1_3repE0EEENS1_30default_config_static_selectorELNS0_4arch9wavefront6targetE0EEEvT1_: ; @_ZN7rocprim17ROCPRIM_400000_NS6detail17trampoline_kernelINS0_14default_configENS1_27scan_by_key_config_selectorIj11FixedVectorIiLj1EEEEZZNS1_16scan_by_key_implILNS1_25lookback_scan_determinismE0ELb0ES3_N6thrust23THRUST_200600_302600_NS6detail15normal_iteratorINSB_10device_ptrIjEEEENSD_INSE_IS6_EEEESI_S6_NSB_4plusIvEENSB_8equal_toIvEES6_EE10hipError_tPvRmT2_T3_T4_T5_mT6_T7_P12ihipStream_tbENKUlT_T0_E_clISt17integral_constantIbLb1EES12_IbLb0EEEEDaSY_SZ_EUlSY_E_NS1_11comp_targetILNS1_3genE5ELNS1_11target_archE942ELNS1_3gpuE9ELNS1_3repE0EEENS1_30default_config_static_selectorELNS0_4arch9wavefront6targetE0EEEvT1_
; %bb.0:
	.section	.rodata,"a",@progbits
	.p2align	6, 0x0
	.amdhsa_kernel _ZN7rocprim17ROCPRIM_400000_NS6detail17trampoline_kernelINS0_14default_configENS1_27scan_by_key_config_selectorIj11FixedVectorIiLj1EEEEZZNS1_16scan_by_key_implILNS1_25lookback_scan_determinismE0ELb0ES3_N6thrust23THRUST_200600_302600_NS6detail15normal_iteratorINSB_10device_ptrIjEEEENSD_INSE_IS6_EEEESI_S6_NSB_4plusIvEENSB_8equal_toIvEES6_EE10hipError_tPvRmT2_T3_T4_T5_mT6_T7_P12ihipStream_tbENKUlT_T0_E_clISt17integral_constantIbLb1EES12_IbLb0EEEEDaSY_SZ_EUlSY_E_NS1_11comp_targetILNS1_3genE5ELNS1_11target_archE942ELNS1_3gpuE9ELNS1_3repE0EEENS1_30default_config_static_selectorELNS0_4arch9wavefront6targetE0EEEvT1_
		.amdhsa_group_segment_fixed_size 0
		.amdhsa_private_segment_fixed_size 0
		.amdhsa_kernarg_size 112
		.amdhsa_user_sgpr_count 2
		.amdhsa_user_sgpr_dispatch_ptr 0
		.amdhsa_user_sgpr_queue_ptr 0
		.amdhsa_user_sgpr_kernarg_segment_ptr 1
		.amdhsa_user_sgpr_dispatch_id 0
		.amdhsa_user_sgpr_kernarg_preload_length 0
		.amdhsa_user_sgpr_kernarg_preload_offset 0
		.amdhsa_user_sgpr_private_segment_size 0
		.amdhsa_wavefront_size32 1
		.amdhsa_uses_dynamic_stack 0
		.amdhsa_enable_private_segment 0
		.amdhsa_system_sgpr_workgroup_id_x 1
		.amdhsa_system_sgpr_workgroup_id_y 0
		.amdhsa_system_sgpr_workgroup_id_z 0
		.amdhsa_system_sgpr_workgroup_info 0
		.amdhsa_system_vgpr_workitem_id 0
		.amdhsa_next_free_vgpr 1
		.amdhsa_next_free_sgpr 1
		.amdhsa_named_barrier_count 0
		.amdhsa_reserve_vcc 0
		.amdhsa_float_round_mode_32 0
		.amdhsa_float_round_mode_16_64 0
		.amdhsa_float_denorm_mode_32 3
		.amdhsa_float_denorm_mode_16_64 3
		.amdhsa_fp16_overflow 0
		.amdhsa_memory_ordered 1
		.amdhsa_forward_progress 1
		.amdhsa_inst_pref_size 0
		.amdhsa_round_robin_scheduling 0
		.amdhsa_exception_fp_ieee_invalid_op 0
		.amdhsa_exception_fp_denorm_src 0
		.amdhsa_exception_fp_ieee_div_zero 0
		.amdhsa_exception_fp_ieee_overflow 0
		.amdhsa_exception_fp_ieee_underflow 0
		.amdhsa_exception_fp_ieee_inexact 0
		.amdhsa_exception_int_div_zero 0
	.end_amdhsa_kernel
	.section	.text._ZN7rocprim17ROCPRIM_400000_NS6detail17trampoline_kernelINS0_14default_configENS1_27scan_by_key_config_selectorIj11FixedVectorIiLj1EEEEZZNS1_16scan_by_key_implILNS1_25lookback_scan_determinismE0ELb0ES3_N6thrust23THRUST_200600_302600_NS6detail15normal_iteratorINSB_10device_ptrIjEEEENSD_INSE_IS6_EEEESI_S6_NSB_4plusIvEENSB_8equal_toIvEES6_EE10hipError_tPvRmT2_T3_T4_T5_mT6_T7_P12ihipStream_tbENKUlT_T0_E_clISt17integral_constantIbLb1EES12_IbLb0EEEEDaSY_SZ_EUlSY_E_NS1_11comp_targetILNS1_3genE5ELNS1_11target_archE942ELNS1_3gpuE9ELNS1_3repE0EEENS1_30default_config_static_selectorELNS0_4arch9wavefront6targetE0EEEvT1_,"axG",@progbits,_ZN7rocprim17ROCPRIM_400000_NS6detail17trampoline_kernelINS0_14default_configENS1_27scan_by_key_config_selectorIj11FixedVectorIiLj1EEEEZZNS1_16scan_by_key_implILNS1_25lookback_scan_determinismE0ELb0ES3_N6thrust23THRUST_200600_302600_NS6detail15normal_iteratorINSB_10device_ptrIjEEEENSD_INSE_IS6_EEEESI_S6_NSB_4plusIvEENSB_8equal_toIvEES6_EE10hipError_tPvRmT2_T3_T4_T5_mT6_T7_P12ihipStream_tbENKUlT_T0_E_clISt17integral_constantIbLb1EES12_IbLb0EEEEDaSY_SZ_EUlSY_E_NS1_11comp_targetILNS1_3genE5ELNS1_11target_archE942ELNS1_3gpuE9ELNS1_3repE0EEENS1_30default_config_static_selectorELNS0_4arch9wavefront6targetE0EEEvT1_,comdat
.Lfunc_end1893:
	.size	_ZN7rocprim17ROCPRIM_400000_NS6detail17trampoline_kernelINS0_14default_configENS1_27scan_by_key_config_selectorIj11FixedVectorIiLj1EEEEZZNS1_16scan_by_key_implILNS1_25lookback_scan_determinismE0ELb0ES3_N6thrust23THRUST_200600_302600_NS6detail15normal_iteratorINSB_10device_ptrIjEEEENSD_INSE_IS6_EEEESI_S6_NSB_4plusIvEENSB_8equal_toIvEES6_EE10hipError_tPvRmT2_T3_T4_T5_mT6_T7_P12ihipStream_tbENKUlT_T0_E_clISt17integral_constantIbLb1EES12_IbLb0EEEEDaSY_SZ_EUlSY_E_NS1_11comp_targetILNS1_3genE5ELNS1_11target_archE942ELNS1_3gpuE9ELNS1_3repE0EEENS1_30default_config_static_selectorELNS0_4arch9wavefront6targetE0EEEvT1_, .Lfunc_end1893-_ZN7rocprim17ROCPRIM_400000_NS6detail17trampoline_kernelINS0_14default_configENS1_27scan_by_key_config_selectorIj11FixedVectorIiLj1EEEEZZNS1_16scan_by_key_implILNS1_25lookback_scan_determinismE0ELb0ES3_N6thrust23THRUST_200600_302600_NS6detail15normal_iteratorINSB_10device_ptrIjEEEENSD_INSE_IS6_EEEESI_S6_NSB_4plusIvEENSB_8equal_toIvEES6_EE10hipError_tPvRmT2_T3_T4_T5_mT6_T7_P12ihipStream_tbENKUlT_T0_E_clISt17integral_constantIbLb1EES12_IbLb0EEEEDaSY_SZ_EUlSY_E_NS1_11comp_targetILNS1_3genE5ELNS1_11target_archE942ELNS1_3gpuE9ELNS1_3repE0EEENS1_30default_config_static_selectorELNS0_4arch9wavefront6targetE0EEEvT1_
                                        ; -- End function
	.set _ZN7rocprim17ROCPRIM_400000_NS6detail17trampoline_kernelINS0_14default_configENS1_27scan_by_key_config_selectorIj11FixedVectorIiLj1EEEEZZNS1_16scan_by_key_implILNS1_25lookback_scan_determinismE0ELb0ES3_N6thrust23THRUST_200600_302600_NS6detail15normal_iteratorINSB_10device_ptrIjEEEENSD_INSE_IS6_EEEESI_S6_NSB_4plusIvEENSB_8equal_toIvEES6_EE10hipError_tPvRmT2_T3_T4_T5_mT6_T7_P12ihipStream_tbENKUlT_T0_E_clISt17integral_constantIbLb1EES12_IbLb0EEEEDaSY_SZ_EUlSY_E_NS1_11comp_targetILNS1_3genE5ELNS1_11target_archE942ELNS1_3gpuE9ELNS1_3repE0EEENS1_30default_config_static_selectorELNS0_4arch9wavefront6targetE0EEEvT1_.num_vgpr, 0
	.set _ZN7rocprim17ROCPRIM_400000_NS6detail17trampoline_kernelINS0_14default_configENS1_27scan_by_key_config_selectorIj11FixedVectorIiLj1EEEEZZNS1_16scan_by_key_implILNS1_25lookback_scan_determinismE0ELb0ES3_N6thrust23THRUST_200600_302600_NS6detail15normal_iteratorINSB_10device_ptrIjEEEENSD_INSE_IS6_EEEESI_S6_NSB_4plusIvEENSB_8equal_toIvEES6_EE10hipError_tPvRmT2_T3_T4_T5_mT6_T7_P12ihipStream_tbENKUlT_T0_E_clISt17integral_constantIbLb1EES12_IbLb0EEEEDaSY_SZ_EUlSY_E_NS1_11comp_targetILNS1_3genE5ELNS1_11target_archE942ELNS1_3gpuE9ELNS1_3repE0EEENS1_30default_config_static_selectorELNS0_4arch9wavefront6targetE0EEEvT1_.num_agpr, 0
	.set _ZN7rocprim17ROCPRIM_400000_NS6detail17trampoline_kernelINS0_14default_configENS1_27scan_by_key_config_selectorIj11FixedVectorIiLj1EEEEZZNS1_16scan_by_key_implILNS1_25lookback_scan_determinismE0ELb0ES3_N6thrust23THRUST_200600_302600_NS6detail15normal_iteratorINSB_10device_ptrIjEEEENSD_INSE_IS6_EEEESI_S6_NSB_4plusIvEENSB_8equal_toIvEES6_EE10hipError_tPvRmT2_T3_T4_T5_mT6_T7_P12ihipStream_tbENKUlT_T0_E_clISt17integral_constantIbLb1EES12_IbLb0EEEEDaSY_SZ_EUlSY_E_NS1_11comp_targetILNS1_3genE5ELNS1_11target_archE942ELNS1_3gpuE9ELNS1_3repE0EEENS1_30default_config_static_selectorELNS0_4arch9wavefront6targetE0EEEvT1_.numbered_sgpr, 0
	.set _ZN7rocprim17ROCPRIM_400000_NS6detail17trampoline_kernelINS0_14default_configENS1_27scan_by_key_config_selectorIj11FixedVectorIiLj1EEEEZZNS1_16scan_by_key_implILNS1_25lookback_scan_determinismE0ELb0ES3_N6thrust23THRUST_200600_302600_NS6detail15normal_iteratorINSB_10device_ptrIjEEEENSD_INSE_IS6_EEEESI_S6_NSB_4plusIvEENSB_8equal_toIvEES6_EE10hipError_tPvRmT2_T3_T4_T5_mT6_T7_P12ihipStream_tbENKUlT_T0_E_clISt17integral_constantIbLb1EES12_IbLb0EEEEDaSY_SZ_EUlSY_E_NS1_11comp_targetILNS1_3genE5ELNS1_11target_archE942ELNS1_3gpuE9ELNS1_3repE0EEENS1_30default_config_static_selectorELNS0_4arch9wavefront6targetE0EEEvT1_.num_named_barrier, 0
	.set _ZN7rocprim17ROCPRIM_400000_NS6detail17trampoline_kernelINS0_14default_configENS1_27scan_by_key_config_selectorIj11FixedVectorIiLj1EEEEZZNS1_16scan_by_key_implILNS1_25lookback_scan_determinismE0ELb0ES3_N6thrust23THRUST_200600_302600_NS6detail15normal_iteratorINSB_10device_ptrIjEEEENSD_INSE_IS6_EEEESI_S6_NSB_4plusIvEENSB_8equal_toIvEES6_EE10hipError_tPvRmT2_T3_T4_T5_mT6_T7_P12ihipStream_tbENKUlT_T0_E_clISt17integral_constantIbLb1EES12_IbLb0EEEEDaSY_SZ_EUlSY_E_NS1_11comp_targetILNS1_3genE5ELNS1_11target_archE942ELNS1_3gpuE9ELNS1_3repE0EEENS1_30default_config_static_selectorELNS0_4arch9wavefront6targetE0EEEvT1_.private_seg_size, 0
	.set _ZN7rocprim17ROCPRIM_400000_NS6detail17trampoline_kernelINS0_14default_configENS1_27scan_by_key_config_selectorIj11FixedVectorIiLj1EEEEZZNS1_16scan_by_key_implILNS1_25lookback_scan_determinismE0ELb0ES3_N6thrust23THRUST_200600_302600_NS6detail15normal_iteratorINSB_10device_ptrIjEEEENSD_INSE_IS6_EEEESI_S6_NSB_4plusIvEENSB_8equal_toIvEES6_EE10hipError_tPvRmT2_T3_T4_T5_mT6_T7_P12ihipStream_tbENKUlT_T0_E_clISt17integral_constantIbLb1EES12_IbLb0EEEEDaSY_SZ_EUlSY_E_NS1_11comp_targetILNS1_3genE5ELNS1_11target_archE942ELNS1_3gpuE9ELNS1_3repE0EEENS1_30default_config_static_selectorELNS0_4arch9wavefront6targetE0EEEvT1_.uses_vcc, 0
	.set _ZN7rocprim17ROCPRIM_400000_NS6detail17trampoline_kernelINS0_14default_configENS1_27scan_by_key_config_selectorIj11FixedVectorIiLj1EEEEZZNS1_16scan_by_key_implILNS1_25lookback_scan_determinismE0ELb0ES3_N6thrust23THRUST_200600_302600_NS6detail15normal_iteratorINSB_10device_ptrIjEEEENSD_INSE_IS6_EEEESI_S6_NSB_4plusIvEENSB_8equal_toIvEES6_EE10hipError_tPvRmT2_T3_T4_T5_mT6_T7_P12ihipStream_tbENKUlT_T0_E_clISt17integral_constantIbLb1EES12_IbLb0EEEEDaSY_SZ_EUlSY_E_NS1_11comp_targetILNS1_3genE5ELNS1_11target_archE942ELNS1_3gpuE9ELNS1_3repE0EEENS1_30default_config_static_selectorELNS0_4arch9wavefront6targetE0EEEvT1_.uses_flat_scratch, 0
	.set _ZN7rocprim17ROCPRIM_400000_NS6detail17trampoline_kernelINS0_14default_configENS1_27scan_by_key_config_selectorIj11FixedVectorIiLj1EEEEZZNS1_16scan_by_key_implILNS1_25lookback_scan_determinismE0ELb0ES3_N6thrust23THRUST_200600_302600_NS6detail15normal_iteratorINSB_10device_ptrIjEEEENSD_INSE_IS6_EEEESI_S6_NSB_4plusIvEENSB_8equal_toIvEES6_EE10hipError_tPvRmT2_T3_T4_T5_mT6_T7_P12ihipStream_tbENKUlT_T0_E_clISt17integral_constantIbLb1EES12_IbLb0EEEEDaSY_SZ_EUlSY_E_NS1_11comp_targetILNS1_3genE5ELNS1_11target_archE942ELNS1_3gpuE9ELNS1_3repE0EEENS1_30default_config_static_selectorELNS0_4arch9wavefront6targetE0EEEvT1_.has_dyn_sized_stack, 0
	.set _ZN7rocprim17ROCPRIM_400000_NS6detail17trampoline_kernelINS0_14default_configENS1_27scan_by_key_config_selectorIj11FixedVectorIiLj1EEEEZZNS1_16scan_by_key_implILNS1_25lookback_scan_determinismE0ELb0ES3_N6thrust23THRUST_200600_302600_NS6detail15normal_iteratorINSB_10device_ptrIjEEEENSD_INSE_IS6_EEEESI_S6_NSB_4plusIvEENSB_8equal_toIvEES6_EE10hipError_tPvRmT2_T3_T4_T5_mT6_T7_P12ihipStream_tbENKUlT_T0_E_clISt17integral_constantIbLb1EES12_IbLb0EEEEDaSY_SZ_EUlSY_E_NS1_11comp_targetILNS1_3genE5ELNS1_11target_archE942ELNS1_3gpuE9ELNS1_3repE0EEENS1_30default_config_static_selectorELNS0_4arch9wavefront6targetE0EEEvT1_.has_recursion, 0
	.set _ZN7rocprim17ROCPRIM_400000_NS6detail17trampoline_kernelINS0_14default_configENS1_27scan_by_key_config_selectorIj11FixedVectorIiLj1EEEEZZNS1_16scan_by_key_implILNS1_25lookback_scan_determinismE0ELb0ES3_N6thrust23THRUST_200600_302600_NS6detail15normal_iteratorINSB_10device_ptrIjEEEENSD_INSE_IS6_EEEESI_S6_NSB_4plusIvEENSB_8equal_toIvEES6_EE10hipError_tPvRmT2_T3_T4_T5_mT6_T7_P12ihipStream_tbENKUlT_T0_E_clISt17integral_constantIbLb1EES12_IbLb0EEEEDaSY_SZ_EUlSY_E_NS1_11comp_targetILNS1_3genE5ELNS1_11target_archE942ELNS1_3gpuE9ELNS1_3repE0EEENS1_30default_config_static_selectorELNS0_4arch9wavefront6targetE0EEEvT1_.has_indirect_call, 0
	.section	.AMDGPU.csdata,"",@progbits
; Kernel info:
; codeLenInByte = 0
; TotalNumSgprs: 0
; NumVgprs: 0
; ScratchSize: 0
; MemoryBound: 0
; FloatMode: 240
; IeeeMode: 1
; LDSByteSize: 0 bytes/workgroup (compile time only)
; SGPRBlocks: 0
; VGPRBlocks: 0
; NumSGPRsForWavesPerEU: 1
; NumVGPRsForWavesPerEU: 1
; NamedBarCnt: 0
; Occupancy: 16
; WaveLimiterHint : 0
; COMPUTE_PGM_RSRC2:SCRATCH_EN: 0
; COMPUTE_PGM_RSRC2:USER_SGPR: 2
; COMPUTE_PGM_RSRC2:TRAP_HANDLER: 0
; COMPUTE_PGM_RSRC2:TGID_X_EN: 1
; COMPUTE_PGM_RSRC2:TGID_Y_EN: 0
; COMPUTE_PGM_RSRC2:TGID_Z_EN: 0
; COMPUTE_PGM_RSRC2:TIDIG_COMP_CNT: 0
	.section	.text._ZN7rocprim17ROCPRIM_400000_NS6detail17trampoline_kernelINS0_14default_configENS1_27scan_by_key_config_selectorIj11FixedVectorIiLj1EEEEZZNS1_16scan_by_key_implILNS1_25lookback_scan_determinismE0ELb0ES3_N6thrust23THRUST_200600_302600_NS6detail15normal_iteratorINSB_10device_ptrIjEEEENSD_INSE_IS6_EEEESI_S6_NSB_4plusIvEENSB_8equal_toIvEES6_EE10hipError_tPvRmT2_T3_T4_T5_mT6_T7_P12ihipStream_tbENKUlT_T0_E_clISt17integral_constantIbLb1EES12_IbLb0EEEEDaSY_SZ_EUlSY_E_NS1_11comp_targetILNS1_3genE4ELNS1_11target_archE910ELNS1_3gpuE8ELNS1_3repE0EEENS1_30default_config_static_selectorELNS0_4arch9wavefront6targetE0EEEvT1_,"axG",@progbits,_ZN7rocprim17ROCPRIM_400000_NS6detail17trampoline_kernelINS0_14default_configENS1_27scan_by_key_config_selectorIj11FixedVectorIiLj1EEEEZZNS1_16scan_by_key_implILNS1_25lookback_scan_determinismE0ELb0ES3_N6thrust23THRUST_200600_302600_NS6detail15normal_iteratorINSB_10device_ptrIjEEEENSD_INSE_IS6_EEEESI_S6_NSB_4plusIvEENSB_8equal_toIvEES6_EE10hipError_tPvRmT2_T3_T4_T5_mT6_T7_P12ihipStream_tbENKUlT_T0_E_clISt17integral_constantIbLb1EES12_IbLb0EEEEDaSY_SZ_EUlSY_E_NS1_11comp_targetILNS1_3genE4ELNS1_11target_archE910ELNS1_3gpuE8ELNS1_3repE0EEENS1_30default_config_static_selectorELNS0_4arch9wavefront6targetE0EEEvT1_,comdat
	.protected	_ZN7rocprim17ROCPRIM_400000_NS6detail17trampoline_kernelINS0_14default_configENS1_27scan_by_key_config_selectorIj11FixedVectorIiLj1EEEEZZNS1_16scan_by_key_implILNS1_25lookback_scan_determinismE0ELb0ES3_N6thrust23THRUST_200600_302600_NS6detail15normal_iteratorINSB_10device_ptrIjEEEENSD_INSE_IS6_EEEESI_S6_NSB_4plusIvEENSB_8equal_toIvEES6_EE10hipError_tPvRmT2_T3_T4_T5_mT6_T7_P12ihipStream_tbENKUlT_T0_E_clISt17integral_constantIbLb1EES12_IbLb0EEEEDaSY_SZ_EUlSY_E_NS1_11comp_targetILNS1_3genE4ELNS1_11target_archE910ELNS1_3gpuE8ELNS1_3repE0EEENS1_30default_config_static_selectorELNS0_4arch9wavefront6targetE0EEEvT1_ ; -- Begin function _ZN7rocprim17ROCPRIM_400000_NS6detail17trampoline_kernelINS0_14default_configENS1_27scan_by_key_config_selectorIj11FixedVectorIiLj1EEEEZZNS1_16scan_by_key_implILNS1_25lookback_scan_determinismE0ELb0ES3_N6thrust23THRUST_200600_302600_NS6detail15normal_iteratorINSB_10device_ptrIjEEEENSD_INSE_IS6_EEEESI_S6_NSB_4plusIvEENSB_8equal_toIvEES6_EE10hipError_tPvRmT2_T3_T4_T5_mT6_T7_P12ihipStream_tbENKUlT_T0_E_clISt17integral_constantIbLb1EES12_IbLb0EEEEDaSY_SZ_EUlSY_E_NS1_11comp_targetILNS1_3genE4ELNS1_11target_archE910ELNS1_3gpuE8ELNS1_3repE0EEENS1_30default_config_static_selectorELNS0_4arch9wavefront6targetE0EEEvT1_
	.globl	_ZN7rocprim17ROCPRIM_400000_NS6detail17trampoline_kernelINS0_14default_configENS1_27scan_by_key_config_selectorIj11FixedVectorIiLj1EEEEZZNS1_16scan_by_key_implILNS1_25lookback_scan_determinismE0ELb0ES3_N6thrust23THRUST_200600_302600_NS6detail15normal_iteratorINSB_10device_ptrIjEEEENSD_INSE_IS6_EEEESI_S6_NSB_4plusIvEENSB_8equal_toIvEES6_EE10hipError_tPvRmT2_T3_T4_T5_mT6_T7_P12ihipStream_tbENKUlT_T0_E_clISt17integral_constantIbLb1EES12_IbLb0EEEEDaSY_SZ_EUlSY_E_NS1_11comp_targetILNS1_3genE4ELNS1_11target_archE910ELNS1_3gpuE8ELNS1_3repE0EEENS1_30default_config_static_selectorELNS0_4arch9wavefront6targetE0EEEvT1_
	.p2align	8
	.type	_ZN7rocprim17ROCPRIM_400000_NS6detail17trampoline_kernelINS0_14default_configENS1_27scan_by_key_config_selectorIj11FixedVectorIiLj1EEEEZZNS1_16scan_by_key_implILNS1_25lookback_scan_determinismE0ELb0ES3_N6thrust23THRUST_200600_302600_NS6detail15normal_iteratorINSB_10device_ptrIjEEEENSD_INSE_IS6_EEEESI_S6_NSB_4plusIvEENSB_8equal_toIvEES6_EE10hipError_tPvRmT2_T3_T4_T5_mT6_T7_P12ihipStream_tbENKUlT_T0_E_clISt17integral_constantIbLb1EES12_IbLb0EEEEDaSY_SZ_EUlSY_E_NS1_11comp_targetILNS1_3genE4ELNS1_11target_archE910ELNS1_3gpuE8ELNS1_3repE0EEENS1_30default_config_static_selectorELNS0_4arch9wavefront6targetE0EEEvT1_,@function
_ZN7rocprim17ROCPRIM_400000_NS6detail17trampoline_kernelINS0_14default_configENS1_27scan_by_key_config_selectorIj11FixedVectorIiLj1EEEEZZNS1_16scan_by_key_implILNS1_25lookback_scan_determinismE0ELb0ES3_N6thrust23THRUST_200600_302600_NS6detail15normal_iteratorINSB_10device_ptrIjEEEENSD_INSE_IS6_EEEESI_S6_NSB_4plusIvEENSB_8equal_toIvEES6_EE10hipError_tPvRmT2_T3_T4_T5_mT6_T7_P12ihipStream_tbENKUlT_T0_E_clISt17integral_constantIbLb1EES12_IbLb0EEEEDaSY_SZ_EUlSY_E_NS1_11comp_targetILNS1_3genE4ELNS1_11target_archE910ELNS1_3gpuE8ELNS1_3repE0EEENS1_30default_config_static_selectorELNS0_4arch9wavefront6targetE0EEEvT1_: ; @_ZN7rocprim17ROCPRIM_400000_NS6detail17trampoline_kernelINS0_14default_configENS1_27scan_by_key_config_selectorIj11FixedVectorIiLj1EEEEZZNS1_16scan_by_key_implILNS1_25lookback_scan_determinismE0ELb0ES3_N6thrust23THRUST_200600_302600_NS6detail15normal_iteratorINSB_10device_ptrIjEEEENSD_INSE_IS6_EEEESI_S6_NSB_4plusIvEENSB_8equal_toIvEES6_EE10hipError_tPvRmT2_T3_T4_T5_mT6_T7_P12ihipStream_tbENKUlT_T0_E_clISt17integral_constantIbLb1EES12_IbLb0EEEEDaSY_SZ_EUlSY_E_NS1_11comp_targetILNS1_3genE4ELNS1_11target_archE910ELNS1_3gpuE8ELNS1_3repE0EEENS1_30default_config_static_selectorELNS0_4arch9wavefront6targetE0EEEvT1_
; %bb.0:
	.section	.rodata,"a",@progbits
	.p2align	6, 0x0
	.amdhsa_kernel _ZN7rocprim17ROCPRIM_400000_NS6detail17trampoline_kernelINS0_14default_configENS1_27scan_by_key_config_selectorIj11FixedVectorIiLj1EEEEZZNS1_16scan_by_key_implILNS1_25lookback_scan_determinismE0ELb0ES3_N6thrust23THRUST_200600_302600_NS6detail15normal_iteratorINSB_10device_ptrIjEEEENSD_INSE_IS6_EEEESI_S6_NSB_4plusIvEENSB_8equal_toIvEES6_EE10hipError_tPvRmT2_T3_T4_T5_mT6_T7_P12ihipStream_tbENKUlT_T0_E_clISt17integral_constantIbLb1EES12_IbLb0EEEEDaSY_SZ_EUlSY_E_NS1_11comp_targetILNS1_3genE4ELNS1_11target_archE910ELNS1_3gpuE8ELNS1_3repE0EEENS1_30default_config_static_selectorELNS0_4arch9wavefront6targetE0EEEvT1_
		.amdhsa_group_segment_fixed_size 0
		.amdhsa_private_segment_fixed_size 0
		.amdhsa_kernarg_size 112
		.amdhsa_user_sgpr_count 2
		.amdhsa_user_sgpr_dispatch_ptr 0
		.amdhsa_user_sgpr_queue_ptr 0
		.amdhsa_user_sgpr_kernarg_segment_ptr 1
		.amdhsa_user_sgpr_dispatch_id 0
		.amdhsa_user_sgpr_kernarg_preload_length 0
		.amdhsa_user_sgpr_kernarg_preload_offset 0
		.amdhsa_user_sgpr_private_segment_size 0
		.amdhsa_wavefront_size32 1
		.amdhsa_uses_dynamic_stack 0
		.amdhsa_enable_private_segment 0
		.amdhsa_system_sgpr_workgroup_id_x 1
		.amdhsa_system_sgpr_workgroup_id_y 0
		.amdhsa_system_sgpr_workgroup_id_z 0
		.amdhsa_system_sgpr_workgroup_info 0
		.amdhsa_system_vgpr_workitem_id 0
		.amdhsa_next_free_vgpr 1
		.amdhsa_next_free_sgpr 1
		.amdhsa_named_barrier_count 0
		.amdhsa_reserve_vcc 0
		.amdhsa_float_round_mode_32 0
		.amdhsa_float_round_mode_16_64 0
		.amdhsa_float_denorm_mode_32 3
		.amdhsa_float_denorm_mode_16_64 3
		.amdhsa_fp16_overflow 0
		.amdhsa_memory_ordered 1
		.amdhsa_forward_progress 1
		.amdhsa_inst_pref_size 0
		.amdhsa_round_robin_scheduling 0
		.amdhsa_exception_fp_ieee_invalid_op 0
		.amdhsa_exception_fp_denorm_src 0
		.amdhsa_exception_fp_ieee_div_zero 0
		.amdhsa_exception_fp_ieee_overflow 0
		.amdhsa_exception_fp_ieee_underflow 0
		.amdhsa_exception_fp_ieee_inexact 0
		.amdhsa_exception_int_div_zero 0
	.end_amdhsa_kernel
	.section	.text._ZN7rocprim17ROCPRIM_400000_NS6detail17trampoline_kernelINS0_14default_configENS1_27scan_by_key_config_selectorIj11FixedVectorIiLj1EEEEZZNS1_16scan_by_key_implILNS1_25lookback_scan_determinismE0ELb0ES3_N6thrust23THRUST_200600_302600_NS6detail15normal_iteratorINSB_10device_ptrIjEEEENSD_INSE_IS6_EEEESI_S6_NSB_4plusIvEENSB_8equal_toIvEES6_EE10hipError_tPvRmT2_T3_T4_T5_mT6_T7_P12ihipStream_tbENKUlT_T0_E_clISt17integral_constantIbLb1EES12_IbLb0EEEEDaSY_SZ_EUlSY_E_NS1_11comp_targetILNS1_3genE4ELNS1_11target_archE910ELNS1_3gpuE8ELNS1_3repE0EEENS1_30default_config_static_selectorELNS0_4arch9wavefront6targetE0EEEvT1_,"axG",@progbits,_ZN7rocprim17ROCPRIM_400000_NS6detail17trampoline_kernelINS0_14default_configENS1_27scan_by_key_config_selectorIj11FixedVectorIiLj1EEEEZZNS1_16scan_by_key_implILNS1_25lookback_scan_determinismE0ELb0ES3_N6thrust23THRUST_200600_302600_NS6detail15normal_iteratorINSB_10device_ptrIjEEEENSD_INSE_IS6_EEEESI_S6_NSB_4plusIvEENSB_8equal_toIvEES6_EE10hipError_tPvRmT2_T3_T4_T5_mT6_T7_P12ihipStream_tbENKUlT_T0_E_clISt17integral_constantIbLb1EES12_IbLb0EEEEDaSY_SZ_EUlSY_E_NS1_11comp_targetILNS1_3genE4ELNS1_11target_archE910ELNS1_3gpuE8ELNS1_3repE0EEENS1_30default_config_static_selectorELNS0_4arch9wavefront6targetE0EEEvT1_,comdat
.Lfunc_end1894:
	.size	_ZN7rocprim17ROCPRIM_400000_NS6detail17trampoline_kernelINS0_14default_configENS1_27scan_by_key_config_selectorIj11FixedVectorIiLj1EEEEZZNS1_16scan_by_key_implILNS1_25lookback_scan_determinismE0ELb0ES3_N6thrust23THRUST_200600_302600_NS6detail15normal_iteratorINSB_10device_ptrIjEEEENSD_INSE_IS6_EEEESI_S6_NSB_4plusIvEENSB_8equal_toIvEES6_EE10hipError_tPvRmT2_T3_T4_T5_mT6_T7_P12ihipStream_tbENKUlT_T0_E_clISt17integral_constantIbLb1EES12_IbLb0EEEEDaSY_SZ_EUlSY_E_NS1_11comp_targetILNS1_3genE4ELNS1_11target_archE910ELNS1_3gpuE8ELNS1_3repE0EEENS1_30default_config_static_selectorELNS0_4arch9wavefront6targetE0EEEvT1_, .Lfunc_end1894-_ZN7rocprim17ROCPRIM_400000_NS6detail17trampoline_kernelINS0_14default_configENS1_27scan_by_key_config_selectorIj11FixedVectorIiLj1EEEEZZNS1_16scan_by_key_implILNS1_25lookback_scan_determinismE0ELb0ES3_N6thrust23THRUST_200600_302600_NS6detail15normal_iteratorINSB_10device_ptrIjEEEENSD_INSE_IS6_EEEESI_S6_NSB_4plusIvEENSB_8equal_toIvEES6_EE10hipError_tPvRmT2_T3_T4_T5_mT6_T7_P12ihipStream_tbENKUlT_T0_E_clISt17integral_constantIbLb1EES12_IbLb0EEEEDaSY_SZ_EUlSY_E_NS1_11comp_targetILNS1_3genE4ELNS1_11target_archE910ELNS1_3gpuE8ELNS1_3repE0EEENS1_30default_config_static_selectorELNS0_4arch9wavefront6targetE0EEEvT1_
                                        ; -- End function
	.set _ZN7rocprim17ROCPRIM_400000_NS6detail17trampoline_kernelINS0_14default_configENS1_27scan_by_key_config_selectorIj11FixedVectorIiLj1EEEEZZNS1_16scan_by_key_implILNS1_25lookback_scan_determinismE0ELb0ES3_N6thrust23THRUST_200600_302600_NS6detail15normal_iteratorINSB_10device_ptrIjEEEENSD_INSE_IS6_EEEESI_S6_NSB_4plusIvEENSB_8equal_toIvEES6_EE10hipError_tPvRmT2_T3_T4_T5_mT6_T7_P12ihipStream_tbENKUlT_T0_E_clISt17integral_constantIbLb1EES12_IbLb0EEEEDaSY_SZ_EUlSY_E_NS1_11comp_targetILNS1_3genE4ELNS1_11target_archE910ELNS1_3gpuE8ELNS1_3repE0EEENS1_30default_config_static_selectorELNS0_4arch9wavefront6targetE0EEEvT1_.num_vgpr, 0
	.set _ZN7rocprim17ROCPRIM_400000_NS6detail17trampoline_kernelINS0_14default_configENS1_27scan_by_key_config_selectorIj11FixedVectorIiLj1EEEEZZNS1_16scan_by_key_implILNS1_25lookback_scan_determinismE0ELb0ES3_N6thrust23THRUST_200600_302600_NS6detail15normal_iteratorINSB_10device_ptrIjEEEENSD_INSE_IS6_EEEESI_S6_NSB_4plusIvEENSB_8equal_toIvEES6_EE10hipError_tPvRmT2_T3_T4_T5_mT6_T7_P12ihipStream_tbENKUlT_T0_E_clISt17integral_constantIbLb1EES12_IbLb0EEEEDaSY_SZ_EUlSY_E_NS1_11comp_targetILNS1_3genE4ELNS1_11target_archE910ELNS1_3gpuE8ELNS1_3repE0EEENS1_30default_config_static_selectorELNS0_4arch9wavefront6targetE0EEEvT1_.num_agpr, 0
	.set _ZN7rocprim17ROCPRIM_400000_NS6detail17trampoline_kernelINS0_14default_configENS1_27scan_by_key_config_selectorIj11FixedVectorIiLj1EEEEZZNS1_16scan_by_key_implILNS1_25lookback_scan_determinismE0ELb0ES3_N6thrust23THRUST_200600_302600_NS6detail15normal_iteratorINSB_10device_ptrIjEEEENSD_INSE_IS6_EEEESI_S6_NSB_4plusIvEENSB_8equal_toIvEES6_EE10hipError_tPvRmT2_T3_T4_T5_mT6_T7_P12ihipStream_tbENKUlT_T0_E_clISt17integral_constantIbLb1EES12_IbLb0EEEEDaSY_SZ_EUlSY_E_NS1_11comp_targetILNS1_3genE4ELNS1_11target_archE910ELNS1_3gpuE8ELNS1_3repE0EEENS1_30default_config_static_selectorELNS0_4arch9wavefront6targetE0EEEvT1_.numbered_sgpr, 0
	.set _ZN7rocprim17ROCPRIM_400000_NS6detail17trampoline_kernelINS0_14default_configENS1_27scan_by_key_config_selectorIj11FixedVectorIiLj1EEEEZZNS1_16scan_by_key_implILNS1_25lookback_scan_determinismE0ELb0ES3_N6thrust23THRUST_200600_302600_NS6detail15normal_iteratorINSB_10device_ptrIjEEEENSD_INSE_IS6_EEEESI_S6_NSB_4plusIvEENSB_8equal_toIvEES6_EE10hipError_tPvRmT2_T3_T4_T5_mT6_T7_P12ihipStream_tbENKUlT_T0_E_clISt17integral_constantIbLb1EES12_IbLb0EEEEDaSY_SZ_EUlSY_E_NS1_11comp_targetILNS1_3genE4ELNS1_11target_archE910ELNS1_3gpuE8ELNS1_3repE0EEENS1_30default_config_static_selectorELNS0_4arch9wavefront6targetE0EEEvT1_.num_named_barrier, 0
	.set _ZN7rocprim17ROCPRIM_400000_NS6detail17trampoline_kernelINS0_14default_configENS1_27scan_by_key_config_selectorIj11FixedVectorIiLj1EEEEZZNS1_16scan_by_key_implILNS1_25lookback_scan_determinismE0ELb0ES3_N6thrust23THRUST_200600_302600_NS6detail15normal_iteratorINSB_10device_ptrIjEEEENSD_INSE_IS6_EEEESI_S6_NSB_4plusIvEENSB_8equal_toIvEES6_EE10hipError_tPvRmT2_T3_T4_T5_mT6_T7_P12ihipStream_tbENKUlT_T0_E_clISt17integral_constantIbLb1EES12_IbLb0EEEEDaSY_SZ_EUlSY_E_NS1_11comp_targetILNS1_3genE4ELNS1_11target_archE910ELNS1_3gpuE8ELNS1_3repE0EEENS1_30default_config_static_selectorELNS0_4arch9wavefront6targetE0EEEvT1_.private_seg_size, 0
	.set _ZN7rocprim17ROCPRIM_400000_NS6detail17trampoline_kernelINS0_14default_configENS1_27scan_by_key_config_selectorIj11FixedVectorIiLj1EEEEZZNS1_16scan_by_key_implILNS1_25lookback_scan_determinismE0ELb0ES3_N6thrust23THRUST_200600_302600_NS6detail15normal_iteratorINSB_10device_ptrIjEEEENSD_INSE_IS6_EEEESI_S6_NSB_4plusIvEENSB_8equal_toIvEES6_EE10hipError_tPvRmT2_T3_T4_T5_mT6_T7_P12ihipStream_tbENKUlT_T0_E_clISt17integral_constantIbLb1EES12_IbLb0EEEEDaSY_SZ_EUlSY_E_NS1_11comp_targetILNS1_3genE4ELNS1_11target_archE910ELNS1_3gpuE8ELNS1_3repE0EEENS1_30default_config_static_selectorELNS0_4arch9wavefront6targetE0EEEvT1_.uses_vcc, 0
	.set _ZN7rocprim17ROCPRIM_400000_NS6detail17trampoline_kernelINS0_14default_configENS1_27scan_by_key_config_selectorIj11FixedVectorIiLj1EEEEZZNS1_16scan_by_key_implILNS1_25lookback_scan_determinismE0ELb0ES3_N6thrust23THRUST_200600_302600_NS6detail15normal_iteratorINSB_10device_ptrIjEEEENSD_INSE_IS6_EEEESI_S6_NSB_4plusIvEENSB_8equal_toIvEES6_EE10hipError_tPvRmT2_T3_T4_T5_mT6_T7_P12ihipStream_tbENKUlT_T0_E_clISt17integral_constantIbLb1EES12_IbLb0EEEEDaSY_SZ_EUlSY_E_NS1_11comp_targetILNS1_3genE4ELNS1_11target_archE910ELNS1_3gpuE8ELNS1_3repE0EEENS1_30default_config_static_selectorELNS0_4arch9wavefront6targetE0EEEvT1_.uses_flat_scratch, 0
	.set _ZN7rocprim17ROCPRIM_400000_NS6detail17trampoline_kernelINS0_14default_configENS1_27scan_by_key_config_selectorIj11FixedVectorIiLj1EEEEZZNS1_16scan_by_key_implILNS1_25lookback_scan_determinismE0ELb0ES3_N6thrust23THRUST_200600_302600_NS6detail15normal_iteratorINSB_10device_ptrIjEEEENSD_INSE_IS6_EEEESI_S6_NSB_4plusIvEENSB_8equal_toIvEES6_EE10hipError_tPvRmT2_T3_T4_T5_mT6_T7_P12ihipStream_tbENKUlT_T0_E_clISt17integral_constantIbLb1EES12_IbLb0EEEEDaSY_SZ_EUlSY_E_NS1_11comp_targetILNS1_3genE4ELNS1_11target_archE910ELNS1_3gpuE8ELNS1_3repE0EEENS1_30default_config_static_selectorELNS0_4arch9wavefront6targetE0EEEvT1_.has_dyn_sized_stack, 0
	.set _ZN7rocprim17ROCPRIM_400000_NS6detail17trampoline_kernelINS0_14default_configENS1_27scan_by_key_config_selectorIj11FixedVectorIiLj1EEEEZZNS1_16scan_by_key_implILNS1_25lookback_scan_determinismE0ELb0ES3_N6thrust23THRUST_200600_302600_NS6detail15normal_iteratorINSB_10device_ptrIjEEEENSD_INSE_IS6_EEEESI_S6_NSB_4plusIvEENSB_8equal_toIvEES6_EE10hipError_tPvRmT2_T3_T4_T5_mT6_T7_P12ihipStream_tbENKUlT_T0_E_clISt17integral_constantIbLb1EES12_IbLb0EEEEDaSY_SZ_EUlSY_E_NS1_11comp_targetILNS1_3genE4ELNS1_11target_archE910ELNS1_3gpuE8ELNS1_3repE0EEENS1_30default_config_static_selectorELNS0_4arch9wavefront6targetE0EEEvT1_.has_recursion, 0
	.set _ZN7rocprim17ROCPRIM_400000_NS6detail17trampoline_kernelINS0_14default_configENS1_27scan_by_key_config_selectorIj11FixedVectorIiLj1EEEEZZNS1_16scan_by_key_implILNS1_25lookback_scan_determinismE0ELb0ES3_N6thrust23THRUST_200600_302600_NS6detail15normal_iteratorINSB_10device_ptrIjEEEENSD_INSE_IS6_EEEESI_S6_NSB_4plusIvEENSB_8equal_toIvEES6_EE10hipError_tPvRmT2_T3_T4_T5_mT6_T7_P12ihipStream_tbENKUlT_T0_E_clISt17integral_constantIbLb1EES12_IbLb0EEEEDaSY_SZ_EUlSY_E_NS1_11comp_targetILNS1_3genE4ELNS1_11target_archE910ELNS1_3gpuE8ELNS1_3repE0EEENS1_30default_config_static_selectorELNS0_4arch9wavefront6targetE0EEEvT1_.has_indirect_call, 0
	.section	.AMDGPU.csdata,"",@progbits
; Kernel info:
; codeLenInByte = 0
; TotalNumSgprs: 0
; NumVgprs: 0
; ScratchSize: 0
; MemoryBound: 0
; FloatMode: 240
; IeeeMode: 1
; LDSByteSize: 0 bytes/workgroup (compile time only)
; SGPRBlocks: 0
; VGPRBlocks: 0
; NumSGPRsForWavesPerEU: 1
; NumVGPRsForWavesPerEU: 1
; NamedBarCnt: 0
; Occupancy: 16
; WaveLimiterHint : 0
; COMPUTE_PGM_RSRC2:SCRATCH_EN: 0
; COMPUTE_PGM_RSRC2:USER_SGPR: 2
; COMPUTE_PGM_RSRC2:TRAP_HANDLER: 0
; COMPUTE_PGM_RSRC2:TGID_X_EN: 1
; COMPUTE_PGM_RSRC2:TGID_Y_EN: 0
; COMPUTE_PGM_RSRC2:TGID_Z_EN: 0
; COMPUTE_PGM_RSRC2:TIDIG_COMP_CNT: 0
	.section	.text._ZN7rocprim17ROCPRIM_400000_NS6detail17trampoline_kernelINS0_14default_configENS1_27scan_by_key_config_selectorIj11FixedVectorIiLj1EEEEZZNS1_16scan_by_key_implILNS1_25lookback_scan_determinismE0ELb0ES3_N6thrust23THRUST_200600_302600_NS6detail15normal_iteratorINSB_10device_ptrIjEEEENSD_INSE_IS6_EEEESI_S6_NSB_4plusIvEENSB_8equal_toIvEES6_EE10hipError_tPvRmT2_T3_T4_T5_mT6_T7_P12ihipStream_tbENKUlT_T0_E_clISt17integral_constantIbLb1EES12_IbLb0EEEEDaSY_SZ_EUlSY_E_NS1_11comp_targetILNS1_3genE3ELNS1_11target_archE908ELNS1_3gpuE7ELNS1_3repE0EEENS1_30default_config_static_selectorELNS0_4arch9wavefront6targetE0EEEvT1_,"axG",@progbits,_ZN7rocprim17ROCPRIM_400000_NS6detail17trampoline_kernelINS0_14default_configENS1_27scan_by_key_config_selectorIj11FixedVectorIiLj1EEEEZZNS1_16scan_by_key_implILNS1_25lookback_scan_determinismE0ELb0ES3_N6thrust23THRUST_200600_302600_NS6detail15normal_iteratorINSB_10device_ptrIjEEEENSD_INSE_IS6_EEEESI_S6_NSB_4plusIvEENSB_8equal_toIvEES6_EE10hipError_tPvRmT2_T3_T4_T5_mT6_T7_P12ihipStream_tbENKUlT_T0_E_clISt17integral_constantIbLb1EES12_IbLb0EEEEDaSY_SZ_EUlSY_E_NS1_11comp_targetILNS1_3genE3ELNS1_11target_archE908ELNS1_3gpuE7ELNS1_3repE0EEENS1_30default_config_static_selectorELNS0_4arch9wavefront6targetE0EEEvT1_,comdat
	.protected	_ZN7rocprim17ROCPRIM_400000_NS6detail17trampoline_kernelINS0_14default_configENS1_27scan_by_key_config_selectorIj11FixedVectorIiLj1EEEEZZNS1_16scan_by_key_implILNS1_25lookback_scan_determinismE0ELb0ES3_N6thrust23THRUST_200600_302600_NS6detail15normal_iteratorINSB_10device_ptrIjEEEENSD_INSE_IS6_EEEESI_S6_NSB_4plusIvEENSB_8equal_toIvEES6_EE10hipError_tPvRmT2_T3_T4_T5_mT6_T7_P12ihipStream_tbENKUlT_T0_E_clISt17integral_constantIbLb1EES12_IbLb0EEEEDaSY_SZ_EUlSY_E_NS1_11comp_targetILNS1_3genE3ELNS1_11target_archE908ELNS1_3gpuE7ELNS1_3repE0EEENS1_30default_config_static_selectorELNS0_4arch9wavefront6targetE0EEEvT1_ ; -- Begin function _ZN7rocprim17ROCPRIM_400000_NS6detail17trampoline_kernelINS0_14default_configENS1_27scan_by_key_config_selectorIj11FixedVectorIiLj1EEEEZZNS1_16scan_by_key_implILNS1_25lookback_scan_determinismE0ELb0ES3_N6thrust23THRUST_200600_302600_NS6detail15normal_iteratorINSB_10device_ptrIjEEEENSD_INSE_IS6_EEEESI_S6_NSB_4plusIvEENSB_8equal_toIvEES6_EE10hipError_tPvRmT2_T3_T4_T5_mT6_T7_P12ihipStream_tbENKUlT_T0_E_clISt17integral_constantIbLb1EES12_IbLb0EEEEDaSY_SZ_EUlSY_E_NS1_11comp_targetILNS1_3genE3ELNS1_11target_archE908ELNS1_3gpuE7ELNS1_3repE0EEENS1_30default_config_static_selectorELNS0_4arch9wavefront6targetE0EEEvT1_
	.globl	_ZN7rocprim17ROCPRIM_400000_NS6detail17trampoline_kernelINS0_14default_configENS1_27scan_by_key_config_selectorIj11FixedVectorIiLj1EEEEZZNS1_16scan_by_key_implILNS1_25lookback_scan_determinismE0ELb0ES3_N6thrust23THRUST_200600_302600_NS6detail15normal_iteratorINSB_10device_ptrIjEEEENSD_INSE_IS6_EEEESI_S6_NSB_4plusIvEENSB_8equal_toIvEES6_EE10hipError_tPvRmT2_T3_T4_T5_mT6_T7_P12ihipStream_tbENKUlT_T0_E_clISt17integral_constantIbLb1EES12_IbLb0EEEEDaSY_SZ_EUlSY_E_NS1_11comp_targetILNS1_3genE3ELNS1_11target_archE908ELNS1_3gpuE7ELNS1_3repE0EEENS1_30default_config_static_selectorELNS0_4arch9wavefront6targetE0EEEvT1_
	.p2align	8
	.type	_ZN7rocprim17ROCPRIM_400000_NS6detail17trampoline_kernelINS0_14default_configENS1_27scan_by_key_config_selectorIj11FixedVectorIiLj1EEEEZZNS1_16scan_by_key_implILNS1_25lookback_scan_determinismE0ELb0ES3_N6thrust23THRUST_200600_302600_NS6detail15normal_iteratorINSB_10device_ptrIjEEEENSD_INSE_IS6_EEEESI_S6_NSB_4plusIvEENSB_8equal_toIvEES6_EE10hipError_tPvRmT2_T3_T4_T5_mT6_T7_P12ihipStream_tbENKUlT_T0_E_clISt17integral_constantIbLb1EES12_IbLb0EEEEDaSY_SZ_EUlSY_E_NS1_11comp_targetILNS1_3genE3ELNS1_11target_archE908ELNS1_3gpuE7ELNS1_3repE0EEENS1_30default_config_static_selectorELNS0_4arch9wavefront6targetE0EEEvT1_,@function
_ZN7rocprim17ROCPRIM_400000_NS6detail17trampoline_kernelINS0_14default_configENS1_27scan_by_key_config_selectorIj11FixedVectorIiLj1EEEEZZNS1_16scan_by_key_implILNS1_25lookback_scan_determinismE0ELb0ES3_N6thrust23THRUST_200600_302600_NS6detail15normal_iteratorINSB_10device_ptrIjEEEENSD_INSE_IS6_EEEESI_S6_NSB_4plusIvEENSB_8equal_toIvEES6_EE10hipError_tPvRmT2_T3_T4_T5_mT6_T7_P12ihipStream_tbENKUlT_T0_E_clISt17integral_constantIbLb1EES12_IbLb0EEEEDaSY_SZ_EUlSY_E_NS1_11comp_targetILNS1_3genE3ELNS1_11target_archE908ELNS1_3gpuE7ELNS1_3repE0EEENS1_30default_config_static_selectorELNS0_4arch9wavefront6targetE0EEEvT1_: ; @_ZN7rocprim17ROCPRIM_400000_NS6detail17trampoline_kernelINS0_14default_configENS1_27scan_by_key_config_selectorIj11FixedVectorIiLj1EEEEZZNS1_16scan_by_key_implILNS1_25lookback_scan_determinismE0ELb0ES3_N6thrust23THRUST_200600_302600_NS6detail15normal_iteratorINSB_10device_ptrIjEEEENSD_INSE_IS6_EEEESI_S6_NSB_4plusIvEENSB_8equal_toIvEES6_EE10hipError_tPvRmT2_T3_T4_T5_mT6_T7_P12ihipStream_tbENKUlT_T0_E_clISt17integral_constantIbLb1EES12_IbLb0EEEEDaSY_SZ_EUlSY_E_NS1_11comp_targetILNS1_3genE3ELNS1_11target_archE908ELNS1_3gpuE7ELNS1_3repE0EEENS1_30default_config_static_selectorELNS0_4arch9wavefront6targetE0EEEvT1_
; %bb.0:
	.section	.rodata,"a",@progbits
	.p2align	6, 0x0
	.amdhsa_kernel _ZN7rocprim17ROCPRIM_400000_NS6detail17trampoline_kernelINS0_14default_configENS1_27scan_by_key_config_selectorIj11FixedVectorIiLj1EEEEZZNS1_16scan_by_key_implILNS1_25lookback_scan_determinismE0ELb0ES3_N6thrust23THRUST_200600_302600_NS6detail15normal_iteratorINSB_10device_ptrIjEEEENSD_INSE_IS6_EEEESI_S6_NSB_4plusIvEENSB_8equal_toIvEES6_EE10hipError_tPvRmT2_T3_T4_T5_mT6_T7_P12ihipStream_tbENKUlT_T0_E_clISt17integral_constantIbLb1EES12_IbLb0EEEEDaSY_SZ_EUlSY_E_NS1_11comp_targetILNS1_3genE3ELNS1_11target_archE908ELNS1_3gpuE7ELNS1_3repE0EEENS1_30default_config_static_selectorELNS0_4arch9wavefront6targetE0EEEvT1_
		.amdhsa_group_segment_fixed_size 0
		.amdhsa_private_segment_fixed_size 0
		.amdhsa_kernarg_size 112
		.amdhsa_user_sgpr_count 2
		.amdhsa_user_sgpr_dispatch_ptr 0
		.amdhsa_user_sgpr_queue_ptr 0
		.amdhsa_user_sgpr_kernarg_segment_ptr 1
		.amdhsa_user_sgpr_dispatch_id 0
		.amdhsa_user_sgpr_kernarg_preload_length 0
		.amdhsa_user_sgpr_kernarg_preload_offset 0
		.amdhsa_user_sgpr_private_segment_size 0
		.amdhsa_wavefront_size32 1
		.amdhsa_uses_dynamic_stack 0
		.amdhsa_enable_private_segment 0
		.amdhsa_system_sgpr_workgroup_id_x 1
		.amdhsa_system_sgpr_workgroup_id_y 0
		.amdhsa_system_sgpr_workgroup_id_z 0
		.amdhsa_system_sgpr_workgroup_info 0
		.amdhsa_system_vgpr_workitem_id 0
		.amdhsa_next_free_vgpr 1
		.amdhsa_next_free_sgpr 1
		.amdhsa_named_barrier_count 0
		.amdhsa_reserve_vcc 0
		.amdhsa_float_round_mode_32 0
		.amdhsa_float_round_mode_16_64 0
		.amdhsa_float_denorm_mode_32 3
		.amdhsa_float_denorm_mode_16_64 3
		.amdhsa_fp16_overflow 0
		.amdhsa_memory_ordered 1
		.amdhsa_forward_progress 1
		.amdhsa_inst_pref_size 0
		.amdhsa_round_robin_scheduling 0
		.amdhsa_exception_fp_ieee_invalid_op 0
		.amdhsa_exception_fp_denorm_src 0
		.amdhsa_exception_fp_ieee_div_zero 0
		.amdhsa_exception_fp_ieee_overflow 0
		.amdhsa_exception_fp_ieee_underflow 0
		.amdhsa_exception_fp_ieee_inexact 0
		.amdhsa_exception_int_div_zero 0
	.end_amdhsa_kernel
	.section	.text._ZN7rocprim17ROCPRIM_400000_NS6detail17trampoline_kernelINS0_14default_configENS1_27scan_by_key_config_selectorIj11FixedVectorIiLj1EEEEZZNS1_16scan_by_key_implILNS1_25lookback_scan_determinismE0ELb0ES3_N6thrust23THRUST_200600_302600_NS6detail15normal_iteratorINSB_10device_ptrIjEEEENSD_INSE_IS6_EEEESI_S6_NSB_4plusIvEENSB_8equal_toIvEES6_EE10hipError_tPvRmT2_T3_T4_T5_mT6_T7_P12ihipStream_tbENKUlT_T0_E_clISt17integral_constantIbLb1EES12_IbLb0EEEEDaSY_SZ_EUlSY_E_NS1_11comp_targetILNS1_3genE3ELNS1_11target_archE908ELNS1_3gpuE7ELNS1_3repE0EEENS1_30default_config_static_selectorELNS0_4arch9wavefront6targetE0EEEvT1_,"axG",@progbits,_ZN7rocprim17ROCPRIM_400000_NS6detail17trampoline_kernelINS0_14default_configENS1_27scan_by_key_config_selectorIj11FixedVectorIiLj1EEEEZZNS1_16scan_by_key_implILNS1_25lookback_scan_determinismE0ELb0ES3_N6thrust23THRUST_200600_302600_NS6detail15normal_iteratorINSB_10device_ptrIjEEEENSD_INSE_IS6_EEEESI_S6_NSB_4plusIvEENSB_8equal_toIvEES6_EE10hipError_tPvRmT2_T3_T4_T5_mT6_T7_P12ihipStream_tbENKUlT_T0_E_clISt17integral_constantIbLb1EES12_IbLb0EEEEDaSY_SZ_EUlSY_E_NS1_11comp_targetILNS1_3genE3ELNS1_11target_archE908ELNS1_3gpuE7ELNS1_3repE0EEENS1_30default_config_static_selectorELNS0_4arch9wavefront6targetE0EEEvT1_,comdat
.Lfunc_end1895:
	.size	_ZN7rocprim17ROCPRIM_400000_NS6detail17trampoline_kernelINS0_14default_configENS1_27scan_by_key_config_selectorIj11FixedVectorIiLj1EEEEZZNS1_16scan_by_key_implILNS1_25lookback_scan_determinismE0ELb0ES3_N6thrust23THRUST_200600_302600_NS6detail15normal_iteratorINSB_10device_ptrIjEEEENSD_INSE_IS6_EEEESI_S6_NSB_4plusIvEENSB_8equal_toIvEES6_EE10hipError_tPvRmT2_T3_T4_T5_mT6_T7_P12ihipStream_tbENKUlT_T0_E_clISt17integral_constantIbLb1EES12_IbLb0EEEEDaSY_SZ_EUlSY_E_NS1_11comp_targetILNS1_3genE3ELNS1_11target_archE908ELNS1_3gpuE7ELNS1_3repE0EEENS1_30default_config_static_selectorELNS0_4arch9wavefront6targetE0EEEvT1_, .Lfunc_end1895-_ZN7rocprim17ROCPRIM_400000_NS6detail17trampoline_kernelINS0_14default_configENS1_27scan_by_key_config_selectorIj11FixedVectorIiLj1EEEEZZNS1_16scan_by_key_implILNS1_25lookback_scan_determinismE0ELb0ES3_N6thrust23THRUST_200600_302600_NS6detail15normal_iteratorINSB_10device_ptrIjEEEENSD_INSE_IS6_EEEESI_S6_NSB_4plusIvEENSB_8equal_toIvEES6_EE10hipError_tPvRmT2_T3_T4_T5_mT6_T7_P12ihipStream_tbENKUlT_T0_E_clISt17integral_constantIbLb1EES12_IbLb0EEEEDaSY_SZ_EUlSY_E_NS1_11comp_targetILNS1_3genE3ELNS1_11target_archE908ELNS1_3gpuE7ELNS1_3repE0EEENS1_30default_config_static_selectorELNS0_4arch9wavefront6targetE0EEEvT1_
                                        ; -- End function
	.set _ZN7rocprim17ROCPRIM_400000_NS6detail17trampoline_kernelINS0_14default_configENS1_27scan_by_key_config_selectorIj11FixedVectorIiLj1EEEEZZNS1_16scan_by_key_implILNS1_25lookback_scan_determinismE0ELb0ES3_N6thrust23THRUST_200600_302600_NS6detail15normal_iteratorINSB_10device_ptrIjEEEENSD_INSE_IS6_EEEESI_S6_NSB_4plusIvEENSB_8equal_toIvEES6_EE10hipError_tPvRmT2_T3_T4_T5_mT6_T7_P12ihipStream_tbENKUlT_T0_E_clISt17integral_constantIbLb1EES12_IbLb0EEEEDaSY_SZ_EUlSY_E_NS1_11comp_targetILNS1_3genE3ELNS1_11target_archE908ELNS1_3gpuE7ELNS1_3repE0EEENS1_30default_config_static_selectorELNS0_4arch9wavefront6targetE0EEEvT1_.num_vgpr, 0
	.set _ZN7rocprim17ROCPRIM_400000_NS6detail17trampoline_kernelINS0_14default_configENS1_27scan_by_key_config_selectorIj11FixedVectorIiLj1EEEEZZNS1_16scan_by_key_implILNS1_25lookback_scan_determinismE0ELb0ES3_N6thrust23THRUST_200600_302600_NS6detail15normal_iteratorINSB_10device_ptrIjEEEENSD_INSE_IS6_EEEESI_S6_NSB_4plusIvEENSB_8equal_toIvEES6_EE10hipError_tPvRmT2_T3_T4_T5_mT6_T7_P12ihipStream_tbENKUlT_T0_E_clISt17integral_constantIbLb1EES12_IbLb0EEEEDaSY_SZ_EUlSY_E_NS1_11comp_targetILNS1_3genE3ELNS1_11target_archE908ELNS1_3gpuE7ELNS1_3repE0EEENS1_30default_config_static_selectorELNS0_4arch9wavefront6targetE0EEEvT1_.num_agpr, 0
	.set _ZN7rocprim17ROCPRIM_400000_NS6detail17trampoline_kernelINS0_14default_configENS1_27scan_by_key_config_selectorIj11FixedVectorIiLj1EEEEZZNS1_16scan_by_key_implILNS1_25lookback_scan_determinismE0ELb0ES3_N6thrust23THRUST_200600_302600_NS6detail15normal_iteratorINSB_10device_ptrIjEEEENSD_INSE_IS6_EEEESI_S6_NSB_4plusIvEENSB_8equal_toIvEES6_EE10hipError_tPvRmT2_T3_T4_T5_mT6_T7_P12ihipStream_tbENKUlT_T0_E_clISt17integral_constantIbLb1EES12_IbLb0EEEEDaSY_SZ_EUlSY_E_NS1_11comp_targetILNS1_3genE3ELNS1_11target_archE908ELNS1_3gpuE7ELNS1_3repE0EEENS1_30default_config_static_selectorELNS0_4arch9wavefront6targetE0EEEvT1_.numbered_sgpr, 0
	.set _ZN7rocprim17ROCPRIM_400000_NS6detail17trampoline_kernelINS0_14default_configENS1_27scan_by_key_config_selectorIj11FixedVectorIiLj1EEEEZZNS1_16scan_by_key_implILNS1_25lookback_scan_determinismE0ELb0ES3_N6thrust23THRUST_200600_302600_NS6detail15normal_iteratorINSB_10device_ptrIjEEEENSD_INSE_IS6_EEEESI_S6_NSB_4plusIvEENSB_8equal_toIvEES6_EE10hipError_tPvRmT2_T3_T4_T5_mT6_T7_P12ihipStream_tbENKUlT_T0_E_clISt17integral_constantIbLb1EES12_IbLb0EEEEDaSY_SZ_EUlSY_E_NS1_11comp_targetILNS1_3genE3ELNS1_11target_archE908ELNS1_3gpuE7ELNS1_3repE0EEENS1_30default_config_static_selectorELNS0_4arch9wavefront6targetE0EEEvT1_.num_named_barrier, 0
	.set _ZN7rocprim17ROCPRIM_400000_NS6detail17trampoline_kernelINS0_14default_configENS1_27scan_by_key_config_selectorIj11FixedVectorIiLj1EEEEZZNS1_16scan_by_key_implILNS1_25lookback_scan_determinismE0ELb0ES3_N6thrust23THRUST_200600_302600_NS6detail15normal_iteratorINSB_10device_ptrIjEEEENSD_INSE_IS6_EEEESI_S6_NSB_4plusIvEENSB_8equal_toIvEES6_EE10hipError_tPvRmT2_T3_T4_T5_mT6_T7_P12ihipStream_tbENKUlT_T0_E_clISt17integral_constantIbLb1EES12_IbLb0EEEEDaSY_SZ_EUlSY_E_NS1_11comp_targetILNS1_3genE3ELNS1_11target_archE908ELNS1_3gpuE7ELNS1_3repE0EEENS1_30default_config_static_selectorELNS0_4arch9wavefront6targetE0EEEvT1_.private_seg_size, 0
	.set _ZN7rocprim17ROCPRIM_400000_NS6detail17trampoline_kernelINS0_14default_configENS1_27scan_by_key_config_selectorIj11FixedVectorIiLj1EEEEZZNS1_16scan_by_key_implILNS1_25lookback_scan_determinismE0ELb0ES3_N6thrust23THRUST_200600_302600_NS6detail15normal_iteratorINSB_10device_ptrIjEEEENSD_INSE_IS6_EEEESI_S6_NSB_4plusIvEENSB_8equal_toIvEES6_EE10hipError_tPvRmT2_T3_T4_T5_mT6_T7_P12ihipStream_tbENKUlT_T0_E_clISt17integral_constantIbLb1EES12_IbLb0EEEEDaSY_SZ_EUlSY_E_NS1_11comp_targetILNS1_3genE3ELNS1_11target_archE908ELNS1_3gpuE7ELNS1_3repE0EEENS1_30default_config_static_selectorELNS0_4arch9wavefront6targetE0EEEvT1_.uses_vcc, 0
	.set _ZN7rocprim17ROCPRIM_400000_NS6detail17trampoline_kernelINS0_14default_configENS1_27scan_by_key_config_selectorIj11FixedVectorIiLj1EEEEZZNS1_16scan_by_key_implILNS1_25lookback_scan_determinismE0ELb0ES3_N6thrust23THRUST_200600_302600_NS6detail15normal_iteratorINSB_10device_ptrIjEEEENSD_INSE_IS6_EEEESI_S6_NSB_4plusIvEENSB_8equal_toIvEES6_EE10hipError_tPvRmT2_T3_T4_T5_mT6_T7_P12ihipStream_tbENKUlT_T0_E_clISt17integral_constantIbLb1EES12_IbLb0EEEEDaSY_SZ_EUlSY_E_NS1_11comp_targetILNS1_3genE3ELNS1_11target_archE908ELNS1_3gpuE7ELNS1_3repE0EEENS1_30default_config_static_selectorELNS0_4arch9wavefront6targetE0EEEvT1_.uses_flat_scratch, 0
	.set _ZN7rocprim17ROCPRIM_400000_NS6detail17trampoline_kernelINS0_14default_configENS1_27scan_by_key_config_selectorIj11FixedVectorIiLj1EEEEZZNS1_16scan_by_key_implILNS1_25lookback_scan_determinismE0ELb0ES3_N6thrust23THRUST_200600_302600_NS6detail15normal_iteratorINSB_10device_ptrIjEEEENSD_INSE_IS6_EEEESI_S6_NSB_4plusIvEENSB_8equal_toIvEES6_EE10hipError_tPvRmT2_T3_T4_T5_mT6_T7_P12ihipStream_tbENKUlT_T0_E_clISt17integral_constantIbLb1EES12_IbLb0EEEEDaSY_SZ_EUlSY_E_NS1_11comp_targetILNS1_3genE3ELNS1_11target_archE908ELNS1_3gpuE7ELNS1_3repE0EEENS1_30default_config_static_selectorELNS0_4arch9wavefront6targetE0EEEvT1_.has_dyn_sized_stack, 0
	.set _ZN7rocprim17ROCPRIM_400000_NS6detail17trampoline_kernelINS0_14default_configENS1_27scan_by_key_config_selectorIj11FixedVectorIiLj1EEEEZZNS1_16scan_by_key_implILNS1_25lookback_scan_determinismE0ELb0ES3_N6thrust23THRUST_200600_302600_NS6detail15normal_iteratorINSB_10device_ptrIjEEEENSD_INSE_IS6_EEEESI_S6_NSB_4plusIvEENSB_8equal_toIvEES6_EE10hipError_tPvRmT2_T3_T4_T5_mT6_T7_P12ihipStream_tbENKUlT_T0_E_clISt17integral_constantIbLb1EES12_IbLb0EEEEDaSY_SZ_EUlSY_E_NS1_11comp_targetILNS1_3genE3ELNS1_11target_archE908ELNS1_3gpuE7ELNS1_3repE0EEENS1_30default_config_static_selectorELNS0_4arch9wavefront6targetE0EEEvT1_.has_recursion, 0
	.set _ZN7rocprim17ROCPRIM_400000_NS6detail17trampoline_kernelINS0_14default_configENS1_27scan_by_key_config_selectorIj11FixedVectorIiLj1EEEEZZNS1_16scan_by_key_implILNS1_25lookback_scan_determinismE0ELb0ES3_N6thrust23THRUST_200600_302600_NS6detail15normal_iteratorINSB_10device_ptrIjEEEENSD_INSE_IS6_EEEESI_S6_NSB_4plusIvEENSB_8equal_toIvEES6_EE10hipError_tPvRmT2_T3_T4_T5_mT6_T7_P12ihipStream_tbENKUlT_T0_E_clISt17integral_constantIbLb1EES12_IbLb0EEEEDaSY_SZ_EUlSY_E_NS1_11comp_targetILNS1_3genE3ELNS1_11target_archE908ELNS1_3gpuE7ELNS1_3repE0EEENS1_30default_config_static_selectorELNS0_4arch9wavefront6targetE0EEEvT1_.has_indirect_call, 0
	.section	.AMDGPU.csdata,"",@progbits
; Kernel info:
; codeLenInByte = 0
; TotalNumSgprs: 0
; NumVgprs: 0
; ScratchSize: 0
; MemoryBound: 0
; FloatMode: 240
; IeeeMode: 1
; LDSByteSize: 0 bytes/workgroup (compile time only)
; SGPRBlocks: 0
; VGPRBlocks: 0
; NumSGPRsForWavesPerEU: 1
; NumVGPRsForWavesPerEU: 1
; NamedBarCnt: 0
; Occupancy: 16
; WaveLimiterHint : 0
; COMPUTE_PGM_RSRC2:SCRATCH_EN: 0
; COMPUTE_PGM_RSRC2:USER_SGPR: 2
; COMPUTE_PGM_RSRC2:TRAP_HANDLER: 0
; COMPUTE_PGM_RSRC2:TGID_X_EN: 1
; COMPUTE_PGM_RSRC2:TGID_Y_EN: 0
; COMPUTE_PGM_RSRC2:TGID_Z_EN: 0
; COMPUTE_PGM_RSRC2:TIDIG_COMP_CNT: 0
	.section	.text._ZN7rocprim17ROCPRIM_400000_NS6detail17trampoline_kernelINS0_14default_configENS1_27scan_by_key_config_selectorIj11FixedVectorIiLj1EEEEZZNS1_16scan_by_key_implILNS1_25lookback_scan_determinismE0ELb0ES3_N6thrust23THRUST_200600_302600_NS6detail15normal_iteratorINSB_10device_ptrIjEEEENSD_INSE_IS6_EEEESI_S6_NSB_4plusIvEENSB_8equal_toIvEES6_EE10hipError_tPvRmT2_T3_T4_T5_mT6_T7_P12ihipStream_tbENKUlT_T0_E_clISt17integral_constantIbLb1EES12_IbLb0EEEEDaSY_SZ_EUlSY_E_NS1_11comp_targetILNS1_3genE2ELNS1_11target_archE906ELNS1_3gpuE6ELNS1_3repE0EEENS1_30default_config_static_selectorELNS0_4arch9wavefront6targetE0EEEvT1_,"axG",@progbits,_ZN7rocprim17ROCPRIM_400000_NS6detail17trampoline_kernelINS0_14default_configENS1_27scan_by_key_config_selectorIj11FixedVectorIiLj1EEEEZZNS1_16scan_by_key_implILNS1_25lookback_scan_determinismE0ELb0ES3_N6thrust23THRUST_200600_302600_NS6detail15normal_iteratorINSB_10device_ptrIjEEEENSD_INSE_IS6_EEEESI_S6_NSB_4plusIvEENSB_8equal_toIvEES6_EE10hipError_tPvRmT2_T3_T4_T5_mT6_T7_P12ihipStream_tbENKUlT_T0_E_clISt17integral_constantIbLb1EES12_IbLb0EEEEDaSY_SZ_EUlSY_E_NS1_11comp_targetILNS1_3genE2ELNS1_11target_archE906ELNS1_3gpuE6ELNS1_3repE0EEENS1_30default_config_static_selectorELNS0_4arch9wavefront6targetE0EEEvT1_,comdat
	.protected	_ZN7rocprim17ROCPRIM_400000_NS6detail17trampoline_kernelINS0_14default_configENS1_27scan_by_key_config_selectorIj11FixedVectorIiLj1EEEEZZNS1_16scan_by_key_implILNS1_25lookback_scan_determinismE0ELb0ES3_N6thrust23THRUST_200600_302600_NS6detail15normal_iteratorINSB_10device_ptrIjEEEENSD_INSE_IS6_EEEESI_S6_NSB_4plusIvEENSB_8equal_toIvEES6_EE10hipError_tPvRmT2_T3_T4_T5_mT6_T7_P12ihipStream_tbENKUlT_T0_E_clISt17integral_constantIbLb1EES12_IbLb0EEEEDaSY_SZ_EUlSY_E_NS1_11comp_targetILNS1_3genE2ELNS1_11target_archE906ELNS1_3gpuE6ELNS1_3repE0EEENS1_30default_config_static_selectorELNS0_4arch9wavefront6targetE0EEEvT1_ ; -- Begin function _ZN7rocprim17ROCPRIM_400000_NS6detail17trampoline_kernelINS0_14default_configENS1_27scan_by_key_config_selectorIj11FixedVectorIiLj1EEEEZZNS1_16scan_by_key_implILNS1_25lookback_scan_determinismE0ELb0ES3_N6thrust23THRUST_200600_302600_NS6detail15normal_iteratorINSB_10device_ptrIjEEEENSD_INSE_IS6_EEEESI_S6_NSB_4plusIvEENSB_8equal_toIvEES6_EE10hipError_tPvRmT2_T3_T4_T5_mT6_T7_P12ihipStream_tbENKUlT_T0_E_clISt17integral_constantIbLb1EES12_IbLb0EEEEDaSY_SZ_EUlSY_E_NS1_11comp_targetILNS1_3genE2ELNS1_11target_archE906ELNS1_3gpuE6ELNS1_3repE0EEENS1_30default_config_static_selectorELNS0_4arch9wavefront6targetE0EEEvT1_
	.globl	_ZN7rocprim17ROCPRIM_400000_NS6detail17trampoline_kernelINS0_14default_configENS1_27scan_by_key_config_selectorIj11FixedVectorIiLj1EEEEZZNS1_16scan_by_key_implILNS1_25lookback_scan_determinismE0ELb0ES3_N6thrust23THRUST_200600_302600_NS6detail15normal_iteratorINSB_10device_ptrIjEEEENSD_INSE_IS6_EEEESI_S6_NSB_4plusIvEENSB_8equal_toIvEES6_EE10hipError_tPvRmT2_T3_T4_T5_mT6_T7_P12ihipStream_tbENKUlT_T0_E_clISt17integral_constantIbLb1EES12_IbLb0EEEEDaSY_SZ_EUlSY_E_NS1_11comp_targetILNS1_3genE2ELNS1_11target_archE906ELNS1_3gpuE6ELNS1_3repE0EEENS1_30default_config_static_selectorELNS0_4arch9wavefront6targetE0EEEvT1_
	.p2align	8
	.type	_ZN7rocprim17ROCPRIM_400000_NS6detail17trampoline_kernelINS0_14default_configENS1_27scan_by_key_config_selectorIj11FixedVectorIiLj1EEEEZZNS1_16scan_by_key_implILNS1_25lookback_scan_determinismE0ELb0ES3_N6thrust23THRUST_200600_302600_NS6detail15normal_iteratorINSB_10device_ptrIjEEEENSD_INSE_IS6_EEEESI_S6_NSB_4plusIvEENSB_8equal_toIvEES6_EE10hipError_tPvRmT2_T3_T4_T5_mT6_T7_P12ihipStream_tbENKUlT_T0_E_clISt17integral_constantIbLb1EES12_IbLb0EEEEDaSY_SZ_EUlSY_E_NS1_11comp_targetILNS1_3genE2ELNS1_11target_archE906ELNS1_3gpuE6ELNS1_3repE0EEENS1_30default_config_static_selectorELNS0_4arch9wavefront6targetE0EEEvT1_,@function
_ZN7rocprim17ROCPRIM_400000_NS6detail17trampoline_kernelINS0_14default_configENS1_27scan_by_key_config_selectorIj11FixedVectorIiLj1EEEEZZNS1_16scan_by_key_implILNS1_25lookback_scan_determinismE0ELb0ES3_N6thrust23THRUST_200600_302600_NS6detail15normal_iteratorINSB_10device_ptrIjEEEENSD_INSE_IS6_EEEESI_S6_NSB_4plusIvEENSB_8equal_toIvEES6_EE10hipError_tPvRmT2_T3_T4_T5_mT6_T7_P12ihipStream_tbENKUlT_T0_E_clISt17integral_constantIbLb1EES12_IbLb0EEEEDaSY_SZ_EUlSY_E_NS1_11comp_targetILNS1_3genE2ELNS1_11target_archE906ELNS1_3gpuE6ELNS1_3repE0EEENS1_30default_config_static_selectorELNS0_4arch9wavefront6targetE0EEEvT1_: ; @_ZN7rocprim17ROCPRIM_400000_NS6detail17trampoline_kernelINS0_14default_configENS1_27scan_by_key_config_selectorIj11FixedVectorIiLj1EEEEZZNS1_16scan_by_key_implILNS1_25lookback_scan_determinismE0ELb0ES3_N6thrust23THRUST_200600_302600_NS6detail15normal_iteratorINSB_10device_ptrIjEEEENSD_INSE_IS6_EEEESI_S6_NSB_4plusIvEENSB_8equal_toIvEES6_EE10hipError_tPvRmT2_T3_T4_T5_mT6_T7_P12ihipStream_tbENKUlT_T0_E_clISt17integral_constantIbLb1EES12_IbLb0EEEEDaSY_SZ_EUlSY_E_NS1_11comp_targetILNS1_3genE2ELNS1_11target_archE906ELNS1_3gpuE6ELNS1_3repE0EEENS1_30default_config_static_selectorELNS0_4arch9wavefront6targetE0EEEvT1_
; %bb.0:
	.section	.rodata,"a",@progbits
	.p2align	6, 0x0
	.amdhsa_kernel _ZN7rocprim17ROCPRIM_400000_NS6detail17trampoline_kernelINS0_14default_configENS1_27scan_by_key_config_selectorIj11FixedVectorIiLj1EEEEZZNS1_16scan_by_key_implILNS1_25lookback_scan_determinismE0ELb0ES3_N6thrust23THRUST_200600_302600_NS6detail15normal_iteratorINSB_10device_ptrIjEEEENSD_INSE_IS6_EEEESI_S6_NSB_4plusIvEENSB_8equal_toIvEES6_EE10hipError_tPvRmT2_T3_T4_T5_mT6_T7_P12ihipStream_tbENKUlT_T0_E_clISt17integral_constantIbLb1EES12_IbLb0EEEEDaSY_SZ_EUlSY_E_NS1_11comp_targetILNS1_3genE2ELNS1_11target_archE906ELNS1_3gpuE6ELNS1_3repE0EEENS1_30default_config_static_selectorELNS0_4arch9wavefront6targetE0EEEvT1_
		.amdhsa_group_segment_fixed_size 0
		.amdhsa_private_segment_fixed_size 0
		.amdhsa_kernarg_size 112
		.amdhsa_user_sgpr_count 2
		.amdhsa_user_sgpr_dispatch_ptr 0
		.amdhsa_user_sgpr_queue_ptr 0
		.amdhsa_user_sgpr_kernarg_segment_ptr 1
		.amdhsa_user_sgpr_dispatch_id 0
		.amdhsa_user_sgpr_kernarg_preload_length 0
		.amdhsa_user_sgpr_kernarg_preload_offset 0
		.amdhsa_user_sgpr_private_segment_size 0
		.amdhsa_wavefront_size32 1
		.amdhsa_uses_dynamic_stack 0
		.amdhsa_enable_private_segment 0
		.amdhsa_system_sgpr_workgroup_id_x 1
		.amdhsa_system_sgpr_workgroup_id_y 0
		.amdhsa_system_sgpr_workgroup_id_z 0
		.amdhsa_system_sgpr_workgroup_info 0
		.amdhsa_system_vgpr_workitem_id 0
		.amdhsa_next_free_vgpr 1
		.amdhsa_next_free_sgpr 1
		.amdhsa_named_barrier_count 0
		.amdhsa_reserve_vcc 0
		.amdhsa_float_round_mode_32 0
		.amdhsa_float_round_mode_16_64 0
		.amdhsa_float_denorm_mode_32 3
		.amdhsa_float_denorm_mode_16_64 3
		.amdhsa_fp16_overflow 0
		.amdhsa_memory_ordered 1
		.amdhsa_forward_progress 1
		.amdhsa_inst_pref_size 0
		.amdhsa_round_robin_scheduling 0
		.amdhsa_exception_fp_ieee_invalid_op 0
		.amdhsa_exception_fp_denorm_src 0
		.amdhsa_exception_fp_ieee_div_zero 0
		.amdhsa_exception_fp_ieee_overflow 0
		.amdhsa_exception_fp_ieee_underflow 0
		.amdhsa_exception_fp_ieee_inexact 0
		.amdhsa_exception_int_div_zero 0
	.end_amdhsa_kernel
	.section	.text._ZN7rocprim17ROCPRIM_400000_NS6detail17trampoline_kernelINS0_14default_configENS1_27scan_by_key_config_selectorIj11FixedVectorIiLj1EEEEZZNS1_16scan_by_key_implILNS1_25lookback_scan_determinismE0ELb0ES3_N6thrust23THRUST_200600_302600_NS6detail15normal_iteratorINSB_10device_ptrIjEEEENSD_INSE_IS6_EEEESI_S6_NSB_4plusIvEENSB_8equal_toIvEES6_EE10hipError_tPvRmT2_T3_T4_T5_mT6_T7_P12ihipStream_tbENKUlT_T0_E_clISt17integral_constantIbLb1EES12_IbLb0EEEEDaSY_SZ_EUlSY_E_NS1_11comp_targetILNS1_3genE2ELNS1_11target_archE906ELNS1_3gpuE6ELNS1_3repE0EEENS1_30default_config_static_selectorELNS0_4arch9wavefront6targetE0EEEvT1_,"axG",@progbits,_ZN7rocprim17ROCPRIM_400000_NS6detail17trampoline_kernelINS0_14default_configENS1_27scan_by_key_config_selectorIj11FixedVectorIiLj1EEEEZZNS1_16scan_by_key_implILNS1_25lookback_scan_determinismE0ELb0ES3_N6thrust23THRUST_200600_302600_NS6detail15normal_iteratorINSB_10device_ptrIjEEEENSD_INSE_IS6_EEEESI_S6_NSB_4plusIvEENSB_8equal_toIvEES6_EE10hipError_tPvRmT2_T3_T4_T5_mT6_T7_P12ihipStream_tbENKUlT_T0_E_clISt17integral_constantIbLb1EES12_IbLb0EEEEDaSY_SZ_EUlSY_E_NS1_11comp_targetILNS1_3genE2ELNS1_11target_archE906ELNS1_3gpuE6ELNS1_3repE0EEENS1_30default_config_static_selectorELNS0_4arch9wavefront6targetE0EEEvT1_,comdat
.Lfunc_end1896:
	.size	_ZN7rocprim17ROCPRIM_400000_NS6detail17trampoline_kernelINS0_14default_configENS1_27scan_by_key_config_selectorIj11FixedVectorIiLj1EEEEZZNS1_16scan_by_key_implILNS1_25lookback_scan_determinismE0ELb0ES3_N6thrust23THRUST_200600_302600_NS6detail15normal_iteratorINSB_10device_ptrIjEEEENSD_INSE_IS6_EEEESI_S6_NSB_4plusIvEENSB_8equal_toIvEES6_EE10hipError_tPvRmT2_T3_T4_T5_mT6_T7_P12ihipStream_tbENKUlT_T0_E_clISt17integral_constantIbLb1EES12_IbLb0EEEEDaSY_SZ_EUlSY_E_NS1_11comp_targetILNS1_3genE2ELNS1_11target_archE906ELNS1_3gpuE6ELNS1_3repE0EEENS1_30default_config_static_selectorELNS0_4arch9wavefront6targetE0EEEvT1_, .Lfunc_end1896-_ZN7rocprim17ROCPRIM_400000_NS6detail17trampoline_kernelINS0_14default_configENS1_27scan_by_key_config_selectorIj11FixedVectorIiLj1EEEEZZNS1_16scan_by_key_implILNS1_25lookback_scan_determinismE0ELb0ES3_N6thrust23THRUST_200600_302600_NS6detail15normal_iteratorINSB_10device_ptrIjEEEENSD_INSE_IS6_EEEESI_S6_NSB_4plusIvEENSB_8equal_toIvEES6_EE10hipError_tPvRmT2_T3_T4_T5_mT6_T7_P12ihipStream_tbENKUlT_T0_E_clISt17integral_constantIbLb1EES12_IbLb0EEEEDaSY_SZ_EUlSY_E_NS1_11comp_targetILNS1_3genE2ELNS1_11target_archE906ELNS1_3gpuE6ELNS1_3repE0EEENS1_30default_config_static_selectorELNS0_4arch9wavefront6targetE0EEEvT1_
                                        ; -- End function
	.set _ZN7rocprim17ROCPRIM_400000_NS6detail17trampoline_kernelINS0_14default_configENS1_27scan_by_key_config_selectorIj11FixedVectorIiLj1EEEEZZNS1_16scan_by_key_implILNS1_25lookback_scan_determinismE0ELb0ES3_N6thrust23THRUST_200600_302600_NS6detail15normal_iteratorINSB_10device_ptrIjEEEENSD_INSE_IS6_EEEESI_S6_NSB_4plusIvEENSB_8equal_toIvEES6_EE10hipError_tPvRmT2_T3_T4_T5_mT6_T7_P12ihipStream_tbENKUlT_T0_E_clISt17integral_constantIbLb1EES12_IbLb0EEEEDaSY_SZ_EUlSY_E_NS1_11comp_targetILNS1_3genE2ELNS1_11target_archE906ELNS1_3gpuE6ELNS1_3repE0EEENS1_30default_config_static_selectorELNS0_4arch9wavefront6targetE0EEEvT1_.num_vgpr, 0
	.set _ZN7rocprim17ROCPRIM_400000_NS6detail17trampoline_kernelINS0_14default_configENS1_27scan_by_key_config_selectorIj11FixedVectorIiLj1EEEEZZNS1_16scan_by_key_implILNS1_25lookback_scan_determinismE0ELb0ES3_N6thrust23THRUST_200600_302600_NS6detail15normal_iteratorINSB_10device_ptrIjEEEENSD_INSE_IS6_EEEESI_S6_NSB_4plusIvEENSB_8equal_toIvEES6_EE10hipError_tPvRmT2_T3_T4_T5_mT6_T7_P12ihipStream_tbENKUlT_T0_E_clISt17integral_constantIbLb1EES12_IbLb0EEEEDaSY_SZ_EUlSY_E_NS1_11comp_targetILNS1_3genE2ELNS1_11target_archE906ELNS1_3gpuE6ELNS1_3repE0EEENS1_30default_config_static_selectorELNS0_4arch9wavefront6targetE0EEEvT1_.num_agpr, 0
	.set _ZN7rocprim17ROCPRIM_400000_NS6detail17trampoline_kernelINS0_14default_configENS1_27scan_by_key_config_selectorIj11FixedVectorIiLj1EEEEZZNS1_16scan_by_key_implILNS1_25lookback_scan_determinismE0ELb0ES3_N6thrust23THRUST_200600_302600_NS6detail15normal_iteratorINSB_10device_ptrIjEEEENSD_INSE_IS6_EEEESI_S6_NSB_4plusIvEENSB_8equal_toIvEES6_EE10hipError_tPvRmT2_T3_T4_T5_mT6_T7_P12ihipStream_tbENKUlT_T0_E_clISt17integral_constantIbLb1EES12_IbLb0EEEEDaSY_SZ_EUlSY_E_NS1_11comp_targetILNS1_3genE2ELNS1_11target_archE906ELNS1_3gpuE6ELNS1_3repE0EEENS1_30default_config_static_selectorELNS0_4arch9wavefront6targetE0EEEvT1_.numbered_sgpr, 0
	.set _ZN7rocprim17ROCPRIM_400000_NS6detail17trampoline_kernelINS0_14default_configENS1_27scan_by_key_config_selectorIj11FixedVectorIiLj1EEEEZZNS1_16scan_by_key_implILNS1_25lookback_scan_determinismE0ELb0ES3_N6thrust23THRUST_200600_302600_NS6detail15normal_iteratorINSB_10device_ptrIjEEEENSD_INSE_IS6_EEEESI_S6_NSB_4plusIvEENSB_8equal_toIvEES6_EE10hipError_tPvRmT2_T3_T4_T5_mT6_T7_P12ihipStream_tbENKUlT_T0_E_clISt17integral_constantIbLb1EES12_IbLb0EEEEDaSY_SZ_EUlSY_E_NS1_11comp_targetILNS1_3genE2ELNS1_11target_archE906ELNS1_3gpuE6ELNS1_3repE0EEENS1_30default_config_static_selectorELNS0_4arch9wavefront6targetE0EEEvT1_.num_named_barrier, 0
	.set _ZN7rocprim17ROCPRIM_400000_NS6detail17trampoline_kernelINS0_14default_configENS1_27scan_by_key_config_selectorIj11FixedVectorIiLj1EEEEZZNS1_16scan_by_key_implILNS1_25lookback_scan_determinismE0ELb0ES3_N6thrust23THRUST_200600_302600_NS6detail15normal_iteratorINSB_10device_ptrIjEEEENSD_INSE_IS6_EEEESI_S6_NSB_4plusIvEENSB_8equal_toIvEES6_EE10hipError_tPvRmT2_T3_T4_T5_mT6_T7_P12ihipStream_tbENKUlT_T0_E_clISt17integral_constantIbLb1EES12_IbLb0EEEEDaSY_SZ_EUlSY_E_NS1_11comp_targetILNS1_3genE2ELNS1_11target_archE906ELNS1_3gpuE6ELNS1_3repE0EEENS1_30default_config_static_selectorELNS0_4arch9wavefront6targetE0EEEvT1_.private_seg_size, 0
	.set _ZN7rocprim17ROCPRIM_400000_NS6detail17trampoline_kernelINS0_14default_configENS1_27scan_by_key_config_selectorIj11FixedVectorIiLj1EEEEZZNS1_16scan_by_key_implILNS1_25lookback_scan_determinismE0ELb0ES3_N6thrust23THRUST_200600_302600_NS6detail15normal_iteratorINSB_10device_ptrIjEEEENSD_INSE_IS6_EEEESI_S6_NSB_4plusIvEENSB_8equal_toIvEES6_EE10hipError_tPvRmT2_T3_T4_T5_mT6_T7_P12ihipStream_tbENKUlT_T0_E_clISt17integral_constantIbLb1EES12_IbLb0EEEEDaSY_SZ_EUlSY_E_NS1_11comp_targetILNS1_3genE2ELNS1_11target_archE906ELNS1_3gpuE6ELNS1_3repE0EEENS1_30default_config_static_selectorELNS0_4arch9wavefront6targetE0EEEvT1_.uses_vcc, 0
	.set _ZN7rocprim17ROCPRIM_400000_NS6detail17trampoline_kernelINS0_14default_configENS1_27scan_by_key_config_selectorIj11FixedVectorIiLj1EEEEZZNS1_16scan_by_key_implILNS1_25lookback_scan_determinismE0ELb0ES3_N6thrust23THRUST_200600_302600_NS6detail15normal_iteratorINSB_10device_ptrIjEEEENSD_INSE_IS6_EEEESI_S6_NSB_4plusIvEENSB_8equal_toIvEES6_EE10hipError_tPvRmT2_T3_T4_T5_mT6_T7_P12ihipStream_tbENKUlT_T0_E_clISt17integral_constantIbLb1EES12_IbLb0EEEEDaSY_SZ_EUlSY_E_NS1_11comp_targetILNS1_3genE2ELNS1_11target_archE906ELNS1_3gpuE6ELNS1_3repE0EEENS1_30default_config_static_selectorELNS0_4arch9wavefront6targetE0EEEvT1_.uses_flat_scratch, 0
	.set _ZN7rocprim17ROCPRIM_400000_NS6detail17trampoline_kernelINS0_14default_configENS1_27scan_by_key_config_selectorIj11FixedVectorIiLj1EEEEZZNS1_16scan_by_key_implILNS1_25lookback_scan_determinismE0ELb0ES3_N6thrust23THRUST_200600_302600_NS6detail15normal_iteratorINSB_10device_ptrIjEEEENSD_INSE_IS6_EEEESI_S6_NSB_4plusIvEENSB_8equal_toIvEES6_EE10hipError_tPvRmT2_T3_T4_T5_mT6_T7_P12ihipStream_tbENKUlT_T0_E_clISt17integral_constantIbLb1EES12_IbLb0EEEEDaSY_SZ_EUlSY_E_NS1_11comp_targetILNS1_3genE2ELNS1_11target_archE906ELNS1_3gpuE6ELNS1_3repE0EEENS1_30default_config_static_selectorELNS0_4arch9wavefront6targetE0EEEvT1_.has_dyn_sized_stack, 0
	.set _ZN7rocprim17ROCPRIM_400000_NS6detail17trampoline_kernelINS0_14default_configENS1_27scan_by_key_config_selectorIj11FixedVectorIiLj1EEEEZZNS1_16scan_by_key_implILNS1_25lookback_scan_determinismE0ELb0ES3_N6thrust23THRUST_200600_302600_NS6detail15normal_iteratorINSB_10device_ptrIjEEEENSD_INSE_IS6_EEEESI_S6_NSB_4plusIvEENSB_8equal_toIvEES6_EE10hipError_tPvRmT2_T3_T4_T5_mT6_T7_P12ihipStream_tbENKUlT_T0_E_clISt17integral_constantIbLb1EES12_IbLb0EEEEDaSY_SZ_EUlSY_E_NS1_11comp_targetILNS1_3genE2ELNS1_11target_archE906ELNS1_3gpuE6ELNS1_3repE0EEENS1_30default_config_static_selectorELNS0_4arch9wavefront6targetE0EEEvT1_.has_recursion, 0
	.set _ZN7rocprim17ROCPRIM_400000_NS6detail17trampoline_kernelINS0_14default_configENS1_27scan_by_key_config_selectorIj11FixedVectorIiLj1EEEEZZNS1_16scan_by_key_implILNS1_25lookback_scan_determinismE0ELb0ES3_N6thrust23THRUST_200600_302600_NS6detail15normal_iteratorINSB_10device_ptrIjEEEENSD_INSE_IS6_EEEESI_S6_NSB_4plusIvEENSB_8equal_toIvEES6_EE10hipError_tPvRmT2_T3_T4_T5_mT6_T7_P12ihipStream_tbENKUlT_T0_E_clISt17integral_constantIbLb1EES12_IbLb0EEEEDaSY_SZ_EUlSY_E_NS1_11comp_targetILNS1_3genE2ELNS1_11target_archE906ELNS1_3gpuE6ELNS1_3repE0EEENS1_30default_config_static_selectorELNS0_4arch9wavefront6targetE0EEEvT1_.has_indirect_call, 0
	.section	.AMDGPU.csdata,"",@progbits
; Kernel info:
; codeLenInByte = 0
; TotalNumSgprs: 0
; NumVgprs: 0
; ScratchSize: 0
; MemoryBound: 0
; FloatMode: 240
; IeeeMode: 1
; LDSByteSize: 0 bytes/workgroup (compile time only)
; SGPRBlocks: 0
; VGPRBlocks: 0
; NumSGPRsForWavesPerEU: 1
; NumVGPRsForWavesPerEU: 1
; NamedBarCnt: 0
; Occupancy: 16
; WaveLimiterHint : 0
; COMPUTE_PGM_RSRC2:SCRATCH_EN: 0
; COMPUTE_PGM_RSRC2:USER_SGPR: 2
; COMPUTE_PGM_RSRC2:TRAP_HANDLER: 0
; COMPUTE_PGM_RSRC2:TGID_X_EN: 1
; COMPUTE_PGM_RSRC2:TGID_Y_EN: 0
; COMPUTE_PGM_RSRC2:TGID_Z_EN: 0
; COMPUTE_PGM_RSRC2:TIDIG_COMP_CNT: 0
	.section	.text._ZN7rocprim17ROCPRIM_400000_NS6detail17trampoline_kernelINS0_14default_configENS1_27scan_by_key_config_selectorIj11FixedVectorIiLj1EEEEZZNS1_16scan_by_key_implILNS1_25lookback_scan_determinismE0ELb0ES3_N6thrust23THRUST_200600_302600_NS6detail15normal_iteratorINSB_10device_ptrIjEEEENSD_INSE_IS6_EEEESI_S6_NSB_4plusIvEENSB_8equal_toIvEES6_EE10hipError_tPvRmT2_T3_T4_T5_mT6_T7_P12ihipStream_tbENKUlT_T0_E_clISt17integral_constantIbLb1EES12_IbLb0EEEEDaSY_SZ_EUlSY_E_NS1_11comp_targetILNS1_3genE10ELNS1_11target_archE1200ELNS1_3gpuE4ELNS1_3repE0EEENS1_30default_config_static_selectorELNS0_4arch9wavefront6targetE0EEEvT1_,"axG",@progbits,_ZN7rocprim17ROCPRIM_400000_NS6detail17trampoline_kernelINS0_14default_configENS1_27scan_by_key_config_selectorIj11FixedVectorIiLj1EEEEZZNS1_16scan_by_key_implILNS1_25lookback_scan_determinismE0ELb0ES3_N6thrust23THRUST_200600_302600_NS6detail15normal_iteratorINSB_10device_ptrIjEEEENSD_INSE_IS6_EEEESI_S6_NSB_4plusIvEENSB_8equal_toIvEES6_EE10hipError_tPvRmT2_T3_T4_T5_mT6_T7_P12ihipStream_tbENKUlT_T0_E_clISt17integral_constantIbLb1EES12_IbLb0EEEEDaSY_SZ_EUlSY_E_NS1_11comp_targetILNS1_3genE10ELNS1_11target_archE1200ELNS1_3gpuE4ELNS1_3repE0EEENS1_30default_config_static_selectorELNS0_4arch9wavefront6targetE0EEEvT1_,comdat
	.protected	_ZN7rocprim17ROCPRIM_400000_NS6detail17trampoline_kernelINS0_14default_configENS1_27scan_by_key_config_selectorIj11FixedVectorIiLj1EEEEZZNS1_16scan_by_key_implILNS1_25lookback_scan_determinismE0ELb0ES3_N6thrust23THRUST_200600_302600_NS6detail15normal_iteratorINSB_10device_ptrIjEEEENSD_INSE_IS6_EEEESI_S6_NSB_4plusIvEENSB_8equal_toIvEES6_EE10hipError_tPvRmT2_T3_T4_T5_mT6_T7_P12ihipStream_tbENKUlT_T0_E_clISt17integral_constantIbLb1EES12_IbLb0EEEEDaSY_SZ_EUlSY_E_NS1_11comp_targetILNS1_3genE10ELNS1_11target_archE1200ELNS1_3gpuE4ELNS1_3repE0EEENS1_30default_config_static_selectorELNS0_4arch9wavefront6targetE0EEEvT1_ ; -- Begin function _ZN7rocprim17ROCPRIM_400000_NS6detail17trampoline_kernelINS0_14default_configENS1_27scan_by_key_config_selectorIj11FixedVectorIiLj1EEEEZZNS1_16scan_by_key_implILNS1_25lookback_scan_determinismE0ELb0ES3_N6thrust23THRUST_200600_302600_NS6detail15normal_iteratorINSB_10device_ptrIjEEEENSD_INSE_IS6_EEEESI_S6_NSB_4plusIvEENSB_8equal_toIvEES6_EE10hipError_tPvRmT2_T3_T4_T5_mT6_T7_P12ihipStream_tbENKUlT_T0_E_clISt17integral_constantIbLb1EES12_IbLb0EEEEDaSY_SZ_EUlSY_E_NS1_11comp_targetILNS1_3genE10ELNS1_11target_archE1200ELNS1_3gpuE4ELNS1_3repE0EEENS1_30default_config_static_selectorELNS0_4arch9wavefront6targetE0EEEvT1_
	.globl	_ZN7rocprim17ROCPRIM_400000_NS6detail17trampoline_kernelINS0_14default_configENS1_27scan_by_key_config_selectorIj11FixedVectorIiLj1EEEEZZNS1_16scan_by_key_implILNS1_25lookback_scan_determinismE0ELb0ES3_N6thrust23THRUST_200600_302600_NS6detail15normal_iteratorINSB_10device_ptrIjEEEENSD_INSE_IS6_EEEESI_S6_NSB_4plusIvEENSB_8equal_toIvEES6_EE10hipError_tPvRmT2_T3_T4_T5_mT6_T7_P12ihipStream_tbENKUlT_T0_E_clISt17integral_constantIbLb1EES12_IbLb0EEEEDaSY_SZ_EUlSY_E_NS1_11comp_targetILNS1_3genE10ELNS1_11target_archE1200ELNS1_3gpuE4ELNS1_3repE0EEENS1_30default_config_static_selectorELNS0_4arch9wavefront6targetE0EEEvT1_
	.p2align	8
	.type	_ZN7rocprim17ROCPRIM_400000_NS6detail17trampoline_kernelINS0_14default_configENS1_27scan_by_key_config_selectorIj11FixedVectorIiLj1EEEEZZNS1_16scan_by_key_implILNS1_25lookback_scan_determinismE0ELb0ES3_N6thrust23THRUST_200600_302600_NS6detail15normal_iteratorINSB_10device_ptrIjEEEENSD_INSE_IS6_EEEESI_S6_NSB_4plusIvEENSB_8equal_toIvEES6_EE10hipError_tPvRmT2_T3_T4_T5_mT6_T7_P12ihipStream_tbENKUlT_T0_E_clISt17integral_constantIbLb1EES12_IbLb0EEEEDaSY_SZ_EUlSY_E_NS1_11comp_targetILNS1_3genE10ELNS1_11target_archE1200ELNS1_3gpuE4ELNS1_3repE0EEENS1_30default_config_static_selectorELNS0_4arch9wavefront6targetE0EEEvT1_,@function
_ZN7rocprim17ROCPRIM_400000_NS6detail17trampoline_kernelINS0_14default_configENS1_27scan_by_key_config_selectorIj11FixedVectorIiLj1EEEEZZNS1_16scan_by_key_implILNS1_25lookback_scan_determinismE0ELb0ES3_N6thrust23THRUST_200600_302600_NS6detail15normal_iteratorINSB_10device_ptrIjEEEENSD_INSE_IS6_EEEESI_S6_NSB_4plusIvEENSB_8equal_toIvEES6_EE10hipError_tPvRmT2_T3_T4_T5_mT6_T7_P12ihipStream_tbENKUlT_T0_E_clISt17integral_constantIbLb1EES12_IbLb0EEEEDaSY_SZ_EUlSY_E_NS1_11comp_targetILNS1_3genE10ELNS1_11target_archE1200ELNS1_3gpuE4ELNS1_3repE0EEENS1_30default_config_static_selectorELNS0_4arch9wavefront6targetE0EEEvT1_: ; @_ZN7rocprim17ROCPRIM_400000_NS6detail17trampoline_kernelINS0_14default_configENS1_27scan_by_key_config_selectorIj11FixedVectorIiLj1EEEEZZNS1_16scan_by_key_implILNS1_25lookback_scan_determinismE0ELb0ES3_N6thrust23THRUST_200600_302600_NS6detail15normal_iteratorINSB_10device_ptrIjEEEENSD_INSE_IS6_EEEESI_S6_NSB_4plusIvEENSB_8equal_toIvEES6_EE10hipError_tPvRmT2_T3_T4_T5_mT6_T7_P12ihipStream_tbENKUlT_T0_E_clISt17integral_constantIbLb1EES12_IbLb0EEEEDaSY_SZ_EUlSY_E_NS1_11comp_targetILNS1_3genE10ELNS1_11target_archE1200ELNS1_3gpuE4ELNS1_3repE0EEENS1_30default_config_static_selectorELNS0_4arch9wavefront6targetE0EEEvT1_
; %bb.0:
	.section	.rodata,"a",@progbits
	.p2align	6, 0x0
	.amdhsa_kernel _ZN7rocprim17ROCPRIM_400000_NS6detail17trampoline_kernelINS0_14default_configENS1_27scan_by_key_config_selectorIj11FixedVectorIiLj1EEEEZZNS1_16scan_by_key_implILNS1_25lookback_scan_determinismE0ELb0ES3_N6thrust23THRUST_200600_302600_NS6detail15normal_iteratorINSB_10device_ptrIjEEEENSD_INSE_IS6_EEEESI_S6_NSB_4plusIvEENSB_8equal_toIvEES6_EE10hipError_tPvRmT2_T3_T4_T5_mT6_T7_P12ihipStream_tbENKUlT_T0_E_clISt17integral_constantIbLb1EES12_IbLb0EEEEDaSY_SZ_EUlSY_E_NS1_11comp_targetILNS1_3genE10ELNS1_11target_archE1200ELNS1_3gpuE4ELNS1_3repE0EEENS1_30default_config_static_selectorELNS0_4arch9wavefront6targetE0EEEvT1_
		.amdhsa_group_segment_fixed_size 0
		.amdhsa_private_segment_fixed_size 0
		.amdhsa_kernarg_size 112
		.amdhsa_user_sgpr_count 2
		.amdhsa_user_sgpr_dispatch_ptr 0
		.amdhsa_user_sgpr_queue_ptr 0
		.amdhsa_user_sgpr_kernarg_segment_ptr 1
		.amdhsa_user_sgpr_dispatch_id 0
		.amdhsa_user_sgpr_kernarg_preload_length 0
		.amdhsa_user_sgpr_kernarg_preload_offset 0
		.amdhsa_user_sgpr_private_segment_size 0
		.amdhsa_wavefront_size32 1
		.amdhsa_uses_dynamic_stack 0
		.amdhsa_enable_private_segment 0
		.amdhsa_system_sgpr_workgroup_id_x 1
		.amdhsa_system_sgpr_workgroup_id_y 0
		.amdhsa_system_sgpr_workgroup_id_z 0
		.amdhsa_system_sgpr_workgroup_info 0
		.amdhsa_system_vgpr_workitem_id 0
		.amdhsa_next_free_vgpr 1
		.amdhsa_next_free_sgpr 1
		.amdhsa_named_barrier_count 0
		.amdhsa_reserve_vcc 0
		.amdhsa_float_round_mode_32 0
		.amdhsa_float_round_mode_16_64 0
		.amdhsa_float_denorm_mode_32 3
		.amdhsa_float_denorm_mode_16_64 3
		.amdhsa_fp16_overflow 0
		.amdhsa_memory_ordered 1
		.amdhsa_forward_progress 1
		.amdhsa_inst_pref_size 0
		.amdhsa_round_robin_scheduling 0
		.amdhsa_exception_fp_ieee_invalid_op 0
		.amdhsa_exception_fp_denorm_src 0
		.amdhsa_exception_fp_ieee_div_zero 0
		.amdhsa_exception_fp_ieee_overflow 0
		.amdhsa_exception_fp_ieee_underflow 0
		.amdhsa_exception_fp_ieee_inexact 0
		.amdhsa_exception_int_div_zero 0
	.end_amdhsa_kernel
	.section	.text._ZN7rocprim17ROCPRIM_400000_NS6detail17trampoline_kernelINS0_14default_configENS1_27scan_by_key_config_selectorIj11FixedVectorIiLj1EEEEZZNS1_16scan_by_key_implILNS1_25lookback_scan_determinismE0ELb0ES3_N6thrust23THRUST_200600_302600_NS6detail15normal_iteratorINSB_10device_ptrIjEEEENSD_INSE_IS6_EEEESI_S6_NSB_4plusIvEENSB_8equal_toIvEES6_EE10hipError_tPvRmT2_T3_T4_T5_mT6_T7_P12ihipStream_tbENKUlT_T0_E_clISt17integral_constantIbLb1EES12_IbLb0EEEEDaSY_SZ_EUlSY_E_NS1_11comp_targetILNS1_3genE10ELNS1_11target_archE1200ELNS1_3gpuE4ELNS1_3repE0EEENS1_30default_config_static_selectorELNS0_4arch9wavefront6targetE0EEEvT1_,"axG",@progbits,_ZN7rocprim17ROCPRIM_400000_NS6detail17trampoline_kernelINS0_14default_configENS1_27scan_by_key_config_selectorIj11FixedVectorIiLj1EEEEZZNS1_16scan_by_key_implILNS1_25lookback_scan_determinismE0ELb0ES3_N6thrust23THRUST_200600_302600_NS6detail15normal_iteratorINSB_10device_ptrIjEEEENSD_INSE_IS6_EEEESI_S6_NSB_4plusIvEENSB_8equal_toIvEES6_EE10hipError_tPvRmT2_T3_T4_T5_mT6_T7_P12ihipStream_tbENKUlT_T0_E_clISt17integral_constantIbLb1EES12_IbLb0EEEEDaSY_SZ_EUlSY_E_NS1_11comp_targetILNS1_3genE10ELNS1_11target_archE1200ELNS1_3gpuE4ELNS1_3repE0EEENS1_30default_config_static_selectorELNS0_4arch9wavefront6targetE0EEEvT1_,comdat
.Lfunc_end1897:
	.size	_ZN7rocprim17ROCPRIM_400000_NS6detail17trampoline_kernelINS0_14default_configENS1_27scan_by_key_config_selectorIj11FixedVectorIiLj1EEEEZZNS1_16scan_by_key_implILNS1_25lookback_scan_determinismE0ELb0ES3_N6thrust23THRUST_200600_302600_NS6detail15normal_iteratorINSB_10device_ptrIjEEEENSD_INSE_IS6_EEEESI_S6_NSB_4plusIvEENSB_8equal_toIvEES6_EE10hipError_tPvRmT2_T3_T4_T5_mT6_T7_P12ihipStream_tbENKUlT_T0_E_clISt17integral_constantIbLb1EES12_IbLb0EEEEDaSY_SZ_EUlSY_E_NS1_11comp_targetILNS1_3genE10ELNS1_11target_archE1200ELNS1_3gpuE4ELNS1_3repE0EEENS1_30default_config_static_selectorELNS0_4arch9wavefront6targetE0EEEvT1_, .Lfunc_end1897-_ZN7rocprim17ROCPRIM_400000_NS6detail17trampoline_kernelINS0_14default_configENS1_27scan_by_key_config_selectorIj11FixedVectorIiLj1EEEEZZNS1_16scan_by_key_implILNS1_25lookback_scan_determinismE0ELb0ES3_N6thrust23THRUST_200600_302600_NS6detail15normal_iteratorINSB_10device_ptrIjEEEENSD_INSE_IS6_EEEESI_S6_NSB_4plusIvEENSB_8equal_toIvEES6_EE10hipError_tPvRmT2_T3_T4_T5_mT6_T7_P12ihipStream_tbENKUlT_T0_E_clISt17integral_constantIbLb1EES12_IbLb0EEEEDaSY_SZ_EUlSY_E_NS1_11comp_targetILNS1_3genE10ELNS1_11target_archE1200ELNS1_3gpuE4ELNS1_3repE0EEENS1_30default_config_static_selectorELNS0_4arch9wavefront6targetE0EEEvT1_
                                        ; -- End function
	.set _ZN7rocprim17ROCPRIM_400000_NS6detail17trampoline_kernelINS0_14default_configENS1_27scan_by_key_config_selectorIj11FixedVectorIiLj1EEEEZZNS1_16scan_by_key_implILNS1_25lookback_scan_determinismE0ELb0ES3_N6thrust23THRUST_200600_302600_NS6detail15normal_iteratorINSB_10device_ptrIjEEEENSD_INSE_IS6_EEEESI_S6_NSB_4plusIvEENSB_8equal_toIvEES6_EE10hipError_tPvRmT2_T3_T4_T5_mT6_T7_P12ihipStream_tbENKUlT_T0_E_clISt17integral_constantIbLb1EES12_IbLb0EEEEDaSY_SZ_EUlSY_E_NS1_11comp_targetILNS1_3genE10ELNS1_11target_archE1200ELNS1_3gpuE4ELNS1_3repE0EEENS1_30default_config_static_selectorELNS0_4arch9wavefront6targetE0EEEvT1_.num_vgpr, 0
	.set _ZN7rocprim17ROCPRIM_400000_NS6detail17trampoline_kernelINS0_14default_configENS1_27scan_by_key_config_selectorIj11FixedVectorIiLj1EEEEZZNS1_16scan_by_key_implILNS1_25lookback_scan_determinismE0ELb0ES3_N6thrust23THRUST_200600_302600_NS6detail15normal_iteratorINSB_10device_ptrIjEEEENSD_INSE_IS6_EEEESI_S6_NSB_4plusIvEENSB_8equal_toIvEES6_EE10hipError_tPvRmT2_T3_T4_T5_mT6_T7_P12ihipStream_tbENKUlT_T0_E_clISt17integral_constantIbLb1EES12_IbLb0EEEEDaSY_SZ_EUlSY_E_NS1_11comp_targetILNS1_3genE10ELNS1_11target_archE1200ELNS1_3gpuE4ELNS1_3repE0EEENS1_30default_config_static_selectorELNS0_4arch9wavefront6targetE0EEEvT1_.num_agpr, 0
	.set _ZN7rocprim17ROCPRIM_400000_NS6detail17trampoline_kernelINS0_14default_configENS1_27scan_by_key_config_selectorIj11FixedVectorIiLj1EEEEZZNS1_16scan_by_key_implILNS1_25lookback_scan_determinismE0ELb0ES3_N6thrust23THRUST_200600_302600_NS6detail15normal_iteratorINSB_10device_ptrIjEEEENSD_INSE_IS6_EEEESI_S6_NSB_4plusIvEENSB_8equal_toIvEES6_EE10hipError_tPvRmT2_T3_T4_T5_mT6_T7_P12ihipStream_tbENKUlT_T0_E_clISt17integral_constantIbLb1EES12_IbLb0EEEEDaSY_SZ_EUlSY_E_NS1_11comp_targetILNS1_3genE10ELNS1_11target_archE1200ELNS1_3gpuE4ELNS1_3repE0EEENS1_30default_config_static_selectorELNS0_4arch9wavefront6targetE0EEEvT1_.numbered_sgpr, 0
	.set _ZN7rocprim17ROCPRIM_400000_NS6detail17trampoline_kernelINS0_14default_configENS1_27scan_by_key_config_selectorIj11FixedVectorIiLj1EEEEZZNS1_16scan_by_key_implILNS1_25lookback_scan_determinismE0ELb0ES3_N6thrust23THRUST_200600_302600_NS6detail15normal_iteratorINSB_10device_ptrIjEEEENSD_INSE_IS6_EEEESI_S6_NSB_4plusIvEENSB_8equal_toIvEES6_EE10hipError_tPvRmT2_T3_T4_T5_mT6_T7_P12ihipStream_tbENKUlT_T0_E_clISt17integral_constantIbLb1EES12_IbLb0EEEEDaSY_SZ_EUlSY_E_NS1_11comp_targetILNS1_3genE10ELNS1_11target_archE1200ELNS1_3gpuE4ELNS1_3repE0EEENS1_30default_config_static_selectorELNS0_4arch9wavefront6targetE0EEEvT1_.num_named_barrier, 0
	.set _ZN7rocprim17ROCPRIM_400000_NS6detail17trampoline_kernelINS0_14default_configENS1_27scan_by_key_config_selectorIj11FixedVectorIiLj1EEEEZZNS1_16scan_by_key_implILNS1_25lookback_scan_determinismE0ELb0ES3_N6thrust23THRUST_200600_302600_NS6detail15normal_iteratorINSB_10device_ptrIjEEEENSD_INSE_IS6_EEEESI_S6_NSB_4plusIvEENSB_8equal_toIvEES6_EE10hipError_tPvRmT2_T3_T4_T5_mT6_T7_P12ihipStream_tbENKUlT_T0_E_clISt17integral_constantIbLb1EES12_IbLb0EEEEDaSY_SZ_EUlSY_E_NS1_11comp_targetILNS1_3genE10ELNS1_11target_archE1200ELNS1_3gpuE4ELNS1_3repE0EEENS1_30default_config_static_selectorELNS0_4arch9wavefront6targetE0EEEvT1_.private_seg_size, 0
	.set _ZN7rocprim17ROCPRIM_400000_NS6detail17trampoline_kernelINS0_14default_configENS1_27scan_by_key_config_selectorIj11FixedVectorIiLj1EEEEZZNS1_16scan_by_key_implILNS1_25lookback_scan_determinismE0ELb0ES3_N6thrust23THRUST_200600_302600_NS6detail15normal_iteratorINSB_10device_ptrIjEEEENSD_INSE_IS6_EEEESI_S6_NSB_4plusIvEENSB_8equal_toIvEES6_EE10hipError_tPvRmT2_T3_T4_T5_mT6_T7_P12ihipStream_tbENKUlT_T0_E_clISt17integral_constantIbLb1EES12_IbLb0EEEEDaSY_SZ_EUlSY_E_NS1_11comp_targetILNS1_3genE10ELNS1_11target_archE1200ELNS1_3gpuE4ELNS1_3repE0EEENS1_30default_config_static_selectorELNS0_4arch9wavefront6targetE0EEEvT1_.uses_vcc, 0
	.set _ZN7rocprim17ROCPRIM_400000_NS6detail17trampoline_kernelINS0_14default_configENS1_27scan_by_key_config_selectorIj11FixedVectorIiLj1EEEEZZNS1_16scan_by_key_implILNS1_25lookback_scan_determinismE0ELb0ES3_N6thrust23THRUST_200600_302600_NS6detail15normal_iteratorINSB_10device_ptrIjEEEENSD_INSE_IS6_EEEESI_S6_NSB_4plusIvEENSB_8equal_toIvEES6_EE10hipError_tPvRmT2_T3_T4_T5_mT6_T7_P12ihipStream_tbENKUlT_T0_E_clISt17integral_constantIbLb1EES12_IbLb0EEEEDaSY_SZ_EUlSY_E_NS1_11comp_targetILNS1_3genE10ELNS1_11target_archE1200ELNS1_3gpuE4ELNS1_3repE0EEENS1_30default_config_static_selectorELNS0_4arch9wavefront6targetE0EEEvT1_.uses_flat_scratch, 0
	.set _ZN7rocprim17ROCPRIM_400000_NS6detail17trampoline_kernelINS0_14default_configENS1_27scan_by_key_config_selectorIj11FixedVectorIiLj1EEEEZZNS1_16scan_by_key_implILNS1_25lookback_scan_determinismE0ELb0ES3_N6thrust23THRUST_200600_302600_NS6detail15normal_iteratorINSB_10device_ptrIjEEEENSD_INSE_IS6_EEEESI_S6_NSB_4plusIvEENSB_8equal_toIvEES6_EE10hipError_tPvRmT2_T3_T4_T5_mT6_T7_P12ihipStream_tbENKUlT_T0_E_clISt17integral_constantIbLb1EES12_IbLb0EEEEDaSY_SZ_EUlSY_E_NS1_11comp_targetILNS1_3genE10ELNS1_11target_archE1200ELNS1_3gpuE4ELNS1_3repE0EEENS1_30default_config_static_selectorELNS0_4arch9wavefront6targetE0EEEvT1_.has_dyn_sized_stack, 0
	.set _ZN7rocprim17ROCPRIM_400000_NS6detail17trampoline_kernelINS0_14default_configENS1_27scan_by_key_config_selectorIj11FixedVectorIiLj1EEEEZZNS1_16scan_by_key_implILNS1_25lookback_scan_determinismE0ELb0ES3_N6thrust23THRUST_200600_302600_NS6detail15normal_iteratorINSB_10device_ptrIjEEEENSD_INSE_IS6_EEEESI_S6_NSB_4plusIvEENSB_8equal_toIvEES6_EE10hipError_tPvRmT2_T3_T4_T5_mT6_T7_P12ihipStream_tbENKUlT_T0_E_clISt17integral_constantIbLb1EES12_IbLb0EEEEDaSY_SZ_EUlSY_E_NS1_11comp_targetILNS1_3genE10ELNS1_11target_archE1200ELNS1_3gpuE4ELNS1_3repE0EEENS1_30default_config_static_selectorELNS0_4arch9wavefront6targetE0EEEvT1_.has_recursion, 0
	.set _ZN7rocprim17ROCPRIM_400000_NS6detail17trampoline_kernelINS0_14default_configENS1_27scan_by_key_config_selectorIj11FixedVectorIiLj1EEEEZZNS1_16scan_by_key_implILNS1_25lookback_scan_determinismE0ELb0ES3_N6thrust23THRUST_200600_302600_NS6detail15normal_iteratorINSB_10device_ptrIjEEEENSD_INSE_IS6_EEEESI_S6_NSB_4plusIvEENSB_8equal_toIvEES6_EE10hipError_tPvRmT2_T3_T4_T5_mT6_T7_P12ihipStream_tbENKUlT_T0_E_clISt17integral_constantIbLb1EES12_IbLb0EEEEDaSY_SZ_EUlSY_E_NS1_11comp_targetILNS1_3genE10ELNS1_11target_archE1200ELNS1_3gpuE4ELNS1_3repE0EEENS1_30default_config_static_selectorELNS0_4arch9wavefront6targetE0EEEvT1_.has_indirect_call, 0
	.section	.AMDGPU.csdata,"",@progbits
; Kernel info:
; codeLenInByte = 0
; TotalNumSgprs: 0
; NumVgprs: 0
; ScratchSize: 0
; MemoryBound: 0
; FloatMode: 240
; IeeeMode: 1
; LDSByteSize: 0 bytes/workgroup (compile time only)
; SGPRBlocks: 0
; VGPRBlocks: 0
; NumSGPRsForWavesPerEU: 1
; NumVGPRsForWavesPerEU: 1
; NamedBarCnt: 0
; Occupancy: 16
; WaveLimiterHint : 0
; COMPUTE_PGM_RSRC2:SCRATCH_EN: 0
; COMPUTE_PGM_RSRC2:USER_SGPR: 2
; COMPUTE_PGM_RSRC2:TRAP_HANDLER: 0
; COMPUTE_PGM_RSRC2:TGID_X_EN: 1
; COMPUTE_PGM_RSRC2:TGID_Y_EN: 0
; COMPUTE_PGM_RSRC2:TGID_Z_EN: 0
; COMPUTE_PGM_RSRC2:TIDIG_COMP_CNT: 0
	.section	.text._ZN7rocprim17ROCPRIM_400000_NS6detail17trampoline_kernelINS0_14default_configENS1_27scan_by_key_config_selectorIj11FixedVectorIiLj1EEEEZZNS1_16scan_by_key_implILNS1_25lookback_scan_determinismE0ELb0ES3_N6thrust23THRUST_200600_302600_NS6detail15normal_iteratorINSB_10device_ptrIjEEEENSD_INSE_IS6_EEEESI_S6_NSB_4plusIvEENSB_8equal_toIvEES6_EE10hipError_tPvRmT2_T3_T4_T5_mT6_T7_P12ihipStream_tbENKUlT_T0_E_clISt17integral_constantIbLb1EES12_IbLb0EEEEDaSY_SZ_EUlSY_E_NS1_11comp_targetILNS1_3genE9ELNS1_11target_archE1100ELNS1_3gpuE3ELNS1_3repE0EEENS1_30default_config_static_selectorELNS0_4arch9wavefront6targetE0EEEvT1_,"axG",@progbits,_ZN7rocprim17ROCPRIM_400000_NS6detail17trampoline_kernelINS0_14default_configENS1_27scan_by_key_config_selectorIj11FixedVectorIiLj1EEEEZZNS1_16scan_by_key_implILNS1_25lookback_scan_determinismE0ELb0ES3_N6thrust23THRUST_200600_302600_NS6detail15normal_iteratorINSB_10device_ptrIjEEEENSD_INSE_IS6_EEEESI_S6_NSB_4plusIvEENSB_8equal_toIvEES6_EE10hipError_tPvRmT2_T3_T4_T5_mT6_T7_P12ihipStream_tbENKUlT_T0_E_clISt17integral_constantIbLb1EES12_IbLb0EEEEDaSY_SZ_EUlSY_E_NS1_11comp_targetILNS1_3genE9ELNS1_11target_archE1100ELNS1_3gpuE3ELNS1_3repE0EEENS1_30default_config_static_selectorELNS0_4arch9wavefront6targetE0EEEvT1_,comdat
	.protected	_ZN7rocprim17ROCPRIM_400000_NS6detail17trampoline_kernelINS0_14default_configENS1_27scan_by_key_config_selectorIj11FixedVectorIiLj1EEEEZZNS1_16scan_by_key_implILNS1_25lookback_scan_determinismE0ELb0ES3_N6thrust23THRUST_200600_302600_NS6detail15normal_iteratorINSB_10device_ptrIjEEEENSD_INSE_IS6_EEEESI_S6_NSB_4plusIvEENSB_8equal_toIvEES6_EE10hipError_tPvRmT2_T3_T4_T5_mT6_T7_P12ihipStream_tbENKUlT_T0_E_clISt17integral_constantIbLb1EES12_IbLb0EEEEDaSY_SZ_EUlSY_E_NS1_11comp_targetILNS1_3genE9ELNS1_11target_archE1100ELNS1_3gpuE3ELNS1_3repE0EEENS1_30default_config_static_selectorELNS0_4arch9wavefront6targetE0EEEvT1_ ; -- Begin function _ZN7rocprim17ROCPRIM_400000_NS6detail17trampoline_kernelINS0_14default_configENS1_27scan_by_key_config_selectorIj11FixedVectorIiLj1EEEEZZNS1_16scan_by_key_implILNS1_25lookback_scan_determinismE0ELb0ES3_N6thrust23THRUST_200600_302600_NS6detail15normal_iteratorINSB_10device_ptrIjEEEENSD_INSE_IS6_EEEESI_S6_NSB_4plusIvEENSB_8equal_toIvEES6_EE10hipError_tPvRmT2_T3_T4_T5_mT6_T7_P12ihipStream_tbENKUlT_T0_E_clISt17integral_constantIbLb1EES12_IbLb0EEEEDaSY_SZ_EUlSY_E_NS1_11comp_targetILNS1_3genE9ELNS1_11target_archE1100ELNS1_3gpuE3ELNS1_3repE0EEENS1_30default_config_static_selectorELNS0_4arch9wavefront6targetE0EEEvT1_
	.globl	_ZN7rocprim17ROCPRIM_400000_NS6detail17trampoline_kernelINS0_14default_configENS1_27scan_by_key_config_selectorIj11FixedVectorIiLj1EEEEZZNS1_16scan_by_key_implILNS1_25lookback_scan_determinismE0ELb0ES3_N6thrust23THRUST_200600_302600_NS6detail15normal_iteratorINSB_10device_ptrIjEEEENSD_INSE_IS6_EEEESI_S6_NSB_4plusIvEENSB_8equal_toIvEES6_EE10hipError_tPvRmT2_T3_T4_T5_mT6_T7_P12ihipStream_tbENKUlT_T0_E_clISt17integral_constantIbLb1EES12_IbLb0EEEEDaSY_SZ_EUlSY_E_NS1_11comp_targetILNS1_3genE9ELNS1_11target_archE1100ELNS1_3gpuE3ELNS1_3repE0EEENS1_30default_config_static_selectorELNS0_4arch9wavefront6targetE0EEEvT1_
	.p2align	8
	.type	_ZN7rocprim17ROCPRIM_400000_NS6detail17trampoline_kernelINS0_14default_configENS1_27scan_by_key_config_selectorIj11FixedVectorIiLj1EEEEZZNS1_16scan_by_key_implILNS1_25lookback_scan_determinismE0ELb0ES3_N6thrust23THRUST_200600_302600_NS6detail15normal_iteratorINSB_10device_ptrIjEEEENSD_INSE_IS6_EEEESI_S6_NSB_4plusIvEENSB_8equal_toIvEES6_EE10hipError_tPvRmT2_T3_T4_T5_mT6_T7_P12ihipStream_tbENKUlT_T0_E_clISt17integral_constantIbLb1EES12_IbLb0EEEEDaSY_SZ_EUlSY_E_NS1_11comp_targetILNS1_3genE9ELNS1_11target_archE1100ELNS1_3gpuE3ELNS1_3repE0EEENS1_30default_config_static_selectorELNS0_4arch9wavefront6targetE0EEEvT1_,@function
_ZN7rocprim17ROCPRIM_400000_NS6detail17trampoline_kernelINS0_14default_configENS1_27scan_by_key_config_selectorIj11FixedVectorIiLj1EEEEZZNS1_16scan_by_key_implILNS1_25lookback_scan_determinismE0ELb0ES3_N6thrust23THRUST_200600_302600_NS6detail15normal_iteratorINSB_10device_ptrIjEEEENSD_INSE_IS6_EEEESI_S6_NSB_4plusIvEENSB_8equal_toIvEES6_EE10hipError_tPvRmT2_T3_T4_T5_mT6_T7_P12ihipStream_tbENKUlT_T0_E_clISt17integral_constantIbLb1EES12_IbLb0EEEEDaSY_SZ_EUlSY_E_NS1_11comp_targetILNS1_3genE9ELNS1_11target_archE1100ELNS1_3gpuE3ELNS1_3repE0EEENS1_30default_config_static_selectorELNS0_4arch9wavefront6targetE0EEEvT1_: ; @_ZN7rocprim17ROCPRIM_400000_NS6detail17trampoline_kernelINS0_14default_configENS1_27scan_by_key_config_selectorIj11FixedVectorIiLj1EEEEZZNS1_16scan_by_key_implILNS1_25lookback_scan_determinismE0ELb0ES3_N6thrust23THRUST_200600_302600_NS6detail15normal_iteratorINSB_10device_ptrIjEEEENSD_INSE_IS6_EEEESI_S6_NSB_4plusIvEENSB_8equal_toIvEES6_EE10hipError_tPvRmT2_T3_T4_T5_mT6_T7_P12ihipStream_tbENKUlT_T0_E_clISt17integral_constantIbLb1EES12_IbLb0EEEEDaSY_SZ_EUlSY_E_NS1_11comp_targetILNS1_3genE9ELNS1_11target_archE1100ELNS1_3gpuE3ELNS1_3repE0EEENS1_30default_config_static_selectorELNS0_4arch9wavefront6targetE0EEEvT1_
; %bb.0:
	.section	.rodata,"a",@progbits
	.p2align	6, 0x0
	.amdhsa_kernel _ZN7rocprim17ROCPRIM_400000_NS6detail17trampoline_kernelINS0_14default_configENS1_27scan_by_key_config_selectorIj11FixedVectorIiLj1EEEEZZNS1_16scan_by_key_implILNS1_25lookback_scan_determinismE0ELb0ES3_N6thrust23THRUST_200600_302600_NS6detail15normal_iteratorINSB_10device_ptrIjEEEENSD_INSE_IS6_EEEESI_S6_NSB_4plusIvEENSB_8equal_toIvEES6_EE10hipError_tPvRmT2_T3_T4_T5_mT6_T7_P12ihipStream_tbENKUlT_T0_E_clISt17integral_constantIbLb1EES12_IbLb0EEEEDaSY_SZ_EUlSY_E_NS1_11comp_targetILNS1_3genE9ELNS1_11target_archE1100ELNS1_3gpuE3ELNS1_3repE0EEENS1_30default_config_static_selectorELNS0_4arch9wavefront6targetE0EEEvT1_
		.amdhsa_group_segment_fixed_size 0
		.amdhsa_private_segment_fixed_size 0
		.amdhsa_kernarg_size 112
		.amdhsa_user_sgpr_count 2
		.amdhsa_user_sgpr_dispatch_ptr 0
		.amdhsa_user_sgpr_queue_ptr 0
		.amdhsa_user_sgpr_kernarg_segment_ptr 1
		.amdhsa_user_sgpr_dispatch_id 0
		.amdhsa_user_sgpr_kernarg_preload_length 0
		.amdhsa_user_sgpr_kernarg_preload_offset 0
		.amdhsa_user_sgpr_private_segment_size 0
		.amdhsa_wavefront_size32 1
		.amdhsa_uses_dynamic_stack 0
		.amdhsa_enable_private_segment 0
		.amdhsa_system_sgpr_workgroup_id_x 1
		.amdhsa_system_sgpr_workgroup_id_y 0
		.amdhsa_system_sgpr_workgroup_id_z 0
		.amdhsa_system_sgpr_workgroup_info 0
		.amdhsa_system_vgpr_workitem_id 0
		.amdhsa_next_free_vgpr 1
		.amdhsa_next_free_sgpr 1
		.amdhsa_named_barrier_count 0
		.amdhsa_reserve_vcc 0
		.amdhsa_float_round_mode_32 0
		.amdhsa_float_round_mode_16_64 0
		.amdhsa_float_denorm_mode_32 3
		.amdhsa_float_denorm_mode_16_64 3
		.amdhsa_fp16_overflow 0
		.amdhsa_memory_ordered 1
		.amdhsa_forward_progress 1
		.amdhsa_inst_pref_size 0
		.amdhsa_round_robin_scheduling 0
		.amdhsa_exception_fp_ieee_invalid_op 0
		.amdhsa_exception_fp_denorm_src 0
		.amdhsa_exception_fp_ieee_div_zero 0
		.amdhsa_exception_fp_ieee_overflow 0
		.amdhsa_exception_fp_ieee_underflow 0
		.amdhsa_exception_fp_ieee_inexact 0
		.amdhsa_exception_int_div_zero 0
	.end_amdhsa_kernel
	.section	.text._ZN7rocprim17ROCPRIM_400000_NS6detail17trampoline_kernelINS0_14default_configENS1_27scan_by_key_config_selectorIj11FixedVectorIiLj1EEEEZZNS1_16scan_by_key_implILNS1_25lookback_scan_determinismE0ELb0ES3_N6thrust23THRUST_200600_302600_NS6detail15normal_iteratorINSB_10device_ptrIjEEEENSD_INSE_IS6_EEEESI_S6_NSB_4plusIvEENSB_8equal_toIvEES6_EE10hipError_tPvRmT2_T3_T4_T5_mT6_T7_P12ihipStream_tbENKUlT_T0_E_clISt17integral_constantIbLb1EES12_IbLb0EEEEDaSY_SZ_EUlSY_E_NS1_11comp_targetILNS1_3genE9ELNS1_11target_archE1100ELNS1_3gpuE3ELNS1_3repE0EEENS1_30default_config_static_selectorELNS0_4arch9wavefront6targetE0EEEvT1_,"axG",@progbits,_ZN7rocprim17ROCPRIM_400000_NS6detail17trampoline_kernelINS0_14default_configENS1_27scan_by_key_config_selectorIj11FixedVectorIiLj1EEEEZZNS1_16scan_by_key_implILNS1_25lookback_scan_determinismE0ELb0ES3_N6thrust23THRUST_200600_302600_NS6detail15normal_iteratorINSB_10device_ptrIjEEEENSD_INSE_IS6_EEEESI_S6_NSB_4plusIvEENSB_8equal_toIvEES6_EE10hipError_tPvRmT2_T3_T4_T5_mT6_T7_P12ihipStream_tbENKUlT_T0_E_clISt17integral_constantIbLb1EES12_IbLb0EEEEDaSY_SZ_EUlSY_E_NS1_11comp_targetILNS1_3genE9ELNS1_11target_archE1100ELNS1_3gpuE3ELNS1_3repE0EEENS1_30default_config_static_selectorELNS0_4arch9wavefront6targetE0EEEvT1_,comdat
.Lfunc_end1898:
	.size	_ZN7rocprim17ROCPRIM_400000_NS6detail17trampoline_kernelINS0_14default_configENS1_27scan_by_key_config_selectorIj11FixedVectorIiLj1EEEEZZNS1_16scan_by_key_implILNS1_25lookback_scan_determinismE0ELb0ES3_N6thrust23THRUST_200600_302600_NS6detail15normal_iteratorINSB_10device_ptrIjEEEENSD_INSE_IS6_EEEESI_S6_NSB_4plusIvEENSB_8equal_toIvEES6_EE10hipError_tPvRmT2_T3_T4_T5_mT6_T7_P12ihipStream_tbENKUlT_T0_E_clISt17integral_constantIbLb1EES12_IbLb0EEEEDaSY_SZ_EUlSY_E_NS1_11comp_targetILNS1_3genE9ELNS1_11target_archE1100ELNS1_3gpuE3ELNS1_3repE0EEENS1_30default_config_static_selectorELNS0_4arch9wavefront6targetE0EEEvT1_, .Lfunc_end1898-_ZN7rocprim17ROCPRIM_400000_NS6detail17trampoline_kernelINS0_14default_configENS1_27scan_by_key_config_selectorIj11FixedVectorIiLj1EEEEZZNS1_16scan_by_key_implILNS1_25lookback_scan_determinismE0ELb0ES3_N6thrust23THRUST_200600_302600_NS6detail15normal_iteratorINSB_10device_ptrIjEEEENSD_INSE_IS6_EEEESI_S6_NSB_4plusIvEENSB_8equal_toIvEES6_EE10hipError_tPvRmT2_T3_T4_T5_mT6_T7_P12ihipStream_tbENKUlT_T0_E_clISt17integral_constantIbLb1EES12_IbLb0EEEEDaSY_SZ_EUlSY_E_NS1_11comp_targetILNS1_3genE9ELNS1_11target_archE1100ELNS1_3gpuE3ELNS1_3repE0EEENS1_30default_config_static_selectorELNS0_4arch9wavefront6targetE0EEEvT1_
                                        ; -- End function
	.set _ZN7rocprim17ROCPRIM_400000_NS6detail17trampoline_kernelINS0_14default_configENS1_27scan_by_key_config_selectorIj11FixedVectorIiLj1EEEEZZNS1_16scan_by_key_implILNS1_25lookback_scan_determinismE0ELb0ES3_N6thrust23THRUST_200600_302600_NS6detail15normal_iteratorINSB_10device_ptrIjEEEENSD_INSE_IS6_EEEESI_S6_NSB_4plusIvEENSB_8equal_toIvEES6_EE10hipError_tPvRmT2_T3_T4_T5_mT6_T7_P12ihipStream_tbENKUlT_T0_E_clISt17integral_constantIbLb1EES12_IbLb0EEEEDaSY_SZ_EUlSY_E_NS1_11comp_targetILNS1_3genE9ELNS1_11target_archE1100ELNS1_3gpuE3ELNS1_3repE0EEENS1_30default_config_static_selectorELNS0_4arch9wavefront6targetE0EEEvT1_.num_vgpr, 0
	.set _ZN7rocprim17ROCPRIM_400000_NS6detail17trampoline_kernelINS0_14default_configENS1_27scan_by_key_config_selectorIj11FixedVectorIiLj1EEEEZZNS1_16scan_by_key_implILNS1_25lookback_scan_determinismE0ELb0ES3_N6thrust23THRUST_200600_302600_NS6detail15normal_iteratorINSB_10device_ptrIjEEEENSD_INSE_IS6_EEEESI_S6_NSB_4plusIvEENSB_8equal_toIvEES6_EE10hipError_tPvRmT2_T3_T4_T5_mT6_T7_P12ihipStream_tbENKUlT_T0_E_clISt17integral_constantIbLb1EES12_IbLb0EEEEDaSY_SZ_EUlSY_E_NS1_11comp_targetILNS1_3genE9ELNS1_11target_archE1100ELNS1_3gpuE3ELNS1_3repE0EEENS1_30default_config_static_selectorELNS0_4arch9wavefront6targetE0EEEvT1_.num_agpr, 0
	.set _ZN7rocprim17ROCPRIM_400000_NS6detail17trampoline_kernelINS0_14default_configENS1_27scan_by_key_config_selectorIj11FixedVectorIiLj1EEEEZZNS1_16scan_by_key_implILNS1_25lookback_scan_determinismE0ELb0ES3_N6thrust23THRUST_200600_302600_NS6detail15normal_iteratorINSB_10device_ptrIjEEEENSD_INSE_IS6_EEEESI_S6_NSB_4plusIvEENSB_8equal_toIvEES6_EE10hipError_tPvRmT2_T3_T4_T5_mT6_T7_P12ihipStream_tbENKUlT_T0_E_clISt17integral_constantIbLb1EES12_IbLb0EEEEDaSY_SZ_EUlSY_E_NS1_11comp_targetILNS1_3genE9ELNS1_11target_archE1100ELNS1_3gpuE3ELNS1_3repE0EEENS1_30default_config_static_selectorELNS0_4arch9wavefront6targetE0EEEvT1_.numbered_sgpr, 0
	.set _ZN7rocprim17ROCPRIM_400000_NS6detail17trampoline_kernelINS0_14default_configENS1_27scan_by_key_config_selectorIj11FixedVectorIiLj1EEEEZZNS1_16scan_by_key_implILNS1_25lookback_scan_determinismE0ELb0ES3_N6thrust23THRUST_200600_302600_NS6detail15normal_iteratorINSB_10device_ptrIjEEEENSD_INSE_IS6_EEEESI_S6_NSB_4plusIvEENSB_8equal_toIvEES6_EE10hipError_tPvRmT2_T3_T4_T5_mT6_T7_P12ihipStream_tbENKUlT_T0_E_clISt17integral_constantIbLb1EES12_IbLb0EEEEDaSY_SZ_EUlSY_E_NS1_11comp_targetILNS1_3genE9ELNS1_11target_archE1100ELNS1_3gpuE3ELNS1_3repE0EEENS1_30default_config_static_selectorELNS0_4arch9wavefront6targetE0EEEvT1_.num_named_barrier, 0
	.set _ZN7rocprim17ROCPRIM_400000_NS6detail17trampoline_kernelINS0_14default_configENS1_27scan_by_key_config_selectorIj11FixedVectorIiLj1EEEEZZNS1_16scan_by_key_implILNS1_25lookback_scan_determinismE0ELb0ES3_N6thrust23THRUST_200600_302600_NS6detail15normal_iteratorINSB_10device_ptrIjEEEENSD_INSE_IS6_EEEESI_S6_NSB_4plusIvEENSB_8equal_toIvEES6_EE10hipError_tPvRmT2_T3_T4_T5_mT6_T7_P12ihipStream_tbENKUlT_T0_E_clISt17integral_constantIbLb1EES12_IbLb0EEEEDaSY_SZ_EUlSY_E_NS1_11comp_targetILNS1_3genE9ELNS1_11target_archE1100ELNS1_3gpuE3ELNS1_3repE0EEENS1_30default_config_static_selectorELNS0_4arch9wavefront6targetE0EEEvT1_.private_seg_size, 0
	.set _ZN7rocprim17ROCPRIM_400000_NS6detail17trampoline_kernelINS0_14default_configENS1_27scan_by_key_config_selectorIj11FixedVectorIiLj1EEEEZZNS1_16scan_by_key_implILNS1_25lookback_scan_determinismE0ELb0ES3_N6thrust23THRUST_200600_302600_NS6detail15normal_iteratorINSB_10device_ptrIjEEEENSD_INSE_IS6_EEEESI_S6_NSB_4plusIvEENSB_8equal_toIvEES6_EE10hipError_tPvRmT2_T3_T4_T5_mT6_T7_P12ihipStream_tbENKUlT_T0_E_clISt17integral_constantIbLb1EES12_IbLb0EEEEDaSY_SZ_EUlSY_E_NS1_11comp_targetILNS1_3genE9ELNS1_11target_archE1100ELNS1_3gpuE3ELNS1_3repE0EEENS1_30default_config_static_selectorELNS0_4arch9wavefront6targetE0EEEvT1_.uses_vcc, 0
	.set _ZN7rocprim17ROCPRIM_400000_NS6detail17trampoline_kernelINS0_14default_configENS1_27scan_by_key_config_selectorIj11FixedVectorIiLj1EEEEZZNS1_16scan_by_key_implILNS1_25lookback_scan_determinismE0ELb0ES3_N6thrust23THRUST_200600_302600_NS6detail15normal_iteratorINSB_10device_ptrIjEEEENSD_INSE_IS6_EEEESI_S6_NSB_4plusIvEENSB_8equal_toIvEES6_EE10hipError_tPvRmT2_T3_T4_T5_mT6_T7_P12ihipStream_tbENKUlT_T0_E_clISt17integral_constantIbLb1EES12_IbLb0EEEEDaSY_SZ_EUlSY_E_NS1_11comp_targetILNS1_3genE9ELNS1_11target_archE1100ELNS1_3gpuE3ELNS1_3repE0EEENS1_30default_config_static_selectorELNS0_4arch9wavefront6targetE0EEEvT1_.uses_flat_scratch, 0
	.set _ZN7rocprim17ROCPRIM_400000_NS6detail17trampoline_kernelINS0_14default_configENS1_27scan_by_key_config_selectorIj11FixedVectorIiLj1EEEEZZNS1_16scan_by_key_implILNS1_25lookback_scan_determinismE0ELb0ES3_N6thrust23THRUST_200600_302600_NS6detail15normal_iteratorINSB_10device_ptrIjEEEENSD_INSE_IS6_EEEESI_S6_NSB_4plusIvEENSB_8equal_toIvEES6_EE10hipError_tPvRmT2_T3_T4_T5_mT6_T7_P12ihipStream_tbENKUlT_T0_E_clISt17integral_constantIbLb1EES12_IbLb0EEEEDaSY_SZ_EUlSY_E_NS1_11comp_targetILNS1_3genE9ELNS1_11target_archE1100ELNS1_3gpuE3ELNS1_3repE0EEENS1_30default_config_static_selectorELNS0_4arch9wavefront6targetE0EEEvT1_.has_dyn_sized_stack, 0
	.set _ZN7rocprim17ROCPRIM_400000_NS6detail17trampoline_kernelINS0_14default_configENS1_27scan_by_key_config_selectorIj11FixedVectorIiLj1EEEEZZNS1_16scan_by_key_implILNS1_25lookback_scan_determinismE0ELb0ES3_N6thrust23THRUST_200600_302600_NS6detail15normal_iteratorINSB_10device_ptrIjEEEENSD_INSE_IS6_EEEESI_S6_NSB_4plusIvEENSB_8equal_toIvEES6_EE10hipError_tPvRmT2_T3_T4_T5_mT6_T7_P12ihipStream_tbENKUlT_T0_E_clISt17integral_constantIbLb1EES12_IbLb0EEEEDaSY_SZ_EUlSY_E_NS1_11comp_targetILNS1_3genE9ELNS1_11target_archE1100ELNS1_3gpuE3ELNS1_3repE0EEENS1_30default_config_static_selectorELNS0_4arch9wavefront6targetE0EEEvT1_.has_recursion, 0
	.set _ZN7rocprim17ROCPRIM_400000_NS6detail17trampoline_kernelINS0_14default_configENS1_27scan_by_key_config_selectorIj11FixedVectorIiLj1EEEEZZNS1_16scan_by_key_implILNS1_25lookback_scan_determinismE0ELb0ES3_N6thrust23THRUST_200600_302600_NS6detail15normal_iteratorINSB_10device_ptrIjEEEENSD_INSE_IS6_EEEESI_S6_NSB_4plusIvEENSB_8equal_toIvEES6_EE10hipError_tPvRmT2_T3_T4_T5_mT6_T7_P12ihipStream_tbENKUlT_T0_E_clISt17integral_constantIbLb1EES12_IbLb0EEEEDaSY_SZ_EUlSY_E_NS1_11comp_targetILNS1_3genE9ELNS1_11target_archE1100ELNS1_3gpuE3ELNS1_3repE0EEENS1_30default_config_static_selectorELNS0_4arch9wavefront6targetE0EEEvT1_.has_indirect_call, 0
	.section	.AMDGPU.csdata,"",@progbits
; Kernel info:
; codeLenInByte = 0
; TotalNumSgprs: 0
; NumVgprs: 0
; ScratchSize: 0
; MemoryBound: 0
; FloatMode: 240
; IeeeMode: 1
; LDSByteSize: 0 bytes/workgroup (compile time only)
; SGPRBlocks: 0
; VGPRBlocks: 0
; NumSGPRsForWavesPerEU: 1
; NumVGPRsForWavesPerEU: 1
; NamedBarCnt: 0
; Occupancy: 16
; WaveLimiterHint : 0
; COMPUTE_PGM_RSRC2:SCRATCH_EN: 0
; COMPUTE_PGM_RSRC2:USER_SGPR: 2
; COMPUTE_PGM_RSRC2:TRAP_HANDLER: 0
; COMPUTE_PGM_RSRC2:TGID_X_EN: 1
; COMPUTE_PGM_RSRC2:TGID_Y_EN: 0
; COMPUTE_PGM_RSRC2:TGID_Z_EN: 0
; COMPUTE_PGM_RSRC2:TIDIG_COMP_CNT: 0
	.section	.text._ZN7rocprim17ROCPRIM_400000_NS6detail17trampoline_kernelINS0_14default_configENS1_27scan_by_key_config_selectorIj11FixedVectorIiLj1EEEEZZNS1_16scan_by_key_implILNS1_25lookback_scan_determinismE0ELb0ES3_N6thrust23THRUST_200600_302600_NS6detail15normal_iteratorINSB_10device_ptrIjEEEENSD_INSE_IS6_EEEESI_S6_NSB_4plusIvEENSB_8equal_toIvEES6_EE10hipError_tPvRmT2_T3_T4_T5_mT6_T7_P12ihipStream_tbENKUlT_T0_E_clISt17integral_constantIbLb1EES12_IbLb0EEEEDaSY_SZ_EUlSY_E_NS1_11comp_targetILNS1_3genE8ELNS1_11target_archE1030ELNS1_3gpuE2ELNS1_3repE0EEENS1_30default_config_static_selectorELNS0_4arch9wavefront6targetE0EEEvT1_,"axG",@progbits,_ZN7rocprim17ROCPRIM_400000_NS6detail17trampoline_kernelINS0_14default_configENS1_27scan_by_key_config_selectorIj11FixedVectorIiLj1EEEEZZNS1_16scan_by_key_implILNS1_25lookback_scan_determinismE0ELb0ES3_N6thrust23THRUST_200600_302600_NS6detail15normal_iteratorINSB_10device_ptrIjEEEENSD_INSE_IS6_EEEESI_S6_NSB_4plusIvEENSB_8equal_toIvEES6_EE10hipError_tPvRmT2_T3_T4_T5_mT6_T7_P12ihipStream_tbENKUlT_T0_E_clISt17integral_constantIbLb1EES12_IbLb0EEEEDaSY_SZ_EUlSY_E_NS1_11comp_targetILNS1_3genE8ELNS1_11target_archE1030ELNS1_3gpuE2ELNS1_3repE0EEENS1_30default_config_static_selectorELNS0_4arch9wavefront6targetE0EEEvT1_,comdat
	.protected	_ZN7rocprim17ROCPRIM_400000_NS6detail17trampoline_kernelINS0_14default_configENS1_27scan_by_key_config_selectorIj11FixedVectorIiLj1EEEEZZNS1_16scan_by_key_implILNS1_25lookback_scan_determinismE0ELb0ES3_N6thrust23THRUST_200600_302600_NS6detail15normal_iteratorINSB_10device_ptrIjEEEENSD_INSE_IS6_EEEESI_S6_NSB_4plusIvEENSB_8equal_toIvEES6_EE10hipError_tPvRmT2_T3_T4_T5_mT6_T7_P12ihipStream_tbENKUlT_T0_E_clISt17integral_constantIbLb1EES12_IbLb0EEEEDaSY_SZ_EUlSY_E_NS1_11comp_targetILNS1_3genE8ELNS1_11target_archE1030ELNS1_3gpuE2ELNS1_3repE0EEENS1_30default_config_static_selectorELNS0_4arch9wavefront6targetE0EEEvT1_ ; -- Begin function _ZN7rocprim17ROCPRIM_400000_NS6detail17trampoline_kernelINS0_14default_configENS1_27scan_by_key_config_selectorIj11FixedVectorIiLj1EEEEZZNS1_16scan_by_key_implILNS1_25lookback_scan_determinismE0ELb0ES3_N6thrust23THRUST_200600_302600_NS6detail15normal_iteratorINSB_10device_ptrIjEEEENSD_INSE_IS6_EEEESI_S6_NSB_4plusIvEENSB_8equal_toIvEES6_EE10hipError_tPvRmT2_T3_T4_T5_mT6_T7_P12ihipStream_tbENKUlT_T0_E_clISt17integral_constantIbLb1EES12_IbLb0EEEEDaSY_SZ_EUlSY_E_NS1_11comp_targetILNS1_3genE8ELNS1_11target_archE1030ELNS1_3gpuE2ELNS1_3repE0EEENS1_30default_config_static_selectorELNS0_4arch9wavefront6targetE0EEEvT1_
	.globl	_ZN7rocprim17ROCPRIM_400000_NS6detail17trampoline_kernelINS0_14default_configENS1_27scan_by_key_config_selectorIj11FixedVectorIiLj1EEEEZZNS1_16scan_by_key_implILNS1_25lookback_scan_determinismE0ELb0ES3_N6thrust23THRUST_200600_302600_NS6detail15normal_iteratorINSB_10device_ptrIjEEEENSD_INSE_IS6_EEEESI_S6_NSB_4plusIvEENSB_8equal_toIvEES6_EE10hipError_tPvRmT2_T3_T4_T5_mT6_T7_P12ihipStream_tbENKUlT_T0_E_clISt17integral_constantIbLb1EES12_IbLb0EEEEDaSY_SZ_EUlSY_E_NS1_11comp_targetILNS1_3genE8ELNS1_11target_archE1030ELNS1_3gpuE2ELNS1_3repE0EEENS1_30default_config_static_selectorELNS0_4arch9wavefront6targetE0EEEvT1_
	.p2align	8
	.type	_ZN7rocprim17ROCPRIM_400000_NS6detail17trampoline_kernelINS0_14default_configENS1_27scan_by_key_config_selectorIj11FixedVectorIiLj1EEEEZZNS1_16scan_by_key_implILNS1_25lookback_scan_determinismE0ELb0ES3_N6thrust23THRUST_200600_302600_NS6detail15normal_iteratorINSB_10device_ptrIjEEEENSD_INSE_IS6_EEEESI_S6_NSB_4plusIvEENSB_8equal_toIvEES6_EE10hipError_tPvRmT2_T3_T4_T5_mT6_T7_P12ihipStream_tbENKUlT_T0_E_clISt17integral_constantIbLb1EES12_IbLb0EEEEDaSY_SZ_EUlSY_E_NS1_11comp_targetILNS1_3genE8ELNS1_11target_archE1030ELNS1_3gpuE2ELNS1_3repE0EEENS1_30default_config_static_selectorELNS0_4arch9wavefront6targetE0EEEvT1_,@function
_ZN7rocprim17ROCPRIM_400000_NS6detail17trampoline_kernelINS0_14default_configENS1_27scan_by_key_config_selectorIj11FixedVectorIiLj1EEEEZZNS1_16scan_by_key_implILNS1_25lookback_scan_determinismE0ELb0ES3_N6thrust23THRUST_200600_302600_NS6detail15normal_iteratorINSB_10device_ptrIjEEEENSD_INSE_IS6_EEEESI_S6_NSB_4plusIvEENSB_8equal_toIvEES6_EE10hipError_tPvRmT2_T3_T4_T5_mT6_T7_P12ihipStream_tbENKUlT_T0_E_clISt17integral_constantIbLb1EES12_IbLb0EEEEDaSY_SZ_EUlSY_E_NS1_11comp_targetILNS1_3genE8ELNS1_11target_archE1030ELNS1_3gpuE2ELNS1_3repE0EEENS1_30default_config_static_selectorELNS0_4arch9wavefront6targetE0EEEvT1_: ; @_ZN7rocprim17ROCPRIM_400000_NS6detail17trampoline_kernelINS0_14default_configENS1_27scan_by_key_config_selectorIj11FixedVectorIiLj1EEEEZZNS1_16scan_by_key_implILNS1_25lookback_scan_determinismE0ELb0ES3_N6thrust23THRUST_200600_302600_NS6detail15normal_iteratorINSB_10device_ptrIjEEEENSD_INSE_IS6_EEEESI_S6_NSB_4plusIvEENSB_8equal_toIvEES6_EE10hipError_tPvRmT2_T3_T4_T5_mT6_T7_P12ihipStream_tbENKUlT_T0_E_clISt17integral_constantIbLb1EES12_IbLb0EEEEDaSY_SZ_EUlSY_E_NS1_11comp_targetILNS1_3genE8ELNS1_11target_archE1030ELNS1_3gpuE2ELNS1_3repE0EEENS1_30default_config_static_selectorELNS0_4arch9wavefront6targetE0EEEvT1_
; %bb.0:
	.section	.rodata,"a",@progbits
	.p2align	6, 0x0
	.amdhsa_kernel _ZN7rocprim17ROCPRIM_400000_NS6detail17trampoline_kernelINS0_14default_configENS1_27scan_by_key_config_selectorIj11FixedVectorIiLj1EEEEZZNS1_16scan_by_key_implILNS1_25lookback_scan_determinismE0ELb0ES3_N6thrust23THRUST_200600_302600_NS6detail15normal_iteratorINSB_10device_ptrIjEEEENSD_INSE_IS6_EEEESI_S6_NSB_4plusIvEENSB_8equal_toIvEES6_EE10hipError_tPvRmT2_T3_T4_T5_mT6_T7_P12ihipStream_tbENKUlT_T0_E_clISt17integral_constantIbLb1EES12_IbLb0EEEEDaSY_SZ_EUlSY_E_NS1_11comp_targetILNS1_3genE8ELNS1_11target_archE1030ELNS1_3gpuE2ELNS1_3repE0EEENS1_30default_config_static_selectorELNS0_4arch9wavefront6targetE0EEEvT1_
		.amdhsa_group_segment_fixed_size 0
		.amdhsa_private_segment_fixed_size 0
		.amdhsa_kernarg_size 112
		.amdhsa_user_sgpr_count 2
		.amdhsa_user_sgpr_dispatch_ptr 0
		.amdhsa_user_sgpr_queue_ptr 0
		.amdhsa_user_sgpr_kernarg_segment_ptr 1
		.amdhsa_user_sgpr_dispatch_id 0
		.amdhsa_user_sgpr_kernarg_preload_length 0
		.amdhsa_user_sgpr_kernarg_preload_offset 0
		.amdhsa_user_sgpr_private_segment_size 0
		.amdhsa_wavefront_size32 1
		.amdhsa_uses_dynamic_stack 0
		.amdhsa_enable_private_segment 0
		.amdhsa_system_sgpr_workgroup_id_x 1
		.amdhsa_system_sgpr_workgroup_id_y 0
		.amdhsa_system_sgpr_workgroup_id_z 0
		.amdhsa_system_sgpr_workgroup_info 0
		.amdhsa_system_vgpr_workitem_id 0
		.amdhsa_next_free_vgpr 1
		.amdhsa_next_free_sgpr 1
		.amdhsa_named_barrier_count 0
		.amdhsa_reserve_vcc 0
		.amdhsa_float_round_mode_32 0
		.amdhsa_float_round_mode_16_64 0
		.amdhsa_float_denorm_mode_32 3
		.amdhsa_float_denorm_mode_16_64 3
		.amdhsa_fp16_overflow 0
		.amdhsa_memory_ordered 1
		.amdhsa_forward_progress 1
		.amdhsa_inst_pref_size 0
		.amdhsa_round_robin_scheduling 0
		.amdhsa_exception_fp_ieee_invalid_op 0
		.amdhsa_exception_fp_denorm_src 0
		.amdhsa_exception_fp_ieee_div_zero 0
		.amdhsa_exception_fp_ieee_overflow 0
		.amdhsa_exception_fp_ieee_underflow 0
		.amdhsa_exception_fp_ieee_inexact 0
		.amdhsa_exception_int_div_zero 0
	.end_amdhsa_kernel
	.section	.text._ZN7rocprim17ROCPRIM_400000_NS6detail17trampoline_kernelINS0_14default_configENS1_27scan_by_key_config_selectorIj11FixedVectorIiLj1EEEEZZNS1_16scan_by_key_implILNS1_25lookback_scan_determinismE0ELb0ES3_N6thrust23THRUST_200600_302600_NS6detail15normal_iteratorINSB_10device_ptrIjEEEENSD_INSE_IS6_EEEESI_S6_NSB_4plusIvEENSB_8equal_toIvEES6_EE10hipError_tPvRmT2_T3_T4_T5_mT6_T7_P12ihipStream_tbENKUlT_T0_E_clISt17integral_constantIbLb1EES12_IbLb0EEEEDaSY_SZ_EUlSY_E_NS1_11comp_targetILNS1_3genE8ELNS1_11target_archE1030ELNS1_3gpuE2ELNS1_3repE0EEENS1_30default_config_static_selectorELNS0_4arch9wavefront6targetE0EEEvT1_,"axG",@progbits,_ZN7rocprim17ROCPRIM_400000_NS6detail17trampoline_kernelINS0_14default_configENS1_27scan_by_key_config_selectorIj11FixedVectorIiLj1EEEEZZNS1_16scan_by_key_implILNS1_25lookback_scan_determinismE0ELb0ES3_N6thrust23THRUST_200600_302600_NS6detail15normal_iteratorINSB_10device_ptrIjEEEENSD_INSE_IS6_EEEESI_S6_NSB_4plusIvEENSB_8equal_toIvEES6_EE10hipError_tPvRmT2_T3_T4_T5_mT6_T7_P12ihipStream_tbENKUlT_T0_E_clISt17integral_constantIbLb1EES12_IbLb0EEEEDaSY_SZ_EUlSY_E_NS1_11comp_targetILNS1_3genE8ELNS1_11target_archE1030ELNS1_3gpuE2ELNS1_3repE0EEENS1_30default_config_static_selectorELNS0_4arch9wavefront6targetE0EEEvT1_,comdat
.Lfunc_end1899:
	.size	_ZN7rocprim17ROCPRIM_400000_NS6detail17trampoline_kernelINS0_14default_configENS1_27scan_by_key_config_selectorIj11FixedVectorIiLj1EEEEZZNS1_16scan_by_key_implILNS1_25lookback_scan_determinismE0ELb0ES3_N6thrust23THRUST_200600_302600_NS6detail15normal_iteratorINSB_10device_ptrIjEEEENSD_INSE_IS6_EEEESI_S6_NSB_4plusIvEENSB_8equal_toIvEES6_EE10hipError_tPvRmT2_T3_T4_T5_mT6_T7_P12ihipStream_tbENKUlT_T0_E_clISt17integral_constantIbLb1EES12_IbLb0EEEEDaSY_SZ_EUlSY_E_NS1_11comp_targetILNS1_3genE8ELNS1_11target_archE1030ELNS1_3gpuE2ELNS1_3repE0EEENS1_30default_config_static_selectorELNS0_4arch9wavefront6targetE0EEEvT1_, .Lfunc_end1899-_ZN7rocprim17ROCPRIM_400000_NS6detail17trampoline_kernelINS0_14default_configENS1_27scan_by_key_config_selectorIj11FixedVectorIiLj1EEEEZZNS1_16scan_by_key_implILNS1_25lookback_scan_determinismE0ELb0ES3_N6thrust23THRUST_200600_302600_NS6detail15normal_iteratorINSB_10device_ptrIjEEEENSD_INSE_IS6_EEEESI_S6_NSB_4plusIvEENSB_8equal_toIvEES6_EE10hipError_tPvRmT2_T3_T4_T5_mT6_T7_P12ihipStream_tbENKUlT_T0_E_clISt17integral_constantIbLb1EES12_IbLb0EEEEDaSY_SZ_EUlSY_E_NS1_11comp_targetILNS1_3genE8ELNS1_11target_archE1030ELNS1_3gpuE2ELNS1_3repE0EEENS1_30default_config_static_selectorELNS0_4arch9wavefront6targetE0EEEvT1_
                                        ; -- End function
	.set _ZN7rocprim17ROCPRIM_400000_NS6detail17trampoline_kernelINS0_14default_configENS1_27scan_by_key_config_selectorIj11FixedVectorIiLj1EEEEZZNS1_16scan_by_key_implILNS1_25lookback_scan_determinismE0ELb0ES3_N6thrust23THRUST_200600_302600_NS6detail15normal_iteratorINSB_10device_ptrIjEEEENSD_INSE_IS6_EEEESI_S6_NSB_4plusIvEENSB_8equal_toIvEES6_EE10hipError_tPvRmT2_T3_T4_T5_mT6_T7_P12ihipStream_tbENKUlT_T0_E_clISt17integral_constantIbLb1EES12_IbLb0EEEEDaSY_SZ_EUlSY_E_NS1_11comp_targetILNS1_3genE8ELNS1_11target_archE1030ELNS1_3gpuE2ELNS1_3repE0EEENS1_30default_config_static_selectorELNS0_4arch9wavefront6targetE0EEEvT1_.num_vgpr, 0
	.set _ZN7rocprim17ROCPRIM_400000_NS6detail17trampoline_kernelINS0_14default_configENS1_27scan_by_key_config_selectorIj11FixedVectorIiLj1EEEEZZNS1_16scan_by_key_implILNS1_25lookback_scan_determinismE0ELb0ES3_N6thrust23THRUST_200600_302600_NS6detail15normal_iteratorINSB_10device_ptrIjEEEENSD_INSE_IS6_EEEESI_S6_NSB_4plusIvEENSB_8equal_toIvEES6_EE10hipError_tPvRmT2_T3_T4_T5_mT6_T7_P12ihipStream_tbENKUlT_T0_E_clISt17integral_constantIbLb1EES12_IbLb0EEEEDaSY_SZ_EUlSY_E_NS1_11comp_targetILNS1_3genE8ELNS1_11target_archE1030ELNS1_3gpuE2ELNS1_3repE0EEENS1_30default_config_static_selectorELNS0_4arch9wavefront6targetE0EEEvT1_.num_agpr, 0
	.set _ZN7rocprim17ROCPRIM_400000_NS6detail17trampoline_kernelINS0_14default_configENS1_27scan_by_key_config_selectorIj11FixedVectorIiLj1EEEEZZNS1_16scan_by_key_implILNS1_25lookback_scan_determinismE0ELb0ES3_N6thrust23THRUST_200600_302600_NS6detail15normal_iteratorINSB_10device_ptrIjEEEENSD_INSE_IS6_EEEESI_S6_NSB_4plusIvEENSB_8equal_toIvEES6_EE10hipError_tPvRmT2_T3_T4_T5_mT6_T7_P12ihipStream_tbENKUlT_T0_E_clISt17integral_constantIbLb1EES12_IbLb0EEEEDaSY_SZ_EUlSY_E_NS1_11comp_targetILNS1_3genE8ELNS1_11target_archE1030ELNS1_3gpuE2ELNS1_3repE0EEENS1_30default_config_static_selectorELNS0_4arch9wavefront6targetE0EEEvT1_.numbered_sgpr, 0
	.set _ZN7rocprim17ROCPRIM_400000_NS6detail17trampoline_kernelINS0_14default_configENS1_27scan_by_key_config_selectorIj11FixedVectorIiLj1EEEEZZNS1_16scan_by_key_implILNS1_25lookback_scan_determinismE0ELb0ES3_N6thrust23THRUST_200600_302600_NS6detail15normal_iteratorINSB_10device_ptrIjEEEENSD_INSE_IS6_EEEESI_S6_NSB_4plusIvEENSB_8equal_toIvEES6_EE10hipError_tPvRmT2_T3_T4_T5_mT6_T7_P12ihipStream_tbENKUlT_T0_E_clISt17integral_constantIbLb1EES12_IbLb0EEEEDaSY_SZ_EUlSY_E_NS1_11comp_targetILNS1_3genE8ELNS1_11target_archE1030ELNS1_3gpuE2ELNS1_3repE0EEENS1_30default_config_static_selectorELNS0_4arch9wavefront6targetE0EEEvT1_.num_named_barrier, 0
	.set _ZN7rocprim17ROCPRIM_400000_NS6detail17trampoline_kernelINS0_14default_configENS1_27scan_by_key_config_selectorIj11FixedVectorIiLj1EEEEZZNS1_16scan_by_key_implILNS1_25lookback_scan_determinismE0ELb0ES3_N6thrust23THRUST_200600_302600_NS6detail15normal_iteratorINSB_10device_ptrIjEEEENSD_INSE_IS6_EEEESI_S6_NSB_4plusIvEENSB_8equal_toIvEES6_EE10hipError_tPvRmT2_T3_T4_T5_mT6_T7_P12ihipStream_tbENKUlT_T0_E_clISt17integral_constantIbLb1EES12_IbLb0EEEEDaSY_SZ_EUlSY_E_NS1_11comp_targetILNS1_3genE8ELNS1_11target_archE1030ELNS1_3gpuE2ELNS1_3repE0EEENS1_30default_config_static_selectorELNS0_4arch9wavefront6targetE0EEEvT1_.private_seg_size, 0
	.set _ZN7rocprim17ROCPRIM_400000_NS6detail17trampoline_kernelINS0_14default_configENS1_27scan_by_key_config_selectorIj11FixedVectorIiLj1EEEEZZNS1_16scan_by_key_implILNS1_25lookback_scan_determinismE0ELb0ES3_N6thrust23THRUST_200600_302600_NS6detail15normal_iteratorINSB_10device_ptrIjEEEENSD_INSE_IS6_EEEESI_S6_NSB_4plusIvEENSB_8equal_toIvEES6_EE10hipError_tPvRmT2_T3_T4_T5_mT6_T7_P12ihipStream_tbENKUlT_T0_E_clISt17integral_constantIbLb1EES12_IbLb0EEEEDaSY_SZ_EUlSY_E_NS1_11comp_targetILNS1_3genE8ELNS1_11target_archE1030ELNS1_3gpuE2ELNS1_3repE0EEENS1_30default_config_static_selectorELNS0_4arch9wavefront6targetE0EEEvT1_.uses_vcc, 0
	.set _ZN7rocprim17ROCPRIM_400000_NS6detail17trampoline_kernelINS0_14default_configENS1_27scan_by_key_config_selectorIj11FixedVectorIiLj1EEEEZZNS1_16scan_by_key_implILNS1_25lookback_scan_determinismE0ELb0ES3_N6thrust23THRUST_200600_302600_NS6detail15normal_iteratorINSB_10device_ptrIjEEEENSD_INSE_IS6_EEEESI_S6_NSB_4plusIvEENSB_8equal_toIvEES6_EE10hipError_tPvRmT2_T3_T4_T5_mT6_T7_P12ihipStream_tbENKUlT_T0_E_clISt17integral_constantIbLb1EES12_IbLb0EEEEDaSY_SZ_EUlSY_E_NS1_11comp_targetILNS1_3genE8ELNS1_11target_archE1030ELNS1_3gpuE2ELNS1_3repE0EEENS1_30default_config_static_selectorELNS0_4arch9wavefront6targetE0EEEvT1_.uses_flat_scratch, 0
	.set _ZN7rocprim17ROCPRIM_400000_NS6detail17trampoline_kernelINS0_14default_configENS1_27scan_by_key_config_selectorIj11FixedVectorIiLj1EEEEZZNS1_16scan_by_key_implILNS1_25lookback_scan_determinismE0ELb0ES3_N6thrust23THRUST_200600_302600_NS6detail15normal_iteratorINSB_10device_ptrIjEEEENSD_INSE_IS6_EEEESI_S6_NSB_4plusIvEENSB_8equal_toIvEES6_EE10hipError_tPvRmT2_T3_T4_T5_mT6_T7_P12ihipStream_tbENKUlT_T0_E_clISt17integral_constantIbLb1EES12_IbLb0EEEEDaSY_SZ_EUlSY_E_NS1_11comp_targetILNS1_3genE8ELNS1_11target_archE1030ELNS1_3gpuE2ELNS1_3repE0EEENS1_30default_config_static_selectorELNS0_4arch9wavefront6targetE0EEEvT1_.has_dyn_sized_stack, 0
	.set _ZN7rocprim17ROCPRIM_400000_NS6detail17trampoline_kernelINS0_14default_configENS1_27scan_by_key_config_selectorIj11FixedVectorIiLj1EEEEZZNS1_16scan_by_key_implILNS1_25lookback_scan_determinismE0ELb0ES3_N6thrust23THRUST_200600_302600_NS6detail15normal_iteratorINSB_10device_ptrIjEEEENSD_INSE_IS6_EEEESI_S6_NSB_4plusIvEENSB_8equal_toIvEES6_EE10hipError_tPvRmT2_T3_T4_T5_mT6_T7_P12ihipStream_tbENKUlT_T0_E_clISt17integral_constantIbLb1EES12_IbLb0EEEEDaSY_SZ_EUlSY_E_NS1_11comp_targetILNS1_3genE8ELNS1_11target_archE1030ELNS1_3gpuE2ELNS1_3repE0EEENS1_30default_config_static_selectorELNS0_4arch9wavefront6targetE0EEEvT1_.has_recursion, 0
	.set _ZN7rocprim17ROCPRIM_400000_NS6detail17trampoline_kernelINS0_14default_configENS1_27scan_by_key_config_selectorIj11FixedVectorIiLj1EEEEZZNS1_16scan_by_key_implILNS1_25lookback_scan_determinismE0ELb0ES3_N6thrust23THRUST_200600_302600_NS6detail15normal_iteratorINSB_10device_ptrIjEEEENSD_INSE_IS6_EEEESI_S6_NSB_4plusIvEENSB_8equal_toIvEES6_EE10hipError_tPvRmT2_T3_T4_T5_mT6_T7_P12ihipStream_tbENKUlT_T0_E_clISt17integral_constantIbLb1EES12_IbLb0EEEEDaSY_SZ_EUlSY_E_NS1_11comp_targetILNS1_3genE8ELNS1_11target_archE1030ELNS1_3gpuE2ELNS1_3repE0EEENS1_30default_config_static_selectorELNS0_4arch9wavefront6targetE0EEEvT1_.has_indirect_call, 0
	.section	.AMDGPU.csdata,"",@progbits
; Kernel info:
; codeLenInByte = 0
; TotalNumSgprs: 0
; NumVgprs: 0
; ScratchSize: 0
; MemoryBound: 0
; FloatMode: 240
; IeeeMode: 1
; LDSByteSize: 0 bytes/workgroup (compile time only)
; SGPRBlocks: 0
; VGPRBlocks: 0
; NumSGPRsForWavesPerEU: 1
; NumVGPRsForWavesPerEU: 1
; NamedBarCnt: 0
; Occupancy: 16
; WaveLimiterHint : 0
; COMPUTE_PGM_RSRC2:SCRATCH_EN: 0
; COMPUTE_PGM_RSRC2:USER_SGPR: 2
; COMPUTE_PGM_RSRC2:TRAP_HANDLER: 0
; COMPUTE_PGM_RSRC2:TGID_X_EN: 1
; COMPUTE_PGM_RSRC2:TGID_Y_EN: 0
; COMPUTE_PGM_RSRC2:TGID_Z_EN: 0
; COMPUTE_PGM_RSRC2:TIDIG_COMP_CNT: 0
	.section	.text._ZN7rocprim17ROCPRIM_400000_NS6detail30init_device_scan_by_key_kernelINS1_19lookback_scan_stateINS0_5tupleIJ11FixedVectorIiLj1EEbEEELb0ELb1EEEN6thrust23THRUST_200600_302600_NS6detail15normal_iteratorINSA_10device_ptrIjEEEEjNS1_16block_id_wrapperIjLb1EEEEEvT_jjPNSI_10value_typeET0_PNSt15iterator_traitsISL_E10value_typeEmT1_T2_,"axG",@progbits,_ZN7rocprim17ROCPRIM_400000_NS6detail30init_device_scan_by_key_kernelINS1_19lookback_scan_stateINS0_5tupleIJ11FixedVectorIiLj1EEbEEELb0ELb1EEEN6thrust23THRUST_200600_302600_NS6detail15normal_iteratorINSA_10device_ptrIjEEEEjNS1_16block_id_wrapperIjLb1EEEEEvT_jjPNSI_10value_typeET0_PNSt15iterator_traitsISL_E10value_typeEmT1_T2_,comdat
	.protected	_ZN7rocprim17ROCPRIM_400000_NS6detail30init_device_scan_by_key_kernelINS1_19lookback_scan_stateINS0_5tupleIJ11FixedVectorIiLj1EEbEEELb0ELb1EEEN6thrust23THRUST_200600_302600_NS6detail15normal_iteratorINSA_10device_ptrIjEEEEjNS1_16block_id_wrapperIjLb1EEEEEvT_jjPNSI_10value_typeET0_PNSt15iterator_traitsISL_E10value_typeEmT1_T2_ ; -- Begin function _ZN7rocprim17ROCPRIM_400000_NS6detail30init_device_scan_by_key_kernelINS1_19lookback_scan_stateINS0_5tupleIJ11FixedVectorIiLj1EEbEEELb0ELb1EEEN6thrust23THRUST_200600_302600_NS6detail15normal_iteratorINSA_10device_ptrIjEEEEjNS1_16block_id_wrapperIjLb1EEEEEvT_jjPNSI_10value_typeET0_PNSt15iterator_traitsISL_E10value_typeEmT1_T2_
	.globl	_ZN7rocprim17ROCPRIM_400000_NS6detail30init_device_scan_by_key_kernelINS1_19lookback_scan_stateINS0_5tupleIJ11FixedVectorIiLj1EEbEEELb0ELb1EEEN6thrust23THRUST_200600_302600_NS6detail15normal_iteratorINSA_10device_ptrIjEEEEjNS1_16block_id_wrapperIjLb1EEEEEvT_jjPNSI_10value_typeET0_PNSt15iterator_traitsISL_E10value_typeEmT1_T2_
	.p2align	8
	.type	_ZN7rocprim17ROCPRIM_400000_NS6detail30init_device_scan_by_key_kernelINS1_19lookback_scan_stateINS0_5tupleIJ11FixedVectorIiLj1EEbEEELb0ELb1EEEN6thrust23THRUST_200600_302600_NS6detail15normal_iteratorINSA_10device_ptrIjEEEEjNS1_16block_id_wrapperIjLb1EEEEEvT_jjPNSI_10value_typeET0_PNSt15iterator_traitsISL_E10value_typeEmT1_T2_,@function
_ZN7rocprim17ROCPRIM_400000_NS6detail30init_device_scan_by_key_kernelINS1_19lookback_scan_stateINS0_5tupleIJ11FixedVectorIiLj1EEbEEELb0ELb1EEEN6thrust23THRUST_200600_302600_NS6detail15normal_iteratorINSA_10device_ptrIjEEEEjNS1_16block_id_wrapperIjLb1EEEEEvT_jjPNSI_10value_typeET0_PNSt15iterator_traitsISL_E10value_typeEmT1_T2_: ; @_ZN7rocprim17ROCPRIM_400000_NS6detail30init_device_scan_by_key_kernelINS1_19lookback_scan_stateINS0_5tupleIJ11FixedVectorIiLj1EEbEEELb0ELb1EEEN6thrust23THRUST_200600_302600_NS6detail15normal_iteratorINSA_10device_ptrIjEEEEjNS1_16block_id_wrapperIjLb1EEEEEvT_jjPNSI_10value_typeET0_PNSt15iterator_traitsISL_E10value_typeEmT1_T2_
; %bb.0:
	s_clause 0x2
	s_load_b32 s2, s[0:1], 0x4c
	s_load_b32 s14, s[0:1], 0x40
	s_load_b256 s[4:11], s[0:1], 0x0
	s_bfe_u32 s3, ttmp6, 0x4000c
	s_and_b32 s12, ttmp6, 15
	s_add_co_i32 s3, s3, 1
	s_getreg_b32 s13, hwreg(HW_REG_IB_STS2, 6, 4)
	s_mul_i32 s3, ttmp9, s3
	s_delay_alu instid0(SALU_CYCLE_1)
	s_add_co_i32 s12, s12, s3
	s_wait_kmcnt 0x0
	s_and_b32 s15, s2, 0xffff
	s_cmp_eq_u32 s13, 0
	s_cselect_b32 s2, ttmp9, s12
	s_cmp_eq_u64 s[8:9], 0
	v_mad_u32 v4, s2, s15, v0
	s_cbranch_scc1 .LBB1900_8
; %bb.1:
	s_cmp_lt_u32 s7, s6
	s_mov_b32 s16, exec_lo
	s_cselect_b32 s2, s7, 0
	s_delay_alu instid0(VALU_DEP_1) | instid1(SALU_CYCLE_1)
	v_cmpx_eq_u32_e64 s2, v4
	s_cbranch_execz .LBB1900_7
; %bb.2:
	s_add_co_i32 s2, s7, 32
	s_mov_b32 s3, 0
	v_mov_b32_e32 v7, 0
	s_lshl_b64 s[12:13], s[2:3], 4
	s_mov_b32 s2, exec_lo
	s_add_nc_u64 s[12:13], s[4:5], s[12:13]
	s_delay_alu instid0(SALU_CYCLE_1) | instskip(SKIP_2) | instid1(VALU_DEP_1)
	v_mov_b64_e32 v[0:1], s[12:13]
	;;#ASMSTART
	global_load_b128 v[0:3], v[0:1] off scope:SCOPE_DEV	
s_wait_loadcnt 0x0
	;;#ASMEND
	v_and_b32_e32 v6, 0xff, v2
	v_cmpx_eq_u64_e32 0, v[6:7]
	s_cbranch_execz .LBB1900_6
; %bb.3:
	v_mov_b64_e32 v[8:9], s[12:13]
.LBB1900_4:                             ; =>This Inner Loop Header: Depth=1
	;;#ASMSTART
	global_load_b128 v[0:3], v[8:9] off scope:SCOPE_DEV	
s_wait_loadcnt 0x0
	;;#ASMEND
	v_and_b32_e32 v6, 0xff, v2
	s_delay_alu instid0(VALU_DEP_1) | instskip(SKIP_1) | instid1(SALU_CYCLE_1)
	v_cmp_ne_u64_e32 vcc_lo, 0, v[6:7]
	s_or_b32 s3, vcc_lo, s3
	s_and_not1_b32 exec_lo, exec_lo, s3
	s_cbranch_execnz .LBB1900_4
; %bb.5:
	s_or_b32 exec_lo, exec_lo, s3
.LBB1900_6:
	s_delay_alu instid0(SALU_CYCLE_1)
	s_or_b32 exec_lo, exec_lo, s2
	v_mov_b32_e32 v2, 0
	s_clause 0x1
	global_store_b32 v2, v0, s[8:9]
	global_store_b8 v2, v1, s[8:9] offset:4
.LBB1900_7:
	s_wait_xcnt 0x0
	s_or_b32 exec_lo, exec_lo, s16
.LBB1900_8:
	s_delay_alu instid0(SALU_CYCLE_1) | instskip(NEXT) | instid1(VALU_DEP_1)
	s_mov_b32 s2, exec_lo
	v_cmpx_eq_u32_e32 0, v4
	s_cbranch_execz .LBB1900_10
; %bb.9:
	s_load_b64 s[8:9], s[0:1], 0x38
	v_mov_b32_e32 v0, 0
	s_wait_kmcnt 0x0
	global_store_b32 v0, v0, s[8:9]
.LBB1900_10:
	s_wait_xcnt 0x0
	s_or_b32 exec_lo, exec_lo, s2
	s_delay_alu instid0(SALU_CYCLE_1)
	s_mov_b32 s2, exec_lo
	v_cmpx_gt_u32_e64 s6, v4
	s_cbranch_execz .LBB1900_12
; %bb.11:
	v_dual_mov_b32 v0, 0 :: v_dual_add_nc_u32 v5, 32, v4
	s_delay_alu instid0(VALU_DEP_1)
	v_dual_mov_b32 v1, v0 :: v_dual_mov_b32 v2, v0
	v_mov_b32_e32 v3, v0
	global_store_b128 v5, v[0:3], s[4:5] scale_offset
.LBB1900_12:
	s_wait_xcnt 0x0
	s_or_b32 exec_lo, exec_lo, s2
	v_mov_b32_e32 v5, 0
	s_mov_b32 s2, exec_lo
	v_cmpx_gt_u32_e32 32, v4
	s_cbranch_execz .LBB1900_14
; %bb.13:
	s_delay_alu instid0(VALU_DEP_2)
	v_lshl_add_u64 v[6:7], v[4:5], 4, s[4:5]
	v_dual_mov_b32 v2, 0xff :: v_dual_mov_b32 v1, v5
	v_dual_mov_b32 v0, v5 :: v_dual_mov_b32 v3, v5
	global_store_b128 v[6:7], v[0:3], off
.LBB1900_14:
	s_wait_xcnt 0x0
	s_or_b32 exec_lo, exec_lo, s2
	s_load_b64 s[2:3], s[0:1], 0x28
	s_mov_b32 s4, exec_lo
	s_wait_kmcnt 0x0
	v_cmpx_gt_u64_e64 s[2:3], v[4:5]
	s_cbranch_execz .LBB1900_17
; %bb.15:
	s_clause 0x1
	s_load_b32 s4, s[0:1], 0x30
	s_load_b64 s[6:7], s[0:1], 0x20
	s_mov_b32 s5, 0
	s_wait_xcnt 0x0
	s_mul_i32 s0, s14, s15
	s_mov_b32 s9, s5
	s_mov_b32 s1, s5
	s_wait_kmcnt 0x0
	v_mul_u64_e32 v[0:1], s[4:5], v[4:5]
	s_add_co_i32 s8, s4, -1
	v_lshl_add_u64 v[2:3], v[4:5], 2, s[6:7]
	s_lshl_b64 s[8:9], s[8:9], 2
	s_delay_alu instid0(SALU_CYCLE_1) | instskip(SKIP_1) | instid1(SALU_CYCLE_1)
	s_add_nc_u64 s[8:9], s[10:11], s[8:9]
	s_mul_u64 s[10:11], s[4:5], s[0:1]
	s_lshl_b64 s[6:7], s[10:11], 2
	s_delay_alu instid0(VALU_DEP_2)
	v_lshl_add_u64 v[0:1], v[0:1], 2, s[8:9]
	s_lshl_b64 s[8:9], s[0:1], 2
.LBB1900_16:                            ; =>This Inner Loop Header: Depth=1
	global_load_b32 v6, v[0:1], off
	v_add_nc_u64_e32 v[4:5], s[0:1], v[4:5]
	s_wait_xcnt 0x0
	v_add_nc_u64_e32 v[0:1], s[6:7], v[0:1]
	s_delay_alu instid0(VALU_DEP_2)
	v_cmp_le_u64_e32 vcc_lo, s[2:3], v[4:5]
	s_or_b32 s5, vcc_lo, s5
	s_wait_loadcnt 0x0
	global_store_b32 v[2:3], v6, off
	s_wait_xcnt 0x0
	v_add_nc_u64_e32 v[2:3], s[8:9], v[2:3]
	s_and_not1_b32 exec_lo, exec_lo, s5
	s_cbranch_execnz .LBB1900_16
.LBB1900_17:
	s_endpgm
	.section	.rodata,"a",@progbits
	.p2align	6, 0x0
	.amdhsa_kernel _ZN7rocprim17ROCPRIM_400000_NS6detail30init_device_scan_by_key_kernelINS1_19lookback_scan_stateINS0_5tupleIJ11FixedVectorIiLj1EEbEEELb0ELb1EEEN6thrust23THRUST_200600_302600_NS6detail15normal_iteratorINSA_10device_ptrIjEEEEjNS1_16block_id_wrapperIjLb1EEEEEvT_jjPNSI_10value_typeET0_PNSt15iterator_traitsISL_E10value_typeEmT1_T2_
		.amdhsa_group_segment_fixed_size 0
		.amdhsa_private_segment_fixed_size 0
		.amdhsa_kernarg_size 320
		.amdhsa_user_sgpr_count 2
		.amdhsa_user_sgpr_dispatch_ptr 0
		.amdhsa_user_sgpr_queue_ptr 0
		.amdhsa_user_sgpr_kernarg_segment_ptr 1
		.amdhsa_user_sgpr_dispatch_id 0
		.amdhsa_user_sgpr_kernarg_preload_length 0
		.amdhsa_user_sgpr_kernarg_preload_offset 0
		.amdhsa_user_sgpr_private_segment_size 0
		.amdhsa_wavefront_size32 1
		.amdhsa_uses_dynamic_stack 0
		.amdhsa_enable_private_segment 0
		.amdhsa_system_sgpr_workgroup_id_x 1
		.amdhsa_system_sgpr_workgroup_id_y 0
		.amdhsa_system_sgpr_workgroup_id_z 0
		.amdhsa_system_sgpr_workgroup_info 0
		.amdhsa_system_vgpr_workitem_id 0
		.amdhsa_next_free_vgpr 10
		.amdhsa_next_free_sgpr 17
		.amdhsa_named_barrier_count 0
		.amdhsa_reserve_vcc 1
		.amdhsa_float_round_mode_32 0
		.amdhsa_float_round_mode_16_64 0
		.amdhsa_float_denorm_mode_32 3
		.amdhsa_float_denorm_mode_16_64 3
		.amdhsa_fp16_overflow 0
		.amdhsa_memory_ordered 1
		.amdhsa_forward_progress 1
		.amdhsa_inst_pref_size 5
		.amdhsa_round_robin_scheduling 0
		.amdhsa_exception_fp_ieee_invalid_op 0
		.amdhsa_exception_fp_denorm_src 0
		.amdhsa_exception_fp_ieee_div_zero 0
		.amdhsa_exception_fp_ieee_overflow 0
		.amdhsa_exception_fp_ieee_underflow 0
		.amdhsa_exception_fp_ieee_inexact 0
		.amdhsa_exception_int_div_zero 0
	.end_amdhsa_kernel
	.section	.text._ZN7rocprim17ROCPRIM_400000_NS6detail30init_device_scan_by_key_kernelINS1_19lookback_scan_stateINS0_5tupleIJ11FixedVectorIiLj1EEbEEELb0ELb1EEEN6thrust23THRUST_200600_302600_NS6detail15normal_iteratorINSA_10device_ptrIjEEEEjNS1_16block_id_wrapperIjLb1EEEEEvT_jjPNSI_10value_typeET0_PNSt15iterator_traitsISL_E10value_typeEmT1_T2_,"axG",@progbits,_ZN7rocprim17ROCPRIM_400000_NS6detail30init_device_scan_by_key_kernelINS1_19lookback_scan_stateINS0_5tupleIJ11FixedVectorIiLj1EEbEEELb0ELb1EEEN6thrust23THRUST_200600_302600_NS6detail15normal_iteratorINSA_10device_ptrIjEEEEjNS1_16block_id_wrapperIjLb1EEEEEvT_jjPNSI_10value_typeET0_PNSt15iterator_traitsISL_E10value_typeEmT1_T2_,comdat
.Lfunc_end1900:
	.size	_ZN7rocprim17ROCPRIM_400000_NS6detail30init_device_scan_by_key_kernelINS1_19lookback_scan_stateINS0_5tupleIJ11FixedVectorIiLj1EEbEEELb0ELb1EEEN6thrust23THRUST_200600_302600_NS6detail15normal_iteratorINSA_10device_ptrIjEEEEjNS1_16block_id_wrapperIjLb1EEEEEvT_jjPNSI_10value_typeET0_PNSt15iterator_traitsISL_E10value_typeEmT1_T2_, .Lfunc_end1900-_ZN7rocprim17ROCPRIM_400000_NS6detail30init_device_scan_by_key_kernelINS1_19lookback_scan_stateINS0_5tupleIJ11FixedVectorIiLj1EEbEEELb0ELb1EEEN6thrust23THRUST_200600_302600_NS6detail15normal_iteratorINSA_10device_ptrIjEEEEjNS1_16block_id_wrapperIjLb1EEEEEvT_jjPNSI_10value_typeET0_PNSt15iterator_traitsISL_E10value_typeEmT1_T2_
                                        ; -- End function
	.set _ZN7rocprim17ROCPRIM_400000_NS6detail30init_device_scan_by_key_kernelINS1_19lookback_scan_stateINS0_5tupleIJ11FixedVectorIiLj1EEbEEELb0ELb1EEEN6thrust23THRUST_200600_302600_NS6detail15normal_iteratorINSA_10device_ptrIjEEEEjNS1_16block_id_wrapperIjLb1EEEEEvT_jjPNSI_10value_typeET0_PNSt15iterator_traitsISL_E10value_typeEmT1_T2_.num_vgpr, 10
	.set _ZN7rocprim17ROCPRIM_400000_NS6detail30init_device_scan_by_key_kernelINS1_19lookback_scan_stateINS0_5tupleIJ11FixedVectorIiLj1EEbEEELb0ELb1EEEN6thrust23THRUST_200600_302600_NS6detail15normal_iteratorINSA_10device_ptrIjEEEEjNS1_16block_id_wrapperIjLb1EEEEEvT_jjPNSI_10value_typeET0_PNSt15iterator_traitsISL_E10value_typeEmT1_T2_.num_agpr, 0
	.set _ZN7rocprim17ROCPRIM_400000_NS6detail30init_device_scan_by_key_kernelINS1_19lookback_scan_stateINS0_5tupleIJ11FixedVectorIiLj1EEbEEELb0ELb1EEEN6thrust23THRUST_200600_302600_NS6detail15normal_iteratorINSA_10device_ptrIjEEEEjNS1_16block_id_wrapperIjLb1EEEEEvT_jjPNSI_10value_typeET0_PNSt15iterator_traitsISL_E10value_typeEmT1_T2_.numbered_sgpr, 17
	.set _ZN7rocprim17ROCPRIM_400000_NS6detail30init_device_scan_by_key_kernelINS1_19lookback_scan_stateINS0_5tupleIJ11FixedVectorIiLj1EEbEEELb0ELb1EEEN6thrust23THRUST_200600_302600_NS6detail15normal_iteratorINSA_10device_ptrIjEEEEjNS1_16block_id_wrapperIjLb1EEEEEvT_jjPNSI_10value_typeET0_PNSt15iterator_traitsISL_E10value_typeEmT1_T2_.num_named_barrier, 0
	.set _ZN7rocprim17ROCPRIM_400000_NS6detail30init_device_scan_by_key_kernelINS1_19lookback_scan_stateINS0_5tupleIJ11FixedVectorIiLj1EEbEEELb0ELb1EEEN6thrust23THRUST_200600_302600_NS6detail15normal_iteratorINSA_10device_ptrIjEEEEjNS1_16block_id_wrapperIjLb1EEEEEvT_jjPNSI_10value_typeET0_PNSt15iterator_traitsISL_E10value_typeEmT1_T2_.private_seg_size, 0
	.set _ZN7rocprim17ROCPRIM_400000_NS6detail30init_device_scan_by_key_kernelINS1_19lookback_scan_stateINS0_5tupleIJ11FixedVectorIiLj1EEbEEELb0ELb1EEEN6thrust23THRUST_200600_302600_NS6detail15normal_iteratorINSA_10device_ptrIjEEEEjNS1_16block_id_wrapperIjLb1EEEEEvT_jjPNSI_10value_typeET0_PNSt15iterator_traitsISL_E10value_typeEmT1_T2_.uses_vcc, 1
	.set _ZN7rocprim17ROCPRIM_400000_NS6detail30init_device_scan_by_key_kernelINS1_19lookback_scan_stateINS0_5tupleIJ11FixedVectorIiLj1EEbEEELb0ELb1EEEN6thrust23THRUST_200600_302600_NS6detail15normal_iteratorINSA_10device_ptrIjEEEEjNS1_16block_id_wrapperIjLb1EEEEEvT_jjPNSI_10value_typeET0_PNSt15iterator_traitsISL_E10value_typeEmT1_T2_.uses_flat_scratch, 0
	.set _ZN7rocprim17ROCPRIM_400000_NS6detail30init_device_scan_by_key_kernelINS1_19lookback_scan_stateINS0_5tupleIJ11FixedVectorIiLj1EEbEEELb0ELb1EEEN6thrust23THRUST_200600_302600_NS6detail15normal_iteratorINSA_10device_ptrIjEEEEjNS1_16block_id_wrapperIjLb1EEEEEvT_jjPNSI_10value_typeET0_PNSt15iterator_traitsISL_E10value_typeEmT1_T2_.has_dyn_sized_stack, 0
	.set _ZN7rocprim17ROCPRIM_400000_NS6detail30init_device_scan_by_key_kernelINS1_19lookback_scan_stateINS0_5tupleIJ11FixedVectorIiLj1EEbEEELb0ELb1EEEN6thrust23THRUST_200600_302600_NS6detail15normal_iteratorINSA_10device_ptrIjEEEEjNS1_16block_id_wrapperIjLb1EEEEEvT_jjPNSI_10value_typeET0_PNSt15iterator_traitsISL_E10value_typeEmT1_T2_.has_recursion, 0
	.set _ZN7rocprim17ROCPRIM_400000_NS6detail30init_device_scan_by_key_kernelINS1_19lookback_scan_stateINS0_5tupleIJ11FixedVectorIiLj1EEbEEELb0ELb1EEEN6thrust23THRUST_200600_302600_NS6detail15normal_iteratorINSA_10device_ptrIjEEEEjNS1_16block_id_wrapperIjLb1EEEEEvT_jjPNSI_10value_typeET0_PNSt15iterator_traitsISL_E10value_typeEmT1_T2_.has_indirect_call, 0
	.section	.AMDGPU.csdata,"",@progbits
; Kernel info:
; codeLenInByte = 636
; TotalNumSgprs: 19
; NumVgprs: 10
; ScratchSize: 0
; MemoryBound: 0
; FloatMode: 240
; IeeeMode: 1
; LDSByteSize: 0 bytes/workgroup (compile time only)
; SGPRBlocks: 0
; VGPRBlocks: 0
; NumSGPRsForWavesPerEU: 19
; NumVGPRsForWavesPerEU: 10
; NamedBarCnt: 0
; Occupancy: 16
; WaveLimiterHint : 0
; COMPUTE_PGM_RSRC2:SCRATCH_EN: 0
; COMPUTE_PGM_RSRC2:USER_SGPR: 2
; COMPUTE_PGM_RSRC2:TRAP_HANDLER: 0
; COMPUTE_PGM_RSRC2:TGID_X_EN: 1
; COMPUTE_PGM_RSRC2:TGID_Y_EN: 0
; COMPUTE_PGM_RSRC2:TGID_Z_EN: 0
; COMPUTE_PGM_RSRC2:TIDIG_COMP_CNT: 0
	.section	.text._ZN7rocprim17ROCPRIM_400000_NS6detail30init_device_scan_by_key_kernelINS1_19lookback_scan_stateINS0_5tupleIJ11FixedVectorIiLj1EEbEEELb0ELb1EEENS1_16block_id_wrapperIjLb1EEEEEvT_jjPNSB_10value_typeET0_,"axG",@progbits,_ZN7rocprim17ROCPRIM_400000_NS6detail30init_device_scan_by_key_kernelINS1_19lookback_scan_stateINS0_5tupleIJ11FixedVectorIiLj1EEbEEELb0ELb1EEENS1_16block_id_wrapperIjLb1EEEEEvT_jjPNSB_10value_typeET0_,comdat
	.protected	_ZN7rocprim17ROCPRIM_400000_NS6detail30init_device_scan_by_key_kernelINS1_19lookback_scan_stateINS0_5tupleIJ11FixedVectorIiLj1EEbEEELb0ELb1EEENS1_16block_id_wrapperIjLb1EEEEEvT_jjPNSB_10value_typeET0_ ; -- Begin function _ZN7rocprim17ROCPRIM_400000_NS6detail30init_device_scan_by_key_kernelINS1_19lookback_scan_stateINS0_5tupleIJ11FixedVectorIiLj1EEbEEELb0ELb1EEENS1_16block_id_wrapperIjLb1EEEEEvT_jjPNSB_10value_typeET0_
	.globl	_ZN7rocprim17ROCPRIM_400000_NS6detail30init_device_scan_by_key_kernelINS1_19lookback_scan_stateINS0_5tupleIJ11FixedVectorIiLj1EEbEEELb0ELb1EEENS1_16block_id_wrapperIjLb1EEEEEvT_jjPNSB_10value_typeET0_
	.p2align	8
	.type	_ZN7rocprim17ROCPRIM_400000_NS6detail30init_device_scan_by_key_kernelINS1_19lookback_scan_stateINS0_5tupleIJ11FixedVectorIiLj1EEbEEELb0ELb1EEENS1_16block_id_wrapperIjLb1EEEEEvT_jjPNSB_10value_typeET0_,@function
_ZN7rocprim17ROCPRIM_400000_NS6detail30init_device_scan_by_key_kernelINS1_19lookback_scan_stateINS0_5tupleIJ11FixedVectorIiLj1EEbEEELb0ELb1EEENS1_16block_id_wrapperIjLb1EEEEEvT_jjPNSB_10value_typeET0_: ; @_ZN7rocprim17ROCPRIM_400000_NS6detail30init_device_scan_by_key_kernelINS1_19lookback_scan_stateINS0_5tupleIJ11FixedVectorIiLj1EEbEEELb0ELb1EEENS1_16block_id_wrapperIjLb1EEEEEvT_jjPNSB_10value_typeET0_
; %bb.0:
	s_clause 0x1
	s_load_b32 s2, s[0:1], 0x2c
	s_load_b256 s[4:11], s[0:1], 0x0
	s_wait_xcnt 0x0
	s_bfe_u32 s0, ttmp6, 0x4000c
	s_and_b32 s1, ttmp6, 15
	s_add_co_i32 s0, s0, 1
	s_getreg_b32 s3, hwreg(HW_REG_IB_STS2, 6, 4)
	s_mul_i32 s0, ttmp9, s0
	s_delay_alu instid0(SALU_CYCLE_1)
	s_add_co_i32 s1, s1, s0
	s_wait_kmcnt 0x0
	s_and_b32 s2, s2, 0xffff
	s_cmp_eq_u32 s3, 0
	s_cselect_b32 s0, ttmp9, s1
	s_cmp_eq_u64 s[8:9], 0
	v_mad_u32 v8, s0, s2, v0
	s_cbranch_scc1 .LBB1901_8
; %bb.1:
	s_cmp_lt_u32 s7, s6
	s_mov_b32 s12, exec_lo
	s_cselect_b32 s0, s7, 0
	s_delay_alu instid0(VALU_DEP_1) | instid1(SALU_CYCLE_1)
	v_cmpx_eq_u32_e64 s0, v8
	s_cbranch_execz .LBB1901_7
; %bb.2:
	s_add_co_i32 s0, s7, 32
	s_mov_b32 s1, 0
	v_mov_b32_e32 v5, 0
	s_lshl_b64 s[2:3], s[0:1], 4
	s_mov_b32 s0, exec_lo
	s_add_nc_u64 s[2:3], s[4:5], s[2:3]
	s_delay_alu instid0(SALU_CYCLE_1) | instskip(SKIP_2) | instid1(VALU_DEP_1)
	v_mov_b64_e32 v[0:1], s[2:3]
	;;#ASMSTART
	global_load_b128 v[0:3], v[0:1] off scope:SCOPE_DEV	
s_wait_loadcnt 0x0
	;;#ASMEND
	v_and_b32_e32 v4, 0xff, v2
	v_cmpx_eq_u64_e32 0, v[4:5]
	s_cbranch_execz .LBB1901_6
; %bb.3:
	v_mov_b64_e32 v[6:7], s[2:3]
.LBB1901_4:                             ; =>This Inner Loop Header: Depth=1
	;;#ASMSTART
	global_load_b128 v[0:3], v[6:7] off scope:SCOPE_DEV	
s_wait_loadcnt 0x0
	;;#ASMEND
	v_and_b32_e32 v4, 0xff, v2
	s_delay_alu instid0(VALU_DEP_1) | instskip(SKIP_1) | instid1(SALU_CYCLE_1)
	v_cmp_ne_u64_e32 vcc_lo, 0, v[4:5]
	s_or_b32 s1, vcc_lo, s1
	s_and_not1_b32 exec_lo, exec_lo, s1
	s_cbranch_execnz .LBB1901_4
; %bb.5:
	s_or_b32 exec_lo, exec_lo, s1
.LBB1901_6:
	s_delay_alu instid0(SALU_CYCLE_1)
	s_or_b32 exec_lo, exec_lo, s0
	v_mov_b32_e32 v2, 0
	s_clause 0x1
	global_store_b32 v2, v0, s[8:9]
	global_store_b8 v2, v1, s[8:9] offset:4
.LBB1901_7:
	s_wait_xcnt 0x0
	s_or_b32 exec_lo, exec_lo, s12
.LBB1901_8:
	s_delay_alu instid0(SALU_CYCLE_1) | instskip(NEXT) | instid1(VALU_DEP_1)
	s_mov_b32 s0, exec_lo
	v_cmpx_eq_u32_e32 0, v8
	s_cbranch_execz .LBB1901_10
; %bb.9:
	v_mov_b32_e32 v0, 0
	global_store_b32 v0, v0, s[10:11]
.LBB1901_10:
	s_wait_xcnt 0x0
	s_or_b32 exec_lo, exec_lo, s0
	s_delay_alu instid0(SALU_CYCLE_1)
	s_mov_b32 s0, exec_lo
	v_cmpx_gt_u32_e64 s6, v8
	s_cbranch_execz .LBB1901_12
; %bb.11:
	v_dual_mov_b32 v0, 0 :: v_dual_add_nc_u32 v4, 32, v8
	s_delay_alu instid0(VALU_DEP_1)
	v_dual_mov_b32 v1, v0 :: v_dual_mov_b32 v2, v0
	v_mov_b32_e32 v3, v0
	global_store_b128 v4, v[0:3], s[4:5] scale_offset
.LBB1901_12:
	s_wait_xcnt 0x0
	s_or_b32 exec_lo, exec_lo, s0
	s_delay_alu instid0(SALU_CYCLE_1)
	s_mov_b32 s0, exec_lo
	v_cmpx_gt_u32_e32 32, v8
	s_cbranch_execz .LBB1901_14
; %bb.13:
	v_mov_b32_e32 v0, 0
	s_delay_alu instid0(VALU_DEP_1)
	v_dual_mov_b32 v2, 0xff :: v_dual_mov_b32 v1, v0
	v_mov_b32_e32 v3, v0
	global_store_b128 v8, v[0:3], s[4:5] scale_offset
.LBB1901_14:
	s_endpgm
	.section	.rodata,"a",@progbits
	.p2align	6, 0x0
	.amdhsa_kernel _ZN7rocprim17ROCPRIM_400000_NS6detail30init_device_scan_by_key_kernelINS1_19lookback_scan_stateINS0_5tupleIJ11FixedVectorIiLj1EEbEEELb0ELb1EEENS1_16block_id_wrapperIjLb1EEEEEvT_jjPNSB_10value_typeET0_
		.amdhsa_group_segment_fixed_size 0
		.amdhsa_private_segment_fixed_size 0
		.amdhsa_kernarg_size 288
		.amdhsa_user_sgpr_count 2
		.amdhsa_user_sgpr_dispatch_ptr 0
		.amdhsa_user_sgpr_queue_ptr 0
		.amdhsa_user_sgpr_kernarg_segment_ptr 1
		.amdhsa_user_sgpr_dispatch_id 0
		.amdhsa_user_sgpr_kernarg_preload_length 0
		.amdhsa_user_sgpr_kernarg_preload_offset 0
		.amdhsa_user_sgpr_private_segment_size 0
		.amdhsa_wavefront_size32 1
		.amdhsa_uses_dynamic_stack 0
		.amdhsa_enable_private_segment 0
		.amdhsa_system_sgpr_workgroup_id_x 1
		.amdhsa_system_sgpr_workgroup_id_y 0
		.amdhsa_system_sgpr_workgroup_id_z 0
		.amdhsa_system_sgpr_workgroup_info 0
		.amdhsa_system_vgpr_workitem_id 0
		.amdhsa_next_free_vgpr 9
		.amdhsa_next_free_sgpr 13
		.amdhsa_named_barrier_count 0
		.amdhsa_reserve_vcc 1
		.amdhsa_float_round_mode_32 0
		.amdhsa_float_round_mode_16_64 0
		.amdhsa_float_denorm_mode_32 3
		.amdhsa_float_denorm_mode_16_64 3
		.amdhsa_fp16_overflow 0
		.amdhsa_memory_ordered 1
		.amdhsa_forward_progress 1
		.amdhsa_inst_pref_size 4
		.amdhsa_round_robin_scheduling 0
		.amdhsa_exception_fp_ieee_invalid_op 0
		.amdhsa_exception_fp_denorm_src 0
		.amdhsa_exception_fp_ieee_div_zero 0
		.amdhsa_exception_fp_ieee_overflow 0
		.amdhsa_exception_fp_ieee_underflow 0
		.amdhsa_exception_fp_ieee_inexact 0
		.amdhsa_exception_int_div_zero 0
	.end_amdhsa_kernel
	.section	.text._ZN7rocprim17ROCPRIM_400000_NS6detail30init_device_scan_by_key_kernelINS1_19lookback_scan_stateINS0_5tupleIJ11FixedVectorIiLj1EEbEEELb0ELb1EEENS1_16block_id_wrapperIjLb1EEEEEvT_jjPNSB_10value_typeET0_,"axG",@progbits,_ZN7rocprim17ROCPRIM_400000_NS6detail30init_device_scan_by_key_kernelINS1_19lookback_scan_stateINS0_5tupleIJ11FixedVectorIiLj1EEbEEELb0ELb1EEENS1_16block_id_wrapperIjLb1EEEEEvT_jjPNSB_10value_typeET0_,comdat
.Lfunc_end1901:
	.size	_ZN7rocprim17ROCPRIM_400000_NS6detail30init_device_scan_by_key_kernelINS1_19lookback_scan_stateINS0_5tupleIJ11FixedVectorIiLj1EEbEEELb0ELb1EEENS1_16block_id_wrapperIjLb1EEEEEvT_jjPNSB_10value_typeET0_, .Lfunc_end1901-_ZN7rocprim17ROCPRIM_400000_NS6detail30init_device_scan_by_key_kernelINS1_19lookback_scan_stateINS0_5tupleIJ11FixedVectorIiLj1EEbEEELb0ELb1EEENS1_16block_id_wrapperIjLb1EEEEEvT_jjPNSB_10value_typeET0_
                                        ; -- End function
	.set _ZN7rocprim17ROCPRIM_400000_NS6detail30init_device_scan_by_key_kernelINS1_19lookback_scan_stateINS0_5tupleIJ11FixedVectorIiLj1EEbEEELb0ELb1EEENS1_16block_id_wrapperIjLb1EEEEEvT_jjPNSB_10value_typeET0_.num_vgpr, 9
	.set _ZN7rocprim17ROCPRIM_400000_NS6detail30init_device_scan_by_key_kernelINS1_19lookback_scan_stateINS0_5tupleIJ11FixedVectorIiLj1EEbEEELb0ELb1EEENS1_16block_id_wrapperIjLb1EEEEEvT_jjPNSB_10value_typeET0_.num_agpr, 0
	.set _ZN7rocprim17ROCPRIM_400000_NS6detail30init_device_scan_by_key_kernelINS1_19lookback_scan_stateINS0_5tupleIJ11FixedVectorIiLj1EEbEEELb0ELb1EEENS1_16block_id_wrapperIjLb1EEEEEvT_jjPNSB_10value_typeET0_.numbered_sgpr, 13
	.set _ZN7rocprim17ROCPRIM_400000_NS6detail30init_device_scan_by_key_kernelINS1_19lookback_scan_stateINS0_5tupleIJ11FixedVectorIiLj1EEbEEELb0ELb1EEENS1_16block_id_wrapperIjLb1EEEEEvT_jjPNSB_10value_typeET0_.num_named_barrier, 0
	.set _ZN7rocprim17ROCPRIM_400000_NS6detail30init_device_scan_by_key_kernelINS1_19lookback_scan_stateINS0_5tupleIJ11FixedVectorIiLj1EEbEEELb0ELb1EEENS1_16block_id_wrapperIjLb1EEEEEvT_jjPNSB_10value_typeET0_.private_seg_size, 0
	.set _ZN7rocprim17ROCPRIM_400000_NS6detail30init_device_scan_by_key_kernelINS1_19lookback_scan_stateINS0_5tupleIJ11FixedVectorIiLj1EEbEEELb0ELb1EEENS1_16block_id_wrapperIjLb1EEEEEvT_jjPNSB_10value_typeET0_.uses_vcc, 1
	.set _ZN7rocprim17ROCPRIM_400000_NS6detail30init_device_scan_by_key_kernelINS1_19lookback_scan_stateINS0_5tupleIJ11FixedVectorIiLj1EEbEEELb0ELb1EEENS1_16block_id_wrapperIjLb1EEEEEvT_jjPNSB_10value_typeET0_.uses_flat_scratch, 0
	.set _ZN7rocprim17ROCPRIM_400000_NS6detail30init_device_scan_by_key_kernelINS1_19lookback_scan_stateINS0_5tupleIJ11FixedVectorIiLj1EEbEEELb0ELb1EEENS1_16block_id_wrapperIjLb1EEEEEvT_jjPNSB_10value_typeET0_.has_dyn_sized_stack, 0
	.set _ZN7rocprim17ROCPRIM_400000_NS6detail30init_device_scan_by_key_kernelINS1_19lookback_scan_stateINS0_5tupleIJ11FixedVectorIiLj1EEbEEELb0ELb1EEENS1_16block_id_wrapperIjLb1EEEEEvT_jjPNSB_10value_typeET0_.has_recursion, 0
	.set _ZN7rocprim17ROCPRIM_400000_NS6detail30init_device_scan_by_key_kernelINS1_19lookback_scan_stateINS0_5tupleIJ11FixedVectorIiLj1EEbEEELb0ELb1EEENS1_16block_id_wrapperIjLb1EEEEEvT_jjPNSB_10value_typeET0_.has_indirect_call, 0
	.section	.AMDGPU.csdata,"",@progbits
; Kernel info:
; codeLenInByte = 416
; TotalNumSgprs: 15
; NumVgprs: 9
; ScratchSize: 0
; MemoryBound: 0
; FloatMode: 240
; IeeeMode: 1
; LDSByteSize: 0 bytes/workgroup (compile time only)
; SGPRBlocks: 0
; VGPRBlocks: 0
; NumSGPRsForWavesPerEU: 15
; NumVGPRsForWavesPerEU: 9
; NamedBarCnt: 0
; Occupancy: 16
; WaveLimiterHint : 0
; COMPUTE_PGM_RSRC2:SCRATCH_EN: 0
; COMPUTE_PGM_RSRC2:USER_SGPR: 2
; COMPUTE_PGM_RSRC2:TRAP_HANDLER: 0
; COMPUTE_PGM_RSRC2:TGID_X_EN: 1
; COMPUTE_PGM_RSRC2:TGID_Y_EN: 0
; COMPUTE_PGM_RSRC2:TGID_Z_EN: 0
; COMPUTE_PGM_RSRC2:TIDIG_COMP_CNT: 0
	.section	.text._ZN7rocprim17ROCPRIM_400000_NS6detail17trampoline_kernelINS0_14default_configENS1_27scan_by_key_config_selectorIj11FixedVectorIiLj1EEEEZZNS1_16scan_by_key_implILNS1_25lookback_scan_determinismE0ELb0ES3_N6thrust23THRUST_200600_302600_NS6detail15normal_iteratorINSB_10device_ptrIjEEEENSD_INSE_IS6_EEEESI_S6_NSB_4plusIvEENSB_8equal_toIvEES6_EE10hipError_tPvRmT2_T3_T4_T5_mT6_T7_P12ihipStream_tbENKUlT_T0_E_clISt17integral_constantIbLb0EES12_IbLb1EEEEDaSY_SZ_EUlSY_E_NS1_11comp_targetILNS1_3genE0ELNS1_11target_archE4294967295ELNS1_3gpuE0ELNS1_3repE0EEENS1_30default_config_static_selectorELNS0_4arch9wavefront6targetE0EEEvT1_,"axG",@progbits,_ZN7rocprim17ROCPRIM_400000_NS6detail17trampoline_kernelINS0_14default_configENS1_27scan_by_key_config_selectorIj11FixedVectorIiLj1EEEEZZNS1_16scan_by_key_implILNS1_25lookback_scan_determinismE0ELb0ES3_N6thrust23THRUST_200600_302600_NS6detail15normal_iteratorINSB_10device_ptrIjEEEENSD_INSE_IS6_EEEESI_S6_NSB_4plusIvEENSB_8equal_toIvEES6_EE10hipError_tPvRmT2_T3_T4_T5_mT6_T7_P12ihipStream_tbENKUlT_T0_E_clISt17integral_constantIbLb0EES12_IbLb1EEEEDaSY_SZ_EUlSY_E_NS1_11comp_targetILNS1_3genE0ELNS1_11target_archE4294967295ELNS1_3gpuE0ELNS1_3repE0EEENS1_30default_config_static_selectorELNS0_4arch9wavefront6targetE0EEEvT1_,comdat
	.protected	_ZN7rocprim17ROCPRIM_400000_NS6detail17trampoline_kernelINS0_14default_configENS1_27scan_by_key_config_selectorIj11FixedVectorIiLj1EEEEZZNS1_16scan_by_key_implILNS1_25lookback_scan_determinismE0ELb0ES3_N6thrust23THRUST_200600_302600_NS6detail15normal_iteratorINSB_10device_ptrIjEEEENSD_INSE_IS6_EEEESI_S6_NSB_4plusIvEENSB_8equal_toIvEES6_EE10hipError_tPvRmT2_T3_T4_T5_mT6_T7_P12ihipStream_tbENKUlT_T0_E_clISt17integral_constantIbLb0EES12_IbLb1EEEEDaSY_SZ_EUlSY_E_NS1_11comp_targetILNS1_3genE0ELNS1_11target_archE4294967295ELNS1_3gpuE0ELNS1_3repE0EEENS1_30default_config_static_selectorELNS0_4arch9wavefront6targetE0EEEvT1_ ; -- Begin function _ZN7rocprim17ROCPRIM_400000_NS6detail17trampoline_kernelINS0_14default_configENS1_27scan_by_key_config_selectorIj11FixedVectorIiLj1EEEEZZNS1_16scan_by_key_implILNS1_25lookback_scan_determinismE0ELb0ES3_N6thrust23THRUST_200600_302600_NS6detail15normal_iteratorINSB_10device_ptrIjEEEENSD_INSE_IS6_EEEESI_S6_NSB_4plusIvEENSB_8equal_toIvEES6_EE10hipError_tPvRmT2_T3_T4_T5_mT6_T7_P12ihipStream_tbENKUlT_T0_E_clISt17integral_constantIbLb0EES12_IbLb1EEEEDaSY_SZ_EUlSY_E_NS1_11comp_targetILNS1_3genE0ELNS1_11target_archE4294967295ELNS1_3gpuE0ELNS1_3repE0EEENS1_30default_config_static_selectorELNS0_4arch9wavefront6targetE0EEEvT1_
	.globl	_ZN7rocprim17ROCPRIM_400000_NS6detail17trampoline_kernelINS0_14default_configENS1_27scan_by_key_config_selectorIj11FixedVectorIiLj1EEEEZZNS1_16scan_by_key_implILNS1_25lookback_scan_determinismE0ELb0ES3_N6thrust23THRUST_200600_302600_NS6detail15normal_iteratorINSB_10device_ptrIjEEEENSD_INSE_IS6_EEEESI_S6_NSB_4plusIvEENSB_8equal_toIvEES6_EE10hipError_tPvRmT2_T3_T4_T5_mT6_T7_P12ihipStream_tbENKUlT_T0_E_clISt17integral_constantIbLb0EES12_IbLb1EEEEDaSY_SZ_EUlSY_E_NS1_11comp_targetILNS1_3genE0ELNS1_11target_archE4294967295ELNS1_3gpuE0ELNS1_3repE0EEENS1_30default_config_static_selectorELNS0_4arch9wavefront6targetE0EEEvT1_
	.p2align	8
	.type	_ZN7rocprim17ROCPRIM_400000_NS6detail17trampoline_kernelINS0_14default_configENS1_27scan_by_key_config_selectorIj11FixedVectorIiLj1EEEEZZNS1_16scan_by_key_implILNS1_25lookback_scan_determinismE0ELb0ES3_N6thrust23THRUST_200600_302600_NS6detail15normal_iteratorINSB_10device_ptrIjEEEENSD_INSE_IS6_EEEESI_S6_NSB_4plusIvEENSB_8equal_toIvEES6_EE10hipError_tPvRmT2_T3_T4_T5_mT6_T7_P12ihipStream_tbENKUlT_T0_E_clISt17integral_constantIbLb0EES12_IbLb1EEEEDaSY_SZ_EUlSY_E_NS1_11comp_targetILNS1_3genE0ELNS1_11target_archE4294967295ELNS1_3gpuE0ELNS1_3repE0EEENS1_30default_config_static_selectorELNS0_4arch9wavefront6targetE0EEEvT1_,@function
_ZN7rocprim17ROCPRIM_400000_NS6detail17trampoline_kernelINS0_14default_configENS1_27scan_by_key_config_selectorIj11FixedVectorIiLj1EEEEZZNS1_16scan_by_key_implILNS1_25lookback_scan_determinismE0ELb0ES3_N6thrust23THRUST_200600_302600_NS6detail15normal_iteratorINSB_10device_ptrIjEEEENSD_INSE_IS6_EEEESI_S6_NSB_4plusIvEENSB_8equal_toIvEES6_EE10hipError_tPvRmT2_T3_T4_T5_mT6_T7_P12ihipStream_tbENKUlT_T0_E_clISt17integral_constantIbLb0EES12_IbLb1EEEEDaSY_SZ_EUlSY_E_NS1_11comp_targetILNS1_3genE0ELNS1_11target_archE4294967295ELNS1_3gpuE0ELNS1_3repE0EEENS1_30default_config_static_selectorELNS0_4arch9wavefront6targetE0EEEvT1_: ; @_ZN7rocprim17ROCPRIM_400000_NS6detail17trampoline_kernelINS0_14default_configENS1_27scan_by_key_config_selectorIj11FixedVectorIiLj1EEEEZZNS1_16scan_by_key_implILNS1_25lookback_scan_determinismE0ELb0ES3_N6thrust23THRUST_200600_302600_NS6detail15normal_iteratorINSB_10device_ptrIjEEEENSD_INSE_IS6_EEEESI_S6_NSB_4plusIvEENSB_8equal_toIvEES6_EE10hipError_tPvRmT2_T3_T4_T5_mT6_T7_P12ihipStream_tbENKUlT_T0_E_clISt17integral_constantIbLb0EES12_IbLb1EEEEDaSY_SZ_EUlSY_E_NS1_11comp_targetILNS1_3genE0ELNS1_11target_archE4294967295ELNS1_3gpuE0ELNS1_3repE0EEENS1_30default_config_static_selectorELNS0_4arch9wavefront6targetE0EEEvT1_
; %bb.0:
	s_clause 0x1
	s_load_b128 s[28:31], s[0:1], 0x28
	s_load_b64 s[36:37], s[0:1], 0x38
	v_cmp_ne_u32_e64 s3, 0, v0
	v_cmp_eq_u32_e64 s2, 0, v0
	s_and_saveexec_b32 s4, s2
	s_cbranch_execz .LBB1902_4
; %bb.1:
	s_mov_b32 s6, exec_lo
	s_mov_b32 s5, exec_lo
	v_mbcnt_lo_u32_b32 v1, s6, 0
                                        ; implicit-def: $vgpr2
	s_delay_alu instid0(VALU_DEP_1)
	v_cmpx_eq_u32_e32 0, v1
	s_cbranch_execz .LBB1902_3
; %bb.2:
	s_load_b64 s[8:9], s[0:1], 0x68
	s_bcnt1_i32_b32 s6, s6
	s_delay_alu instid0(SALU_CYCLE_1)
	v_dual_mov_b32 v2, 0 :: v_dual_mov_b32 v3, s6
	s_wait_xcnt 0x0
	s_wait_kmcnt 0x0
	global_atomic_add_u32 v2, v2, v3, s[8:9] th:TH_ATOMIC_RETURN scope:SCOPE_DEV
.LBB1902_3:
	s_wait_xcnt 0x0
	s_or_b32 exec_lo, exec_lo, s5
	s_wait_loadcnt 0x0
	v_readfirstlane_b32 s5, v2
	s_delay_alu instid0(VALU_DEP_1)
	v_dual_mov_b32 v2, 0 :: v_dual_add_nc_u32 v1, s5, v1
	ds_store_b32 v2, v1
.LBB1902_4:
	s_or_b32 exec_lo, exec_lo, s4
	v_mov_b32_e32 v1, 0
	s_clause 0x2
	s_load_b256 s[12:19], s[0:1], 0x0
	s_load_b32 s38, s[0:1], 0x40
	s_load_b256 s[20:27], s[0:1], 0x48
	s_wait_dscnt 0x0
	s_barrier_signal -1
	s_barrier_wait -1
	ds_load_b32 v2, v1
	s_mov_b32 s39, 0
	s_wait_dscnt 0x0
	s_mov_b32 s9, s39
	s_barrier_signal -1
	s_barrier_wait -1
	s_barrier_signal -1
	s_barrier_wait -1
	s_wait_kmcnt 0x0
	s_lshl_b64 s[34:35], s[14:15], 2
	s_mul_u64 s[6:7], s[36:37], s[38:39]
	s_cmp_lg_u64 s[24:25], 0
	s_add_nc_u64 s[0:1], s[12:13], s[34:35]
	s_add_nc_u64 s[4:5], s[16:17], s[34:35]
	s_cselect_b32 s42, -1, 0
	v_readfirstlane_b32 s38, v2
	s_add_nc_u64 s[24:25], s[6:7], s[38:39]
	s_add_nc_u64 s[6:7], s[20:21], -1
	s_mul_i32 s8, s38, 0xc00
	v_cmp_ge_u64_e64 s31, s[24:25], s[6:7]
	s_lshl_b64 s[16:17], s[8:9], 2
	s_mul_i32 s33, s6, 0xfffff400
	s_add_nc_u64 s[20:21], s[0:1], s[16:17]
	s_add_nc_u64 s[14:15], s[4:5], s[16:17]
	s_and_b32 vcc_lo, exec_lo, s31
	s_cbranch_vccz .LBB1902_32
; %bb.5:
	flat_load_b32 v1, v1, s[20:21]
	s_add_co_i32 s43, s33, s30
	s_delay_alu instid0(SALU_CYCLE_1)
	v_cmp_gt_u32_e64 s0, s43, v0
	s_wait_loadcnt_dscnt 0x0
	v_mov_b32_e32 v2, v1
	s_and_saveexec_b32 s1, s0
	s_cbranch_execz .LBB1902_7
; %bb.6:
	flat_load_b32 v2, v0, s[20:21] scale_offset
.LBB1902_7:
	s_wait_xcnt 0x0
	s_or_b32 exec_lo, exec_lo, s1
	v_or_b32_e32 v3, 0x100, v0
	v_mov_b32_e32 v4, v1
	s_delay_alu instid0(VALU_DEP_2)
	v_cmp_gt_u32_e64 s1, s43, v3
	s_and_saveexec_b32 s4, s1
	s_cbranch_execz .LBB1902_9
; %bb.8:
	flat_load_b32 v4, v0, s[20:21] offset:1024 scale_offset
.LBB1902_9:
	s_wait_xcnt 0x0
	s_or_b32 exec_lo, exec_lo, s4
	v_or_b32_e32 v3, 0x200, v0
	v_mov_b32_e32 v5, v1
	s_delay_alu instid0(VALU_DEP_2)
	v_cmp_gt_u32_e64 s4, s43, v3
	s_and_saveexec_b32 s5, s4
	s_cbranch_execz .LBB1902_11
; %bb.10:
	flat_load_b32 v5, v0, s[20:21] offset:2048 scale_offset
.LBB1902_11:
	;; [unrolled: 11-line block ×10, first 2 shown]
	s_wait_xcnt 0x0
	s_or_b32 exec_lo, exec_lo, s13
	v_or_b32_e32 v3, 0xb00, v0
	s_mov_b32 s39, exec_lo
	s_delay_alu instid0(VALU_DEP_1) | instskip(SKIP_2) | instid1(SALU_CYCLE_1)
	v_cmp_gt_u32_e64 s13, s43, v3
	v_cmpx_le_u32_e64 s43, v3
	s_xor_b32 s39, exec_lo, s39
	s_and_not1_saveexec_b32 s39, s39
	s_cbranch_execz .LBB1902_29
; %bb.28:
	flat_load_b32 v1, v0, s[20:21] offset:11264 scale_offset
.LBB1902_29:
	s_wait_xcnt 0x0
	s_or_b32 exec_lo, exec_lo, s39
	v_lshlrev_b32_e32 v3, 2, v0
	s_cmp_eq_u64 s[24:25], 0
	s_mov_b64 s[40:41], s[20:21]
	s_wait_loadcnt_dscnt 0x0
	ds_store_2addr_stride64_b32 v3, v2, v4 offset1:4
	ds_store_2addr_stride64_b32 v3, v5, v6 offset0:8 offset1:12
	ds_store_2addr_stride64_b32 v3, v7, v8 offset0:16 offset1:20
	;; [unrolled: 1-line block ×5, first 2 shown]
	v_mad_u32_u24 v1, v0, 44, v3
	s_wait_dscnt 0x0
	s_barrier_signal -1
	s_barrier_wait -1
	ds_load_b128 v[14:17], v1
	ds_load_b128 v[10:13], v1 offset:16
	ds_load_b128 v[6:9], v1 offset:32
	s_cbranch_scc1 .LBB1902_35
; %bb.30:
	s_and_not1_b32 vcc_lo, exec_lo, s42
	s_cbranch_vccnz .LBB1902_33
; %bb.31:
	s_lshl_b64 s[40:41], s[24:25], 2
	s_mov_b32 s39, 0
	s_add_nc_u64 s[40:41], s[26:27], s[40:41]
	s_delay_alu instid0(SALU_CYCLE_1)
	s_add_nc_u64 s[40:41], s[40:41], -4
	s_branch .LBB1902_34
.LBB1902_32:
                                        ; implicit-def: $sgpr4
                                        ; implicit-def: $vgpr5
                                        ; implicit-def: $vgpr18_vgpr19
                                        ; implicit-def: $vgpr42_vgpr43
                                        ; implicit-def: $vgpr46_vgpr47
                                        ; implicit-def: $vgpr44_vgpr45
                                        ; implicit-def: $vgpr48_vgpr49
                                        ; implicit-def: $vgpr50_vgpr51
                                        ; implicit-def: $vgpr52_vgpr53
                                        ; implicit-def: $vgpr54_vgpr55
                                        ; implicit-def: $vgpr56_vgpr57
                                        ; implicit-def: $vgpr58_vgpr59
                                        ; implicit-def: $vgpr40_vgpr41
                                        ; implicit-def: $vgpr38_vgpr39
                                        ; implicit-def: $vgpr36_vgpr37
                                        ; implicit-def: $vgpr34_vgpr35
                                        ; implicit-def: $vgpr32_vgpr33
                                        ; implicit-def: $vgpr30_vgpr31
                                        ; implicit-def: $vgpr28_vgpr29
                                        ; implicit-def: $vgpr24_vgpr25
                                        ; implicit-def: $vgpr22_vgpr23
                                        ; implicit-def: $vgpr20_vgpr21
	v_lshlrev_b32_e32 v26, 2, v0
	s_cbranch_execnz .LBB1902_82
	s_branch .LBB1902_92
.LBB1902_33:
	s_add_nc_u64 s[40:41], s[20:21], -4
	s_mov_b32 s39, -1
.LBB1902_34:
	s_delay_alu instid0(SALU_CYCLE_1)
	s_and_not1_b32 vcc_lo, exec_lo, s39
.LBB1902_35:
	v_mov_b32_e32 v5, 0
	v_mad_i32_i24 v4, 0xffffffd4, v0, v1
	flat_load_b32 v2, v5, s[40:41]
	s_wait_dscnt 0x1
	ds_store_b32 v4, v9 offset:12288
	s_wait_loadcnt_dscnt 0x0
	s_barrier_signal -1
	s_barrier_wait -1
	s_and_saveexec_b32 s39, s3
; %bb.36:
	v_mul_i32_i24_e32 v2, 0xffffffd4, v0
	s_delay_alu instid0(VALU_DEP_1)
	v_add_nc_u32_e32 v2, v1, v2
	ds_load_b32 v2, v2 offset:12284
; %bb.37:
	s_or_b32 exec_lo, exec_lo, s39
	s_wait_dscnt 0x0
	s_barrier_signal -1
	s_barrier_wait -1
	s_and_saveexec_b32 s39, s0
	s_cbranch_execz .LBB1902_39
; %bb.38:
	flat_load_b32 v5, v0, s[14:15] scale_offset
.LBB1902_39:
	s_wait_xcnt 0x0
	s_or_b32 exec_lo, exec_lo, s39
	v_dual_mov_b32 v18, 0 :: v_dual_mov_b32 v19, 0
	s_and_saveexec_b32 s0, s1
	s_cbranch_execz .LBB1902_41
; %bb.40:
	flat_load_b32 v19, v0, s[14:15] offset:1024 scale_offset
.LBB1902_41:
	s_wait_xcnt 0x0
	s_or_b32 exec_lo, exec_lo, s0
	s_and_saveexec_b32 s0, s4
	s_cbranch_execz .LBB1902_43
; %bb.42:
	flat_load_b32 v18, v0, s[14:15] offset:2048 scale_offset
.LBB1902_43:
	s_wait_xcnt 0x0
	s_or_b32 exec_lo, exec_lo, s0
	v_dual_mov_b32 v20, 0 :: v_dual_mov_b32 v21, 0
	s_and_saveexec_b32 s0, s5
	s_cbranch_execz .LBB1902_45
; %bb.44:
	flat_load_b32 v21, v0, s[14:15] offset:3072 scale_offset
.LBB1902_45:
	s_wait_xcnt 0x0
	s_or_b32 exec_lo, exec_lo, s0
	s_and_saveexec_b32 s0, s6
	s_cbranch_execz .LBB1902_47
; %bb.46:
	flat_load_b32 v20, v0, s[14:15] offset:4096 scale_offset
.LBB1902_47:
	;; [unrolled: 15-line block ×4, first 2 shown]
	s_wait_xcnt 0x0
	s_or_b32 exec_lo, exec_lo, s0
	v_dual_mov_b32 v26, 0 :: v_dual_mov_b32 v27, 0
	s_and_saveexec_b32 s0, s11
	s_cbranch_execnz .LBB1902_85
; %bb.56:
	s_or_b32 exec_lo, exec_lo, s0
	s_and_saveexec_b32 s0, s12
	s_cbranch_execnz .LBB1902_86
.LBB1902_57:
	s_or_b32 exec_lo, exec_lo, s0
	v_mov_b32_e32 v28, 0
	s_and_saveexec_b32 s0, s13
	s_cbranch_execz .LBB1902_59
.LBB1902_58:
	flat_load_b32 v28, v0, s[14:15] offset:11264 scale_offset
.LBB1902_59:
	s_wait_xcnt 0x0
	s_or_b32 exec_lo, exec_lo, s0
	s_wait_loadcnt_dscnt 0x0
	ds_store_2addr_stride64_b32 v3, v5, v19 offset1:4
	ds_store_2addr_stride64_b32 v3, v18, v21 offset0:8 offset1:12
	ds_store_2addr_stride64_b32 v3, v20, v23 offset0:16 offset1:20
	;; [unrolled: 1-line block ×5, first 2 shown]
	v_mov_b64_e32 v[18:19], 0
	v_mov_b64_e32 v[42:43], 0
	;; [unrolled: 1-line block ×20, first 2 shown]
	v_mul_u32_u24_e32 v4, 12, v0
	s_mov_b32 s1, 0
	s_mov_b32 s39, 0
	s_mov_b32 s5, exec_lo
	s_wait_dscnt 0x0
	s_barrier_signal -1
	s_barrier_wait -1
                                        ; implicit-def: $sgpr4
                                        ; implicit-def: $vgpr5
	v_cmpx_gt_u32_e64 s43, v4
	s_cbranch_execz .LBB1902_81
; %bb.60:
	ds_load_b32 v18, v1
	v_cmp_ne_u32_e32 vcc_lo, v2, v14
	v_mov_b64_e32 v[42:43], 0
	v_mov_b64_e32 v[46:47], 0
	;; [unrolled: 1-line block ×18, first 2 shown]
	v_or_b32_e32 v3, 1, v4
	v_cndmask_b32_e64 v19, 0, 1, vcc_lo
	s_mov_b32 s0, 0
	s_mov_b32 s6, exec_lo
                                        ; implicit-def: $sgpr4
                                        ; implicit-def: $vgpr5
	s_delay_alu instid0(VALU_DEP_2)
	v_cmpx_gt_u32_e64 s43, v3
	s_cbranch_execz .LBB1902_80
; %bb.61:
	ds_load_2addr_b32 v[42:43], v1 offset0:1 offset1:2
	v_cmp_ne_u32_e32 vcc_lo, v14, v15
	v_mov_b64_e32 v[46:47], 0
	v_mov_b64_e32 v[44:45], 0
	;; [unrolled: 1-line block ×16, first 2 shown]
	v_or_b32_e32 v3, 2, v4
	v_cndmask_b32_e64 v2, 0, 1, vcc_lo
	s_mov_b32 s7, exec_lo
                                        ; implicit-def: $sgpr4
                                        ; implicit-def: $vgpr5
	s_delay_alu instid0(VALU_DEP_2)
	v_cmpx_gt_u32_e64 s43, v3
	s_cbranch_execz .LBB1902_79
; %bb.62:
	v_cmp_ne_u32_e32 vcc_lo, v15, v16
	v_mov_b64_e32 v[44:45], 0
	v_mov_b64_e32 v[48:49], 0
	;; [unrolled: 1-line block ×14, first 2 shown]
	v_or_b32_e32 v3, 3, v4
	v_cndmask_b32_e64 v47, 0, 1, vcc_lo
	s_mov_b32 s8, exec_lo
                                        ; implicit-def: $sgpr4
                                        ; implicit-def: $vgpr5
	s_delay_alu instid0(VALU_DEP_2)
	v_cmpx_gt_u32_e64 s43, v3
	s_cbranch_execz .LBB1902_78
; %bb.63:
	ds_load_2addr_b32 v[44:45], v1 offset0:3 offset1:4
	v_add_nc_u32_e32 v5, 4, v4
	v_cmp_ne_u32_e32 vcc_lo, v16, v17
	v_mov_b64_e32 v[48:49], 0
	v_mov_b64_e32 v[50:51], 0
	;; [unrolled: 1-line block ×12, first 2 shown]
	v_cndmask_b32_e64 v3, 0, 1, vcc_lo
	v_cmp_gt_u32_e32 vcc_lo, s43, v5
                                        ; implicit-def: $sgpr4
                                        ; implicit-def: $vgpr5
	s_and_saveexec_b32 s9, vcc_lo
	s_cbranch_execz .LBB1902_77
; %bb.64:
	v_add_nc_u32_e32 v5, 5, v4
	v_cmp_ne_u32_e32 vcc_lo, v17, v10
	v_mov_b64_e32 v[50:51], 0
	v_mov_b64_e32 v[52:53], 0
	;; [unrolled: 1-line block ×10, first 2 shown]
	v_cndmask_b32_e64 v49, 0, 1, vcc_lo
	v_cmp_gt_u32_e32 vcc_lo, s43, v5
                                        ; implicit-def: $sgpr4
                                        ; implicit-def: $vgpr5
	s_and_saveexec_b32 s10, vcc_lo
	s_cbranch_execz .LBB1902_76
; %bb.65:
	ds_load_2addr_b32 v[50:51], v1 offset0:5 offset1:6
	v_add_nc_u32_e32 v5, 6, v4
	v_cmp_ne_u32_e32 vcc_lo, v10, v11
	v_mov_b64_e32 v[52:53], 0
	v_mov_b64_e32 v[54:55], 0
	;; [unrolled: 1-line block ×8, first 2 shown]
	v_cndmask_b32_e64 v10, 0, 1, vcc_lo
	v_cmp_gt_u32_e32 vcc_lo, s43, v5
                                        ; implicit-def: $sgpr4
                                        ; implicit-def: $vgpr5
	s_and_saveexec_b32 s11, vcc_lo
	s_cbranch_execz .LBB1902_75
; %bb.66:
	v_add_nc_u32_e32 v5, 7, v4
	v_cmp_ne_u32_e32 vcc_lo, v11, v12
	v_mov_b64_e32 v[54:55], 0
	v_mov_b64_e32 v[56:57], 0
	;; [unrolled: 1-line block ×6, first 2 shown]
	v_cndmask_b32_e64 v53, 0, 1, vcc_lo
	v_cmp_gt_u32_e32 vcc_lo, s43, v5
                                        ; implicit-def: $sgpr4
                                        ; implicit-def: $vgpr5
	s_and_saveexec_b32 s12, vcc_lo
	s_cbranch_execz .LBB1902_74
; %bb.67:
	ds_load_2addr_b32 v[54:55], v1 offset0:7 offset1:8
	v_add_nc_u32_e32 v5, 8, v4
	v_cmp_ne_u32_e32 vcc_lo, v12, v13
	v_mov_b64_e32 v[56:57], 0
	v_mov_b64_e32 v[58:59], 0
	;; [unrolled: 1-line block ×4, first 2 shown]
	v_cndmask_b32_e64 v11, 0, 1, vcc_lo
	v_cmp_gt_u32_e32 vcc_lo, s43, v5
                                        ; implicit-def: $sgpr4
                                        ; implicit-def: $vgpr5
	s_and_saveexec_b32 s13, vcc_lo
	s_cbranch_execz .LBB1902_73
; %bb.68:
	v_add_nc_u32_e32 v5, 9, v4
	v_cmp_ne_u32_e32 vcc_lo, v13, v6
	v_mov_b64_e32 v[58:59], 0
	v_mov_b64_e32 v[20:21], 0
                                        ; implicit-def: $sgpr4
	v_cndmask_b32_e64 v57, 0, 1, vcc_lo
	v_cmp_gt_u32_e32 vcc_lo, s43, v5
                                        ; implicit-def: $vgpr5
	s_and_saveexec_b32 s39, vcc_lo
	s_cbranch_execz .LBB1902_72
; %bb.69:
	ds_load_2addr_b32 v[58:59], v1 offset0:9 offset1:10
	v_add_nc_u32_e32 v5, 10, v4
	v_cmp_ne_u32_e32 vcc_lo, v6, v7
	v_mov_b64_e32 v[20:21], 0
                                        ; implicit-def: $sgpr4
	v_cndmask_b32_e64 v6, 0, 1, vcc_lo
	s_delay_alu instid0(VALU_DEP_4) | instskip(SKIP_1) | instid1(SALU_CYCLE_1)
	v_cmp_gt_u32_e32 vcc_lo, s43, v5
                                        ; implicit-def: $vgpr5
	s_and_saveexec_b32 s40, vcc_lo
	s_xor_b32 s40, exec_lo, s40
	s_cbranch_execz .LBB1902_71
; %bb.70:
	ds_load_b32 v5, v1 offset:44
	s_wait_dscnt 0x1
	v_dual_mov_b32 v20, v59 :: v_dual_add_nc_u32 v1, 11, v4
	v_cmp_ne_u32_e64 s0, v7, v8
	v_cmp_ne_u32_e64 s4, v8, v9
	s_delay_alu instid0(VALU_DEP_3) | instskip(NEXT) | instid1(VALU_DEP_3)
	v_cmp_gt_u32_e32 vcc_lo, s43, v1
	v_cndmask_b32_e64 v21, 0, 1, s0
	s_and_b32 s0, vcc_lo, exec_lo
.LBB1902_71:
	s_or_b32 exec_lo, exec_lo, s40
	s_wait_dscnt 0x0
	v_mov_b32_e32 v59, v6
	s_and_b32 s0, s0, exec_lo
.LBB1902_72:
	s_or_b32 exec_lo, exec_lo, s39
	s_delay_alu instid0(VALU_DEP_1)
	v_mov_b64_e32 v[22:23], v[58:59]
	s_wait_dscnt 0x0
	v_mov_b32_e32 v56, v55
	s_and_b32 s0, s0, exec_lo
.LBB1902_73:
	s_or_b32 exec_lo, exec_lo, s13
	s_delay_alu instid0(VALU_DEP_1)
	v_mov_b64_e32 v[24:25], v[56:57]
	s_wait_dscnt 0x0
	v_mov_b32_e32 v55, v11
	s_and_b32 s0, s0, exec_lo
.LBB1902_74:
	s_or_b32 exec_lo, exec_lo, s12
	s_delay_alu instid0(VALU_DEP_1)
	v_mov_b64_e32 v[28:29], v[54:55]
	s_wait_dscnt 0x0
	v_mov_b32_e32 v52, v51
	s_and_b32 s0, s0, exec_lo
.LBB1902_75:
	s_or_b32 exec_lo, exec_lo, s11
	s_delay_alu instid0(VALU_DEP_1)
	v_mov_b64_e32 v[30:31], v[52:53]
	s_wait_dscnt 0x0
	v_mov_b32_e32 v51, v10
	s_and_b32 s0, s0, exec_lo
.LBB1902_76:
	s_or_b32 exec_lo, exec_lo, s10
	s_delay_alu instid0(VALU_DEP_1)
	v_mov_b64_e32 v[32:33], v[50:51]
	s_wait_dscnt 0x0
	v_mov_b32_e32 v48, v45
	s_and_b32 s0, s0, exec_lo
.LBB1902_77:
	s_or_b32 exec_lo, exec_lo, s9
	s_delay_alu instid0(VALU_DEP_1)
	v_mov_b64_e32 v[34:35], v[48:49]
	s_wait_dscnt 0x0
	v_mov_b32_e32 v45, v3
	s_and_b32 s0, s0, exec_lo
.LBB1902_78:
	s_or_b32 exec_lo, exec_lo, s8
	s_delay_alu instid0(VALU_DEP_1)
	v_mov_b64_e32 v[36:37], v[44:45]
	s_wait_dscnt 0x0
	v_mov_b32_e32 v46, v43
	s_and_b32 s0, s0, exec_lo
.LBB1902_79:
	s_or_b32 exec_lo, exec_lo, s7
	s_delay_alu instid0(VALU_DEP_1)
	v_mov_b64_e32 v[38:39], v[46:47]
	s_wait_dscnt 0x0
	v_mov_b32_e32 v43, v2
	s_and_b32 s0, s0, exec_lo
.LBB1902_80:
	s_or_b32 exec_lo, exec_lo, s6
	s_delay_alu instid0(VALU_DEP_1)
	v_mov_b64_e32 v[40:41], v[42:43]
	s_and_b32 s39, s0, exec_lo
.LBB1902_81:
	s_or_b32 exec_lo, exec_lo, s5
	v_lshlrev_b32_e32 v26, 2, v0
	s_and_b32 vcc_lo, exec_lo, s1
	s_cbranch_vccz .LBB1902_92
.LBB1902_82:
	s_clause 0xb
	flat_load_b32 v2, v0, s[20:21] scale_offset
	flat_load_b32 v3, v0, s[20:21] offset:1024 scale_offset
	flat_load_b32 v4, v0, s[20:21] offset:2048 scale_offset
	;; [unrolled: 1-line block ×11, first 2 shown]
	v_mad_u32_u24 v1, v0, 44, v26
	v_mov_b32_e32 v14, 0
	s_cmp_eq_u64 s[24:25], 0
	s_wait_loadcnt_dscnt 0xa0a
	ds_store_2addr_stride64_b32 v26, v2, v3 offset1:4
	s_wait_loadcnt_dscnt 0x809
	ds_store_2addr_stride64_b32 v26, v4, v5 offset0:8 offset1:12
	s_wait_loadcnt_dscnt 0x608
	ds_store_2addr_stride64_b32 v26, v6, v7 offset0:16 offset1:20
	;; [unrolled: 2-line block ×5, first 2 shown]
	s_wait_dscnt 0x0
	s_barrier_signal -1
	s_barrier_wait -1
	ds_load_b128 v[2:5], v1
	ds_load_b128 v[10:13], v1 offset:16
	ds_load_b128 v[6:9], v1 offset:32
	s_cbranch_scc1 .LBB1902_89
; %bb.83:
	s_and_not1_b32 vcc_lo, exec_lo, s42
	s_cbranch_vccnz .LBB1902_87
; %bb.84:
	s_lshl_b64 s[0:1], s[24:25], 2
	s_delay_alu instid0(SALU_CYCLE_1) | instskip(NEXT) | instid1(SALU_CYCLE_1)
	s_add_nc_u64 s[0:1], s[26:27], s[0:1]
	s_add_nc_u64 s[20:21], s[0:1], -4
	s_mov_b32 s0, 0
	s_branch .LBB1902_88
.LBB1902_85:
	flat_load_b32 v27, v0, s[14:15] offset:9216 scale_offset
	s_wait_xcnt 0x0
	s_or_b32 exec_lo, exec_lo, s0
	s_and_saveexec_b32 s0, s12
	s_cbranch_execz .LBB1902_57
.LBB1902_86:
	flat_load_b32 v26, v0, s[14:15] offset:10240 scale_offset
	s_wait_xcnt 0x0
	s_or_b32 exec_lo, exec_lo, s0
	v_mov_b32_e32 v28, 0
	s_and_saveexec_b32 s0, s13
	s_cbranch_execnz .LBB1902_58
	s_branch .LBB1902_59
.LBB1902_87:
	s_add_nc_u64 s[20:21], s[20:21], -4
	s_mov_b32 s0, -1
.LBB1902_88:
	s_delay_alu instid0(SALU_CYCLE_1)
	s_and_not1_b32 vcc_lo, exec_lo, s0
.LBB1902_89:
	flat_load_b32 v14, v14, s[20:21]
	v_mad_i32_i24 v15, 0xffffffd4, v0, v1
	s_wait_dscnt 0x1
	ds_store_b32 v15, v9 offset:12288
	s_wait_loadcnt_dscnt 0x0
	s_barrier_signal -1
	s_barrier_wait -1
	s_and_saveexec_b32 s0, s3
; %bb.90:
	v_mul_i32_i24_e32 v14, 0xffffffd4, v0
	s_delay_alu instid0(VALU_DEP_1)
	v_add_nc_u32_e32 v14, v1, v14
	ds_load_b32 v14, v14 offset:12284
; %bb.91:
	s_or_b32 exec_lo, exec_lo, s0
	s_wait_dscnt 0x0
	s_barrier_signal -1
	s_barrier_wait -1
	s_clause 0xb
	flat_load_b32 v15, v0, s[14:15] scale_offset
	flat_load_b32 v16, v0, s[14:15] offset:1024 scale_offset
	flat_load_b32 v17, v0, s[14:15] offset:2048 scale_offset
	;; [unrolled: 1-line block ×11, first 2 shown]
	v_cmp_ne_u32_e32 vcc_lo, v14, v2
	v_cmp_ne_u32_e64 s4, v8, v9
	s_mov_b32 s39, -1
	s_wait_loadcnt_dscnt 0xa0a
	ds_store_2addr_stride64_b32 v26, v15, v16 offset1:4
	s_wait_loadcnt_dscnt 0x809
	ds_store_2addr_stride64_b32 v26, v17, v18 offset0:8 offset1:12
	s_wait_loadcnt_dscnt 0x608
	ds_store_2addr_stride64_b32 v26, v20, v21 offset0:16 offset1:20
	;; [unrolled: 2-line block ×5, first 2 shown]
	v_cndmask_b32_e64 v19, 0, 1, vcc_lo
	v_cmp_ne_u32_e32 vcc_lo, v2, v3
	s_wait_dscnt 0x0
	s_barrier_signal -1
	s_barrier_wait -1
	v_cndmask_b32_e64 v43, 0, 1, vcc_lo
	v_cmp_ne_u32_e32 vcc_lo, v3, v4
	ds_load_b128 v[14:17], v1
	ds_load_b128 v[22:25], v1 offset:16
	v_cndmask_b32_e64 v47, 0, 1, vcc_lo
	v_cmp_ne_u32_e32 vcc_lo, v4, v5
	v_cndmask_b32_e64 v45, 0, 1, vcc_lo
	v_cmp_ne_u32_e32 vcc_lo, v5, v10
	ds_load_b128 v[2:5], v1 offset:32
	v_cndmask_b32_e64 v49, 0, 1, vcc_lo
	v_cmp_ne_u32_e32 vcc_lo, v10, v11
	s_wait_dscnt 0x2
	v_dual_mov_b32 v18, v14 :: v_dual_mov_b32 v42, v15
	v_cndmask_b32_e64 v51, 0, 1, vcc_lo
	v_cmp_ne_u32_e32 vcc_lo, v11, v12
	v_dual_mov_b32 v46, v16 :: v_dual_mov_b32 v44, v17
	s_wait_dscnt 0x1
	v_dual_mov_b32 v48, v22 :: v_dual_mov_b32 v50, v23
	v_cndmask_b32_e64 v53, 0, 1, vcc_lo
	v_cmp_ne_u32_e32 vcc_lo, v12, v13
	v_dual_mov_b32 v52, v24 :: v_dual_mov_b32 v54, v25
	s_wait_dscnt 0x0
	v_dual_mov_b32 v56, v2 :: v_dual_mov_b32 v58, v3
	v_cndmask_b32_e64 v55, 0, 1, vcc_lo
	v_cmp_ne_u32_e32 vcc_lo, v13, v6
	v_mov_b64_e32 v[40:41], v[42:43]
	v_mov_b64_e32 v[38:39], v[46:47]
	;; [unrolled: 1-line block ×4, first 2 shown]
	v_cndmask_b32_e64 v57, 0, 1, vcc_lo
	v_cmp_ne_u32_e32 vcc_lo, v6, v7
	v_mov_b64_e32 v[32:33], v[50:51]
	v_mov_b64_e32 v[30:31], v[52:53]
	;; [unrolled: 1-line block ×4, first 2 shown]
	v_cndmask_b32_e64 v59, 0, 1, vcc_lo
	v_cmp_ne_u32_e32 vcc_lo, v7, v8
	v_mov_b32_e32 v20, v4
	s_delay_alu instid0(VALU_DEP_3)
	v_mov_b64_e32 v[22:23], v[58:59]
	v_cndmask_b32_e64 v21, 0, 1, vcc_lo
.LBB1902_92:
	v_mov_b64_e32 v[14:15], 0
	s_and_saveexec_b32 s0, s39
	s_cbranch_execz .LBB1902_94
; %bb.93:
	v_mov_b64_e32 v[22:23], v[58:59]
	v_mov_b64_e32 v[24:25], v[56:57]
	;; [unrolled: 1-line block ×9, first 2 shown]
	v_cndmask_b32_e64 v15, 0, 1, s4
	v_mov_b32_e32 v14, v5
.LBB1902_94:
	s_or_b32 exec_lo, exec_lo, s0
	v_dual_lshrrev_b32 v1, 2, v0 :: v_dual_bitop2_b32 v17, v29, v25 bitop3:0x54
	v_or_b32_e32 v16, v23, v21
	s_cmp_lg_u32 s38, 0
	s_wait_dscnt 0x0
	v_cmp_gt_u32_e32 vcc_lo, 32, v0
	s_barrier_signal -1
	s_barrier_wait -1
	s_cbranch_scc0 .LBB1902_122
; %bb.95:
	s_mov_b64 s[12:13], 0x100000000
	v_or3_b32 v3, v17, v31, v33
	v_cmp_gt_u64_e64 s0, s[12:13], v[40:41]
	v_cmp_gt_u64_e64 s1, s[12:13], v[38:39]
	;; [unrolled: 1-line block ×7, first 2 shown]
	v_dual_cndmask_b32 v2, 0, v18, s0 :: v_dual_bitop2_b32 v5, 56, v1 bitop3:0x40
	v_cmp_gt_u64_e64 s9, s[12:13], v[24:25]
	v_cmp_gt_u64_e64 s10, s[12:13], v[22:23]
	;; [unrolled: 1-line block ×3, first 2 shown]
	s_delay_alu instid0(VALU_DEP_4) | instskip(SKIP_3) | instid1(VALU_DEP_4)
	v_add_nc_u32_e32 v2, v2, v40
	v_cmp_gt_u64_e64 s12, s[12:13], v[14:15]
	v_or3_b32 v3, v3, v35, v37
	v_lshl_add_u32 v5, v0, 3, v5
	v_cndmask_b32_e64 v2, 0, v2, s1
	s_delay_alu instid0(VALU_DEP_3) | instskip(NEXT) | instid1(VALU_DEP_2)
	v_or3_b32 v3, v3, v39, v41
	v_add_nc_u32_e32 v2, v2, v38
	s_delay_alu instid0(VALU_DEP_2) | instskip(NEXT) | instid1(VALU_DEP_2)
	v_or3_b32 v3, v15, v16, v3
	v_cndmask_b32_e64 v2, 0, v2, s4
	s_delay_alu instid0(VALU_DEP_2) | instskip(NEXT) | instid1(VALU_DEP_2)
	v_and_b32_e32 v3, 0xff, v3
	v_add_nc_u32_e32 v2, v2, v36
	s_delay_alu instid0(VALU_DEP_1) | instskip(NEXT) | instid1(VALU_DEP_1)
	v_cndmask_b32_e64 v2, 0, v2, s5
	v_add_nc_u32_e32 v2, v2, v34
	s_delay_alu instid0(VALU_DEP_1) | instskip(NEXT) | instid1(VALU_DEP_1)
	v_cndmask_b32_e64 v2, 0, v2, s6
	;; [unrolled: 3-line block ×7, first 2 shown]
	v_dual_add_nc_u32 v4, v2, v20 :: v_dual_mov_b32 v2, 0
	s_delay_alu instid0(VALU_DEP_1) | instskip(NEXT) | instid1(VALU_DEP_2)
	v_cndmask_b32_e64 v4, 0, v4, s12
	v_cmp_eq_u64_e64 s13, 0, v[2:3]
	s_delay_alu instid0(VALU_DEP_1)
	v_dual_add_nc_u32 v12, v4, v14 :: v_dual_cndmask_b32 v13, 1, v19, s13
	ds_store_b32 v5, v12
	ds_store_b8 v5, v13 offset:4
	s_wait_dscnt 0x0
	s_barrier_signal -1
	s_barrier_wait -1
	s_and_saveexec_b32 s14, vcc_lo
	s_cbranch_execz .LBB1902_105
; %bb.96:
	v_dual_lshlrev_b32 v2, 1, v0 :: v_dual_lshlrev_b32 v3, 6, v0
	s_mov_b32 s15, exec_lo
	s_delay_alu instid0(VALU_DEP_1) | instskip(NEXT) | instid1(VALU_DEP_1)
	v_and_b32_e32 v2, 0x1f8, v2
	v_add_nc_u32_e32 v4, v2, v3
	ds_load_u8 v5, v4 offset:12
	ds_load_b64 v[2:3], v4
	ds_load_2addr_b32 v[6:7], v4 offset0:2 offset1:4
	ds_load_u8 v10, v4 offset:20
	ds_load_u8 v11, v4 offset:28
	;; [unrolled: 1-line block ×5, first 2 shown]
	ds_load_b32 v44, v4 offset:56
	s_wait_dscnt 0x8
	v_cmp_eq_u16_e64 s13, 0, v5
	s_wait_dscnt 0x5
	s_delay_alu instid0(VALU_DEP_1)
	v_dual_cndmask_b32 v45, 0, v2, s13 :: v_dual_bitop2_b32 v5, v10, v5 bitop3:0x54
	ds_load_2addr_b32 v[8:9], v4 offset0:6 offset1:8
	v_cmp_eq_u16_e64 s13, 0, v10
	s_wait_dscnt 0x4
	v_bitop3_b16 v5, v5, v27, v11 bitop3:0xfe
	v_add_nc_u32_e32 v6, v45, v6
	s_delay_alu instid0(VALU_DEP_1) | instskip(SKIP_1) | instid1(VALU_DEP_2)
	v_cndmask_b32_e64 v6, 0, v6, s13
	v_cmp_eq_u16_e64 s13, 0, v11
	v_add_nc_u32_e32 v6, v6, v7
	s_delay_alu instid0(VALU_DEP_1)
	v_cndmask_b32_e64 v45, 0, v6, s13
	ds_load_2addr_b32 v[6:7], v4 offset0:10 offset1:12
	v_cmp_eq_u16_e64 s13, 0, v27
	s_wait_dscnt 0x1
	v_add_nc_u32_e32 v8, v45, v8
	ds_load_u8 v45, v4 offset:60
	v_cndmask_b32_e64 v8, 0, v8, s13
	v_cmp_eq_u16_e64 s13, 0, v42
	s_delay_alu instid0(VALU_DEP_2) | instskip(SKIP_1) | instid1(VALU_DEP_2)
	v_add_nc_u32_e32 v8, v8, v9
	v_bitop3_b16 v9, v5, v43, v42 bitop3:0xfe
	v_dual_cndmask_b32 v8, 0, v8, s13 :: v_dual_bitop2_b32 v5, 1, v3 bitop3:0x40
	s_delay_alu instid0(VALU_DEP_2) | instskip(SKIP_1) | instid1(VALU_DEP_2)
	v_cmp_eq_u16_e64 s13, 0, v9
	s_wait_dscnt 0x0
	v_dual_add_nc_u32 v6, v8, v6 :: v_dual_bitop2_b32 v8, 1, v45 bitop3:0x40
	s_delay_alu instid0(VALU_DEP_2) | instskip(SKIP_1) | instid1(VALU_DEP_1)
	v_cndmask_b32_e64 v9, 1, v5, s13
	v_cmp_eq_u16_e64 s13, 0, v43
	v_cndmask_b32_e64 v6, 0, v6, s13
	s_delay_alu instid0(VALU_DEP_4) | instskip(SKIP_1) | instid1(VALU_DEP_2)
	v_cmp_eq_u32_e64 s13, 1, v8
	v_mbcnt_lo_u32_b32 v8, -1, 0
	v_cndmask_b32_e64 v9, v9, 1, s13
	v_cmp_eq_u16_e64 s13, 0, v45
	s_delay_alu instid0(VALU_DEP_2) | instskip(SKIP_2) | instid1(VALU_DEP_1)
	v_and_b32_e32 v10, 0xffff, v9
	v_add_nc_u32_e32 v7, v6, v7
	v_and_b32_e32 v6, 0xffffff00, v3
	v_dual_cndmask_b32 v7, 0, v7, s13 :: v_dual_bitop2_b32 v11, v6, v10 bitop3:0x54
	v_and_b32_e32 v10, 15, v8
	s_delay_alu instid0(VALU_DEP_2) | instskip(NEXT) | instid1(VALU_DEP_3)
	v_mov_b32_dpp v42, v11 row_shr:1 row_mask:0xf bank_mask:0xf
	v_add_nc_u32_e32 v7, v7, v44
	s_delay_alu instid0(VALU_DEP_1) | instskip(NEXT) | instid1(VALU_DEP_4)
	v_mov_b32_dpp v27, v7 row_shr:1 row_mask:0xf bank_mask:0xf
	v_cmpx_ne_u32_e32 0, v10
	s_cbranch_execz .LBB1902_98
; %bb.97:
	v_and_b32_e32 v11, 1, v9
	v_and_b32_e32 v42, 1, v42
	s_delay_alu instid0(VALU_DEP_2) | instskip(NEXT) | instid1(VALU_DEP_1)
	v_cmp_eq_u32_e64 s13, 1, v11
	v_cndmask_b32_e64 v42, v42, 1, s13
	v_cmp_eq_u16_e64 s13, 0, v9
	s_delay_alu instid0(VALU_DEP_2) | instskip(NEXT) | instid1(VALU_DEP_2)
	v_and_b32_e32 v11, 0xffff, v42
	v_cndmask_b32_e64 v9, 0, v27, s13
	s_delay_alu instid0(VALU_DEP_2) | instskip(NEXT) | instid1(VALU_DEP_2)
	v_or_b32_e32 v11, v6, v11
	v_dual_add_nc_u32 v7, v9, v7 :: v_dual_mov_b32 v9, v42
.LBB1902_98:
	s_or_b32 exec_lo, exec_lo, s15
	s_delay_alu instid0(VALU_DEP_1) | instskip(NEXT) | instid1(VALU_DEP_3)
	v_mov_b32_dpp v27, v7 row_shr:2 row_mask:0xf bank_mask:0xf
	v_mov_b32_dpp v42, v11 row_shr:2 row_mask:0xf bank_mask:0xf
	s_mov_b32 s15, exec_lo
	v_cmpx_lt_u32_e32 1, v10
	s_cbranch_execz .LBB1902_100
; %bb.99:
	v_and_b32_e32 v11, 1, v9
	v_and_b32_e32 v42, 1, v42
	s_delay_alu instid0(VALU_DEP_2) | instskip(NEXT) | instid1(VALU_DEP_1)
	v_cmp_eq_u32_e64 s13, 1, v11
	v_cndmask_b32_e64 v42, v42, 1, s13
	v_cmp_eq_u16_e64 s13, 0, v9
	s_delay_alu instid0(VALU_DEP_2) | instskip(NEXT) | instid1(VALU_DEP_2)
	v_and_b32_e32 v11, 0xffff, v42
	v_cndmask_b32_e64 v9, 0, v27, s13
	s_delay_alu instid0(VALU_DEP_2) | instskip(NEXT) | instid1(VALU_DEP_2)
	v_or_b32_e32 v11, v6, v11
	v_dual_add_nc_u32 v7, v9, v7 :: v_dual_mov_b32 v9, v42
.LBB1902_100:
	s_or_b32 exec_lo, exec_lo, s15
	s_delay_alu instid0(VALU_DEP_1) | instskip(NEXT) | instid1(VALU_DEP_3)
	v_mov_b32_dpp v27, v7 row_shr:4 row_mask:0xf bank_mask:0xf
	v_mov_b32_dpp v42, v11 row_shr:4 row_mask:0xf bank_mask:0xf
	s_mov_b32 s15, exec_lo
	v_cmpx_lt_u32_e32 3, v10
	;; [unrolled: 21-line block ×3, first 2 shown]
	s_cbranch_execz .LBB1902_104
; %bb.103:
	v_and_b32_e32 v10, 1, v9
	v_and_b32_e32 v11, 1, v42
	s_delay_alu instid0(VALU_DEP_2) | instskip(NEXT) | instid1(VALU_DEP_1)
	v_cmp_eq_u32_e64 s13, 1, v10
	v_cndmask_b32_e64 v10, v11, 1, s13
	v_cmp_eq_u16_e64 s13, 0, v9
	s_delay_alu instid0(VALU_DEP_2) | instskip(NEXT) | instid1(VALU_DEP_2)
	v_and_b32_e32 v11, 0xffff, v10
	v_cndmask_b32_e64 v9, 0, v27, s13
	s_delay_alu instid0(VALU_DEP_2) | instskip(NEXT) | instid1(VALU_DEP_2)
	v_or_b32_e32 v11, v6, v11
	v_dual_add_nc_u32 v7, v9, v7 :: v_dual_mov_b32 v9, v10
.LBB1902_104:
	s_or_b32 exec_lo, exec_lo, s15
	ds_swizzle_b32 v10, v11 offset:swizzle(BROADCAST,32,15)
	ds_swizzle_b32 v11, v7 offset:swizzle(BROADCAST,32,15)
	v_and_b32_e32 v27, 1, v9
	v_bfe_i32 v43, v8, 4, 1
	v_and_b32_e32 v3, 0xff, v3
	; wave barrier
	s_delay_alu instid0(VALU_DEP_3) | instskip(SKIP_2) | instid1(VALU_DEP_1)
	v_cmp_eq_u32_e64 s13, 1, v27
	s_wait_dscnt 0x1
	v_dual_add_nc_u32 v27, -1, v8 :: v_dual_bitop2_b32 v10, 1, v10 bitop3:0x40
	v_cndmask_b32_e64 v10, v10, 1, s13
	v_and_b32_e32 v42, 16, v8
	v_cmp_eq_u16_e64 s13, 0, v9
	s_wait_dscnt 0x0
	s_delay_alu instid0(VALU_DEP_1) | instskip(NEXT) | instid1(VALU_DEP_3)
	v_cndmask_b32_e64 v11, 0, v11, s13
	v_cmp_eq_u32_e64 s13, 0, v42
	s_delay_alu instid0(VALU_DEP_1) | instskip(SKIP_1) | instid1(VALU_DEP_4)
	v_cndmask_b32_e64 v9, v10, v9, s13
	v_cmp_gt_i32_e64 s13, 0, v27
	v_and_b32_e32 v10, v43, v11
	s_delay_alu instid0(VALU_DEP_3) | instskip(NEXT) | instid1(VALU_DEP_2)
	v_and_b32_e32 v9, 0xffff, v9
	v_dual_cndmask_b32 v8, v27, v8, s13 :: v_dual_add_nc_u32 v7, v10, v7
	v_cmp_eq_u16_e64 s13, 0, v3
	s_delay_alu instid0(VALU_DEP_2)
	v_lshlrev_b32_e32 v8, 2, v8
	ds_bpermute_b32 v7, v8, v7
	s_wait_dscnt 0x0
	v_dual_cndmask_b32 v3, 0, v7, s13 :: v_dual_bitop2_b32 v6, v6, v9 bitop3:0x54
	ds_bpermute_b32 v6, v8, v6
	v_cmp_eq_u32_e64 s13, 1, v5
	v_add_nc_u32_e32 v2, v3, v2
	s_wait_dscnt 0x0
	s_delay_alu instid0(VALU_DEP_1) | instskip(NEXT) | instid1(VALU_DEP_1)
	v_dual_cndmask_b32 v5, v2, v12, s2 :: v_dual_bitop2_b32 v6, 1, v6 bitop3:0x40
	v_cndmask_b32_e64 v3, v6, 1, s13
	s_delay_alu instid0(VALU_DEP_1)
	v_cndmask_b32_e64 v8, v3, v13, s2
	ds_store_b32 v4, v5
	ds_store_b8 v4, v8 offset:4
	; wave barrier
	ds_load_u8 v9, v4 offset:12
	ds_load_2addr_b32 v[2:3], v4 offset0:2 offset1:4
	ds_load_u8 v10, v4 offset:20
	ds_load_u8 v11, v4 offset:28
	;; [unrolled: 1-line block ×5, first 2 shown]
	ds_load_b32 v44, v4 offset:56
	ds_load_u8 v45, v4 offset:60
	ds_load_2addr_b32 v[6:7], v4 offset0:6 offset1:8
	s_wait_dscnt 0x9
	v_cmp_eq_u16_e64 s13, 0, v9
	v_and_b32_e32 v9, 1, v9
	s_delay_alu instid0(VALU_DEP_2) | instskip(SKIP_2) | instid1(VALU_DEP_2)
	v_cndmask_b32_e64 v5, 0, v5, s13
	s_wait_dscnt 0x7
	v_cmp_eq_u16_e64 s13, 0, v10
	v_add_nc_u32_e32 v5, v5, v2
	s_delay_alu instid0(VALU_DEP_1) | instskip(SKIP_2) | instid1(VALU_DEP_2)
	v_cndmask_b32_e64 v2, 0, v5, s13
	s_wait_dscnt 0x6
	v_cmp_eq_u16_e64 s13, 0, v11
	v_add_nc_u32_e32 v46, v2, v3
	ds_load_2addr_b32 v[2:3], v4 offset0:10 offset1:12
	v_cndmask_b32_e64 v47, 0, v46, s13
	s_wait_dscnt 0x6
	v_cmp_eq_u16_e64 s13, 0, v27
	ds_store_2addr_b32 v4, v5, v46 offset0:2 offset1:4
	s_wait_dscnt 0x2
	v_add_nc_u32_e32 v6, v47, v6
	s_delay_alu instid0(VALU_DEP_1) | instskip(SKIP_3) | instid1(VALU_DEP_4)
	v_cndmask_b32_e64 v47, 0, v6, s13
	v_cmp_eq_u32_e64 s13, 1, v9
	v_and_b32_e32 v9, 1, v11
	v_and_b32_e32 v11, 1, v27
	v_dual_add_nc_u32 v7, v47, v7 :: v_dual_bitop2_b32 v10, 1, v10 bitop3:0x40
	s_delay_alu instid0(VALU_DEP_4) | instskip(SKIP_1) | instid1(VALU_DEP_3)
	v_cndmask_b32_e64 v8, v8, 1, s13
	v_and_b32_e32 v47, 1, v45
	v_cmp_eq_u32_e64 s13, 1, v10
	s_delay_alu instid0(VALU_DEP_1) | instskip(SKIP_1) | instid1(VALU_DEP_1)
	v_cndmask_b32_e64 v10, v8, 1, s13
	v_cmp_eq_u16_e64 s13, 0, v42
	v_dual_cndmask_b32 v27, 0, v7, s13 :: v_dual_bitop2_b32 v42, 1, v42 bitop3:0x40
	v_cmp_eq_u32_e64 s13, 1, v9
	s_wait_dscnt 0x1
	s_delay_alu instid0(VALU_DEP_2) | instskip(NEXT) | instid1(VALU_DEP_2)
	v_dual_add_nc_u32 v2, v27, v2 :: v_dual_bitop2_b32 v27, 1, v43 bitop3:0x40
	v_cndmask_b32_e64 v9, v10, 1, s13
	v_cmp_eq_u32_e64 s13, 1, v11
	s_delay_alu instid0(VALU_DEP_1) | instskip(SKIP_1) | instid1(VALU_DEP_1)
	v_cndmask_b32_e64 v11, v9, 1, s13
	v_cmp_eq_u16_e64 s13, 0, v43
	v_cndmask_b32_e64 v43, 0, v2, s13
	v_cmp_eq_u32_e64 s13, 1, v42
	s_delay_alu instid0(VALU_DEP_2) | instskip(NEXT) | instid1(VALU_DEP_2)
	v_add_nc_u32_e32 v3, v43, v3
	v_cndmask_b32_e64 v42, v11, 1, s13
	v_cmp_eq_u32_e64 s13, 1, v27
	ds_store_2addr_b32 v4, v6, v7 offset0:6 offset1:8
	ds_store_2addr_b32 v4, v2, v3 offset0:10 offset1:12
	v_cndmask_b32_e64 v27, v42, 1, s13
	v_cmp_eq_u16_e64 s13, 0, v45
	s_delay_alu instid0(VALU_DEP_1) | instskip(SKIP_1) | instid1(VALU_DEP_2)
	v_cndmask_b32_e64 v5, 0, v3, s13
	v_cmp_eq_u32_e64 s13, 1, v47
	v_add_nc_u32_e32 v2, v5, v44
	s_delay_alu instid0(VALU_DEP_2)
	v_cndmask_b32_e64 v43, v27, 1, s13
	ds_store_b8 v4, v8 offset:12
	ds_store_b8 v4, v10 offset:20
	;; [unrolled: 1-line block ×6, first 2 shown]
	ds_store_b32 v4, v2 offset:56
	ds_store_b8 v4, v43 offset:60
.LBB1902_105:
	s_or_b32 exec_lo, exec_lo, s14
	s_wait_dscnt 0x0
	s_barrier_signal -1
	s_barrier_wait -1
	s_and_saveexec_b32 s13, s3
	s_cbranch_execz .LBB1902_107
; %bb.106:
	v_add_nc_u32_e32 v2, -1, v0
	s_delay_alu instid0(VALU_DEP_1) | instskip(NEXT) | instid1(VALU_DEP_1)
	v_lshrrev_b32_e32 v3, 2, v2
	v_and_b32_e32 v3, 0x3ffffff8, v3
	s_delay_alu instid0(VALU_DEP_1)
	v_lshl_add_u32 v2, v2, 3, v3
	ds_load_b32 v12, v2
	ds_load_u8 v13, v2 offset:4
.LBB1902_107:
	s_or_b32 exec_lo, exec_lo, s13
	s_and_saveexec_b32 s24, vcc_lo
	s_cbranch_execz .LBB1902_127
; %bb.108:
	v_mov_b32_e32 v5, 0
	v_mbcnt_lo_u32_b32 v27, -1, 0
	s_mov_b32 s15, 0
	ds_load_b64 v[2:3], v5 offset:2096
	v_cmp_eq_u32_e64 s13, 0, v27
	s_and_saveexec_b32 s20, s13
	s_cbranch_execz .LBB1902_110
; %bb.109:
	s_add_co_i32 s14, s38, 32
	v_mov_b32_e32 v4, 1
	s_lshl_b64 s[14:15], s[14:15], 4
	s_delay_alu instid0(SALU_CYCLE_1) | instskip(NEXT) | instid1(SALU_CYCLE_1)
	s_add_nc_u64 s[14:15], s[28:29], s[14:15]
	v_mov_b64_e32 v[6:7], s[14:15]
	s_wait_dscnt 0x0
	;;#ASMSTART
	global_store_b128 v[6:7], v[2:5] off scope:SCOPE_DEV	
s_wait_storecnt 0x0
	;;#ASMEND
.LBB1902_110:
	s_or_b32 exec_lo, exec_lo, s20
	v_xad_u32 v8, v27, -1, s38
	s_mov_b32 s14, exec_lo
	s_delay_alu instid0(VALU_DEP_1) | instskip(NEXT) | instid1(VALU_DEP_1)
	v_add_nc_u32_e32 v4, 32, v8
	v_lshl_add_u64 v[10:11], v[4:5], 4, s[28:29]
	;;#ASMSTART
	global_load_b128 v[4:7], v[10:11] off scope:SCOPE_DEV	
s_wait_loadcnt 0x0
	;;#ASMEND
	v_and_b32_e32 v7, 0xff, v6
	v_and_b32_e32 v5, 0xff, v5
	s_delay_alu instid0(VALU_DEP_2)
	v_cmpx_eq_u16_e32 0, v7
	s_cbranch_execz .LBB1902_114
; %bb.111:
	s_mov_b32 s15, 0
.LBB1902_112:                           ; =>This Inner Loop Header: Depth=1
	;;#ASMSTART
	global_load_b128 v[4:7], v[10:11] off scope:SCOPE_DEV	
s_wait_loadcnt 0x0
	;;#ASMEND
	v_and_b32_e32 v7, 0xff, v6
	s_delay_alu instid0(VALU_DEP_1) | instskip(SKIP_1) | instid1(SALU_CYCLE_1)
	v_cmp_ne_u16_e32 vcc_lo, 0, v7
	s_or_b32 s15, vcc_lo, s15
	s_and_not1_b32 exec_lo, exec_lo, s15
	s_cbranch_execnz .LBB1902_112
; %bb.113:
	s_or_b32 exec_lo, exec_lo, s15
	v_and_b32_e32 v5, 0xff, v5
.LBB1902_114:
	s_or_b32 exec_lo, exec_lo, s14
	v_cmp_ne_u32_e32 vcc_lo, 31, v27
	v_and_b32_e32 v9, 0xff, v6
	v_lshlrev_b32_e64 v43, v27, -1
	s_mov_b64 s[20:21], 0x100000000
	v_lshl_or_b32 v52, v27, 2, 64
	v_add_co_ci_u32_e64 v7, null, 0, v27, vcc_lo
	v_cmp_eq_u16_e32 vcc_lo, 2, v9
	v_cmp_gt_u64_e64 s14, s[20:21], v[4:5]
	s_delay_alu instid0(VALU_DEP_3) | instskip(SKIP_1) | instid1(VALU_DEP_2)
	v_dual_lshlrev_b32 v42, 2, v7 :: v_dual_bitop2_b32 v10, 1, v5 bitop3:0x40
	v_and_or_b32 v9, vcc_lo, v43, 0x80000000
	v_cmp_eq_u32_e32 vcc_lo, 1, v10
	ds_bpermute_b32 v7, v42, v5
	ds_bpermute_b32 v10, v42, v4
	v_ctz_i32_b32_e32 v9, v9
	s_wait_dscnt 0x1
	v_and_b32_e32 v7, 1, v7
	s_delay_alu instid0(VALU_DEP_1) | instskip(SKIP_1) | instid1(VALU_DEP_2)
	v_cndmask_b32_e64 v7, v7, 1, vcc_lo
	v_cmp_gt_u32_e32 vcc_lo, 30, v27
	v_and_b32_e32 v45, 0xffff, v7
	v_cndmask_b32_e64 v11, 0, 2, vcc_lo
	v_cmp_lt_u32_e32 vcc_lo, v27, v9
	s_delay_alu instid0(VALU_DEP_2) | instskip(NEXT) | instid1(VALU_DEP_4)
	v_add_lshl_u32 v44, v11, v27, 2
	v_dual_cndmask_b32 v11, v5, v45, vcc_lo :: v_dual_cndmask_b32 v7, v5, v7, vcc_lo
	s_and_b32 vcc_lo, vcc_lo, s14
	s_wait_dscnt 0x0
	v_dual_cndmask_b32 v10, 0, v10 :: v_dual_add_nc_u32 v45, 2, v27
	ds_bpermute_b32 v5, v44, v11
	v_and_b32_e32 v46, 1, v7
	v_and_b32_e32 v48, 0xff, v7
	v_add_nc_u32_e32 v4, v10, v4
	s_delay_alu instid0(VALU_DEP_3) | instskip(NEXT) | instid1(VALU_DEP_3)
	v_cmp_eq_u32_e32 vcc_lo, 1, v46
	v_cmp_eq_u16_e64 s14, 0, v48
	ds_bpermute_b32 v10, v44, v4
	s_wait_dscnt 0x1
	v_and_b32_e32 v5, 1, v5
	s_delay_alu instid0(VALU_DEP_1) | instskip(SKIP_3) | instid1(VALU_DEP_3)
	v_cndmask_b32_e64 v5, v5, 1, vcc_lo
	v_cmp_gt_u32_e32 vcc_lo, 28, v27
	s_wait_dscnt 0x0
	v_cndmask_b32_e64 v10, 0, v10, s14
	v_and_b32_e32 v47, 0xffff, v5
	v_cndmask_b32_e64 v46, 0, 4, vcc_lo
	v_cmp_gt_u32_e32 vcc_lo, v45, v9
	s_delay_alu instid0(VALU_DEP_2) | instskip(SKIP_3) | instid1(VALU_DEP_3)
	v_add_lshl_u32 v46, v46, v27, 2
	v_cndmask_b32_e32 v5, v5, v7, vcc_lo
	v_cndmask_b32_e64 v10, v10, 0, vcc_lo
	v_cndmask_b32_e32 v7, v47, v11, vcc_lo
	v_dual_add_nc_u32 v47, 4, v27 :: v_dual_bitop2_b32 v48, 1, v5 bitop3:0x40
	s_delay_alu instid0(VALU_DEP_3) | instskip(SKIP_4) | instid1(VALU_DEP_1)
	v_add_nc_u32_e32 v4, v10, v4
	ds_bpermute_b32 v11, v46, v7
	v_cmp_eq_u32_e32 vcc_lo, 1, v48
	ds_bpermute_b32 v10, v46, v4
	v_and_b32_e32 v48, 0xff, v5
	v_cmp_eq_u16_e64 s14, 0, v48
	s_wait_dscnt 0x0
	s_delay_alu instid0(VALU_DEP_1) | instskip(NEXT) | instid1(VALU_DEP_1)
	v_dual_cndmask_b32 v10, 0, v10, s14 :: v_dual_bitop2_b32 v11, 1, v11 bitop3:0x40
	v_cndmask_b32_e64 v11, v11, 1, vcc_lo
	v_cmp_gt_u32_e32 vcc_lo, 24, v27
	s_delay_alu instid0(VALU_DEP_2) | instskip(SKIP_2) | instid1(VALU_DEP_2)
	v_and_b32_e32 v50, 0xffff, v11
	v_cndmask_b32_e64 v49, 0, 8, vcc_lo
	v_cmp_gt_u32_e32 vcc_lo, v47, v9
	v_add_lshl_u32 v48, v49, v27, 2
	s_delay_alu instid0(VALU_DEP_4) | instskip(SKIP_1) | instid1(VALU_DEP_2)
	v_dual_cndmask_b32 v5, v11, v5, vcc_lo :: v_dual_cndmask_b32 v7, v50, v7, vcc_lo
	v_cndmask_b32_e64 v10, v10, 0, vcc_lo
	v_and_b32_e32 v50, 1, v5
	ds_bpermute_b32 v11, v48, v7
	v_add_nc_u32_e32 v4, v10, v4
	v_and_b32_e32 v51, 0xff, v5
	v_cmp_eq_u32_e32 vcc_lo, 1, v50
	ds_bpermute_b32 v10, v48, v4
	s_wait_dscnt 0x1
	v_and_b32_e32 v11, 1, v11
	s_delay_alu instid0(VALU_DEP_1) | instskip(SKIP_2) | instid1(VALU_DEP_3)
	v_cndmask_b32_e64 v11, v11, 1, vcc_lo
	v_add_nc_u32_e32 v49, 8, v27
	v_cmp_eq_u16_e32 vcc_lo, 0, v51
	v_and_b32_e32 v50, 0xffff, v11
	s_wait_dscnt 0x0
	v_cndmask_b32_e32 v10, 0, v10, vcc_lo
	v_cmp_gt_u32_e32 vcc_lo, v49, v9
	s_delay_alu instid0(VALU_DEP_3) | instskip(NEXT) | instid1(VALU_DEP_3)
	v_dual_cndmask_b32 v5, v11, v5, vcc_lo :: v_dual_cndmask_b32 v7, v50, v7, vcc_lo
	v_cndmask_b32_e64 v10, v10, 0, vcc_lo
	s_delay_alu instid0(VALU_DEP_2) | instskip(SKIP_3) | instid1(VALU_DEP_1)
	v_and_b32_e32 v50, 1, v5
	ds_bpermute_b32 v7, v52, v7
	v_add_nc_u32_e32 v4, v10, v4
	v_and_b32_e32 v11, 0xff, v5
	v_cmp_eq_u16_e32 vcc_lo, 0, v11
	s_wait_dscnt 0x0
	v_and_b32_e32 v7, 1, v7
	ds_bpermute_b32 v10, v52, v4
	s_wait_dscnt 0x0
	v_dual_cndmask_b32 v10, 0, v10 :: v_dual_add_nc_u32 v53, 16, v27
	v_cmp_eq_u32_e32 vcc_lo, 1, v50
	v_cndmask_b32_e64 v7, v7, 1, vcc_lo
	s_delay_alu instid0(VALU_DEP_3) | instskip(NEXT) | instid1(VALU_DEP_2)
	v_cmp_gt_u32_e32 vcc_lo, v53, v9
	v_dual_mov_b32 v9, 0 :: v_dual_cndmask_b32 v5, v7, v5, vcc_lo
	v_cndmask_b32_e64 v7, v10, 0, vcc_lo
	s_delay_alu instid0(VALU_DEP_1)
	v_add_nc_u32_e32 v4, v7, v4
	s_branch .LBB1902_118
.LBB1902_115:                           ;   in Loop: Header=BB1902_118 Depth=1
	s_or_b32 exec_lo, exec_lo, s15
	v_and_b32_e32 v5, 0xff, v5
.LBB1902_116:                           ;   in Loop: Header=BB1902_118 Depth=1
	s_or_b32 exec_lo, exec_lo, s14
	ds_bpermute_b32 v7, v42, v5
	v_and_b32_e32 v10, 0xff, v6
	v_cmp_gt_u64_e64 s14, s[20:21], v[4:5]
	v_subrev_nc_u32_e32 v8, 32, v8
	s_delay_alu instid0(VALU_DEP_3) | instskip(SKIP_2) | instid1(VALU_DEP_2)
	v_cmp_eq_u16_e32 vcc_lo, 2, v10
	v_and_b32_e32 v10, 1, v5
	v_and_or_b32 v11, vcc_lo, v43, 0x80000000
	v_cmp_eq_u32_e32 vcc_lo, 1, v10
	s_delay_alu instid0(VALU_DEP_2) | instskip(SKIP_3) | instid1(VALU_DEP_1)
	v_ctz_i32_b32_e32 v10, v11
	ds_bpermute_b32 v11, v42, v4
	s_wait_dscnt 0x1
	v_and_b32_e32 v7, 1, v7
	v_cndmask_b32_e64 v7, v7, 1, vcc_lo
	v_cmp_lt_u32_e32 vcc_lo, v27, v10
	s_delay_alu instid0(VALU_DEP_2) | instskip(NEXT) | instid1(VALU_DEP_1)
	v_and_b32_e32 v54, 0xffff, v7
	v_dual_cndmask_b32 v7, v5, v7 :: v_dual_cndmask_b32 v54, v5, v54
	s_and_b32 vcc_lo, vcc_lo, s14
	s_delay_alu instid0(VALU_DEP_1)
	v_and_b32_e32 v56, 0xff, v7
	v_and_b32_e32 v55, 1, v7
	ds_bpermute_b32 v5, v44, v54
	s_wait_dscnt 0x1
	v_cndmask_b32_e32 v11, 0, v11, vcc_lo
	v_cmp_eq_u16_e64 s14, 0, v56
	v_cmp_eq_u32_e32 vcc_lo, 1, v55
	s_wait_dscnt 0x0
	s_delay_alu instid0(VALU_DEP_3) | instskip(NEXT) | instid1(VALU_DEP_1)
	v_dual_add_nc_u32 v4, v11, v4 :: v_dual_bitop2_b32 v5, 1, v5 bitop3:0x40
	v_cndmask_b32_e64 v5, v5, 1, vcc_lo
	ds_bpermute_b32 v11, v44, v4
	v_cmp_gt_u32_e32 vcc_lo, v45, v10
	v_and_b32_e32 v55, 0xffff, v5
	s_delay_alu instid0(VALU_DEP_1) | instskip(NEXT) | instid1(VALU_DEP_1)
	v_dual_cndmask_b32 v5, v5, v7, vcc_lo :: v_dual_cndmask_b32 v7, v55, v54, vcc_lo
	v_and_b32_e32 v55, 1, v5
	ds_bpermute_b32 v54, v46, v7
	s_wait_dscnt 0x1
	v_cndmask_b32_e64 v11, 0, v11, s14
	s_delay_alu instid0(VALU_DEP_1) | instskip(SKIP_2) | instid1(VALU_DEP_3)
	v_cndmask_b32_e64 v11, v11, 0, vcc_lo
	v_cmp_eq_u32_e32 vcc_lo, 1, v55
	v_and_b32_e32 v55, 0xff, v5
	v_add_nc_u32_e32 v4, v11, v4
	s_delay_alu instid0(VALU_DEP_2)
	v_cmp_eq_u16_e64 s14, 0, v55
	s_wait_dscnt 0x0
	v_and_b32_e32 v54, 1, v54
	ds_bpermute_b32 v11, v46, v4
	v_cndmask_b32_e64 v54, v54, 1, vcc_lo
	v_cmp_gt_u32_e32 vcc_lo, v47, v10
	s_delay_alu instid0(VALU_DEP_2) | instskip(SKIP_3) | instid1(VALU_DEP_1)
	v_and_b32_e32 v56, 0xffff, v54
	s_wait_dscnt 0x0
	v_dual_cndmask_b32 v5, v54, v5, vcc_lo :: v_dual_cndmask_b32 v11, 0, v11, s14
	s_mov_b32 s14, 0
	v_cndmask_b32_e64 v11, v11, 0, vcc_lo
	v_cndmask_b32_e32 v7, v56, v7, vcc_lo
	s_delay_alu instid0(VALU_DEP_3) | instskip(NEXT) | instid1(VALU_DEP_3)
	v_and_b32_e32 v56, 0xff, v5
	v_add_nc_u32_e32 v4, v11, v4
	ds_bpermute_b32 v54, v48, v7
	ds_bpermute_b32 v11, v48, v4
	v_and_b32_e32 v55, 1, v5
	s_delay_alu instid0(VALU_DEP_1) | instskip(SKIP_2) | instid1(VALU_DEP_1)
	v_cmp_eq_u32_e32 vcc_lo, 1, v55
	s_wait_dscnt 0x1
	v_and_b32_e32 v54, 1, v54
	v_cndmask_b32_e64 v54, v54, 1, vcc_lo
	v_cmp_eq_u16_e32 vcc_lo, 0, v56
	s_delay_alu instid0(VALU_DEP_2) | instskip(SKIP_3) | instid1(VALU_DEP_2)
	v_and_b32_e32 v55, 0xffff, v54
	s_wait_dscnt 0x0
	v_cndmask_b32_e32 v11, 0, v11, vcc_lo
	v_cmp_gt_u32_e32 vcc_lo, v49, v10
	v_cndmask_b32_e64 v11, v11, 0, vcc_lo
	v_dual_cndmask_b32 v7, v55, v7, vcc_lo :: v_dual_cndmask_b32 v5, v54, v5, vcc_lo
	s_delay_alu instid0(VALU_DEP_2) | instskip(SKIP_4) | instid1(VALU_DEP_1)
	v_add_nc_u32_e32 v4, v11, v4
	ds_bpermute_b32 v7, v52, v7
	v_and_b32_e32 v55, 0xff, v5
	ds_bpermute_b32 v11, v52, v4
	v_and_b32_e32 v54, 1, v5
	v_cmp_eq_u32_e32 vcc_lo, 1, v54
	s_wait_dscnt 0x1
	v_cndmask_b32_e64 v7, v7, 1, vcc_lo
	v_cmp_eq_u16_e32 vcc_lo, 0, v55
	s_wait_dscnt 0x0
	v_cndmask_b32_e32 v11, 0, v11, vcc_lo
	v_cmp_gt_u32_e32 vcc_lo, v53, v10
	v_and_b32_e32 v10, 0xff, v50
	v_cndmask_b32_e32 v5, v7, v5, vcc_lo
	s_delay_alu instid0(VALU_DEP_4) | instskip(NEXT) | instid1(VALU_DEP_3)
	v_cndmask_b32_e64 v7, v11, 0, vcc_lo
	v_cmp_eq_u16_e32 vcc_lo, 0, v10
	s_delay_alu instid0(VALU_DEP_2) | instskip(NEXT) | instid1(VALU_DEP_1)
	v_dual_add_nc_u32 v4, v7, v4 :: v_dual_bitop2_b32 v7, 1, v50 bitop3:0x40
	v_dual_cndmask_b32 v4, 0, v4, vcc_lo :: v_dual_bitop2_b32 v5, 1, v5 bitop3:0x40
	s_delay_alu instid0(VALU_DEP_2) | instskip(NEXT) | instid1(VALU_DEP_2)
	v_cmp_eq_u32_e32 vcc_lo, 1, v7
	v_add_nc_u32_e32 v4, v4, v51
	s_delay_alu instid0(VALU_DEP_3)
	v_cndmask_b32_e64 v5, v5, 1, vcc_lo
.LBB1902_117:                           ;   in Loop: Header=BB1902_118 Depth=1
	s_and_b32 vcc_lo, exec_lo, s14
	s_cbranch_vccnz .LBB1902_123
.LBB1902_118:                           ; =>This Loop Header: Depth=1
                                        ;     Child Loop BB1902_121 Depth 2
	v_and_b32_e32 v6, 0xff, v6
	s_delay_alu instid0(VALU_DEP_2) | instskip(SKIP_1) | instid1(VALU_DEP_2)
	v_dual_mov_b32 v50, v5 :: v_dual_mov_b32 v51, v4
	s_mov_b32 s14, -1
                                        ; implicit-def: $vgpr5
                                        ; implicit-def: $vgpr4
	v_cmp_ne_u16_e32 vcc_lo, 2, v6
                                        ; implicit-def: $vgpr6
	s_cmp_lg_u32 vcc_lo, exec_lo
	s_cbranch_scc1 .LBB1902_117
; %bb.119:                              ;   in Loop: Header=BB1902_118 Depth=1
	v_lshl_add_u64 v[10:11], v[8:9], 4, s[28:29]
	;;#ASMSTART
	global_load_b128 v[4:7], v[10:11] off scope:SCOPE_DEV	
s_wait_loadcnt 0x0
	;;#ASMEND
	v_and_b32_e32 v7, 0xff, v6
	v_and_b32_e32 v5, 0xff, v5
	s_mov_b32 s14, exec_lo
	s_delay_alu instid0(VALU_DEP_2)
	v_cmpx_eq_u16_e32 0, v7
	s_cbranch_execz .LBB1902_116
; %bb.120:                              ;   in Loop: Header=BB1902_118 Depth=1
	s_mov_b32 s15, 0
.LBB1902_121:                           ;   Parent Loop BB1902_118 Depth=1
                                        ; =>  This Inner Loop Header: Depth=2
	;;#ASMSTART
	global_load_b128 v[4:7], v[10:11] off scope:SCOPE_DEV	
s_wait_loadcnt 0x0
	;;#ASMEND
	v_and_b32_e32 v7, 0xff, v6
	s_delay_alu instid0(VALU_DEP_1) | instskip(SKIP_1) | instid1(SALU_CYCLE_1)
	v_cmp_ne_u16_e32 vcc_lo, 0, v7
	s_or_b32 s15, vcc_lo, s15
	s_and_not1_b32 exec_lo, exec_lo, s15
	s_cbranch_execnz .LBB1902_121
	s_branch .LBB1902_115
.LBB1902_122:
                                        ; implicit-def: $vgpr13
                                        ; implicit-def: $vgpr9
                                        ; implicit-def: $vgpr5
                                        ; implicit-def: $vgpr43
	s_cbranch_execnz .LBB1902_128
	s_branch .LBB1902_145
.LBB1902_123:
	s_and_saveexec_b32 s14, s13
	s_cbranch_execz .LBB1902_125
; %bb.124:
	v_and_b32_e32 v4, 0xff, v3
	s_mov_b32 s21, 0
	s_add_co_i32 s20, s38, 32
	v_and_b32_e32 v5, 1, v50
	s_lshl_b64 s[20:21], s[20:21], 4
	v_cmp_eq_u32_e32 vcc_lo, 0, v4
	s_add_nc_u64 s[20:21], s[28:29], s[20:21]
	s_delay_alu instid0(SALU_CYCLE_1) | instskip(SKIP_1) | instid1(VALU_DEP_1)
	v_mov_b64_e32 v[6:7], s[20:21]
	v_cndmask_b32_e32 v4, 0, v51, vcc_lo
	v_dual_add_nc_u32 v2, v4, v2 :: v_dual_bitop2_b32 v3, 1, v3 bitop3:0x40
	s_delay_alu instid0(VALU_DEP_1)
	v_cmp_eq_u32_e32 vcc_lo, 1, v3
	v_mov_b32_e32 v4, 2
	v_cndmask_b32_e64 v3, v5, 1, vcc_lo
	v_mov_b32_e32 v5, 0
	;;#ASMSTART
	global_store_b128 v[6:7], v[2:5] off scope:SCOPE_DEV	
s_wait_storecnt 0x0
	;;#ASMEND
.LBB1902_125:
	s_or_b32 exec_lo, exec_lo, s14
	s_delay_alu instid0(SALU_CYCLE_1)
	s_and_b32 exec_lo, exec_lo, s2
	s_cbranch_execz .LBB1902_127
; %bb.126:
	v_mov_b32_e32 v2, 0
	ds_store_b32 v2, v51
	ds_store_b8 v2, v50 offset:4
.LBB1902_127:
	s_or_b32 exec_lo, exec_lo, s24
	v_dual_mov_b32 v2, 0 :: v_dual_bitop2_b32 v3, 1, v19 bitop3:0x40
	s_wait_dscnt 0x0
	s_barrier_signal -1
	s_barrier_wait -1
	s_delay_alu instid0(VALU_DEP_1) | instskip(SKIP_4) | instid1(VALU_DEP_2)
	v_cmp_eq_u32_e32 vcc_lo, 1, v3
	ds_load_b32 v2, v2
	s_mov_b64 s[14:15], 0x100000000
	v_cndmask_b32_e64 v3, v13, 1, vcc_lo
	v_cmp_gt_u64_e32 vcc_lo, s[14:15], v[18:19]
	v_dual_cndmask_b32 v3, v3, v19, s2 :: v_dual_cndmask_b32 v4, 0, v12, vcc_lo
	s_delay_alu instid0(VALU_DEP_1) | instskip(NEXT) | instid1(VALU_DEP_2)
	v_and_b32_e32 v3, 0xff, v3
	v_cndmask_b32_e64 v4, v4, 0, s2
	s_delay_alu instid0(VALU_DEP_2) | instskip(SKIP_2) | instid1(VALU_DEP_1)
	v_cmp_eq_u16_e32 vcc_lo, 0, v3
	s_wait_dscnt 0x0
	v_cndmask_b32_e32 v2, 0, v2, vcc_lo
	v_add3_u32 v42, v4, v18, v2
	s_delay_alu instid0(VALU_DEP_1) | instskip(NEXT) | instid1(VALU_DEP_1)
	v_cndmask_b32_e64 v2, 0, v42, s0
	v_add_nc_u32_e32 v43, v2, v40
	s_delay_alu instid0(VALU_DEP_1) | instskip(NEXT) | instid1(VALU_DEP_1)
	v_cndmask_b32_e64 v2, 0, v43, s1
	v_add_nc_u32_e32 v4, v2, v38
	;; [unrolled: 3-line block ×11, first 2 shown]
	v_mov_b64_e32 v[2:3], v[42:43]
	s_branch .LBB1902_145
.LBB1902_128:
	s_cmp_lg_u64 s[36:37], 0
	s_cselect_b32 s0, -1, 0
	s_cmp_lg_u64 s[22:23], 0
	s_cselect_b32 s1, -1, 0
	s_delay_alu instid0(SALU_CYCLE_1) | instskip(NEXT) | instid1(SALU_CYCLE_1)
	s_and_b32 s0, s0, s1
	s_and_b32 s1, s2, s0
	s_delay_alu instid0(SALU_CYCLE_1)
	s_and_saveexec_b32 s0, s1
	s_cbranch_execz .LBB1902_130
; %bb.129:
	s_mov_b64 s[4:5], 0x100000000
	s_delay_alu instid0(SALU_CYCLE_1)
	v_cmp_gt_u64_e32 vcc_lo, s[4:5], v[18:19]
	v_mov_b32_e32 v2, 0
	s_clause 0x1
	global_load_b32 v3, v2, s[22:23]
	global_load_u8 v4, v2, s[22:23] offset:4
	s_wait_loadcnt 0x1
	v_cndmask_b32_e32 v5, 0, v3, vcc_lo
	v_and_b32_e32 v3, 1, v19
	s_wait_loadcnt 0x0
	s_delay_alu instid0(VALU_DEP_2) | instskip(NEXT) | instid1(VALU_DEP_2)
	v_dual_add_nc_u32 v18, v5, v18 :: v_dual_bitop2_b32 v4, 1, v4 bitop3:0x40
	v_cmp_eq_u64_e32 vcc_lo, 0, v[2:3]
	s_delay_alu instid0(VALU_DEP_2)
	v_cndmask_b32_e32 v19, 1, v4, vcc_lo
.LBB1902_130:
	s_or_b32 exec_lo, exec_lo, s0
	s_mov_b64 s[12:13], 0x100000000
	v_or3_b32 v3, v17, v31, v33
	v_cmp_gt_u64_e32 vcc_lo, s[12:13], v[40:41]
	v_cmp_gt_u64_e64 s10, s[12:13], v[20:21]
	v_cmp_gt_u64_e64 s0, s[12:13], v[38:39]
	;; [unrolled: 1-line block ×6, first 2 shown]
	v_cndmask_b32_e32 v2, 0, v18, vcc_lo
	v_cmp_gt_u64_e64 s6, s[12:13], v[30:31]
	v_cmp_gt_u64_e64 s7, s[12:13], v[28:29]
	;; [unrolled: 1-line block ×4, first 2 shown]
	v_add_nc_u32_e32 v43, v2, v40
	s_mov_b32 s13, exec_lo
	s_delay_alu instid0(VALU_DEP_1) | instskip(NEXT) | instid1(VALU_DEP_1)
	v_dual_cndmask_b32 v2, 0, v43, s0 :: v_dual_bitop2_b32 v1, 56, v1 bitop3:0x40
	v_lshl_add_u32 v1, v0, 3, v1
	s_delay_alu instid0(VALU_DEP_2) | instskip(NEXT) | instid1(VALU_DEP_1)
	v_add_nc_u32_e32 v4, v2, v38
	v_cndmask_b32_e64 v2, 0, v4, s1
	s_delay_alu instid0(VALU_DEP_1) | instskip(NEXT) | instid1(VALU_DEP_1)
	v_add_nc_u32_e32 v5, v2, v36
	v_cndmask_b32_e64 v2, 0, v5, s4
	s_delay_alu instid0(VALU_DEP_1) | instskip(NEXT) | instid1(VALU_DEP_1)
	v_add_nc_u32_e32 v6, v2, v34
	v_cndmask_b32_e64 v2, 0, v6, s5
	s_delay_alu instid0(VALU_DEP_1) | instskip(NEXT) | instid1(VALU_DEP_1)
	v_add_nc_u32_e32 v7, v2, v32
	v_cndmask_b32_e64 v2, 0, v7, s6
	s_delay_alu instid0(VALU_DEP_1) | instskip(NEXT) | instid1(VALU_DEP_1)
	v_add_nc_u32_e32 v8, v2, v30
	v_cndmask_b32_e64 v2, 0, v8, s7
	s_delay_alu instid0(VALU_DEP_1) | instskip(NEXT) | instid1(VALU_DEP_1)
	v_add_nc_u32_e32 v9, v2, v28
	v_cndmask_b32_e64 v2, 0, v9, s8
	s_delay_alu instid0(VALU_DEP_1) | instskip(NEXT) | instid1(VALU_DEP_1)
	v_add_nc_u32_e32 v10, v2, v24
	v_cndmask_b32_e64 v2, 0, v10, s9
	s_delay_alu instid0(VALU_DEP_1) | instskip(SKIP_1) | instid1(VALU_DEP_2)
	v_add_nc_u32_e32 v11, v2, v22
	v_or3_b32 v2, v3, v35, v37
	v_cndmask_b32_e64 v3, 0, v11, s10
	s_delay_alu instid0(VALU_DEP_2) | instskip(NEXT) | instid1(VALU_DEP_2)
	v_or3_b32 v2, v2, v39, v41
	v_add_nc_u32_e32 v12, v3, v20
	s_delay_alu instid0(VALU_DEP_2) | instskip(NEXT) | instid1(VALU_DEP_2)
	v_or3_b32 v3, v15, v16, v2
	v_dual_mov_b32 v2, 0 :: v_dual_cndmask_b32 v13, 0, v12, s11
	s_delay_alu instid0(VALU_DEP_2) | instskip(NEXT) | instid1(VALU_DEP_2)
	v_and_b32_e32 v3, 0xff, v3
	v_add_nc_u32_e32 v13, v13, v14
	s_delay_alu instid0(VALU_DEP_2) | instskip(NEXT) | instid1(VALU_DEP_1)
	v_cmp_eq_u64_e64 s12, 0, v[2:3]
	v_cndmask_b32_e64 v15, 1, v19, s12
	ds_store_b32 v1, v13
	ds_store_b8 v1, v15 offset:4
	s_wait_dscnt 0x0
	s_barrier_signal -1
	s_barrier_wait -1
	v_cmpx_gt_u32_e32 32, v0
	s_cbranch_execz .LBB1902_140
; %bb.131:
	v_dual_lshlrev_b32 v1, 1, v0 :: v_dual_lshlrev_b32 v2, 6, v0
	s_mov_b32 s14, exec_lo
	s_delay_alu instid0(VALU_DEP_1) | instskip(NEXT) | instid1(VALU_DEP_1)
	v_and_b32_e32 v1, 0x1f8, v1
	v_add_nc_u32_e32 v1, v1, v2
	ds_load_u8 v21, v1 offset:12
	ds_load_b64 v[2:3], v1
	ds_load_2addr_b32 v[16:17], v1 offset0:2 offset1:4
	ds_load_u8 v23, v1 offset:20
	ds_load_u8 v25, v1 offset:28
	;; [unrolled: 1-line block ×5, first 2 shown]
	ds_load_b32 v33, v1 offset:56
	s_wait_dscnt 0x8
	v_cmp_eq_u16_e64 s12, 0, v21
	s_wait_dscnt 0x7
	s_delay_alu instid0(VALU_DEP_1)
	v_cndmask_b32_e64 v35, 0, v2, s12
	ds_load_2addr_b32 v[46:47], v1 offset0:10 offset1:12
	ds_load_2addr_b32 v[44:45], v1 offset0:6 offset1:8
	s_wait_dscnt 0x7
	v_cmp_eq_u16_e64 s12, 0, v23
	v_add_nc_u32_e32 v16, v35, v16
	ds_load_u8 v35, v1 offset:60
	v_cndmask_b32_e64 v16, 0, v16, s12
	s_wait_dscnt 0x7
	v_cmp_eq_u16_e64 s12, 0, v25
	s_delay_alu instid0(VALU_DEP_2) | instskip(SKIP_2) | instid1(VALU_DEP_1)
	v_add_nc_u32_e32 v16, v16, v17
	v_or_b32_e32 v17, v23, v21
	s_wait_dscnt 0x6
	v_bitop3_b16 v17, v17, v27, v25 bitop3:0xfe
	s_wait_dscnt 0x0
	v_dual_cndmask_b32 v16, 0, v16, s12 :: v_dual_bitop2_b32 v23, 1, v35 bitop3:0x40
	v_cmp_eq_u16_e64 s12, 0, v27
	s_delay_alu instid0(VALU_DEP_3) | instskip(NEXT) | instid1(VALU_DEP_3)
	v_bitop3_b16 v17, v17, v31, v29 bitop3:0xfe
	v_add_nc_u32_e32 v16, v16, v44
	s_delay_alu instid0(VALU_DEP_1) | instskip(SKIP_1) | instid1(VALU_DEP_2)
	v_cndmask_b32_e64 v16, 0, v16, s12
	v_cmp_eq_u16_e64 s12, 0, v29
	v_add_nc_u32_e32 v16, v16, v45
	s_delay_alu instid0(VALU_DEP_1) | instskip(SKIP_1) | instid1(VALU_DEP_1)
	v_dual_cndmask_b32 v21, 0, v16, s12 :: v_dual_bitop2_b32 v16, 1, v3 bitop3:0x40
	v_cmp_eq_u16_e64 s12, 0, v17
	v_dual_add_nc_u32 v21, v21, v46 :: v_dual_cndmask_b32 v17, 1, v16, s12
	v_cmp_eq_u16_e64 s12, 0, v31
	s_delay_alu instid0(VALU_DEP_1) | instskip(SKIP_2) | instid1(VALU_DEP_3)
	v_cndmask_b32_e64 v21, 0, v21, s12
	v_cmp_eq_u32_e64 s12, 1, v23
	v_mbcnt_lo_u32_b32 v23, -1, 0
	v_add_nc_u32_e32 v21, v21, v47
	s_delay_alu instid0(VALU_DEP_3) | instskip(SKIP_2) | instid1(VALU_DEP_3)
	v_cndmask_b32_e64 v25, v17, 1, s12
	v_cmp_eq_u16_e64 s12, 0, v35
	v_and_b32_e32 v17, 0xffffff00, v3
	v_and_b32_e32 v27, 0xffff, v25
	s_delay_alu instid0(VALU_DEP_1) | instskip(NEXT) | instid1(VALU_DEP_1)
	v_dual_cndmask_b32 v21, 0, v21, s12 :: v_dual_bitop2_b32 v29, v17, v27 bitop3:0x54
	v_dual_add_nc_u32 v21, v21, v33 :: v_dual_bitop2_b32 v27, 15, v23 bitop3:0x40
	s_delay_alu instid0(VALU_DEP_2) | instskip(NEXT) | instid1(VALU_DEP_2)
	v_mov_b32_dpp v33, v29 row_shr:1 row_mask:0xf bank_mask:0xf
	v_mov_b32_dpp v31, v21 row_shr:1 row_mask:0xf bank_mask:0xf
	s_delay_alu instid0(VALU_DEP_3)
	v_cmpx_ne_u32_e32 0, v27
	s_cbranch_execz .LBB1902_133
; %bb.132:
	v_and_b32_e32 v29, 1, v25
	v_and_b32_e32 v33, 1, v33
	s_delay_alu instid0(VALU_DEP_2) | instskip(NEXT) | instid1(VALU_DEP_1)
	v_cmp_eq_u32_e64 s12, 1, v29
	v_cndmask_b32_e64 v33, v33, 1, s12
	v_cmp_eq_u16_e64 s12, 0, v25
	s_delay_alu instid0(VALU_DEP_2) | instskip(NEXT) | instid1(VALU_DEP_1)
	v_and_b32_e32 v29, 0xffff, v33
	v_dual_cndmask_b32 v25, 0, v31, s12 :: v_dual_bitop2_b32 v29, v17, v29 bitop3:0x54
	s_delay_alu instid0(VALU_DEP_1)
	v_add_nc_u32_e32 v21, v25, v21
	v_mov_b32_e32 v25, v33
.LBB1902_133:
	s_or_b32 exec_lo, exec_lo, s14
	s_delay_alu instid0(VALU_DEP_2)
	v_mov_b32_dpp v31, v21 row_shr:2 row_mask:0xf bank_mask:0xf
	v_mov_b32_dpp v33, v29 row_shr:2 row_mask:0xf bank_mask:0xf
	s_mov_b32 s14, exec_lo
	v_cmpx_lt_u32_e32 1, v27
	s_cbranch_execz .LBB1902_135
; %bb.134:
	v_and_b32_e32 v29, 1, v25
	v_and_b32_e32 v33, 1, v33
	s_delay_alu instid0(VALU_DEP_2) | instskip(NEXT) | instid1(VALU_DEP_1)
	v_cmp_eq_u32_e64 s12, 1, v29
	v_cndmask_b32_e64 v33, v33, 1, s12
	v_cmp_eq_u16_e64 s12, 0, v25
	s_delay_alu instid0(VALU_DEP_2) | instskip(NEXT) | instid1(VALU_DEP_1)
	v_and_b32_e32 v29, 0xffff, v33
	v_dual_cndmask_b32 v25, 0, v31, s12 :: v_dual_bitop2_b32 v29, v17, v29 bitop3:0x54
	s_delay_alu instid0(VALU_DEP_1)
	v_add_nc_u32_e32 v21, v25, v21
	v_mov_b32_e32 v25, v33
.LBB1902_135:
	s_or_b32 exec_lo, exec_lo, s14
	s_delay_alu instid0(VALU_DEP_2)
	v_mov_b32_dpp v31, v21 row_shr:4 row_mask:0xf bank_mask:0xf
	v_mov_b32_dpp v33, v29 row_shr:4 row_mask:0xf bank_mask:0xf
	s_mov_b32 s14, exec_lo
	v_cmpx_lt_u32_e32 3, v27
	;; [unrolled: 21-line block ×3, first 2 shown]
	s_cbranch_execz .LBB1902_139
; %bb.138:
	v_and_b32_e32 v27, 1, v25
	v_and_b32_e32 v29, 1, v33
	s_delay_alu instid0(VALU_DEP_2) | instskip(NEXT) | instid1(VALU_DEP_1)
	v_cmp_eq_u32_e64 s12, 1, v27
	v_cndmask_b32_e64 v27, v29, 1, s12
	v_cmp_eq_u16_e64 s12, 0, v25
	s_delay_alu instid0(VALU_DEP_2) | instskip(NEXT) | instid1(VALU_DEP_1)
	v_and_b32_e32 v29, 0xffff, v27
	v_dual_cndmask_b32 v25, 0, v31, s12 :: v_dual_bitop2_b32 v29, v17, v29 bitop3:0x54
	s_delay_alu instid0(VALU_DEP_1)
	v_dual_add_nc_u32 v21, v25, v21 :: v_dual_mov_b32 v25, v27
.LBB1902_139:
	s_or_b32 exec_lo, exec_lo, s14
	ds_swizzle_b32 v27, v29 offset:swizzle(BROADCAST,32,15)
	ds_swizzle_b32 v29, v21 offset:swizzle(BROADCAST,32,15)
	v_and_b32_e32 v31, 1, v25
	v_and_b32_e32 v33, 16, v23
	v_bfe_i32 v35, v23, 4, 1
	v_and_b32_e32 v3, 0xff, v3
	s_delay_alu instid0(VALU_DEP_4) | instskip(SKIP_3) | instid1(VALU_DEP_1)
	v_cmp_eq_u32_e64 s12, 1, v31
	v_add_nc_u32_e32 v31, -1, v23
	; wave barrier
	s_wait_dscnt 0x1
	v_and_b32_e32 v27, 1, v27
	v_cndmask_b32_e64 v27, v27, 1, s12
	v_cmp_eq_u16_e64 s12, 0, v25
	s_wait_dscnt 0x0
	s_delay_alu instid0(VALU_DEP_1) | instskip(SKIP_1) | instid1(VALU_DEP_1)
	v_cndmask_b32_e64 v29, 0, v29, s12
	v_cmp_eq_u32_e64 s12, 0, v33
	v_cndmask_b32_e64 v25, v27, v25, s12
	v_cmp_gt_i32_e64 s12, 0, v31
	s_delay_alu instid0(VALU_DEP_2) | instskip(NEXT) | instid1(VALU_DEP_2)
	v_and_b32_e32 v25, 0xffff, v25
	v_cndmask_b32_e64 v23, v31, v23, s12
	v_cmp_eq_u16_e64 s12, 0, v3
	s_delay_alu instid0(VALU_DEP_3) | instskip(NEXT) | instid1(VALU_DEP_3)
	v_or_b32_e32 v17, v17, v25
	v_dual_lshlrev_b32 v23, 2, v23 :: v_dual_bitop2_b32 v27, v35, v29 bitop3:0x40
	s_delay_alu instid0(VALU_DEP_1)
	v_add_nc_u32_e32 v21, v27, v21
	ds_bpermute_b32 v17, v23, v17
	ds_bpermute_b32 v21, v23, v21
	s_wait_dscnt 0x0
	v_cndmask_b32_e64 v3, 0, v21, s12
	v_and_b32_e32 v17, 1, v17
	v_cmp_eq_u32_e64 s12, 1, v16
	s_delay_alu instid0(VALU_DEP_3) | instskip(NEXT) | instid1(VALU_DEP_2)
	v_add_nc_u32_e32 v2, v3, v2
	v_cndmask_b32_e64 v3, v17, 1, s12
	s_delay_alu instid0(VALU_DEP_1)
	v_dual_cndmask_b32 v16, v2, v13, s2 :: v_dual_cndmask_b32 v15, v3, v15, s2
	ds_store_b32 v1, v16
	ds_store_b8 v1, v15 offset:4
	; wave barrier
	ds_load_u8 v21, v1 offset:12
	ds_load_2addr_b32 v[2:3], v1 offset0:2 offset1:4
	ds_load_u8 v23, v1 offset:20
	ds_load_u8 v25, v1 offset:28
	;; [unrolled: 1-line block ×5, first 2 shown]
	ds_load_b32 v33, v1 offset:56
	ds_load_u8 v35, v1 offset:60
	s_wait_dscnt 0x8
	v_cmp_eq_u16_e64 s12, 0, v21
	s_delay_alu instid0(VALU_DEP_1) | instskip(SKIP_4) | instid1(VALU_DEP_1)
	v_cndmask_b32_e64 v37, 0, v16, s12
	ds_load_2addr_b32 v[16:17], v1 offset0:6 offset1:8
	s_wait_dscnt 0x7
	v_cmp_eq_u16_e64 s12, 0, v23
	v_add_nc_u32_e32 v37, v37, v2
	v_cndmask_b32_e64 v2, 0, v37, s12
	s_wait_dscnt 0x6
	v_cmp_eq_u16_e64 s12, 0, v25
	s_delay_alu instid0(VALU_DEP_2)
	v_add_nc_u32_e32 v39, v2, v3
	ds_load_2addr_b32 v[2:3], v1 offset0:10 offset1:12
	v_cndmask_b32_e64 v41, 0, v39, s12
	s_wait_dscnt 0x6
	v_cmp_eq_u16_e64 s12, 0, v27
	s_wait_dscnt 0x1
	s_delay_alu instid0(VALU_DEP_2) | instskip(SKIP_4) | instid1(VALU_DEP_3)
	v_dual_add_nc_u32 v16, v41, v16 :: v_dual_bitop2_b32 v21, 1, v21 bitop3:0x40
	ds_store_2addr_b32 v1, v37, v39 offset0:2 offset1:4
	v_dual_cndmask_b32 v41, 0, v16, s12 :: v_dual_bitop2_b32 v23, 1, v23 bitop3:0x40
	v_cmp_eq_u32_e64 s12, 1, v21
	v_and_b32_e32 v21, 1, v25
	v_dual_add_nc_u32 v17, v41, v17 :: v_dual_bitop2_b32 v41, 1, v35 bitop3:0x40
	s_delay_alu instid0(VALU_DEP_3) | instskip(SKIP_1) | instid1(VALU_DEP_1)
	v_cndmask_b32_e64 v15, v15, 1, s12
	v_cmp_eq_u32_e64 s12, 1, v23
	v_cndmask_b32_e64 v23, v15, 1, s12
	v_cmp_eq_u16_e64 s12, 0, v29
	s_delay_alu instid0(VALU_DEP_1) | instskip(SKIP_1) | instid1(VALU_DEP_1)
	v_dual_cndmask_b32 v27, 0, v17, s12 :: v_dual_bitop2_b32 v25, 1, v27 bitop3:0x40
	s_wait_dscnt 0x1
	v_add_nc_u32_e32 v2, v27, v2
	v_cmp_eq_u32_e64 s12, 1, v21
	v_and_b32_e32 v27, 1, v31
	s_delay_alu instid0(VALU_DEP_2) | instskip(SKIP_1) | instid1(VALU_DEP_1)
	v_cndmask_b32_e64 v21, v23, 1, s12
	v_cmp_eq_u32_e64 s12, 1, v25
	v_cndmask_b32_e64 v25, v21, 1, s12
	v_cmp_eq_u16_e64 s12, 0, v31
	s_delay_alu instid0(VALU_DEP_1) | instskip(NEXT) | instid1(VALU_DEP_1)
	v_dual_cndmask_b32 v31, 0, v2, s12 :: v_dual_bitop2_b32 v29, 1, v29 bitop3:0x40
	v_cmp_eq_u32_e64 s12, 1, v29
	s_delay_alu instid0(VALU_DEP_2) | instskip(NEXT) | instid1(VALU_DEP_2)
	v_add_nc_u32_e32 v3, v31, v3
	v_cndmask_b32_e64 v29, v25, 1, s12
	v_cmp_eq_u32_e64 s12, 1, v27
	ds_store_2addr_b32 v1, v16, v17 offset0:6 offset1:8
	ds_store_2addr_b32 v1, v2, v3 offset0:10 offset1:12
	v_cndmask_b32_e64 v27, v29, 1, s12
	v_cmp_eq_u16_e64 s12, 0, v35
	s_delay_alu instid0(VALU_DEP_1) | instskip(SKIP_1) | instid1(VALU_DEP_2)
	v_cndmask_b32_e64 v31, 0, v3, s12
	v_cmp_eq_u32_e64 s12, 1, v41
	v_add_nc_u32_e32 v2, v31, v33
	s_delay_alu instid0(VALU_DEP_2)
	v_cndmask_b32_e64 v35, v27, 1, s12
	ds_store_b8 v1, v15 offset:12
	ds_store_b8 v1, v23 offset:20
	;; [unrolled: 1-line block ×6, first 2 shown]
	ds_store_b32 v1, v2 offset:56
	ds_store_b8 v1, v35 offset:60
.LBB1902_140:
	s_or_b32 exec_lo, exec_lo, s13
	v_mov_b32_e32 v42, v18
	s_wait_dscnt 0x0
	s_barrier_signal -1
	s_barrier_wait -1
	s_delay_alu instid0(VALU_DEP_1)
	v_mov_b64_e32 v[2:3], v[42:43]
	s_and_saveexec_b32 s12, s3
	s_cbranch_execz .LBB1902_142
; %bb.141:
	v_add_nc_u32_e32 v1, -1, v0
	v_and_b32_e32 v3, 0xff, v19
	s_delay_alu instid0(VALU_DEP_2) | instskip(NEXT) | instid1(VALU_DEP_1)
	v_lshrrev_b32_e32 v2, 2, v1
	v_and_b32_e32 v2, 0x3ffffff8, v2
	s_delay_alu instid0(VALU_DEP_1)
	v_lshl_add_u32 v1, v1, 3, v2
	v_mov_b32_e32 v2, 0
	ds_load_b32 v1, v1
	v_cmp_eq_u64_e64 s3, 0, v[2:3]
	;;#ASMSTART
	;;#ASMEND
	s_wait_dscnt 0x0
	s_delay_alu instid0(VALU_DEP_1) | instskip(NEXT) | instid1(VALU_DEP_1)
	v_cndmask_b32_e64 v1, 0, v1, s3
	v_add_nc_u32_e32 v2, v1, v18
	s_delay_alu instid0(VALU_DEP_1) | instskip(NEXT) | instid1(VALU_DEP_1)
	v_cndmask_b32_e32 v1, 0, v2, vcc_lo
	v_dual_mov_b32 v18, v2 :: v_dual_add_nc_u32 v3, v1, v40
	s_delay_alu instid0(VALU_DEP_1) | instskip(NEXT) | instid1(VALU_DEP_1)
	v_dual_cndmask_b32 v1, 0, v3, s0 :: v_dual_mov_b32 v43, v3
	v_add_nc_u32_e32 v4, v1, v38
	s_delay_alu instid0(VALU_DEP_1) | instskip(NEXT) | instid1(VALU_DEP_1)
	v_cndmask_b32_e64 v1, 0, v4, s1
	v_add_nc_u32_e32 v5, v1, v36
	s_delay_alu instid0(VALU_DEP_1) | instskip(NEXT) | instid1(VALU_DEP_1)
	v_cndmask_b32_e64 v1, 0, v5, s4
	;; [unrolled: 3-line block ×9, first 2 shown]
	v_add_nc_u32_e32 v13, v1, v14
.LBB1902_142:
	s_or_b32 exec_lo, exec_lo, s12
	s_and_saveexec_b32 s0, s2
	s_cbranch_execz .LBB1902_144
; %bb.143:
	v_dual_mov_b32 v17, 0 :: v_dual_mov_b32 v16, 2
	s_add_nc_u64 s[2:3], s[28:29], 0x200
	ds_load_b32 v14, v17 offset:2096
	ds_load_u8 v15, v17 offset:2100
	v_mov_b64_e32 v[20:21], s[2:3]
	s_wait_dscnt 0x0
	;;#ASMSTART
	global_store_b128 v[20:21], v[14:17] off scope:SCOPE_DEV	
s_wait_storecnt 0x0
	;;#ASMEND
.LBB1902_144:
	s_or_b32 exec_lo, exec_lo, s0
	v_mov_b32_e32 v42, v18
.LBB1902_145:
	v_mov_b32_e32 v17, 0
	s_add_nc_u64 s[0:1], s[18:19], s[34:35]
	s_and_b32 vcc_lo, exec_lo, s31
	s_add_nc_u64 s[2:3], s[0:1], s[16:17]
	s_cbranch_vccz .LBB1902_189
; %bb.146:
	v_mul_u32_u24_e32 v1, 12, v0
	v_dual_mov_b32 v16, 0 :: v_dual_mov_b32 v22, 0
	v_dual_mov_b32 v23, 0 :: v_dual_mov_b32 v24, 0
	;; [unrolled: 1-line block ×5, first 2 shown]
	v_mov_b32_e32 v15, 0
	s_add_co_i32 s33, s33, s30
	s_mov_b32 s1, exec_lo
	v_cmpx_gt_u32_e64 s33, v1
	s_cbranch_execz .LBB1902_166
; %bb.147:
	v_dual_mov_b32 v15, 0 :: v_dual_bitop2_b32 v16, 1, v1 bitop3:0x54
	v_dual_mov_b32 v14, 0 :: v_dual_mov_b32 v21, 0
	v_dual_mov_b32 v20, 0 :: v_dual_mov_b32 v19, 0
	s_delay_alu instid0(VALU_DEP_3)
	v_cmp_gt_u32_e32 vcc_lo, s33, v16
	v_dual_mov_b32 v18, 0 :: v_dual_mov_b32 v25, 0
	v_dual_mov_b32 v24, 0 :: v_dual_mov_b32 v23, 0
	;; [unrolled: 1-line block ×3, first 2 shown]
	s_and_saveexec_b32 s4, vcc_lo
	s_cbranch_execz .LBB1902_165
; %bb.148:
	v_dual_mov_b32 v15, 0 :: v_dual_bitop2_b32 v16, 2, v1 bitop3:0x54
	v_dual_mov_b32 v14, 0 :: v_dual_mov_b32 v21, 0
	v_dual_mov_b32 v20, 0 :: v_dual_mov_b32 v19, 0
	s_delay_alu instid0(VALU_DEP_3)
	v_cmp_gt_u32_e32 vcc_lo, s33, v16
	v_dual_mov_b32 v18, 0 :: v_dual_mov_b32 v25, 0
	v_dual_mov_b32 v24, 0 :: v_dual_mov_b32 v16, 0
	v_mov_b32_e32 v17, 0
	s_and_saveexec_b32 s5, vcc_lo
	s_cbranch_execz .LBB1902_164
; %bb.149:
	v_dual_mov_b32 v15, 0 :: v_dual_bitop2_b32 v16, 3, v1 bitop3:0x54
	v_dual_mov_b32 v14, 0 :: v_dual_mov_b32 v21, 0
	v_dual_mov_b32 v20, 0 :: v_dual_mov_b32 v19, 0
	s_delay_alu instid0(VALU_DEP_3)
	v_cmp_gt_u32_e32 vcc_lo, s33, v16
	v_dual_mov_b32 v18, 0 :: v_dual_mov_b32 v25, 0
	v_dual_mov_b32 v16, 0 :: v_dual_mov_b32 v17, 0
	s_and_saveexec_b32 s6, vcc_lo
	s_cbranch_execz .LBB1902_163
; %bb.150:
	v_dual_mov_b32 v15, 0 :: v_dual_add_nc_u32 v16, 4, v1
	v_dual_mov_b32 v14, 0 :: v_dual_mov_b32 v21, 0
	v_dual_mov_b32 v20, 0 :: v_dual_mov_b32 v19, 0
	s_delay_alu instid0(VALU_DEP_3)
	v_cmp_gt_u32_e32 vcc_lo, s33, v16
	v_dual_mov_b32 v18, 0 :: v_dual_mov_b32 v16, 0
	v_mov_b32_e32 v17, 0
	s_and_saveexec_b32 s7, vcc_lo
	s_cbranch_execz .LBB1902_162
; %bb.151:
	v_dual_mov_b32 v15, 0 :: v_dual_add_nc_u32 v16, 5, v1
	v_dual_mov_b32 v14, 0 :: v_dual_mov_b32 v21, 0
	v_dual_mov_b32 v20, 0 :: v_dual_mov_b32 v19, 0
	s_delay_alu instid0(VALU_DEP_3)
	v_cmp_gt_u32_e32 vcc_lo, s33, v16
	v_dual_mov_b32 v16, 0 :: v_dual_mov_b32 v17, 0
	s_and_saveexec_b32 s8, vcc_lo
	s_cbranch_execz .LBB1902_161
; %bb.152:
	v_dual_mov_b32 v15, 0 :: v_dual_add_nc_u32 v16, 6, v1
	v_dual_mov_b32 v14, 0 :: v_dual_mov_b32 v21, 0
	v_mov_b32_e32 v20, 0
	s_delay_alu instid0(VALU_DEP_3)
	v_cmp_gt_u32_e32 vcc_lo, s33, v16
	v_dual_mov_b32 v16, 0 :: v_dual_mov_b32 v17, 0
	s_and_saveexec_b32 s9, vcc_lo
	s_cbranch_execz .LBB1902_160
; %bb.153:
	v_dual_add_nc_u32 v17, 7, v1 :: v_dual_mov_b32 v15, 0
	v_dual_mov_b32 v14, 0 :: v_dual_mov_b32 v21, 0
	v_mov_b32_e32 v16, 0
	s_delay_alu instid0(VALU_DEP_3)
	v_cmp_gt_u32_e32 vcc_lo, s33, v17
	v_mov_b32_e32 v17, 0
	s_and_saveexec_b32 s10, vcc_lo
	s_cbranch_execz .LBB1902_159
; %bb.154:
	v_dual_add_nc_u32 v17, 8, v1 :: v_dual_mov_b32 v15, 0
	v_dual_mov_b32 v14, 0 :: v_dual_mov_b32 v16, 0
	s_delay_alu instid0(VALU_DEP_2)
	v_cmp_gt_u32_e32 vcc_lo, s33, v17
	v_mov_b32_e32 v17, 0
	s_and_saveexec_b32 s11, vcc_lo
	s_cbranch_execz .LBB1902_158
; %bb.155:
	v_dual_mov_b32 v15, 0 :: v_dual_add_nc_u32 v14, 9, v1
	v_dual_mov_b32 v16, 0 :: v_dual_mov_b32 v17, 0
	s_mov_b32 s12, exec_lo
	s_delay_alu instid0(VALU_DEP_2)
	v_cmpx_gt_u32_e64 s33, v14
; %bb.156:
	v_dual_add_nc_u32 v14, 11, v1 :: v_dual_add_nc_u32 v15, 10, v1
	s_delay_alu instid0(VALU_DEP_1) | instskip(NEXT) | instid1(VALU_DEP_2)
	v_cmp_gt_u32_e32 vcc_lo, s33, v14
	v_cmp_gt_u32_e64 s0, s33, v15
	v_mov_b32_e32 v15, v11
	s_and_b32 vcc_lo, s0, vcc_lo
	s_delay_alu instid0(SALU_CYCLE_1)
	v_dual_cndmask_b32 v16, 0, v12, s0 :: v_dual_cndmask_b32 v17, 0, v13, vcc_lo
; %bb.157:
	s_or_b32 exec_lo, exec_lo, s12
	v_mov_b32_e32 v14, v10
.LBB1902_158:
	s_or_b32 exec_lo, exec_lo, s11
	v_mov_b32_e32 v21, v9
.LBB1902_159:
	s_or_b32 exec_lo, exec_lo, s10
	v_mov_b32_e32 v20, v8
.LBB1902_160:
	s_or_b32 exec_lo, exec_lo, s9
	v_mov_b32_e32 v19, v7
.LBB1902_161:
	s_or_b32 exec_lo, exec_lo, s8
	v_mov_b32_e32 v18, v6
.LBB1902_162:
	s_or_b32 exec_lo, exec_lo, s7
	v_mov_b32_e32 v25, v5
.LBB1902_163:
	s_or_b32 exec_lo, exec_lo, s6
	v_mov_b32_e32 v24, v4
.LBB1902_164:
	s_or_b32 exec_lo, exec_lo, s5
	v_mov_b32_e32 v23, v43
.LBB1902_165:
	s_or_b32 exec_lo, exec_lo, s4
	v_mov_b32_e32 v22, v42
.LBB1902_166:
	s_or_b32 exec_lo, exec_lo, s1
	v_dual_lshlrev_b32 v1, 2, v1 :: v_dual_mov_b32 v27, 0
	s_barrier_signal -1
	s_barrier_wait -1
	ds_store_b128 v1, v[22:25]
	ds_store_b128 v1, v[18:21] offset:16
	ds_store_b128 v1, v[14:17] offset:32
	v_mad_i32_i24 v14, 0xffffffd4, v0, v1
	s_wait_dscnt 0x0
	s_barrier_signal -1
	s_barrier_wait -1
	ds_load_2addr_stride64_b32 v[28:29], v14 offset0:4 offset1:8
	ds_load_2addr_stride64_b32 v[24:25], v14 offset0:12 offset1:16
	;; [unrolled: 1-line block ×5, first 2 shown]
	ds_load_b32 v15, v14 offset:11264
	v_add_nc_u64_e32 v[18:19], s[2:3], v[26:27]
	s_mov_b32 s0, exec_lo
	v_cmpx_gt_u32_e64 s33, v0
	s_cbranch_execz .LBB1902_168
; %bb.167:
	v_mul_i32_i24_e32 v14, 0xffffffd4, v0
	s_delay_alu instid0(VALU_DEP_1)
	v_add_nc_u32_e32 v1, v1, v14
	ds_load_b32 v1, v1
	s_wait_dscnt 0x0
	flat_store_b32 v[18:19], v1
.LBB1902_168:
	s_wait_xcnt 0x0
	s_or_b32 exec_lo, exec_lo, s0
	v_or_b32_e32 v1, 0x100, v0
	s_mov_b32 s0, exec_lo
	s_delay_alu instid0(VALU_DEP_1)
	v_cmpx_gt_u32_e64 s33, v1
	s_cbranch_execz .LBB1902_170
; %bb.169:
	s_wait_dscnt 0x5
	flat_store_b32 v[18:19], v28 offset:1024
.LBB1902_170:
	s_wait_xcnt 0x0
	s_or_b32 exec_lo, exec_lo, s0
	v_or_b32_e32 v1, 0x200, v0
	s_mov_b32 s0, exec_lo
	s_delay_alu instid0(VALU_DEP_1)
	v_cmpx_gt_u32_e64 s33, v1
	s_cbranch_execz .LBB1902_172
; %bb.171:
	s_wait_dscnt 0x5
	flat_store_b32 v[18:19], v29 offset:2048
.LBB1902_172:
	;; [unrolled: 11-line block ×10, first 2 shown]
	s_wait_xcnt 0x0
	s_or_b32 exec_lo, exec_lo, s0
	v_or_b32_e32 v1, 0xb00, v0
	s_delay_alu instid0(VALU_DEP_1)
	v_cmp_gt_u32_e64 s0, s33, v1
	s_branch .LBB1902_191
.LBB1902_189:
	s_mov_b32 s0, 0
                                        ; implicit-def: $vgpr15
	s_cbranch_execz .LBB1902_191
; %bb.190:
	v_mul_u32_u24_e32 v1, 48, v0
	v_mul_i32_i24_e32 v14, 0xffffffd4, v0
	s_wait_storecnt_dscnt 0x0
	s_barrier_signal -1
	s_barrier_wait -1
	ds_store_b128 v1, v[2:5]
	ds_store_b128 v1, v[6:9] offset:16
	ds_store_b128 v1, v[10:13] offset:32
	v_mad_u32_u24 v1, v0, 48, v14
	s_wait_dscnt 0x0
	s_barrier_signal -1
	s_barrier_wait -1
	ds_load_2addr_stride64_b32 v[2:3], v1 offset1:4
	ds_load_2addr_stride64_b32 v[4:5], v1 offset0:8 offset1:12
	ds_load_2addr_stride64_b32 v[6:7], v1 offset0:16 offset1:20
	;; [unrolled: 1-line block ×5, first 2 shown]
	s_or_b32 s0, s0, exec_lo
	s_wait_dscnt 0x5
	s_clause 0x1
	flat_store_b32 v0, v2, s[2:3] scale_offset
	flat_store_b32 v0, v3, s[2:3] offset:1024 scale_offset
	s_wait_dscnt 0x6
	s_clause 0x1
	flat_store_b32 v0, v4, s[2:3] offset:2048 scale_offset
	flat_store_b32 v0, v5, s[2:3] offset:3072 scale_offset
	s_wait_dscnt 0x7
	s_clause 0x1
	flat_store_b32 v0, v6, s[2:3] offset:4096 scale_offset
	;; [unrolled: 4-line block ×4, first 2 shown]
	flat_store_b32 v0, v11, s[2:3] offset:9216 scale_offset
	s_wait_dscnt 0xa
	flat_store_b32 v0, v14, s[2:3] offset:10240 scale_offset
.LBB1902_191:
	s_wait_xcnt 0x0
	s_delay_alu instid0(VALU_DEP_1)
	s_and_saveexec_b32 s1, s0
	s_cbranch_execnz .LBB1902_193
; %bb.192:
	s_endpgm
.LBB1902_193:
	s_wait_dscnt 0x0
	flat_store_b32 v0, v15, s[2:3] offset:11264 scale_offset
	s_endpgm
	.section	.rodata,"a",@progbits
	.p2align	6, 0x0
	.amdhsa_kernel _ZN7rocprim17ROCPRIM_400000_NS6detail17trampoline_kernelINS0_14default_configENS1_27scan_by_key_config_selectorIj11FixedVectorIiLj1EEEEZZNS1_16scan_by_key_implILNS1_25lookback_scan_determinismE0ELb0ES3_N6thrust23THRUST_200600_302600_NS6detail15normal_iteratorINSB_10device_ptrIjEEEENSD_INSE_IS6_EEEESI_S6_NSB_4plusIvEENSB_8equal_toIvEES6_EE10hipError_tPvRmT2_T3_T4_T5_mT6_T7_P12ihipStream_tbENKUlT_T0_E_clISt17integral_constantIbLb0EES12_IbLb1EEEEDaSY_SZ_EUlSY_E_NS1_11comp_targetILNS1_3genE0ELNS1_11target_archE4294967295ELNS1_3gpuE0ELNS1_3repE0EEENS1_30default_config_static_selectorELNS0_4arch9wavefront6targetE0EEEvT1_
		.amdhsa_group_segment_fixed_size 14336
		.amdhsa_private_segment_fixed_size 0
		.amdhsa_kernarg_size 112
		.amdhsa_user_sgpr_count 2
		.amdhsa_user_sgpr_dispatch_ptr 0
		.amdhsa_user_sgpr_queue_ptr 0
		.amdhsa_user_sgpr_kernarg_segment_ptr 1
		.amdhsa_user_sgpr_dispatch_id 0
		.amdhsa_user_sgpr_kernarg_preload_length 0
		.amdhsa_user_sgpr_kernarg_preload_offset 0
		.amdhsa_user_sgpr_private_segment_size 0
		.amdhsa_wavefront_size32 1
		.amdhsa_uses_dynamic_stack 0
		.amdhsa_enable_private_segment 0
		.amdhsa_system_sgpr_workgroup_id_x 1
		.amdhsa_system_sgpr_workgroup_id_y 0
		.amdhsa_system_sgpr_workgroup_id_z 0
		.amdhsa_system_sgpr_workgroup_info 0
		.amdhsa_system_vgpr_workitem_id 0
		.amdhsa_next_free_vgpr 60
		.amdhsa_next_free_sgpr 44
		.amdhsa_named_barrier_count 0
		.amdhsa_reserve_vcc 1
		.amdhsa_float_round_mode_32 0
		.amdhsa_float_round_mode_16_64 0
		.amdhsa_float_denorm_mode_32 3
		.amdhsa_float_denorm_mode_16_64 3
		.amdhsa_fp16_overflow 0
		.amdhsa_memory_ordered 1
		.amdhsa_forward_progress 1
		.amdhsa_inst_pref_size 97
		.amdhsa_round_robin_scheduling 0
		.amdhsa_exception_fp_ieee_invalid_op 0
		.amdhsa_exception_fp_denorm_src 0
		.amdhsa_exception_fp_ieee_div_zero 0
		.amdhsa_exception_fp_ieee_overflow 0
		.amdhsa_exception_fp_ieee_underflow 0
		.amdhsa_exception_fp_ieee_inexact 0
		.amdhsa_exception_int_div_zero 0
	.end_amdhsa_kernel
	.section	.text._ZN7rocprim17ROCPRIM_400000_NS6detail17trampoline_kernelINS0_14default_configENS1_27scan_by_key_config_selectorIj11FixedVectorIiLj1EEEEZZNS1_16scan_by_key_implILNS1_25lookback_scan_determinismE0ELb0ES3_N6thrust23THRUST_200600_302600_NS6detail15normal_iteratorINSB_10device_ptrIjEEEENSD_INSE_IS6_EEEESI_S6_NSB_4plusIvEENSB_8equal_toIvEES6_EE10hipError_tPvRmT2_T3_T4_T5_mT6_T7_P12ihipStream_tbENKUlT_T0_E_clISt17integral_constantIbLb0EES12_IbLb1EEEEDaSY_SZ_EUlSY_E_NS1_11comp_targetILNS1_3genE0ELNS1_11target_archE4294967295ELNS1_3gpuE0ELNS1_3repE0EEENS1_30default_config_static_selectorELNS0_4arch9wavefront6targetE0EEEvT1_,"axG",@progbits,_ZN7rocprim17ROCPRIM_400000_NS6detail17trampoline_kernelINS0_14default_configENS1_27scan_by_key_config_selectorIj11FixedVectorIiLj1EEEEZZNS1_16scan_by_key_implILNS1_25lookback_scan_determinismE0ELb0ES3_N6thrust23THRUST_200600_302600_NS6detail15normal_iteratorINSB_10device_ptrIjEEEENSD_INSE_IS6_EEEESI_S6_NSB_4plusIvEENSB_8equal_toIvEES6_EE10hipError_tPvRmT2_T3_T4_T5_mT6_T7_P12ihipStream_tbENKUlT_T0_E_clISt17integral_constantIbLb0EES12_IbLb1EEEEDaSY_SZ_EUlSY_E_NS1_11comp_targetILNS1_3genE0ELNS1_11target_archE4294967295ELNS1_3gpuE0ELNS1_3repE0EEENS1_30default_config_static_selectorELNS0_4arch9wavefront6targetE0EEEvT1_,comdat
.Lfunc_end1902:
	.size	_ZN7rocprim17ROCPRIM_400000_NS6detail17trampoline_kernelINS0_14default_configENS1_27scan_by_key_config_selectorIj11FixedVectorIiLj1EEEEZZNS1_16scan_by_key_implILNS1_25lookback_scan_determinismE0ELb0ES3_N6thrust23THRUST_200600_302600_NS6detail15normal_iteratorINSB_10device_ptrIjEEEENSD_INSE_IS6_EEEESI_S6_NSB_4plusIvEENSB_8equal_toIvEES6_EE10hipError_tPvRmT2_T3_T4_T5_mT6_T7_P12ihipStream_tbENKUlT_T0_E_clISt17integral_constantIbLb0EES12_IbLb1EEEEDaSY_SZ_EUlSY_E_NS1_11comp_targetILNS1_3genE0ELNS1_11target_archE4294967295ELNS1_3gpuE0ELNS1_3repE0EEENS1_30default_config_static_selectorELNS0_4arch9wavefront6targetE0EEEvT1_, .Lfunc_end1902-_ZN7rocprim17ROCPRIM_400000_NS6detail17trampoline_kernelINS0_14default_configENS1_27scan_by_key_config_selectorIj11FixedVectorIiLj1EEEEZZNS1_16scan_by_key_implILNS1_25lookback_scan_determinismE0ELb0ES3_N6thrust23THRUST_200600_302600_NS6detail15normal_iteratorINSB_10device_ptrIjEEEENSD_INSE_IS6_EEEESI_S6_NSB_4plusIvEENSB_8equal_toIvEES6_EE10hipError_tPvRmT2_T3_T4_T5_mT6_T7_P12ihipStream_tbENKUlT_T0_E_clISt17integral_constantIbLb0EES12_IbLb1EEEEDaSY_SZ_EUlSY_E_NS1_11comp_targetILNS1_3genE0ELNS1_11target_archE4294967295ELNS1_3gpuE0ELNS1_3repE0EEENS1_30default_config_static_selectorELNS0_4arch9wavefront6targetE0EEEvT1_
                                        ; -- End function
	.set _ZN7rocprim17ROCPRIM_400000_NS6detail17trampoline_kernelINS0_14default_configENS1_27scan_by_key_config_selectorIj11FixedVectorIiLj1EEEEZZNS1_16scan_by_key_implILNS1_25lookback_scan_determinismE0ELb0ES3_N6thrust23THRUST_200600_302600_NS6detail15normal_iteratorINSB_10device_ptrIjEEEENSD_INSE_IS6_EEEESI_S6_NSB_4plusIvEENSB_8equal_toIvEES6_EE10hipError_tPvRmT2_T3_T4_T5_mT6_T7_P12ihipStream_tbENKUlT_T0_E_clISt17integral_constantIbLb0EES12_IbLb1EEEEDaSY_SZ_EUlSY_E_NS1_11comp_targetILNS1_3genE0ELNS1_11target_archE4294967295ELNS1_3gpuE0ELNS1_3repE0EEENS1_30default_config_static_selectorELNS0_4arch9wavefront6targetE0EEEvT1_.num_vgpr, 60
	.set _ZN7rocprim17ROCPRIM_400000_NS6detail17trampoline_kernelINS0_14default_configENS1_27scan_by_key_config_selectorIj11FixedVectorIiLj1EEEEZZNS1_16scan_by_key_implILNS1_25lookback_scan_determinismE0ELb0ES3_N6thrust23THRUST_200600_302600_NS6detail15normal_iteratorINSB_10device_ptrIjEEEENSD_INSE_IS6_EEEESI_S6_NSB_4plusIvEENSB_8equal_toIvEES6_EE10hipError_tPvRmT2_T3_T4_T5_mT6_T7_P12ihipStream_tbENKUlT_T0_E_clISt17integral_constantIbLb0EES12_IbLb1EEEEDaSY_SZ_EUlSY_E_NS1_11comp_targetILNS1_3genE0ELNS1_11target_archE4294967295ELNS1_3gpuE0ELNS1_3repE0EEENS1_30default_config_static_selectorELNS0_4arch9wavefront6targetE0EEEvT1_.num_agpr, 0
	.set _ZN7rocprim17ROCPRIM_400000_NS6detail17trampoline_kernelINS0_14default_configENS1_27scan_by_key_config_selectorIj11FixedVectorIiLj1EEEEZZNS1_16scan_by_key_implILNS1_25lookback_scan_determinismE0ELb0ES3_N6thrust23THRUST_200600_302600_NS6detail15normal_iteratorINSB_10device_ptrIjEEEENSD_INSE_IS6_EEEESI_S6_NSB_4plusIvEENSB_8equal_toIvEES6_EE10hipError_tPvRmT2_T3_T4_T5_mT6_T7_P12ihipStream_tbENKUlT_T0_E_clISt17integral_constantIbLb0EES12_IbLb1EEEEDaSY_SZ_EUlSY_E_NS1_11comp_targetILNS1_3genE0ELNS1_11target_archE4294967295ELNS1_3gpuE0ELNS1_3repE0EEENS1_30default_config_static_selectorELNS0_4arch9wavefront6targetE0EEEvT1_.numbered_sgpr, 44
	.set _ZN7rocprim17ROCPRIM_400000_NS6detail17trampoline_kernelINS0_14default_configENS1_27scan_by_key_config_selectorIj11FixedVectorIiLj1EEEEZZNS1_16scan_by_key_implILNS1_25lookback_scan_determinismE0ELb0ES3_N6thrust23THRUST_200600_302600_NS6detail15normal_iteratorINSB_10device_ptrIjEEEENSD_INSE_IS6_EEEESI_S6_NSB_4plusIvEENSB_8equal_toIvEES6_EE10hipError_tPvRmT2_T3_T4_T5_mT6_T7_P12ihipStream_tbENKUlT_T0_E_clISt17integral_constantIbLb0EES12_IbLb1EEEEDaSY_SZ_EUlSY_E_NS1_11comp_targetILNS1_3genE0ELNS1_11target_archE4294967295ELNS1_3gpuE0ELNS1_3repE0EEENS1_30default_config_static_selectorELNS0_4arch9wavefront6targetE0EEEvT1_.num_named_barrier, 0
	.set _ZN7rocprim17ROCPRIM_400000_NS6detail17trampoline_kernelINS0_14default_configENS1_27scan_by_key_config_selectorIj11FixedVectorIiLj1EEEEZZNS1_16scan_by_key_implILNS1_25lookback_scan_determinismE0ELb0ES3_N6thrust23THRUST_200600_302600_NS6detail15normal_iteratorINSB_10device_ptrIjEEEENSD_INSE_IS6_EEEESI_S6_NSB_4plusIvEENSB_8equal_toIvEES6_EE10hipError_tPvRmT2_T3_T4_T5_mT6_T7_P12ihipStream_tbENKUlT_T0_E_clISt17integral_constantIbLb0EES12_IbLb1EEEEDaSY_SZ_EUlSY_E_NS1_11comp_targetILNS1_3genE0ELNS1_11target_archE4294967295ELNS1_3gpuE0ELNS1_3repE0EEENS1_30default_config_static_selectorELNS0_4arch9wavefront6targetE0EEEvT1_.private_seg_size, 0
	.set _ZN7rocprim17ROCPRIM_400000_NS6detail17trampoline_kernelINS0_14default_configENS1_27scan_by_key_config_selectorIj11FixedVectorIiLj1EEEEZZNS1_16scan_by_key_implILNS1_25lookback_scan_determinismE0ELb0ES3_N6thrust23THRUST_200600_302600_NS6detail15normal_iteratorINSB_10device_ptrIjEEEENSD_INSE_IS6_EEEESI_S6_NSB_4plusIvEENSB_8equal_toIvEES6_EE10hipError_tPvRmT2_T3_T4_T5_mT6_T7_P12ihipStream_tbENKUlT_T0_E_clISt17integral_constantIbLb0EES12_IbLb1EEEEDaSY_SZ_EUlSY_E_NS1_11comp_targetILNS1_3genE0ELNS1_11target_archE4294967295ELNS1_3gpuE0ELNS1_3repE0EEENS1_30default_config_static_selectorELNS0_4arch9wavefront6targetE0EEEvT1_.uses_vcc, 1
	.set _ZN7rocprim17ROCPRIM_400000_NS6detail17trampoline_kernelINS0_14default_configENS1_27scan_by_key_config_selectorIj11FixedVectorIiLj1EEEEZZNS1_16scan_by_key_implILNS1_25lookback_scan_determinismE0ELb0ES3_N6thrust23THRUST_200600_302600_NS6detail15normal_iteratorINSB_10device_ptrIjEEEENSD_INSE_IS6_EEEESI_S6_NSB_4plusIvEENSB_8equal_toIvEES6_EE10hipError_tPvRmT2_T3_T4_T5_mT6_T7_P12ihipStream_tbENKUlT_T0_E_clISt17integral_constantIbLb0EES12_IbLb1EEEEDaSY_SZ_EUlSY_E_NS1_11comp_targetILNS1_3genE0ELNS1_11target_archE4294967295ELNS1_3gpuE0ELNS1_3repE0EEENS1_30default_config_static_selectorELNS0_4arch9wavefront6targetE0EEEvT1_.uses_flat_scratch, 1
	.set _ZN7rocprim17ROCPRIM_400000_NS6detail17trampoline_kernelINS0_14default_configENS1_27scan_by_key_config_selectorIj11FixedVectorIiLj1EEEEZZNS1_16scan_by_key_implILNS1_25lookback_scan_determinismE0ELb0ES3_N6thrust23THRUST_200600_302600_NS6detail15normal_iteratorINSB_10device_ptrIjEEEENSD_INSE_IS6_EEEESI_S6_NSB_4plusIvEENSB_8equal_toIvEES6_EE10hipError_tPvRmT2_T3_T4_T5_mT6_T7_P12ihipStream_tbENKUlT_T0_E_clISt17integral_constantIbLb0EES12_IbLb1EEEEDaSY_SZ_EUlSY_E_NS1_11comp_targetILNS1_3genE0ELNS1_11target_archE4294967295ELNS1_3gpuE0ELNS1_3repE0EEENS1_30default_config_static_selectorELNS0_4arch9wavefront6targetE0EEEvT1_.has_dyn_sized_stack, 0
	.set _ZN7rocprim17ROCPRIM_400000_NS6detail17trampoline_kernelINS0_14default_configENS1_27scan_by_key_config_selectorIj11FixedVectorIiLj1EEEEZZNS1_16scan_by_key_implILNS1_25lookback_scan_determinismE0ELb0ES3_N6thrust23THRUST_200600_302600_NS6detail15normal_iteratorINSB_10device_ptrIjEEEENSD_INSE_IS6_EEEESI_S6_NSB_4plusIvEENSB_8equal_toIvEES6_EE10hipError_tPvRmT2_T3_T4_T5_mT6_T7_P12ihipStream_tbENKUlT_T0_E_clISt17integral_constantIbLb0EES12_IbLb1EEEEDaSY_SZ_EUlSY_E_NS1_11comp_targetILNS1_3genE0ELNS1_11target_archE4294967295ELNS1_3gpuE0ELNS1_3repE0EEENS1_30default_config_static_selectorELNS0_4arch9wavefront6targetE0EEEvT1_.has_recursion, 0
	.set _ZN7rocprim17ROCPRIM_400000_NS6detail17trampoline_kernelINS0_14default_configENS1_27scan_by_key_config_selectorIj11FixedVectorIiLj1EEEEZZNS1_16scan_by_key_implILNS1_25lookback_scan_determinismE0ELb0ES3_N6thrust23THRUST_200600_302600_NS6detail15normal_iteratorINSB_10device_ptrIjEEEENSD_INSE_IS6_EEEESI_S6_NSB_4plusIvEENSB_8equal_toIvEES6_EE10hipError_tPvRmT2_T3_T4_T5_mT6_T7_P12ihipStream_tbENKUlT_T0_E_clISt17integral_constantIbLb0EES12_IbLb1EEEEDaSY_SZ_EUlSY_E_NS1_11comp_targetILNS1_3genE0ELNS1_11target_archE4294967295ELNS1_3gpuE0ELNS1_3repE0EEENS1_30default_config_static_selectorELNS0_4arch9wavefront6targetE0EEEvT1_.has_indirect_call, 0
	.section	.AMDGPU.csdata,"",@progbits
; Kernel info:
; codeLenInByte = 12372
; TotalNumSgprs: 46
; NumVgprs: 60
; ScratchSize: 0
; MemoryBound: 0
; FloatMode: 240
; IeeeMode: 1
; LDSByteSize: 14336 bytes/workgroup (compile time only)
; SGPRBlocks: 0
; VGPRBlocks: 3
; NumSGPRsForWavesPerEU: 46
; NumVGPRsForWavesPerEU: 60
; NamedBarCnt: 0
; Occupancy: 16
; WaveLimiterHint : 1
; COMPUTE_PGM_RSRC2:SCRATCH_EN: 0
; COMPUTE_PGM_RSRC2:USER_SGPR: 2
; COMPUTE_PGM_RSRC2:TRAP_HANDLER: 0
; COMPUTE_PGM_RSRC2:TGID_X_EN: 1
; COMPUTE_PGM_RSRC2:TGID_Y_EN: 0
; COMPUTE_PGM_RSRC2:TGID_Z_EN: 0
; COMPUTE_PGM_RSRC2:TIDIG_COMP_CNT: 0
	.section	.text._ZN7rocprim17ROCPRIM_400000_NS6detail17trampoline_kernelINS0_14default_configENS1_27scan_by_key_config_selectorIj11FixedVectorIiLj1EEEEZZNS1_16scan_by_key_implILNS1_25lookback_scan_determinismE0ELb0ES3_N6thrust23THRUST_200600_302600_NS6detail15normal_iteratorINSB_10device_ptrIjEEEENSD_INSE_IS6_EEEESI_S6_NSB_4plusIvEENSB_8equal_toIvEES6_EE10hipError_tPvRmT2_T3_T4_T5_mT6_T7_P12ihipStream_tbENKUlT_T0_E_clISt17integral_constantIbLb0EES12_IbLb1EEEEDaSY_SZ_EUlSY_E_NS1_11comp_targetILNS1_3genE10ELNS1_11target_archE1201ELNS1_3gpuE5ELNS1_3repE0EEENS1_30default_config_static_selectorELNS0_4arch9wavefront6targetE0EEEvT1_,"axG",@progbits,_ZN7rocprim17ROCPRIM_400000_NS6detail17trampoline_kernelINS0_14default_configENS1_27scan_by_key_config_selectorIj11FixedVectorIiLj1EEEEZZNS1_16scan_by_key_implILNS1_25lookback_scan_determinismE0ELb0ES3_N6thrust23THRUST_200600_302600_NS6detail15normal_iteratorINSB_10device_ptrIjEEEENSD_INSE_IS6_EEEESI_S6_NSB_4plusIvEENSB_8equal_toIvEES6_EE10hipError_tPvRmT2_T3_T4_T5_mT6_T7_P12ihipStream_tbENKUlT_T0_E_clISt17integral_constantIbLb0EES12_IbLb1EEEEDaSY_SZ_EUlSY_E_NS1_11comp_targetILNS1_3genE10ELNS1_11target_archE1201ELNS1_3gpuE5ELNS1_3repE0EEENS1_30default_config_static_selectorELNS0_4arch9wavefront6targetE0EEEvT1_,comdat
	.protected	_ZN7rocprim17ROCPRIM_400000_NS6detail17trampoline_kernelINS0_14default_configENS1_27scan_by_key_config_selectorIj11FixedVectorIiLj1EEEEZZNS1_16scan_by_key_implILNS1_25lookback_scan_determinismE0ELb0ES3_N6thrust23THRUST_200600_302600_NS6detail15normal_iteratorINSB_10device_ptrIjEEEENSD_INSE_IS6_EEEESI_S6_NSB_4plusIvEENSB_8equal_toIvEES6_EE10hipError_tPvRmT2_T3_T4_T5_mT6_T7_P12ihipStream_tbENKUlT_T0_E_clISt17integral_constantIbLb0EES12_IbLb1EEEEDaSY_SZ_EUlSY_E_NS1_11comp_targetILNS1_3genE10ELNS1_11target_archE1201ELNS1_3gpuE5ELNS1_3repE0EEENS1_30default_config_static_selectorELNS0_4arch9wavefront6targetE0EEEvT1_ ; -- Begin function _ZN7rocprim17ROCPRIM_400000_NS6detail17trampoline_kernelINS0_14default_configENS1_27scan_by_key_config_selectorIj11FixedVectorIiLj1EEEEZZNS1_16scan_by_key_implILNS1_25lookback_scan_determinismE0ELb0ES3_N6thrust23THRUST_200600_302600_NS6detail15normal_iteratorINSB_10device_ptrIjEEEENSD_INSE_IS6_EEEESI_S6_NSB_4plusIvEENSB_8equal_toIvEES6_EE10hipError_tPvRmT2_T3_T4_T5_mT6_T7_P12ihipStream_tbENKUlT_T0_E_clISt17integral_constantIbLb0EES12_IbLb1EEEEDaSY_SZ_EUlSY_E_NS1_11comp_targetILNS1_3genE10ELNS1_11target_archE1201ELNS1_3gpuE5ELNS1_3repE0EEENS1_30default_config_static_selectorELNS0_4arch9wavefront6targetE0EEEvT1_
	.globl	_ZN7rocprim17ROCPRIM_400000_NS6detail17trampoline_kernelINS0_14default_configENS1_27scan_by_key_config_selectorIj11FixedVectorIiLj1EEEEZZNS1_16scan_by_key_implILNS1_25lookback_scan_determinismE0ELb0ES3_N6thrust23THRUST_200600_302600_NS6detail15normal_iteratorINSB_10device_ptrIjEEEENSD_INSE_IS6_EEEESI_S6_NSB_4plusIvEENSB_8equal_toIvEES6_EE10hipError_tPvRmT2_T3_T4_T5_mT6_T7_P12ihipStream_tbENKUlT_T0_E_clISt17integral_constantIbLb0EES12_IbLb1EEEEDaSY_SZ_EUlSY_E_NS1_11comp_targetILNS1_3genE10ELNS1_11target_archE1201ELNS1_3gpuE5ELNS1_3repE0EEENS1_30default_config_static_selectorELNS0_4arch9wavefront6targetE0EEEvT1_
	.p2align	8
	.type	_ZN7rocprim17ROCPRIM_400000_NS6detail17trampoline_kernelINS0_14default_configENS1_27scan_by_key_config_selectorIj11FixedVectorIiLj1EEEEZZNS1_16scan_by_key_implILNS1_25lookback_scan_determinismE0ELb0ES3_N6thrust23THRUST_200600_302600_NS6detail15normal_iteratorINSB_10device_ptrIjEEEENSD_INSE_IS6_EEEESI_S6_NSB_4plusIvEENSB_8equal_toIvEES6_EE10hipError_tPvRmT2_T3_T4_T5_mT6_T7_P12ihipStream_tbENKUlT_T0_E_clISt17integral_constantIbLb0EES12_IbLb1EEEEDaSY_SZ_EUlSY_E_NS1_11comp_targetILNS1_3genE10ELNS1_11target_archE1201ELNS1_3gpuE5ELNS1_3repE0EEENS1_30default_config_static_selectorELNS0_4arch9wavefront6targetE0EEEvT1_,@function
_ZN7rocprim17ROCPRIM_400000_NS6detail17trampoline_kernelINS0_14default_configENS1_27scan_by_key_config_selectorIj11FixedVectorIiLj1EEEEZZNS1_16scan_by_key_implILNS1_25lookback_scan_determinismE0ELb0ES3_N6thrust23THRUST_200600_302600_NS6detail15normal_iteratorINSB_10device_ptrIjEEEENSD_INSE_IS6_EEEESI_S6_NSB_4plusIvEENSB_8equal_toIvEES6_EE10hipError_tPvRmT2_T3_T4_T5_mT6_T7_P12ihipStream_tbENKUlT_T0_E_clISt17integral_constantIbLb0EES12_IbLb1EEEEDaSY_SZ_EUlSY_E_NS1_11comp_targetILNS1_3genE10ELNS1_11target_archE1201ELNS1_3gpuE5ELNS1_3repE0EEENS1_30default_config_static_selectorELNS0_4arch9wavefront6targetE0EEEvT1_: ; @_ZN7rocprim17ROCPRIM_400000_NS6detail17trampoline_kernelINS0_14default_configENS1_27scan_by_key_config_selectorIj11FixedVectorIiLj1EEEEZZNS1_16scan_by_key_implILNS1_25lookback_scan_determinismE0ELb0ES3_N6thrust23THRUST_200600_302600_NS6detail15normal_iteratorINSB_10device_ptrIjEEEENSD_INSE_IS6_EEEESI_S6_NSB_4plusIvEENSB_8equal_toIvEES6_EE10hipError_tPvRmT2_T3_T4_T5_mT6_T7_P12ihipStream_tbENKUlT_T0_E_clISt17integral_constantIbLb0EES12_IbLb1EEEEDaSY_SZ_EUlSY_E_NS1_11comp_targetILNS1_3genE10ELNS1_11target_archE1201ELNS1_3gpuE5ELNS1_3repE0EEENS1_30default_config_static_selectorELNS0_4arch9wavefront6targetE0EEEvT1_
; %bb.0:
	.section	.rodata,"a",@progbits
	.p2align	6, 0x0
	.amdhsa_kernel _ZN7rocprim17ROCPRIM_400000_NS6detail17trampoline_kernelINS0_14default_configENS1_27scan_by_key_config_selectorIj11FixedVectorIiLj1EEEEZZNS1_16scan_by_key_implILNS1_25lookback_scan_determinismE0ELb0ES3_N6thrust23THRUST_200600_302600_NS6detail15normal_iteratorINSB_10device_ptrIjEEEENSD_INSE_IS6_EEEESI_S6_NSB_4plusIvEENSB_8equal_toIvEES6_EE10hipError_tPvRmT2_T3_T4_T5_mT6_T7_P12ihipStream_tbENKUlT_T0_E_clISt17integral_constantIbLb0EES12_IbLb1EEEEDaSY_SZ_EUlSY_E_NS1_11comp_targetILNS1_3genE10ELNS1_11target_archE1201ELNS1_3gpuE5ELNS1_3repE0EEENS1_30default_config_static_selectorELNS0_4arch9wavefront6targetE0EEEvT1_
		.amdhsa_group_segment_fixed_size 0
		.amdhsa_private_segment_fixed_size 0
		.amdhsa_kernarg_size 112
		.amdhsa_user_sgpr_count 2
		.amdhsa_user_sgpr_dispatch_ptr 0
		.amdhsa_user_sgpr_queue_ptr 0
		.amdhsa_user_sgpr_kernarg_segment_ptr 1
		.amdhsa_user_sgpr_dispatch_id 0
		.amdhsa_user_sgpr_kernarg_preload_length 0
		.amdhsa_user_sgpr_kernarg_preload_offset 0
		.amdhsa_user_sgpr_private_segment_size 0
		.amdhsa_wavefront_size32 1
		.amdhsa_uses_dynamic_stack 0
		.amdhsa_enable_private_segment 0
		.amdhsa_system_sgpr_workgroup_id_x 1
		.amdhsa_system_sgpr_workgroup_id_y 0
		.amdhsa_system_sgpr_workgroup_id_z 0
		.amdhsa_system_sgpr_workgroup_info 0
		.amdhsa_system_vgpr_workitem_id 0
		.amdhsa_next_free_vgpr 1
		.amdhsa_next_free_sgpr 1
		.amdhsa_named_barrier_count 0
		.amdhsa_reserve_vcc 0
		.amdhsa_float_round_mode_32 0
		.amdhsa_float_round_mode_16_64 0
		.amdhsa_float_denorm_mode_32 3
		.amdhsa_float_denorm_mode_16_64 3
		.amdhsa_fp16_overflow 0
		.amdhsa_memory_ordered 1
		.amdhsa_forward_progress 1
		.amdhsa_inst_pref_size 0
		.amdhsa_round_robin_scheduling 0
		.amdhsa_exception_fp_ieee_invalid_op 0
		.amdhsa_exception_fp_denorm_src 0
		.amdhsa_exception_fp_ieee_div_zero 0
		.amdhsa_exception_fp_ieee_overflow 0
		.amdhsa_exception_fp_ieee_underflow 0
		.amdhsa_exception_fp_ieee_inexact 0
		.amdhsa_exception_int_div_zero 0
	.end_amdhsa_kernel
	.section	.text._ZN7rocprim17ROCPRIM_400000_NS6detail17trampoline_kernelINS0_14default_configENS1_27scan_by_key_config_selectorIj11FixedVectorIiLj1EEEEZZNS1_16scan_by_key_implILNS1_25lookback_scan_determinismE0ELb0ES3_N6thrust23THRUST_200600_302600_NS6detail15normal_iteratorINSB_10device_ptrIjEEEENSD_INSE_IS6_EEEESI_S6_NSB_4plusIvEENSB_8equal_toIvEES6_EE10hipError_tPvRmT2_T3_T4_T5_mT6_T7_P12ihipStream_tbENKUlT_T0_E_clISt17integral_constantIbLb0EES12_IbLb1EEEEDaSY_SZ_EUlSY_E_NS1_11comp_targetILNS1_3genE10ELNS1_11target_archE1201ELNS1_3gpuE5ELNS1_3repE0EEENS1_30default_config_static_selectorELNS0_4arch9wavefront6targetE0EEEvT1_,"axG",@progbits,_ZN7rocprim17ROCPRIM_400000_NS6detail17trampoline_kernelINS0_14default_configENS1_27scan_by_key_config_selectorIj11FixedVectorIiLj1EEEEZZNS1_16scan_by_key_implILNS1_25lookback_scan_determinismE0ELb0ES3_N6thrust23THRUST_200600_302600_NS6detail15normal_iteratorINSB_10device_ptrIjEEEENSD_INSE_IS6_EEEESI_S6_NSB_4plusIvEENSB_8equal_toIvEES6_EE10hipError_tPvRmT2_T3_T4_T5_mT6_T7_P12ihipStream_tbENKUlT_T0_E_clISt17integral_constantIbLb0EES12_IbLb1EEEEDaSY_SZ_EUlSY_E_NS1_11comp_targetILNS1_3genE10ELNS1_11target_archE1201ELNS1_3gpuE5ELNS1_3repE0EEENS1_30default_config_static_selectorELNS0_4arch9wavefront6targetE0EEEvT1_,comdat
.Lfunc_end1903:
	.size	_ZN7rocprim17ROCPRIM_400000_NS6detail17trampoline_kernelINS0_14default_configENS1_27scan_by_key_config_selectorIj11FixedVectorIiLj1EEEEZZNS1_16scan_by_key_implILNS1_25lookback_scan_determinismE0ELb0ES3_N6thrust23THRUST_200600_302600_NS6detail15normal_iteratorINSB_10device_ptrIjEEEENSD_INSE_IS6_EEEESI_S6_NSB_4plusIvEENSB_8equal_toIvEES6_EE10hipError_tPvRmT2_T3_T4_T5_mT6_T7_P12ihipStream_tbENKUlT_T0_E_clISt17integral_constantIbLb0EES12_IbLb1EEEEDaSY_SZ_EUlSY_E_NS1_11comp_targetILNS1_3genE10ELNS1_11target_archE1201ELNS1_3gpuE5ELNS1_3repE0EEENS1_30default_config_static_selectorELNS0_4arch9wavefront6targetE0EEEvT1_, .Lfunc_end1903-_ZN7rocprim17ROCPRIM_400000_NS6detail17trampoline_kernelINS0_14default_configENS1_27scan_by_key_config_selectorIj11FixedVectorIiLj1EEEEZZNS1_16scan_by_key_implILNS1_25lookback_scan_determinismE0ELb0ES3_N6thrust23THRUST_200600_302600_NS6detail15normal_iteratorINSB_10device_ptrIjEEEENSD_INSE_IS6_EEEESI_S6_NSB_4plusIvEENSB_8equal_toIvEES6_EE10hipError_tPvRmT2_T3_T4_T5_mT6_T7_P12ihipStream_tbENKUlT_T0_E_clISt17integral_constantIbLb0EES12_IbLb1EEEEDaSY_SZ_EUlSY_E_NS1_11comp_targetILNS1_3genE10ELNS1_11target_archE1201ELNS1_3gpuE5ELNS1_3repE0EEENS1_30default_config_static_selectorELNS0_4arch9wavefront6targetE0EEEvT1_
                                        ; -- End function
	.set _ZN7rocprim17ROCPRIM_400000_NS6detail17trampoline_kernelINS0_14default_configENS1_27scan_by_key_config_selectorIj11FixedVectorIiLj1EEEEZZNS1_16scan_by_key_implILNS1_25lookback_scan_determinismE0ELb0ES3_N6thrust23THRUST_200600_302600_NS6detail15normal_iteratorINSB_10device_ptrIjEEEENSD_INSE_IS6_EEEESI_S6_NSB_4plusIvEENSB_8equal_toIvEES6_EE10hipError_tPvRmT2_T3_T4_T5_mT6_T7_P12ihipStream_tbENKUlT_T0_E_clISt17integral_constantIbLb0EES12_IbLb1EEEEDaSY_SZ_EUlSY_E_NS1_11comp_targetILNS1_3genE10ELNS1_11target_archE1201ELNS1_3gpuE5ELNS1_3repE0EEENS1_30default_config_static_selectorELNS0_4arch9wavefront6targetE0EEEvT1_.num_vgpr, 0
	.set _ZN7rocprim17ROCPRIM_400000_NS6detail17trampoline_kernelINS0_14default_configENS1_27scan_by_key_config_selectorIj11FixedVectorIiLj1EEEEZZNS1_16scan_by_key_implILNS1_25lookback_scan_determinismE0ELb0ES3_N6thrust23THRUST_200600_302600_NS6detail15normal_iteratorINSB_10device_ptrIjEEEENSD_INSE_IS6_EEEESI_S6_NSB_4plusIvEENSB_8equal_toIvEES6_EE10hipError_tPvRmT2_T3_T4_T5_mT6_T7_P12ihipStream_tbENKUlT_T0_E_clISt17integral_constantIbLb0EES12_IbLb1EEEEDaSY_SZ_EUlSY_E_NS1_11comp_targetILNS1_3genE10ELNS1_11target_archE1201ELNS1_3gpuE5ELNS1_3repE0EEENS1_30default_config_static_selectorELNS0_4arch9wavefront6targetE0EEEvT1_.num_agpr, 0
	.set _ZN7rocprim17ROCPRIM_400000_NS6detail17trampoline_kernelINS0_14default_configENS1_27scan_by_key_config_selectorIj11FixedVectorIiLj1EEEEZZNS1_16scan_by_key_implILNS1_25lookback_scan_determinismE0ELb0ES3_N6thrust23THRUST_200600_302600_NS6detail15normal_iteratorINSB_10device_ptrIjEEEENSD_INSE_IS6_EEEESI_S6_NSB_4plusIvEENSB_8equal_toIvEES6_EE10hipError_tPvRmT2_T3_T4_T5_mT6_T7_P12ihipStream_tbENKUlT_T0_E_clISt17integral_constantIbLb0EES12_IbLb1EEEEDaSY_SZ_EUlSY_E_NS1_11comp_targetILNS1_3genE10ELNS1_11target_archE1201ELNS1_3gpuE5ELNS1_3repE0EEENS1_30default_config_static_selectorELNS0_4arch9wavefront6targetE0EEEvT1_.numbered_sgpr, 0
	.set _ZN7rocprim17ROCPRIM_400000_NS6detail17trampoline_kernelINS0_14default_configENS1_27scan_by_key_config_selectorIj11FixedVectorIiLj1EEEEZZNS1_16scan_by_key_implILNS1_25lookback_scan_determinismE0ELb0ES3_N6thrust23THRUST_200600_302600_NS6detail15normal_iteratorINSB_10device_ptrIjEEEENSD_INSE_IS6_EEEESI_S6_NSB_4plusIvEENSB_8equal_toIvEES6_EE10hipError_tPvRmT2_T3_T4_T5_mT6_T7_P12ihipStream_tbENKUlT_T0_E_clISt17integral_constantIbLb0EES12_IbLb1EEEEDaSY_SZ_EUlSY_E_NS1_11comp_targetILNS1_3genE10ELNS1_11target_archE1201ELNS1_3gpuE5ELNS1_3repE0EEENS1_30default_config_static_selectorELNS0_4arch9wavefront6targetE0EEEvT1_.num_named_barrier, 0
	.set _ZN7rocprim17ROCPRIM_400000_NS6detail17trampoline_kernelINS0_14default_configENS1_27scan_by_key_config_selectorIj11FixedVectorIiLj1EEEEZZNS1_16scan_by_key_implILNS1_25lookback_scan_determinismE0ELb0ES3_N6thrust23THRUST_200600_302600_NS6detail15normal_iteratorINSB_10device_ptrIjEEEENSD_INSE_IS6_EEEESI_S6_NSB_4plusIvEENSB_8equal_toIvEES6_EE10hipError_tPvRmT2_T3_T4_T5_mT6_T7_P12ihipStream_tbENKUlT_T0_E_clISt17integral_constantIbLb0EES12_IbLb1EEEEDaSY_SZ_EUlSY_E_NS1_11comp_targetILNS1_3genE10ELNS1_11target_archE1201ELNS1_3gpuE5ELNS1_3repE0EEENS1_30default_config_static_selectorELNS0_4arch9wavefront6targetE0EEEvT1_.private_seg_size, 0
	.set _ZN7rocprim17ROCPRIM_400000_NS6detail17trampoline_kernelINS0_14default_configENS1_27scan_by_key_config_selectorIj11FixedVectorIiLj1EEEEZZNS1_16scan_by_key_implILNS1_25lookback_scan_determinismE0ELb0ES3_N6thrust23THRUST_200600_302600_NS6detail15normal_iteratorINSB_10device_ptrIjEEEENSD_INSE_IS6_EEEESI_S6_NSB_4plusIvEENSB_8equal_toIvEES6_EE10hipError_tPvRmT2_T3_T4_T5_mT6_T7_P12ihipStream_tbENKUlT_T0_E_clISt17integral_constantIbLb0EES12_IbLb1EEEEDaSY_SZ_EUlSY_E_NS1_11comp_targetILNS1_3genE10ELNS1_11target_archE1201ELNS1_3gpuE5ELNS1_3repE0EEENS1_30default_config_static_selectorELNS0_4arch9wavefront6targetE0EEEvT1_.uses_vcc, 0
	.set _ZN7rocprim17ROCPRIM_400000_NS6detail17trampoline_kernelINS0_14default_configENS1_27scan_by_key_config_selectorIj11FixedVectorIiLj1EEEEZZNS1_16scan_by_key_implILNS1_25lookback_scan_determinismE0ELb0ES3_N6thrust23THRUST_200600_302600_NS6detail15normal_iteratorINSB_10device_ptrIjEEEENSD_INSE_IS6_EEEESI_S6_NSB_4plusIvEENSB_8equal_toIvEES6_EE10hipError_tPvRmT2_T3_T4_T5_mT6_T7_P12ihipStream_tbENKUlT_T0_E_clISt17integral_constantIbLb0EES12_IbLb1EEEEDaSY_SZ_EUlSY_E_NS1_11comp_targetILNS1_3genE10ELNS1_11target_archE1201ELNS1_3gpuE5ELNS1_3repE0EEENS1_30default_config_static_selectorELNS0_4arch9wavefront6targetE0EEEvT1_.uses_flat_scratch, 0
	.set _ZN7rocprim17ROCPRIM_400000_NS6detail17trampoline_kernelINS0_14default_configENS1_27scan_by_key_config_selectorIj11FixedVectorIiLj1EEEEZZNS1_16scan_by_key_implILNS1_25lookback_scan_determinismE0ELb0ES3_N6thrust23THRUST_200600_302600_NS6detail15normal_iteratorINSB_10device_ptrIjEEEENSD_INSE_IS6_EEEESI_S6_NSB_4plusIvEENSB_8equal_toIvEES6_EE10hipError_tPvRmT2_T3_T4_T5_mT6_T7_P12ihipStream_tbENKUlT_T0_E_clISt17integral_constantIbLb0EES12_IbLb1EEEEDaSY_SZ_EUlSY_E_NS1_11comp_targetILNS1_3genE10ELNS1_11target_archE1201ELNS1_3gpuE5ELNS1_3repE0EEENS1_30default_config_static_selectorELNS0_4arch9wavefront6targetE0EEEvT1_.has_dyn_sized_stack, 0
	.set _ZN7rocprim17ROCPRIM_400000_NS6detail17trampoline_kernelINS0_14default_configENS1_27scan_by_key_config_selectorIj11FixedVectorIiLj1EEEEZZNS1_16scan_by_key_implILNS1_25lookback_scan_determinismE0ELb0ES3_N6thrust23THRUST_200600_302600_NS6detail15normal_iteratorINSB_10device_ptrIjEEEENSD_INSE_IS6_EEEESI_S6_NSB_4plusIvEENSB_8equal_toIvEES6_EE10hipError_tPvRmT2_T3_T4_T5_mT6_T7_P12ihipStream_tbENKUlT_T0_E_clISt17integral_constantIbLb0EES12_IbLb1EEEEDaSY_SZ_EUlSY_E_NS1_11comp_targetILNS1_3genE10ELNS1_11target_archE1201ELNS1_3gpuE5ELNS1_3repE0EEENS1_30default_config_static_selectorELNS0_4arch9wavefront6targetE0EEEvT1_.has_recursion, 0
	.set _ZN7rocprim17ROCPRIM_400000_NS6detail17trampoline_kernelINS0_14default_configENS1_27scan_by_key_config_selectorIj11FixedVectorIiLj1EEEEZZNS1_16scan_by_key_implILNS1_25lookback_scan_determinismE0ELb0ES3_N6thrust23THRUST_200600_302600_NS6detail15normal_iteratorINSB_10device_ptrIjEEEENSD_INSE_IS6_EEEESI_S6_NSB_4plusIvEENSB_8equal_toIvEES6_EE10hipError_tPvRmT2_T3_T4_T5_mT6_T7_P12ihipStream_tbENKUlT_T0_E_clISt17integral_constantIbLb0EES12_IbLb1EEEEDaSY_SZ_EUlSY_E_NS1_11comp_targetILNS1_3genE10ELNS1_11target_archE1201ELNS1_3gpuE5ELNS1_3repE0EEENS1_30default_config_static_selectorELNS0_4arch9wavefront6targetE0EEEvT1_.has_indirect_call, 0
	.section	.AMDGPU.csdata,"",@progbits
; Kernel info:
; codeLenInByte = 0
; TotalNumSgprs: 0
; NumVgprs: 0
; ScratchSize: 0
; MemoryBound: 0
; FloatMode: 240
; IeeeMode: 1
; LDSByteSize: 0 bytes/workgroup (compile time only)
; SGPRBlocks: 0
; VGPRBlocks: 0
; NumSGPRsForWavesPerEU: 1
; NumVGPRsForWavesPerEU: 1
; NamedBarCnt: 0
; Occupancy: 16
; WaveLimiterHint : 0
; COMPUTE_PGM_RSRC2:SCRATCH_EN: 0
; COMPUTE_PGM_RSRC2:USER_SGPR: 2
; COMPUTE_PGM_RSRC2:TRAP_HANDLER: 0
; COMPUTE_PGM_RSRC2:TGID_X_EN: 1
; COMPUTE_PGM_RSRC2:TGID_Y_EN: 0
; COMPUTE_PGM_RSRC2:TGID_Z_EN: 0
; COMPUTE_PGM_RSRC2:TIDIG_COMP_CNT: 0
	.section	.text._ZN7rocprim17ROCPRIM_400000_NS6detail17trampoline_kernelINS0_14default_configENS1_27scan_by_key_config_selectorIj11FixedVectorIiLj1EEEEZZNS1_16scan_by_key_implILNS1_25lookback_scan_determinismE0ELb0ES3_N6thrust23THRUST_200600_302600_NS6detail15normal_iteratorINSB_10device_ptrIjEEEENSD_INSE_IS6_EEEESI_S6_NSB_4plusIvEENSB_8equal_toIvEES6_EE10hipError_tPvRmT2_T3_T4_T5_mT6_T7_P12ihipStream_tbENKUlT_T0_E_clISt17integral_constantIbLb0EES12_IbLb1EEEEDaSY_SZ_EUlSY_E_NS1_11comp_targetILNS1_3genE5ELNS1_11target_archE942ELNS1_3gpuE9ELNS1_3repE0EEENS1_30default_config_static_selectorELNS0_4arch9wavefront6targetE0EEEvT1_,"axG",@progbits,_ZN7rocprim17ROCPRIM_400000_NS6detail17trampoline_kernelINS0_14default_configENS1_27scan_by_key_config_selectorIj11FixedVectorIiLj1EEEEZZNS1_16scan_by_key_implILNS1_25lookback_scan_determinismE0ELb0ES3_N6thrust23THRUST_200600_302600_NS6detail15normal_iteratorINSB_10device_ptrIjEEEENSD_INSE_IS6_EEEESI_S6_NSB_4plusIvEENSB_8equal_toIvEES6_EE10hipError_tPvRmT2_T3_T4_T5_mT6_T7_P12ihipStream_tbENKUlT_T0_E_clISt17integral_constantIbLb0EES12_IbLb1EEEEDaSY_SZ_EUlSY_E_NS1_11comp_targetILNS1_3genE5ELNS1_11target_archE942ELNS1_3gpuE9ELNS1_3repE0EEENS1_30default_config_static_selectorELNS0_4arch9wavefront6targetE0EEEvT1_,comdat
	.protected	_ZN7rocprim17ROCPRIM_400000_NS6detail17trampoline_kernelINS0_14default_configENS1_27scan_by_key_config_selectorIj11FixedVectorIiLj1EEEEZZNS1_16scan_by_key_implILNS1_25lookback_scan_determinismE0ELb0ES3_N6thrust23THRUST_200600_302600_NS6detail15normal_iteratorINSB_10device_ptrIjEEEENSD_INSE_IS6_EEEESI_S6_NSB_4plusIvEENSB_8equal_toIvEES6_EE10hipError_tPvRmT2_T3_T4_T5_mT6_T7_P12ihipStream_tbENKUlT_T0_E_clISt17integral_constantIbLb0EES12_IbLb1EEEEDaSY_SZ_EUlSY_E_NS1_11comp_targetILNS1_3genE5ELNS1_11target_archE942ELNS1_3gpuE9ELNS1_3repE0EEENS1_30default_config_static_selectorELNS0_4arch9wavefront6targetE0EEEvT1_ ; -- Begin function _ZN7rocprim17ROCPRIM_400000_NS6detail17trampoline_kernelINS0_14default_configENS1_27scan_by_key_config_selectorIj11FixedVectorIiLj1EEEEZZNS1_16scan_by_key_implILNS1_25lookback_scan_determinismE0ELb0ES3_N6thrust23THRUST_200600_302600_NS6detail15normal_iteratorINSB_10device_ptrIjEEEENSD_INSE_IS6_EEEESI_S6_NSB_4plusIvEENSB_8equal_toIvEES6_EE10hipError_tPvRmT2_T3_T4_T5_mT6_T7_P12ihipStream_tbENKUlT_T0_E_clISt17integral_constantIbLb0EES12_IbLb1EEEEDaSY_SZ_EUlSY_E_NS1_11comp_targetILNS1_3genE5ELNS1_11target_archE942ELNS1_3gpuE9ELNS1_3repE0EEENS1_30default_config_static_selectorELNS0_4arch9wavefront6targetE0EEEvT1_
	.globl	_ZN7rocprim17ROCPRIM_400000_NS6detail17trampoline_kernelINS0_14default_configENS1_27scan_by_key_config_selectorIj11FixedVectorIiLj1EEEEZZNS1_16scan_by_key_implILNS1_25lookback_scan_determinismE0ELb0ES3_N6thrust23THRUST_200600_302600_NS6detail15normal_iteratorINSB_10device_ptrIjEEEENSD_INSE_IS6_EEEESI_S6_NSB_4plusIvEENSB_8equal_toIvEES6_EE10hipError_tPvRmT2_T3_T4_T5_mT6_T7_P12ihipStream_tbENKUlT_T0_E_clISt17integral_constantIbLb0EES12_IbLb1EEEEDaSY_SZ_EUlSY_E_NS1_11comp_targetILNS1_3genE5ELNS1_11target_archE942ELNS1_3gpuE9ELNS1_3repE0EEENS1_30default_config_static_selectorELNS0_4arch9wavefront6targetE0EEEvT1_
	.p2align	8
	.type	_ZN7rocprim17ROCPRIM_400000_NS6detail17trampoline_kernelINS0_14default_configENS1_27scan_by_key_config_selectorIj11FixedVectorIiLj1EEEEZZNS1_16scan_by_key_implILNS1_25lookback_scan_determinismE0ELb0ES3_N6thrust23THRUST_200600_302600_NS6detail15normal_iteratorINSB_10device_ptrIjEEEENSD_INSE_IS6_EEEESI_S6_NSB_4plusIvEENSB_8equal_toIvEES6_EE10hipError_tPvRmT2_T3_T4_T5_mT6_T7_P12ihipStream_tbENKUlT_T0_E_clISt17integral_constantIbLb0EES12_IbLb1EEEEDaSY_SZ_EUlSY_E_NS1_11comp_targetILNS1_3genE5ELNS1_11target_archE942ELNS1_3gpuE9ELNS1_3repE0EEENS1_30default_config_static_selectorELNS0_4arch9wavefront6targetE0EEEvT1_,@function
_ZN7rocprim17ROCPRIM_400000_NS6detail17trampoline_kernelINS0_14default_configENS1_27scan_by_key_config_selectorIj11FixedVectorIiLj1EEEEZZNS1_16scan_by_key_implILNS1_25lookback_scan_determinismE0ELb0ES3_N6thrust23THRUST_200600_302600_NS6detail15normal_iteratorINSB_10device_ptrIjEEEENSD_INSE_IS6_EEEESI_S6_NSB_4plusIvEENSB_8equal_toIvEES6_EE10hipError_tPvRmT2_T3_T4_T5_mT6_T7_P12ihipStream_tbENKUlT_T0_E_clISt17integral_constantIbLb0EES12_IbLb1EEEEDaSY_SZ_EUlSY_E_NS1_11comp_targetILNS1_3genE5ELNS1_11target_archE942ELNS1_3gpuE9ELNS1_3repE0EEENS1_30default_config_static_selectorELNS0_4arch9wavefront6targetE0EEEvT1_: ; @_ZN7rocprim17ROCPRIM_400000_NS6detail17trampoline_kernelINS0_14default_configENS1_27scan_by_key_config_selectorIj11FixedVectorIiLj1EEEEZZNS1_16scan_by_key_implILNS1_25lookback_scan_determinismE0ELb0ES3_N6thrust23THRUST_200600_302600_NS6detail15normal_iteratorINSB_10device_ptrIjEEEENSD_INSE_IS6_EEEESI_S6_NSB_4plusIvEENSB_8equal_toIvEES6_EE10hipError_tPvRmT2_T3_T4_T5_mT6_T7_P12ihipStream_tbENKUlT_T0_E_clISt17integral_constantIbLb0EES12_IbLb1EEEEDaSY_SZ_EUlSY_E_NS1_11comp_targetILNS1_3genE5ELNS1_11target_archE942ELNS1_3gpuE9ELNS1_3repE0EEENS1_30default_config_static_selectorELNS0_4arch9wavefront6targetE0EEEvT1_
; %bb.0:
	.section	.rodata,"a",@progbits
	.p2align	6, 0x0
	.amdhsa_kernel _ZN7rocprim17ROCPRIM_400000_NS6detail17trampoline_kernelINS0_14default_configENS1_27scan_by_key_config_selectorIj11FixedVectorIiLj1EEEEZZNS1_16scan_by_key_implILNS1_25lookback_scan_determinismE0ELb0ES3_N6thrust23THRUST_200600_302600_NS6detail15normal_iteratorINSB_10device_ptrIjEEEENSD_INSE_IS6_EEEESI_S6_NSB_4plusIvEENSB_8equal_toIvEES6_EE10hipError_tPvRmT2_T3_T4_T5_mT6_T7_P12ihipStream_tbENKUlT_T0_E_clISt17integral_constantIbLb0EES12_IbLb1EEEEDaSY_SZ_EUlSY_E_NS1_11comp_targetILNS1_3genE5ELNS1_11target_archE942ELNS1_3gpuE9ELNS1_3repE0EEENS1_30default_config_static_selectorELNS0_4arch9wavefront6targetE0EEEvT1_
		.amdhsa_group_segment_fixed_size 0
		.amdhsa_private_segment_fixed_size 0
		.amdhsa_kernarg_size 112
		.amdhsa_user_sgpr_count 2
		.amdhsa_user_sgpr_dispatch_ptr 0
		.amdhsa_user_sgpr_queue_ptr 0
		.amdhsa_user_sgpr_kernarg_segment_ptr 1
		.amdhsa_user_sgpr_dispatch_id 0
		.amdhsa_user_sgpr_kernarg_preload_length 0
		.amdhsa_user_sgpr_kernarg_preload_offset 0
		.amdhsa_user_sgpr_private_segment_size 0
		.amdhsa_wavefront_size32 1
		.amdhsa_uses_dynamic_stack 0
		.amdhsa_enable_private_segment 0
		.amdhsa_system_sgpr_workgroup_id_x 1
		.amdhsa_system_sgpr_workgroup_id_y 0
		.amdhsa_system_sgpr_workgroup_id_z 0
		.amdhsa_system_sgpr_workgroup_info 0
		.amdhsa_system_vgpr_workitem_id 0
		.amdhsa_next_free_vgpr 1
		.amdhsa_next_free_sgpr 1
		.amdhsa_named_barrier_count 0
		.amdhsa_reserve_vcc 0
		.amdhsa_float_round_mode_32 0
		.amdhsa_float_round_mode_16_64 0
		.amdhsa_float_denorm_mode_32 3
		.amdhsa_float_denorm_mode_16_64 3
		.amdhsa_fp16_overflow 0
		.amdhsa_memory_ordered 1
		.amdhsa_forward_progress 1
		.amdhsa_inst_pref_size 0
		.amdhsa_round_robin_scheduling 0
		.amdhsa_exception_fp_ieee_invalid_op 0
		.amdhsa_exception_fp_denorm_src 0
		.amdhsa_exception_fp_ieee_div_zero 0
		.amdhsa_exception_fp_ieee_overflow 0
		.amdhsa_exception_fp_ieee_underflow 0
		.amdhsa_exception_fp_ieee_inexact 0
		.amdhsa_exception_int_div_zero 0
	.end_amdhsa_kernel
	.section	.text._ZN7rocprim17ROCPRIM_400000_NS6detail17trampoline_kernelINS0_14default_configENS1_27scan_by_key_config_selectorIj11FixedVectorIiLj1EEEEZZNS1_16scan_by_key_implILNS1_25lookback_scan_determinismE0ELb0ES3_N6thrust23THRUST_200600_302600_NS6detail15normal_iteratorINSB_10device_ptrIjEEEENSD_INSE_IS6_EEEESI_S6_NSB_4plusIvEENSB_8equal_toIvEES6_EE10hipError_tPvRmT2_T3_T4_T5_mT6_T7_P12ihipStream_tbENKUlT_T0_E_clISt17integral_constantIbLb0EES12_IbLb1EEEEDaSY_SZ_EUlSY_E_NS1_11comp_targetILNS1_3genE5ELNS1_11target_archE942ELNS1_3gpuE9ELNS1_3repE0EEENS1_30default_config_static_selectorELNS0_4arch9wavefront6targetE0EEEvT1_,"axG",@progbits,_ZN7rocprim17ROCPRIM_400000_NS6detail17trampoline_kernelINS0_14default_configENS1_27scan_by_key_config_selectorIj11FixedVectorIiLj1EEEEZZNS1_16scan_by_key_implILNS1_25lookback_scan_determinismE0ELb0ES3_N6thrust23THRUST_200600_302600_NS6detail15normal_iteratorINSB_10device_ptrIjEEEENSD_INSE_IS6_EEEESI_S6_NSB_4plusIvEENSB_8equal_toIvEES6_EE10hipError_tPvRmT2_T3_T4_T5_mT6_T7_P12ihipStream_tbENKUlT_T0_E_clISt17integral_constantIbLb0EES12_IbLb1EEEEDaSY_SZ_EUlSY_E_NS1_11comp_targetILNS1_3genE5ELNS1_11target_archE942ELNS1_3gpuE9ELNS1_3repE0EEENS1_30default_config_static_selectorELNS0_4arch9wavefront6targetE0EEEvT1_,comdat
.Lfunc_end1904:
	.size	_ZN7rocprim17ROCPRIM_400000_NS6detail17trampoline_kernelINS0_14default_configENS1_27scan_by_key_config_selectorIj11FixedVectorIiLj1EEEEZZNS1_16scan_by_key_implILNS1_25lookback_scan_determinismE0ELb0ES3_N6thrust23THRUST_200600_302600_NS6detail15normal_iteratorINSB_10device_ptrIjEEEENSD_INSE_IS6_EEEESI_S6_NSB_4plusIvEENSB_8equal_toIvEES6_EE10hipError_tPvRmT2_T3_T4_T5_mT6_T7_P12ihipStream_tbENKUlT_T0_E_clISt17integral_constantIbLb0EES12_IbLb1EEEEDaSY_SZ_EUlSY_E_NS1_11comp_targetILNS1_3genE5ELNS1_11target_archE942ELNS1_3gpuE9ELNS1_3repE0EEENS1_30default_config_static_selectorELNS0_4arch9wavefront6targetE0EEEvT1_, .Lfunc_end1904-_ZN7rocprim17ROCPRIM_400000_NS6detail17trampoline_kernelINS0_14default_configENS1_27scan_by_key_config_selectorIj11FixedVectorIiLj1EEEEZZNS1_16scan_by_key_implILNS1_25lookback_scan_determinismE0ELb0ES3_N6thrust23THRUST_200600_302600_NS6detail15normal_iteratorINSB_10device_ptrIjEEEENSD_INSE_IS6_EEEESI_S6_NSB_4plusIvEENSB_8equal_toIvEES6_EE10hipError_tPvRmT2_T3_T4_T5_mT6_T7_P12ihipStream_tbENKUlT_T0_E_clISt17integral_constantIbLb0EES12_IbLb1EEEEDaSY_SZ_EUlSY_E_NS1_11comp_targetILNS1_3genE5ELNS1_11target_archE942ELNS1_3gpuE9ELNS1_3repE0EEENS1_30default_config_static_selectorELNS0_4arch9wavefront6targetE0EEEvT1_
                                        ; -- End function
	.set _ZN7rocprim17ROCPRIM_400000_NS6detail17trampoline_kernelINS0_14default_configENS1_27scan_by_key_config_selectorIj11FixedVectorIiLj1EEEEZZNS1_16scan_by_key_implILNS1_25lookback_scan_determinismE0ELb0ES3_N6thrust23THRUST_200600_302600_NS6detail15normal_iteratorINSB_10device_ptrIjEEEENSD_INSE_IS6_EEEESI_S6_NSB_4plusIvEENSB_8equal_toIvEES6_EE10hipError_tPvRmT2_T3_T4_T5_mT6_T7_P12ihipStream_tbENKUlT_T0_E_clISt17integral_constantIbLb0EES12_IbLb1EEEEDaSY_SZ_EUlSY_E_NS1_11comp_targetILNS1_3genE5ELNS1_11target_archE942ELNS1_3gpuE9ELNS1_3repE0EEENS1_30default_config_static_selectorELNS0_4arch9wavefront6targetE0EEEvT1_.num_vgpr, 0
	.set _ZN7rocprim17ROCPRIM_400000_NS6detail17trampoline_kernelINS0_14default_configENS1_27scan_by_key_config_selectorIj11FixedVectorIiLj1EEEEZZNS1_16scan_by_key_implILNS1_25lookback_scan_determinismE0ELb0ES3_N6thrust23THRUST_200600_302600_NS6detail15normal_iteratorINSB_10device_ptrIjEEEENSD_INSE_IS6_EEEESI_S6_NSB_4plusIvEENSB_8equal_toIvEES6_EE10hipError_tPvRmT2_T3_T4_T5_mT6_T7_P12ihipStream_tbENKUlT_T0_E_clISt17integral_constantIbLb0EES12_IbLb1EEEEDaSY_SZ_EUlSY_E_NS1_11comp_targetILNS1_3genE5ELNS1_11target_archE942ELNS1_3gpuE9ELNS1_3repE0EEENS1_30default_config_static_selectorELNS0_4arch9wavefront6targetE0EEEvT1_.num_agpr, 0
	.set _ZN7rocprim17ROCPRIM_400000_NS6detail17trampoline_kernelINS0_14default_configENS1_27scan_by_key_config_selectorIj11FixedVectorIiLj1EEEEZZNS1_16scan_by_key_implILNS1_25lookback_scan_determinismE0ELb0ES3_N6thrust23THRUST_200600_302600_NS6detail15normal_iteratorINSB_10device_ptrIjEEEENSD_INSE_IS6_EEEESI_S6_NSB_4plusIvEENSB_8equal_toIvEES6_EE10hipError_tPvRmT2_T3_T4_T5_mT6_T7_P12ihipStream_tbENKUlT_T0_E_clISt17integral_constantIbLb0EES12_IbLb1EEEEDaSY_SZ_EUlSY_E_NS1_11comp_targetILNS1_3genE5ELNS1_11target_archE942ELNS1_3gpuE9ELNS1_3repE0EEENS1_30default_config_static_selectorELNS0_4arch9wavefront6targetE0EEEvT1_.numbered_sgpr, 0
	.set _ZN7rocprim17ROCPRIM_400000_NS6detail17trampoline_kernelINS0_14default_configENS1_27scan_by_key_config_selectorIj11FixedVectorIiLj1EEEEZZNS1_16scan_by_key_implILNS1_25lookback_scan_determinismE0ELb0ES3_N6thrust23THRUST_200600_302600_NS6detail15normal_iteratorINSB_10device_ptrIjEEEENSD_INSE_IS6_EEEESI_S6_NSB_4plusIvEENSB_8equal_toIvEES6_EE10hipError_tPvRmT2_T3_T4_T5_mT6_T7_P12ihipStream_tbENKUlT_T0_E_clISt17integral_constantIbLb0EES12_IbLb1EEEEDaSY_SZ_EUlSY_E_NS1_11comp_targetILNS1_3genE5ELNS1_11target_archE942ELNS1_3gpuE9ELNS1_3repE0EEENS1_30default_config_static_selectorELNS0_4arch9wavefront6targetE0EEEvT1_.num_named_barrier, 0
	.set _ZN7rocprim17ROCPRIM_400000_NS6detail17trampoline_kernelINS0_14default_configENS1_27scan_by_key_config_selectorIj11FixedVectorIiLj1EEEEZZNS1_16scan_by_key_implILNS1_25lookback_scan_determinismE0ELb0ES3_N6thrust23THRUST_200600_302600_NS6detail15normal_iteratorINSB_10device_ptrIjEEEENSD_INSE_IS6_EEEESI_S6_NSB_4plusIvEENSB_8equal_toIvEES6_EE10hipError_tPvRmT2_T3_T4_T5_mT6_T7_P12ihipStream_tbENKUlT_T0_E_clISt17integral_constantIbLb0EES12_IbLb1EEEEDaSY_SZ_EUlSY_E_NS1_11comp_targetILNS1_3genE5ELNS1_11target_archE942ELNS1_3gpuE9ELNS1_3repE0EEENS1_30default_config_static_selectorELNS0_4arch9wavefront6targetE0EEEvT1_.private_seg_size, 0
	.set _ZN7rocprim17ROCPRIM_400000_NS6detail17trampoline_kernelINS0_14default_configENS1_27scan_by_key_config_selectorIj11FixedVectorIiLj1EEEEZZNS1_16scan_by_key_implILNS1_25lookback_scan_determinismE0ELb0ES3_N6thrust23THRUST_200600_302600_NS6detail15normal_iteratorINSB_10device_ptrIjEEEENSD_INSE_IS6_EEEESI_S6_NSB_4plusIvEENSB_8equal_toIvEES6_EE10hipError_tPvRmT2_T3_T4_T5_mT6_T7_P12ihipStream_tbENKUlT_T0_E_clISt17integral_constantIbLb0EES12_IbLb1EEEEDaSY_SZ_EUlSY_E_NS1_11comp_targetILNS1_3genE5ELNS1_11target_archE942ELNS1_3gpuE9ELNS1_3repE0EEENS1_30default_config_static_selectorELNS0_4arch9wavefront6targetE0EEEvT1_.uses_vcc, 0
	.set _ZN7rocprim17ROCPRIM_400000_NS6detail17trampoline_kernelINS0_14default_configENS1_27scan_by_key_config_selectorIj11FixedVectorIiLj1EEEEZZNS1_16scan_by_key_implILNS1_25lookback_scan_determinismE0ELb0ES3_N6thrust23THRUST_200600_302600_NS6detail15normal_iteratorINSB_10device_ptrIjEEEENSD_INSE_IS6_EEEESI_S6_NSB_4plusIvEENSB_8equal_toIvEES6_EE10hipError_tPvRmT2_T3_T4_T5_mT6_T7_P12ihipStream_tbENKUlT_T0_E_clISt17integral_constantIbLb0EES12_IbLb1EEEEDaSY_SZ_EUlSY_E_NS1_11comp_targetILNS1_3genE5ELNS1_11target_archE942ELNS1_3gpuE9ELNS1_3repE0EEENS1_30default_config_static_selectorELNS0_4arch9wavefront6targetE0EEEvT1_.uses_flat_scratch, 0
	.set _ZN7rocprim17ROCPRIM_400000_NS6detail17trampoline_kernelINS0_14default_configENS1_27scan_by_key_config_selectorIj11FixedVectorIiLj1EEEEZZNS1_16scan_by_key_implILNS1_25lookback_scan_determinismE0ELb0ES3_N6thrust23THRUST_200600_302600_NS6detail15normal_iteratorINSB_10device_ptrIjEEEENSD_INSE_IS6_EEEESI_S6_NSB_4plusIvEENSB_8equal_toIvEES6_EE10hipError_tPvRmT2_T3_T4_T5_mT6_T7_P12ihipStream_tbENKUlT_T0_E_clISt17integral_constantIbLb0EES12_IbLb1EEEEDaSY_SZ_EUlSY_E_NS1_11comp_targetILNS1_3genE5ELNS1_11target_archE942ELNS1_3gpuE9ELNS1_3repE0EEENS1_30default_config_static_selectorELNS0_4arch9wavefront6targetE0EEEvT1_.has_dyn_sized_stack, 0
	.set _ZN7rocprim17ROCPRIM_400000_NS6detail17trampoline_kernelINS0_14default_configENS1_27scan_by_key_config_selectorIj11FixedVectorIiLj1EEEEZZNS1_16scan_by_key_implILNS1_25lookback_scan_determinismE0ELb0ES3_N6thrust23THRUST_200600_302600_NS6detail15normal_iteratorINSB_10device_ptrIjEEEENSD_INSE_IS6_EEEESI_S6_NSB_4plusIvEENSB_8equal_toIvEES6_EE10hipError_tPvRmT2_T3_T4_T5_mT6_T7_P12ihipStream_tbENKUlT_T0_E_clISt17integral_constantIbLb0EES12_IbLb1EEEEDaSY_SZ_EUlSY_E_NS1_11comp_targetILNS1_3genE5ELNS1_11target_archE942ELNS1_3gpuE9ELNS1_3repE0EEENS1_30default_config_static_selectorELNS0_4arch9wavefront6targetE0EEEvT1_.has_recursion, 0
	.set _ZN7rocprim17ROCPRIM_400000_NS6detail17trampoline_kernelINS0_14default_configENS1_27scan_by_key_config_selectorIj11FixedVectorIiLj1EEEEZZNS1_16scan_by_key_implILNS1_25lookback_scan_determinismE0ELb0ES3_N6thrust23THRUST_200600_302600_NS6detail15normal_iteratorINSB_10device_ptrIjEEEENSD_INSE_IS6_EEEESI_S6_NSB_4plusIvEENSB_8equal_toIvEES6_EE10hipError_tPvRmT2_T3_T4_T5_mT6_T7_P12ihipStream_tbENKUlT_T0_E_clISt17integral_constantIbLb0EES12_IbLb1EEEEDaSY_SZ_EUlSY_E_NS1_11comp_targetILNS1_3genE5ELNS1_11target_archE942ELNS1_3gpuE9ELNS1_3repE0EEENS1_30default_config_static_selectorELNS0_4arch9wavefront6targetE0EEEvT1_.has_indirect_call, 0
	.section	.AMDGPU.csdata,"",@progbits
; Kernel info:
; codeLenInByte = 0
; TotalNumSgprs: 0
; NumVgprs: 0
; ScratchSize: 0
; MemoryBound: 0
; FloatMode: 240
; IeeeMode: 1
; LDSByteSize: 0 bytes/workgroup (compile time only)
; SGPRBlocks: 0
; VGPRBlocks: 0
; NumSGPRsForWavesPerEU: 1
; NumVGPRsForWavesPerEU: 1
; NamedBarCnt: 0
; Occupancy: 16
; WaveLimiterHint : 0
; COMPUTE_PGM_RSRC2:SCRATCH_EN: 0
; COMPUTE_PGM_RSRC2:USER_SGPR: 2
; COMPUTE_PGM_RSRC2:TRAP_HANDLER: 0
; COMPUTE_PGM_RSRC2:TGID_X_EN: 1
; COMPUTE_PGM_RSRC2:TGID_Y_EN: 0
; COMPUTE_PGM_RSRC2:TGID_Z_EN: 0
; COMPUTE_PGM_RSRC2:TIDIG_COMP_CNT: 0
	.section	.text._ZN7rocprim17ROCPRIM_400000_NS6detail17trampoline_kernelINS0_14default_configENS1_27scan_by_key_config_selectorIj11FixedVectorIiLj1EEEEZZNS1_16scan_by_key_implILNS1_25lookback_scan_determinismE0ELb0ES3_N6thrust23THRUST_200600_302600_NS6detail15normal_iteratorINSB_10device_ptrIjEEEENSD_INSE_IS6_EEEESI_S6_NSB_4plusIvEENSB_8equal_toIvEES6_EE10hipError_tPvRmT2_T3_T4_T5_mT6_T7_P12ihipStream_tbENKUlT_T0_E_clISt17integral_constantIbLb0EES12_IbLb1EEEEDaSY_SZ_EUlSY_E_NS1_11comp_targetILNS1_3genE4ELNS1_11target_archE910ELNS1_3gpuE8ELNS1_3repE0EEENS1_30default_config_static_selectorELNS0_4arch9wavefront6targetE0EEEvT1_,"axG",@progbits,_ZN7rocprim17ROCPRIM_400000_NS6detail17trampoline_kernelINS0_14default_configENS1_27scan_by_key_config_selectorIj11FixedVectorIiLj1EEEEZZNS1_16scan_by_key_implILNS1_25lookback_scan_determinismE0ELb0ES3_N6thrust23THRUST_200600_302600_NS6detail15normal_iteratorINSB_10device_ptrIjEEEENSD_INSE_IS6_EEEESI_S6_NSB_4plusIvEENSB_8equal_toIvEES6_EE10hipError_tPvRmT2_T3_T4_T5_mT6_T7_P12ihipStream_tbENKUlT_T0_E_clISt17integral_constantIbLb0EES12_IbLb1EEEEDaSY_SZ_EUlSY_E_NS1_11comp_targetILNS1_3genE4ELNS1_11target_archE910ELNS1_3gpuE8ELNS1_3repE0EEENS1_30default_config_static_selectorELNS0_4arch9wavefront6targetE0EEEvT1_,comdat
	.protected	_ZN7rocprim17ROCPRIM_400000_NS6detail17trampoline_kernelINS0_14default_configENS1_27scan_by_key_config_selectorIj11FixedVectorIiLj1EEEEZZNS1_16scan_by_key_implILNS1_25lookback_scan_determinismE0ELb0ES3_N6thrust23THRUST_200600_302600_NS6detail15normal_iteratorINSB_10device_ptrIjEEEENSD_INSE_IS6_EEEESI_S6_NSB_4plusIvEENSB_8equal_toIvEES6_EE10hipError_tPvRmT2_T3_T4_T5_mT6_T7_P12ihipStream_tbENKUlT_T0_E_clISt17integral_constantIbLb0EES12_IbLb1EEEEDaSY_SZ_EUlSY_E_NS1_11comp_targetILNS1_3genE4ELNS1_11target_archE910ELNS1_3gpuE8ELNS1_3repE0EEENS1_30default_config_static_selectorELNS0_4arch9wavefront6targetE0EEEvT1_ ; -- Begin function _ZN7rocprim17ROCPRIM_400000_NS6detail17trampoline_kernelINS0_14default_configENS1_27scan_by_key_config_selectorIj11FixedVectorIiLj1EEEEZZNS1_16scan_by_key_implILNS1_25lookback_scan_determinismE0ELb0ES3_N6thrust23THRUST_200600_302600_NS6detail15normal_iteratorINSB_10device_ptrIjEEEENSD_INSE_IS6_EEEESI_S6_NSB_4plusIvEENSB_8equal_toIvEES6_EE10hipError_tPvRmT2_T3_T4_T5_mT6_T7_P12ihipStream_tbENKUlT_T0_E_clISt17integral_constantIbLb0EES12_IbLb1EEEEDaSY_SZ_EUlSY_E_NS1_11comp_targetILNS1_3genE4ELNS1_11target_archE910ELNS1_3gpuE8ELNS1_3repE0EEENS1_30default_config_static_selectorELNS0_4arch9wavefront6targetE0EEEvT1_
	.globl	_ZN7rocprim17ROCPRIM_400000_NS6detail17trampoline_kernelINS0_14default_configENS1_27scan_by_key_config_selectorIj11FixedVectorIiLj1EEEEZZNS1_16scan_by_key_implILNS1_25lookback_scan_determinismE0ELb0ES3_N6thrust23THRUST_200600_302600_NS6detail15normal_iteratorINSB_10device_ptrIjEEEENSD_INSE_IS6_EEEESI_S6_NSB_4plusIvEENSB_8equal_toIvEES6_EE10hipError_tPvRmT2_T3_T4_T5_mT6_T7_P12ihipStream_tbENKUlT_T0_E_clISt17integral_constantIbLb0EES12_IbLb1EEEEDaSY_SZ_EUlSY_E_NS1_11comp_targetILNS1_3genE4ELNS1_11target_archE910ELNS1_3gpuE8ELNS1_3repE0EEENS1_30default_config_static_selectorELNS0_4arch9wavefront6targetE0EEEvT1_
	.p2align	8
	.type	_ZN7rocprim17ROCPRIM_400000_NS6detail17trampoline_kernelINS0_14default_configENS1_27scan_by_key_config_selectorIj11FixedVectorIiLj1EEEEZZNS1_16scan_by_key_implILNS1_25lookback_scan_determinismE0ELb0ES3_N6thrust23THRUST_200600_302600_NS6detail15normal_iteratorINSB_10device_ptrIjEEEENSD_INSE_IS6_EEEESI_S6_NSB_4plusIvEENSB_8equal_toIvEES6_EE10hipError_tPvRmT2_T3_T4_T5_mT6_T7_P12ihipStream_tbENKUlT_T0_E_clISt17integral_constantIbLb0EES12_IbLb1EEEEDaSY_SZ_EUlSY_E_NS1_11comp_targetILNS1_3genE4ELNS1_11target_archE910ELNS1_3gpuE8ELNS1_3repE0EEENS1_30default_config_static_selectorELNS0_4arch9wavefront6targetE0EEEvT1_,@function
_ZN7rocprim17ROCPRIM_400000_NS6detail17trampoline_kernelINS0_14default_configENS1_27scan_by_key_config_selectorIj11FixedVectorIiLj1EEEEZZNS1_16scan_by_key_implILNS1_25lookback_scan_determinismE0ELb0ES3_N6thrust23THRUST_200600_302600_NS6detail15normal_iteratorINSB_10device_ptrIjEEEENSD_INSE_IS6_EEEESI_S6_NSB_4plusIvEENSB_8equal_toIvEES6_EE10hipError_tPvRmT2_T3_T4_T5_mT6_T7_P12ihipStream_tbENKUlT_T0_E_clISt17integral_constantIbLb0EES12_IbLb1EEEEDaSY_SZ_EUlSY_E_NS1_11comp_targetILNS1_3genE4ELNS1_11target_archE910ELNS1_3gpuE8ELNS1_3repE0EEENS1_30default_config_static_selectorELNS0_4arch9wavefront6targetE0EEEvT1_: ; @_ZN7rocprim17ROCPRIM_400000_NS6detail17trampoline_kernelINS0_14default_configENS1_27scan_by_key_config_selectorIj11FixedVectorIiLj1EEEEZZNS1_16scan_by_key_implILNS1_25lookback_scan_determinismE0ELb0ES3_N6thrust23THRUST_200600_302600_NS6detail15normal_iteratorINSB_10device_ptrIjEEEENSD_INSE_IS6_EEEESI_S6_NSB_4plusIvEENSB_8equal_toIvEES6_EE10hipError_tPvRmT2_T3_T4_T5_mT6_T7_P12ihipStream_tbENKUlT_T0_E_clISt17integral_constantIbLb0EES12_IbLb1EEEEDaSY_SZ_EUlSY_E_NS1_11comp_targetILNS1_3genE4ELNS1_11target_archE910ELNS1_3gpuE8ELNS1_3repE0EEENS1_30default_config_static_selectorELNS0_4arch9wavefront6targetE0EEEvT1_
; %bb.0:
	.section	.rodata,"a",@progbits
	.p2align	6, 0x0
	.amdhsa_kernel _ZN7rocprim17ROCPRIM_400000_NS6detail17trampoline_kernelINS0_14default_configENS1_27scan_by_key_config_selectorIj11FixedVectorIiLj1EEEEZZNS1_16scan_by_key_implILNS1_25lookback_scan_determinismE0ELb0ES3_N6thrust23THRUST_200600_302600_NS6detail15normal_iteratorINSB_10device_ptrIjEEEENSD_INSE_IS6_EEEESI_S6_NSB_4plusIvEENSB_8equal_toIvEES6_EE10hipError_tPvRmT2_T3_T4_T5_mT6_T7_P12ihipStream_tbENKUlT_T0_E_clISt17integral_constantIbLb0EES12_IbLb1EEEEDaSY_SZ_EUlSY_E_NS1_11comp_targetILNS1_3genE4ELNS1_11target_archE910ELNS1_3gpuE8ELNS1_3repE0EEENS1_30default_config_static_selectorELNS0_4arch9wavefront6targetE0EEEvT1_
		.amdhsa_group_segment_fixed_size 0
		.amdhsa_private_segment_fixed_size 0
		.amdhsa_kernarg_size 112
		.amdhsa_user_sgpr_count 2
		.amdhsa_user_sgpr_dispatch_ptr 0
		.amdhsa_user_sgpr_queue_ptr 0
		.amdhsa_user_sgpr_kernarg_segment_ptr 1
		.amdhsa_user_sgpr_dispatch_id 0
		.amdhsa_user_sgpr_kernarg_preload_length 0
		.amdhsa_user_sgpr_kernarg_preload_offset 0
		.amdhsa_user_sgpr_private_segment_size 0
		.amdhsa_wavefront_size32 1
		.amdhsa_uses_dynamic_stack 0
		.amdhsa_enable_private_segment 0
		.amdhsa_system_sgpr_workgroup_id_x 1
		.amdhsa_system_sgpr_workgroup_id_y 0
		.amdhsa_system_sgpr_workgroup_id_z 0
		.amdhsa_system_sgpr_workgroup_info 0
		.amdhsa_system_vgpr_workitem_id 0
		.amdhsa_next_free_vgpr 1
		.amdhsa_next_free_sgpr 1
		.amdhsa_named_barrier_count 0
		.amdhsa_reserve_vcc 0
		.amdhsa_float_round_mode_32 0
		.amdhsa_float_round_mode_16_64 0
		.amdhsa_float_denorm_mode_32 3
		.amdhsa_float_denorm_mode_16_64 3
		.amdhsa_fp16_overflow 0
		.amdhsa_memory_ordered 1
		.amdhsa_forward_progress 1
		.amdhsa_inst_pref_size 0
		.amdhsa_round_robin_scheduling 0
		.amdhsa_exception_fp_ieee_invalid_op 0
		.amdhsa_exception_fp_denorm_src 0
		.amdhsa_exception_fp_ieee_div_zero 0
		.amdhsa_exception_fp_ieee_overflow 0
		.amdhsa_exception_fp_ieee_underflow 0
		.amdhsa_exception_fp_ieee_inexact 0
		.amdhsa_exception_int_div_zero 0
	.end_amdhsa_kernel
	.section	.text._ZN7rocprim17ROCPRIM_400000_NS6detail17trampoline_kernelINS0_14default_configENS1_27scan_by_key_config_selectorIj11FixedVectorIiLj1EEEEZZNS1_16scan_by_key_implILNS1_25lookback_scan_determinismE0ELb0ES3_N6thrust23THRUST_200600_302600_NS6detail15normal_iteratorINSB_10device_ptrIjEEEENSD_INSE_IS6_EEEESI_S6_NSB_4plusIvEENSB_8equal_toIvEES6_EE10hipError_tPvRmT2_T3_T4_T5_mT6_T7_P12ihipStream_tbENKUlT_T0_E_clISt17integral_constantIbLb0EES12_IbLb1EEEEDaSY_SZ_EUlSY_E_NS1_11comp_targetILNS1_3genE4ELNS1_11target_archE910ELNS1_3gpuE8ELNS1_3repE0EEENS1_30default_config_static_selectorELNS0_4arch9wavefront6targetE0EEEvT1_,"axG",@progbits,_ZN7rocprim17ROCPRIM_400000_NS6detail17trampoline_kernelINS0_14default_configENS1_27scan_by_key_config_selectorIj11FixedVectorIiLj1EEEEZZNS1_16scan_by_key_implILNS1_25lookback_scan_determinismE0ELb0ES3_N6thrust23THRUST_200600_302600_NS6detail15normal_iteratorINSB_10device_ptrIjEEEENSD_INSE_IS6_EEEESI_S6_NSB_4plusIvEENSB_8equal_toIvEES6_EE10hipError_tPvRmT2_T3_T4_T5_mT6_T7_P12ihipStream_tbENKUlT_T0_E_clISt17integral_constantIbLb0EES12_IbLb1EEEEDaSY_SZ_EUlSY_E_NS1_11comp_targetILNS1_3genE4ELNS1_11target_archE910ELNS1_3gpuE8ELNS1_3repE0EEENS1_30default_config_static_selectorELNS0_4arch9wavefront6targetE0EEEvT1_,comdat
.Lfunc_end1905:
	.size	_ZN7rocprim17ROCPRIM_400000_NS6detail17trampoline_kernelINS0_14default_configENS1_27scan_by_key_config_selectorIj11FixedVectorIiLj1EEEEZZNS1_16scan_by_key_implILNS1_25lookback_scan_determinismE0ELb0ES3_N6thrust23THRUST_200600_302600_NS6detail15normal_iteratorINSB_10device_ptrIjEEEENSD_INSE_IS6_EEEESI_S6_NSB_4plusIvEENSB_8equal_toIvEES6_EE10hipError_tPvRmT2_T3_T4_T5_mT6_T7_P12ihipStream_tbENKUlT_T0_E_clISt17integral_constantIbLb0EES12_IbLb1EEEEDaSY_SZ_EUlSY_E_NS1_11comp_targetILNS1_3genE4ELNS1_11target_archE910ELNS1_3gpuE8ELNS1_3repE0EEENS1_30default_config_static_selectorELNS0_4arch9wavefront6targetE0EEEvT1_, .Lfunc_end1905-_ZN7rocprim17ROCPRIM_400000_NS6detail17trampoline_kernelINS0_14default_configENS1_27scan_by_key_config_selectorIj11FixedVectorIiLj1EEEEZZNS1_16scan_by_key_implILNS1_25lookback_scan_determinismE0ELb0ES3_N6thrust23THRUST_200600_302600_NS6detail15normal_iteratorINSB_10device_ptrIjEEEENSD_INSE_IS6_EEEESI_S6_NSB_4plusIvEENSB_8equal_toIvEES6_EE10hipError_tPvRmT2_T3_T4_T5_mT6_T7_P12ihipStream_tbENKUlT_T0_E_clISt17integral_constantIbLb0EES12_IbLb1EEEEDaSY_SZ_EUlSY_E_NS1_11comp_targetILNS1_3genE4ELNS1_11target_archE910ELNS1_3gpuE8ELNS1_3repE0EEENS1_30default_config_static_selectorELNS0_4arch9wavefront6targetE0EEEvT1_
                                        ; -- End function
	.set _ZN7rocprim17ROCPRIM_400000_NS6detail17trampoline_kernelINS0_14default_configENS1_27scan_by_key_config_selectorIj11FixedVectorIiLj1EEEEZZNS1_16scan_by_key_implILNS1_25lookback_scan_determinismE0ELb0ES3_N6thrust23THRUST_200600_302600_NS6detail15normal_iteratorINSB_10device_ptrIjEEEENSD_INSE_IS6_EEEESI_S6_NSB_4plusIvEENSB_8equal_toIvEES6_EE10hipError_tPvRmT2_T3_T4_T5_mT6_T7_P12ihipStream_tbENKUlT_T0_E_clISt17integral_constantIbLb0EES12_IbLb1EEEEDaSY_SZ_EUlSY_E_NS1_11comp_targetILNS1_3genE4ELNS1_11target_archE910ELNS1_3gpuE8ELNS1_3repE0EEENS1_30default_config_static_selectorELNS0_4arch9wavefront6targetE0EEEvT1_.num_vgpr, 0
	.set _ZN7rocprim17ROCPRIM_400000_NS6detail17trampoline_kernelINS0_14default_configENS1_27scan_by_key_config_selectorIj11FixedVectorIiLj1EEEEZZNS1_16scan_by_key_implILNS1_25lookback_scan_determinismE0ELb0ES3_N6thrust23THRUST_200600_302600_NS6detail15normal_iteratorINSB_10device_ptrIjEEEENSD_INSE_IS6_EEEESI_S6_NSB_4plusIvEENSB_8equal_toIvEES6_EE10hipError_tPvRmT2_T3_T4_T5_mT6_T7_P12ihipStream_tbENKUlT_T0_E_clISt17integral_constantIbLb0EES12_IbLb1EEEEDaSY_SZ_EUlSY_E_NS1_11comp_targetILNS1_3genE4ELNS1_11target_archE910ELNS1_3gpuE8ELNS1_3repE0EEENS1_30default_config_static_selectorELNS0_4arch9wavefront6targetE0EEEvT1_.num_agpr, 0
	.set _ZN7rocprim17ROCPRIM_400000_NS6detail17trampoline_kernelINS0_14default_configENS1_27scan_by_key_config_selectorIj11FixedVectorIiLj1EEEEZZNS1_16scan_by_key_implILNS1_25lookback_scan_determinismE0ELb0ES3_N6thrust23THRUST_200600_302600_NS6detail15normal_iteratorINSB_10device_ptrIjEEEENSD_INSE_IS6_EEEESI_S6_NSB_4plusIvEENSB_8equal_toIvEES6_EE10hipError_tPvRmT2_T3_T4_T5_mT6_T7_P12ihipStream_tbENKUlT_T0_E_clISt17integral_constantIbLb0EES12_IbLb1EEEEDaSY_SZ_EUlSY_E_NS1_11comp_targetILNS1_3genE4ELNS1_11target_archE910ELNS1_3gpuE8ELNS1_3repE0EEENS1_30default_config_static_selectorELNS0_4arch9wavefront6targetE0EEEvT1_.numbered_sgpr, 0
	.set _ZN7rocprim17ROCPRIM_400000_NS6detail17trampoline_kernelINS0_14default_configENS1_27scan_by_key_config_selectorIj11FixedVectorIiLj1EEEEZZNS1_16scan_by_key_implILNS1_25lookback_scan_determinismE0ELb0ES3_N6thrust23THRUST_200600_302600_NS6detail15normal_iteratorINSB_10device_ptrIjEEEENSD_INSE_IS6_EEEESI_S6_NSB_4plusIvEENSB_8equal_toIvEES6_EE10hipError_tPvRmT2_T3_T4_T5_mT6_T7_P12ihipStream_tbENKUlT_T0_E_clISt17integral_constantIbLb0EES12_IbLb1EEEEDaSY_SZ_EUlSY_E_NS1_11comp_targetILNS1_3genE4ELNS1_11target_archE910ELNS1_3gpuE8ELNS1_3repE0EEENS1_30default_config_static_selectorELNS0_4arch9wavefront6targetE0EEEvT1_.num_named_barrier, 0
	.set _ZN7rocprim17ROCPRIM_400000_NS6detail17trampoline_kernelINS0_14default_configENS1_27scan_by_key_config_selectorIj11FixedVectorIiLj1EEEEZZNS1_16scan_by_key_implILNS1_25lookback_scan_determinismE0ELb0ES3_N6thrust23THRUST_200600_302600_NS6detail15normal_iteratorINSB_10device_ptrIjEEEENSD_INSE_IS6_EEEESI_S6_NSB_4plusIvEENSB_8equal_toIvEES6_EE10hipError_tPvRmT2_T3_T4_T5_mT6_T7_P12ihipStream_tbENKUlT_T0_E_clISt17integral_constantIbLb0EES12_IbLb1EEEEDaSY_SZ_EUlSY_E_NS1_11comp_targetILNS1_3genE4ELNS1_11target_archE910ELNS1_3gpuE8ELNS1_3repE0EEENS1_30default_config_static_selectorELNS0_4arch9wavefront6targetE0EEEvT1_.private_seg_size, 0
	.set _ZN7rocprim17ROCPRIM_400000_NS6detail17trampoline_kernelINS0_14default_configENS1_27scan_by_key_config_selectorIj11FixedVectorIiLj1EEEEZZNS1_16scan_by_key_implILNS1_25lookback_scan_determinismE0ELb0ES3_N6thrust23THRUST_200600_302600_NS6detail15normal_iteratorINSB_10device_ptrIjEEEENSD_INSE_IS6_EEEESI_S6_NSB_4plusIvEENSB_8equal_toIvEES6_EE10hipError_tPvRmT2_T3_T4_T5_mT6_T7_P12ihipStream_tbENKUlT_T0_E_clISt17integral_constantIbLb0EES12_IbLb1EEEEDaSY_SZ_EUlSY_E_NS1_11comp_targetILNS1_3genE4ELNS1_11target_archE910ELNS1_3gpuE8ELNS1_3repE0EEENS1_30default_config_static_selectorELNS0_4arch9wavefront6targetE0EEEvT1_.uses_vcc, 0
	.set _ZN7rocprim17ROCPRIM_400000_NS6detail17trampoline_kernelINS0_14default_configENS1_27scan_by_key_config_selectorIj11FixedVectorIiLj1EEEEZZNS1_16scan_by_key_implILNS1_25lookback_scan_determinismE0ELb0ES3_N6thrust23THRUST_200600_302600_NS6detail15normal_iteratorINSB_10device_ptrIjEEEENSD_INSE_IS6_EEEESI_S6_NSB_4plusIvEENSB_8equal_toIvEES6_EE10hipError_tPvRmT2_T3_T4_T5_mT6_T7_P12ihipStream_tbENKUlT_T0_E_clISt17integral_constantIbLb0EES12_IbLb1EEEEDaSY_SZ_EUlSY_E_NS1_11comp_targetILNS1_3genE4ELNS1_11target_archE910ELNS1_3gpuE8ELNS1_3repE0EEENS1_30default_config_static_selectorELNS0_4arch9wavefront6targetE0EEEvT1_.uses_flat_scratch, 0
	.set _ZN7rocprim17ROCPRIM_400000_NS6detail17trampoline_kernelINS0_14default_configENS1_27scan_by_key_config_selectorIj11FixedVectorIiLj1EEEEZZNS1_16scan_by_key_implILNS1_25lookback_scan_determinismE0ELb0ES3_N6thrust23THRUST_200600_302600_NS6detail15normal_iteratorINSB_10device_ptrIjEEEENSD_INSE_IS6_EEEESI_S6_NSB_4plusIvEENSB_8equal_toIvEES6_EE10hipError_tPvRmT2_T3_T4_T5_mT6_T7_P12ihipStream_tbENKUlT_T0_E_clISt17integral_constantIbLb0EES12_IbLb1EEEEDaSY_SZ_EUlSY_E_NS1_11comp_targetILNS1_3genE4ELNS1_11target_archE910ELNS1_3gpuE8ELNS1_3repE0EEENS1_30default_config_static_selectorELNS0_4arch9wavefront6targetE0EEEvT1_.has_dyn_sized_stack, 0
	.set _ZN7rocprim17ROCPRIM_400000_NS6detail17trampoline_kernelINS0_14default_configENS1_27scan_by_key_config_selectorIj11FixedVectorIiLj1EEEEZZNS1_16scan_by_key_implILNS1_25lookback_scan_determinismE0ELb0ES3_N6thrust23THRUST_200600_302600_NS6detail15normal_iteratorINSB_10device_ptrIjEEEENSD_INSE_IS6_EEEESI_S6_NSB_4plusIvEENSB_8equal_toIvEES6_EE10hipError_tPvRmT2_T3_T4_T5_mT6_T7_P12ihipStream_tbENKUlT_T0_E_clISt17integral_constantIbLb0EES12_IbLb1EEEEDaSY_SZ_EUlSY_E_NS1_11comp_targetILNS1_3genE4ELNS1_11target_archE910ELNS1_3gpuE8ELNS1_3repE0EEENS1_30default_config_static_selectorELNS0_4arch9wavefront6targetE0EEEvT1_.has_recursion, 0
	.set _ZN7rocprim17ROCPRIM_400000_NS6detail17trampoline_kernelINS0_14default_configENS1_27scan_by_key_config_selectorIj11FixedVectorIiLj1EEEEZZNS1_16scan_by_key_implILNS1_25lookback_scan_determinismE0ELb0ES3_N6thrust23THRUST_200600_302600_NS6detail15normal_iteratorINSB_10device_ptrIjEEEENSD_INSE_IS6_EEEESI_S6_NSB_4plusIvEENSB_8equal_toIvEES6_EE10hipError_tPvRmT2_T3_T4_T5_mT6_T7_P12ihipStream_tbENKUlT_T0_E_clISt17integral_constantIbLb0EES12_IbLb1EEEEDaSY_SZ_EUlSY_E_NS1_11comp_targetILNS1_3genE4ELNS1_11target_archE910ELNS1_3gpuE8ELNS1_3repE0EEENS1_30default_config_static_selectorELNS0_4arch9wavefront6targetE0EEEvT1_.has_indirect_call, 0
	.section	.AMDGPU.csdata,"",@progbits
; Kernel info:
; codeLenInByte = 0
; TotalNumSgprs: 0
; NumVgprs: 0
; ScratchSize: 0
; MemoryBound: 0
; FloatMode: 240
; IeeeMode: 1
; LDSByteSize: 0 bytes/workgroup (compile time only)
; SGPRBlocks: 0
; VGPRBlocks: 0
; NumSGPRsForWavesPerEU: 1
; NumVGPRsForWavesPerEU: 1
; NamedBarCnt: 0
; Occupancy: 16
; WaveLimiterHint : 0
; COMPUTE_PGM_RSRC2:SCRATCH_EN: 0
; COMPUTE_PGM_RSRC2:USER_SGPR: 2
; COMPUTE_PGM_RSRC2:TRAP_HANDLER: 0
; COMPUTE_PGM_RSRC2:TGID_X_EN: 1
; COMPUTE_PGM_RSRC2:TGID_Y_EN: 0
; COMPUTE_PGM_RSRC2:TGID_Z_EN: 0
; COMPUTE_PGM_RSRC2:TIDIG_COMP_CNT: 0
	.section	.text._ZN7rocprim17ROCPRIM_400000_NS6detail17trampoline_kernelINS0_14default_configENS1_27scan_by_key_config_selectorIj11FixedVectorIiLj1EEEEZZNS1_16scan_by_key_implILNS1_25lookback_scan_determinismE0ELb0ES3_N6thrust23THRUST_200600_302600_NS6detail15normal_iteratorINSB_10device_ptrIjEEEENSD_INSE_IS6_EEEESI_S6_NSB_4plusIvEENSB_8equal_toIvEES6_EE10hipError_tPvRmT2_T3_T4_T5_mT6_T7_P12ihipStream_tbENKUlT_T0_E_clISt17integral_constantIbLb0EES12_IbLb1EEEEDaSY_SZ_EUlSY_E_NS1_11comp_targetILNS1_3genE3ELNS1_11target_archE908ELNS1_3gpuE7ELNS1_3repE0EEENS1_30default_config_static_selectorELNS0_4arch9wavefront6targetE0EEEvT1_,"axG",@progbits,_ZN7rocprim17ROCPRIM_400000_NS6detail17trampoline_kernelINS0_14default_configENS1_27scan_by_key_config_selectorIj11FixedVectorIiLj1EEEEZZNS1_16scan_by_key_implILNS1_25lookback_scan_determinismE0ELb0ES3_N6thrust23THRUST_200600_302600_NS6detail15normal_iteratorINSB_10device_ptrIjEEEENSD_INSE_IS6_EEEESI_S6_NSB_4plusIvEENSB_8equal_toIvEES6_EE10hipError_tPvRmT2_T3_T4_T5_mT6_T7_P12ihipStream_tbENKUlT_T0_E_clISt17integral_constantIbLb0EES12_IbLb1EEEEDaSY_SZ_EUlSY_E_NS1_11comp_targetILNS1_3genE3ELNS1_11target_archE908ELNS1_3gpuE7ELNS1_3repE0EEENS1_30default_config_static_selectorELNS0_4arch9wavefront6targetE0EEEvT1_,comdat
	.protected	_ZN7rocprim17ROCPRIM_400000_NS6detail17trampoline_kernelINS0_14default_configENS1_27scan_by_key_config_selectorIj11FixedVectorIiLj1EEEEZZNS1_16scan_by_key_implILNS1_25lookback_scan_determinismE0ELb0ES3_N6thrust23THRUST_200600_302600_NS6detail15normal_iteratorINSB_10device_ptrIjEEEENSD_INSE_IS6_EEEESI_S6_NSB_4plusIvEENSB_8equal_toIvEES6_EE10hipError_tPvRmT2_T3_T4_T5_mT6_T7_P12ihipStream_tbENKUlT_T0_E_clISt17integral_constantIbLb0EES12_IbLb1EEEEDaSY_SZ_EUlSY_E_NS1_11comp_targetILNS1_3genE3ELNS1_11target_archE908ELNS1_3gpuE7ELNS1_3repE0EEENS1_30default_config_static_selectorELNS0_4arch9wavefront6targetE0EEEvT1_ ; -- Begin function _ZN7rocprim17ROCPRIM_400000_NS6detail17trampoline_kernelINS0_14default_configENS1_27scan_by_key_config_selectorIj11FixedVectorIiLj1EEEEZZNS1_16scan_by_key_implILNS1_25lookback_scan_determinismE0ELb0ES3_N6thrust23THRUST_200600_302600_NS6detail15normal_iteratorINSB_10device_ptrIjEEEENSD_INSE_IS6_EEEESI_S6_NSB_4plusIvEENSB_8equal_toIvEES6_EE10hipError_tPvRmT2_T3_T4_T5_mT6_T7_P12ihipStream_tbENKUlT_T0_E_clISt17integral_constantIbLb0EES12_IbLb1EEEEDaSY_SZ_EUlSY_E_NS1_11comp_targetILNS1_3genE3ELNS1_11target_archE908ELNS1_3gpuE7ELNS1_3repE0EEENS1_30default_config_static_selectorELNS0_4arch9wavefront6targetE0EEEvT1_
	.globl	_ZN7rocprim17ROCPRIM_400000_NS6detail17trampoline_kernelINS0_14default_configENS1_27scan_by_key_config_selectorIj11FixedVectorIiLj1EEEEZZNS1_16scan_by_key_implILNS1_25lookback_scan_determinismE0ELb0ES3_N6thrust23THRUST_200600_302600_NS6detail15normal_iteratorINSB_10device_ptrIjEEEENSD_INSE_IS6_EEEESI_S6_NSB_4plusIvEENSB_8equal_toIvEES6_EE10hipError_tPvRmT2_T3_T4_T5_mT6_T7_P12ihipStream_tbENKUlT_T0_E_clISt17integral_constantIbLb0EES12_IbLb1EEEEDaSY_SZ_EUlSY_E_NS1_11comp_targetILNS1_3genE3ELNS1_11target_archE908ELNS1_3gpuE7ELNS1_3repE0EEENS1_30default_config_static_selectorELNS0_4arch9wavefront6targetE0EEEvT1_
	.p2align	8
	.type	_ZN7rocprim17ROCPRIM_400000_NS6detail17trampoline_kernelINS0_14default_configENS1_27scan_by_key_config_selectorIj11FixedVectorIiLj1EEEEZZNS1_16scan_by_key_implILNS1_25lookback_scan_determinismE0ELb0ES3_N6thrust23THRUST_200600_302600_NS6detail15normal_iteratorINSB_10device_ptrIjEEEENSD_INSE_IS6_EEEESI_S6_NSB_4plusIvEENSB_8equal_toIvEES6_EE10hipError_tPvRmT2_T3_T4_T5_mT6_T7_P12ihipStream_tbENKUlT_T0_E_clISt17integral_constantIbLb0EES12_IbLb1EEEEDaSY_SZ_EUlSY_E_NS1_11comp_targetILNS1_3genE3ELNS1_11target_archE908ELNS1_3gpuE7ELNS1_3repE0EEENS1_30default_config_static_selectorELNS0_4arch9wavefront6targetE0EEEvT1_,@function
_ZN7rocprim17ROCPRIM_400000_NS6detail17trampoline_kernelINS0_14default_configENS1_27scan_by_key_config_selectorIj11FixedVectorIiLj1EEEEZZNS1_16scan_by_key_implILNS1_25lookback_scan_determinismE0ELb0ES3_N6thrust23THRUST_200600_302600_NS6detail15normal_iteratorINSB_10device_ptrIjEEEENSD_INSE_IS6_EEEESI_S6_NSB_4plusIvEENSB_8equal_toIvEES6_EE10hipError_tPvRmT2_T3_T4_T5_mT6_T7_P12ihipStream_tbENKUlT_T0_E_clISt17integral_constantIbLb0EES12_IbLb1EEEEDaSY_SZ_EUlSY_E_NS1_11comp_targetILNS1_3genE3ELNS1_11target_archE908ELNS1_3gpuE7ELNS1_3repE0EEENS1_30default_config_static_selectorELNS0_4arch9wavefront6targetE0EEEvT1_: ; @_ZN7rocprim17ROCPRIM_400000_NS6detail17trampoline_kernelINS0_14default_configENS1_27scan_by_key_config_selectorIj11FixedVectorIiLj1EEEEZZNS1_16scan_by_key_implILNS1_25lookback_scan_determinismE0ELb0ES3_N6thrust23THRUST_200600_302600_NS6detail15normal_iteratorINSB_10device_ptrIjEEEENSD_INSE_IS6_EEEESI_S6_NSB_4plusIvEENSB_8equal_toIvEES6_EE10hipError_tPvRmT2_T3_T4_T5_mT6_T7_P12ihipStream_tbENKUlT_T0_E_clISt17integral_constantIbLb0EES12_IbLb1EEEEDaSY_SZ_EUlSY_E_NS1_11comp_targetILNS1_3genE3ELNS1_11target_archE908ELNS1_3gpuE7ELNS1_3repE0EEENS1_30default_config_static_selectorELNS0_4arch9wavefront6targetE0EEEvT1_
; %bb.0:
	.section	.rodata,"a",@progbits
	.p2align	6, 0x0
	.amdhsa_kernel _ZN7rocprim17ROCPRIM_400000_NS6detail17trampoline_kernelINS0_14default_configENS1_27scan_by_key_config_selectorIj11FixedVectorIiLj1EEEEZZNS1_16scan_by_key_implILNS1_25lookback_scan_determinismE0ELb0ES3_N6thrust23THRUST_200600_302600_NS6detail15normal_iteratorINSB_10device_ptrIjEEEENSD_INSE_IS6_EEEESI_S6_NSB_4plusIvEENSB_8equal_toIvEES6_EE10hipError_tPvRmT2_T3_T4_T5_mT6_T7_P12ihipStream_tbENKUlT_T0_E_clISt17integral_constantIbLb0EES12_IbLb1EEEEDaSY_SZ_EUlSY_E_NS1_11comp_targetILNS1_3genE3ELNS1_11target_archE908ELNS1_3gpuE7ELNS1_3repE0EEENS1_30default_config_static_selectorELNS0_4arch9wavefront6targetE0EEEvT1_
		.amdhsa_group_segment_fixed_size 0
		.amdhsa_private_segment_fixed_size 0
		.amdhsa_kernarg_size 112
		.amdhsa_user_sgpr_count 2
		.amdhsa_user_sgpr_dispatch_ptr 0
		.amdhsa_user_sgpr_queue_ptr 0
		.amdhsa_user_sgpr_kernarg_segment_ptr 1
		.amdhsa_user_sgpr_dispatch_id 0
		.amdhsa_user_sgpr_kernarg_preload_length 0
		.amdhsa_user_sgpr_kernarg_preload_offset 0
		.amdhsa_user_sgpr_private_segment_size 0
		.amdhsa_wavefront_size32 1
		.amdhsa_uses_dynamic_stack 0
		.amdhsa_enable_private_segment 0
		.amdhsa_system_sgpr_workgroup_id_x 1
		.amdhsa_system_sgpr_workgroup_id_y 0
		.amdhsa_system_sgpr_workgroup_id_z 0
		.amdhsa_system_sgpr_workgroup_info 0
		.amdhsa_system_vgpr_workitem_id 0
		.amdhsa_next_free_vgpr 1
		.amdhsa_next_free_sgpr 1
		.amdhsa_named_barrier_count 0
		.amdhsa_reserve_vcc 0
		.amdhsa_float_round_mode_32 0
		.amdhsa_float_round_mode_16_64 0
		.amdhsa_float_denorm_mode_32 3
		.amdhsa_float_denorm_mode_16_64 3
		.amdhsa_fp16_overflow 0
		.amdhsa_memory_ordered 1
		.amdhsa_forward_progress 1
		.amdhsa_inst_pref_size 0
		.amdhsa_round_robin_scheduling 0
		.amdhsa_exception_fp_ieee_invalid_op 0
		.amdhsa_exception_fp_denorm_src 0
		.amdhsa_exception_fp_ieee_div_zero 0
		.amdhsa_exception_fp_ieee_overflow 0
		.amdhsa_exception_fp_ieee_underflow 0
		.amdhsa_exception_fp_ieee_inexact 0
		.amdhsa_exception_int_div_zero 0
	.end_amdhsa_kernel
	.section	.text._ZN7rocprim17ROCPRIM_400000_NS6detail17trampoline_kernelINS0_14default_configENS1_27scan_by_key_config_selectorIj11FixedVectorIiLj1EEEEZZNS1_16scan_by_key_implILNS1_25lookback_scan_determinismE0ELb0ES3_N6thrust23THRUST_200600_302600_NS6detail15normal_iteratorINSB_10device_ptrIjEEEENSD_INSE_IS6_EEEESI_S6_NSB_4plusIvEENSB_8equal_toIvEES6_EE10hipError_tPvRmT2_T3_T4_T5_mT6_T7_P12ihipStream_tbENKUlT_T0_E_clISt17integral_constantIbLb0EES12_IbLb1EEEEDaSY_SZ_EUlSY_E_NS1_11comp_targetILNS1_3genE3ELNS1_11target_archE908ELNS1_3gpuE7ELNS1_3repE0EEENS1_30default_config_static_selectorELNS0_4arch9wavefront6targetE0EEEvT1_,"axG",@progbits,_ZN7rocprim17ROCPRIM_400000_NS6detail17trampoline_kernelINS0_14default_configENS1_27scan_by_key_config_selectorIj11FixedVectorIiLj1EEEEZZNS1_16scan_by_key_implILNS1_25lookback_scan_determinismE0ELb0ES3_N6thrust23THRUST_200600_302600_NS6detail15normal_iteratorINSB_10device_ptrIjEEEENSD_INSE_IS6_EEEESI_S6_NSB_4plusIvEENSB_8equal_toIvEES6_EE10hipError_tPvRmT2_T3_T4_T5_mT6_T7_P12ihipStream_tbENKUlT_T0_E_clISt17integral_constantIbLb0EES12_IbLb1EEEEDaSY_SZ_EUlSY_E_NS1_11comp_targetILNS1_3genE3ELNS1_11target_archE908ELNS1_3gpuE7ELNS1_3repE0EEENS1_30default_config_static_selectorELNS0_4arch9wavefront6targetE0EEEvT1_,comdat
.Lfunc_end1906:
	.size	_ZN7rocprim17ROCPRIM_400000_NS6detail17trampoline_kernelINS0_14default_configENS1_27scan_by_key_config_selectorIj11FixedVectorIiLj1EEEEZZNS1_16scan_by_key_implILNS1_25lookback_scan_determinismE0ELb0ES3_N6thrust23THRUST_200600_302600_NS6detail15normal_iteratorINSB_10device_ptrIjEEEENSD_INSE_IS6_EEEESI_S6_NSB_4plusIvEENSB_8equal_toIvEES6_EE10hipError_tPvRmT2_T3_T4_T5_mT6_T7_P12ihipStream_tbENKUlT_T0_E_clISt17integral_constantIbLb0EES12_IbLb1EEEEDaSY_SZ_EUlSY_E_NS1_11comp_targetILNS1_3genE3ELNS1_11target_archE908ELNS1_3gpuE7ELNS1_3repE0EEENS1_30default_config_static_selectorELNS0_4arch9wavefront6targetE0EEEvT1_, .Lfunc_end1906-_ZN7rocprim17ROCPRIM_400000_NS6detail17trampoline_kernelINS0_14default_configENS1_27scan_by_key_config_selectorIj11FixedVectorIiLj1EEEEZZNS1_16scan_by_key_implILNS1_25lookback_scan_determinismE0ELb0ES3_N6thrust23THRUST_200600_302600_NS6detail15normal_iteratorINSB_10device_ptrIjEEEENSD_INSE_IS6_EEEESI_S6_NSB_4plusIvEENSB_8equal_toIvEES6_EE10hipError_tPvRmT2_T3_T4_T5_mT6_T7_P12ihipStream_tbENKUlT_T0_E_clISt17integral_constantIbLb0EES12_IbLb1EEEEDaSY_SZ_EUlSY_E_NS1_11comp_targetILNS1_3genE3ELNS1_11target_archE908ELNS1_3gpuE7ELNS1_3repE0EEENS1_30default_config_static_selectorELNS0_4arch9wavefront6targetE0EEEvT1_
                                        ; -- End function
	.set _ZN7rocprim17ROCPRIM_400000_NS6detail17trampoline_kernelINS0_14default_configENS1_27scan_by_key_config_selectorIj11FixedVectorIiLj1EEEEZZNS1_16scan_by_key_implILNS1_25lookback_scan_determinismE0ELb0ES3_N6thrust23THRUST_200600_302600_NS6detail15normal_iteratorINSB_10device_ptrIjEEEENSD_INSE_IS6_EEEESI_S6_NSB_4plusIvEENSB_8equal_toIvEES6_EE10hipError_tPvRmT2_T3_T4_T5_mT6_T7_P12ihipStream_tbENKUlT_T0_E_clISt17integral_constantIbLb0EES12_IbLb1EEEEDaSY_SZ_EUlSY_E_NS1_11comp_targetILNS1_3genE3ELNS1_11target_archE908ELNS1_3gpuE7ELNS1_3repE0EEENS1_30default_config_static_selectorELNS0_4arch9wavefront6targetE0EEEvT1_.num_vgpr, 0
	.set _ZN7rocprim17ROCPRIM_400000_NS6detail17trampoline_kernelINS0_14default_configENS1_27scan_by_key_config_selectorIj11FixedVectorIiLj1EEEEZZNS1_16scan_by_key_implILNS1_25lookback_scan_determinismE0ELb0ES3_N6thrust23THRUST_200600_302600_NS6detail15normal_iteratorINSB_10device_ptrIjEEEENSD_INSE_IS6_EEEESI_S6_NSB_4plusIvEENSB_8equal_toIvEES6_EE10hipError_tPvRmT2_T3_T4_T5_mT6_T7_P12ihipStream_tbENKUlT_T0_E_clISt17integral_constantIbLb0EES12_IbLb1EEEEDaSY_SZ_EUlSY_E_NS1_11comp_targetILNS1_3genE3ELNS1_11target_archE908ELNS1_3gpuE7ELNS1_3repE0EEENS1_30default_config_static_selectorELNS0_4arch9wavefront6targetE0EEEvT1_.num_agpr, 0
	.set _ZN7rocprim17ROCPRIM_400000_NS6detail17trampoline_kernelINS0_14default_configENS1_27scan_by_key_config_selectorIj11FixedVectorIiLj1EEEEZZNS1_16scan_by_key_implILNS1_25lookback_scan_determinismE0ELb0ES3_N6thrust23THRUST_200600_302600_NS6detail15normal_iteratorINSB_10device_ptrIjEEEENSD_INSE_IS6_EEEESI_S6_NSB_4plusIvEENSB_8equal_toIvEES6_EE10hipError_tPvRmT2_T3_T4_T5_mT6_T7_P12ihipStream_tbENKUlT_T0_E_clISt17integral_constantIbLb0EES12_IbLb1EEEEDaSY_SZ_EUlSY_E_NS1_11comp_targetILNS1_3genE3ELNS1_11target_archE908ELNS1_3gpuE7ELNS1_3repE0EEENS1_30default_config_static_selectorELNS0_4arch9wavefront6targetE0EEEvT1_.numbered_sgpr, 0
	.set _ZN7rocprim17ROCPRIM_400000_NS6detail17trampoline_kernelINS0_14default_configENS1_27scan_by_key_config_selectorIj11FixedVectorIiLj1EEEEZZNS1_16scan_by_key_implILNS1_25lookback_scan_determinismE0ELb0ES3_N6thrust23THRUST_200600_302600_NS6detail15normal_iteratorINSB_10device_ptrIjEEEENSD_INSE_IS6_EEEESI_S6_NSB_4plusIvEENSB_8equal_toIvEES6_EE10hipError_tPvRmT2_T3_T4_T5_mT6_T7_P12ihipStream_tbENKUlT_T0_E_clISt17integral_constantIbLb0EES12_IbLb1EEEEDaSY_SZ_EUlSY_E_NS1_11comp_targetILNS1_3genE3ELNS1_11target_archE908ELNS1_3gpuE7ELNS1_3repE0EEENS1_30default_config_static_selectorELNS0_4arch9wavefront6targetE0EEEvT1_.num_named_barrier, 0
	.set _ZN7rocprim17ROCPRIM_400000_NS6detail17trampoline_kernelINS0_14default_configENS1_27scan_by_key_config_selectorIj11FixedVectorIiLj1EEEEZZNS1_16scan_by_key_implILNS1_25lookback_scan_determinismE0ELb0ES3_N6thrust23THRUST_200600_302600_NS6detail15normal_iteratorINSB_10device_ptrIjEEEENSD_INSE_IS6_EEEESI_S6_NSB_4plusIvEENSB_8equal_toIvEES6_EE10hipError_tPvRmT2_T3_T4_T5_mT6_T7_P12ihipStream_tbENKUlT_T0_E_clISt17integral_constantIbLb0EES12_IbLb1EEEEDaSY_SZ_EUlSY_E_NS1_11comp_targetILNS1_3genE3ELNS1_11target_archE908ELNS1_3gpuE7ELNS1_3repE0EEENS1_30default_config_static_selectorELNS0_4arch9wavefront6targetE0EEEvT1_.private_seg_size, 0
	.set _ZN7rocprim17ROCPRIM_400000_NS6detail17trampoline_kernelINS0_14default_configENS1_27scan_by_key_config_selectorIj11FixedVectorIiLj1EEEEZZNS1_16scan_by_key_implILNS1_25lookback_scan_determinismE0ELb0ES3_N6thrust23THRUST_200600_302600_NS6detail15normal_iteratorINSB_10device_ptrIjEEEENSD_INSE_IS6_EEEESI_S6_NSB_4plusIvEENSB_8equal_toIvEES6_EE10hipError_tPvRmT2_T3_T4_T5_mT6_T7_P12ihipStream_tbENKUlT_T0_E_clISt17integral_constantIbLb0EES12_IbLb1EEEEDaSY_SZ_EUlSY_E_NS1_11comp_targetILNS1_3genE3ELNS1_11target_archE908ELNS1_3gpuE7ELNS1_3repE0EEENS1_30default_config_static_selectorELNS0_4arch9wavefront6targetE0EEEvT1_.uses_vcc, 0
	.set _ZN7rocprim17ROCPRIM_400000_NS6detail17trampoline_kernelINS0_14default_configENS1_27scan_by_key_config_selectorIj11FixedVectorIiLj1EEEEZZNS1_16scan_by_key_implILNS1_25lookback_scan_determinismE0ELb0ES3_N6thrust23THRUST_200600_302600_NS6detail15normal_iteratorINSB_10device_ptrIjEEEENSD_INSE_IS6_EEEESI_S6_NSB_4plusIvEENSB_8equal_toIvEES6_EE10hipError_tPvRmT2_T3_T4_T5_mT6_T7_P12ihipStream_tbENKUlT_T0_E_clISt17integral_constantIbLb0EES12_IbLb1EEEEDaSY_SZ_EUlSY_E_NS1_11comp_targetILNS1_3genE3ELNS1_11target_archE908ELNS1_3gpuE7ELNS1_3repE0EEENS1_30default_config_static_selectorELNS0_4arch9wavefront6targetE0EEEvT1_.uses_flat_scratch, 0
	.set _ZN7rocprim17ROCPRIM_400000_NS6detail17trampoline_kernelINS0_14default_configENS1_27scan_by_key_config_selectorIj11FixedVectorIiLj1EEEEZZNS1_16scan_by_key_implILNS1_25lookback_scan_determinismE0ELb0ES3_N6thrust23THRUST_200600_302600_NS6detail15normal_iteratorINSB_10device_ptrIjEEEENSD_INSE_IS6_EEEESI_S6_NSB_4plusIvEENSB_8equal_toIvEES6_EE10hipError_tPvRmT2_T3_T4_T5_mT6_T7_P12ihipStream_tbENKUlT_T0_E_clISt17integral_constantIbLb0EES12_IbLb1EEEEDaSY_SZ_EUlSY_E_NS1_11comp_targetILNS1_3genE3ELNS1_11target_archE908ELNS1_3gpuE7ELNS1_3repE0EEENS1_30default_config_static_selectorELNS0_4arch9wavefront6targetE0EEEvT1_.has_dyn_sized_stack, 0
	.set _ZN7rocprim17ROCPRIM_400000_NS6detail17trampoline_kernelINS0_14default_configENS1_27scan_by_key_config_selectorIj11FixedVectorIiLj1EEEEZZNS1_16scan_by_key_implILNS1_25lookback_scan_determinismE0ELb0ES3_N6thrust23THRUST_200600_302600_NS6detail15normal_iteratorINSB_10device_ptrIjEEEENSD_INSE_IS6_EEEESI_S6_NSB_4plusIvEENSB_8equal_toIvEES6_EE10hipError_tPvRmT2_T3_T4_T5_mT6_T7_P12ihipStream_tbENKUlT_T0_E_clISt17integral_constantIbLb0EES12_IbLb1EEEEDaSY_SZ_EUlSY_E_NS1_11comp_targetILNS1_3genE3ELNS1_11target_archE908ELNS1_3gpuE7ELNS1_3repE0EEENS1_30default_config_static_selectorELNS0_4arch9wavefront6targetE0EEEvT1_.has_recursion, 0
	.set _ZN7rocprim17ROCPRIM_400000_NS6detail17trampoline_kernelINS0_14default_configENS1_27scan_by_key_config_selectorIj11FixedVectorIiLj1EEEEZZNS1_16scan_by_key_implILNS1_25lookback_scan_determinismE0ELb0ES3_N6thrust23THRUST_200600_302600_NS6detail15normal_iteratorINSB_10device_ptrIjEEEENSD_INSE_IS6_EEEESI_S6_NSB_4plusIvEENSB_8equal_toIvEES6_EE10hipError_tPvRmT2_T3_T4_T5_mT6_T7_P12ihipStream_tbENKUlT_T0_E_clISt17integral_constantIbLb0EES12_IbLb1EEEEDaSY_SZ_EUlSY_E_NS1_11comp_targetILNS1_3genE3ELNS1_11target_archE908ELNS1_3gpuE7ELNS1_3repE0EEENS1_30default_config_static_selectorELNS0_4arch9wavefront6targetE0EEEvT1_.has_indirect_call, 0
	.section	.AMDGPU.csdata,"",@progbits
; Kernel info:
; codeLenInByte = 0
; TotalNumSgprs: 0
; NumVgprs: 0
; ScratchSize: 0
; MemoryBound: 0
; FloatMode: 240
; IeeeMode: 1
; LDSByteSize: 0 bytes/workgroup (compile time only)
; SGPRBlocks: 0
; VGPRBlocks: 0
; NumSGPRsForWavesPerEU: 1
; NumVGPRsForWavesPerEU: 1
; NamedBarCnt: 0
; Occupancy: 16
; WaveLimiterHint : 0
; COMPUTE_PGM_RSRC2:SCRATCH_EN: 0
; COMPUTE_PGM_RSRC2:USER_SGPR: 2
; COMPUTE_PGM_RSRC2:TRAP_HANDLER: 0
; COMPUTE_PGM_RSRC2:TGID_X_EN: 1
; COMPUTE_PGM_RSRC2:TGID_Y_EN: 0
; COMPUTE_PGM_RSRC2:TGID_Z_EN: 0
; COMPUTE_PGM_RSRC2:TIDIG_COMP_CNT: 0
	.section	.text._ZN7rocprim17ROCPRIM_400000_NS6detail17trampoline_kernelINS0_14default_configENS1_27scan_by_key_config_selectorIj11FixedVectorIiLj1EEEEZZNS1_16scan_by_key_implILNS1_25lookback_scan_determinismE0ELb0ES3_N6thrust23THRUST_200600_302600_NS6detail15normal_iteratorINSB_10device_ptrIjEEEENSD_INSE_IS6_EEEESI_S6_NSB_4plusIvEENSB_8equal_toIvEES6_EE10hipError_tPvRmT2_T3_T4_T5_mT6_T7_P12ihipStream_tbENKUlT_T0_E_clISt17integral_constantIbLb0EES12_IbLb1EEEEDaSY_SZ_EUlSY_E_NS1_11comp_targetILNS1_3genE2ELNS1_11target_archE906ELNS1_3gpuE6ELNS1_3repE0EEENS1_30default_config_static_selectorELNS0_4arch9wavefront6targetE0EEEvT1_,"axG",@progbits,_ZN7rocprim17ROCPRIM_400000_NS6detail17trampoline_kernelINS0_14default_configENS1_27scan_by_key_config_selectorIj11FixedVectorIiLj1EEEEZZNS1_16scan_by_key_implILNS1_25lookback_scan_determinismE0ELb0ES3_N6thrust23THRUST_200600_302600_NS6detail15normal_iteratorINSB_10device_ptrIjEEEENSD_INSE_IS6_EEEESI_S6_NSB_4plusIvEENSB_8equal_toIvEES6_EE10hipError_tPvRmT2_T3_T4_T5_mT6_T7_P12ihipStream_tbENKUlT_T0_E_clISt17integral_constantIbLb0EES12_IbLb1EEEEDaSY_SZ_EUlSY_E_NS1_11comp_targetILNS1_3genE2ELNS1_11target_archE906ELNS1_3gpuE6ELNS1_3repE0EEENS1_30default_config_static_selectorELNS0_4arch9wavefront6targetE0EEEvT1_,comdat
	.protected	_ZN7rocprim17ROCPRIM_400000_NS6detail17trampoline_kernelINS0_14default_configENS1_27scan_by_key_config_selectorIj11FixedVectorIiLj1EEEEZZNS1_16scan_by_key_implILNS1_25lookback_scan_determinismE0ELb0ES3_N6thrust23THRUST_200600_302600_NS6detail15normal_iteratorINSB_10device_ptrIjEEEENSD_INSE_IS6_EEEESI_S6_NSB_4plusIvEENSB_8equal_toIvEES6_EE10hipError_tPvRmT2_T3_T4_T5_mT6_T7_P12ihipStream_tbENKUlT_T0_E_clISt17integral_constantIbLb0EES12_IbLb1EEEEDaSY_SZ_EUlSY_E_NS1_11comp_targetILNS1_3genE2ELNS1_11target_archE906ELNS1_3gpuE6ELNS1_3repE0EEENS1_30default_config_static_selectorELNS0_4arch9wavefront6targetE0EEEvT1_ ; -- Begin function _ZN7rocprim17ROCPRIM_400000_NS6detail17trampoline_kernelINS0_14default_configENS1_27scan_by_key_config_selectorIj11FixedVectorIiLj1EEEEZZNS1_16scan_by_key_implILNS1_25lookback_scan_determinismE0ELb0ES3_N6thrust23THRUST_200600_302600_NS6detail15normal_iteratorINSB_10device_ptrIjEEEENSD_INSE_IS6_EEEESI_S6_NSB_4plusIvEENSB_8equal_toIvEES6_EE10hipError_tPvRmT2_T3_T4_T5_mT6_T7_P12ihipStream_tbENKUlT_T0_E_clISt17integral_constantIbLb0EES12_IbLb1EEEEDaSY_SZ_EUlSY_E_NS1_11comp_targetILNS1_3genE2ELNS1_11target_archE906ELNS1_3gpuE6ELNS1_3repE0EEENS1_30default_config_static_selectorELNS0_4arch9wavefront6targetE0EEEvT1_
	.globl	_ZN7rocprim17ROCPRIM_400000_NS6detail17trampoline_kernelINS0_14default_configENS1_27scan_by_key_config_selectorIj11FixedVectorIiLj1EEEEZZNS1_16scan_by_key_implILNS1_25lookback_scan_determinismE0ELb0ES3_N6thrust23THRUST_200600_302600_NS6detail15normal_iteratorINSB_10device_ptrIjEEEENSD_INSE_IS6_EEEESI_S6_NSB_4plusIvEENSB_8equal_toIvEES6_EE10hipError_tPvRmT2_T3_T4_T5_mT6_T7_P12ihipStream_tbENKUlT_T0_E_clISt17integral_constantIbLb0EES12_IbLb1EEEEDaSY_SZ_EUlSY_E_NS1_11comp_targetILNS1_3genE2ELNS1_11target_archE906ELNS1_3gpuE6ELNS1_3repE0EEENS1_30default_config_static_selectorELNS0_4arch9wavefront6targetE0EEEvT1_
	.p2align	8
	.type	_ZN7rocprim17ROCPRIM_400000_NS6detail17trampoline_kernelINS0_14default_configENS1_27scan_by_key_config_selectorIj11FixedVectorIiLj1EEEEZZNS1_16scan_by_key_implILNS1_25lookback_scan_determinismE0ELb0ES3_N6thrust23THRUST_200600_302600_NS6detail15normal_iteratorINSB_10device_ptrIjEEEENSD_INSE_IS6_EEEESI_S6_NSB_4plusIvEENSB_8equal_toIvEES6_EE10hipError_tPvRmT2_T3_T4_T5_mT6_T7_P12ihipStream_tbENKUlT_T0_E_clISt17integral_constantIbLb0EES12_IbLb1EEEEDaSY_SZ_EUlSY_E_NS1_11comp_targetILNS1_3genE2ELNS1_11target_archE906ELNS1_3gpuE6ELNS1_3repE0EEENS1_30default_config_static_selectorELNS0_4arch9wavefront6targetE0EEEvT1_,@function
_ZN7rocprim17ROCPRIM_400000_NS6detail17trampoline_kernelINS0_14default_configENS1_27scan_by_key_config_selectorIj11FixedVectorIiLj1EEEEZZNS1_16scan_by_key_implILNS1_25lookback_scan_determinismE0ELb0ES3_N6thrust23THRUST_200600_302600_NS6detail15normal_iteratorINSB_10device_ptrIjEEEENSD_INSE_IS6_EEEESI_S6_NSB_4plusIvEENSB_8equal_toIvEES6_EE10hipError_tPvRmT2_T3_T4_T5_mT6_T7_P12ihipStream_tbENKUlT_T0_E_clISt17integral_constantIbLb0EES12_IbLb1EEEEDaSY_SZ_EUlSY_E_NS1_11comp_targetILNS1_3genE2ELNS1_11target_archE906ELNS1_3gpuE6ELNS1_3repE0EEENS1_30default_config_static_selectorELNS0_4arch9wavefront6targetE0EEEvT1_: ; @_ZN7rocprim17ROCPRIM_400000_NS6detail17trampoline_kernelINS0_14default_configENS1_27scan_by_key_config_selectorIj11FixedVectorIiLj1EEEEZZNS1_16scan_by_key_implILNS1_25lookback_scan_determinismE0ELb0ES3_N6thrust23THRUST_200600_302600_NS6detail15normal_iteratorINSB_10device_ptrIjEEEENSD_INSE_IS6_EEEESI_S6_NSB_4plusIvEENSB_8equal_toIvEES6_EE10hipError_tPvRmT2_T3_T4_T5_mT6_T7_P12ihipStream_tbENKUlT_T0_E_clISt17integral_constantIbLb0EES12_IbLb1EEEEDaSY_SZ_EUlSY_E_NS1_11comp_targetILNS1_3genE2ELNS1_11target_archE906ELNS1_3gpuE6ELNS1_3repE0EEENS1_30default_config_static_selectorELNS0_4arch9wavefront6targetE0EEEvT1_
; %bb.0:
	.section	.rodata,"a",@progbits
	.p2align	6, 0x0
	.amdhsa_kernel _ZN7rocprim17ROCPRIM_400000_NS6detail17trampoline_kernelINS0_14default_configENS1_27scan_by_key_config_selectorIj11FixedVectorIiLj1EEEEZZNS1_16scan_by_key_implILNS1_25lookback_scan_determinismE0ELb0ES3_N6thrust23THRUST_200600_302600_NS6detail15normal_iteratorINSB_10device_ptrIjEEEENSD_INSE_IS6_EEEESI_S6_NSB_4plusIvEENSB_8equal_toIvEES6_EE10hipError_tPvRmT2_T3_T4_T5_mT6_T7_P12ihipStream_tbENKUlT_T0_E_clISt17integral_constantIbLb0EES12_IbLb1EEEEDaSY_SZ_EUlSY_E_NS1_11comp_targetILNS1_3genE2ELNS1_11target_archE906ELNS1_3gpuE6ELNS1_3repE0EEENS1_30default_config_static_selectorELNS0_4arch9wavefront6targetE0EEEvT1_
		.amdhsa_group_segment_fixed_size 0
		.amdhsa_private_segment_fixed_size 0
		.amdhsa_kernarg_size 112
		.amdhsa_user_sgpr_count 2
		.amdhsa_user_sgpr_dispatch_ptr 0
		.amdhsa_user_sgpr_queue_ptr 0
		.amdhsa_user_sgpr_kernarg_segment_ptr 1
		.amdhsa_user_sgpr_dispatch_id 0
		.amdhsa_user_sgpr_kernarg_preload_length 0
		.amdhsa_user_sgpr_kernarg_preload_offset 0
		.amdhsa_user_sgpr_private_segment_size 0
		.amdhsa_wavefront_size32 1
		.amdhsa_uses_dynamic_stack 0
		.amdhsa_enable_private_segment 0
		.amdhsa_system_sgpr_workgroup_id_x 1
		.amdhsa_system_sgpr_workgroup_id_y 0
		.amdhsa_system_sgpr_workgroup_id_z 0
		.amdhsa_system_sgpr_workgroup_info 0
		.amdhsa_system_vgpr_workitem_id 0
		.amdhsa_next_free_vgpr 1
		.amdhsa_next_free_sgpr 1
		.amdhsa_named_barrier_count 0
		.amdhsa_reserve_vcc 0
		.amdhsa_float_round_mode_32 0
		.amdhsa_float_round_mode_16_64 0
		.amdhsa_float_denorm_mode_32 3
		.amdhsa_float_denorm_mode_16_64 3
		.amdhsa_fp16_overflow 0
		.amdhsa_memory_ordered 1
		.amdhsa_forward_progress 1
		.amdhsa_inst_pref_size 0
		.amdhsa_round_robin_scheduling 0
		.amdhsa_exception_fp_ieee_invalid_op 0
		.amdhsa_exception_fp_denorm_src 0
		.amdhsa_exception_fp_ieee_div_zero 0
		.amdhsa_exception_fp_ieee_overflow 0
		.amdhsa_exception_fp_ieee_underflow 0
		.amdhsa_exception_fp_ieee_inexact 0
		.amdhsa_exception_int_div_zero 0
	.end_amdhsa_kernel
	.section	.text._ZN7rocprim17ROCPRIM_400000_NS6detail17trampoline_kernelINS0_14default_configENS1_27scan_by_key_config_selectorIj11FixedVectorIiLj1EEEEZZNS1_16scan_by_key_implILNS1_25lookback_scan_determinismE0ELb0ES3_N6thrust23THRUST_200600_302600_NS6detail15normal_iteratorINSB_10device_ptrIjEEEENSD_INSE_IS6_EEEESI_S6_NSB_4plusIvEENSB_8equal_toIvEES6_EE10hipError_tPvRmT2_T3_T4_T5_mT6_T7_P12ihipStream_tbENKUlT_T0_E_clISt17integral_constantIbLb0EES12_IbLb1EEEEDaSY_SZ_EUlSY_E_NS1_11comp_targetILNS1_3genE2ELNS1_11target_archE906ELNS1_3gpuE6ELNS1_3repE0EEENS1_30default_config_static_selectorELNS0_4arch9wavefront6targetE0EEEvT1_,"axG",@progbits,_ZN7rocprim17ROCPRIM_400000_NS6detail17trampoline_kernelINS0_14default_configENS1_27scan_by_key_config_selectorIj11FixedVectorIiLj1EEEEZZNS1_16scan_by_key_implILNS1_25lookback_scan_determinismE0ELb0ES3_N6thrust23THRUST_200600_302600_NS6detail15normal_iteratorINSB_10device_ptrIjEEEENSD_INSE_IS6_EEEESI_S6_NSB_4plusIvEENSB_8equal_toIvEES6_EE10hipError_tPvRmT2_T3_T4_T5_mT6_T7_P12ihipStream_tbENKUlT_T0_E_clISt17integral_constantIbLb0EES12_IbLb1EEEEDaSY_SZ_EUlSY_E_NS1_11comp_targetILNS1_3genE2ELNS1_11target_archE906ELNS1_3gpuE6ELNS1_3repE0EEENS1_30default_config_static_selectorELNS0_4arch9wavefront6targetE0EEEvT1_,comdat
.Lfunc_end1907:
	.size	_ZN7rocprim17ROCPRIM_400000_NS6detail17trampoline_kernelINS0_14default_configENS1_27scan_by_key_config_selectorIj11FixedVectorIiLj1EEEEZZNS1_16scan_by_key_implILNS1_25lookback_scan_determinismE0ELb0ES3_N6thrust23THRUST_200600_302600_NS6detail15normal_iteratorINSB_10device_ptrIjEEEENSD_INSE_IS6_EEEESI_S6_NSB_4plusIvEENSB_8equal_toIvEES6_EE10hipError_tPvRmT2_T3_T4_T5_mT6_T7_P12ihipStream_tbENKUlT_T0_E_clISt17integral_constantIbLb0EES12_IbLb1EEEEDaSY_SZ_EUlSY_E_NS1_11comp_targetILNS1_3genE2ELNS1_11target_archE906ELNS1_3gpuE6ELNS1_3repE0EEENS1_30default_config_static_selectorELNS0_4arch9wavefront6targetE0EEEvT1_, .Lfunc_end1907-_ZN7rocprim17ROCPRIM_400000_NS6detail17trampoline_kernelINS0_14default_configENS1_27scan_by_key_config_selectorIj11FixedVectorIiLj1EEEEZZNS1_16scan_by_key_implILNS1_25lookback_scan_determinismE0ELb0ES3_N6thrust23THRUST_200600_302600_NS6detail15normal_iteratorINSB_10device_ptrIjEEEENSD_INSE_IS6_EEEESI_S6_NSB_4plusIvEENSB_8equal_toIvEES6_EE10hipError_tPvRmT2_T3_T4_T5_mT6_T7_P12ihipStream_tbENKUlT_T0_E_clISt17integral_constantIbLb0EES12_IbLb1EEEEDaSY_SZ_EUlSY_E_NS1_11comp_targetILNS1_3genE2ELNS1_11target_archE906ELNS1_3gpuE6ELNS1_3repE0EEENS1_30default_config_static_selectorELNS0_4arch9wavefront6targetE0EEEvT1_
                                        ; -- End function
	.set _ZN7rocprim17ROCPRIM_400000_NS6detail17trampoline_kernelINS0_14default_configENS1_27scan_by_key_config_selectorIj11FixedVectorIiLj1EEEEZZNS1_16scan_by_key_implILNS1_25lookback_scan_determinismE0ELb0ES3_N6thrust23THRUST_200600_302600_NS6detail15normal_iteratorINSB_10device_ptrIjEEEENSD_INSE_IS6_EEEESI_S6_NSB_4plusIvEENSB_8equal_toIvEES6_EE10hipError_tPvRmT2_T3_T4_T5_mT6_T7_P12ihipStream_tbENKUlT_T0_E_clISt17integral_constantIbLb0EES12_IbLb1EEEEDaSY_SZ_EUlSY_E_NS1_11comp_targetILNS1_3genE2ELNS1_11target_archE906ELNS1_3gpuE6ELNS1_3repE0EEENS1_30default_config_static_selectorELNS0_4arch9wavefront6targetE0EEEvT1_.num_vgpr, 0
	.set _ZN7rocprim17ROCPRIM_400000_NS6detail17trampoline_kernelINS0_14default_configENS1_27scan_by_key_config_selectorIj11FixedVectorIiLj1EEEEZZNS1_16scan_by_key_implILNS1_25lookback_scan_determinismE0ELb0ES3_N6thrust23THRUST_200600_302600_NS6detail15normal_iteratorINSB_10device_ptrIjEEEENSD_INSE_IS6_EEEESI_S6_NSB_4plusIvEENSB_8equal_toIvEES6_EE10hipError_tPvRmT2_T3_T4_T5_mT6_T7_P12ihipStream_tbENKUlT_T0_E_clISt17integral_constantIbLb0EES12_IbLb1EEEEDaSY_SZ_EUlSY_E_NS1_11comp_targetILNS1_3genE2ELNS1_11target_archE906ELNS1_3gpuE6ELNS1_3repE0EEENS1_30default_config_static_selectorELNS0_4arch9wavefront6targetE0EEEvT1_.num_agpr, 0
	.set _ZN7rocprim17ROCPRIM_400000_NS6detail17trampoline_kernelINS0_14default_configENS1_27scan_by_key_config_selectorIj11FixedVectorIiLj1EEEEZZNS1_16scan_by_key_implILNS1_25lookback_scan_determinismE0ELb0ES3_N6thrust23THRUST_200600_302600_NS6detail15normal_iteratorINSB_10device_ptrIjEEEENSD_INSE_IS6_EEEESI_S6_NSB_4plusIvEENSB_8equal_toIvEES6_EE10hipError_tPvRmT2_T3_T4_T5_mT6_T7_P12ihipStream_tbENKUlT_T0_E_clISt17integral_constantIbLb0EES12_IbLb1EEEEDaSY_SZ_EUlSY_E_NS1_11comp_targetILNS1_3genE2ELNS1_11target_archE906ELNS1_3gpuE6ELNS1_3repE0EEENS1_30default_config_static_selectorELNS0_4arch9wavefront6targetE0EEEvT1_.numbered_sgpr, 0
	.set _ZN7rocprim17ROCPRIM_400000_NS6detail17trampoline_kernelINS0_14default_configENS1_27scan_by_key_config_selectorIj11FixedVectorIiLj1EEEEZZNS1_16scan_by_key_implILNS1_25lookback_scan_determinismE0ELb0ES3_N6thrust23THRUST_200600_302600_NS6detail15normal_iteratorINSB_10device_ptrIjEEEENSD_INSE_IS6_EEEESI_S6_NSB_4plusIvEENSB_8equal_toIvEES6_EE10hipError_tPvRmT2_T3_T4_T5_mT6_T7_P12ihipStream_tbENKUlT_T0_E_clISt17integral_constantIbLb0EES12_IbLb1EEEEDaSY_SZ_EUlSY_E_NS1_11comp_targetILNS1_3genE2ELNS1_11target_archE906ELNS1_3gpuE6ELNS1_3repE0EEENS1_30default_config_static_selectorELNS0_4arch9wavefront6targetE0EEEvT1_.num_named_barrier, 0
	.set _ZN7rocprim17ROCPRIM_400000_NS6detail17trampoline_kernelINS0_14default_configENS1_27scan_by_key_config_selectorIj11FixedVectorIiLj1EEEEZZNS1_16scan_by_key_implILNS1_25lookback_scan_determinismE0ELb0ES3_N6thrust23THRUST_200600_302600_NS6detail15normal_iteratorINSB_10device_ptrIjEEEENSD_INSE_IS6_EEEESI_S6_NSB_4plusIvEENSB_8equal_toIvEES6_EE10hipError_tPvRmT2_T3_T4_T5_mT6_T7_P12ihipStream_tbENKUlT_T0_E_clISt17integral_constantIbLb0EES12_IbLb1EEEEDaSY_SZ_EUlSY_E_NS1_11comp_targetILNS1_3genE2ELNS1_11target_archE906ELNS1_3gpuE6ELNS1_3repE0EEENS1_30default_config_static_selectorELNS0_4arch9wavefront6targetE0EEEvT1_.private_seg_size, 0
	.set _ZN7rocprim17ROCPRIM_400000_NS6detail17trampoline_kernelINS0_14default_configENS1_27scan_by_key_config_selectorIj11FixedVectorIiLj1EEEEZZNS1_16scan_by_key_implILNS1_25lookback_scan_determinismE0ELb0ES3_N6thrust23THRUST_200600_302600_NS6detail15normal_iteratorINSB_10device_ptrIjEEEENSD_INSE_IS6_EEEESI_S6_NSB_4plusIvEENSB_8equal_toIvEES6_EE10hipError_tPvRmT2_T3_T4_T5_mT6_T7_P12ihipStream_tbENKUlT_T0_E_clISt17integral_constantIbLb0EES12_IbLb1EEEEDaSY_SZ_EUlSY_E_NS1_11comp_targetILNS1_3genE2ELNS1_11target_archE906ELNS1_3gpuE6ELNS1_3repE0EEENS1_30default_config_static_selectorELNS0_4arch9wavefront6targetE0EEEvT1_.uses_vcc, 0
	.set _ZN7rocprim17ROCPRIM_400000_NS6detail17trampoline_kernelINS0_14default_configENS1_27scan_by_key_config_selectorIj11FixedVectorIiLj1EEEEZZNS1_16scan_by_key_implILNS1_25lookback_scan_determinismE0ELb0ES3_N6thrust23THRUST_200600_302600_NS6detail15normal_iteratorINSB_10device_ptrIjEEEENSD_INSE_IS6_EEEESI_S6_NSB_4plusIvEENSB_8equal_toIvEES6_EE10hipError_tPvRmT2_T3_T4_T5_mT6_T7_P12ihipStream_tbENKUlT_T0_E_clISt17integral_constantIbLb0EES12_IbLb1EEEEDaSY_SZ_EUlSY_E_NS1_11comp_targetILNS1_3genE2ELNS1_11target_archE906ELNS1_3gpuE6ELNS1_3repE0EEENS1_30default_config_static_selectorELNS0_4arch9wavefront6targetE0EEEvT1_.uses_flat_scratch, 0
	.set _ZN7rocprim17ROCPRIM_400000_NS6detail17trampoline_kernelINS0_14default_configENS1_27scan_by_key_config_selectorIj11FixedVectorIiLj1EEEEZZNS1_16scan_by_key_implILNS1_25lookback_scan_determinismE0ELb0ES3_N6thrust23THRUST_200600_302600_NS6detail15normal_iteratorINSB_10device_ptrIjEEEENSD_INSE_IS6_EEEESI_S6_NSB_4plusIvEENSB_8equal_toIvEES6_EE10hipError_tPvRmT2_T3_T4_T5_mT6_T7_P12ihipStream_tbENKUlT_T0_E_clISt17integral_constantIbLb0EES12_IbLb1EEEEDaSY_SZ_EUlSY_E_NS1_11comp_targetILNS1_3genE2ELNS1_11target_archE906ELNS1_3gpuE6ELNS1_3repE0EEENS1_30default_config_static_selectorELNS0_4arch9wavefront6targetE0EEEvT1_.has_dyn_sized_stack, 0
	.set _ZN7rocprim17ROCPRIM_400000_NS6detail17trampoline_kernelINS0_14default_configENS1_27scan_by_key_config_selectorIj11FixedVectorIiLj1EEEEZZNS1_16scan_by_key_implILNS1_25lookback_scan_determinismE0ELb0ES3_N6thrust23THRUST_200600_302600_NS6detail15normal_iteratorINSB_10device_ptrIjEEEENSD_INSE_IS6_EEEESI_S6_NSB_4plusIvEENSB_8equal_toIvEES6_EE10hipError_tPvRmT2_T3_T4_T5_mT6_T7_P12ihipStream_tbENKUlT_T0_E_clISt17integral_constantIbLb0EES12_IbLb1EEEEDaSY_SZ_EUlSY_E_NS1_11comp_targetILNS1_3genE2ELNS1_11target_archE906ELNS1_3gpuE6ELNS1_3repE0EEENS1_30default_config_static_selectorELNS0_4arch9wavefront6targetE0EEEvT1_.has_recursion, 0
	.set _ZN7rocprim17ROCPRIM_400000_NS6detail17trampoline_kernelINS0_14default_configENS1_27scan_by_key_config_selectorIj11FixedVectorIiLj1EEEEZZNS1_16scan_by_key_implILNS1_25lookback_scan_determinismE0ELb0ES3_N6thrust23THRUST_200600_302600_NS6detail15normal_iteratorINSB_10device_ptrIjEEEENSD_INSE_IS6_EEEESI_S6_NSB_4plusIvEENSB_8equal_toIvEES6_EE10hipError_tPvRmT2_T3_T4_T5_mT6_T7_P12ihipStream_tbENKUlT_T0_E_clISt17integral_constantIbLb0EES12_IbLb1EEEEDaSY_SZ_EUlSY_E_NS1_11comp_targetILNS1_3genE2ELNS1_11target_archE906ELNS1_3gpuE6ELNS1_3repE0EEENS1_30default_config_static_selectorELNS0_4arch9wavefront6targetE0EEEvT1_.has_indirect_call, 0
	.section	.AMDGPU.csdata,"",@progbits
; Kernel info:
; codeLenInByte = 0
; TotalNumSgprs: 0
; NumVgprs: 0
; ScratchSize: 0
; MemoryBound: 0
; FloatMode: 240
; IeeeMode: 1
; LDSByteSize: 0 bytes/workgroup (compile time only)
; SGPRBlocks: 0
; VGPRBlocks: 0
; NumSGPRsForWavesPerEU: 1
; NumVGPRsForWavesPerEU: 1
; NamedBarCnt: 0
; Occupancy: 16
; WaveLimiterHint : 0
; COMPUTE_PGM_RSRC2:SCRATCH_EN: 0
; COMPUTE_PGM_RSRC2:USER_SGPR: 2
; COMPUTE_PGM_RSRC2:TRAP_HANDLER: 0
; COMPUTE_PGM_RSRC2:TGID_X_EN: 1
; COMPUTE_PGM_RSRC2:TGID_Y_EN: 0
; COMPUTE_PGM_RSRC2:TGID_Z_EN: 0
; COMPUTE_PGM_RSRC2:TIDIG_COMP_CNT: 0
	.section	.text._ZN7rocprim17ROCPRIM_400000_NS6detail17trampoline_kernelINS0_14default_configENS1_27scan_by_key_config_selectorIj11FixedVectorIiLj1EEEEZZNS1_16scan_by_key_implILNS1_25lookback_scan_determinismE0ELb0ES3_N6thrust23THRUST_200600_302600_NS6detail15normal_iteratorINSB_10device_ptrIjEEEENSD_INSE_IS6_EEEESI_S6_NSB_4plusIvEENSB_8equal_toIvEES6_EE10hipError_tPvRmT2_T3_T4_T5_mT6_T7_P12ihipStream_tbENKUlT_T0_E_clISt17integral_constantIbLb0EES12_IbLb1EEEEDaSY_SZ_EUlSY_E_NS1_11comp_targetILNS1_3genE10ELNS1_11target_archE1200ELNS1_3gpuE4ELNS1_3repE0EEENS1_30default_config_static_selectorELNS0_4arch9wavefront6targetE0EEEvT1_,"axG",@progbits,_ZN7rocprim17ROCPRIM_400000_NS6detail17trampoline_kernelINS0_14default_configENS1_27scan_by_key_config_selectorIj11FixedVectorIiLj1EEEEZZNS1_16scan_by_key_implILNS1_25lookback_scan_determinismE0ELb0ES3_N6thrust23THRUST_200600_302600_NS6detail15normal_iteratorINSB_10device_ptrIjEEEENSD_INSE_IS6_EEEESI_S6_NSB_4plusIvEENSB_8equal_toIvEES6_EE10hipError_tPvRmT2_T3_T4_T5_mT6_T7_P12ihipStream_tbENKUlT_T0_E_clISt17integral_constantIbLb0EES12_IbLb1EEEEDaSY_SZ_EUlSY_E_NS1_11comp_targetILNS1_3genE10ELNS1_11target_archE1200ELNS1_3gpuE4ELNS1_3repE0EEENS1_30default_config_static_selectorELNS0_4arch9wavefront6targetE0EEEvT1_,comdat
	.protected	_ZN7rocprim17ROCPRIM_400000_NS6detail17trampoline_kernelINS0_14default_configENS1_27scan_by_key_config_selectorIj11FixedVectorIiLj1EEEEZZNS1_16scan_by_key_implILNS1_25lookback_scan_determinismE0ELb0ES3_N6thrust23THRUST_200600_302600_NS6detail15normal_iteratorINSB_10device_ptrIjEEEENSD_INSE_IS6_EEEESI_S6_NSB_4plusIvEENSB_8equal_toIvEES6_EE10hipError_tPvRmT2_T3_T4_T5_mT6_T7_P12ihipStream_tbENKUlT_T0_E_clISt17integral_constantIbLb0EES12_IbLb1EEEEDaSY_SZ_EUlSY_E_NS1_11comp_targetILNS1_3genE10ELNS1_11target_archE1200ELNS1_3gpuE4ELNS1_3repE0EEENS1_30default_config_static_selectorELNS0_4arch9wavefront6targetE0EEEvT1_ ; -- Begin function _ZN7rocprim17ROCPRIM_400000_NS6detail17trampoline_kernelINS0_14default_configENS1_27scan_by_key_config_selectorIj11FixedVectorIiLj1EEEEZZNS1_16scan_by_key_implILNS1_25lookback_scan_determinismE0ELb0ES3_N6thrust23THRUST_200600_302600_NS6detail15normal_iteratorINSB_10device_ptrIjEEEENSD_INSE_IS6_EEEESI_S6_NSB_4plusIvEENSB_8equal_toIvEES6_EE10hipError_tPvRmT2_T3_T4_T5_mT6_T7_P12ihipStream_tbENKUlT_T0_E_clISt17integral_constantIbLb0EES12_IbLb1EEEEDaSY_SZ_EUlSY_E_NS1_11comp_targetILNS1_3genE10ELNS1_11target_archE1200ELNS1_3gpuE4ELNS1_3repE0EEENS1_30default_config_static_selectorELNS0_4arch9wavefront6targetE0EEEvT1_
	.globl	_ZN7rocprim17ROCPRIM_400000_NS6detail17trampoline_kernelINS0_14default_configENS1_27scan_by_key_config_selectorIj11FixedVectorIiLj1EEEEZZNS1_16scan_by_key_implILNS1_25lookback_scan_determinismE0ELb0ES3_N6thrust23THRUST_200600_302600_NS6detail15normal_iteratorINSB_10device_ptrIjEEEENSD_INSE_IS6_EEEESI_S6_NSB_4plusIvEENSB_8equal_toIvEES6_EE10hipError_tPvRmT2_T3_T4_T5_mT6_T7_P12ihipStream_tbENKUlT_T0_E_clISt17integral_constantIbLb0EES12_IbLb1EEEEDaSY_SZ_EUlSY_E_NS1_11comp_targetILNS1_3genE10ELNS1_11target_archE1200ELNS1_3gpuE4ELNS1_3repE0EEENS1_30default_config_static_selectorELNS0_4arch9wavefront6targetE0EEEvT1_
	.p2align	8
	.type	_ZN7rocprim17ROCPRIM_400000_NS6detail17trampoline_kernelINS0_14default_configENS1_27scan_by_key_config_selectorIj11FixedVectorIiLj1EEEEZZNS1_16scan_by_key_implILNS1_25lookback_scan_determinismE0ELb0ES3_N6thrust23THRUST_200600_302600_NS6detail15normal_iteratorINSB_10device_ptrIjEEEENSD_INSE_IS6_EEEESI_S6_NSB_4plusIvEENSB_8equal_toIvEES6_EE10hipError_tPvRmT2_T3_T4_T5_mT6_T7_P12ihipStream_tbENKUlT_T0_E_clISt17integral_constantIbLb0EES12_IbLb1EEEEDaSY_SZ_EUlSY_E_NS1_11comp_targetILNS1_3genE10ELNS1_11target_archE1200ELNS1_3gpuE4ELNS1_3repE0EEENS1_30default_config_static_selectorELNS0_4arch9wavefront6targetE0EEEvT1_,@function
_ZN7rocprim17ROCPRIM_400000_NS6detail17trampoline_kernelINS0_14default_configENS1_27scan_by_key_config_selectorIj11FixedVectorIiLj1EEEEZZNS1_16scan_by_key_implILNS1_25lookback_scan_determinismE0ELb0ES3_N6thrust23THRUST_200600_302600_NS6detail15normal_iteratorINSB_10device_ptrIjEEEENSD_INSE_IS6_EEEESI_S6_NSB_4plusIvEENSB_8equal_toIvEES6_EE10hipError_tPvRmT2_T3_T4_T5_mT6_T7_P12ihipStream_tbENKUlT_T0_E_clISt17integral_constantIbLb0EES12_IbLb1EEEEDaSY_SZ_EUlSY_E_NS1_11comp_targetILNS1_3genE10ELNS1_11target_archE1200ELNS1_3gpuE4ELNS1_3repE0EEENS1_30default_config_static_selectorELNS0_4arch9wavefront6targetE0EEEvT1_: ; @_ZN7rocprim17ROCPRIM_400000_NS6detail17trampoline_kernelINS0_14default_configENS1_27scan_by_key_config_selectorIj11FixedVectorIiLj1EEEEZZNS1_16scan_by_key_implILNS1_25lookback_scan_determinismE0ELb0ES3_N6thrust23THRUST_200600_302600_NS6detail15normal_iteratorINSB_10device_ptrIjEEEENSD_INSE_IS6_EEEESI_S6_NSB_4plusIvEENSB_8equal_toIvEES6_EE10hipError_tPvRmT2_T3_T4_T5_mT6_T7_P12ihipStream_tbENKUlT_T0_E_clISt17integral_constantIbLb0EES12_IbLb1EEEEDaSY_SZ_EUlSY_E_NS1_11comp_targetILNS1_3genE10ELNS1_11target_archE1200ELNS1_3gpuE4ELNS1_3repE0EEENS1_30default_config_static_selectorELNS0_4arch9wavefront6targetE0EEEvT1_
; %bb.0:
	.section	.rodata,"a",@progbits
	.p2align	6, 0x0
	.amdhsa_kernel _ZN7rocprim17ROCPRIM_400000_NS6detail17trampoline_kernelINS0_14default_configENS1_27scan_by_key_config_selectorIj11FixedVectorIiLj1EEEEZZNS1_16scan_by_key_implILNS1_25lookback_scan_determinismE0ELb0ES3_N6thrust23THRUST_200600_302600_NS6detail15normal_iteratorINSB_10device_ptrIjEEEENSD_INSE_IS6_EEEESI_S6_NSB_4plusIvEENSB_8equal_toIvEES6_EE10hipError_tPvRmT2_T3_T4_T5_mT6_T7_P12ihipStream_tbENKUlT_T0_E_clISt17integral_constantIbLb0EES12_IbLb1EEEEDaSY_SZ_EUlSY_E_NS1_11comp_targetILNS1_3genE10ELNS1_11target_archE1200ELNS1_3gpuE4ELNS1_3repE0EEENS1_30default_config_static_selectorELNS0_4arch9wavefront6targetE0EEEvT1_
		.amdhsa_group_segment_fixed_size 0
		.amdhsa_private_segment_fixed_size 0
		.amdhsa_kernarg_size 112
		.amdhsa_user_sgpr_count 2
		.amdhsa_user_sgpr_dispatch_ptr 0
		.amdhsa_user_sgpr_queue_ptr 0
		.amdhsa_user_sgpr_kernarg_segment_ptr 1
		.amdhsa_user_sgpr_dispatch_id 0
		.amdhsa_user_sgpr_kernarg_preload_length 0
		.amdhsa_user_sgpr_kernarg_preload_offset 0
		.amdhsa_user_sgpr_private_segment_size 0
		.amdhsa_wavefront_size32 1
		.amdhsa_uses_dynamic_stack 0
		.amdhsa_enable_private_segment 0
		.amdhsa_system_sgpr_workgroup_id_x 1
		.amdhsa_system_sgpr_workgroup_id_y 0
		.amdhsa_system_sgpr_workgroup_id_z 0
		.amdhsa_system_sgpr_workgroup_info 0
		.amdhsa_system_vgpr_workitem_id 0
		.amdhsa_next_free_vgpr 1
		.amdhsa_next_free_sgpr 1
		.amdhsa_named_barrier_count 0
		.amdhsa_reserve_vcc 0
		.amdhsa_float_round_mode_32 0
		.amdhsa_float_round_mode_16_64 0
		.amdhsa_float_denorm_mode_32 3
		.amdhsa_float_denorm_mode_16_64 3
		.amdhsa_fp16_overflow 0
		.amdhsa_memory_ordered 1
		.amdhsa_forward_progress 1
		.amdhsa_inst_pref_size 0
		.amdhsa_round_robin_scheduling 0
		.amdhsa_exception_fp_ieee_invalid_op 0
		.amdhsa_exception_fp_denorm_src 0
		.amdhsa_exception_fp_ieee_div_zero 0
		.amdhsa_exception_fp_ieee_overflow 0
		.amdhsa_exception_fp_ieee_underflow 0
		.amdhsa_exception_fp_ieee_inexact 0
		.amdhsa_exception_int_div_zero 0
	.end_amdhsa_kernel
	.section	.text._ZN7rocprim17ROCPRIM_400000_NS6detail17trampoline_kernelINS0_14default_configENS1_27scan_by_key_config_selectorIj11FixedVectorIiLj1EEEEZZNS1_16scan_by_key_implILNS1_25lookback_scan_determinismE0ELb0ES3_N6thrust23THRUST_200600_302600_NS6detail15normal_iteratorINSB_10device_ptrIjEEEENSD_INSE_IS6_EEEESI_S6_NSB_4plusIvEENSB_8equal_toIvEES6_EE10hipError_tPvRmT2_T3_T4_T5_mT6_T7_P12ihipStream_tbENKUlT_T0_E_clISt17integral_constantIbLb0EES12_IbLb1EEEEDaSY_SZ_EUlSY_E_NS1_11comp_targetILNS1_3genE10ELNS1_11target_archE1200ELNS1_3gpuE4ELNS1_3repE0EEENS1_30default_config_static_selectorELNS0_4arch9wavefront6targetE0EEEvT1_,"axG",@progbits,_ZN7rocprim17ROCPRIM_400000_NS6detail17trampoline_kernelINS0_14default_configENS1_27scan_by_key_config_selectorIj11FixedVectorIiLj1EEEEZZNS1_16scan_by_key_implILNS1_25lookback_scan_determinismE0ELb0ES3_N6thrust23THRUST_200600_302600_NS6detail15normal_iteratorINSB_10device_ptrIjEEEENSD_INSE_IS6_EEEESI_S6_NSB_4plusIvEENSB_8equal_toIvEES6_EE10hipError_tPvRmT2_T3_T4_T5_mT6_T7_P12ihipStream_tbENKUlT_T0_E_clISt17integral_constantIbLb0EES12_IbLb1EEEEDaSY_SZ_EUlSY_E_NS1_11comp_targetILNS1_3genE10ELNS1_11target_archE1200ELNS1_3gpuE4ELNS1_3repE0EEENS1_30default_config_static_selectorELNS0_4arch9wavefront6targetE0EEEvT1_,comdat
.Lfunc_end1908:
	.size	_ZN7rocprim17ROCPRIM_400000_NS6detail17trampoline_kernelINS0_14default_configENS1_27scan_by_key_config_selectorIj11FixedVectorIiLj1EEEEZZNS1_16scan_by_key_implILNS1_25lookback_scan_determinismE0ELb0ES3_N6thrust23THRUST_200600_302600_NS6detail15normal_iteratorINSB_10device_ptrIjEEEENSD_INSE_IS6_EEEESI_S6_NSB_4plusIvEENSB_8equal_toIvEES6_EE10hipError_tPvRmT2_T3_T4_T5_mT6_T7_P12ihipStream_tbENKUlT_T0_E_clISt17integral_constantIbLb0EES12_IbLb1EEEEDaSY_SZ_EUlSY_E_NS1_11comp_targetILNS1_3genE10ELNS1_11target_archE1200ELNS1_3gpuE4ELNS1_3repE0EEENS1_30default_config_static_selectorELNS0_4arch9wavefront6targetE0EEEvT1_, .Lfunc_end1908-_ZN7rocprim17ROCPRIM_400000_NS6detail17trampoline_kernelINS0_14default_configENS1_27scan_by_key_config_selectorIj11FixedVectorIiLj1EEEEZZNS1_16scan_by_key_implILNS1_25lookback_scan_determinismE0ELb0ES3_N6thrust23THRUST_200600_302600_NS6detail15normal_iteratorINSB_10device_ptrIjEEEENSD_INSE_IS6_EEEESI_S6_NSB_4plusIvEENSB_8equal_toIvEES6_EE10hipError_tPvRmT2_T3_T4_T5_mT6_T7_P12ihipStream_tbENKUlT_T0_E_clISt17integral_constantIbLb0EES12_IbLb1EEEEDaSY_SZ_EUlSY_E_NS1_11comp_targetILNS1_3genE10ELNS1_11target_archE1200ELNS1_3gpuE4ELNS1_3repE0EEENS1_30default_config_static_selectorELNS0_4arch9wavefront6targetE0EEEvT1_
                                        ; -- End function
	.set _ZN7rocprim17ROCPRIM_400000_NS6detail17trampoline_kernelINS0_14default_configENS1_27scan_by_key_config_selectorIj11FixedVectorIiLj1EEEEZZNS1_16scan_by_key_implILNS1_25lookback_scan_determinismE0ELb0ES3_N6thrust23THRUST_200600_302600_NS6detail15normal_iteratorINSB_10device_ptrIjEEEENSD_INSE_IS6_EEEESI_S6_NSB_4plusIvEENSB_8equal_toIvEES6_EE10hipError_tPvRmT2_T3_T4_T5_mT6_T7_P12ihipStream_tbENKUlT_T0_E_clISt17integral_constantIbLb0EES12_IbLb1EEEEDaSY_SZ_EUlSY_E_NS1_11comp_targetILNS1_3genE10ELNS1_11target_archE1200ELNS1_3gpuE4ELNS1_3repE0EEENS1_30default_config_static_selectorELNS0_4arch9wavefront6targetE0EEEvT1_.num_vgpr, 0
	.set _ZN7rocprim17ROCPRIM_400000_NS6detail17trampoline_kernelINS0_14default_configENS1_27scan_by_key_config_selectorIj11FixedVectorIiLj1EEEEZZNS1_16scan_by_key_implILNS1_25lookback_scan_determinismE0ELb0ES3_N6thrust23THRUST_200600_302600_NS6detail15normal_iteratorINSB_10device_ptrIjEEEENSD_INSE_IS6_EEEESI_S6_NSB_4plusIvEENSB_8equal_toIvEES6_EE10hipError_tPvRmT2_T3_T4_T5_mT6_T7_P12ihipStream_tbENKUlT_T0_E_clISt17integral_constantIbLb0EES12_IbLb1EEEEDaSY_SZ_EUlSY_E_NS1_11comp_targetILNS1_3genE10ELNS1_11target_archE1200ELNS1_3gpuE4ELNS1_3repE0EEENS1_30default_config_static_selectorELNS0_4arch9wavefront6targetE0EEEvT1_.num_agpr, 0
	.set _ZN7rocprim17ROCPRIM_400000_NS6detail17trampoline_kernelINS0_14default_configENS1_27scan_by_key_config_selectorIj11FixedVectorIiLj1EEEEZZNS1_16scan_by_key_implILNS1_25lookback_scan_determinismE0ELb0ES3_N6thrust23THRUST_200600_302600_NS6detail15normal_iteratorINSB_10device_ptrIjEEEENSD_INSE_IS6_EEEESI_S6_NSB_4plusIvEENSB_8equal_toIvEES6_EE10hipError_tPvRmT2_T3_T4_T5_mT6_T7_P12ihipStream_tbENKUlT_T0_E_clISt17integral_constantIbLb0EES12_IbLb1EEEEDaSY_SZ_EUlSY_E_NS1_11comp_targetILNS1_3genE10ELNS1_11target_archE1200ELNS1_3gpuE4ELNS1_3repE0EEENS1_30default_config_static_selectorELNS0_4arch9wavefront6targetE0EEEvT1_.numbered_sgpr, 0
	.set _ZN7rocprim17ROCPRIM_400000_NS6detail17trampoline_kernelINS0_14default_configENS1_27scan_by_key_config_selectorIj11FixedVectorIiLj1EEEEZZNS1_16scan_by_key_implILNS1_25lookback_scan_determinismE0ELb0ES3_N6thrust23THRUST_200600_302600_NS6detail15normal_iteratorINSB_10device_ptrIjEEEENSD_INSE_IS6_EEEESI_S6_NSB_4plusIvEENSB_8equal_toIvEES6_EE10hipError_tPvRmT2_T3_T4_T5_mT6_T7_P12ihipStream_tbENKUlT_T0_E_clISt17integral_constantIbLb0EES12_IbLb1EEEEDaSY_SZ_EUlSY_E_NS1_11comp_targetILNS1_3genE10ELNS1_11target_archE1200ELNS1_3gpuE4ELNS1_3repE0EEENS1_30default_config_static_selectorELNS0_4arch9wavefront6targetE0EEEvT1_.num_named_barrier, 0
	.set _ZN7rocprim17ROCPRIM_400000_NS6detail17trampoline_kernelINS0_14default_configENS1_27scan_by_key_config_selectorIj11FixedVectorIiLj1EEEEZZNS1_16scan_by_key_implILNS1_25lookback_scan_determinismE0ELb0ES3_N6thrust23THRUST_200600_302600_NS6detail15normal_iteratorINSB_10device_ptrIjEEEENSD_INSE_IS6_EEEESI_S6_NSB_4plusIvEENSB_8equal_toIvEES6_EE10hipError_tPvRmT2_T3_T4_T5_mT6_T7_P12ihipStream_tbENKUlT_T0_E_clISt17integral_constantIbLb0EES12_IbLb1EEEEDaSY_SZ_EUlSY_E_NS1_11comp_targetILNS1_3genE10ELNS1_11target_archE1200ELNS1_3gpuE4ELNS1_3repE0EEENS1_30default_config_static_selectorELNS0_4arch9wavefront6targetE0EEEvT1_.private_seg_size, 0
	.set _ZN7rocprim17ROCPRIM_400000_NS6detail17trampoline_kernelINS0_14default_configENS1_27scan_by_key_config_selectorIj11FixedVectorIiLj1EEEEZZNS1_16scan_by_key_implILNS1_25lookback_scan_determinismE0ELb0ES3_N6thrust23THRUST_200600_302600_NS6detail15normal_iteratorINSB_10device_ptrIjEEEENSD_INSE_IS6_EEEESI_S6_NSB_4plusIvEENSB_8equal_toIvEES6_EE10hipError_tPvRmT2_T3_T4_T5_mT6_T7_P12ihipStream_tbENKUlT_T0_E_clISt17integral_constantIbLb0EES12_IbLb1EEEEDaSY_SZ_EUlSY_E_NS1_11comp_targetILNS1_3genE10ELNS1_11target_archE1200ELNS1_3gpuE4ELNS1_3repE0EEENS1_30default_config_static_selectorELNS0_4arch9wavefront6targetE0EEEvT1_.uses_vcc, 0
	.set _ZN7rocprim17ROCPRIM_400000_NS6detail17trampoline_kernelINS0_14default_configENS1_27scan_by_key_config_selectorIj11FixedVectorIiLj1EEEEZZNS1_16scan_by_key_implILNS1_25lookback_scan_determinismE0ELb0ES3_N6thrust23THRUST_200600_302600_NS6detail15normal_iteratorINSB_10device_ptrIjEEEENSD_INSE_IS6_EEEESI_S6_NSB_4plusIvEENSB_8equal_toIvEES6_EE10hipError_tPvRmT2_T3_T4_T5_mT6_T7_P12ihipStream_tbENKUlT_T0_E_clISt17integral_constantIbLb0EES12_IbLb1EEEEDaSY_SZ_EUlSY_E_NS1_11comp_targetILNS1_3genE10ELNS1_11target_archE1200ELNS1_3gpuE4ELNS1_3repE0EEENS1_30default_config_static_selectorELNS0_4arch9wavefront6targetE0EEEvT1_.uses_flat_scratch, 0
	.set _ZN7rocprim17ROCPRIM_400000_NS6detail17trampoline_kernelINS0_14default_configENS1_27scan_by_key_config_selectorIj11FixedVectorIiLj1EEEEZZNS1_16scan_by_key_implILNS1_25lookback_scan_determinismE0ELb0ES3_N6thrust23THRUST_200600_302600_NS6detail15normal_iteratorINSB_10device_ptrIjEEEENSD_INSE_IS6_EEEESI_S6_NSB_4plusIvEENSB_8equal_toIvEES6_EE10hipError_tPvRmT2_T3_T4_T5_mT6_T7_P12ihipStream_tbENKUlT_T0_E_clISt17integral_constantIbLb0EES12_IbLb1EEEEDaSY_SZ_EUlSY_E_NS1_11comp_targetILNS1_3genE10ELNS1_11target_archE1200ELNS1_3gpuE4ELNS1_3repE0EEENS1_30default_config_static_selectorELNS0_4arch9wavefront6targetE0EEEvT1_.has_dyn_sized_stack, 0
	.set _ZN7rocprim17ROCPRIM_400000_NS6detail17trampoline_kernelINS0_14default_configENS1_27scan_by_key_config_selectorIj11FixedVectorIiLj1EEEEZZNS1_16scan_by_key_implILNS1_25lookback_scan_determinismE0ELb0ES3_N6thrust23THRUST_200600_302600_NS6detail15normal_iteratorINSB_10device_ptrIjEEEENSD_INSE_IS6_EEEESI_S6_NSB_4plusIvEENSB_8equal_toIvEES6_EE10hipError_tPvRmT2_T3_T4_T5_mT6_T7_P12ihipStream_tbENKUlT_T0_E_clISt17integral_constantIbLb0EES12_IbLb1EEEEDaSY_SZ_EUlSY_E_NS1_11comp_targetILNS1_3genE10ELNS1_11target_archE1200ELNS1_3gpuE4ELNS1_3repE0EEENS1_30default_config_static_selectorELNS0_4arch9wavefront6targetE0EEEvT1_.has_recursion, 0
	.set _ZN7rocprim17ROCPRIM_400000_NS6detail17trampoline_kernelINS0_14default_configENS1_27scan_by_key_config_selectorIj11FixedVectorIiLj1EEEEZZNS1_16scan_by_key_implILNS1_25lookback_scan_determinismE0ELb0ES3_N6thrust23THRUST_200600_302600_NS6detail15normal_iteratorINSB_10device_ptrIjEEEENSD_INSE_IS6_EEEESI_S6_NSB_4plusIvEENSB_8equal_toIvEES6_EE10hipError_tPvRmT2_T3_T4_T5_mT6_T7_P12ihipStream_tbENKUlT_T0_E_clISt17integral_constantIbLb0EES12_IbLb1EEEEDaSY_SZ_EUlSY_E_NS1_11comp_targetILNS1_3genE10ELNS1_11target_archE1200ELNS1_3gpuE4ELNS1_3repE0EEENS1_30default_config_static_selectorELNS0_4arch9wavefront6targetE0EEEvT1_.has_indirect_call, 0
	.section	.AMDGPU.csdata,"",@progbits
; Kernel info:
; codeLenInByte = 0
; TotalNumSgprs: 0
; NumVgprs: 0
; ScratchSize: 0
; MemoryBound: 0
; FloatMode: 240
; IeeeMode: 1
; LDSByteSize: 0 bytes/workgroup (compile time only)
; SGPRBlocks: 0
; VGPRBlocks: 0
; NumSGPRsForWavesPerEU: 1
; NumVGPRsForWavesPerEU: 1
; NamedBarCnt: 0
; Occupancy: 16
; WaveLimiterHint : 0
; COMPUTE_PGM_RSRC2:SCRATCH_EN: 0
; COMPUTE_PGM_RSRC2:USER_SGPR: 2
; COMPUTE_PGM_RSRC2:TRAP_HANDLER: 0
; COMPUTE_PGM_RSRC2:TGID_X_EN: 1
; COMPUTE_PGM_RSRC2:TGID_Y_EN: 0
; COMPUTE_PGM_RSRC2:TGID_Z_EN: 0
; COMPUTE_PGM_RSRC2:TIDIG_COMP_CNT: 0
	.section	.text._ZN7rocprim17ROCPRIM_400000_NS6detail17trampoline_kernelINS0_14default_configENS1_27scan_by_key_config_selectorIj11FixedVectorIiLj1EEEEZZNS1_16scan_by_key_implILNS1_25lookback_scan_determinismE0ELb0ES3_N6thrust23THRUST_200600_302600_NS6detail15normal_iteratorINSB_10device_ptrIjEEEENSD_INSE_IS6_EEEESI_S6_NSB_4plusIvEENSB_8equal_toIvEES6_EE10hipError_tPvRmT2_T3_T4_T5_mT6_T7_P12ihipStream_tbENKUlT_T0_E_clISt17integral_constantIbLb0EES12_IbLb1EEEEDaSY_SZ_EUlSY_E_NS1_11comp_targetILNS1_3genE9ELNS1_11target_archE1100ELNS1_3gpuE3ELNS1_3repE0EEENS1_30default_config_static_selectorELNS0_4arch9wavefront6targetE0EEEvT1_,"axG",@progbits,_ZN7rocprim17ROCPRIM_400000_NS6detail17trampoline_kernelINS0_14default_configENS1_27scan_by_key_config_selectorIj11FixedVectorIiLj1EEEEZZNS1_16scan_by_key_implILNS1_25lookback_scan_determinismE0ELb0ES3_N6thrust23THRUST_200600_302600_NS6detail15normal_iteratorINSB_10device_ptrIjEEEENSD_INSE_IS6_EEEESI_S6_NSB_4plusIvEENSB_8equal_toIvEES6_EE10hipError_tPvRmT2_T3_T4_T5_mT6_T7_P12ihipStream_tbENKUlT_T0_E_clISt17integral_constantIbLb0EES12_IbLb1EEEEDaSY_SZ_EUlSY_E_NS1_11comp_targetILNS1_3genE9ELNS1_11target_archE1100ELNS1_3gpuE3ELNS1_3repE0EEENS1_30default_config_static_selectorELNS0_4arch9wavefront6targetE0EEEvT1_,comdat
	.protected	_ZN7rocprim17ROCPRIM_400000_NS6detail17trampoline_kernelINS0_14default_configENS1_27scan_by_key_config_selectorIj11FixedVectorIiLj1EEEEZZNS1_16scan_by_key_implILNS1_25lookback_scan_determinismE0ELb0ES3_N6thrust23THRUST_200600_302600_NS6detail15normal_iteratorINSB_10device_ptrIjEEEENSD_INSE_IS6_EEEESI_S6_NSB_4plusIvEENSB_8equal_toIvEES6_EE10hipError_tPvRmT2_T3_T4_T5_mT6_T7_P12ihipStream_tbENKUlT_T0_E_clISt17integral_constantIbLb0EES12_IbLb1EEEEDaSY_SZ_EUlSY_E_NS1_11comp_targetILNS1_3genE9ELNS1_11target_archE1100ELNS1_3gpuE3ELNS1_3repE0EEENS1_30default_config_static_selectorELNS0_4arch9wavefront6targetE0EEEvT1_ ; -- Begin function _ZN7rocprim17ROCPRIM_400000_NS6detail17trampoline_kernelINS0_14default_configENS1_27scan_by_key_config_selectorIj11FixedVectorIiLj1EEEEZZNS1_16scan_by_key_implILNS1_25lookback_scan_determinismE0ELb0ES3_N6thrust23THRUST_200600_302600_NS6detail15normal_iteratorINSB_10device_ptrIjEEEENSD_INSE_IS6_EEEESI_S6_NSB_4plusIvEENSB_8equal_toIvEES6_EE10hipError_tPvRmT2_T3_T4_T5_mT6_T7_P12ihipStream_tbENKUlT_T0_E_clISt17integral_constantIbLb0EES12_IbLb1EEEEDaSY_SZ_EUlSY_E_NS1_11comp_targetILNS1_3genE9ELNS1_11target_archE1100ELNS1_3gpuE3ELNS1_3repE0EEENS1_30default_config_static_selectorELNS0_4arch9wavefront6targetE0EEEvT1_
	.globl	_ZN7rocprim17ROCPRIM_400000_NS6detail17trampoline_kernelINS0_14default_configENS1_27scan_by_key_config_selectorIj11FixedVectorIiLj1EEEEZZNS1_16scan_by_key_implILNS1_25lookback_scan_determinismE0ELb0ES3_N6thrust23THRUST_200600_302600_NS6detail15normal_iteratorINSB_10device_ptrIjEEEENSD_INSE_IS6_EEEESI_S6_NSB_4plusIvEENSB_8equal_toIvEES6_EE10hipError_tPvRmT2_T3_T4_T5_mT6_T7_P12ihipStream_tbENKUlT_T0_E_clISt17integral_constantIbLb0EES12_IbLb1EEEEDaSY_SZ_EUlSY_E_NS1_11comp_targetILNS1_3genE9ELNS1_11target_archE1100ELNS1_3gpuE3ELNS1_3repE0EEENS1_30default_config_static_selectorELNS0_4arch9wavefront6targetE0EEEvT1_
	.p2align	8
	.type	_ZN7rocprim17ROCPRIM_400000_NS6detail17trampoline_kernelINS0_14default_configENS1_27scan_by_key_config_selectorIj11FixedVectorIiLj1EEEEZZNS1_16scan_by_key_implILNS1_25lookback_scan_determinismE0ELb0ES3_N6thrust23THRUST_200600_302600_NS6detail15normal_iteratorINSB_10device_ptrIjEEEENSD_INSE_IS6_EEEESI_S6_NSB_4plusIvEENSB_8equal_toIvEES6_EE10hipError_tPvRmT2_T3_T4_T5_mT6_T7_P12ihipStream_tbENKUlT_T0_E_clISt17integral_constantIbLb0EES12_IbLb1EEEEDaSY_SZ_EUlSY_E_NS1_11comp_targetILNS1_3genE9ELNS1_11target_archE1100ELNS1_3gpuE3ELNS1_3repE0EEENS1_30default_config_static_selectorELNS0_4arch9wavefront6targetE0EEEvT1_,@function
_ZN7rocprim17ROCPRIM_400000_NS6detail17trampoline_kernelINS0_14default_configENS1_27scan_by_key_config_selectorIj11FixedVectorIiLj1EEEEZZNS1_16scan_by_key_implILNS1_25lookback_scan_determinismE0ELb0ES3_N6thrust23THRUST_200600_302600_NS6detail15normal_iteratorINSB_10device_ptrIjEEEENSD_INSE_IS6_EEEESI_S6_NSB_4plusIvEENSB_8equal_toIvEES6_EE10hipError_tPvRmT2_T3_T4_T5_mT6_T7_P12ihipStream_tbENKUlT_T0_E_clISt17integral_constantIbLb0EES12_IbLb1EEEEDaSY_SZ_EUlSY_E_NS1_11comp_targetILNS1_3genE9ELNS1_11target_archE1100ELNS1_3gpuE3ELNS1_3repE0EEENS1_30default_config_static_selectorELNS0_4arch9wavefront6targetE0EEEvT1_: ; @_ZN7rocprim17ROCPRIM_400000_NS6detail17trampoline_kernelINS0_14default_configENS1_27scan_by_key_config_selectorIj11FixedVectorIiLj1EEEEZZNS1_16scan_by_key_implILNS1_25lookback_scan_determinismE0ELb0ES3_N6thrust23THRUST_200600_302600_NS6detail15normal_iteratorINSB_10device_ptrIjEEEENSD_INSE_IS6_EEEESI_S6_NSB_4plusIvEENSB_8equal_toIvEES6_EE10hipError_tPvRmT2_T3_T4_T5_mT6_T7_P12ihipStream_tbENKUlT_T0_E_clISt17integral_constantIbLb0EES12_IbLb1EEEEDaSY_SZ_EUlSY_E_NS1_11comp_targetILNS1_3genE9ELNS1_11target_archE1100ELNS1_3gpuE3ELNS1_3repE0EEENS1_30default_config_static_selectorELNS0_4arch9wavefront6targetE0EEEvT1_
; %bb.0:
	.section	.rodata,"a",@progbits
	.p2align	6, 0x0
	.amdhsa_kernel _ZN7rocprim17ROCPRIM_400000_NS6detail17trampoline_kernelINS0_14default_configENS1_27scan_by_key_config_selectorIj11FixedVectorIiLj1EEEEZZNS1_16scan_by_key_implILNS1_25lookback_scan_determinismE0ELb0ES3_N6thrust23THRUST_200600_302600_NS6detail15normal_iteratorINSB_10device_ptrIjEEEENSD_INSE_IS6_EEEESI_S6_NSB_4plusIvEENSB_8equal_toIvEES6_EE10hipError_tPvRmT2_T3_T4_T5_mT6_T7_P12ihipStream_tbENKUlT_T0_E_clISt17integral_constantIbLb0EES12_IbLb1EEEEDaSY_SZ_EUlSY_E_NS1_11comp_targetILNS1_3genE9ELNS1_11target_archE1100ELNS1_3gpuE3ELNS1_3repE0EEENS1_30default_config_static_selectorELNS0_4arch9wavefront6targetE0EEEvT1_
		.amdhsa_group_segment_fixed_size 0
		.amdhsa_private_segment_fixed_size 0
		.amdhsa_kernarg_size 112
		.amdhsa_user_sgpr_count 2
		.amdhsa_user_sgpr_dispatch_ptr 0
		.amdhsa_user_sgpr_queue_ptr 0
		.amdhsa_user_sgpr_kernarg_segment_ptr 1
		.amdhsa_user_sgpr_dispatch_id 0
		.amdhsa_user_sgpr_kernarg_preload_length 0
		.amdhsa_user_sgpr_kernarg_preload_offset 0
		.amdhsa_user_sgpr_private_segment_size 0
		.amdhsa_wavefront_size32 1
		.amdhsa_uses_dynamic_stack 0
		.amdhsa_enable_private_segment 0
		.amdhsa_system_sgpr_workgroup_id_x 1
		.amdhsa_system_sgpr_workgroup_id_y 0
		.amdhsa_system_sgpr_workgroup_id_z 0
		.amdhsa_system_sgpr_workgroup_info 0
		.amdhsa_system_vgpr_workitem_id 0
		.amdhsa_next_free_vgpr 1
		.amdhsa_next_free_sgpr 1
		.amdhsa_named_barrier_count 0
		.amdhsa_reserve_vcc 0
		.amdhsa_float_round_mode_32 0
		.amdhsa_float_round_mode_16_64 0
		.amdhsa_float_denorm_mode_32 3
		.amdhsa_float_denorm_mode_16_64 3
		.amdhsa_fp16_overflow 0
		.amdhsa_memory_ordered 1
		.amdhsa_forward_progress 1
		.amdhsa_inst_pref_size 0
		.amdhsa_round_robin_scheduling 0
		.amdhsa_exception_fp_ieee_invalid_op 0
		.amdhsa_exception_fp_denorm_src 0
		.amdhsa_exception_fp_ieee_div_zero 0
		.amdhsa_exception_fp_ieee_overflow 0
		.amdhsa_exception_fp_ieee_underflow 0
		.amdhsa_exception_fp_ieee_inexact 0
		.amdhsa_exception_int_div_zero 0
	.end_amdhsa_kernel
	.section	.text._ZN7rocprim17ROCPRIM_400000_NS6detail17trampoline_kernelINS0_14default_configENS1_27scan_by_key_config_selectorIj11FixedVectorIiLj1EEEEZZNS1_16scan_by_key_implILNS1_25lookback_scan_determinismE0ELb0ES3_N6thrust23THRUST_200600_302600_NS6detail15normal_iteratorINSB_10device_ptrIjEEEENSD_INSE_IS6_EEEESI_S6_NSB_4plusIvEENSB_8equal_toIvEES6_EE10hipError_tPvRmT2_T3_T4_T5_mT6_T7_P12ihipStream_tbENKUlT_T0_E_clISt17integral_constantIbLb0EES12_IbLb1EEEEDaSY_SZ_EUlSY_E_NS1_11comp_targetILNS1_3genE9ELNS1_11target_archE1100ELNS1_3gpuE3ELNS1_3repE0EEENS1_30default_config_static_selectorELNS0_4arch9wavefront6targetE0EEEvT1_,"axG",@progbits,_ZN7rocprim17ROCPRIM_400000_NS6detail17trampoline_kernelINS0_14default_configENS1_27scan_by_key_config_selectorIj11FixedVectorIiLj1EEEEZZNS1_16scan_by_key_implILNS1_25lookback_scan_determinismE0ELb0ES3_N6thrust23THRUST_200600_302600_NS6detail15normal_iteratorINSB_10device_ptrIjEEEENSD_INSE_IS6_EEEESI_S6_NSB_4plusIvEENSB_8equal_toIvEES6_EE10hipError_tPvRmT2_T3_T4_T5_mT6_T7_P12ihipStream_tbENKUlT_T0_E_clISt17integral_constantIbLb0EES12_IbLb1EEEEDaSY_SZ_EUlSY_E_NS1_11comp_targetILNS1_3genE9ELNS1_11target_archE1100ELNS1_3gpuE3ELNS1_3repE0EEENS1_30default_config_static_selectorELNS0_4arch9wavefront6targetE0EEEvT1_,comdat
.Lfunc_end1909:
	.size	_ZN7rocprim17ROCPRIM_400000_NS6detail17trampoline_kernelINS0_14default_configENS1_27scan_by_key_config_selectorIj11FixedVectorIiLj1EEEEZZNS1_16scan_by_key_implILNS1_25lookback_scan_determinismE0ELb0ES3_N6thrust23THRUST_200600_302600_NS6detail15normal_iteratorINSB_10device_ptrIjEEEENSD_INSE_IS6_EEEESI_S6_NSB_4plusIvEENSB_8equal_toIvEES6_EE10hipError_tPvRmT2_T3_T4_T5_mT6_T7_P12ihipStream_tbENKUlT_T0_E_clISt17integral_constantIbLb0EES12_IbLb1EEEEDaSY_SZ_EUlSY_E_NS1_11comp_targetILNS1_3genE9ELNS1_11target_archE1100ELNS1_3gpuE3ELNS1_3repE0EEENS1_30default_config_static_selectorELNS0_4arch9wavefront6targetE0EEEvT1_, .Lfunc_end1909-_ZN7rocprim17ROCPRIM_400000_NS6detail17trampoline_kernelINS0_14default_configENS1_27scan_by_key_config_selectorIj11FixedVectorIiLj1EEEEZZNS1_16scan_by_key_implILNS1_25lookback_scan_determinismE0ELb0ES3_N6thrust23THRUST_200600_302600_NS6detail15normal_iteratorINSB_10device_ptrIjEEEENSD_INSE_IS6_EEEESI_S6_NSB_4plusIvEENSB_8equal_toIvEES6_EE10hipError_tPvRmT2_T3_T4_T5_mT6_T7_P12ihipStream_tbENKUlT_T0_E_clISt17integral_constantIbLb0EES12_IbLb1EEEEDaSY_SZ_EUlSY_E_NS1_11comp_targetILNS1_3genE9ELNS1_11target_archE1100ELNS1_3gpuE3ELNS1_3repE0EEENS1_30default_config_static_selectorELNS0_4arch9wavefront6targetE0EEEvT1_
                                        ; -- End function
	.set _ZN7rocprim17ROCPRIM_400000_NS6detail17trampoline_kernelINS0_14default_configENS1_27scan_by_key_config_selectorIj11FixedVectorIiLj1EEEEZZNS1_16scan_by_key_implILNS1_25lookback_scan_determinismE0ELb0ES3_N6thrust23THRUST_200600_302600_NS6detail15normal_iteratorINSB_10device_ptrIjEEEENSD_INSE_IS6_EEEESI_S6_NSB_4plusIvEENSB_8equal_toIvEES6_EE10hipError_tPvRmT2_T3_T4_T5_mT6_T7_P12ihipStream_tbENKUlT_T0_E_clISt17integral_constantIbLb0EES12_IbLb1EEEEDaSY_SZ_EUlSY_E_NS1_11comp_targetILNS1_3genE9ELNS1_11target_archE1100ELNS1_3gpuE3ELNS1_3repE0EEENS1_30default_config_static_selectorELNS0_4arch9wavefront6targetE0EEEvT1_.num_vgpr, 0
	.set _ZN7rocprim17ROCPRIM_400000_NS6detail17trampoline_kernelINS0_14default_configENS1_27scan_by_key_config_selectorIj11FixedVectorIiLj1EEEEZZNS1_16scan_by_key_implILNS1_25lookback_scan_determinismE0ELb0ES3_N6thrust23THRUST_200600_302600_NS6detail15normal_iteratorINSB_10device_ptrIjEEEENSD_INSE_IS6_EEEESI_S6_NSB_4plusIvEENSB_8equal_toIvEES6_EE10hipError_tPvRmT2_T3_T4_T5_mT6_T7_P12ihipStream_tbENKUlT_T0_E_clISt17integral_constantIbLb0EES12_IbLb1EEEEDaSY_SZ_EUlSY_E_NS1_11comp_targetILNS1_3genE9ELNS1_11target_archE1100ELNS1_3gpuE3ELNS1_3repE0EEENS1_30default_config_static_selectorELNS0_4arch9wavefront6targetE0EEEvT1_.num_agpr, 0
	.set _ZN7rocprim17ROCPRIM_400000_NS6detail17trampoline_kernelINS0_14default_configENS1_27scan_by_key_config_selectorIj11FixedVectorIiLj1EEEEZZNS1_16scan_by_key_implILNS1_25lookback_scan_determinismE0ELb0ES3_N6thrust23THRUST_200600_302600_NS6detail15normal_iteratorINSB_10device_ptrIjEEEENSD_INSE_IS6_EEEESI_S6_NSB_4plusIvEENSB_8equal_toIvEES6_EE10hipError_tPvRmT2_T3_T4_T5_mT6_T7_P12ihipStream_tbENKUlT_T0_E_clISt17integral_constantIbLb0EES12_IbLb1EEEEDaSY_SZ_EUlSY_E_NS1_11comp_targetILNS1_3genE9ELNS1_11target_archE1100ELNS1_3gpuE3ELNS1_3repE0EEENS1_30default_config_static_selectorELNS0_4arch9wavefront6targetE0EEEvT1_.numbered_sgpr, 0
	.set _ZN7rocprim17ROCPRIM_400000_NS6detail17trampoline_kernelINS0_14default_configENS1_27scan_by_key_config_selectorIj11FixedVectorIiLj1EEEEZZNS1_16scan_by_key_implILNS1_25lookback_scan_determinismE0ELb0ES3_N6thrust23THRUST_200600_302600_NS6detail15normal_iteratorINSB_10device_ptrIjEEEENSD_INSE_IS6_EEEESI_S6_NSB_4plusIvEENSB_8equal_toIvEES6_EE10hipError_tPvRmT2_T3_T4_T5_mT6_T7_P12ihipStream_tbENKUlT_T0_E_clISt17integral_constantIbLb0EES12_IbLb1EEEEDaSY_SZ_EUlSY_E_NS1_11comp_targetILNS1_3genE9ELNS1_11target_archE1100ELNS1_3gpuE3ELNS1_3repE0EEENS1_30default_config_static_selectorELNS0_4arch9wavefront6targetE0EEEvT1_.num_named_barrier, 0
	.set _ZN7rocprim17ROCPRIM_400000_NS6detail17trampoline_kernelINS0_14default_configENS1_27scan_by_key_config_selectorIj11FixedVectorIiLj1EEEEZZNS1_16scan_by_key_implILNS1_25lookback_scan_determinismE0ELb0ES3_N6thrust23THRUST_200600_302600_NS6detail15normal_iteratorINSB_10device_ptrIjEEEENSD_INSE_IS6_EEEESI_S6_NSB_4plusIvEENSB_8equal_toIvEES6_EE10hipError_tPvRmT2_T3_T4_T5_mT6_T7_P12ihipStream_tbENKUlT_T0_E_clISt17integral_constantIbLb0EES12_IbLb1EEEEDaSY_SZ_EUlSY_E_NS1_11comp_targetILNS1_3genE9ELNS1_11target_archE1100ELNS1_3gpuE3ELNS1_3repE0EEENS1_30default_config_static_selectorELNS0_4arch9wavefront6targetE0EEEvT1_.private_seg_size, 0
	.set _ZN7rocprim17ROCPRIM_400000_NS6detail17trampoline_kernelINS0_14default_configENS1_27scan_by_key_config_selectorIj11FixedVectorIiLj1EEEEZZNS1_16scan_by_key_implILNS1_25lookback_scan_determinismE0ELb0ES3_N6thrust23THRUST_200600_302600_NS6detail15normal_iteratorINSB_10device_ptrIjEEEENSD_INSE_IS6_EEEESI_S6_NSB_4plusIvEENSB_8equal_toIvEES6_EE10hipError_tPvRmT2_T3_T4_T5_mT6_T7_P12ihipStream_tbENKUlT_T0_E_clISt17integral_constantIbLb0EES12_IbLb1EEEEDaSY_SZ_EUlSY_E_NS1_11comp_targetILNS1_3genE9ELNS1_11target_archE1100ELNS1_3gpuE3ELNS1_3repE0EEENS1_30default_config_static_selectorELNS0_4arch9wavefront6targetE0EEEvT1_.uses_vcc, 0
	.set _ZN7rocprim17ROCPRIM_400000_NS6detail17trampoline_kernelINS0_14default_configENS1_27scan_by_key_config_selectorIj11FixedVectorIiLj1EEEEZZNS1_16scan_by_key_implILNS1_25lookback_scan_determinismE0ELb0ES3_N6thrust23THRUST_200600_302600_NS6detail15normal_iteratorINSB_10device_ptrIjEEEENSD_INSE_IS6_EEEESI_S6_NSB_4plusIvEENSB_8equal_toIvEES6_EE10hipError_tPvRmT2_T3_T4_T5_mT6_T7_P12ihipStream_tbENKUlT_T0_E_clISt17integral_constantIbLb0EES12_IbLb1EEEEDaSY_SZ_EUlSY_E_NS1_11comp_targetILNS1_3genE9ELNS1_11target_archE1100ELNS1_3gpuE3ELNS1_3repE0EEENS1_30default_config_static_selectorELNS0_4arch9wavefront6targetE0EEEvT1_.uses_flat_scratch, 0
	.set _ZN7rocprim17ROCPRIM_400000_NS6detail17trampoline_kernelINS0_14default_configENS1_27scan_by_key_config_selectorIj11FixedVectorIiLj1EEEEZZNS1_16scan_by_key_implILNS1_25lookback_scan_determinismE0ELb0ES3_N6thrust23THRUST_200600_302600_NS6detail15normal_iteratorINSB_10device_ptrIjEEEENSD_INSE_IS6_EEEESI_S6_NSB_4plusIvEENSB_8equal_toIvEES6_EE10hipError_tPvRmT2_T3_T4_T5_mT6_T7_P12ihipStream_tbENKUlT_T0_E_clISt17integral_constantIbLb0EES12_IbLb1EEEEDaSY_SZ_EUlSY_E_NS1_11comp_targetILNS1_3genE9ELNS1_11target_archE1100ELNS1_3gpuE3ELNS1_3repE0EEENS1_30default_config_static_selectorELNS0_4arch9wavefront6targetE0EEEvT1_.has_dyn_sized_stack, 0
	.set _ZN7rocprim17ROCPRIM_400000_NS6detail17trampoline_kernelINS0_14default_configENS1_27scan_by_key_config_selectorIj11FixedVectorIiLj1EEEEZZNS1_16scan_by_key_implILNS1_25lookback_scan_determinismE0ELb0ES3_N6thrust23THRUST_200600_302600_NS6detail15normal_iteratorINSB_10device_ptrIjEEEENSD_INSE_IS6_EEEESI_S6_NSB_4plusIvEENSB_8equal_toIvEES6_EE10hipError_tPvRmT2_T3_T4_T5_mT6_T7_P12ihipStream_tbENKUlT_T0_E_clISt17integral_constantIbLb0EES12_IbLb1EEEEDaSY_SZ_EUlSY_E_NS1_11comp_targetILNS1_3genE9ELNS1_11target_archE1100ELNS1_3gpuE3ELNS1_3repE0EEENS1_30default_config_static_selectorELNS0_4arch9wavefront6targetE0EEEvT1_.has_recursion, 0
	.set _ZN7rocprim17ROCPRIM_400000_NS6detail17trampoline_kernelINS0_14default_configENS1_27scan_by_key_config_selectorIj11FixedVectorIiLj1EEEEZZNS1_16scan_by_key_implILNS1_25lookback_scan_determinismE0ELb0ES3_N6thrust23THRUST_200600_302600_NS6detail15normal_iteratorINSB_10device_ptrIjEEEENSD_INSE_IS6_EEEESI_S6_NSB_4plusIvEENSB_8equal_toIvEES6_EE10hipError_tPvRmT2_T3_T4_T5_mT6_T7_P12ihipStream_tbENKUlT_T0_E_clISt17integral_constantIbLb0EES12_IbLb1EEEEDaSY_SZ_EUlSY_E_NS1_11comp_targetILNS1_3genE9ELNS1_11target_archE1100ELNS1_3gpuE3ELNS1_3repE0EEENS1_30default_config_static_selectorELNS0_4arch9wavefront6targetE0EEEvT1_.has_indirect_call, 0
	.section	.AMDGPU.csdata,"",@progbits
; Kernel info:
; codeLenInByte = 0
; TotalNumSgprs: 0
; NumVgprs: 0
; ScratchSize: 0
; MemoryBound: 0
; FloatMode: 240
; IeeeMode: 1
; LDSByteSize: 0 bytes/workgroup (compile time only)
; SGPRBlocks: 0
; VGPRBlocks: 0
; NumSGPRsForWavesPerEU: 1
; NumVGPRsForWavesPerEU: 1
; NamedBarCnt: 0
; Occupancy: 16
; WaveLimiterHint : 0
; COMPUTE_PGM_RSRC2:SCRATCH_EN: 0
; COMPUTE_PGM_RSRC2:USER_SGPR: 2
; COMPUTE_PGM_RSRC2:TRAP_HANDLER: 0
; COMPUTE_PGM_RSRC2:TGID_X_EN: 1
; COMPUTE_PGM_RSRC2:TGID_Y_EN: 0
; COMPUTE_PGM_RSRC2:TGID_Z_EN: 0
; COMPUTE_PGM_RSRC2:TIDIG_COMP_CNT: 0
	.section	.text._ZN7rocprim17ROCPRIM_400000_NS6detail17trampoline_kernelINS0_14default_configENS1_27scan_by_key_config_selectorIj11FixedVectorIiLj1EEEEZZNS1_16scan_by_key_implILNS1_25lookback_scan_determinismE0ELb0ES3_N6thrust23THRUST_200600_302600_NS6detail15normal_iteratorINSB_10device_ptrIjEEEENSD_INSE_IS6_EEEESI_S6_NSB_4plusIvEENSB_8equal_toIvEES6_EE10hipError_tPvRmT2_T3_T4_T5_mT6_T7_P12ihipStream_tbENKUlT_T0_E_clISt17integral_constantIbLb0EES12_IbLb1EEEEDaSY_SZ_EUlSY_E_NS1_11comp_targetILNS1_3genE8ELNS1_11target_archE1030ELNS1_3gpuE2ELNS1_3repE0EEENS1_30default_config_static_selectorELNS0_4arch9wavefront6targetE0EEEvT1_,"axG",@progbits,_ZN7rocprim17ROCPRIM_400000_NS6detail17trampoline_kernelINS0_14default_configENS1_27scan_by_key_config_selectorIj11FixedVectorIiLj1EEEEZZNS1_16scan_by_key_implILNS1_25lookback_scan_determinismE0ELb0ES3_N6thrust23THRUST_200600_302600_NS6detail15normal_iteratorINSB_10device_ptrIjEEEENSD_INSE_IS6_EEEESI_S6_NSB_4plusIvEENSB_8equal_toIvEES6_EE10hipError_tPvRmT2_T3_T4_T5_mT6_T7_P12ihipStream_tbENKUlT_T0_E_clISt17integral_constantIbLb0EES12_IbLb1EEEEDaSY_SZ_EUlSY_E_NS1_11comp_targetILNS1_3genE8ELNS1_11target_archE1030ELNS1_3gpuE2ELNS1_3repE0EEENS1_30default_config_static_selectorELNS0_4arch9wavefront6targetE0EEEvT1_,comdat
	.protected	_ZN7rocprim17ROCPRIM_400000_NS6detail17trampoline_kernelINS0_14default_configENS1_27scan_by_key_config_selectorIj11FixedVectorIiLj1EEEEZZNS1_16scan_by_key_implILNS1_25lookback_scan_determinismE0ELb0ES3_N6thrust23THRUST_200600_302600_NS6detail15normal_iteratorINSB_10device_ptrIjEEEENSD_INSE_IS6_EEEESI_S6_NSB_4plusIvEENSB_8equal_toIvEES6_EE10hipError_tPvRmT2_T3_T4_T5_mT6_T7_P12ihipStream_tbENKUlT_T0_E_clISt17integral_constantIbLb0EES12_IbLb1EEEEDaSY_SZ_EUlSY_E_NS1_11comp_targetILNS1_3genE8ELNS1_11target_archE1030ELNS1_3gpuE2ELNS1_3repE0EEENS1_30default_config_static_selectorELNS0_4arch9wavefront6targetE0EEEvT1_ ; -- Begin function _ZN7rocprim17ROCPRIM_400000_NS6detail17trampoline_kernelINS0_14default_configENS1_27scan_by_key_config_selectorIj11FixedVectorIiLj1EEEEZZNS1_16scan_by_key_implILNS1_25lookback_scan_determinismE0ELb0ES3_N6thrust23THRUST_200600_302600_NS6detail15normal_iteratorINSB_10device_ptrIjEEEENSD_INSE_IS6_EEEESI_S6_NSB_4plusIvEENSB_8equal_toIvEES6_EE10hipError_tPvRmT2_T3_T4_T5_mT6_T7_P12ihipStream_tbENKUlT_T0_E_clISt17integral_constantIbLb0EES12_IbLb1EEEEDaSY_SZ_EUlSY_E_NS1_11comp_targetILNS1_3genE8ELNS1_11target_archE1030ELNS1_3gpuE2ELNS1_3repE0EEENS1_30default_config_static_selectorELNS0_4arch9wavefront6targetE0EEEvT1_
	.globl	_ZN7rocprim17ROCPRIM_400000_NS6detail17trampoline_kernelINS0_14default_configENS1_27scan_by_key_config_selectorIj11FixedVectorIiLj1EEEEZZNS1_16scan_by_key_implILNS1_25lookback_scan_determinismE0ELb0ES3_N6thrust23THRUST_200600_302600_NS6detail15normal_iteratorINSB_10device_ptrIjEEEENSD_INSE_IS6_EEEESI_S6_NSB_4plusIvEENSB_8equal_toIvEES6_EE10hipError_tPvRmT2_T3_T4_T5_mT6_T7_P12ihipStream_tbENKUlT_T0_E_clISt17integral_constantIbLb0EES12_IbLb1EEEEDaSY_SZ_EUlSY_E_NS1_11comp_targetILNS1_3genE8ELNS1_11target_archE1030ELNS1_3gpuE2ELNS1_3repE0EEENS1_30default_config_static_selectorELNS0_4arch9wavefront6targetE0EEEvT1_
	.p2align	8
	.type	_ZN7rocprim17ROCPRIM_400000_NS6detail17trampoline_kernelINS0_14default_configENS1_27scan_by_key_config_selectorIj11FixedVectorIiLj1EEEEZZNS1_16scan_by_key_implILNS1_25lookback_scan_determinismE0ELb0ES3_N6thrust23THRUST_200600_302600_NS6detail15normal_iteratorINSB_10device_ptrIjEEEENSD_INSE_IS6_EEEESI_S6_NSB_4plusIvEENSB_8equal_toIvEES6_EE10hipError_tPvRmT2_T3_T4_T5_mT6_T7_P12ihipStream_tbENKUlT_T0_E_clISt17integral_constantIbLb0EES12_IbLb1EEEEDaSY_SZ_EUlSY_E_NS1_11comp_targetILNS1_3genE8ELNS1_11target_archE1030ELNS1_3gpuE2ELNS1_3repE0EEENS1_30default_config_static_selectorELNS0_4arch9wavefront6targetE0EEEvT1_,@function
_ZN7rocprim17ROCPRIM_400000_NS6detail17trampoline_kernelINS0_14default_configENS1_27scan_by_key_config_selectorIj11FixedVectorIiLj1EEEEZZNS1_16scan_by_key_implILNS1_25lookback_scan_determinismE0ELb0ES3_N6thrust23THRUST_200600_302600_NS6detail15normal_iteratorINSB_10device_ptrIjEEEENSD_INSE_IS6_EEEESI_S6_NSB_4plusIvEENSB_8equal_toIvEES6_EE10hipError_tPvRmT2_T3_T4_T5_mT6_T7_P12ihipStream_tbENKUlT_T0_E_clISt17integral_constantIbLb0EES12_IbLb1EEEEDaSY_SZ_EUlSY_E_NS1_11comp_targetILNS1_3genE8ELNS1_11target_archE1030ELNS1_3gpuE2ELNS1_3repE0EEENS1_30default_config_static_selectorELNS0_4arch9wavefront6targetE0EEEvT1_: ; @_ZN7rocprim17ROCPRIM_400000_NS6detail17trampoline_kernelINS0_14default_configENS1_27scan_by_key_config_selectorIj11FixedVectorIiLj1EEEEZZNS1_16scan_by_key_implILNS1_25lookback_scan_determinismE0ELb0ES3_N6thrust23THRUST_200600_302600_NS6detail15normal_iteratorINSB_10device_ptrIjEEEENSD_INSE_IS6_EEEESI_S6_NSB_4plusIvEENSB_8equal_toIvEES6_EE10hipError_tPvRmT2_T3_T4_T5_mT6_T7_P12ihipStream_tbENKUlT_T0_E_clISt17integral_constantIbLb0EES12_IbLb1EEEEDaSY_SZ_EUlSY_E_NS1_11comp_targetILNS1_3genE8ELNS1_11target_archE1030ELNS1_3gpuE2ELNS1_3repE0EEENS1_30default_config_static_selectorELNS0_4arch9wavefront6targetE0EEEvT1_
; %bb.0:
	.section	.rodata,"a",@progbits
	.p2align	6, 0x0
	.amdhsa_kernel _ZN7rocprim17ROCPRIM_400000_NS6detail17trampoline_kernelINS0_14default_configENS1_27scan_by_key_config_selectorIj11FixedVectorIiLj1EEEEZZNS1_16scan_by_key_implILNS1_25lookback_scan_determinismE0ELb0ES3_N6thrust23THRUST_200600_302600_NS6detail15normal_iteratorINSB_10device_ptrIjEEEENSD_INSE_IS6_EEEESI_S6_NSB_4plusIvEENSB_8equal_toIvEES6_EE10hipError_tPvRmT2_T3_T4_T5_mT6_T7_P12ihipStream_tbENKUlT_T0_E_clISt17integral_constantIbLb0EES12_IbLb1EEEEDaSY_SZ_EUlSY_E_NS1_11comp_targetILNS1_3genE8ELNS1_11target_archE1030ELNS1_3gpuE2ELNS1_3repE0EEENS1_30default_config_static_selectorELNS0_4arch9wavefront6targetE0EEEvT1_
		.amdhsa_group_segment_fixed_size 0
		.amdhsa_private_segment_fixed_size 0
		.amdhsa_kernarg_size 112
		.amdhsa_user_sgpr_count 2
		.amdhsa_user_sgpr_dispatch_ptr 0
		.amdhsa_user_sgpr_queue_ptr 0
		.amdhsa_user_sgpr_kernarg_segment_ptr 1
		.amdhsa_user_sgpr_dispatch_id 0
		.amdhsa_user_sgpr_kernarg_preload_length 0
		.amdhsa_user_sgpr_kernarg_preload_offset 0
		.amdhsa_user_sgpr_private_segment_size 0
		.amdhsa_wavefront_size32 1
		.amdhsa_uses_dynamic_stack 0
		.amdhsa_enable_private_segment 0
		.amdhsa_system_sgpr_workgroup_id_x 1
		.amdhsa_system_sgpr_workgroup_id_y 0
		.amdhsa_system_sgpr_workgroup_id_z 0
		.amdhsa_system_sgpr_workgroup_info 0
		.amdhsa_system_vgpr_workitem_id 0
		.amdhsa_next_free_vgpr 1
		.amdhsa_next_free_sgpr 1
		.amdhsa_named_barrier_count 0
		.amdhsa_reserve_vcc 0
		.amdhsa_float_round_mode_32 0
		.amdhsa_float_round_mode_16_64 0
		.amdhsa_float_denorm_mode_32 3
		.amdhsa_float_denorm_mode_16_64 3
		.amdhsa_fp16_overflow 0
		.amdhsa_memory_ordered 1
		.amdhsa_forward_progress 1
		.amdhsa_inst_pref_size 0
		.amdhsa_round_robin_scheduling 0
		.amdhsa_exception_fp_ieee_invalid_op 0
		.amdhsa_exception_fp_denorm_src 0
		.amdhsa_exception_fp_ieee_div_zero 0
		.amdhsa_exception_fp_ieee_overflow 0
		.amdhsa_exception_fp_ieee_underflow 0
		.amdhsa_exception_fp_ieee_inexact 0
		.amdhsa_exception_int_div_zero 0
	.end_amdhsa_kernel
	.section	.text._ZN7rocprim17ROCPRIM_400000_NS6detail17trampoline_kernelINS0_14default_configENS1_27scan_by_key_config_selectorIj11FixedVectorIiLj1EEEEZZNS1_16scan_by_key_implILNS1_25lookback_scan_determinismE0ELb0ES3_N6thrust23THRUST_200600_302600_NS6detail15normal_iteratorINSB_10device_ptrIjEEEENSD_INSE_IS6_EEEESI_S6_NSB_4plusIvEENSB_8equal_toIvEES6_EE10hipError_tPvRmT2_T3_T4_T5_mT6_T7_P12ihipStream_tbENKUlT_T0_E_clISt17integral_constantIbLb0EES12_IbLb1EEEEDaSY_SZ_EUlSY_E_NS1_11comp_targetILNS1_3genE8ELNS1_11target_archE1030ELNS1_3gpuE2ELNS1_3repE0EEENS1_30default_config_static_selectorELNS0_4arch9wavefront6targetE0EEEvT1_,"axG",@progbits,_ZN7rocprim17ROCPRIM_400000_NS6detail17trampoline_kernelINS0_14default_configENS1_27scan_by_key_config_selectorIj11FixedVectorIiLj1EEEEZZNS1_16scan_by_key_implILNS1_25lookback_scan_determinismE0ELb0ES3_N6thrust23THRUST_200600_302600_NS6detail15normal_iteratorINSB_10device_ptrIjEEEENSD_INSE_IS6_EEEESI_S6_NSB_4plusIvEENSB_8equal_toIvEES6_EE10hipError_tPvRmT2_T3_T4_T5_mT6_T7_P12ihipStream_tbENKUlT_T0_E_clISt17integral_constantIbLb0EES12_IbLb1EEEEDaSY_SZ_EUlSY_E_NS1_11comp_targetILNS1_3genE8ELNS1_11target_archE1030ELNS1_3gpuE2ELNS1_3repE0EEENS1_30default_config_static_selectorELNS0_4arch9wavefront6targetE0EEEvT1_,comdat
.Lfunc_end1910:
	.size	_ZN7rocprim17ROCPRIM_400000_NS6detail17trampoline_kernelINS0_14default_configENS1_27scan_by_key_config_selectorIj11FixedVectorIiLj1EEEEZZNS1_16scan_by_key_implILNS1_25lookback_scan_determinismE0ELb0ES3_N6thrust23THRUST_200600_302600_NS6detail15normal_iteratorINSB_10device_ptrIjEEEENSD_INSE_IS6_EEEESI_S6_NSB_4plusIvEENSB_8equal_toIvEES6_EE10hipError_tPvRmT2_T3_T4_T5_mT6_T7_P12ihipStream_tbENKUlT_T0_E_clISt17integral_constantIbLb0EES12_IbLb1EEEEDaSY_SZ_EUlSY_E_NS1_11comp_targetILNS1_3genE8ELNS1_11target_archE1030ELNS1_3gpuE2ELNS1_3repE0EEENS1_30default_config_static_selectorELNS0_4arch9wavefront6targetE0EEEvT1_, .Lfunc_end1910-_ZN7rocprim17ROCPRIM_400000_NS6detail17trampoline_kernelINS0_14default_configENS1_27scan_by_key_config_selectorIj11FixedVectorIiLj1EEEEZZNS1_16scan_by_key_implILNS1_25lookback_scan_determinismE0ELb0ES3_N6thrust23THRUST_200600_302600_NS6detail15normal_iteratorINSB_10device_ptrIjEEEENSD_INSE_IS6_EEEESI_S6_NSB_4plusIvEENSB_8equal_toIvEES6_EE10hipError_tPvRmT2_T3_T4_T5_mT6_T7_P12ihipStream_tbENKUlT_T0_E_clISt17integral_constantIbLb0EES12_IbLb1EEEEDaSY_SZ_EUlSY_E_NS1_11comp_targetILNS1_3genE8ELNS1_11target_archE1030ELNS1_3gpuE2ELNS1_3repE0EEENS1_30default_config_static_selectorELNS0_4arch9wavefront6targetE0EEEvT1_
                                        ; -- End function
	.set _ZN7rocprim17ROCPRIM_400000_NS6detail17trampoline_kernelINS0_14default_configENS1_27scan_by_key_config_selectorIj11FixedVectorIiLj1EEEEZZNS1_16scan_by_key_implILNS1_25lookback_scan_determinismE0ELb0ES3_N6thrust23THRUST_200600_302600_NS6detail15normal_iteratorINSB_10device_ptrIjEEEENSD_INSE_IS6_EEEESI_S6_NSB_4plusIvEENSB_8equal_toIvEES6_EE10hipError_tPvRmT2_T3_T4_T5_mT6_T7_P12ihipStream_tbENKUlT_T0_E_clISt17integral_constantIbLb0EES12_IbLb1EEEEDaSY_SZ_EUlSY_E_NS1_11comp_targetILNS1_3genE8ELNS1_11target_archE1030ELNS1_3gpuE2ELNS1_3repE0EEENS1_30default_config_static_selectorELNS0_4arch9wavefront6targetE0EEEvT1_.num_vgpr, 0
	.set _ZN7rocprim17ROCPRIM_400000_NS6detail17trampoline_kernelINS0_14default_configENS1_27scan_by_key_config_selectorIj11FixedVectorIiLj1EEEEZZNS1_16scan_by_key_implILNS1_25lookback_scan_determinismE0ELb0ES3_N6thrust23THRUST_200600_302600_NS6detail15normal_iteratorINSB_10device_ptrIjEEEENSD_INSE_IS6_EEEESI_S6_NSB_4plusIvEENSB_8equal_toIvEES6_EE10hipError_tPvRmT2_T3_T4_T5_mT6_T7_P12ihipStream_tbENKUlT_T0_E_clISt17integral_constantIbLb0EES12_IbLb1EEEEDaSY_SZ_EUlSY_E_NS1_11comp_targetILNS1_3genE8ELNS1_11target_archE1030ELNS1_3gpuE2ELNS1_3repE0EEENS1_30default_config_static_selectorELNS0_4arch9wavefront6targetE0EEEvT1_.num_agpr, 0
	.set _ZN7rocprim17ROCPRIM_400000_NS6detail17trampoline_kernelINS0_14default_configENS1_27scan_by_key_config_selectorIj11FixedVectorIiLj1EEEEZZNS1_16scan_by_key_implILNS1_25lookback_scan_determinismE0ELb0ES3_N6thrust23THRUST_200600_302600_NS6detail15normal_iteratorINSB_10device_ptrIjEEEENSD_INSE_IS6_EEEESI_S6_NSB_4plusIvEENSB_8equal_toIvEES6_EE10hipError_tPvRmT2_T3_T4_T5_mT6_T7_P12ihipStream_tbENKUlT_T0_E_clISt17integral_constantIbLb0EES12_IbLb1EEEEDaSY_SZ_EUlSY_E_NS1_11comp_targetILNS1_3genE8ELNS1_11target_archE1030ELNS1_3gpuE2ELNS1_3repE0EEENS1_30default_config_static_selectorELNS0_4arch9wavefront6targetE0EEEvT1_.numbered_sgpr, 0
	.set _ZN7rocprim17ROCPRIM_400000_NS6detail17trampoline_kernelINS0_14default_configENS1_27scan_by_key_config_selectorIj11FixedVectorIiLj1EEEEZZNS1_16scan_by_key_implILNS1_25lookback_scan_determinismE0ELb0ES3_N6thrust23THRUST_200600_302600_NS6detail15normal_iteratorINSB_10device_ptrIjEEEENSD_INSE_IS6_EEEESI_S6_NSB_4plusIvEENSB_8equal_toIvEES6_EE10hipError_tPvRmT2_T3_T4_T5_mT6_T7_P12ihipStream_tbENKUlT_T0_E_clISt17integral_constantIbLb0EES12_IbLb1EEEEDaSY_SZ_EUlSY_E_NS1_11comp_targetILNS1_3genE8ELNS1_11target_archE1030ELNS1_3gpuE2ELNS1_3repE0EEENS1_30default_config_static_selectorELNS0_4arch9wavefront6targetE0EEEvT1_.num_named_barrier, 0
	.set _ZN7rocprim17ROCPRIM_400000_NS6detail17trampoline_kernelINS0_14default_configENS1_27scan_by_key_config_selectorIj11FixedVectorIiLj1EEEEZZNS1_16scan_by_key_implILNS1_25lookback_scan_determinismE0ELb0ES3_N6thrust23THRUST_200600_302600_NS6detail15normal_iteratorINSB_10device_ptrIjEEEENSD_INSE_IS6_EEEESI_S6_NSB_4plusIvEENSB_8equal_toIvEES6_EE10hipError_tPvRmT2_T3_T4_T5_mT6_T7_P12ihipStream_tbENKUlT_T0_E_clISt17integral_constantIbLb0EES12_IbLb1EEEEDaSY_SZ_EUlSY_E_NS1_11comp_targetILNS1_3genE8ELNS1_11target_archE1030ELNS1_3gpuE2ELNS1_3repE0EEENS1_30default_config_static_selectorELNS0_4arch9wavefront6targetE0EEEvT1_.private_seg_size, 0
	.set _ZN7rocprim17ROCPRIM_400000_NS6detail17trampoline_kernelINS0_14default_configENS1_27scan_by_key_config_selectorIj11FixedVectorIiLj1EEEEZZNS1_16scan_by_key_implILNS1_25lookback_scan_determinismE0ELb0ES3_N6thrust23THRUST_200600_302600_NS6detail15normal_iteratorINSB_10device_ptrIjEEEENSD_INSE_IS6_EEEESI_S6_NSB_4plusIvEENSB_8equal_toIvEES6_EE10hipError_tPvRmT2_T3_T4_T5_mT6_T7_P12ihipStream_tbENKUlT_T0_E_clISt17integral_constantIbLb0EES12_IbLb1EEEEDaSY_SZ_EUlSY_E_NS1_11comp_targetILNS1_3genE8ELNS1_11target_archE1030ELNS1_3gpuE2ELNS1_3repE0EEENS1_30default_config_static_selectorELNS0_4arch9wavefront6targetE0EEEvT1_.uses_vcc, 0
	.set _ZN7rocprim17ROCPRIM_400000_NS6detail17trampoline_kernelINS0_14default_configENS1_27scan_by_key_config_selectorIj11FixedVectorIiLj1EEEEZZNS1_16scan_by_key_implILNS1_25lookback_scan_determinismE0ELb0ES3_N6thrust23THRUST_200600_302600_NS6detail15normal_iteratorINSB_10device_ptrIjEEEENSD_INSE_IS6_EEEESI_S6_NSB_4plusIvEENSB_8equal_toIvEES6_EE10hipError_tPvRmT2_T3_T4_T5_mT6_T7_P12ihipStream_tbENKUlT_T0_E_clISt17integral_constantIbLb0EES12_IbLb1EEEEDaSY_SZ_EUlSY_E_NS1_11comp_targetILNS1_3genE8ELNS1_11target_archE1030ELNS1_3gpuE2ELNS1_3repE0EEENS1_30default_config_static_selectorELNS0_4arch9wavefront6targetE0EEEvT1_.uses_flat_scratch, 0
	.set _ZN7rocprim17ROCPRIM_400000_NS6detail17trampoline_kernelINS0_14default_configENS1_27scan_by_key_config_selectorIj11FixedVectorIiLj1EEEEZZNS1_16scan_by_key_implILNS1_25lookback_scan_determinismE0ELb0ES3_N6thrust23THRUST_200600_302600_NS6detail15normal_iteratorINSB_10device_ptrIjEEEENSD_INSE_IS6_EEEESI_S6_NSB_4plusIvEENSB_8equal_toIvEES6_EE10hipError_tPvRmT2_T3_T4_T5_mT6_T7_P12ihipStream_tbENKUlT_T0_E_clISt17integral_constantIbLb0EES12_IbLb1EEEEDaSY_SZ_EUlSY_E_NS1_11comp_targetILNS1_3genE8ELNS1_11target_archE1030ELNS1_3gpuE2ELNS1_3repE0EEENS1_30default_config_static_selectorELNS0_4arch9wavefront6targetE0EEEvT1_.has_dyn_sized_stack, 0
	.set _ZN7rocprim17ROCPRIM_400000_NS6detail17trampoline_kernelINS0_14default_configENS1_27scan_by_key_config_selectorIj11FixedVectorIiLj1EEEEZZNS1_16scan_by_key_implILNS1_25lookback_scan_determinismE0ELb0ES3_N6thrust23THRUST_200600_302600_NS6detail15normal_iteratorINSB_10device_ptrIjEEEENSD_INSE_IS6_EEEESI_S6_NSB_4plusIvEENSB_8equal_toIvEES6_EE10hipError_tPvRmT2_T3_T4_T5_mT6_T7_P12ihipStream_tbENKUlT_T0_E_clISt17integral_constantIbLb0EES12_IbLb1EEEEDaSY_SZ_EUlSY_E_NS1_11comp_targetILNS1_3genE8ELNS1_11target_archE1030ELNS1_3gpuE2ELNS1_3repE0EEENS1_30default_config_static_selectorELNS0_4arch9wavefront6targetE0EEEvT1_.has_recursion, 0
	.set _ZN7rocprim17ROCPRIM_400000_NS6detail17trampoline_kernelINS0_14default_configENS1_27scan_by_key_config_selectorIj11FixedVectorIiLj1EEEEZZNS1_16scan_by_key_implILNS1_25lookback_scan_determinismE0ELb0ES3_N6thrust23THRUST_200600_302600_NS6detail15normal_iteratorINSB_10device_ptrIjEEEENSD_INSE_IS6_EEEESI_S6_NSB_4plusIvEENSB_8equal_toIvEES6_EE10hipError_tPvRmT2_T3_T4_T5_mT6_T7_P12ihipStream_tbENKUlT_T0_E_clISt17integral_constantIbLb0EES12_IbLb1EEEEDaSY_SZ_EUlSY_E_NS1_11comp_targetILNS1_3genE8ELNS1_11target_archE1030ELNS1_3gpuE2ELNS1_3repE0EEENS1_30default_config_static_selectorELNS0_4arch9wavefront6targetE0EEEvT1_.has_indirect_call, 0
	.section	.AMDGPU.csdata,"",@progbits
; Kernel info:
; codeLenInByte = 0
; TotalNumSgprs: 0
; NumVgprs: 0
; ScratchSize: 0
; MemoryBound: 0
; FloatMode: 240
; IeeeMode: 1
; LDSByteSize: 0 bytes/workgroup (compile time only)
; SGPRBlocks: 0
; VGPRBlocks: 0
; NumSGPRsForWavesPerEU: 1
; NumVGPRsForWavesPerEU: 1
; NamedBarCnt: 0
; Occupancy: 16
; WaveLimiterHint : 0
; COMPUTE_PGM_RSRC2:SCRATCH_EN: 0
; COMPUTE_PGM_RSRC2:USER_SGPR: 2
; COMPUTE_PGM_RSRC2:TRAP_HANDLER: 0
; COMPUTE_PGM_RSRC2:TGID_X_EN: 1
; COMPUTE_PGM_RSRC2:TGID_Y_EN: 0
; COMPUTE_PGM_RSRC2:TGID_Z_EN: 0
; COMPUTE_PGM_RSRC2:TIDIG_COMP_CNT: 0
	.section	.text._ZN7rocprim17ROCPRIM_400000_NS6detail17trampoline_kernelINS0_14default_configENS1_27scan_by_key_config_selectorIj11FixedVectorIiLj1EEEEZZNS1_16scan_by_key_implILNS1_25lookback_scan_determinismE0ELb1ES3_N6thrust23THRUST_200600_302600_NS6detail15normal_iteratorINSB_10device_ptrIjEEEENSD_INSE_IS6_EEEESI_S6_NSB_4plusIvEENSB_8equal_toIvEES6_EE10hipError_tPvRmT2_T3_T4_T5_mT6_T7_P12ihipStream_tbENKUlT_T0_E_clISt17integral_constantIbLb0EES13_EEDaSY_SZ_EUlSY_E_NS1_11comp_targetILNS1_3genE0ELNS1_11target_archE4294967295ELNS1_3gpuE0ELNS1_3repE0EEENS1_30default_config_static_selectorELNS0_4arch9wavefront6targetE0EEEvT1_,"axG",@progbits,_ZN7rocprim17ROCPRIM_400000_NS6detail17trampoline_kernelINS0_14default_configENS1_27scan_by_key_config_selectorIj11FixedVectorIiLj1EEEEZZNS1_16scan_by_key_implILNS1_25lookback_scan_determinismE0ELb1ES3_N6thrust23THRUST_200600_302600_NS6detail15normal_iteratorINSB_10device_ptrIjEEEENSD_INSE_IS6_EEEESI_S6_NSB_4plusIvEENSB_8equal_toIvEES6_EE10hipError_tPvRmT2_T3_T4_T5_mT6_T7_P12ihipStream_tbENKUlT_T0_E_clISt17integral_constantIbLb0EES13_EEDaSY_SZ_EUlSY_E_NS1_11comp_targetILNS1_3genE0ELNS1_11target_archE4294967295ELNS1_3gpuE0ELNS1_3repE0EEENS1_30default_config_static_selectorELNS0_4arch9wavefront6targetE0EEEvT1_,comdat
	.protected	_ZN7rocprim17ROCPRIM_400000_NS6detail17trampoline_kernelINS0_14default_configENS1_27scan_by_key_config_selectorIj11FixedVectorIiLj1EEEEZZNS1_16scan_by_key_implILNS1_25lookback_scan_determinismE0ELb1ES3_N6thrust23THRUST_200600_302600_NS6detail15normal_iteratorINSB_10device_ptrIjEEEENSD_INSE_IS6_EEEESI_S6_NSB_4plusIvEENSB_8equal_toIvEES6_EE10hipError_tPvRmT2_T3_T4_T5_mT6_T7_P12ihipStream_tbENKUlT_T0_E_clISt17integral_constantIbLb0EES13_EEDaSY_SZ_EUlSY_E_NS1_11comp_targetILNS1_3genE0ELNS1_11target_archE4294967295ELNS1_3gpuE0ELNS1_3repE0EEENS1_30default_config_static_selectorELNS0_4arch9wavefront6targetE0EEEvT1_ ; -- Begin function _ZN7rocprim17ROCPRIM_400000_NS6detail17trampoline_kernelINS0_14default_configENS1_27scan_by_key_config_selectorIj11FixedVectorIiLj1EEEEZZNS1_16scan_by_key_implILNS1_25lookback_scan_determinismE0ELb1ES3_N6thrust23THRUST_200600_302600_NS6detail15normal_iteratorINSB_10device_ptrIjEEEENSD_INSE_IS6_EEEESI_S6_NSB_4plusIvEENSB_8equal_toIvEES6_EE10hipError_tPvRmT2_T3_T4_T5_mT6_T7_P12ihipStream_tbENKUlT_T0_E_clISt17integral_constantIbLb0EES13_EEDaSY_SZ_EUlSY_E_NS1_11comp_targetILNS1_3genE0ELNS1_11target_archE4294967295ELNS1_3gpuE0ELNS1_3repE0EEENS1_30default_config_static_selectorELNS0_4arch9wavefront6targetE0EEEvT1_
	.globl	_ZN7rocprim17ROCPRIM_400000_NS6detail17trampoline_kernelINS0_14default_configENS1_27scan_by_key_config_selectorIj11FixedVectorIiLj1EEEEZZNS1_16scan_by_key_implILNS1_25lookback_scan_determinismE0ELb1ES3_N6thrust23THRUST_200600_302600_NS6detail15normal_iteratorINSB_10device_ptrIjEEEENSD_INSE_IS6_EEEESI_S6_NSB_4plusIvEENSB_8equal_toIvEES6_EE10hipError_tPvRmT2_T3_T4_T5_mT6_T7_P12ihipStream_tbENKUlT_T0_E_clISt17integral_constantIbLb0EES13_EEDaSY_SZ_EUlSY_E_NS1_11comp_targetILNS1_3genE0ELNS1_11target_archE4294967295ELNS1_3gpuE0ELNS1_3repE0EEENS1_30default_config_static_selectorELNS0_4arch9wavefront6targetE0EEEvT1_
	.p2align	8
	.type	_ZN7rocprim17ROCPRIM_400000_NS6detail17trampoline_kernelINS0_14default_configENS1_27scan_by_key_config_selectorIj11FixedVectorIiLj1EEEEZZNS1_16scan_by_key_implILNS1_25lookback_scan_determinismE0ELb1ES3_N6thrust23THRUST_200600_302600_NS6detail15normal_iteratorINSB_10device_ptrIjEEEENSD_INSE_IS6_EEEESI_S6_NSB_4plusIvEENSB_8equal_toIvEES6_EE10hipError_tPvRmT2_T3_T4_T5_mT6_T7_P12ihipStream_tbENKUlT_T0_E_clISt17integral_constantIbLb0EES13_EEDaSY_SZ_EUlSY_E_NS1_11comp_targetILNS1_3genE0ELNS1_11target_archE4294967295ELNS1_3gpuE0ELNS1_3repE0EEENS1_30default_config_static_selectorELNS0_4arch9wavefront6targetE0EEEvT1_,@function
_ZN7rocprim17ROCPRIM_400000_NS6detail17trampoline_kernelINS0_14default_configENS1_27scan_by_key_config_selectorIj11FixedVectorIiLj1EEEEZZNS1_16scan_by_key_implILNS1_25lookback_scan_determinismE0ELb1ES3_N6thrust23THRUST_200600_302600_NS6detail15normal_iteratorINSB_10device_ptrIjEEEENSD_INSE_IS6_EEEESI_S6_NSB_4plusIvEENSB_8equal_toIvEES6_EE10hipError_tPvRmT2_T3_T4_T5_mT6_T7_P12ihipStream_tbENKUlT_T0_E_clISt17integral_constantIbLb0EES13_EEDaSY_SZ_EUlSY_E_NS1_11comp_targetILNS1_3genE0ELNS1_11target_archE4294967295ELNS1_3gpuE0ELNS1_3repE0EEENS1_30default_config_static_selectorELNS0_4arch9wavefront6targetE0EEEvT1_: ; @_ZN7rocprim17ROCPRIM_400000_NS6detail17trampoline_kernelINS0_14default_configENS1_27scan_by_key_config_selectorIj11FixedVectorIiLj1EEEEZZNS1_16scan_by_key_implILNS1_25lookback_scan_determinismE0ELb1ES3_N6thrust23THRUST_200600_302600_NS6detail15normal_iteratorINSB_10device_ptrIjEEEENSD_INSE_IS6_EEEESI_S6_NSB_4plusIvEENSB_8equal_toIvEES6_EE10hipError_tPvRmT2_T3_T4_T5_mT6_T7_P12ihipStream_tbENKUlT_T0_E_clISt17integral_constantIbLb0EES13_EEDaSY_SZ_EUlSY_E_NS1_11comp_targetILNS1_3genE0ELNS1_11target_archE4294967295ELNS1_3gpuE0ELNS1_3repE0EEENS1_30default_config_static_selectorELNS0_4arch9wavefront6targetE0EEEvT1_
; %bb.0:
	s_clause 0x2
	s_load_b96 s[24:26], s[0:1], 0x38
	s_load_b256 s[8:15], s[0:1], 0x0
	s_load_b128 s[20:23], s[0:1], 0x48
	s_bfe_u32 s4, ttmp6, 0x4000c
	s_delay_alu instid0(SALU_CYCLE_1)
	s_add_co_i32 s4, s4, 1
	s_clause 0x1
	s_load_b32 s33, s[0:1], 0x20
	s_load_b128 s[16:19], s[0:1], 0x28
	s_and_b32 s2, ttmp6, 15
	s_wait_xcnt 0x0
	s_mul_i32 s0, ttmp9, s4
	s_getreg_b32 s5, hwreg(HW_REG_IB_STS2, 6, 4)
	s_add_co_i32 s6, s2, s0
	s_mov_b32 s3, 0
	s_barrier_signal -1
	s_mov_b32 s29, s3
	s_barrier_wait -1
	s_wait_kmcnt 0x0
	s_mov_b32 s2, s26
	s_lshl_b64 s[26:27], s[10:11], 2
	s_cmp_eq_u32 s5, 0
	s_mul_u64 s[4:5], s[24:25], s[2:3]
	s_cselect_b32 s28, ttmp9, s6
	s_add_nc_u64 s[0:1], s[8:9], s[26:27]
	s_add_nc_u64 s[4:5], s[4:5], s[28:29]
	s_add_nc_u64 s[8:9], s[20:21], -1
	s_mul_i32 s2, s28, 0xc00
	v_cmp_ge_u64_e64 s19, s[4:5], s[8:9]
	s_add_nc_u64 s[6:7], s[12:13], s[26:27]
	s_lshl_b64 s[20:21], s[2:3], 2
	s_mul_i32 s29, s8, 0xfffff400
	s_add_nc_u64 s[30:31], s[0:1], s[20:21]
	s_add_nc_u64 s[12:13], s[6:7], s[20:21]
	s_and_b32 vcc_lo, exec_lo, s19
	s_cbranch_vccz .LBB1911_76
; %bb.1:
	v_mov_b32_e32 v1, 0
	s_add_co_i32 s34, s29, s18
	s_delay_alu instid0(SALU_CYCLE_1)
	v_cmp_gt_u32_e32 vcc_lo, s34, v0
	flat_load_b32 v1, v1, s[30:31]
	s_wait_loadcnt_dscnt 0x0
	v_mov_b32_e32 v2, v1
	s_and_saveexec_b32 s0, vcc_lo
	s_cbranch_execz .LBB1911_3
; %bb.2:
	flat_load_b32 v2, v0, s[30:31] scale_offset
.LBB1911_3:
	s_wait_xcnt 0x0
	s_or_b32 exec_lo, exec_lo, s0
	v_or_b32_e32 v3, 0x100, v0
	s_delay_alu instid0(VALU_DEP_1)
	v_cmp_gt_u32_e64 s0, s34, v3
	v_mov_b32_e32 v3, v1
	s_and_saveexec_b32 s1, s0
	s_cbranch_execz .LBB1911_5
; %bb.4:
	flat_load_b32 v3, v0, s[30:31] offset:1024 scale_offset
.LBB1911_5:
	s_wait_xcnt 0x0
	s_or_b32 exec_lo, exec_lo, s1
	v_or_b32_e32 v4, 0x200, v0
	s_delay_alu instid0(VALU_DEP_1)
	v_cmp_gt_u32_e64 s1, s34, v4
	v_mov_b32_e32 v4, v1
	s_and_saveexec_b32 s2, s1
	s_cbranch_execz .LBB1911_7
; %bb.6:
	flat_load_b32 v4, v0, s[30:31] offset:2048 scale_offset
.LBB1911_7:
	;; [unrolled: 11-line block ×10, first 2 shown]
	s_wait_xcnt 0x0
	s_or_b32 exec_lo, exec_lo, s10
	v_or_b32_e32 v13, 0xb00, v0
	s_delay_alu instid0(VALU_DEP_1) | instskip(SKIP_2) | instid1(SALU_CYCLE_1)
	v_cmp_gt_u32_e64 s10, s34, v13
	v_cmp_le_u32_e64 s11, s34, v13
	s_and_saveexec_b32 s35, s11
	s_xor_b32 s11, exec_lo, s35
	s_delay_alu instid0(SALU_CYCLE_1)
	s_and_not1_saveexec_b32 s11, s11
	s_cbranch_execz .LBB1911_25
; %bb.24:
	flat_load_b32 v1, v0, s[30:31] offset:11264 scale_offset
.LBB1911_25:
	s_wait_xcnt 0x0
	s_or_b32 exec_lo, exec_lo, s11
	v_dual_mov_b32 v15, 0 :: v_dual_lshlrev_b32 v14, 2, v0
	s_mov_b32 s35, exec_lo
	s_wait_loadcnt_dscnt 0x0
	ds_store_2addr_stride64_b32 v14, v2, v3 offset1:4
	ds_store_2addr_stride64_b32 v14, v4, v5 offset0:8 offset1:12
	ds_store_2addr_stride64_b32 v14, v6, v7 offset0:16 offset1:20
	;; [unrolled: 1-line block ×5, first 2 shown]
	s_wait_dscnt 0x0
	s_barrier_signal -1
	s_barrier_wait -1
	flat_load_b32 v38, v15, s[30:31]
	v_mad_u32_u24 v1, v0, 44, v14
	ds_load_b128 v[10:13], v1
	ds_load_b128 v[6:9], v1 offset:16
	ds_load_b128 v[2:5], v1 offset:32
	v_mad_i32_i24 v16, 0xffffffd4, v0, v1
	s_wait_dscnt 0x2
	ds_store_b32 v16, v10 offset:13312
	s_wait_loadcnt_dscnt 0x0
	s_barrier_signal -1
	s_barrier_wait -1
	v_cmpx_ne_u32_e32 0xff, v0
; %bb.26:
	v_mul_i32_i24_e32 v16, 0xffffffd4, v0
	s_delay_alu instid0(VALU_DEP_1)
	v_add_nc_u32_e32 v16, v1, v16
	ds_load_b32 v38, v16 offset:13316
; %bb.27:
	s_or_b32 exec_lo, exec_lo, s35
	s_wait_dscnt 0x0
	s_barrier_signal -1
	s_barrier_wait -1
	s_and_saveexec_b32 s11, vcc_lo
	s_cbranch_execz .LBB1911_29
; %bb.28:
	flat_load_b32 v15, v0, s[12:13] scale_offset
.LBB1911_29:
	s_wait_xcnt 0x0
	s_or_b32 exec_lo, exec_lo, s11
	v_dual_mov_b32 v16, 0 :: v_dual_mov_b32 v17, 0
	s_and_saveexec_b32 s11, s0
	s_cbranch_execz .LBB1911_31
; %bb.30:
	flat_load_b32 v17, v0, s[12:13] offset:1024 scale_offset
.LBB1911_31:
	s_wait_xcnt 0x0
	s_or_b32 exec_lo, exec_lo, s11
	s_and_saveexec_b32 s0, s1
	s_cbranch_execz .LBB1911_33
; %bb.32:
	flat_load_b32 v16, v0, s[12:13] offset:2048 scale_offset
.LBB1911_33:
	s_wait_xcnt 0x0
	s_or_b32 exec_lo, exec_lo, s0
	v_dual_mov_b32 v18, 0 :: v_dual_mov_b32 v19, 0
	s_and_saveexec_b32 s0, s2
	s_cbranch_execz .LBB1911_35
; %bb.34:
	flat_load_b32 v19, v0, s[12:13] offset:3072 scale_offset
.LBB1911_35:
	s_wait_xcnt 0x0
	s_or_b32 exec_lo, exec_lo, s0
	s_and_saveexec_b32 s0, s3
	s_cbranch_execz .LBB1911_37
; %bb.36:
	flat_load_b32 v18, v0, s[12:13] offset:4096 scale_offset
.LBB1911_37:
	;; [unrolled: 15-line block ×5, first 2 shown]
	s_wait_xcnt 0x0
	s_or_b32 exec_lo, exec_lo, s0
	v_mul_u32_u24_e32 v39, 12, v0
	v_mov_b32_e32 v26, 0
	s_and_saveexec_b32 s0, s10
	s_cbranch_execz .LBB1911_51
; %bb.50:
	flat_load_b32 v26, v0, s[12:13] offset:11264 scale_offset
.LBB1911_51:
	s_wait_xcnt 0x0
	s_or_b32 exec_lo, exec_lo, s0
	s_wait_loadcnt_dscnt 0x0
	ds_store_2addr_stride64_b32 v14, v15, v17 offset1:4
	ds_store_2addr_stride64_b32 v14, v16, v19 offset0:8 offset1:12
	ds_store_2addr_stride64_b32 v14, v18, v21 offset0:16 offset1:20
	;; [unrolled: 1-line block ×5, first 2 shown]
	v_mov_b64_e32 v[14:15], 0
	v_mov_b64_e32 v[42:43], 0
	;; [unrolled: 1-line block ×21, first 2 shown]
	s_mov_b32 s0, 0
	s_mov_b32 s3, 0
	s_mov_b32 s1, exec_lo
	s_wait_dscnt 0x0
	s_barrier_signal -1
	s_barrier_wait -1
                                        ; implicit-def: $sgpr2
                                        ; implicit-def: $vgpr60
	v_cmpx_gt_u32_e64 s34, v39
	s_cbranch_execz .LBB1911_75
; %bb.52:
	ds_load_b32 v14, v1
	v_cmp_eq_u32_e32 vcc_lo, v10, v11
	v_or_b32_e32 v26, 1, v39
	v_mov_b64_e32 v[42:43], 0
	v_mov_b64_e32 v[40:41], 0
	;; [unrolled: 1-line block ×17, first 2 shown]
	s_wait_dscnt 0x0
	v_cndmask_b32_e32 v14, s33, v14, vcc_lo
	v_cmp_ne_u32_e32 vcc_lo, v10, v11
	v_mov_b64_e32 v[18:19], 0
	v_mov_b64_e32 v[16:17], 0
	s_mov_b32 s4, 0
	s_mov_b32 s3, exec_lo
	v_cndmask_b32_e64 v15, 0, 1, vcc_lo
                                        ; implicit-def: $sgpr2
                                        ; implicit-def: $vgpr60
	v_cmpx_gt_u32_e64 s34, v26
	s_cbranch_execz .LBB1911_74
; %bb.53:
	ds_load_2addr_b32 v[26:27], v1 offset0:1 offset1:2
	v_cmp_eq_u32_e32 vcc_lo, v11, v12
	v_or_b32_e32 v10, 2, v39
	v_mov_b64_e32 v[40:41], 0
	v_mov_b64_e32 v[44:45], 0
	;; [unrolled: 1-line block ×17, first 2 shown]
	s_wait_dscnt 0x0
	v_cndmask_b32_e32 v42, s33, v26, vcc_lo
	v_cmp_ne_u32_e32 vcc_lo, v11, v12
	s_mov_b32 s5, 0
	s_mov_b32 s4, exec_lo
                                        ; implicit-def: $sgpr2
                                        ; implicit-def: $vgpr60
	v_cndmask_b32_e64 v43, 0, 1, vcc_lo
	v_cmpx_gt_u32_e64 s34, v10
	s_cbranch_execz .LBB1911_73
; %bb.54:
	v_cmp_eq_u32_e32 vcc_lo, v12, v13
	v_mov_b64_e32 v[44:45], 0
	v_mov_b64_e32 v[46:47], 0
	;; [unrolled: 1-line block ×4, first 2 shown]
	v_cndmask_b32_e32 v40, s33, v27, vcc_lo
	v_cmp_ne_u32_e32 vcc_lo, v12, v13
	v_mov_b64_e32 v[52:53], 0
	v_mov_b64_e32 v[54:55], 0
	;; [unrolled: 1-line block ×11, first 2 shown]
	v_or_b32_e32 v10, 3, v39
	v_cndmask_b32_e64 v41, 0, 1, vcc_lo
	s_mov_b32 s6, 0
	s_mov_b32 s5, exec_lo
                                        ; implicit-def: $sgpr2
                                        ; implicit-def: $vgpr60
	s_delay_alu instid0(VALU_DEP_2)
	v_cmpx_gt_u32_e64 s34, v10
	s_cbranch_execz .LBB1911_72
; %bb.55:
	ds_load_2addr_b32 v[10:11], v1 offset0:3 offset1:4
	v_cmp_ne_u32_e32 vcc_lo, v13, v6
	v_mov_b64_e32 v[46:47], 0
	v_mov_b64_e32 v[48:49], 0
	;; [unrolled: 1-line block ×4, first 2 shown]
	v_cndmask_b32_e64 v45, 0, 1, vcc_lo
	v_cmp_eq_u32_e32 vcc_lo, v13, v6
	v_mov_b64_e32 v[54:55], 0
	v_mov_b64_e32 v[56:57], 0
	;; [unrolled: 1-line block ×9, first 2 shown]
	v_add_nc_u32_e32 v12, 4, v39
	s_mov_b32 s7, 0
	s_mov_b32 s6, exec_lo
	s_wait_dscnt 0x0
	v_cndmask_b32_e32 v44, s33, v10, vcc_lo
                                        ; implicit-def: $sgpr2
                                        ; implicit-def: $vgpr60
	v_cmpx_gt_u32_e64 s34, v12
	s_cbranch_execz .LBB1911_71
; %bb.56:
	v_cmp_eq_u32_e32 vcc_lo, v6, v7
	v_mov_b64_e32 v[48:49], 0
	v_mov_b64_e32 v[50:51], 0
	v_mov_b64_e32 v[52:53], 0
	v_mov_b64_e32 v[54:55], 0
	v_cndmask_b32_e32 v46, s33, v11, vcc_lo
	v_cmp_ne_u32_e32 vcc_lo, v6, v7
	v_mov_b64_e32 v[56:57], 0
	v_mov_b64_e32 v[58:59], 0
	;; [unrolled: 1-line block ×7, first 2 shown]
	v_add_nc_u32_e32 v10, 5, v39
	v_cndmask_b32_e64 v47, 0, 1, vcc_lo
	s_mov_b32 s8, 0
	s_mov_b32 s7, exec_lo
                                        ; implicit-def: $sgpr2
                                        ; implicit-def: $vgpr60
	s_delay_alu instid0(VALU_DEP_2)
	v_cmpx_gt_u32_e64 s34, v10
	s_cbranch_execz .LBB1911_70
; %bb.57:
	ds_load_2addr_b32 v[10:11], v1 offset0:5 offset1:6
	v_cmp_ne_u32_e32 vcc_lo, v7, v8
	v_mov_b64_e32 v[50:51], 0
	v_mov_b64_e32 v[52:53], 0
	;; [unrolled: 1-line block ×4, first 2 shown]
	v_cndmask_b32_e64 v49, 0, 1, vcc_lo
	v_cmp_eq_u32_e32 vcc_lo, v7, v8
	v_mov_b64_e32 v[58:59], 0
	v_mov_b64_e32 v[22:23], 0
	;; [unrolled: 1-line block ×5, first 2 shown]
	v_add_nc_u32_e32 v6, 6, v39
	s_mov_b32 s9, 0
	s_mov_b32 s8, exec_lo
                                        ; implicit-def: $sgpr2
                                        ; implicit-def: $vgpr60
	s_wait_dscnt 0x0
	v_cndmask_b32_e32 v48, s33, v10, vcc_lo
	v_cmpx_gt_u32_e64 s34, v6
	s_cbranch_execz .LBB1911_69
; %bb.58:
	v_cmp_eq_u32_e32 vcc_lo, v8, v9
	v_mov_b64_e32 v[52:53], 0
	v_mov_b64_e32 v[54:55], 0
	;; [unrolled: 1-line block ×4, first 2 shown]
	v_cndmask_b32_e32 v50, s33, v11, vcc_lo
	v_cmp_ne_u32_e32 vcc_lo, v8, v9
	v_mov_b64_e32 v[20:21], 0
	v_mov_b64_e32 v[18:19], 0
	;; [unrolled: 1-line block ×3, first 2 shown]
	v_add_nc_u32_e32 v6, 7, v39
	v_cndmask_b32_e64 v51, 0, 1, vcc_lo
	s_mov_b32 s10, 0
	s_mov_b32 s9, exec_lo
                                        ; implicit-def: $sgpr2
                                        ; implicit-def: $vgpr60
	s_delay_alu instid0(VALU_DEP_2)
	v_cmpx_gt_u32_e64 s34, v6
	s_cbranch_execz .LBB1911_68
; %bb.59:
	ds_load_2addr_b32 v[6:7], v1 offset0:7 offset1:8
	v_cmp_ne_u32_e32 vcc_lo, v9, v2
	v_mov_b64_e32 v[54:55], 0
	v_mov_b64_e32 v[56:57], 0
	;; [unrolled: 1-line block ×4, first 2 shown]
	v_cndmask_b32_e64 v53, 0, 1, vcc_lo
	v_cmp_eq_u32_e32 vcc_lo, v9, v2
	v_mov_b64_e32 v[16:17], 0
	v_add_nc_u32_e32 v8, 8, v39
	s_mov_b32 s11, 0
	s_mov_b32 s10, exec_lo
                                        ; implicit-def: $sgpr2
                                        ; implicit-def: $vgpr60
	s_wait_dscnt 0x0
	v_cndmask_b32_e32 v52, s33, v6, vcc_lo
	v_cmpx_gt_u32_e64 s34, v8
	s_cbranch_execz .LBB1911_67
; %bb.60:
	v_cmp_eq_u32_e32 vcc_lo, v2, v3
	v_mov_b64_e32 v[56:57], 0
	v_mov_b64_e32 v[58:59], 0
	;; [unrolled: 1-line block ×3, first 2 shown]
	v_add_nc_u32_e32 v6, 9, v39
	v_cndmask_b32_e32 v54, s33, v7, vcc_lo
	v_cmp_ne_u32_e32 vcc_lo, v2, v3
	s_mov_b32 s35, 0
	s_mov_b32 s11, exec_lo
                                        ; implicit-def: $sgpr2
                                        ; implicit-def: $vgpr60
	v_cndmask_b32_e64 v55, 0, 1, vcc_lo
	v_cmpx_gt_u32_e64 s34, v6
	s_cbranch_execz .LBB1911_66
; %bb.61:
	ds_load_2addr_b32 v[6:7], v1 offset0:9 offset1:10
	v_cmp_ne_u32_e32 vcc_lo, v3, v4
	v_mov_b64_e32 v[58:59], 0
	s_mov_b32 s36, 0
	s_mov_b32 s35, exec_lo
                                        ; implicit-def: $sgpr2
                                        ; implicit-def: $vgpr60
	v_cndmask_b32_e64 v57, 0, 1, vcc_lo
	v_cmp_eq_u32_e32 vcc_lo, v3, v4
	s_wait_dscnt 0x0
	v_dual_add_nc_u32 v2, 10, v39 :: v_dual_cndmask_b32 v56, s33, v6, vcc_lo
	s_delay_alu instid0(VALU_DEP_1)
	v_cmpx_gt_u32_e64 s34, v2
	s_cbranch_execz .LBB1911_65
; %bb.62:
	v_cmp_eq_u32_e32 vcc_lo, v4, v5
	v_add_nc_u32_e32 v2, 11, v39
                                        ; implicit-def: $sgpr2
                                        ; implicit-def: $vgpr60
	v_cndmask_b32_e32 v58, s33, v7, vcc_lo
	v_cmp_ne_u32_e32 vcc_lo, v4, v5
	v_cndmask_b32_e64 v59, 0, 1, vcc_lo
	s_delay_alu instid0(VALU_DEP_4) | instskip(SKIP_2) | instid1(SALU_CYCLE_1)
	v_cmp_gt_u32_e32 vcc_lo, s34, v2
	s_mov_b32 s34, 0
	s_and_saveexec_b32 s36, vcc_lo
	s_xor_b32 s36, exec_lo, s36
	s_cbranch_execz .LBB1911_64
; %bb.63:
	ds_load_b32 v1, v1 offset:44
	v_cmp_ne_u32_e64 s2, v5, v38
	s_mov_b32 s34, exec_lo
	s_wait_dscnt 0x0
	v_cndmask_b32_e64 v60, v1, s33, s2
.LBB1911_64:
	s_or_b32 exec_lo, exec_lo, s36
	s_delay_alu instid0(SALU_CYCLE_1)
	s_and_b32 s36, s34, exec_lo
.LBB1911_65:
	s_or_b32 exec_lo, exec_lo, s35
	v_mov_b64_e32 v[16:17], v[58:59]
	s_and_b32 s35, s36, exec_lo
.LBB1911_66:
	s_or_b32 exec_lo, exec_lo, s11
	v_mov_b64_e32 v[18:19], v[56:57]
	s_and_b32 s11, s35, exec_lo
.LBB1911_67:
	s_or_b32 exec_lo, exec_lo, s10
	v_mov_b64_e32 v[20:21], v[54:55]
	s_and_b32 s10, s11, exec_lo
.LBB1911_68:
	s_or_b32 exec_lo, exec_lo, s9
	v_mov_b64_e32 v[22:23], v[52:53]
	s_and_b32 s9, s10, exec_lo
.LBB1911_69:
	s_or_b32 exec_lo, exec_lo, s8
	v_mov_b64_e32 v[24:25], v[50:51]
	s_and_b32 s8, s9, exec_lo
.LBB1911_70:
	s_or_b32 exec_lo, exec_lo, s7
	v_mov_b64_e32 v[28:29], v[48:49]
	s_and_b32 s7, s8, exec_lo
.LBB1911_71:
	s_or_b32 exec_lo, exec_lo, s6
	v_mov_b64_e32 v[30:31], v[46:47]
	s_and_b32 s6, s7, exec_lo
.LBB1911_72:
	s_or_b32 exec_lo, exec_lo, s5
	v_mov_b64_e32 v[32:33], v[44:45]
	s_and_b32 s5, s6, exec_lo
.LBB1911_73:
	s_or_b32 exec_lo, exec_lo, s4
	v_mov_b64_e32 v[34:35], v[40:41]
	s_and_b32 s4, s5, exec_lo
.LBB1911_74:
	s_or_b32 exec_lo, exec_lo, s3
	v_mov_b64_e32 v[36:37], v[42:43]
	s_and_b32 s3, s4, exec_lo
.LBB1911_75:
	s_or_b32 exec_lo, exec_lo, s1
	v_lshlrev_b32_e32 v26, 2, v0
	s_and_b32 vcc_lo, exec_lo, s0
	s_cbranch_vccnz .LBB1911_77
	s_branch .LBB1911_82
.LBB1911_76:
                                        ; implicit-def: $sgpr2
                                        ; implicit-def: $vgpr14_vgpr15
                                        ; implicit-def: $vgpr42_vgpr43
                                        ; implicit-def: $vgpr40_vgpr41
                                        ; implicit-def: $vgpr44_vgpr45
                                        ; implicit-def: $vgpr46_vgpr47
                                        ; implicit-def: $vgpr48_vgpr49
                                        ; implicit-def: $vgpr50_vgpr51
                                        ; implicit-def: $vgpr52_vgpr53
                                        ; implicit-def: $vgpr54_vgpr55
                                        ; implicit-def: $vgpr56_vgpr57
                                        ; implicit-def: $vgpr58_vgpr59
                                        ; implicit-def: $vgpr60
                                        ; implicit-def: $vgpr36_vgpr37
                                        ; implicit-def: $vgpr34_vgpr35
                                        ; implicit-def: $vgpr32_vgpr33
                                        ; implicit-def: $vgpr30_vgpr31
                                        ; implicit-def: $vgpr28_vgpr29
                                        ; implicit-def: $vgpr24_vgpr25
                                        ; implicit-def: $vgpr22_vgpr23
                                        ; implicit-def: $vgpr20_vgpr21
                                        ; implicit-def: $vgpr18_vgpr19
                                        ; implicit-def: $vgpr16_vgpr17
	v_lshlrev_b32_e32 v26, 2, v0
	s_cbranch_execz .LBB1911_82
.LBB1911_77:
	s_clause 0xb
	flat_load_b32 v1, v0, s[30:31] scale_offset
	flat_load_b32 v2, v0, s[30:31] offset:1024 scale_offset
	flat_load_b32 v3, v0, s[30:31] offset:2048 scale_offset
	flat_load_b32 v4, v0, s[30:31] offset:3072 scale_offset
	flat_load_b32 v5, v0, s[30:31] offset:4096 scale_offset
	flat_load_b32 v6, v0, s[30:31] offset:5120 scale_offset
	flat_load_b32 v7, v0, s[30:31] offset:6144 scale_offset
	flat_load_b32 v8, v0, s[30:31] offset:7168 scale_offset
	flat_load_b32 v9, v0, s[30:31] offset:8192 scale_offset
	flat_load_b32 v10, v0, s[30:31] offset:9216 scale_offset
	flat_load_b32 v11, v0, s[30:31] offset:10240 scale_offset
	flat_load_b32 v12, v0, s[30:31] offset:11264 scale_offset
	v_mov_b32_e32 v13, 0
	v_mad_u32_u24 v28, v0, 44, v26
	s_mov_b32 s0, exec_lo
	s_wait_loadcnt_dscnt 0xa0a
	ds_store_2addr_stride64_b32 v26, v1, v2 offset1:4
	s_wait_loadcnt_dscnt 0x809
	ds_store_2addr_stride64_b32 v26, v3, v4 offset0:8 offset1:12
	s_wait_loadcnt_dscnt 0x608
	ds_store_2addr_stride64_b32 v26, v5, v6 offset0:16 offset1:20
	;; [unrolled: 2-line block ×5, first 2 shown]
	s_wait_dscnt 0x0
	s_barrier_signal -1
	s_barrier_wait -1
	flat_load_b32 v1, v13, s[30:31] offset:12288
	s_wait_xcnt 0x0
	ds_load_b128 v[10:13], v28
	ds_load_b128 v[6:9], v28 offset:16
	ds_load_b128 v[2:5], v28 offset:32
	v_mad_i32_i24 v14, 0xffffffd4, v0, v28
	s_wait_dscnt 0x2
	ds_store_b32 v14, v10 offset:13312
	s_wait_loadcnt_dscnt 0x0
	s_barrier_signal -1
	s_barrier_wait -1
	v_cmpx_ne_u32_e32 0xff, v0
; %bb.78:
	v_mul_i32_i24_e32 v1, 0xffffffd4, v0
	s_delay_alu instid0(VALU_DEP_1)
	v_add_nc_u32_e32 v1, v28, v1
	ds_load_b32 v1, v1 offset:13316
; %bb.79:
	s_or_b32 exec_lo, exec_lo, s0
	s_wait_dscnt 0x0
	s_barrier_signal -1
	s_barrier_wait -1
	s_clause 0xb
	flat_load_b32 v14, v0, s[12:13] scale_offset
	flat_load_b32 v15, v0, s[12:13] offset:1024 scale_offset
	flat_load_b32 v16, v0, s[12:13] offset:2048 scale_offset
	;; [unrolled: 1-line block ×11, first 2 shown]
	v_cmp_eq_u32_e32 vcc_lo, v10, v11
	v_mov_b32_e32 v10, s33
	s_wait_loadcnt_dscnt 0xa0a
	ds_store_2addr_stride64_b32 v26, v14, v15 offset1:4
	s_wait_loadcnt_dscnt 0x809
	ds_store_2addr_stride64_b32 v26, v16, v17 offset0:8 offset1:12
	s_wait_loadcnt_dscnt 0x608
	ds_store_2addr_stride64_b32 v26, v18, v19 offset0:16 offset1:20
	;; [unrolled: 2-line block ×5, first 2 shown]
	s_wait_dscnt 0x0
	s_barrier_signal -1
	s_barrier_wait -1
	ds_load_2addr_b32 v[24:25], v28 offset0:1 offset1:2
	ds_load_2addr_b32 v[22:23], v28 offset0:3 offset1:4
	;; [unrolled: 1-line block ×5, first 2 shown]
	ds_load_b32 v27, v28 offset:44
	v_mov_b64_e32 v[14:15], 0x100000000
	s_and_saveexec_b32 s0, vcc_lo
; %bb.80:
	ds_load_b32 v10, v28
	v_mov_b64_e32 v[14:15], 0
; %bb.81:
	s_or_b32 exec_lo, exec_lo, s0
	v_cmp_eq_u32_e32 vcc_lo, v11, v12
	s_wait_dscnt 0x0
	s_delay_alu instid0(VALU_DEP_2)
	v_or_b32_e32 v14, v14, v10
	v_cmp_ne_u32_e64 s2, v5, v1
	s_mov_b32 s3, -1
	v_cndmask_b32_e32 v42, s33, v24, vcc_lo
	v_cmp_ne_u32_e32 vcc_lo, v11, v12
	v_cndmask_b32_e64 v60, v27, s33, s2
	v_cndmask_b32_e64 v43, 0, 1, vcc_lo
	v_cmp_eq_u32_e32 vcc_lo, v12, v13
	s_delay_alu instid0(VALU_DEP_2) | instskip(SKIP_4) | instid1(VALU_DEP_2)
	v_mov_b64_e32 v[36:37], v[42:43]
	v_cndmask_b32_e32 v40, s33, v25, vcc_lo
	v_cmp_ne_u32_e32 vcc_lo, v12, v13
	v_cndmask_b32_e64 v41, 0, 1, vcc_lo
	v_cmp_eq_u32_e32 vcc_lo, v13, v6
	v_mov_b64_e32 v[34:35], v[40:41]
	v_cndmask_b32_e32 v44, s33, v22, vcc_lo
	v_cmp_ne_u32_e32 vcc_lo, v13, v6
	v_cndmask_b32_e64 v45, 0, 1, vcc_lo
	v_cmp_eq_u32_e32 vcc_lo, v6, v7
	s_delay_alu instid0(VALU_DEP_2) | instskip(SKIP_4) | instid1(VALU_DEP_2)
	v_mov_b64_e32 v[32:33], v[44:45]
	v_cndmask_b32_e32 v46, s33, v23, vcc_lo
	v_cmp_ne_u32_e32 vcc_lo, v6, v7
	v_cndmask_b32_e64 v47, 0, 1, vcc_lo
	v_cmp_eq_u32_e32 vcc_lo, v7, v8
	v_mov_b64_e32 v[30:31], v[46:47]
	v_cndmask_b32_e32 v48, s33, v20, vcc_lo
	v_cmp_ne_u32_e32 vcc_lo, v7, v8
	;; [unrolled: 11-line block ×4, first 2 shown]
	v_cndmask_b32_e64 v57, 0, 1, vcc_lo
	v_cmp_eq_u32_e32 vcc_lo, v4, v5
	s_delay_alu instid0(VALU_DEP_2) | instskip(SKIP_3) | instid1(VALU_DEP_1)
	v_mov_b64_e32 v[18:19], v[56:57]
	v_cndmask_b32_e32 v58, s33, v17, vcc_lo
	v_cmp_ne_u32_e32 vcc_lo, v4, v5
	v_cndmask_b32_e64 v59, 0, 1, vcc_lo
	v_mov_b64_e32 v[16:17], v[58:59]
.LBB1911_82:
	v_mov_b64_e32 v[38:39], 0
	s_and_saveexec_b32 s0, s3
	s_cbranch_execz .LBB1911_84
; %bb.83:
	v_cndmask_b32_e64 v61, 0, 1, s2
	v_mov_b64_e32 v[16:17], v[58:59]
	v_mov_b64_e32 v[18:19], v[56:57]
	;; [unrolled: 1-line block ×11, first 2 shown]
.LBB1911_84:
	s_or_b32 exec_lo, exec_lo, s0
	v_dual_lshrrev_b32 v1, 2, v0 :: v_dual_bitop2_b32 v40, v23, v21 bitop3:0x54
	s_delay_alu instid0(VALU_DEP_3)
	v_or_b32_e32 v27, v19, v17
	s_cmp_lg_u32 s28, 0
	v_cmp_gt_u32_e32 vcc_lo, 32, v0
	s_barrier_signal -1
	s_barrier_wait -1
	s_cbranch_scc0 .LBB1911_112
; %bb.85:
	s_mov_b64 s[10:11], 0x100000000
	v_or3_b32 v3, v40, v25, v29
	v_cmp_gt_u64_e64 s0, s[10:11], v[36:37]
	v_cmp_gt_u64_e64 s1, s[10:11], v[34:35]
	;; [unrolled: 1-line block ×7, first 2 shown]
	v_dual_cndmask_b32 v2, 0, v14, s0 :: v_dual_bitop2_b32 v5, 56, v1 bitop3:0x40
	v_cmp_gt_u64_e64 s7, s[10:11], v[20:21]
	v_cmp_gt_u64_e64 s8, s[10:11], v[18:19]
	;; [unrolled: 1-line block ×3, first 2 shown]
	s_delay_alu instid0(VALU_DEP_4) | instskip(SKIP_3) | instid1(VALU_DEP_4)
	v_add_nc_u32_e32 v2, v2, v36
	v_cmp_gt_u64_e64 s10, s[10:11], v[38:39]
	v_or3_b32 v3, v3, v31, v33
	v_lshl_add_u32 v5, v0, 3, v5
	v_cndmask_b32_e64 v2, 0, v2, s1
	s_delay_alu instid0(VALU_DEP_3) | instskip(NEXT) | instid1(VALU_DEP_2)
	v_or3_b32 v3, v3, v35, v37
	v_add_nc_u32_e32 v2, v2, v34
	s_delay_alu instid0(VALU_DEP_2) | instskip(NEXT) | instid1(VALU_DEP_2)
	v_or3_b32 v3, v39, v27, v3
	v_cndmask_b32_e64 v2, 0, v2, s2
	s_delay_alu instid0(VALU_DEP_2) | instskip(NEXT) | instid1(VALU_DEP_2)
	v_and_b32_e32 v3, 0xff, v3
	v_add_nc_u32_e32 v2, v2, v32
	s_delay_alu instid0(VALU_DEP_1) | instskip(NEXT) | instid1(VALU_DEP_1)
	v_cndmask_b32_e64 v2, 0, v2, s3
	v_add_nc_u32_e32 v2, v2, v30
	s_delay_alu instid0(VALU_DEP_1) | instskip(NEXT) | instid1(VALU_DEP_1)
	v_cndmask_b32_e64 v2, 0, v2, s4
	;; [unrolled: 3-line block ×7, first 2 shown]
	v_dual_add_nc_u32 v4, v2, v16 :: v_dual_mov_b32 v2, 0
	s_delay_alu instid0(VALU_DEP_1) | instskip(NEXT) | instid1(VALU_DEP_2)
	v_cndmask_b32_e64 v4, 0, v4, s10
	v_cmp_eq_u64_e64 s10, 0, v[2:3]
	s_delay_alu instid0(VALU_DEP_1)
	v_dual_add_nc_u32 v12, v4, v38 :: v_dual_cndmask_b32 v13, 1, v15, s10
	ds_store_b32 v5, v12
	ds_store_b8 v5, v13 offset:4
	s_wait_dscnt 0x0
	s_barrier_signal -1
	s_barrier_wait -1
	s_and_saveexec_b32 s11, vcc_lo
	s_cbranch_execz .LBB1911_95
; %bb.86:
	v_dual_lshlrev_b32 v2, 1, v0 :: v_dual_lshlrev_b32 v3, 6, v0
	s_mov_b32 s12, exec_lo
	s_delay_alu instid0(VALU_DEP_1) | instskip(NEXT) | instid1(VALU_DEP_1)
	v_and_b32_e32 v2, 0x1f8, v2
	v_add_nc_u32_e32 v4, v2, v3
	ds_load_u8 v5, v4 offset:12
	ds_load_b64 v[2:3], v4
	ds_load_2addr_b32 v[6:7], v4 offset0:2 offset1:4
	ds_load_u8 v10, v4 offset:20
	ds_load_u8 v11, v4 offset:28
	;; [unrolled: 1-line block ×5, first 2 shown]
	ds_load_b32 v44, v4 offset:56
	s_wait_dscnt 0x8
	v_cmp_eq_u16_e64 s10, 0, v5
	s_wait_dscnt 0x5
	s_delay_alu instid0(VALU_DEP_1)
	v_dual_cndmask_b32 v45, 0, v2, s10 :: v_dual_bitop2_b32 v5, v10, v5 bitop3:0x54
	ds_load_2addr_b32 v[8:9], v4 offset0:6 offset1:8
	v_cmp_eq_u16_e64 s10, 0, v10
	s_wait_dscnt 0x4
	v_bitop3_b16 v5, v5, v41, v11 bitop3:0xfe
	v_add_nc_u32_e32 v6, v45, v6
	s_delay_alu instid0(VALU_DEP_1) | instskip(SKIP_1) | instid1(VALU_DEP_2)
	v_cndmask_b32_e64 v6, 0, v6, s10
	v_cmp_eq_u16_e64 s10, 0, v11
	v_add_nc_u32_e32 v6, v6, v7
	s_delay_alu instid0(VALU_DEP_1)
	v_cndmask_b32_e64 v45, 0, v6, s10
	ds_load_2addr_b32 v[6:7], v4 offset0:10 offset1:12
	v_cmp_eq_u16_e64 s10, 0, v41
	s_wait_dscnt 0x1
	v_add_nc_u32_e32 v8, v45, v8
	ds_load_u8 v45, v4 offset:60
	v_cndmask_b32_e64 v8, 0, v8, s10
	v_cmp_eq_u16_e64 s10, 0, v42
	s_delay_alu instid0(VALU_DEP_2) | instskip(SKIP_1) | instid1(VALU_DEP_2)
	v_add_nc_u32_e32 v8, v8, v9
	v_bitop3_b16 v9, v5, v43, v42 bitop3:0xfe
	v_dual_cndmask_b32 v8, 0, v8, s10 :: v_dual_bitop2_b32 v5, 1, v3 bitop3:0x40
	s_delay_alu instid0(VALU_DEP_2) | instskip(SKIP_1) | instid1(VALU_DEP_2)
	v_cmp_eq_u16_e64 s10, 0, v9
	s_wait_dscnt 0x0
	v_dual_add_nc_u32 v6, v8, v6 :: v_dual_bitop2_b32 v8, 1, v45 bitop3:0x40
	s_delay_alu instid0(VALU_DEP_2) | instskip(SKIP_1) | instid1(VALU_DEP_1)
	v_cndmask_b32_e64 v9, 1, v5, s10
	v_cmp_eq_u16_e64 s10, 0, v43
	v_cndmask_b32_e64 v6, 0, v6, s10
	s_delay_alu instid0(VALU_DEP_4) | instskip(SKIP_1) | instid1(VALU_DEP_2)
	v_cmp_eq_u32_e64 s10, 1, v8
	v_mbcnt_lo_u32_b32 v8, -1, 0
	v_cndmask_b32_e64 v9, v9, 1, s10
	v_cmp_eq_u16_e64 s10, 0, v45
	s_delay_alu instid0(VALU_DEP_2) | instskip(SKIP_2) | instid1(VALU_DEP_1)
	v_and_b32_e32 v10, 0xffff, v9
	v_add_nc_u32_e32 v7, v6, v7
	v_and_b32_e32 v6, 0xffffff00, v3
	v_dual_cndmask_b32 v7, 0, v7, s10 :: v_dual_bitop2_b32 v11, v6, v10 bitop3:0x54
	v_and_b32_e32 v10, 15, v8
	s_delay_alu instid0(VALU_DEP_2) | instskip(NEXT) | instid1(VALU_DEP_3)
	v_mov_b32_dpp v42, v11 row_shr:1 row_mask:0xf bank_mask:0xf
	v_add_nc_u32_e32 v7, v7, v44
	s_delay_alu instid0(VALU_DEP_1) | instskip(NEXT) | instid1(VALU_DEP_4)
	v_mov_b32_dpp v41, v7 row_shr:1 row_mask:0xf bank_mask:0xf
	v_cmpx_ne_u32_e32 0, v10
	s_cbranch_execz .LBB1911_88
; %bb.87:
	v_and_b32_e32 v11, 1, v9
	v_and_b32_e32 v42, 1, v42
	s_delay_alu instid0(VALU_DEP_2) | instskip(NEXT) | instid1(VALU_DEP_1)
	v_cmp_eq_u32_e64 s10, 1, v11
	v_cndmask_b32_e64 v42, v42, 1, s10
	v_cmp_eq_u16_e64 s10, 0, v9
	s_delay_alu instid0(VALU_DEP_2) | instskip(NEXT) | instid1(VALU_DEP_1)
	v_and_b32_e32 v11, 0xffff, v42
	v_dual_cndmask_b32 v9, 0, v41, s10 :: v_dual_bitop2_b32 v11, v6, v11 bitop3:0x54
	s_delay_alu instid0(VALU_DEP_1)
	v_dual_add_nc_u32 v7, v9, v7 :: v_dual_mov_b32 v9, v42
.LBB1911_88:
	s_or_b32 exec_lo, exec_lo, s12
	s_delay_alu instid0(VALU_DEP_1) | instskip(NEXT) | instid1(VALU_DEP_3)
	v_mov_b32_dpp v41, v7 row_shr:2 row_mask:0xf bank_mask:0xf
	v_mov_b32_dpp v42, v11 row_shr:2 row_mask:0xf bank_mask:0xf
	s_mov_b32 s12, exec_lo
	v_cmpx_lt_u32_e32 1, v10
	s_cbranch_execz .LBB1911_90
; %bb.89:
	v_and_b32_e32 v11, 1, v9
	v_and_b32_e32 v42, 1, v42
	s_delay_alu instid0(VALU_DEP_2) | instskip(NEXT) | instid1(VALU_DEP_1)
	v_cmp_eq_u32_e64 s10, 1, v11
	v_cndmask_b32_e64 v42, v42, 1, s10
	v_cmp_eq_u16_e64 s10, 0, v9
	s_delay_alu instid0(VALU_DEP_2) | instskip(NEXT) | instid1(VALU_DEP_1)
	v_and_b32_e32 v11, 0xffff, v42
	v_dual_cndmask_b32 v9, 0, v41, s10 :: v_dual_bitop2_b32 v11, v6, v11 bitop3:0x54
	s_delay_alu instid0(VALU_DEP_1)
	v_dual_add_nc_u32 v7, v9, v7 :: v_dual_mov_b32 v9, v42
.LBB1911_90:
	s_or_b32 exec_lo, exec_lo, s12
	s_delay_alu instid0(VALU_DEP_1) | instskip(NEXT) | instid1(VALU_DEP_3)
	v_mov_b32_dpp v41, v7 row_shr:4 row_mask:0xf bank_mask:0xf
	v_mov_b32_dpp v42, v11 row_shr:4 row_mask:0xf bank_mask:0xf
	s_mov_b32 s12, exec_lo
	v_cmpx_lt_u32_e32 3, v10
	s_cbranch_execz .LBB1911_92
; %bb.91:
	v_and_b32_e32 v11, 1, v9
	v_and_b32_e32 v42, 1, v42
	s_delay_alu instid0(VALU_DEP_2) | instskip(NEXT) | instid1(VALU_DEP_1)
	v_cmp_eq_u32_e64 s10, 1, v11
	v_cndmask_b32_e64 v42, v42, 1, s10
	v_cmp_eq_u16_e64 s10, 0, v9
	s_delay_alu instid0(VALU_DEP_2) | instskip(NEXT) | instid1(VALU_DEP_1)
	v_and_b32_e32 v11, 0xffff, v42
	v_dual_cndmask_b32 v9, 0, v41, s10 :: v_dual_bitop2_b32 v11, v6, v11 bitop3:0x54
	s_delay_alu instid0(VALU_DEP_1)
	v_dual_add_nc_u32 v7, v9, v7 :: v_dual_mov_b32 v9, v42
.LBB1911_92:
	s_or_b32 exec_lo, exec_lo, s12
	s_delay_alu instid0(VALU_DEP_1) | instskip(NEXT) | instid1(VALU_DEP_3)
	v_mov_b32_dpp v41, v7 row_shr:8 row_mask:0xf bank_mask:0xf
	v_mov_b32_dpp v42, v11 row_shr:8 row_mask:0xf bank_mask:0xf
	s_mov_b32 s12, exec_lo
	v_cmpx_lt_u32_e32 7, v10
	s_cbranch_execz .LBB1911_94
; %bb.93:
	v_and_b32_e32 v10, 1, v9
	v_and_b32_e32 v11, 1, v42
	s_delay_alu instid0(VALU_DEP_2) | instskip(NEXT) | instid1(VALU_DEP_1)
	v_cmp_eq_u32_e64 s10, 1, v10
	v_cndmask_b32_e64 v10, v11, 1, s10
	v_cmp_eq_u16_e64 s10, 0, v9
	s_delay_alu instid0(VALU_DEP_2) | instskip(NEXT) | instid1(VALU_DEP_1)
	v_and_b32_e32 v11, 0xffff, v10
	v_dual_cndmask_b32 v9, 0, v41, s10 :: v_dual_bitop2_b32 v11, v6, v11 bitop3:0x54
	s_delay_alu instid0(VALU_DEP_1)
	v_dual_add_nc_u32 v7, v9, v7 :: v_dual_mov_b32 v9, v10
.LBB1911_94:
	s_or_b32 exec_lo, exec_lo, s12
	ds_swizzle_b32 v10, v11 offset:swizzle(BROADCAST,32,15)
	ds_swizzle_b32 v11, v7 offset:swizzle(BROADCAST,32,15)
	v_and_b32_e32 v41, 1, v9
	v_bfe_i32 v43, v8, 4, 1
	v_and_b32_e32 v3, 0xff, v3
	; wave barrier
	s_delay_alu instid0(VALU_DEP_3) | instskip(SKIP_2) | instid1(VALU_DEP_1)
	v_cmp_eq_u32_e64 s10, 1, v41
	s_wait_dscnt 0x1
	v_dual_add_nc_u32 v41, -1, v8 :: v_dual_bitop2_b32 v10, 1, v10 bitop3:0x40
	v_cndmask_b32_e64 v10, v10, 1, s10
	v_and_b32_e32 v42, 16, v8
	v_cmp_eq_u16_e64 s10, 0, v9
	s_wait_dscnt 0x0
	s_delay_alu instid0(VALU_DEP_1) | instskip(NEXT) | instid1(VALU_DEP_3)
	v_cndmask_b32_e64 v11, 0, v11, s10
	v_cmp_eq_u32_e64 s10, 0, v42
	s_delay_alu instid0(VALU_DEP_1) | instskip(SKIP_1) | instid1(VALU_DEP_4)
	v_cndmask_b32_e64 v9, v10, v9, s10
	v_cmp_gt_i32_e64 s10, 0, v41
	v_and_b32_e32 v10, v43, v11
	s_delay_alu instid0(VALU_DEP_3) | instskip(NEXT) | instid1(VALU_DEP_2)
	v_and_b32_e32 v9, 0xffff, v9
	v_dual_cndmask_b32 v8, v41, v8, s10 :: v_dual_add_nc_u32 v7, v10, v7
	v_cmp_eq_u16_e64 s10, 0, v3
	s_delay_alu instid0(VALU_DEP_2)
	v_lshlrev_b32_e32 v8, 2, v8
	ds_bpermute_b32 v7, v8, v7
	s_wait_dscnt 0x0
	v_dual_cndmask_b32 v3, 0, v7, s10 :: v_dual_bitop2_b32 v6, v6, v9 bitop3:0x54
	ds_bpermute_b32 v6, v8, v6
	v_cmp_eq_u32_e64 s10, 1, v5
	v_add_nc_u32_e32 v2, v3, v2
	s_wait_dscnt 0x0
	v_and_b32_e32 v6, 1, v6
	s_delay_alu instid0(VALU_DEP_1) | instskip(SKIP_1) | instid1(VALU_DEP_1)
	v_cndmask_b32_e64 v3, v6, 1, s10
	v_cmp_eq_u32_e64 s10, 0, v0
	v_dual_cndmask_b32 v8, v3, v13, s10 :: v_dual_cndmask_b32 v5, v2, v12, s10
	ds_store_b32 v4, v5
	ds_store_b8 v4, v8 offset:4
	; wave barrier
	ds_load_u8 v9, v4 offset:12
	ds_load_2addr_b32 v[2:3], v4 offset0:2 offset1:4
	ds_load_u8 v10, v4 offset:20
	ds_load_u8 v11, v4 offset:28
	;; [unrolled: 1-line block ×5, first 2 shown]
	ds_load_b32 v44, v4 offset:56
	ds_load_u8 v45, v4 offset:60
	ds_load_2addr_b32 v[6:7], v4 offset0:6 offset1:8
	s_wait_dscnt 0x9
	v_cmp_eq_u16_e64 s10, 0, v9
	v_and_b32_e32 v9, 1, v9
	s_delay_alu instid0(VALU_DEP_2) | instskip(SKIP_2) | instid1(VALU_DEP_2)
	v_cndmask_b32_e64 v5, 0, v5, s10
	s_wait_dscnt 0x7
	v_cmp_eq_u16_e64 s10, 0, v10
	v_add_nc_u32_e32 v5, v5, v2
	s_delay_alu instid0(VALU_DEP_1) | instskip(SKIP_2) | instid1(VALU_DEP_2)
	v_cndmask_b32_e64 v2, 0, v5, s10
	s_wait_dscnt 0x6
	v_cmp_eq_u16_e64 s10, 0, v11
	v_add_nc_u32_e32 v46, v2, v3
	ds_load_2addr_b32 v[2:3], v4 offset0:10 offset1:12
	v_cndmask_b32_e64 v47, 0, v46, s10
	s_wait_dscnt 0x6
	v_cmp_eq_u16_e64 s10, 0, v41
	ds_store_2addr_b32 v4, v5, v46 offset0:2 offset1:4
	s_wait_dscnt 0x2
	v_add_nc_u32_e32 v6, v47, v6
	s_delay_alu instid0(VALU_DEP_1) | instskip(SKIP_3) | instid1(VALU_DEP_4)
	v_cndmask_b32_e64 v47, 0, v6, s10
	v_cmp_eq_u32_e64 s10, 1, v9
	v_and_b32_e32 v9, 1, v11
	v_and_b32_e32 v11, 1, v41
	v_dual_add_nc_u32 v7, v47, v7 :: v_dual_bitop2_b32 v10, 1, v10 bitop3:0x40
	s_delay_alu instid0(VALU_DEP_4) | instskip(SKIP_1) | instid1(VALU_DEP_3)
	v_cndmask_b32_e64 v8, v8, 1, s10
	v_and_b32_e32 v47, 1, v45
	v_cmp_eq_u32_e64 s10, 1, v10
	s_delay_alu instid0(VALU_DEP_1) | instskip(SKIP_1) | instid1(VALU_DEP_1)
	v_cndmask_b32_e64 v10, v8, 1, s10
	v_cmp_eq_u16_e64 s10, 0, v42
	v_dual_cndmask_b32 v41, 0, v7, s10 :: v_dual_bitop2_b32 v42, 1, v42 bitop3:0x40
	v_cmp_eq_u32_e64 s10, 1, v9
	s_wait_dscnt 0x1
	s_delay_alu instid0(VALU_DEP_2) | instskip(NEXT) | instid1(VALU_DEP_2)
	v_dual_add_nc_u32 v2, v41, v2 :: v_dual_bitop2_b32 v41, 1, v43 bitop3:0x40
	v_cndmask_b32_e64 v9, v10, 1, s10
	v_cmp_eq_u32_e64 s10, 1, v11
	s_delay_alu instid0(VALU_DEP_1) | instskip(SKIP_1) | instid1(VALU_DEP_1)
	v_cndmask_b32_e64 v11, v9, 1, s10
	v_cmp_eq_u16_e64 s10, 0, v43
	v_cndmask_b32_e64 v43, 0, v2, s10
	v_cmp_eq_u32_e64 s10, 1, v42
	s_delay_alu instid0(VALU_DEP_2) | instskip(NEXT) | instid1(VALU_DEP_2)
	v_add_nc_u32_e32 v3, v43, v3
	v_cndmask_b32_e64 v42, v11, 1, s10
	v_cmp_eq_u32_e64 s10, 1, v41
	ds_store_2addr_b32 v4, v6, v7 offset0:6 offset1:8
	ds_store_2addr_b32 v4, v2, v3 offset0:10 offset1:12
	v_cndmask_b32_e64 v41, v42, 1, s10
	v_cmp_eq_u16_e64 s10, 0, v45
	s_delay_alu instid0(VALU_DEP_1) | instskip(SKIP_1) | instid1(VALU_DEP_2)
	v_cndmask_b32_e64 v5, 0, v3, s10
	v_cmp_eq_u32_e64 s10, 1, v47
	v_add_nc_u32_e32 v2, v5, v44
	s_delay_alu instid0(VALU_DEP_2)
	v_cndmask_b32_e64 v43, v41, 1, s10
	ds_store_b8 v4, v8 offset:12
	ds_store_b8 v4, v10 offset:20
	;; [unrolled: 1-line block ×6, first 2 shown]
	ds_store_b32 v4, v2 offset:56
	ds_store_b8 v4, v43 offset:60
.LBB1911_95:
	s_or_b32 exec_lo, exec_lo, s11
	v_cmp_eq_u32_e64 s10, 0, v0
	s_mov_b32 s12, exec_lo
	s_wait_dscnt 0x0
	s_barrier_signal -1
	s_barrier_wait -1
	v_cmpx_ne_u32_e32 0, v0
	s_cbranch_execz .LBB1911_97
; %bb.96:
	v_add_nc_u32_e32 v2, -1, v0
	s_delay_alu instid0(VALU_DEP_1) | instskip(NEXT) | instid1(VALU_DEP_1)
	v_lshrrev_b32_e32 v3, 2, v2
	v_and_b32_e32 v3, 0x3ffffff8, v3
	s_delay_alu instid0(VALU_DEP_1)
	v_lshl_add_u32 v2, v2, 3, v3
	ds_load_b32 v12, v2
	ds_load_u8 v13, v2 offset:4
.LBB1911_97:
	s_or_b32 exec_lo, exec_lo, s12
	s_and_saveexec_b32 s34, vcc_lo
	s_cbranch_execz .LBB1911_117
; %bb.98:
	v_mov_b32_e32 v5, 0
	v_mbcnt_lo_u32_b32 v41, -1, 0
	s_mov_b32 s13, 0
	ds_load_b64 v[2:3], v5 offset:2096
	v_cmp_eq_u32_e64 s11, 0, v41
	s_and_saveexec_b32 s30, s11
	s_cbranch_execz .LBB1911_100
; %bb.99:
	s_add_co_i32 s12, s28, 32
	v_mov_b32_e32 v4, 1
	s_lshl_b64 s[12:13], s[12:13], 4
	s_delay_alu instid0(SALU_CYCLE_1) | instskip(NEXT) | instid1(SALU_CYCLE_1)
	s_add_nc_u64 s[12:13], s[16:17], s[12:13]
	v_mov_b64_e32 v[6:7], s[12:13]
	s_wait_dscnt 0x0
	;;#ASMSTART
	global_store_b128 v[6:7], v[2:5] off scope:SCOPE_DEV	
s_wait_storecnt 0x0
	;;#ASMEND
.LBB1911_100:
	s_or_b32 exec_lo, exec_lo, s30
	v_xad_u32 v8, v41, -1, s28
	s_mov_b32 s12, exec_lo
	s_delay_alu instid0(VALU_DEP_1) | instskip(NEXT) | instid1(VALU_DEP_1)
	v_add_nc_u32_e32 v4, 32, v8
	v_lshl_add_u64 v[10:11], v[4:5], 4, s[16:17]
	;;#ASMSTART
	global_load_b128 v[4:7], v[10:11] off scope:SCOPE_DEV	
s_wait_loadcnt 0x0
	;;#ASMEND
	v_and_b32_e32 v7, 0xff, v6
	v_and_b32_e32 v5, 0xff, v5
	s_delay_alu instid0(VALU_DEP_2)
	v_cmpx_eq_u16_e32 0, v7
	s_cbranch_execz .LBB1911_104
; %bb.101:
	s_mov_b32 s13, 0
.LBB1911_102:                           ; =>This Inner Loop Header: Depth=1
	;;#ASMSTART
	global_load_b128 v[4:7], v[10:11] off scope:SCOPE_DEV	
s_wait_loadcnt 0x0
	;;#ASMEND
	v_and_b32_e32 v7, 0xff, v6
	s_delay_alu instid0(VALU_DEP_1) | instskip(SKIP_1) | instid1(SALU_CYCLE_1)
	v_cmp_ne_u16_e32 vcc_lo, 0, v7
	s_or_b32 s13, vcc_lo, s13
	s_and_not1_b32 exec_lo, exec_lo, s13
	s_cbranch_execnz .LBB1911_102
; %bb.103:
	s_or_b32 exec_lo, exec_lo, s13
	v_and_b32_e32 v5, 0xff, v5
.LBB1911_104:
	s_or_b32 exec_lo, exec_lo, s12
	v_cmp_ne_u32_e32 vcc_lo, 31, v41
	v_and_b32_e32 v9, 0xff, v6
	v_lshlrev_b32_e64 v43, v41, -1
	s_mov_b64 s[30:31], 0x100000000
	v_lshl_or_b32 v52, v41, 2, 64
	v_add_co_ci_u32_e64 v7, null, 0, v41, vcc_lo
	v_cmp_eq_u16_e32 vcc_lo, 2, v9
	v_cmp_gt_u64_e64 s12, s[30:31], v[4:5]
	s_delay_alu instid0(VALU_DEP_3) | instskip(SKIP_1) | instid1(VALU_DEP_2)
	v_dual_lshlrev_b32 v42, 2, v7 :: v_dual_bitop2_b32 v10, 1, v5 bitop3:0x40
	v_and_or_b32 v9, vcc_lo, v43, 0x80000000
	v_cmp_eq_u32_e32 vcc_lo, 1, v10
	ds_bpermute_b32 v7, v42, v5
	ds_bpermute_b32 v10, v42, v4
	v_ctz_i32_b32_e32 v9, v9
	s_wait_dscnt 0x1
	v_and_b32_e32 v7, 1, v7
	s_delay_alu instid0(VALU_DEP_1) | instskip(SKIP_1) | instid1(VALU_DEP_2)
	v_cndmask_b32_e64 v7, v7, 1, vcc_lo
	v_cmp_gt_u32_e32 vcc_lo, 30, v41
	v_and_b32_e32 v45, 0xffff, v7
	v_cndmask_b32_e64 v11, 0, 2, vcc_lo
	v_cmp_lt_u32_e32 vcc_lo, v41, v9
	s_delay_alu instid0(VALU_DEP_2) | instskip(NEXT) | instid1(VALU_DEP_4)
	v_add_lshl_u32 v44, v11, v41, 2
	v_dual_cndmask_b32 v11, v5, v45, vcc_lo :: v_dual_cndmask_b32 v7, v5, v7, vcc_lo
	s_and_b32 vcc_lo, vcc_lo, s12
	s_wait_dscnt 0x0
	v_cndmask_b32_e32 v10, 0, v10, vcc_lo
	ds_bpermute_b32 v5, v44, v11
	v_and_b32_e32 v46, 1, v7
	v_and_b32_e32 v48, 0xff, v7
	v_add_nc_u32_e32 v4, v10, v4
	s_delay_alu instid0(VALU_DEP_3) | instskip(NEXT) | instid1(VALU_DEP_3)
	v_cmp_eq_u32_e32 vcc_lo, 1, v46
	v_cmp_eq_u16_e64 s12, 0, v48
	ds_bpermute_b32 v10, v44, v4
	s_wait_dscnt 0x1
	v_and_b32_e32 v5, 1, v5
	s_delay_alu instid0(VALU_DEP_1) | instskip(SKIP_2) | instid1(VALU_DEP_3)
	v_cndmask_b32_e64 v5, v5, 1, vcc_lo
	v_add_nc_u32_e32 v45, 2, v41
	v_cmp_gt_u32_e32 vcc_lo, 28, v41
	v_and_b32_e32 v47, 0xffff, v5
	v_cndmask_b32_e64 v46, 0, 4, vcc_lo
	s_delay_alu instid0(VALU_DEP_4) | instskip(NEXT) | instid1(VALU_DEP_2)
	v_cmp_gt_u32_e32 vcc_lo, v45, v9
	v_add_lshl_u32 v46, v46, v41, 2
	v_cndmask_b32_e32 v5, v5, v7, vcc_lo
	s_wait_dscnt 0x0
	v_dual_cndmask_b32 v7, v47, v11, vcc_lo :: v_dual_cndmask_b32 v10, 0, v10, s12
	s_delay_alu instid0(VALU_DEP_2) | instskip(SKIP_4) | instid1(VALU_DEP_3)
	v_and_b32_e32 v48, 1, v5
	ds_bpermute_b32 v11, v46, v7
	v_cndmask_b32_e64 v10, v10, 0, vcc_lo
	v_cmp_eq_u32_e32 vcc_lo, 1, v48
	v_and_b32_e32 v48, 0xff, v5
	v_add_nc_u32_e32 v4, v10, v4
	s_delay_alu instid0(VALU_DEP_2)
	v_cmp_eq_u16_e64 s12, 0, v48
	s_wait_dscnt 0x0
	v_and_b32_e32 v11, 1, v11
	ds_bpermute_b32 v10, v46, v4
	v_add_nc_u32_e32 v47, 4, v41
	v_cndmask_b32_e64 v11, v11, 1, vcc_lo
	v_cmp_gt_u32_e32 vcc_lo, 24, v41
	s_delay_alu instid0(VALU_DEP_2) | instskip(SKIP_1) | instid1(VALU_DEP_1)
	v_and_b32_e32 v50, 0xffff, v11
	v_cndmask_b32_e64 v49, 0, 8, vcc_lo
	v_add_lshl_u32 v48, v49, v41, 2
	s_wait_dscnt 0x0
	v_dual_add_nc_u32 v49, 8, v41 :: v_dual_cndmask_b32 v10, 0, v10, s12
	v_cmp_gt_u32_e32 vcc_lo, v47, v9
	v_dual_cndmask_b32 v5, v11, v5, vcc_lo :: v_dual_cndmask_b32 v7, v50, v7, vcc_lo
	s_delay_alu instid0(VALU_DEP_3) | instskip(NEXT) | instid1(VALU_DEP_2)
	v_cndmask_b32_e64 v10, v10, 0, vcc_lo
	v_and_b32_e32 v50, 1, v5
	ds_bpermute_b32 v11, v48, v7
	v_add_nc_u32_e32 v4, v10, v4
	v_and_b32_e32 v51, 0xff, v5
	v_cmp_eq_u32_e32 vcc_lo, 1, v50
	ds_bpermute_b32 v10, v48, v4
	s_wait_dscnt 0x1
	v_and_b32_e32 v11, 1, v11
	s_delay_alu instid0(VALU_DEP_1) | instskip(SKIP_1) | instid1(VALU_DEP_2)
	v_cndmask_b32_e64 v11, v11, 1, vcc_lo
	v_cmp_eq_u16_e32 vcc_lo, 0, v51
	v_and_b32_e32 v50, 0xffff, v11
	s_wait_dscnt 0x0
	v_cndmask_b32_e32 v10, 0, v10, vcc_lo
	v_cmp_gt_u32_e32 vcc_lo, v49, v9
	s_delay_alu instid0(VALU_DEP_3) | instskip(NEXT) | instid1(VALU_DEP_3)
	v_dual_cndmask_b32 v5, v11, v5, vcc_lo :: v_dual_cndmask_b32 v7, v50, v7, vcc_lo
	v_cndmask_b32_e64 v10, v10, 0, vcc_lo
	s_delay_alu instid0(VALU_DEP_2) | instskip(SKIP_3) | instid1(VALU_DEP_1)
	v_and_b32_e32 v50, 1, v5
	ds_bpermute_b32 v7, v52, v7
	v_add_nc_u32_e32 v4, v10, v4
	v_and_b32_e32 v11, 0xff, v5
	v_cmp_eq_u16_e32 vcc_lo, 0, v11
	s_wait_dscnt 0x0
	v_and_b32_e32 v7, 1, v7
	ds_bpermute_b32 v10, v52, v4
	s_wait_dscnt 0x0
	v_dual_cndmask_b32 v10, 0, v10 :: v_dual_add_nc_u32 v53, 16, v41
	v_cmp_eq_u32_e32 vcc_lo, 1, v50
	v_cndmask_b32_e64 v7, v7, 1, vcc_lo
	s_delay_alu instid0(VALU_DEP_3) | instskip(NEXT) | instid1(VALU_DEP_2)
	v_cmp_gt_u32_e32 vcc_lo, v53, v9
	v_dual_mov_b32 v9, 0 :: v_dual_cndmask_b32 v5, v7, v5, vcc_lo
	v_cndmask_b32_e64 v7, v10, 0, vcc_lo
	s_delay_alu instid0(VALU_DEP_1)
	v_add_nc_u32_e32 v4, v7, v4
	s_branch .LBB1911_108
.LBB1911_105:                           ;   in Loop: Header=BB1911_108 Depth=1
	s_or_b32 exec_lo, exec_lo, s13
	v_and_b32_e32 v5, 0xff, v5
.LBB1911_106:                           ;   in Loop: Header=BB1911_108 Depth=1
	s_or_b32 exec_lo, exec_lo, s12
	ds_bpermute_b32 v7, v42, v5
	v_and_b32_e32 v10, 0xff, v6
	v_cmp_gt_u64_e64 s12, s[30:31], v[4:5]
	v_subrev_nc_u32_e32 v8, 32, v8
	s_delay_alu instid0(VALU_DEP_3) | instskip(SKIP_2) | instid1(VALU_DEP_2)
	v_cmp_eq_u16_e32 vcc_lo, 2, v10
	v_and_b32_e32 v10, 1, v5
	v_and_or_b32 v11, vcc_lo, v43, 0x80000000
	v_cmp_eq_u32_e32 vcc_lo, 1, v10
	s_delay_alu instid0(VALU_DEP_2) | instskip(SKIP_3) | instid1(VALU_DEP_1)
	v_ctz_i32_b32_e32 v10, v11
	ds_bpermute_b32 v11, v42, v4
	s_wait_dscnt 0x1
	v_and_b32_e32 v7, 1, v7
	v_cndmask_b32_e64 v7, v7, 1, vcc_lo
	v_cmp_lt_u32_e32 vcc_lo, v41, v10
	s_delay_alu instid0(VALU_DEP_2) | instskip(NEXT) | instid1(VALU_DEP_1)
	v_and_b32_e32 v54, 0xffff, v7
	v_dual_cndmask_b32 v7, v5, v7 :: v_dual_cndmask_b32 v54, v5, v54
	s_and_b32 vcc_lo, vcc_lo, s12
	s_delay_alu instid0(VALU_DEP_1)
	v_and_b32_e32 v56, 0xff, v7
	v_and_b32_e32 v55, 1, v7
	ds_bpermute_b32 v5, v44, v54
	s_wait_dscnt 0x1
	v_cndmask_b32_e32 v11, 0, v11, vcc_lo
	v_cmp_eq_u16_e64 s12, 0, v56
	v_cmp_eq_u32_e32 vcc_lo, 1, v55
	s_wait_dscnt 0x0
	s_delay_alu instid0(VALU_DEP_3) | instskip(NEXT) | instid1(VALU_DEP_1)
	v_dual_add_nc_u32 v4, v11, v4 :: v_dual_bitop2_b32 v5, 1, v5 bitop3:0x40
	v_cndmask_b32_e64 v5, v5, 1, vcc_lo
	ds_bpermute_b32 v11, v44, v4
	v_cmp_gt_u32_e32 vcc_lo, v45, v10
	v_and_b32_e32 v55, 0xffff, v5
	s_delay_alu instid0(VALU_DEP_1) | instskip(NEXT) | instid1(VALU_DEP_1)
	v_dual_cndmask_b32 v5, v5, v7, vcc_lo :: v_dual_cndmask_b32 v7, v55, v54, vcc_lo
	v_and_b32_e32 v55, 1, v5
	ds_bpermute_b32 v54, v46, v7
	s_wait_dscnt 0x1
	v_cndmask_b32_e64 v11, 0, v11, s12
	s_delay_alu instid0(VALU_DEP_1) | instskip(SKIP_2) | instid1(VALU_DEP_3)
	v_cndmask_b32_e64 v11, v11, 0, vcc_lo
	v_cmp_eq_u32_e32 vcc_lo, 1, v55
	v_and_b32_e32 v55, 0xff, v5
	v_add_nc_u32_e32 v4, v11, v4
	s_delay_alu instid0(VALU_DEP_2)
	v_cmp_eq_u16_e64 s12, 0, v55
	s_wait_dscnt 0x0
	v_and_b32_e32 v54, 1, v54
	ds_bpermute_b32 v11, v46, v4
	v_cndmask_b32_e64 v54, v54, 1, vcc_lo
	v_cmp_gt_u32_e32 vcc_lo, v47, v10
	s_delay_alu instid0(VALU_DEP_2) | instskip(SKIP_3) | instid1(VALU_DEP_1)
	v_and_b32_e32 v56, 0xffff, v54
	s_wait_dscnt 0x0
	v_dual_cndmask_b32 v5, v54, v5, vcc_lo :: v_dual_cndmask_b32 v11, 0, v11, s12
	s_mov_b32 s12, 0
	v_cndmask_b32_e64 v11, v11, 0, vcc_lo
	v_cndmask_b32_e32 v7, v56, v7, vcc_lo
	s_delay_alu instid0(VALU_DEP_3) | instskip(NEXT) | instid1(VALU_DEP_3)
	v_and_b32_e32 v56, 0xff, v5
	v_add_nc_u32_e32 v4, v11, v4
	ds_bpermute_b32 v54, v48, v7
	ds_bpermute_b32 v11, v48, v4
	v_and_b32_e32 v55, 1, v5
	s_delay_alu instid0(VALU_DEP_1) | instskip(SKIP_2) | instid1(VALU_DEP_1)
	v_cmp_eq_u32_e32 vcc_lo, 1, v55
	s_wait_dscnt 0x1
	v_and_b32_e32 v54, 1, v54
	v_cndmask_b32_e64 v54, v54, 1, vcc_lo
	v_cmp_eq_u16_e32 vcc_lo, 0, v56
	s_delay_alu instid0(VALU_DEP_2) | instskip(SKIP_3) | instid1(VALU_DEP_2)
	v_and_b32_e32 v55, 0xffff, v54
	s_wait_dscnt 0x0
	v_cndmask_b32_e32 v11, 0, v11, vcc_lo
	v_cmp_gt_u32_e32 vcc_lo, v49, v10
	v_cndmask_b32_e64 v11, v11, 0, vcc_lo
	v_dual_cndmask_b32 v7, v55, v7, vcc_lo :: v_dual_cndmask_b32 v5, v54, v5, vcc_lo
	s_delay_alu instid0(VALU_DEP_2) | instskip(SKIP_4) | instid1(VALU_DEP_1)
	v_add_nc_u32_e32 v4, v11, v4
	ds_bpermute_b32 v7, v52, v7
	v_and_b32_e32 v55, 0xff, v5
	ds_bpermute_b32 v11, v52, v4
	v_and_b32_e32 v54, 1, v5
	v_cmp_eq_u32_e32 vcc_lo, 1, v54
	s_wait_dscnt 0x1
	v_cndmask_b32_e64 v7, v7, 1, vcc_lo
	v_cmp_eq_u16_e32 vcc_lo, 0, v55
	s_wait_dscnt 0x0
	v_cndmask_b32_e32 v11, 0, v11, vcc_lo
	v_cmp_gt_u32_e32 vcc_lo, v53, v10
	v_and_b32_e32 v10, 0xff, v50
	v_cndmask_b32_e32 v5, v7, v5, vcc_lo
	s_delay_alu instid0(VALU_DEP_4) | instskip(NEXT) | instid1(VALU_DEP_3)
	v_cndmask_b32_e64 v7, v11, 0, vcc_lo
	v_cmp_eq_u16_e32 vcc_lo, 0, v10
	s_delay_alu instid0(VALU_DEP_2) | instskip(NEXT) | instid1(VALU_DEP_1)
	v_dual_add_nc_u32 v4, v7, v4 :: v_dual_bitop2_b32 v7, 1, v50 bitop3:0x40
	v_dual_cndmask_b32 v4, 0, v4, vcc_lo :: v_dual_bitop2_b32 v5, 1, v5 bitop3:0x40
	s_delay_alu instid0(VALU_DEP_2) | instskip(NEXT) | instid1(VALU_DEP_2)
	v_cmp_eq_u32_e32 vcc_lo, 1, v7
	v_add_nc_u32_e32 v4, v4, v51
	s_delay_alu instid0(VALU_DEP_3)
	v_cndmask_b32_e64 v5, v5, 1, vcc_lo
.LBB1911_107:                           ;   in Loop: Header=BB1911_108 Depth=1
	s_and_b32 vcc_lo, exec_lo, s12
	s_cbranch_vccnz .LBB1911_113
.LBB1911_108:                           ; =>This Loop Header: Depth=1
                                        ;     Child Loop BB1911_111 Depth 2
	v_and_b32_e32 v6, 0xff, v6
	s_delay_alu instid0(VALU_DEP_2) | instskip(SKIP_1) | instid1(VALU_DEP_2)
	v_dual_mov_b32 v50, v5 :: v_dual_mov_b32 v51, v4
	s_mov_b32 s12, -1
                                        ; implicit-def: $vgpr5
                                        ; implicit-def: $vgpr4
	v_cmp_ne_u16_e32 vcc_lo, 2, v6
                                        ; implicit-def: $vgpr6
	s_cmp_lg_u32 vcc_lo, exec_lo
	s_cbranch_scc1 .LBB1911_107
; %bb.109:                              ;   in Loop: Header=BB1911_108 Depth=1
	v_lshl_add_u64 v[10:11], v[8:9], 4, s[16:17]
	;;#ASMSTART
	global_load_b128 v[4:7], v[10:11] off scope:SCOPE_DEV	
s_wait_loadcnt 0x0
	;;#ASMEND
	v_and_b32_e32 v7, 0xff, v6
	v_and_b32_e32 v5, 0xff, v5
	s_mov_b32 s12, exec_lo
	s_delay_alu instid0(VALU_DEP_2)
	v_cmpx_eq_u16_e32 0, v7
	s_cbranch_execz .LBB1911_106
; %bb.110:                              ;   in Loop: Header=BB1911_108 Depth=1
	s_mov_b32 s13, 0
.LBB1911_111:                           ;   Parent Loop BB1911_108 Depth=1
                                        ; =>  This Inner Loop Header: Depth=2
	;;#ASMSTART
	global_load_b128 v[4:7], v[10:11] off scope:SCOPE_DEV	
s_wait_loadcnt 0x0
	;;#ASMEND
	v_and_b32_e32 v7, 0xff, v6
	s_delay_alu instid0(VALU_DEP_1) | instskip(SKIP_1) | instid1(SALU_CYCLE_1)
	v_cmp_ne_u16_e32 vcc_lo, 0, v7
	s_or_b32 s13, vcc_lo, s13
	s_and_not1_b32 exec_lo, exec_lo, s13
	s_cbranch_execnz .LBB1911_111
	s_branch .LBB1911_105
.LBB1911_112:
                                        ; implicit-def: $vgpr13
                                        ; implicit-def: $vgpr9
                                        ; implicit-def: $vgpr5
	s_cbranch_execnz .LBB1911_118
	s_branch .LBB1911_135
.LBB1911_113:
	s_and_saveexec_b32 s12, s11
	s_cbranch_execz .LBB1911_115
; %bb.114:
	v_and_b32_e32 v4, 0xff, v3
	s_mov_b32 s31, 0
	s_add_co_i32 s30, s28, 32
	v_and_b32_e32 v5, 1, v50
	s_lshl_b64 s[30:31], s[30:31], 4
	v_cmp_eq_u32_e32 vcc_lo, 0, v4
	s_add_nc_u64 s[30:31], s[16:17], s[30:31]
	s_delay_alu instid0(SALU_CYCLE_1) | instskip(SKIP_1) | instid1(VALU_DEP_1)
	v_mov_b64_e32 v[6:7], s[30:31]
	v_cndmask_b32_e32 v4, 0, v51, vcc_lo
	v_dual_add_nc_u32 v2, v4, v2 :: v_dual_bitop2_b32 v3, 1, v3 bitop3:0x40
	s_delay_alu instid0(VALU_DEP_1)
	v_cmp_eq_u32_e32 vcc_lo, 1, v3
	v_mov_b32_e32 v4, 2
	v_cndmask_b32_e64 v3, v5, 1, vcc_lo
	v_mov_b32_e32 v5, 0
	;;#ASMSTART
	global_store_b128 v[6:7], v[2:5] off scope:SCOPE_DEV	
s_wait_storecnt 0x0
	;;#ASMEND
.LBB1911_115:
	s_or_b32 exec_lo, exec_lo, s12
	s_delay_alu instid0(SALU_CYCLE_1)
	s_and_b32 exec_lo, exec_lo, s10
	s_cbranch_execz .LBB1911_117
; %bb.116:
	v_mov_b32_e32 v2, 0
	ds_store_b32 v2, v51
	ds_store_b8 v2, v50 offset:4
.LBB1911_117:
	s_or_b32 exec_lo, exec_lo, s34
	s_wait_dscnt 0x0
	v_and_b32_e32 v3, 0xff, v13
	s_barrier_signal -1
	s_barrier_wait -1
	s_delay_alu instid0(VALU_DEP_1)
	v_cmp_eq_u16_e32 vcc_lo, 0, v3
	v_mov_b32_e32 v4, 0
	v_and_b32_e32 v5, 0xff, v15
	ds_load_b32 v2, v4
	s_wait_dscnt 0x0
	v_cndmask_b32_e32 v3, 0, v2, vcc_lo
	v_cmp_eq_u64_e32 vcc_lo, 0, v[4:5]
	s_delay_alu instid0(VALU_DEP_2) | instskip(NEXT) | instid1(VALU_DEP_1)
	v_add_nc_u32_e32 v3, v3, v12
	v_cndmask_b32_e64 v2, v3, v2, s10
	s_delay_alu instid0(VALU_DEP_1) | instskip(NEXT) | instid1(VALU_DEP_1)
	v_cndmask_b32_e32 v3, 0, v2, vcc_lo
	v_add_nc_u32_e32 v3, v3, v14
	s_delay_alu instid0(VALU_DEP_1) | instskip(NEXT) | instid1(VALU_DEP_1)
	v_cndmask_b32_e64 v4, 0, v3, s0
	v_add_nc_u32_e32 v4, v4, v36
	s_delay_alu instid0(VALU_DEP_1) | instskip(NEXT) | instid1(VALU_DEP_1)
	v_cndmask_b32_e64 v5, 0, v4, s1
	;; [unrolled: 3-line block ×10, first 2 shown]
	v_add_nc_u32_e32 v13, v13, v16
	s_branch .LBB1911_135
.LBB1911_118:
	s_cmp_eq_u64 s[24:25], 0
	v_mov_b32_e32 v41, s33
	s_cselect_b32 s0, -1, 0
	s_cmp_eq_u64 s[22:23], 0
	s_cselect_b32 s1, -1, 0
	s_delay_alu instid0(SALU_CYCLE_1) | instskip(NEXT) | instid1(SALU_CYCLE_1)
	s_or_b32 s0, s0, s1
	s_and_b32 vcc_lo, exec_lo, s0
	s_cbranch_vccnz .LBB1911_120
; %bb.119:
	v_mov_b32_e32 v2, 0
	global_load_b32 v41, v2, s[22:23]
.LBB1911_120:
	s_mov_b64 s[10:11], 0x100000000
	v_or3_b32 v3, v40, v25, v29
	v_cmp_gt_u64_e32 vcc_lo, s[10:11], v[36:37]
	v_cmp_gt_u64_e64 s0, s[10:11], v[34:35]
	v_cmp_gt_u64_e64 s9, s[10:11], v[38:39]
	v_cmp_gt_u64_e64 s1, s[10:11], v[32:33]
	v_cmp_gt_u64_e64 s2, s[10:11], v[30:31]
	v_cmp_gt_u64_e64 s3, s[10:11], v[28:29]
	v_cmp_gt_u64_e64 s4, s[10:11], v[24:25]
	s_wait_xcnt 0x0
	v_dual_cndmask_b32 v2, 0, v14, vcc_lo :: v_dual_bitop2_b32 v1, 56, v1 bitop3:0x40
	v_cmp_gt_u64_e64 s5, s[10:11], v[22:23]
	v_cmp_gt_u64_e64 s6, s[10:11], v[20:21]
	;; [unrolled: 1-line block ×3, first 2 shown]
	s_delay_alu instid0(VALU_DEP_4)
	v_add_nc_u32_e32 v2, v2, v36
	v_or3_b32 v3, v3, v31, v33
	v_cmp_gt_u64_e64 s8, s[10:11], v[16:17]
	v_lshl_add_u32 v1, v0, 3, v1
	s_mov_b32 s10, exec_lo
	v_cndmask_b32_e64 v2, 0, v2, s0
	v_or3_b32 v3, v3, v35, v37
	s_delay_alu instid0(VALU_DEP_2) | instskip(NEXT) | instid1(VALU_DEP_2)
	v_add_nc_u32_e32 v2, v2, v34
	v_or3_b32 v3, v39, v27, v3
	s_delay_alu instid0(VALU_DEP_2) | instskip(NEXT) | instid1(VALU_DEP_2)
	v_cndmask_b32_e64 v2, 0, v2, s1
	v_and_b32_e32 v3, 0xff, v3
	s_delay_alu instid0(VALU_DEP_2) | instskip(NEXT) | instid1(VALU_DEP_1)
	v_add_nc_u32_e32 v2, v2, v32
	v_cndmask_b32_e64 v2, 0, v2, s2
	s_delay_alu instid0(VALU_DEP_1) | instskip(NEXT) | instid1(VALU_DEP_1)
	v_add_nc_u32_e32 v2, v2, v30
	v_cndmask_b32_e64 v2, 0, v2, s3
	s_delay_alu instid0(VALU_DEP_1) | instskip(NEXT) | instid1(VALU_DEP_1)
	;; [unrolled: 3-line block ×7, first 2 shown]
	v_dual_add_nc_u32 v4, v2, v16 :: v_dual_mov_b32 v2, 0
	v_cndmask_b32_e64 v4, 0, v4, s9
	s_delay_alu instid0(VALU_DEP_2) | instskip(NEXT) | instid1(VALU_DEP_1)
	v_cmp_eq_u64_e64 s9, 0, v[2:3]
	v_dual_add_nc_u32 v4, v4, v38 :: v_dual_cndmask_b32 v5, 1, v15, s9
	ds_store_b32 v1, v4
	ds_store_b8 v1, v5 offset:4
	s_wait_loadcnt_dscnt 0x0
	s_barrier_signal -1
	s_barrier_wait -1
	v_cmpx_gt_u32_e32 32, v0
	s_cbranch_execz .LBB1911_130
; %bb.121:
	v_dual_lshlrev_b32 v1, 1, v0 :: v_dual_lshlrev_b32 v2, 6, v0
	s_mov_b32 s11, exec_lo
	s_delay_alu instid0(VALU_DEP_1) | instskip(NEXT) | instid1(VALU_DEP_1)
	v_and_b32_e32 v1, 0x1f8, v1
	v_add_nc_u32_e32 v1, v1, v2
	ds_load_u8 v12, v1 offset:12
	ds_load_b64 v[2:3], v1
	ds_load_2addr_b32 v[6:7], v1 offset0:2 offset1:4
	ds_load_u8 v13, v1 offset:20
	ds_load_u8 v17, v1 offset:28
	;; [unrolled: 1-line block ×5, first 2 shown]
	ds_load_b32 v25, v1 offset:56
	s_wait_dscnt 0x8
	v_cmp_eq_u16_e64 s9, 0, v12
	s_wait_dscnt 0x7
	s_delay_alu instid0(VALU_DEP_1)
	v_cndmask_b32_e64 v10, 0, v2, s9
	ds_load_2addr_b32 v[8:9], v1 offset0:6 offset1:8
	s_wait_dscnt 0x6
	v_cmp_eq_u16_e64 s9, 0, v13
	v_add_nc_u32_e32 v6, v10, v6
	ds_load_2addr_b32 v[10:11], v1 offset0:10 offset1:12
	v_cndmask_b32_e64 v6, 0, v6, s9
	s_wait_dscnt 0x6
	v_cmp_eq_u16_e64 s9, 0, v17
	s_delay_alu instid0(VALU_DEP_2) | instskip(NEXT) | instid1(VALU_DEP_1)
	v_dual_add_nc_u32 v6, v6, v7 :: v_dual_bitop2_b32 v7, v13, v12 bitop3:0x54
	v_cndmask_b32_e64 v6, 0, v6, s9
	s_wait_dscnt 0x5
	v_cmp_eq_u16_e64 s9, 0, v19
	s_delay_alu instid0(VALU_DEP_3)
	v_bitop3_b16 v7, v7, v19, v17 bitop3:0xfe
	s_wait_dscnt 0x1
	v_add_nc_u32_e32 v6, v6, v8
	ds_load_u8 v8, v1 offset:60
	v_bitop3_b16 v7, v7, v23, v21 bitop3:0xfe
	v_cndmask_b32_e64 v6, 0, v6, s9
	v_cmp_eq_u16_e64 s9, 0, v21
	s_delay_alu instid0(VALU_DEP_2) | instskip(NEXT) | instid1(VALU_DEP_1)
	v_add_nc_u32_e32 v6, v6, v9
	v_dual_cndmask_b32 v9, 0, v6, s9 :: v_dual_bitop2_b32 v6, 1, v3 bitop3:0x40
	v_cmp_eq_u16_e64 s9, 0, v7
	s_wait_dscnt 0x0
	s_delay_alu instid0(VALU_DEP_2) | instskip(NEXT) | instid1(VALU_DEP_2)
	v_dual_add_nc_u32 v9, v9, v10 :: v_dual_bitop2_b32 v10, 1, v8 bitop3:0x40
	v_cndmask_b32_e64 v7, 1, v6, s9
	v_cmp_eq_u16_e64 s9, 0, v23
	s_delay_alu instid0(VALU_DEP_1) | instskip(NEXT) | instid1(VALU_DEP_4)
	v_cndmask_b32_e64 v9, 0, v9, s9
	v_cmp_eq_u32_e64 s9, 1, v10
	s_delay_alu instid0(VALU_DEP_2) | instskip(NEXT) | instid1(VALU_DEP_2)
	v_add_nc_u32_e32 v9, v9, v11
	v_cndmask_b32_e64 v10, v7, 1, s9
	v_cmp_eq_u16_e64 s9, 0, v8
	v_and_b32_e32 v7, 0xffffff00, v3
	s_delay_alu instid0(VALU_DEP_3) | instskip(NEXT) | instid1(VALU_DEP_3)
	v_and_b32_e32 v11, 0xffff, v10
	v_cndmask_b32_e64 v8, 0, v9, s9
	v_mbcnt_lo_u32_b32 v9, -1, 0
	s_delay_alu instid0(VALU_DEP_2) | instskip(NEXT) | instid1(VALU_DEP_2)
	v_dual_add_nc_u32 v8, v8, v25 :: v_dual_bitop2_b32 v12, v7, v11 bitop3:0x54
	v_and_b32_e32 v11, 15, v9
	s_delay_alu instid0(VALU_DEP_2) | instskip(NEXT) | instid1(VALU_DEP_3)
	v_mov_b32_dpp v17, v12 row_shr:1 row_mask:0xf bank_mask:0xf
	v_mov_b32_dpp v13, v8 row_shr:1 row_mask:0xf bank_mask:0xf
	s_delay_alu instid0(VALU_DEP_3)
	v_cmpx_ne_u32_e32 0, v11
	s_cbranch_execz .LBB1911_123
; %bb.122:
	v_and_b32_e32 v12, 1, v10
	v_and_b32_e32 v17, 1, v17
	s_delay_alu instid0(VALU_DEP_2) | instskip(NEXT) | instid1(VALU_DEP_1)
	v_cmp_eq_u32_e64 s9, 1, v12
	v_cndmask_b32_e64 v17, v17, 1, s9
	v_cmp_eq_u16_e64 s9, 0, v10
	s_delay_alu instid0(VALU_DEP_2) | instskip(NEXT) | instid1(VALU_DEP_1)
	v_and_b32_e32 v12, 0xffff, v17
	v_dual_cndmask_b32 v10, 0, v13, s9 :: v_dual_bitop2_b32 v12, v7, v12 bitop3:0x54
	s_delay_alu instid0(VALU_DEP_1)
	v_dual_add_nc_u32 v8, v10, v8 :: v_dual_mov_b32 v10, v17
.LBB1911_123:
	s_or_b32 exec_lo, exec_lo, s11
	s_delay_alu instid0(VALU_DEP_1) | instskip(NEXT) | instid1(VALU_DEP_3)
	v_mov_b32_dpp v13, v8 row_shr:2 row_mask:0xf bank_mask:0xf
	v_mov_b32_dpp v17, v12 row_shr:2 row_mask:0xf bank_mask:0xf
	s_mov_b32 s11, exec_lo
	v_cmpx_lt_u32_e32 1, v11
	s_cbranch_execz .LBB1911_125
; %bb.124:
	v_and_b32_e32 v12, 1, v10
	v_and_b32_e32 v17, 1, v17
	s_delay_alu instid0(VALU_DEP_2) | instskip(NEXT) | instid1(VALU_DEP_1)
	v_cmp_eq_u32_e64 s9, 1, v12
	v_cndmask_b32_e64 v17, v17, 1, s9
	v_cmp_eq_u16_e64 s9, 0, v10
	s_delay_alu instid0(VALU_DEP_2) | instskip(NEXT) | instid1(VALU_DEP_1)
	v_and_b32_e32 v12, 0xffff, v17
	v_dual_cndmask_b32 v10, 0, v13, s9 :: v_dual_bitop2_b32 v12, v7, v12 bitop3:0x54
	s_delay_alu instid0(VALU_DEP_1)
	v_dual_add_nc_u32 v8, v10, v8 :: v_dual_mov_b32 v10, v17
.LBB1911_125:
	s_or_b32 exec_lo, exec_lo, s11
	s_delay_alu instid0(VALU_DEP_1) | instskip(NEXT) | instid1(VALU_DEP_3)
	v_mov_b32_dpp v13, v8 row_shr:4 row_mask:0xf bank_mask:0xf
	v_mov_b32_dpp v17, v12 row_shr:4 row_mask:0xf bank_mask:0xf
	s_mov_b32 s11, exec_lo
	v_cmpx_lt_u32_e32 3, v11
	;; [unrolled: 20-line block ×3, first 2 shown]
	s_cbranch_execz .LBB1911_129
; %bb.128:
	v_and_b32_e32 v11, 1, v10
	v_and_b32_e32 v12, 1, v17
	s_delay_alu instid0(VALU_DEP_2) | instskip(NEXT) | instid1(VALU_DEP_1)
	v_cmp_eq_u32_e64 s9, 1, v11
	v_cndmask_b32_e64 v11, v12, 1, s9
	v_cmp_eq_u16_e64 s9, 0, v10
	s_delay_alu instid0(VALU_DEP_2) | instskip(NEXT) | instid1(VALU_DEP_1)
	v_and_b32_e32 v12, 0xffff, v11
	v_dual_cndmask_b32 v10, 0, v13, s9 :: v_dual_bitop2_b32 v12, v7, v12 bitop3:0x54
	s_delay_alu instid0(VALU_DEP_1)
	v_dual_add_nc_u32 v8, v10, v8 :: v_dual_mov_b32 v10, v11
.LBB1911_129:
	s_or_b32 exec_lo, exec_lo, s11
	ds_swizzle_b32 v11, v12 offset:swizzle(BROADCAST,32,15)
	ds_swizzle_b32 v12, v8 offset:swizzle(BROADCAST,32,15)
	v_and_b32_e32 v13, 1, v10
	v_bfe_i32 v19, v9, 4, 1
	v_and_b32_e32 v3, 0xff, v3
	; wave barrier
	s_delay_alu instid0(VALU_DEP_3) | instskip(SKIP_2) | instid1(VALU_DEP_1)
	v_cmp_eq_u32_e64 s9, 1, v13
	s_wait_dscnt 0x1
	v_dual_add_nc_u32 v13, -1, v9 :: v_dual_bitop2_b32 v11, 1, v11 bitop3:0x40
	v_cndmask_b32_e64 v11, v11, 1, s9
	v_and_b32_e32 v17, 16, v9
	v_cmp_eq_u16_e64 s9, 0, v10
	s_wait_dscnt 0x0
	s_delay_alu instid0(VALU_DEP_1) | instskip(NEXT) | instid1(VALU_DEP_3)
	v_cndmask_b32_e64 v12, 0, v12, s9
	v_cmp_eq_u32_e64 s9, 0, v17
	s_delay_alu instid0(VALU_DEP_1) | instskip(SKIP_1) | instid1(VALU_DEP_4)
	v_cndmask_b32_e64 v10, v11, v10, s9
	v_cmp_gt_i32_e64 s9, 0, v13
	v_and_b32_e32 v11, v19, v12
	s_delay_alu instid0(VALU_DEP_3) | instskip(NEXT) | instid1(VALU_DEP_2)
	v_and_b32_e32 v10, 0xffff, v10
	v_dual_cndmask_b32 v9, v13, v9, s9 :: v_dual_add_nc_u32 v8, v11, v8
	v_cmp_eq_u16_e64 s9, 0, v3
	s_delay_alu instid0(VALU_DEP_2)
	v_lshlrev_b32_e32 v9, 2, v9
	ds_bpermute_b32 v8, v9, v8
	s_wait_dscnt 0x0
	v_dual_cndmask_b32 v3, 0, v8, s9 :: v_dual_bitop2_b32 v7, v7, v10 bitop3:0x54
	ds_bpermute_b32 v7, v9, v7
	v_cmp_eq_u32_e64 s9, 1, v6
	s_wait_dscnt 0x0
	v_dual_add_nc_u32 v2, v3, v2 :: v_dual_bitop2_b32 v7, 1, v7 bitop3:0x40
	s_delay_alu instid0(VALU_DEP_1) | instskip(SKIP_1) | instid1(VALU_DEP_1)
	v_cndmask_b32_e64 v3, v7, 1, s9
	v_cmp_eq_u32_e64 s9, 0, v0
	v_dual_cndmask_b32 v4, v2, v4, s9 :: v_dual_cndmask_b32 v6, v3, v5, s9
	ds_store_b32 v1, v4
	ds_store_b8 v1, v6 offset:4
	; wave barrier
	ds_load_u8 v7, v1 offset:12
	ds_load_2addr_b32 v[2:3], v1 offset0:2 offset1:4
	ds_load_u8 v8, v1 offset:20
	ds_load_u8 v9, v1 offset:28
	;; [unrolled: 1-line block ×5, first 2 shown]
	ds_load_b32 v13, v1 offset:56
	ds_load_u8 v17, v1 offset:60
	s_wait_dscnt 0x8
	v_cmp_eq_u16_e64 s9, 0, v7
	s_delay_alu instid0(VALU_DEP_1) | instskip(SKIP_4) | instid1(VALU_DEP_1)
	v_cndmask_b32_e64 v19, 0, v4, s9
	ds_load_2addr_b32 v[4:5], v1 offset0:6 offset1:8
	s_wait_dscnt 0x7
	v_cmp_eq_u16_e64 s9, 0, v8
	v_add_nc_u32_e32 v19, v19, v2
	v_cndmask_b32_e64 v2, 0, v19, s9
	s_wait_dscnt 0x6
	v_cmp_eq_u16_e64 s9, 0, v9
	s_delay_alu instid0(VALU_DEP_2)
	v_add_nc_u32_e32 v21, v2, v3
	ds_load_2addr_b32 v[2:3], v1 offset0:10 offset1:12
	v_cndmask_b32_e64 v23, 0, v21, s9
	s_wait_dscnt 0x6
	v_cmp_eq_u16_e64 s9, 0, v10
	ds_store_2addr_b32 v1, v19, v21 offset0:2 offset1:4
	s_wait_dscnt 0x2
	v_dual_add_nc_u32 v4, v23, v4 :: v_dual_bitop2_b32 v7, 1, v7 bitop3:0x40
	s_delay_alu instid0(VALU_DEP_1) | instskip(SKIP_1) | instid1(VALU_DEP_3)
	v_cndmask_b32_e64 v23, 0, v4, s9
	v_and_b32_e32 v8, 1, v8
	v_cmp_eq_u32_e64 s9, 1, v7
	v_and_b32_e32 v7, 1, v9
	s_delay_alu instid0(VALU_DEP_4) | instskip(NEXT) | instid1(VALU_DEP_3)
	v_add_nc_u32_e32 v5, v23, v5
	v_cndmask_b32_e64 v6, v6, 1, s9
	v_cmp_eq_u32_e64 s9, 1, v8
	s_delay_alu instid0(VALU_DEP_1) | instskip(SKIP_1) | instid1(VALU_DEP_1)
	v_cndmask_b32_e64 v8, v6, 1, s9
	v_cmp_eq_u16_e64 s9, 0, v11
	v_dual_cndmask_b32 v10, 0, v5, s9 :: v_dual_bitop2_b32 v9, 1, v10 bitop3:0x40
	s_wait_dscnt 0x1
	s_delay_alu instid0(VALU_DEP_1) | instskip(SKIP_2) | instid1(VALU_DEP_2)
	v_add_nc_u32_e32 v2, v10, v2
	v_cmp_eq_u32_e64 s9, 1, v7
	v_and_b32_e32 v10, 1, v12
	v_cndmask_b32_e64 v7, v8, 1, s9
	v_cmp_eq_u32_e64 s9, 1, v9
	s_delay_alu instid0(VALU_DEP_1) | instskip(SKIP_1) | instid1(VALU_DEP_1)
	v_cndmask_b32_e64 v9, v7, 1, s9
	v_cmp_eq_u16_e64 s9, 0, v12
	v_dual_cndmask_b32 v12, 0, v2, s9 :: v_dual_bitop2_b32 v11, 1, v11 bitop3:0x40
	s_delay_alu instid0(VALU_DEP_1) | instskip(NEXT) | instid1(VALU_DEP_2)
	v_cmp_eq_u32_e64 s9, 1, v11
	v_add_nc_u32_e32 v3, v12, v3
	s_delay_alu instid0(VALU_DEP_2)
	v_cndmask_b32_e64 v11, v9, 1, s9
	v_cmp_eq_u32_e64 s9, 1, v10
	ds_store_2addr_b32 v1, v4, v5 offset0:6 offset1:8
	ds_store_2addr_b32 v1, v2, v3 offset0:10 offset1:12
	v_cndmask_b32_e64 v10, v11, 1, s9
	v_cmp_eq_u16_e64 s9, 0, v17
	s_delay_alu instid0(VALU_DEP_1) | instskip(NEXT) | instid1(VALU_DEP_1)
	v_dual_cndmask_b32 v12, 0, v3, s9 :: v_dual_bitop2_b32 v23, 1, v17 bitop3:0x40
	v_cmp_eq_u32_e64 s9, 1, v23
	s_delay_alu instid0(VALU_DEP_2) | instskip(NEXT) | instid1(VALU_DEP_2)
	v_add_nc_u32_e32 v2, v12, v13
	v_cndmask_b32_e64 v17, v10, 1, s9
	ds_store_b8 v1, v6 offset:12
	ds_store_b8 v1, v8 offset:20
	;; [unrolled: 1-line block ×6, first 2 shown]
	ds_store_b32 v1, v2 offset:56
	ds_store_b8 v1, v17 offset:60
.LBB1911_130:
	s_or_b32 exec_lo, exec_lo, s10
	v_cmp_eq_u32_e64 s9, 0, v0
	v_mov_b32_e32 v2, v41
	s_mov_b32 s11, exec_lo
	s_wait_dscnt 0x0
	s_barrier_signal -1
	s_barrier_wait -1
	v_cmpx_ne_u32_e32 0, v0
	s_cbranch_execz .LBB1911_132
; %bb.131:
	v_add_nc_u32_e32 v1, -1, v0
	s_delay_alu instid0(VALU_DEP_1) | instskip(NEXT) | instid1(VALU_DEP_1)
	v_lshrrev_b32_e32 v2, 2, v1
	v_and_b32_e32 v2, 0x3ffffff8, v2
	s_delay_alu instid0(VALU_DEP_1) | instskip(SKIP_4) | instid1(VALU_DEP_1)
	v_lshl_add_u32 v1, v1, 3, v2
	ds_load_u8 v2, v1 offset:4
	ds_load_b32 v1, v1
	s_wait_dscnt 0x1
	v_cmp_eq_u16_e64 s10, 0, v2
	v_cndmask_b32_e64 v2, 0, v41, s10
	s_wait_dscnt 0x0
	s_delay_alu instid0(VALU_DEP_1)
	v_add_nc_u32_e32 v2, v2, v1
.LBB1911_132:
	s_or_b32 exec_lo, exec_lo, s11
	v_and_b32_e32 v39, 0xff, v15
	v_mov_b32_e32 v38, 0
	s_delay_alu instid0(VALU_DEP_1) | instskip(NEXT) | instid1(VALU_DEP_1)
	v_cmp_eq_u64_e64 s10, 0, v[38:39]
	v_cndmask_b32_e64 v1, 0, v2, s10
	s_delay_alu instid0(VALU_DEP_1) | instskip(NEXT) | instid1(VALU_DEP_1)
	v_add_nc_u32_e32 v3, v1, v14
	v_cndmask_b32_e32 v1, 0, v3, vcc_lo
	s_delay_alu instid0(VALU_DEP_1) | instskip(NEXT) | instid1(VALU_DEP_1)
	v_add_nc_u32_e32 v4, v1, v36
	v_cndmask_b32_e64 v1, 0, v4, s0
	s_delay_alu instid0(VALU_DEP_1) | instskip(NEXT) | instid1(VALU_DEP_1)
	v_add_nc_u32_e32 v5, v1, v34
	v_cndmask_b32_e64 v1, 0, v5, s1
	;; [unrolled: 3-line block ×9, first 2 shown]
	s_delay_alu instid0(VALU_DEP_1)
	v_add_nc_u32_e32 v13, v1, v16
	s_and_saveexec_b32 s0, s9
	s_cbranch_execz .LBB1911_134
; %bb.133:
	ds_load_u8 v1, v38 offset:2100
	ds_load_b32 v18, v38 offset:2096
	v_mov_b32_e32 v15, v38
	s_add_nc_u64 s[2:3], s[16:17], 0x200
	v_dual_mov_b32 v16, 2 :: v_dual_mov_b32 v17, v38
	s_wait_dscnt 0x1
	v_and_b32_e32 v14, 0xffff, v1
	s_delay_alu instid0(VALU_DEP_1) | instskip(SKIP_2) | instid1(VALU_DEP_1)
	v_cmp_eq_u64_e32 vcc_lo, 0, v[14:15]
	v_dual_cndmask_b32 v1, 0, v41, vcc_lo :: v_dual_mov_b32 v15, v14
	s_wait_dscnt 0x0
	v_add_nc_u32_e32 v14, v1, v18
	v_mov_b64_e32 v[18:19], s[2:3]
	;;#ASMSTART
	global_store_b128 v[18:19], v[14:17] off scope:SCOPE_DEV	
s_wait_storecnt 0x0
	;;#ASMEND
.LBB1911_134:
	s_or_b32 exec_lo, exec_lo, s0
.LBB1911_135:
	v_mov_b32_e32 v17, 0
	s_add_nc_u64 s[0:1], s[14:15], s[26:27]
	s_and_b32 vcc_lo, exec_lo, s19
	s_add_nc_u64 s[2:3], s[0:1], s[20:21]
	s_cbranch_vccz .LBB1911_179
; %bb.136:
	v_mul_u32_u24_e32 v1, 12, v0
	v_dual_mov_b32 v16, 0 :: v_dual_mov_b32 v22, 0
	v_dual_mov_b32 v23, 0 :: v_dual_mov_b32 v24, 0
	;; [unrolled: 1-line block ×5, first 2 shown]
	v_mov_b32_e32 v15, 0
	s_add_co_i32 s29, s29, s18
	s_mov_b32 s1, exec_lo
	v_cmpx_gt_u32_e64 s29, v1
	s_cbranch_execz .LBB1911_156
; %bb.137:
	v_dual_mov_b32 v15, 0 :: v_dual_bitop2_b32 v16, 1, v1 bitop3:0x54
	v_dual_mov_b32 v14, 0 :: v_dual_mov_b32 v21, 0
	v_dual_mov_b32 v20, 0 :: v_dual_mov_b32 v19, 0
	s_delay_alu instid0(VALU_DEP_3)
	v_cmp_gt_u32_e32 vcc_lo, s29, v16
	v_dual_mov_b32 v18, 0 :: v_dual_mov_b32 v25, 0
	v_dual_mov_b32 v24, 0 :: v_dual_mov_b32 v23, 0
	;; [unrolled: 1-line block ×3, first 2 shown]
	s_and_saveexec_b32 s4, vcc_lo
	s_cbranch_execz .LBB1911_155
; %bb.138:
	v_dual_mov_b32 v15, 0 :: v_dual_bitop2_b32 v16, 2, v1 bitop3:0x54
	v_dual_mov_b32 v14, 0 :: v_dual_mov_b32 v21, 0
	v_dual_mov_b32 v20, 0 :: v_dual_mov_b32 v19, 0
	s_delay_alu instid0(VALU_DEP_3)
	v_cmp_gt_u32_e32 vcc_lo, s29, v16
	v_dual_mov_b32 v18, 0 :: v_dual_mov_b32 v25, 0
	v_dual_mov_b32 v24, 0 :: v_dual_mov_b32 v16, 0
	v_mov_b32_e32 v17, 0
	s_and_saveexec_b32 s5, vcc_lo
	s_cbranch_execz .LBB1911_154
; %bb.139:
	v_dual_mov_b32 v15, 0 :: v_dual_bitop2_b32 v16, 3, v1 bitop3:0x54
	v_dual_mov_b32 v14, 0 :: v_dual_mov_b32 v21, 0
	v_dual_mov_b32 v20, 0 :: v_dual_mov_b32 v19, 0
	s_delay_alu instid0(VALU_DEP_3)
	v_cmp_gt_u32_e32 vcc_lo, s29, v16
	v_dual_mov_b32 v18, 0 :: v_dual_mov_b32 v25, 0
	v_dual_mov_b32 v16, 0 :: v_dual_mov_b32 v17, 0
	s_and_saveexec_b32 s6, vcc_lo
	s_cbranch_execz .LBB1911_153
; %bb.140:
	v_dual_mov_b32 v15, 0 :: v_dual_add_nc_u32 v16, 4, v1
	v_dual_mov_b32 v14, 0 :: v_dual_mov_b32 v21, 0
	v_dual_mov_b32 v20, 0 :: v_dual_mov_b32 v19, 0
	s_delay_alu instid0(VALU_DEP_3)
	v_cmp_gt_u32_e32 vcc_lo, s29, v16
	v_dual_mov_b32 v18, 0 :: v_dual_mov_b32 v16, 0
	v_mov_b32_e32 v17, 0
	s_and_saveexec_b32 s7, vcc_lo
	s_cbranch_execz .LBB1911_152
; %bb.141:
	v_dual_mov_b32 v15, 0 :: v_dual_add_nc_u32 v16, 5, v1
	v_dual_mov_b32 v14, 0 :: v_dual_mov_b32 v21, 0
	v_dual_mov_b32 v20, 0 :: v_dual_mov_b32 v19, 0
	s_delay_alu instid0(VALU_DEP_3)
	v_cmp_gt_u32_e32 vcc_lo, s29, v16
	v_dual_mov_b32 v16, 0 :: v_dual_mov_b32 v17, 0
	s_and_saveexec_b32 s8, vcc_lo
	s_cbranch_execz .LBB1911_151
; %bb.142:
	v_dual_mov_b32 v15, 0 :: v_dual_add_nc_u32 v16, 6, v1
	v_dual_mov_b32 v14, 0 :: v_dual_mov_b32 v21, 0
	v_mov_b32_e32 v20, 0
	s_delay_alu instid0(VALU_DEP_3)
	v_cmp_gt_u32_e32 vcc_lo, s29, v16
	v_dual_mov_b32 v16, 0 :: v_dual_mov_b32 v17, 0
	s_and_saveexec_b32 s9, vcc_lo
	s_cbranch_execz .LBB1911_150
; %bb.143:
	v_dual_add_nc_u32 v17, 7, v1 :: v_dual_mov_b32 v15, 0
	v_dual_mov_b32 v14, 0 :: v_dual_mov_b32 v21, 0
	v_mov_b32_e32 v16, 0
	s_delay_alu instid0(VALU_DEP_3)
	v_cmp_gt_u32_e32 vcc_lo, s29, v17
	v_mov_b32_e32 v17, 0
	s_and_saveexec_b32 s10, vcc_lo
	s_cbranch_execz .LBB1911_149
; %bb.144:
	v_dual_add_nc_u32 v17, 8, v1 :: v_dual_mov_b32 v15, 0
	v_dual_mov_b32 v14, 0 :: v_dual_mov_b32 v16, 0
	s_delay_alu instid0(VALU_DEP_2)
	v_cmp_gt_u32_e32 vcc_lo, s29, v17
	v_mov_b32_e32 v17, 0
	s_and_saveexec_b32 s11, vcc_lo
	s_cbranch_execz .LBB1911_148
; %bb.145:
	v_dual_mov_b32 v15, 0 :: v_dual_add_nc_u32 v14, 9, v1
	v_dual_mov_b32 v16, 0 :: v_dual_mov_b32 v17, 0
	s_mov_b32 s12, exec_lo
	s_delay_alu instid0(VALU_DEP_2)
	v_cmpx_gt_u32_e64 s29, v14
; %bb.146:
	v_dual_add_nc_u32 v14, 11, v1 :: v_dual_add_nc_u32 v15, 10, v1
	s_delay_alu instid0(VALU_DEP_1) | instskip(NEXT) | instid1(VALU_DEP_2)
	v_cmp_gt_u32_e32 vcc_lo, s29, v14
	v_cmp_gt_u32_e64 s0, s29, v15
	v_mov_b32_e32 v15, v11
	s_and_b32 vcc_lo, s0, vcc_lo
	s_delay_alu instid0(SALU_CYCLE_1)
	v_dual_cndmask_b32 v16, 0, v12, s0 :: v_dual_cndmask_b32 v17, 0, v13, vcc_lo
; %bb.147:
	s_or_b32 exec_lo, exec_lo, s12
	v_mov_b32_e32 v14, v10
.LBB1911_148:
	s_or_b32 exec_lo, exec_lo, s11
	v_mov_b32_e32 v21, v9
.LBB1911_149:
	s_or_b32 exec_lo, exec_lo, s10
	v_mov_b32_e32 v20, v8
.LBB1911_150:
	s_or_b32 exec_lo, exec_lo, s9
	v_mov_b32_e32 v19, v7
.LBB1911_151:
	s_or_b32 exec_lo, exec_lo, s8
	v_mov_b32_e32 v18, v6
.LBB1911_152:
	s_or_b32 exec_lo, exec_lo, s7
	v_mov_b32_e32 v25, v5
.LBB1911_153:
	s_or_b32 exec_lo, exec_lo, s6
	v_mov_b32_e32 v24, v4
.LBB1911_154:
	s_or_b32 exec_lo, exec_lo, s5
	v_mov_b32_e32 v23, v3
.LBB1911_155:
	s_or_b32 exec_lo, exec_lo, s4
	v_mov_b32_e32 v22, v2
.LBB1911_156:
	s_or_b32 exec_lo, exec_lo, s1
	v_dual_lshlrev_b32 v1, 2, v1 :: v_dual_mov_b32 v27, 0
	s_barrier_signal -1
	s_barrier_wait -1
	ds_store_b128 v1, v[22:25]
	ds_store_b128 v1, v[18:21] offset:16
	ds_store_b128 v1, v[14:17] offset:32
	v_mad_i32_i24 v14, 0xffffffd4, v0, v1
	s_wait_dscnt 0x0
	s_barrier_signal -1
	s_barrier_wait -1
	ds_load_2addr_stride64_b32 v[28:29], v14 offset0:4 offset1:8
	ds_load_2addr_stride64_b32 v[24:25], v14 offset0:12 offset1:16
	;; [unrolled: 1-line block ×5, first 2 shown]
	ds_load_b32 v15, v14 offset:11264
	v_add_nc_u64_e32 v[18:19], s[2:3], v[26:27]
	s_mov_b32 s0, exec_lo
	v_cmpx_gt_u32_e64 s29, v0
	s_cbranch_execz .LBB1911_158
; %bb.157:
	v_mul_i32_i24_e32 v14, 0xffffffd4, v0
	s_delay_alu instid0(VALU_DEP_1)
	v_add_nc_u32_e32 v1, v1, v14
	ds_load_b32 v1, v1
	s_wait_dscnt 0x0
	flat_store_b32 v[18:19], v1
.LBB1911_158:
	s_wait_xcnt 0x0
	s_or_b32 exec_lo, exec_lo, s0
	v_or_b32_e32 v1, 0x100, v0
	s_mov_b32 s0, exec_lo
	s_delay_alu instid0(VALU_DEP_1)
	v_cmpx_gt_u32_e64 s29, v1
	s_cbranch_execz .LBB1911_160
; %bb.159:
	s_wait_dscnt 0x5
	flat_store_b32 v[18:19], v28 offset:1024
.LBB1911_160:
	s_wait_xcnt 0x0
	s_or_b32 exec_lo, exec_lo, s0
	v_or_b32_e32 v1, 0x200, v0
	s_mov_b32 s0, exec_lo
	s_delay_alu instid0(VALU_DEP_1)
	v_cmpx_gt_u32_e64 s29, v1
	s_cbranch_execz .LBB1911_162
; %bb.161:
	s_wait_dscnt 0x5
	flat_store_b32 v[18:19], v29 offset:2048
.LBB1911_162:
	;; [unrolled: 11-line block ×10, first 2 shown]
	s_wait_xcnt 0x0
	s_or_b32 exec_lo, exec_lo, s0
	v_or_b32_e32 v1, 0xb00, v0
	s_delay_alu instid0(VALU_DEP_1)
	v_cmp_gt_u32_e64 s0, s29, v1
	s_branch .LBB1911_181
.LBB1911_179:
	s_mov_b32 s0, 0
                                        ; implicit-def: $vgpr15
	s_cbranch_execz .LBB1911_181
; %bb.180:
	v_mul_u32_u24_e32 v1, 48, v0
	v_mul_i32_i24_e32 v14, 0xffffffd4, v0
	s_wait_storecnt_dscnt 0x0
	s_barrier_signal -1
	s_barrier_wait -1
	ds_store_b128 v1, v[2:5]
	ds_store_b128 v1, v[6:9] offset:16
	ds_store_b128 v1, v[10:13] offset:32
	v_mad_u32_u24 v1, v0, 48, v14
	s_wait_dscnt 0x0
	s_barrier_signal -1
	s_barrier_wait -1
	ds_load_2addr_stride64_b32 v[2:3], v1 offset1:4
	ds_load_2addr_stride64_b32 v[4:5], v1 offset0:8 offset1:12
	ds_load_2addr_stride64_b32 v[6:7], v1 offset0:16 offset1:20
	;; [unrolled: 1-line block ×5, first 2 shown]
	s_or_b32 s0, s0, exec_lo
	s_wait_dscnt 0x5
	s_clause 0x1
	flat_store_b32 v0, v2, s[2:3] scale_offset
	flat_store_b32 v0, v3, s[2:3] offset:1024 scale_offset
	s_wait_dscnt 0x6
	s_clause 0x1
	flat_store_b32 v0, v4, s[2:3] offset:2048 scale_offset
	flat_store_b32 v0, v5, s[2:3] offset:3072 scale_offset
	s_wait_dscnt 0x7
	s_clause 0x1
	flat_store_b32 v0, v6, s[2:3] offset:4096 scale_offset
	;; [unrolled: 4-line block ×4, first 2 shown]
	flat_store_b32 v0, v11, s[2:3] offset:9216 scale_offset
	s_wait_dscnt 0xa
	flat_store_b32 v0, v14, s[2:3] offset:10240 scale_offset
.LBB1911_181:
	s_wait_xcnt 0x0
	s_delay_alu instid0(VALU_DEP_1)
	s_and_saveexec_b32 s1, s0
	s_cbranch_execnz .LBB1911_183
; %bb.182:
	s_endpgm
.LBB1911_183:
	s_wait_dscnt 0x0
	flat_store_b32 v0, v15, s[2:3] offset:11264 scale_offset
	s_endpgm
	.section	.rodata,"a",@progbits
	.p2align	6, 0x0
	.amdhsa_kernel _ZN7rocprim17ROCPRIM_400000_NS6detail17trampoline_kernelINS0_14default_configENS1_27scan_by_key_config_selectorIj11FixedVectorIiLj1EEEEZZNS1_16scan_by_key_implILNS1_25lookback_scan_determinismE0ELb1ES3_N6thrust23THRUST_200600_302600_NS6detail15normal_iteratorINSB_10device_ptrIjEEEENSD_INSE_IS6_EEEESI_S6_NSB_4plusIvEENSB_8equal_toIvEES6_EE10hipError_tPvRmT2_T3_T4_T5_mT6_T7_P12ihipStream_tbENKUlT_T0_E_clISt17integral_constantIbLb0EES13_EEDaSY_SZ_EUlSY_E_NS1_11comp_targetILNS1_3genE0ELNS1_11target_archE4294967295ELNS1_3gpuE0ELNS1_3repE0EEENS1_30default_config_static_selectorELNS0_4arch9wavefront6targetE0EEEvT1_
		.amdhsa_group_segment_fixed_size 14336
		.amdhsa_private_segment_fixed_size 0
		.amdhsa_kernarg_size 112
		.amdhsa_user_sgpr_count 2
		.amdhsa_user_sgpr_dispatch_ptr 0
		.amdhsa_user_sgpr_queue_ptr 0
		.amdhsa_user_sgpr_kernarg_segment_ptr 1
		.amdhsa_user_sgpr_dispatch_id 0
		.amdhsa_user_sgpr_kernarg_preload_length 0
		.amdhsa_user_sgpr_kernarg_preload_offset 0
		.amdhsa_user_sgpr_private_segment_size 0
		.amdhsa_wavefront_size32 1
		.amdhsa_uses_dynamic_stack 0
		.amdhsa_enable_private_segment 0
		.amdhsa_system_sgpr_workgroup_id_x 1
		.amdhsa_system_sgpr_workgroup_id_y 0
		.amdhsa_system_sgpr_workgroup_id_z 0
		.amdhsa_system_sgpr_workgroup_info 0
		.amdhsa_system_vgpr_workitem_id 0
		.amdhsa_next_free_vgpr 62
		.amdhsa_next_free_sgpr 37
		.amdhsa_named_barrier_count 0
		.amdhsa_reserve_vcc 1
		.amdhsa_float_round_mode_32 0
		.amdhsa_float_round_mode_16_64 0
		.amdhsa_float_denorm_mode_32 3
		.amdhsa_float_denorm_mode_16_64 3
		.amdhsa_fp16_overflow 0
		.amdhsa_memory_ordered 1
		.amdhsa_forward_progress 1
		.amdhsa_inst_pref_size 97
		.amdhsa_round_robin_scheduling 0
		.amdhsa_exception_fp_ieee_invalid_op 0
		.amdhsa_exception_fp_denorm_src 0
		.amdhsa_exception_fp_ieee_div_zero 0
		.amdhsa_exception_fp_ieee_overflow 0
		.amdhsa_exception_fp_ieee_underflow 0
		.amdhsa_exception_fp_ieee_inexact 0
		.amdhsa_exception_int_div_zero 0
	.end_amdhsa_kernel
	.section	.text._ZN7rocprim17ROCPRIM_400000_NS6detail17trampoline_kernelINS0_14default_configENS1_27scan_by_key_config_selectorIj11FixedVectorIiLj1EEEEZZNS1_16scan_by_key_implILNS1_25lookback_scan_determinismE0ELb1ES3_N6thrust23THRUST_200600_302600_NS6detail15normal_iteratorINSB_10device_ptrIjEEEENSD_INSE_IS6_EEEESI_S6_NSB_4plusIvEENSB_8equal_toIvEES6_EE10hipError_tPvRmT2_T3_T4_T5_mT6_T7_P12ihipStream_tbENKUlT_T0_E_clISt17integral_constantIbLb0EES13_EEDaSY_SZ_EUlSY_E_NS1_11comp_targetILNS1_3genE0ELNS1_11target_archE4294967295ELNS1_3gpuE0ELNS1_3repE0EEENS1_30default_config_static_selectorELNS0_4arch9wavefront6targetE0EEEvT1_,"axG",@progbits,_ZN7rocprim17ROCPRIM_400000_NS6detail17trampoline_kernelINS0_14default_configENS1_27scan_by_key_config_selectorIj11FixedVectorIiLj1EEEEZZNS1_16scan_by_key_implILNS1_25lookback_scan_determinismE0ELb1ES3_N6thrust23THRUST_200600_302600_NS6detail15normal_iteratorINSB_10device_ptrIjEEEENSD_INSE_IS6_EEEESI_S6_NSB_4plusIvEENSB_8equal_toIvEES6_EE10hipError_tPvRmT2_T3_T4_T5_mT6_T7_P12ihipStream_tbENKUlT_T0_E_clISt17integral_constantIbLb0EES13_EEDaSY_SZ_EUlSY_E_NS1_11comp_targetILNS1_3genE0ELNS1_11target_archE4294967295ELNS1_3gpuE0ELNS1_3repE0EEENS1_30default_config_static_selectorELNS0_4arch9wavefront6targetE0EEEvT1_,comdat
.Lfunc_end1911:
	.size	_ZN7rocprim17ROCPRIM_400000_NS6detail17trampoline_kernelINS0_14default_configENS1_27scan_by_key_config_selectorIj11FixedVectorIiLj1EEEEZZNS1_16scan_by_key_implILNS1_25lookback_scan_determinismE0ELb1ES3_N6thrust23THRUST_200600_302600_NS6detail15normal_iteratorINSB_10device_ptrIjEEEENSD_INSE_IS6_EEEESI_S6_NSB_4plusIvEENSB_8equal_toIvEES6_EE10hipError_tPvRmT2_T3_T4_T5_mT6_T7_P12ihipStream_tbENKUlT_T0_E_clISt17integral_constantIbLb0EES13_EEDaSY_SZ_EUlSY_E_NS1_11comp_targetILNS1_3genE0ELNS1_11target_archE4294967295ELNS1_3gpuE0ELNS1_3repE0EEENS1_30default_config_static_selectorELNS0_4arch9wavefront6targetE0EEEvT1_, .Lfunc_end1911-_ZN7rocprim17ROCPRIM_400000_NS6detail17trampoline_kernelINS0_14default_configENS1_27scan_by_key_config_selectorIj11FixedVectorIiLj1EEEEZZNS1_16scan_by_key_implILNS1_25lookback_scan_determinismE0ELb1ES3_N6thrust23THRUST_200600_302600_NS6detail15normal_iteratorINSB_10device_ptrIjEEEENSD_INSE_IS6_EEEESI_S6_NSB_4plusIvEENSB_8equal_toIvEES6_EE10hipError_tPvRmT2_T3_T4_T5_mT6_T7_P12ihipStream_tbENKUlT_T0_E_clISt17integral_constantIbLb0EES13_EEDaSY_SZ_EUlSY_E_NS1_11comp_targetILNS1_3genE0ELNS1_11target_archE4294967295ELNS1_3gpuE0ELNS1_3repE0EEENS1_30default_config_static_selectorELNS0_4arch9wavefront6targetE0EEEvT1_
                                        ; -- End function
	.set _ZN7rocprim17ROCPRIM_400000_NS6detail17trampoline_kernelINS0_14default_configENS1_27scan_by_key_config_selectorIj11FixedVectorIiLj1EEEEZZNS1_16scan_by_key_implILNS1_25lookback_scan_determinismE0ELb1ES3_N6thrust23THRUST_200600_302600_NS6detail15normal_iteratorINSB_10device_ptrIjEEEENSD_INSE_IS6_EEEESI_S6_NSB_4plusIvEENSB_8equal_toIvEES6_EE10hipError_tPvRmT2_T3_T4_T5_mT6_T7_P12ihipStream_tbENKUlT_T0_E_clISt17integral_constantIbLb0EES13_EEDaSY_SZ_EUlSY_E_NS1_11comp_targetILNS1_3genE0ELNS1_11target_archE4294967295ELNS1_3gpuE0ELNS1_3repE0EEENS1_30default_config_static_selectorELNS0_4arch9wavefront6targetE0EEEvT1_.num_vgpr, 62
	.set _ZN7rocprim17ROCPRIM_400000_NS6detail17trampoline_kernelINS0_14default_configENS1_27scan_by_key_config_selectorIj11FixedVectorIiLj1EEEEZZNS1_16scan_by_key_implILNS1_25lookback_scan_determinismE0ELb1ES3_N6thrust23THRUST_200600_302600_NS6detail15normal_iteratorINSB_10device_ptrIjEEEENSD_INSE_IS6_EEEESI_S6_NSB_4plusIvEENSB_8equal_toIvEES6_EE10hipError_tPvRmT2_T3_T4_T5_mT6_T7_P12ihipStream_tbENKUlT_T0_E_clISt17integral_constantIbLb0EES13_EEDaSY_SZ_EUlSY_E_NS1_11comp_targetILNS1_3genE0ELNS1_11target_archE4294967295ELNS1_3gpuE0ELNS1_3repE0EEENS1_30default_config_static_selectorELNS0_4arch9wavefront6targetE0EEEvT1_.num_agpr, 0
	.set _ZN7rocprim17ROCPRIM_400000_NS6detail17trampoline_kernelINS0_14default_configENS1_27scan_by_key_config_selectorIj11FixedVectorIiLj1EEEEZZNS1_16scan_by_key_implILNS1_25lookback_scan_determinismE0ELb1ES3_N6thrust23THRUST_200600_302600_NS6detail15normal_iteratorINSB_10device_ptrIjEEEENSD_INSE_IS6_EEEESI_S6_NSB_4plusIvEENSB_8equal_toIvEES6_EE10hipError_tPvRmT2_T3_T4_T5_mT6_T7_P12ihipStream_tbENKUlT_T0_E_clISt17integral_constantIbLb0EES13_EEDaSY_SZ_EUlSY_E_NS1_11comp_targetILNS1_3genE0ELNS1_11target_archE4294967295ELNS1_3gpuE0ELNS1_3repE0EEENS1_30default_config_static_selectorELNS0_4arch9wavefront6targetE0EEEvT1_.numbered_sgpr, 37
	.set _ZN7rocprim17ROCPRIM_400000_NS6detail17trampoline_kernelINS0_14default_configENS1_27scan_by_key_config_selectorIj11FixedVectorIiLj1EEEEZZNS1_16scan_by_key_implILNS1_25lookback_scan_determinismE0ELb1ES3_N6thrust23THRUST_200600_302600_NS6detail15normal_iteratorINSB_10device_ptrIjEEEENSD_INSE_IS6_EEEESI_S6_NSB_4plusIvEENSB_8equal_toIvEES6_EE10hipError_tPvRmT2_T3_T4_T5_mT6_T7_P12ihipStream_tbENKUlT_T0_E_clISt17integral_constantIbLb0EES13_EEDaSY_SZ_EUlSY_E_NS1_11comp_targetILNS1_3genE0ELNS1_11target_archE4294967295ELNS1_3gpuE0ELNS1_3repE0EEENS1_30default_config_static_selectorELNS0_4arch9wavefront6targetE0EEEvT1_.num_named_barrier, 0
	.set _ZN7rocprim17ROCPRIM_400000_NS6detail17trampoline_kernelINS0_14default_configENS1_27scan_by_key_config_selectorIj11FixedVectorIiLj1EEEEZZNS1_16scan_by_key_implILNS1_25lookback_scan_determinismE0ELb1ES3_N6thrust23THRUST_200600_302600_NS6detail15normal_iteratorINSB_10device_ptrIjEEEENSD_INSE_IS6_EEEESI_S6_NSB_4plusIvEENSB_8equal_toIvEES6_EE10hipError_tPvRmT2_T3_T4_T5_mT6_T7_P12ihipStream_tbENKUlT_T0_E_clISt17integral_constantIbLb0EES13_EEDaSY_SZ_EUlSY_E_NS1_11comp_targetILNS1_3genE0ELNS1_11target_archE4294967295ELNS1_3gpuE0ELNS1_3repE0EEENS1_30default_config_static_selectorELNS0_4arch9wavefront6targetE0EEEvT1_.private_seg_size, 0
	.set _ZN7rocprim17ROCPRIM_400000_NS6detail17trampoline_kernelINS0_14default_configENS1_27scan_by_key_config_selectorIj11FixedVectorIiLj1EEEEZZNS1_16scan_by_key_implILNS1_25lookback_scan_determinismE0ELb1ES3_N6thrust23THRUST_200600_302600_NS6detail15normal_iteratorINSB_10device_ptrIjEEEENSD_INSE_IS6_EEEESI_S6_NSB_4plusIvEENSB_8equal_toIvEES6_EE10hipError_tPvRmT2_T3_T4_T5_mT6_T7_P12ihipStream_tbENKUlT_T0_E_clISt17integral_constantIbLb0EES13_EEDaSY_SZ_EUlSY_E_NS1_11comp_targetILNS1_3genE0ELNS1_11target_archE4294967295ELNS1_3gpuE0ELNS1_3repE0EEENS1_30default_config_static_selectorELNS0_4arch9wavefront6targetE0EEEvT1_.uses_vcc, 1
	.set _ZN7rocprim17ROCPRIM_400000_NS6detail17trampoline_kernelINS0_14default_configENS1_27scan_by_key_config_selectorIj11FixedVectorIiLj1EEEEZZNS1_16scan_by_key_implILNS1_25lookback_scan_determinismE0ELb1ES3_N6thrust23THRUST_200600_302600_NS6detail15normal_iteratorINSB_10device_ptrIjEEEENSD_INSE_IS6_EEEESI_S6_NSB_4plusIvEENSB_8equal_toIvEES6_EE10hipError_tPvRmT2_T3_T4_T5_mT6_T7_P12ihipStream_tbENKUlT_T0_E_clISt17integral_constantIbLb0EES13_EEDaSY_SZ_EUlSY_E_NS1_11comp_targetILNS1_3genE0ELNS1_11target_archE4294967295ELNS1_3gpuE0ELNS1_3repE0EEENS1_30default_config_static_selectorELNS0_4arch9wavefront6targetE0EEEvT1_.uses_flat_scratch, 1
	.set _ZN7rocprim17ROCPRIM_400000_NS6detail17trampoline_kernelINS0_14default_configENS1_27scan_by_key_config_selectorIj11FixedVectorIiLj1EEEEZZNS1_16scan_by_key_implILNS1_25lookback_scan_determinismE0ELb1ES3_N6thrust23THRUST_200600_302600_NS6detail15normal_iteratorINSB_10device_ptrIjEEEENSD_INSE_IS6_EEEESI_S6_NSB_4plusIvEENSB_8equal_toIvEES6_EE10hipError_tPvRmT2_T3_T4_T5_mT6_T7_P12ihipStream_tbENKUlT_T0_E_clISt17integral_constantIbLb0EES13_EEDaSY_SZ_EUlSY_E_NS1_11comp_targetILNS1_3genE0ELNS1_11target_archE4294967295ELNS1_3gpuE0ELNS1_3repE0EEENS1_30default_config_static_selectorELNS0_4arch9wavefront6targetE0EEEvT1_.has_dyn_sized_stack, 0
	.set _ZN7rocprim17ROCPRIM_400000_NS6detail17trampoline_kernelINS0_14default_configENS1_27scan_by_key_config_selectorIj11FixedVectorIiLj1EEEEZZNS1_16scan_by_key_implILNS1_25lookback_scan_determinismE0ELb1ES3_N6thrust23THRUST_200600_302600_NS6detail15normal_iteratorINSB_10device_ptrIjEEEENSD_INSE_IS6_EEEESI_S6_NSB_4plusIvEENSB_8equal_toIvEES6_EE10hipError_tPvRmT2_T3_T4_T5_mT6_T7_P12ihipStream_tbENKUlT_T0_E_clISt17integral_constantIbLb0EES13_EEDaSY_SZ_EUlSY_E_NS1_11comp_targetILNS1_3genE0ELNS1_11target_archE4294967295ELNS1_3gpuE0ELNS1_3repE0EEENS1_30default_config_static_selectorELNS0_4arch9wavefront6targetE0EEEvT1_.has_recursion, 0
	.set _ZN7rocprim17ROCPRIM_400000_NS6detail17trampoline_kernelINS0_14default_configENS1_27scan_by_key_config_selectorIj11FixedVectorIiLj1EEEEZZNS1_16scan_by_key_implILNS1_25lookback_scan_determinismE0ELb1ES3_N6thrust23THRUST_200600_302600_NS6detail15normal_iteratorINSB_10device_ptrIjEEEENSD_INSE_IS6_EEEESI_S6_NSB_4plusIvEENSB_8equal_toIvEES6_EE10hipError_tPvRmT2_T3_T4_T5_mT6_T7_P12ihipStream_tbENKUlT_T0_E_clISt17integral_constantIbLb0EES13_EEDaSY_SZ_EUlSY_E_NS1_11comp_targetILNS1_3genE0ELNS1_11target_archE4294967295ELNS1_3gpuE0ELNS1_3repE0EEENS1_30default_config_static_selectorELNS0_4arch9wavefront6targetE0EEEvT1_.has_indirect_call, 0
	.section	.AMDGPU.csdata,"",@progbits
; Kernel info:
; codeLenInByte = 12328
; TotalNumSgprs: 39
; NumVgprs: 62
; ScratchSize: 0
; MemoryBound: 0
; FloatMode: 240
; IeeeMode: 1
; LDSByteSize: 14336 bytes/workgroup (compile time only)
; SGPRBlocks: 0
; VGPRBlocks: 3
; NumSGPRsForWavesPerEU: 39
; NumVGPRsForWavesPerEU: 62
; NamedBarCnt: 0
; Occupancy: 16
; WaveLimiterHint : 1
; COMPUTE_PGM_RSRC2:SCRATCH_EN: 0
; COMPUTE_PGM_RSRC2:USER_SGPR: 2
; COMPUTE_PGM_RSRC2:TRAP_HANDLER: 0
; COMPUTE_PGM_RSRC2:TGID_X_EN: 1
; COMPUTE_PGM_RSRC2:TGID_Y_EN: 0
; COMPUTE_PGM_RSRC2:TGID_Z_EN: 0
; COMPUTE_PGM_RSRC2:TIDIG_COMP_CNT: 0
	.section	.text._ZN7rocprim17ROCPRIM_400000_NS6detail17trampoline_kernelINS0_14default_configENS1_27scan_by_key_config_selectorIj11FixedVectorIiLj1EEEEZZNS1_16scan_by_key_implILNS1_25lookback_scan_determinismE0ELb1ES3_N6thrust23THRUST_200600_302600_NS6detail15normal_iteratorINSB_10device_ptrIjEEEENSD_INSE_IS6_EEEESI_S6_NSB_4plusIvEENSB_8equal_toIvEES6_EE10hipError_tPvRmT2_T3_T4_T5_mT6_T7_P12ihipStream_tbENKUlT_T0_E_clISt17integral_constantIbLb0EES13_EEDaSY_SZ_EUlSY_E_NS1_11comp_targetILNS1_3genE10ELNS1_11target_archE1201ELNS1_3gpuE5ELNS1_3repE0EEENS1_30default_config_static_selectorELNS0_4arch9wavefront6targetE0EEEvT1_,"axG",@progbits,_ZN7rocprim17ROCPRIM_400000_NS6detail17trampoline_kernelINS0_14default_configENS1_27scan_by_key_config_selectorIj11FixedVectorIiLj1EEEEZZNS1_16scan_by_key_implILNS1_25lookback_scan_determinismE0ELb1ES3_N6thrust23THRUST_200600_302600_NS6detail15normal_iteratorINSB_10device_ptrIjEEEENSD_INSE_IS6_EEEESI_S6_NSB_4plusIvEENSB_8equal_toIvEES6_EE10hipError_tPvRmT2_T3_T4_T5_mT6_T7_P12ihipStream_tbENKUlT_T0_E_clISt17integral_constantIbLb0EES13_EEDaSY_SZ_EUlSY_E_NS1_11comp_targetILNS1_3genE10ELNS1_11target_archE1201ELNS1_3gpuE5ELNS1_3repE0EEENS1_30default_config_static_selectorELNS0_4arch9wavefront6targetE0EEEvT1_,comdat
	.protected	_ZN7rocprim17ROCPRIM_400000_NS6detail17trampoline_kernelINS0_14default_configENS1_27scan_by_key_config_selectorIj11FixedVectorIiLj1EEEEZZNS1_16scan_by_key_implILNS1_25lookback_scan_determinismE0ELb1ES3_N6thrust23THRUST_200600_302600_NS6detail15normal_iteratorINSB_10device_ptrIjEEEENSD_INSE_IS6_EEEESI_S6_NSB_4plusIvEENSB_8equal_toIvEES6_EE10hipError_tPvRmT2_T3_T4_T5_mT6_T7_P12ihipStream_tbENKUlT_T0_E_clISt17integral_constantIbLb0EES13_EEDaSY_SZ_EUlSY_E_NS1_11comp_targetILNS1_3genE10ELNS1_11target_archE1201ELNS1_3gpuE5ELNS1_3repE0EEENS1_30default_config_static_selectorELNS0_4arch9wavefront6targetE0EEEvT1_ ; -- Begin function _ZN7rocprim17ROCPRIM_400000_NS6detail17trampoline_kernelINS0_14default_configENS1_27scan_by_key_config_selectorIj11FixedVectorIiLj1EEEEZZNS1_16scan_by_key_implILNS1_25lookback_scan_determinismE0ELb1ES3_N6thrust23THRUST_200600_302600_NS6detail15normal_iteratorINSB_10device_ptrIjEEEENSD_INSE_IS6_EEEESI_S6_NSB_4plusIvEENSB_8equal_toIvEES6_EE10hipError_tPvRmT2_T3_T4_T5_mT6_T7_P12ihipStream_tbENKUlT_T0_E_clISt17integral_constantIbLb0EES13_EEDaSY_SZ_EUlSY_E_NS1_11comp_targetILNS1_3genE10ELNS1_11target_archE1201ELNS1_3gpuE5ELNS1_3repE0EEENS1_30default_config_static_selectorELNS0_4arch9wavefront6targetE0EEEvT1_
	.globl	_ZN7rocprim17ROCPRIM_400000_NS6detail17trampoline_kernelINS0_14default_configENS1_27scan_by_key_config_selectorIj11FixedVectorIiLj1EEEEZZNS1_16scan_by_key_implILNS1_25lookback_scan_determinismE0ELb1ES3_N6thrust23THRUST_200600_302600_NS6detail15normal_iteratorINSB_10device_ptrIjEEEENSD_INSE_IS6_EEEESI_S6_NSB_4plusIvEENSB_8equal_toIvEES6_EE10hipError_tPvRmT2_T3_T4_T5_mT6_T7_P12ihipStream_tbENKUlT_T0_E_clISt17integral_constantIbLb0EES13_EEDaSY_SZ_EUlSY_E_NS1_11comp_targetILNS1_3genE10ELNS1_11target_archE1201ELNS1_3gpuE5ELNS1_3repE0EEENS1_30default_config_static_selectorELNS0_4arch9wavefront6targetE0EEEvT1_
	.p2align	8
	.type	_ZN7rocprim17ROCPRIM_400000_NS6detail17trampoline_kernelINS0_14default_configENS1_27scan_by_key_config_selectorIj11FixedVectorIiLj1EEEEZZNS1_16scan_by_key_implILNS1_25lookback_scan_determinismE0ELb1ES3_N6thrust23THRUST_200600_302600_NS6detail15normal_iteratorINSB_10device_ptrIjEEEENSD_INSE_IS6_EEEESI_S6_NSB_4plusIvEENSB_8equal_toIvEES6_EE10hipError_tPvRmT2_T3_T4_T5_mT6_T7_P12ihipStream_tbENKUlT_T0_E_clISt17integral_constantIbLb0EES13_EEDaSY_SZ_EUlSY_E_NS1_11comp_targetILNS1_3genE10ELNS1_11target_archE1201ELNS1_3gpuE5ELNS1_3repE0EEENS1_30default_config_static_selectorELNS0_4arch9wavefront6targetE0EEEvT1_,@function
_ZN7rocprim17ROCPRIM_400000_NS6detail17trampoline_kernelINS0_14default_configENS1_27scan_by_key_config_selectorIj11FixedVectorIiLj1EEEEZZNS1_16scan_by_key_implILNS1_25lookback_scan_determinismE0ELb1ES3_N6thrust23THRUST_200600_302600_NS6detail15normal_iteratorINSB_10device_ptrIjEEEENSD_INSE_IS6_EEEESI_S6_NSB_4plusIvEENSB_8equal_toIvEES6_EE10hipError_tPvRmT2_T3_T4_T5_mT6_T7_P12ihipStream_tbENKUlT_T0_E_clISt17integral_constantIbLb0EES13_EEDaSY_SZ_EUlSY_E_NS1_11comp_targetILNS1_3genE10ELNS1_11target_archE1201ELNS1_3gpuE5ELNS1_3repE0EEENS1_30default_config_static_selectorELNS0_4arch9wavefront6targetE0EEEvT1_: ; @_ZN7rocprim17ROCPRIM_400000_NS6detail17trampoline_kernelINS0_14default_configENS1_27scan_by_key_config_selectorIj11FixedVectorIiLj1EEEEZZNS1_16scan_by_key_implILNS1_25lookback_scan_determinismE0ELb1ES3_N6thrust23THRUST_200600_302600_NS6detail15normal_iteratorINSB_10device_ptrIjEEEENSD_INSE_IS6_EEEESI_S6_NSB_4plusIvEENSB_8equal_toIvEES6_EE10hipError_tPvRmT2_T3_T4_T5_mT6_T7_P12ihipStream_tbENKUlT_T0_E_clISt17integral_constantIbLb0EES13_EEDaSY_SZ_EUlSY_E_NS1_11comp_targetILNS1_3genE10ELNS1_11target_archE1201ELNS1_3gpuE5ELNS1_3repE0EEENS1_30default_config_static_selectorELNS0_4arch9wavefront6targetE0EEEvT1_
; %bb.0:
	.section	.rodata,"a",@progbits
	.p2align	6, 0x0
	.amdhsa_kernel _ZN7rocprim17ROCPRIM_400000_NS6detail17trampoline_kernelINS0_14default_configENS1_27scan_by_key_config_selectorIj11FixedVectorIiLj1EEEEZZNS1_16scan_by_key_implILNS1_25lookback_scan_determinismE0ELb1ES3_N6thrust23THRUST_200600_302600_NS6detail15normal_iteratorINSB_10device_ptrIjEEEENSD_INSE_IS6_EEEESI_S6_NSB_4plusIvEENSB_8equal_toIvEES6_EE10hipError_tPvRmT2_T3_T4_T5_mT6_T7_P12ihipStream_tbENKUlT_T0_E_clISt17integral_constantIbLb0EES13_EEDaSY_SZ_EUlSY_E_NS1_11comp_targetILNS1_3genE10ELNS1_11target_archE1201ELNS1_3gpuE5ELNS1_3repE0EEENS1_30default_config_static_selectorELNS0_4arch9wavefront6targetE0EEEvT1_
		.amdhsa_group_segment_fixed_size 0
		.amdhsa_private_segment_fixed_size 0
		.amdhsa_kernarg_size 112
		.amdhsa_user_sgpr_count 2
		.amdhsa_user_sgpr_dispatch_ptr 0
		.amdhsa_user_sgpr_queue_ptr 0
		.amdhsa_user_sgpr_kernarg_segment_ptr 1
		.amdhsa_user_sgpr_dispatch_id 0
		.amdhsa_user_sgpr_kernarg_preload_length 0
		.amdhsa_user_sgpr_kernarg_preload_offset 0
		.amdhsa_user_sgpr_private_segment_size 0
		.amdhsa_wavefront_size32 1
		.amdhsa_uses_dynamic_stack 0
		.amdhsa_enable_private_segment 0
		.amdhsa_system_sgpr_workgroup_id_x 1
		.amdhsa_system_sgpr_workgroup_id_y 0
		.amdhsa_system_sgpr_workgroup_id_z 0
		.amdhsa_system_sgpr_workgroup_info 0
		.amdhsa_system_vgpr_workitem_id 0
		.amdhsa_next_free_vgpr 1
		.amdhsa_next_free_sgpr 1
		.amdhsa_named_barrier_count 0
		.amdhsa_reserve_vcc 0
		.amdhsa_float_round_mode_32 0
		.amdhsa_float_round_mode_16_64 0
		.amdhsa_float_denorm_mode_32 3
		.amdhsa_float_denorm_mode_16_64 3
		.amdhsa_fp16_overflow 0
		.amdhsa_memory_ordered 1
		.amdhsa_forward_progress 1
		.amdhsa_inst_pref_size 0
		.amdhsa_round_robin_scheduling 0
		.amdhsa_exception_fp_ieee_invalid_op 0
		.amdhsa_exception_fp_denorm_src 0
		.amdhsa_exception_fp_ieee_div_zero 0
		.amdhsa_exception_fp_ieee_overflow 0
		.amdhsa_exception_fp_ieee_underflow 0
		.amdhsa_exception_fp_ieee_inexact 0
		.amdhsa_exception_int_div_zero 0
	.end_amdhsa_kernel
	.section	.text._ZN7rocprim17ROCPRIM_400000_NS6detail17trampoline_kernelINS0_14default_configENS1_27scan_by_key_config_selectorIj11FixedVectorIiLj1EEEEZZNS1_16scan_by_key_implILNS1_25lookback_scan_determinismE0ELb1ES3_N6thrust23THRUST_200600_302600_NS6detail15normal_iteratorINSB_10device_ptrIjEEEENSD_INSE_IS6_EEEESI_S6_NSB_4plusIvEENSB_8equal_toIvEES6_EE10hipError_tPvRmT2_T3_T4_T5_mT6_T7_P12ihipStream_tbENKUlT_T0_E_clISt17integral_constantIbLb0EES13_EEDaSY_SZ_EUlSY_E_NS1_11comp_targetILNS1_3genE10ELNS1_11target_archE1201ELNS1_3gpuE5ELNS1_3repE0EEENS1_30default_config_static_selectorELNS0_4arch9wavefront6targetE0EEEvT1_,"axG",@progbits,_ZN7rocprim17ROCPRIM_400000_NS6detail17trampoline_kernelINS0_14default_configENS1_27scan_by_key_config_selectorIj11FixedVectorIiLj1EEEEZZNS1_16scan_by_key_implILNS1_25lookback_scan_determinismE0ELb1ES3_N6thrust23THRUST_200600_302600_NS6detail15normal_iteratorINSB_10device_ptrIjEEEENSD_INSE_IS6_EEEESI_S6_NSB_4plusIvEENSB_8equal_toIvEES6_EE10hipError_tPvRmT2_T3_T4_T5_mT6_T7_P12ihipStream_tbENKUlT_T0_E_clISt17integral_constantIbLb0EES13_EEDaSY_SZ_EUlSY_E_NS1_11comp_targetILNS1_3genE10ELNS1_11target_archE1201ELNS1_3gpuE5ELNS1_3repE0EEENS1_30default_config_static_selectorELNS0_4arch9wavefront6targetE0EEEvT1_,comdat
.Lfunc_end1912:
	.size	_ZN7rocprim17ROCPRIM_400000_NS6detail17trampoline_kernelINS0_14default_configENS1_27scan_by_key_config_selectorIj11FixedVectorIiLj1EEEEZZNS1_16scan_by_key_implILNS1_25lookback_scan_determinismE0ELb1ES3_N6thrust23THRUST_200600_302600_NS6detail15normal_iteratorINSB_10device_ptrIjEEEENSD_INSE_IS6_EEEESI_S6_NSB_4plusIvEENSB_8equal_toIvEES6_EE10hipError_tPvRmT2_T3_T4_T5_mT6_T7_P12ihipStream_tbENKUlT_T0_E_clISt17integral_constantIbLb0EES13_EEDaSY_SZ_EUlSY_E_NS1_11comp_targetILNS1_3genE10ELNS1_11target_archE1201ELNS1_3gpuE5ELNS1_3repE0EEENS1_30default_config_static_selectorELNS0_4arch9wavefront6targetE0EEEvT1_, .Lfunc_end1912-_ZN7rocprim17ROCPRIM_400000_NS6detail17trampoline_kernelINS0_14default_configENS1_27scan_by_key_config_selectorIj11FixedVectorIiLj1EEEEZZNS1_16scan_by_key_implILNS1_25lookback_scan_determinismE0ELb1ES3_N6thrust23THRUST_200600_302600_NS6detail15normal_iteratorINSB_10device_ptrIjEEEENSD_INSE_IS6_EEEESI_S6_NSB_4plusIvEENSB_8equal_toIvEES6_EE10hipError_tPvRmT2_T3_T4_T5_mT6_T7_P12ihipStream_tbENKUlT_T0_E_clISt17integral_constantIbLb0EES13_EEDaSY_SZ_EUlSY_E_NS1_11comp_targetILNS1_3genE10ELNS1_11target_archE1201ELNS1_3gpuE5ELNS1_3repE0EEENS1_30default_config_static_selectorELNS0_4arch9wavefront6targetE0EEEvT1_
                                        ; -- End function
	.set _ZN7rocprim17ROCPRIM_400000_NS6detail17trampoline_kernelINS0_14default_configENS1_27scan_by_key_config_selectorIj11FixedVectorIiLj1EEEEZZNS1_16scan_by_key_implILNS1_25lookback_scan_determinismE0ELb1ES3_N6thrust23THRUST_200600_302600_NS6detail15normal_iteratorINSB_10device_ptrIjEEEENSD_INSE_IS6_EEEESI_S6_NSB_4plusIvEENSB_8equal_toIvEES6_EE10hipError_tPvRmT2_T3_T4_T5_mT6_T7_P12ihipStream_tbENKUlT_T0_E_clISt17integral_constantIbLb0EES13_EEDaSY_SZ_EUlSY_E_NS1_11comp_targetILNS1_3genE10ELNS1_11target_archE1201ELNS1_3gpuE5ELNS1_3repE0EEENS1_30default_config_static_selectorELNS0_4arch9wavefront6targetE0EEEvT1_.num_vgpr, 0
	.set _ZN7rocprim17ROCPRIM_400000_NS6detail17trampoline_kernelINS0_14default_configENS1_27scan_by_key_config_selectorIj11FixedVectorIiLj1EEEEZZNS1_16scan_by_key_implILNS1_25lookback_scan_determinismE0ELb1ES3_N6thrust23THRUST_200600_302600_NS6detail15normal_iteratorINSB_10device_ptrIjEEEENSD_INSE_IS6_EEEESI_S6_NSB_4plusIvEENSB_8equal_toIvEES6_EE10hipError_tPvRmT2_T3_T4_T5_mT6_T7_P12ihipStream_tbENKUlT_T0_E_clISt17integral_constantIbLb0EES13_EEDaSY_SZ_EUlSY_E_NS1_11comp_targetILNS1_3genE10ELNS1_11target_archE1201ELNS1_3gpuE5ELNS1_3repE0EEENS1_30default_config_static_selectorELNS0_4arch9wavefront6targetE0EEEvT1_.num_agpr, 0
	.set _ZN7rocprim17ROCPRIM_400000_NS6detail17trampoline_kernelINS0_14default_configENS1_27scan_by_key_config_selectorIj11FixedVectorIiLj1EEEEZZNS1_16scan_by_key_implILNS1_25lookback_scan_determinismE0ELb1ES3_N6thrust23THRUST_200600_302600_NS6detail15normal_iteratorINSB_10device_ptrIjEEEENSD_INSE_IS6_EEEESI_S6_NSB_4plusIvEENSB_8equal_toIvEES6_EE10hipError_tPvRmT2_T3_T4_T5_mT6_T7_P12ihipStream_tbENKUlT_T0_E_clISt17integral_constantIbLb0EES13_EEDaSY_SZ_EUlSY_E_NS1_11comp_targetILNS1_3genE10ELNS1_11target_archE1201ELNS1_3gpuE5ELNS1_3repE0EEENS1_30default_config_static_selectorELNS0_4arch9wavefront6targetE0EEEvT1_.numbered_sgpr, 0
	.set _ZN7rocprim17ROCPRIM_400000_NS6detail17trampoline_kernelINS0_14default_configENS1_27scan_by_key_config_selectorIj11FixedVectorIiLj1EEEEZZNS1_16scan_by_key_implILNS1_25lookback_scan_determinismE0ELb1ES3_N6thrust23THRUST_200600_302600_NS6detail15normal_iteratorINSB_10device_ptrIjEEEENSD_INSE_IS6_EEEESI_S6_NSB_4plusIvEENSB_8equal_toIvEES6_EE10hipError_tPvRmT2_T3_T4_T5_mT6_T7_P12ihipStream_tbENKUlT_T0_E_clISt17integral_constantIbLb0EES13_EEDaSY_SZ_EUlSY_E_NS1_11comp_targetILNS1_3genE10ELNS1_11target_archE1201ELNS1_3gpuE5ELNS1_3repE0EEENS1_30default_config_static_selectorELNS0_4arch9wavefront6targetE0EEEvT1_.num_named_barrier, 0
	.set _ZN7rocprim17ROCPRIM_400000_NS6detail17trampoline_kernelINS0_14default_configENS1_27scan_by_key_config_selectorIj11FixedVectorIiLj1EEEEZZNS1_16scan_by_key_implILNS1_25lookback_scan_determinismE0ELb1ES3_N6thrust23THRUST_200600_302600_NS6detail15normal_iteratorINSB_10device_ptrIjEEEENSD_INSE_IS6_EEEESI_S6_NSB_4plusIvEENSB_8equal_toIvEES6_EE10hipError_tPvRmT2_T3_T4_T5_mT6_T7_P12ihipStream_tbENKUlT_T0_E_clISt17integral_constantIbLb0EES13_EEDaSY_SZ_EUlSY_E_NS1_11comp_targetILNS1_3genE10ELNS1_11target_archE1201ELNS1_3gpuE5ELNS1_3repE0EEENS1_30default_config_static_selectorELNS0_4arch9wavefront6targetE0EEEvT1_.private_seg_size, 0
	.set _ZN7rocprim17ROCPRIM_400000_NS6detail17trampoline_kernelINS0_14default_configENS1_27scan_by_key_config_selectorIj11FixedVectorIiLj1EEEEZZNS1_16scan_by_key_implILNS1_25lookback_scan_determinismE0ELb1ES3_N6thrust23THRUST_200600_302600_NS6detail15normal_iteratorINSB_10device_ptrIjEEEENSD_INSE_IS6_EEEESI_S6_NSB_4plusIvEENSB_8equal_toIvEES6_EE10hipError_tPvRmT2_T3_T4_T5_mT6_T7_P12ihipStream_tbENKUlT_T0_E_clISt17integral_constantIbLb0EES13_EEDaSY_SZ_EUlSY_E_NS1_11comp_targetILNS1_3genE10ELNS1_11target_archE1201ELNS1_3gpuE5ELNS1_3repE0EEENS1_30default_config_static_selectorELNS0_4arch9wavefront6targetE0EEEvT1_.uses_vcc, 0
	.set _ZN7rocprim17ROCPRIM_400000_NS6detail17trampoline_kernelINS0_14default_configENS1_27scan_by_key_config_selectorIj11FixedVectorIiLj1EEEEZZNS1_16scan_by_key_implILNS1_25lookback_scan_determinismE0ELb1ES3_N6thrust23THRUST_200600_302600_NS6detail15normal_iteratorINSB_10device_ptrIjEEEENSD_INSE_IS6_EEEESI_S6_NSB_4plusIvEENSB_8equal_toIvEES6_EE10hipError_tPvRmT2_T3_T4_T5_mT6_T7_P12ihipStream_tbENKUlT_T0_E_clISt17integral_constantIbLb0EES13_EEDaSY_SZ_EUlSY_E_NS1_11comp_targetILNS1_3genE10ELNS1_11target_archE1201ELNS1_3gpuE5ELNS1_3repE0EEENS1_30default_config_static_selectorELNS0_4arch9wavefront6targetE0EEEvT1_.uses_flat_scratch, 0
	.set _ZN7rocprim17ROCPRIM_400000_NS6detail17trampoline_kernelINS0_14default_configENS1_27scan_by_key_config_selectorIj11FixedVectorIiLj1EEEEZZNS1_16scan_by_key_implILNS1_25lookback_scan_determinismE0ELb1ES3_N6thrust23THRUST_200600_302600_NS6detail15normal_iteratorINSB_10device_ptrIjEEEENSD_INSE_IS6_EEEESI_S6_NSB_4plusIvEENSB_8equal_toIvEES6_EE10hipError_tPvRmT2_T3_T4_T5_mT6_T7_P12ihipStream_tbENKUlT_T0_E_clISt17integral_constantIbLb0EES13_EEDaSY_SZ_EUlSY_E_NS1_11comp_targetILNS1_3genE10ELNS1_11target_archE1201ELNS1_3gpuE5ELNS1_3repE0EEENS1_30default_config_static_selectorELNS0_4arch9wavefront6targetE0EEEvT1_.has_dyn_sized_stack, 0
	.set _ZN7rocprim17ROCPRIM_400000_NS6detail17trampoline_kernelINS0_14default_configENS1_27scan_by_key_config_selectorIj11FixedVectorIiLj1EEEEZZNS1_16scan_by_key_implILNS1_25lookback_scan_determinismE0ELb1ES3_N6thrust23THRUST_200600_302600_NS6detail15normal_iteratorINSB_10device_ptrIjEEEENSD_INSE_IS6_EEEESI_S6_NSB_4plusIvEENSB_8equal_toIvEES6_EE10hipError_tPvRmT2_T3_T4_T5_mT6_T7_P12ihipStream_tbENKUlT_T0_E_clISt17integral_constantIbLb0EES13_EEDaSY_SZ_EUlSY_E_NS1_11comp_targetILNS1_3genE10ELNS1_11target_archE1201ELNS1_3gpuE5ELNS1_3repE0EEENS1_30default_config_static_selectorELNS0_4arch9wavefront6targetE0EEEvT1_.has_recursion, 0
	.set _ZN7rocprim17ROCPRIM_400000_NS6detail17trampoline_kernelINS0_14default_configENS1_27scan_by_key_config_selectorIj11FixedVectorIiLj1EEEEZZNS1_16scan_by_key_implILNS1_25lookback_scan_determinismE0ELb1ES3_N6thrust23THRUST_200600_302600_NS6detail15normal_iteratorINSB_10device_ptrIjEEEENSD_INSE_IS6_EEEESI_S6_NSB_4plusIvEENSB_8equal_toIvEES6_EE10hipError_tPvRmT2_T3_T4_T5_mT6_T7_P12ihipStream_tbENKUlT_T0_E_clISt17integral_constantIbLb0EES13_EEDaSY_SZ_EUlSY_E_NS1_11comp_targetILNS1_3genE10ELNS1_11target_archE1201ELNS1_3gpuE5ELNS1_3repE0EEENS1_30default_config_static_selectorELNS0_4arch9wavefront6targetE0EEEvT1_.has_indirect_call, 0
	.section	.AMDGPU.csdata,"",@progbits
; Kernel info:
; codeLenInByte = 0
; TotalNumSgprs: 0
; NumVgprs: 0
; ScratchSize: 0
; MemoryBound: 0
; FloatMode: 240
; IeeeMode: 1
; LDSByteSize: 0 bytes/workgroup (compile time only)
; SGPRBlocks: 0
; VGPRBlocks: 0
; NumSGPRsForWavesPerEU: 1
; NumVGPRsForWavesPerEU: 1
; NamedBarCnt: 0
; Occupancy: 16
; WaveLimiterHint : 0
; COMPUTE_PGM_RSRC2:SCRATCH_EN: 0
; COMPUTE_PGM_RSRC2:USER_SGPR: 2
; COMPUTE_PGM_RSRC2:TRAP_HANDLER: 0
; COMPUTE_PGM_RSRC2:TGID_X_EN: 1
; COMPUTE_PGM_RSRC2:TGID_Y_EN: 0
; COMPUTE_PGM_RSRC2:TGID_Z_EN: 0
; COMPUTE_PGM_RSRC2:TIDIG_COMP_CNT: 0
	.section	.text._ZN7rocprim17ROCPRIM_400000_NS6detail17trampoline_kernelINS0_14default_configENS1_27scan_by_key_config_selectorIj11FixedVectorIiLj1EEEEZZNS1_16scan_by_key_implILNS1_25lookback_scan_determinismE0ELb1ES3_N6thrust23THRUST_200600_302600_NS6detail15normal_iteratorINSB_10device_ptrIjEEEENSD_INSE_IS6_EEEESI_S6_NSB_4plusIvEENSB_8equal_toIvEES6_EE10hipError_tPvRmT2_T3_T4_T5_mT6_T7_P12ihipStream_tbENKUlT_T0_E_clISt17integral_constantIbLb0EES13_EEDaSY_SZ_EUlSY_E_NS1_11comp_targetILNS1_3genE5ELNS1_11target_archE942ELNS1_3gpuE9ELNS1_3repE0EEENS1_30default_config_static_selectorELNS0_4arch9wavefront6targetE0EEEvT1_,"axG",@progbits,_ZN7rocprim17ROCPRIM_400000_NS6detail17trampoline_kernelINS0_14default_configENS1_27scan_by_key_config_selectorIj11FixedVectorIiLj1EEEEZZNS1_16scan_by_key_implILNS1_25lookback_scan_determinismE0ELb1ES3_N6thrust23THRUST_200600_302600_NS6detail15normal_iteratorINSB_10device_ptrIjEEEENSD_INSE_IS6_EEEESI_S6_NSB_4plusIvEENSB_8equal_toIvEES6_EE10hipError_tPvRmT2_T3_T4_T5_mT6_T7_P12ihipStream_tbENKUlT_T0_E_clISt17integral_constantIbLb0EES13_EEDaSY_SZ_EUlSY_E_NS1_11comp_targetILNS1_3genE5ELNS1_11target_archE942ELNS1_3gpuE9ELNS1_3repE0EEENS1_30default_config_static_selectorELNS0_4arch9wavefront6targetE0EEEvT1_,comdat
	.protected	_ZN7rocprim17ROCPRIM_400000_NS6detail17trampoline_kernelINS0_14default_configENS1_27scan_by_key_config_selectorIj11FixedVectorIiLj1EEEEZZNS1_16scan_by_key_implILNS1_25lookback_scan_determinismE0ELb1ES3_N6thrust23THRUST_200600_302600_NS6detail15normal_iteratorINSB_10device_ptrIjEEEENSD_INSE_IS6_EEEESI_S6_NSB_4plusIvEENSB_8equal_toIvEES6_EE10hipError_tPvRmT2_T3_T4_T5_mT6_T7_P12ihipStream_tbENKUlT_T0_E_clISt17integral_constantIbLb0EES13_EEDaSY_SZ_EUlSY_E_NS1_11comp_targetILNS1_3genE5ELNS1_11target_archE942ELNS1_3gpuE9ELNS1_3repE0EEENS1_30default_config_static_selectorELNS0_4arch9wavefront6targetE0EEEvT1_ ; -- Begin function _ZN7rocprim17ROCPRIM_400000_NS6detail17trampoline_kernelINS0_14default_configENS1_27scan_by_key_config_selectorIj11FixedVectorIiLj1EEEEZZNS1_16scan_by_key_implILNS1_25lookback_scan_determinismE0ELb1ES3_N6thrust23THRUST_200600_302600_NS6detail15normal_iteratorINSB_10device_ptrIjEEEENSD_INSE_IS6_EEEESI_S6_NSB_4plusIvEENSB_8equal_toIvEES6_EE10hipError_tPvRmT2_T3_T4_T5_mT6_T7_P12ihipStream_tbENKUlT_T0_E_clISt17integral_constantIbLb0EES13_EEDaSY_SZ_EUlSY_E_NS1_11comp_targetILNS1_3genE5ELNS1_11target_archE942ELNS1_3gpuE9ELNS1_3repE0EEENS1_30default_config_static_selectorELNS0_4arch9wavefront6targetE0EEEvT1_
	.globl	_ZN7rocprim17ROCPRIM_400000_NS6detail17trampoline_kernelINS0_14default_configENS1_27scan_by_key_config_selectorIj11FixedVectorIiLj1EEEEZZNS1_16scan_by_key_implILNS1_25lookback_scan_determinismE0ELb1ES3_N6thrust23THRUST_200600_302600_NS6detail15normal_iteratorINSB_10device_ptrIjEEEENSD_INSE_IS6_EEEESI_S6_NSB_4plusIvEENSB_8equal_toIvEES6_EE10hipError_tPvRmT2_T3_T4_T5_mT6_T7_P12ihipStream_tbENKUlT_T0_E_clISt17integral_constantIbLb0EES13_EEDaSY_SZ_EUlSY_E_NS1_11comp_targetILNS1_3genE5ELNS1_11target_archE942ELNS1_3gpuE9ELNS1_3repE0EEENS1_30default_config_static_selectorELNS0_4arch9wavefront6targetE0EEEvT1_
	.p2align	8
	.type	_ZN7rocprim17ROCPRIM_400000_NS6detail17trampoline_kernelINS0_14default_configENS1_27scan_by_key_config_selectorIj11FixedVectorIiLj1EEEEZZNS1_16scan_by_key_implILNS1_25lookback_scan_determinismE0ELb1ES3_N6thrust23THRUST_200600_302600_NS6detail15normal_iteratorINSB_10device_ptrIjEEEENSD_INSE_IS6_EEEESI_S6_NSB_4plusIvEENSB_8equal_toIvEES6_EE10hipError_tPvRmT2_T3_T4_T5_mT6_T7_P12ihipStream_tbENKUlT_T0_E_clISt17integral_constantIbLb0EES13_EEDaSY_SZ_EUlSY_E_NS1_11comp_targetILNS1_3genE5ELNS1_11target_archE942ELNS1_3gpuE9ELNS1_3repE0EEENS1_30default_config_static_selectorELNS0_4arch9wavefront6targetE0EEEvT1_,@function
_ZN7rocprim17ROCPRIM_400000_NS6detail17trampoline_kernelINS0_14default_configENS1_27scan_by_key_config_selectorIj11FixedVectorIiLj1EEEEZZNS1_16scan_by_key_implILNS1_25lookback_scan_determinismE0ELb1ES3_N6thrust23THRUST_200600_302600_NS6detail15normal_iteratorINSB_10device_ptrIjEEEENSD_INSE_IS6_EEEESI_S6_NSB_4plusIvEENSB_8equal_toIvEES6_EE10hipError_tPvRmT2_T3_T4_T5_mT6_T7_P12ihipStream_tbENKUlT_T0_E_clISt17integral_constantIbLb0EES13_EEDaSY_SZ_EUlSY_E_NS1_11comp_targetILNS1_3genE5ELNS1_11target_archE942ELNS1_3gpuE9ELNS1_3repE0EEENS1_30default_config_static_selectorELNS0_4arch9wavefront6targetE0EEEvT1_: ; @_ZN7rocprim17ROCPRIM_400000_NS6detail17trampoline_kernelINS0_14default_configENS1_27scan_by_key_config_selectorIj11FixedVectorIiLj1EEEEZZNS1_16scan_by_key_implILNS1_25lookback_scan_determinismE0ELb1ES3_N6thrust23THRUST_200600_302600_NS6detail15normal_iteratorINSB_10device_ptrIjEEEENSD_INSE_IS6_EEEESI_S6_NSB_4plusIvEENSB_8equal_toIvEES6_EE10hipError_tPvRmT2_T3_T4_T5_mT6_T7_P12ihipStream_tbENKUlT_T0_E_clISt17integral_constantIbLb0EES13_EEDaSY_SZ_EUlSY_E_NS1_11comp_targetILNS1_3genE5ELNS1_11target_archE942ELNS1_3gpuE9ELNS1_3repE0EEENS1_30default_config_static_selectorELNS0_4arch9wavefront6targetE0EEEvT1_
; %bb.0:
	.section	.rodata,"a",@progbits
	.p2align	6, 0x0
	.amdhsa_kernel _ZN7rocprim17ROCPRIM_400000_NS6detail17trampoline_kernelINS0_14default_configENS1_27scan_by_key_config_selectorIj11FixedVectorIiLj1EEEEZZNS1_16scan_by_key_implILNS1_25lookback_scan_determinismE0ELb1ES3_N6thrust23THRUST_200600_302600_NS6detail15normal_iteratorINSB_10device_ptrIjEEEENSD_INSE_IS6_EEEESI_S6_NSB_4plusIvEENSB_8equal_toIvEES6_EE10hipError_tPvRmT2_T3_T4_T5_mT6_T7_P12ihipStream_tbENKUlT_T0_E_clISt17integral_constantIbLb0EES13_EEDaSY_SZ_EUlSY_E_NS1_11comp_targetILNS1_3genE5ELNS1_11target_archE942ELNS1_3gpuE9ELNS1_3repE0EEENS1_30default_config_static_selectorELNS0_4arch9wavefront6targetE0EEEvT1_
		.amdhsa_group_segment_fixed_size 0
		.amdhsa_private_segment_fixed_size 0
		.amdhsa_kernarg_size 112
		.amdhsa_user_sgpr_count 2
		.amdhsa_user_sgpr_dispatch_ptr 0
		.amdhsa_user_sgpr_queue_ptr 0
		.amdhsa_user_sgpr_kernarg_segment_ptr 1
		.amdhsa_user_sgpr_dispatch_id 0
		.amdhsa_user_sgpr_kernarg_preload_length 0
		.amdhsa_user_sgpr_kernarg_preload_offset 0
		.amdhsa_user_sgpr_private_segment_size 0
		.amdhsa_wavefront_size32 1
		.amdhsa_uses_dynamic_stack 0
		.amdhsa_enable_private_segment 0
		.amdhsa_system_sgpr_workgroup_id_x 1
		.amdhsa_system_sgpr_workgroup_id_y 0
		.amdhsa_system_sgpr_workgroup_id_z 0
		.amdhsa_system_sgpr_workgroup_info 0
		.amdhsa_system_vgpr_workitem_id 0
		.amdhsa_next_free_vgpr 1
		.amdhsa_next_free_sgpr 1
		.amdhsa_named_barrier_count 0
		.amdhsa_reserve_vcc 0
		.amdhsa_float_round_mode_32 0
		.amdhsa_float_round_mode_16_64 0
		.amdhsa_float_denorm_mode_32 3
		.amdhsa_float_denorm_mode_16_64 3
		.amdhsa_fp16_overflow 0
		.amdhsa_memory_ordered 1
		.amdhsa_forward_progress 1
		.amdhsa_inst_pref_size 0
		.amdhsa_round_robin_scheduling 0
		.amdhsa_exception_fp_ieee_invalid_op 0
		.amdhsa_exception_fp_denorm_src 0
		.amdhsa_exception_fp_ieee_div_zero 0
		.amdhsa_exception_fp_ieee_overflow 0
		.amdhsa_exception_fp_ieee_underflow 0
		.amdhsa_exception_fp_ieee_inexact 0
		.amdhsa_exception_int_div_zero 0
	.end_amdhsa_kernel
	.section	.text._ZN7rocprim17ROCPRIM_400000_NS6detail17trampoline_kernelINS0_14default_configENS1_27scan_by_key_config_selectorIj11FixedVectorIiLj1EEEEZZNS1_16scan_by_key_implILNS1_25lookback_scan_determinismE0ELb1ES3_N6thrust23THRUST_200600_302600_NS6detail15normal_iteratorINSB_10device_ptrIjEEEENSD_INSE_IS6_EEEESI_S6_NSB_4plusIvEENSB_8equal_toIvEES6_EE10hipError_tPvRmT2_T3_T4_T5_mT6_T7_P12ihipStream_tbENKUlT_T0_E_clISt17integral_constantIbLb0EES13_EEDaSY_SZ_EUlSY_E_NS1_11comp_targetILNS1_3genE5ELNS1_11target_archE942ELNS1_3gpuE9ELNS1_3repE0EEENS1_30default_config_static_selectorELNS0_4arch9wavefront6targetE0EEEvT1_,"axG",@progbits,_ZN7rocprim17ROCPRIM_400000_NS6detail17trampoline_kernelINS0_14default_configENS1_27scan_by_key_config_selectorIj11FixedVectorIiLj1EEEEZZNS1_16scan_by_key_implILNS1_25lookback_scan_determinismE0ELb1ES3_N6thrust23THRUST_200600_302600_NS6detail15normal_iteratorINSB_10device_ptrIjEEEENSD_INSE_IS6_EEEESI_S6_NSB_4plusIvEENSB_8equal_toIvEES6_EE10hipError_tPvRmT2_T3_T4_T5_mT6_T7_P12ihipStream_tbENKUlT_T0_E_clISt17integral_constantIbLb0EES13_EEDaSY_SZ_EUlSY_E_NS1_11comp_targetILNS1_3genE5ELNS1_11target_archE942ELNS1_3gpuE9ELNS1_3repE0EEENS1_30default_config_static_selectorELNS0_4arch9wavefront6targetE0EEEvT1_,comdat
.Lfunc_end1913:
	.size	_ZN7rocprim17ROCPRIM_400000_NS6detail17trampoline_kernelINS0_14default_configENS1_27scan_by_key_config_selectorIj11FixedVectorIiLj1EEEEZZNS1_16scan_by_key_implILNS1_25lookback_scan_determinismE0ELb1ES3_N6thrust23THRUST_200600_302600_NS6detail15normal_iteratorINSB_10device_ptrIjEEEENSD_INSE_IS6_EEEESI_S6_NSB_4plusIvEENSB_8equal_toIvEES6_EE10hipError_tPvRmT2_T3_T4_T5_mT6_T7_P12ihipStream_tbENKUlT_T0_E_clISt17integral_constantIbLb0EES13_EEDaSY_SZ_EUlSY_E_NS1_11comp_targetILNS1_3genE5ELNS1_11target_archE942ELNS1_3gpuE9ELNS1_3repE0EEENS1_30default_config_static_selectorELNS0_4arch9wavefront6targetE0EEEvT1_, .Lfunc_end1913-_ZN7rocprim17ROCPRIM_400000_NS6detail17trampoline_kernelINS0_14default_configENS1_27scan_by_key_config_selectorIj11FixedVectorIiLj1EEEEZZNS1_16scan_by_key_implILNS1_25lookback_scan_determinismE0ELb1ES3_N6thrust23THRUST_200600_302600_NS6detail15normal_iteratorINSB_10device_ptrIjEEEENSD_INSE_IS6_EEEESI_S6_NSB_4plusIvEENSB_8equal_toIvEES6_EE10hipError_tPvRmT2_T3_T4_T5_mT6_T7_P12ihipStream_tbENKUlT_T0_E_clISt17integral_constantIbLb0EES13_EEDaSY_SZ_EUlSY_E_NS1_11comp_targetILNS1_3genE5ELNS1_11target_archE942ELNS1_3gpuE9ELNS1_3repE0EEENS1_30default_config_static_selectorELNS0_4arch9wavefront6targetE0EEEvT1_
                                        ; -- End function
	.set _ZN7rocprim17ROCPRIM_400000_NS6detail17trampoline_kernelINS0_14default_configENS1_27scan_by_key_config_selectorIj11FixedVectorIiLj1EEEEZZNS1_16scan_by_key_implILNS1_25lookback_scan_determinismE0ELb1ES3_N6thrust23THRUST_200600_302600_NS6detail15normal_iteratorINSB_10device_ptrIjEEEENSD_INSE_IS6_EEEESI_S6_NSB_4plusIvEENSB_8equal_toIvEES6_EE10hipError_tPvRmT2_T3_T4_T5_mT6_T7_P12ihipStream_tbENKUlT_T0_E_clISt17integral_constantIbLb0EES13_EEDaSY_SZ_EUlSY_E_NS1_11comp_targetILNS1_3genE5ELNS1_11target_archE942ELNS1_3gpuE9ELNS1_3repE0EEENS1_30default_config_static_selectorELNS0_4arch9wavefront6targetE0EEEvT1_.num_vgpr, 0
	.set _ZN7rocprim17ROCPRIM_400000_NS6detail17trampoline_kernelINS0_14default_configENS1_27scan_by_key_config_selectorIj11FixedVectorIiLj1EEEEZZNS1_16scan_by_key_implILNS1_25lookback_scan_determinismE0ELb1ES3_N6thrust23THRUST_200600_302600_NS6detail15normal_iteratorINSB_10device_ptrIjEEEENSD_INSE_IS6_EEEESI_S6_NSB_4plusIvEENSB_8equal_toIvEES6_EE10hipError_tPvRmT2_T3_T4_T5_mT6_T7_P12ihipStream_tbENKUlT_T0_E_clISt17integral_constantIbLb0EES13_EEDaSY_SZ_EUlSY_E_NS1_11comp_targetILNS1_3genE5ELNS1_11target_archE942ELNS1_3gpuE9ELNS1_3repE0EEENS1_30default_config_static_selectorELNS0_4arch9wavefront6targetE0EEEvT1_.num_agpr, 0
	.set _ZN7rocprim17ROCPRIM_400000_NS6detail17trampoline_kernelINS0_14default_configENS1_27scan_by_key_config_selectorIj11FixedVectorIiLj1EEEEZZNS1_16scan_by_key_implILNS1_25lookback_scan_determinismE0ELb1ES3_N6thrust23THRUST_200600_302600_NS6detail15normal_iteratorINSB_10device_ptrIjEEEENSD_INSE_IS6_EEEESI_S6_NSB_4plusIvEENSB_8equal_toIvEES6_EE10hipError_tPvRmT2_T3_T4_T5_mT6_T7_P12ihipStream_tbENKUlT_T0_E_clISt17integral_constantIbLb0EES13_EEDaSY_SZ_EUlSY_E_NS1_11comp_targetILNS1_3genE5ELNS1_11target_archE942ELNS1_3gpuE9ELNS1_3repE0EEENS1_30default_config_static_selectorELNS0_4arch9wavefront6targetE0EEEvT1_.numbered_sgpr, 0
	.set _ZN7rocprim17ROCPRIM_400000_NS6detail17trampoline_kernelINS0_14default_configENS1_27scan_by_key_config_selectorIj11FixedVectorIiLj1EEEEZZNS1_16scan_by_key_implILNS1_25lookback_scan_determinismE0ELb1ES3_N6thrust23THRUST_200600_302600_NS6detail15normal_iteratorINSB_10device_ptrIjEEEENSD_INSE_IS6_EEEESI_S6_NSB_4plusIvEENSB_8equal_toIvEES6_EE10hipError_tPvRmT2_T3_T4_T5_mT6_T7_P12ihipStream_tbENKUlT_T0_E_clISt17integral_constantIbLb0EES13_EEDaSY_SZ_EUlSY_E_NS1_11comp_targetILNS1_3genE5ELNS1_11target_archE942ELNS1_3gpuE9ELNS1_3repE0EEENS1_30default_config_static_selectorELNS0_4arch9wavefront6targetE0EEEvT1_.num_named_barrier, 0
	.set _ZN7rocprim17ROCPRIM_400000_NS6detail17trampoline_kernelINS0_14default_configENS1_27scan_by_key_config_selectorIj11FixedVectorIiLj1EEEEZZNS1_16scan_by_key_implILNS1_25lookback_scan_determinismE0ELb1ES3_N6thrust23THRUST_200600_302600_NS6detail15normal_iteratorINSB_10device_ptrIjEEEENSD_INSE_IS6_EEEESI_S6_NSB_4plusIvEENSB_8equal_toIvEES6_EE10hipError_tPvRmT2_T3_T4_T5_mT6_T7_P12ihipStream_tbENKUlT_T0_E_clISt17integral_constantIbLb0EES13_EEDaSY_SZ_EUlSY_E_NS1_11comp_targetILNS1_3genE5ELNS1_11target_archE942ELNS1_3gpuE9ELNS1_3repE0EEENS1_30default_config_static_selectorELNS0_4arch9wavefront6targetE0EEEvT1_.private_seg_size, 0
	.set _ZN7rocprim17ROCPRIM_400000_NS6detail17trampoline_kernelINS0_14default_configENS1_27scan_by_key_config_selectorIj11FixedVectorIiLj1EEEEZZNS1_16scan_by_key_implILNS1_25lookback_scan_determinismE0ELb1ES3_N6thrust23THRUST_200600_302600_NS6detail15normal_iteratorINSB_10device_ptrIjEEEENSD_INSE_IS6_EEEESI_S6_NSB_4plusIvEENSB_8equal_toIvEES6_EE10hipError_tPvRmT2_T3_T4_T5_mT6_T7_P12ihipStream_tbENKUlT_T0_E_clISt17integral_constantIbLb0EES13_EEDaSY_SZ_EUlSY_E_NS1_11comp_targetILNS1_3genE5ELNS1_11target_archE942ELNS1_3gpuE9ELNS1_3repE0EEENS1_30default_config_static_selectorELNS0_4arch9wavefront6targetE0EEEvT1_.uses_vcc, 0
	.set _ZN7rocprim17ROCPRIM_400000_NS6detail17trampoline_kernelINS0_14default_configENS1_27scan_by_key_config_selectorIj11FixedVectorIiLj1EEEEZZNS1_16scan_by_key_implILNS1_25lookback_scan_determinismE0ELb1ES3_N6thrust23THRUST_200600_302600_NS6detail15normal_iteratorINSB_10device_ptrIjEEEENSD_INSE_IS6_EEEESI_S6_NSB_4plusIvEENSB_8equal_toIvEES6_EE10hipError_tPvRmT2_T3_T4_T5_mT6_T7_P12ihipStream_tbENKUlT_T0_E_clISt17integral_constantIbLb0EES13_EEDaSY_SZ_EUlSY_E_NS1_11comp_targetILNS1_3genE5ELNS1_11target_archE942ELNS1_3gpuE9ELNS1_3repE0EEENS1_30default_config_static_selectorELNS0_4arch9wavefront6targetE0EEEvT1_.uses_flat_scratch, 0
	.set _ZN7rocprim17ROCPRIM_400000_NS6detail17trampoline_kernelINS0_14default_configENS1_27scan_by_key_config_selectorIj11FixedVectorIiLj1EEEEZZNS1_16scan_by_key_implILNS1_25lookback_scan_determinismE0ELb1ES3_N6thrust23THRUST_200600_302600_NS6detail15normal_iteratorINSB_10device_ptrIjEEEENSD_INSE_IS6_EEEESI_S6_NSB_4plusIvEENSB_8equal_toIvEES6_EE10hipError_tPvRmT2_T3_T4_T5_mT6_T7_P12ihipStream_tbENKUlT_T0_E_clISt17integral_constantIbLb0EES13_EEDaSY_SZ_EUlSY_E_NS1_11comp_targetILNS1_3genE5ELNS1_11target_archE942ELNS1_3gpuE9ELNS1_3repE0EEENS1_30default_config_static_selectorELNS0_4arch9wavefront6targetE0EEEvT1_.has_dyn_sized_stack, 0
	.set _ZN7rocprim17ROCPRIM_400000_NS6detail17trampoline_kernelINS0_14default_configENS1_27scan_by_key_config_selectorIj11FixedVectorIiLj1EEEEZZNS1_16scan_by_key_implILNS1_25lookback_scan_determinismE0ELb1ES3_N6thrust23THRUST_200600_302600_NS6detail15normal_iteratorINSB_10device_ptrIjEEEENSD_INSE_IS6_EEEESI_S6_NSB_4plusIvEENSB_8equal_toIvEES6_EE10hipError_tPvRmT2_T3_T4_T5_mT6_T7_P12ihipStream_tbENKUlT_T0_E_clISt17integral_constantIbLb0EES13_EEDaSY_SZ_EUlSY_E_NS1_11comp_targetILNS1_3genE5ELNS1_11target_archE942ELNS1_3gpuE9ELNS1_3repE0EEENS1_30default_config_static_selectorELNS0_4arch9wavefront6targetE0EEEvT1_.has_recursion, 0
	.set _ZN7rocprim17ROCPRIM_400000_NS6detail17trampoline_kernelINS0_14default_configENS1_27scan_by_key_config_selectorIj11FixedVectorIiLj1EEEEZZNS1_16scan_by_key_implILNS1_25lookback_scan_determinismE0ELb1ES3_N6thrust23THRUST_200600_302600_NS6detail15normal_iteratorINSB_10device_ptrIjEEEENSD_INSE_IS6_EEEESI_S6_NSB_4plusIvEENSB_8equal_toIvEES6_EE10hipError_tPvRmT2_T3_T4_T5_mT6_T7_P12ihipStream_tbENKUlT_T0_E_clISt17integral_constantIbLb0EES13_EEDaSY_SZ_EUlSY_E_NS1_11comp_targetILNS1_3genE5ELNS1_11target_archE942ELNS1_3gpuE9ELNS1_3repE0EEENS1_30default_config_static_selectorELNS0_4arch9wavefront6targetE0EEEvT1_.has_indirect_call, 0
	.section	.AMDGPU.csdata,"",@progbits
; Kernel info:
; codeLenInByte = 0
; TotalNumSgprs: 0
; NumVgprs: 0
; ScratchSize: 0
; MemoryBound: 0
; FloatMode: 240
; IeeeMode: 1
; LDSByteSize: 0 bytes/workgroup (compile time only)
; SGPRBlocks: 0
; VGPRBlocks: 0
; NumSGPRsForWavesPerEU: 1
; NumVGPRsForWavesPerEU: 1
; NamedBarCnt: 0
; Occupancy: 16
; WaveLimiterHint : 0
; COMPUTE_PGM_RSRC2:SCRATCH_EN: 0
; COMPUTE_PGM_RSRC2:USER_SGPR: 2
; COMPUTE_PGM_RSRC2:TRAP_HANDLER: 0
; COMPUTE_PGM_RSRC2:TGID_X_EN: 1
; COMPUTE_PGM_RSRC2:TGID_Y_EN: 0
; COMPUTE_PGM_RSRC2:TGID_Z_EN: 0
; COMPUTE_PGM_RSRC2:TIDIG_COMP_CNT: 0
	.section	.text._ZN7rocprim17ROCPRIM_400000_NS6detail17trampoline_kernelINS0_14default_configENS1_27scan_by_key_config_selectorIj11FixedVectorIiLj1EEEEZZNS1_16scan_by_key_implILNS1_25lookback_scan_determinismE0ELb1ES3_N6thrust23THRUST_200600_302600_NS6detail15normal_iteratorINSB_10device_ptrIjEEEENSD_INSE_IS6_EEEESI_S6_NSB_4plusIvEENSB_8equal_toIvEES6_EE10hipError_tPvRmT2_T3_T4_T5_mT6_T7_P12ihipStream_tbENKUlT_T0_E_clISt17integral_constantIbLb0EES13_EEDaSY_SZ_EUlSY_E_NS1_11comp_targetILNS1_3genE4ELNS1_11target_archE910ELNS1_3gpuE8ELNS1_3repE0EEENS1_30default_config_static_selectorELNS0_4arch9wavefront6targetE0EEEvT1_,"axG",@progbits,_ZN7rocprim17ROCPRIM_400000_NS6detail17trampoline_kernelINS0_14default_configENS1_27scan_by_key_config_selectorIj11FixedVectorIiLj1EEEEZZNS1_16scan_by_key_implILNS1_25lookback_scan_determinismE0ELb1ES3_N6thrust23THRUST_200600_302600_NS6detail15normal_iteratorINSB_10device_ptrIjEEEENSD_INSE_IS6_EEEESI_S6_NSB_4plusIvEENSB_8equal_toIvEES6_EE10hipError_tPvRmT2_T3_T4_T5_mT6_T7_P12ihipStream_tbENKUlT_T0_E_clISt17integral_constantIbLb0EES13_EEDaSY_SZ_EUlSY_E_NS1_11comp_targetILNS1_3genE4ELNS1_11target_archE910ELNS1_3gpuE8ELNS1_3repE0EEENS1_30default_config_static_selectorELNS0_4arch9wavefront6targetE0EEEvT1_,comdat
	.protected	_ZN7rocprim17ROCPRIM_400000_NS6detail17trampoline_kernelINS0_14default_configENS1_27scan_by_key_config_selectorIj11FixedVectorIiLj1EEEEZZNS1_16scan_by_key_implILNS1_25lookback_scan_determinismE0ELb1ES3_N6thrust23THRUST_200600_302600_NS6detail15normal_iteratorINSB_10device_ptrIjEEEENSD_INSE_IS6_EEEESI_S6_NSB_4plusIvEENSB_8equal_toIvEES6_EE10hipError_tPvRmT2_T3_T4_T5_mT6_T7_P12ihipStream_tbENKUlT_T0_E_clISt17integral_constantIbLb0EES13_EEDaSY_SZ_EUlSY_E_NS1_11comp_targetILNS1_3genE4ELNS1_11target_archE910ELNS1_3gpuE8ELNS1_3repE0EEENS1_30default_config_static_selectorELNS0_4arch9wavefront6targetE0EEEvT1_ ; -- Begin function _ZN7rocprim17ROCPRIM_400000_NS6detail17trampoline_kernelINS0_14default_configENS1_27scan_by_key_config_selectorIj11FixedVectorIiLj1EEEEZZNS1_16scan_by_key_implILNS1_25lookback_scan_determinismE0ELb1ES3_N6thrust23THRUST_200600_302600_NS6detail15normal_iteratorINSB_10device_ptrIjEEEENSD_INSE_IS6_EEEESI_S6_NSB_4plusIvEENSB_8equal_toIvEES6_EE10hipError_tPvRmT2_T3_T4_T5_mT6_T7_P12ihipStream_tbENKUlT_T0_E_clISt17integral_constantIbLb0EES13_EEDaSY_SZ_EUlSY_E_NS1_11comp_targetILNS1_3genE4ELNS1_11target_archE910ELNS1_3gpuE8ELNS1_3repE0EEENS1_30default_config_static_selectorELNS0_4arch9wavefront6targetE0EEEvT1_
	.globl	_ZN7rocprim17ROCPRIM_400000_NS6detail17trampoline_kernelINS0_14default_configENS1_27scan_by_key_config_selectorIj11FixedVectorIiLj1EEEEZZNS1_16scan_by_key_implILNS1_25lookback_scan_determinismE0ELb1ES3_N6thrust23THRUST_200600_302600_NS6detail15normal_iteratorINSB_10device_ptrIjEEEENSD_INSE_IS6_EEEESI_S6_NSB_4plusIvEENSB_8equal_toIvEES6_EE10hipError_tPvRmT2_T3_T4_T5_mT6_T7_P12ihipStream_tbENKUlT_T0_E_clISt17integral_constantIbLb0EES13_EEDaSY_SZ_EUlSY_E_NS1_11comp_targetILNS1_3genE4ELNS1_11target_archE910ELNS1_3gpuE8ELNS1_3repE0EEENS1_30default_config_static_selectorELNS0_4arch9wavefront6targetE0EEEvT1_
	.p2align	8
	.type	_ZN7rocprim17ROCPRIM_400000_NS6detail17trampoline_kernelINS0_14default_configENS1_27scan_by_key_config_selectorIj11FixedVectorIiLj1EEEEZZNS1_16scan_by_key_implILNS1_25lookback_scan_determinismE0ELb1ES3_N6thrust23THRUST_200600_302600_NS6detail15normal_iteratorINSB_10device_ptrIjEEEENSD_INSE_IS6_EEEESI_S6_NSB_4plusIvEENSB_8equal_toIvEES6_EE10hipError_tPvRmT2_T3_T4_T5_mT6_T7_P12ihipStream_tbENKUlT_T0_E_clISt17integral_constantIbLb0EES13_EEDaSY_SZ_EUlSY_E_NS1_11comp_targetILNS1_3genE4ELNS1_11target_archE910ELNS1_3gpuE8ELNS1_3repE0EEENS1_30default_config_static_selectorELNS0_4arch9wavefront6targetE0EEEvT1_,@function
_ZN7rocprim17ROCPRIM_400000_NS6detail17trampoline_kernelINS0_14default_configENS1_27scan_by_key_config_selectorIj11FixedVectorIiLj1EEEEZZNS1_16scan_by_key_implILNS1_25lookback_scan_determinismE0ELb1ES3_N6thrust23THRUST_200600_302600_NS6detail15normal_iteratorINSB_10device_ptrIjEEEENSD_INSE_IS6_EEEESI_S6_NSB_4plusIvEENSB_8equal_toIvEES6_EE10hipError_tPvRmT2_T3_T4_T5_mT6_T7_P12ihipStream_tbENKUlT_T0_E_clISt17integral_constantIbLb0EES13_EEDaSY_SZ_EUlSY_E_NS1_11comp_targetILNS1_3genE4ELNS1_11target_archE910ELNS1_3gpuE8ELNS1_3repE0EEENS1_30default_config_static_selectorELNS0_4arch9wavefront6targetE0EEEvT1_: ; @_ZN7rocprim17ROCPRIM_400000_NS6detail17trampoline_kernelINS0_14default_configENS1_27scan_by_key_config_selectorIj11FixedVectorIiLj1EEEEZZNS1_16scan_by_key_implILNS1_25lookback_scan_determinismE0ELb1ES3_N6thrust23THRUST_200600_302600_NS6detail15normal_iteratorINSB_10device_ptrIjEEEENSD_INSE_IS6_EEEESI_S6_NSB_4plusIvEENSB_8equal_toIvEES6_EE10hipError_tPvRmT2_T3_T4_T5_mT6_T7_P12ihipStream_tbENKUlT_T0_E_clISt17integral_constantIbLb0EES13_EEDaSY_SZ_EUlSY_E_NS1_11comp_targetILNS1_3genE4ELNS1_11target_archE910ELNS1_3gpuE8ELNS1_3repE0EEENS1_30default_config_static_selectorELNS0_4arch9wavefront6targetE0EEEvT1_
; %bb.0:
	.section	.rodata,"a",@progbits
	.p2align	6, 0x0
	.amdhsa_kernel _ZN7rocprim17ROCPRIM_400000_NS6detail17trampoline_kernelINS0_14default_configENS1_27scan_by_key_config_selectorIj11FixedVectorIiLj1EEEEZZNS1_16scan_by_key_implILNS1_25lookback_scan_determinismE0ELb1ES3_N6thrust23THRUST_200600_302600_NS6detail15normal_iteratorINSB_10device_ptrIjEEEENSD_INSE_IS6_EEEESI_S6_NSB_4plusIvEENSB_8equal_toIvEES6_EE10hipError_tPvRmT2_T3_T4_T5_mT6_T7_P12ihipStream_tbENKUlT_T0_E_clISt17integral_constantIbLb0EES13_EEDaSY_SZ_EUlSY_E_NS1_11comp_targetILNS1_3genE4ELNS1_11target_archE910ELNS1_3gpuE8ELNS1_3repE0EEENS1_30default_config_static_selectorELNS0_4arch9wavefront6targetE0EEEvT1_
		.amdhsa_group_segment_fixed_size 0
		.amdhsa_private_segment_fixed_size 0
		.amdhsa_kernarg_size 112
		.amdhsa_user_sgpr_count 2
		.amdhsa_user_sgpr_dispatch_ptr 0
		.amdhsa_user_sgpr_queue_ptr 0
		.amdhsa_user_sgpr_kernarg_segment_ptr 1
		.amdhsa_user_sgpr_dispatch_id 0
		.amdhsa_user_sgpr_kernarg_preload_length 0
		.amdhsa_user_sgpr_kernarg_preload_offset 0
		.amdhsa_user_sgpr_private_segment_size 0
		.amdhsa_wavefront_size32 1
		.amdhsa_uses_dynamic_stack 0
		.amdhsa_enable_private_segment 0
		.amdhsa_system_sgpr_workgroup_id_x 1
		.amdhsa_system_sgpr_workgroup_id_y 0
		.amdhsa_system_sgpr_workgroup_id_z 0
		.amdhsa_system_sgpr_workgroup_info 0
		.amdhsa_system_vgpr_workitem_id 0
		.amdhsa_next_free_vgpr 1
		.amdhsa_next_free_sgpr 1
		.amdhsa_named_barrier_count 0
		.amdhsa_reserve_vcc 0
		.amdhsa_float_round_mode_32 0
		.amdhsa_float_round_mode_16_64 0
		.amdhsa_float_denorm_mode_32 3
		.amdhsa_float_denorm_mode_16_64 3
		.amdhsa_fp16_overflow 0
		.amdhsa_memory_ordered 1
		.amdhsa_forward_progress 1
		.amdhsa_inst_pref_size 0
		.amdhsa_round_robin_scheduling 0
		.amdhsa_exception_fp_ieee_invalid_op 0
		.amdhsa_exception_fp_denorm_src 0
		.amdhsa_exception_fp_ieee_div_zero 0
		.amdhsa_exception_fp_ieee_overflow 0
		.amdhsa_exception_fp_ieee_underflow 0
		.amdhsa_exception_fp_ieee_inexact 0
		.amdhsa_exception_int_div_zero 0
	.end_amdhsa_kernel
	.section	.text._ZN7rocprim17ROCPRIM_400000_NS6detail17trampoline_kernelINS0_14default_configENS1_27scan_by_key_config_selectorIj11FixedVectorIiLj1EEEEZZNS1_16scan_by_key_implILNS1_25lookback_scan_determinismE0ELb1ES3_N6thrust23THRUST_200600_302600_NS6detail15normal_iteratorINSB_10device_ptrIjEEEENSD_INSE_IS6_EEEESI_S6_NSB_4plusIvEENSB_8equal_toIvEES6_EE10hipError_tPvRmT2_T3_T4_T5_mT6_T7_P12ihipStream_tbENKUlT_T0_E_clISt17integral_constantIbLb0EES13_EEDaSY_SZ_EUlSY_E_NS1_11comp_targetILNS1_3genE4ELNS1_11target_archE910ELNS1_3gpuE8ELNS1_3repE0EEENS1_30default_config_static_selectorELNS0_4arch9wavefront6targetE0EEEvT1_,"axG",@progbits,_ZN7rocprim17ROCPRIM_400000_NS6detail17trampoline_kernelINS0_14default_configENS1_27scan_by_key_config_selectorIj11FixedVectorIiLj1EEEEZZNS1_16scan_by_key_implILNS1_25lookback_scan_determinismE0ELb1ES3_N6thrust23THRUST_200600_302600_NS6detail15normal_iteratorINSB_10device_ptrIjEEEENSD_INSE_IS6_EEEESI_S6_NSB_4plusIvEENSB_8equal_toIvEES6_EE10hipError_tPvRmT2_T3_T4_T5_mT6_T7_P12ihipStream_tbENKUlT_T0_E_clISt17integral_constantIbLb0EES13_EEDaSY_SZ_EUlSY_E_NS1_11comp_targetILNS1_3genE4ELNS1_11target_archE910ELNS1_3gpuE8ELNS1_3repE0EEENS1_30default_config_static_selectorELNS0_4arch9wavefront6targetE0EEEvT1_,comdat
.Lfunc_end1914:
	.size	_ZN7rocprim17ROCPRIM_400000_NS6detail17trampoline_kernelINS0_14default_configENS1_27scan_by_key_config_selectorIj11FixedVectorIiLj1EEEEZZNS1_16scan_by_key_implILNS1_25lookback_scan_determinismE0ELb1ES3_N6thrust23THRUST_200600_302600_NS6detail15normal_iteratorINSB_10device_ptrIjEEEENSD_INSE_IS6_EEEESI_S6_NSB_4plusIvEENSB_8equal_toIvEES6_EE10hipError_tPvRmT2_T3_T4_T5_mT6_T7_P12ihipStream_tbENKUlT_T0_E_clISt17integral_constantIbLb0EES13_EEDaSY_SZ_EUlSY_E_NS1_11comp_targetILNS1_3genE4ELNS1_11target_archE910ELNS1_3gpuE8ELNS1_3repE0EEENS1_30default_config_static_selectorELNS0_4arch9wavefront6targetE0EEEvT1_, .Lfunc_end1914-_ZN7rocprim17ROCPRIM_400000_NS6detail17trampoline_kernelINS0_14default_configENS1_27scan_by_key_config_selectorIj11FixedVectorIiLj1EEEEZZNS1_16scan_by_key_implILNS1_25lookback_scan_determinismE0ELb1ES3_N6thrust23THRUST_200600_302600_NS6detail15normal_iteratorINSB_10device_ptrIjEEEENSD_INSE_IS6_EEEESI_S6_NSB_4plusIvEENSB_8equal_toIvEES6_EE10hipError_tPvRmT2_T3_T4_T5_mT6_T7_P12ihipStream_tbENKUlT_T0_E_clISt17integral_constantIbLb0EES13_EEDaSY_SZ_EUlSY_E_NS1_11comp_targetILNS1_3genE4ELNS1_11target_archE910ELNS1_3gpuE8ELNS1_3repE0EEENS1_30default_config_static_selectorELNS0_4arch9wavefront6targetE0EEEvT1_
                                        ; -- End function
	.set _ZN7rocprim17ROCPRIM_400000_NS6detail17trampoline_kernelINS0_14default_configENS1_27scan_by_key_config_selectorIj11FixedVectorIiLj1EEEEZZNS1_16scan_by_key_implILNS1_25lookback_scan_determinismE0ELb1ES3_N6thrust23THRUST_200600_302600_NS6detail15normal_iteratorINSB_10device_ptrIjEEEENSD_INSE_IS6_EEEESI_S6_NSB_4plusIvEENSB_8equal_toIvEES6_EE10hipError_tPvRmT2_T3_T4_T5_mT6_T7_P12ihipStream_tbENKUlT_T0_E_clISt17integral_constantIbLb0EES13_EEDaSY_SZ_EUlSY_E_NS1_11comp_targetILNS1_3genE4ELNS1_11target_archE910ELNS1_3gpuE8ELNS1_3repE0EEENS1_30default_config_static_selectorELNS0_4arch9wavefront6targetE0EEEvT1_.num_vgpr, 0
	.set _ZN7rocprim17ROCPRIM_400000_NS6detail17trampoline_kernelINS0_14default_configENS1_27scan_by_key_config_selectorIj11FixedVectorIiLj1EEEEZZNS1_16scan_by_key_implILNS1_25lookback_scan_determinismE0ELb1ES3_N6thrust23THRUST_200600_302600_NS6detail15normal_iteratorINSB_10device_ptrIjEEEENSD_INSE_IS6_EEEESI_S6_NSB_4plusIvEENSB_8equal_toIvEES6_EE10hipError_tPvRmT2_T3_T4_T5_mT6_T7_P12ihipStream_tbENKUlT_T0_E_clISt17integral_constantIbLb0EES13_EEDaSY_SZ_EUlSY_E_NS1_11comp_targetILNS1_3genE4ELNS1_11target_archE910ELNS1_3gpuE8ELNS1_3repE0EEENS1_30default_config_static_selectorELNS0_4arch9wavefront6targetE0EEEvT1_.num_agpr, 0
	.set _ZN7rocprim17ROCPRIM_400000_NS6detail17trampoline_kernelINS0_14default_configENS1_27scan_by_key_config_selectorIj11FixedVectorIiLj1EEEEZZNS1_16scan_by_key_implILNS1_25lookback_scan_determinismE0ELb1ES3_N6thrust23THRUST_200600_302600_NS6detail15normal_iteratorINSB_10device_ptrIjEEEENSD_INSE_IS6_EEEESI_S6_NSB_4plusIvEENSB_8equal_toIvEES6_EE10hipError_tPvRmT2_T3_T4_T5_mT6_T7_P12ihipStream_tbENKUlT_T0_E_clISt17integral_constantIbLb0EES13_EEDaSY_SZ_EUlSY_E_NS1_11comp_targetILNS1_3genE4ELNS1_11target_archE910ELNS1_3gpuE8ELNS1_3repE0EEENS1_30default_config_static_selectorELNS0_4arch9wavefront6targetE0EEEvT1_.numbered_sgpr, 0
	.set _ZN7rocprim17ROCPRIM_400000_NS6detail17trampoline_kernelINS0_14default_configENS1_27scan_by_key_config_selectorIj11FixedVectorIiLj1EEEEZZNS1_16scan_by_key_implILNS1_25lookback_scan_determinismE0ELb1ES3_N6thrust23THRUST_200600_302600_NS6detail15normal_iteratorINSB_10device_ptrIjEEEENSD_INSE_IS6_EEEESI_S6_NSB_4plusIvEENSB_8equal_toIvEES6_EE10hipError_tPvRmT2_T3_T4_T5_mT6_T7_P12ihipStream_tbENKUlT_T0_E_clISt17integral_constantIbLb0EES13_EEDaSY_SZ_EUlSY_E_NS1_11comp_targetILNS1_3genE4ELNS1_11target_archE910ELNS1_3gpuE8ELNS1_3repE0EEENS1_30default_config_static_selectorELNS0_4arch9wavefront6targetE0EEEvT1_.num_named_barrier, 0
	.set _ZN7rocprim17ROCPRIM_400000_NS6detail17trampoline_kernelINS0_14default_configENS1_27scan_by_key_config_selectorIj11FixedVectorIiLj1EEEEZZNS1_16scan_by_key_implILNS1_25lookback_scan_determinismE0ELb1ES3_N6thrust23THRUST_200600_302600_NS6detail15normal_iteratorINSB_10device_ptrIjEEEENSD_INSE_IS6_EEEESI_S6_NSB_4plusIvEENSB_8equal_toIvEES6_EE10hipError_tPvRmT2_T3_T4_T5_mT6_T7_P12ihipStream_tbENKUlT_T0_E_clISt17integral_constantIbLb0EES13_EEDaSY_SZ_EUlSY_E_NS1_11comp_targetILNS1_3genE4ELNS1_11target_archE910ELNS1_3gpuE8ELNS1_3repE0EEENS1_30default_config_static_selectorELNS0_4arch9wavefront6targetE0EEEvT1_.private_seg_size, 0
	.set _ZN7rocprim17ROCPRIM_400000_NS6detail17trampoline_kernelINS0_14default_configENS1_27scan_by_key_config_selectorIj11FixedVectorIiLj1EEEEZZNS1_16scan_by_key_implILNS1_25lookback_scan_determinismE0ELb1ES3_N6thrust23THRUST_200600_302600_NS6detail15normal_iteratorINSB_10device_ptrIjEEEENSD_INSE_IS6_EEEESI_S6_NSB_4plusIvEENSB_8equal_toIvEES6_EE10hipError_tPvRmT2_T3_T4_T5_mT6_T7_P12ihipStream_tbENKUlT_T0_E_clISt17integral_constantIbLb0EES13_EEDaSY_SZ_EUlSY_E_NS1_11comp_targetILNS1_3genE4ELNS1_11target_archE910ELNS1_3gpuE8ELNS1_3repE0EEENS1_30default_config_static_selectorELNS0_4arch9wavefront6targetE0EEEvT1_.uses_vcc, 0
	.set _ZN7rocprim17ROCPRIM_400000_NS6detail17trampoline_kernelINS0_14default_configENS1_27scan_by_key_config_selectorIj11FixedVectorIiLj1EEEEZZNS1_16scan_by_key_implILNS1_25lookback_scan_determinismE0ELb1ES3_N6thrust23THRUST_200600_302600_NS6detail15normal_iteratorINSB_10device_ptrIjEEEENSD_INSE_IS6_EEEESI_S6_NSB_4plusIvEENSB_8equal_toIvEES6_EE10hipError_tPvRmT2_T3_T4_T5_mT6_T7_P12ihipStream_tbENKUlT_T0_E_clISt17integral_constantIbLb0EES13_EEDaSY_SZ_EUlSY_E_NS1_11comp_targetILNS1_3genE4ELNS1_11target_archE910ELNS1_3gpuE8ELNS1_3repE0EEENS1_30default_config_static_selectorELNS0_4arch9wavefront6targetE0EEEvT1_.uses_flat_scratch, 0
	.set _ZN7rocprim17ROCPRIM_400000_NS6detail17trampoline_kernelINS0_14default_configENS1_27scan_by_key_config_selectorIj11FixedVectorIiLj1EEEEZZNS1_16scan_by_key_implILNS1_25lookback_scan_determinismE0ELb1ES3_N6thrust23THRUST_200600_302600_NS6detail15normal_iteratorINSB_10device_ptrIjEEEENSD_INSE_IS6_EEEESI_S6_NSB_4plusIvEENSB_8equal_toIvEES6_EE10hipError_tPvRmT2_T3_T4_T5_mT6_T7_P12ihipStream_tbENKUlT_T0_E_clISt17integral_constantIbLb0EES13_EEDaSY_SZ_EUlSY_E_NS1_11comp_targetILNS1_3genE4ELNS1_11target_archE910ELNS1_3gpuE8ELNS1_3repE0EEENS1_30default_config_static_selectorELNS0_4arch9wavefront6targetE0EEEvT1_.has_dyn_sized_stack, 0
	.set _ZN7rocprim17ROCPRIM_400000_NS6detail17trampoline_kernelINS0_14default_configENS1_27scan_by_key_config_selectorIj11FixedVectorIiLj1EEEEZZNS1_16scan_by_key_implILNS1_25lookback_scan_determinismE0ELb1ES3_N6thrust23THRUST_200600_302600_NS6detail15normal_iteratorINSB_10device_ptrIjEEEENSD_INSE_IS6_EEEESI_S6_NSB_4plusIvEENSB_8equal_toIvEES6_EE10hipError_tPvRmT2_T3_T4_T5_mT6_T7_P12ihipStream_tbENKUlT_T0_E_clISt17integral_constantIbLb0EES13_EEDaSY_SZ_EUlSY_E_NS1_11comp_targetILNS1_3genE4ELNS1_11target_archE910ELNS1_3gpuE8ELNS1_3repE0EEENS1_30default_config_static_selectorELNS0_4arch9wavefront6targetE0EEEvT1_.has_recursion, 0
	.set _ZN7rocprim17ROCPRIM_400000_NS6detail17trampoline_kernelINS0_14default_configENS1_27scan_by_key_config_selectorIj11FixedVectorIiLj1EEEEZZNS1_16scan_by_key_implILNS1_25lookback_scan_determinismE0ELb1ES3_N6thrust23THRUST_200600_302600_NS6detail15normal_iteratorINSB_10device_ptrIjEEEENSD_INSE_IS6_EEEESI_S6_NSB_4plusIvEENSB_8equal_toIvEES6_EE10hipError_tPvRmT2_T3_T4_T5_mT6_T7_P12ihipStream_tbENKUlT_T0_E_clISt17integral_constantIbLb0EES13_EEDaSY_SZ_EUlSY_E_NS1_11comp_targetILNS1_3genE4ELNS1_11target_archE910ELNS1_3gpuE8ELNS1_3repE0EEENS1_30default_config_static_selectorELNS0_4arch9wavefront6targetE0EEEvT1_.has_indirect_call, 0
	.section	.AMDGPU.csdata,"",@progbits
; Kernel info:
; codeLenInByte = 0
; TotalNumSgprs: 0
; NumVgprs: 0
; ScratchSize: 0
; MemoryBound: 0
; FloatMode: 240
; IeeeMode: 1
; LDSByteSize: 0 bytes/workgroup (compile time only)
; SGPRBlocks: 0
; VGPRBlocks: 0
; NumSGPRsForWavesPerEU: 1
; NumVGPRsForWavesPerEU: 1
; NamedBarCnt: 0
; Occupancy: 16
; WaveLimiterHint : 0
; COMPUTE_PGM_RSRC2:SCRATCH_EN: 0
; COMPUTE_PGM_RSRC2:USER_SGPR: 2
; COMPUTE_PGM_RSRC2:TRAP_HANDLER: 0
; COMPUTE_PGM_RSRC2:TGID_X_EN: 1
; COMPUTE_PGM_RSRC2:TGID_Y_EN: 0
; COMPUTE_PGM_RSRC2:TGID_Z_EN: 0
; COMPUTE_PGM_RSRC2:TIDIG_COMP_CNT: 0
	.section	.text._ZN7rocprim17ROCPRIM_400000_NS6detail17trampoline_kernelINS0_14default_configENS1_27scan_by_key_config_selectorIj11FixedVectorIiLj1EEEEZZNS1_16scan_by_key_implILNS1_25lookback_scan_determinismE0ELb1ES3_N6thrust23THRUST_200600_302600_NS6detail15normal_iteratorINSB_10device_ptrIjEEEENSD_INSE_IS6_EEEESI_S6_NSB_4plusIvEENSB_8equal_toIvEES6_EE10hipError_tPvRmT2_T3_T4_T5_mT6_T7_P12ihipStream_tbENKUlT_T0_E_clISt17integral_constantIbLb0EES13_EEDaSY_SZ_EUlSY_E_NS1_11comp_targetILNS1_3genE3ELNS1_11target_archE908ELNS1_3gpuE7ELNS1_3repE0EEENS1_30default_config_static_selectorELNS0_4arch9wavefront6targetE0EEEvT1_,"axG",@progbits,_ZN7rocprim17ROCPRIM_400000_NS6detail17trampoline_kernelINS0_14default_configENS1_27scan_by_key_config_selectorIj11FixedVectorIiLj1EEEEZZNS1_16scan_by_key_implILNS1_25lookback_scan_determinismE0ELb1ES3_N6thrust23THRUST_200600_302600_NS6detail15normal_iteratorINSB_10device_ptrIjEEEENSD_INSE_IS6_EEEESI_S6_NSB_4plusIvEENSB_8equal_toIvEES6_EE10hipError_tPvRmT2_T3_T4_T5_mT6_T7_P12ihipStream_tbENKUlT_T0_E_clISt17integral_constantIbLb0EES13_EEDaSY_SZ_EUlSY_E_NS1_11comp_targetILNS1_3genE3ELNS1_11target_archE908ELNS1_3gpuE7ELNS1_3repE0EEENS1_30default_config_static_selectorELNS0_4arch9wavefront6targetE0EEEvT1_,comdat
	.protected	_ZN7rocprim17ROCPRIM_400000_NS6detail17trampoline_kernelINS0_14default_configENS1_27scan_by_key_config_selectorIj11FixedVectorIiLj1EEEEZZNS1_16scan_by_key_implILNS1_25lookback_scan_determinismE0ELb1ES3_N6thrust23THRUST_200600_302600_NS6detail15normal_iteratorINSB_10device_ptrIjEEEENSD_INSE_IS6_EEEESI_S6_NSB_4plusIvEENSB_8equal_toIvEES6_EE10hipError_tPvRmT2_T3_T4_T5_mT6_T7_P12ihipStream_tbENKUlT_T0_E_clISt17integral_constantIbLb0EES13_EEDaSY_SZ_EUlSY_E_NS1_11comp_targetILNS1_3genE3ELNS1_11target_archE908ELNS1_3gpuE7ELNS1_3repE0EEENS1_30default_config_static_selectorELNS0_4arch9wavefront6targetE0EEEvT1_ ; -- Begin function _ZN7rocprim17ROCPRIM_400000_NS6detail17trampoline_kernelINS0_14default_configENS1_27scan_by_key_config_selectorIj11FixedVectorIiLj1EEEEZZNS1_16scan_by_key_implILNS1_25lookback_scan_determinismE0ELb1ES3_N6thrust23THRUST_200600_302600_NS6detail15normal_iteratorINSB_10device_ptrIjEEEENSD_INSE_IS6_EEEESI_S6_NSB_4plusIvEENSB_8equal_toIvEES6_EE10hipError_tPvRmT2_T3_T4_T5_mT6_T7_P12ihipStream_tbENKUlT_T0_E_clISt17integral_constantIbLb0EES13_EEDaSY_SZ_EUlSY_E_NS1_11comp_targetILNS1_3genE3ELNS1_11target_archE908ELNS1_3gpuE7ELNS1_3repE0EEENS1_30default_config_static_selectorELNS0_4arch9wavefront6targetE0EEEvT1_
	.globl	_ZN7rocprim17ROCPRIM_400000_NS6detail17trampoline_kernelINS0_14default_configENS1_27scan_by_key_config_selectorIj11FixedVectorIiLj1EEEEZZNS1_16scan_by_key_implILNS1_25lookback_scan_determinismE0ELb1ES3_N6thrust23THRUST_200600_302600_NS6detail15normal_iteratorINSB_10device_ptrIjEEEENSD_INSE_IS6_EEEESI_S6_NSB_4plusIvEENSB_8equal_toIvEES6_EE10hipError_tPvRmT2_T3_T4_T5_mT6_T7_P12ihipStream_tbENKUlT_T0_E_clISt17integral_constantIbLb0EES13_EEDaSY_SZ_EUlSY_E_NS1_11comp_targetILNS1_3genE3ELNS1_11target_archE908ELNS1_3gpuE7ELNS1_3repE0EEENS1_30default_config_static_selectorELNS0_4arch9wavefront6targetE0EEEvT1_
	.p2align	8
	.type	_ZN7rocprim17ROCPRIM_400000_NS6detail17trampoline_kernelINS0_14default_configENS1_27scan_by_key_config_selectorIj11FixedVectorIiLj1EEEEZZNS1_16scan_by_key_implILNS1_25lookback_scan_determinismE0ELb1ES3_N6thrust23THRUST_200600_302600_NS6detail15normal_iteratorINSB_10device_ptrIjEEEENSD_INSE_IS6_EEEESI_S6_NSB_4plusIvEENSB_8equal_toIvEES6_EE10hipError_tPvRmT2_T3_T4_T5_mT6_T7_P12ihipStream_tbENKUlT_T0_E_clISt17integral_constantIbLb0EES13_EEDaSY_SZ_EUlSY_E_NS1_11comp_targetILNS1_3genE3ELNS1_11target_archE908ELNS1_3gpuE7ELNS1_3repE0EEENS1_30default_config_static_selectorELNS0_4arch9wavefront6targetE0EEEvT1_,@function
_ZN7rocprim17ROCPRIM_400000_NS6detail17trampoline_kernelINS0_14default_configENS1_27scan_by_key_config_selectorIj11FixedVectorIiLj1EEEEZZNS1_16scan_by_key_implILNS1_25lookback_scan_determinismE0ELb1ES3_N6thrust23THRUST_200600_302600_NS6detail15normal_iteratorINSB_10device_ptrIjEEEENSD_INSE_IS6_EEEESI_S6_NSB_4plusIvEENSB_8equal_toIvEES6_EE10hipError_tPvRmT2_T3_T4_T5_mT6_T7_P12ihipStream_tbENKUlT_T0_E_clISt17integral_constantIbLb0EES13_EEDaSY_SZ_EUlSY_E_NS1_11comp_targetILNS1_3genE3ELNS1_11target_archE908ELNS1_3gpuE7ELNS1_3repE0EEENS1_30default_config_static_selectorELNS0_4arch9wavefront6targetE0EEEvT1_: ; @_ZN7rocprim17ROCPRIM_400000_NS6detail17trampoline_kernelINS0_14default_configENS1_27scan_by_key_config_selectorIj11FixedVectorIiLj1EEEEZZNS1_16scan_by_key_implILNS1_25lookback_scan_determinismE0ELb1ES3_N6thrust23THRUST_200600_302600_NS6detail15normal_iteratorINSB_10device_ptrIjEEEENSD_INSE_IS6_EEEESI_S6_NSB_4plusIvEENSB_8equal_toIvEES6_EE10hipError_tPvRmT2_T3_T4_T5_mT6_T7_P12ihipStream_tbENKUlT_T0_E_clISt17integral_constantIbLb0EES13_EEDaSY_SZ_EUlSY_E_NS1_11comp_targetILNS1_3genE3ELNS1_11target_archE908ELNS1_3gpuE7ELNS1_3repE0EEENS1_30default_config_static_selectorELNS0_4arch9wavefront6targetE0EEEvT1_
; %bb.0:
	.section	.rodata,"a",@progbits
	.p2align	6, 0x0
	.amdhsa_kernel _ZN7rocprim17ROCPRIM_400000_NS6detail17trampoline_kernelINS0_14default_configENS1_27scan_by_key_config_selectorIj11FixedVectorIiLj1EEEEZZNS1_16scan_by_key_implILNS1_25lookback_scan_determinismE0ELb1ES3_N6thrust23THRUST_200600_302600_NS6detail15normal_iteratorINSB_10device_ptrIjEEEENSD_INSE_IS6_EEEESI_S6_NSB_4plusIvEENSB_8equal_toIvEES6_EE10hipError_tPvRmT2_T3_T4_T5_mT6_T7_P12ihipStream_tbENKUlT_T0_E_clISt17integral_constantIbLb0EES13_EEDaSY_SZ_EUlSY_E_NS1_11comp_targetILNS1_3genE3ELNS1_11target_archE908ELNS1_3gpuE7ELNS1_3repE0EEENS1_30default_config_static_selectorELNS0_4arch9wavefront6targetE0EEEvT1_
		.amdhsa_group_segment_fixed_size 0
		.amdhsa_private_segment_fixed_size 0
		.amdhsa_kernarg_size 112
		.amdhsa_user_sgpr_count 2
		.amdhsa_user_sgpr_dispatch_ptr 0
		.amdhsa_user_sgpr_queue_ptr 0
		.amdhsa_user_sgpr_kernarg_segment_ptr 1
		.amdhsa_user_sgpr_dispatch_id 0
		.amdhsa_user_sgpr_kernarg_preload_length 0
		.amdhsa_user_sgpr_kernarg_preload_offset 0
		.amdhsa_user_sgpr_private_segment_size 0
		.amdhsa_wavefront_size32 1
		.amdhsa_uses_dynamic_stack 0
		.amdhsa_enable_private_segment 0
		.amdhsa_system_sgpr_workgroup_id_x 1
		.amdhsa_system_sgpr_workgroup_id_y 0
		.amdhsa_system_sgpr_workgroup_id_z 0
		.amdhsa_system_sgpr_workgroup_info 0
		.amdhsa_system_vgpr_workitem_id 0
		.amdhsa_next_free_vgpr 1
		.amdhsa_next_free_sgpr 1
		.amdhsa_named_barrier_count 0
		.amdhsa_reserve_vcc 0
		.amdhsa_float_round_mode_32 0
		.amdhsa_float_round_mode_16_64 0
		.amdhsa_float_denorm_mode_32 3
		.amdhsa_float_denorm_mode_16_64 3
		.amdhsa_fp16_overflow 0
		.amdhsa_memory_ordered 1
		.amdhsa_forward_progress 1
		.amdhsa_inst_pref_size 0
		.amdhsa_round_robin_scheduling 0
		.amdhsa_exception_fp_ieee_invalid_op 0
		.amdhsa_exception_fp_denorm_src 0
		.amdhsa_exception_fp_ieee_div_zero 0
		.amdhsa_exception_fp_ieee_overflow 0
		.amdhsa_exception_fp_ieee_underflow 0
		.amdhsa_exception_fp_ieee_inexact 0
		.amdhsa_exception_int_div_zero 0
	.end_amdhsa_kernel
	.section	.text._ZN7rocprim17ROCPRIM_400000_NS6detail17trampoline_kernelINS0_14default_configENS1_27scan_by_key_config_selectorIj11FixedVectorIiLj1EEEEZZNS1_16scan_by_key_implILNS1_25lookback_scan_determinismE0ELb1ES3_N6thrust23THRUST_200600_302600_NS6detail15normal_iteratorINSB_10device_ptrIjEEEENSD_INSE_IS6_EEEESI_S6_NSB_4plusIvEENSB_8equal_toIvEES6_EE10hipError_tPvRmT2_T3_T4_T5_mT6_T7_P12ihipStream_tbENKUlT_T0_E_clISt17integral_constantIbLb0EES13_EEDaSY_SZ_EUlSY_E_NS1_11comp_targetILNS1_3genE3ELNS1_11target_archE908ELNS1_3gpuE7ELNS1_3repE0EEENS1_30default_config_static_selectorELNS0_4arch9wavefront6targetE0EEEvT1_,"axG",@progbits,_ZN7rocprim17ROCPRIM_400000_NS6detail17trampoline_kernelINS0_14default_configENS1_27scan_by_key_config_selectorIj11FixedVectorIiLj1EEEEZZNS1_16scan_by_key_implILNS1_25lookback_scan_determinismE0ELb1ES3_N6thrust23THRUST_200600_302600_NS6detail15normal_iteratorINSB_10device_ptrIjEEEENSD_INSE_IS6_EEEESI_S6_NSB_4plusIvEENSB_8equal_toIvEES6_EE10hipError_tPvRmT2_T3_T4_T5_mT6_T7_P12ihipStream_tbENKUlT_T0_E_clISt17integral_constantIbLb0EES13_EEDaSY_SZ_EUlSY_E_NS1_11comp_targetILNS1_3genE3ELNS1_11target_archE908ELNS1_3gpuE7ELNS1_3repE0EEENS1_30default_config_static_selectorELNS0_4arch9wavefront6targetE0EEEvT1_,comdat
.Lfunc_end1915:
	.size	_ZN7rocprim17ROCPRIM_400000_NS6detail17trampoline_kernelINS0_14default_configENS1_27scan_by_key_config_selectorIj11FixedVectorIiLj1EEEEZZNS1_16scan_by_key_implILNS1_25lookback_scan_determinismE0ELb1ES3_N6thrust23THRUST_200600_302600_NS6detail15normal_iteratorINSB_10device_ptrIjEEEENSD_INSE_IS6_EEEESI_S6_NSB_4plusIvEENSB_8equal_toIvEES6_EE10hipError_tPvRmT2_T3_T4_T5_mT6_T7_P12ihipStream_tbENKUlT_T0_E_clISt17integral_constantIbLb0EES13_EEDaSY_SZ_EUlSY_E_NS1_11comp_targetILNS1_3genE3ELNS1_11target_archE908ELNS1_3gpuE7ELNS1_3repE0EEENS1_30default_config_static_selectorELNS0_4arch9wavefront6targetE0EEEvT1_, .Lfunc_end1915-_ZN7rocprim17ROCPRIM_400000_NS6detail17trampoline_kernelINS0_14default_configENS1_27scan_by_key_config_selectorIj11FixedVectorIiLj1EEEEZZNS1_16scan_by_key_implILNS1_25lookback_scan_determinismE0ELb1ES3_N6thrust23THRUST_200600_302600_NS6detail15normal_iteratorINSB_10device_ptrIjEEEENSD_INSE_IS6_EEEESI_S6_NSB_4plusIvEENSB_8equal_toIvEES6_EE10hipError_tPvRmT2_T3_T4_T5_mT6_T7_P12ihipStream_tbENKUlT_T0_E_clISt17integral_constantIbLb0EES13_EEDaSY_SZ_EUlSY_E_NS1_11comp_targetILNS1_3genE3ELNS1_11target_archE908ELNS1_3gpuE7ELNS1_3repE0EEENS1_30default_config_static_selectorELNS0_4arch9wavefront6targetE0EEEvT1_
                                        ; -- End function
	.set _ZN7rocprim17ROCPRIM_400000_NS6detail17trampoline_kernelINS0_14default_configENS1_27scan_by_key_config_selectorIj11FixedVectorIiLj1EEEEZZNS1_16scan_by_key_implILNS1_25lookback_scan_determinismE0ELb1ES3_N6thrust23THRUST_200600_302600_NS6detail15normal_iteratorINSB_10device_ptrIjEEEENSD_INSE_IS6_EEEESI_S6_NSB_4plusIvEENSB_8equal_toIvEES6_EE10hipError_tPvRmT2_T3_T4_T5_mT6_T7_P12ihipStream_tbENKUlT_T0_E_clISt17integral_constantIbLb0EES13_EEDaSY_SZ_EUlSY_E_NS1_11comp_targetILNS1_3genE3ELNS1_11target_archE908ELNS1_3gpuE7ELNS1_3repE0EEENS1_30default_config_static_selectorELNS0_4arch9wavefront6targetE0EEEvT1_.num_vgpr, 0
	.set _ZN7rocprim17ROCPRIM_400000_NS6detail17trampoline_kernelINS0_14default_configENS1_27scan_by_key_config_selectorIj11FixedVectorIiLj1EEEEZZNS1_16scan_by_key_implILNS1_25lookback_scan_determinismE0ELb1ES3_N6thrust23THRUST_200600_302600_NS6detail15normal_iteratorINSB_10device_ptrIjEEEENSD_INSE_IS6_EEEESI_S6_NSB_4plusIvEENSB_8equal_toIvEES6_EE10hipError_tPvRmT2_T3_T4_T5_mT6_T7_P12ihipStream_tbENKUlT_T0_E_clISt17integral_constantIbLb0EES13_EEDaSY_SZ_EUlSY_E_NS1_11comp_targetILNS1_3genE3ELNS1_11target_archE908ELNS1_3gpuE7ELNS1_3repE0EEENS1_30default_config_static_selectorELNS0_4arch9wavefront6targetE0EEEvT1_.num_agpr, 0
	.set _ZN7rocprim17ROCPRIM_400000_NS6detail17trampoline_kernelINS0_14default_configENS1_27scan_by_key_config_selectorIj11FixedVectorIiLj1EEEEZZNS1_16scan_by_key_implILNS1_25lookback_scan_determinismE0ELb1ES3_N6thrust23THRUST_200600_302600_NS6detail15normal_iteratorINSB_10device_ptrIjEEEENSD_INSE_IS6_EEEESI_S6_NSB_4plusIvEENSB_8equal_toIvEES6_EE10hipError_tPvRmT2_T3_T4_T5_mT6_T7_P12ihipStream_tbENKUlT_T0_E_clISt17integral_constantIbLb0EES13_EEDaSY_SZ_EUlSY_E_NS1_11comp_targetILNS1_3genE3ELNS1_11target_archE908ELNS1_3gpuE7ELNS1_3repE0EEENS1_30default_config_static_selectorELNS0_4arch9wavefront6targetE0EEEvT1_.numbered_sgpr, 0
	.set _ZN7rocprim17ROCPRIM_400000_NS6detail17trampoline_kernelINS0_14default_configENS1_27scan_by_key_config_selectorIj11FixedVectorIiLj1EEEEZZNS1_16scan_by_key_implILNS1_25lookback_scan_determinismE0ELb1ES3_N6thrust23THRUST_200600_302600_NS6detail15normal_iteratorINSB_10device_ptrIjEEEENSD_INSE_IS6_EEEESI_S6_NSB_4plusIvEENSB_8equal_toIvEES6_EE10hipError_tPvRmT2_T3_T4_T5_mT6_T7_P12ihipStream_tbENKUlT_T0_E_clISt17integral_constantIbLb0EES13_EEDaSY_SZ_EUlSY_E_NS1_11comp_targetILNS1_3genE3ELNS1_11target_archE908ELNS1_3gpuE7ELNS1_3repE0EEENS1_30default_config_static_selectorELNS0_4arch9wavefront6targetE0EEEvT1_.num_named_barrier, 0
	.set _ZN7rocprim17ROCPRIM_400000_NS6detail17trampoline_kernelINS0_14default_configENS1_27scan_by_key_config_selectorIj11FixedVectorIiLj1EEEEZZNS1_16scan_by_key_implILNS1_25lookback_scan_determinismE0ELb1ES3_N6thrust23THRUST_200600_302600_NS6detail15normal_iteratorINSB_10device_ptrIjEEEENSD_INSE_IS6_EEEESI_S6_NSB_4plusIvEENSB_8equal_toIvEES6_EE10hipError_tPvRmT2_T3_T4_T5_mT6_T7_P12ihipStream_tbENKUlT_T0_E_clISt17integral_constantIbLb0EES13_EEDaSY_SZ_EUlSY_E_NS1_11comp_targetILNS1_3genE3ELNS1_11target_archE908ELNS1_3gpuE7ELNS1_3repE0EEENS1_30default_config_static_selectorELNS0_4arch9wavefront6targetE0EEEvT1_.private_seg_size, 0
	.set _ZN7rocprim17ROCPRIM_400000_NS6detail17trampoline_kernelINS0_14default_configENS1_27scan_by_key_config_selectorIj11FixedVectorIiLj1EEEEZZNS1_16scan_by_key_implILNS1_25lookback_scan_determinismE0ELb1ES3_N6thrust23THRUST_200600_302600_NS6detail15normal_iteratorINSB_10device_ptrIjEEEENSD_INSE_IS6_EEEESI_S6_NSB_4plusIvEENSB_8equal_toIvEES6_EE10hipError_tPvRmT2_T3_T4_T5_mT6_T7_P12ihipStream_tbENKUlT_T0_E_clISt17integral_constantIbLb0EES13_EEDaSY_SZ_EUlSY_E_NS1_11comp_targetILNS1_3genE3ELNS1_11target_archE908ELNS1_3gpuE7ELNS1_3repE0EEENS1_30default_config_static_selectorELNS0_4arch9wavefront6targetE0EEEvT1_.uses_vcc, 0
	.set _ZN7rocprim17ROCPRIM_400000_NS6detail17trampoline_kernelINS0_14default_configENS1_27scan_by_key_config_selectorIj11FixedVectorIiLj1EEEEZZNS1_16scan_by_key_implILNS1_25lookback_scan_determinismE0ELb1ES3_N6thrust23THRUST_200600_302600_NS6detail15normal_iteratorINSB_10device_ptrIjEEEENSD_INSE_IS6_EEEESI_S6_NSB_4plusIvEENSB_8equal_toIvEES6_EE10hipError_tPvRmT2_T3_T4_T5_mT6_T7_P12ihipStream_tbENKUlT_T0_E_clISt17integral_constantIbLb0EES13_EEDaSY_SZ_EUlSY_E_NS1_11comp_targetILNS1_3genE3ELNS1_11target_archE908ELNS1_3gpuE7ELNS1_3repE0EEENS1_30default_config_static_selectorELNS0_4arch9wavefront6targetE0EEEvT1_.uses_flat_scratch, 0
	.set _ZN7rocprim17ROCPRIM_400000_NS6detail17trampoline_kernelINS0_14default_configENS1_27scan_by_key_config_selectorIj11FixedVectorIiLj1EEEEZZNS1_16scan_by_key_implILNS1_25lookback_scan_determinismE0ELb1ES3_N6thrust23THRUST_200600_302600_NS6detail15normal_iteratorINSB_10device_ptrIjEEEENSD_INSE_IS6_EEEESI_S6_NSB_4plusIvEENSB_8equal_toIvEES6_EE10hipError_tPvRmT2_T3_T4_T5_mT6_T7_P12ihipStream_tbENKUlT_T0_E_clISt17integral_constantIbLb0EES13_EEDaSY_SZ_EUlSY_E_NS1_11comp_targetILNS1_3genE3ELNS1_11target_archE908ELNS1_3gpuE7ELNS1_3repE0EEENS1_30default_config_static_selectorELNS0_4arch9wavefront6targetE0EEEvT1_.has_dyn_sized_stack, 0
	.set _ZN7rocprim17ROCPRIM_400000_NS6detail17trampoline_kernelINS0_14default_configENS1_27scan_by_key_config_selectorIj11FixedVectorIiLj1EEEEZZNS1_16scan_by_key_implILNS1_25lookback_scan_determinismE0ELb1ES3_N6thrust23THRUST_200600_302600_NS6detail15normal_iteratorINSB_10device_ptrIjEEEENSD_INSE_IS6_EEEESI_S6_NSB_4plusIvEENSB_8equal_toIvEES6_EE10hipError_tPvRmT2_T3_T4_T5_mT6_T7_P12ihipStream_tbENKUlT_T0_E_clISt17integral_constantIbLb0EES13_EEDaSY_SZ_EUlSY_E_NS1_11comp_targetILNS1_3genE3ELNS1_11target_archE908ELNS1_3gpuE7ELNS1_3repE0EEENS1_30default_config_static_selectorELNS0_4arch9wavefront6targetE0EEEvT1_.has_recursion, 0
	.set _ZN7rocprim17ROCPRIM_400000_NS6detail17trampoline_kernelINS0_14default_configENS1_27scan_by_key_config_selectorIj11FixedVectorIiLj1EEEEZZNS1_16scan_by_key_implILNS1_25lookback_scan_determinismE0ELb1ES3_N6thrust23THRUST_200600_302600_NS6detail15normal_iteratorINSB_10device_ptrIjEEEENSD_INSE_IS6_EEEESI_S6_NSB_4plusIvEENSB_8equal_toIvEES6_EE10hipError_tPvRmT2_T3_T4_T5_mT6_T7_P12ihipStream_tbENKUlT_T0_E_clISt17integral_constantIbLb0EES13_EEDaSY_SZ_EUlSY_E_NS1_11comp_targetILNS1_3genE3ELNS1_11target_archE908ELNS1_3gpuE7ELNS1_3repE0EEENS1_30default_config_static_selectorELNS0_4arch9wavefront6targetE0EEEvT1_.has_indirect_call, 0
	.section	.AMDGPU.csdata,"",@progbits
; Kernel info:
; codeLenInByte = 0
; TotalNumSgprs: 0
; NumVgprs: 0
; ScratchSize: 0
; MemoryBound: 0
; FloatMode: 240
; IeeeMode: 1
; LDSByteSize: 0 bytes/workgroup (compile time only)
; SGPRBlocks: 0
; VGPRBlocks: 0
; NumSGPRsForWavesPerEU: 1
; NumVGPRsForWavesPerEU: 1
; NamedBarCnt: 0
; Occupancy: 16
; WaveLimiterHint : 0
; COMPUTE_PGM_RSRC2:SCRATCH_EN: 0
; COMPUTE_PGM_RSRC2:USER_SGPR: 2
; COMPUTE_PGM_RSRC2:TRAP_HANDLER: 0
; COMPUTE_PGM_RSRC2:TGID_X_EN: 1
; COMPUTE_PGM_RSRC2:TGID_Y_EN: 0
; COMPUTE_PGM_RSRC2:TGID_Z_EN: 0
; COMPUTE_PGM_RSRC2:TIDIG_COMP_CNT: 0
	.section	.text._ZN7rocprim17ROCPRIM_400000_NS6detail17trampoline_kernelINS0_14default_configENS1_27scan_by_key_config_selectorIj11FixedVectorIiLj1EEEEZZNS1_16scan_by_key_implILNS1_25lookback_scan_determinismE0ELb1ES3_N6thrust23THRUST_200600_302600_NS6detail15normal_iteratorINSB_10device_ptrIjEEEENSD_INSE_IS6_EEEESI_S6_NSB_4plusIvEENSB_8equal_toIvEES6_EE10hipError_tPvRmT2_T3_T4_T5_mT6_T7_P12ihipStream_tbENKUlT_T0_E_clISt17integral_constantIbLb0EES13_EEDaSY_SZ_EUlSY_E_NS1_11comp_targetILNS1_3genE2ELNS1_11target_archE906ELNS1_3gpuE6ELNS1_3repE0EEENS1_30default_config_static_selectorELNS0_4arch9wavefront6targetE0EEEvT1_,"axG",@progbits,_ZN7rocprim17ROCPRIM_400000_NS6detail17trampoline_kernelINS0_14default_configENS1_27scan_by_key_config_selectorIj11FixedVectorIiLj1EEEEZZNS1_16scan_by_key_implILNS1_25lookback_scan_determinismE0ELb1ES3_N6thrust23THRUST_200600_302600_NS6detail15normal_iteratorINSB_10device_ptrIjEEEENSD_INSE_IS6_EEEESI_S6_NSB_4plusIvEENSB_8equal_toIvEES6_EE10hipError_tPvRmT2_T3_T4_T5_mT6_T7_P12ihipStream_tbENKUlT_T0_E_clISt17integral_constantIbLb0EES13_EEDaSY_SZ_EUlSY_E_NS1_11comp_targetILNS1_3genE2ELNS1_11target_archE906ELNS1_3gpuE6ELNS1_3repE0EEENS1_30default_config_static_selectorELNS0_4arch9wavefront6targetE0EEEvT1_,comdat
	.protected	_ZN7rocprim17ROCPRIM_400000_NS6detail17trampoline_kernelINS0_14default_configENS1_27scan_by_key_config_selectorIj11FixedVectorIiLj1EEEEZZNS1_16scan_by_key_implILNS1_25lookback_scan_determinismE0ELb1ES3_N6thrust23THRUST_200600_302600_NS6detail15normal_iteratorINSB_10device_ptrIjEEEENSD_INSE_IS6_EEEESI_S6_NSB_4plusIvEENSB_8equal_toIvEES6_EE10hipError_tPvRmT2_T3_T4_T5_mT6_T7_P12ihipStream_tbENKUlT_T0_E_clISt17integral_constantIbLb0EES13_EEDaSY_SZ_EUlSY_E_NS1_11comp_targetILNS1_3genE2ELNS1_11target_archE906ELNS1_3gpuE6ELNS1_3repE0EEENS1_30default_config_static_selectorELNS0_4arch9wavefront6targetE0EEEvT1_ ; -- Begin function _ZN7rocprim17ROCPRIM_400000_NS6detail17trampoline_kernelINS0_14default_configENS1_27scan_by_key_config_selectorIj11FixedVectorIiLj1EEEEZZNS1_16scan_by_key_implILNS1_25lookback_scan_determinismE0ELb1ES3_N6thrust23THRUST_200600_302600_NS6detail15normal_iteratorINSB_10device_ptrIjEEEENSD_INSE_IS6_EEEESI_S6_NSB_4plusIvEENSB_8equal_toIvEES6_EE10hipError_tPvRmT2_T3_T4_T5_mT6_T7_P12ihipStream_tbENKUlT_T0_E_clISt17integral_constantIbLb0EES13_EEDaSY_SZ_EUlSY_E_NS1_11comp_targetILNS1_3genE2ELNS1_11target_archE906ELNS1_3gpuE6ELNS1_3repE0EEENS1_30default_config_static_selectorELNS0_4arch9wavefront6targetE0EEEvT1_
	.globl	_ZN7rocprim17ROCPRIM_400000_NS6detail17trampoline_kernelINS0_14default_configENS1_27scan_by_key_config_selectorIj11FixedVectorIiLj1EEEEZZNS1_16scan_by_key_implILNS1_25lookback_scan_determinismE0ELb1ES3_N6thrust23THRUST_200600_302600_NS6detail15normal_iteratorINSB_10device_ptrIjEEEENSD_INSE_IS6_EEEESI_S6_NSB_4plusIvEENSB_8equal_toIvEES6_EE10hipError_tPvRmT2_T3_T4_T5_mT6_T7_P12ihipStream_tbENKUlT_T0_E_clISt17integral_constantIbLb0EES13_EEDaSY_SZ_EUlSY_E_NS1_11comp_targetILNS1_3genE2ELNS1_11target_archE906ELNS1_3gpuE6ELNS1_3repE0EEENS1_30default_config_static_selectorELNS0_4arch9wavefront6targetE0EEEvT1_
	.p2align	8
	.type	_ZN7rocprim17ROCPRIM_400000_NS6detail17trampoline_kernelINS0_14default_configENS1_27scan_by_key_config_selectorIj11FixedVectorIiLj1EEEEZZNS1_16scan_by_key_implILNS1_25lookback_scan_determinismE0ELb1ES3_N6thrust23THRUST_200600_302600_NS6detail15normal_iteratorINSB_10device_ptrIjEEEENSD_INSE_IS6_EEEESI_S6_NSB_4plusIvEENSB_8equal_toIvEES6_EE10hipError_tPvRmT2_T3_T4_T5_mT6_T7_P12ihipStream_tbENKUlT_T0_E_clISt17integral_constantIbLb0EES13_EEDaSY_SZ_EUlSY_E_NS1_11comp_targetILNS1_3genE2ELNS1_11target_archE906ELNS1_3gpuE6ELNS1_3repE0EEENS1_30default_config_static_selectorELNS0_4arch9wavefront6targetE0EEEvT1_,@function
_ZN7rocprim17ROCPRIM_400000_NS6detail17trampoline_kernelINS0_14default_configENS1_27scan_by_key_config_selectorIj11FixedVectorIiLj1EEEEZZNS1_16scan_by_key_implILNS1_25lookback_scan_determinismE0ELb1ES3_N6thrust23THRUST_200600_302600_NS6detail15normal_iteratorINSB_10device_ptrIjEEEENSD_INSE_IS6_EEEESI_S6_NSB_4plusIvEENSB_8equal_toIvEES6_EE10hipError_tPvRmT2_T3_T4_T5_mT6_T7_P12ihipStream_tbENKUlT_T0_E_clISt17integral_constantIbLb0EES13_EEDaSY_SZ_EUlSY_E_NS1_11comp_targetILNS1_3genE2ELNS1_11target_archE906ELNS1_3gpuE6ELNS1_3repE0EEENS1_30default_config_static_selectorELNS0_4arch9wavefront6targetE0EEEvT1_: ; @_ZN7rocprim17ROCPRIM_400000_NS6detail17trampoline_kernelINS0_14default_configENS1_27scan_by_key_config_selectorIj11FixedVectorIiLj1EEEEZZNS1_16scan_by_key_implILNS1_25lookback_scan_determinismE0ELb1ES3_N6thrust23THRUST_200600_302600_NS6detail15normal_iteratorINSB_10device_ptrIjEEEENSD_INSE_IS6_EEEESI_S6_NSB_4plusIvEENSB_8equal_toIvEES6_EE10hipError_tPvRmT2_T3_T4_T5_mT6_T7_P12ihipStream_tbENKUlT_T0_E_clISt17integral_constantIbLb0EES13_EEDaSY_SZ_EUlSY_E_NS1_11comp_targetILNS1_3genE2ELNS1_11target_archE906ELNS1_3gpuE6ELNS1_3repE0EEENS1_30default_config_static_selectorELNS0_4arch9wavefront6targetE0EEEvT1_
; %bb.0:
	.section	.rodata,"a",@progbits
	.p2align	6, 0x0
	.amdhsa_kernel _ZN7rocprim17ROCPRIM_400000_NS6detail17trampoline_kernelINS0_14default_configENS1_27scan_by_key_config_selectorIj11FixedVectorIiLj1EEEEZZNS1_16scan_by_key_implILNS1_25lookback_scan_determinismE0ELb1ES3_N6thrust23THRUST_200600_302600_NS6detail15normal_iteratorINSB_10device_ptrIjEEEENSD_INSE_IS6_EEEESI_S6_NSB_4plusIvEENSB_8equal_toIvEES6_EE10hipError_tPvRmT2_T3_T4_T5_mT6_T7_P12ihipStream_tbENKUlT_T0_E_clISt17integral_constantIbLb0EES13_EEDaSY_SZ_EUlSY_E_NS1_11comp_targetILNS1_3genE2ELNS1_11target_archE906ELNS1_3gpuE6ELNS1_3repE0EEENS1_30default_config_static_selectorELNS0_4arch9wavefront6targetE0EEEvT1_
		.amdhsa_group_segment_fixed_size 0
		.amdhsa_private_segment_fixed_size 0
		.amdhsa_kernarg_size 112
		.amdhsa_user_sgpr_count 2
		.amdhsa_user_sgpr_dispatch_ptr 0
		.amdhsa_user_sgpr_queue_ptr 0
		.amdhsa_user_sgpr_kernarg_segment_ptr 1
		.amdhsa_user_sgpr_dispatch_id 0
		.amdhsa_user_sgpr_kernarg_preload_length 0
		.amdhsa_user_sgpr_kernarg_preload_offset 0
		.amdhsa_user_sgpr_private_segment_size 0
		.amdhsa_wavefront_size32 1
		.amdhsa_uses_dynamic_stack 0
		.amdhsa_enable_private_segment 0
		.amdhsa_system_sgpr_workgroup_id_x 1
		.amdhsa_system_sgpr_workgroup_id_y 0
		.amdhsa_system_sgpr_workgroup_id_z 0
		.amdhsa_system_sgpr_workgroup_info 0
		.amdhsa_system_vgpr_workitem_id 0
		.amdhsa_next_free_vgpr 1
		.amdhsa_next_free_sgpr 1
		.amdhsa_named_barrier_count 0
		.amdhsa_reserve_vcc 0
		.amdhsa_float_round_mode_32 0
		.amdhsa_float_round_mode_16_64 0
		.amdhsa_float_denorm_mode_32 3
		.amdhsa_float_denorm_mode_16_64 3
		.amdhsa_fp16_overflow 0
		.amdhsa_memory_ordered 1
		.amdhsa_forward_progress 1
		.amdhsa_inst_pref_size 0
		.amdhsa_round_robin_scheduling 0
		.amdhsa_exception_fp_ieee_invalid_op 0
		.amdhsa_exception_fp_denorm_src 0
		.amdhsa_exception_fp_ieee_div_zero 0
		.amdhsa_exception_fp_ieee_overflow 0
		.amdhsa_exception_fp_ieee_underflow 0
		.amdhsa_exception_fp_ieee_inexact 0
		.amdhsa_exception_int_div_zero 0
	.end_amdhsa_kernel
	.section	.text._ZN7rocprim17ROCPRIM_400000_NS6detail17trampoline_kernelINS0_14default_configENS1_27scan_by_key_config_selectorIj11FixedVectorIiLj1EEEEZZNS1_16scan_by_key_implILNS1_25lookback_scan_determinismE0ELb1ES3_N6thrust23THRUST_200600_302600_NS6detail15normal_iteratorINSB_10device_ptrIjEEEENSD_INSE_IS6_EEEESI_S6_NSB_4plusIvEENSB_8equal_toIvEES6_EE10hipError_tPvRmT2_T3_T4_T5_mT6_T7_P12ihipStream_tbENKUlT_T0_E_clISt17integral_constantIbLb0EES13_EEDaSY_SZ_EUlSY_E_NS1_11comp_targetILNS1_3genE2ELNS1_11target_archE906ELNS1_3gpuE6ELNS1_3repE0EEENS1_30default_config_static_selectorELNS0_4arch9wavefront6targetE0EEEvT1_,"axG",@progbits,_ZN7rocprim17ROCPRIM_400000_NS6detail17trampoline_kernelINS0_14default_configENS1_27scan_by_key_config_selectorIj11FixedVectorIiLj1EEEEZZNS1_16scan_by_key_implILNS1_25lookback_scan_determinismE0ELb1ES3_N6thrust23THRUST_200600_302600_NS6detail15normal_iteratorINSB_10device_ptrIjEEEENSD_INSE_IS6_EEEESI_S6_NSB_4plusIvEENSB_8equal_toIvEES6_EE10hipError_tPvRmT2_T3_T4_T5_mT6_T7_P12ihipStream_tbENKUlT_T0_E_clISt17integral_constantIbLb0EES13_EEDaSY_SZ_EUlSY_E_NS1_11comp_targetILNS1_3genE2ELNS1_11target_archE906ELNS1_3gpuE6ELNS1_3repE0EEENS1_30default_config_static_selectorELNS0_4arch9wavefront6targetE0EEEvT1_,comdat
.Lfunc_end1916:
	.size	_ZN7rocprim17ROCPRIM_400000_NS6detail17trampoline_kernelINS0_14default_configENS1_27scan_by_key_config_selectorIj11FixedVectorIiLj1EEEEZZNS1_16scan_by_key_implILNS1_25lookback_scan_determinismE0ELb1ES3_N6thrust23THRUST_200600_302600_NS6detail15normal_iteratorINSB_10device_ptrIjEEEENSD_INSE_IS6_EEEESI_S6_NSB_4plusIvEENSB_8equal_toIvEES6_EE10hipError_tPvRmT2_T3_T4_T5_mT6_T7_P12ihipStream_tbENKUlT_T0_E_clISt17integral_constantIbLb0EES13_EEDaSY_SZ_EUlSY_E_NS1_11comp_targetILNS1_3genE2ELNS1_11target_archE906ELNS1_3gpuE6ELNS1_3repE0EEENS1_30default_config_static_selectorELNS0_4arch9wavefront6targetE0EEEvT1_, .Lfunc_end1916-_ZN7rocprim17ROCPRIM_400000_NS6detail17trampoline_kernelINS0_14default_configENS1_27scan_by_key_config_selectorIj11FixedVectorIiLj1EEEEZZNS1_16scan_by_key_implILNS1_25lookback_scan_determinismE0ELb1ES3_N6thrust23THRUST_200600_302600_NS6detail15normal_iteratorINSB_10device_ptrIjEEEENSD_INSE_IS6_EEEESI_S6_NSB_4plusIvEENSB_8equal_toIvEES6_EE10hipError_tPvRmT2_T3_T4_T5_mT6_T7_P12ihipStream_tbENKUlT_T0_E_clISt17integral_constantIbLb0EES13_EEDaSY_SZ_EUlSY_E_NS1_11comp_targetILNS1_3genE2ELNS1_11target_archE906ELNS1_3gpuE6ELNS1_3repE0EEENS1_30default_config_static_selectorELNS0_4arch9wavefront6targetE0EEEvT1_
                                        ; -- End function
	.set _ZN7rocprim17ROCPRIM_400000_NS6detail17trampoline_kernelINS0_14default_configENS1_27scan_by_key_config_selectorIj11FixedVectorIiLj1EEEEZZNS1_16scan_by_key_implILNS1_25lookback_scan_determinismE0ELb1ES3_N6thrust23THRUST_200600_302600_NS6detail15normal_iteratorINSB_10device_ptrIjEEEENSD_INSE_IS6_EEEESI_S6_NSB_4plusIvEENSB_8equal_toIvEES6_EE10hipError_tPvRmT2_T3_T4_T5_mT6_T7_P12ihipStream_tbENKUlT_T0_E_clISt17integral_constantIbLb0EES13_EEDaSY_SZ_EUlSY_E_NS1_11comp_targetILNS1_3genE2ELNS1_11target_archE906ELNS1_3gpuE6ELNS1_3repE0EEENS1_30default_config_static_selectorELNS0_4arch9wavefront6targetE0EEEvT1_.num_vgpr, 0
	.set _ZN7rocprim17ROCPRIM_400000_NS6detail17trampoline_kernelINS0_14default_configENS1_27scan_by_key_config_selectorIj11FixedVectorIiLj1EEEEZZNS1_16scan_by_key_implILNS1_25lookback_scan_determinismE0ELb1ES3_N6thrust23THRUST_200600_302600_NS6detail15normal_iteratorINSB_10device_ptrIjEEEENSD_INSE_IS6_EEEESI_S6_NSB_4plusIvEENSB_8equal_toIvEES6_EE10hipError_tPvRmT2_T3_T4_T5_mT6_T7_P12ihipStream_tbENKUlT_T0_E_clISt17integral_constantIbLb0EES13_EEDaSY_SZ_EUlSY_E_NS1_11comp_targetILNS1_3genE2ELNS1_11target_archE906ELNS1_3gpuE6ELNS1_3repE0EEENS1_30default_config_static_selectorELNS0_4arch9wavefront6targetE0EEEvT1_.num_agpr, 0
	.set _ZN7rocprim17ROCPRIM_400000_NS6detail17trampoline_kernelINS0_14default_configENS1_27scan_by_key_config_selectorIj11FixedVectorIiLj1EEEEZZNS1_16scan_by_key_implILNS1_25lookback_scan_determinismE0ELb1ES3_N6thrust23THRUST_200600_302600_NS6detail15normal_iteratorINSB_10device_ptrIjEEEENSD_INSE_IS6_EEEESI_S6_NSB_4plusIvEENSB_8equal_toIvEES6_EE10hipError_tPvRmT2_T3_T4_T5_mT6_T7_P12ihipStream_tbENKUlT_T0_E_clISt17integral_constantIbLb0EES13_EEDaSY_SZ_EUlSY_E_NS1_11comp_targetILNS1_3genE2ELNS1_11target_archE906ELNS1_3gpuE6ELNS1_3repE0EEENS1_30default_config_static_selectorELNS0_4arch9wavefront6targetE0EEEvT1_.numbered_sgpr, 0
	.set _ZN7rocprim17ROCPRIM_400000_NS6detail17trampoline_kernelINS0_14default_configENS1_27scan_by_key_config_selectorIj11FixedVectorIiLj1EEEEZZNS1_16scan_by_key_implILNS1_25lookback_scan_determinismE0ELb1ES3_N6thrust23THRUST_200600_302600_NS6detail15normal_iteratorINSB_10device_ptrIjEEEENSD_INSE_IS6_EEEESI_S6_NSB_4plusIvEENSB_8equal_toIvEES6_EE10hipError_tPvRmT2_T3_T4_T5_mT6_T7_P12ihipStream_tbENKUlT_T0_E_clISt17integral_constantIbLb0EES13_EEDaSY_SZ_EUlSY_E_NS1_11comp_targetILNS1_3genE2ELNS1_11target_archE906ELNS1_3gpuE6ELNS1_3repE0EEENS1_30default_config_static_selectorELNS0_4arch9wavefront6targetE0EEEvT1_.num_named_barrier, 0
	.set _ZN7rocprim17ROCPRIM_400000_NS6detail17trampoline_kernelINS0_14default_configENS1_27scan_by_key_config_selectorIj11FixedVectorIiLj1EEEEZZNS1_16scan_by_key_implILNS1_25lookback_scan_determinismE0ELb1ES3_N6thrust23THRUST_200600_302600_NS6detail15normal_iteratorINSB_10device_ptrIjEEEENSD_INSE_IS6_EEEESI_S6_NSB_4plusIvEENSB_8equal_toIvEES6_EE10hipError_tPvRmT2_T3_T4_T5_mT6_T7_P12ihipStream_tbENKUlT_T0_E_clISt17integral_constantIbLb0EES13_EEDaSY_SZ_EUlSY_E_NS1_11comp_targetILNS1_3genE2ELNS1_11target_archE906ELNS1_3gpuE6ELNS1_3repE0EEENS1_30default_config_static_selectorELNS0_4arch9wavefront6targetE0EEEvT1_.private_seg_size, 0
	.set _ZN7rocprim17ROCPRIM_400000_NS6detail17trampoline_kernelINS0_14default_configENS1_27scan_by_key_config_selectorIj11FixedVectorIiLj1EEEEZZNS1_16scan_by_key_implILNS1_25lookback_scan_determinismE0ELb1ES3_N6thrust23THRUST_200600_302600_NS6detail15normal_iteratorINSB_10device_ptrIjEEEENSD_INSE_IS6_EEEESI_S6_NSB_4plusIvEENSB_8equal_toIvEES6_EE10hipError_tPvRmT2_T3_T4_T5_mT6_T7_P12ihipStream_tbENKUlT_T0_E_clISt17integral_constantIbLb0EES13_EEDaSY_SZ_EUlSY_E_NS1_11comp_targetILNS1_3genE2ELNS1_11target_archE906ELNS1_3gpuE6ELNS1_3repE0EEENS1_30default_config_static_selectorELNS0_4arch9wavefront6targetE0EEEvT1_.uses_vcc, 0
	.set _ZN7rocprim17ROCPRIM_400000_NS6detail17trampoline_kernelINS0_14default_configENS1_27scan_by_key_config_selectorIj11FixedVectorIiLj1EEEEZZNS1_16scan_by_key_implILNS1_25lookback_scan_determinismE0ELb1ES3_N6thrust23THRUST_200600_302600_NS6detail15normal_iteratorINSB_10device_ptrIjEEEENSD_INSE_IS6_EEEESI_S6_NSB_4plusIvEENSB_8equal_toIvEES6_EE10hipError_tPvRmT2_T3_T4_T5_mT6_T7_P12ihipStream_tbENKUlT_T0_E_clISt17integral_constantIbLb0EES13_EEDaSY_SZ_EUlSY_E_NS1_11comp_targetILNS1_3genE2ELNS1_11target_archE906ELNS1_3gpuE6ELNS1_3repE0EEENS1_30default_config_static_selectorELNS0_4arch9wavefront6targetE0EEEvT1_.uses_flat_scratch, 0
	.set _ZN7rocprim17ROCPRIM_400000_NS6detail17trampoline_kernelINS0_14default_configENS1_27scan_by_key_config_selectorIj11FixedVectorIiLj1EEEEZZNS1_16scan_by_key_implILNS1_25lookback_scan_determinismE0ELb1ES3_N6thrust23THRUST_200600_302600_NS6detail15normal_iteratorINSB_10device_ptrIjEEEENSD_INSE_IS6_EEEESI_S6_NSB_4plusIvEENSB_8equal_toIvEES6_EE10hipError_tPvRmT2_T3_T4_T5_mT6_T7_P12ihipStream_tbENKUlT_T0_E_clISt17integral_constantIbLb0EES13_EEDaSY_SZ_EUlSY_E_NS1_11comp_targetILNS1_3genE2ELNS1_11target_archE906ELNS1_3gpuE6ELNS1_3repE0EEENS1_30default_config_static_selectorELNS0_4arch9wavefront6targetE0EEEvT1_.has_dyn_sized_stack, 0
	.set _ZN7rocprim17ROCPRIM_400000_NS6detail17trampoline_kernelINS0_14default_configENS1_27scan_by_key_config_selectorIj11FixedVectorIiLj1EEEEZZNS1_16scan_by_key_implILNS1_25lookback_scan_determinismE0ELb1ES3_N6thrust23THRUST_200600_302600_NS6detail15normal_iteratorINSB_10device_ptrIjEEEENSD_INSE_IS6_EEEESI_S6_NSB_4plusIvEENSB_8equal_toIvEES6_EE10hipError_tPvRmT2_T3_T4_T5_mT6_T7_P12ihipStream_tbENKUlT_T0_E_clISt17integral_constantIbLb0EES13_EEDaSY_SZ_EUlSY_E_NS1_11comp_targetILNS1_3genE2ELNS1_11target_archE906ELNS1_3gpuE6ELNS1_3repE0EEENS1_30default_config_static_selectorELNS0_4arch9wavefront6targetE0EEEvT1_.has_recursion, 0
	.set _ZN7rocprim17ROCPRIM_400000_NS6detail17trampoline_kernelINS0_14default_configENS1_27scan_by_key_config_selectorIj11FixedVectorIiLj1EEEEZZNS1_16scan_by_key_implILNS1_25lookback_scan_determinismE0ELb1ES3_N6thrust23THRUST_200600_302600_NS6detail15normal_iteratorINSB_10device_ptrIjEEEENSD_INSE_IS6_EEEESI_S6_NSB_4plusIvEENSB_8equal_toIvEES6_EE10hipError_tPvRmT2_T3_T4_T5_mT6_T7_P12ihipStream_tbENKUlT_T0_E_clISt17integral_constantIbLb0EES13_EEDaSY_SZ_EUlSY_E_NS1_11comp_targetILNS1_3genE2ELNS1_11target_archE906ELNS1_3gpuE6ELNS1_3repE0EEENS1_30default_config_static_selectorELNS0_4arch9wavefront6targetE0EEEvT1_.has_indirect_call, 0
	.section	.AMDGPU.csdata,"",@progbits
; Kernel info:
; codeLenInByte = 0
; TotalNumSgprs: 0
; NumVgprs: 0
; ScratchSize: 0
; MemoryBound: 0
; FloatMode: 240
; IeeeMode: 1
; LDSByteSize: 0 bytes/workgroup (compile time only)
; SGPRBlocks: 0
; VGPRBlocks: 0
; NumSGPRsForWavesPerEU: 1
; NumVGPRsForWavesPerEU: 1
; NamedBarCnt: 0
; Occupancy: 16
; WaveLimiterHint : 0
; COMPUTE_PGM_RSRC2:SCRATCH_EN: 0
; COMPUTE_PGM_RSRC2:USER_SGPR: 2
; COMPUTE_PGM_RSRC2:TRAP_HANDLER: 0
; COMPUTE_PGM_RSRC2:TGID_X_EN: 1
; COMPUTE_PGM_RSRC2:TGID_Y_EN: 0
; COMPUTE_PGM_RSRC2:TGID_Z_EN: 0
; COMPUTE_PGM_RSRC2:TIDIG_COMP_CNT: 0
	.section	.text._ZN7rocprim17ROCPRIM_400000_NS6detail17trampoline_kernelINS0_14default_configENS1_27scan_by_key_config_selectorIj11FixedVectorIiLj1EEEEZZNS1_16scan_by_key_implILNS1_25lookback_scan_determinismE0ELb1ES3_N6thrust23THRUST_200600_302600_NS6detail15normal_iteratorINSB_10device_ptrIjEEEENSD_INSE_IS6_EEEESI_S6_NSB_4plusIvEENSB_8equal_toIvEES6_EE10hipError_tPvRmT2_T3_T4_T5_mT6_T7_P12ihipStream_tbENKUlT_T0_E_clISt17integral_constantIbLb0EES13_EEDaSY_SZ_EUlSY_E_NS1_11comp_targetILNS1_3genE10ELNS1_11target_archE1200ELNS1_3gpuE4ELNS1_3repE0EEENS1_30default_config_static_selectorELNS0_4arch9wavefront6targetE0EEEvT1_,"axG",@progbits,_ZN7rocprim17ROCPRIM_400000_NS6detail17trampoline_kernelINS0_14default_configENS1_27scan_by_key_config_selectorIj11FixedVectorIiLj1EEEEZZNS1_16scan_by_key_implILNS1_25lookback_scan_determinismE0ELb1ES3_N6thrust23THRUST_200600_302600_NS6detail15normal_iteratorINSB_10device_ptrIjEEEENSD_INSE_IS6_EEEESI_S6_NSB_4plusIvEENSB_8equal_toIvEES6_EE10hipError_tPvRmT2_T3_T4_T5_mT6_T7_P12ihipStream_tbENKUlT_T0_E_clISt17integral_constantIbLb0EES13_EEDaSY_SZ_EUlSY_E_NS1_11comp_targetILNS1_3genE10ELNS1_11target_archE1200ELNS1_3gpuE4ELNS1_3repE0EEENS1_30default_config_static_selectorELNS0_4arch9wavefront6targetE0EEEvT1_,comdat
	.protected	_ZN7rocprim17ROCPRIM_400000_NS6detail17trampoline_kernelINS0_14default_configENS1_27scan_by_key_config_selectorIj11FixedVectorIiLj1EEEEZZNS1_16scan_by_key_implILNS1_25lookback_scan_determinismE0ELb1ES3_N6thrust23THRUST_200600_302600_NS6detail15normal_iteratorINSB_10device_ptrIjEEEENSD_INSE_IS6_EEEESI_S6_NSB_4plusIvEENSB_8equal_toIvEES6_EE10hipError_tPvRmT2_T3_T4_T5_mT6_T7_P12ihipStream_tbENKUlT_T0_E_clISt17integral_constantIbLb0EES13_EEDaSY_SZ_EUlSY_E_NS1_11comp_targetILNS1_3genE10ELNS1_11target_archE1200ELNS1_3gpuE4ELNS1_3repE0EEENS1_30default_config_static_selectorELNS0_4arch9wavefront6targetE0EEEvT1_ ; -- Begin function _ZN7rocprim17ROCPRIM_400000_NS6detail17trampoline_kernelINS0_14default_configENS1_27scan_by_key_config_selectorIj11FixedVectorIiLj1EEEEZZNS1_16scan_by_key_implILNS1_25lookback_scan_determinismE0ELb1ES3_N6thrust23THRUST_200600_302600_NS6detail15normal_iteratorINSB_10device_ptrIjEEEENSD_INSE_IS6_EEEESI_S6_NSB_4plusIvEENSB_8equal_toIvEES6_EE10hipError_tPvRmT2_T3_T4_T5_mT6_T7_P12ihipStream_tbENKUlT_T0_E_clISt17integral_constantIbLb0EES13_EEDaSY_SZ_EUlSY_E_NS1_11comp_targetILNS1_3genE10ELNS1_11target_archE1200ELNS1_3gpuE4ELNS1_3repE0EEENS1_30default_config_static_selectorELNS0_4arch9wavefront6targetE0EEEvT1_
	.globl	_ZN7rocprim17ROCPRIM_400000_NS6detail17trampoline_kernelINS0_14default_configENS1_27scan_by_key_config_selectorIj11FixedVectorIiLj1EEEEZZNS1_16scan_by_key_implILNS1_25lookback_scan_determinismE0ELb1ES3_N6thrust23THRUST_200600_302600_NS6detail15normal_iteratorINSB_10device_ptrIjEEEENSD_INSE_IS6_EEEESI_S6_NSB_4plusIvEENSB_8equal_toIvEES6_EE10hipError_tPvRmT2_T3_T4_T5_mT6_T7_P12ihipStream_tbENKUlT_T0_E_clISt17integral_constantIbLb0EES13_EEDaSY_SZ_EUlSY_E_NS1_11comp_targetILNS1_3genE10ELNS1_11target_archE1200ELNS1_3gpuE4ELNS1_3repE0EEENS1_30default_config_static_selectorELNS0_4arch9wavefront6targetE0EEEvT1_
	.p2align	8
	.type	_ZN7rocprim17ROCPRIM_400000_NS6detail17trampoline_kernelINS0_14default_configENS1_27scan_by_key_config_selectorIj11FixedVectorIiLj1EEEEZZNS1_16scan_by_key_implILNS1_25lookback_scan_determinismE0ELb1ES3_N6thrust23THRUST_200600_302600_NS6detail15normal_iteratorINSB_10device_ptrIjEEEENSD_INSE_IS6_EEEESI_S6_NSB_4plusIvEENSB_8equal_toIvEES6_EE10hipError_tPvRmT2_T3_T4_T5_mT6_T7_P12ihipStream_tbENKUlT_T0_E_clISt17integral_constantIbLb0EES13_EEDaSY_SZ_EUlSY_E_NS1_11comp_targetILNS1_3genE10ELNS1_11target_archE1200ELNS1_3gpuE4ELNS1_3repE0EEENS1_30default_config_static_selectorELNS0_4arch9wavefront6targetE0EEEvT1_,@function
_ZN7rocprim17ROCPRIM_400000_NS6detail17trampoline_kernelINS0_14default_configENS1_27scan_by_key_config_selectorIj11FixedVectorIiLj1EEEEZZNS1_16scan_by_key_implILNS1_25lookback_scan_determinismE0ELb1ES3_N6thrust23THRUST_200600_302600_NS6detail15normal_iteratorINSB_10device_ptrIjEEEENSD_INSE_IS6_EEEESI_S6_NSB_4plusIvEENSB_8equal_toIvEES6_EE10hipError_tPvRmT2_T3_T4_T5_mT6_T7_P12ihipStream_tbENKUlT_T0_E_clISt17integral_constantIbLb0EES13_EEDaSY_SZ_EUlSY_E_NS1_11comp_targetILNS1_3genE10ELNS1_11target_archE1200ELNS1_3gpuE4ELNS1_3repE0EEENS1_30default_config_static_selectorELNS0_4arch9wavefront6targetE0EEEvT1_: ; @_ZN7rocprim17ROCPRIM_400000_NS6detail17trampoline_kernelINS0_14default_configENS1_27scan_by_key_config_selectorIj11FixedVectorIiLj1EEEEZZNS1_16scan_by_key_implILNS1_25lookback_scan_determinismE0ELb1ES3_N6thrust23THRUST_200600_302600_NS6detail15normal_iteratorINSB_10device_ptrIjEEEENSD_INSE_IS6_EEEESI_S6_NSB_4plusIvEENSB_8equal_toIvEES6_EE10hipError_tPvRmT2_T3_T4_T5_mT6_T7_P12ihipStream_tbENKUlT_T0_E_clISt17integral_constantIbLb0EES13_EEDaSY_SZ_EUlSY_E_NS1_11comp_targetILNS1_3genE10ELNS1_11target_archE1200ELNS1_3gpuE4ELNS1_3repE0EEENS1_30default_config_static_selectorELNS0_4arch9wavefront6targetE0EEEvT1_
; %bb.0:
	.section	.rodata,"a",@progbits
	.p2align	6, 0x0
	.amdhsa_kernel _ZN7rocprim17ROCPRIM_400000_NS6detail17trampoline_kernelINS0_14default_configENS1_27scan_by_key_config_selectorIj11FixedVectorIiLj1EEEEZZNS1_16scan_by_key_implILNS1_25lookback_scan_determinismE0ELb1ES3_N6thrust23THRUST_200600_302600_NS6detail15normal_iteratorINSB_10device_ptrIjEEEENSD_INSE_IS6_EEEESI_S6_NSB_4plusIvEENSB_8equal_toIvEES6_EE10hipError_tPvRmT2_T3_T4_T5_mT6_T7_P12ihipStream_tbENKUlT_T0_E_clISt17integral_constantIbLb0EES13_EEDaSY_SZ_EUlSY_E_NS1_11comp_targetILNS1_3genE10ELNS1_11target_archE1200ELNS1_3gpuE4ELNS1_3repE0EEENS1_30default_config_static_selectorELNS0_4arch9wavefront6targetE0EEEvT1_
		.amdhsa_group_segment_fixed_size 0
		.amdhsa_private_segment_fixed_size 0
		.amdhsa_kernarg_size 112
		.amdhsa_user_sgpr_count 2
		.amdhsa_user_sgpr_dispatch_ptr 0
		.amdhsa_user_sgpr_queue_ptr 0
		.amdhsa_user_sgpr_kernarg_segment_ptr 1
		.amdhsa_user_sgpr_dispatch_id 0
		.amdhsa_user_sgpr_kernarg_preload_length 0
		.amdhsa_user_sgpr_kernarg_preload_offset 0
		.amdhsa_user_sgpr_private_segment_size 0
		.amdhsa_wavefront_size32 1
		.amdhsa_uses_dynamic_stack 0
		.amdhsa_enable_private_segment 0
		.amdhsa_system_sgpr_workgroup_id_x 1
		.amdhsa_system_sgpr_workgroup_id_y 0
		.amdhsa_system_sgpr_workgroup_id_z 0
		.amdhsa_system_sgpr_workgroup_info 0
		.amdhsa_system_vgpr_workitem_id 0
		.amdhsa_next_free_vgpr 1
		.amdhsa_next_free_sgpr 1
		.amdhsa_named_barrier_count 0
		.amdhsa_reserve_vcc 0
		.amdhsa_float_round_mode_32 0
		.amdhsa_float_round_mode_16_64 0
		.amdhsa_float_denorm_mode_32 3
		.amdhsa_float_denorm_mode_16_64 3
		.amdhsa_fp16_overflow 0
		.amdhsa_memory_ordered 1
		.amdhsa_forward_progress 1
		.amdhsa_inst_pref_size 0
		.amdhsa_round_robin_scheduling 0
		.amdhsa_exception_fp_ieee_invalid_op 0
		.amdhsa_exception_fp_denorm_src 0
		.amdhsa_exception_fp_ieee_div_zero 0
		.amdhsa_exception_fp_ieee_overflow 0
		.amdhsa_exception_fp_ieee_underflow 0
		.amdhsa_exception_fp_ieee_inexact 0
		.amdhsa_exception_int_div_zero 0
	.end_amdhsa_kernel
	.section	.text._ZN7rocprim17ROCPRIM_400000_NS6detail17trampoline_kernelINS0_14default_configENS1_27scan_by_key_config_selectorIj11FixedVectorIiLj1EEEEZZNS1_16scan_by_key_implILNS1_25lookback_scan_determinismE0ELb1ES3_N6thrust23THRUST_200600_302600_NS6detail15normal_iteratorINSB_10device_ptrIjEEEENSD_INSE_IS6_EEEESI_S6_NSB_4plusIvEENSB_8equal_toIvEES6_EE10hipError_tPvRmT2_T3_T4_T5_mT6_T7_P12ihipStream_tbENKUlT_T0_E_clISt17integral_constantIbLb0EES13_EEDaSY_SZ_EUlSY_E_NS1_11comp_targetILNS1_3genE10ELNS1_11target_archE1200ELNS1_3gpuE4ELNS1_3repE0EEENS1_30default_config_static_selectorELNS0_4arch9wavefront6targetE0EEEvT1_,"axG",@progbits,_ZN7rocprim17ROCPRIM_400000_NS6detail17trampoline_kernelINS0_14default_configENS1_27scan_by_key_config_selectorIj11FixedVectorIiLj1EEEEZZNS1_16scan_by_key_implILNS1_25lookback_scan_determinismE0ELb1ES3_N6thrust23THRUST_200600_302600_NS6detail15normal_iteratorINSB_10device_ptrIjEEEENSD_INSE_IS6_EEEESI_S6_NSB_4plusIvEENSB_8equal_toIvEES6_EE10hipError_tPvRmT2_T3_T4_T5_mT6_T7_P12ihipStream_tbENKUlT_T0_E_clISt17integral_constantIbLb0EES13_EEDaSY_SZ_EUlSY_E_NS1_11comp_targetILNS1_3genE10ELNS1_11target_archE1200ELNS1_3gpuE4ELNS1_3repE0EEENS1_30default_config_static_selectorELNS0_4arch9wavefront6targetE0EEEvT1_,comdat
.Lfunc_end1917:
	.size	_ZN7rocprim17ROCPRIM_400000_NS6detail17trampoline_kernelINS0_14default_configENS1_27scan_by_key_config_selectorIj11FixedVectorIiLj1EEEEZZNS1_16scan_by_key_implILNS1_25lookback_scan_determinismE0ELb1ES3_N6thrust23THRUST_200600_302600_NS6detail15normal_iteratorINSB_10device_ptrIjEEEENSD_INSE_IS6_EEEESI_S6_NSB_4plusIvEENSB_8equal_toIvEES6_EE10hipError_tPvRmT2_T3_T4_T5_mT6_T7_P12ihipStream_tbENKUlT_T0_E_clISt17integral_constantIbLb0EES13_EEDaSY_SZ_EUlSY_E_NS1_11comp_targetILNS1_3genE10ELNS1_11target_archE1200ELNS1_3gpuE4ELNS1_3repE0EEENS1_30default_config_static_selectorELNS0_4arch9wavefront6targetE0EEEvT1_, .Lfunc_end1917-_ZN7rocprim17ROCPRIM_400000_NS6detail17trampoline_kernelINS0_14default_configENS1_27scan_by_key_config_selectorIj11FixedVectorIiLj1EEEEZZNS1_16scan_by_key_implILNS1_25lookback_scan_determinismE0ELb1ES3_N6thrust23THRUST_200600_302600_NS6detail15normal_iteratorINSB_10device_ptrIjEEEENSD_INSE_IS6_EEEESI_S6_NSB_4plusIvEENSB_8equal_toIvEES6_EE10hipError_tPvRmT2_T3_T4_T5_mT6_T7_P12ihipStream_tbENKUlT_T0_E_clISt17integral_constantIbLb0EES13_EEDaSY_SZ_EUlSY_E_NS1_11comp_targetILNS1_3genE10ELNS1_11target_archE1200ELNS1_3gpuE4ELNS1_3repE0EEENS1_30default_config_static_selectorELNS0_4arch9wavefront6targetE0EEEvT1_
                                        ; -- End function
	.set _ZN7rocprim17ROCPRIM_400000_NS6detail17trampoline_kernelINS0_14default_configENS1_27scan_by_key_config_selectorIj11FixedVectorIiLj1EEEEZZNS1_16scan_by_key_implILNS1_25lookback_scan_determinismE0ELb1ES3_N6thrust23THRUST_200600_302600_NS6detail15normal_iteratorINSB_10device_ptrIjEEEENSD_INSE_IS6_EEEESI_S6_NSB_4plusIvEENSB_8equal_toIvEES6_EE10hipError_tPvRmT2_T3_T4_T5_mT6_T7_P12ihipStream_tbENKUlT_T0_E_clISt17integral_constantIbLb0EES13_EEDaSY_SZ_EUlSY_E_NS1_11comp_targetILNS1_3genE10ELNS1_11target_archE1200ELNS1_3gpuE4ELNS1_3repE0EEENS1_30default_config_static_selectorELNS0_4arch9wavefront6targetE0EEEvT1_.num_vgpr, 0
	.set _ZN7rocprim17ROCPRIM_400000_NS6detail17trampoline_kernelINS0_14default_configENS1_27scan_by_key_config_selectorIj11FixedVectorIiLj1EEEEZZNS1_16scan_by_key_implILNS1_25lookback_scan_determinismE0ELb1ES3_N6thrust23THRUST_200600_302600_NS6detail15normal_iteratorINSB_10device_ptrIjEEEENSD_INSE_IS6_EEEESI_S6_NSB_4plusIvEENSB_8equal_toIvEES6_EE10hipError_tPvRmT2_T3_T4_T5_mT6_T7_P12ihipStream_tbENKUlT_T0_E_clISt17integral_constantIbLb0EES13_EEDaSY_SZ_EUlSY_E_NS1_11comp_targetILNS1_3genE10ELNS1_11target_archE1200ELNS1_3gpuE4ELNS1_3repE0EEENS1_30default_config_static_selectorELNS0_4arch9wavefront6targetE0EEEvT1_.num_agpr, 0
	.set _ZN7rocprim17ROCPRIM_400000_NS6detail17trampoline_kernelINS0_14default_configENS1_27scan_by_key_config_selectorIj11FixedVectorIiLj1EEEEZZNS1_16scan_by_key_implILNS1_25lookback_scan_determinismE0ELb1ES3_N6thrust23THRUST_200600_302600_NS6detail15normal_iteratorINSB_10device_ptrIjEEEENSD_INSE_IS6_EEEESI_S6_NSB_4plusIvEENSB_8equal_toIvEES6_EE10hipError_tPvRmT2_T3_T4_T5_mT6_T7_P12ihipStream_tbENKUlT_T0_E_clISt17integral_constantIbLb0EES13_EEDaSY_SZ_EUlSY_E_NS1_11comp_targetILNS1_3genE10ELNS1_11target_archE1200ELNS1_3gpuE4ELNS1_3repE0EEENS1_30default_config_static_selectorELNS0_4arch9wavefront6targetE0EEEvT1_.numbered_sgpr, 0
	.set _ZN7rocprim17ROCPRIM_400000_NS6detail17trampoline_kernelINS0_14default_configENS1_27scan_by_key_config_selectorIj11FixedVectorIiLj1EEEEZZNS1_16scan_by_key_implILNS1_25lookback_scan_determinismE0ELb1ES3_N6thrust23THRUST_200600_302600_NS6detail15normal_iteratorINSB_10device_ptrIjEEEENSD_INSE_IS6_EEEESI_S6_NSB_4plusIvEENSB_8equal_toIvEES6_EE10hipError_tPvRmT2_T3_T4_T5_mT6_T7_P12ihipStream_tbENKUlT_T0_E_clISt17integral_constantIbLb0EES13_EEDaSY_SZ_EUlSY_E_NS1_11comp_targetILNS1_3genE10ELNS1_11target_archE1200ELNS1_3gpuE4ELNS1_3repE0EEENS1_30default_config_static_selectorELNS0_4arch9wavefront6targetE0EEEvT1_.num_named_barrier, 0
	.set _ZN7rocprim17ROCPRIM_400000_NS6detail17trampoline_kernelINS0_14default_configENS1_27scan_by_key_config_selectorIj11FixedVectorIiLj1EEEEZZNS1_16scan_by_key_implILNS1_25lookback_scan_determinismE0ELb1ES3_N6thrust23THRUST_200600_302600_NS6detail15normal_iteratorINSB_10device_ptrIjEEEENSD_INSE_IS6_EEEESI_S6_NSB_4plusIvEENSB_8equal_toIvEES6_EE10hipError_tPvRmT2_T3_T4_T5_mT6_T7_P12ihipStream_tbENKUlT_T0_E_clISt17integral_constantIbLb0EES13_EEDaSY_SZ_EUlSY_E_NS1_11comp_targetILNS1_3genE10ELNS1_11target_archE1200ELNS1_3gpuE4ELNS1_3repE0EEENS1_30default_config_static_selectorELNS0_4arch9wavefront6targetE0EEEvT1_.private_seg_size, 0
	.set _ZN7rocprim17ROCPRIM_400000_NS6detail17trampoline_kernelINS0_14default_configENS1_27scan_by_key_config_selectorIj11FixedVectorIiLj1EEEEZZNS1_16scan_by_key_implILNS1_25lookback_scan_determinismE0ELb1ES3_N6thrust23THRUST_200600_302600_NS6detail15normal_iteratorINSB_10device_ptrIjEEEENSD_INSE_IS6_EEEESI_S6_NSB_4plusIvEENSB_8equal_toIvEES6_EE10hipError_tPvRmT2_T3_T4_T5_mT6_T7_P12ihipStream_tbENKUlT_T0_E_clISt17integral_constantIbLb0EES13_EEDaSY_SZ_EUlSY_E_NS1_11comp_targetILNS1_3genE10ELNS1_11target_archE1200ELNS1_3gpuE4ELNS1_3repE0EEENS1_30default_config_static_selectorELNS0_4arch9wavefront6targetE0EEEvT1_.uses_vcc, 0
	.set _ZN7rocprim17ROCPRIM_400000_NS6detail17trampoline_kernelINS0_14default_configENS1_27scan_by_key_config_selectorIj11FixedVectorIiLj1EEEEZZNS1_16scan_by_key_implILNS1_25lookback_scan_determinismE0ELb1ES3_N6thrust23THRUST_200600_302600_NS6detail15normal_iteratorINSB_10device_ptrIjEEEENSD_INSE_IS6_EEEESI_S6_NSB_4plusIvEENSB_8equal_toIvEES6_EE10hipError_tPvRmT2_T3_T4_T5_mT6_T7_P12ihipStream_tbENKUlT_T0_E_clISt17integral_constantIbLb0EES13_EEDaSY_SZ_EUlSY_E_NS1_11comp_targetILNS1_3genE10ELNS1_11target_archE1200ELNS1_3gpuE4ELNS1_3repE0EEENS1_30default_config_static_selectorELNS0_4arch9wavefront6targetE0EEEvT1_.uses_flat_scratch, 0
	.set _ZN7rocprim17ROCPRIM_400000_NS6detail17trampoline_kernelINS0_14default_configENS1_27scan_by_key_config_selectorIj11FixedVectorIiLj1EEEEZZNS1_16scan_by_key_implILNS1_25lookback_scan_determinismE0ELb1ES3_N6thrust23THRUST_200600_302600_NS6detail15normal_iteratorINSB_10device_ptrIjEEEENSD_INSE_IS6_EEEESI_S6_NSB_4plusIvEENSB_8equal_toIvEES6_EE10hipError_tPvRmT2_T3_T4_T5_mT6_T7_P12ihipStream_tbENKUlT_T0_E_clISt17integral_constantIbLb0EES13_EEDaSY_SZ_EUlSY_E_NS1_11comp_targetILNS1_3genE10ELNS1_11target_archE1200ELNS1_3gpuE4ELNS1_3repE0EEENS1_30default_config_static_selectorELNS0_4arch9wavefront6targetE0EEEvT1_.has_dyn_sized_stack, 0
	.set _ZN7rocprim17ROCPRIM_400000_NS6detail17trampoline_kernelINS0_14default_configENS1_27scan_by_key_config_selectorIj11FixedVectorIiLj1EEEEZZNS1_16scan_by_key_implILNS1_25lookback_scan_determinismE0ELb1ES3_N6thrust23THRUST_200600_302600_NS6detail15normal_iteratorINSB_10device_ptrIjEEEENSD_INSE_IS6_EEEESI_S6_NSB_4plusIvEENSB_8equal_toIvEES6_EE10hipError_tPvRmT2_T3_T4_T5_mT6_T7_P12ihipStream_tbENKUlT_T0_E_clISt17integral_constantIbLb0EES13_EEDaSY_SZ_EUlSY_E_NS1_11comp_targetILNS1_3genE10ELNS1_11target_archE1200ELNS1_3gpuE4ELNS1_3repE0EEENS1_30default_config_static_selectorELNS0_4arch9wavefront6targetE0EEEvT1_.has_recursion, 0
	.set _ZN7rocprim17ROCPRIM_400000_NS6detail17trampoline_kernelINS0_14default_configENS1_27scan_by_key_config_selectorIj11FixedVectorIiLj1EEEEZZNS1_16scan_by_key_implILNS1_25lookback_scan_determinismE0ELb1ES3_N6thrust23THRUST_200600_302600_NS6detail15normal_iteratorINSB_10device_ptrIjEEEENSD_INSE_IS6_EEEESI_S6_NSB_4plusIvEENSB_8equal_toIvEES6_EE10hipError_tPvRmT2_T3_T4_T5_mT6_T7_P12ihipStream_tbENKUlT_T0_E_clISt17integral_constantIbLb0EES13_EEDaSY_SZ_EUlSY_E_NS1_11comp_targetILNS1_3genE10ELNS1_11target_archE1200ELNS1_3gpuE4ELNS1_3repE0EEENS1_30default_config_static_selectorELNS0_4arch9wavefront6targetE0EEEvT1_.has_indirect_call, 0
	.section	.AMDGPU.csdata,"",@progbits
; Kernel info:
; codeLenInByte = 0
; TotalNumSgprs: 0
; NumVgprs: 0
; ScratchSize: 0
; MemoryBound: 0
; FloatMode: 240
; IeeeMode: 1
; LDSByteSize: 0 bytes/workgroup (compile time only)
; SGPRBlocks: 0
; VGPRBlocks: 0
; NumSGPRsForWavesPerEU: 1
; NumVGPRsForWavesPerEU: 1
; NamedBarCnt: 0
; Occupancy: 16
; WaveLimiterHint : 0
; COMPUTE_PGM_RSRC2:SCRATCH_EN: 0
; COMPUTE_PGM_RSRC2:USER_SGPR: 2
; COMPUTE_PGM_RSRC2:TRAP_HANDLER: 0
; COMPUTE_PGM_RSRC2:TGID_X_EN: 1
; COMPUTE_PGM_RSRC2:TGID_Y_EN: 0
; COMPUTE_PGM_RSRC2:TGID_Z_EN: 0
; COMPUTE_PGM_RSRC2:TIDIG_COMP_CNT: 0
	.section	.text._ZN7rocprim17ROCPRIM_400000_NS6detail17trampoline_kernelINS0_14default_configENS1_27scan_by_key_config_selectorIj11FixedVectorIiLj1EEEEZZNS1_16scan_by_key_implILNS1_25lookback_scan_determinismE0ELb1ES3_N6thrust23THRUST_200600_302600_NS6detail15normal_iteratorINSB_10device_ptrIjEEEENSD_INSE_IS6_EEEESI_S6_NSB_4plusIvEENSB_8equal_toIvEES6_EE10hipError_tPvRmT2_T3_T4_T5_mT6_T7_P12ihipStream_tbENKUlT_T0_E_clISt17integral_constantIbLb0EES13_EEDaSY_SZ_EUlSY_E_NS1_11comp_targetILNS1_3genE9ELNS1_11target_archE1100ELNS1_3gpuE3ELNS1_3repE0EEENS1_30default_config_static_selectorELNS0_4arch9wavefront6targetE0EEEvT1_,"axG",@progbits,_ZN7rocprim17ROCPRIM_400000_NS6detail17trampoline_kernelINS0_14default_configENS1_27scan_by_key_config_selectorIj11FixedVectorIiLj1EEEEZZNS1_16scan_by_key_implILNS1_25lookback_scan_determinismE0ELb1ES3_N6thrust23THRUST_200600_302600_NS6detail15normal_iteratorINSB_10device_ptrIjEEEENSD_INSE_IS6_EEEESI_S6_NSB_4plusIvEENSB_8equal_toIvEES6_EE10hipError_tPvRmT2_T3_T4_T5_mT6_T7_P12ihipStream_tbENKUlT_T0_E_clISt17integral_constantIbLb0EES13_EEDaSY_SZ_EUlSY_E_NS1_11comp_targetILNS1_3genE9ELNS1_11target_archE1100ELNS1_3gpuE3ELNS1_3repE0EEENS1_30default_config_static_selectorELNS0_4arch9wavefront6targetE0EEEvT1_,comdat
	.protected	_ZN7rocprim17ROCPRIM_400000_NS6detail17trampoline_kernelINS0_14default_configENS1_27scan_by_key_config_selectorIj11FixedVectorIiLj1EEEEZZNS1_16scan_by_key_implILNS1_25lookback_scan_determinismE0ELb1ES3_N6thrust23THRUST_200600_302600_NS6detail15normal_iteratorINSB_10device_ptrIjEEEENSD_INSE_IS6_EEEESI_S6_NSB_4plusIvEENSB_8equal_toIvEES6_EE10hipError_tPvRmT2_T3_T4_T5_mT6_T7_P12ihipStream_tbENKUlT_T0_E_clISt17integral_constantIbLb0EES13_EEDaSY_SZ_EUlSY_E_NS1_11comp_targetILNS1_3genE9ELNS1_11target_archE1100ELNS1_3gpuE3ELNS1_3repE0EEENS1_30default_config_static_selectorELNS0_4arch9wavefront6targetE0EEEvT1_ ; -- Begin function _ZN7rocprim17ROCPRIM_400000_NS6detail17trampoline_kernelINS0_14default_configENS1_27scan_by_key_config_selectorIj11FixedVectorIiLj1EEEEZZNS1_16scan_by_key_implILNS1_25lookback_scan_determinismE0ELb1ES3_N6thrust23THRUST_200600_302600_NS6detail15normal_iteratorINSB_10device_ptrIjEEEENSD_INSE_IS6_EEEESI_S6_NSB_4plusIvEENSB_8equal_toIvEES6_EE10hipError_tPvRmT2_T3_T4_T5_mT6_T7_P12ihipStream_tbENKUlT_T0_E_clISt17integral_constantIbLb0EES13_EEDaSY_SZ_EUlSY_E_NS1_11comp_targetILNS1_3genE9ELNS1_11target_archE1100ELNS1_3gpuE3ELNS1_3repE0EEENS1_30default_config_static_selectorELNS0_4arch9wavefront6targetE0EEEvT1_
	.globl	_ZN7rocprim17ROCPRIM_400000_NS6detail17trampoline_kernelINS0_14default_configENS1_27scan_by_key_config_selectorIj11FixedVectorIiLj1EEEEZZNS1_16scan_by_key_implILNS1_25lookback_scan_determinismE0ELb1ES3_N6thrust23THRUST_200600_302600_NS6detail15normal_iteratorINSB_10device_ptrIjEEEENSD_INSE_IS6_EEEESI_S6_NSB_4plusIvEENSB_8equal_toIvEES6_EE10hipError_tPvRmT2_T3_T4_T5_mT6_T7_P12ihipStream_tbENKUlT_T0_E_clISt17integral_constantIbLb0EES13_EEDaSY_SZ_EUlSY_E_NS1_11comp_targetILNS1_3genE9ELNS1_11target_archE1100ELNS1_3gpuE3ELNS1_3repE0EEENS1_30default_config_static_selectorELNS0_4arch9wavefront6targetE0EEEvT1_
	.p2align	8
	.type	_ZN7rocprim17ROCPRIM_400000_NS6detail17trampoline_kernelINS0_14default_configENS1_27scan_by_key_config_selectorIj11FixedVectorIiLj1EEEEZZNS1_16scan_by_key_implILNS1_25lookback_scan_determinismE0ELb1ES3_N6thrust23THRUST_200600_302600_NS6detail15normal_iteratorINSB_10device_ptrIjEEEENSD_INSE_IS6_EEEESI_S6_NSB_4plusIvEENSB_8equal_toIvEES6_EE10hipError_tPvRmT2_T3_T4_T5_mT6_T7_P12ihipStream_tbENKUlT_T0_E_clISt17integral_constantIbLb0EES13_EEDaSY_SZ_EUlSY_E_NS1_11comp_targetILNS1_3genE9ELNS1_11target_archE1100ELNS1_3gpuE3ELNS1_3repE0EEENS1_30default_config_static_selectorELNS0_4arch9wavefront6targetE0EEEvT1_,@function
_ZN7rocprim17ROCPRIM_400000_NS6detail17trampoline_kernelINS0_14default_configENS1_27scan_by_key_config_selectorIj11FixedVectorIiLj1EEEEZZNS1_16scan_by_key_implILNS1_25lookback_scan_determinismE0ELb1ES3_N6thrust23THRUST_200600_302600_NS6detail15normal_iteratorINSB_10device_ptrIjEEEENSD_INSE_IS6_EEEESI_S6_NSB_4plusIvEENSB_8equal_toIvEES6_EE10hipError_tPvRmT2_T3_T4_T5_mT6_T7_P12ihipStream_tbENKUlT_T0_E_clISt17integral_constantIbLb0EES13_EEDaSY_SZ_EUlSY_E_NS1_11comp_targetILNS1_3genE9ELNS1_11target_archE1100ELNS1_3gpuE3ELNS1_3repE0EEENS1_30default_config_static_selectorELNS0_4arch9wavefront6targetE0EEEvT1_: ; @_ZN7rocprim17ROCPRIM_400000_NS6detail17trampoline_kernelINS0_14default_configENS1_27scan_by_key_config_selectorIj11FixedVectorIiLj1EEEEZZNS1_16scan_by_key_implILNS1_25lookback_scan_determinismE0ELb1ES3_N6thrust23THRUST_200600_302600_NS6detail15normal_iteratorINSB_10device_ptrIjEEEENSD_INSE_IS6_EEEESI_S6_NSB_4plusIvEENSB_8equal_toIvEES6_EE10hipError_tPvRmT2_T3_T4_T5_mT6_T7_P12ihipStream_tbENKUlT_T0_E_clISt17integral_constantIbLb0EES13_EEDaSY_SZ_EUlSY_E_NS1_11comp_targetILNS1_3genE9ELNS1_11target_archE1100ELNS1_3gpuE3ELNS1_3repE0EEENS1_30default_config_static_selectorELNS0_4arch9wavefront6targetE0EEEvT1_
; %bb.0:
	.section	.rodata,"a",@progbits
	.p2align	6, 0x0
	.amdhsa_kernel _ZN7rocprim17ROCPRIM_400000_NS6detail17trampoline_kernelINS0_14default_configENS1_27scan_by_key_config_selectorIj11FixedVectorIiLj1EEEEZZNS1_16scan_by_key_implILNS1_25lookback_scan_determinismE0ELb1ES3_N6thrust23THRUST_200600_302600_NS6detail15normal_iteratorINSB_10device_ptrIjEEEENSD_INSE_IS6_EEEESI_S6_NSB_4plusIvEENSB_8equal_toIvEES6_EE10hipError_tPvRmT2_T3_T4_T5_mT6_T7_P12ihipStream_tbENKUlT_T0_E_clISt17integral_constantIbLb0EES13_EEDaSY_SZ_EUlSY_E_NS1_11comp_targetILNS1_3genE9ELNS1_11target_archE1100ELNS1_3gpuE3ELNS1_3repE0EEENS1_30default_config_static_selectorELNS0_4arch9wavefront6targetE0EEEvT1_
		.amdhsa_group_segment_fixed_size 0
		.amdhsa_private_segment_fixed_size 0
		.amdhsa_kernarg_size 112
		.amdhsa_user_sgpr_count 2
		.amdhsa_user_sgpr_dispatch_ptr 0
		.amdhsa_user_sgpr_queue_ptr 0
		.amdhsa_user_sgpr_kernarg_segment_ptr 1
		.amdhsa_user_sgpr_dispatch_id 0
		.amdhsa_user_sgpr_kernarg_preload_length 0
		.amdhsa_user_sgpr_kernarg_preload_offset 0
		.amdhsa_user_sgpr_private_segment_size 0
		.amdhsa_wavefront_size32 1
		.amdhsa_uses_dynamic_stack 0
		.amdhsa_enable_private_segment 0
		.amdhsa_system_sgpr_workgroup_id_x 1
		.amdhsa_system_sgpr_workgroup_id_y 0
		.amdhsa_system_sgpr_workgroup_id_z 0
		.amdhsa_system_sgpr_workgroup_info 0
		.amdhsa_system_vgpr_workitem_id 0
		.amdhsa_next_free_vgpr 1
		.amdhsa_next_free_sgpr 1
		.amdhsa_named_barrier_count 0
		.amdhsa_reserve_vcc 0
		.amdhsa_float_round_mode_32 0
		.amdhsa_float_round_mode_16_64 0
		.amdhsa_float_denorm_mode_32 3
		.amdhsa_float_denorm_mode_16_64 3
		.amdhsa_fp16_overflow 0
		.amdhsa_memory_ordered 1
		.amdhsa_forward_progress 1
		.amdhsa_inst_pref_size 0
		.amdhsa_round_robin_scheduling 0
		.amdhsa_exception_fp_ieee_invalid_op 0
		.amdhsa_exception_fp_denorm_src 0
		.amdhsa_exception_fp_ieee_div_zero 0
		.amdhsa_exception_fp_ieee_overflow 0
		.amdhsa_exception_fp_ieee_underflow 0
		.amdhsa_exception_fp_ieee_inexact 0
		.amdhsa_exception_int_div_zero 0
	.end_amdhsa_kernel
	.section	.text._ZN7rocprim17ROCPRIM_400000_NS6detail17trampoline_kernelINS0_14default_configENS1_27scan_by_key_config_selectorIj11FixedVectorIiLj1EEEEZZNS1_16scan_by_key_implILNS1_25lookback_scan_determinismE0ELb1ES3_N6thrust23THRUST_200600_302600_NS6detail15normal_iteratorINSB_10device_ptrIjEEEENSD_INSE_IS6_EEEESI_S6_NSB_4plusIvEENSB_8equal_toIvEES6_EE10hipError_tPvRmT2_T3_T4_T5_mT6_T7_P12ihipStream_tbENKUlT_T0_E_clISt17integral_constantIbLb0EES13_EEDaSY_SZ_EUlSY_E_NS1_11comp_targetILNS1_3genE9ELNS1_11target_archE1100ELNS1_3gpuE3ELNS1_3repE0EEENS1_30default_config_static_selectorELNS0_4arch9wavefront6targetE0EEEvT1_,"axG",@progbits,_ZN7rocprim17ROCPRIM_400000_NS6detail17trampoline_kernelINS0_14default_configENS1_27scan_by_key_config_selectorIj11FixedVectorIiLj1EEEEZZNS1_16scan_by_key_implILNS1_25lookback_scan_determinismE0ELb1ES3_N6thrust23THRUST_200600_302600_NS6detail15normal_iteratorINSB_10device_ptrIjEEEENSD_INSE_IS6_EEEESI_S6_NSB_4plusIvEENSB_8equal_toIvEES6_EE10hipError_tPvRmT2_T3_T4_T5_mT6_T7_P12ihipStream_tbENKUlT_T0_E_clISt17integral_constantIbLb0EES13_EEDaSY_SZ_EUlSY_E_NS1_11comp_targetILNS1_3genE9ELNS1_11target_archE1100ELNS1_3gpuE3ELNS1_3repE0EEENS1_30default_config_static_selectorELNS0_4arch9wavefront6targetE0EEEvT1_,comdat
.Lfunc_end1918:
	.size	_ZN7rocprim17ROCPRIM_400000_NS6detail17trampoline_kernelINS0_14default_configENS1_27scan_by_key_config_selectorIj11FixedVectorIiLj1EEEEZZNS1_16scan_by_key_implILNS1_25lookback_scan_determinismE0ELb1ES3_N6thrust23THRUST_200600_302600_NS6detail15normal_iteratorINSB_10device_ptrIjEEEENSD_INSE_IS6_EEEESI_S6_NSB_4plusIvEENSB_8equal_toIvEES6_EE10hipError_tPvRmT2_T3_T4_T5_mT6_T7_P12ihipStream_tbENKUlT_T0_E_clISt17integral_constantIbLb0EES13_EEDaSY_SZ_EUlSY_E_NS1_11comp_targetILNS1_3genE9ELNS1_11target_archE1100ELNS1_3gpuE3ELNS1_3repE0EEENS1_30default_config_static_selectorELNS0_4arch9wavefront6targetE0EEEvT1_, .Lfunc_end1918-_ZN7rocprim17ROCPRIM_400000_NS6detail17trampoline_kernelINS0_14default_configENS1_27scan_by_key_config_selectorIj11FixedVectorIiLj1EEEEZZNS1_16scan_by_key_implILNS1_25lookback_scan_determinismE0ELb1ES3_N6thrust23THRUST_200600_302600_NS6detail15normal_iteratorINSB_10device_ptrIjEEEENSD_INSE_IS6_EEEESI_S6_NSB_4plusIvEENSB_8equal_toIvEES6_EE10hipError_tPvRmT2_T3_T4_T5_mT6_T7_P12ihipStream_tbENKUlT_T0_E_clISt17integral_constantIbLb0EES13_EEDaSY_SZ_EUlSY_E_NS1_11comp_targetILNS1_3genE9ELNS1_11target_archE1100ELNS1_3gpuE3ELNS1_3repE0EEENS1_30default_config_static_selectorELNS0_4arch9wavefront6targetE0EEEvT1_
                                        ; -- End function
	.set _ZN7rocprim17ROCPRIM_400000_NS6detail17trampoline_kernelINS0_14default_configENS1_27scan_by_key_config_selectorIj11FixedVectorIiLj1EEEEZZNS1_16scan_by_key_implILNS1_25lookback_scan_determinismE0ELb1ES3_N6thrust23THRUST_200600_302600_NS6detail15normal_iteratorINSB_10device_ptrIjEEEENSD_INSE_IS6_EEEESI_S6_NSB_4plusIvEENSB_8equal_toIvEES6_EE10hipError_tPvRmT2_T3_T4_T5_mT6_T7_P12ihipStream_tbENKUlT_T0_E_clISt17integral_constantIbLb0EES13_EEDaSY_SZ_EUlSY_E_NS1_11comp_targetILNS1_3genE9ELNS1_11target_archE1100ELNS1_3gpuE3ELNS1_3repE0EEENS1_30default_config_static_selectorELNS0_4arch9wavefront6targetE0EEEvT1_.num_vgpr, 0
	.set _ZN7rocprim17ROCPRIM_400000_NS6detail17trampoline_kernelINS0_14default_configENS1_27scan_by_key_config_selectorIj11FixedVectorIiLj1EEEEZZNS1_16scan_by_key_implILNS1_25lookback_scan_determinismE0ELb1ES3_N6thrust23THRUST_200600_302600_NS6detail15normal_iteratorINSB_10device_ptrIjEEEENSD_INSE_IS6_EEEESI_S6_NSB_4plusIvEENSB_8equal_toIvEES6_EE10hipError_tPvRmT2_T3_T4_T5_mT6_T7_P12ihipStream_tbENKUlT_T0_E_clISt17integral_constantIbLb0EES13_EEDaSY_SZ_EUlSY_E_NS1_11comp_targetILNS1_3genE9ELNS1_11target_archE1100ELNS1_3gpuE3ELNS1_3repE0EEENS1_30default_config_static_selectorELNS0_4arch9wavefront6targetE0EEEvT1_.num_agpr, 0
	.set _ZN7rocprim17ROCPRIM_400000_NS6detail17trampoline_kernelINS0_14default_configENS1_27scan_by_key_config_selectorIj11FixedVectorIiLj1EEEEZZNS1_16scan_by_key_implILNS1_25lookback_scan_determinismE0ELb1ES3_N6thrust23THRUST_200600_302600_NS6detail15normal_iteratorINSB_10device_ptrIjEEEENSD_INSE_IS6_EEEESI_S6_NSB_4plusIvEENSB_8equal_toIvEES6_EE10hipError_tPvRmT2_T3_T4_T5_mT6_T7_P12ihipStream_tbENKUlT_T0_E_clISt17integral_constantIbLb0EES13_EEDaSY_SZ_EUlSY_E_NS1_11comp_targetILNS1_3genE9ELNS1_11target_archE1100ELNS1_3gpuE3ELNS1_3repE0EEENS1_30default_config_static_selectorELNS0_4arch9wavefront6targetE0EEEvT1_.numbered_sgpr, 0
	.set _ZN7rocprim17ROCPRIM_400000_NS6detail17trampoline_kernelINS0_14default_configENS1_27scan_by_key_config_selectorIj11FixedVectorIiLj1EEEEZZNS1_16scan_by_key_implILNS1_25lookback_scan_determinismE0ELb1ES3_N6thrust23THRUST_200600_302600_NS6detail15normal_iteratorINSB_10device_ptrIjEEEENSD_INSE_IS6_EEEESI_S6_NSB_4plusIvEENSB_8equal_toIvEES6_EE10hipError_tPvRmT2_T3_T4_T5_mT6_T7_P12ihipStream_tbENKUlT_T0_E_clISt17integral_constantIbLb0EES13_EEDaSY_SZ_EUlSY_E_NS1_11comp_targetILNS1_3genE9ELNS1_11target_archE1100ELNS1_3gpuE3ELNS1_3repE0EEENS1_30default_config_static_selectorELNS0_4arch9wavefront6targetE0EEEvT1_.num_named_barrier, 0
	.set _ZN7rocprim17ROCPRIM_400000_NS6detail17trampoline_kernelINS0_14default_configENS1_27scan_by_key_config_selectorIj11FixedVectorIiLj1EEEEZZNS1_16scan_by_key_implILNS1_25lookback_scan_determinismE0ELb1ES3_N6thrust23THRUST_200600_302600_NS6detail15normal_iteratorINSB_10device_ptrIjEEEENSD_INSE_IS6_EEEESI_S6_NSB_4plusIvEENSB_8equal_toIvEES6_EE10hipError_tPvRmT2_T3_T4_T5_mT6_T7_P12ihipStream_tbENKUlT_T0_E_clISt17integral_constantIbLb0EES13_EEDaSY_SZ_EUlSY_E_NS1_11comp_targetILNS1_3genE9ELNS1_11target_archE1100ELNS1_3gpuE3ELNS1_3repE0EEENS1_30default_config_static_selectorELNS0_4arch9wavefront6targetE0EEEvT1_.private_seg_size, 0
	.set _ZN7rocprim17ROCPRIM_400000_NS6detail17trampoline_kernelINS0_14default_configENS1_27scan_by_key_config_selectorIj11FixedVectorIiLj1EEEEZZNS1_16scan_by_key_implILNS1_25lookback_scan_determinismE0ELb1ES3_N6thrust23THRUST_200600_302600_NS6detail15normal_iteratorINSB_10device_ptrIjEEEENSD_INSE_IS6_EEEESI_S6_NSB_4plusIvEENSB_8equal_toIvEES6_EE10hipError_tPvRmT2_T3_T4_T5_mT6_T7_P12ihipStream_tbENKUlT_T0_E_clISt17integral_constantIbLb0EES13_EEDaSY_SZ_EUlSY_E_NS1_11comp_targetILNS1_3genE9ELNS1_11target_archE1100ELNS1_3gpuE3ELNS1_3repE0EEENS1_30default_config_static_selectorELNS0_4arch9wavefront6targetE0EEEvT1_.uses_vcc, 0
	.set _ZN7rocprim17ROCPRIM_400000_NS6detail17trampoline_kernelINS0_14default_configENS1_27scan_by_key_config_selectorIj11FixedVectorIiLj1EEEEZZNS1_16scan_by_key_implILNS1_25lookback_scan_determinismE0ELb1ES3_N6thrust23THRUST_200600_302600_NS6detail15normal_iteratorINSB_10device_ptrIjEEEENSD_INSE_IS6_EEEESI_S6_NSB_4plusIvEENSB_8equal_toIvEES6_EE10hipError_tPvRmT2_T3_T4_T5_mT6_T7_P12ihipStream_tbENKUlT_T0_E_clISt17integral_constantIbLb0EES13_EEDaSY_SZ_EUlSY_E_NS1_11comp_targetILNS1_3genE9ELNS1_11target_archE1100ELNS1_3gpuE3ELNS1_3repE0EEENS1_30default_config_static_selectorELNS0_4arch9wavefront6targetE0EEEvT1_.uses_flat_scratch, 0
	.set _ZN7rocprim17ROCPRIM_400000_NS6detail17trampoline_kernelINS0_14default_configENS1_27scan_by_key_config_selectorIj11FixedVectorIiLj1EEEEZZNS1_16scan_by_key_implILNS1_25lookback_scan_determinismE0ELb1ES3_N6thrust23THRUST_200600_302600_NS6detail15normal_iteratorINSB_10device_ptrIjEEEENSD_INSE_IS6_EEEESI_S6_NSB_4plusIvEENSB_8equal_toIvEES6_EE10hipError_tPvRmT2_T3_T4_T5_mT6_T7_P12ihipStream_tbENKUlT_T0_E_clISt17integral_constantIbLb0EES13_EEDaSY_SZ_EUlSY_E_NS1_11comp_targetILNS1_3genE9ELNS1_11target_archE1100ELNS1_3gpuE3ELNS1_3repE0EEENS1_30default_config_static_selectorELNS0_4arch9wavefront6targetE0EEEvT1_.has_dyn_sized_stack, 0
	.set _ZN7rocprim17ROCPRIM_400000_NS6detail17trampoline_kernelINS0_14default_configENS1_27scan_by_key_config_selectorIj11FixedVectorIiLj1EEEEZZNS1_16scan_by_key_implILNS1_25lookback_scan_determinismE0ELb1ES3_N6thrust23THRUST_200600_302600_NS6detail15normal_iteratorINSB_10device_ptrIjEEEENSD_INSE_IS6_EEEESI_S6_NSB_4plusIvEENSB_8equal_toIvEES6_EE10hipError_tPvRmT2_T3_T4_T5_mT6_T7_P12ihipStream_tbENKUlT_T0_E_clISt17integral_constantIbLb0EES13_EEDaSY_SZ_EUlSY_E_NS1_11comp_targetILNS1_3genE9ELNS1_11target_archE1100ELNS1_3gpuE3ELNS1_3repE0EEENS1_30default_config_static_selectorELNS0_4arch9wavefront6targetE0EEEvT1_.has_recursion, 0
	.set _ZN7rocprim17ROCPRIM_400000_NS6detail17trampoline_kernelINS0_14default_configENS1_27scan_by_key_config_selectorIj11FixedVectorIiLj1EEEEZZNS1_16scan_by_key_implILNS1_25lookback_scan_determinismE0ELb1ES3_N6thrust23THRUST_200600_302600_NS6detail15normal_iteratorINSB_10device_ptrIjEEEENSD_INSE_IS6_EEEESI_S6_NSB_4plusIvEENSB_8equal_toIvEES6_EE10hipError_tPvRmT2_T3_T4_T5_mT6_T7_P12ihipStream_tbENKUlT_T0_E_clISt17integral_constantIbLb0EES13_EEDaSY_SZ_EUlSY_E_NS1_11comp_targetILNS1_3genE9ELNS1_11target_archE1100ELNS1_3gpuE3ELNS1_3repE0EEENS1_30default_config_static_selectorELNS0_4arch9wavefront6targetE0EEEvT1_.has_indirect_call, 0
	.section	.AMDGPU.csdata,"",@progbits
; Kernel info:
; codeLenInByte = 0
; TotalNumSgprs: 0
; NumVgprs: 0
; ScratchSize: 0
; MemoryBound: 0
; FloatMode: 240
; IeeeMode: 1
; LDSByteSize: 0 bytes/workgroup (compile time only)
; SGPRBlocks: 0
; VGPRBlocks: 0
; NumSGPRsForWavesPerEU: 1
; NumVGPRsForWavesPerEU: 1
; NamedBarCnt: 0
; Occupancy: 16
; WaveLimiterHint : 0
; COMPUTE_PGM_RSRC2:SCRATCH_EN: 0
; COMPUTE_PGM_RSRC2:USER_SGPR: 2
; COMPUTE_PGM_RSRC2:TRAP_HANDLER: 0
; COMPUTE_PGM_RSRC2:TGID_X_EN: 1
; COMPUTE_PGM_RSRC2:TGID_Y_EN: 0
; COMPUTE_PGM_RSRC2:TGID_Z_EN: 0
; COMPUTE_PGM_RSRC2:TIDIG_COMP_CNT: 0
	.section	.text._ZN7rocprim17ROCPRIM_400000_NS6detail17trampoline_kernelINS0_14default_configENS1_27scan_by_key_config_selectorIj11FixedVectorIiLj1EEEEZZNS1_16scan_by_key_implILNS1_25lookback_scan_determinismE0ELb1ES3_N6thrust23THRUST_200600_302600_NS6detail15normal_iteratorINSB_10device_ptrIjEEEENSD_INSE_IS6_EEEESI_S6_NSB_4plusIvEENSB_8equal_toIvEES6_EE10hipError_tPvRmT2_T3_T4_T5_mT6_T7_P12ihipStream_tbENKUlT_T0_E_clISt17integral_constantIbLb0EES13_EEDaSY_SZ_EUlSY_E_NS1_11comp_targetILNS1_3genE8ELNS1_11target_archE1030ELNS1_3gpuE2ELNS1_3repE0EEENS1_30default_config_static_selectorELNS0_4arch9wavefront6targetE0EEEvT1_,"axG",@progbits,_ZN7rocprim17ROCPRIM_400000_NS6detail17trampoline_kernelINS0_14default_configENS1_27scan_by_key_config_selectorIj11FixedVectorIiLj1EEEEZZNS1_16scan_by_key_implILNS1_25lookback_scan_determinismE0ELb1ES3_N6thrust23THRUST_200600_302600_NS6detail15normal_iteratorINSB_10device_ptrIjEEEENSD_INSE_IS6_EEEESI_S6_NSB_4plusIvEENSB_8equal_toIvEES6_EE10hipError_tPvRmT2_T3_T4_T5_mT6_T7_P12ihipStream_tbENKUlT_T0_E_clISt17integral_constantIbLb0EES13_EEDaSY_SZ_EUlSY_E_NS1_11comp_targetILNS1_3genE8ELNS1_11target_archE1030ELNS1_3gpuE2ELNS1_3repE0EEENS1_30default_config_static_selectorELNS0_4arch9wavefront6targetE0EEEvT1_,comdat
	.protected	_ZN7rocprim17ROCPRIM_400000_NS6detail17trampoline_kernelINS0_14default_configENS1_27scan_by_key_config_selectorIj11FixedVectorIiLj1EEEEZZNS1_16scan_by_key_implILNS1_25lookback_scan_determinismE0ELb1ES3_N6thrust23THRUST_200600_302600_NS6detail15normal_iteratorINSB_10device_ptrIjEEEENSD_INSE_IS6_EEEESI_S6_NSB_4plusIvEENSB_8equal_toIvEES6_EE10hipError_tPvRmT2_T3_T4_T5_mT6_T7_P12ihipStream_tbENKUlT_T0_E_clISt17integral_constantIbLb0EES13_EEDaSY_SZ_EUlSY_E_NS1_11comp_targetILNS1_3genE8ELNS1_11target_archE1030ELNS1_3gpuE2ELNS1_3repE0EEENS1_30default_config_static_selectorELNS0_4arch9wavefront6targetE0EEEvT1_ ; -- Begin function _ZN7rocprim17ROCPRIM_400000_NS6detail17trampoline_kernelINS0_14default_configENS1_27scan_by_key_config_selectorIj11FixedVectorIiLj1EEEEZZNS1_16scan_by_key_implILNS1_25lookback_scan_determinismE0ELb1ES3_N6thrust23THRUST_200600_302600_NS6detail15normal_iteratorINSB_10device_ptrIjEEEENSD_INSE_IS6_EEEESI_S6_NSB_4plusIvEENSB_8equal_toIvEES6_EE10hipError_tPvRmT2_T3_T4_T5_mT6_T7_P12ihipStream_tbENKUlT_T0_E_clISt17integral_constantIbLb0EES13_EEDaSY_SZ_EUlSY_E_NS1_11comp_targetILNS1_3genE8ELNS1_11target_archE1030ELNS1_3gpuE2ELNS1_3repE0EEENS1_30default_config_static_selectorELNS0_4arch9wavefront6targetE0EEEvT1_
	.globl	_ZN7rocprim17ROCPRIM_400000_NS6detail17trampoline_kernelINS0_14default_configENS1_27scan_by_key_config_selectorIj11FixedVectorIiLj1EEEEZZNS1_16scan_by_key_implILNS1_25lookback_scan_determinismE0ELb1ES3_N6thrust23THRUST_200600_302600_NS6detail15normal_iteratorINSB_10device_ptrIjEEEENSD_INSE_IS6_EEEESI_S6_NSB_4plusIvEENSB_8equal_toIvEES6_EE10hipError_tPvRmT2_T3_T4_T5_mT6_T7_P12ihipStream_tbENKUlT_T0_E_clISt17integral_constantIbLb0EES13_EEDaSY_SZ_EUlSY_E_NS1_11comp_targetILNS1_3genE8ELNS1_11target_archE1030ELNS1_3gpuE2ELNS1_3repE0EEENS1_30default_config_static_selectorELNS0_4arch9wavefront6targetE0EEEvT1_
	.p2align	8
	.type	_ZN7rocprim17ROCPRIM_400000_NS6detail17trampoline_kernelINS0_14default_configENS1_27scan_by_key_config_selectorIj11FixedVectorIiLj1EEEEZZNS1_16scan_by_key_implILNS1_25lookback_scan_determinismE0ELb1ES3_N6thrust23THRUST_200600_302600_NS6detail15normal_iteratorINSB_10device_ptrIjEEEENSD_INSE_IS6_EEEESI_S6_NSB_4plusIvEENSB_8equal_toIvEES6_EE10hipError_tPvRmT2_T3_T4_T5_mT6_T7_P12ihipStream_tbENKUlT_T0_E_clISt17integral_constantIbLb0EES13_EEDaSY_SZ_EUlSY_E_NS1_11comp_targetILNS1_3genE8ELNS1_11target_archE1030ELNS1_3gpuE2ELNS1_3repE0EEENS1_30default_config_static_selectorELNS0_4arch9wavefront6targetE0EEEvT1_,@function
_ZN7rocprim17ROCPRIM_400000_NS6detail17trampoline_kernelINS0_14default_configENS1_27scan_by_key_config_selectorIj11FixedVectorIiLj1EEEEZZNS1_16scan_by_key_implILNS1_25lookback_scan_determinismE0ELb1ES3_N6thrust23THRUST_200600_302600_NS6detail15normal_iteratorINSB_10device_ptrIjEEEENSD_INSE_IS6_EEEESI_S6_NSB_4plusIvEENSB_8equal_toIvEES6_EE10hipError_tPvRmT2_T3_T4_T5_mT6_T7_P12ihipStream_tbENKUlT_T0_E_clISt17integral_constantIbLb0EES13_EEDaSY_SZ_EUlSY_E_NS1_11comp_targetILNS1_3genE8ELNS1_11target_archE1030ELNS1_3gpuE2ELNS1_3repE0EEENS1_30default_config_static_selectorELNS0_4arch9wavefront6targetE0EEEvT1_: ; @_ZN7rocprim17ROCPRIM_400000_NS6detail17trampoline_kernelINS0_14default_configENS1_27scan_by_key_config_selectorIj11FixedVectorIiLj1EEEEZZNS1_16scan_by_key_implILNS1_25lookback_scan_determinismE0ELb1ES3_N6thrust23THRUST_200600_302600_NS6detail15normal_iteratorINSB_10device_ptrIjEEEENSD_INSE_IS6_EEEESI_S6_NSB_4plusIvEENSB_8equal_toIvEES6_EE10hipError_tPvRmT2_T3_T4_T5_mT6_T7_P12ihipStream_tbENKUlT_T0_E_clISt17integral_constantIbLb0EES13_EEDaSY_SZ_EUlSY_E_NS1_11comp_targetILNS1_3genE8ELNS1_11target_archE1030ELNS1_3gpuE2ELNS1_3repE0EEENS1_30default_config_static_selectorELNS0_4arch9wavefront6targetE0EEEvT1_
; %bb.0:
	.section	.rodata,"a",@progbits
	.p2align	6, 0x0
	.amdhsa_kernel _ZN7rocprim17ROCPRIM_400000_NS6detail17trampoline_kernelINS0_14default_configENS1_27scan_by_key_config_selectorIj11FixedVectorIiLj1EEEEZZNS1_16scan_by_key_implILNS1_25lookback_scan_determinismE0ELb1ES3_N6thrust23THRUST_200600_302600_NS6detail15normal_iteratorINSB_10device_ptrIjEEEENSD_INSE_IS6_EEEESI_S6_NSB_4plusIvEENSB_8equal_toIvEES6_EE10hipError_tPvRmT2_T3_T4_T5_mT6_T7_P12ihipStream_tbENKUlT_T0_E_clISt17integral_constantIbLb0EES13_EEDaSY_SZ_EUlSY_E_NS1_11comp_targetILNS1_3genE8ELNS1_11target_archE1030ELNS1_3gpuE2ELNS1_3repE0EEENS1_30default_config_static_selectorELNS0_4arch9wavefront6targetE0EEEvT1_
		.amdhsa_group_segment_fixed_size 0
		.amdhsa_private_segment_fixed_size 0
		.amdhsa_kernarg_size 112
		.amdhsa_user_sgpr_count 2
		.amdhsa_user_sgpr_dispatch_ptr 0
		.amdhsa_user_sgpr_queue_ptr 0
		.amdhsa_user_sgpr_kernarg_segment_ptr 1
		.amdhsa_user_sgpr_dispatch_id 0
		.amdhsa_user_sgpr_kernarg_preload_length 0
		.amdhsa_user_sgpr_kernarg_preload_offset 0
		.amdhsa_user_sgpr_private_segment_size 0
		.amdhsa_wavefront_size32 1
		.amdhsa_uses_dynamic_stack 0
		.amdhsa_enable_private_segment 0
		.amdhsa_system_sgpr_workgroup_id_x 1
		.amdhsa_system_sgpr_workgroup_id_y 0
		.amdhsa_system_sgpr_workgroup_id_z 0
		.amdhsa_system_sgpr_workgroup_info 0
		.amdhsa_system_vgpr_workitem_id 0
		.amdhsa_next_free_vgpr 1
		.amdhsa_next_free_sgpr 1
		.amdhsa_named_barrier_count 0
		.amdhsa_reserve_vcc 0
		.amdhsa_float_round_mode_32 0
		.amdhsa_float_round_mode_16_64 0
		.amdhsa_float_denorm_mode_32 3
		.amdhsa_float_denorm_mode_16_64 3
		.amdhsa_fp16_overflow 0
		.amdhsa_memory_ordered 1
		.amdhsa_forward_progress 1
		.amdhsa_inst_pref_size 0
		.amdhsa_round_robin_scheduling 0
		.amdhsa_exception_fp_ieee_invalid_op 0
		.amdhsa_exception_fp_denorm_src 0
		.amdhsa_exception_fp_ieee_div_zero 0
		.amdhsa_exception_fp_ieee_overflow 0
		.amdhsa_exception_fp_ieee_underflow 0
		.amdhsa_exception_fp_ieee_inexact 0
		.amdhsa_exception_int_div_zero 0
	.end_amdhsa_kernel
	.section	.text._ZN7rocprim17ROCPRIM_400000_NS6detail17trampoline_kernelINS0_14default_configENS1_27scan_by_key_config_selectorIj11FixedVectorIiLj1EEEEZZNS1_16scan_by_key_implILNS1_25lookback_scan_determinismE0ELb1ES3_N6thrust23THRUST_200600_302600_NS6detail15normal_iteratorINSB_10device_ptrIjEEEENSD_INSE_IS6_EEEESI_S6_NSB_4plusIvEENSB_8equal_toIvEES6_EE10hipError_tPvRmT2_T3_T4_T5_mT6_T7_P12ihipStream_tbENKUlT_T0_E_clISt17integral_constantIbLb0EES13_EEDaSY_SZ_EUlSY_E_NS1_11comp_targetILNS1_3genE8ELNS1_11target_archE1030ELNS1_3gpuE2ELNS1_3repE0EEENS1_30default_config_static_selectorELNS0_4arch9wavefront6targetE0EEEvT1_,"axG",@progbits,_ZN7rocprim17ROCPRIM_400000_NS6detail17trampoline_kernelINS0_14default_configENS1_27scan_by_key_config_selectorIj11FixedVectorIiLj1EEEEZZNS1_16scan_by_key_implILNS1_25lookback_scan_determinismE0ELb1ES3_N6thrust23THRUST_200600_302600_NS6detail15normal_iteratorINSB_10device_ptrIjEEEENSD_INSE_IS6_EEEESI_S6_NSB_4plusIvEENSB_8equal_toIvEES6_EE10hipError_tPvRmT2_T3_T4_T5_mT6_T7_P12ihipStream_tbENKUlT_T0_E_clISt17integral_constantIbLb0EES13_EEDaSY_SZ_EUlSY_E_NS1_11comp_targetILNS1_3genE8ELNS1_11target_archE1030ELNS1_3gpuE2ELNS1_3repE0EEENS1_30default_config_static_selectorELNS0_4arch9wavefront6targetE0EEEvT1_,comdat
.Lfunc_end1919:
	.size	_ZN7rocprim17ROCPRIM_400000_NS6detail17trampoline_kernelINS0_14default_configENS1_27scan_by_key_config_selectorIj11FixedVectorIiLj1EEEEZZNS1_16scan_by_key_implILNS1_25lookback_scan_determinismE0ELb1ES3_N6thrust23THRUST_200600_302600_NS6detail15normal_iteratorINSB_10device_ptrIjEEEENSD_INSE_IS6_EEEESI_S6_NSB_4plusIvEENSB_8equal_toIvEES6_EE10hipError_tPvRmT2_T3_T4_T5_mT6_T7_P12ihipStream_tbENKUlT_T0_E_clISt17integral_constantIbLb0EES13_EEDaSY_SZ_EUlSY_E_NS1_11comp_targetILNS1_3genE8ELNS1_11target_archE1030ELNS1_3gpuE2ELNS1_3repE0EEENS1_30default_config_static_selectorELNS0_4arch9wavefront6targetE0EEEvT1_, .Lfunc_end1919-_ZN7rocprim17ROCPRIM_400000_NS6detail17trampoline_kernelINS0_14default_configENS1_27scan_by_key_config_selectorIj11FixedVectorIiLj1EEEEZZNS1_16scan_by_key_implILNS1_25lookback_scan_determinismE0ELb1ES3_N6thrust23THRUST_200600_302600_NS6detail15normal_iteratorINSB_10device_ptrIjEEEENSD_INSE_IS6_EEEESI_S6_NSB_4plusIvEENSB_8equal_toIvEES6_EE10hipError_tPvRmT2_T3_T4_T5_mT6_T7_P12ihipStream_tbENKUlT_T0_E_clISt17integral_constantIbLb0EES13_EEDaSY_SZ_EUlSY_E_NS1_11comp_targetILNS1_3genE8ELNS1_11target_archE1030ELNS1_3gpuE2ELNS1_3repE0EEENS1_30default_config_static_selectorELNS0_4arch9wavefront6targetE0EEEvT1_
                                        ; -- End function
	.set _ZN7rocprim17ROCPRIM_400000_NS6detail17trampoline_kernelINS0_14default_configENS1_27scan_by_key_config_selectorIj11FixedVectorIiLj1EEEEZZNS1_16scan_by_key_implILNS1_25lookback_scan_determinismE0ELb1ES3_N6thrust23THRUST_200600_302600_NS6detail15normal_iteratorINSB_10device_ptrIjEEEENSD_INSE_IS6_EEEESI_S6_NSB_4plusIvEENSB_8equal_toIvEES6_EE10hipError_tPvRmT2_T3_T4_T5_mT6_T7_P12ihipStream_tbENKUlT_T0_E_clISt17integral_constantIbLb0EES13_EEDaSY_SZ_EUlSY_E_NS1_11comp_targetILNS1_3genE8ELNS1_11target_archE1030ELNS1_3gpuE2ELNS1_3repE0EEENS1_30default_config_static_selectorELNS0_4arch9wavefront6targetE0EEEvT1_.num_vgpr, 0
	.set _ZN7rocprim17ROCPRIM_400000_NS6detail17trampoline_kernelINS0_14default_configENS1_27scan_by_key_config_selectorIj11FixedVectorIiLj1EEEEZZNS1_16scan_by_key_implILNS1_25lookback_scan_determinismE0ELb1ES3_N6thrust23THRUST_200600_302600_NS6detail15normal_iteratorINSB_10device_ptrIjEEEENSD_INSE_IS6_EEEESI_S6_NSB_4plusIvEENSB_8equal_toIvEES6_EE10hipError_tPvRmT2_T3_T4_T5_mT6_T7_P12ihipStream_tbENKUlT_T0_E_clISt17integral_constantIbLb0EES13_EEDaSY_SZ_EUlSY_E_NS1_11comp_targetILNS1_3genE8ELNS1_11target_archE1030ELNS1_3gpuE2ELNS1_3repE0EEENS1_30default_config_static_selectorELNS0_4arch9wavefront6targetE0EEEvT1_.num_agpr, 0
	.set _ZN7rocprim17ROCPRIM_400000_NS6detail17trampoline_kernelINS0_14default_configENS1_27scan_by_key_config_selectorIj11FixedVectorIiLj1EEEEZZNS1_16scan_by_key_implILNS1_25lookback_scan_determinismE0ELb1ES3_N6thrust23THRUST_200600_302600_NS6detail15normal_iteratorINSB_10device_ptrIjEEEENSD_INSE_IS6_EEEESI_S6_NSB_4plusIvEENSB_8equal_toIvEES6_EE10hipError_tPvRmT2_T3_T4_T5_mT6_T7_P12ihipStream_tbENKUlT_T0_E_clISt17integral_constantIbLb0EES13_EEDaSY_SZ_EUlSY_E_NS1_11comp_targetILNS1_3genE8ELNS1_11target_archE1030ELNS1_3gpuE2ELNS1_3repE0EEENS1_30default_config_static_selectorELNS0_4arch9wavefront6targetE0EEEvT1_.numbered_sgpr, 0
	.set _ZN7rocprim17ROCPRIM_400000_NS6detail17trampoline_kernelINS0_14default_configENS1_27scan_by_key_config_selectorIj11FixedVectorIiLj1EEEEZZNS1_16scan_by_key_implILNS1_25lookback_scan_determinismE0ELb1ES3_N6thrust23THRUST_200600_302600_NS6detail15normal_iteratorINSB_10device_ptrIjEEEENSD_INSE_IS6_EEEESI_S6_NSB_4plusIvEENSB_8equal_toIvEES6_EE10hipError_tPvRmT2_T3_T4_T5_mT6_T7_P12ihipStream_tbENKUlT_T0_E_clISt17integral_constantIbLb0EES13_EEDaSY_SZ_EUlSY_E_NS1_11comp_targetILNS1_3genE8ELNS1_11target_archE1030ELNS1_3gpuE2ELNS1_3repE0EEENS1_30default_config_static_selectorELNS0_4arch9wavefront6targetE0EEEvT1_.num_named_barrier, 0
	.set _ZN7rocprim17ROCPRIM_400000_NS6detail17trampoline_kernelINS0_14default_configENS1_27scan_by_key_config_selectorIj11FixedVectorIiLj1EEEEZZNS1_16scan_by_key_implILNS1_25lookback_scan_determinismE0ELb1ES3_N6thrust23THRUST_200600_302600_NS6detail15normal_iteratorINSB_10device_ptrIjEEEENSD_INSE_IS6_EEEESI_S6_NSB_4plusIvEENSB_8equal_toIvEES6_EE10hipError_tPvRmT2_T3_T4_T5_mT6_T7_P12ihipStream_tbENKUlT_T0_E_clISt17integral_constantIbLb0EES13_EEDaSY_SZ_EUlSY_E_NS1_11comp_targetILNS1_3genE8ELNS1_11target_archE1030ELNS1_3gpuE2ELNS1_3repE0EEENS1_30default_config_static_selectorELNS0_4arch9wavefront6targetE0EEEvT1_.private_seg_size, 0
	.set _ZN7rocprim17ROCPRIM_400000_NS6detail17trampoline_kernelINS0_14default_configENS1_27scan_by_key_config_selectorIj11FixedVectorIiLj1EEEEZZNS1_16scan_by_key_implILNS1_25lookback_scan_determinismE0ELb1ES3_N6thrust23THRUST_200600_302600_NS6detail15normal_iteratorINSB_10device_ptrIjEEEENSD_INSE_IS6_EEEESI_S6_NSB_4plusIvEENSB_8equal_toIvEES6_EE10hipError_tPvRmT2_T3_T4_T5_mT6_T7_P12ihipStream_tbENKUlT_T0_E_clISt17integral_constantIbLb0EES13_EEDaSY_SZ_EUlSY_E_NS1_11comp_targetILNS1_3genE8ELNS1_11target_archE1030ELNS1_3gpuE2ELNS1_3repE0EEENS1_30default_config_static_selectorELNS0_4arch9wavefront6targetE0EEEvT1_.uses_vcc, 0
	.set _ZN7rocprim17ROCPRIM_400000_NS6detail17trampoline_kernelINS0_14default_configENS1_27scan_by_key_config_selectorIj11FixedVectorIiLj1EEEEZZNS1_16scan_by_key_implILNS1_25lookback_scan_determinismE0ELb1ES3_N6thrust23THRUST_200600_302600_NS6detail15normal_iteratorINSB_10device_ptrIjEEEENSD_INSE_IS6_EEEESI_S6_NSB_4plusIvEENSB_8equal_toIvEES6_EE10hipError_tPvRmT2_T3_T4_T5_mT6_T7_P12ihipStream_tbENKUlT_T0_E_clISt17integral_constantIbLb0EES13_EEDaSY_SZ_EUlSY_E_NS1_11comp_targetILNS1_3genE8ELNS1_11target_archE1030ELNS1_3gpuE2ELNS1_3repE0EEENS1_30default_config_static_selectorELNS0_4arch9wavefront6targetE0EEEvT1_.uses_flat_scratch, 0
	.set _ZN7rocprim17ROCPRIM_400000_NS6detail17trampoline_kernelINS0_14default_configENS1_27scan_by_key_config_selectorIj11FixedVectorIiLj1EEEEZZNS1_16scan_by_key_implILNS1_25lookback_scan_determinismE0ELb1ES3_N6thrust23THRUST_200600_302600_NS6detail15normal_iteratorINSB_10device_ptrIjEEEENSD_INSE_IS6_EEEESI_S6_NSB_4plusIvEENSB_8equal_toIvEES6_EE10hipError_tPvRmT2_T3_T4_T5_mT6_T7_P12ihipStream_tbENKUlT_T0_E_clISt17integral_constantIbLb0EES13_EEDaSY_SZ_EUlSY_E_NS1_11comp_targetILNS1_3genE8ELNS1_11target_archE1030ELNS1_3gpuE2ELNS1_3repE0EEENS1_30default_config_static_selectorELNS0_4arch9wavefront6targetE0EEEvT1_.has_dyn_sized_stack, 0
	.set _ZN7rocprim17ROCPRIM_400000_NS6detail17trampoline_kernelINS0_14default_configENS1_27scan_by_key_config_selectorIj11FixedVectorIiLj1EEEEZZNS1_16scan_by_key_implILNS1_25lookback_scan_determinismE0ELb1ES3_N6thrust23THRUST_200600_302600_NS6detail15normal_iteratorINSB_10device_ptrIjEEEENSD_INSE_IS6_EEEESI_S6_NSB_4plusIvEENSB_8equal_toIvEES6_EE10hipError_tPvRmT2_T3_T4_T5_mT6_T7_P12ihipStream_tbENKUlT_T0_E_clISt17integral_constantIbLb0EES13_EEDaSY_SZ_EUlSY_E_NS1_11comp_targetILNS1_3genE8ELNS1_11target_archE1030ELNS1_3gpuE2ELNS1_3repE0EEENS1_30default_config_static_selectorELNS0_4arch9wavefront6targetE0EEEvT1_.has_recursion, 0
	.set _ZN7rocprim17ROCPRIM_400000_NS6detail17trampoline_kernelINS0_14default_configENS1_27scan_by_key_config_selectorIj11FixedVectorIiLj1EEEEZZNS1_16scan_by_key_implILNS1_25lookback_scan_determinismE0ELb1ES3_N6thrust23THRUST_200600_302600_NS6detail15normal_iteratorINSB_10device_ptrIjEEEENSD_INSE_IS6_EEEESI_S6_NSB_4plusIvEENSB_8equal_toIvEES6_EE10hipError_tPvRmT2_T3_T4_T5_mT6_T7_P12ihipStream_tbENKUlT_T0_E_clISt17integral_constantIbLb0EES13_EEDaSY_SZ_EUlSY_E_NS1_11comp_targetILNS1_3genE8ELNS1_11target_archE1030ELNS1_3gpuE2ELNS1_3repE0EEENS1_30default_config_static_selectorELNS0_4arch9wavefront6targetE0EEEvT1_.has_indirect_call, 0
	.section	.AMDGPU.csdata,"",@progbits
; Kernel info:
; codeLenInByte = 0
; TotalNumSgprs: 0
; NumVgprs: 0
; ScratchSize: 0
; MemoryBound: 0
; FloatMode: 240
; IeeeMode: 1
; LDSByteSize: 0 bytes/workgroup (compile time only)
; SGPRBlocks: 0
; VGPRBlocks: 0
; NumSGPRsForWavesPerEU: 1
; NumVGPRsForWavesPerEU: 1
; NamedBarCnt: 0
; Occupancy: 16
; WaveLimiterHint : 0
; COMPUTE_PGM_RSRC2:SCRATCH_EN: 0
; COMPUTE_PGM_RSRC2:USER_SGPR: 2
; COMPUTE_PGM_RSRC2:TRAP_HANDLER: 0
; COMPUTE_PGM_RSRC2:TGID_X_EN: 1
; COMPUTE_PGM_RSRC2:TGID_Y_EN: 0
; COMPUTE_PGM_RSRC2:TGID_Z_EN: 0
; COMPUTE_PGM_RSRC2:TIDIG_COMP_CNT: 0
	.section	.text._ZN7rocprim17ROCPRIM_400000_NS6detail17trampoline_kernelINS0_14default_configENS1_27scan_by_key_config_selectorIj11FixedVectorIiLj1EEEEZZNS1_16scan_by_key_implILNS1_25lookback_scan_determinismE0ELb1ES3_N6thrust23THRUST_200600_302600_NS6detail15normal_iteratorINSB_10device_ptrIjEEEENSD_INSE_IS6_EEEESI_S6_NSB_4plusIvEENSB_8equal_toIvEES6_EE10hipError_tPvRmT2_T3_T4_T5_mT6_T7_P12ihipStream_tbENKUlT_T0_E_clISt17integral_constantIbLb1EES13_EEDaSY_SZ_EUlSY_E_NS1_11comp_targetILNS1_3genE0ELNS1_11target_archE4294967295ELNS1_3gpuE0ELNS1_3repE0EEENS1_30default_config_static_selectorELNS0_4arch9wavefront6targetE0EEEvT1_,"axG",@progbits,_ZN7rocprim17ROCPRIM_400000_NS6detail17trampoline_kernelINS0_14default_configENS1_27scan_by_key_config_selectorIj11FixedVectorIiLj1EEEEZZNS1_16scan_by_key_implILNS1_25lookback_scan_determinismE0ELb1ES3_N6thrust23THRUST_200600_302600_NS6detail15normal_iteratorINSB_10device_ptrIjEEEENSD_INSE_IS6_EEEESI_S6_NSB_4plusIvEENSB_8equal_toIvEES6_EE10hipError_tPvRmT2_T3_T4_T5_mT6_T7_P12ihipStream_tbENKUlT_T0_E_clISt17integral_constantIbLb1EES13_EEDaSY_SZ_EUlSY_E_NS1_11comp_targetILNS1_3genE0ELNS1_11target_archE4294967295ELNS1_3gpuE0ELNS1_3repE0EEENS1_30default_config_static_selectorELNS0_4arch9wavefront6targetE0EEEvT1_,comdat
	.protected	_ZN7rocprim17ROCPRIM_400000_NS6detail17trampoline_kernelINS0_14default_configENS1_27scan_by_key_config_selectorIj11FixedVectorIiLj1EEEEZZNS1_16scan_by_key_implILNS1_25lookback_scan_determinismE0ELb1ES3_N6thrust23THRUST_200600_302600_NS6detail15normal_iteratorINSB_10device_ptrIjEEEENSD_INSE_IS6_EEEESI_S6_NSB_4plusIvEENSB_8equal_toIvEES6_EE10hipError_tPvRmT2_T3_T4_T5_mT6_T7_P12ihipStream_tbENKUlT_T0_E_clISt17integral_constantIbLb1EES13_EEDaSY_SZ_EUlSY_E_NS1_11comp_targetILNS1_3genE0ELNS1_11target_archE4294967295ELNS1_3gpuE0ELNS1_3repE0EEENS1_30default_config_static_selectorELNS0_4arch9wavefront6targetE0EEEvT1_ ; -- Begin function _ZN7rocprim17ROCPRIM_400000_NS6detail17trampoline_kernelINS0_14default_configENS1_27scan_by_key_config_selectorIj11FixedVectorIiLj1EEEEZZNS1_16scan_by_key_implILNS1_25lookback_scan_determinismE0ELb1ES3_N6thrust23THRUST_200600_302600_NS6detail15normal_iteratorINSB_10device_ptrIjEEEENSD_INSE_IS6_EEEESI_S6_NSB_4plusIvEENSB_8equal_toIvEES6_EE10hipError_tPvRmT2_T3_T4_T5_mT6_T7_P12ihipStream_tbENKUlT_T0_E_clISt17integral_constantIbLb1EES13_EEDaSY_SZ_EUlSY_E_NS1_11comp_targetILNS1_3genE0ELNS1_11target_archE4294967295ELNS1_3gpuE0ELNS1_3repE0EEENS1_30default_config_static_selectorELNS0_4arch9wavefront6targetE0EEEvT1_
	.globl	_ZN7rocprim17ROCPRIM_400000_NS6detail17trampoline_kernelINS0_14default_configENS1_27scan_by_key_config_selectorIj11FixedVectorIiLj1EEEEZZNS1_16scan_by_key_implILNS1_25lookback_scan_determinismE0ELb1ES3_N6thrust23THRUST_200600_302600_NS6detail15normal_iteratorINSB_10device_ptrIjEEEENSD_INSE_IS6_EEEESI_S6_NSB_4plusIvEENSB_8equal_toIvEES6_EE10hipError_tPvRmT2_T3_T4_T5_mT6_T7_P12ihipStream_tbENKUlT_T0_E_clISt17integral_constantIbLb1EES13_EEDaSY_SZ_EUlSY_E_NS1_11comp_targetILNS1_3genE0ELNS1_11target_archE4294967295ELNS1_3gpuE0ELNS1_3repE0EEENS1_30default_config_static_selectorELNS0_4arch9wavefront6targetE0EEEvT1_
	.p2align	8
	.type	_ZN7rocprim17ROCPRIM_400000_NS6detail17trampoline_kernelINS0_14default_configENS1_27scan_by_key_config_selectorIj11FixedVectorIiLj1EEEEZZNS1_16scan_by_key_implILNS1_25lookback_scan_determinismE0ELb1ES3_N6thrust23THRUST_200600_302600_NS6detail15normal_iteratorINSB_10device_ptrIjEEEENSD_INSE_IS6_EEEESI_S6_NSB_4plusIvEENSB_8equal_toIvEES6_EE10hipError_tPvRmT2_T3_T4_T5_mT6_T7_P12ihipStream_tbENKUlT_T0_E_clISt17integral_constantIbLb1EES13_EEDaSY_SZ_EUlSY_E_NS1_11comp_targetILNS1_3genE0ELNS1_11target_archE4294967295ELNS1_3gpuE0ELNS1_3repE0EEENS1_30default_config_static_selectorELNS0_4arch9wavefront6targetE0EEEvT1_,@function
_ZN7rocprim17ROCPRIM_400000_NS6detail17trampoline_kernelINS0_14default_configENS1_27scan_by_key_config_selectorIj11FixedVectorIiLj1EEEEZZNS1_16scan_by_key_implILNS1_25lookback_scan_determinismE0ELb1ES3_N6thrust23THRUST_200600_302600_NS6detail15normal_iteratorINSB_10device_ptrIjEEEENSD_INSE_IS6_EEEESI_S6_NSB_4plusIvEENSB_8equal_toIvEES6_EE10hipError_tPvRmT2_T3_T4_T5_mT6_T7_P12ihipStream_tbENKUlT_T0_E_clISt17integral_constantIbLb1EES13_EEDaSY_SZ_EUlSY_E_NS1_11comp_targetILNS1_3genE0ELNS1_11target_archE4294967295ELNS1_3gpuE0ELNS1_3repE0EEENS1_30default_config_static_selectorELNS0_4arch9wavefront6targetE0EEEvT1_: ; @_ZN7rocprim17ROCPRIM_400000_NS6detail17trampoline_kernelINS0_14default_configENS1_27scan_by_key_config_selectorIj11FixedVectorIiLj1EEEEZZNS1_16scan_by_key_implILNS1_25lookback_scan_determinismE0ELb1ES3_N6thrust23THRUST_200600_302600_NS6detail15normal_iteratorINSB_10device_ptrIjEEEENSD_INSE_IS6_EEEESI_S6_NSB_4plusIvEENSB_8equal_toIvEES6_EE10hipError_tPvRmT2_T3_T4_T5_mT6_T7_P12ihipStream_tbENKUlT_T0_E_clISt17integral_constantIbLb1EES13_EEDaSY_SZ_EUlSY_E_NS1_11comp_targetILNS1_3genE0ELNS1_11target_archE4294967295ELNS1_3gpuE0ELNS1_3repE0EEENS1_30default_config_static_selectorELNS0_4arch9wavefront6targetE0EEEvT1_
; %bb.0:
	s_endpgm
	.section	.rodata,"a",@progbits
	.p2align	6, 0x0
	.amdhsa_kernel _ZN7rocprim17ROCPRIM_400000_NS6detail17trampoline_kernelINS0_14default_configENS1_27scan_by_key_config_selectorIj11FixedVectorIiLj1EEEEZZNS1_16scan_by_key_implILNS1_25lookback_scan_determinismE0ELb1ES3_N6thrust23THRUST_200600_302600_NS6detail15normal_iteratorINSB_10device_ptrIjEEEENSD_INSE_IS6_EEEESI_S6_NSB_4plusIvEENSB_8equal_toIvEES6_EE10hipError_tPvRmT2_T3_T4_T5_mT6_T7_P12ihipStream_tbENKUlT_T0_E_clISt17integral_constantIbLb1EES13_EEDaSY_SZ_EUlSY_E_NS1_11comp_targetILNS1_3genE0ELNS1_11target_archE4294967295ELNS1_3gpuE0ELNS1_3repE0EEENS1_30default_config_static_selectorELNS0_4arch9wavefront6targetE0EEEvT1_
		.amdhsa_group_segment_fixed_size 0
		.amdhsa_private_segment_fixed_size 0
		.amdhsa_kernarg_size 112
		.amdhsa_user_sgpr_count 2
		.amdhsa_user_sgpr_dispatch_ptr 0
		.amdhsa_user_sgpr_queue_ptr 0
		.amdhsa_user_sgpr_kernarg_segment_ptr 1
		.amdhsa_user_sgpr_dispatch_id 0
		.amdhsa_user_sgpr_kernarg_preload_length 0
		.amdhsa_user_sgpr_kernarg_preload_offset 0
		.amdhsa_user_sgpr_private_segment_size 0
		.amdhsa_wavefront_size32 1
		.amdhsa_uses_dynamic_stack 0
		.amdhsa_enable_private_segment 0
		.amdhsa_system_sgpr_workgroup_id_x 1
		.amdhsa_system_sgpr_workgroup_id_y 0
		.amdhsa_system_sgpr_workgroup_id_z 0
		.amdhsa_system_sgpr_workgroup_info 0
		.amdhsa_system_vgpr_workitem_id 0
		.amdhsa_next_free_vgpr 1
		.amdhsa_next_free_sgpr 1
		.amdhsa_named_barrier_count 0
		.amdhsa_reserve_vcc 0
		.amdhsa_float_round_mode_32 0
		.amdhsa_float_round_mode_16_64 0
		.amdhsa_float_denorm_mode_32 3
		.amdhsa_float_denorm_mode_16_64 3
		.amdhsa_fp16_overflow 0
		.amdhsa_memory_ordered 1
		.amdhsa_forward_progress 1
		.amdhsa_inst_pref_size 1
		.amdhsa_round_robin_scheduling 0
		.amdhsa_exception_fp_ieee_invalid_op 0
		.amdhsa_exception_fp_denorm_src 0
		.amdhsa_exception_fp_ieee_div_zero 0
		.amdhsa_exception_fp_ieee_overflow 0
		.amdhsa_exception_fp_ieee_underflow 0
		.amdhsa_exception_fp_ieee_inexact 0
		.amdhsa_exception_int_div_zero 0
	.end_amdhsa_kernel
	.section	.text._ZN7rocprim17ROCPRIM_400000_NS6detail17trampoline_kernelINS0_14default_configENS1_27scan_by_key_config_selectorIj11FixedVectorIiLj1EEEEZZNS1_16scan_by_key_implILNS1_25lookback_scan_determinismE0ELb1ES3_N6thrust23THRUST_200600_302600_NS6detail15normal_iteratorINSB_10device_ptrIjEEEENSD_INSE_IS6_EEEESI_S6_NSB_4plusIvEENSB_8equal_toIvEES6_EE10hipError_tPvRmT2_T3_T4_T5_mT6_T7_P12ihipStream_tbENKUlT_T0_E_clISt17integral_constantIbLb1EES13_EEDaSY_SZ_EUlSY_E_NS1_11comp_targetILNS1_3genE0ELNS1_11target_archE4294967295ELNS1_3gpuE0ELNS1_3repE0EEENS1_30default_config_static_selectorELNS0_4arch9wavefront6targetE0EEEvT1_,"axG",@progbits,_ZN7rocprim17ROCPRIM_400000_NS6detail17trampoline_kernelINS0_14default_configENS1_27scan_by_key_config_selectorIj11FixedVectorIiLj1EEEEZZNS1_16scan_by_key_implILNS1_25lookback_scan_determinismE0ELb1ES3_N6thrust23THRUST_200600_302600_NS6detail15normal_iteratorINSB_10device_ptrIjEEEENSD_INSE_IS6_EEEESI_S6_NSB_4plusIvEENSB_8equal_toIvEES6_EE10hipError_tPvRmT2_T3_T4_T5_mT6_T7_P12ihipStream_tbENKUlT_T0_E_clISt17integral_constantIbLb1EES13_EEDaSY_SZ_EUlSY_E_NS1_11comp_targetILNS1_3genE0ELNS1_11target_archE4294967295ELNS1_3gpuE0ELNS1_3repE0EEENS1_30default_config_static_selectorELNS0_4arch9wavefront6targetE0EEEvT1_,comdat
.Lfunc_end1920:
	.size	_ZN7rocprim17ROCPRIM_400000_NS6detail17trampoline_kernelINS0_14default_configENS1_27scan_by_key_config_selectorIj11FixedVectorIiLj1EEEEZZNS1_16scan_by_key_implILNS1_25lookback_scan_determinismE0ELb1ES3_N6thrust23THRUST_200600_302600_NS6detail15normal_iteratorINSB_10device_ptrIjEEEENSD_INSE_IS6_EEEESI_S6_NSB_4plusIvEENSB_8equal_toIvEES6_EE10hipError_tPvRmT2_T3_T4_T5_mT6_T7_P12ihipStream_tbENKUlT_T0_E_clISt17integral_constantIbLb1EES13_EEDaSY_SZ_EUlSY_E_NS1_11comp_targetILNS1_3genE0ELNS1_11target_archE4294967295ELNS1_3gpuE0ELNS1_3repE0EEENS1_30default_config_static_selectorELNS0_4arch9wavefront6targetE0EEEvT1_, .Lfunc_end1920-_ZN7rocprim17ROCPRIM_400000_NS6detail17trampoline_kernelINS0_14default_configENS1_27scan_by_key_config_selectorIj11FixedVectorIiLj1EEEEZZNS1_16scan_by_key_implILNS1_25lookback_scan_determinismE0ELb1ES3_N6thrust23THRUST_200600_302600_NS6detail15normal_iteratorINSB_10device_ptrIjEEEENSD_INSE_IS6_EEEESI_S6_NSB_4plusIvEENSB_8equal_toIvEES6_EE10hipError_tPvRmT2_T3_T4_T5_mT6_T7_P12ihipStream_tbENKUlT_T0_E_clISt17integral_constantIbLb1EES13_EEDaSY_SZ_EUlSY_E_NS1_11comp_targetILNS1_3genE0ELNS1_11target_archE4294967295ELNS1_3gpuE0ELNS1_3repE0EEENS1_30default_config_static_selectorELNS0_4arch9wavefront6targetE0EEEvT1_
                                        ; -- End function
	.set _ZN7rocprim17ROCPRIM_400000_NS6detail17trampoline_kernelINS0_14default_configENS1_27scan_by_key_config_selectorIj11FixedVectorIiLj1EEEEZZNS1_16scan_by_key_implILNS1_25lookback_scan_determinismE0ELb1ES3_N6thrust23THRUST_200600_302600_NS6detail15normal_iteratorINSB_10device_ptrIjEEEENSD_INSE_IS6_EEEESI_S6_NSB_4plusIvEENSB_8equal_toIvEES6_EE10hipError_tPvRmT2_T3_T4_T5_mT6_T7_P12ihipStream_tbENKUlT_T0_E_clISt17integral_constantIbLb1EES13_EEDaSY_SZ_EUlSY_E_NS1_11comp_targetILNS1_3genE0ELNS1_11target_archE4294967295ELNS1_3gpuE0ELNS1_3repE0EEENS1_30default_config_static_selectorELNS0_4arch9wavefront6targetE0EEEvT1_.num_vgpr, 0
	.set _ZN7rocprim17ROCPRIM_400000_NS6detail17trampoline_kernelINS0_14default_configENS1_27scan_by_key_config_selectorIj11FixedVectorIiLj1EEEEZZNS1_16scan_by_key_implILNS1_25lookback_scan_determinismE0ELb1ES3_N6thrust23THRUST_200600_302600_NS6detail15normal_iteratorINSB_10device_ptrIjEEEENSD_INSE_IS6_EEEESI_S6_NSB_4plusIvEENSB_8equal_toIvEES6_EE10hipError_tPvRmT2_T3_T4_T5_mT6_T7_P12ihipStream_tbENKUlT_T0_E_clISt17integral_constantIbLb1EES13_EEDaSY_SZ_EUlSY_E_NS1_11comp_targetILNS1_3genE0ELNS1_11target_archE4294967295ELNS1_3gpuE0ELNS1_3repE0EEENS1_30default_config_static_selectorELNS0_4arch9wavefront6targetE0EEEvT1_.num_agpr, 0
	.set _ZN7rocprim17ROCPRIM_400000_NS6detail17trampoline_kernelINS0_14default_configENS1_27scan_by_key_config_selectorIj11FixedVectorIiLj1EEEEZZNS1_16scan_by_key_implILNS1_25lookback_scan_determinismE0ELb1ES3_N6thrust23THRUST_200600_302600_NS6detail15normal_iteratorINSB_10device_ptrIjEEEENSD_INSE_IS6_EEEESI_S6_NSB_4plusIvEENSB_8equal_toIvEES6_EE10hipError_tPvRmT2_T3_T4_T5_mT6_T7_P12ihipStream_tbENKUlT_T0_E_clISt17integral_constantIbLb1EES13_EEDaSY_SZ_EUlSY_E_NS1_11comp_targetILNS1_3genE0ELNS1_11target_archE4294967295ELNS1_3gpuE0ELNS1_3repE0EEENS1_30default_config_static_selectorELNS0_4arch9wavefront6targetE0EEEvT1_.numbered_sgpr, 0
	.set _ZN7rocprim17ROCPRIM_400000_NS6detail17trampoline_kernelINS0_14default_configENS1_27scan_by_key_config_selectorIj11FixedVectorIiLj1EEEEZZNS1_16scan_by_key_implILNS1_25lookback_scan_determinismE0ELb1ES3_N6thrust23THRUST_200600_302600_NS6detail15normal_iteratorINSB_10device_ptrIjEEEENSD_INSE_IS6_EEEESI_S6_NSB_4plusIvEENSB_8equal_toIvEES6_EE10hipError_tPvRmT2_T3_T4_T5_mT6_T7_P12ihipStream_tbENKUlT_T0_E_clISt17integral_constantIbLb1EES13_EEDaSY_SZ_EUlSY_E_NS1_11comp_targetILNS1_3genE0ELNS1_11target_archE4294967295ELNS1_3gpuE0ELNS1_3repE0EEENS1_30default_config_static_selectorELNS0_4arch9wavefront6targetE0EEEvT1_.num_named_barrier, 0
	.set _ZN7rocprim17ROCPRIM_400000_NS6detail17trampoline_kernelINS0_14default_configENS1_27scan_by_key_config_selectorIj11FixedVectorIiLj1EEEEZZNS1_16scan_by_key_implILNS1_25lookback_scan_determinismE0ELb1ES3_N6thrust23THRUST_200600_302600_NS6detail15normal_iteratorINSB_10device_ptrIjEEEENSD_INSE_IS6_EEEESI_S6_NSB_4plusIvEENSB_8equal_toIvEES6_EE10hipError_tPvRmT2_T3_T4_T5_mT6_T7_P12ihipStream_tbENKUlT_T0_E_clISt17integral_constantIbLb1EES13_EEDaSY_SZ_EUlSY_E_NS1_11comp_targetILNS1_3genE0ELNS1_11target_archE4294967295ELNS1_3gpuE0ELNS1_3repE0EEENS1_30default_config_static_selectorELNS0_4arch9wavefront6targetE0EEEvT1_.private_seg_size, 0
	.set _ZN7rocprim17ROCPRIM_400000_NS6detail17trampoline_kernelINS0_14default_configENS1_27scan_by_key_config_selectorIj11FixedVectorIiLj1EEEEZZNS1_16scan_by_key_implILNS1_25lookback_scan_determinismE0ELb1ES3_N6thrust23THRUST_200600_302600_NS6detail15normal_iteratorINSB_10device_ptrIjEEEENSD_INSE_IS6_EEEESI_S6_NSB_4plusIvEENSB_8equal_toIvEES6_EE10hipError_tPvRmT2_T3_T4_T5_mT6_T7_P12ihipStream_tbENKUlT_T0_E_clISt17integral_constantIbLb1EES13_EEDaSY_SZ_EUlSY_E_NS1_11comp_targetILNS1_3genE0ELNS1_11target_archE4294967295ELNS1_3gpuE0ELNS1_3repE0EEENS1_30default_config_static_selectorELNS0_4arch9wavefront6targetE0EEEvT1_.uses_vcc, 0
	.set _ZN7rocprim17ROCPRIM_400000_NS6detail17trampoline_kernelINS0_14default_configENS1_27scan_by_key_config_selectorIj11FixedVectorIiLj1EEEEZZNS1_16scan_by_key_implILNS1_25lookback_scan_determinismE0ELb1ES3_N6thrust23THRUST_200600_302600_NS6detail15normal_iteratorINSB_10device_ptrIjEEEENSD_INSE_IS6_EEEESI_S6_NSB_4plusIvEENSB_8equal_toIvEES6_EE10hipError_tPvRmT2_T3_T4_T5_mT6_T7_P12ihipStream_tbENKUlT_T0_E_clISt17integral_constantIbLb1EES13_EEDaSY_SZ_EUlSY_E_NS1_11comp_targetILNS1_3genE0ELNS1_11target_archE4294967295ELNS1_3gpuE0ELNS1_3repE0EEENS1_30default_config_static_selectorELNS0_4arch9wavefront6targetE0EEEvT1_.uses_flat_scratch, 0
	.set _ZN7rocprim17ROCPRIM_400000_NS6detail17trampoline_kernelINS0_14default_configENS1_27scan_by_key_config_selectorIj11FixedVectorIiLj1EEEEZZNS1_16scan_by_key_implILNS1_25lookback_scan_determinismE0ELb1ES3_N6thrust23THRUST_200600_302600_NS6detail15normal_iteratorINSB_10device_ptrIjEEEENSD_INSE_IS6_EEEESI_S6_NSB_4plusIvEENSB_8equal_toIvEES6_EE10hipError_tPvRmT2_T3_T4_T5_mT6_T7_P12ihipStream_tbENKUlT_T0_E_clISt17integral_constantIbLb1EES13_EEDaSY_SZ_EUlSY_E_NS1_11comp_targetILNS1_3genE0ELNS1_11target_archE4294967295ELNS1_3gpuE0ELNS1_3repE0EEENS1_30default_config_static_selectorELNS0_4arch9wavefront6targetE0EEEvT1_.has_dyn_sized_stack, 0
	.set _ZN7rocprim17ROCPRIM_400000_NS6detail17trampoline_kernelINS0_14default_configENS1_27scan_by_key_config_selectorIj11FixedVectorIiLj1EEEEZZNS1_16scan_by_key_implILNS1_25lookback_scan_determinismE0ELb1ES3_N6thrust23THRUST_200600_302600_NS6detail15normal_iteratorINSB_10device_ptrIjEEEENSD_INSE_IS6_EEEESI_S6_NSB_4plusIvEENSB_8equal_toIvEES6_EE10hipError_tPvRmT2_T3_T4_T5_mT6_T7_P12ihipStream_tbENKUlT_T0_E_clISt17integral_constantIbLb1EES13_EEDaSY_SZ_EUlSY_E_NS1_11comp_targetILNS1_3genE0ELNS1_11target_archE4294967295ELNS1_3gpuE0ELNS1_3repE0EEENS1_30default_config_static_selectorELNS0_4arch9wavefront6targetE0EEEvT1_.has_recursion, 0
	.set _ZN7rocprim17ROCPRIM_400000_NS6detail17trampoline_kernelINS0_14default_configENS1_27scan_by_key_config_selectorIj11FixedVectorIiLj1EEEEZZNS1_16scan_by_key_implILNS1_25lookback_scan_determinismE0ELb1ES3_N6thrust23THRUST_200600_302600_NS6detail15normal_iteratorINSB_10device_ptrIjEEEENSD_INSE_IS6_EEEESI_S6_NSB_4plusIvEENSB_8equal_toIvEES6_EE10hipError_tPvRmT2_T3_T4_T5_mT6_T7_P12ihipStream_tbENKUlT_T0_E_clISt17integral_constantIbLb1EES13_EEDaSY_SZ_EUlSY_E_NS1_11comp_targetILNS1_3genE0ELNS1_11target_archE4294967295ELNS1_3gpuE0ELNS1_3repE0EEENS1_30default_config_static_selectorELNS0_4arch9wavefront6targetE0EEEvT1_.has_indirect_call, 0
	.section	.AMDGPU.csdata,"",@progbits
; Kernel info:
; codeLenInByte = 4
; TotalNumSgprs: 0
; NumVgprs: 0
; ScratchSize: 0
; MemoryBound: 0
; FloatMode: 240
; IeeeMode: 1
; LDSByteSize: 0 bytes/workgroup (compile time only)
; SGPRBlocks: 0
; VGPRBlocks: 0
; NumSGPRsForWavesPerEU: 1
; NumVGPRsForWavesPerEU: 1
; NamedBarCnt: 0
; Occupancy: 16
; WaveLimiterHint : 0
; COMPUTE_PGM_RSRC2:SCRATCH_EN: 0
; COMPUTE_PGM_RSRC2:USER_SGPR: 2
; COMPUTE_PGM_RSRC2:TRAP_HANDLER: 0
; COMPUTE_PGM_RSRC2:TGID_X_EN: 1
; COMPUTE_PGM_RSRC2:TGID_Y_EN: 0
; COMPUTE_PGM_RSRC2:TGID_Z_EN: 0
; COMPUTE_PGM_RSRC2:TIDIG_COMP_CNT: 0
	.section	.text._ZN7rocprim17ROCPRIM_400000_NS6detail17trampoline_kernelINS0_14default_configENS1_27scan_by_key_config_selectorIj11FixedVectorIiLj1EEEEZZNS1_16scan_by_key_implILNS1_25lookback_scan_determinismE0ELb1ES3_N6thrust23THRUST_200600_302600_NS6detail15normal_iteratorINSB_10device_ptrIjEEEENSD_INSE_IS6_EEEESI_S6_NSB_4plusIvEENSB_8equal_toIvEES6_EE10hipError_tPvRmT2_T3_T4_T5_mT6_T7_P12ihipStream_tbENKUlT_T0_E_clISt17integral_constantIbLb1EES13_EEDaSY_SZ_EUlSY_E_NS1_11comp_targetILNS1_3genE10ELNS1_11target_archE1201ELNS1_3gpuE5ELNS1_3repE0EEENS1_30default_config_static_selectorELNS0_4arch9wavefront6targetE0EEEvT1_,"axG",@progbits,_ZN7rocprim17ROCPRIM_400000_NS6detail17trampoline_kernelINS0_14default_configENS1_27scan_by_key_config_selectorIj11FixedVectorIiLj1EEEEZZNS1_16scan_by_key_implILNS1_25lookback_scan_determinismE0ELb1ES3_N6thrust23THRUST_200600_302600_NS6detail15normal_iteratorINSB_10device_ptrIjEEEENSD_INSE_IS6_EEEESI_S6_NSB_4plusIvEENSB_8equal_toIvEES6_EE10hipError_tPvRmT2_T3_T4_T5_mT6_T7_P12ihipStream_tbENKUlT_T0_E_clISt17integral_constantIbLb1EES13_EEDaSY_SZ_EUlSY_E_NS1_11comp_targetILNS1_3genE10ELNS1_11target_archE1201ELNS1_3gpuE5ELNS1_3repE0EEENS1_30default_config_static_selectorELNS0_4arch9wavefront6targetE0EEEvT1_,comdat
	.protected	_ZN7rocprim17ROCPRIM_400000_NS6detail17trampoline_kernelINS0_14default_configENS1_27scan_by_key_config_selectorIj11FixedVectorIiLj1EEEEZZNS1_16scan_by_key_implILNS1_25lookback_scan_determinismE0ELb1ES3_N6thrust23THRUST_200600_302600_NS6detail15normal_iteratorINSB_10device_ptrIjEEEENSD_INSE_IS6_EEEESI_S6_NSB_4plusIvEENSB_8equal_toIvEES6_EE10hipError_tPvRmT2_T3_T4_T5_mT6_T7_P12ihipStream_tbENKUlT_T0_E_clISt17integral_constantIbLb1EES13_EEDaSY_SZ_EUlSY_E_NS1_11comp_targetILNS1_3genE10ELNS1_11target_archE1201ELNS1_3gpuE5ELNS1_3repE0EEENS1_30default_config_static_selectorELNS0_4arch9wavefront6targetE0EEEvT1_ ; -- Begin function _ZN7rocprim17ROCPRIM_400000_NS6detail17trampoline_kernelINS0_14default_configENS1_27scan_by_key_config_selectorIj11FixedVectorIiLj1EEEEZZNS1_16scan_by_key_implILNS1_25lookback_scan_determinismE0ELb1ES3_N6thrust23THRUST_200600_302600_NS6detail15normal_iteratorINSB_10device_ptrIjEEEENSD_INSE_IS6_EEEESI_S6_NSB_4plusIvEENSB_8equal_toIvEES6_EE10hipError_tPvRmT2_T3_T4_T5_mT6_T7_P12ihipStream_tbENKUlT_T0_E_clISt17integral_constantIbLb1EES13_EEDaSY_SZ_EUlSY_E_NS1_11comp_targetILNS1_3genE10ELNS1_11target_archE1201ELNS1_3gpuE5ELNS1_3repE0EEENS1_30default_config_static_selectorELNS0_4arch9wavefront6targetE0EEEvT1_
	.globl	_ZN7rocprim17ROCPRIM_400000_NS6detail17trampoline_kernelINS0_14default_configENS1_27scan_by_key_config_selectorIj11FixedVectorIiLj1EEEEZZNS1_16scan_by_key_implILNS1_25lookback_scan_determinismE0ELb1ES3_N6thrust23THRUST_200600_302600_NS6detail15normal_iteratorINSB_10device_ptrIjEEEENSD_INSE_IS6_EEEESI_S6_NSB_4plusIvEENSB_8equal_toIvEES6_EE10hipError_tPvRmT2_T3_T4_T5_mT6_T7_P12ihipStream_tbENKUlT_T0_E_clISt17integral_constantIbLb1EES13_EEDaSY_SZ_EUlSY_E_NS1_11comp_targetILNS1_3genE10ELNS1_11target_archE1201ELNS1_3gpuE5ELNS1_3repE0EEENS1_30default_config_static_selectorELNS0_4arch9wavefront6targetE0EEEvT1_
	.p2align	8
	.type	_ZN7rocprim17ROCPRIM_400000_NS6detail17trampoline_kernelINS0_14default_configENS1_27scan_by_key_config_selectorIj11FixedVectorIiLj1EEEEZZNS1_16scan_by_key_implILNS1_25lookback_scan_determinismE0ELb1ES3_N6thrust23THRUST_200600_302600_NS6detail15normal_iteratorINSB_10device_ptrIjEEEENSD_INSE_IS6_EEEESI_S6_NSB_4plusIvEENSB_8equal_toIvEES6_EE10hipError_tPvRmT2_T3_T4_T5_mT6_T7_P12ihipStream_tbENKUlT_T0_E_clISt17integral_constantIbLb1EES13_EEDaSY_SZ_EUlSY_E_NS1_11comp_targetILNS1_3genE10ELNS1_11target_archE1201ELNS1_3gpuE5ELNS1_3repE0EEENS1_30default_config_static_selectorELNS0_4arch9wavefront6targetE0EEEvT1_,@function
_ZN7rocprim17ROCPRIM_400000_NS6detail17trampoline_kernelINS0_14default_configENS1_27scan_by_key_config_selectorIj11FixedVectorIiLj1EEEEZZNS1_16scan_by_key_implILNS1_25lookback_scan_determinismE0ELb1ES3_N6thrust23THRUST_200600_302600_NS6detail15normal_iteratorINSB_10device_ptrIjEEEENSD_INSE_IS6_EEEESI_S6_NSB_4plusIvEENSB_8equal_toIvEES6_EE10hipError_tPvRmT2_T3_T4_T5_mT6_T7_P12ihipStream_tbENKUlT_T0_E_clISt17integral_constantIbLb1EES13_EEDaSY_SZ_EUlSY_E_NS1_11comp_targetILNS1_3genE10ELNS1_11target_archE1201ELNS1_3gpuE5ELNS1_3repE0EEENS1_30default_config_static_selectorELNS0_4arch9wavefront6targetE0EEEvT1_: ; @_ZN7rocprim17ROCPRIM_400000_NS6detail17trampoline_kernelINS0_14default_configENS1_27scan_by_key_config_selectorIj11FixedVectorIiLj1EEEEZZNS1_16scan_by_key_implILNS1_25lookback_scan_determinismE0ELb1ES3_N6thrust23THRUST_200600_302600_NS6detail15normal_iteratorINSB_10device_ptrIjEEEENSD_INSE_IS6_EEEESI_S6_NSB_4plusIvEENSB_8equal_toIvEES6_EE10hipError_tPvRmT2_T3_T4_T5_mT6_T7_P12ihipStream_tbENKUlT_T0_E_clISt17integral_constantIbLb1EES13_EEDaSY_SZ_EUlSY_E_NS1_11comp_targetILNS1_3genE10ELNS1_11target_archE1201ELNS1_3gpuE5ELNS1_3repE0EEENS1_30default_config_static_selectorELNS0_4arch9wavefront6targetE0EEEvT1_
; %bb.0:
	.section	.rodata,"a",@progbits
	.p2align	6, 0x0
	.amdhsa_kernel _ZN7rocprim17ROCPRIM_400000_NS6detail17trampoline_kernelINS0_14default_configENS1_27scan_by_key_config_selectorIj11FixedVectorIiLj1EEEEZZNS1_16scan_by_key_implILNS1_25lookback_scan_determinismE0ELb1ES3_N6thrust23THRUST_200600_302600_NS6detail15normal_iteratorINSB_10device_ptrIjEEEENSD_INSE_IS6_EEEESI_S6_NSB_4plusIvEENSB_8equal_toIvEES6_EE10hipError_tPvRmT2_T3_T4_T5_mT6_T7_P12ihipStream_tbENKUlT_T0_E_clISt17integral_constantIbLb1EES13_EEDaSY_SZ_EUlSY_E_NS1_11comp_targetILNS1_3genE10ELNS1_11target_archE1201ELNS1_3gpuE5ELNS1_3repE0EEENS1_30default_config_static_selectorELNS0_4arch9wavefront6targetE0EEEvT1_
		.amdhsa_group_segment_fixed_size 0
		.amdhsa_private_segment_fixed_size 0
		.amdhsa_kernarg_size 112
		.amdhsa_user_sgpr_count 2
		.amdhsa_user_sgpr_dispatch_ptr 0
		.amdhsa_user_sgpr_queue_ptr 0
		.amdhsa_user_sgpr_kernarg_segment_ptr 1
		.amdhsa_user_sgpr_dispatch_id 0
		.amdhsa_user_sgpr_kernarg_preload_length 0
		.amdhsa_user_sgpr_kernarg_preload_offset 0
		.amdhsa_user_sgpr_private_segment_size 0
		.amdhsa_wavefront_size32 1
		.amdhsa_uses_dynamic_stack 0
		.amdhsa_enable_private_segment 0
		.amdhsa_system_sgpr_workgroup_id_x 1
		.amdhsa_system_sgpr_workgroup_id_y 0
		.amdhsa_system_sgpr_workgroup_id_z 0
		.amdhsa_system_sgpr_workgroup_info 0
		.amdhsa_system_vgpr_workitem_id 0
		.amdhsa_next_free_vgpr 1
		.amdhsa_next_free_sgpr 1
		.amdhsa_named_barrier_count 0
		.amdhsa_reserve_vcc 0
		.amdhsa_float_round_mode_32 0
		.amdhsa_float_round_mode_16_64 0
		.amdhsa_float_denorm_mode_32 3
		.amdhsa_float_denorm_mode_16_64 3
		.amdhsa_fp16_overflow 0
		.amdhsa_memory_ordered 1
		.amdhsa_forward_progress 1
		.amdhsa_inst_pref_size 0
		.amdhsa_round_robin_scheduling 0
		.amdhsa_exception_fp_ieee_invalid_op 0
		.amdhsa_exception_fp_denorm_src 0
		.amdhsa_exception_fp_ieee_div_zero 0
		.amdhsa_exception_fp_ieee_overflow 0
		.amdhsa_exception_fp_ieee_underflow 0
		.amdhsa_exception_fp_ieee_inexact 0
		.amdhsa_exception_int_div_zero 0
	.end_amdhsa_kernel
	.section	.text._ZN7rocprim17ROCPRIM_400000_NS6detail17trampoline_kernelINS0_14default_configENS1_27scan_by_key_config_selectorIj11FixedVectorIiLj1EEEEZZNS1_16scan_by_key_implILNS1_25lookback_scan_determinismE0ELb1ES3_N6thrust23THRUST_200600_302600_NS6detail15normal_iteratorINSB_10device_ptrIjEEEENSD_INSE_IS6_EEEESI_S6_NSB_4plusIvEENSB_8equal_toIvEES6_EE10hipError_tPvRmT2_T3_T4_T5_mT6_T7_P12ihipStream_tbENKUlT_T0_E_clISt17integral_constantIbLb1EES13_EEDaSY_SZ_EUlSY_E_NS1_11comp_targetILNS1_3genE10ELNS1_11target_archE1201ELNS1_3gpuE5ELNS1_3repE0EEENS1_30default_config_static_selectorELNS0_4arch9wavefront6targetE0EEEvT1_,"axG",@progbits,_ZN7rocprim17ROCPRIM_400000_NS6detail17trampoline_kernelINS0_14default_configENS1_27scan_by_key_config_selectorIj11FixedVectorIiLj1EEEEZZNS1_16scan_by_key_implILNS1_25lookback_scan_determinismE0ELb1ES3_N6thrust23THRUST_200600_302600_NS6detail15normal_iteratorINSB_10device_ptrIjEEEENSD_INSE_IS6_EEEESI_S6_NSB_4plusIvEENSB_8equal_toIvEES6_EE10hipError_tPvRmT2_T3_T4_T5_mT6_T7_P12ihipStream_tbENKUlT_T0_E_clISt17integral_constantIbLb1EES13_EEDaSY_SZ_EUlSY_E_NS1_11comp_targetILNS1_3genE10ELNS1_11target_archE1201ELNS1_3gpuE5ELNS1_3repE0EEENS1_30default_config_static_selectorELNS0_4arch9wavefront6targetE0EEEvT1_,comdat
.Lfunc_end1921:
	.size	_ZN7rocprim17ROCPRIM_400000_NS6detail17trampoline_kernelINS0_14default_configENS1_27scan_by_key_config_selectorIj11FixedVectorIiLj1EEEEZZNS1_16scan_by_key_implILNS1_25lookback_scan_determinismE0ELb1ES3_N6thrust23THRUST_200600_302600_NS6detail15normal_iteratorINSB_10device_ptrIjEEEENSD_INSE_IS6_EEEESI_S6_NSB_4plusIvEENSB_8equal_toIvEES6_EE10hipError_tPvRmT2_T3_T4_T5_mT6_T7_P12ihipStream_tbENKUlT_T0_E_clISt17integral_constantIbLb1EES13_EEDaSY_SZ_EUlSY_E_NS1_11comp_targetILNS1_3genE10ELNS1_11target_archE1201ELNS1_3gpuE5ELNS1_3repE0EEENS1_30default_config_static_selectorELNS0_4arch9wavefront6targetE0EEEvT1_, .Lfunc_end1921-_ZN7rocprim17ROCPRIM_400000_NS6detail17trampoline_kernelINS0_14default_configENS1_27scan_by_key_config_selectorIj11FixedVectorIiLj1EEEEZZNS1_16scan_by_key_implILNS1_25lookback_scan_determinismE0ELb1ES3_N6thrust23THRUST_200600_302600_NS6detail15normal_iteratorINSB_10device_ptrIjEEEENSD_INSE_IS6_EEEESI_S6_NSB_4plusIvEENSB_8equal_toIvEES6_EE10hipError_tPvRmT2_T3_T4_T5_mT6_T7_P12ihipStream_tbENKUlT_T0_E_clISt17integral_constantIbLb1EES13_EEDaSY_SZ_EUlSY_E_NS1_11comp_targetILNS1_3genE10ELNS1_11target_archE1201ELNS1_3gpuE5ELNS1_3repE0EEENS1_30default_config_static_selectorELNS0_4arch9wavefront6targetE0EEEvT1_
                                        ; -- End function
	.set _ZN7rocprim17ROCPRIM_400000_NS6detail17trampoline_kernelINS0_14default_configENS1_27scan_by_key_config_selectorIj11FixedVectorIiLj1EEEEZZNS1_16scan_by_key_implILNS1_25lookback_scan_determinismE0ELb1ES3_N6thrust23THRUST_200600_302600_NS6detail15normal_iteratorINSB_10device_ptrIjEEEENSD_INSE_IS6_EEEESI_S6_NSB_4plusIvEENSB_8equal_toIvEES6_EE10hipError_tPvRmT2_T3_T4_T5_mT6_T7_P12ihipStream_tbENKUlT_T0_E_clISt17integral_constantIbLb1EES13_EEDaSY_SZ_EUlSY_E_NS1_11comp_targetILNS1_3genE10ELNS1_11target_archE1201ELNS1_3gpuE5ELNS1_3repE0EEENS1_30default_config_static_selectorELNS0_4arch9wavefront6targetE0EEEvT1_.num_vgpr, 0
	.set _ZN7rocprim17ROCPRIM_400000_NS6detail17trampoline_kernelINS0_14default_configENS1_27scan_by_key_config_selectorIj11FixedVectorIiLj1EEEEZZNS1_16scan_by_key_implILNS1_25lookback_scan_determinismE0ELb1ES3_N6thrust23THRUST_200600_302600_NS6detail15normal_iteratorINSB_10device_ptrIjEEEENSD_INSE_IS6_EEEESI_S6_NSB_4plusIvEENSB_8equal_toIvEES6_EE10hipError_tPvRmT2_T3_T4_T5_mT6_T7_P12ihipStream_tbENKUlT_T0_E_clISt17integral_constantIbLb1EES13_EEDaSY_SZ_EUlSY_E_NS1_11comp_targetILNS1_3genE10ELNS1_11target_archE1201ELNS1_3gpuE5ELNS1_3repE0EEENS1_30default_config_static_selectorELNS0_4arch9wavefront6targetE0EEEvT1_.num_agpr, 0
	.set _ZN7rocprim17ROCPRIM_400000_NS6detail17trampoline_kernelINS0_14default_configENS1_27scan_by_key_config_selectorIj11FixedVectorIiLj1EEEEZZNS1_16scan_by_key_implILNS1_25lookback_scan_determinismE0ELb1ES3_N6thrust23THRUST_200600_302600_NS6detail15normal_iteratorINSB_10device_ptrIjEEEENSD_INSE_IS6_EEEESI_S6_NSB_4plusIvEENSB_8equal_toIvEES6_EE10hipError_tPvRmT2_T3_T4_T5_mT6_T7_P12ihipStream_tbENKUlT_T0_E_clISt17integral_constantIbLb1EES13_EEDaSY_SZ_EUlSY_E_NS1_11comp_targetILNS1_3genE10ELNS1_11target_archE1201ELNS1_3gpuE5ELNS1_3repE0EEENS1_30default_config_static_selectorELNS0_4arch9wavefront6targetE0EEEvT1_.numbered_sgpr, 0
	.set _ZN7rocprim17ROCPRIM_400000_NS6detail17trampoline_kernelINS0_14default_configENS1_27scan_by_key_config_selectorIj11FixedVectorIiLj1EEEEZZNS1_16scan_by_key_implILNS1_25lookback_scan_determinismE0ELb1ES3_N6thrust23THRUST_200600_302600_NS6detail15normal_iteratorINSB_10device_ptrIjEEEENSD_INSE_IS6_EEEESI_S6_NSB_4plusIvEENSB_8equal_toIvEES6_EE10hipError_tPvRmT2_T3_T4_T5_mT6_T7_P12ihipStream_tbENKUlT_T0_E_clISt17integral_constantIbLb1EES13_EEDaSY_SZ_EUlSY_E_NS1_11comp_targetILNS1_3genE10ELNS1_11target_archE1201ELNS1_3gpuE5ELNS1_3repE0EEENS1_30default_config_static_selectorELNS0_4arch9wavefront6targetE0EEEvT1_.num_named_barrier, 0
	.set _ZN7rocprim17ROCPRIM_400000_NS6detail17trampoline_kernelINS0_14default_configENS1_27scan_by_key_config_selectorIj11FixedVectorIiLj1EEEEZZNS1_16scan_by_key_implILNS1_25lookback_scan_determinismE0ELb1ES3_N6thrust23THRUST_200600_302600_NS6detail15normal_iteratorINSB_10device_ptrIjEEEENSD_INSE_IS6_EEEESI_S6_NSB_4plusIvEENSB_8equal_toIvEES6_EE10hipError_tPvRmT2_T3_T4_T5_mT6_T7_P12ihipStream_tbENKUlT_T0_E_clISt17integral_constantIbLb1EES13_EEDaSY_SZ_EUlSY_E_NS1_11comp_targetILNS1_3genE10ELNS1_11target_archE1201ELNS1_3gpuE5ELNS1_3repE0EEENS1_30default_config_static_selectorELNS0_4arch9wavefront6targetE0EEEvT1_.private_seg_size, 0
	.set _ZN7rocprim17ROCPRIM_400000_NS6detail17trampoline_kernelINS0_14default_configENS1_27scan_by_key_config_selectorIj11FixedVectorIiLj1EEEEZZNS1_16scan_by_key_implILNS1_25lookback_scan_determinismE0ELb1ES3_N6thrust23THRUST_200600_302600_NS6detail15normal_iteratorINSB_10device_ptrIjEEEENSD_INSE_IS6_EEEESI_S6_NSB_4plusIvEENSB_8equal_toIvEES6_EE10hipError_tPvRmT2_T3_T4_T5_mT6_T7_P12ihipStream_tbENKUlT_T0_E_clISt17integral_constantIbLb1EES13_EEDaSY_SZ_EUlSY_E_NS1_11comp_targetILNS1_3genE10ELNS1_11target_archE1201ELNS1_3gpuE5ELNS1_3repE0EEENS1_30default_config_static_selectorELNS0_4arch9wavefront6targetE0EEEvT1_.uses_vcc, 0
	.set _ZN7rocprim17ROCPRIM_400000_NS6detail17trampoline_kernelINS0_14default_configENS1_27scan_by_key_config_selectorIj11FixedVectorIiLj1EEEEZZNS1_16scan_by_key_implILNS1_25lookback_scan_determinismE0ELb1ES3_N6thrust23THRUST_200600_302600_NS6detail15normal_iteratorINSB_10device_ptrIjEEEENSD_INSE_IS6_EEEESI_S6_NSB_4plusIvEENSB_8equal_toIvEES6_EE10hipError_tPvRmT2_T3_T4_T5_mT6_T7_P12ihipStream_tbENKUlT_T0_E_clISt17integral_constantIbLb1EES13_EEDaSY_SZ_EUlSY_E_NS1_11comp_targetILNS1_3genE10ELNS1_11target_archE1201ELNS1_3gpuE5ELNS1_3repE0EEENS1_30default_config_static_selectorELNS0_4arch9wavefront6targetE0EEEvT1_.uses_flat_scratch, 0
	.set _ZN7rocprim17ROCPRIM_400000_NS6detail17trampoline_kernelINS0_14default_configENS1_27scan_by_key_config_selectorIj11FixedVectorIiLj1EEEEZZNS1_16scan_by_key_implILNS1_25lookback_scan_determinismE0ELb1ES3_N6thrust23THRUST_200600_302600_NS6detail15normal_iteratorINSB_10device_ptrIjEEEENSD_INSE_IS6_EEEESI_S6_NSB_4plusIvEENSB_8equal_toIvEES6_EE10hipError_tPvRmT2_T3_T4_T5_mT6_T7_P12ihipStream_tbENKUlT_T0_E_clISt17integral_constantIbLb1EES13_EEDaSY_SZ_EUlSY_E_NS1_11comp_targetILNS1_3genE10ELNS1_11target_archE1201ELNS1_3gpuE5ELNS1_3repE0EEENS1_30default_config_static_selectorELNS0_4arch9wavefront6targetE0EEEvT1_.has_dyn_sized_stack, 0
	.set _ZN7rocprim17ROCPRIM_400000_NS6detail17trampoline_kernelINS0_14default_configENS1_27scan_by_key_config_selectorIj11FixedVectorIiLj1EEEEZZNS1_16scan_by_key_implILNS1_25lookback_scan_determinismE0ELb1ES3_N6thrust23THRUST_200600_302600_NS6detail15normal_iteratorINSB_10device_ptrIjEEEENSD_INSE_IS6_EEEESI_S6_NSB_4plusIvEENSB_8equal_toIvEES6_EE10hipError_tPvRmT2_T3_T4_T5_mT6_T7_P12ihipStream_tbENKUlT_T0_E_clISt17integral_constantIbLb1EES13_EEDaSY_SZ_EUlSY_E_NS1_11comp_targetILNS1_3genE10ELNS1_11target_archE1201ELNS1_3gpuE5ELNS1_3repE0EEENS1_30default_config_static_selectorELNS0_4arch9wavefront6targetE0EEEvT1_.has_recursion, 0
	.set _ZN7rocprim17ROCPRIM_400000_NS6detail17trampoline_kernelINS0_14default_configENS1_27scan_by_key_config_selectorIj11FixedVectorIiLj1EEEEZZNS1_16scan_by_key_implILNS1_25lookback_scan_determinismE0ELb1ES3_N6thrust23THRUST_200600_302600_NS6detail15normal_iteratorINSB_10device_ptrIjEEEENSD_INSE_IS6_EEEESI_S6_NSB_4plusIvEENSB_8equal_toIvEES6_EE10hipError_tPvRmT2_T3_T4_T5_mT6_T7_P12ihipStream_tbENKUlT_T0_E_clISt17integral_constantIbLb1EES13_EEDaSY_SZ_EUlSY_E_NS1_11comp_targetILNS1_3genE10ELNS1_11target_archE1201ELNS1_3gpuE5ELNS1_3repE0EEENS1_30default_config_static_selectorELNS0_4arch9wavefront6targetE0EEEvT1_.has_indirect_call, 0
	.section	.AMDGPU.csdata,"",@progbits
; Kernel info:
; codeLenInByte = 0
; TotalNumSgprs: 0
; NumVgprs: 0
; ScratchSize: 0
; MemoryBound: 0
; FloatMode: 240
; IeeeMode: 1
; LDSByteSize: 0 bytes/workgroup (compile time only)
; SGPRBlocks: 0
; VGPRBlocks: 0
; NumSGPRsForWavesPerEU: 1
; NumVGPRsForWavesPerEU: 1
; NamedBarCnt: 0
; Occupancy: 16
; WaveLimiterHint : 0
; COMPUTE_PGM_RSRC2:SCRATCH_EN: 0
; COMPUTE_PGM_RSRC2:USER_SGPR: 2
; COMPUTE_PGM_RSRC2:TRAP_HANDLER: 0
; COMPUTE_PGM_RSRC2:TGID_X_EN: 1
; COMPUTE_PGM_RSRC2:TGID_Y_EN: 0
; COMPUTE_PGM_RSRC2:TGID_Z_EN: 0
; COMPUTE_PGM_RSRC2:TIDIG_COMP_CNT: 0
	.section	.text._ZN7rocprim17ROCPRIM_400000_NS6detail17trampoline_kernelINS0_14default_configENS1_27scan_by_key_config_selectorIj11FixedVectorIiLj1EEEEZZNS1_16scan_by_key_implILNS1_25lookback_scan_determinismE0ELb1ES3_N6thrust23THRUST_200600_302600_NS6detail15normal_iteratorINSB_10device_ptrIjEEEENSD_INSE_IS6_EEEESI_S6_NSB_4plusIvEENSB_8equal_toIvEES6_EE10hipError_tPvRmT2_T3_T4_T5_mT6_T7_P12ihipStream_tbENKUlT_T0_E_clISt17integral_constantIbLb1EES13_EEDaSY_SZ_EUlSY_E_NS1_11comp_targetILNS1_3genE5ELNS1_11target_archE942ELNS1_3gpuE9ELNS1_3repE0EEENS1_30default_config_static_selectorELNS0_4arch9wavefront6targetE0EEEvT1_,"axG",@progbits,_ZN7rocprim17ROCPRIM_400000_NS6detail17trampoline_kernelINS0_14default_configENS1_27scan_by_key_config_selectorIj11FixedVectorIiLj1EEEEZZNS1_16scan_by_key_implILNS1_25lookback_scan_determinismE0ELb1ES3_N6thrust23THRUST_200600_302600_NS6detail15normal_iteratorINSB_10device_ptrIjEEEENSD_INSE_IS6_EEEESI_S6_NSB_4plusIvEENSB_8equal_toIvEES6_EE10hipError_tPvRmT2_T3_T4_T5_mT6_T7_P12ihipStream_tbENKUlT_T0_E_clISt17integral_constantIbLb1EES13_EEDaSY_SZ_EUlSY_E_NS1_11comp_targetILNS1_3genE5ELNS1_11target_archE942ELNS1_3gpuE9ELNS1_3repE0EEENS1_30default_config_static_selectorELNS0_4arch9wavefront6targetE0EEEvT1_,comdat
	.protected	_ZN7rocprim17ROCPRIM_400000_NS6detail17trampoline_kernelINS0_14default_configENS1_27scan_by_key_config_selectorIj11FixedVectorIiLj1EEEEZZNS1_16scan_by_key_implILNS1_25lookback_scan_determinismE0ELb1ES3_N6thrust23THRUST_200600_302600_NS6detail15normal_iteratorINSB_10device_ptrIjEEEENSD_INSE_IS6_EEEESI_S6_NSB_4plusIvEENSB_8equal_toIvEES6_EE10hipError_tPvRmT2_T3_T4_T5_mT6_T7_P12ihipStream_tbENKUlT_T0_E_clISt17integral_constantIbLb1EES13_EEDaSY_SZ_EUlSY_E_NS1_11comp_targetILNS1_3genE5ELNS1_11target_archE942ELNS1_3gpuE9ELNS1_3repE0EEENS1_30default_config_static_selectorELNS0_4arch9wavefront6targetE0EEEvT1_ ; -- Begin function _ZN7rocprim17ROCPRIM_400000_NS6detail17trampoline_kernelINS0_14default_configENS1_27scan_by_key_config_selectorIj11FixedVectorIiLj1EEEEZZNS1_16scan_by_key_implILNS1_25lookback_scan_determinismE0ELb1ES3_N6thrust23THRUST_200600_302600_NS6detail15normal_iteratorINSB_10device_ptrIjEEEENSD_INSE_IS6_EEEESI_S6_NSB_4plusIvEENSB_8equal_toIvEES6_EE10hipError_tPvRmT2_T3_T4_T5_mT6_T7_P12ihipStream_tbENKUlT_T0_E_clISt17integral_constantIbLb1EES13_EEDaSY_SZ_EUlSY_E_NS1_11comp_targetILNS1_3genE5ELNS1_11target_archE942ELNS1_3gpuE9ELNS1_3repE0EEENS1_30default_config_static_selectorELNS0_4arch9wavefront6targetE0EEEvT1_
	.globl	_ZN7rocprim17ROCPRIM_400000_NS6detail17trampoline_kernelINS0_14default_configENS1_27scan_by_key_config_selectorIj11FixedVectorIiLj1EEEEZZNS1_16scan_by_key_implILNS1_25lookback_scan_determinismE0ELb1ES3_N6thrust23THRUST_200600_302600_NS6detail15normal_iteratorINSB_10device_ptrIjEEEENSD_INSE_IS6_EEEESI_S6_NSB_4plusIvEENSB_8equal_toIvEES6_EE10hipError_tPvRmT2_T3_T4_T5_mT6_T7_P12ihipStream_tbENKUlT_T0_E_clISt17integral_constantIbLb1EES13_EEDaSY_SZ_EUlSY_E_NS1_11comp_targetILNS1_3genE5ELNS1_11target_archE942ELNS1_3gpuE9ELNS1_3repE0EEENS1_30default_config_static_selectorELNS0_4arch9wavefront6targetE0EEEvT1_
	.p2align	8
	.type	_ZN7rocprim17ROCPRIM_400000_NS6detail17trampoline_kernelINS0_14default_configENS1_27scan_by_key_config_selectorIj11FixedVectorIiLj1EEEEZZNS1_16scan_by_key_implILNS1_25lookback_scan_determinismE0ELb1ES3_N6thrust23THRUST_200600_302600_NS6detail15normal_iteratorINSB_10device_ptrIjEEEENSD_INSE_IS6_EEEESI_S6_NSB_4plusIvEENSB_8equal_toIvEES6_EE10hipError_tPvRmT2_T3_T4_T5_mT6_T7_P12ihipStream_tbENKUlT_T0_E_clISt17integral_constantIbLb1EES13_EEDaSY_SZ_EUlSY_E_NS1_11comp_targetILNS1_3genE5ELNS1_11target_archE942ELNS1_3gpuE9ELNS1_3repE0EEENS1_30default_config_static_selectorELNS0_4arch9wavefront6targetE0EEEvT1_,@function
_ZN7rocprim17ROCPRIM_400000_NS6detail17trampoline_kernelINS0_14default_configENS1_27scan_by_key_config_selectorIj11FixedVectorIiLj1EEEEZZNS1_16scan_by_key_implILNS1_25lookback_scan_determinismE0ELb1ES3_N6thrust23THRUST_200600_302600_NS6detail15normal_iteratorINSB_10device_ptrIjEEEENSD_INSE_IS6_EEEESI_S6_NSB_4plusIvEENSB_8equal_toIvEES6_EE10hipError_tPvRmT2_T3_T4_T5_mT6_T7_P12ihipStream_tbENKUlT_T0_E_clISt17integral_constantIbLb1EES13_EEDaSY_SZ_EUlSY_E_NS1_11comp_targetILNS1_3genE5ELNS1_11target_archE942ELNS1_3gpuE9ELNS1_3repE0EEENS1_30default_config_static_selectorELNS0_4arch9wavefront6targetE0EEEvT1_: ; @_ZN7rocprim17ROCPRIM_400000_NS6detail17trampoline_kernelINS0_14default_configENS1_27scan_by_key_config_selectorIj11FixedVectorIiLj1EEEEZZNS1_16scan_by_key_implILNS1_25lookback_scan_determinismE0ELb1ES3_N6thrust23THRUST_200600_302600_NS6detail15normal_iteratorINSB_10device_ptrIjEEEENSD_INSE_IS6_EEEESI_S6_NSB_4plusIvEENSB_8equal_toIvEES6_EE10hipError_tPvRmT2_T3_T4_T5_mT6_T7_P12ihipStream_tbENKUlT_T0_E_clISt17integral_constantIbLb1EES13_EEDaSY_SZ_EUlSY_E_NS1_11comp_targetILNS1_3genE5ELNS1_11target_archE942ELNS1_3gpuE9ELNS1_3repE0EEENS1_30default_config_static_selectorELNS0_4arch9wavefront6targetE0EEEvT1_
; %bb.0:
	.section	.rodata,"a",@progbits
	.p2align	6, 0x0
	.amdhsa_kernel _ZN7rocprim17ROCPRIM_400000_NS6detail17trampoline_kernelINS0_14default_configENS1_27scan_by_key_config_selectorIj11FixedVectorIiLj1EEEEZZNS1_16scan_by_key_implILNS1_25lookback_scan_determinismE0ELb1ES3_N6thrust23THRUST_200600_302600_NS6detail15normal_iteratorINSB_10device_ptrIjEEEENSD_INSE_IS6_EEEESI_S6_NSB_4plusIvEENSB_8equal_toIvEES6_EE10hipError_tPvRmT2_T3_T4_T5_mT6_T7_P12ihipStream_tbENKUlT_T0_E_clISt17integral_constantIbLb1EES13_EEDaSY_SZ_EUlSY_E_NS1_11comp_targetILNS1_3genE5ELNS1_11target_archE942ELNS1_3gpuE9ELNS1_3repE0EEENS1_30default_config_static_selectorELNS0_4arch9wavefront6targetE0EEEvT1_
		.amdhsa_group_segment_fixed_size 0
		.amdhsa_private_segment_fixed_size 0
		.amdhsa_kernarg_size 112
		.amdhsa_user_sgpr_count 2
		.amdhsa_user_sgpr_dispatch_ptr 0
		.amdhsa_user_sgpr_queue_ptr 0
		.amdhsa_user_sgpr_kernarg_segment_ptr 1
		.amdhsa_user_sgpr_dispatch_id 0
		.amdhsa_user_sgpr_kernarg_preload_length 0
		.amdhsa_user_sgpr_kernarg_preload_offset 0
		.amdhsa_user_sgpr_private_segment_size 0
		.amdhsa_wavefront_size32 1
		.amdhsa_uses_dynamic_stack 0
		.amdhsa_enable_private_segment 0
		.amdhsa_system_sgpr_workgroup_id_x 1
		.amdhsa_system_sgpr_workgroup_id_y 0
		.amdhsa_system_sgpr_workgroup_id_z 0
		.amdhsa_system_sgpr_workgroup_info 0
		.amdhsa_system_vgpr_workitem_id 0
		.amdhsa_next_free_vgpr 1
		.amdhsa_next_free_sgpr 1
		.amdhsa_named_barrier_count 0
		.amdhsa_reserve_vcc 0
		.amdhsa_float_round_mode_32 0
		.amdhsa_float_round_mode_16_64 0
		.amdhsa_float_denorm_mode_32 3
		.amdhsa_float_denorm_mode_16_64 3
		.amdhsa_fp16_overflow 0
		.amdhsa_memory_ordered 1
		.amdhsa_forward_progress 1
		.amdhsa_inst_pref_size 0
		.amdhsa_round_robin_scheduling 0
		.amdhsa_exception_fp_ieee_invalid_op 0
		.amdhsa_exception_fp_denorm_src 0
		.amdhsa_exception_fp_ieee_div_zero 0
		.amdhsa_exception_fp_ieee_overflow 0
		.amdhsa_exception_fp_ieee_underflow 0
		.amdhsa_exception_fp_ieee_inexact 0
		.amdhsa_exception_int_div_zero 0
	.end_amdhsa_kernel
	.section	.text._ZN7rocprim17ROCPRIM_400000_NS6detail17trampoline_kernelINS0_14default_configENS1_27scan_by_key_config_selectorIj11FixedVectorIiLj1EEEEZZNS1_16scan_by_key_implILNS1_25lookback_scan_determinismE0ELb1ES3_N6thrust23THRUST_200600_302600_NS6detail15normal_iteratorINSB_10device_ptrIjEEEENSD_INSE_IS6_EEEESI_S6_NSB_4plusIvEENSB_8equal_toIvEES6_EE10hipError_tPvRmT2_T3_T4_T5_mT6_T7_P12ihipStream_tbENKUlT_T0_E_clISt17integral_constantIbLb1EES13_EEDaSY_SZ_EUlSY_E_NS1_11comp_targetILNS1_3genE5ELNS1_11target_archE942ELNS1_3gpuE9ELNS1_3repE0EEENS1_30default_config_static_selectorELNS0_4arch9wavefront6targetE0EEEvT1_,"axG",@progbits,_ZN7rocprim17ROCPRIM_400000_NS6detail17trampoline_kernelINS0_14default_configENS1_27scan_by_key_config_selectorIj11FixedVectorIiLj1EEEEZZNS1_16scan_by_key_implILNS1_25lookback_scan_determinismE0ELb1ES3_N6thrust23THRUST_200600_302600_NS6detail15normal_iteratorINSB_10device_ptrIjEEEENSD_INSE_IS6_EEEESI_S6_NSB_4plusIvEENSB_8equal_toIvEES6_EE10hipError_tPvRmT2_T3_T4_T5_mT6_T7_P12ihipStream_tbENKUlT_T0_E_clISt17integral_constantIbLb1EES13_EEDaSY_SZ_EUlSY_E_NS1_11comp_targetILNS1_3genE5ELNS1_11target_archE942ELNS1_3gpuE9ELNS1_3repE0EEENS1_30default_config_static_selectorELNS0_4arch9wavefront6targetE0EEEvT1_,comdat
.Lfunc_end1922:
	.size	_ZN7rocprim17ROCPRIM_400000_NS6detail17trampoline_kernelINS0_14default_configENS1_27scan_by_key_config_selectorIj11FixedVectorIiLj1EEEEZZNS1_16scan_by_key_implILNS1_25lookback_scan_determinismE0ELb1ES3_N6thrust23THRUST_200600_302600_NS6detail15normal_iteratorINSB_10device_ptrIjEEEENSD_INSE_IS6_EEEESI_S6_NSB_4plusIvEENSB_8equal_toIvEES6_EE10hipError_tPvRmT2_T3_T4_T5_mT6_T7_P12ihipStream_tbENKUlT_T0_E_clISt17integral_constantIbLb1EES13_EEDaSY_SZ_EUlSY_E_NS1_11comp_targetILNS1_3genE5ELNS1_11target_archE942ELNS1_3gpuE9ELNS1_3repE0EEENS1_30default_config_static_selectorELNS0_4arch9wavefront6targetE0EEEvT1_, .Lfunc_end1922-_ZN7rocprim17ROCPRIM_400000_NS6detail17trampoline_kernelINS0_14default_configENS1_27scan_by_key_config_selectorIj11FixedVectorIiLj1EEEEZZNS1_16scan_by_key_implILNS1_25lookback_scan_determinismE0ELb1ES3_N6thrust23THRUST_200600_302600_NS6detail15normal_iteratorINSB_10device_ptrIjEEEENSD_INSE_IS6_EEEESI_S6_NSB_4plusIvEENSB_8equal_toIvEES6_EE10hipError_tPvRmT2_T3_T4_T5_mT6_T7_P12ihipStream_tbENKUlT_T0_E_clISt17integral_constantIbLb1EES13_EEDaSY_SZ_EUlSY_E_NS1_11comp_targetILNS1_3genE5ELNS1_11target_archE942ELNS1_3gpuE9ELNS1_3repE0EEENS1_30default_config_static_selectorELNS0_4arch9wavefront6targetE0EEEvT1_
                                        ; -- End function
	.set _ZN7rocprim17ROCPRIM_400000_NS6detail17trampoline_kernelINS0_14default_configENS1_27scan_by_key_config_selectorIj11FixedVectorIiLj1EEEEZZNS1_16scan_by_key_implILNS1_25lookback_scan_determinismE0ELb1ES3_N6thrust23THRUST_200600_302600_NS6detail15normal_iteratorINSB_10device_ptrIjEEEENSD_INSE_IS6_EEEESI_S6_NSB_4plusIvEENSB_8equal_toIvEES6_EE10hipError_tPvRmT2_T3_T4_T5_mT6_T7_P12ihipStream_tbENKUlT_T0_E_clISt17integral_constantIbLb1EES13_EEDaSY_SZ_EUlSY_E_NS1_11comp_targetILNS1_3genE5ELNS1_11target_archE942ELNS1_3gpuE9ELNS1_3repE0EEENS1_30default_config_static_selectorELNS0_4arch9wavefront6targetE0EEEvT1_.num_vgpr, 0
	.set _ZN7rocprim17ROCPRIM_400000_NS6detail17trampoline_kernelINS0_14default_configENS1_27scan_by_key_config_selectorIj11FixedVectorIiLj1EEEEZZNS1_16scan_by_key_implILNS1_25lookback_scan_determinismE0ELb1ES3_N6thrust23THRUST_200600_302600_NS6detail15normal_iteratorINSB_10device_ptrIjEEEENSD_INSE_IS6_EEEESI_S6_NSB_4plusIvEENSB_8equal_toIvEES6_EE10hipError_tPvRmT2_T3_T4_T5_mT6_T7_P12ihipStream_tbENKUlT_T0_E_clISt17integral_constantIbLb1EES13_EEDaSY_SZ_EUlSY_E_NS1_11comp_targetILNS1_3genE5ELNS1_11target_archE942ELNS1_3gpuE9ELNS1_3repE0EEENS1_30default_config_static_selectorELNS0_4arch9wavefront6targetE0EEEvT1_.num_agpr, 0
	.set _ZN7rocprim17ROCPRIM_400000_NS6detail17trampoline_kernelINS0_14default_configENS1_27scan_by_key_config_selectorIj11FixedVectorIiLj1EEEEZZNS1_16scan_by_key_implILNS1_25lookback_scan_determinismE0ELb1ES3_N6thrust23THRUST_200600_302600_NS6detail15normal_iteratorINSB_10device_ptrIjEEEENSD_INSE_IS6_EEEESI_S6_NSB_4plusIvEENSB_8equal_toIvEES6_EE10hipError_tPvRmT2_T3_T4_T5_mT6_T7_P12ihipStream_tbENKUlT_T0_E_clISt17integral_constantIbLb1EES13_EEDaSY_SZ_EUlSY_E_NS1_11comp_targetILNS1_3genE5ELNS1_11target_archE942ELNS1_3gpuE9ELNS1_3repE0EEENS1_30default_config_static_selectorELNS0_4arch9wavefront6targetE0EEEvT1_.numbered_sgpr, 0
	.set _ZN7rocprim17ROCPRIM_400000_NS6detail17trampoline_kernelINS0_14default_configENS1_27scan_by_key_config_selectorIj11FixedVectorIiLj1EEEEZZNS1_16scan_by_key_implILNS1_25lookback_scan_determinismE0ELb1ES3_N6thrust23THRUST_200600_302600_NS6detail15normal_iteratorINSB_10device_ptrIjEEEENSD_INSE_IS6_EEEESI_S6_NSB_4plusIvEENSB_8equal_toIvEES6_EE10hipError_tPvRmT2_T3_T4_T5_mT6_T7_P12ihipStream_tbENKUlT_T0_E_clISt17integral_constantIbLb1EES13_EEDaSY_SZ_EUlSY_E_NS1_11comp_targetILNS1_3genE5ELNS1_11target_archE942ELNS1_3gpuE9ELNS1_3repE0EEENS1_30default_config_static_selectorELNS0_4arch9wavefront6targetE0EEEvT1_.num_named_barrier, 0
	.set _ZN7rocprim17ROCPRIM_400000_NS6detail17trampoline_kernelINS0_14default_configENS1_27scan_by_key_config_selectorIj11FixedVectorIiLj1EEEEZZNS1_16scan_by_key_implILNS1_25lookback_scan_determinismE0ELb1ES3_N6thrust23THRUST_200600_302600_NS6detail15normal_iteratorINSB_10device_ptrIjEEEENSD_INSE_IS6_EEEESI_S6_NSB_4plusIvEENSB_8equal_toIvEES6_EE10hipError_tPvRmT2_T3_T4_T5_mT6_T7_P12ihipStream_tbENKUlT_T0_E_clISt17integral_constantIbLb1EES13_EEDaSY_SZ_EUlSY_E_NS1_11comp_targetILNS1_3genE5ELNS1_11target_archE942ELNS1_3gpuE9ELNS1_3repE0EEENS1_30default_config_static_selectorELNS0_4arch9wavefront6targetE0EEEvT1_.private_seg_size, 0
	.set _ZN7rocprim17ROCPRIM_400000_NS6detail17trampoline_kernelINS0_14default_configENS1_27scan_by_key_config_selectorIj11FixedVectorIiLj1EEEEZZNS1_16scan_by_key_implILNS1_25lookback_scan_determinismE0ELb1ES3_N6thrust23THRUST_200600_302600_NS6detail15normal_iteratorINSB_10device_ptrIjEEEENSD_INSE_IS6_EEEESI_S6_NSB_4plusIvEENSB_8equal_toIvEES6_EE10hipError_tPvRmT2_T3_T4_T5_mT6_T7_P12ihipStream_tbENKUlT_T0_E_clISt17integral_constantIbLb1EES13_EEDaSY_SZ_EUlSY_E_NS1_11comp_targetILNS1_3genE5ELNS1_11target_archE942ELNS1_3gpuE9ELNS1_3repE0EEENS1_30default_config_static_selectorELNS0_4arch9wavefront6targetE0EEEvT1_.uses_vcc, 0
	.set _ZN7rocprim17ROCPRIM_400000_NS6detail17trampoline_kernelINS0_14default_configENS1_27scan_by_key_config_selectorIj11FixedVectorIiLj1EEEEZZNS1_16scan_by_key_implILNS1_25lookback_scan_determinismE0ELb1ES3_N6thrust23THRUST_200600_302600_NS6detail15normal_iteratorINSB_10device_ptrIjEEEENSD_INSE_IS6_EEEESI_S6_NSB_4plusIvEENSB_8equal_toIvEES6_EE10hipError_tPvRmT2_T3_T4_T5_mT6_T7_P12ihipStream_tbENKUlT_T0_E_clISt17integral_constantIbLb1EES13_EEDaSY_SZ_EUlSY_E_NS1_11comp_targetILNS1_3genE5ELNS1_11target_archE942ELNS1_3gpuE9ELNS1_3repE0EEENS1_30default_config_static_selectorELNS0_4arch9wavefront6targetE0EEEvT1_.uses_flat_scratch, 0
	.set _ZN7rocprim17ROCPRIM_400000_NS6detail17trampoline_kernelINS0_14default_configENS1_27scan_by_key_config_selectorIj11FixedVectorIiLj1EEEEZZNS1_16scan_by_key_implILNS1_25lookback_scan_determinismE0ELb1ES3_N6thrust23THRUST_200600_302600_NS6detail15normal_iteratorINSB_10device_ptrIjEEEENSD_INSE_IS6_EEEESI_S6_NSB_4plusIvEENSB_8equal_toIvEES6_EE10hipError_tPvRmT2_T3_T4_T5_mT6_T7_P12ihipStream_tbENKUlT_T0_E_clISt17integral_constantIbLb1EES13_EEDaSY_SZ_EUlSY_E_NS1_11comp_targetILNS1_3genE5ELNS1_11target_archE942ELNS1_3gpuE9ELNS1_3repE0EEENS1_30default_config_static_selectorELNS0_4arch9wavefront6targetE0EEEvT1_.has_dyn_sized_stack, 0
	.set _ZN7rocprim17ROCPRIM_400000_NS6detail17trampoline_kernelINS0_14default_configENS1_27scan_by_key_config_selectorIj11FixedVectorIiLj1EEEEZZNS1_16scan_by_key_implILNS1_25lookback_scan_determinismE0ELb1ES3_N6thrust23THRUST_200600_302600_NS6detail15normal_iteratorINSB_10device_ptrIjEEEENSD_INSE_IS6_EEEESI_S6_NSB_4plusIvEENSB_8equal_toIvEES6_EE10hipError_tPvRmT2_T3_T4_T5_mT6_T7_P12ihipStream_tbENKUlT_T0_E_clISt17integral_constantIbLb1EES13_EEDaSY_SZ_EUlSY_E_NS1_11comp_targetILNS1_3genE5ELNS1_11target_archE942ELNS1_3gpuE9ELNS1_3repE0EEENS1_30default_config_static_selectorELNS0_4arch9wavefront6targetE0EEEvT1_.has_recursion, 0
	.set _ZN7rocprim17ROCPRIM_400000_NS6detail17trampoline_kernelINS0_14default_configENS1_27scan_by_key_config_selectorIj11FixedVectorIiLj1EEEEZZNS1_16scan_by_key_implILNS1_25lookback_scan_determinismE0ELb1ES3_N6thrust23THRUST_200600_302600_NS6detail15normal_iteratorINSB_10device_ptrIjEEEENSD_INSE_IS6_EEEESI_S6_NSB_4plusIvEENSB_8equal_toIvEES6_EE10hipError_tPvRmT2_T3_T4_T5_mT6_T7_P12ihipStream_tbENKUlT_T0_E_clISt17integral_constantIbLb1EES13_EEDaSY_SZ_EUlSY_E_NS1_11comp_targetILNS1_3genE5ELNS1_11target_archE942ELNS1_3gpuE9ELNS1_3repE0EEENS1_30default_config_static_selectorELNS0_4arch9wavefront6targetE0EEEvT1_.has_indirect_call, 0
	.section	.AMDGPU.csdata,"",@progbits
; Kernel info:
; codeLenInByte = 0
; TotalNumSgprs: 0
; NumVgprs: 0
; ScratchSize: 0
; MemoryBound: 0
; FloatMode: 240
; IeeeMode: 1
; LDSByteSize: 0 bytes/workgroup (compile time only)
; SGPRBlocks: 0
; VGPRBlocks: 0
; NumSGPRsForWavesPerEU: 1
; NumVGPRsForWavesPerEU: 1
; NamedBarCnt: 0
; Occupancy: 16
; WaveLimiterHint : 0
; COMPUTE_PGM_RSRC2:SCRATCH_EN: 0
; COMPUTE_PGM_RSRC2:USER_SGPR: 2
; COMPUTE_PGM_RSRC2:TRAP_HANDLER: 0
; COMPUTE_PGM_RSRC2:TGID_X_EN: 1
; COMPUTE_PGM_RSRC2:TGID_Y_EN: 0
; COMPUTE_PGM_RSRC2:TGID_Z_EN: 0
; COMPUTE_PGM_RSRC2:TIDIG_COMP_CNT: 0
	.section	.text._ZN7rocprim17ROCPRIM_400000_NS6detail17trampoline_kernelINS0_14default_configENS1_27scan_by_key_config_selectorIj11FixedVectorIiLj1EEEEZZNS1_16scan_by_key_implILNS1_25lookback_scan_determinismE0ELb1ES3_N6thrust23THRUST_200600_302600_NS6detail15normal_iteratorINSB_10device_ptrIjEEEENSD_INSE_IS6_EEEESI_S6_NSB_4plusIvEENSB_8equal_toIvEES6_EE10hipError_tPvRmT2_T3_T4_T5_mT6_T7_P12ihipStream_tbENKUlT_T0_E_clISt17integral_constantIbLb1EES13_EEDaSY_SZ_EUlSY_E_NS1_11comp_targetILNS1_3genE4ELNS1_11target_archE910ELNS1_3gpuE8ELNS1_3repE0EEENS1_30default_config_static_selectorELNS0_4arch9wavefront6targetE0EEEvT1_,"axG",@progbits,_ZN7rocprim17ROCPRIM_400000_NS6detail17trampoline_kernelINS0_14default_configENS1_27scan_by_key_config_selectorIj11FixedVectorIiLj1EEEEZZNS1_16scan_by_key_implILNS1_25lookback_scan_determinismE0ELb1ES3_N6thrust23THRUST_200600_302600_NS6detail15normal_iteratorINSB_10device_ptrIjEEEENSD_INSE_IS6_EEEESI_S6_NSB_4plusIvEENSB_8equal_toIvEES6_EE10hipError_tPvRmT2_T3_T4_T5_mT6_T7_P12ihipStream_tbENKUlT_T0_E_clISt17integral_constantIbLb1EES13_EEDaSY_SZ_EUlSY_E_NS1_11comp_targetILNS1_3genE4ELNS1_11target_archE910ELNS1_3gpuE8ELNS1_3repE0EEENS1_30default_config_static_selectorELNS0_4arch9wavefront6targetE0EEEvT1_,comdat
	.protected	_ZN7rocprim17ROCPRIM_400000_NS6detail17trampoline_kernelINS0_14default_configENS1_27scan_by_key_config_selectorIj11FixedVectorIiLj1EEEEZZNS1_16scan_by_key_implILNS1_25lookback_scan_determinismE0ELb1ES3_N6thrust23THRUST_200600_302600_NS6detail15normal_iteratorINSB_10device_ptrIjEEEENSD_INSE_IS6_EEEESI_S6_NSB_4plusIvEENSB_8equal_toIvEES6_EE10hipError_tPvRmT2_T3_T4_T5_mT6_T7_P12ihipStream_tbENKUlT_T0_E_clISt17integral_constantIbLb1EES13_EEDaSY_SZ_EUlSY_E_NS1_11comp_targetILNS1_3genE4ELNS1_11target_archE910ELNS1_3gpuE8ELNS1_3repE0EEENS1_30default_config_static_selectorELNS0_4arch9wavefront6targetE0EEEvT1_ ; -- Begin function _ZN7rocprim17ROCPRIM_400000_NS6detail17trampoline_kernelINS0_14default_configENS1_27scan_by_key_config_selectorIj11FixedVectorIiLj1EEEEZZNS1_16scan_by_key_implILNS1_25lookback_scan_determinismE0ELb1ES3_N6thrust23THRUST_200600_302600_NS6detail15normal_iteratorINSB_10device_ptrIjEEEENSD_INSE_IS6_EEEESI_S6_NSB_4plusIvEENSB_8equal_toIvEES6_EE10hipError_tPvRmT2_T3_T4_T5_mT6_T7_P12ihipStream_tbENKUlT_T0_E_clISt17integral_constantIbLb1EES13_EEDaSY_SZ_EUlSY_E_NS1_11comp_targetILNS1_3genE4ELNS1_11target_archE910ELNS1_3gpuE8ELNS1_3repE0EEENS1_30default_config_static_selectorELNS0_4arch9wavefront6targetE0EEEvT1_
	.globl	_ZN7rocprim17ROCPRIM_400000_NS6detail17trampoline_kernelINS0_14default_configENS1_27scan_by_key_config_selectorIj11FixedVectorIiLj1EEEEZZNS1_16scan_by_key_implILNS1_25lookback_scan_determinismE0ELb1ES3_N6thrust23THRUST_200600_302600_NS6detail15normal_iteratorINSB_10device_ptrIjEEEENSD_INSE_IS6_EEEESI_S6_NSB_4plusIvEENSB_8equal_toIvEES6_EE10hipError_tPvRmT2_T3_T4_T5_mT6_T7_P12ihipStream_tbENKUlT_T0_E_clISt17integral_constantIbLb1EES13_EEDaSY_SZ_EUlSY_E_NS1_11comp_targetILNS1_3genE4ELNS1_11target_archE910ELNS1_3gpuE8ELNS1_3repE0EEENS1_30default_config_static_selectorELNS0_4arch9wavefront6targetE0EEEvT1_
	.p2align	8
	.type	_ZN7rocprim17ROCPRIM_400000_NS6detail17trampoline_kernelINS0_14default_configENS1_27scan_by_key_config_selectorIj11FixedVectorIiLj1EEEEZZNS1_16scan_by_key_implILNS1_25lookback_scan_determinismE0ELb1ES3_N6thrust23THRUST_200600_302600_NS6detail15normal_iteratorINSB_10device_ptrIjEEEENSD_INSE_IS6_EEEESI_S6_NSB_4plusIvEENSB_8equal_toIvEES6_EE10hipError_tPvRmT2_T3_T4_T5_mT6_T7_P12ihipStream_tbENKUlT_T0_E_clISt17integral_constantIbLb1EES13_EEDaSY_SZ_EUlSY_E_NS1_11comp_targetILNS1_3genE4ELNS1_11target_archE910ELNS1_3gpuE8ELNS1_3repE0EEENS1_30default_config_static_selectorELNS0_4arch9wavefront6targetE0EEEvT1_,@function
_ZN7rocprim17ROCPRIM_400000_NS6detail17trampoline_kernelINS0_14default_configENS1_27scan_by_key_config_selectorIj11FixedVectorIiLj1EEEEZZNS1_16scan_by_key_implILNS1_25lookback_scan_determinismE0ELb1ES3_N6thrust23THRUST_200600_302600_NS6detail15normal_iteratorINSB_10device_ptrIjEEEENSD_INSE_IS6_EEEESI_S6_NSB_4plusIvEENSB_8equal_toIvEES6_EE10hipError_tPvRmT2_T3_T4_T5_mT6_T7_P12ihipStream_tbENKUlT_T0_E_clISt17integral_constantIbLb1EES13_EEDaSY_SZ_EUlSY_E_NS1_11comp_targetILNS1_3genE4ELNS1_11target_archE910ELNS1_3gpuE8ELNS1_3repE0EEENS1_30default_config_static_selectorELNS0_4arch9wavefront6targetE0EEEvT1_: ; @_ZN7rocprim17ROCPRIM_400000_NS6detail17trampoline_kernelINS0_14default_configENS1_27scan_by_key_config_selectorIj11FixedVectorIiLj1EEEEZZNS1_16scan_by_key_implILNS1_25lookback_scan_determinismE0ELb1ES3_N6thrust23THRUST_200600_302600_NS6detail15normal_iteratorINSB_10device_ptrIjEEEENSD_INSE_IS6_EEEESI_S6_NSB_4plusIvEENSB_8equal_toIvEES6_EE10hipError_tPvRmT2_T3_T4_T5_mT6_T7_P12ihipStream_tbENKUlT_T0_E_clISt17integral_constantIbLb1EES13_EEDaSY_SZ_EUlSY_E_NS1_11comp_targetILNS1_3genE4ELNS1_11target_archE910ELNS1_3gpuE8ELNS1_3repE0EEENS1_30default_config_static_selectorELNS0_4arch9wavefront6targetE0EEEvT1_
; %bb.0:
	.section	.rodata,"a",@progbits
	.p2align	6, 0x0
	.amdhsa_kernel _ZN7rocprim17ROCPRIM_400000_NS6detail17trampoline_kernelINS0_14default_configENS1_27scan_by_key_config_selectorIj11FixedVectorIiLj1EEEEZZNS1_16scan_by_key_implILNS1_25lookback_scan_determinismE0ELb1ES3_N6thrust23THRUST_200600_302600_NS6detail15normal_iteratorINSB_10device_ptrIjEEEENSD_INSE_IS6_EEEESI_S6_NSB_4plusIvEENSB_8equal_toIvEES6_EE10hipError_tPvRmT2_T3_T4_T5_mT6_T7_P12ihipStream_tbENKUlT_T0_E_clISt17integral_constantIbLb1EES13_EEDaSY_SZ_EUlSY_E_NS1_11comp_targetILNS1_3genE4ELNS1_11target_archE910ELNS1_3gpuE8ELNS1_3repE0EEENS1_30default_config_static_selectorELNS0_4arch9wavefront6targetE0EEEvT1_
		.amdhsa_group_segment_fixed_size 0
		.amdhsa_private_segment_fixed_size 0
		.amdhsa_kernarg_size 112
		.amdhsa_user_sgpr_count 2
		.amdhsa_user_sgpr_dispatch_ptr 0
		.amdhsa_user_sgpr_queue_ptr 0
		.amdhsa_user_sgpr_kernarg_segment_ptr 1
		.amdhsa_user_sgpr_dispatch_id 0
		.amdhsa_user_sgpr_kernarg_preload_length 0
		.amdhsa_user_sgpr_kernarg_preload_offset 0
		.amdhsa_user_sgpr_private_segment_size 0
		.amdhsa_wavefront_size32 1
		.amdhsa_uses_dynamic_stack 0
		.amdhsa_enable_private_segment 0
		.amdhsa_system_sgpr_workgroup_id_x 1
		.amdhsa_system_sgpr_workgroup_id_y 0
		.amdhsa_system_sgpr_workgroup_id_z 0
		.amdhsa_system_sgpr_workgroup_info 0
		.amdhsa_system_vgpr_workitem_id 0
		.amdhsa_next_free_vgpr 1
		.amdhsa_next_free_sgpr 1
		.amdhsa_named_barrier_count 0
		.amdhsa_reserve_vcc 0
		.amdhsa_float_round_mode_32 0
		.amdhsa_float_round_mode_16_64 0
		.amdhsa_float_denorm_mode_32 3
		.amdhsa_float_denorm_mode_16_64 3
		.amdhsa_fp16_overflow 0
		.amdhsa_memory_ordered 1
		.amdhsa_forward_progress 1
		.amdhsa_inst_pref_size 0
		.amdhsa_round_robin_scheduling 0
		.amdhsa_exception_fp_ieee_invalid_op 0
		.amdhsa_exception_fp_denorm_src 0
		.amdhsa_exception_fp_ieee_div_zero 0
		.amdhsa_exception_fp_ieee_overflow 0
		.amdhsa_exception_fp_ieee_underflow 0
		.amdhsa_exception_fp_ieee_inexact 0
		.amdhsa_exception_int_div_zero 0
	.end_amdhsa_kernel
	.section	.text._ZN7rocprim17ROCPRIM_400000_NS6detail17trampoline_kernelINS0_14default_configENS1_27scan_by_key_config_selectorIj11FixedVectorIiLj1EEEEZZNS1_16scan_by_key_implILNS1_25lookback_scan_determinismE0ELb1ES3_N6thrust23THRUST_200600_302600_NS6detail15normal_iteratorINSB_10device_ptrIjEEEENSD_INSE_IS6_EEEESI_S6_NSB_4plusIvEENSB_8equal_toIvEES6_EE10hipError_tPvRmT2_T3_T4_T5_mT6_T7_P12ihipStream_tbENKUlT_T0_E_clISt17integral_constantIbLb1EES13_EEDaSY_SZ_EUlSY_E_NS1_11comp_targetILNS1_3genE4ELNS1_11target_archE910ELNS1_3gpuE8ELNS1_3repE0EEENS1_30default_config_static_selectorELNS0_4arch9wavefront6targetE0EEEvT1_,"axG",@progbits,_ZN7rocprim17ROCPRIM_400000_NS6detail17trampoline_kernelINS0_14default_configENS1_27scan_by_key_config_selectorIj11FixedVectorIiLj1EEEEZZNS1_16scan_by_key_implILNS1_25lookback_scan_determinismE0ELb1ES3_N6thrust23THRUST_200600_302600_NS6detail15normal_iteratorINSB_10device_ptrIjEEEENSD_INSE_IS6_EEEESI_S6_NSB_4plusIvEENSB_8equal_toIvEES6_EE10hipError_tPvRmT2_T3_T4_T5_mT6_T7_P12ihipStream_tbENKUlT_T0_E_clISt17integral_constantIbLb1EES13_EEDaSY_SZ_EUlSY_E_NS1_11comp_targetILNS1_3genE4ELNS1_11target_archE910ELNS1_3gpuE8ELNS1_3repE0EEENS1_30default_config_static_selectorELNS0_4arch9wavefront6targetE0EEEvT1_,comdat
.Lfunc_end1923:
	.size	_ZN7rocprim17ROCPRIM_400000_NS6detail17trampoline_kernelINS0_14default_configENS1_27scan_by_key_config_selectorIj11FixedVectorIiLj1EEEEZZNS1_16scan_by_key_implILNS1_25lookback_scan_determinismE0ELb1ES3_N6thrust23THRUST_200600_302600_NS6detail15normal_iteratorINSB_10device_ptrIjEEEENSD_INSE_IS6_EEEESI_S6_NSB_4plusIvEENSB_8equal_toIvEES6_EE10hipError_tPvRmT2_T3_T4_T5_mT6_T7_P12ihipStream_tbENKUlT_T0_E_clISt17integral_constantIbLb1EES13_EEDaSY_SZ_EUlSY_E_NS1_11comp_targetILNS1_3genE4ELNS1_11target_archE910ELNS1_3gpuE8ELNS1_3repE0EEENS1_30default_config_static_selectorELNS0_4arch9wavefront6targetE0EEEvT1_, .Lfunc_end1923-_ZN7rocprim17ROCPRIM_400000_NS6detail17trampoline_kernelINS0_14default_configENS1_27scan_by_key_config_selectorIj11FixedVectorIiLj1EEEEZZNS1_16scan_by_key_implILNS1_25lookback_scan_determinismE0ELb1ES3_N6thrust23THRUST_200600_302600_NS6detail15normal_iteratorINSB_10device_ptrIjEEEENSD_INSE_IS6_EEEESI_S6_NSB_4plusIvEENSB_8equal_toIvEES6_EE10hipError_tPvRmT2_T3_T4_T5_mT6_T7_P12ihipStream_tbENKUlT_T0_E_clISt17integral_constantIbLb1EES13_EEDaSY_SZ_EUlSY_E_NS1_11comp_targetILNS1_3genE4ELNS1_11target_archE910ELNS1_3gpuE8ELNS1_3repE0EEENS1_30default_config_static_selectorELNS0_4arch9wavefront6targetE0EEEvT1_
                                        ; -- End function
	.set _ZN7rocprim17ROCPRIM_400000_NS6detail17trampoline_kernelINS0_14default_configENS1_27scan_by_key_config_selectorIj11FixedVectorIiLj1EEEEZZNS1_16scan_by_key_implILNS1_25lookback_scan_determinismE0ELb1ES3_N6thrust23THRUST_200600_302600_NS6detail15normal_iteratorINSB_10device_ptrIjEEEENSD_INSE_IS6_EEEESI_S6_NSB_4plusIvEENSB_8equal_toIvEES6_EE10hipError_tPvRmT2_T3_T4_T5_mT6_T7_P12ihipStream_tbENKUlT_T0_E_clISt17integral_constantIbLb1EES13_EEDaSY_SZ_EUlSY_E_NS1_11comp_targetILNS1_3genE4ELNS1_11target_archE910ELNS1_3gpuE8ELNS1_3repE0EEENS1_30default_config_static_selectorELNS0_4arch9wavefront6targetE0EEEvT1_.num_vgpr, 0
	.set _ZN7rocprim17ROCPRIM_400000_NS6detail17trampoline_kernelINS0_14default_configENS1_27scan_by_key_config_selectorIj11FixedVectorIiLj1EEEEZZNS1_16scan_by_key_implILNS1_25lookback_scan_determinismE0ELb1ES3_N6thrust23THRUST_200600_302600_NS6detail15normal_iteratorINSB_10device_ptrIjEEEENSD_INSE_IS6_EEEESI_S6_NSB_4plusIvEENSB_8equal_toIvEES6_EE10hipError_tPvRmT2_T3_T4_T5_mT6_T7_P12ihipStream_tbENKUlT_T0_E_clISt17integral_constantIbLb1EES13_EEDaSY_SZ_EUlSY_E_NS1_11comp_targetILNS1_3genE4ELNS1_11target_archE910ELNS1_3gpuE8ELNS1_3repE0EEENS1_30default_config_static_selectorELNS0_4arch9wavefront6targetE0EEEvT1_.num_agpr, 0
	.set _ZN7rocprim17ROCPRIM_400000_NS6detail17trampoline_kernelINS0_14default_configENS1_27scan_by_key_config_selectorIj11FixedVectorIiLj1EEEEZZNS1_16scan_by_key_implILNS1_25lookback_scan_determinismE0ELb1ES3_N6thrust23THRUST_200600_302600_NS6detail15normal_iteratorINSB_10device_ptrIjEEEENSD_INSE_IS6_EEEESI_S6_NSB_4plusIvEENSB_8equal_toIvEES6_EE10hipError_tPvRmT2_T3_T4_T5_mT6_T7_P12ihipStream_tbENKUlT_T0_E_clISt17integral_constantIbLb1EES13_EEDaSY_SZ_EUlSY_E_NS1_11comp_targetILNS1_3genE4ELNS1_11target_archE910ELNS1_3gpuE8ELNS1_3repE0EEENS1_30default_config_static_selectorELNS0_4arch9wavefront6targetE0EEEvT1_.numbered_sgpr, 0
	.set _ZN7rocprim17ROCPRIM_400000_NS6detail17trampoline_kernelINS0_14default_configENS1_27scan_by_key_config_selectorIj11FixedVectorIiLj1EEEEZZNS1_16scan_by_key_implILNS1_25lookback_scan_determinismE0ELb1ES3_N6thrust23THRUST_200600_302600_NS6detail15normal_iteratorINSB_10device_ptrIjEEEENSD_INSE_IS6_EEEESI_S6_NSB_4plusIvEENSB_8equal_toIvEES6_EE10hipError_tPvRmT2_T3_T4_T5_mT6_T7_P12ihipStream_tbENKUlT_T0_E_clISt17integral_constantIbLb1EES13_EEDaSY_SZ_EUlSY_E_NS1_11comp_targetILNS1_3genE4ELNS1_11target_archE910ELNS1_3gpuE8ELNS1_3repE0EEENS1_30default_config_static_selectorELNS0_4arch9wavefront6targetE0EEEvT1_.num_named_barrier, 0
	.set _ZN7rocprim17ROCPRIM_400000_NS6detail17trampoline_kernelINS0_14default_configENS1_27scan_by_key_config_selectorIj11FixedVectorIiLj1EEEEZZNS1_16scan_by_key_implILNS1_25lookback_scan_determinismE0ELb1ES3_N6thrust23THRUST_200600_302600_NS6detail15normal_iteratorINSB_10device_ptrIjEEEENSD_INSE_IS6_EEEESI_S6_NSB_4plusIvEENSB_8equal_toIvEES6_EE10hipError_tPvRmT2_T3_T4_T5_mT6_T7_P12ihipStream_tbENKUlT_T0_E_clISt17integral_constantIbLb1EES13_EEDaSY_SZ_EUlSY_E_NS1_11comp_targetILNS1_3genE4ELNS1_11target_archE910ELNS1_3gpuE8ELNS1_3repE0EEENS1_30default_config_static_selectorELNS0_4arch9wavefront6targetE0EEEvT1_.private_seg_size, 0
	.set _ZN7rocprim17ROCPRIM_400000_NS6detail17trampoline_kernelINS0_14default_configENS1_27scan_by_key_config_selectorIj11FixedVectorIiLj1EEEEZZNS1_16scan_by_key_implILNS1_25lookback_scan_determinismE0ELb1ES3_N6thrust23THRUST_200600_302600_NS6detail15normal_iteratorINSB_10device_ptrIjEEEENSD_INSE_IS6_EEEESI_S6_NSB_4plusIvEENSB_8equal_toIvEES6_EE10hipError_tPvRmT2_T3_T4_T5_mT6_T7_P12ihipStream_tbENKUlT_T0_E_clISt17integral_constantIbLb1EES13_EEDaSY_SZ_EUlSY_E_NS1_11comp_targetILNS1_3genE4ELNS1_11target_archE910ELNS1_3gpuE8ELNS1_3repE0EEENS1_30default_config_static_selectorELNS0_4arch9wavefront6targetE0EEEvT1_.uses_vcc, 0
	.set _ZN7rocprim17ROCPRIM_400000_NS6detail17trampoline_kernelINS0_14default_configENS1_27scan_by_key_config_selectorIj11FixedVectorIiLj1EEEEZZNS1_16scan_by_key_implILNS1_25lookback_scan_determinismE0ELb1ES3_N6thrust23THRUST_200600_302600_NS6detail15normal_iteratorINSB_10device_ptrIjEEEENSD_INSE_IS6_EEEESI_S6_NSB_4plusIvEENSB_8equal_toIvEES6_EE10hipError_tPvRmT2_T3_T4_T5_mT6_T7_P12ihipStream_tbENKUlT_T0_E_clISt17integral_constantIbLb1EES13_EEDaSY_SZ_EUlSY_E_NS1_11comp_targetILNS1_3genE4ELNS1_11target_archE910ELNS1_3gpuE8ELNS1_3repE0EEENS1_30default_config_static_selectorELNS0_4arch9wavefront6targetE0EEEvT1_.uses_flat_scratch, 0
	.set _ZN7rocprim17ROCPRIM_400000_NS6detail17trampoline_kernelINS0_14default_configENS1_27scan_by_key_config_selectorIj11FixedVectorIiLj1EEEEZZNS1_16scan_by_key_implILNS1_25lookback_scan_determinismE0ELb1ES3_N6thrust23THRUST_200600_302600_NS6detail15normal_iteratorINSB_10device_ptrIjEEEENSD_INSE_IS6_EEEESI_S6_NSB_4plusIvEENSB_8equal_toIvEES6_EE10hipError_tPvRmT2_T3_T4_T5_mT6_T7_P12ihipStream_tbENKUlT_T0_E_clISt17integral_constantIbLb1EES13_EEDaSY_SZ_EUlSY_E_NS1_11comp_targetILNS1_3genE4ELNS1_11target_archE910ELNS1_3gpuE8ELNS1_3repE0EEENS1_30default_config_static_selectorELNS0_4arch9wavefront6targetE0EEEvT1_.has_dyn_sized_stack, 0
	.set _ZN7rocprim17ROCPRIM_400000_NS6detail17trampoline_kernelINS0_14default_configENS1_27scan_by_key_config_selectorIj11FixedVectorIiLj1EEEEZZNS1_16scan_by_key_implILNS1_25lookback_scan_determinismE0ELb1ES3_N6thrust23THRUST_200600_302600_NS6detail15normal_iteratorINSB_10device_ptrIjEEEENSD_INSE_IS6_EEEESI_S6_NSB_4plusIvEENSB_8equal_toIvEES6_EE10hipError_tPvRmT2_T3_T4_T5_mT6_T7_P12ihipStream_tbENKUlT_T0_E_clISt17integral_constantIbLb1EES13_EEDaSY_SZ_EUlSY_E_NS1_11comp_targetILNS1_3genE4ELNS1_11target_archE910ELNS1_3gpuE8ELNS1_3repE0EEENS1_30default_config_static_selectorELNS0_4arch9wavefront6targetE0EEEvT1_.has_recursion, 0
	.set _ZN7rocprim17ROCPRIM_400000_NS6detail17trampoline_kernelINS0_14default_configENS1_27scan_by_key_config_selectorIj11FixedVectorIiLj1EEEEZZNS1_16scan_by_key_implILNS1_25lookback_scan_determinismE0ELb1ES3_N6thrust23THRUST_200600_302600_NS6detail15normal_iteratorINSB_10device_ptrIjEEEENSD_INSE_IS6_EEEESI_S6_NSB_4plusIvEENSB_8equal_toIvEES6_EE10hipError_tPvRmT2_T3_T4_T5_mT6_T7_P12ihipStream_tbENKUlT_T0_E_clISt17integral_constantIbLb1EES13_EEDaSY_SZ_EUlSY_E_NS1_11comp_targetILNS1_3genE4ELNS1_11target_archE910ELNS1_3gpuE8ELNS1_3repE0EEENS1_30default_config_static_selectorELNS0_4arch9wavefront6targetE0EEEvT1_.has_indirect_call, 0
	.section	.AMDGPU.csdata,"",@progbits
; Kernel info:
; codeLenInByte = 0
; TotalNumSgprs: 0
; NumVgprs: 0
; ScratchSize: 0
; MemoryBound: 0
; FloatMode: 240
; IeeeMode: 1
; LDSByteSize: 0 bytes/workgroup (compile time only)
; SGPRBlocks: 0
; VGPRBlocks: 0
; NumSGPRsForWavesPerEU: 1
; NumVGPRsForWavesPerEU: 1
; NamedBarCnt: 0
; Occupancy: 16
; WaveLimiterHint : 0
; COMPUTE_PGM_RSRC2:SCRATCH_EN: 0
; COMPUTE_PGM_RSRC2:USER_SGPR: 2
; COMPUTE_PGM_RSRC2:TRAP_HANDLER: 0
; COMPUTE_PGM_RSRC2:TGID_X_EN: 1
; COMPUTE_PGM_RSRC2:TGID_Y_EN: 0
; COMPUTE_PGM_RSRC2:TGID_Z_EN: 0
; COMPUTE_PGM_RSRC2:TIDIG_COMP_CNT: 0
	.section	.text._ZN7rocprim17ROCPRIM_400000_NS6detail17trampoline_kernelINS0_14default_configENS1_27scan_by_key_config_selectorIj11FixedVectorIiLj1EEEEZZNS1_16scan_by_key_implILNS1_25lookback_scan_determinismE0ELb1ES3_N6thrust23THRUST_200600_302600_NS6detail15normal_iteratorINSB_10device_ptrIjEEEENSD_INSE_IS6_EEEESI_S6_NSB_4plusIvEENSB_8equal_toIvEES6_EE10hipError_tPvRmT2_T3_T4_T5_mT6_T7_P12ihipStream_tbENKUlT_T0_E_clISt17integral_constantIbLb1EES13_EEDaSY_SZ_EUlSY_E_NS1_11comp_targetILNS1_3genE3ELNS1_11target_archE908ELNS1_3gpuE7ELNS1_3repE0EEENS1_30default_config_static_selectorELNS0_4arch9wavefront6targetE0EEEvT1_,"axG",@progbits,_ZN7rocprim17ROCPRIM_400000_NS6detail17trampoline_kernelINS0_14default_configENS1_27scan_by_key_config_selectorIj11FixedVectorIiLj1EEEEZZNS1_16scan_by_key_implILNS1_25lookback_scan_determinismE0ELb1ES3_N6thrust23THRUST_200600_302600_NS6detail15normal_iteratorINSB_10device_ptrIjEEEENSD_INSE_IS6_EEEESI_S6_NSB_4plusIvEENSB_8equal_toIvEES6_EE10hipError_tPvRmT2_T3_T4_T5_mT6_T7_P12ihipStream_tbENKUlT_T0_E_clISt17integral_constantIbLb1EES13_EEDaSY_SZ_EUlSY_E_NS1_11comp_targetILNS1_3genE3ELNS1_11target_archE908ELNS1_3gpuE7ELNS1_3repE0EEENS1_30default_config_static_selectorELNS0_4arch9wavefront6targetE0EEEvT1_,comdat
	.protected	_ZN7rocprim17ROCPRIM_400000_NS6detail17trampoline_kernelINS0_14default_configENS1_27scan_by_key_config_selectorIj11FixedVectorIiLj1EEEEZZNS1_16scan_by_key_implILNS1_25lookback_scan_determinismE0ELb1ES3_N6thrust23THRUST_200600_302600_NS6detail15normal_iteratorINSB_10device_ptrIjEEEENSD_INSE_IS6_EEEESI_S6_NSB_4plusIvEENSB_8equal_toIvEES6_EE10hipError_tPvRmT2_T3_T4_T5_mT6_T7_P12ihipStream_tbENKUlT_T0_E_clISt17integral_constantIbLb1EES13_EEDaSY_SZ_EUlSY_E_NS1_11comp_targetILNS1_3genE3ELNS1_11target_archE908ELNS1_3gpuE7ELNS1_3repE0EEENS1_30default_config_static_selectorELNS0_4arch9wavefront6targetE0EEEvT1_ ; -- Begin function _ZN7rocprim17ROCPRIM_400000_NS6detail17trampoline_kernelINS0_14default_configENS1_27scan_by_key_config_selectorIj11FixedVectorIiLj1EEEEZZNS1_16scan_by_key_implILNS1_25lookback_scan_determinismE0ELb1ES3_N6thrust23THRUST_200600_302600_NS6detail15normal_iteratorINSB_10device_ptrIjEEEENSD_INSE_IS6_EEEESI_S6_NSB_4plusIvEENSB_8equal_toIvEES6_EE10hipError_tPvRmT2_T3_T4_T5_mT6_T7_P12ihipStream_tbENKUlT_T0_E_clISt17integral_constantIbLb1EES13_EEDaSY_SZ_EUlSY_E_NS1_11comp_targetILNS1_3genE3ELNS1_11target_archE908ELNS1_3gpuE7ELNS1_3repE0EEENS1_30default_config_static_selectorELNS0_4arch9wavefront6targetE0EEEvT1_
	.globl	_ZN7rocprim17ROCPRIM_400000_NS6detail17trampoline_kernelINS0_14default_configENS1_27scan_by_key_config_selectorIj11FixedVectorIiLj1EEEEZZNS1_16scan_by_key_implILNS1_25lookback_scan_determinismE0ELb1ES3_N6thrust23THRUST_200600_302600_NS6detail15normal_iteratorINSB_10device_ptrIjEEEENSD_INSE_IS6_EEEESI_S6_NSB_4plusIvEENSB_8equal_toIvEES6_EE10hipError_tPvRmT2_T3_T4_T5_mT6_T7_P12ihipStream_tbENKUlT_T0_E_clISt17integral_constantIbLb1EES13_EEDaSY_SZ_EUlSY_E_NS1_11comp_targetILNS1_3genE3ELNS1_11target_archE908ELNS1_3gpuE7ELNS1_3repE0EEENS1_30default_config_static_selectorELNS0_4arch9wavefront6targetE0EEEvT1_
	.p2align	8
	.type	_ZN7rocprim17ROCPRIM_400000_NS6detail17trampoline_kernelINS0_14default_configENS1_27scan_by_key_config_selectorIj11FixedVectorIiLj1EEEEZZNS1_16scan_by_key_implILNS1_25lookback_scan_determinismE0ELb1ES3_N6thrust23THRUST_200600_302600_NS6detail15normal_iteratorINSB_10device_ptrIjEEEENSD_INSE_IS6_EEEESI_S6_NSB_4plusIvEENSB_8equal_toIvEES6_EE10hipError_tPvRmT2_T3_T4_T5_mT6_T7_P12ihipStream_tbENKUlT_T0_E_clISt17integral_constantIbLb1EES13_EEDaSY_SZ_EUlSY_E_NS1_11comp_targetILNS1_3genE3ELNS1_11target_archE908ELNS1_3gpuE7ELNS1_3repE0EEENS1_30default_config_static_selectorELNS0_4arch9wavefront6targetE0EEEvT1_,@function
_ZN7rocprim17ROCPRIM_400000_NS6detail17trampoline_kernelINS0_14default_configENS1_27scan_by_key_config_selectorIj11FixedVectorIiLj1EEEEZZNS1_16scan_by_key_implILNS1_25lookback_scan_determinismE0ELb1ES3_N6thrust23THRUST_200600_302600_NS6detail15normal_iteratorINSB_10device_ptrIjEEEENSD_INSE_IS6_EEEESI_S6_NSB_4plusIvEENSB_8equal_toIvEES6_EE10hipError_tPvRmT2_T3_T4_T5_mT6_T7_P12ihipStream_tbENKUlT_T0_E_clISt17integral_constantIbLb1EES13_EEDaSY_SZ_EUlSY_E_NS1_11comp_targetILNS1_3genE3ELNS1_11target_archE908ELNS1_3gpuE7ELNS1_3repE0EEENS1_30default_config_static_selectorELNS0_4arch9wavefront6targetE0EEEvT1_: ; @_ZN7rocprim17ROCPRIM_400000_NS6detail17trampoline_kernelINS0_14default_configENS1_27scan_by_key_config_selectorIj11FixedVectorIiLj1EEEEZZNS1_16scan_by_key_implILNS1_25lookback_scan_determinismE0ELb1ES3_N6thrust23THRUST_200600_302600_NS6detail15normal_iteratorINSB_10device_ptrIjEEEENSD_INSE_IS6_EEEESI_S6_NSB_4plusIvEENSB_8equal_toIvEES6_EE10hipError_tPvRmT2_T3_T4_T5_mT6_T7_P12ihipStream_tbENKUlT_T0_E_clISt17integral_constantIbLb1EES13_EEDaSY_SZ_EUlSY_E_NS1_11comp_targetILNS1_3genE3ELNS1_11target_archE908ELNS1_3gpuE7ELNS1_3repE0EEENS1_30default_config_static_selectorELNS0_4arch9wavefront6targetE0EEEvT1_
; %bb.0:
	.section	.rodata,"a",@progbits
	.p2align	6, 0x0
	.amdhsa_kernel _ZN7rocprim17ROCPRIM_400000_NS6detail17trampoline_kernelINS0_14default_configENS1_27scan_by_key_config_selectorIj11FixedVectorIiLj1EEEEZZNS1_16scan_by_key_implILNS1_25lookback_scan_determinismE0ELb1ES3_N6thrust23THRUST_200600_302600_NS6detail15normal_iteratorINSB_10device_ptrIjEEEENSD_INSE_IS6_EEEESI_S6_NSB_4plusIvEENSB_8equal_toIvEES6_EE10hipError_tPvRmT2_T3_T4_T5_mT6_T7_P12ihipStream_tbENKUlT_T0_E_clISt17integral_constantIbLb1EES13_EEDaSY_SZ_EUlSY_E_NS1_11comp_targetILNS1_3genE3ELNS1_11target_archE908ELNS1_3gpuE7ELNS1_3repE0EEENS1_30default_config_static_selectorELNS0_4arch9wavefront6targetE0EEEvT1_
		.amdhsa_group_segment_fixed_size 0
		.amdhsa_private_segment_fixed_size 0
		.amdhsa_kernarg_size 112
		.amdhsa_user_sgpr_count 2
		.amdhsa_user_sgpr_dispatch_ptr 0
		.amdhsa_user_sgpr_queue_ptr 0
		.amdhsa_user_sgpr_kernarg_segment_ptr 1
		.amdhsa_user_sgpr_dispatch_id 0
		.amdhsa_user_sgpr_kernarg_preload_length 0
		.amdhsa_user_sgpr_kernarg_preload_offset 0
		.amdhsa_user_sgpr_private_segment_size 0
		.amdhsa_wavefront_size32 1
		.amdhsa_uses_dynamic_stack 0
		.amdhsa_enable_private_segment 0
		.amdhsa_system_sgpr_workgroup_id_x 1
		.amdhsa_system_sgpr_workgroup_id_y 0
		.amdhsa_system_sgpr_workgroup_id_z 0
		.amdhsa_system_sgpr_workgroup_info 0
		.amdhsa_system_vgpr_workitem_id 0
		.amdhsa_next_free_vgpr 1
		.amdhsa_next_free_sgpr 1
		.amdhsa_named_barrier_count 0
		.amdhsa_reserve_vcc 0
		.amdhsa_float_round_mode_32 0
		.amdhsa_float_round_mode_16_64 0
		.amdhsa_float_denorm_mode_32 3
		.amdhsa_float_denorm_mode_16_64 3
		.amdhsa_fp16_overflow 0
		.amdhsa_memory_ordered 1
		.amdhsa_forward_progress 1
		.amdhsa_inst_pref_size 0
		.amdhsa_round_robin_scheduling 0
		.amdhsa_exception_fp_ieee_invalid_op 0
		.amdhsa_exception_fp_denorm_src 0
		.amdhsa_exception_fp_ieee_div_zero 0
		.amdhsa_exception_fp_ieee_overflow 0
		.amdhsa_exception_fp_ieee_underflow 0
		.amdhsa_exception_fp_ieee_inexact 0
		.amdhsa_exception_int_div_zero 0
	.end_amdhsa_kernel
	.section	.text._ZN7rocprim17ROCPRIM_400000_NS6detail17trampoline_kernelINS0_14default_configENS1_27scan_by_key_config_selectorIj11FixedVectorIiLj1EEEEZZNS1_16scan_by_key_implILNS1_25lookback_scan_determinismE0ELb1ES3_N6thrust23THRUST_200600_302600_NS6detail15normal_iteratorINSB_10device_ptrIjEEEENSD_INSE_IS6_EEEESI_S6_NSB_4plusIvEENSB_8equal_toIvEES6_EE10hipError_tPvRmT2_T3_T4_T5_mT6_T7_P12ihipStream_tbENKUlT_T0_E_clISt17integral_constantIbLb1EES13_EEDaSY_SZ_EUlSY_E_NS1_11comp_targetILNS1_3genE3ELNS1_11target_archE908ELNS1_3gpuE7ELNS1_3repE0EEENS1_30default_config_static_selectorELNS0_4arch9wavefront6targetE0EEEvT1_,"axG",@progbits,_ZN7rocprim17ROCPRIM_400000_NS6detail17trampoline_kernelINS0_14default_configENS1_27scan_by_key_config_selectorIj11FixedVectorIiLj1EEEEZZNS1_16scan_by_key_implILNS1_25lookback_scan_determinismE0ELb1ES3_N6thrust23THRUST_200600_302600_NS6detail15normal_iteratorINSB_10device_ptrIjEEEENSD_INSE_IS6_EEEESI_S6_NSB_4plusIvEENSB_8equal_toIvEES6_EE10hipError_tPvRmT2_T3_T4_T5_mT6_T7_P12ihipStream_tbENKUlT_T0_E_clISt17integral_constantIbLb1EES13_EEDaSY_SZ_EUlSY_E_NS1_11comp_targetILNS1_3genE3ELNS1_11target_archE908ELNS1_3gpuE7ELNS1_3repE0EEENS1_30default_config_static_selectorELNS0_4arch9wavefront6targetE0EEEvT1_,comdat
.Lfunc_end1924:
	.size	_ZN7rocprim17ROCPRIM_400000_NS6detail17trampoline_kernelINS0_14default_configENS1_27scan_by_key_config_selectorIj11FixedVectorIiLj1EEEEZZNS1_16scan_by_key_implILNS1_25lookback_scan_determinismE0ELb1ES3_N6thrust23THRUST_200600_302600_NS6detail15normal_iteratorINSB_10device_ptrIjEEEENSD_INSE_IS6_EEEESI_S6_NSB_4plusIvEENSB_8equal_toIvEES6_EE10hipError_tPvRmT2_T3_T4_T5_mT6_T7_P12ihipStream_tbENKUlT_T0_E_clISt17integral_constantIbLb1EES13_EEDaSY_SZ_EUlSY_E_NS1_11comp_targetILNS1_3genE3ELNS1_11target_archE908ELNS1_3gpuE7ELNS1_3repE0EEENS1_30default_config_static_selectorELNS0_4arch9wavefront6targetE0EEEvT1_, .Lfunc_end1924-_ZN7rocprim17ROCPRIM_400000_NS6detail17trampoline_kernelINS0_14default_configENS1_27scan_by_key_config_selectorIj11FixedVectorIiLj1EEEEZZNS1_16scan_by_key_implILNS1_25lookback_scan_determinismE0ELb1ES3_N6thrust23THRUST_200600_302600_NS6detail15normal_iteratorINSB_10device_ptrIjEEEENSD_INSE_IS6_EEEESI_S6_NSB_4plusIvEENSB_8equal_toIvEES6_EE10hipError_tPvRmT2_T3_T4_T5_mT6_T7_P12ihipStream_tbENKUlT_T0_E_clISt17integral_constantIbLb1EES13_EEDaSY_SZ_EUlSY_E_NS1_11comp_targetILNS1_3genE3ELNS1_11target_archE908ELNS1_3gpuE7ELNS1_3repE0EEENS1_30default_config_static_selectorELNS0_4arch9wavefront6targetE0EEEvT1_
                                        ; -- End function
	.set _ZN7rocprim17ROCPRIM_400000_NS6detail17trampoline_kernelINS0_14default_configENS1_27scan_by_key_config_selectorIj11FixedVectorIiLj1EEEEZZNS1_16scan_by_key_implILNS1_25lookback_scan_determinismE0ELb1ES3_N6thrust23THRUST_200600_302600_NS6detail15normal_iteratorINSB_10device_ptrIjEEEENSD_INSE_IS6_EEEESI_S6_NSB_4plusIvEENSB_8equal_toIvEES6_EE10hipError_tPvRmT2_T3_T4_T5_mT6_T7_P12ihipStream_tbENKUlT_T0_E_clISt17integral_constantIbLb1EES13_EEDaSY_SZ_EUlSY_E_NS1_11comp_targetILNS1_3genE3ELNS1_11target_archE908ELNS1_3gpuE7ELNS1_3repE0EEENS1_30default_config_static_selectorELNS0_4arch9wavefront6targetE0EEEvT1_.num_vgpr, 0
	.set _ZN7rocprim17ROCPRIM_400000_NS6detail17trampoline_kernelINS0_14default_configENS1_27scan_by_key_config_selectorIj11FixedVectorIiLj1EEEEZZNS1_16scan_by_key_implILNS1_25lookback_scan_determinismE0ELb1ES3_N6thrust23THRUST_200600_302600_NS6detail15normal_iteratorINSB_10device_ptrIjEEEENSD_INSE_IS6_EEEESI_S6_NSB_4plusIvEENSB_8equal_toIvEES6_EE10hipError_tPvRmT2_T3_T4_T5_mT6_T7_P12ihipStream_tbENKUlT_T0_E_clISt17integral_constantIbLb1EES13_EEDaSY_SZ_EUlSY_E_NS1_11comp_targetILNS1_3genE3ELNS1_11target_archE908ELNS1_3gpuE7ELNS1_3repE0EEENS1_30default_config_static_selectorELNS0_4arch9wavefront6targetE0EEEvT1_.num_agpr, 0
	.set _ZN7rocprim17ROCPRIM_400000_NS6detail17trampoline_kernelINS0_14default_configENS1_27scan_by_key_config_selectorIj11FixedVectorIiLj1EEEEZZNS1_16scan_by_key_implILNS1_25lookback_scan_determinismE0ELb1ES3_N6thrust23THRUST_200600_302600_NS6detail15normal_iteratorINSB_10device_ptrIjEEEENSD_INSE_IS6_EEEESI_S6_NSB_4plusIvEENSB_8equal_toIvEES6_EE10hipError_tPvRmT2_T3_T4_T5_mT6_T7_P12ihipStream_tbENKUlT_T0_E_clISt17integral_constantIbLb1EES13_EEDaSY_SZ_EUlSY_E_NS1_11comp_targetILNS1_3genE3ELNS1_11target_archE908ELNS1_3gpuE7ELNS1_3repE0EEENS1_30default_config_static_selectorELNS0_4arch9wavefront6targetE0EEEvT1_.numbered_sgpr, 0
	.set _ZN7rocprim17ROCPRIM_400000_NS6detail17trampoline_kernelINS0_14default_configENS1_27scan_by_key_config_selectorIj11FixedVectorIiLj1EEEEZZNS1_16scan_by_key_implILNS1_25lookback_scan_determinismE0ELb1ES3_N6thrust23THRUST_200600_302600_NS6detail15normal_iteratorINSB_10device_ptrIjEEEENSD_INSE_IS6_EEEESI_S6_NSB_4plusIvEENSB_8equal_toIvEES6_EE10hipError_tPvRmT2_T3_T4_T5_mT6_T7_P12ihipStream_tbENKUlT_T0_E_clISt17integral_constantIbLb1EES13_EEDaSY_SZ_EUlSY_E_NS1_11comp_targetILNS1_3genE3ELNS1_11target_archE908ELNS1_3gpuE7ELNS1_3repE0EEENS1_30default_config_static_selectorELNS0_4arch9wavefront6targetE0EEEvT1_.num_named_barrier, 0
	.set _ZN7rocprim17ROCPRIM_400000_NS6detail17trampoline_kernelINS0_14default_configENS1_27scan_by_key_config_selectorIj11FixedVectorIiLj1EEEEZZNS1_16scan_by_key_implILNS1_25lookback_scan_determinismE0ELb1ES3_N6thrust23THRUST_200600_302600_NS6detail15normal_iteratorINSB_10device_ptrIjEEEENSD_INSE_IS6_EEEESI_S6_NSB_4plusIvEENSB_8equal_toIvEES6_EE10hipError_tPvRmT2_T3_T4_T5_mT6_T7_P12ihipStream_tbENKUlT_T0_E_clISt17integral_constantIbLb1EES13_EEDaSY_SZ_EUlSY_E_NS1_11comp_targetILNS1_3genE3ELNS1_11target_archE908ELNS1_3gpuE7ELNS1_3repE0EEENS1_30default_config_static_selectorELNS0_4arch9wavefront6targetE0EEEvT1_.private_seg_size, 0
	.set _ZN7rocprim17ROCPRIM_400000_NS6detail17trampoline_kernelINS0_14default_configENS1_27scan_by_key_config_selectorIj11FixedVectorIiLj1EEEEZZNS1_16scan_by_key_implILNS1_25lookback_scan_determinismE0ELb1ES3_N6thrust23THRUST_200600_302600_NS6detail15normal_iteratorINSB_10device_ptrIjEEEENSD_INSE_IS6_EEEESI_S6_NSB_4plusIvEENSB_8equal_toIvEES6_EE10hipError_tPvRmT2_T3_T4_T5_mT6_T7_P12ihipStream_tbENKUlT_T0_E_clISt17integral_constantIbLb1EES13_EEDaSY_SZ_EUlSY_E_NS1_11comp_targetILNS1_3genE3ELNS1_11target_archE908ELNS1_3gpuE7ELNS1_3repE0EEENS1_30default_config_static_selectorELNS0_4arch9wavefront6targetE0EEEvT1_.uses_vcc, 0
	.set _ZN7rocprim17ROCPRIM_400000_NS6detail17trampoline_kernelINS0_14default_configENS1_27scan_by_key_config_selectorIj11FixedVectorIiLj1EEEEZZNS1_16scan_by_key_implILNS1_25lookback_scan_determinismE0ELb1ES3_N6thrust23THRUST_200600_302600_NS6detail15normal_iteratorINSB_10device_ptrIjEEEENSD_INSE_IS6_EEEESI_S6_NSB_4plusIvEENSB_8equal_toIvEES6_EE10hipError_tPvRmT2_T3_T4_T5_mT6_T7_P12ihipStream_tbENKUlT_T0_E_clISt17integral_constantIbLb1EES13_EEDaSY_SZ_EUlSY_E_NS1_11comp_targetILNS1_3genE3ELNS1_11target_archE908ELNS1_3gpuE7ELNS1_3repE0EEENS1_30default_config_static_selectorELNS0_4arch9wavefront6targetE0EEEvT1_.uses_flat_scratch, 0
	.set _ZN7rocprim17ROCPRIM_400000_NS6detail17trampoline_kernelINS0_14default_configENS1_27scan_by_key_config_selectorIj11FixedVectorIiLj1EEEEZZNS1_16scan_by_key_implILNS1_25lookback_scan_determinismE0ELb1ES3_N6thrust23THRUST_200600_302600_NS6detail15normal_iteratorINSB_10device_ptrIjEEEENSD_INSE_IS6_EEEESI_S6_NSB_4plusIvEENSB_8equal_toIvEES6_EE10hipError_tPvRmT2_T3_T4_T5_mT6_T7_P12ihipStream_tbENKUlT_T0_E_clISt17integral_constantIbLb1EES13_EEDaSY_SZ_EUlSY_E_NS1_11comp_targetILNS1_3genE3ELNS1_11target_archE908ELNS1_3gpuE7ELNS1_3repE0EEENS1_30default_config_static_selectorELNS0_4arch9wavefront6targetE0EEEvT1_.has_dyn_sized_stack, 0
	.set _ZN7rocprim17ROCPRIM_400000_NS6detail17trampoline_kernelINS0_14default_configENS1_27scan_by_key_config_selectorIj11FixedVectorIiLj1EEEEZZNS1_16scan_by_key_implILNS1_25lookback_scan_determinismE0ELb1ES3_N6thrust23THRUST_200600_302600_NS6detail15normal_iteratorINSB_10device_ptrIjEEEENSD_INSE_IS6_EEEESI_S6_NSB_4plusIvEENSB_8equal_toIvEES6_EE10hipError_tPvRmT2_T3_T4_T5_mT6_T7_P12ihipStream_tbENKUlT_T0_E_clISt17integral_constantIbLb1EES13_EEDaSY_SZ_EUlSY_E_NS1_11comp_targetILNS1_3genE3ELNS1_11target_archE908ELNS1_3gpuE7ELNS1_3repE0EEENS1_30default_config_static_selectorELNS0_4arch9wavefront6targetE0EEEvT1_.has_recursion, 0
	.set _ZN7rocprim17ROCPRIM_400000_NS6detail17trampoline_kernelINS0_14default_configENS1_27scan_by_key_config_selectorIj11FixedVectorIiLj1EEEEZZNS1_16scan_by_key_implILNS1_25lookback_scan_determinismE0ELb1ES3_N6thrust23THRUST_200600_302600_NS6detail15normal_iteratorINSB_10device_ptrIjEEEENSD_INSE_IS6_EEEESI_S6_NSB_4plusIvEENSB_8equal_toIvEES6_EE10hipError_tPvRmT2_T3_T4_T5_mT6_T7_P12ihipStream_tbENKUlT_T0_E_clISt17integral_constantIbLb1EES13_EEDaSY_SZ_EUlSY_E_NS1_11comp_targetILNS1_3genE3ELNS1_11target_archE908ELNS1_3gpuE7ELNS1_3repE0EEENS1_30default_config_static_selectorELNS0_4arch9wavefront6targetE0EEEvT1_.has_indirect_call, 0
	.section	.AMDGPU.csdata,"",@progbits
; Kernel info:
; codeLenInByte = 0
; TotalNumSgprs: 0
; NumVgprs: 0
; ScratchSize: 0
; MemoryBound: 0
; FloatMode: 240
; IeeeMode: 1
; LDSByteSize: 0 bytes/workgroup (compile time only)
; SGPRBlocks: 0
; VGPRBlocks: 0
; NumSGPRsForWavesPerEU: 1
; NumVGPRsForWavesPerEU: 1
; NamedBarCnt: 0
; Occupancy: 16
; WaveLimiterHint : 0
; COMPUTE_PGM_RSRC2:SCRATCH_EN: 0
; COMPUTE_PGM_RSRC2:USER_SGPR: 2
; COMPUTE_PGM_RSRC2:TRAP_HANDLER: 0
; COMPUTE_PGM_RSRC2:TGID_X_EN: 1
; COMPUTE_PGM_RSRC2:TGID_Y_EN: 0
; COMPUTE_PGM_RSRC2:TGID_Z_EN: 0
; COMPUTE_PGM_RSRC2:TIDIG_COMP_CNT: 0
	.section	.text._ZN7rocprim17ROCPRIM_400000_NS6detail17trampoline_kernelINS0_14default_configENS1_27scan_by_key_config_selectorIj11FixedVectorIiLj1EEEEZZNS1_16scan_by_key_implILNS1_25lookback_scan_determinismE0ELb1ES3_N6thrust23THRUST_200600_302600_NS6detail15normal_iteratorINSB_10device_ptrIjEEEENSD_INSE_IS6_EEEESI_S6_NSB_4plusIvEENSB_8equal_toIvEES6_EE10hipError_tPvRmT2_T3_T4_T5_mT6_T7_P12ihipStream_tbENKUlT_T0_E_clISt17integral_constantIbLb1EES13_EEDaSY_SZ_EUlSY_E_NS1_11comp_targetILNS1_3genE2ELNS1_11target_archE906ELNS1_3gpuE6ELNS1_3repE0EEENS1_30default_config_static_selectorELNS0_4arch9wavefront6targetE0EEEvT1_,"axG",@progbits,_ZN7rocprim17ROCPRIM_400000_NS6detail17trampoline_kernelINS0_14default_configENS1_27scan_by_key_config_selectorIj11FixedVectorIiLj1EEEEZZNS1_16scan_by_key_implILNS1_25lookback_scan_determinismE0ELb1ES3_N6thrust23THRUST_200600_302600_NS6detail15normal_iteratorINSB_10device_ptrIjEEEENSD_INSE_IS6_EEEESI_S6_NSB_4plusIvEENSB_8equal_toIvEES6_EE10hipError_tPvRmT2_T3_T4_T5_mT6_T7_P12ihipStream_tbENKUlT_T0_E_clISt17integral_constantIbLb1EES13_EEDaSY_SZ_EUlSY_E_NS1_11comp_targetILNS1_3genE2ELNS1_11target_archE906ELNS1_3gpuE6ELNS1_3repE0EEENS1_30default_config_static_selectorELNS0_4arch9wavefront6targetE0EEEvT1_,comdat
	.protected	_ZN7rocprim17ROCPRIM_400000_NS6detail17trampoline_kernelINS0_14default_configENS1_27scan_by_key_config_selectorIj11FixedVectorIiLj1EEEEZZNS1_16scan_by_key_implILNS1_25lookback_scan_determinismE0ELb1ES3_N6thrust23THRUST_200600_302600_NS6detail15normal_iteratorINSB_10device_ptrIjEEEENSD_INSE_IS6_EEEESI_S6_NSB_4plusIvEENSB_8equal_toIvEES6_EE10hipError_tPvRmT2_T3_T4_T5_mT6_T7_P12ihipStream_tbENKUlT_T0_E_clISt17integral_constantIbLb1EES13_EEDaSY_SZ_EUlSY_E_NS1_11comp_targetILNS1_3genE2ELNS1_11target_archE906ELNS1_3gpuE6ELNS1_3repE0EEENS1_30default_config_static_selectorELNS0_4arch9wavefront6targetE0EEEvT1_ ; -- Begin function _ZN7rocprim17ROCPRIM_400000_NS6detail17trampoline_kernelINS0_14default_configENS1_27scan_by_key_config_selectorIj11FixedVectorIiLj1EEEEZZNS1_16scan_by_key_implILNS1_25lookback_scan_determinismE0ELb1ES3_N6thrust23THRUST_200600_302600_NS6detail15normal_iteratorINSB_10device_ptrIjEEEENSD_INSE_IS6_EEEESI_S6_NSB_4plusIvEENSB_8equal_toIvEES6_EE10hipError_tPvRmT2_T3_T4_T5_mT6_T7_P12ihipStream_tbENKUlT_T0_E_clISt17integral_constantIbLb1EES13_EEDaSY_SZ_EUlSY_E_NS1_11comp_targetILNS1_3genE2ELNS1_11target_archE906ELNS1_3gpuE6ELNS1_3repE0EEENS1_30default_config_static_selectorELNS0_4arch9wavefront6targetE0EEEvT1_
	.globl	_ZN7rocprim17ROCPRIM_400000_NS6detail17trampoline_kernelINS0_14default_configENS1_27scan_by_key_config_selectorIj11FixedVectorIiLj1EEEEZZNS1_16scan_by_key_implILNS1_25lookback_scan_determinismE0ELb1ES3_N6thrust23THRUST_200600_302600_NS6detail15normal_iteratorINSB_10device_ptrIjEEEENSD_INSE_IS6_EEEESI_S6_NSB_4plusIvEENSB_8equal_toIvEES6_EE10hipError_tPvRmT2_T3_T4_T5_mT6_T7_P12ihipStream_tbENKUlT_T0_E_clISt17integral_constantIbLb1EES13_EEDaSY_SZ_EUlSY_E_NS1_11comp_targetILNS1_3genE2ELNS1_11target_archE906ELNS1_3gpuE6ELNS1_3repE0EEENS1_30default_config_static_selectorELNS0_4arch9wavefront6targetE0EEEvT1_
	.p2align	8
	.type	_ZN7rocprim17ROCPRIM_400000_NS6detail17trampoline_kernelINS0_14default_configENS1_27scan_by_key_config_selectorIj11FixedVectorIiLj1EEEEZZNS1_16scan_by_key_implILNS1_25lookback_scan_determinismE0ELb1ES3_N6thrust23THRUST_200600_302600_NS6detail15normal_iteratorINSB_10device_ptrIjEEEENSD_INSE_IS6_EEEESI_S6_NSB_4plusIvEENSB_8equal_toIvEES6_EE10hipError_tPvRmT2_T3_T4_T5_mT6_T7_P12ihipStream_tbENKUlT_T0_E_clISt17integral_constantIbLb1EES13_EEDaSY_SZ_EUlSY_E_NS1_11comp_targetILNS1_3genE2ELNS1_11target_archE906ELNS1_3gpuE6ELNS1_3repE0EEENS1_30default_config_static_selectorELNS0_4arch9wavefront6targetE0EEEvT1_,@function
_ZN7rocprim17ROCPRIM_400000_NS6detail17trampoline_kernelINS0_14default_configENS1_27scan_by_key_config_selectorIj11FixedVectorIiLj1EEEEZZNS1_16scan_by_key_implILNS1_25lookback_scan_determinismE0ELb1ES3_N6thrust23THRUST_200600_302600_NS6detail15normal_iteratorINSB_10device_ptrIjEEEENSD_INSE_IS6_EEEESI_S6_NSB_4plusIvEENSB_8equal_toIvEES6_EE10hipError_tPvRmT2_T3_T4_T5_mT6_T7_P12ihipStream_tbENKUlT_T0_E_clISt17integral_constantIbLb1EES13_EEDaSY_SZ_EUlSY_E_NS1_11comp_targetILNS1_3genE2ELNS1_11target_archE906ELNS1_3gpuE6ELNS1_3repE0EEENS1_30default_config_static_selectorELNS0_4arch9wavefront6targetE0EEEvT1_: ; @_ZN7rocprim17ROCPRIM_400000_NS6detail17trampoline_kernelINS0_14default_configENS1_27scan_by_key_config_selectorIj11FixedVectorIiLj1EEEEZZNS1_16scan_by_key_implILNS1_25lookback_scan_determinismE0ELb1ES3_N6thrust23THRUST_200600_302600_NS6detail15normal_iteratorINSB_10device_ptrIjEEEENSD_INSE_IS6_EEEESI_S6_NSB_4plusIvEENSB_8equal_toIvEES6_EE10hipError_tPvRmT2_T3_T4_T5_mT6_T7_P12ihipStream_tbENKUlT_T0_E_clISt17integral_constantIbLb1EES13_EEDaSY_SZ_EUlSY_E_NS1_11comp_targetILNS1_3genE2ELNS1_11target_archE906ELNS1_3gpuE6ELNS1_3repE0EEENS1_30default_config_static_selectorELNS0_4arch9wavefront6targetE0EEEvT1_
; %bb.0:
	.section	.rodata,"a",@progbits
	.p2align	6, 0x0
	.amdhsa_kernel _ZN7rocprim17ROCPRIM_400000_NS6detail17trampoline_kernelINS0_14default_configENS1_27scan_by_key_config_selectorIj11FixedVectorIiLj1EEEEZZNS1_16scan_by_key_implILNS1_25lookback_scan_determinismE0ELb1ES3_N6thrust23THRUST_200600_302600_NS6detail15normal_iteratorINSB_10device_ptrIjEEEENSD_INSE_IS6_EEEESI_S6_NSB_4plusIvEENSB_8equal_toIvEES6_EE10hipError_tPvRmT2_T3_T4_T5_mT6_T7_P12ihipStream_tbENKUlT_T0_E_clISt17integral_constantIbLb1EES13_EEDaSY_SZ_EUlSY_E_NS1_11comp_targetILNS1_3genE2ELNS1_11target_archE906ELNS1_3gpuE6ELNS1_3repE0EEENS1_30default_config_static_selectorELNS0_4arch9wavefront6targetE0EEEvT1_
		.amdhsa_group_segment_fixed_size 0
		.amdhsa_private_segment_fixed_size 0
		.amdhsa_kernarg_size 112
		.amdhsa_user_sgpr_count 2
		.amdhsa_user_sgpr_dispatch_ptr 0
		.amdhsa_user_sgpr_queue_ptr 0
		.amdhsa_user_sgpr_kernarg_segment_ptr 1
		.amdhsa_user_sgpr_dispatch_id 0
		.amdhsa_user_sgpr_kernarg_preload_length 0
		.amdhsa_user_sgpr_kernarg_preload_offset 0
		.amdhsa_user_sgpr_private_segment_size 0
		.amdhsa_wavefront_size32 1
		.amdhsa_uses_dynamic_stack 0
		.amdhsa_enable_private_segment 0
		.amdhsa_system_sgpr_workgroup_id_x 1
		.amdhsa_system_sgpr_workgroup_id_y 0
		.amdhsa_system_sgpr_workgroup_id_z 0
		.amdhsa_system_sgpr_workgroup_info 0
		.amdhsa_system_vgpr_workitem_id 0
		.amdhsa_next_free_vgpr 1
		.amdhsa_next_free_sgpr 1
		.amdhsa_named_barrier_count 0
		.amdhsa_reserve_vcc 0
		.amdhsa_float_round_mode_32 0
		.amdhsa_float_round_mode_16_64 0
		.amdhsa_float_denorm_mode_32 3
		.amdhsa_float_denorm_mode_16_64 3
		.amdhsa_fp16_overflow 0
		.amdhsa_memory_ordered 1
		.amdhsa_forward_progress 1
		.amdhsa_inst_pref_size 0
		.amdhsa_round_robin_scheduling 0
		.amdhsa_exception_fp_ieee_invalid_op 0
		.amdhsa_exception_fp_denorm_src 0
		.amdhsa_exception_fp_ieee_div_zero 0
		.amdhsa_exception_fp_ieee_overflow 0
		.amdhsa_exception_fp_ieee_underflow 0
		.amdhsa_exception_fp_ieee_inexact 0
		.amdhsa_exception_int_div_zero 0
	.end_amdhsa_kernel
	.section	.text._ZN7rocprim17ROCPRIM_400000_NS6detail17trampoline_kernelINS0_14default_configENS1_27scan_by_key_config_selectorIj11FixedVectorIiLj1EEEEZZNS1_16scan_by_key_implILNS1_25lookback_scan_determinismE0ELb1ES3_N6thrust23THRUST_200600_302600_NS6detail15normal_iteratorINSB_10device_ptrIjEEEENSD_INSE_IS6_EEEESI_S6_NSB_4plusIvEENSB_8equal_toIvEES6_EE10hipError_tPvRmT2_T3_T4_T5_mT6_T7_P12ihipStream_tbENKUlT_T0_E_clISt17integral_constantIbLb1EES13_EEDaSY_SZ_EUlSY_E_NS1_11comp_targetILNS1_3genE2ELNS1_11target_archE906ELNS1_3gpuE6ELNS1_3repE0EEENS1_30default_config_static_selectorELNS0_4arch9wavefront6targetE0EEEvT1_,"axG",@progbits,_ZN7rocprim17ROCPRIM_400000_NS6detail17trampoline_kernelINS0_14default_configENS1_27scan_by_key_config_selectorIj11FixedVectorIiLj1EEEEZZNS1_16scan_by_key_implILNS1_25lookback_scan_determinismE0ELb1ES3_N6thrust23THRUST_200600_302600_NS6detail15normal_iteratorINSB_10device_ptrIjEEEENSD_INSE_IS6_EEEESI_S6_NSB_4plusIvEENSB_8equal_toIvEES6_EE10hipError_tPvRmT2_T3_T4_T5_mT6_T7_P12ihipStream_tbENKUlT_T0_E_clISt17integral_constantIbLb1EES13_EEDaSY_SZ_EUlSY_E_NS1_11comp_targetILNS1_3genE2ELNS1_11target_archE906ELNS1_3gpuE6ELNS1_3repE0EEENS1_30default_config_static_selectorELNS0_4arch9wavefront6targetE0EEEvT1_,comdat
.Lfunc_end1925:
	.size	_ZN7rocprim17ROCPRIM_400000_NS6detail17trampoline_kernelINS0_14default_configENS1_27scan_by_key_config_selectorIj11FixedVectorIiLj1EEEEZZNS1_16scan_by_key_implILNS1_25lookback_scan_determinismE0ELb1ES3_N6thrust23THRUST_200600_302600_NS6detail15normal_iteratorINSB_10device_ptrIjEEEENSD_INSE_IS6_EEEESI_S6_NSB_4plusIvEENSB_8equal_toIvEES6_EE10hipError_tPvRmT2_T3_T4_T5_mT6_T7_P12ihipStream_tbENKUlT_T0_E_clISt17integral_constantIbLb1EES13_EEDaSY_SZ_EUlSY_E_NS1_11comp_targetILNS1_3genE2ELNS1_11target_archE906ELNS1_3gpuE6ELNS1_3repE0EEENS1_30default_config_static_selectorELNS0_4arch9wavefront6targetE0EEEvT1_, .Lfunc_end1925-_ZN7rocprim17ROCPRIM_400000_NS6detail17trampoline_kernelINS0_14default_configENS1_27scan_by_key_config_selectorIj11FixedVectorIiLj1EEEEZZNS1_16scan_by_key_implILNS1_25lookback_scan_determinismE0ELb1ES3_N6thrust23THRUST_200600_302600_NS6detail15normal_iteratorINSB_10device_ptrIjEEEENSD_INSE_IS6_EEEESI_S6_NSB_4plusIvEENSB_8equal_toIvEES6_EE10hipError_tPvRmT2_T3_T4_T5_mT6_T7_P12ihipStream_tbENKUlT_T0_E_clISt17integral_constantIbLb1EES13_EEDaSY_SZ_EUlSY_E_NS1_11comp_targetILNS1_3genE2ELNS1_11target_archE906ELNS1_3gpuE6ELNS1_3repE0EEENS1_30default_config_static_selectorELNS0_4arch9wavefront6targetE0EEEvT1_
                                        ; -- End function
	.set _ZN7rocprim17ROCPRIM_400000_NS6detail17trampoline_kernelINS0_14default_configENS1_27scan_by_key_config_selectorIj11FixedVectorIiLj1EEEEZZNS1_16scan_by_key_implILNS1_25lookback_scan_determinismE0ELb1ES3_N6thrust23THRUST_200600_302600_NS6detail15normal_iteratorINSB_10device_ptrIjEEEENSD_INSE_IS6_EEEESI_S6_NSB_4plusIvEENSB_8equal_toIvEES6_EE10hipError_tPvRmT2_T3_T4_T5_mT6_T7_P12ihipStream_tbENKUlT_T0_E_clISt17integral_constantIbLb1EES13_EEDaSY_SZ_EUlSY_E_NS1_11comp_targetILNS1_3genE2ELNS1_11target_archE906ELNS1_3gpuE6ELNS1_3repE0EEENS1_30default_config_static_selectorELNS0_4arch9wavefront6targetE0EEEvT1_.num_vgpr, 0
	.set _ZN7rocprim17ROCPRIM_400000_NS6detail17trampoline_kernelINS0_14default_configENS1_27scan_by_key_config_selectorIj11FixedVectorIiLj1EEEEZZNS1_16scan_by_key_implILNS1_25lookback_scan_determinismE0ELb1ES3_N6thrust23THRUST_200600_302600_NS6detail15normal_iteratorINSB_10device_ptrIjEEEENSD_INSE_IS6_EEEESI_S6_NSB_4plusIvEENSB_8equal_toIvEES6_EE10hipError_tPvRmT2_T3_T4_T5_mT6_T7_P12ihipStream_tbENKUlT_T0_E_clISt17integral_constantIbLb1EES13_EEDaSY_SZ_EUlSY_E_NS1_11comp_targetILNS1_3genE2ELNS1_11target_archE906ELNS1_3gpuE6ELNS1_3repE0EEENS1_30default_config_static_selectorELNS0_4arch9wavefront6targetE0EEEvT1_.num_agpr, 0
	.set _ZN7rocprim17ROCPRIM_400000_NS6detail17trampoline_kernelINS0_14default_configENS1_27scan_by_key_config_selectorIj11FixedVectorIiLj1EEEEZZNS1_16scan_by_key_implILNS1_25lookback_scan_determinismE0ELb1ES3_N6thrust23THRUST_200600_302600_NS6detail15normal_iteratorINSB_10device_ptrIjEEEENSD_INSE_IS6_EEEESI_S6_NSB_4plusIvEENSB_8equal_toIvEES6_EE10hipError_tPvRmT2_T3_T4_T5_mT6_T7_P12ihipStream_tbENKUlT_T0_E_clISt17integral_constantIbLb1EES13_EEDaSY_SZ_EUlSY_E_NS1_11comp_targetILNS1_3genE2ELNS1_11target_archE906ELNS1_3gpuE6ELNS1_3repE0EEENS1_30default_config_static_selectorELNS0_4arch9wavefront6targetE0EEEvT1_.numbered_sgpr, 0
	.set _ZN7rocprim17ROCPRIM_400000_NS6detail17trampoline_kernelINS0_14default_configENS1_27scan_by_key_config_selectorIj11FixedVectorIiLj1EEEEZZNS1_16scan_by_key_implILNS1_25lookback_scan_determinismE0ELb1ES3_N6thrust23THRUST_200600_302600_NS6detail15normal_iteratorINSB_10device_ptrIjEEEENSD_INSE_IS6_EEEESI_S6_NSB_4plusIvEENSB_8equal_toIvEES6_EE10hipError_tPvRmT2_T3_T4_T5_mT6_T7_P12ihipStream_tbENKUlT_T0_E_clISt17integral_constantIbLb1EES13_EEDaSY_SZ_EUlSY_E_NS1_11comp_targetILNS1_3genE2ELNS1_11target_archE906ELNS1_3gpuE6ELNS1_3repE0EEENS1_30default_config_static_selectorELNS0_4arch9wavefront6targetE0EEEvT1_.num_named_barrier, 0
	.set _ZN7rocprim17ROCPRIM_400000_NS6detail17trampoline_kernelINS0_14default_configENS1_27scan_by_key_config_selectorIj11FixedVectorIiLj1EEEEZZNS1_16scan_by_key_implILNS1_25lookback_scan_determinismE0ELb1ES3_N6thrust23THRUST_200600_302600_NS6detail15normal_iteratorINSB_10device_ptrIjEEEENSD_INSE_IS6_EEEESI_S6_NSB_4plusIvEENSB_8equal_toIvEES6_EE10hipError_tPvRmT2_T3_T4_T5_mT6_T7_P12ihipStream_tbENKUlT_T0_E_clISt17integral_constantIbLb1EES13_EEDaSY_SZ_EUlSY_E_NS1_11comp_targetILNS1_3genE2ELNS1_11target_archE906ELNS1_3gpuE6ELNS1_3repE0EEENS1_30default_config_static_selectorELNS0_4arch9wavefront6targetE0EEEvT1_.private_seg_size, 0
	.set _ZN7rocprim17ROCPRIM_400000_NS6detail17trampoline_kernelINS0_14default_configENS1_27scan_by_key_config_selectorIj11FixedVectorIiLj1EEEEZZNS1_16scan_by_key_implILNS1_25lookback_scan_determinismE0ELb1ES3_N6thrust23THRUST_200600_302600_NS6detail15normal_iteratorINSB_10device_ptrIjEEEENSD_INSE_IS6_EEEESI_S6_NSB_4plusIvEENSB_8equal_toIvEES6_EE10hipError_tPvRmT2_T3_T4_T5_mT6_T7_P12ihipStream_tbENKUlT_T0_E_clISt17integral_constantIbLb1EES13_EEDaSY_SZ_EUlSY_E_NS1_11comp_targetILNS1_3genE2ELNS1_11target_archE906ELNS1_3gpuE6ELNS1_3repE0EEENS1_30default_config_static_selectorELNS0_4arch9wavefront6targetE0EEEvT1_.uses_vcc, 0
	.set _ZN7rocprim17ROCPRIM_400000_NS6detail17trampoline_kernelINS0_14default_configENS1_27scan_by_key_config_selectorIj11FixedVectorIiLj1EEEEZZNS1_16scan_by_key_implILNS1_25lookback_scan_determinismE0ELb1ES3_N6thrust23THRUST_200600_302600_NS6detail15normal_iteratorINSB_10device_ptrIjEEEENSD_INSE_IS6_EEEESI_S6_NSB_4plusIvEENSB_8equal_toIvEES6_EE10hipError_tPvRmT2_T3_T4_T5_mT6_T7_P12ihipStream_tbENKUlT_T0_E_clISt17integral_constantIbLb1EES13_EEDaSY_SZ_EUlSY_E_NS1_11comp_targetILNS1_3genE2ELNS1_11target_archE906ELNS1_3gpuE6ELNS1_3repE0EEENS1_30default_config_static_selectorELNS0_4arch9wavefront6targetE0EEEvT1_.uses_flat_scratch, 0
	.set _ZN7rocprim17ROCPRIM_400000_NS6detail17trampoline_kernelINS0_14default_configENS1_27scan_by_key_config_selectorIj11FixedVectorIiLj1EEEEZZNS1_16scan_by_key_implILNS1_25lookback_scan_determinismE0ELb1ES3_N6thrust23THRUST_200600_302600_NS6detail15normal_iteratorINSB_10device_ptrIjEEEENSD_INSE_IS6_EEEESI_S6_NSB_4plusIvEENSB_8equal_toIvEES6_EE10hipError_tPvRmT2_T3_T4_T5_mT6_T7_P12ihipStream_tbENKUlT_T0_E_clISt17integral_constantIbLb1EES13_EEDaSY_SZ_EUlSY_E_NS1_11comp_targetILNS1_3genE2ELNS1_11target_archE906ELNS1_3gpuE6ELNS1_3repE0EEENS1_30default_config_static_selectorELNS0_4arch9wavefront6targetE0EEEvT1_.has_dyn_sized_stack, 0
	.set _ZN7rocprim17ROCPRIM_400000_NS6detail17trampoline_kernelINS0_14default_configENS1_27scan_by_key_config_selectorIj11FixedVectorIiLj1EEEEZZNS1_16scan_by_key_implILNS1_25lookback_scan_determinismE0ELb1ES3_N6thrust23THRUST_200600_302600_NS6detail15normal_iteratorINSB_10device_ptrIjEEEENSD_INSE_IS6_EEEESI_S6_NSB_4plusIvEENSB_8equal_toIvEES6_EE10hipError_tPvRmT2_T3_T4_T5_mT6_T7_P12ihipStream_tbENKUlT_T0_E_clISt17integral_constantIbLb1EES13_EEDaSY_SZ_EUlSY_E_NS1_11comp_targetILNS1_3genE2ELNS1_11target_archE906ELNS1_3gpuE6ELNS1_3repE0EEENS1_30default_config_static_selectorELNS0_4arch9wavefront6targetE0EEEvT1_.has_recursion, 0
	.set _ZN7rocprim17ROCPRIM_400000_NS6detail17trampoline_kernelINS0_14default_configENS1_27scan_by_key_config_selectorIj11FixedVectorIiLj1EEEEZZNS1_16scan_by_key_implILNS1_25lookback_scan_determinismE0ELb1ES3_N6thrust23THRUST_200600_302600_NS6detail15normal_iteratorINSB_10device_ptrIjEEEENSD_INSE_IS6_EEEESI_S6_NSB_4plusIvEENSB_8equal_toIvEES6_EE10hipError_tPvRmT2_T3_T4_T5_mT6_T7_P12ihipStream_tbENKUlT_T0_E_clISt17integral_constantIbLb1EES13_EEDaSY_SZ_EUlSY_E_NS1_11comp_targetILNS1_3genE2ELNS1_11target_archE906ELNS1_3gpuE6ELNS1_3repE0EEENS1_30default_config_static_selectorELNS0_4arch9wavefront6targetE0EEEvT1_.has_indirect_call, 0
	.section	.AMDGPU.csdata,"",@progbits
; Kernel info:
; codeLenInByte = 0
; TotalNumSgprs: 0
; NumVgprs: 0
; ScratchSize: 0
; MemoryBound: 0
; FloatMode: 240
; IeeeMode: 1
; LDSByteSize: 0 bytes/workgroup (compile time only)
; SGPRBlocks: 0
; VGPRBlocks: 0
; NumSGPRsForWavesPerEU: 1
; NumVGPRsForWavesPerEU: 1
; NamedBarCnt: 0
; Occupancy: 16
; WaveLimiterHint : 0
; COMPUTE_PGM_RSRC2:SCRATCH_EN: 0
; COMPUTE_PGM_RSRC2:USER_SGPR: 2
; COMPUTE_PGM_RSRC2:TRAP_HANDLER: 0
; COMPUTE_PGM_RSRC2:TGID_X_EN: 1
; COMPUTE_PGM_RSRC2:TGID_Y_EN: 0
; COMPUTE_PGM_RSRC2:TGID_Z_EN: 0
; COMPUTE_PGM_RSRC2:TIDIG_COMP_CNT: 0
	.section	.text._ZN7rocprim17ROCPRIM_400000_NS6detail17trampoline_kernelINS0_14default_configENS1_27scan_by_key_config_selectorIj11FixedVectorIiLj1EEEEZZNS1_16scan_by_key_implILNS1_25lookback_scan_determinismE0ELb1ES3_N6thrust23THRUST_200600_302600_NS6detail15normal_iteratorINSB_10device_ptrIjEEEENSD_INSE_IS6_EEEESI_S6_NSB_4plusIvEENSB_8equal_toIvEES6_EE10hipError_tPvRmT2_T3_T4_T5_mT6_T7_P12ihipStream_tbENKUlT_T0_E_clISt17integral_constantIbLb1EES13_EEDaSY_SZ_EUlSY_E_NS1_11comp_targetILNS1_3genE10ELNS1_11target_archE1200ELNS1_3gpuE4ELNS1_3repE0EEENS1_30default_config_static_selectorELNS0_4arch9wavefront6targetE0EEEvT1_,"axG",@progbits,_ZN7rocprim17ROCPRIM_400000_NS6detail17trampoline_kernelINS0_14default_configENS1_27scan_by_key_config_selectorIj11FixedVectorIiLj1EEEEZZNS1_16scan_by_key_implILNS1_25lookback_scan_determinismE0ELb1ES3_N6thrust23THRUST_200600_302600_NS6detail15normal_iteratorINSB_10device_ptrIjEEEENSD_INSE_IS6_EEEESI_S6_NSB_4plusIvEENSB_8equal_toIvEES6_EE10hipError_tPvRmT2_T3_T4_T5_mT6_T7_P12ihipStream_tbENKUlT_T0_E_clISt17integral_constantIbLb1EES13_EEDaSY_SZ_EUlSY_E_NS1_11comp_targetILNS1_3genE10ELNS1_11target_archE1200ELNS1_3gpuE4ELNS1_3repE0EEENS1_30default_config_static_selectorELNS0_4arch9wavefront6targetE0EEEvT1_,comdat
	.protected	_ZN7rocprim17ROCPRIM_400000_NS6detail17trampoline_kernelINS0_14default_configENS1_27scan_by_key_config_selectorIj11FixedVectorIiLj1EEEEZZNS1_16scan_by_key_implILNS1_25lookback_scan_determinismE0ELb1ES3_N6thrust23THRUST_200600_302600_NS6detail15normal_iteratorINSB_10device_ptrIjEEEENSD_INSE_IS6_EEEESI_S6_NSB_4plusIvEENSB_8equal_toIvEES6_EE10hipError_tPvRmT2_T3_T4_T5_mT6_T7_P12ihipStream_tbENKUlT_T0_E_clISt17integral_constantIbLb1EES13_EEDaSY_SZ_EUlSY_E_NS1_11comp_targetILNS1_3genE10ELNS1_11target_archE1200ELNS1_3gpuE4ELNS1_3repE0EEENS1_30default_config_static_selectorELNS0_4arch9wavefront6targetE0EEEvT1_ ; -- Begin function _ZN7rocprim17ROCPRIM_400000_NS6detail17trampoline_kernelINS0_14default_configENS1_27scan_by_key_config_selectorIj11FixedVectorIiLj1EEEEZZNS1_16scan_by_key_implILNS1_25lookback_scan_determinismE0ELb1ES3_N6thrust23THRUST_200600_302600_NS6detail15normal_iteratorINSB_10device_ptrIjEEEENSD_INSE_IS6_EEEESI_S6_NSB_4plusIvEENSB_8equal_toIvEES6_EE10hipError_tPvRmT2_T3_T4_T5_mT6_T7_P12ihipStream_tbENKUlT_T0_E_clISt17integral_constantIbLb1EES13_EEDaSY_SZ_EUlSY_E_NS1_11comp_targetILNS1_3genE10ELNS1_11target_archE1200ELNS1_3gpuE4ELNS1_3repE0EEENS1_30default_config_static_selectorELNS0_4arch9wavefront6targetE0EEEvT1_
	.globl	_ZN7rocprim17ROCPRIM_400000_NS6detail17trampoline_kernelINS0_14default_configENS1_27scan_by_key_config_selectorIj11FixedVectorIiLj1EEEEZZNS1_16scan_by_key_implILNS1_25lookback_scan_determinismE0ELb1ES3_N6thrust23THRUST_200600_302600_NS6detail15normal_iteratorINSB_10device_ptrIjEEEENSD_INSE_IS6_EEEESI_S6_NSB_4plusIvEENSB_8equal_toIvEES6_EE10hipError_tPvRmT2_T3_T4_T5_mT6_T7_P12ihipStream_tbENKUlT_T0_E_clISt17integral_constantIbLb1EES13_EEDaSY_SZ_EUlSY_E_NS1_11comp_targetILNS1_3genE10ELNS1_11target_archE1200ELNS1_3gpuE4ELNS1_3repE0EEENS1_30default_config_static_selectorELNS0_4arch9wavefront6targetE0EEEvT1_
	.p2align	8
	.type	_ZN7rocprim17ROCPRIM_400000_NS6detail17trampoline_kernelINS0_14default_configENS1_27scan_by_key_config_selectorIj11FixedVectorIiLj1EEEEZZNS1_16scan_by_key_implILNS1_25lookback_scan_determinismE0ELb1ES3_N6thrust23THRUST_200600_302600_NS6detail15normal_iteratorINSB_10device_ptrIjEEEENSD_INSE_IS6_EEEESI_S6_NSB_4plusIvEENSB_8equal_toIvEES6_EE10hipError_tPvRmT2_T3_T4_T5_mT6_T7_P12ihipStream_tbENKUlT_T0_E_clISt17integral_constantIbLb1EES13_EEDaSY_SZ_EUlSY_E_NS1_11comp_targetILNS1_3genE10ELNS1_11target_archE1200ELNS1_3gpuE4ELNS1_3repE0EEENS1_30default_config_static_selectorELNS0_4arch9wavefront6targetE0EEEvT1_,@function
_ZN7rocprim17ROCPRIM_400000_NS6detail17trampoline_kernelINS0_14default_configENS1_27scan_by_key_config_selectorIj11FixedVectorIiLj1EEEEZZNS1_16scan_by_key_implILNS1_25lookback_scan_determinismE0ELb1ES3_N6thrust23THRUST_200600_302600_NS6detail15normal_iteratorINSB_10device_ptrIjEEEENSD_INSE_IS6_EEEESI_S6_NSB_4plusIvEENSB_8equal_toIvEES6_EE10hipError_tPvRmT2_T3_T4_T5_mT6_T7_P12ihipStream_tbENKUlT_T0_E_clISt17integral_constantIbLb1EES13_EEDaSY_SZ_EUlSY_E_NS1_11comp_targetILNS1_3genE10ELNS1_11target_archE1200ELNS1_3gpuE4ELNS1_3repE0EEENS1_30default_config_static_selectorELNS0_4arch9wavefront6targetE0EEEvT1_: ; @_ZN7rocprim17ROCPRIM_400000_NS6detail17trampoline_kernelINS0_14default_configENS1_27scan_by_key_config_selectorIj11FixedVectorIiLj1EEEEZZNS1_16scan_by_key_implILNS1_25lookback_scan_determinismE0ELb1ES3_N6thrust23THRUST_200600_302600_NS6detail15normal_iteratorINSB_10device_ptrIjEEEENSD_INSE_IS6_EEEESI_S6_NSB_4plusIvEENSB_8equal_toIvEES6_EE10hipError_tPvRmT2_T3_T4_T5_mT6_T7_P12ihipStream_tbENKUlT_T0_E_clISt17integral_constantIbLb1EES13_EEDaSY_SZ_EUlSY_E_NS1_11comp_targetILNS1_3genE10ELNS1_11target_archE1200ELNS1_3gpuE4ELNS1_3repE0EEENS1_30default_config_static_selectorELNS0_4arch9wavefront6targetE0EEEvT1_
; %bb.0:
	.section	.rodata,"a",@progbits
	.p2align	6, 0x0
	.amdhsa_kernel _ZN7rocprim17ROCPRIM_400000_NS6detail17trampoline_kernelINS0_14default_configENS1_27scan_by_key_config_selectorIj11FixedVectorIiLj1EEEEZZNS1_16scan_by_key_implILNS1_25lookback_scan_determinismE0ELb1ES3_N6thrust23THRUST_200600_302600_NS6detail15normal_iteratorINSB_10device_ptrIjEEEENSD_INSE_IS6_EEEESI_S6_NSB_4plusIvEENSB_8equal_toIvEES6_EE10hipError_tPvRmT2_T3_T4_T5_mT6_T7_P12ihipStream_tbENKUlT_T0_E_clISt17integral_constantIbLb1EES13_EEDaSY_SZ_EUlSY_E_NS1_11comp_targetILNS1_3genE10ELNS1_11target_archE1200ELNS1_3gpuE4ELNS1_3repE0EEENS1_30default_config_static_selectorELNS0_4arch9wavefront6targetE0EEEvT1_
		.amdhsa_group_segment_fixed_size 0
		.amdhsa_private_segment_fixed_size 0
		.amdhsa_kernarg_size 112
		.amdhsa_user_sgpr_count 2
		.amdhsa_user_sgpr_dispatch_ptr 0
		.amdhsa_user_sgpr_queue_ptr 0
		.amdhsa_user_sgpr_kernarg_segment_ptr 1
		.amdhsa_user_sgpr_dispatch_id 0
		.amdhsa_user_sgpr_kernarg_preload_length 0
		.amdhsa_user_sgpr_kernarg_preload_offset 0
		.amdhsa_user_sgpr_private_segment_size 0
		.amdhsa_wavefront_size32 1
		.amdhsa_uses_dynamic_stack 0
		.amdhsa_enable_private_segment 0
		.amdhsa_system_sgpr_workgroup_id_x 1
		.amdhsa_system_sgpr_workgroup_id_y 0
		.amdhsa_system_sgpr_workgroup_id_z 0
		.amdhsa_system_sgpr_workgroup_info 0
		.amdhsa_system_vgpr_workitem_id 0
		.amdhsa_next_free_vgpr 1
		.amdhsa_next_free_sgpr 1
		.amdhsa_named_barrier_count 0
		.amdhsa_reserve_vcc 0
		.amdhsa_float_round_mode_32 0
		.amdhsa_float_round_mode_16_64 0
		.amdhsa_float_denorm_mode_32 3
		.amdhsa_float_denorm_mode_16_64 3
		.amdhsa_fp16_overflow 0
		.amdhsa_memory_ordered 1
		.amdhsa_forward_progress 1
		.amdhsa_inst_pref_size 0
		.amdhsa_round_robin_scheduling 0
		.amdhsa_exception_fp_ieee_invalid_op 0
		.amdhsa_exception_fp_denorm_src 0
		.amdhsa_exception_fp_ieee_div_zero 0
		.amdhsa_exception_fp_ieee_overflow 0
		.amdhsa_exception_fp_ieee_underflow 0
		.amdhsa_exception_fp_ieee_inexact 0
		.amdhsa_exception_int_div_zero 0
	.end_amdhsa_kernel
	.section	.text._ZN7rocprim17ROCPRIM_400000_NS6detail17trampoline_kernelINS0_14default_configENS1_27scan_by_key_config_selectorIj11FixedVectorIiLj1EEEEZZNS1_16scan_by_key_implILNS1_25lookback_scan_determinismE0ELb1ES3_N6thrust23THRUST_200600_302600_NS6detail15normal_iteratorINSB_10device_ptrIjEEEENSD_INSE_IS6_EEEESI_S6_NSB_4plusIvEENSB_8equal_toIvEES6_EE10hipError_tPvRmT2_T3_T4_T5_mT6_T7_P12ihipStream_tbENKUlT_T0_E_clISt17integral_constantIbLb1EES13_EEDaSY_SZ_EUlSY_E_NS1_11comp_targetILNS1_3genE10ELNS1_11target_archE1200ELNS1_3gpuE4ELNS1_3repE0EEENS1_30default_config_static_selectorELNS0_4arch9wavefront6targetE0EEEvT1_,"axG",@progbits,_ZN7rocprim17ROCPRIM_400000_NS6detail17trampoline_kernelINS0_14default_configENS1_27scan_by_key_config_selectorIj11FixedVectorIiLj1EEEEZZNS1_16scan_by_key_implILNS1_25lookback_scan_determinismE0ELb1ES3_N6thrust23THRUST_200600_302600_NS6detail15normal_iteratorINSB_10device_ptrIjEEEENSD_INSE_IS6_EEEESI_S6_NSB_4plusIvEENSB_8equal_toIvEES6_EE10hipError_tPvRmT2_T3_T4_T5_mT6_T7_P12ihipStream_tbENKUlT_T0_E_clISt17integral_constantIbLb1EES13_EEDaSY_SZ_EUlSY_E_NS1_11comp_targetILNS1_3genE10ELNS1_11target_archE1200ELNS1_3gpuE4ELNS1_3repE0EEENS1_30default_config_static_selectorELNS0_4arch9wavefront6targetE0EEEvT1_,comdat
.Lfunc_end1926:
	.size	_ZN7rocprim17ROCPRIM_400000_NS6detail17trampoline_kernelINS0_14default_configENS1_27scan_by_key_config_selectorIj11FixedVectorIiLj1EEEEZZNS1_16scan_by_key_implILNS1_25lookback_scan_determinismE0ELb1ES3_N6thrust23THRUST_200600_302600_NS6detail15normal_iteratorINSB_10device_ptrIjEEEENSD_INSE_IS6_EEEESI_S6_NSB_4plusIvEENSB_8equal_toIvEES6_EE10hipError_tPvRmT2_T3_T4_T5_mT6_T7_P12ihipStream_tbENKUlT_T0_E_clISt17integral_constantIbLb1EES13_EEDaSY_SZ_EUlSY_E_NS1_11comp_targetILNS1_3genE10ELNS1_11target_archE1200ELNS1_3gpuE4ELNS1_3repE0EEENS1_30default_config_static_selectorELNS0_4arch9wavefront6targetE0EEEvT1_, .Lfunc_end1926-_ZN7rocprim17ROCPRIM_400000_NS6detail17trampoline_kernelINS0_14default_configENS1_27scan_by_key_config_selectorIj11FixedVectorIiLj1EEEEZZNS1_16scan_by_key_implILNS1_25lookback_scan_determinismE0ELb1ES3_N6thrust23THRUST_200600_302600_NS6detail15normal_iteratorINSB_10device_ptrIjEEEENSD_INSE_IS6_EEEESI_S6_NSB_4plusIvEENSB_8equal_toIvEES6_EE10hipError_tPvRmT2_T3_T4_T5_mT6_T7_P12ihipStream_tbENKUlT_T0_E_clISt17integral_constantIbLb1EES13_EEDaSY_SZ_EUlSY_E_NS1_11comp_targetILNS1_3genE10ELNS1_11target_archE1200ELNS1_3gpuE4ELNS1_3repE0EEENS1_30default_config_static_selectorELNS0_4arch9wavefront6targetE0EEEvT1_
                                        ; -- End function
	.set _ZN7rocprim17ROCPRIM_400000_NS6detail17trampoline_kernelINS0_14default_configENS1_27scan_by_key_config_selectorIj11FixedVectorIiLj1EEEEZZNS1_16scan_by_key_implILNS1_25lookback_scan_determinismE0ELb1ES3_N6thrust23THRUST_200600_302600_NS6detail15normal_iteratorINSB_10device_ptrIjEEEENSD_INSE_IS6_EEEESI_S6_NSB_4plusIvEENSB_8equal_toIvEES6_EE10hipError_tPvRmT2_T3_T4_T5_mT6_T7_P12ihipStream_tbENKUlT_T0_E_clISt17integral_constantIbLb1EES13_EEDaSY_SZ_EUlSY_E_NS1_11comp_targetILNS1_3genE10ELNS1_11target_archE1200ELNS1_3gpuE4ELNS1_3repE0EEENS1_30default_config_static_selectorELNS0_4arch9wavefront6targetE0EEEvT1_.num_vgpr, 0
	.set _ZN7rocprim17ROCPRIM_400000_NS6detail17trampoline_kernelINS0_14default_configENS1_27scan_by_key_config_selectorIj11FixedVectorIiLj1EEEEZZNS1_16scan_by_key_implILNS1_25lookback_scan_determinismE0ELb1ES3_N6thrust23THRUST_200600_302600_NS6detail15normal_iteratorINSB_10device_ptrIjEEEENSD_INSE_IS6_EEEESI_S6_NSB_4plusIvEENSB_8equal_toIvEES6_EE10hipError_tPvRmT2_T3_T4_T5_mT6_T7_P12ihipStream_tbENKUlT_T0_E_clISt17integral_constantIbLb1EES13_EEDaSY_SZ_EUlSY_E_NS1_11comp_targetILNS1_3genE10ELNS1_11target_archE1200ELNS1_3gpuE4ELNS1_3repE0EEENS1_30default_config_static_selectorELNS0_4arch9wavefront6targetE0EEEvT1_.num_agpr, 0
	.set _ZN7rocprim17ROCPRIM_400000_NS6detail17trampoline_kernelINS0_14default_configENS1_27scan_by_key_config_selectorIj11FixedVectorIiLj1EEEEZZNS1_16scan_by_key_implILNS1_25lookback_scan_determinismE0ELb1ES3_N6thrust23THRUST_200600_302600_NS6detail15normal_iteratorINSB_10device_ptrIjEEEENSD_INSE_IS6_EEEESI_S6_NSB_4plusIvEENSB_8equal_toIvEES6_EE10hipError_tPvRmT2_T3_T4_T5_mT6_T7_P12ihipStream_tbENKUlT_T0_E_clISt17integral_constantIbLb1EES13_EEDaSY_SZ_EUlSY_E_NS1_11comp_targetILNS1_3genE10ELNS1_11target_archE1200ELNS1_3gpuE4ELNS1_3repE0EEENS1_30default_config_static_selectorELNS0_4arch9wavefront6targetE0EEEvT1_.numbered_sgpr, 0
	.set _ZN7rocprim17ROCPRIM_400000_NS6detail17trampoline_kernelINS0_14default_configENS1_27scan_by_key_config_selectorIj11FixedVectorIiLj1EEEEZZNS1_16scan_by_key_implILNS1_25lookback_scan_determinismE0ELb1ES3_N6thrust23THRUST_200600_302600_NS6detail15normal_iteratorINSB_10device_ptrIjEEEENSD_INSE_IS6_EEEESI_S6_NSB_4plusIvEENSB_8equal_toIvEES6_EE10hipError_tPvRmT2_T3_T4_T5_mT6_T7_P12ihipStream_tbENKUlT_T0_E_clISt17integral_constantIbLb1EES13_EEDaSY_SZ_EUlSY_E_NS1_11comp_targetILNS1_3genE10ELNS1_11target_archE1200ELNS1_3gpuE4ELNS1_3repE0EEENS1_30default_config_static_selectorELNS0_4arch9wavefront6targetE0EEEvT1_.num_named_barrier, 0
	.set _ZN7rocprim17ROCPRIM_400000_NS6detail17trampoline_kernelINS0_14default_configENS1_27scan_by_key_config_selectorIj11FixedVectorIiLj1EEEEZZNS1_16scan_by_key_implILNS1_25lookback_scan_determinismE0ELb1ES3_N6thrust23THRUST_200600_302600_NS6detail15normal_iteratorINSB_10device_ptrIjEEEENSD_INSE_IS6_EEEESI_S6_NSB_4plusIvEENSB_8equal_toIvEES6_EE10hipError_tPvRmT2_T3_T4_T5_mT6_T7_P12ihipStream_tbENKUlT_T0_E_clISt17integral_constantIbLb1EES13_EEDaSY_SZ_EUlSY_E_NS1_11comp_targetILNS1_3genE10ELNS1_11target_archE1200ELNS1_3gpuE4ELNS1_3repE0EEENS1_30default_config_static_selectorELNS0_4arch9wavefront6targetE0EEEvT1_.private_seg_size, 0
	.set _ZN7rocprim17ROCPRIM_400000_NS6detail17trampoline_kernelINS0_14default_configENS1_27scan_by_key_config_selectorIj11FixedVectorIiLj1EEEEZZNS1_16scan_by_key_implILNS1_25lookback_scan_determinismE0ELb1ES3_N6thrust23THRUST_200600_302600_NS6detail15normal_iteratorINSB_10device_ptrIjEEEENSD_INSE_IS6_EEEESI_S6_NSB_4plusIvEENSB_8equal_toIvEES6_EE10hipError_tPvRmT2_T3_T4_T5_mT6_T7_P12ihipStream_tbENKUlT_T0_E_clISt17integral_constantIbLb1EES13_EEDaSY_SZ_EUlSY_E_NS1_11comp_targetILNS1_3genE10ELNS1_11target_archE1200ELNS1_3gpuE4ELNS1_3repE0EEENS1_30default_config_static_selectorELNS0_4arch9wavefront6targetE0EEEvT1_.uses_vcc, 0
	.set _ZN7rocprim17ROCPRIM_400000_NS6detail17trampoline_kernelINS0_14default_configENS1_27scan_by_key_config_selectorIj11FixedVectorIiLj1EEEEZZNS1_16scan_by_key_implILNS1_25lookback_scan_determinismE0ELb1ES3_N6thrust23THRUST_200600_302600_NS6detail15normal_iteratorINSB_10device_ptrIjEEEENSD_INSE_IS6_EEEESI_S6_NSB_4plusIvEENSB_8equal_toIvEES6_EE10hipError_tPvRmT2_T3_T4_T5_mT6_T7_P12ihipStream_tbENKUlT_T0_E_clISt17integral_constantIbLb1EES13_EEDaSY_SZ_EUlSY_E_NS1_11comp_targetILNS1_3genE10ELNS1_11target_archE1200ELNS1_3gpuE4ELNS1_3repE0EEENS1_30default_config_static_selectorELNS0_4arch9wavefront6targetE0EEEvT1_.uses_flat_scratch, 0
	.set _ZN7rocprim17ROCPRIM_400000_NS6detail17trampoline_kernelINS0_14default_configENS1_27scan_by_key_config_selectorIj11FixedVectorIiLj1EEEEZZNS1_16scan_by_key_implILNS1_25lookback_scan_determinismE0ELb1ES3_N6thrust23THRUST_200600_302600_NS6detail15normal_iteratorINSB_10device_ptrIjEEEENSD_INSE_IS6_EEEESI_S6_NSB_4plusIvEENSB_8equal_toIvEES6_EE10hipError_tPvRmT2_T3_T4_T5_mT6_T7_P12ihipStream_tbENKUlT_T0_E_clISt17integral_constantIbLb1EES13_EEDaSY_SZ_EUlSY_E_NS1_11comp_targetILNS1_3genE10ELNS1_11target_archE1200ELNS1_3gpuE4ELNS1_3repE0EEENS1_30default_config_static_selectorELNS0_4arch9wavefront6targetE0EEEvT1_.has_dyn_sized_stack, 0
	.set _ZN7rocprim17ROCPRIM_400000_NS6detail17trampoline_kernelINS0_14default_configENS1_27scan_by_key_config_selectorIj11FixedVectorIiLj1EEEEZZNS1_16scan_by_key_implILNS1_25lookback_scan_determinismE0ELb1ES3_N6thrust23THRUST_200600_302600_NS6detail15normal_iteratorINSB_10device_ptrIjEEEENSD_INSE_IS6_EEEESI_S6_NSB_4plusIvEENSB_8equal_toIvEES6_EE10hipError_tPvRmT2_T3_T4_T5_mT6_T7_P12ihipStream_tbENKUlT_T0_E_clISt17integral_constantIbLb1EES13_EEDaSY_SZ_EUlSY_E_NS1_11comp_targetILNS1_3genE10ELNS1_11target_archE1200ELNS1_3gpuE4ELNS1_3repE0EEENS1_30default_config_static_selectorELNS0_4arch9wavefront6targetE0EEEvT1_.has_recursion, 0
	.set _ZN7rocprim17ROCPRIM_400000_NS6detail17trampoline_kernelINS0_14default_configENS1_27scan_by_key_config_selectorIj11FixedVectorIiLj1EEEEZZNS1_16scan_by_key_implILNS1_25lookback_scan_determinismE0ELb1ES3_N6thrust23THRUST_200600_302600_NS6detail15normal_iteratorINSB_10device_ptrIjEEEENSD_INSE_IS6_EEEESI_S6_NSB_4plusIvEENSB_8equal_toIvEES6_EE10hipError_tPvRmT2_T3_T4_T5_mT6_T7_P12ihipStream_tbENKUlT_T0_E_clISt17integral_constantIbLb1EES13_EEDaSY_SZ_EUlSY_E_NS1_11comp_targetILNS1_3genE10ELNS1_11target_archE1200ELNS1_3gpuE4ELNS1_3repE0EEENS1_30default_config_static_selectorELNS0_4arch9wavefront6targetE0EEEvT1_.has_indirect_call, 0
	.section	.AMDGPU.csdata,"",@progbits
; Kernel info:
; codeLenInByte = 0
; TotalNumSgprs: 0
; NumVgprs: 0
; ScratchSize: 0
; MemoryBound: 0
; FloatMode: 240
; IeeeMode: 1
; LDSByteSize: 0 bytes/workgroup (compile time only)
; SGPRBlocks: 0
; VGPRBlocks: 0
; NumSGPRsForWavesPerEU: 1
; NumVGPRsForWavesPerEU: 1
; NamedBarCnt: 0
; Occupancy: 16
; WaveLimiterHint : 0
; COMPUTE_PGM_RSRC2:SCRATCH_EN: 0
; COMPUTE_PGM_RSRC2:USER_SGPR: 2
; COMPUTE_PGM_RSRC2:TRAP_HANDLER: 0
; COMPUTE_PGM_RSRC2:TGID_X_EN: 1
; COMPUTE_PGM_RSRC2:TGID_Y_EN: 0
; COMPUTE_PGM_RSRC2:TGID_Z_EN: 0
; COMPUTE_PGM_RSRC2:TIDIG_COMP_CNT: 0
	.section	.text._ZN7rocprim17ROCPRIM_400000_NS6detail17trampoline_kernelINS0_14default_configENS1_27scan_by_key_config_selectorIj11FixedVectorIiLj1EEEEZZNS1_16scan_by_key_implILNS1_25lookback_scan_determinismE0ELb1ES3_N6thrust23THRUST_200600_302600_NS6detail15normal_iteratorINSB_10device_ptrIjEEEENSD_INSE_IS6_EEEESI_S6_NSB_4plusIvEENSB_8equal_toIvEES6_EE10hipError_tPvRmT2_T3_T4_T5_mT6_T7_P12ihipStream_tbENKUlT_T0_E_clISt17integral_constantIbLb1EES13_EEDaSY_SZ_EUlSY_E_NS1_11comp_targetILNS1_3genE9ELNS1_11target_archE1100ELNS1_3gpuE3ELNS1_3repE0EEENS1_30default_config_static_selectorELNS0_4arch9wavefront6targetE0EEEvT1_,"axG",@progbits,_ZN7rocprim17ROCPRIM_400000_NS6detail17trampoline_kernelINS0_14default_configENS1_27scan_by_key_config_selectorIj11FixedVectorIiLj1EEEEZZNS1_16scan_by_key_implILNS1_25lookback_scan_determinismE0ELb1ES3_N6thrust23THRUST_200600_302600_NS6detail15normal_iteratorINSB_10device_ptrIjEEEENSD_INSE_IS6_EEEESI_S6_NSB_4plusIvEENSB_8equal_toIvEES6_EE10hipError_tPvRmT2_T3_T4_T5_mT6_T7_P12ihipStream_tbENKUlT_T0_E_clISt17integral_constantIbLb1EES13_EEDaSY_SZ_EUlSY_E_NS1_11comp_targetILNS1_3genE9ELNS1_11target_archE1100ELNS1_3gpuE3ELNS1_3repE0EEENS1_30default_config_static_selectorELNS0_4arch9wavefront6targetE0EEEvT1_,comdat
	.protected	_ZN7rocprim17ROCPRIM_400000_NS6detail17trampoline_kernelINS0_14default_configENS1_27scan_by_key_config_selectorIj11FixedVectorIiLj1EEEEZZNS1_16scan_by_key_implILNS1_25lookback_scan_determinismE0ELb1ES3_N6thrust23THRUST_200600_302600_NS6detail15normal_iteratorINSB_10device_ptrIjEEEENSD_INSE_IS6_EEEESI_S6_NSB_4plusIvEENSB_8equal_toIvEES6_EE10hipError_tPvRmT2_T3_T4_T5_mT6_T7_P12ihipStream_tbENKUlT_T0_E_clISt17integral_constantIbLb1EES13_EEDaSY_SZ_EUlSY_E_NS1_11comp_targetILNS1_3genE9ELNS1_11target_archE1100ELNS1_3gpuE3ELNS1_3repE0EEENS1_30default_config_static_selectorELNS0_4arch9wavefront6targetE0EEEvT1_ ; -- Begin function _ZN7rocprim17ROCPRIM_400000_NS6detail17trampoline_kernelINS0_14default_configENS1_27scan_by_key_config_selectorIj11FixedVectorIiLj1EEEEZZNS1_16scan_by_key_implILNS1_25lookback_scan_determinismE0ELb1ES3_N6thrust23THRUST_200600_302600_NS6detail15normal_iteratorINSB_10device_ptrIjEEEENSD_INSE_IS6_EEEESI_S6_NSB_4plusIvEENSB_8equal_toIvEES6_EE10hipError_tPvRmT2_T3_T4_T5_mT6_T7_P12ihipStream_tbENKUlT_T0_E_clISt17integral_constantIbLb1EES13_EEDaSY_SZ_EUlSY_E_NS1_11comp_targetILNS1_3genE9ELNS1_11target_archE1100ELNS1_3gpuE3ELNS1_3repE0EEENS1_30default_config_static_selectorELNS0_4arch9wavefront6targetE0EEEvT1_
	.globl	_ZN7rocprim17ROCPRIM_400000_NS6detail17trampoline_kernelINS0_14default_configENS1_27scan_by_key_config_selectorIj11FixedVectorIiLj1EEEEZZNS1_16scan_by_key_implILNS1_25lookback_scan_determinismE0ELb1ES3_N6thrust23THRUST_200600_302600_NS6detail15normal_iteratorINSB_10device_ptrIjEEEENSD_INSE_IS6_EEEESI_S6_NSB_4plusIvEENSB_8equal_toIvEES6_EE10hipError_tPvRmT2_T3_T4_T5_mT6_T7_P12ihipStream_tbENKUlT_T0_E_clISt17integral_constantIbLb1EES13_EEDaSY_SZ_EUlSY_E_NS1_11comp_targetILNS1_3genE9ELNS1_11target_archE1100ELNS1_3gpuE3ELNS1_3repE0EEENS1_30default_config_static_selectorELNS0_4arch9wavefront6targetE0EEEvT1_
	.p2align	8
	.type	_ZN7rocprim17ROCPRIM_400000_NS6detail17trampoline_kernelINS0_14default_configENS1_27scan_by_key_config_selectorIj11FixedVectorIiLj1EEEEZZNS1_16scan_by_key_implILNS1_25lookback_scan_determinismE0ELb1ES3_N6thrust23THRUST_200600_302600_NS6detail15normal_iteratorINSB_10device_ptrIjEEEENSD_INSE_IS6_EEEESI_S6_NSB_4plusIvEENSB_8equal_toIvEES6_EE10hipError_tPvRmT2_T3_T4_T5_mT6_T7_P12ihipStream_tbENKUlT_T0_E_clISt17integral_constantIbLb1EES13_EEDaSY_SZ_EUlSY_E_NS1_11comp_targetILNS1_3genE9ELNS1_11target_archE1100ELNS1_3gpuE3ELNS1_3repE0EEENS1_30default_config_static_selectorELNS0_4arch9wavefront6targetE0EEEvT1_,@function
_ZN7rocprim17ROCPRIM_400000_NS6detail17trampoline_kernelINS0_14default_configENS1_27scan_by_key_config_selectorIj11FixedVectorIiLj1EEEEZZNS1_16scan_by_key_implILNS1_25lookback_scan_determinismE0ELb1ES3_N6thrust23THRUST_200600_302600_NS6detail15normal_iteratorINSB_10device_ptrIjEEEENSD_INSE_IS6_EEEESI_S6_NSB_4plusIvEENSB_8equal_toIvEES6_EE10hipError_tPvRmT2_T3_T4_T5_mT6_T7_P12ihipStream_tbENKUlT_T0_E_clISt17integral_constantIbLb1EES13_EEDaSY_SZ_EUlSY_E_NS1_11comp_targetILNS1_3genE9ELNS1_11target_archE1100ELNS1_3gpuE3ELNS1_3repE0EEENS1_30default_config_static_selectorELNS0_4arch9wavefront6targetE0EEEvT1_: ; @_ZN7rocprim17ROCPRIM_400000_NS6detail17trampoline_kernelINS0_14default_configENS1_27scan_by_key_config_selectorIj11FixedVectorIiLj1EEEEZZNS1_16scan_by_key_implILNS1_25lookback_scan_determinismE0ELb1ES3_N6thrust23THRUST_200600_302600_NS6detail15normal_iteratorINSB_10device_ptrIjEEEENSD_INSE_IS6_EEEESI_S6_NSB_4plusIvEENSB_8equal_toIvEES6_EE10hipError_tPvRmT2_T3_T4_T5_mT6_T7_P12ihipStream_tbENKUlT_T0_E_clISt17integral_constantIbLb1EES13_EEDaSY_SZ_EUlSY_E_NS1_11comp_targetILNS1_3genE9ELNS1_11target_archE1100ELNS1_3gpuE3ELNS1_3repE0EEENS1_30default_config_static_selectorELNS0_4arch9wavefront6targetE0EEEvT1_
; %bb.0:
	.section	.rodata,"a",@progbits
	.p2align	6, 0x0
	.amdhsa_kernel _ZN7rocprim17ROCPRIM_400000_NS6detail17trampoline_kernelINS0_14default_configENS1_27scan_by_key_config_selectorIj11FixedVectorIiLj1EEEEZZNS1_16scan_by_key_implILNS1_25lookback_scan_determinismE0ELb1ES3_N6thrust23THRUST_200600_302600_NS6detail15normal_iteratorINSB_10device_ptrIjEEEENSD_INSE_IS6_EEEESI_S6_NSB_4plusIvEENSB_8equal_toIvEES6_EE10hipError_tPvRmT2_T3_T4_T5_mT6_T7_P12ihipStream_tbENKUlT_T0_E_clISt17integral_constantIbLb1EES13_EEDaSY_SZ_EUlSY_E_NS1_11comp_targetILNS1_3genE9ELNS1_11target_archE1100ELNS1_3gpuE3ELNS1_3repE0EEENS1_30default_config_static_selectorELNS0_4arch9wavefront6targetE0EEEvT1_
		.amdhsa_group_segment_fixed_size 0
		.amdhsa_private_segment_fixed_size 0
		.amdhsa_kernarg_size 112
		.amdhsa_user_sgpr_count 2
		.amdhsa_user_sgpr_dispatch_ptr 0
		.amdhsa_user_sgpr_queue_ptr 0
		.amdhsa_user_sgpr_kernarg_segment_ptr 1
		.amdhsa_user_sgpr_dispatch_id 0
		.amdhsa_user_sgpr_kernarg_preload_length 0
		.amdhsa_user_sgpr_kernarg_preload_offset 0
		.amdhsa_user_sgpr_private_segment_size 0
		.amdhsa_wavefront_size32 1
		.amdhsa_uses_dynamic_stack 0
		.amdhsa_enable_private_segment 0
		.amdhsa_system_sgpr_workgroup_id_x 1
		.amdhsa_system_sgpr_workgroup_id_y 0
		.amdhsa_system_sgpr_workgroup_id_z 0
		.amdhsa_system_sgpr_workgroup_info 0
		.amdhsa_system_vgpr_workitem_id 0
		.amdhsa_next_free_vgpr 1
		.amdhsa_next_free_sgpr 1
		.amdhsa_named_barrier_count 0
		.amdhsa_reserve_vcc 0
		.amdhsa_float_round_mode_32 0
		.amdhsa_float_round_mode_16_64 0
		.amdhsa_float_denorm_mode_32 3
		.amdhsa_float_denorm_mode_16_64 3
		.amdhsa_fp16_overflow 0
		.amdhsa_memory_ordered 1
		.amdhsa_forward_progress 1
		.amdhsa_inst_pref_size 0
		.amdhsa_round_robin_scheduling 0
		.amdhsa_exception_fp_ieee_invalid_op 0
		.amdhsa_exception_fp_denorm_src 0
		.amdhsa_exception_fp_ieee_div_zero 0
		.amdhsa_exception_fp_ieee_overflow 0
		.amdhsa_exception_fp_ieee_underflow 0
		.amdhsa_exception_fp_ieee_inexact 0
		.amdhsa_exception_int_div_zero 0
	.end_amdhsa_kernel
	.section	.text._ZN7rocprim17ROCPRIM_400000_NS6detail17trampoline_kernelINS0_14default_configENS1_27scan_by_key_config_selectorIj11FixedVectorIiLj1EEEEZZNS1_16scan_by_key_implILNS1_25lookback_scan_determinismE0ELb1ES3_N6thrust23THRUST_200600_302600_NS6detail15normal_iteratorINSB_10device_ptrIjEEEENSD_INSE_IS6_EEEESI_S6_NSB_4plusIvEENSB_8equal_toIvEES6_EE10hipError_tPvRmT2_T3_T4_T5_mT6_T7_P12ihipStream_tbENKUlT_T0_E_clISt17integral_constantIbLb1EES13_EEDaSY_SZ_EUlSY_E_NS1_11comp_targetILNS1_3genE9ELNS1_11target_archE1100ELNS1_3gpuE3ELNS1_3repE0EEENS1_30default_config_static_selectorELNS0_4arch9wavefront6targetE0EEEvT1_,"axG",@progbits,_ZN7rocprim17ROCPRIM_400000_NS6detail17trampoline_kernelINS0_14default_configENS1_27scan_by_key_config_selectorIj11FixedVectorIiLj1EEEEZZNS1_16scan_by_key_implILNS1_25lookback_scan_determinismE0ELb1ES3_N6thrust23THRUST_200600_302600_NS6detail15normal_iteratorINSB_10device_ptrIjEEEENSD_INSE_IS6_EEEESI_S6_NSB_4plusIvEENSB_8equal_toIvEES6_EE10hipError_tPvRmT2_T3_T4_T5_mT6_T7_P12ihipStream_tbENKUlT_T0_E_clISt17integral_constantIbLb1EES13_EEDaSY_SZ_EUlSY_E_NS1_11comp_targetILNS1_3genE9ELNS1_11target_archE1100ELNS1_3gpuE3ELNS1_3repE0EEENS1_30default_config_static_selectorELNS0_4arch9wavefront6targetE0EEEvT1_,comdat
.Lfunc_end1927:
	.size	_ZN7rocprim17ROCPRIM_400000_NS6detail17trampoline_kernelINS0_14default_configENS1_27scan_by_key_config_selectorIj11FixedVectorIiLj1EEEEZZNS1_16scan_by_key_implILNS1_25lookback_scan_determinismE0ELb1ES3_N6thrust23THRUST_200600_302600_NS6detail15normal_iteratorINSB_10device_ptrIjEEEENSD_INSE_IS6_EEEESI_S6_NSB_4plusIvEENSB_8equal_toIvEES6_EE10hipError_tPvRmT2_T3_T4_T5_mT6_T7_P12ihipStream_tbENKUlT_T0_E_clISt17integral_constantIbLb1EES13_EEDaSY_SZ_EUlSY_E_NS1_11comp_targetILNS1_3genE9ELNS1_11target_archE1100ELNS1_3gpuE3ELNS1_3repE0EEENS1_30default_config_static_selectorELNS0_4arch9wavefront6targetE0EEEvT1_, .Lfunc_end1927-_ZN7rocprim17ROCPRIM_400000_NS6detail17trampoline_kernelINS0_14default_configENS1_27scan_by_key_config_selectorIj11FixedVectorIiLj1EEEEZZNS1_16scan_by_key_implILNS1_25lookback_scan_determinismE0ELb1ES3_N6thrust23THRUST_200600_302600_NS6detail15normal_iteratorINSB_10device_ptrIjEEEENSD_INSE_IS6_EEEESI_S6_NSB_4plusIvEENSB_8equal_toIvEES6_EE10hipError_tPvRmT2_T3_T4_T5_mT6_T7_P12ihipStream_tbENKUlT_T0_E_clISt17integral_constantIbLb1EES13_EEDaSY_SZ_EUlSY_E_NS1_11comp_targetILNS1_3genE9ELNS1_11target_archE1100ELNS1_3gpuE3ELNS1_3repE0EEENS1_30default_config_static_selectorELNS0_4arch9wavefront6targetE0EEEvT1_
                                        ; -- End function
	.set _ZN7rocprim17ROCPRIM_400000_NS6detail17trampoline_kernelINS0_14default_configENS1_27scan_by_key_config_selectorIj11FixedVectorIiLj1EEEEZZNS1_16scan_by_key_implILNS1_25lookback_scan_determinismE0ELb1ES3_N6thrust23THRUST_200600_302600_NS6detail15normal_iteratorINSB_10device_ptrIjEEEENSD_INSE_IS6_EEEESI_S6_NSB_4plusIvEENSB_8equal_toIvEES6_EE10hipError_tPvRmT2_T3_T4_T5_mT6_T7_P12ihipStream_tbENKUlT_T0_E_clISt17integral_constantIbLb1EES13_EEDaSY_SZ_EUlSY_E_NS1_11comp_targetILNS1_3genE9ELNS1_11target_archE1100ELNS1_3gpuE3ELNS1_3repE0EEENS1_30default_config_static_selectorELNS0_4arch9wavefront6targetE0EEEvT1_.num_vgpr, 0
	.set _ZN7rocprim17ROCPRIM_400000_NS6detail17trampoline_kernelINS0_14default_configENS1_27scan_by_key_config_selectorIj11FixedVectorIiLj1EEEEZZNS1_16scan_by_key_implILNS1_25lookback_scan_determinismE0ELb1ES3_N6thrust23THRUST_200600_302600_NS6detail15normal_iteratorINSB_10device_ptrIjEEEENSD_INSE_IS6_EEEESI_S6_NSB_4plusIvEENSB_8equal_toIvEES6_EE10hipError_tPvRmT2_T3_T4_T5_mT6_T7_P12ihipStream_tbENKUlT_T0_E_clISt17integral_constantIbLb1EES13_EEDaSY_SZ_EUlSY_E_NS1_11comp_targetILNS1_3genE9ELNS1_11target_archE1100ELNS1_3gpuE3ELNS1_3repE0EEENS1_30default_config_static_selectorELNS0_4arch9wavefront6targetE0EEEvT1_.num_agpr, 0
	.set _ZN7rocprim17ROCPRIM_400000_NS6detail17trampoline_kernelINS0_14default_configENS1_27scan_by_key_config_selectorIj11FixedVectorIiLj1EEEEZZNS1_16scan_by_key_implILNS1_25lookback_scan_determinismE0ELb1ES3_N6thrust23THRUST_200600_302600_NS6detail15normal_iteratorINSB_10device_ptrIjEEEENSD_INSE_IS6_EEEESI_S6_NSB_4plusIvEENSB_8equal_toIvEES6_EE10hipError_tPvRmT2_T3_T4_T5_mT6_T7_P12ihipStream_tbENKUlT_T0_E_clISt17integral_constantIbLb1EES13_EEDaSY_SZ_EUlSY_E_NS1_11comp_targetILNS1_3genE9ELNS1_11target_archE1100ELNS1_3gpuE3ELNS1_3repE0EEENS1_30default_config_static_selectorELNS0_4arch9wavefront6targetE0EEEvT1_.numbered_sgpr, 0
	.set _ZN7rocprim17ROCPRIM_400000_NS6detail17trampoline_kernelINS0_14default_configENS1_27scan_by_key_config_selectorIj11FixedVectorIiLj1EEEEZZNS1_16scan_by_key_implILNS1_25lookback_scan_determinismE0ELb1ES3_N6thrust23THRUST_200600_302600_NS6detail15normal_iteratorINSB_10device_ptrIjEEEENSD_INSE_IS6_EEEESI_S6_NSB_4plusIvEENSB_8equal_toIvEES6_EE10hipError_tPvRmT2_T3_T4_T5_mT6_T7_P12ihipStream_tbENKUlT_T0_E_clISt17integral_constantIbLb1EES13_EEDaSY_SZ_EUlSY_E_NS1_11comp_targetILNS1_3genE9ELNS1_11target_archE1100ELNS1_3gpuE3ELNS1_3repE0EEENS1_30default_config_static_selectorELNS0_4arch9wavefront6targetE0EEEvT1_.num_named_barrier, 0
	.set _ZN7rocprim17ROCPRIM_400000_NS6detail17trampoline_kernelINS0_14default_configENS1_27scan_by_key_config_selectorIj11FixedVectorIiLj1EEEEZZNS1_16scan_by_key_implILNS1_25lookback_scan_determinismE0ELb1ES3_N6thrust23THRUST_200600_302600_NS6detail15normal_iteratorINSB_10device_ptrIjEEEENSD_INSE_IS6_EEEESI_S6_NSB_4plusIvEENSB_8equal_toIvEES6_EE10hipError_tPvRmT2_T3_T4_T5_mT6_T7_P12ihipStream_tbENKUlT_T0_E_clISt17integral_constantIbLb1EES13_EEDaSY_SZ_EUlSY_E_NS1_11comp_targetILNS1_3genE9ELNS1_11target_archE1100ELNS1_3gpuE3ELNS1_3repE0EEENS1_30default_config_static_selectorELNS0_4arch9wavefront6targetE0EEEvT1_.private_seg_size, 0
	.set _ZN7rocprim17ROCPRIM_400000_NS6detail17trampoline_kernelINS0_14default_configENS1_27scan_by_key_config_selectorIj11FixedVectorIiLj1EEEEZZNS1_16scan_by_key_implILNS1_25lookback_scan_determinismE0ELb1ES3_N6thrust23THRUST_200600_302600_NS6detail15normal_iteratorINSB_10device_ptrIjEEEENSD_INSE_IS6_EEEESI_S6_NSB_4plusIvEENSB_8equal_toIvEES6_EE10hipError_tPvRmT2_T3_T4_T5_mT6_T7_P12ihipStream_tbENKUlT_T0_E_clISt17integral_constantIbLb1EES13_EEDaSY_SZ_EUlSY_E_NS1_11comp_targetILNS1_3genE9ELNS1_11target_archE1100ELNS1_3gpuE3ELNS1_3repE0EEENS1_30default_config_static_selectorELNS0_4arch9wavefront6targetE0EEEvT1_.uses_vcc, 0
	.set _ZN7rocprim17ROCPRIM_400000_NS6detail17trampoline_kernelINS0_14default_configENS1_27scan_by_key_config_selectorIj11FixedVectorIiLj1EEEEZZNS1_16scan_by_key_implILNS1_25lookback_scan_determinismE0ELb1ES3_N6thrust23THRUST_200600_302600_NS6detail15normal_iteratorINSB_10device_ptrIjEEEENSD_INSE_IS6_EEEESI_S6_NSB_4plusIvEENSB_8equal_toIvEES6_EE10hipError_tPvRmT2_T3_T4_T5_mT6_T7_P12ihipStream_tbENKUlT_T0_E_clISt17integral_constantIbLb1EES13_EEDaSY_SZ_EUlSY_E_NS1_11comp_targetILNS1_3genE9ELNS1_11target_archE1100ELNS1_3gpuE3ELNS1_3repE0EEENS1_30default_config_static_selectorELNS0_4arch9wavefront6targetE0EEEvT1_.uses_flat_scratch, 0
	.set _ZN7rocprim17ROCPRIM_400000_NS6detail17trampoline_kernelINS0_14default_configENS1_27scan_by_key_config_selectorIj11FixedVectorIiLj1EEEEZZNS1_16scan_by_key_implILNS1_25lookback_scan_determinismE0ELb1ES3_N6thrust23THRUST_200600_302600_NS6detail15normal_iteratorINSB_10device_ptrIjEEEENSD_INSE_IS6_EEEESI_S6_NSB_4plusIvEENSB_8equal_toIvEES6_EE10hipError_tPvRmT2_T3_T4_T5_mT6_T7_P12ihipStream_tbENKUlT_T0_E_clISt17integral_constantIbLb1EES13_EEDaSY_SZ_EUlSY_E_NS1_11comp_targetILNS1_3genE9ELNS1_11target_archE1100ELNS1_3gpuE3ELNS1_3repE0EEENS1_30default_config_static_selectorELNS0_4arch9wavefront6targetE0EEEvT1_.has_dyn_sized_stack, 0
	.set _ZN7rocprim17ROCPRIM_400000_NS6detail17trampoline_kernelINS0_14default_configENS1_27scan_by_key_config_selectorIj11FixedVectorIiLj1EEEEZZNS1_16scan_by_key_implILNS1_25lookback_scan_determinismE0ELb1ES3_N6thrust23THRUST_200600_302600_NS6detail15normal_iteratorINSB_10device_ptrIjEEEENSD_INSE_IS6_EEEESI_S6_NSB_4plusIvEENSB_8equal_toIvEES6_EE10hipError_tPvRmT2_T3_T4_T5_mT6_T7_P12ihipStream_tbENKUlT_T0_E_clISt17integral_constantIbLb1EES13_EEDaSY_SZ_EUlSY_E_NS1_11comp_targetILNS1_3genE9ELNS1_11target_archE1100ELNS1_3gpuE3ELNS1_3repE0EEENS1_30default_config_static_selectorELNS0_4arch9wavefront6targetE0EEEvT1_.has_recursion, 0
	.set _ZN7rocprim17ROCPRIM_400000_NS6detail17trampoline_kernelINS0_14default_configENS1_27scan_by_key_config_selectorIj11FixedVectorIiLj1EEEEZZNS1_16scan_by_key_implILNS1_25lookback_scan_determinismE0ELb1ES3_N6thrust23THRUST_200600_302600_NS6detail15normal_iteratorINSB_10device_ptrIjEEEENSD_INSE_IS6_EEEESI_S6_NSB_4plusIvEENSB_8equal_toIvEES6_EE10hipError_tPvRmT2_T3_T4_T5_mT6_T7_P12ihipStream_tbENKUlT_T0_E_clISt17integral_constantIbLb1EES13_EEDaSY_SZ_EUlSY_E_NS1_11comp_targetILNS1_3genE9ELNS1_11target_archE1100ELNS1_3gpuE3ELNS1_3repE0EEENS1_30default_config_static_selectorELNS0_4arch9wavefront6targetE0EEEvT1_.has_indirect_call, 0
	.section	.AMDGPU.csdata,"",@progbits
; Kernel info:
; codeLenInByte = 0
; TotalNumSgprs: 0
; NumVgprs: 0
; ScratchSize: 0
; MemoryBound: 0
; FloatMode: 240
; IeeeMode: 1
; LDSByteSize: 0 bytes/workgroup (compile time only)
; SGPRBlocks: 0
; VGPRBlocks: 0
; NumSGPRsForWavesPerEU: 1
; NumVGPRsForWavesPerEU: 1
; NamedBarCnt: 0
; Occupancy: 16
; WaveLimiterHint : 0
; COMPUTE_PGM_RSRC2:SCRATCH_EN: 0
; COMPUTE_PGM_RSRC2:USER_SGPR: 2
; COMPUTE_PGM_RSRC2:TRAP_HANDLER: 0
; COMPUTE_PGM_RSRC2:TGID_X_EN: 1
; COMPUTE_PGM_RSRC2:TGID_Y_EN: 0
; COMPUTE_PGM_RSRC2:TGID_Z_EN: 0
; COMPUTE_PGM_RSRC2:TIDIG_COMP_CNT: 0
	.section	.text._ZN7rocprim17ROCPRIM_400000_NS6detail17trampoline_kernelINS0_14default_configENS1_27scan_by_key_config_selectorIj11FixedVectorIiLj1EEEEZZNS1_16scan_by_key_implILNS1_25lookback_scan_determinismE0ELb1ES3_N6thrust23THRUST_200600_302600_NS6detail15normal_iteratorINSB_10device_ptrIjEEEENSD_INSE_IS6_EEEESI_S6_NSB_4plusIvEENSB_8equal_toIvEES6_EE10hipError_tPvRmT2_T3_T4_T5_mT6_T7_P12ihipStream_tbENKUlT_T0_E_clISt17integral_constantIbLb1EES13_EEDaSY_SZ_EUlSY_E_NS1_11comp_targetILNS1_3genE8ELNS1_11target_archE1030ELNS1_3gpuE2ELNS1_3repE0EEENS1_30default_config_static_selectorELNS0_4arch9wavefront6targetE0EEEvT1_,"axG",@progbits,_ZN7rocprim17ROCPRIM_400000_NS6detail17trampoline_kernelINS0_14default_configENS1_27scan_by_key_config_selectorIj11FixedVectorIiLj1EEEEZZNS1_16scan_by_key_implILNS1_25lookback_scan_determinismE0ELb1ES3_N6thrust23THRUST_200600_302600_NS6detail15normal_iteratorINSB_10device_ptrIjEEEENSD_INSE_IS6_EEEESI_S6_NSB_4plusIvEENSB_8equal_toIvEES6_EE10hipError_tPvRmT2_T3_T4_T5_mT6_T7_P12ihipStream_tbENKUlT_T0_E_clISt17integral_constantIbLb1EES13_EEDaSY_SZ_EUlSY_E_NS1_11comp_targetILNS1_3genE8ELNS1_11target_archE1030ELNS1_3gpuE2ELNS1_3repE0EEENS1_30default_config_static_selectorELNS0_4arch9wavefront6targetE0EEEvT1_,comdat
	.protected	_ZN7rocprim17ROCPRIM_400000_NS6detail17trampoline_kernelINS0_14default_configENS1_27scan_by_key_config_selectorIj11FixedVectorIiLj1EEEEZZNS1_16scan_by_key_implILNS1_25lookback_scan_determinismE0ELb1ES3_N6thrust23THRUST_200600_302600_NS6detail15normal_iteratorINSB_10device_ptrIjEEEENSD_INSE_IS6_EEEESI_S6_NSB_4plusIvEENSB_8equal_toIvEES6_EE10hipError_tPvRmT2_T3_T4_T5_mT6_T7_P12ihipStream_tbENKUlT_T0_E_clISt17integral_constantIbLb1EES13_EEDaSY_SZ_EUlSY_E_NS1_11comp_targetILNS1_3genE8ELNS1_11target_archE1030ELNS1_3gpuE2ELNS1_3repE0EEENS1_30default_config_static_selectorELNS0_4arch9wavefront6targetE0EEEvT1_ ; -- Begin function _ZN7rocprim17ROCPRIM_400000_NS6detail17trampoline_kernelINS0_14default_configENS1_27scan_by_key_config_selectorIj11FixedVectorIiLj1EEEEZZNS1_16scan_by_key_implILNS1_25lookback_scan_determinismE0ELb1ES3_N6thrust23THRUST_200600_302600_NS6detail15normal_iteratorINSB_10device_ptrIjEEEENSD_INSE_IS6_EEEESI_S6_NSB_4plusIvEENSB_8equal_toIvEES6_EE10hipError_tPvRmT2_T3_T4_T5_mT6_T7_P12ihipStream_tbENKUlT_T0_E_clISt17integral_constantIbLb1EES13_EEDaSY_SZ_EUlSY_E_NS1_11comp_targetILNS1_3genE8ELNS1_11target_archE1030ELNS1_3gpuE2ELNS1_3repE0EEENS1_30default_config_static_selectorELNS0_4arch9wavefront6targetE0EEEvT1_
	.globl	_ZN7rocprim17ROCPRIM_400000_NS6detail17trampoline_kernelINS0_14default_configENS1_27scan_by_key_config_selectorIj11FixedVectorIiLj1EEEEZZNS1_16scan_by_key_implILNS1_25lookback_scan_determinismE0ELb1ES3_N6thrust23THRUST_200600_302600_NS6detail15normal_iteratorINSB_10device_ptrIjEEEENSD_INSE_IS6_EEEESI_S6_NSB_4plusIvEENSB_8equal_toIvEES6_EE10hipError_tPvRmT2_T3_T4_T5_mT6_T7_P12ihipStream_tbENKUlT_T0_E_clISt17integral_constantIbLb1EES13_EEDaSY_SZ_EUlSY_E_NS1_11comp_targetILNS1_3genE8ELNS1_11target_archE1030ELNS1_3gpuE2ELNS1_3repE0EEENS1_30default_config_static_selectorELNS0_4arch9wavefront6targetE0EEEvT1_
	.p2align	8
	.type	_ZN7rocprim17ROCPRIM_400000_NS6detail17trampoline_kernelINS0_14default_configENS1_27scan_by_key_config_selectorIj11FixedVectorIiLj1EEEEZZNS1_16scan_by_key_implILNS1_25lookback_scan_determinismE0ELb1ES3_N6thrust23THRUST_200600_302600_NS6detail15normal_iteratorINSB_10device_ptrIjEEEENSD_INSE_IS6_EEEESI_S6_NSB_4plusIvEENSB_8equal_toIvEES6_EE10hipError_tPvRmT2_T3_T4_T5_mT6_T7_P12ihipStream_tbENKUlT_T0_E_clISt17integral_constantIbLb1EES13_EEDaSY_SZ_EUlSY_E_NS1_11comp_targetILNS1_3genE8ELNS1_11target_archE1030ELNS1_3gpuE2ELNS1_3repE0EEENS1_30default_config_static_selectorELNS0_4arch9wavefront6targetE0EEEvT1_,@function
_ZN7rocprim17ROCPRIM_400000_NS6detail17trampoline_kernelINS0_14default_configENS1_27scan_by_key_config_selectorIj11FixedVectorIiLj1EEEEZZNS1_16scan_by_key_implILNS1_25lookback_scan_determinismE0ELb1ES3_N6thrust23THRUST_200600_302600_NS6detail15normal_iteratorINSB_10device_ptrIjEEEENSD_INSE_IS6_EEEESI_S6_NSB_4plusIvEENSB_8equal_toIvEES6_EE10hipError_tPvRmT2_T3_T4_T5_mT6_T7_P12ihipStream_tbENKUlT_T0_E_clISt17integral_constantIbLb1EES13_EEDaSY_SZ_EUlSY_E_NS1_11comp_targetILNS1_3genE8ELNS1_11target_archE1030ELNS1_3gpuE2ELNS1_3repE0EEENS1_30default_config_static_selectorELNS0_4arch9wavefront6targetE0EEEvT1_: ; @_ZN7rocprim17ROCPRIM_400000_NS6detail17trampoline_kernelINS0_14default_configENS1_27scan_by_key_config_selectorIj11FixedVectorIiLj1EEEEZZNS1_16scan_by_key_implILNS1_25lookback_scan_determinismE0ELb1ES3_N6thrust23THRUST_200600_302600_NS6detail15normal_iteratorINSB_10device_ptrIjEEEENSD_INSE_IS6_EEEESI_S6_NSB_4plusIvEENSB_8equal_toIvEES6_EE10hipError_tPvRmT2_T3_T4_T5_mT6_T7_P12ihipStream_tbENKUlT_T0_E_clISt17integral_constantIbLb1EES13_EEDaSY_SZ_EUlSY_E_NS1_11comp_targetILNS1_3genE8ELNS1_11target_archE1030ELNS1_3gpuE2ELNS1_3repE0EEENS1_30default_config_static_selectorELNS0_4arch9wavefront6targetE0EEEvT1_
; %bb.0:
	.section	.rodata,"a",@progbits
	.p2align	6, 0x0
	.amdhsa_kernel _ZN7rocprim17ROCPRIM_400000_NS6detail17trampoline_kernelINS0_14default_configENS1_27scan_by_key_config_selectorIj11FixedVectorIiLj1EEEEZZNS1_16scan_by_key_implILNS1_25lookback_scan_determinismE0ELb1ES3_N6thrust23THRUST_200600_302600_NS6detail15normal_iteratorINSB_10device_ptrIjEEEENSD_INSE_IS6_EEEESI_S6_NSB_4plusIvEENSB_8equal_toIvEES6_EE10hipError_tPvRmT2_T3_T4_T5_mT6_T7_P12ihipStream_tbENKUlT_T0_E_clISt17integral_constantIbLb1EES13_EEDaSY_SZ_EUlSY_E_NS1_11comp_targetILNS1_3genE8ELNS1_11target_archE1030ELNS1_3gpuE2ELNS1_3repE0EEENS1_30default_config_static_selectorELNS0_4arch9wavefront6targetE0EEEvT1_
		.amdhsa_group_segment_fixed_size 0
		.amdhsa_private_segment_fixed_size 0
		.amdhsa_kernarg_size 112
		.amdhsa_user_sgpr_count 2
		.amdhsa_user_sgpr_dispatch_ptr 0
		.amdhsa_user_sgpr_queue_ptr 0
		.amdhsa_user_sgpr_kernarg_segment_ptr 1
		.amdhsa_user_sgpr_dispatch_id 0
		.amdhsa_user_sgpr_kernarg_preload_length 0
		.amdhsa_user_sgpr_kernarg_preload_offset 0
		.amdhsa_user_sgpr_private_segment_size 0
		.amdhsa_wavefront_size32 1
		.amdhsa_uses_dynamic_stack 0
		.amdhsa_enable_private_segment 0
		.amdhsa_system_sgpr_workgroup_id_x 1
		.amdhsa_system_sgpr_workgroup_id_y 0
		.amdhsa_system_sgpr_workgroup_id_z 0
		.amdhsa_system_sgpr_workgroup_info 0
		.amdhsa_system_vgpr_workitem_id 0
		.amdhsa_next_free_vgpr 1
		.amdhsa_next_free_sgpr 1
		.amdhsa_named_barrier_count 0
		.amdhsa_reserve_vcc 0
		.amdhsa_float_round_mode_32 0
		.amdhsa_float_round_mode_16_64 0
		.amdhsa_float_denorm_mode_32 3
		.amdhsa_float_denorm_mode_16_64 3
		.amdhsa_fp16_overflow 0
		.amdhsa_memory_ordered 1
		.amdhsa_forward_progress 1
		.amdhsa_inst_pref_size 0
		.amdhsa_round_robin_scheduling 0
		.amdhsa_exception_fp_ieee_invalid_op 0
		.amdhsa_exception_fp_denorm_src 0
		.amdhsa_exception_fp_ieee_div_zero 0
		.amdhsa_exception_fp_ieee_overflow 0
		.amdhsa_exception_fp_ieee_underflow 0
		.amdhsa_exception_fp_ieee_inexact 0
		.amdhsa_exception_int_div_zero 0
	.end_amdhsa_kernel
	.section	.text._ZN7rocprim17ROCPRIM_400000_NS6detail17trampoline_kernelINS0_14default_configENS1_27scan_by_key_config_selectorIj11FixedVectorIiLj1EEEEZZNS1_16scan_by_key_implILNS1_25lookback_scan_determinismE0ELb1ES3_N6thrust23THRUST_200600_302600_NS6detail15normal_iteratorINSB_10device_ptrIjEEEENSD_INSE_IS6_EEEESI_S6_NSB_4plusIvEENSB_8equal_toIvEES6_EE10hipError_tPvRmT2_T3_T4_T5_mT6_T7_P12ihipStream_tbENKUlT_T0_E_clISt17integral_constantIbLb1EES13_EEDaSY_SZ_EUlSY_E_NS1_11comp_targetILNS1_3genE8ELNS1_11target_archE1030ELNS1_3gpuE2ELNS1_3repE0EEENS1_30default_config_static_selectorELNS0_4arch9wavefront6targetE0EEEvT1_,"axG",@progbits,_ZN7rocprim17ROCPRIM_400000_NS6detail17trampoline_kernelINS0_14default_configENS1_27scan_by_key_config_selectorIj11FixedVectorIiLj1EEEEZZNS1_16scan_by_key_implILNS1_25lookback_scan_determinismE0ELb1ES3_N6thrust23THRUST_200600_302600_NS6detail15normal_iteratorINSB_10device_ptrIjEEEENSD_INSE_IS6_EEEESI_S6_NSB_4plusIvEENSB_8equal_toIvEES6_EE10hipError_tPvRmT2_T3_T4_T5_mT6_T7_P12ihipStream_tbENKUlT_T0_E_clISt17integral_constantIbLb1EES13_EEDaSY_SZ_EUlSY_E_NS1_11comp_targetILNS1_3genE8ELNS1_11target_archE1030ELNS1_3gpuE2ELNS1_3repE0EEENS1_30default_config_static_selectorELNS0_4arch9wavefront6targetE0EEEvT1_,comdat
.Lfunc_end1928:
	.size	_ZN7rocprim17ROCPRIM_400000_NS6detail17trampoline_kernelINS0_14default_configENS1_27scan_by_key_config_selectorIj11FixedVectorIiLj1EEEEZZNS1_16scan_by_key_implILNS1_25lookback_scan_determinismE0ELb1ES3_N6thrust23THRUST_200600_302600_NS6detail15normal_iteratorINSB_10device_ptrIjEEEENSD_INSE_IS6_EEEESI_S6_NSB_4plusIvEENSB_8equal_toIvEES6_EE10hipError_tPvRmT2_T3_T4_T5_mT6_T7_P12ihipStream_tbENKUlT_T0_E_clISt17integral_constantIbLb1EES13_EEDaSY_SZ_EUlSY_E_NS1_11comp_targetILNS1_3genE8ELNS1_11target_archE1030ELNS1_3gpuE2ELNS1_3repE0EEENS1_30default_config_static_selectorELNS0_4arch9wavefront6targetE0EEEvT1_, .Lfunc_end1928-_ZN7rocprim17ROCPRIM_400000_NS6detail17trampoline_kernelINS0_14default_configENS1_27scan_by_key_config_selectorIj11FixedVectorIiLj1EEEEZZNS1_16scan_by_key_implILNS1_25lookback_scan_determinismE0ELb1ES3_N6thrust23THRUST_200600_302600_NS6detail15normal_iteratorINSB_10device_ptrIjEEEENSD_INSE_IS6_EEEESI_S6_NSB_4plusIvEENSB_8equal_toIvEES6_EE10hipError_tPvRmT2_T3_T4_T5_mT6_T7_P12ihipStream_tbENKUlT_T0_E_clISt17integral_constantIbLb1EES13_EEDaSY_SZ_EUlSY_E_NS1_11comp_targetILNS1_3genE8ELNS1_11target_archE1030ELNS1_3gpuE2ELNS1_3repE0EEENS1_30default_config_static_selectorELNS0_4arch9wavefront6targetE0EEEvT1_
                                        ; -- End function
	.set _ZN7rocprim17ROCPRIM_400000_NS6detail17trampoline_kernelINS0_14default_configENS1_27scan_by_key_config_selectorIj11FixedVectorIiLj1EEEEZZNS1_16scan_by_key_implILNS1_25lookback_scan_determinismE0ELb1ES3_N6thrust23THRUST_200600_302600_NS6detail15normal_iteratorINSB_10device_ptrIjEEEENSD_INSE_IS6_EEEESI_S6_NSB_4plusIvEENSB_8equal_toIvEES6_EE10hipError_tPvRmT2_T3_T4_T5_mT6_T7_P12ihipStream_tbENKUlT_T0_E_clISt17integral_constantIbLb1EES13_EEDaSY_SZ_EUlSY_E_NS1_11comp_targetILNS1_3genE8ELNS1_11target_archE1030ELNS1_3gpuE2ELNS1_3repE0EEENS1_30default_config_static_selectorELNS0_4arch9wavefront6targetE0EEEvT1_.num_vgpr, 0
	.set _ZN7rocprim17ROCPRIM_400000_NS6detail17trampoline_kernelINS0_14default_configENS1_27scan_by_key_config_selectorIj11FixedVectorIiLj1EEEEZZNS1_16scan_by_key_implILNS1_25lookback_scan_determinismE0ELb1ES3_N6thrust23THRUST_200600_302600_NS6detail15normal_iteratorINSB_10device_ptrIjEEEENSD_INSE_IS6_EEEESI_S6_NSB_4plusIvEENSB_8equal_toIvEES6_EE10hipError_tPvRmT2_T3_T4_T5_mT6_T7_P12ihipStream_tbENKUlT_T0_E_clISt17integral_constantIbLb1EES13_EEDaSY_SZ_EUlSY_E_NS1_11comp_targetILNS1_3genE8ELNS1_11target_archE1030ELNS1_3gpuE2ELNS1_3repE0EEENS1_30default_config_static_selectorELNS0_4arch9wavefront6targetE0EEEvT1_.num_agpr, 0
	.set _ZN7rocprim17ROCPRIM_400000_NS6detail17trampoline_kernelINS0_14default_configENS1_27scan_by_key_config_selectorIj11FixedVectorIiLj1EEEEZZNS1_16scan_by_key_implILNS1_25lookback_scan_determinismE0ELb1ES3_N6thrust23THRUST_200600_302600_NS6detail15normal_iteratorINSB_10device_ptrIjEEEENSD_INSE_IS6_EEEESI_S6_NSB_4plusIvEENSB_8equal_toIvEES6_EE10hipError_tPvRmT2_T3_T4_T5_mT6_T7_P12ihipStream_tbENKUlT_T0_E_clISt17integral_constantIbLb1EES13_EEDaSY_SZ_EUlSY_E_NS1_11comp_targetILNS1_3genE8ELNS1_11target_archE1030ELNS1_3gpuE2ELNS1_3repE0EEENS1_30default_config_static_selectorELNS0_4arch9wavefront6targetE0EEEvT1_.numbered_sgpr, 0
	.set _ZN7rocprim17ROCPRIM_400000_NS6detail17trampoline_kernelINS0_14default_configENS1_27scan_by_key_config_selectorIj11FixedVectorIiLj1EEEEZZNS1_16scan_by_key_implILNS1_25lookback_scan_determinismE0ELb1ES3_N6thrust23THRUST_200600_302600_NS6detail15normal_iteratorINSB_10device_ptrIjEEEENSD_INSE_IS6_EEEESI_S6_NSB_4plusIvEENSB_8equal_toIvEES6_EE10hipError_tPvRmT2_T3_T4_T5_mT6_T7_P12ihipStream_tbENKUlT_T0_E_clISt17integral_constantIbLb1EES13_EEDaSY_SZ_EUlSY_E_NS1_11comp_targetILNS1_3genE8ELNS1_11target_archE1030ELNS1_3gpuE2ELNS1_3repE0EEENS1_30default_config_static_selectorELNS0_4arch9wavefront6targetE0EEEvT1_.num_named_barrier, 0
	.set _ZN7rocprim17ROCPRIM_400000_NS6detail17trampoline_kernelINS0_14default_configENS1_27scan_by_key_config_selectorIj11FixedVectorIiLj1EEEEZZNS1_16scan_by_key_implILNS1_25lookback_scan_determinismE0ELb1ES3_N6thrust23THRUST_200600_302600_NS6detail15normal_iteratorINSB_10device_ptrIjEEEENSD_INSE_IS6_EEEESI_S6_NSB_4plusIvEENSB_8equal_toIvEES6_EE10hipError_tPvRmT2_T3_T4_T5_mT6_T7_P12ihipStream_tbENKUlT_T0_E_clISt17integral_constantIbLb1EES13_EEDaSY_SZ_EUlSY_E_NS1_11comp_targetILNS1_3genE8ELNS1_11target_archE1030ELNS1_3gpuE2ELNS1_3repE0EEENS1_30default_config_static_selectorELNS0_4arch9wavefront6targetE0EEEvT1_.private_seg_size, 0
	.set _ZN7rocprim17ROCPRIM_400000_NS6detail17trampoline_kernelINS0_14default_configENS1_27scan_by_key_config_selectorIj11FixedVectorIiLj1EEEEZZNS1_16scan_by_key_implILNS1_25lookback_scan_determinismE0ELb1ES3_N6thrust23THRUST_200600_302600_NS6detail15normal_iteratorINSB_10device_ptrIjEEEENSD_INSE_IS6_EEEESI_S6_NSB_4plusIvEENSB_8equal_toIvEES6_EE10hipError_tPvRmT2_T3_T4_T5_mT6_T7_P12ihipStream_tbENKUlT_T0_E_clISt17integral_constantIbLb1EES13_EEDaSY_SZ_EUlSY_E_NS1_11comp_targetILNS1_3genE8ELNS1_11target_archE1030ELNS1_3gpuE2ELNS1_3repE0EEENS1_30default_config_static_selectorELNS0_4arch9wavefront6targetE0EEEvT1_.uses_vcc, 0
	.set _ZN7rocprim17ROCPRIM_400000_NS6detail17trampoline_kernelINS0_14default_configENS1_27scan_by_key_config_selectorIj11FixedVectorIiLj1EEEEZZNS1_16scan_by_key_implILNS1_25lookback_scan_determinismE0ELb1ES3_N6thrust23THRUST_200600_302600_NS6detail15normal_iteratorINSB_10device_ptrIjEEEENSD_INSE_IS6_EEEESI_S6_NSB_4plusIvEENSB_8equal_toIvEES6_EE10hipError_tPvRmT2_T3_T4_T5_mT6_T7_P12ihipStream_tbENKUlT_T0_E_clISt17integral_constantIbLb1EES13_EEDaSY_SZ_EUlSY_E_NS1_11comp_targetILNS1_3genE8ELNS1_11target_archE1030ELNS1_3gpuE2ELNS1_3repE0EEENS1_30default_config_static_selectorELNS0_4arch9wavefront6targetE0EEEvT1_.uses_flat_scratch, 0
	.set _ZN7rocprim17ROCPRIM_400000_NS6detail17trampoline_kernelINS0_14default_configENS1_27scan_by_key_config_selectorIj11FixedVectorIiLj1EEEEZZNS1_16scan_by_key_implILNS1_25lookback_scan_determinismE0ELb1ES3_N6thrust23THRUST_200600_302600_NS6detail15normal_iteratorINSB_10device_ptrIjEEEENSD_INSE_IS6_EEEESI_S6_NSB_4plusIvEENSB_8equal_toIvEES6_EE10hipError_tPvRmT2_T3_T4_T5_mT6_T7_P12ihipStream_tbENKUlT_T0_E_clISt17integral_constantIbLb1EES13_EEDaSY_SZ_EUlSY_E_NS1_11comp_targetILNS1_3genE8ELNS1_11target_archE1030ELNS1_3gpuE2ELNS1_3repE0EEENS1_30default_config_static_selectorELNS0_4arch9wavefront6targetE0EEEvT1_.has_dyn_sized_stack, 0
	.set _ZN7rocprim17ROCPRIM_400000_NS6detail17trampoline_kernelINS0_14default_configENS1_27scan_by_key_config_selectorIj11FixedVectorIiLj1EEEEZZNS1_16scan_by_key_implILNS1_25lookback_scan_determinismE0ELb1ES3_N6thrust23THRUST_200600_302600_NS6detail15normal_iteratorINSB_10device_ptrIjEEEENSD_INSE_IS6_EEEESI_S6_NSB_4plusIvEENSB_8equal_toIvEES6_EE10hipError_tPvRmT2_T3_T4_T5_mT6_T7_P12ihipStream_tbENKUlT_T0_E_clISt17integral_constantIbLb1EES13_EEDaSY_SZ_EUlSY_E_NS1_11comp_targetILNS1_3genE8ELNS1_11target_archE1030ELNS1_3gpuE2ELNS1_3repE0EEENS1_30default_config_static_selectorELNS0_4arch9wavefront6targetE0EEEvT1_.has_recursion, 0
	.set _ZN7rocprim17ROCPRIM_400000_NS6detail17trampoline_kernelINS0_14default_configENS1_27scan_by_key_config_selectorIj11FixedVectorIiLj1EEEEZZNS1_16scan_by_key_implILNS1_25lookback_scan_determinismE0ELb1ES3_N6thrust23THRUST_200600_302600_NS6detail15normal_iteratorINSB_10device_ptrIjEEEENSD_INSE_IS6_EEEESI_S6_NSB_4plusIvEENSB_8equal_toIvEES6_EE10hipError_tPvRmT2_T3_T4_T5_mT6_T7_P12ihipStream_tbENKUlT_T0_E_clISt17integral_constantIbLb1EES13_EEDaSY_SZ_EUlSY_E_NS1_11comp_targetILNS1_3genE8ELNS1_11target_archE1030ELNS1_3gpuE2ELNS1_3repE0EEENS1_30default_config_static_selectorELNS0_4arch9wavefront6targetE0EEEvT1_.has_indirect_call, 0
	.section	.AMDGPU.csdata,"",@progbits
; Kernel info:
; codeLenInByte = 0
; TotalNumSgprs: 0
; NumVgprs: 0
; ScratchSize: 0
; MemoryBound: 0
; FloatMode: 240
; IeeeMode: 1
; LDSByteSize: 0 bytes/workgroup (compile time only)
; SGPRBlocks: 0
; VGPRBlocks: 0
; NumSGPRsForWavesPerEU: 1
; NumVGPRsForWavesPerEU: 1
; NamedBarCnt: 0
; Occupancy: 16
; WaveLimiterHint : 0
; COMPUTE_PGM_RSRC2:SCRATCH_EN: 0
; COMPUTE_PGM_RSRC2:USER_SGPR: 2
; COMPUTE_PGM_RSRC2:TRAP_HANDLER: 0
; COMPUTE_PGM_RSRC2:TGID_X_EN: 1
; COMPUTE_PGM_RSRC2:TGID_Y_EN: 0
; COMPUTE_PGM_RSRC2:TGID_Z_EN: 0
; COMPUTE_PGM_RSRC2:TIDIG_COMP_CNT: 0
	.section	.text._ZN7rocprim17ROCPRIM_400000_NS6detail17trampoline_kernelINS0_14default_configENS1_27scan_by_key_config_selectorIj11FixedVectorIiLj1EEEEZZNS1_16scan_by_key_implILNS1_25lookback_scan_determinismE0ELb1ES3_N6thrust23THRUST_200600_302600_NS6detail15normal_iteratorINSB_10device_ptrIjEEEENSD_INSE_IS6_EEEESI_S6_NSB_4plusIvEENSB_8equal_toIvEES6_EE10hipError_tPvRmT2_T3_T4_T5_mT6_T7_P12ihipStream_tbENKUlT_T0_E_clISt17integral_constantIbLb1EES12_IbLb0EEEEDaSY_SZ_EUlSY_E_NS1_11comp_targetILNS1_3genE0ELNS1_11target_archE4294967295ELNS1_3gpuE0ELNS1_3repE0EEENS1_30default_config_static_selectorELNS0_4arch9wavefront6targetE0EEEvT1_,"axG",@progbits,_ZN7rocprim17ROCPRIM_400000_NS6detail17trampoline_kernelINS0_14default_configENS1_27scan_by_key_config_selectorIj11FixedVectorIiLj1EEEEZZNS1_16scan_by_key_implILNS1_25lookback_scan_determinismE0ELb1ES3_N6thrust23THRUST_200600_302600_NS6detail15normal_iteratorINSB_10device_ptrIjEEEENSD_INSE_IS6_EEEESI_S6_NSB_4plusIvEENSB_8equal_toIvEES6_EE10hipError_tPvRmT2_T3_T4_T5_mT6_T7_P12ihipStream_tbENKUlT_T0_E_clISt17integral_constantIbLb1EES12_IbLb0EEEEDaSY_SZ_EUlSY_E_NS1_11comp_targetILNS1_3genE0ELNS1_11target_archE4294967295ELNS1_3gpuE0ELNS1_3repE0EEENS1_30default_config_static_selectorELNS0_4arch9wavefront6targetE0EEEvT1_,comdat
	.protected	_ZN7rocprim17ROCPRIM_400000_NS6detail17trampoline_kernelINS0_14default_configENS1_27scan_by_key_config_selectorIj11FixedVectorIiLj1EEEEZZNS1_16scan_by_key_implILNS1_25lookback_scan_determinismE0ELb1ES3_N6thrust23THRUST_200600_302600_NS6detail15normal_iteratorINSB_10device_ptrIjEEEENSD_INSE_IS6_EEEESI_S6_NSB_4plusIvEENSB_8equal_toIvEES6_EE10hipError_tPvRmT2_T3_T4_T5_mT6_T7_P12ihipStream_tbENKUlT_T0_E_clISt17integral_constantIbLb1EES12_IbLb0EEEEDaSY_SZ_EUlSY_E_NS1_11comp_targetILNS1_3genE0ELNS1_11target_archE4294967295ELNS1_3gpuE0ELNS1_3repE0EEENS1_30default_config_static_selectorELNS0_4arch9wavefront6targetE0EEEvT1_ ; -- Begin function _ZN7rocprim17ROCPRIM_400000_NS6detail17trampoline_kernelINS0_14default_configENS1_27scan_by_key_config_selectorIj11FixedVectorIiLj1EEEEZZNS1_16scan_by_key_implILNS1_25lookback_scan_determinismE0ELb1ES3_N6thrust23THRUST_200600_302600_NS6detail15normal_iteratorINSB_10device_ptrIjEEEENSD_INSE_IS6_EEEESI_S6_NSB_4plusIvEENSB_8equal_toIvEES6_EE10hipError_tPvRmT2_T3_T4_T5_mT6_T7_P12ihipStream_tbENKUlT_T0_E_clISt17integral_constantIbLb1EES12_IbLb0EEEEDaSY_SZ_EUlSY_E_NS1_11comp_targetILNS1_3genE0ELNS1_11target_archE4294967295ELNS1_3gpuE0ELNS1_3repE0EEENS1_30default_config_static_selectorELNS0_4arch9wavefront6targetE0EEEvT1_
	.globl	_ZN7rocprim17ROCPRIM_400000_NS6detail17trampoline_kernelINS0_14default_configENS1_27scan_by_key_config_selectorIj11FixedVectorIiLj1EEEEZZNS1_16scan_by_key_implILNS1_25lookback_scan_determinismE0ELb1ES3_N6thrust23THRUST_200600_302600_NS6detail15normal_iteratorINSB_10device_ptrIjEEEENSD_INSE_IS6_EEEESI_S6_NSB_4plusIvEENSB_8equal_toIvEES6_EE10hipError_tPvRmT2_T3_T4_T5_mT6_T7_P12ihipStream_tbENKUlT_T0_E_clISt17integral_constantIbLb1EES12_IbLb0EEEEDaSY_SZ_EUlSY_E_NS1_11comp_targetILNS1_3genE0ELNS1_11target_archE4294967295ELNS1_3gpuE0ELNS1_3repE0EEENS1_30default_config_static_selectorELNS0_4arch9wavefront6targetE0EEEvT1_
	.p2align	8
	.type	_ZN7rocprim17ROCPRIM_400000_NS6detail17trampoline_kernelINS0_14default_configENS1_27scan_by_key_config_selectorIj11FixedVectorIiLj1EEEEZZNS1_16scan_by_key_implILNS1_25lookback_scan_determinismE0ELb1ES3_N6thrust23THRUST_200600_302600_NS6detail15normal_iteratorINSB_10device_ptrIjEEEENSD_INSE_IS6_EEEESI_S6_NSB_4plusIvEENSB_8equal_toIvEES6_EE10hipError_tPvRmT2_T3_T4_T5_mT6_T7_P12ihipStream_tbENKUlT_T0_E_clISt17integral_constantIbLb1EES12_IbLb0EEEEDaSY_SZ_EUlSY_E_NS1_11comp_targetILNS1_3genE0ELNS1_11target_archE4294967295ELNS1_3gpuE0ELNS1_3repE0EEENS1_30default_config_static_selectorELNS0_4arch9wavefront6targetE0EEEvT1_,@function
_ZN7rocprim17ROCPRIM_400000_NS6detail17trampoline_kernelINS0_14default_configENS1_27scan_by_key_config_selectorIj11FixedVectorIiLj1EEEEZZNS1_16scan_by_key_implILNS1_25lookback_scan_determinismE0ELb1ES3_N6thrust23THRUST_200600_302600_NS6detail15normal_iteratorINSB_10device_ptrIjEEEENSD_INSE_IS6_EEEESI_S6_NSB_4plusIvEENSB_8equal_toIvEES6_EE10hipError_tPvRmT2_T3_T4_T5_mT6_T7_P12ihipStream_tbENKUlT_T0_E_clISt17integral_constantIbLb1EES12_IbLb0EEEEDaSY_SZ_EUlSY_E_NS1_11comp_targetILNS1_3genE0ELNS1_11target_archE4294967295ELNS1_3gpuE0ELNS1_3repE0EEENS1_30default_config_static_selectorELNS0_4arch9wavefront6targetE0EEEvT1_: ; @_ZN7rocprim17ROCPRIM_400000_NS6detail17trampoline_kernelINS0_14default_configENS1_27scan_by_key_config_selectorIj11FixedVectorIiLj1EEEEZZNS1_16scan_by_key_implILNS1_25lookback_scan_determinismE0ELb1ES3_N6thrust23THRUST_200600_302600_NS6detail15normal_iteratorINSB_10device_ptrIjEEEENSD_INSE_IS6_EEEESI_S6_NSB_4plusIvEENSB_8equal_toIvEES6_EE10hipError_tPvRmT2_T3_T4_T5_mT6_T7_P12ihipStream_tbENKUlT_T0_E_clISt17integral_constantIbLb1EES12_IbLb0EEEEDaSY_SZ_EUlSY_E_NS1_11comp_targetILNS1_3genE0ELNS1_11target_archE4294967295ELNS1_3gpuE0ELNS1_3repE0EEENS1_30default_config_static_selectorELNS0_4arch9wavefront6targetE0EEEvT1_
; %bb.0:
	s_endpgm
	.section	.rodata,"a",@progbits
	.p2align	6, 0x0
	.amdhsa_kernel _ZN7rocprim17ROCPRIM_400000_NS6detail17trampoline_kernelINS0_14default_configENS1_27scan_by_key_config_selectorIj11FixedVectorIiLj1EEEEZZNS1_16scan_by_key_implILNS1_25lookback_scan_determinismE0ELb1ES3_N6thrust23THRUST_200600_302600_NS6detail15normal_iteratorINSB_10device_ptrIjEEEENSD_INSE_IS6_EEEESI_S6_NSB_4plusIvEENSB_8equal_toIvEES6_EE10hipError_tPvRmT2_T3_T4_T5_mT6_T7_P12ihipStream_tbENKUlT_T0_E_clISt17integral_constantIbLb1EES12_IbLb0EEEEDaSY_SZ_EUlSY_E_NS1_11comp_targetILNS1_3genE0ELNS1_11target_archE4294967295ELNS1_3gpuE0ELNS1_3repE0EEENS1_30default_config_static_selectorELNS0_4arch9wavefront6targetE0EEEvT1_
		.amdhsa_group_segment_fixed_size 0
		.amdhsa_private_segment_fixed_size 0
		.amdhsa_kernarg_size 112
		.amdhsa_user_sgpr_count 2
		.amdhsa_user_sgpr_dispatch_ptr 0
		.amdhsa_user_sgpr_queue_ptr 0
		.amdhsa_user_sgpr_kernarg_segment_ptr 1
		.amdhsa_user_sgpr_dispatch_id 0
		.amdhsa_user_sgpr_kernarg_preload_length 0
		.amdhsa_user_sgpr_kernarg_preload_offset 0
		.amdhsa_user_sgpr_private_segment_size 0
		.amdhsa_wavefront_size32 1
		.amdhsa_uses_dynamic_stack 0
		.amdhsa_enable_private_segment 0
		.amdhsa_system_sgpr_workgroup_id_x 1
		.amdhsa_system_sgpr_workgroup_id_y 0
		.amdhsa_system_sgpr_workgroup_id_z 0
		.amdhsa_system_sgpr_workgroup_info 0
		.amdhsa_system_vgpr_workitem_id 0
		.amdhsa_next_free_vgpr 1
		.amdhsa_next_free_sgpr 1
		.amdhsa_named_barrier_count 0
		.amdhsa_reserve_vcc 0
		.amdhsa_float_round_mode_32 0
		.amdhsa_float_round_mode_16_64 0
		.amdhsa_float_denorm_mode_32 3
		.amdhsa_float_denorm_mode_16_64 3
		.amdhsa_fp16_overflow 0
		.amdhsa_memory_ordered 1
		.amdhsa_forward_progress 1
		.amdhsa_inst_pref_size 1
		.amdhsa_round_robin_scheduling 0
		.amdhsa_exception_fp_ieee_invalid_op 0
		.amdhsa_exception_fp_denorm_src 0
		.amdhsa_exception_fp_ieee_div_zero 0
		.amdhsa_exception_fp_ieee_overflow 0
		.amdhsa_exception_fp_ieee_underflow 0
		.amdhsa_exception_fp_ieee_inexact 0
		.amdhsa_exception_int_div_zero 0
	.end_amdhsa_kernel
	.section	.text._ZN7rocprim17ROCPRIM_400000_NS6detail17trampoline_kernelINS0_14default_configENS1_27scan_by_key_config_selectorIj11FixedVectorIiLj1EEEEZZNS1_16scan_by_key_implILNS1_25lookback_scan_determinismE0ELb1ES3_N6thrust23THRUST_200600_302600_NS6detail15normal_iteratorINSB_10device_ptrIjEEEENSD_INSE_IS6_EEEESI_S6_NSB_4plusIvEENSB_8equal_toIvEES6_EE10hipError_tPvRmT2_T3_T4_T5_mT6_T7_P12ihipStream_tbENKUlT_T0_E_clISt17integral_constantIbLb1EES12_IbLb0EEEEDaSY_SZ_EUlSY_E_NS1_11comp_targetILNS1_3genE0ELNS1_11target_archE4294967295ELNS1_3gpuE0ELNS1_3repE0EEENS1_30default_config_static_selectorELNS0_4arch9wavefront6targetE0EEEvT1_,"axG",@progbits,_ZN7rocprim17ROCPRIM_400000_NS6detail17trampoline_kernelINS0_14default_configENS1_27scan_by_key_config_selectorIj11FixedVectorIiLj1EEEEZZNS1_16scan_by_key_implILNS1_25lookback_scan_determinismE0ELb1ES3_N6thrust23THRUST_200600_302600_NS6detail15normal_iteratorINSB_10device_ptrIjEEEENSD_INSE_IS6_EEEESI_S6_NSB_4plusIvEENSB_8equal_toIvEES6_EE10hipError_tPvRmT2_T3_T4_T5_mT6_T7_P12ihipStream_tbENKUlT_T0_E_clISt17integral_constantIbLb1EES12_IbLb0EEEEDaSY_SZ_EUlSY_E_NS1_11comp_targetILNS1_3genE0ELNS1_11target_archE4294967295ELNS1_3gpuE0ELNS1_3repE0EEENS1_30default_config_static_selectorELNS0_4arch9wavefront6targetE0EEEvT1_,comdat
.Lfunc_end1929:
	.size	_ZN7rocprim17ROCPRIM_400000_NS6detail17trampoline_kernelINS0_14default_configENS1_27scan_by_key_config_selectorIj11FixedVectorIiLj1EEEEZZNS1_16scan_by_key_implILNS1_25lookback_scan_determinismE0ELb1ES3_N6thrust23THRUST_200600_302600_NS6detail15normal_iteratorINSB_10device_ptrIjEEEENSD_INSE_IS6_EEEESI_S6_NSB_4plusIvEENSB_8equal_toIvEES6_EE10hipError_tPvRmT2_T3_T4_T5_mT6_T7_P12ihipStream_tbENKUlT_T0_E_clISt17integral_constantIbLb1EES12_IbLb0EEEEDaSY_SZ_EUlSY_E_NS1_11comp_targetILNS1_3genE0ELNS1_11target_archE4294967295ELNS1_3gpuE0ELNS1_3repE0EEENS1_30default_config_static_selectorELNS0_4arch9wavefront6targetE0EEEvT1_, .Lfunc_end1929-_ZN7rocprim17ROCPRIM_400000_NS6detail17trampoline_kernelINS0_14default_configENS1_27scan_by_key_config_selectorIj11FixedVectorIiLj1EEEEZZNS1_16scan_by_key_implILNS1_25lookback_scan_determinismE0ELb1ES3_N6thrust23THRUST_200600_302600_NS6detail15normal_iteratorINSB_10device_ptrIjEEEENSD_INSE_IS6_EEEESI_S6_NSB_4plusIvEENSB_8equal_toIvEES6_EE10hipError_tPvRmT2_T3_T4_T5_mT6_T7_P12ihipStream_tbENKUlT_T0_E_clISt17integral_constantIbLb1EES12_IbLb0EEEEDaSY_SZ_EUlSY_E_NS1_11comp_targetILNS1_3genE0ELNS1_11target_archE4294967295ELNS1_3gpuE0ELNS1_3repE0EEENS1_30default_config_static_selectorELNS0_4arch9wavefront6targetE0EEEvT1_
                                        ; -- End function
	.set _ZN7rocprim17ROCPRIM_400000_NS6detail17trampoline_kernelINS0_14default_configENS1_27scan_by_key_config_selectorIj11FixedVectorIiLj1EEEEZZNS1_16scan_by_key_implILNS1_25lookback_scan_determinismE0ELb1ES3_N6thrust23THRUST_200600_302600_NS6detail15normal_iteratorINSB_10device_ptrIjEEEENSD_INSE_IS6_EEEESI_S6_NSB_4plusIvEENSB_8equal_toIvEES6_EE10hipError_tPvRmT2_T3_T4_T5_mT6_T7_P12ihipStream_tbENKUlT_T0_E_clISt17integral_constantIbLb1EES12_IbLb0EEEEDaSY_SZ_EUlSY_E_NS1_11comp_targetILNS1_3genE0ELNS1_11target_archE4294967295ELNS1_3gpuE0ELNS1_3repE0EEENS1_30default_config_static_selectorELNS0_4arch9wavefront6targetE0EEEvT1_.num_vgpr, 0
	.set _ZN7rocprim17ROCPRIM_400000_NS6detail17trampoline_kernelINS0_14default_configENS1_27scan_by_key_config_selectorIj11FixedVectorIiLj1EEEEZZNS1_16scan_by_key_implILNS1_25lookback_scan_determinismE0ELb1ES3_N6thrust23THRUST_200600_302600_NS6detail15normal_iteratorINSB_10device_ptrIjEEEENSD_INSE_IS6_EEEESI_S6_NSB_4plusIvEENSB_8equal_toIvEES6_EE10hipError_tPvRmT2_T3_T4_T5_mT6_T7_P12ihipStream_tbENKUlT_T0_E_clISt17integral_constantIbLb1EES12_IbLb0EEEEDaSY_SZ_EUlSY_E_NS1_11comp_targetILNS1_3genE0ELNS1_11target_archE4294967295ELNS1_3gpuE0ELNS1_3repE0EEENS1_30default_config_static_selectorELNS0_4arch9wavefront6targetE0EEEvT1_.num_agpr, 0
	.set _ZN7rocprim17ROCPRIM_400000_NS6detail17trampoline_kernelINS0_14default_configENS1_27scan_by_key_config_selectorIj11FixedVectorIiLj1EEEEZZNS1_16scan_by_key_implILNS1_25lookback_scan_determinismE0ELb1ES3_N6thrust23THRUST_200600_302600_NS6detail15normal_iteratorINSB_10device_ptrIjEEEENSD_INSE_IS6_EEEESI_S6_NSB_4plusIvEENSB_8equal_toIvEES6_EE10hipError_tPvRmT2_T3_T4_T5_mT6_T7_P12ihipStream_tbENKUlT_T0_E_clISt17integral_constantIbLb1EES12_IbLb0EEEEDaSY_SZ_EUlSY_E_NS1_11comp_targetILNS1_3genE0ELNS1_11target_archE4294967295ELNS1_3gpuE0ELNS1_3repE0EEENS1_30default_config_static_selectorELNS0_4arch9wavefront6targetE0EEEvT1_.numbered_sgpr, 0
	.set _ZN7rocprim17ROCPRIM_400000_NS6detail17trampoline_kernelINS0_14default_configENS1_27scan_by_key_config_selectorIj11FixedVectorIiLj1EEEEZZNS1_16scan_by_key_implILNS1_25lookback_scan_determinismE0ELb1ES3_N6thrust23THRUST_200600_302600_NS6detail15normal_iteratorINSB_10device_ptrIjEEEENSD_INSE_IS6_EEEESI_S6_NSB_4plusIvEENSB_8equal_toIvEES6_EE10hipError_tPvRmT2_T3_T4_T5_mT6_T7_P12ihipStream_tbENKUlT_T0_E_clISt17integral_constantIbLb1EES12_IbLb0EEEEDaSY_SZ_EUlSY_E_NS1_11comp_targetILNS1_3genE0ELNS1_11target_archE4294967295ELNS1_3gpuE0ELNS1_3repE0EEENS1_30default_config_static_selectorELNS0_4arch9wavefront6targetE0EEEvT1_.num_named_barrier, 0
	.set _ZN7rocprim17ROCPRIM_400000_NS6detail17trampoline_kernelINS0_14default_configENS1_27scan_by_key_config_selectorIj11FixedVectorIiLj1EEEEZZNS1_16scan_by_key_implILNS1_25lookback_scan_determinismE0ELb1ES3_N6thrust23THRUST_200600_302600_NS6detail15normal_iteratorINSB_10device_ptrIjEEEENSD_INSE_IS6_EEEESI_S6_NSB_4plusIvEENSB_8equal_toIvEES6_EE10hipError_tPvRmT2_T3_T4_T5_mT6_T7_P12ihipStream_tbENKUlT_T0_E_clISt17integral_constantIbLb1EES12_IbLb0EEEEDaSY_SZ_EUlSY_E_NS1_11comp_targetILNS1_3genE0ELNS1_11target_archE4294967295ELNS1_3gpuE0ELNS1_3repE0EEENS1_30default_config_static_selectorELNS0_4arch9wavefront6targetE0EEEvT1_.private_seg_size, 0
	.set _ZN7rocprim17ROCPRIM_400000_NS6detail17trampoline_kernelINS0_14default_configENS1_27scan_by_key_config_selectorIj11FixedVectorIiLj1EEEEZZNS1_16scan_by_key_implILNS1_25lookback_scan_determinismE0ELb1ES3_N6thrust23THRUST_200600_302600_NS6detail15normal_iteratorINSB_10device_ptrIjEEEENSD_INSE_IS6_EEEESI_S6_NSB_4plusIvEENSB_8equal_toIvEES6_EE10hipError_tPvRmT2_T3_T4_T5_mT6_T7_P12ihipStream_tbENKUlT_T0_E_clISt17integral_constantIbLb1EES12_IbLb0EEEEDaSY_SZ_EUlSY_E_NS1_11comp_targetILNS1_3genE0ELNS1_11target_archE4294967295ELNS1_3gpuE0ELNS1_3repE0EEENS1_30default_config_static_selectorELNS0_4arch9wavefront6targetE0EEEvT1_.uses_vcc, 0
	.set _ZN7rocprim17ROCPRIM_400000_NS6detail17trampoline_kernelINS0_14default_configENS1_27scan_by_key_config_selectorIj11FixedVectorIiLj1EEEEZZNS1_16scan_by_key_implILNS1_25lookback_scan_determinismE0ELb1ES3_N6thrust23THRUST_200600_302600_NS6detail15normal_iteratorINSB_10device_ptrIjEEEENSD_INSE_IS6_EEEESI_S6_NSB_4plusIvEENSB_8equal_toIvEES6_EE10hipError_tPvRmT2_T3_T4_T5_mT6_T7_P12ihipStream_tbENKUlT_T0_E_clISt17integral_constantIbLb1EES12_IbLb0EEEEDaSY_SZ_EUlSY_E_NS1_11comp_targetILNS1_3genE0ELNS1_11target_archE4294967295ELNS1_3gpuE0ELNS1_3repE0EEENS1_30default_config_static_selectorELNS0_4arch9wavefront6targetE0EEEvT1_.uses_flat_scratch, 0
	.set _ZN7rocprim17ROCPRIM_400000_NS6detail17trampoline_kernelINS0_14default_configENS1_27scan_by_key_config_selectorIj11FixedVectorIiLj1EEEEZZNS1_16scan_by_key_implILNS1_25lookback_scan_determinismE0ELb1ES3_N6thrust23THRUST_200600_302600_NS6detail15normal_iteratorINSB_10device_ptrIjEEEENSD_INSE_IS6_EEEESI_S6_NSB_4plusIvEENSB_8equal_toIvEES6_EE10hipError_tPvRmT2_T3_T4_T5_mT6_T7_P12ihipStream_tbENKUlT_T0_E_clISt17integral_constantIbLb1EES12_IbLb0EEEEDaSY_SZ_EUlSY_E_NS1_11comp_targetILNS1_3genE0ELNS1_11target_archE4294967295ELNS1_3gpuE0ELNS1_3repE0EEENS1_30default_config_static_selectorELNS0_4arch9wavefront6targetE0EEEvT1_.has_dyn_sized_stack, 0
	.set _ZN7rocprim17ROCPRIM_400000_NS6detail17trampoline_kernelINS0_14default_configENS1_27scan_by_key_config_selectorIj11FixedVectorIiLj1EEEEZZNS1_16scan_by_key_implILNS1_25lookback_scan_determinismE0ELb1ES3_N6thrust23THRUST_200600_302600_NS6detail15normal_iteratorINSB_10device_ptrIjEEEENSD_INSE_IS6_EEEESI_S6_NSB_4plusIvEENSB_8equal_toIvEES6_EE10hipError_tPvRmT2_T3_T4_T5_mT6_T7_P12ihipStream_tbENKUlT_T0_E_clISt17integral_constantIbLb1EES12_IbLb0EEEEDaSY_SZ_EUlSY_E_NS1_11comp_targetILNS1_3genE0ELNS1_11target_archE4294967295ELNS1_3gpuE0ELNS1_3repE0EEENS1_30default_config_static_selectorELNS0_4arch9wavefront6targetE0EEEvT1_.has_recursion, 0
	.set _ZN7rocprim17ROCPRIM_400000_NS6detail17trampoline_kernelINS0_14default_configENS1_27scan_by_key_config_selectorIj11FixedVectorIiLj1EEEEZZNS1_16scan_by_key_implILNS1_25lookback_scan_determinismE0ELb1ES3_N6thrust23THRUST_200600_302600_NS6detail15normal_iteratorINSB_10device_ptrIjEEEENSD_INSE_IS6_EEEESI_S6_NSB_4plusIvEENSB_8equal_toIvEES6_EE10hipError_tPvRmT2_T3_T4_T5_mT6_T7_P12ihipStream_tbENKUlT_T0_E_clISt17integral_constantIbLb1EES12_IbLb0EEEEDaSY_SZ_EUlSY_E_NS1_11comp_targetILNS1_3genE0ELNS1_11target_archE4294967295ELNS1_3gpuE0ELNS1_3repE0EEENS1_30default_config_static_selectorELNS0_4arch9wavefront6targetE0EEEvT1_.has_indirect_call, 0
	.section	.AMDGPU.csdata,"",@progbits
; Kernel info:
; codeLenInByte = 4
; TotalNumSgprs: 0
; NumVgprs: 0
; ScratchSize: 0
; MemoryBound: 0
; FloatMode: 240
; IeeeMode: 1
; LDSByteSize: 0 bytes/workgroup (compile time only)
; SGPRBlocks: 0
; VGPRBlocks: 0
; NumSGPRsForWavesPerEU: 1
; NumVGPRsForWavesPerEU: 1
; NamedBarCnt: 0
; Occupancy: 16
; WaveLimiterHint : 0
; COMPUTE_PGM_RSRC2:SCRATCH_EN: 0
; COMPUTE_PGM_RSRC2:USER_SGPR: 2
; COMPUTE_PGM_RSRC2:TRAP_HANDLER: 0
; COMPUTE_PGM_RSRC2:TGID_X_EN: 1
; COMPUTE_PGM_RSRC2:TGID_Y_EN: 0
; COMPUTE_PGM_RSRC2:TGID_Z_EN: 0
; COMPUTE_PGM_RSRC2:TIDIG_COMP_CNT: 0
	.section	.text._ZN7rocprim17ROCPRIM_400000_NS6detail17trampoline_kernelINS0_14default_configENS1_27scan_by_key_config_selectorIj11FixedVectorIiLj1EEEEZZNS1_16scan_by_key_implILNS1_25lookback_scan_determinismE0ELb1ES3_N6thrust23THRUST_200600_302600_NS6detail15normal_iteratorINSB_10device_ptrIjEEEENSD_INSE_IS6_EEEESI_S6_NSB_4plusIvEENSB_8equal_toIvEES6_EE10hipError_tPvRmT2_T3_T4_T5_mT6_T7_P12ihipStream_tbENKUlT_T0_E_clISt17integral_constantIbLb1EES12_IbLb0EEEEDaSY_SZ_EUlSY_E_NS1_11comp_targetILNS1_3genE10ELNS1_11target_archE1201ELNS1_3gpuE5ELNS1_3repE0EEENS1_30default_config_static_selectorELNS0_4arch9wavefront6targetE0EEEvT1_,"axG",@progbits,_ZN7rocprim17ROCPRIM_400000_NS6detail17trampoline_kernelINS0_14default_configENS1_27scan_by_key_config_selectorIj11FixedVectorIiLj1EEEEZZNS1_16scan_by_key_implILNS1_25lookback_scan_determinismE0ELb1ES3_N6thrust23THRUST_200600_302600_NS6detail15normal_iteratorINSB_10device_ptrIjEEEENSD_INSE_IS6_EEEESI_S6_NSB_4plusIvEENSB_8equal_toIvEES6_EE10hipError_tPvRmT2_T3_T4_T5_mT6_T7_P12ihipStream_tbENKUlT_T0_E_clISt17integral_constantIbLb1EES12_IbLb0EEEEDaSY_SZ_EUlSY_E_NS1_11comp_targetILNS1_3genE10ELNS1_11target_archE1201ELNS1_3gpuE5ELNS1_3repE0EEENS1_30default_config_static_selectorELNS0_4arch9wavefront6targetE0EEEvT1_,comdat
	.protected	_ZN7rocprim17ROCPRIM_400000_NS6detail17trampoline_kernelINS0_14default_configENS1_27scan_by_key_config_selectorIj11FixedVectorIiLj1EEEEZZNS1_16scan_by_key_implILNS1_25lookback_scan_determinismE0ELb1ES3_N6thrust23THRUST_200600_302600_NS6detail15normal_iteratorINSB_10device_ptrIjEEEENSD_INSE_IS6_EEEESI_S6_NSB_4plusIvEENSB_8equal_toIvEES6_EE10hipError_tPvRmT2_T3_T4_T5_mT6_T7_P12ihipStream_tbENKUlT_T0_E_clISt17integral_constantIbLb1EES12_IbLb0EEEEDaSY_SZ_EUlSY_E_NS1_11comp_targetILNS1_3genE10ELNS1_11target_archE1201ELNS1_3gpuE5ELNS1_3repE0EEENS1_30default_config_static_selectorELNS0_4arch9wavefront6targetE0EEEvT1_ ; -- Begin function _ZN7rocprim17ROCPRIM_400000_NS6detail17trampoline_kernelINS0_14default_configENS1_27scan_by_key_config_selectorIj11FixedVectorIiLj1EEEEZZNS1_16scan_by_key_implILNS1_25lookback_scan_determinismE0ELb1ES3_N6thrust23THRUST_200600_302600_NS6detail15normal_iteratorINSB_10device_ptrIjEEEENSD_INSE_IS6_EEEESI_S6_NSB_4plusIvEENSB_8equal_toIvEES6_EE10hipError_tPvRmT2_T3_T4_T5_mT6_T7_P12ihipStream_tbENKUlT_T0_E_clISt17integral_constantIbLb1EES12_IbLb0EEEEDaSY_SZ_EUlSY_E_NS1_11comp_targetILNS1_3genE10ELNS1_11target_archE1201ELNS1_3gpuE5ELNS1_3repE0EEENS1_30default_config_static_selectorELNS0_4arch9wavefront6targetE0EEEvT1_
	.globl	_ZN7rocprim17ROCPRIM_400000_NS6detail17trampoline_kernelINS0_14default_configENS1_27scan_by_key_config_selectorIj11FixedVectorIiLj1EEEEZZNS1_16scan_by_key_implILNS1_25lookback_scan_determinismE0ELb1ES3_N6thrust23THRUST_200600_302600_NS6detail15normal_iteratorINSB_10device_ptrIjEEEENSD_INSE_IS6_EEEESI_S6_NSB_4plusIvEENSB_8equal_toIvEES6_EE10hipError_tPvRmT2_T3_T4_T5_mT6_T7_P12ihipStream_tbENKUlT_T0_E_clISt17integral_constantIbLb1EES12_IbLb0EEEEDaSY_SZ_EUlSY_E_NS1_11comp_targetILNS1_3genE10ELNS1_11target_archE1201ELNS1_3gpuE5ELNS1_3repE0EEENS1_30default_config_static_selectorELNS0_4arch9wavefront6targetE0EEEvT1_
	.p2align	8
	.type	_ZN7rocprim17ROCPRIM_400000_NS6detail17trampoline_kernelINS0_14default_configENS1_27scan_by_key_config_selectorIj11FixedVectorIiLj1EEEEZZNS1_16scan_by_key_implILNS1_25lookback_scan_determinismE0ELb1ES3_N6thrust23THRUST_200600_302600_NS6detail15normal_iteratorINSB_10device_ptrIjEEEENSD_INSE_IS6_EEEESI_S6_NSB_4plusIvEENSB_8equal_toIvEES6_EE10hipError_tPvRmT2_T3_T4_T5_mT6_T7_P12ihipStream_tbENKUlT_T0_E_clISt17integral_constantIbLb1EES12_IbLb0EEEEDaSY_SZ_EUlSY_E_NS1_11comp_targetILNS1_3genE10ELNS1_11target_archE1201ELNS1_3gpuE5ELNS1_3repE0EEENS1_30default_config_static_selectorELNS0_4arch9wavefront6targetE0EEEvT1_,@function
_ZN7rocprim17ROCPRIM_400000_NS6detail17trampoline_kernelINS0_14default_configENS1_27scan_by_key_config_selectorIj11FixedVectorIiLj1EEEEZZNS1_16scan_by_key_implILNS1_25lookback_scan_determinismE0ELb1ES3_N6thrust23THRUST_200600_302600_NS6detail15normal_iteratorINSB_10device_ptrIjEEEENSD_INSE_IS6_EEEESI_S6_NSB_4plusIvEENSB_8equal_toIvEES6_EE10hipError_tPvRmT2_T3_T4_T5_mT6_T7_P12ihipStream_tbENKUlT_T0_E_clISt17integral_constantIbLb1EES12_IbLb0EEEEDaSY_SZ_EUlSY_E_NS1_11comp_targetILNS1_3genE10ELNS1_11target_archE1201ELNS1_3gpuE5ELNS1_3repE0EEENS1_30default_config_static_selectorELNS0_4arch9wavefront6targetE0EEEvT1_: ; @_ZN7rocprim17ROCPRIM_400000_NS6detail17trampoline_kernelINS0_14default_configENS1_27scan_by_key_config_selectorIj11FixedVectorIiLj1EEEEZZNS1_16scan_by_key_implILNS1_25lookback_scan_determinismE0ELb1ES3_N6thrust23THRUST_200600_302600_NS6detail15normal_iteratorINSB_10device_ptrIjEEEENSD_INSE_IS6_EEEESI_S6_NSB_4plusIvEENSB_8equal_toIvEES6_EE10hipError_tPvRmT2_T3_T4_T5_mT6_T7_P12ihipStream_tbENKUlT_T0_E_clISt17integral_constantIbLb1EES12_IbLb0EEEEDaSY_SZ_EUlSY_E_NS1_11comp_targetILNS1_3genE10ELNS1_11target_archE1201ELNS1_3gpuE5ELNS1_3repE0EEENS1_30default_config_static_selectorELNS0_4arch9wavefront6targetE0EEEvT1_
; %bb.0:
	.section	.rodata,"a",@progbits
	.p2align	6, 0x0
	.amdhsa_kernel _ZN7rocprim17ROCPRIM_400000_NS6detail17trampoline_kernelINS0_14default_configENS1_27scan_by_key_config_selectorIj11FixedVectorIiLj1EEEEZZNS1_16scan_by_key_implILNS1_25lookback_scan_determinismE0ELb1ES3_N6thrust23THRUST_200600_302600_NS6detail15normal_iteratorINSB_10device_ptrIjEEEENSD_INSE_IS6_EEEESI_S6_NSB_4plusIvEENSB_8equal_toIvEES6_EE10hipError_tPvRmT2_T3_T4_T5_mT6_T7_P12ihipStream_tbENKUlT_T0_E_clISt17integral_constantIbLb1EES12_IbLb0EEEEDaSY_SZ_EUlSY_E_NS1_11comp_targetILNS1_3genE10ELNS1_11target_archE1201ELNS1_3gpuE5ELNS1_3repE0EEENS1_30default_config_static_selectorELNS0_4arch9wavefront6targetE0EEEvT1_
		.amdhsa_group_segment_fixed_size 0
		.amdhsa_private_segment_fixed_size 0
		.amdhsa_kernarg_size 112
		.amdhsa_user_sgpr_count 2
		.amdhsa_user_sgpr_dispatch_ptr 0
		.amdhsa_user_sgpr_queue_ptr 0
		.amdhsa_user_sgpr_kernarg_segment_ptr 1
		.amdhsa_user_sgpr_dispatch_id 0
		.amdhsa_user_sgpr_kernarg_preload_length 0
		.amdhsa_user_sgpr_kernarg_preload_offset 0
		.amdhsa_user_sgpr_private_segment_size 0
		.amdhsa_wavefront_size32 1
		.amdhsa_uses_dynamic_stack 0
		.amdhsa_enable_private_segment 0
		.amdhsa_system_sgpr_workgroup_id_x 1
		.amdhsa_system_sgpr_workgroup_id_y 0
		.amdhsa_system_sgpr_workgroup_id_z 0
		.amdhsa_system_sgpr_workgroup_info 0
		.amdhsa_system_vgpr_workitem_id 0
		.amdhsa_next_free_vgpr 1
		.amdhsa_next_free_sgpr 1
		.amdhsa_named_barrier_count 0
		.amdhsa_reserve_vcc 0
		.amdhsa_float_round_mode_32 0
		.amdhsa_float_round_mode_16_64 0
		.amdhsa_float_denorm_mode_32 3
		.amdhsa_float_denorm_mode_16_64 3
		.amdhsa_fp16_overflow 0
		.amdhsa_memory_ordered 1
		.amdhsa_forward_progress 1
		.amdhsa_inst_pref_size 0
		.amdhsa_round_robin_scheduling 0
		.amdhsa_exception_fp_ieee_invalid_op 0
		.amdhsa_exception_fp_denorm_src 0
		.amdhsa_exception_fp_ieee_div_zero 0
		.amdhsa_exception_fp_ieee_overflow 0
		.amdhsa_exception_fp_ieee_underflow 0
		.amdhsa_exception_fp_ieee_inexact 0
		.amdhsa_exception_int_div_zero 0
	.end_amdhsa_kernel
	.section	.text._ZN7rocprim17ROCPRIM_400000_NS6detail17trampoline_kernelINS0_14default_configENS1_27scan_by_key_config_selectorIj11FixedVectorIiLj1EEEEZZNS1_16scan_by_key_implILNS1_25lookback_scan_determinismE0ELb1ES3_N6thrust23THRUST_200600_302600_NS6detail15normal_iteratorINSB_10device_ptrIjEEEENSD_INSE_IS6_EEEESI_S6_NSB_4plusIvEENSB_8equal_toIvEES6_EE10hipError_tPvRmT2_T3_T4_T5_mT6_T7_P12ihipStream_tbENKUlT_T0_E_clISt17integral_constantIbLb1EES12_IbLb0EEEEDaSY_SZ_EUlSY_E_NS1_11comp_targetILNS1_3genE10ELNS1_11target_archE1201ELNS1_3gpuE5ELNS1_3repE0EEENS1_30default_config_static_selectorELNS0_4arch9wavefront6targetE0EEEvT1_,"axG",@progbits,_ZN7rocprim17ROCPRIM_400000_NS6detail17trampoline_kernelINS0_14default_configENS1_27scan_by_key_config_selectorIj11FixedVectorIiLj1EEEEZZNS1_16scan_by_key_implILNS1_25lookback_scan_determinismE0ELb1ES3_N6thrust23THRUST_200600_302600_NS6detail15normal_iteratorINSB_10device_ptrIjEEEENSD_INSE_IS6_EEEESI_S6_NSB_4plusIvEENSB_8equal_toIvEES6_EE10hipError_tPvRmT2_T3_T4_T5_mT6_T7_P12ihipStream_tbENKUlT_T0_E_clISt17integral_constantIbLb1EES12_IbLb0EEEEDaSY_SZ_EUlSY_E_NS1_11comp_targetILNS1_3genE10ELNS1_11target_archE1201ELNS1_3gpuE5ELNS1_3repE0EEENS1_30default_config_static_selectorELNS0_4arch9wavefront6targetE0EEEvT1_,comdat
.Lfunc_end1930:
	.size	_ZN7rocprim17ROCPRIM_400000_NS6detail17trampoline_kernelINS0_14default_configENS1_27scan_by_key_config_selectorIj11FixedVectorIiLj1EEEEZZNS1_16scan_by_key_implILNS1_25lookback_scan_determinismE0ELb1ES3_N6thrust23THRUST_200600_302600_NS6detail15normal_iteratorINSB_10device_ptrIjEEEENSD_INSE_IS6_EEEESI_S6_NSB_4plusIvEENSB_8equal_toIvEES6_EE10hipError_tPvRmT2_T3_T4_T5_mT6_T7_P12ihipStream_tbENKUlT_T0_E_clISt17integral_constantIbLb1EES12_IbLb0EEEEDaSY_SZ_EUlSY_E_NS1_11comp_targetILNS1_3genE10ELNS1_11target_archE1201ELNS1_3gpuE5ELNS1_3repE0EEENS1_30default_config_static_selectorELNS0_4arch9wavefront6targetE0EEEvT1_, .Lfunc_end1930-_ZN7rocprim17ROCPRIM_400000_NS6detail17trampoline_kernelINS0_14default_configENS1_27scan_by_key_config_selectorIj11FixedVectorIiLj1EEEEZZNS1_16scan_by_key_implILNS1_25lookback_scan_determinismE0ELb1ES3_N6thrust23THRUST_200600_302600_NS6detail15normal_iteratorINSB_10device_ptrIjEEEENSD_INSE_IS6_EEEESI_S6_NSB_4plusIvEENSB_8equal_toIvEES6_EE10hipError_tPvRmT2_T3_T4_T5_mT6_T7_P12ihipStream_tbENKUlT_T0_E_clISt17integral_constantIbLb1EES12_IbLb0EEEEDaSY_SZ_EUlSY_E_NS1_11comp_targetILNS1_3genE10ELNS1_11target_archE1201ELNS1_3gpuE5ELNS1_3repE0EEENS1_30default_config_static_selectorELNS0_4arch9wavefront6targetE0EEEvT1_
                                        ; -- End function
	.set _ZN7rocprim17ROCPRIM_400000_NS6detail17trampoline_kernelINS0_14default_configENS1_27scan_by_key_config_selectorIj11FixedVectorIiLj1EEEEZZNS1_16scan_by_key_implILNS1_25lookback_scan_determinismE0ELb1ES3_N6thrust23THRUST_200600_302600_NS6detail15normal_iteratorINSB_10device_ptrIjEEEENSD_INSE_IS6_EEEESI_S6_NSB_4plusIvEENSB_8equal_toIvEES6_EE10hipError_tPvRmT2_T3_T4_T5_mT6_T7_P12ihipStream_tbENKUlT_T0_E_clISt17integral_constantIbLb1EES12_IbLb0EEEEDaSY_SZ_EUlSY_E_NS1_11comp_targetILNS1_3genE10ELNS1_11target_archE1201ELNS1_3gpuE5ELNS1_3repE0EEENS1_30default_config_static_selectorELNS0_4arch9wavefront6targetE0EEEvT1_.num_vgpr, 0
	.set _ZN7rocprim17ROCPRIM_400000_NS6detail17trampoline_kernelINS0_14default_configENS1_27scan_by_key_config_selectorIj11FixedVectorIiLj1EEEEZZNS1_16scan_by_key_implILNS1_25lookback_scan_determinismE0ELb1ES3_N6thrust23THRUST_200600_302600_NS6detail15normal_iteratorINSB_10device_ptrIjEEEENSD_INSE_IS6_EEEESI_S6_NSB_4plusIvEENSB_8equal_toIvEES6_EE10hipError_tPvRmT2_T3_T4_T5_mT6_T7_P12ihipStream_tbENKUlT_T0_E_clISt17integral_constantIbLb1EES12_IbLb0EEEEDaSY_SZ_EUlSY_E_NS1_11comp_targetILNS1_3genE10ELNS1_11target_archE1201ELNS1_3gpuE5ELNS1_3repE0EEENS1_30default_config_static_selectorELNS0_4arch9wavefront6targetE0EEEvT1_.num_agpr, 0
	.set _ZN7rocprim17ROCPRIM_400000_NS6detail17trampoline_kernelINS0_14default_configENS1_27scan_by_key_config_selectorIj11FixedVectorIiLj1EEEEZZNS1_16scan_by_key_implILNS1_25lookback_scan_determinismE0ELb1ES3_N6thrust23THRUST_200600_302600_NS6detail15normal_iteratorINSB_10device_ptrIjEEEENSD_INSE_IS6_EEEESI_S6_NSB_4plusIvEENSB_8equal_toIvEES6_EE10hipError_tPvRmT2_T3_T4_T5_mT6_T7_P12ihipStream_tbENKUlT_T0_E_clISt17integral_constantIbLb1EES12_IbLb0EEEEDaSY_SZ_EUlSY_E_NS1_11comp_targetILNS1_3genE10ELNS1_11target_archE1201ELNS1_3gpuE5ELNS1_3repE0EEENS1_30default_config_static_selectorELNS0_4arch9wavefront6targetE0EEEvT1_.numbered_sgpr, 0
	.set _ZN7rocprim17ROCPRIM_400000_NS6detail17trampoline_kernelINS0_14default_configENS1_27scan_by_key_config_selectorIj11FixedVectorIiLj1EEEEZZNS1_16scan_by_key_implILNS1_25lookback_scan_determinismE0ELb1ES3_N6thrust23THRUST_200600_302600_NS6detail15normal_iteratorINSB_10device_ptrIjEEEENSD_INSE_IS6_EEEESI_S6_NSB_4plusIvEENSB_8equal_toIvEES6_EE10hipError_tPvRmT2_T3_T4_T5_mT6_T7_P12ihipStream_tbENKUlT_T0_E_clISt17integral_constantIbLb1EES12_IbLb0EEEEDaSY_SZ_EUlSY_E_NS1_11comp_targetILNS1_3genE10ELNS1_11target_archE1201ELNS1_3gpuE5ELNS1_3repE0EEENS1_30default_config_static_selectorELNS0_4arch9wavefront6targetE0EEEvT1_.num_named_barrier, 0
	.set _ZN7rocprim17ROCPRIM_400000_NS6detail17trampoline_kernelINS0_14default_configENS1_27scan_by_key_config_selectorIj11FixedVectorIiLj1EEEEZZNS1_16scan_by_key_implILNS1_25lookback_scan_determinismE0ELb1ES3_N6thrust23THRUST_200600_302600_NS6detail15normal_iteratorINSB_10device_ptrIjEEEENSD_INSE_IS6_EEEESI_S6_NSB_4plusIvEENSB_8equal_toIvEES6_EE10hipError_tPvRmT2_T3_T4_T5_mT6_T7_P12ihipStream_tbENKUlT_T0_E_clISt17integral_constantIbLb1EES12_IbLb0EEEEDaSY_SZ_EUlSY_E_NS1_11comp_targetILNS1_3genE10ELNS1_11target_archE1201ELNS1_3gpuE5ELNS1_3repE0EEENS1_30default_config_static_selectorELNS0_4arch9wavefront6targetE0EEEvT1_.private_seg_size, 0
	.set _ZN7rocprim17ROCPRIM_400000_NS6detail17trampoline_kernelINS0_14default_configENS1_27scan_by_key_config_selectorIj11FixedVectorIiLj1EEEEZZNS1_16scan_by_key_implILNS1_25lookback_scan_determinismE0ELb1ES3_N6thrust23THRUST_200600_302600_NS6detail15normal_iteratorINSB_10device_ptrIjEEEENSD_INSE_IS6_EEEESI_S6_NSB_4plusIvEENSB_8equal_toIvEES6_EE10hipError_tPvRmT2_T3_T4_T5_mT6_T7_P12ihipStream_tbENKUlT_T0_E_clISt17integral_constantIbLb1EES12_IbLb0EEEEDaSY_SZ_EUlSY_E_NS1_11comp_targetILNS1_3genE10ELNS1_11target_archE1201ELNS1_3gpuE5ELNS1_3repE0EEENS1_30default_config_static_selectorELNS0_4arch9wavefront6targetE0EEEvT1_.uses_vcc, 0
	.set _ZN7rocprim17ROCPRIM_400000_NS6detail17trampoline_kernelINS0_14default_configENS1_27scan_by_key_config_selectorIj11FixedVectorIiLj1EEEEZZNS1_16scan_by_key_implILNS1_25lookback_scan_determinismE0ELb1ES3_N6thrust23THRUST_200600_302600_NS6detail15normal_iteratorINSB_10device_ptrIjEEEENSD_INSE_IS6_EEEESI_S6_NSB_4plusIvEENSB_8equal_toIvEES6_EE10hipError_tPvRmT2_T3_T4_T5_mT6_T7_P12ihipStream_tbENKUlT_T0_E_clISt17integral_constantIbLb1EES12_IbLb0EEEEDaSY_SZ_EUlSY_E_NS1_11comp_targetILNS1_3genE10ELNS1_11target_archE1201ELNS1_3gpuE5ELNS1_3repE0EEENS1_30default_config_static_selectorELNS0_4arch9wavefront6targetE0EEEvT1_.uses_flat_scratch, 0
	.set _ZN7rocprim17ROCPRIM_400000_NS6detail17trampoline_kernelINS0_14default_configENS1_27scan_by_key_config_selectorIj11FixedVectorIiLj1EEEEZZNS1_16scan_by_key_implILNS1_25lookback_scan_determinismE0ELb1ES3_N6thrust23THRUST_200600_302600_NS6detail15normal_iteratorINSB_10device_ptrIjEEEENSD_INSE_IS6_EEEESI_S6_NSB_4plusIvEENSB_8equal_toIvEES6_EE10hipError_tPvRmT2_T3_T4_T5_mT6_T7_P12ihipStream_tbENKUlT_T0_E_clISt17integral_constantIbLb1EES12_IbLb0EEEEDaSY_SZ_EUlSY_E_NS1_11comp_targetILNS1_3genE10ELNS1_11target_archE1201ELNS1_3gpuE5ELNS1_3repE0EEENS1_30default_config_static_selectorELNS0_4arch9wavefront6targetE0EEEvT1_.has_dyn_sized_stack, 0
	.set _ZN7rocprim17ROCPRIM_400000_NS6detail17trampoline_kernelINS0_14default_configENS1_27scan_by_key_config_selectorIj11FixedVectorIiLj1EEEEZZNS1_16scan_by_key_implILNS1_25lookback_scan_determinismE0ELb1ES3_N6thrust23THRUST_200600_302600_NS6detail15normal_iteratorINSB_10device_ptrIjEEEENSD_INSE_IS6_EEEESI_S6_NSB_4plusIvEENSB_8equal_toIvEES6_EE10hipError_tPvRmT2_T3_T4_T5_mT6_T7_P12ihipStream_tbENKUlT_T0_E_clISt17integral_constantIbLb1EES12_IbLb0EEEEDaSY_SZ_EUlSY_E_NS1_11comp_targetILNS1_3genE10ELNS1_11target_archE1201ELNS1_3gpuE5ELNS1_3repE0EEENS1_30default_config_static_selectorELNS0_4arch9wavefront6targetE0EEEvT1_.has_recursion, 0
	.set _ZN7rocprim17ROCPRIM_400000_NS6detail17trampoline_kernelINS0_14default_configENS1_27scan_by_key_config_selectorIj11FixedVectorIiLj1EEEEZZNS1_16scan_by_key_implILNS1_25lookback_scan_determinismE0ELb1ES3_N6thrust23THRUST_200600_302600_NS6detail15normal_iteratorINSB_10device_ptrIjEEEENSD_INSE_IS6_EEEESI_S6_NSB_4plusIvEENSB_8equal_toIvEES6_EE10hipError_tPvRmT2_T3_T4_T5_mT6_T7_P12ihipStream_tbENKUlT_T0_E_clISt17integral_constantIbLb1EES12_IbLb0EEEEDaSY_SZ_EUlSY_E_NS1_11comp_targetILNS1_3genE10ELNS1_11target_archE1201ELNS1_3gpuE5ELNS1_3repE0EEENS1_30default_config_static_selectorELNS0_4arch9wavefront6targetE0EEEvT1_.has_indirect_call, 0
	.section	.AMDGPU.csdata,"",@progbits
; Kernel info:
; codeLenInByte = 0
; TotalNumSgprs: 0
; NumVgprs: 0
; ScratchSize: 0
; MemoryBound: 0
; FloatMode: 240
; IeeeMode: 1
; LDSByteSize: 0 bytes/workgroup (compile time only)
; SGPRBlocks: 0
; VGPRBlocks: 0
; NumSGPRsForWavesPerEU: 1
; NumVGPRsForWavesPerEU: 1
; NamedBarCnt: 0
; Occupancy: 16
; WaveLimiterHint : 0
; COMPUTE_PGM_RSRC2:SCRATCH_EN: 0
; COMPUTE_PGM_RSRC2:USER_SGPR: 2
; COMPUTE_PGM_RSRC2:TRAP_HANDLER: 0
; COMPUTE_PGM_RSRC2:TGID_X_EN: 1
; COMPUTE_PGM_RSRC2:TGID_Y_EN: 0
; COMPUTE_PGM_RSRC2:TGID_Z_EN: 0
; COMPUTE_PGM_RSRC2:TIDIG_COMP_CNT: 0
	.section	.text._ZN7rocprim17ROCPRIM_400000_NS6detail17trampoline_kernelINS0_14default_configENS1_27scan_by_key_config_selectorIj11FixedVectorIiLj1EEEEZZNS1_16scan_by_key_implILNS1_25lookback_scan_determinismE0ELb1ES3_N6thrust23THRUST_200600_302600_NS6detail15normal_iteratorINSB_10device_ptrIjEEEENSD_INSE_IS6_EEEESI_S6_NSB_4plusIvEENSB_8equal_toIvEES6_EE10hipError_tPvRmT2_T3_T4_T5_mT6_T7_P12ihipStream_tbENKUlT_T0_E_clISt17integral_constantIbLb1EES12_IbLb0EEEEDaSY_SZ_EUlSY_E_NS1_11comp_targetILNS1_3genE5ELNS1_11target_archE942ELNS1_3gpuE9ELNS1_3repE0EEENS1_30default_config_static_selectorELNS0_4arch9wavefront6targetE0EEEvT1_,"axG",@progbits,_ZN7rocprim17ROCPRIM_400000_NS6detail17trampoline_kernelINS0_14default_configENS1_27scan_by_key_config_selectorIj11FixedVectorIiLj1EEEEZZNS1_16scan_by_key_implILNS1_25lookback_scan_determinismE0ELb1ES3_N6thrust23THRUST_200600_302600_NS6detail15normal_iteratorINSB_10device_ptrIjEEEENSD_INSE_IS6_EEEESI_S6_NSB_4plusIvEENSB_8equal_toIvEES6_EE10hipError_tPvRmT2_T3_T4_T5_mT6_T7_P12ihipStream_tbENKUlT_T0_E_clISt17integral_constantIbLb1EES12_IbLb0EEEEDaSY_SZ_EUlSY_E_NS1_11comp_targetILNS1_3genE5ELNS1_11target_archE942ELNS1_3gpuE9ELNS1_3repE0EEENS1_30default_config_static_selectorELNS0_4arch9wavefront6targetE0EEEvT1_,comdat
	.protected	_ZN7rocprim17ROCPRIM_400000_NS6detail17trampoline_kernelINS0_14default_configENS1_27scan_by_key_config_selectorIj11FixedVectorIiLj1EEEEZZNS1_16scan_by_key_implILNS1_25lookback_scan_determinismE0ELb1ES3_N6thrust23THRUST_200600_302600_NS6detail15normal_iteratorINSB_10device_ptrIjEEEENSD_INSE_IS6_EEEESI_S6_NSB_4plusIvEENSB_8equal_toIvEES6_EE10hipError_tPvRmT2_T3_T4_T5_mT6_T7_P12ihipStream_tbENKUlT_T0_E_clISt17integral_constantIbLb1EES12_IbLb0EEEEDaSY_SZ_EUlSY_E_NS1_11comp_targetILNS1_3genE5ELNS1_11target_archE942ELNS1_3gpuE9ELNS1_3repE0EEENS1_30default_config_static_selectorELNS0_4arch9wavefront6targetE0EEEvT1_ ; -- Begin function _ZN7rocprim17ROCPRIM_400000_NS6detail17trampoline_kernelINS0_14default_configENS1_27scan_by_key_config_selectorIj11FixedVectorIiLj1EEEEZZNS1_16scan_by_key_implILNS1_25lookback_scan_determinismE0ELb1ES3_N6thrust23THRUST_200600_302600_NS6detail15normal_iteratorINSB_10device_ptrIjEEEENSD_INSE_IS6_EEEESI_S6_NSB_4plusIvEENSB_8equal_toIvEES6_EE10hipError_tPvRmT2_T3_T4_T5_mT6_T7_P12ihipStream_tbENKUlT_T0_E_clISt17integral_constantIbLb1EES12_IbLb0EEEEDaSY_SZ_EUlSY_E_NS1_11comp_targetILNS1_3genE5ELNS1_11target_archE942ELNS1_3gpuE9ELNS1_3repE0EEENS1_30default_config_static_selectorELNS0_4arch9wavefront6targetE0EEEvT1_
	.globl	_ZN7rocprim17ROCPRIM_400000_NS6detail17trampoline_kernelINS0_14default_configENS1_27scan_by_key_config_selectorIj11FixedVectorIiLj1EEEEZZNS1_16scan_by_key_implILNS1_25lookback_scan_determinismE0ELb1ES3_N6thrust23THRUST_200600_302600_NS6detail15normal_iteratorINSB_10device_ptrIjEEEENSD_INSE_IS6_EEEESI_S6_NSB_4plusIvEENSB_8equal_toIvEES6_EE10hipError_tPvRmT2_T3_T4_T5_mT6_T7_P12ihipStream_tbENKUlT_T0_E_clISt17integral_constantIbLb1EES12_IbLb0EEEEDaSY_SZ_EUlSY_E_NS1_11comp_targetILNS1_3genE5ELNS1_11target_archE942ELNS1_3gpuE9ELNS1_3repE0EEENS1_30default_config_static_selectorELNS0_4arch9wavefront6targetE0EEEvT1_
	.p2align	8
	.type	_ZN7rocprim17ROCPRIM_400000_NS6detail17trampoline_kernelINS0_14default_configENS1_27scan_by_key_config_selectorIj11FixedVectorIiLj1EEEEZZNS1_16scan_by_key_implILNS1_25lookback_scan_determinismE0ELb1ES3_N6thrust23THRUST_200600_302600_NS6detail15normal_iteratorINSB_10device_ptrIjEEEENSD_INSE_IS6_EEEESI_S6_NSB_4plusIvEENSB_8equal_toIvEES6_EE10hipError_tPvRmT2_T3_T4_T5_mT6_T7_P12ihipStream_tbENKUlT_T0_E_clISt17integral_constantIbLb1EES12_IbLb0EEEEDaSY_SZ_EUlSY_E_NS1_11comp_targetILNS1_3genE5ELNS1_11target_archE942ELNS1_3gpuE9ELNS1_3repE0EEENS1_30default_config_static_selectorELNS0_4arch9wavefront6targetE0EEEvT1_,@function
_ZN7rocprim17ROCPRIM_400000_NS6detail17trampoline_kernelINS0_14default_configENS1_27scan_by_key_config_selectorIj11FixedVectorIiLj1EEEEZZNS1_16scan_by_key_implILNS1_25lookback_scan_determinismE0ELb1ES3_N6thrust23THRUST_200600_302600_NS6detail15normal_iteratorINSB_10device_ptrIjEEEENSD_INSE_IS6_EEEESI_S6_NSB_4plusIvEENSB_8equal_toIvEES6_EE10hipError_tPvRmT2_T3_T4_T5_mT6_T7_P12ihipStream_tbENKUlT_T0_E_clISt17integral_constantIbLb1EES12_IbLb0EEEEDaSY_SZ_EUlSY_E_NS1_11comp_targetILNS1_3genE5ELNS1_11target_archE942ELNS1_3gpuE9ELNS1_3repE0EEENS1_30default_config_static_selectorELNS0_4arch9wavefront6targetE0EEEvT1_: ; @_ZN7rocprim17ROCPRIM_400000_NS6detail17trampoline_kernelINS0_14default_configENS1_27scan_by_key_config_selectorIj11FixedVectorIiLj1EEEEZZNS1_16scan_by_key_implILNS1_25lookback_scan_determinismE0ELb1ES3_N6thrust23THRUST_200600_302600_NS6detail15normal_iteratorINSB_10device_ptrIjEEEENSD_INSE_IS6_EEEESI_S6_NSB_4plusIvEENSB_8equal_toIvEES6_EE10hipError_tPvRmT2_T3_T4_T5_mT6_T7_P12ihipStream_tbENKUlT_T0_E_clISt17integral_constantIbLb1EES12_IbLb0EEEEDaSY_SZ_EUlSY_E_NS1_11comp_targetILNS1_3genE5ELNS1_11target_archE942ELNS1_3gpuE9ELNS1_3repE0EEENS1_30default_config_static_selectorELNS0_4arch9wavefront6targetE0EEEvT1_
; %bb.0:
	.section	.rodata,"a",@progbits
	.p2align	6, 0x0
	.amdhsa_kernel _ZN7rocprim17ROCPRIM_400000_NS6detail17trampoline_kernelINS0_14default_configENS1_27scan_by_key_config_selectorIj11FixedVectorIiLj1EEEEZZNS1_16scan_by_key_implILNS1_25lookback_scan_determinismE0ELb1ES3_N6thrust23THRUST_200600_302600_NS6detail15normal_iteratorINSB_10device_ptrIjEEEENSD_INSE_IS6_EEEESI_S6_NSB_4plusIvEENSB_8equal_toIvEES6_EE10hipError_tPvRmT2_T3_T4_T5_mT6_T7_P12ihipStream_tbENKUlT_T0_E_clISt17integral_constantIbLb1EES12_IbLb0EEEEDaSY_SZ_EUlSY_E_NS1_11comp_targetILNS1_3genE5ELNS1_11target_archE942ELNS1_3gpuE9ELNS1_3repE0EEENS1_30default_config_static_selectorELNS0_4arch9wavefront6targetE0EEEvT1_
		.amdhsa_group_segment_fixed_size 0
		.amdhsa_private_segment_fixed_size 0
		.amdhsa_kernarg_size 112
		.amdhsa_user_sgpr_count 2
		.amdhsa_user_sgpr_dispatch_ptr 0
		.amdhsa_user_sgpr_queue_ptr 0
		.amdhsa_user_sgpr_kernarg_segment_ptr 1
		.amdhsa_user_sgpr_dispatch_id 0
		.amdhsa_user_sgpr_kernarg_preload_length 0
		.amdhsa_user_sgpr_kernarg_preload_offset 0
		.amdhsa_user_sgpr_private_segment_size 0
		.amdhsa_wavefront_size32 1
		.amdhsa_uses_dynamic_stack 0
		.amdhsa_enable_private_segment 0
		.amdhsa_system_sgpr_workgroup_id_x 1
		.amdhsa_system_sgpr_workgroup_id_y 0
		.amdhsa_system_sgpr_workgroup_id_z 0
		.amdhsa_system_sgpr_workgroup_info 0
		.amdhsa_system_vgpr_workitem_id 0
		.amdhsa_next_free_vgpr 1
		.amdhsa_next_free_sgpr 1
		.amdhsa_named_barrier_count 0
		.amdhsa_reserve_vcc 0
		.amdhsa_float_round_mode_32 0
		.amdhsa_float_round_mode_16_64 0
		.amdhsa_float_denorm_mode_32 3
		.amdhsa_float_denorm_mode_16_64 3
		.amdhsa_fp16_overflow 0
		.amdhsa_memory_ordered 1
		.amdhsa_forward_progress 1
		.amdhsa_inst_pref_size 0
		.amdhsa_round_robin_scheduling 0
		.amdhsa_exception_fp_ieee_invalid_op 0
		.amdhsa_exception_fp_denorm_src 0
		.amdhsa_exception_fp_ieee_div_zero 0
		.amdhsa_exception_fp_ieee_overflow 0
		.amdhsa_exception_fp_ieee_underflow 0
		.amdhsa_exception_fp_ieee_inexact 0
		.amdhsa_exception_int_div_zero 0
	.end_amdhsa_kernel
	.section	.text._ZN7rocprim17ROCPRIM_400000_NS6detail17trampoline_kernelINS0_14default_configENS1_27scan_by_key_config_selectorIj11FixedVectorIiLj1EEEEZZNS1_16scan_by_key_implILNS1_25lookback_scan_determinismE0ELb1ES3_N6thrust23THRUST_200600_302600_NS6detail15normal_iteratorINSB_10device_ptrIjEEEENSD_INSE_IS6_EEEESI_S6_NSB_4plusIvEENSB_8equal_toIvEES6_EE10hipError_tPvRmT2_T3_T4_T5_mT6_T7_P12ihipStream_tbENKUlT_T0_E_clISt17integral_constantIbLb1EES12_IbLb0EEEEDaSY_SZ_EUlSY_E_NS1_11comp_targetILNS1_3genE5ELNS1_11target_archE942ELNS1_3gpuE9ELNS1_3repE0EEENS1_30default_config_static_selectorELNS0_4arch9wavefront6targetE0EEEvT1_,"axG",@progbits,_ZN7rocprim17ROCPRIM_400000_NS6detail17trampoline_kernelINS0_14default_configENS1_27scan_by_key_config_selectorIj11FixedVectorIiLj1EEEEZZNS1_16scan_by_key_implILNS1_25lookback_scan_determinismE0ELb1ES3_N6thrust23THRUST_200600_302600_NS6detail15normal_iteratorINSB_10device_ptrIjEEEENSD_INSE_IS6_EEEESI_S6_NSB_4plusIvEENSB_8equal_toIvEES6_EE10hipError_tPvRmT2_T3_T4_T5_mT6_T7_P12ihipStream_tbENKUlT_T0_E_clISt17integral_constantIbLb1EES12_IbLb0EEEEDaSY_SZ_EUlSY_E_NS1_11comp_targetILNS1_3genE5ELNS1_11target_archE942ELNS1_3gpuE9ELNS1_3repE0EEENS1_30default_config_static_selectorELNS0_4arch9wavefront6targetE0EEEvT1_,comdat
.Lfunc_end1931:
	.size	_ZN7rocprim17ROCPRIM_400000_NS6detail17trampoline_kernelINS0_14default_configENS1_27scan_by_key_config_selectorIj11FixedVectorIiLj1EEEEZZNS1_16scan_by_key_implILNS1_25lookback_scan_determinismE0ELb1ES3_N6thrust23THRUST_200600_302600_NS6detail15normal_iteratorINSB_10device_ptrIjEEEENSD_INSE_IS6_EEEESI_S6_NSB_4plusIvEENSB_8equal_toIvEES6_EE10hipError_tPvRmT2_T3_T4_T5_mT6_T7_P12ihipStream_tbENKUlT_T0_E_clISt17integral_constantIbLb1EES12_IbLb0EEEEDaSY_SZ_EUlSY_E_NS1_11comp_targetILNS1_3genE5ELNS1_11target_archE942ELNS1_3gpuE9ELNS1_3repE0EEENS1_30default_config_static_selectorELNS0_4arch9wavefront6targetE0EEEvT1_, .Lfunc_end1931-_ZN7rocprim17ROCPRIM_400000_NS6detail17trampoline_kernelINS0_14default_configENS1_27scan_by_key_config_selectorIj11FixedVectorIiLj1EEEEZZNS1_16scan_by_key_implILNS1_25lookback_scan_determinismE0ELb1ES3_N6thrust23THRUST_200600_302600_NS6detail15normal_iteratorINSB_10device_ptrIjEEEENSD_INSE_IS6_EEEESI_S6_NSB_4plusIvEENSB_8equal_toIvEES6_EE10hipError_tPvRmT2_T3_T4_T5_mT6_T7_P12ihipStream_tbENKUlT_T0_E_clISt17integral_constantIbLb1EES12_IbLb0EEEEDaSY_SZ_EUlSY_E_NS1_11comp_targetILNS1_3genE5ELNS1_11target_archE942ELNS1_3gpuE9ELNS1_3repE0EEENS1_30default_config_static_selectorELNS0_4arch9wavefront6targetE0EEEvT1_
                                        ; -- End function
	.set _ZN7rocprim17ROCPRIM_400000_NS6detail17trampoline_kernelINS0_14default_configENS1_27scan_by_key_config_selectorIj11FixedVectorIiLj1EEEEZZNS1_16scan_by_key_implILNS1_25lookback_scan_determinismE0ELb1ES3_N6thrust23THRUST_200600_302600_NS6detail15normal_iteratorINSB_10device_ptrIjEEEENSD_INSE_IS6_EEEESI_S6_NSB_4plusIvEENSB_8equal_toIvEES6_EE10hipError_tPvRmT2_T3_T4_T5_mT6_T7_P12ihipStream_tbENKUlT_T0_E_clISt17integral_constantIbLb1EES12_IbLb0EEEEDaSY_SZ_EUlSY_E_NS1_11comp_targetILNS1_3genE5ELNS1_11target_archE942ELNS1_3gpuE9ELNS1_3repE0EEENS1_30default_config_static_selectorELNS0_4arch9wavefront6targetE0EEEvT1_.num_vgpr, 0
	.set _ZN7rocprim17ROCPRIM_400000_NS6detail17trampoline_kernelINS0_14default_configENS1_27scan_by_key_config_selectorIj11FixedVectorIiLj1EEEEZZNS1_16scan_by_key_implILNS1_25lookback_scan_determinismE0ELb1ES3_N6thrust23THRUST_200600_302600_NS6detail15normal_iteratorINSB_10device_ptrIjEEEENSD_INSE_IS6_EEEESI_S6_NSB_4plusIvEENSB_8equal_toIvEES6_EE10hipError_tPvRmT2_T3_T4_T5_mT6_T7_P12ihipStream_tbENKUlT_T0_E_clISt17integral_constantIbLb1EES12_IbLb0EEEEDaSY_SZ_EUlSY_E_NS1_11comp_targetILNS1_3genE5ELNS1_11target_archE942ELNS1_3gpuE9ELNS1_3repE0EEENS1_30default_config_static_selectorELNS0_4arch9wavefront6targetE0EEEvT1_.num_agpr, 0
	.set _ZN7rocprim17ROCPRIM_400000_NS6detail17trampoline_kernelINS0_14default_configENS1_27scan_by_key_config_selectorIj11FixedVectorIiLj1EEEEZZNS1_16scan_by_key_implILNS1_25lookback_scan_determinismE0ELb1ES3_N6thrust23THRUST_200600_302600_NS6detail15normal_iteratorINSB_10device_ptrIjEEEENSD_INSE_IS6_EEEESI_S6_NSB_4plusIvEENSB_8equal_toIvEES6_EE10hipError_tPvRmT2_T3_T4_T5_mT6_T7_P12ihipStream_tbENKUlT_T0_E_clISt17integral_constantIbLb1EES12_IbLb0EEEEDaSY_SZ_EUlSY_E_NS1_11comp_targetILNS1_3genE5ELNS1_11target_archE942ELNS1_3gpuE9ELNS1_3repE0EEENS1_30default_config_static_selectorELNS0_4arch9wavefront6targetE0EEEvT1_.numbered_sgpr, 0
	.set _ZN7rocprim17ROCPRIM_400000_NS6detail17trampoline_kernelINS0_14default_configENS1_27scan_by_key_config_selectorIj11FixedVectorIiLj1EEEEZZNS1_16scan_by_key_implILNS1_25lookback_scan_determinismE0ELb1ES3_N6thrust23THRUST_200600_302600_NS6detail15normal_iteratorINSB_10device_ptrIjEEEENSD_INSE_IS6_EEEESI_S6_NSB_4plusIvEENSB_8equal_toIvEES6_EE10hipError_tPvRmT2_T3_T4_T5_mT6_T7_P12ihipStream_tbENKUlT_T0_E_clISt17integral_constantIbLb1EES12_IbLb0EEEEDaSY_SZ_EUlSY_E_NS1_11comp_targetILNS1_3genE5ELNS1_11target_archE942ELNS1_3gpuE9ELNS1_3repE0EEENS1_30default_config_static_selectorELNS0_4arch9wavefront6targetE0EEEvT1_.num_named_barrier, 0
	.set _ZN7rocprim17ROCPRIM_400000_NS6detail17trampoline_kernelINS0_14default_configENS1_27scan_by_key_config_selectorIj11FixedVectorIiLj1EEEEZZNS1_16scan_by_key_implILNS1_25lookback_scan_determinismE0ELb1ES3_N6thrust23THRUST_200600_302600_NS6detail15normal_iteratorINSB_10device_ptrIjEEEENSD_INSE_IS6_EEEESI_S6_NSB_4plusIvEENSB_8equal_toIvEES6_EE10hipError_tPvRmT2_T3_T4_T5_mT6_T7_P12ihipStream_tbENKUlT_T0_E_clISt17integral_constantIbLb1EES12_IbLb0EEEEDaSY_SZ_EUlSY_E_NS1_11comp_targetILNS1_3genE5ELNS1_11target_archE942ELNS1_3gpuE9ELNS1_3repE0EEENS1_30default_config_static_selectorELNS0_4arch9wavefront6targetE0EEEvT1_.private_seg_size, 0
	.set _ZN7rocprim17ROCPRIM_400000_NS6detail17trampoline_kernelINS0_14default_configENS1_27scan_by_key_config_selectorIj11FixedVectorIiLj1EEEEZZNS1_16scan_by_key_implILNS1_25lookback_scan_determinismE0ELb1ES3_N6thrust23THRUST_200600_302600_NS6detail15normal_iteratorINSB_10device_ptrIjEEEENSD_INSE_IS6_EEEESI_S6_NSB_4plusIvEENSB_8equal_toIvEES6_EE10hipError_tPvRmT2_T3_T4_T5_mT6_T7_P12ihipStream_tbENKUlT_T0_E_clISt17integral_constantIbLb1EES12_IbLb0EEEEDaSY_SZ_EUlSY_E_NS1_11comp_targetILNS1_3genE5ELNS1_11target_archE942ELNS1_3gpuE9ELNS1_3repE0EEENS1_30default_config_static_selectorELNS0_4arch9wavefront6targetE0EEEvT1_.uses_vcc, 0
	.set _ZN7rocprim17ROCPRIM_400000_NS6detail17trampoline_kernelINS0_14default_configENS1_27scan_by_key_config_selectorIj11FixedVectorIiLj1EEEEZZNS1_16scan_by_key_implILNS1_25lookback_scan_determinismE0ELb1ES3_N6thrust23THRUST_200600_302600_NS6detail15normal_iteratorINSB_10device_ptrIjEEEENSD_INSE_IS6_EEEESI_S6_NSB_4plusIvEENSB_8equal_toIvEES6_EE10hipError_tPvRmT2_T3_T4_T5_mT6_T7_P12ihipStream_tbENKUlT_T0_E_clISt17integral_constantIbLb1EES12_IbLb0EEEEDaSY_SZ_EUlSY_E_NS1_11comp_targetILNS1_3genE5ELNS1_11target_archE942ELNS1_3gpuE9ELNS1_3repE0EEENS1_30default_config_static_selectorELNS0_4arch9wavefront6targetE0EEEvT1_.uses_flat_scratch, 0
	.set _ZN7rocprim17ROCPRIM_400000_NS6detail17trampoline_kernelINS0_14default_configENS1_27scan_by_key_config_selectorIj11FixedVectorIiLj1EEEEZZNS1_16scan_by_key_implILNS1_25lookback_scan_determinismE0ELb1ES3_N6thrust23THRUST_200600_302600_NS6detail15normal_iteratorINSB_10device_ptrIjEEEENSD_INSE_IS6_EEEESI_S6_NSB_4plusIvEENSB_8equal_toIvEES6_EE10hipError_tPvRmT2_T3_T4_T5_mT6_T7_P12ihipStream_tbENKUlT_T0_E_clISt17integral_constantIbLb1EES12_IbLb0EEEEDaSY_SZ_EUlSY_E_NS1_11comp_targetILNS1_3genE5ELNS1_11target_archE942ELNS1_3gpuE9ELNS1_3repE0EEENS1_30default_config_static_selectorELNS0_4arch9wavefront6targetE0EEEvT1_.has_dyn_sized_stack, 0
	.set _ZN7rocprim17ROCPRIM_400000_NS6detail17trampoline_kernelINS0_14default_configENS1_27scan_by_key_config_selectorIj11FixedVectorIiLj1EEEEZZNS1_16scan_by_key_implILNS1_25lookback_scan_determinismE0ELb1ES3_N6thrust23THRUST_200600_302600_NS6detail15normal_iteratorINSB_10device_ptrIjEEEENSD_INSE_IS6_EEEESI_S6_NSB_4plusIvEENSB_8equal_toIvEES6_EE10hipError_tPvRmT2_T3_T4_T5_mT6_T7_P12ihipStream_tbENKUlT_T0_E_clISt17integral_constantIbLb1EES12_IbLb0EEEEDaSY_SZ_EUlSY_E_NS1_11comp_targetILNS1_3genE5ELNS1_11target_archE942ELNS1_3gpuE9ELNS1_3repE0EEENS1_30default_config_static_selectorELNS0_4arch9wavefront6targetE0EEEvT1_.has_recursion, 0
	.set _ZN7rocprim17ROCPRIM_400000_NS6detail17trampoline_kernelINS0_14default_configENS1_27scan_by_key_config_selectorIj11FixedVectorIiLj1EEEEZZNS1_16scan_by_key_implILNS1_25lookback_scan_determinismE0ELb1ES3_N6thrust23THRUST_200600_302600_NS6detail15normal_iteratorINSB_10device_ptrIjEEEENSD_INSE_IS6_EEEESI_S6_NSB_4plusIvEENSB_8equal_toIvEES6_EE10hipError_tPvRmT2_T3_T4_T5_mT6_T7_P12ihipStream_tbENKUlT_T0_E_clISt17integral_constantIbLb1EES12_IbLb0EEEEDaSY_SZ_EUlSY_E_NS1_11comp_targetILNS1_3genE5ELNS1_11target_archE942ELNS1_3gpuE9ELNS1_3repE0EEENS1_30default_config_static_selectorELNS0_4arch9wavefront6targetE0EEEvT1_.has_indirect_call, 0
	.section	.AMDGPU.csdata,"",@progbits
; Kernel info:
; codeLenInByte = 0
; TotalNumSgprs: 0
; NumVgprs: 0
; ScratchSize: 0
; MemoryBound: 0
; FloatMode: 240
; IeeeMode: 1
; LDSByteSize: 0 bytes/workgroup (compile time only)
; SGPRBlocks: 0
; VGPRBlocks: 0
; NumSGPRsForWavesPerEU: 1
; NumVGPRsForWavesPerEU: 1
; NamedBarCnt: 0
; Occupancy: 16
; WaveLimiterHint : 0
; COMPUTE_PGM_RSRC2:SCRATCH_EN: 0
; COMPUTE_PGM_RSRC2:USER_SGPR: 2
; COMPUTE_PGM_RSRC2:TRAP_HANDLER: 0
; COMPUTE_PGM_RSRC2:TGID_X_EN: 1
; COMPUTE_PGM_RSRC2:TGID_Y_EN: 0
; COMPUTE_PGM_RSRC2:TGID_Z_EN: 0
; COMPUTE_PGM_RSRC2:TIDIG_COMP_CNT: 0
	.section	.text._ZN7rocprim17ROCPRIM_400000_NS6detail17trampoline_kernelINS0_14default_configENS1_27scan_by_key_config_selectorIj11FixedVectorIiLj1EEEEZZNS1_16scan_by_key_implILNS1_25lookback_scan_determinismE0ELb1ES3_N6thrust23THRUST_200600_302600_NS6detail15normal_iteratorINSB_10device_ptrIjEEEENSD_INSE_IS6_EEEESI_S6_NSB_4plusIvEENSB_8equal_toIvEES6_EE10hipError_tPvRmT2_T3_T4_T5_mT6_T7_P12ihipStream_tbENKUlT_T0_E_clISt17integral_constantIbLb1EES12_IbLb0EEEEDaSY_SZ_EUlSY_E_NS1_11comp_targetILNS1_3genE4ELNS1_11target_archE910ELNS1_3gpuE8ELNS1_3repE0EEENS1_30default_config_static_selectorELNS0_4arch9wavefront6targetE0EEEvT1_,"axG",@progbits,_ZN7rocprim17ROCPRIM_400000_NS6detail17trampoline_kernelINS0_14default_configENS1_27scan_by_key_config_selectorIj11FixedVectorIiLj1EEEEZZNS1_16scan_by_key_implILNS1_25lookback_scan_determinismE0ELb1ES3_N6thrust23THRUST_200600_302600_NS6detail15normal_iteratorINSB_10device_ptrIjEEEENSD_INSE_IS6_EEEESI_S6_NSB_4plusIvEENSB_8equal_toIvEES6_EE10hipError_tPvRmT2_T3_T4_T5_mT6_T7_P12ihipStream_tbENKUlT_T0_E_clISt17integral_constantIbLb1EES12_IbLb0EEEEDaSY_SZ_EUlSY_E_NS1_11comp_targetILNS1_3genE4ELNS1_11target_archE910ELNS1_3gpuE8ELNS1_3repE0EEENS1_30default_config_static_selectorELNS0_4arch9wavefront6targetE0EEEvT1_,comdat
	.protected	_ZN7rocprim17ROCPRIM_400000_NS6detail17trampoline_kernelINS0_14default_configENS1_27scan_by_key_config_selectorIj11FixedVectorIiLj1EEEEZZNS1_16scan_by_key_implILNS1_25lookback_scan_determinismE0ELb1ES3_N6thrust23THRUST_200600_302600_NS6detail15normal_iteratorINSB_10device_ptrIjEEEENSD_INSE_IS6_EEEESI_S6_NSB_4plusIvEENSB_8equal_toIvEES6_EE10hipError_tPvRmT2_T3_T4_T5_mT6_T7_P12ihipStream_tbENKUlT_T0_E_clISt17integral_constantIbLb1EES12_IbLb0EEEEDaSY_SZ_EUlSY_E_NS1_11comp_targetILNS1_3genE4ELNS1_11target_archE910ELNS1_3gpuE8ELNS1_3repE0EEENS1_30default_config_static_selectorELNS0_4arch9wavefront6targetE0EEEvT1_ ; -- Begin function _ZN7rocprim17ROCPRIM_400000_NS6detail17trampoline_kernelINS0_14default_configENS1_27scan_by_key_config_selectorIj11FixedVectorIiLj1EEEEZZNS1_16scan_by_key_implILNS1_25lookback_scan_determinismE0ELb1ES3_N6thrust23THRUST_200600_302600_NS6detail15normal_iteratorINSB_10device_ptrIjEEEENSD_INSE_IS6_EEEESI_S6_NSB_4plusIvEENSB_8equal_toIvEES6_EE10hipError_tPvRmT2_T3_T4_T5_mT6_T7_P12ihipStream_tbENKUlT_T0_E_clISt17integral_constantIbLb1EES12_IbLb0EEEEDaSY_SZ_EUlSY_E_NS1_11comp_targetILNS1_3genE4ELNS1_11target_archE910ELNS1_3gpuE8ELNS1_3repE0EEENS1_30default_config_static_selectorELNS0_4arch9wavefront6targetE0EEEvT1_
	.globl	_ZN7rocprim17ROCPRIM_400000_NS6detail17trampoline_kernelINS0_14default_configENS1_27scan_by_key_config_selectorIj11FixedVectorIiLj1EEEEZZNS1_16scan_by_key_implILNS1_25lookback_scan_determinismE0ELb1ES3_N6thrust23THRUST_200600_302600_NS6detail15normal_iteratorINSB_10device_ptrIjEEEENSD_INSE_IS6_EEEESI_S6_NSB_4plusIvEENSB_8equal_toIvEES6_EE10hipError_tPvRmT2_T3_T4_T5_mT6_T7_P12ihipStream_tbENKUlT_T0_E_clISt17integral_constantIbLb1EES12_IbLb0EEEEDaSY_SZ_EUlSY_E_NS1_11comp_targetILNS1_3genE4ELNS1_11target_archE910ELNS1_3gpuE8ELNS1_3repE0EEENS1_30default_config_static_selectorELNS0_4arch9wavefront6targetE0EEEvT1_
	.p2align	8
	.type	_ZN7rocprim17ROCPRIM_400000_NS6detail17trampoline_kernelINS0_14default_configENS1_27scan_by_key_config_selectorIj11FixedVectorIiLj1EEEEZZNS1_16scan_by_key_implILNS1_25lookback_scan_determinismE0ELb1ES3_N6thrust23THRUST_200600_302600_NS6detail15normal_iteratorINSB_10device_ptrIjEEEENSD_INSE_IS6_EEEESI_S6_NSB_4plusIvEENSB_8equal_toIvEES6_EE10hipError_tPvRmT2_T3_T4_T5_mT6_T7_P12ihipStream_tbENKUlT_T0_E_clISt17integral_constantIbLb1EES12_IbLb0EEEEDaSY_SZ_EUlSY_E_NS1_11comp_targetILNS1_3genE4ELNS1_11target_archE910ELNS1_3gpuE8ELNS1_3repE0EEENS1_30default_config_static_selectorELNS0_4arch9wavefront6targetE0EEEvT1_,@function
_ZN7rocprim17ROCPRIM_400000_NS6detail17trampoline_kernelINS0_14default_configENS1_27scan_by_key_config_selectorIj11FixedVectorIiLj1EEEEZZNS1_16scan_by_key_implILNS1_25lookback_scan_determinismE0ELb1ES3_N6thrust23THRUST_200600_302600_NS6detail15normal_iteratorINSB_10device_ptrIjEEEENSD_INSE_IS6_EEEESI_S6_NSB_4plusIvEENSB_8equal_toIvEES6_EE10hipError_tPvRmT2_T3_T4_T5_mT6_T7_P12ihipStream_tbENKUlT_T0_E_clISt17integral_constantIbLb1EES12_IbLb0EEEEDaSY_SZ_EUlSY_E_NS1_11comp_targetILNS1_3genE4ELNS1_11target_archE910ELNS1_3gpuE8ELNS1_3repE0EEENS1_30default_config_static_selectorELNS0_4arch9wavefront6targetE0EEEvT1_: ; @_ZN7rocprim17ROCPRIM_400000_NS6detail17trampoline_kernelINS0_14default_configENS1_27scan_by_key_config_selectorIj11FixedVectorIiLj1EEEEZZNS1_16scan_by_key_implILNS1_25lookback_scan_determinismE0ELb1ES3_N6thrust23THRUST_200600_302600_NS6detail15normal_iteratorINSB_10device_ptrIjEEEENSD_INSE_IS6_EEEESI_S6_NSB_4plusIvEENSB_8equal_toIvEES6_EE10hipError_tPvRmT2_T3_T4_T5_mT6_T7_P12ihipStream_tbENKUlT_T0_E_clISt17integral_constantIbLb1EES12_IbLb0EEEEDaSY_SZ_EUlSY_E_NS1_11comp_targetILNS1_3genE4ELNS1_11target_archE910ELNS1_3gpuE8ELNS1_3repE0EEENS1_30default_config_static_selectorELNS0_4arch9wavefront6targetE0EEEvT1_
; %bb.0:
	.section	.rodata,"a",@progbits
	.p2align	6, 0x0
	.amdhsa_kernel _ZN7rocprim17ROCPRIM_400000_NS6detail17trampoline_kernelINS0_14default_configENS1_27scan_by_key_config_selectorIj11FixedVectorIiLj1EEEEZZNS1_16scan_by_key_implILNS1_25lookback_scan_determinismE0ELb1ES3_N6thrust23THRUST_200600_302600_NS6detail15normal_iteratorINSB_10device_ptrIjEEEENSD_INSE_IS6_EEEESI_S6_NSB_4plusIvEENSB_8equal_toIvEES6_EE10hipError_tPvRmT2_T3_T4_T5_mT6_T7_P12ihipStream_tbENKUlT_T0_E_clISt17integral_constantIbLb1EES12_IbLb0EEEEDaSY_SZ_EUlSY_E_NS1_11comp_targetILNS1_3genE4ELNS1_11target_archE910ELNS1_3gpuE8ELNS1_3repE0EEENS1_30default_config_static_selectorELNS0_4arch9wavefront6targetE0EEEvT1_
		.amdhsa_group_segment_fixed_size 0
		.amdhsa_private_segment_fixed_size 0
		.amdhsa_kernarg_size 112
		.amdhsa_user_sgpr_count 2
		.amdhsa_user_sgpr_dispatch_ptr 0
		.amdhsa_user_sgpr_queue_ptr 0
		.amdhsa_user_sgpr_kernarg_segment_ptr 1
		.amdhsa_user_sgpr_dispatch_id 0
		.amdhsa_user_sgpr_kernarg_preload_length 0
		.amdhsa_user_sgpr_kernarg_preload_offset 0
		.amdhsa_user_sgpr_private_segment_size 0
		.amdhsa_wavefront_size32 1
		.amdhsa_uses_dynamic_stack 0
		.amdhsa_enable_private_segment 0
		.amdhsa_system_sgpr_workgroup_id_x 1
		.amdhsa_system_sgpr_workgroup_id_y 0
		.amdhsa_system_sgpr_workgroup_id_z 0
		.amdhsa_system_sgpr_workgroup_info 0
		.amdhsa_system_vgpr_workitem_id 0
		.amdhsa_next_free_vgpr 1
		.amdhsa_next_free_sgpr 1
		.amdhsa_named_barrier_count 0
		.amdhsa_reserve_vcc 0
		.amdhsa_float_round_mode_32 0
		.amdhsa_float_round_mode_16_64 0
		.amdhsa_float_denorm_mode_32 3
		.amdhsa_float_denorm_mode_16_64 3
		.amdhsa_fp16_overflow 0
		.amdhsa_memory_ordered 1
		.amdhsa_forward_progress 1
		.amdhsa_inst_pref_size 0
		.amdhsa_round_robin_scheduling 0
		.amdhsa_exception_fp_ieee_invalid_op 0
		.amdhsa_exception_fp_denorm_src 0
		.amdhsa_exception_fp_ieee_div_zero 0
		.amdhsa_exception_fp_ieee_overflow 0
		.amdhsa_exception_fp_ieee_underflow 0
		.amdhsa_exception_fp_ieee_inexact 0
		.amdhsa_exception_int_div_zero 0
	.end_amdhsa_kernel
	.section	.text._ZN7rocprim17ROCPRIM_400000_NS6detail17trampoline_kernelINS0_14default_configENS1_27scan_by_key_config_selectorIj11FixedVectorIiLj1EEEEZZNS1_16scan_by_key_implILNS1_25lookback_scan_determinismE0ELb1ES3_N6thrust23THRUST_200600_302600_NS6detail15normal_iteratorINSB_10device_ptrIjEEEENSD_INSE_IS6_EEEESI_S6_NSB_4plusIvEENSB_8equal_toIvEES6_EE10hipError_tPvRmT2_T3_T4_T5_mT6_T7_P12ihipStream_tbENKUlT_T0_E_clISt17integral_constantIbLb1EES12_IbLb0EEEEDaSY_SZ_EUlSY_E_NS1_11comp_targetILNS1_3genE4ELNS1_11target_archE910ELNS1_3gpuE8ELNS1_3repE0EEENS1_30default_config_static_selectorELNS0_4arch9wavefront6targetE0EEEvT1_,"axG",@progbits,_ZN7rocprim17ROCPRIM_400000_NS6detail17trampoline_kernelINS0_14default_configENS1_27scan_by_key_config_selectorIj11FixedVectorIiLj1EEEEZZNS1_16scan_by_key_implILNS1_25lookback_scan_determinismE0ELb1ES3_N6thrust23THRUST_200600_302600_NS6detail15normal_iteratorINSB_10device_ptrIjEEEENSD_INSE_IS6_EEEESI_S6_NSB_4plusIvEENSB_8equal_toIvEES6_EE10hipError_tPvRmT2_T3_T4_T5_mT6_T7_P12ihipStream_tbENKUlT_T0_E_clISt17integral_constantIbLb1EES12_IbLb0EEEEDaSY_SZ_EUlSY_E_NS1_11comp_targetILNS1_3genE4ELNS1_11target_archE910ELNS1_3gpuE8ELNS1_3repE0EEENS1_30default_config_static_selectorELNS0_4arch9wavefront6targetE0EEEvT1_,comdat
.Lfunc_end1932:
	.size	_ZN7rocprim17ROCPRIM_400000_NS6detail17trampoline_kernelINS0_14default_configENS1_27scan_by_key_config_selectorIj11FixedVectorIiLj1EEEEZZNS1_16scan_by_key_implILNS1_25lookback_scan_determinismE0ELb1ES3_N6thrust23THRUST_200600_302600_NS6detail15normal_iteratorINSB_10device_ptrIjEEEENSD_INSE_IS6_EEEESI_S6_NSB_4plusIvEENSB_8equal_toIvEES6_EE10hipError_tPvRmT2_T3_T4_T5_mT6_T7_P12ihipStream_tbENKUlT_T0_E_clISt17integral_constantIbLb1EES12_IbLb0EEEEDaSY_SZ_EUlSY_E_NS1_11comp_targetILNS1_3genE4ELNS1_11target_archE910ELNS1_3gpuE8ELNS1_3repE0EEENS1_30default_config_static_selectorELNS0_4arch9wavefront6targetE0EEEvT1_, .Lfunc_end1932-_ZN7rocprim17ROCPRIM_400000_NS6detail17trampoline_kernelINS0_14default_configENS1_27scan_by_key_config_selectorIj11FixedVectorIiLj1EEEEZZNS1_16scan_by_key_implILNS1_25lookback_scan_determinismE0ELb1ES3_N6thrust23THRUST_200600_302600_NS6detail15normal_iteratorINSB_10device_ptrIjEEEENSD_INSE_IS6_EEEESI_S6_NSB_4plusIvEENSB_8equal_toIvEES6_EE10hipError_tPvRmT2_T3_T4_T5_mT6_T7_P12ihipStream_tbENKUlT_T0_E_clISt17integral_constantIbLb1EES12_IbLb0EEEEDaSY_SZ_EUlSY_E_NS1_11comp_targetILNS1_3genE4ELNS1_11target_archE910ELNS1_3gpuE8ELNS1_3repE0EEENS1_30default_config_static_selectorELNS0_4arch9wavefront6targetE0EEEvT1_
                                        ; -- End function
	.set _ZN7rocprim17ROCPRIM_400000_NS6detail17trampoline_kernelINS0_14default_configENS1_27scan_by_key_config_selectorIj11FixedVectorIiLj1EEEEZZNS1_16scan_by_key_implILNS1_25lookback_scan_determinismE0ELb1ES3_N6thrust23THRUST_200600_302600_NS6detail15normal_iteratorINSB_10device_ptrIjEEEENSD_INSE_IS6_EEEESI_S6_NSB_4plusIvEENSB_8equal_toIvEES6_EE10hipError_tPvRmT2_T3_T4_T5_mT6_T7_P12ihipStream_tbENKUlT_T0_E_clISt17integral_constantIbLb1EES12_IbLb0EEEEDaSY_SZ_EUlSY_E_NS1_11comp_targetILNS1_3genE4ELNS1_11target_archE910ELNS1_3gpuE8ELNS1_3repE0EEENS1_30default_config_static_selectorELNS0_4arch9wavefront6targetE0EEEvT1_.num_vgpr, 0
	.set _ZN7rocprim17ROCPRIM_400000_NS6detail17trampoline_kernelINS0_14default_configENS1_27scan_by_key_config_selectorIj11FixedVectorIiLj1EEEEZZNS1_16scan_by_key_implILNS1_25lookback_scan_determinismE0ELb1ES3_N6thrust23THRUST_200600_302600_NS6detail15normal_iteratorINSB_10device_ptrIjEEEENSD_INSE_IS6_EEEESI_S6_NSB_4plusIvEENSB_8equal_toIvEES6_EE10hipError_tPvRmT2_T3_T4_T5_mT6_T7_P12ihipStream_tbENKUlT_T0_E_clISt17integral_constantIbLb1EES12_IbLb0EEEEDaSY_SZ_EUlSY_E_NS1_11comp_targetILNS1_3genE4ELNS1_11target_archE910ELNS1_3gpuE8ELNS1_3repE0EEENS1_30default_config_static_selectorELNS0_4arch9wavefront6targetE0EEEvT1_.num_agpr, 0
	.set _ZN7rocprim17ROCPRIM_400000_NS6detail17trampoline_kernelINS0_14default_configENS1_27scan_by_key_config_selectorIj11FixedVectorIiLj1EEEEZZNS1_16scan_by_key_implILNS1_25lookback_scan_determinismE0ELb1ES3_N6thrust23THRUST_200600_302600_NS6detail15normal_iteratorINSB_10device_ptrIjEEEENSD_INSE_IS6_EEEESI_S6_NSB_4plusIvEENSB_8equal_toIvEES6_EE10hipError_tPvRmT2_T3_T4_T5_mT6_T7_P12ihipStream_tbENKUlT_T0_E_clISt17integral_constantIbLb1EES12_IbLb0EEEEDaSY_SZ_EUlSY_E_NS1_11comp_targetILNS1_3genE4ELNS1_11target_archE910ELNS1_3gpuE8ELNS1_3repE0EEENS1_30default_config_static_selectorELNS0_4arch9wavefront6targetE0EEEvT1_.numbered_sgpr, 0
	.set _ZN7rocprim17ROCPRIM_400000_NS6detail17trampoline_kernelINS0_14default_configENS1_27scan_by_key_config_selectorIj11FixedVectorIiLj1EEEEZZNS1_16scan_by_key_implILNS1_25lookback_scan_determinismE0ELb1ES3_N6thrust23THRUST_200600_302600_NS6detail15normal_iteratorINSB_10device_ptrIjEEEENSD_INSE_IS6_EEEESI_S6_NSB_4plusIvEENSB_8equal_toIvEES6_EE10hipError_tPvRmT2_T3_T4_T5_mT6_T7_P12ihipStream_tbENKUlT_T0_E_clISt17integral_constantIbLb1EES12_IbLb0EEEEDaSY_SZ_EUlSY_E_NS1_11comp_targetILNS1_3genE4ELNS1_11target_archE910ELNS1_3gpuE8ELNS1_3repE0EEENS1_30default_config_static_selectorELNS0_4arch9wavefront6targetE0EEEvT1_.num_named_barrier, 0
	.set _ZN7rocprim17ROCPRIM_400000_NS6detail17trampoline_kernelINS0_14default_configENS1_27scan_by_key_config_selectorIj11FixedVectorIiLj1EEEEZZNS1_16scan_by_key_implILNS1_25lookback_scan_determinismE0ELb1ES3_N6thrust23THRUST_200600_302600_NS6detail15normal_iteratorINSB_10device_ptrIjEEEENSD_INSE_IS6_EEEESI_S6_NSB_4plusIvEENSB_8equal_toIvEES6_EE10hipError_tPvRmT2_T3_T4_T5_mT6_T7_P12ihipStream_tbENKUlT_T0_E_clISt17integral_constantIbLb1EES12_IbLb0EEEEDaSY_SZ_EUlSY_E_NS1_11comp_targetILNS1_3genE4ELNS1_11target_archE910ELNS1_3gpuE8ELNS1_3repE0EEENS1_30default_config_static_selectorELNS0_4arch9wavefront6targetE0EEEvT1_.private_seg_size, 0
	.set _ZN7rocprim17ROCPRIM_400000_NS6detail17trampoline_kernelINS0_14default_configENS1_27scan_by_key_config_selectorIj11FixedVectorIiLj1EEEEZZNS1_16scan_by_key_implILNS1_25lookback_scan_determinismE0ELb1ES3_N6thrust23THRUST_200600_302600_NS6detail15normal_iteratorINSB_10device_ptrIjEEEENSD_INSE_IS6_EEEESI_S6_NSB_4plusIvEENSB_8equal_toIvEES6_EE10hipError_tPvRmT2_T3_T4_T5_mT6_T7_P12ihipStream_tbENKUlT_T0_E_clISt17integral_constantIbLb1EES12_IbLb0EEEEDaSY_SZ_EUlSY_E_NS1_11comp_targetILNS1_3genE4ELNS1_11target_archE910ELNS1_3gpuE8ELNS1_3repE0EEENS1_30default_config_static_selectorELNS0_4arch9wavefront6targetE0EEEvT1_.uses_vcc, 0
	.set _ZN7rocprim17ROCPRIM_400000_NS6detail17trampoline_kernelINS0_14default_configENS1_27scan_by_key_config_selectorIj11FixedVectorIiLj1EEEEZZNS1_16scan_by_key_implILNS1_25lookback_scan_determinismE0ELb1ES3_N6thrust23THRUST_200600_302600_NS6detail15normal_iteratorINSB_10device_ptrIjEEEENSD_INSE_IS6_EEEESI_S6_NSB_4plusIvEENSB_8equal_toIvEES6_EE10hipError_tPvRmT2_T3_T4_T5_mT6_T7_P12ihipStream_tbENKUlT_T0_E_clISt17integral_constantIbLb1EES12_IbLb0EEEEDaSY_SZ_EUlSY_E_NS1_11comp_targetILNS1_3genE4ELNS1_11target_archE910ELNS1_3gpuE8ELNS1_3repE0EEENS1_30default_config_static_selectorELNS0_4arch9wavefront6targetE0EEEvT1_.uses_flat_scratch, 0
	.set _ZN7rocprim17ROCPRIM_400000_NS6detail17trampoline_kernelINS0_14default_configENS1_27scan_by_key_config_selectorIj11FixedVectorIiLj1EEEEZZNS1_16scan_by_key_implILNS1_25lookback_scan_determinismE0ELb1ES3_N6thrust23THRUST_200600_302600_NS6detail15normal_iteratorINSB_10device_ptrIjEEEENSD_INSE_IS6_EEEESI_S6_NSB_4plusIvEENSB_8equal_toIvEES6_EE10hipError_tPvRmT2_T3_T4_T5_mT6_T7_P12ihipStream_tbENKUlT_T0_E_clISt17integral_constantIbLb1EES12_IbLb0EEEEDaSY_SZ_EUlSY_E_NS1_11comp_targetILNS1_3genE4ELNS1_11target_archE910ELNS1_3gpuE8ELNS1_3repE0EEENS1_30default_config_static_selectorELNS0_4arch9wavefront6targetE0EEEvT1_.has_dyn_sized_stack, 0
	.set _ZN7rocprim17ROCPRIM_400000_NS6detail17trampoline_kernelINS0_14default_configENS1_27scan_by_key_config_selectorIj11FixedVectorIiLj1EEEEZZNS1_16scan_by_key_implILNS1_25lookback_scan_determinismE0ELb1ES3_N6thrust23THRUST_200600_302600_NS6detail15normal_iteratorINSB_10device_ptrIjEEEENSD_INSE_IS6_EEEESI_S6_NSB_4plusIvEENSB_8equal_toIvEES6_EE10hipError_tPvRmT2_T3_T4_T5_mT6_T7_P12ihipStream_tbENKUlT_T0_E_clISt17integral_constantIbLb1EES12_IbLb0EEEEDaSY_SZ_EUlSY_E_NS1_11comp_targetILNS1_3genE4ELNS1_11target_archE910ELNS1_3gpuE8ELNS1_3repE0EEENS1_30default_config_static_selectorELNS0_4arch9wavefront6targetE0EEEvT1_.has_recursion, 0
	.set _ZN7rocprim17ROCPRIM_400000_NS6detail17trampoline_kernelINS0_14default_configENS1_27scan_by_key_config_selectorIj11FixedVectorIiLj1EEEEZZNS1_16scan_by_key_implILNS1_25lookback_scan_determinismE0ELb1ES3_N6thrust23THRUST_200600_302600_NS6detail15normal_iteratorINSB_10device_ptrIjEEEENSD_INSE_IS6_EEEESI_S6_NSB_4plusIvEENSB_8equal_toIvEES6_EE10hipError_tPvRmT2_T3_T4_T5_mT6_T7_P12ihipStream_tbENKUlT_T0_E_clISt17integral_constantIbLb1EES12_IbLb0EEEEDaSY_SZ_EUlSY_E_NS1_11comp_targetILNS1_3genE4ELNS1_11target_archE910ELNS1_3gpuE8ELNS1_3repE0EEENS1_30default_config_static_selectorELNS0_4arch9wavefront6targetE0EEEvT1_.has_indirect_call, 0
	.section	.AMDGPU.csdata,"",@progbits
; Kernel info:
; codeLenInByte = 0
; TotalNumSgprs: 0
; NumVgprs: 0
; ScratchSize: 0
; MemoryBound: 0
; FloatMode: 240
; IeeeMode: 1
; LDSByteSize: 0 bytes/workgroup (compile time only)
; SGPRBlocks: 0
; VGPRBlocks: 0
; NumSGPRsForWavesPerEU: 1
; NumVGPRsForWavesPerEU: 1
; NamedBarCnt: 0
; Occupancy: 16
; WaveLimiterHint : 0
; COMPUTE_PGM_RSRC2:SCRATCH_EN: 0
; COMPUTE_PGM_RSRC2:USER_SGPR: 2
; COMPUTE_PGM_RSRC2:TRAP_HANDLER: 0
; COMPUTE_PGM_RSRC2:TGID_X_EN: 1
; COMPUTE_PGM_RSRC2:TGID_Y_EN: 0
; COMPUTE_PGM_RSRC2:TGID_Z_EN: 0
; COMPUTE_PGM_RSRC2:TIDIG_COMP_CNT: 0
	.section	.text._ZN7rocprim17ROCPRIM_400000_NS6detail17trampoline_kernelINS0_14default_configENS1_27scan_by_key_config_selectorIj11FixedVectorIiLj1EEEEZZNS1_16scan_by_key_implILNS1_25lookback_scan_determinismE0ELb1ES3_N6thrust23THRUST_200600_302600_NS6detail15normal_iteratorINSB_10device_ptrIjEEEENSD_INSE_IS6_EEEESI_S6_NSB_4plusIvEENSB_8equal_toIvEES6_EE10hipError_tPvRmT2_T3_T4_T5_mT6_T7_P12ihipStream_tbENKUlT_T0_E_clISt17integral_constantIbLb1EES12_IbLb0EEEEDaSY_SZ_EUlSY_E_NS1_11comp_targetILNS1_3genE3ELNS1_11target_archE908ELNS1_3gpuE7ELNS1_3repE0EEENS1_30default_config_static_selectorELNS0_4arch9wavefront6targetE0EEEvT1_,"axG",@progbits,_ZN7rocprim17ROCPRIM_400000_NS6detail17trampoline_kernelINS0_14default_configENS1_27scan_by_key_config_selectorIj11FixedVectorIiLj1EEEEZZNS1_16scan_by_key_implILNS1_25lookback_scan_determinismE0ELb1ES3_N6thrust23THRUST_200600_302600_NS6detail15normal_iteratorINSB_10device_ptrIjEEEENSD_INSE_IS6_EEEESI_S6_NSB_4plusIvEENSB_8equal_toIvEES6_EE10hipError_tPvRmT2_T3_T4_T5_mT6_T7_P12ihipStream_tbENKUlT_T0_E_clISt17integral_constantIbLb1EES12_IbLb0EEEEDaSY_SZ_EUlSY_E_NS1_11comp_targetILNS1_3genE3ELNS1_11target_archE908ELNS1_3gpuE7ELNS1_3repE0EEENS1_30default_config_static_selectorELNS0_4arch9wavefront6targetE0EEEvT1_,comdat
	.protected	_ZN7rocprim17ROCPRIM_400000_NS6detail17trampoline_kernelINS0_14default_configENS1_27scan_by_key_config_selectorIj11FixedVectorIiLj1EEEEZZNS1_16scan_by_key_implILNS1_25lookback_scan_determinismE0ELb1ES3_N6thrust23THRUST_200600_302600_NS6detail15normal_iteratorINSB_10device_ptrIjEEEENSD_INSE_IS6_EEEESI_S6_NSB_4plusIvEENSB_8equal_toIvEES6_EE10hipError_tPvRmT2_T3_T4_T5_mT6_T7_P12ihipStream_tbENKUlT_T0_E_clISt17integral_constantIbLb1EES12_IbLb0EEEEDaSY_SZ_EUlSY_E_NS1_11comp_targetILNS1_3genE3ELNS1_11target_archE908ELNS1_3gpuE7ELNS1_3repE0EEENS1_30default_config_static_selectorELNS0_4arch9wavefront6targetE0EEEvT1_ ; -- Begin function _ZN7rocprim17ROCPRIM_400000_NS6detail17trampoline_kernelINS0_14default_configENS1_27scan_by_key_config_selectorIj11FixedVectorIiLj1EEEEZZNS1_16scan_by_key_implILNS1_25lookback_scan_determinismE0ELb1ES3_N6thrust23THRUST_200600_302600_NS6detail15normal_iteratorINSB_10device_ptrIjEEEENSD_INSE_IS6_EEEESI_S6_NSB_4plusIvEENSB_8equal_toIvEES6_EE10hipError_tPvRmT2_T3_T4_T5_mT6_T7_P12ihipStream_tbENKUlT_T0_E_clISt17integral_constantIbLb1EES12_IbLb0EEEEDaSY_SZ_EUlSY_E_NS1_11comp_targetILNS1_3genE3ELNS1_11target_archE908ELNS1_3gpuE7ELNS1_3repE0EEENS1_30default_config_static_selectorELNS0_4arch9wavefront6targetE0EEEvT1_
	.globl	_ZN7rocprim17ROCPRIM_400000_NS6detail17trampoline_kernelINS0_14default_configENS1_27scan_by_key_config_selectorIj11FixedVectorIiLj1EEEEZZNS1_16scan_by_key_implILNS1_25lookback_scan_determinismE0ELb1ES3_N6thrust23THRUST_200600_302600_NS6detail15normal_iteratorINSB_10device_ptrIjEEEENSD_INSE_IS6_EEEESI_S6_NSB_4plusIvEENSB_8equal_toIvEES6_EE10hipError_tPvRmT2_T3_T4_T5_mT6_T7_P12ihipStream_tbENKUlT_T0_E_clISt17integral_constantIbLb1EES12_IbLb0EEEEDaSY_SZ_EUlSY_E_NS1_11comp_targetILNS1_3genE3ELNS1_11target_archE908ELNS1_3gpuE7ELNS1_3repE0EEENS1_30default_config_static_selectorELNS0_4arch9wavefront6targetE0EEEvT1_
	.p2align	8
	.type	_ZN7rocprim17ROCPRIM_400000_NS6detail17trampoline_kernelINS0_14default_configENS1_27scan_by_key_config_selectorIj11FixedVectorIiLj1EEEEZZNS1_16scan_by_key_implILNS1_25lookback_scan_determinismE0ELb1ES3_N6thrust23THRUST_200600_302600_NS6detail15normal_iteratorINSB_10device_ptrIjEEEENSD_INSE_IS6_EEEESI_S6_NSB_4plusIvEENSB_8equal_toIvEES6_EE10hipError_tPvRmT2_T3_T4_T5_mT6_T7_P12ihipStream_tbENKUlT_T0_E_clISt17integral_constantIbLb1EES12_IbLb0EEEEDaSY_SZ_EUlSY_E_NS1_11comp_targetILNS1_3genE3ELNS1_11target_archE908ELNS1_3gpuE7ELNS1_3repE0EEENS1_30default_config_static_selectorELNS0_4arch9wavefront6targetE0EEEvT1_,@function
_ZN7rocprim17ROCPRIM_400000_NS6detail17trampoline_kernelINS0_14default_configENS1_27scan_by_key_config_selectorIj11FixedVectorIiLj1EEEEZZNS1_16scan_by_key_implILNS1_25lookback_scan_determinismE0ELb1ES3_N6thrust23THRUST_200600_302600_NS6detail15normal_iteratorINSB_10device_ptrIjEEEENSD_INSE_IS6_EEEESI_S6_NSB_4plusIvEENSB_8equal_toIvEES6_EE10hipError_tPvRmT2_T3_T4_T5_mT6_T7_P12ihipStream_tbENKUlT_T0_E_clISt17integral_constantIbLb1EES12_IbLb0EEEEDaSY_SZ_EUlSY_E_NS1_11comp_targetILNS1_3genE3ELNS1_11target_archE908ELNS1_3gpuE7ELNS1_3repE0EEENS1_30default_config_static_selectorELNS0_4arch9wavefront6targetE0EEEvT1_: ; @_ZN7rocprim17ROCPRIM_400000_NS6detail17trampoline_kernelINS0_14default_configENS1_27scan_by_key_config_selectorIj11FixedVectorIiLj1EEEEZZNS1_16scan_by_key_implILNS1_25lookback_scan_determinismE0ELb1ES3_N6thrust23THRUST_200600_302600_NS6detail15normal_iteratorINSB_10device_ptrIjEEEENSD_INSE_IS6_EEEESI_S6_NSB_4plusIvEENSB_8equal_toIvEES6_EE10hipError_tPvRmT2_T3_T4_T5_mT6_T7_P12ihipStream_tbENKUlT_T0_E_clISt17integral_constantIbLb1EES12_IbLb0EEEEDaSY_SZ_EUlSY_E_NS1_11comp_targetILNS1_3genE3ELNS1_11target_archE908ELNS1_3gpuE7ELNS1_3repE0EEENS1_30default_config_static_selectorELNS0_4arch9wavefront6targetE0EEEvT1_
; %bb.0:
	.section	.rodata,"a",@progbits
	.p2align	6, 0x0
	.amdhsa_kernel _ZN7rocprim17ROCPRIM_400000_NS6detail17trampoline_kernelINS0_14default_configENS1_27scan_by_key_config_selectorIj11FixedVectorIiLj1EEEEZZNS1_16scan_by_key_implILNS1_25lookback_scan_determinismE0ELb1ES3_N6thrust23THRUST_200600_302600_NS6detail15normal_iteratorINSB_10device_ptrIjEEEENSD_INSE_IS6_EEEESI_S6_NSB_4plusIvEENSB_8equal_toIvEES6_EE10hipError_tPvRmT2_T3_T4_T5_mT6_T7_P12ihipStream_tbENKUlT_T0_E_clISt17integral_constantIbLb1EES12_IbLb0EEEEDaSY_SZ_EUlSY_E_NS1_11comp_targetILNS1_3genE3ELNS1_11target_archE908ELNS1_3gpuE7ELNS1_3repE0EEENS1_30default_config_static_selectorELNS0_4arch9wavefront6targetE0EEEvT1_
		.amdhsa_group_segment_fixed_size 0
		.amdhsa_private_segment_fixed_size 0
		.amdhsa_kernarg_size 112
		.amdhsa_user_sgpr_count 2
		.amdhsa_user_sgpr_dispatch_ptr 0
		.amdhsa_user_sgpr_queue_ptr 0
		.amdhsa_user_sgpr_kernarg_segment_ptr 1
		.amdhsa_user_sgpr_dispatch_id 0
		.amdhsa_user_sgpr_kernarg_preload_length 0
		.amdhsa_user_sgpr_kernarg_preload_offset 0
		.amdhsa_user_sgpr_private_segment_size 0
		.amdhsa_wavefront_size32 1
		.amdhsa_uses_dynamic_stack 0
		.amdhsa_enable_private_segment 0
		.amdhsa_system_sgpr_workgroup_id_x 1
		.amdhsa_system_sgpr_workgroup_id_y 0
		.amdhsa_system_sgpr_workgroup_id_z 0
		.amdhsa_system_sgpr_workgroup_info 0
		.amdhsa_system_vgpr_workitem_id 0
		.amdhsa_next_free_vgpr 1
		.amdhsa_next_free_sgpr 1
		.amdhsa_named_barrier_count 0
		.amdhsa_reserve_vcc 0
		.amdhsa_float_round_mode_32 0
		.amdhsa_float_round_mode_16_64 0
		.amdhsa_float_denorm_mode_32 3
		.amdhsa_float_denorm_mode_16_64 3
		.amdhsa_fp16_overflow 0
		.amdhsa_memory_ordered 1
		.amdhsa_forward_progress 1
		.amdhsa_inst_pref_size 0
		.amdhsa_round_robin_scheduling 0
		.amdhsa_exception_fp_ieee_invalid_op 0
		.amdhsa_exception_fp_denorm_src 0
		.amdhsa_exception_fp_ieee_div_zero 0
		.amdhsa_exception_fp_ieee_overflow 0
		.amdhsa_exception_fp_ieee_underflow 0
		.amdhsa_exception_fp_ieee_inexact 0
		.amdhsa_exception_int_div_zero 0
	.end_amdhsa_kernel
	.section	.text._ZN7rocprim17ROCPRIM_400000_NS6detail17trampoline_kernelINS0_14default_configENS1_27scan_by_key_config_selectorIj11FixedVectorIiLj1EEEEZZNS1_16scan_by_key_implILNS1_25lookback_scan_determinismE0ELb1ES3_N6thrust23THRUST_200600_302600_NS6detail15normal_iteratorINSB_10device_ptrIjEEEENSD_INSE_IS6_EEEESI_S6_NSB_4plusIvEENSB_8equal_toIvEES6_EE10hipError_tPvRmT2_T3_T4_T5_mT6_T7_P12ihipStream_tbENKUlT_T0_E_clISt17integral_constantIbLb1EES12_IbLb0EEEEDaSY_SZ_EUlSY_E_NS1_11comp_targetILNS1_3genE3ELNS1_11target_archE908ELNS1_3gpuE7ELNS1_3repE0EEENS1_30default_config_static_selectorELNS0_4arch9wavefront6targetE0EEEvT1_,"axG",@progbits,_ZN7rocprim17ROCPRIM_400000_NS6detail17trampoline_kernelINS0_14default_configENS1_27scan_by_key_config_selectorIj11FixedVectorIiLj1EEEEZZNS1_16scan_by_key_implILNS1_25lookback_scan_determinismE0ELb1ES3_N6thrust23THRUST_200600_302600_NS6detail15normal_iteratorINSB_10device_ptrIjEEEENSD_INSE_IS6_EEEESI_S6_NSB_4plusIvEENSB_8equal_toIvEES6_EE10hipError_tPvRmT2_T3_T4_T5_mT6_T7_P12ihipStream_tbENKUlT_T0_E_clISt17integral_constantIbLb1EES12_IbLb0EEEEDaSY_SZ_EUlSY_E_NS1_11comp_targetILNS1_3genE3ELNS1_11target_archE908ELNS1_3gpuE7ELNS1_3repE0EEENS1_30default_config_static_selectorELNS0_4arch9wavefront6targetE0EEEvT1_,comdat
.Lfunc_end1933:
	.size	_ZN7rocprim17ROCPRIM_400000_NS6detail17trampoline_kernelINS0_14default_configENS1_27scan_by_key_config_selectorIj11FixedVectorIiLj1EEEEZZNS1_16scan_by_key_implILNS1_25lookback_scan_determinismE0ELb1ES3_N6thrust23THRUST_200600_302600_NS6detail15normal_iteratorINSB_10device_ptrIjEEEENSD_INSE_IS6_EEEESI_S6_NSB_4plusIvEENSB_8equal_toIvEES6_EE10hipError_tPvRmT2_T3_T4_T5_mT6_T7_P12ihipStream_tbENKUlT_T0_E_clISt17integral_constantIbLb1EES12_IbLb0EEEEDaSY_SZ_EUlSY_E_NS1_11comp_targetILNS1_3genE3ELNS1_11target_archE908ELNS1_3gpuE7ELNS1_3repE0EEENS1_30default_config_static_selectorELNS0_4arch9wavefront6targetE0EEEvT1_, .Lfunc_end1933-_ZN7rocprim17ROCPRIM_400000_NS6detail17trampoline_kernelINS0_14default_configENS1_27scan_by_key_config_selectorIj11FixedVectorIiLj1EEEEZZNS1_16scan_by_key_implILNS1_25lookback_scan_determinismE0ELb1ES3_N6thrust23THRUST_200600_302600_NS6detail15normal_iteratorINSB_10device_ptrIjEEEENSD_INSE_IS6_EEEESI_S6_NSB_4plusIvEENSB_8equal_toIvEES6_EE10hipError_tPvRmT2_T3_T4_T5_mT6_T7_P12ihipStream_tbENKUlT_T0_E_clISt17integral_constantIbLb1EES12_IbLb0EEEEDaSY_SZ_EUlSY_E_NS1_11comp_targetILNS1_3genE3ELNS1_11target_archE908ELNS1_3gpuE7ELNS1_3repE0EEENS1_30default_config_static_selectorELNS0_4arch9wavefront6targetE0EEEvT1_
                                        ; -- End function
	.set _ZN7rocprim17ROCPRIM_400000_NS6detail17trampoline_kernelINS0_14default_configENS1_27scan_by_key_config_selectorIj11FixedVectorIiLj1EEEEZZNS1_16scan_by_key_implILNS1_25lookback_scan_determinismE0ELb1ES3_N6thrust23THRUST_200600_302600_NS6detail15normal_iteratorINSB_10device_ptrIjEEEENSD_INSE_IS6_EEEESI_S6_NSB_4plusIvEENSB_8equal_toIvEES6_EE10hipError_tPvRmT2_T3_T4_T5_mT6_T7_P12ihipStream_tbENKUlT_T0_E_clISt17integral_constantIbLb1EES12_IbLb0EEEEDaSY_SZ_EUlSY_E_NS1_11comp_targetILNS1_3genE3ELNS1_11target_archE908ELNS1_3gpuE7ELNS1_3repE0EEENS1_30default_config_static_selectorELNS0_4arch9wavefront6targetE0EEEvT1_.num_vgpr, 0
	.set _ZN7rocprim17ROCPRIM_400000_NS6detail17trampoline_kernelINS0_14default_configENS1_27scan_by_key_config_selectorIj11FixedVectorIiLj1EEEEZZNS1_16scan_by_key_implILNS1_25lookback_scan_determinismE0ELb1ES3_N6thrust23THRUST_200600_302600_NS6detail15normal_iteratorINSB_10device_ptrIjEEEENSD_INSE_IS6_EEEESI_S6_NSB_4plusIvEENSB_8equal_toIvEES6_EE10hipError_tPvRmT2_T3_T4_T5_mT6_T7_P12ihipStream_tbENKUlT_T0_E_clISt17integral_constantIbLb1EES12_IbLb0EEEEDaSY_SZ_EUlSY_E_NS1_11comp_targetILNS1_3genE3ELNS1_11target_archE908ELNS1_3gpuE7ELNS1_3repE0EEENS1_30default_config_static_selectorELNS0_4arch9wavefront6targetE0EEEvT1_.num_agpr, 0
	.set _ZN7rocprim17ROCPRIM_400000_NS6detail17trampoline_kernelINS0_14default_configENS1_27scan_by_key_config_selectorIj11FixedVectorIiLj1EEEEZZNS1_16scan_by_key_implILNS1_25lookback_scan_determinismE0ELb1ES3_N6thrust23THRUST_200600_302600_NS6detail15normal_iteratorINSB_10device_ptrIjEEEENSD_INSE_IS6_EEEESI_S6_NSB_4plusIvEENSB_8equal_toIvEES6_EE10hipError_tPvRmT2_T3_T4_T5_mT6_T7_P12ihipStream_tbENKUlT_T0_E_clISt17integral_constantIbLb1EES12_IbLb0EEEEDaSY_SZ_EUlSY_E_NS1_11comp_targetILNS1_3genE3ELNS1_11target_archE908ELNS1_3gpuE7ELNS1_3repE0EEENS1_30default_config_static_selectorELNS0_4arch9wavefront6targetE0EEEvT1_.numbered_sgpr, 0
	.set _ZN7rocprim17ROCPRIM_400000_NS6detail17trampoline_kernelINS0_14default_configENS1_27scan_by_key_config_selectorIj11FixedVectorIiLj1EEEEZZNS1_16scan_by_key_implILNS1_25lookback_scan_determinismE0ELb1ES3_N6thrust23THRUST_200600_302600_NS6detail15normal_iteratorINSB_10device_ptrIjEEEENSD_INSE_IS6_EEEESI_S6_NSB_4plusIvEENSB_8equal_toIvEES6_EE10hipError_tPvRmT2_T3_T4_T5_mT6_T7_P12ihipStream_tbENKUlT_T0_E_clISt17integral_constantIbLb1EES12_IbLb0EEEEDaSY_SZ_EUlSY_E_NS1_11comp_targetILNS1_3genE3ELNS1_11target_archE908ELNS1_3gpuE7ELNS1_3repE0EEENS1_30default_config_static_selectorELNS0_4arch9wavefront6targetE0EEEvT1_.num_named_barrier, 0
	.set _ZN7rocprim17ROCPRIM_400000_NS6detail17trampoline_kernelINS0_14default_configENS1_27scan_by_key_config_selectorIj11FixedVectorIiLj1EEEEZZNS1_16scan_by_key_implILNS1_25lookback_scan_determinismE0ELb1ES3_N6thrust23THRUST_200600_302600_NS6detail15normal_iteratorINSB_10device_ptrIjEEEENSD_INSE_IS6_EEEESI_S6_NSB_4plusIvEENSB_8equal_toIvEES6_EE10hipError_tPvRmT2_T3_T4_T5_mT6_T7_P12ihipStream_tbENKUlT_T0_E_clISt17integral_constantIbLb1EES12_IbLb0EEEEDaSY_SZ_EUlSY_E_NS1_11comp_targetILNS1_3genE3ELNS1_11target_archE908ELNS1_3gpuE7ELNS1_3repE0EEENS1_30default_config_static_selectorELNS0_4arch9wavefront6targetE0EEEvT1_.private_seg_size, 0
	.set _ZN7rocprim17ROCPRIM_400000_NS6detail17trampoline_kernelINS0_14default_configENS1_27scan_by_key_config_selectorIj11FixedVectorIiLj1EEEEZZNS1_16scan_by_key_implILNS1_25lookback_scan_determinismE0ELb1ES3_N6thrust23THRUST_200600_302600_NS6detail15normal_iteratorINSB_10device_ptrIjEEEENSD_INSE_IS6_EEEESI_S6_NSB_4plusIvEENSB_8equal_toIvEES6_EE10hipError_tPvRmT2_T3_T4_T5_mT6_T7_P12ihipStream_tbENKUlT_T0_E_clISt17integral_constantIbLb1EES12_IbLb0EEEEDaSY_SZ_EUlSY_E_NS1_11comp_targetILNS1_3genE3ELNS1_11target_archE908ELNS1_3gpuE7ELNS1_3repE0EEENS1_30default_config_static_selectorELNS0_4arch9wavefront6targetE0EEEvT1_.uses_vcc, 0
	.set _ZN7rocprim17ROCPRIM_400000_NS6detail17trampoline_kernelINS0_14default_configENS1_27scan_by_key_config_selectorIj11FixedVectorIiLj1EEEEZZNS1_16scan_by_key_implILNS1_25lookback_scan_determinismE0ELb1ES3_N6thrust23THRUST_200600_302600_NS6detail15normal_iteratorINSB_10device_ptrIjEEEENSD_INSE_IS6_EEEESI_S6_NSB_4plusIvEENSB_8equal_toIvEES6_EE10hipError_tPvRmT2_T3_T4_T5_mT6_T7_P12ihipStream_tbENKUlT_T0_E_clISt17integral_constantIbLb1EES12_IbLb0EEEEDaSY_SZ_EUlSY_E_NS1_11comp_targetILNS1_3genE3ELNS1_11target_archE908ELNS1_3gpuE7ELNS1_3repE0EEENS1_30default_config_static_selectorELNS0_4arch9wavefront6targetE0EEEvT1_.uses_flat_scratch, 0
	.set _ZN7rocprim17ROCPRIM_400000_NS6detail17trampoline_kernelINS0_14default_configENS1_27scan_by_key_config_selectorIj11FixedVectorIiLj1EEEEZZNS1_16scan_by_key_implILNS1_25lookback_scan_determinismE0ELb1ES3_N6thrust23THRUST_200600_302600_NS6detail15normal_iteratorINSB_10device_ptrIjEEEENSD_INSE_IS6_EEEESI_S6_NSB_4plusIvEENSB_8equal_toIvEES6_EE10hipError_tPvRmT2_T3_T4_T5_mT6_T7_P12ihipStream_tbENKUlT_T0_E_clISt17integral_constantIbLb1EES12_IbLb0EEEEDaSY_SZ_EUlSY_E_NS1_11comp_targetILNS1_3genE3ELNS1_11target_archE908ELNS1_3gpuE7ELNS1_3repE0EEENS1_30default_config_static_selectorELNS0_4arch9wavefront6targetE0EEEvT1_.has_dyn_sized_stack, 0
	.set _ZN7rocprim17ROCPRIM_400000_NS6detail17trampoline_kernelINS0_14default_configENS1_27scan_by_key_config_selectorIj11FixedVectorIiLj1EEEEZZNS1_16scan_by_key_implILNS1_25lookback_scan_determinismE0ELb1ES3_N6thrust23THRUST_200600_302600_NS6detail15normal_iteratorINSB_10device_ptrIjEEEENSD_INSE_IS6_EEEESI_S6_NSB_4plusIvEENSB_8equal_toIvEES6_EE10hipError_tPvRmT2_T3_T4_T5_mT6_T7_P12ihipStream_tbENKUlT_T0_E_clISt17integral_constantIbLb1EES12_IbLb0EEEEDaSY_SZ_EUlSY_E_NS1_11comp_targetILNS1_3genE3ELNS1_11target_archE908ELNS1_3gpuE7ELNS1_3repE0EEENS1_30default_config_static_selectorELNS0_4arch9wavefront6targetE0EEEvT1_.has_recursion, 0
	.set _ZN7rocprim17ROCPRIM_400000_NS6detail17trampoline_kernelINS0_14default_configENS1_27scan_by_key_config_selectorIj11FixedVectorIiLj1EEEEZZNS1_16scan_by_key_implILNS1_25lookback_scan_determinismE0ELb1ES3_N6thrust23THRUST_200600_302600_NS6detail15normal_iteratorINSB_10device_ptrIjEEEENSD_INSE_IS6_EEEESI_S6_NSB_4plusIvEENSB_8equal_toIvEES6_EE10hipError_tPvRmT2_T3_T4_T5_mT6_T7_P12ihipStream_tbENKUlT_T0_E_clISt17integral_constantIbLb1EES12_IbLb0EEEEDaSY_SZ_EUlSY_E_NS1_11comp_targetILNS1_3genE3ELNS1_11target_archE908ELNS1_3gpuE7ELNS1_3repE0EEENS1_30default_config_static_selectorELNS0_4arch9wavefront6targetE0EEEvT1_.has_indirect_call, 0
	.section	.AMDGPU.csdata,"",@progbits
; Kernel info:
; codeLenInByte = 0
; TotalNumSgprs: 0
; NumVgprs: 0
; ScratchSize: 0
; MemoryBound: 0
; FloatMode: 240
; IeeeMode: 1
; LDSByteSize: 0 bytes/workgroup (compile time only)
; SGPRBlocks: 0
; VGPRBlocks: 0
; NumSGPRsForWavesPerEU: 1
; NumVGPRsForWavesPerEU: 1
; NamedBarCnt: 0
; Occupancy: 16
; WaveLimiterHint : 0
; COMPUTE_PGM_RSRC2:SCRATCH_EN: 0
; COMPUTE_PGM_RSRC2:USER_SGPR: 2
; COMPUTE_PGM_RSRC2:TRAP_HANDLER: 0
; COMPUTE_PGM_RSRC2:TGID_X_EN: 1
; COMPUTE_PGM_RSRC2:TGID_Y_EN: 0
; COMPUTE_PGM_RSRC2:TGID_Z_EN: 0
; COMPUTE_PGM_RSRC2:TIDIG_COMP_CNT: 0
	.section	.text._ZN7rocprim17ROCPRIM_400000_NS6detail17trampoline_kernelINS0_14default_configENS1_27scan_by_key_config_selectorIj11FixedVectorIiLj1EEEEZZNS1_16scan_by_key_implILNS1_25lookback_scan_determinismE0ELb1ES3_N6thrust23THRUST_200600_302600_NS6detail15normal_iteratorINSB_10device_ptrIjEEEENSD_INSE_IS6_EEEESI_S6_NSB_4plusIvEENSB_8equal_toIvEES6_EE10hipError_tPvRmT2_T3_T4_T5_mT6_T7_P12ihipStream_tbENKUlT_T0_E_clISt17integral_constantIbLb1EES12_IbLb0EEEEDaSY_SZ_EUlSY_E_NS1_11comp_targetILNS1_3genE2ELNS1_11target_archE906ELNS1_3gpuE6ELNS1_3repE0EEENS1_30default_config_static_selectorELNS0_4arch9wavefront6targetE0EEEvT1_,"axG",@progbits,_ZN7rocprim17ROCPRIM_400000_NS6detail17trampoline_kernelINS0_14default_configENS1_27scan_by_key_config_selectorIj11FixedVectorIiLj1EEEEZZNS1_16scan_by_key_implILNS1_25lookback_scan_determinismE0ELb1ES3_N6thrust23THRUST_200600_302600_NS6detail15normal_iteratorINSB_10device_ptrIjEEEENSD_INSE_IS6_EEEESI_S6_NSB_4plusIvEENSB_8equal_toIvEES6_EE10hipError_tPvRmT2_T3_T4_T5_mT6_T7_P12ihipStream_tbENKUlT_T0_E_clISt17integral_constantIbLb1EES12_IbLb0EEEEDaSY_SZ_EUlSY_E_NS1_11comp_targetILNS1_3genE2ELNS1_11target_archE906ELNS1_3gpuE6ELNS1_3repE0EEENS1_30default_config_static_selectorELNS0_4arch9wavefront6targetE0EEEvT1_,comdat
	.protected	_ZN7rocprim17ROCPRIM_400000_NS6detail17trampoline_kernelINS0_14default_configENS1_27scan_by_key_config_selectorIj11FixedVectorIiLj1EEEEZZNS1_16scan_by_key_implILNS1_25lookback_scan_determinismE0ELb1ES3_N6thrust23THRUST_200600_302600_NS6detail15normal_iteratorINSB_10device_ptrIjEEEENSD_INSE_IS6_EEEESI_S6_NSB_4plusIvEENSB_8equal_toIvEES6_EE10hipError_tPvRmT2_T3_T4_T5_mT6_T7_P12ihipStream_tbENKUlT_T0_E_clISt17integral_constantIbLb1EES12_IbLb0EEEEDaSY_SZ_EUlSY_E_NS1_11comp_targetILNS1_3genE2ELNS1_11target_archE906ELNS1_3gpuE6ELNS1_3repE0EEENS1_30default_config_static_selectorELNS0_4arch9wavefront6targetE0EEEvT1_ ; -- Begin function _ZN7rocprim17ROCPRIM_400000_NS6detail17trampoline_kernelINS0_14default_configENS1_27scan_by_key_config_selectorIj11FixedVectorIiLj1EEEEZZNS1_16scan_by_key_implILNS1_25lookback_scan_determinismE0ELb1ES3_N6thrust23THRUST_200600_302600_NS6detail15normal_iteratorINSB_10device_ptrIjEEEENSD_INSE_IS6_EEEESI_S6_NSB_4plusIvEENSB_8equal_toIvEES6_EE10hipError_tPvRmT2_T3_T4_T5_mT6_T7_P12ihipStream_tbENKUlT_T0_E_clISt17integral_constantIbLb1EES12_IbLb0EEEEDaSY_SZ_EUlSY_E_NS1_11comp_targetILNS1_3genE2ELNS1_11target_archE906ELNS1_3gpuE6ELNS1_3repE0EEENS1_30default_config_static_selectorELNS0_4arch9wavefront6targetE0EEEvT1_
	.globl	_ZN7rocprim17ROCPRIM_400000_NS6detail17trampoline_kernelINS0_14default_configENS1_27scan_by_key_config_selectorIj11FixedVectorIiLj1EEEEZZNS1_16scan_by_key_implILNS1_25lookback_scan_determinismE0ELb1ES3_N6thrust23THRUST_200600_302600_NS6detail15normal_iteratorINSB_10device_ptrIjEEEENSD_INSE_IS6_EEEESI_S6_NSB_4plusIvEENSB_8equal_toIvEES6_EE10hipError_tPvRmT2_T3_T4_T5_mT6_T7_P12ihipStream_tbENKUlT_T0_E_clISt17integral_constantIbLb1EES12_IbLb0EEEEDaSY_SZ_EUlSY_E_NS1_11comp_targetILNS1_3genE2ELNS1_11target_archE906ELNS1_3gpuE6ELNS1_3repE0EEENS1_30default_config_static_selectorELNS0_4arch9wavefront6targetE0EEEvT1_
	.p2align	8
	.type	_ZN7rocprim17ROCPRIM_400000_NS6detail17trampoline_kernelINS0_14default_configENS1_27scan_by_key_config_selectorIj11FixedVectorIiLj1EEEEZZNS1_16scan_by_key_implILNS1_25lookback_scan_determinismE0ELb1ES3_N6thrust23THRUST_200600_302600_NS6detail15normal_iteratorINSB_10device_ptrIjEEEENSD_INSE_IS6_EEEESI_S6_NSB_4plusIvEENSB_8equal_toIvEES6_EE10hipError_tPvRmT2_T3_T4_T5_mT6_T7_P12ihipStream_tbENKUlT_T0_E_clISt17integral_constantIbLb1EES12_IbLb0EEEEDaSY_SZ_EUlSY_E_NS1_11comp_targetILNS1_3genE2ELNS1_11target_archE906ELNS1_3gpuE6ELNS1_3repE0EEENS1_30default_config_static_selectorELNS0_4arch9wavefront6targetE0EEEvT1_,@function
_ZN7rocprim17ROCPRIM_400000_NS6detail17trampoline_kernelINS0_14default_configENS1_27scan_by_key_config_selectorIj11FixedVectorIiLj1EEEEZZNS1_16scan_by_key_implILNS1_25lookback_scan_determinismE0ELb1ES3_N6thrust23THRUST_200600_302600_NS6detail15normal_iteratorINSB_10device_ptrIjEEEENSD_INSE_IS6_EEEESI_S6_NSB_4plusIvEENSB_8equal_toIvEES6_EE10hipError_tPvRmT2_T3_T4_T5_mT6_T7_P12ihipStream_tbENKUlT_T0_E_clISt17integral_constantIbLb1EES12_IbLb0EEEEDaSY_SZ_EUlSY_E_NS1_11comp_targetILNS1_3genE2ELNS1_11target_archE906ELNS1_3gpuE6ELNS1_3repE0EEENS1_30default_config_static_selectorELNS0_4arch9wavefront6targetE0EEEvT1_: ; @_ZN7rocprim17ROCPRIM_400000_NS6detail17trampoline_kernelINS0_14default_configENS1_27scan_by_key_config_selectorIj11FixedVectorIiLj1EEEEZZNS1_16scan_by_key_implILNS1_25lookback_scan_determinismE0ELb1ES3_N6thrust23THRUST_200600_302600_NS6detail15normal_iteratorINSB_10device_ptrIjEEEENSD_INSE_IS6_EEEESI_S6_NSB_4plusIvEENSB_8equal_toIvEES6_EE10hipError_tPvRmT2_T3_T4_T5_mT6_T7_P12ihipStream_tbENKUlT_T0_E_clISt17integral_constantIbLb1EES12_IbLb0EEEEDaSY_SZ_EUlSY_E_NS1_11comp_targetILNS1_3genE2ELNS1_11target_archE906ELNS1_3gpuE6ELNS1_3repE0EEENS1_30default_config_static_selectorELNS0_4arch9wavefront6targetE0EEEvT1_
; %bb.0:
	.section	.rodata,"a",@progbits
	.p2align	6, 0x0
	.amdhsa_kernel _ZN7rocprim17ROCPRIM_400000_NS6detail17trampoline_kernelINS0_14default_configENS1_27scan_by_key_config_selectorIj11FixedVectorIiLj1EEEEZZNS1_16scan_by_key_implILNS1_25lookback_scan_determinismE0ELb1ES3_N6thrust23THRUST_200600_302600_NS6detail15normal_iteratorINSB_10device_ptrIjEEEENSD_INSE_IS6_EEEESI_S6_NSB_4plusIvEENSB_8equal_toIvEES6_EE10hipError_tPvRmT2_T3_T4_T5_mT6_T7_P12ihipStream_tbENKUlT_T0_E_clISt17integral_constantIbLb1EES12_IbLb0EEEEDaSY_SZ_EUlSY_E_NS1_11comp_targetILNS1_3genE2ELNS1_11target_archE906ELNS1_3gpuE6ELNS1_3repE0EEENS1_30default_config_static_selectorELNS0_4arch9wavefront6targetE0EEEvT1_
		.amdhsa_group_segment_fixed_size 0
		.amdhsa_private_segment_fixed_size 0
		.amdhsa_kernarg_size 112
		.amdhsa_user_sgpr_count 2
		.amdhsa_user_sgpr_dispatch_ptr 0
		.amdhsa_user_sgpr_queue_ptr 0
		.amdhsa_user_sgpr_kernarg_segment_ptr 1
		.amdhsa_user_sgpr_dispatch_id 0
		.amdhsa_user_sgpr_kernarg_preload_length 0
		.amdhsa_user_sgpr_kernarg_preload_offset 0
		.amdhsa_user_sgpr_private_segment_size 0
		.amdhsa_wavefront_size32 1
		.amdhsa_uses_dynamic_stack 0
		.amdhsa_enable_private_segment 0
		.amdhsa_system_sgpr_workgroup_id_x 1
		.amdhsa_system_sgpr_workgroup_id_y 0
		.amdhsa_system_sgpr_workgroup_id_z 0
		.amdhsa_system_sgpr_workgroup_info 0
		.amdhsa_system_vgpr_workitem_id 0
		.amdhsa_next_free_vgpr 1
		.amdhsa_next_free_sgpr 1
		.amdhsa_named_barrier_count 0
		.amdhsa_reserve_vcc 0
		.amdhsa_float_round_mode_32 0
		.amdhsa_float_round_mode_16_64 0
		.amdhsa_float_denorm_mode_32 3
		.amdhsa_float_denorm_mode_16_64 3
		.amdhsa_fp16_overflow 0
		.amdhsa_memory_ordered 1
		.amdhsa_forward_progress 1
		.amdhsa_inst_pref_size 0
		.amdhsa_round_robin_scheduling 0
		.amdhsa_exception_fp_ieee_invalid_op 0
		.amdhsa_exception_fp_denorm_src 0
		.amdhsa_exception_fp_ieee_div_zero 0
		.amdhsa_exception_fp_ieee_overflow 0
		.amdhsa_exception_fp_ieee_underflow 0
		.amdhsa_exception_fp_ieee_inexact 0
		.amdhsa_exception_int_div_zero 0
	.end_amdhsa_kernel
	.section	.text._ZN7rocprim17ROCPRIM_400000_NS6detail17trampoline_kernelINS0_14default_configENS1_27scan_by_key_config_selectorIj11FixedVectorIiLj1EEEEZZNS1_16scan_by_key_implILNS1_25lookback_scan_determinismE0ELb1ES3_N6thrust23THRUST_200600_302600_NS6detail15normal_iteratorINSB_10device_ptrIjEEEENSD_INSE_IS6_EEEESI_S6_NSB_4plusIvEENSB_8equal_toIvEES6_EE10hipError_tPvRmT2_T3_T4_T5_mT6_T7_P12ihipStream_tbENKUlT_T0_E_clISt17integral_constantIbLb1EES12_IbLb0EEEEDaSY_SZ_EUlSY_E_NS1_11comp_targetILNS1_3genE2ELNS1_11target_archE906ELNS1_3gpuE6ELNS1_3repE0EEENS1_30default_config_static_selectorELNS0_4arch9wavefront6targetE0EEEvT1_,"axG",@progbits,_ZN7rocprim17ROCPRIM_400000_NS6detail17trampoline_kernelINS0_14default_configENS1_27scan_by_key_config_selectorIj11FixedVectorIiLj1EEEEZZNS1_16scan_by_key_implILNS1_25lookback_scan_determinismE0ELb1ES3_N6thrust23THRUST_200600_302600_NS6detail15normal_iteratorINSB_10device_ptrIjEEEENSD_INSE_IS6_EEEESI_S6_NSB_4plusIvEENSB_8equal_toIvEES6_EE10hipError_tPvRmT2_T3_T4_T5_mT6_T7_P12ihipStream_tbENKUlT_T0_E_clISt17integral_constantIbLb1EES12_IbLb0EEEEDaSY_SZ_EUlSY_E_NS1_11comp_targetILNS1_3genE2ELNS1_11target_archE906ELNS1_3gpuE6ELNS1_3repE0EEENS1_30default_config_static_selectorELNS0_4arch9wavefront6targetE0EEEvT1_,comdat
.Lfunc_end1934:
	.size	_ZN7rocprim17ROCPRIM_400000_NS6detail17trampoline_kernelINS0_14default_configENS1_27scan_by_key_config_selectorIj11FixedVectorIiLj1EEEEZZNS1_16scan_by_key_implILNS1_25lookback_scan_determinismE0ELb1ES3_N6thrust23THRUST_200600_302600_NS6detail15normal_iteratorINSB_10device_ptrIjEEEENSD_INSE_IS6_EEEESI_S6_NSB_4plusIvEENSB_8equal_toIvEES6_EE10hipError_tPvRmT2_T3_T4_T5_mT6_T7_P12ihipStream_tbENKUlT_T0_E_clISt17integral_constantIbLb1EES12_IbLb0EEEEDaSY_SZ_EUlSY_E_NS1_11comp_targetILNS1_3genE2ELNS1_11target_archE906ELNS1_3gpuE6ELNS1_3repE0EEENS1_30default_config_static_selectorELNS0_4arch9wavefront6targetE0EEEvT1_, .Lfunc_end1934-_ZN7rocprim17ROCPRIM_400000_NS6detail17trampoline_kernelINS0_14default_configENS1_27scan_by_key_config_selectorIj11FixedVectorIiLj1EEEEZZNS1_16scan_by_key_implILNS1_25lookback_scan_determinismE0ELb1ES3_N6thrust23THRUST_200600_302600_NS6detail15normal_iteratorINSB_10device_ptrIjEEEENSD_INSE_IS6_EEEESI_S6_NSB_4plusIvEENSB_8equal_toIvEES6_EE10hipError_tPvRmT2_T3_T4_T5_mT6_T7_P12ihipStream_tbENKUlT_T0_E_clISt17integral_constantIbLb1EES12_IbLb0EEEEDaSY_SZ_EUlSY_E_NS1_11comp_targetILNS1_3genE2ELNS1_11target_archE906ELNS1_3gpuE6ELNS1_3repE0EEENS1_30default_config_static_selectorELNS0_4arch9wavefront6targetE0EEEvT1_
                                        ; -- End function
	.set _ZN7rocprim17ROCPRIM_400000_NS6detail17trampoline_kernelINS0_14default_configENS1_27scan_by_key_config_selectorIj11FixedVectorIiLj1EEEEZZNS1_16scan_by_key_implILNS1_25lookback_scan_determinismE0ELb1ES3_N6thrust23THRUST_200600_302600_NS6detail15normal_iteratorINSB_10device_ptrIjEEEENSD_INSE_IS6_EEEESI_S6_NSB_4plusIvEENSB_8equal_toIvEES6_EE10hipError_tPvRmT2_T3_T4_T5_mT6_T7_P12ihipStream_tbENKUlT_T0_E_clISt17integral_constantIbLb1EES12_IbLb0EEEEDaSY_SZ_EUlSY_E_NS1_11comp_targetILNS1_3genE2ELNS1_11target_archE906ELNS1_3gpuE6ELNS1_3repE0EEENS1_30default_config_static_selectorELNS0_4arch9wavefront6targetE0EEEvT1_.num_vgpr, 0
	.set _ZN7rocprim17ROCPRIM_400000_NS6detail17trampoline_kernelINS0_14default_configENS1_27scan_by_key_config_selectorIj11FixedVectorIiLj1EEEEZZNS1_16scan_by_key_implILNS1_25lookback_scan_determinismE0ELb1ES3_N6thrust23THRUST_200600_302600_NS6detail15normal_iteratorINSB_10device_ptrIjEEEENSD_INSE_IS6_EEEESI_S6_NSB_4plusIvEENSB_8equal_toIvEES6_EE10hipError_tPvRmT2_T3_T4_T5_mT6_T7_P12ihipStream_tbENKUlT_T0_E_clISt17integral_constantIbLb1EES12_IbLb0EEEEDaSY_SZ_EUlSY_E_NS1_11comp_targetILNS1_3genE2ELNS1_11target_archE906ELNS1_3gpuE6ELNS1_3repE0EEENS1_30default_config_static_selectorELNS0_4arch9wavefront6targetE0EEEvT1_.num_agpr, 0
	.set _ZN7rocprim17ROCPRIM_400000_NS6detail17trampoline_kernelINS0_14default_configENS1_27scan_by_key_config_selectorIj11FixedVectorIiLj1EEEEZZNS1_16scan_by_key_implILNS1_25lookback_scan_determinismE0ELb1ES3_N6thrust23THRUST_200600_302600_NS6detail15normal_iteratorINSB_10device_ptrIjEEEENSD_INSE_IS6_EEEESI_S6_NSB_4plusIvEENSB_8equal_toIvEES6_EE10hipError_tPvRmT2_T3_T4_T5_mT6_T7_P12ihipStream_tbENKUlT_T0_E_clISt17integral_constantIbLb1EES12_IbLb0EEEEDaSY_SZ_EUlSY_E_NS1_11comp_targetILNS1_3genE2ELNS1_11target_archE906ELNS1_3gpuE6ELNS1_3repE0EEENS1_30default_config_static_selectorELNS0_4arch9wavefront6targetE0EEEvT1_.numbered_sgpr, 0
	.set _ZN7rocprim17ROCPRIM_400000_NS6detail17trampoline_kernelINS0_14default_configENS1_27scan_by_key_config_selectorIj11FixedVectorIiLj1EEEEZZNS1_16scan_by_key_implILNS1_25lookback_scan_determinismE0ELb1ES3_N6thrust23THRUST_200600_302600_NS6detail15normal_iteratorINSB_10device_ptrIjEEEENSD_INSE_IS6_EEEESI_S6_NSB_4plusIvEENSB_8equal_toIvEES6_EE10hipError_tPvRmT2_T3_T4_T5_mT6_T7_P12ihipStream_tbENKUlT_T0_E_clISt17integral_constantIbLb1EES12_IbLb0EEEEDaSY_SZ_EUlSY_E_NS1_11comp_targetILNS1_3genE2ELNS1_11target_archE906ELNS1_3gpuE6ELNS1_3repE0EEENS1_30default_config_static_selectorELNS0_4arch9wavefront6targetE0EEEvT1_.num_named_barrier, 0
	.set _ZN7rocprim17ROCPRIM_400000_NS6detail17trampoline_kernelINS0_14default_configENS1_27scan_by_key_config_selectorIj11FixedVectorIiLj1EEEEZZNS1_16scan_by_key_implILNS1_25lookback_scan_determinismE0ELb1ES3_N6thrust23THRUST_200600_302600_NS6detail15normal_iteratorINSB_10device_ptrIjEEEENSD_INSE_IS6_EEEESI_S6_NSB_4plusIvEENSB_8equal_toIvEES6_EE10hipError_tPvRmT2_T3_T4_T5_mT6_T7_P12ihipStream_tbENKUlT_T0_E_clISt17integral_constantIbLb1EES12_IbLb0EEEEDaSY_SZ_EUlSY_E_NS1_11comp_targetILNS1_3genE2ELNS1_11target_archE906ELNS1_3gpuE6ELNS1_3repE0EEENS1_30default_config_static_selectorELNS0_4arch9wavefront6targetE0EEEvT1_.private_seg_size, 0
	.set _ZN7rocprim17ROCPRIM_400000_NS6detail17trampoline_kernelINS0_14default_configENS1_27scan_by_key_config_selectorIj11FixedVectorIiLj1EEEEZZNS1_16scan_by_key_implILNS1_25lookback_scan_determinismE0ELb1ES3_N6thrust23THRUST_200600_302600_NS6detail15normal_iteratorINSB_10device_ptrIjEEEENSD_INSE_IS6_EEEESI_S6_NSB_4plusIvEENSB_8equal_toIvEES6_EE10hipError_tPvRmT2_T3_T4_T5_mT6_T7_P12ihipStream_tbENKUlT_T0_E_clISt17integral_constantIbLb1EES12_IbLb0EEEEDaSY_SZ_EUlSY_E_NS1_11comp_targetILNS1_3genE2ELNS1_11target_archE906ELNS1_3gpuE6ELNS1_3repE0EEENS1_30default_config_static_selectorELNS0_4arch9wavefront6targetE0EEEvT1_.uses_vcc, 0
	.set _ZN7rocprim17ROCPRIM_400000_NS6detail17trampoline_kernelINS0_14default_configENS1_27scan_by_key_config_selectorIj11FixedVectorIiLj1EEEEZZNS1_16scan_by_key_implILNS1_25lookback_scan_determinismE0ELb1ES3_N6thrust23THRUST_200600_302600_NS6detail15normal_iteratorINSB_10device_ptrIjEEEENSD_INSE_IS6_EEEESI_S6_NSB_4plusIvEENSB_8equal_toIvEES6_EE10hipError_tPvRmT2_T3_T4_T5_mT6_T7_P12ihipStream_tbENKUlT_T0_E_clISt17integral_constantIbLb1EES12_IbLb0EEEEDaSY_SZ_EUlSY_E_NS1_11comp_targetILNS1_3genE2ELNS1_11target_archE906ELNS1_3gpuE6ELNS1_3repE0EEENS1_30default_config_static_selectorELNS0_4arch9wavefront6targetE0EEEvT1_.uses_flat_scratch, 0
	.set _ZN7rocprim17ROCPRIM_400000_NS6detail17trampoline_kernelINS0_14default_configENS1_27scan_by_key_config_selectorIj11FixedVectorIiLj1EEEEZZNS1_16scan_by_key_implILNS1_25lookback_scan_determinismE0ELb1ES3_N6thrust23THRUST_200600_302600_NS6detail15normal_iteratorINSB_10device_ptrIjEEEENSD_INSE_IS6_EEEESI_S6_NSB_4plusIvEENSB_8equal_toIvEES6_EE10hipError_tPvRmT2_T3_T4_T5_mT6_T7_P12ihipStream_tbENKUlT_T0_E_clISt17integral_constantIbLb1EES12_IbLb0EEEEDaSY_SZ_EUlSY_E_NS1_11comp_targetILNS1_3genE2ELNS1_11target_archE906ELNS1_3gpuE6ELNS1_3repE0EEENS1_30default_config_static_selectorELNS0_4arch9wavefront6targetE0EEEvT1_.has_dyn_sized_stack, 0
	.set _ZN7rocprim17ROCPRIM_400000_NS6detail17trampoline_kernelINS0_14default_configENS1_27scan_by_key_config_selectorIj11FixedVectorIiLj1EEEEZZNS1_16scan_by_key_implILNS1_25lookback_scan_determinismE0ELb1ES3_N6thrust23THRUST_200600_302600_NS6detail15normal_iteratorINSB_10device_ptrIjEEEENSD_INSE_IS6_EEEESI_S6_NSB_4plusIvEENSB_8equal_toIvEES6_EE10hipError_tPvRmT2_T3_T4_T5_mT6_T7_P12ihipStream_tbENKUlT_T0_E_clISt17integral_constantIbLb1EES12_IbLb0EEEEDaSY_SZ_EUlSY_E_NS1_11comp_targetILNS1_3genE2ELNS1_11target_archE906ELNS1_3gpuE6ELNS1_3repE0EEENS1_30default_config_static_selectorELNS0_4arch9wavefront6targetE0EEEvT1_.has_recursion, 0
	.set _ZN7rocprim17ROCPRIM_400000_NS6detail17trampoline_kernelINS0_14default_configENS1_27scan_by_key_config_selectorIj11FixedVectorIiLj1EEEEZZNS1_16scan_by_key_implILNS1_25lookback_scan_determinismE0ELb1ES3_N6thrust23THRUST_200600_302600_NS6detail15normal_iteratorINSB_10device_ptrIjEEEENSD_INSE_IS6_EEEESI_S6_NSB_4plusIvEENSB_8equal_toIvEES6_EE10hipError_tPvRmT2_T3_T4_T5_mT6_T7_P12ihipStream_tbENKUlT_T0_E_clISt17integral_constantIbLb1EES12_IbLb0EEEEDaSY_SZ_EUlSY_E_NS1_11comp_targetILNS1_3genE2ELNS1_11target_archE906ELNS1_3gpuE6ELNS1_3repE0EEENS1_30default_config_static_selectorELNS0_4arch9wavefront6targetE0EEEvT1_.has_indirect_call, 0
	.section	.AMDGPU.csdata,"",@progbits
; Kernel info:
; codeLenInByte = 0
; TotalNumSgprs: 0
; NumVgprs: 0
; ScratchSize: 0
; MemoryBound: 0
; FloatMode: 240
; IeeeMode: 1
; LDSByteSize: 0 bytes/workgroup (compile time only)
; SGPRBlocks: 0
; VGPRBlocks: 0
; NumSGPRsForWavesPerEU: 1
; NumVGPRsForWavesPerEU: 1
; NamedBarCnt: 0
; Occupancy: 16
; WaveLimiterHint : 0
; COMPUTE_PGM_RSRC2:SCRATCH_EN: 0
; COMPUTE_PGM_RSRC2:USER_SGPR: 2
; COMPUTE_PGM_RSRC2:TRAP_HANDLER: 0
; COMPUTE_PGM_RSRC2:TGID_X_EN: 1
; COMPUTE_PGM_RSRC2:TGID_Y_EN: 0
; COMPUTE_PGM_RSRC2:TGID_Z_EN: 0
; COMPUTE_PGM_RSRC2:TIDIG_COMP_CNT: 0
	.section	.text._ZN7rocprim17ROCPRIM_400000_NS6detail17trampoline_kernelINS0_14default_configENS1_27scan_by_key_config_selectorIj11FixedVectorIiLj1EEEEZZNS1_16scan_by_key_implILNS1_25lookback_scan_determinismE0ELb1ES3_N6thrust23THRUST_200600_302600_NS6detail15normal_iteratorINSB_10device_ptrIjEEEENSD_INSE_IS6_EEEESI_S6_NSB_4plusIvEENSB_8equal_toIvEES6_EE10hipError_tPvRmT2_T3_T4_T5_mT6_T7_P12ihipStream_tbENKUlT_T0_E_clISt17integral_constantIbLb1EES12_IbLb0EEEEDaSY_SZ_EUlSY_E_NS1_11comp_targetILNS1_3genE10ELNS1_11target_archE1200ELNS1_3gpuE4ELNS1_3repE0EEENS1_30default_config_static_selectorELNS0_4arch9wavefront6targetE0EEEvT1_,"axG",@progbits,_ZN7rocprim17ROCPRIM_400000_NS6detail17trampoline_kernelINS0_14default_configENS1_27scan_by_key_config_selectorIj11FixedVectorIiLj1EEEEZZNS1_16scan_by_key_implILNS1_25lookback_scan_determinismE0ELb1ES3_N6thrust23THRUST_200600_302600_NS6detail15normal_iteratorINSB_10device_ptrIjEEEENSD_INSE_IS6_EEEESI_S6_NSB_4plusIvEENSB_8equal_toIvEES6_EE10hipError_tPvRmT2_T3_T4_T5_mT6_T7_P12ihipStream_tbENKUlT_T0_E_clISt17integral_constantIbLb1EES12_IbLb0EEEEDaSY_SZ_EUlSY_E_NS1_11comp_targetILNS1_3genE10ELNS1_11target_archE1200ELNS1_3gpuE4ELNS1_3repE0EEENS1_30default_config_static_selectorELNS0_4arch9wavefront6targetE0EEEvT1_,comdat
	.protected	_ZN7rocprim17ROCPRIM_400000_NS6detail17trampoline_kernelINS0_14default_configENS1_27scan_by_key_config_selectorIj11FixedVectorIiLj1EEEEZZNS1_16scan_by_key_implILNS1_25lookback_scan_determinismE0ELb1ES3_N6thrust23THRUST_200600_302600_NS6detail15normal_iteratorINSB_10device_ptrIjEEEENSD_INSE_IS6_EEEESI_S6_NSB_4plusIvEENSB_8equal_toIvEES6_EE10hipError_tPvRmT2_T3_T4_T5_mT6_T7_P12ihipStream_tbENKUlT_T0_E_clISt17integral_constantIbLb1EES12_IbLb0EEEEDaSY_SZ_EUlSY_E_NS1_11comp_targetILNS1_3genE10ELNS1_11target_archE1200ELNS1_3gpuE4ELNS1_3repE0EEENS1_30default_config_static_selectorELNS0_4arch9wavefront6targetE0EEEvT1_ ; -- Begin function _ZN7rocprim17ROCPRIM_400000_NS6detail17trampoline_kernelINS0_14default_configENS1_27scan_by_key_config_selectorIj11FixedVectorIiLj1EEEEZZNS1_16scan_by_key_implILNS1_25lookback_scan_determinismE0ELb1ES3_N6thrust23THRUST_200600_302600_NS6detail15normal_iteratorINSB_10device_ptrIjEEEENSD_INSE_IS6_EEEESI_S6_NSB_4plusIvEENSB_8equal_toIvEES6_EE10hipError_tPvRmT2_T3_T4_T5_mT6_T7_P12ihipStream_tbENKUlT_T0_E_clISt17integral_constantIbLb1EES12_IbLb0EEEEDaSY_SZ_EUlSY_E_NS1_11comp_targetILNS1_3genE10ELNS1_11target_archE1200ELNS1_3gpuE4ELNS1_3repE0EEENS1_30default_config_static_selectorELNS0_4arch9wavefront6targetE0EEEvT1_
	.globl	_ZN7rocprim17ROCPRIM_400000_NS6detail17trampoline_kernelINS0_14default_configENS1_27scan_by_key_config_selectorIj11FixedVectorIiLj1EEEEZZNS1_16scan_by_key_implILNS1_25lookback_scan_determinismE0ELb1ES3_N6thrust23THRUST_200600_302600_NS6detail15normal_iteratorINSB_10device_ptrIjEEEENSD_INSE_IS6_EEEESI_S6_NSB_4plusIvEENSB_8equal_toIvEES6_EE10hipError_tPvRmT2_T3_T4_T5_mT6_T7_P12ihipStream_tbENKUlT_T0_E_clISt17integral_constantIbLb1EES12_IbLb0EEEEDaSY_SZ_EUlSY_E_NS1_11comp_targetILNS1_3genE10ELNS1_11target_archE1200ELNS1_3gpuE4ELNS1_3repE0EEENS1_30default_config_static_selectorELNS0_4arch9wavefront6targetE0EEEvT1_
	.p2align	8
	.type	_ZN7rocprim17ROCPRIM_400000_NS6detail17trampoline_kernelINS0_14default_configENS1_27scan_by_key_config_selectorIj11FixedVectorIiLj1EEEEZZNS1_16scan_by_key_implILNS1_25lookback_scan_determinismE0ELb1ES3_N6thrust23THRUST_200600_302600_NS6detail15normal_iteratorINSB_10device_ptrIjEEEENSD_INSE_IS6_EEEESI_S6_NSB_4plusIvEENSB_8equal_toIvEES6_EE10hipError_tPvRmT2_T3_T4_T5_mT6_T7_P12ihipStream_tbENKUlT_T0_E_clISt17integral_constantIbLb1EES12_IbLb0EEEEDaSY_SZ_EUlSY_E_NS1_11comp_targetILNS1_3genE10ELNS1_11target_archE1200ELNS1_3gpuE4ELNS1_3repE0EEENS1_30default_config_static_selectorELNS0_4arch9wavefront6targetE0EEEvT1_,@function
_ZN7rocprim17ROCPRIM_400000_NS6detail17trampoline_kernelINS0_14default_configENS1_27scan_by_key_config_selectorIj11FixedVectorIiLj1EEEEZZNS1_16scan_by_key_implILNS1_25lookback_scan_determinismE0ELb1ES3_N6thrust23THRUST_200600_302600_NS6detail15normal_iteratorINSB_10device_ptrIjEEEENSD_INSE_IS6_EEEESI_S6_NSB_4plusIvEENSB_8equal_toIvEES6_EE10hipError_tPvRmT2_T3_T4_T5_mT6_T7_P12ihipStream_tbENKUlT_T0_E_clISt17integral_constantIbLb1EES12_IbLb0EEEEDaSY_SZ_EUlSY_E_NS1_11comp_targetILNS1_3genE10ELNS1_11target_archE1200ELNS1_3gpuE4ELNS1_3repE0EEENS1_30default_config_static_selectorELNS0_4arch9wavefront6targetE0EEEvT1_: ; @_ZN7rocprim17ROCPRIM_400000_NS6detail17trampoline_kernelINS0_14default_configENS1_27scan_by_key_config_selectorIj11FixedVectorIiLj1EEEEZZNS1_16scan_by_key_implILNS1_25lookback_scan_determinismE0ELb1ES3_N6thrust23THRUST_200600_302600_NS6detail15normal_iteratorINSB_10device_ptrIjEEEENSD_INSE_IS6_EEEESI_S6_NSB_4plusIvEENSB_8equal_toIvEES6_EE10hipError_tPvRmT2_T3_T4_T5_mT6_T7_P12ihipStream_tbENKUlT_T0_E_clISt17integral_constantIbLb1EES12_IbLb0EEEEDaSY_SZ_EUlSY_E_NS1_11comp_targetILNS1_3genE10ELNS1_11target_archE1200ELNS1_3gpuE4ELNS1_3repE0EEENS1_30default_config_static_selectorELNS0_4arch9wavefront6targetE0EEEvT1_
; %bb.0:
	.section	.rodata,"a",@progbits
	.p2align	6, 0x0
	.amdhsa_kernel _ZN7rocprim17ROCPRIM_400000_NS6detail17trampoline_kernelINS0_14default_configENS1_27scan_by_key_config_selectorIj11FixedVectorIiLj1EEEEZZNS1_16scan_by_key_implILNS1_25lookback_scan_determinismE0ELb1ES3_N6thrust23THRUST_200600_302600_NS6detail15normal_iteratorINSB_10device_ptrIjEEEENSD_INSE_IS6_EEEESI_S6_NSB_4plusIvEENSB_8equal_toIvEES6_EE10hipError_tPvRmT2_T3_T4_T5_mT6_T7_P12ihipStream_tbENKUlT_T0_E_clISt17integral_constantIbLb1EES12_IbLb0EEEEDaSY_SZ_EUlSY_E_NS1_11comp_targetILNS1_3genE10ELNS1_11target_archE1200ELNS1_3gpuE4ELNS1_3repE0EEENS1_30default_config_static_selectorELNS0_4arch9wavefront6targetE0EEEvT1_
		.amdhsa_group_segment_fixed_size 0
		.amdhsa_private_segment_fixed_size 0
		.amdhsa_kernarg_size 112
		.amdhsa_user_sgpr_count 2
		.amdhsa_user_sgpr_dispatch_ptr 0
		.amdhsa_user_sgpr_queue_ptr 0
		.amdhsa_user_sgpr_kernarg_segment_ptr 1
		.amdhsa_user_sgpr_dispatch_id 0
		.amdhsa_user_sgpr_kernarg_preload_length 0
		.amdhsa_user_sgpr_kernarg_preload_offset 0
		.amdhsa_user_sgpr_private_segment_size 0
		.amdhsa_wavefront_size32 1
		.amdhsa_uses_dynamic_stack 0
		.amdhsa_enable_private_segment 0
		.amdhsa_system_sgpr_workgroup_id_x 1
		.amdhsa_system_sgpr_workgroup_id_y 0
		.amdhsa_system_sgpr_workgroup_id_z 0
		.amdhsa_system_sgpr_workgroup_info 0
		.amdhsa_system_vgpr_workitem_id 0
		.amdhsa_next_free_vgpr 1
		.amdhsa_next_free_sgpr 1
		.amdhsa_named_barrier_count 0
		.amdhsa_reserve_vcc 0
		.amdhsa_float_round_mode_32 0
		.amdhsa_float_round_mode_16_64 0
		.amdhsa_float_denorm_mode_32 3
		.amdhsa_float_denorm_mode_16_64 3
		.amdhsa_fp16_overflow 0
		.amdhsa_memory_ordered 1
		.amdhsa_forward_progress 1
		.amdhsa_inst_pref_size 0
		.amdhsa_round_robin_scheduling 0
		.amdhsa_exception_fp_ieee_invalid_op 0
		.amdhsa_exception_fp_denorm_src 0
		.amdhsa_exception_fp_ieee_div_zero 0
		.amdhsa_exception_fp_ieee_overflow 0
		.amdhsa_exception_fp_ieee_underflow 0
		.amdhsa_exception_fp_ieee_inexact 0
		.amdhsa_exception_int_div_zero 0
	.end_amdhsa_kernel
	.section	.text._ZN7rocprim17ROCPRIM_400000_NS6detail17trampoline_kernelINS0_14default_configENS1_27scan_by_key_config_selectorIj11FixedVectorIiLj1EEEEZZNS1_16scan_by_key_implILNS1_25lookback_scan_determinismE0ELb1ES3_N6thrust23THRUST_200600_302600_NS6detail15normal_iteratorINSB_10device_ptrIjEEEENSD_INSE_IS6_EEEESI_S6_NSB_4plusIvEENSB_8equal_toIvEES6_EE10hipError_tPvRmT2_T3_T4_T5_mT6_T7_P12ihipStream_tbENKUlT_T0_E_clISt17integral_constantIbLb1EES12_IbLb0EEEEDaSY_SZ_EUlSY_E_NS1_11comp_targetILNS1_3genE10ELNS1_11target_archE1200ELNS1_3gpuE4ELNS1_3repE0EEENS1_30default_config_static_selectorELNS0_4arch9wavefront6targetE0EEEvT1_,"axG",@progbits,_ZN7rocprim17ROCPRIM_400000_NS6detail17trampoline_kernelINS0_14default_configENS1_27scan_by_key_config_selectorIj11FixedVectorIiLj1EEEEZZNS1_16scan_by_key_implILNS1_25lookback_scan_determinismE0ELb1ES3_N6thrust23THRUST_200600_302600_NS6detail15normal_iteratorINSB_10device_ptrIjEEEENSD_INSE_IS6_EEEESI_S6_NSB_4plusIvEENSB_8equal_toIvEES6_EE10hipError_tPvRmT2_T3_T4_T5_mT6_T7_P12ihipStream_tbENKUlT_T0_E_clISt17integral_constantIbLb1EES12_IbLb0EEEEDaSY_SZ_EUlSY_E_NS1_11comp_targetILNS1_3genE10ELNS1_11target_archE1200ELNS1_3gpuE4ELNS1_3repE0EEENS1_30default_config_static_selectorELNS0_4arch9wavefront6targetE0EEEvT1_,comdat
.Lfunc_end1935:
	.size	_ZN7rocprim17ROCPRIM_400000_NS6detail17trampoline_kernelINS0_14default_configENS1_27scan_by_key_config_selectorIj11FixedVectorIiLj1EEEEZZNS1_16scan_by_key_implILNS1_25lookback_scan_determinismE0ELb1ES3_N6thrust23THRUST_200600_302600_NS6detail15normal_iteratorINSB_10device_ptrIjEEEENSD_INSE_IS6_EEEESI_S6_NSB_4plusIvEENSB_8equal_toIvEES6_EE10hipError_tPvRmT2_T3_T4_T5_mT6_T7_P12ihipStream_tbENKUlT_T0_E_clISt17integral_constantIbLb1EES12_IbLb0EEEEDaSY_SZ_EUlSY_E_NS1_11comp_targetILNS1_3genE10ELNS1_11target_archE1200ELNS1_3gpuE4ELNS1_3repE0EEENS1_30default_config_static_selectorELNS0_4arch9wavefront6targetE0EEEvT1_, .Lfunc_end1935-_ZN7rocprim17ROCPRIM_400000_NS6detail17trampoline_kernelINS0_14default_configENS1_27scan_by_key_config_selectorIj11FixedVectorIiLj1EEEEZZNS1_16scan_by_key_implILNS1_25lookback_scan_determinismE0ELb1ES3_N6thrust23THRUST_200600_302600_NS6detail15normal_iteratorINSB_10device_ptrIjEEEENSD_INSE_IS6_EEEESI_S6_NSB_4plusIvEENSB_8equal_toIvEES6_EE10hipError_tPvRmT2_T3_T4_T5_mT6_T7_P12ihipStream_tbENKUlT_T0_E_clISt17integral_constantIbLb1EES12_IbLb0EEEEDaSY_SZ_EUlSY_E_NS1_11comp_targetILNS1_3genE10ELNS1_11target_archE1200ELNS1_3gpuE4ELNS1_3repE0EEENS1_30default_config_static_selectorELNS0_4arch9wavefront6targetE0EEEvT1_
                                        ; -- End function
	.set _ZN7rocprim17ROCPRIM_400000_NS6detail17trampoline_kernelINS0_14default_configENS1_27scan_by_key_config_selectorIj11FixedVectorIiLj1EEEEZZNS1_16scan_by_key_implILNS1_25lookback_scan_determinismE0ELb1ES3_N6thrust23THRUST_200600_302600_NS6detail15normal_iteratorINSB_10device_ptrIjEEEENSD_INSE_IS6_EEEESI_S6_NSB_4plusIvEENSB_8equal_toIvEES6_EE10hipError_tPvRmT2_T3_T4_T5_mT6_T7_P12ihipStream_tbENKUlT_T0_E_clISt17integral_constantIbLb1EES12_IbLb0EEEEDaSY_SZ_EUlSY_E_NS1_11comp_targetILNS1_3genE10ELNS1_11target_archE1200ELNS1_3gpuE4ELNS1_3repE0EEENS1_30default_config_static_selectorELNS0_4arch9wavefront6targetE0EEEvT1_.num_vgpr, 0
	.set _ZN7rocprim17ROCPRIM_400000_NS6detail17trampoline_kernelINS0_14default_configENS1_27scan_by_key_config_selectorIj11FixedVectorIiLj1EEEEZZNS1_16scan_by_key_implILNS1_25lookback_scan_determinismE0ELb1ES3_N6thrust23THRUST_200600_302600_NS6detail15normal_iteratorINSB_10device_ptrIjEEEENSD_INSE_IS6_EEEESI_S6_NSB_4plusIvEENSB_8equal_toIvEES6_EE10hipError_tPvRmT2_T3_T4_T5_mT6_T7_P12ihipStream_tbENKUlT_T0_E_clISt17integral_constantIbLb1EES12_IbLb0EEEEDaSY_SZ_EUlSY_E_NS1_11comp_targetILNS1_3genE10ELNS1_11target_archE1200ELNS1_3gpuE4ELNS1_3repE0EEENS1_30default_config_static_selectorELNS0_4arch9wavefront6targetE0EEEvT1_.num_agpr, 0
	.set _ZN7rocprim17ROCPRIM_400000_NS6detail17trampoline_kernelINS0_14default_configENS1_27scan_by_key_config_selectorIj11FixedVectorIiLj1EEEEZZNS1_16scan_by_key_implILNS1_25lookback_scan_determinismE0ELb1ES3_N6thrust23THRUST_200600_302600_NS6detail15normal_iteratorINSB_10device_ptrIjEEEENSD_INSE_IS6_EEEESI_S6_NSB_4plusIvEENSB_8equal_toIvEES6_EE10hipError_tPvRmT2_T3_T4_T5_mT6_T7_P12ihipStream_tbENKUlT_T0_E_clISt17integral_constantIbLb1EES12_IbLb0EEEEDaSY_SZ_EUlSY_E_NS1_11comp_targetILNS1_3genE10ELNS1_11target_archE1200ELNS1_3gpuE4ELNS1_3repE0EEENS1_30default_config_static_selectorELNS0_4arch9wavefront6targetE0EEEvT1_.numbered_sgpr, 0
	.set _ZN7rocprim17ROCPRIM_400000_NS6detail17trampoline_kernelINS0_14default_configENS1_27scan_by_key_config_selectorIj11FixedVectorIiLj1EEEEZZNS1_16scan_by_key_implILNS1_25lookback_scan_determinismE0ELb1ES3_N6thrust23THRUST_200600_302600_NS6detail15normal_iteratorINSB_10device_ptrIjEEEENSD_INSE_IS6_EEEESI_S6_NSB_4plusIvEENSB_8equal_toIvEES6_EE10hipError_tPvRmT2_T3_T4_T5_mT6_T7_P12ihipStream_tbENKUlT_T0_E_clISt17integral_constantIbLb1EES12_IbLb0EEEEDaSY_SZ_EUlSY_E_NS1_11comp_targetILNS1_3genE10ELNS1_11target_archE1200ELNS1_3gpuE4ELNS1_3repE0EEENS1_30default_config_static_selectorELNS0_4arch9wavefront6targetE0EEEvT1_.num_named_barrier, 0
	.set _ZN7rocprim17ROCPRIM_400000_NS6detail17trampoline_kernelINS0_14default_configENS1_27scan_by_key_config_selectorIj11FixedVectorIiLj1EEEEZZNS1_16scan_by_key_implILNS1_25lookback_scan_determinismE0ELb1ES3_N6thrust23THRUST_200600_302600_NS6detail15normal_iteratorINSB_10device_ptrIjEEEENSD_INSE_IS6_EEEESI_S6_NSB_4plusIvEENSB_8equal_toIvEES6_EE10hipError_tPvRmT2_T3_T4_T5_mT6_T7_P12ihipStream_tbENKUlT_T0_E_clISt17integral_constantIbLb1EES12_IbLb0EEEEDaSY_SZ_EUlSY_E_NS1_11comp_targetILNS1_3genE10ELNS1_11target_archE1200ELNS1_3gpuE4ELNS1_3repE0EEENS1_30default_config_static_selectorELNS0_4arch9wavefront6targetE0EEEvT1_.private_seg_size, 0
	.set _ZN7rocprim17ROCPRIM_400000_NS6detail17trampoline_kernelINS0_14default_configENS1_27scan_by_key_config_selectorIj11FixedVectorIiLj1EEEEZZNS1_16scan_by_key_implILNS1_25lookback_scan_determinismE0ELb1ES3_N6thrust23THRUST_200600_302600_NS6detail15normal_iteratorINSB_10device_ptrIjEEEENSD_INSE_IS6_EEEESI_S6_NSB_4plusIvEENSB_8equal_toIvEES6_EE10hipError_tPvRmT2_T3_T4_T5_mT6_T7_P12ihipStream_tbENKUlT_T0_E_clISt17integral_constantIbLb1EES12_IbLb0EEEEDaSY_SZ_EUlSY_E_NS1_11comp_targetILNS1_3genE10ELNS1_11target_archE1200ELNS1_3gpuE4ELNS1_3repE0EEENS1_30default_config_static_selectorELNS0_4arch9wavefront6targetE0EEEvT1_.uses_vcc, 0
	.set _ZN7rocprim17ROCPRIM_400000_NS6detail17trampoline_kernelINS0_14default_configENS1_27scan_by_key_config_selectorIj11FixedVectorIiLj1EEEEZZNS1_16scan_by_key_implILNS1_25lookback_scan_determinismE0ELb1ES3_N6thrust23THRUST_200600_302600_NS6detail15normal_iteratorINSB_10device_ptrIjEEEENSD_INSE_IS6_EEEESI_S6_NSB_4plusIvEENSB_8equal_toIvEES6_EE10hipError_tPvRmT2_T3_T4_T5_mT6_T7_P12ihipStream_tbENKUlT_T0_E_clISt17integral_constantIbLb1EES12_IbLb0EEEEDaSY_SZ_EUlSY_E_NS1_11comp_targetILNS1_3genE10ELNS1_11target_archE1200ELNS1_3gpuE4ELNS1_3repE0EEENS1_30default_config_static_selectorELNS0_4arch9wavefront6targetE0EEEvT1_.uses_flat_scratch, 0
	.set _ZN7rocprim17ROCPRIM_400000_NS6detail17trampoline_kernelINS0_14default_configENS1_27scan_by_key_config_selectorIj11FixedVectorIiLj1EEEEZZNS1_16scan_by_key_implILNS1_25lookback_scan_determinismE0ELb1ES3_N6thrust23THRUST_200600_302600_NS6detail15normal_iteratorINSB_10device_ptrIjEEEENSD_INSE_IS6_EEEESI_S6_NSB_4plusIvEENSB_8equal_toIvEES6_EE10hipError_tPvRmT2_T3_T4_T5_mT6_T7_P12ihipStream_tbENKUlT_T0_E_clISt17integral_constantIbLb1EES12_IbLb0EEEEDaSY_SZ_EUlSY_E_NS1_11comp_targetILNS1_3genE10ELNS1_11target_archE1200ELNS1_3gpuE4ELNS1_3repE0EEENS1_30default_config_static_selectorELNS0_4arch9wavefront6targetE0EEEvT1_.has_dyn_sized_stack, 0
	.set _ZN7rocprim17ROCPRIM_400000_NS6detail17trampoline_kernelINS0_14default_configENS1_27scan_by_key_config_selectorIj11FixedVectorIiLj1EEEEZZNS1_16scan_by_key_implILNS1_25lookback_scan_determinismE0ELb1ES3_N6thrust23THRUST_200600_302600_NS6detail15normal_iteratorINSB_10device_ptrIjEEEENSD_INSE_IS6_EEEESI_S6_NSB_4plusIvEENSB_8equal_toIvEES6_EE10hipError_tPvRmT2_T3_T4_T5_mT6_T7_P12ihipStream_tbENKUlT_T0_E_clISt17integral_constantIbLb1EES12_IbLb0EEEEDaSY_SZ_EUlSY_E_NS1_11comp_targetILNS1_3genE10ELNS1_11target_archE1200ELNS1_3gpuE4ELNS1_3repE0EEENS1_30default_config_static_selectorELNS0_4arch9wavefront6targetE0EEEvT1_.has_recursion, 0
	.set _ZN7rocprim17ROCPRIM_400000_NS6detail17trampoline_kernelINS0_14default_configENS1_27scan_by_key_config_selectorIj11FixedVectorIiLj1EEEEZZNS1_16scan_by_key_implILNS1_25lookback_scan_determinismE0ELb1ES3_N6thrust23THRUST_200600_302600_NS6detail15normal_iteratorINSB_10device_ptrIjEEEENSD_INSE_IS6_EEEESI_S6_NSB_4plusIvEENSB_8equal_toIvEES6_EE10hipError_tPvRmT2_T3_T4_T5_mT6_T7_P12ihipStream_tbENKUlT_T0_E_clISt17integral_constantIbLb1EES12_IbLb0EEEEDaSY_SZ_EUlSY_E_NS1_11comp_targetILNS1_3genE10ELNS1_11target_archE1200ELNS1_3gpuE4ELNS1_3repE0EEENS1_30default_config_static_selectorELNS0_4arch9wavefront6targetE0EEEvT1_.has_indirect_call, 0
	.section	.AMDGPU.csdata,"",@progbits
; Kernel info:
; codeLenInByte = 0
; TotalNumSgprs: 0
; NumVgprs: 0
; ScratchSize: 0
; MemoryBound: 0
; FloatMode: 240
; IeeeMode: 1
; LDSByteSize: 0 bytes/workgroup (compile time only)
; SGPRBlocks: 0
; VGPRBlocks: 0
; NumSGPRsForWavesPerEU: 1
; NumVGPRsForWavesPerEU: 1
; NamedBarCnt: 0
; Occupancy: 16
; WaveLimiterHint : 0
; COMPUTE_PGM_RSRC2:SCRATCH_EN: 0
; COMPUTE_PGM_RSRC2:USER_SGPR: 2
; COMPUTE_PGM_RSRC2:TRAP_HANDLER: 0
; COMPUTE_PGM_RSRC2:TGID_X_EN: 1
; COMPUTE_PGM_RSRC2:TGID_Y_EN: 0
; COMPUTE_PGM_RSRC2:TGID_Z_EN: 0
; COMPUTE_PGM_RSRC2:TIDIG_COMP_CNT: 0
	.section	.text._ZN7rocprim17ROCPRIM_400000_NS6detail17trampoline_kernelINS0_14default_configENS1_27scan_by_key_config_selectorIj11FixedVectorIiLj1EEEEZZNS1_16scan_by_key_implILNS1_25lookback_scan_determinismE0ELb1ES3_N6thrust23THRUST_200600_302600_NS6detail15normal_iteratorINSB_10device_ptrIjEEEENSD_INSE_IS6_EEEESI_S6_NSB_4plusIvEENSB_8equal_toIvEES6_EE10hipError_tPvRmT2_T3_T4_T5_mT6_T7_P12ihipStream_tbENKUlT_T0_E_clISt17integral_constantIbLb1EES12_IbLb0EEEEDaSY_SZ_EUlSY_E_NS1_11comp_targetILNS1_3genE9ELNS1_11target_archE1100ELNS1_3gpuE3ELNS1_3repE0EEENS1_30default_config_static_selectorELNS0_4arch9wavefront6targetE0EEEvT1_,"axG",@progbits,_ZN7rocprim17ROCPRIM_400000_NS6detail17trampoline_kernelINS0_14default_configENS1_27scan_by_key_config_selectorIj11FixedVectorIiLj1EEEEZZNS1_16scan_by_key_implILNS1_25lookback_scan_determinismE0ELb1ES3_N6thrust23THRUST_200600_302600_NS6detail15normal_iteratorINSB_10device_ptrIjEEEENSD_INSE_IS6_EEEESI_S6_NSB_4plusIvEENSB_8equal_toIvEES6_EE10hipError_tPvRmT2_T3_T4_T5_mT6_T7_P12ihipStream_tbENKUlT_T0_E_clISt17integral_constantIbLb1EES12_IbLb0EEEEDaSY_SZ_EUlSY_E_NS1_11comp_targetILNS1_3genE9ELNS1_11target_archE1100ELNS1_3gpuE3ELNS1_3repE0EEENS1_30default_config_static_selectorELNS0_4arch9wavefront6targetE0EEEvT1_,comdat
	.protected	_ZN7rocprim17ROCPRIM_400000_NS6detail17trampoline_kernelINS0_14default_configENS1_27scan_by_key_config_selectorIj11FixedVectorIiLj1EEEEZZNS1_16scan_by_key_implILNS1_25lookback_scan_determinismE0ELb1ES3_N6thrust23THRUST_200600_302600_NS6detail15normal_iteratorINSB_10device_ptrIjEEEENSD_INSE_IS6_EEEESI_S6_NSB_4plusIvEENSB_8equal_toIvEES6_EE10hipError_tPvRmT2_T3_T4_T5_mT6_T7_P12ihipStream_tbENKUlT_T0_E_clISt17integral_constantIbLb1EES12_IbLb0EEEEDaSY_SZ_EUlSY_E_NS1_11comp_targetILNS1_3genE9ELNS1_11target_archE1100ELNS1_3gpuE3ELNS1_3repE0EEENS1_30default_config_static_selectorELNS0_4arch9wavefront6targetE0EEEvT1_ ; -- Begin function _ZN7rocprim17ROCPRIM_400000_NS6detail17trampoline_kernelINS0_14default_configENS1_27scan_by_key_config_selectorIj11FixedVectorIiLj1EEEEZZNS1_16scan_by_key_implILNS1_25lookback_scan_determinismE0ELb1ES3_N6thrust23THRUST_200600_302600_NS6detail15normal_iteratorINSB_10device_ptrIjEEEENSD_INSE_IS6_EEEESI_S6_NSB_4plusIvEENSB_8equal_toIvEES6_EE10hipError_tPvRmT2_T3_T4_T5_mT6_T7_P12ihipStream_tbENKUlT_T0_E_clISt17integral_constantIbLb1EES12_IbLb0EEEEDaSY_SZ_EUlSY_E_NS1_11comp_targetILNS1_3genE9ELNS1_11target_archE1100ELNS1_3gpuE3ELNS1_3repE0EEENS1_30default_config_static_selectorELNS0_4arch9wavefront6targetE0EEEvT1_
	.globl	_ZN7rocprim17ROCPRIM_400000_NS6detail17trampoline_kernelINS0_14default_configENS1_27scan_by_key_config_selectorIj11FixedVectorIiLj1EEEEZZNS1_16scan_by_key_implILNS1_25lookback_scan_determinismE0ELb1ES3_N6thrust23THRUST_200600_302600_NS6detail15normal_iteratorINSB_10device_ptrIjEEEENSD_INSE_IS6_EEEESI_S6_NSB_4plusIvEENSB_8equal_toIvEES6_EE10hipError_tPvRmT2_T3_T4_T5_mT6_T7_P12ihipStream_tbENKUlT_T0_E_clISt17integral_constantIbLb1EES12_IbLb0EEEEDaSY_SZ_EUlSY_E_NS1_11comp_targetILNS1_3genE9ELNS1_11target_archE1100ELNS1_3gpuE3ELNS1_3repE0EEENS1_30default_config_static_selectorELNS0_4arch9wavefront6targetE0EEEvT1_
	.p2align	8
	.type	_ZN7rocprim17ROCPRIM_400000_NS6detail17trampoline_kernelINS0_14default_configENS1_27scan_by_key_config_selectorIj11FixedVectorIiLj1EEEEZZNS1_16scan_by_key_implILNS1_25lookback_scan_determinismE0ELb1ES3_N6thrust23THRUST_200600_302600_NS6detail15normal_iteratorINSB_10device_ptrIjEEEENSD_INSE_IS6_EEEESI_S6_NSB_4plusIvEENSB_8equal_toIvEES6_EE10hipError_tPvRmT2_T3_T4_T5_mT6_T7_P12ihipStream_tbENKUlT_T0_E_clISt17integral_constantIbLb1EES12_IbLb0EEEEDaSY_SZ_EUlSY_E_NS1_11comp_targetILNS1_3genE9ELNS1_11target_archE1100ELNS1_3gpuE3ELNS1_3repE0EEENS1_30default_config_static_selectorELNS0_4arch9wavefront6targetE0EEEvT1_,@function
_ZN7rocprim17ROCPRIM_400000_NS6detail17trampoline_kernelINS0_14default_configENS1_27scan_by_key_config_selectorIj11FixedVectorIiLj1EEEEZZNS1_16scan_by_key_implILNS1_25lookback_scan_determinismE0ELb1ES3_N6thrust23THRUST_200600_302600_NS6detail15normal_iteratorINSB_10device_ptrIjEEEENSD_INSE_IS6_EEEESI_S6_NSB_4plusIvEENSB_8equal_toIvEES6_EE10hipError_tPvRmT2_T3_T4_T5_mT6_T7_P12ihipStream_tbENKUlT_T0_E_clISt17integral_constantIbLb1EES12_IbLb0EEEEDaSY_SZ_EUlSY_E_NS1_11comp_targetILNS1_3genE9ELNS1_11target_archE1100ELNS1_3gpuE3ELNS1_3repE0EEENS1_30default_config_static_selectorELNS0_4arch9wavefront6targetE0EEEvT1_: ; @_ZN7rocprim17ROCPRIM_400000_NS6detail17trampoline_kernelINS0_14default_configENS1_27scan_by_key_config_selectorIj11FixedVectorIiLj1EEEEZZNS1_16scan_by_key_implILNS1_25lookback_scan_determinismE0ELb1ES3_N6thrust23THRUST_200600_302600_NS6detail15normal_iteratorINSB_10device_ptrIjEEEENSD_INSE_IS6_EEEESI_S6_NSB_4plusIvEENSB_8equal_toIvEES6_EE10hipError_tPvRmT2_T3_T4_T5_mT6_T7_P12ihipStream_tbENKUlT_T0_E_clISt17integral_constantIbLb1EES12_IbLb0EEEEDaSY_SZ_EUlSY_E_NS1_11comp_targetILNS1_3genE9ELNS1_11target_archE1100ELNS1_3gpuE3ELNS1_3repE0EEENS1_30default_config_static_selectorELNS0_4arch9wavefront6targetE0EEEvT1_
; %bb.0:
	.section	.rodata,"a",@progbits
	.p2align	6, 0x0
	.amdhsa_kernel _ZN7rocprim17ROCPRIM_400000_NS6detail17trampoline_kernelINS0_14default_configENS1_27scan_by_key_config_selectorIj11FixedVectorIiLj1EEEEZZNS1_16scan_by_key_implILNS1_25lookback_scan_determinismE0ELb1ES3_N6thrust23THRUST_200600_302600_NS6detail15normal_iteratorINSB_10device_ptrIjEEEENSD_INSE_IS6_EEEESI_S6_NSB_4plusIvEENSB_8equal_toIvEES6_EE10hipError_tPvRmT2_T3_T4_T5_mT6_T7_P12ihipStream_tbENKUlT_T0_E_clISt17integral_constantIbLb1EES12_IbLb0EEEEDaSY_SZ_EUlSY_E_NS1_11comp_targetILNS1_3genE9ELNS1_11target_archE1100ELNS1_3gpuE3ELNS1_3repE0EEENS1_30default_config_static_selectorELNS0_4arch9wavefront6targetE0EEEvT1_
		.amdhsa_group_segment_fixed_size 0
		.amdhsa_private_segment_fixed_size 0
		.amdhsa_kernarg_size 112
		.amdhsa_user_sgpr_count 2
		.amdhsa_user_sgpr_dispatch_ptr 0
		.amdhsa_user_sgpr_queue_ptr 0
		.amdhsa_user_sgpr_kernarg_segment_ptr 1
		.amdhsa_user_sgpr_dispatch_id 0
		.amdhsa_user_sgpr_kernarg_preload_length 0
		.amdhsa_user_sgpr_kernarg_preload_offset 0
		.amdhsa_user_sgpr_private_segment_size 0
		.amdhsa_wavefront_size32 1
		.amdhsa_uses_dynamic_stack 0
		.amdhsa_enable_private_segment 0
		.amdhsa_system_sgpr_workgroup_id_x 1
		.amdhsa_system_sgpr_workgroup_id_y 0
		.amdhsa_system_sgpr_workgroup_id_z 0
		.amdhsa_system_sgpr_workgroup_info 0
		.amdhsa_system_vgpr_workitem_id 0
		.amdhsa_next_free_vgpr 1
		.amdhsa_next_free_sgpr 1
		.amdhsa_named_barrier_count 0
		.amdhsa_reserve_vcc 0
		.amdhsa_float_round_mode_32 0
		.amdhsa_float_round_mode_16_64 0
		.amdhsa_float_denorm_mode_32 3
		.amdhsa_float_denorm_mode_16_64 3
		.amdhsa_fp16_overflow 0
		.amdhsa_memory_ordered 1
		.amdhsa_forward_progress 1
		.amdhsa_inst_pref_size 0
		.amdhsa_round_robin_scheduling 0
		.amdhsa_exception_fp_ieee_invalid_op 0
		.amdhsa_exception_fp_denorm_src 0
		.amdhsa_exception_fp_ieee_div_zero 0
		.amdhsa_exception_fp_ieee_overflow 0
		.amdhsa_exception_fp_ieee_underflow 0
		.amdhsa_exception_fp_ieee_inexact 0
		.amdhsa_exception_int_div_zero 0
	.end_amdhsa_kernel
	.section	.text._ZN7rocprim17ROCPRIM_400000_NS6detail17trampoline_kernelINS0_14default_configENS1_27scan_by_key_config_selectorIj11FixedVectorIiLj1EEEEZZNS1_16scan_by_key_implILNS1_25lookback_scan_determinismE0ELb1ES3_N6thrust23THRUST_200600_302600_NS6detail15normal_iteratorINSB_10device_ptrIjEEEENSD_INSE_IS6_EEEESI_S6_NSB_4plusIvEENSB_8equal_toIvEES6_EE10hipError_tPvRmT2_T3_T4_T5_mT6_T7_P12ihipStream_tbENKUlT_T0_E_clISt17integral_constantIbLb1EES12_IbLb0EEEEDaSY_SZ_EUlSY_E_NS1_11comp_targetILNS1_3genE9ELNS1_11target_archE1100ELNS1_3gpuE3ELNS1_3repE0EEENS1_30default_config_static_selectorELNS0_4arch9wavefront6targetE0EEEvT1_,"axG",@progbits,_ZN7rocprim17ROCPRIM_400000_NS6detail17trampoline_kernelINS0_14default_configENS1_27scan_by_key_config_selectorIj11FixedVectorIiLj1EEEEZZNS1_16scan_by_key_implILNS1_25lookback_scan_determinismE0ELb1ES3_N6thrust23THRUST_200600_302600_NS6detail15normal_iteratorINSB_10device_ptrIjEEEENSD_INSE_IS6_EEEESI_S6_NSB_4plusIvEENSB_8equal_toIvEES6_EE10hipError_tPvRmT2_T3_T4_T5_mT6_T7_P12ihipStream_tbENKUlT_T0_E_clISt17integral_constantIbLb1EES12_IbLb0EEEEDaSY_SZ_EUlSY_E_NS1_11comp_targetILNS1_3genE9ELNS1_11target_archE1100ELNS1_3gpuE3ELNS1_3repE0EEENS1_30default_config_static_selectorELNS0_4arch9wavefront6targetE0EEEvT1_,comdat
.Lfunc_end1936:
	.size	_ZN7rocprim17ROCPRIM_400000_NS6detail17trampoline_kernelINS0_14default_configENS1_27scan_by_key_config_selectorIj11FixedVectorIiLj1EEEEZZNS1_16scan_by_key_implILNS1_25lookback_scan_determinismE0ELb1ES3_N6thrust23THRUST_200600_302600_NS6detail15normal_iteratorINSB_10device_ptrIjEEEENSD_INSE_IS6_EEEESI_S6_NSB_4plusIvEENSB_8equal_toIvEES6_EE10hipError_tPvRmT2_T3_T4_T5_mT6_T7_P12ihipStream_tbENKUlT_T0_E_clISt17integral_constantIbLb1EES12_IbLb0EEEEDaSY_SZ_EUlSY_E_NS1_11comp_targetILNS1_3genE9ELNS1_11target_archE1100ELNS1_3gpuE3ELNS1_3repE0EEENS1_30default_config_static_selectorELNS0_4arch9wavefront6targetE0EEEvT1_, .Lfunc_end1936-_ZN7rocprim17ROCPRIM_400000_NS6detail17trampoline_kernelINS0_14default_configENS1_27scan_by_key_config_selectorIj11FixedVectorIiLj1EEEEZZNS1_16scan_by_key_implILNS1_25lookback_scan_determinismE0ELb1ES3_N6thrust23THRUST_200600_302600_NS6detail15normal_iteratorINSB_10device_ptrIjEEEENSD_INSE_IS6_EEEESI_S6_NSB_4plusIvEENSB_8equal_toIvEES6_EE10hipError_tPvRmT2_T3_T4_T5_mT6_T7_P12ihipStream_tbENKUlT_T0_E_clISt17integral_constantIbLb1EES12_IbLb0EEEEDaSY_SZ_EUlSY_E_NS1_11comp_targetILNS1_3genE9ELNS1_11target_archE1100ELNS1_3gpuE3ELNS1_3repE0EEENS1_30default_config_static_selectorELNS0_4arch9wavefront6targetE0EEEvT1_
                                        ; -- End function
	.set _ZN7rocprim17ROCPRIM_400000_NS6detail17trampoline_kernelINS0_14default_configENS1_27scan_by_key_config_selectorIj11FixedVectorIiLj1EEEEZZNS1_16scan_by_key_implILNS1_25lookback_scan_determinismE0ELb1ES3_N6thrust23THRUST_200600_302600_NS6detail15normal_iteratorINSB_10device_ptrIjEEEENSD_INSE_IS6_EEEESI_S6_NSB_4plusIvEENSB_8equal_toIvEES6_EE10hipError_tPvRmT2_T3_T4_T5_mT6_T7_P12ihipStream_tbENKUlT_T0_E_clISt17integral_constantIbLb1EES12_IbLb0EEEEDaSY_SZ_EUlSY_E_NS1_11comp_targetILNS1_3genE9ELNS1_11target_archE1100ELNS1_3gpuE3ELNS1_3repE0EEENS1_30default_config_static_selectorELNS0_4arch9wavefront6targetE0EEEvT1_.num_vgpr, 0
	.set _ZN7rocprim17ROCPRIM_400000_NS6detail17trampoline_kernelINS0_14default_configENS1_27scan_by_key_config_selectorIj11FixedVectorIiLj1EEEEZZNS1_16scan_by_key_implILNS1_25lookback_scan_determinismE0ELb1ES3_N6thrust23THRUST_200600_302600_NS6detail15normal_iteratorINSB_10device_ptrIjEEEENSD_INSE_IS6_EEEESI_S6_NSB_4plusIvEENSB_8equal_toIvEES6_EE10hipError_tPvRmT2_T3_T4_T5_mT6_T7_P12ihipStream_tbENKUlT_T0_E_clISt17integral_constantIbLb1EES12_IbLb0EEEEDaSY_SZ_EUlSY_E_NS1_11comp_targetILNS1_3genE9ELNS1_11target_archE1100ELNS1_3gpuE3ELNS1_3repE0EEENS1_30default_config_static_selectorELNS0_4arch9wavefront6targetE0EEEvT1_.num_agpr, 0
	.set _ZN7rocprim17ROCPRIM_400000_NS6detail17trampoline_kernelINS0_14default_configENS1_27scan_by_key_config_selectorIj11FixedVectorIiLj1EEEEZZNS1_16scan_by_key_implILNS1_25lookback_scan_determinismE0ELb1ES3_N6thrust23THRUST_200600_302600_NS6detail15normal_iteratorINSB_10device_ptrIjEEEENSD_INSE_IS6_EEEESI_S6_NSB_4plusIvEENSB_8equal_toIvEES6_EE10hipError_tPvRmT2_T3_T4_T5_mT6_T7_P12ihipStream_tbENKUlT_T0_E_clISt17integral_constantIbLb1EES12_IbLb0EEEEDaSY_SZ_EUlSY_E_NS1_11comp_targetILNS1_3genE9ELNS1_11target_archE1100ELNS1_3gpuE3ELNS1_3repE0EEENS1_30default_config_static_selectorELNS0_4arch9wavefront6targetE0EEEvT1_.numbered_sgpr, 0
	.set _ZN7rocprim17ROCPRIM_400000_NS6detail17trampoline_kernelINS0_14default_configENS1_27scan_by_key_config_selectorIj11FixedVectorIiLj1EEEEZZNS1_16scan_by_key_implILNS1_25lookback_scan_determinismE0ELb1ES3_N6thrust23THRUST_200600_302600_NS6detail15normal_iteratorINSB_10device_ptrIjEEEENSD_INSE_IS6_EEEESI_S6_NSB_4plusIvEENSB_8equal_toIvEES6_EE10hipError_tPvRmT2_T3_T4_T5_mT6_T7_P12ihipStream_tbENKUlT_T0_E_clISt17integral_constantIbLb1EES12_IbLb0EEEEDaSY_SZ_EUlSY_E_NS1_11comp_targetILNS1_3genE9ELNS1_11target_archE1100ELNS1_3gpuE3ELNS1_3repE0EEENS1_30default_config_static_selectorELNS0_4arch9wavefront6targetE0EEEvT1_.num_named_barrier, 0
	.set _ZN7rocprim17ROCPRIM_400000_NS6detail17trampoline_kernelINS0_14default_configENS1_27scan_by_key_config_selectorIj11FixedVectorIiLj1EEEEZZNS1_16scan_by_key_implILNS1_25lookback_scan_determinismE0ELb1ES3_N6thrust23THRUST_200600_302600_NS6detail15normal_iteratorINSB_10device_ptrIjEEEENSD_INSE_IS6_EEEESI_S6_NSB_4plusIvEENSB_8equal_toIvEES6_EE10hipError_tPvRmT2_T3_T4_T5_mT6_T7_P12ihipStream_tbENKUlT_T0_E_clISt17integral_constantIbLb1EES12_IbLb0EEEEDaSY_SZ_EUlSY_E_NS1_11comp_targetILNS1_3genE9ELNS1_11target_archE1100ELNS1_3gpuE3ELNS1_3repE0EEENS1_30default_config_static_selectorELNS0_4arch9wavefront6targetE0EEEvT1_.private_seg_size, 0
	.set _ZN7rocprim17ROCPRIM_400000_NS6detail17trampoline_kernelINS0_14default_configENS1_27scan_by_key_config_selectorIj11FixedVectorIiLj1EEEEZZNS1_16scan_by_key_implILNS1_25lookback_scan_determinismE0ELb1ES3_N6thrust23THRUST_200600_302600_NS6detail15normal_iteratorINSB_10device_ptrIjEEEENSD_INSE_IS6_EEEESI_S6_NSB_4plusIvEENSB_8equal_toIvEES6_EE10hipError_tPvRmT2_T3_T4_T5_mT6_T7_P12ihipStream_tbENKUlT_T0_E_clISt17integral_constantIbLb1EES12_IbLb0EEEEDaSY_SZ_EUlSY_E_NS1_11comp_targetILNS1_3genE9ELNS1_11target_archE1100ELNS1_3gpuE3ELNS1_3repE0EEENS1_30default_config_static_selectorELNS0_4arch9wavefront6targetE0EEEvT1_.uses_vcc, 0
	.set _ZN7rocprim17ROCPRIM_400000_NS6detail17trampoline_kernelINS0_14default_configENS1_27scan_by_key_config_selectorIj11FixedVectorIiLj1EEEEZZNS1_16scan_by_key_implILNS1_25lookback_scan_determinismE0ELb1ES3_N6thrust23THRUST_200600_302600_NS6detail15normal_iteratorINSB_10device_ptrIjEEEENSD_INSE_IS6_EEEESI_S6_NSB_4plusIvEENSB_8equal_toIvEES6_EE10hipError_tPvRmT2_T3_T4_T5_mT6_T7_P12ihipStream_tbENKUlT_T0_E_clISt17integral_constantIbLb1EES12_IbLb0EEEEDaSY_SZ_EUlSY_E_NS1_11comp_targetILNS1_3genE9ELNS1_11target_archE1100ELNS1_3gpuE3ELNS1_3repE0EEENS1_30default_config_static_selectorELNS0_4arch9wavefront6targetE0EEEvT1_.uses_flat_scratch, 0
	.set _ZN7rocprim17ROCPRIM_400000_NS6detail17trampoline_kernelINS0_14default_configENS1_27scan_by_key_config_selectorIj11FixedVectorIiLj1EEEEZZNS1_16scan_by_key_implILNS1_25lookback_scan_determinismE0ELb1ES3_N6thrust23THRUST_200600_302600_NS6detail15normal_iteratorINSB_10device_ptrIjEEEENSD_INSE_IS6_EEEESI_S6_NSB_4plusIvEENSB_8equal_toIvEES6_EE10hipError_tPvRmT2_T3_T4_T5_mT6_T7_P12ihipStream_tbENKUlT_T0_E_clISt17integral_constantIbLb1EES12_IbLb0EEEEDaSY_SZ_EUlSY_E_NS1_11comp_targetILNS1_3genE9ELNS1_11target_archE1100ELNS1_3gpuE3ELNS1_3repE0EEENS1_30default_config_static_selectorELNS0_4arch9wavefront6targetE0EEEvT1_.has_dyn_sized_stack, 0
	.set _ZN7rocprim17ROCPRIM_400000_NS6detail17trampoline_kernelINS0_14default_configENS1_27scan_by_key_config_selectorIj11FixedVectorIiLj1EEEEZZNS1_16scan_by_key_implILNS1_25lookback_scan_determinismE0ELb1ES3_N6thrust23THRUST_200600_302600_NS6detail15normal_iteratorINSB_10device_ptrIjEEEENSD_INSE_IS6_EEEESI_S6_NSB_4plusIvEENSB_8equal_toIvEES6_EE10hipError_tPvRmT2_T3_T4_T5_mT6_T7_P12ihipStream_tbENKUlT_T0_E_clISt17integral_constantIbLb1EES12_IbLb0EEEEDaSY_SZ_EUlSY_E_NS1_11comp_targetILNS1_3genE9ELNS1_11target_archE1100ELNS1_3gpuE3ELNS1_3repE0EEENS1_30default_config_static_selectorELNS0_4arch9wavefront6targetE0EEEvT1_.has_recursion, 0
	.set _ZN7rocprim17ROCPRIM_400000_NS6detail17trampoline_kernelINS0_14default_configENS1_27scan_by_key_config_selectorIj11FixedVectorIiLj1EEEEZZNS1_16scan_by_key_implILNS1_25lookback_scan_determinismE0ELb1ES3_N6thrust23THRUST_200600_302600_NS6detail15normal_iteratorINSB_10device_ptrIjEEEENSD_INSE_IS6_EEEESI_S6_NSB_4plusIvEENSB_8equal_toIvEES6_EE10hipError_tPvRmT2_T3_T4_T5_mT6_T7_P12ihipStream_tbENKUlT_T0_E_clISt17integral_constantIbLb1EES12_IbLb0EEEEDaSY_SZ_EUlSY_E_NS1_11comp_targetILNS1_3genE9ELNS1_11target_archE1100ELNS1_3gpuE3ELNS1_3repE0EEENS1_30default_config_static_selectorELNS0_4arch9wavefront6targetE0EEEvT1_.has_indirect_call, 0
	.section	.AMDGPU.csdata,"",@progbits
; Kernel info:
; codeLenInByte = 0
; TotalNumSgprs: 0
; NumVgprs: 0
; ScratchSize: 0
; MemoryBound: 0
; FloatMode: 240
; IeeeMode: 1
; LDSByteSize: 0 bytes/workgroup (compile time only)
; SGPRBlocks: 0
; VGPRBlocks: 0
; NumSGPRsForWavesPerEU: 1
; NumVGPRsForWavesPerEU: 1
; NamedBarCnt: 0
; Occupancy: 16
; WaveLimiterHint : 0
; COMPUTE_PGM_RSRC2:SCRATCH_EN: 0
; COMPUTE_PGM_RSRC2:USER_SGPR: 2
; COMPUTE_PGM_RSRC2:TRAP_HANDLER: 0
; COMPUTE_PGM_RSRC2:TGID_X_EN: 1
; COMPUTE_PGM_RSRC2:TGID_Y_EN: 0
; COMPUTE_PGM_RSRC2:TGID_Z_EN: 0
; COMPUTE_PGM_RSRC2:TIDIG_COMP_CNT: 0
	.section	.text._ZN7rocprim17ROCPRIM_400000_NS6detail17trampoline_kernelINS0_14default_configENS1_27scan_by_key_config_selectorIj11FixedVectorIiLj1EEEEZZNS1_16scan_by_key_implILNS1_25lookback_scan_determinismE0ELb1ES3_N6thrust23THRUST_200600_302600_NS6detail15normal_iteratorINSB_10device_ptrIjEEEENSD_INSE_IS6_EEEESI_S6_NSB_4plusIvEENSB_8equal_toIvEES6_EE10hipError_tPvRmT2_T3_T4_T5_mT6_T7_P12ihipStream_tbENKUlT_T0_E_clISt17integral_constantIbLb1EES12_IbLb0EEEEDaSY_SZ_EUlSY_E_NS1_11comp_targetILNS1_3genE8ELNS1_11target_archE1030ELNS1_3gpuE2ELNS1_3repE0EEENS1_30default_config_static_selectorELNS0_4arch9wavefront6targetE0EEEvT1_,"axG",@progbits,_ZN7rocprim17ROCPRIM_400000_NS6detail17trampoline_kernelINS0_14default_configENS1_27scan_by_key_config_selectorIj11FixedVectorIiLj1EEEEZZNS1_16scan_by_key_implILNS1_25lookback_scan_determinismE0ELb1ES3_N6thrust23THRUST_200600_302600_NS6detail15normal_iteratorINSB_10device_ptrIjEEEENSD_INSE_IS6_EEEESI_S6_NSB_4plusIvEENSB_8equal_toIvEES6_EE10hipError_tPvRmT2_T3_T4_T5_mT6_T7_P12ihipStream_tbENKUlT_T0_E_clISt17integral_constantIbLb1EES12_IbLb0EEEEDaSY_SZ_EUlSY_E_NS1_11comp_targetILNS1_3genE8ELNS1_11target_archE1030ELNS1_3gpuE2ELNS1_3repE0EEENS1_30default_config_static_selectorELNS0_4arch9wavefront6targetE0EEEvT1_,comdat
	.protected	_ZN7rocprim17ROCPRIM_400000_NS6detail17trampoline_kernelINS0_14default_configENS1_27scan_by_key_config_selectorIj11FixedVectorIiLj1EEEEZZNS1_16scan_by_key_implILNS1_25lookback_scan_determinismE0ELb1ES3_N6thrust23THRUST_200600_302600_NS6detail15normal_iteratorINSB_10device_ptrIjEEEENSD_INSE_IS6_EEEESI_S6_NSB_4plusIvEENSB_8equal_toIvEES6_EE10hipError_tPvRmT2_T3_T4_T5_mT6_T7_P12ihipStream_tbENKUlT_T0_E_clISt17integral_constantIbLb1EES12_IbLb0EEEEDaSY_SZ_EUlSY_E_NS1_11comp_targetILNS1_3genE8ELNS1_11target_archE1030ELNS1_3gpuE2ELNS1_3repE0EEENS1_30default_config_static_selectorELNS0_4arch9wavefront6targetE0EEEvT1_ ; -- Begin function _ZN7rocprim17ROCPRIM_400000_NS6detail17trampoline_kernelINS0_14default_configENS1_27scan_by_key_config_selectorIj11FixedVectorIiLj1EEEEZZNS1_16scan_by_key_implILNS1_25lookback_scan_determinismE0ELb1ES3_N6thrust23THRUST_200600_302600_NS6detail15normal_iteratorINSB_10device_ptrIjEEEENSD_INSE_IS6_EEEESI_S6_NSB_4plusIvEENSB_8equal_toIvEES6_EE10hipError_tPvRmT2_T3_T4_T5_mT6_T7_P12ihipStream_tbENKUlT_T0_E_clISt17integral_constantIbLb1EES12_IbLb0EEEEDaSY_SZ_EUlSY_E_NS1_11comp_targetILNS1_3genE8ELNS1_11target_archE1030ELNS1_3gpuE2ELNS1_3repE0EEENS1_30default_config_static_selectorELNS0_4arch9wavefront6targetE0EEEvT1_
	.globl	_ZN7rocprim17ROCPRIM_400000_NS6detail17trampoline_kernelINS0_14default_configENS1_27scan_by_key_config_selectorIj11FixedVectorIiLj1EEEEZZNS1_16scan_by_key_implILNS1_25lookback_scan_determinismE0ELb1ES3_N6thrust23THRUST_200600_302600_NS6detail15normal_iteratorINSB_10device_ptrIjEEEENSD_INSE_IS6_EEEESI_S6_NSB_4plusIvEENSB_8equal_toIvEES6_EE10hipError_tPvRmT2_T3_T4_T5_mT6_T7_P12ihipStream_tbENKUlT_T0_E_clISt17integral_constantIbLb1EES12_IbLb0EEEEDaSY_SZ_EUlSY_E_NS1_11comp_targetILNS1_3genE8ELNS1_11target_archE1030ELNS1_3gpuE2ELNS1_3repE0EEENS1_30default_config_static_selectorELNS0_4arch9wavefront6targetE0EEEvT1_
	.p2align	8
	.type	_ZN7rocprim17ROCPRIM_400000_NS6detail17trampoline_kernelINS0_14default_configENS1_27scan_by_key_config_selectorIj11FixedVectorIiLj1EEEEZZNS1_16scan_by_key_implILNS1_25lookback_scan_determinismE0ELb1ES3_N6thrust23THRUST_200600_302600_NS6detail15normal_iteratorINSB_10device_ptrIjEEEENSD_INSE_IS6_EEEESI_S6_NSB_4plusIvEENSB_8equal_toIvEES6_EE10hipError_tPvRmT2_T3_T4_T5_mT6_T7_P12ihipStream_tbENKUlT_T0_E_clISt17integral_constantIbLb1EES12_IbLb0EEEEDaSY_SZ_EUlSY_E_NS1_11comp_targetILNS1_3genE8ELNS1_11target_archE1030ELNS1_3gpuE2ELNS1_3repE0EEENS1_30default_config_static_selectorELNS0_4arch9wavefront6targetE0EEEvT1_,@function
_ZN7rocprim17ROCPRIM_400000_NS6detail17trampoline_kernelINS0_14default_configENS1_27scan_by_key_config_selectorIj11FixedVectorIiLj1EEEEZZNS1_16scan_by_key_implILNS1_25lookback_scan_determinismE0ELb1ES3_N6thrust23THRUST_200600_302600_NS6detail15normal_iteratorINSB_10device_ptrIjEEEENSD_INSE_IS6_EEEESI_S6_NSB_4plusIvEENSB_8equal_toIvEES6_EE10hipError_tPvRmT2_T3_T4_T5_mT6_T7_P12ihipStream_tbENKUlT_T0_E_clISt17integral_constantIbLb1EES12_IbLb0EEEEDaSY_SZ_EUlSY_E_NS1_11comp_targetILNS1_3genE8ELNS1_11target_archE1030ELNS1_3gpuE2ELNS1_3repE0EEENS1_30default_config_static_selectorELNS0_4arch9wavefront6targetE0EEEvT1_: ; @_ZN7rocprim17ROCPRIM_400000_NS6detail17trampoline_kernelINS0_14default_configENS1_27scan_by_key_config_selectorIj11FixedVectorIiLj1EEEEZZNS1_16scan_by_key_implILNS1_25lookback_scan_determinismE0ELb1ES3_N6thrust23THRUST_200600_302600_NS6detail15normal_iteratorINSB_10device_ptrIjEEEENSD_INSE_IS6_EEEESI_S6_NSB_4plusIvEENSB_8equal_toIvEES6_EE10hipError_tPvRmT2_T3_T4_T5_mT6_T7_P12ihipStream_tbENKUlT_T0_E_clISt17integral_constantIbLb1EES12_IbLb0EEEEDaSY_SZ_EUlSY_E_NS1_11comp_targetILNS1_3genE8ELNS1_11target_archE1030ELNS1_3gpuE2ELNS1_3repE0EEENS1_30default_config_static_selectorELNS0_4arch9wavefront6targetE0EEEvT1_
; %bb.0:
	.section	.rodata,"a",@progbits
	.p2align	6, 0x0
	.amdhsa_kernel _ZN7rocprim17ROCPRIM_400000_NS6detail17trampoline_kernelINS0_14default_configENS1_27scan_by_key_config_selectorIj11FixedVectorIiLj1EEEEZZNS1_16scan_by_key_implILNS1_25lookback_scan_determinismE0ELb1ES3_N6thrust23THRUST_200600_302600_NS6detail15normal_iteratorINSB_10device_ptrIjEEEENSD_INSE_IS6_EEEESI_S6_NSB_4plusIvEENSB_8equal_toIvEES6_EE10hipError_tPvRmT2_T3_T4_T5_mT6_T7_P12ihipStream_tbENKUlT_T0_E_clISt17integral_constantIbLb1EES12_IbLb0EEEEDaSY_SZ_EUlSY_E_NS1_11comp_targetILNS1_3genE8ELNS1_11target_archE1030ELNS1_3gpuE2ELNS1_3repE0EEENS1_30default_config_static_selectorELNS0_4arch9wavefront6targetE0EEEvT1_
		.amdhsa_group_segment_fixed_size 0
		.amdhsa_private_segment_fixed_size 0
		.amdhsa_kernarg_size 112
		.amdhsa_user_sgpr_count 2
		.amdhsa_user_sgpr_dispatch_ptr 0
		.amdhsa_user_sgpr_queue_ptr 0
		.amdhsa_user_sgpr_kernarg_segment_ptr 1
		.amdhsa_user_sgpr_dispatch_id 0
		.amdhsa_user_sgpr_kernarg_preload_length 0
		.amdhsa_user_sgpr_kernarg_preload_offset 0
		.amdhsa_user_sgpr_private_segment_size 0
		.amdhsa_wavefront_size32 1
		.amdhsa_uses_dynamic_stack 0
		.amdhsa_enable_private_segment 0
		.amdhsa_system_sgpr_workgroup_id_x 1
		.amdhsa_system_sgpr_workgroup_id_y 0
		.amdhsa_system_sgpr_workgroup_id_z 0
		.amdhsa_system_sgpr_workgroup_info 0
		.amdhsa_system_vgpr_workitem_id 0
		.amdhsa_next_free_vgpr 1
		.amdhsa_next_free_sgpr 1
		.amdhsa_named_barrier_count 0
		.amdhsa_reserve_vcc 0
		.amdhsa_float_round_mode_32 0
		.amdhsa_float_round_mode_16_64 0
		.amdhsa_float_denorm_mode_32 3
		.amdhsa_float_denorm_mode_16_64 3
		.amdhsa_fp16_overflow 0
		.amdhsa_memory_ordered 1
		.amdhsa_forward_progress 1
		.amdhsa_inst_pref_size 0
		.amdhsa_round_robin_scheduling 0
		.amdhsa_exception_fp_ieee_invalid_op 0
		.amdhsa_exception_fp_denorm_src 0
		.amdhsa_exception_fp_ieee_div_zero 0
		.amdhsa_exception_fp_ieee_overflow 0
		.amdhsa_exception_fp_ieee_underflow 0
		.amdhsa_exception_fp_ieee_inexact 0
		.amdhsa_exception_int_div_zero 0
	.end_amdhsa_kernel
	.section	.text._ZN7rocprim17ROCPRIM_400000_NS6detail17trampoline_kernelINS0_14default_configENS1_27scan_by_key_config_selectorIj11FixedVectorIiLj1EEEEZZNS1_16scan_by_key_implILNS1_25lookback_scan_determinismE0ELb1ES3_N6thrust23THRUST_200600_302600_NS6detail15normal_iteratorINSB_10device_ptrIjEEEENSD_INSE_IS6_EEEESI_S6_NSB_4plusIvEENSB_8equal_toIvEES6_EE10hipError_tPvRmT2_T3_T4_T5_mT6_T7_P12ihipStream_tbENKUlT_T0_E_clISt17integral_constantIbLb1EES12_IbLb0EEEEDaSY_SZ_EUlSY_E_NS1_11comp_targetILNS1_3genE8ELNS1_11target_archE1030ELNS1_3gpuE2ELNS1_3repE0EEENS1_30default_config_static_selectorELNS0_4arch9wavefront6targetE0EEEvT1_,"axG",@progbits,_ZN7rocprim17ROCPRIM_400000_NS6detail17trampoline_kernelINS0_14default_configENS1_27scan_by_key_config_selectorIj11FixedVectorIiLj1EEEEZZNS1_16scan_by_key_implILNS1_25lookback_scan_determinismE0ELb1ES3_N6thrust23THRUST_200600_302600_NS6detail15normal_iteratorINSB_10device_ptrIjEEEENSD_INSE_IS6_EEEESI_S6_NSB_4plusIvEENSB_8equal_toIvEES6_EE10hipError_tPvRmT2_T3_T4_T5_mT6_T7_P12ihipStream_tbENKUlT_T0_E_clISt17integral_constantIbLb1EES12_IbLb0EEEEDaSY_SZ_EUlSY_E_NS1_11comp_targetILNS1_3genE8ELNS1_11target_archE1030ELNS1_3gpuE2ELNS1_3repE0EEENS1_30default_config_static_selectorELNS0_4arch9wavefront6targetE0EEEvT1_,comdat
.Lfunc_end1937:
	.size	_ZN7rocprim17ROCPRIM_400000_NS6detail17trampoline_kernelINS0_14default_configENS1_27scan_by_key_config_selectorIj11FixedVectorIiLj1EEEEZZNS1_16scan_by_key_implILNS1_25lookback_scan_determinismE0ELb1ES3_N6thrust23THRUST_200600_302600_NS6detail15normal_iteratorINSB_10device_ptrIjEEEENSD_INSE_IS6_EEEESI_S6_NSB_4plusIvEENSB_8equal_toIvEES6_EE10hipError_tPvRmT2_T3_T4_T5_mT6_T7_P12ihipStream_tbENKUlT_T0_E_clISt17integral_constantIbLb1EES12_IbLb0EEEEDaSY_SZ_EUlSY_E_NS1_11comp_targetILNS1_3genE8ELNS1_11target_archE1030ELNS1_3gpuE2ELNS1_3repE0EEENS1_30default_config_static_selectorELNS0_4arch9wavefront6targetE0EEEvT1_, .Lfunc_end1937-_ZN7rocprim17ROCPRIM_400000_NS6detail17trampoline_kernelINS0_14default_configENS1_27scan_by_key_config_selectorIj11FixedVectorIiLj1EEEEZZNS1_16scan_by_key_implILNS1_25lookback_scan_determinismE0ELb1ES3_N6thrust23THRUST_200600_302600_NS6detail15normal_iteratorINSB_10device_ptrIjEEEENSD_INSE_IS6_EEEESI_S6_NSB_4plusIvEENSB_8equal_toIvEES6_EE10hipError_tPvRmT2_T3_T4_T5_mT6_T7_P12ihipStream_tbENKUlT_T0_E_clISt17integral_constantIbLb1EES12_IbLb0EEEEDaSY_SZ_EUlSY_E_NS1_11comp_targetILNS1_3genE8ELNS1_11target_archE1030ELNS1_3gpuE2ELNS1_3repE0EEENS1_30default_config_static_selectorELNS0_4arch9wavefront6targetE0EEEvT1_
                                        ; -- End function
	.set _ZN7rocprim17ROCPRIM_400000_NS6detail17trampoline_kernelINS0_14default_configENS1_27scan_by_key_config_selectorIj11FixedVectorIiLj1EEEEZZNS1_16scan_by_key_implILNS1_25lookback_scan_determinismE0ELb1ES3_N6thrust23THRUST_200600_302600_NS6detail15normal_iteratorINSB_10device_ptrIjEEEENSD_INSE_IS6_EEEESI_S6_NSB_4plusIvEENSB_8equal_toIvEES6_EE10hipError_tPvRmT2_T3_T4_T5_mT6_T7_P12ihipStream_tbENKUlT_T0_E_clISt17integral_constantIbLb1EES12_IbLb0EEEEDaSY_SZ_EUlSY_E_NS1_11comp_targetILNS1_3genE8ELNS1_11target_archE1030ELNS1_3gpuE2ELNS1_3repE0EEENS1_30default_config_static_selectorELNS0_4arch9wavefront6targetE0EEEvT1_.num_vgpr, 0
	.set _ZN7rocprim17ROCPRIM_400000_NS6detail17trampoline_kernelINS0_14default_configENS1_27scan_by_key_config_selectorIj11FixedVectorIiLj1EEEEZZNS1_16scan_by_key_implILNS1_25lookback_scan_determinismE0ELb1ES3_N6thrust23THRUST_200600_302600_NS6detail15normal_iteratorINSB_10device_ptrIjEEEENSD_INSE_IS6_EEEESI_S6_NSB_4plusIvEENSB_8equal_toIvEES6_EE10hipError_tPvRmT2_T3_T4_T5_mT6_T7_P12ihipStream_tbENKUlT_T0_E_clISt17integral_constantIbLb1EES12_IbLb0EEEEDaSY_SZ_EUlSY_E_NS1_11comp_targetILNS1_3genE8ELNS1_11target_archE1030ELNS1_3gpuE2ELNS1_3repE0EEENS1_30default_config_static_selectorELNS0_4arch9wavefront6targetE0EEEvT1_.num_agpr, 0
	.set _ZN7rocprim17ROCPRIM_400000_NS6detail17trampoline_kernelINS0_14default_configENS1_27scan_by_key_config_selectorIj11FixedVectorIiLj1EEEEZZNS1_16scan_by_key_implILNS1_25lookback_scan_determinismE0ELb1ES3_N6thrust23THRUST_200600_302600_NS6detail15normal_iteratorINSB_10device_ptrIjEEEENSD_INSE_IS6_EEEESI_S6_NSB_4plusIvEENSB_8equal_toIvEES6_EE10hipError_tPvRmT2_T3_T4_T5_mT6_T7_P12ihipStream_tbENKUlT_T0_E_clISt17integral_constantIbLb1EES12_IbLb0EEEEDaSY_SZ_EUlSY_E_NS1_11comp_targetILNS1_3genE8ELNS1_11target_archE1030ELNS1_3gpuE2ELNS1_3repE0EEENS1_30default_config_static_selectorELNS0_4arch9wavefront6targetE0EEEvT1_.numbered_sgpr, 0
	.set _ZN7rocprim17ROCPRIM_400000_NS6detail17trampoline_kernelINS0_14default_configENS1_27scan_by_key_config_selectorIj11FixedVectorIiLj1EEEEZZNS1_16scan_by_key_implILNS1_25lookback_scan_determinismE0ELb1ES3_N6thrust23THRUST_200600_302600_NS6detail15normal_iteratorINSB_10device_ptrIjEEEENSD_INSE_IS6_EEEESI_S6_NSB_4plusIvEENSB_8equal_toIvEES6_EE10hipError_tPvRmT2_T3_T4_T5_mT6_T7_P12ihipStream_tbENKUlT_T0_E_clISt17integral_constantIbLb1EES12_IbLb0EEEEDaSY_SZ_EUlSY_E_NS1_11comp_targetILNS1_3genE8ELNS1_11target_archE1030ELNS1_3gpuE2ELNS1_3repE0EEENS1_30default_config_static_selectorELNS0_4arch9wavefront6targetE0EEEvT1_.num_named_barrier, 0
	.set _ZN7rocprim17ROCPRIM_400000_NS6detail17trampoline_kernelINS0_14default_configENS1_27scan_by_key_config_selectorIj11FixedVectorIiLj1EEEEZZNS1_16scan_by_key_implILNS1_25lookback_scan_determinismE0ELb1ES3_N6thrust23THRUST_200600_302600_NS6detail15normal_iteratorINSB_10device_ptrIjEEEENSD_INSE_IS6_EEEESI_S6_NSB_4plusIvEENSB_8equal_toIvEES6_EE10hipError_tPvRmT2_T3_T4_T5_mT6_T7_P12ihipStream_tbENKUlT_T0_E_clISt17integral_constantIbLb1EES12_IbLb0EEEEDaSY_SZ_EUlSY_E_NS1_11comp_targetILNS1_3genE8ELNS1_11target_archE1030ELNS1_3gpuE2ELNS1_3repE0EEENS1_30default_config_static_selectorELNS0_4arch9wavefront6targetE0EEEvT1_.private_seg_size, 0
	.set _ZN7rocprim17ROCPRIM_400000_NS6detail17trampoline_kernelINS0_14default_configENS1_27scan_by_key_config_selectorIj11FixedVectorIiLj1EEEEZZNS1_16scan_by_key_implILNS1_25lookback_scan_determinismE0ELb1ES3_N6thrust23THRUST_200600_302600_NS6detail15normal_iteratorINSB_10device_ptrIjEEEENSD_INSE_IS6_EEEESI_S6_NSB_4plusIvEENSB_8equal_toIvEES6_EE10hipError_tPvRmT2_T3_T4_T5_mT6_T7_P12ihipStream_tbENKUlT_T0_E_clISt17integral_constantIbLb1EES12_IbLb0EEEEDaSY_SZ_EUlSY_E_NS1_11comp_targetILNS1_3genE8ELNS1_11target_archE1030ELNS1_3gpuE2ELNS1_3repE0EEENS1_30default_config_static_selectorELNS0_4arch9wavefront6targetE0EEEvT1_.uses_vcc, 0
	.set _ZN7rocprim17ROCPRIM_400000_NS6detail17trampoline_kernelINS0_14default_configENS1_27scan_by_key_config_selectorIj11FixedVectorIiLj1EEEEZZNS1_16scan_by_key_implILNS1_25lookback_scan_determinismE0ELb1ES3_N6thrust23THRUST_200600_302600_NS6detail15normal_iteratorINSB_10device_ptrIjEEEENSD_INSE_IS6_EEEESI_S6_NSB_4plusIvEENSB_8equal_toIvEES6_EE10hipError_tPvRmT2_T3_T4_T5_mT6_T7_P12ihipStream_tbENKUlT_T0_E_clISt17integral_constantIbLb1EES12_IbLb0EEEEDaSY_SZ_EUlSY_E_NS1_11comp_targetILNS1_3genE8ELNS1_11target_archE1030ELNS1_3gpuE2ELNS1_3repE0EEENS1_30default_config_static_selectorELNS0_4arch9wavefront6targetE0EEEvT1_.uses_flat_scratch, 0
	.set _ZN7rocprim17ROCPRIM_400000_NS6detail17trampoline_kernelINS0_14default_configENS1_27scan_by_key_config_selectorIj11FixedVectorIiLj1EEEEZZNS1_16scan_by_key_implILNS1_25lookback_scan_determinismE0ELb1ES3_N6thrust23THRUST_200600_302600_NS6detail15normal_iteratorINSB_10device_ptrIjEEEENSD_INSE_IS6_EEEESI_S6_NSB_4plusIvEENSB_8equal_toIvEES6_EE10hipError_tPvRmT2_T3_T4_T5_mT6_T7_P12ihipStream_tbENKUlT_T0_E_clISt17integral_constantIbLb1EES12_IbLb0EEEEDaSY_SZ_EUlSY_E_NS1_11comp_targetILNS1_3genE8ELNS1_11target_archE1030ELNS1_3gpuE2ELNS1_3repE0EEENS1_30default_config_static_selectorELNS0_4arch9wavefront6targetE0EEEvT1_.has_dyn_sized_stack, 0
	.set _ZN7rocprim17ROCPRIM_400000_NS6detail17trampoline_kernelINS0_14default_configENS1_27scan_by_key_config_selectorIj11FixedVectorIiLj1EEEEZZNS1_16scan_by_key_implILNS1_25lookback_scan_determinismE0ELb1ES3_N6thrust23THRUST_200600_302600_NS6detail15normal_iteratorINSB_10device_ptrIjEEEENSD_INSE_IS6_EEEESI_S6_NSB_4plusIvEENSB_8equal_toIvEES6_EE10hipError_tPvRmT2_T3_T4_T5_mT6_T7_P12ihipStream_tbENKUlT_T0_E_clISt17integral_constantIbLb1EES12_IbLb0EEEEDaSY_SZ_EUlSY_E_NS1_11comp_targetILNS1_3genE8ELNS1_11target_archE1030ELNS1_3gpuE2ELNS1_3repE0EEENS1_30default_config_static_selectorELNS0_4arch9wavefront6targetE0EEEvT1_.has_recursion, 0
	.set _ZN7rocprim17ROCPRIM_400000_NS6detail17trampoline_kernelINS0_14default_configENS1_27scan_by_key_config_selectorIj11FixedVectorIiLj1EEEEZZNS1_16scan_by_key_implILNS1_25lookback_scan_determinismE0ELb1ES3_N6thrust23THRUST_200600_302600_NS6detail15normal_iteratorINSB_10device_ptrIjEEEENSD_INSE_IS6_EEEESI_S6_NSB_4plusIvEENSB_8equal_toIvEES6_EE10hipError_tPvRmT2_T3_T4_T5_mT6_T7_P12ihipStream_tbENKUlT_T0_E_clISt17integral_constantIbLb1EES12_IbLb0EEEEDaSY_SZ_EUlSY_E_NS1_11comp_targetILNS1_3genE8ELNS1_11target_archE1030ELNS1_3gpuE2ELNS1_3repE0EEENS1_30default_config_static_selectorELNS0_4arch9wavefront6targetE0EEEvT1_.has_indirect_call, 0
	.section	.AMDGPU.csdata,"",@progbits
; Kernel info:
; codeLenInByte = 0
; TotalNumSgprs: 0
; NumVgprs: 0
; ScratchSize: 0
; MemoryBound: 0
; FloatMode: 240
; IeeeMode: 1
; LDSByteSize: 0 bytes/workgroup (compile time only)
; SGPRBlocks: 0
; VGPRBlocks: 0
; NumSGPRsForWavesPerEU: 1
; NumVGPRsForWavesPerEU: 1
; NamedBarCnt: 0
; Occupancy: 16
; WaveLimiterHint : 0
; COMPUTE_PGM_RSRC2:SCRATCH_EN: 0
; COMPUTE_PGM_RSRC2:USER_SGPR: 2
; COMPUTE_PGM_RSRC2:TRAP_HANDLER: 0
; COMPUTE_PGM_RSRC2:TGID_X_EN: 1
; COMPUTE_PGM_RSRC2:TGID_Y_EN: 0
; COMPUTE_PGM_RSRC2:TGID_Z_EN: 0
; COMPUTE_PGM_RSRC2:TIDIG_COMP_CNT: 0
	.section	.text._ZN7rocprim17ROCPRIM_400000_NS6detail17trampoline_kernelINS0_14default_configENS1_27scan_by_key_config_selectorIj11FixedVectorIiLj1EEEEZZNS1_16scan_by_key_implILNS1_25lookback_scan_determinismE0ELb1ES3_N6thrust23THRUST_200600_302600_NS6detail15normal_iteratorINSB_10device_ptrIjEEEENSD_INSE_IS6_EEEESI_S6_NSB_4plusIvEENSB_8equal_toIvEES6_EE10hipError_tPvRmT2_T3_T4_T5_mT6_T7_P12ihipStream_tbENKUlT_T0_E_clISt17integral_constantIbLb0EES12_IbLb1EEEEDaSY_SZ_EUlSY_E_NS1_11comp_targetILNS1_3genE0ELNS1_11target_archE4294967295ELNS1_3gpuE0ELNS1_3repE0EEENS1_30default_config_static_selectorELNS0_4arch9wavefront6targetE0EEEvT1_,"axG",@progbits,_ZN7rocprim17ROCPRIM_400000_NS6detail17trampoline_kernelINS0_14default_configENS1_27scan_by_key_config_selectorIj11FixedVectorIiLj1EEEEZZNS1_16scan_by_key_implILNS1_25lookback_scan_determinismE0ELb1ES3_N6thrust23THRUST_200600_302600_NS6detail15normal_iteratorINSB_10device_ptrIjEEEENSD_INSE_IS6_EEEESI_S6_NSB_4plusIvEENSB_8equal_toIvEES6_EE10hipError_tPvRmT2_T3_T4_T5_mT6_T7_P12ihipStream_tbENKUlT_T0_E_clISt17integral_constantIbLb0EES12_IbLb1EEEEDaSY_SZ_EUlSY_E_NS1_11comp_targetILNS1_3genE0ELNS1_11target_archE4294967295ELNS1_3gpuE0ELNS1_3repE0EEENS1_30default_config_static_selectorELNS0_4arch9wavefront6targetE0EEEvT1_,comdat
	.protected	_ZN7rocprim17ROCPRIM_400000_NS6detail17trampoline_kernelINS0_14default_configENS1_27scan_by_key_config_selectorIj11FixedVectorIiLj1EEEEZZNS1_16scan_by_key_implILNS1_25lookback_scan_determinismE0ELb1ES3_N6thrust23THRUST_200600_302600_NS6detail15normal_iteratorINSB_10device_ptrIjEEEENSD_INSE_IS6_EEEESI_S6_NSB_4plusIvEENSB_8equal_toIvEES6_EE10hipError_tPvRmT2_T3_T4_T5_mT6_T7_P12ihipStream_tbENKUlT_T0_E_clISt17integral_constantIbLb0EES12_IbLb1EEEEDaSY_SZ_EUlSY_E_NS1_11comp_targetILNS1_3genE0ELNS1_11target_archE4294967295ELNS1_3gpuE0ELNS1_3repE0EEENS1_30default_config_static_selectorELNS0_4arch9wavefront6targetE0EEEvT1_ ; -- Begin function _ZN7rocprim17ROCPRIM_400000_NS6detail17trampoline_kernelINS0_14default_configENS1_27scan_by_key_config_selectorIj11FixedVectorIiLj1EEEEZZNS1_16scan_by_key_implILNS1_25lookback_scan_determinismE0ELb1ES3_N6thrust23THRUST_200600_302600_NS6detail15normal_iteratorINSB_10device_ptrIjEEEENSD_INSE_IS6_EEEESI_S6_NSB_4plusIvEENSB_8equal_toIvEES6_EE10hipError_tPvRmT2_T3_T4_T5_mT6_T7_P12ihipStream_tbENKUlT_T0_E_clISt17integral_constantIbLb0EES12_IbLb1EEEEDaSY_SZ_EUlSY_E_NS1_11comp_targetILNS1_3genE0ELNS1_11target_archE4294967295ELNS1_3gpuE0ELNS1_3repE0EEENS1_30default_config_static_selectorELNS0_4arch9wavefront6targetE0EEEvT1_
	.globl	_ZN7rocprim17ROCPRIM_400000_NS6detail17trampoline_kernelINS0_14default_configENS1_27scan_by_key_config_selectorIj11FixedVectorIiLj1EEEEZZNS1_16scan_by_key_implILNS1_25lookback_scan_determinismE0ELb1ES3_N6thrust23THRUST_200600_302600_NS6detail15normal_iteratorINSB_10device_ptrIjEEEENSD_INSE_IS6_EEEESI_S6_NSB_4plusIvEENSB_8equal_toIvEES6_EE10hipError_tPvRmT2_T3_T4_T5_mT6_T7_P12ihipStream_tbENKUlT_T0_E_clISt17integral_constantIbLb0EES12_IbLb1EEEEDaSY_SZ_EUlSY_E_NS1_11comp_targetILNS1_3genE0ELNS1_11target_archE4294967295ELNS1_3gpuE0ELNS1_3repE0EEENS1_30default_config_static_selectorELNS0_4arch9wavefront6targetE0EEEvT1_
	.p2align	8
	.type	_ZN7rocprim17ROCPRIM_400000_NS6detail17trampoline_kernelINS0_14default_configENS1_27scan_by_key_config_selectorIj11FixedVectorIiLj1EEEEZZNS1_16scan_by_key_implILNS1_25lookback_scan_determinismE0ELb1ES3_N6thrust23THRUST_200600_302600_NS6detail15normal_iteratorINSB_10device_ptrIjEEEENSD_INSE_IS6_EEEESI_S6_NSB_4plusIvEENSB_8equal_toIvEES6_EE10hipError_tPvRmT2_T3_T4_T5_mT6_T7_P12ihipStream_tbENKUlT_T0_E_clISt17integral_constantIbLb0EES12_IbLb1EEEEDaSY_SZ_EUlSY_E_NS1_11comp_targetILNS1_3genE0ELNS1_11target_archE4294967295ELNS1_3gpuE0ELNS1_3repE0EEENS1_30default_config_static_selectorELNS0_4arch9wavefront6targetE0EEEvT1_,@function
_ZN7rocprim17ROCPRIM_400000_NS6detail17trampoline_kernelINS0_14default_configENS1_27scan_by_key_config_selectorIj11FixedVectorIiLj1EEEEZZNS1_16scan_by_key_implILNS1_25lookback_scan_determinismE0ELb1ES3_N6thrust23THRUST_200600_302600_NS6detail15normal_iteratorINSB_10device_ptrIjEEEENSD_INSE_IS6_EEEESI_S6_NSB_4plusIvEENSB_8equal_toIvEES6_EE10hipError_tPvRmT2_T3_T4_T5_mT6_T7_P12ihipStream_tbENKUlT_T0_E_clISt17integral_constantIbLb0EES12_IbLb1EEEEDaSY_SZ_EUlSY_E_NS1_11comp_targetILNS1_3genE0ELNS1_11target_archE4294967295ELNS1_3gpuE0ELNS1_3repE0EEENS1_30default_config_static_selectorELNS0_4arch9wavefront6targetE0EEEvT1_: ; @_ZN7rocprim17ROCPRIM_400000_NS6detail17trampoline_kernelINS0_14default_configENS1_27scan_by_key_config_selectorIj11FixedVectorIiLj1EEEEZZNS1_16scan_by_key_implILNS1_25lookback_scan_determinismE0ELb1ES3_N6thrust23THRUST_200600_302600_NS6detail15normal_iteratorINSB_10device_ptrIjEEEENSD_INSE_IS6_EEEESI_S6_NSB_4plusIvEENSB_8equal_toIvEES6_EE10hipError_tPvRmT2_T3_T4_T5_mT6_T7_P12ihipStream_tbENKUlT_T0_E_clISt17integral_constantIbLb0EES12_IbLb1EEEEDaSY_SZ_EUlSY_E_NS1_11comp_targetILNS1_3genE0ELNS1_11target_archE4294967295ELNS1_3gpuE0ELNS1_3repE0EEENS1_30default_config_static_selectorELNS0_4arch9wavefront6targetE0EEEvT1_
; %bb.0:
	s_clause 0x2
	s_load_b32 s33, s[0:1], 0x20
	s_load_b128 s[20:23], s[0:1], 0x28
	s_load_b64 s[30:31], s[0:1], 0x38
	v_cmp_ne_u32_e64 s3, 0, v0
	v_cmp_eq_u32_e64 s2, 0, v0
	s_and_saveexec_b32 s4, s2
	s_cbranch_execz .LBB1938_4
; %bb.1:
	s_mov_b32 s6, exec_lo
	s_mov_b32 s5, exec_lo
	v_mbcnt_lo_u32_b32 v1, s6, 0
                                        ; implicit-def: $vgpr2
	s_delay_alu instid0(VALU_DEP_1)
	v_cmpx_eq_u32_e32 0, v1
	s_cbranch_execz .LBB1938_3
; %bb.2:
	s_load_b64 s[8:9], s[0:1], 0x68
	s_bcnt1_i32_b32 s6, s6
	s_delay_alu instid0(SALU_CYCLE_1)
	v_dual_mov_b32 v2, 0 :: v_dual_mov_b32 v3, s6
	s_wait_xcnt 0x0
	s_wait_kmcnt 0x0
	global_atomic_add_u32 v2, v2, v3, s[8:9] th:TH_ATOMIC_RETURN scope:SCOPE_DEV
.LBB1938_3:
	s_wait_xcnt 0x0
	s_or_b32 exec_lo, exec_lo, s5
	s_wait_loadcnt 0x0
	v_readfirstlane_b32 s5, v2
	s_delay_alu instid0(VALU_DEP_1)
	v_dual_mov_b32 v2, 0 :: v_dual_add_nc_u32 v1, s5, v1
	ds_store_b32 v2, v1
.LBB1938_4:
	s_or_b32 exec_lo, exec_lo, s4
	v_mov_b32_e32 v3, 0
	s_clause 0x2
	s_load_b256 s[12:19], s[0:1], 0x0
	s_load_b32 s4, s[0:1], 0x40
	s_load_b128 s[24:27], s[0:1], 0x48
	s_wait_dscnt 0x0
	s_barrier_signal -1
	s_barrier_wait -1
	ds_load_b32 v2, v3
	s_mov_b32 s5, 0
	s_wait_dscnt 0x0
	s_barrier_signal -1
	s_barrier_wait -1
	s_barrier_signal -1
	s_barrier_wait -1
	s_wait_kmcnt 0x0
	s_lshl_b64 s[28:29], s[14:15], 2
	s_mul_u64 s[0:1], s[30:31], s[4:5]
	s_add_nc_u64 s[10:11], s[24:25], -1
	s_add_nc_u64 s[6:7], s[12:13], s[28:29]
	s_add_nc_u64 s[8:9], s[16:17], s[28:29]
	s_mul_i32 s23, s10, 0xfffff400
	v_add_nc_u64_e32 v[4:5], s[0:1], v[2:3]
	v_readfirstlane_b32 s36, v2
	s_mul_i32 s4, s36, 0xc00
	v_cmp_le_u64_e64 s0, s[10:11], v[4:5]
	s_lshl_b64 s[16:17], s[4:5], 2
	s_delay_alu instid0(SALU_CYCLE_1)
	s_add_nc_u64 s[34:35], s[6:7], s[16:17]
	s_add_nc_u64 s[24:25], s[8:9], s[16:17]
	s_and_b32 vcc_lo, exec_lo, s0
	s_cbranch_vccz .LBB1938_80
; %bb.5:
	flat_load_b32 v1, v3, s[34:35]
	s_add_co_i32 s15, s23, s22
	s_delay_alu instid0(SALU_CYCLE_1)
	v_cmp_gt_u32_e32 vcc_lo, s15, v0
	s_wait_loadcnt_dscnt 0x0
	v_mov_b32_e32 v2, v1
	s_and_saveexec_b32 s1, vcc_lo
	s_cbranch_execz .LBB1938_7
; %bb.6:
	flat_load_b32 v2, v0, s[34:35] scale_offset
.LBB1938_7:
	s_wait_xcnt 0x0
	s_or_b32 exec_lo, exec_lo, s1
	v_or_b32_e32 v3, 0x100, v0
	s_delay_alu instid0(VALU_DEP_1)
	v_cmp_gt_u32_e64 s1, s15, v3
	v_mov_b32_e32 v3, v1
	s_and_saveexec_b32 s4, s1
	s_cbranch_execz .LBB1938_9
; %bb.8:
	flat_load_b32 v3, v0, s[34:35] offset:1024 scale_offset
.LBB1938_9:
	s_wait_xcnt 0x0
	s_or_b32 exec_lo, exec_lo, s4
	v_or_b32_e32 v4, 0x200, v0
	s_delay_alu instid0(VALU_DEP_1)
	v_cmp_gt_u32_e64 s4, s15, v4
	v_mov_b32_e32 v4, v1
	s_and_saveexec_b32 s5, s4
	s_cbranch_execz .LBB1938_11
; %bb.10:
	flat_load_b32 v4, v0, s[34:35] offset:2048 scale_offset
.LBB1938_11:
	;; [unrolled: 11-line block ×10, first 2 shown]
	s_wait_xcnt 0x0
	s_or_b32 exec_lo, exec_lo, s13
	v_or_b32_e32 v13, 0xb00, v0
	s_delay_alu instid0(VALU_DEP_1) | instskip(SKIP_2) | instid1(SALU_CYCLE_1)
	v_cmp_gt_u32_e64 s13, s15, v13
	v_cmp_le_u32_e64 s14, s15, v13
	s_and_saveexec_b32 s37, s14
	s_xor_b32 s14, exec_lo, s37
	s_delay_alu instid0(SALU_CYCLE_1)
	s_and_not1_saveexec_b32 s14, s14
	s_cbranch_execz .LBB1938_29
; %bb.28:
	flat_load_b32 v1, v0, s[34:35] offset:11264 scale_offset
.LBB1938_29:
	s_wait_xcnt 0x0
	s_or_b32 exec_lo, exec_lo, s14
	v_dual_mov_b32 v15, 0 :: v_dual_lshlrev_b32 v14, 2, v0
	s_mov_b32 s37, exec_lo
	s_wait_loadcnt_dscnt 0x0
	ds_store_2addr_stride64_b32 v14, v2, v3 offset1:4
	ds_store_2addr_stride64_b32 v14, v4, v5 offset0:8 offset1:12
	ds_store_2addr_stride64_b32 v14, v6, v7 offset0:16 offset1:20
	;; [unrolled: 1-line block ×5, first 2 shown]
	s_wait_dscnt 0x0
	s_barrier_signal -1
	s_barrier_wait -1
	flat_load_b32 v38, v15, s[34:35]
	v_mad_u32_u24 v1, v0, 44, v14
	ds_load_b128 v[10:13], v1
	ds_load_b128 v[6:9], v1 offset:16
	ds_load_b128 v[2:5], v1 offset:32
	v_mad_i32_i24 v16, 0xffffffd4, v0, v1
	s_wait_dscnt 0x2
	ds_store_b32 v16, v10 offset:13312
	s_wait_loadcnt_dscnt 0x0
	s_barrier_signal -1
	s_barrier_wait -1
	v_cmpx_ne_u32_e32 0xff, v0
; %bb.30:
	v_mul_i32_i24_e32 v16, 0xffffffd4, v0
	s_delay_alu instid0(VALU_DEP_1)
	v_add_nc_u32_e32 v16, v1, v16
	ds_load_b32 v38, v16 offset:13316
; %bb.31:
	s_or_b32 exec_lo, exec_lo, s37
	s_wait_dscnt 0x0
	s_barrier_signal -1
	s_barrier_wait -1
	s_and_saveexec_b32 s14, vcc_lo
	s_cbranch_execz .LBB1938_33
; %bb.32:
	flat_load_b32 v15, v0, s[24:25] scale_offset
.LBB1938_33:
	s_wait_xcnt 0x0
	s_or_b32 exec_lo, exec_lo, s14
	v_dual_mov_b32 v16, 0 :: v_dual_mov_b32 v17, 0
	s_and_saveexec_b32 s14, s1
	s_cbranch_execz .LBB1938_35
; %bb.34:
	flat_load_b32 v17, v0, s[24:25] offset:1024 scale_offset
.LBB1938_35:
	s_wait_xcnt 0x0
	s_or_b32 exec_lo, exec_lo, s14
	s_and_saveexec_b32 s1, s4
	s_cbranch_execz .LBB1938_37
; %bb.36:
	flat_load_b32 v16, v0, s[24:25] offset:2048 scale_offset
.LBB1938_37:
	s_wait_xcnt 0x0
	s_or_b32 exec_lo, exec_lo, s1
	v_dual_mov_b32 v18, 0 :: v_dual_mov_b32 v19, 0
	s_and_saveexec_b32 s1, s5
	s_cbranch_execz .LBB1938_39
; %bb.38:
	flat_load_b32 v19, v0, s[24:25] offset:3072 scale_offset
.LBB1938_39:
	s_wait_xcnt 0x0
	s_or_b32 exec_lo, exec_lo, s1
	s_and_saveexec_b32 s1, s6
	s_cbranch_execz .LBB1938_41
; %bb.40:
	flat_load_b32 v18, v0, s[24:25] offset:4096 scale_offset
.LBB1938_41:
	;; [unrolled: 15-line block ×5, first 2 shown]
	s_wait_xcnt 0x0
	s_or_b32 exec_lo, exec_lo, s1
	v_mul_u32_u24_e32 v39, 12, v0
	v_mov_b32_e32 v26, 0
	s_and_saveexec_b32 s1, s13
	s_cbranch_execz .LBB1938_55
; %bb.54:
	flat_load_b32 v26, v0, s[24:25] offset:11264 scale_offset
.LBB1938_55:
	s_wait_xcnt 0x0
	s_or_b32 exec_lo, exec_lo, s1
	s_wait_loadcnt_dscnt 0x0
	ds_store_2addr_stride64_b32 v14, v15, v17 offset1:4
	ds_store_2addr_stride64_b32 v14, v16, v19 offset0:8 offset1:12
	ds_store_2addr_stride64_b32 v14, v18, v21 offset0:16 offset1:20
	;; [unrolled: 1-line block ×5, first 2 shown]
	v_mov_b64_e32 v[14:15], 0
	v_mov_b64_e32 v[42:43], 0
	;; [unrolled: 1-line block ×21, first 2 shown]
	s_mov_b32 s1, 0
	s_mov_b32 s5, 0
	s_mov_b32 s4, exec_lo
	s_wait_dscnt 0x0
	s_barrier_signal -1
	s_barrier_wait -1
                                        ; implicit-def: $sgpr6
                                        ; implicit-def: $vgpr60
	v_cmpx_gt_u32_e64 s15, v39
	s_cbranch_execz .LBB1938_79
; %bb.56:
	ds_load_b32 v14, v1
	v_cmp_eq_u32_e32 vcc_lo, v10, v11
	v_or_b32_e32 v26, 1, v39
	v_mov_b64_e32 v[42:43], 0
	v_mov_b64_e32 v[40:41], 0
	;; [unrolled: 1-line block ×17, first 2 shown]
	s_wait_dscnt 0x0
	v_cndmask_b32_e32 v14, s33, v14, vcc_lo
	v_cmp_ne_u32_e32 vcc_lo, v10, v11
	v_mov_b64_e32 v[18:19], 0
	v_mov_b64_e32 v[16:17], 0
	s_mov_b32 s7, 0
	s_mov_b32 s5, exec_lo
	v_cndmask_b32_e64 v15, 0, 1, vcc_lo
                                        ; implicit-def: $sgpr6
                                        ; implicit-def: $vgpr60
	v_cmpx_gt_u32_e64 s15, v26
	s_cbranch_execz .LBB1938_78
; %bb.57:
	ds_load_2addr_b32 v[26:27], v1 offset0:1 offset1:2
	v_cmp_eq_u32_e32 vcc_lo, v11, v12
	v_or_b32_e32 v10, 2, v39
	v_mov_b64_e32 v[40:41], 0
	v_mov_b64_e32 v[44:45], 0
	;; [unrolled: 1-line block ×17, first 2 shown]
	s_wait_dscnt 0x0
	v_cndmask_b32_e32 v42, s33, v26, vcc_lo
	v_cmp_ne_u32_e32 vcc_lo, v11, v12
	s_mov_b32 s8, 0
	s_mov_b32 s7, exec_lo
                                        ; implicit-def: $sgpr6
                                        ; implicit-def: $vgpr60
	v_cndmask_b32_e64 v43, 0, 1, vcc_lo
	v_cmpx_gt_u32_e64 s15, v10
	s_cbranch_execz .LBB1938_77
; %bb.58:
	v_cmp_eq_u32_e32 vcc_lo, v12, v13
	v_mov_b64_e32 v[44:45], 0
	v_mov_b64_e32 v[46:47], 0
	;; [unrolled: 1-line block ×4, first 2 shown]
	v_cndmask_b32_e32 v40, s33, v27, vcc_lo
	v_cmp_ne_u32_e32 vcc_lo, v12, v13
	v_mov_b64_e32 v[52:53], 0
	v_mov_b64_e32 v[54:55], 0
	;; [unrolled: 1-line block ×11, first 2 shown]
	v_or_b32_e32 v10, 3, v39
	v_cndmask_b32_e64 v41, 0, 1, vcc_lo
	s_mov_b32 s9, 0
	s_mov_b32 s8, exec_lo
                                        ; implicit-def: $sgpr6
                                        ; implicit-def: $vgpr60
	s_delay_alu instid0(VALU_DEP_2)
	v_cmpx_gt_u32_e64 s15, v10
	s_cbranch_execz .LBB1938_76
; %bb.59:
	ds_load_2addr_b32 v[10:11], v1 offset0:3 offset1:4
	v_cmp_ne_u32_e32 vcc_lo, v13, v6
	v_mov_b64_e32 v[46:47], 0
	v_mov_b64_e32 v[48:49], 0
	;; [unrolled: 1-line block ×4, first 2 shown]
	v_cndmask_b32_e64 v45, 0, 1, vcc_lo
	v_cmp_eq_u32_e32 vcc_lo, v13, v6
	v_mov_b64_e32 v[54:55], 0
	v_mov_b64_e32 v[56:57], 0
	;; [unrolled: 1-line block ×9, first 2 shown]
	v_add_nc_u32_e32 v12, 4, v39
	s_mov_b32 s10, 0
	s_mov_b32 s9, exec_lo
	s_wait_dscnt 0x0
	v_cndmask_b32_e32 v44, s33, v10, vcc_lo
                                        ; implicit-def: $sgpr6
                                        ; implicit-def: $vgpr60
	v_cmpx_gt_u32_e64 s15, v12
	s_cbranch_execz .LBB1938_75
; %bb.60:
	v_cmp_eq_u32_e32 vcc_lo, v6, v7
	v_mov_b64_e32 v[48:49], 0
	v_mov_b64_e32 v[50:51], 0
	;; [unrolled: 1-line block ×4, first 2 shown]
	v_cndmask_b32_e32 v46, s33, v11, vcc_lo
	v_cmp_ne_u32_e32 vcc_lo, v6, v7
	v_mov_b64_e32 v[56:57], 0
	v_mov_b64_e32 v[58:59], 0
	v_mov_b64_e32 v[24:25], 0
	v_mov_b64_e32 v[22:23], 0
	v_mov_b64_e32 v[20:21], 0
	v_mov_b64_e32 v[18:19], 0
	v_mov_b64_e32 v[16:17], 0
	v_add_nc_u32_e32 v10, 5, v39
	v_cndmask_b32_e64 v47, 0, 1, vcc_lo
	s_mov_b32 s11, 0
	s_mov_b32 s10, exec_lo
                                        ; implicit-def: $sgpr6
                                        ; implicit-def: $vgpr60
	s_delay_alu instid0(VALU_DEP_2)
	v_cmpx_gt_u32_e64 s15, v10
	s_cbranch_execz .LBB1938_74
; %bb.61:
	ds_load_2addr_b32 v[10:11], v1 offset0:5 offset1:6
	v_cmp_ne_u32_e32 vcc_lo, v7, v8
	v_mov_b64_e32 v[50:51], 0
	v_mov_b64_e32 v[52:53], 0
	;; [unrolled: 1-line block ×4, first 2 shown]
	v_cndmask_b32_e64 v49, 0, 1, vcc_lo
	v_cmp_eq_u32_e32 vcc_lo, v7, v8
	v_mov_b64_e32 v[58:59], 0
	v_mov_b64_e32 v[22:23], 0
	;; [unrolled: 1-line block ×5, first 2 shown]
	v_add_nc_u32_e32 v6, 6, v39
	s_mov_b32 s12, 0
	s_mov_b32 s11, exec_lo
                                        ; implicit-def: $sgpr6
                                        ; implicit-def: $vgpr60
	s_wait_dscnt 0x0
	v_cndmask_b32_e32 v48, s33, v10, vcc_lo
	v_cmpx_gt_u32_e64 s15, v6
	s_cbranch_execz .LBB1938_73
; %bb.62:
	v_cmp_eq_u32_e32 vcc_lo, v8, v9
	v_mov_b64_e32 v[52:53], 0
	v_mov_b64_e32 v[54:55], 0
	;; [unrolled: 1-line block ×4, first 2 shown]
	v_cndmask_b32_e32 v50, s33, v11, vcc_lo
	v_cmp_ne_u32_e32 vcc_lo, v8, v9
	v_mov_b64_e32 v[20:21], 0
	v_mov_b64_e32 v[18:19], 0
	;; [unrolled: 1-line block ×3, first 2 shown]
	v_add_nc_u32_e32 v6, 7, v39
	v_cndmask_b32_e64 v51, 0, 1, vcc_lo
	s_mov_b32 s13, 0
	s_mov_b32 s12, exec_lo
                                        ; implicit-def: $sgpr6
                                        ; implicit-def: $vgpr60
	s_delay_alu instid0(VALU_DEP_2)
	v_cmpx_gt_u32_e64 s15, v6
	s_cbranch_execz .LBB1938_72
; %bb.63:
	ds_load_2addr_b32 v[6:7], v1 offset0:7 offset1:8
	v_cmp_ne_u32_e32 vcc_lo, v9, v2
	v_mov_b64_e32 v[54:55], 0
	v_mov_b64_e32 v[56:57], 0
	;; [unrolled: 1-line block ×4, first 2 shown]
	v_cndmask_b32_e64 v53, 0, 1, vcc_lo
	v_cmp_eq_u32_e32 vcc_lo, v9, v2
	v_mov_b64_e32 v[16:17], 0
	v_add_nc_u32_e32 v8, 8, v39
	s_mov_b32 s14, 0
	s_mov_b32 s13, exec_lo
                                        ; implicit-def: $sgpr6
                                        ; implicit-def: $vgpr60
	s_wait_dscnt 0x0
	v_cndmask_b32_e32 v52, s33, v6, vcc_lo
	v_cmpx_gt_u32_e64 s15, v8
	s_cbranch_execz .LBB1938_71
; %bb.64:
	v_cmp_eq_u32_e32 vcc_lo, v2, v3
	v_mov_b64_e32 v[56:57], 0
	v_mov_b64_e32 v[58:59], 0
	;; [unrolled: 1-line block ×3, first 2 shown]
	v_add_nc_u32_e32 v6, 9, v39
	v_cndmask_b32_e32 v54, s33, v7, vcc_lo
	v_cmp_ne_u32_e32 vcc_lo, v2, v3
	s_mov_b32 s37, 0
	s_mov_b32 s14, exec_lo
                                        ; implicit-def: $sgpr6
                                        ; implicit-def: $vgpr60
	v_cndmask_b32_e64 v55, 0, 1, vcc_lo
	v_cmpx_gt_u32_e64 s15, v6
	s_cbranch_execz .LBB1938_70
; %bb.65:
	ds_load_2addr_b32 v[6:7], v1 offset0:9 offset1:10
	v_cmp_ne_u32_e32 vcc_lo, v3, v4
	v_mov_b64_e32 v[58:59], 0
	s_mov_b32 s38, 0
	s_mov_b32 s37, exec_lo
                                        ; implicit-def: $sgpr6
                                        ; implicit-def: $vgpr60
	v_cndmask_b32_e64 v57, 0, 1, vcc_lo
	v_cmp_eq_u32_e32 vcc_lo, v3, v4
	s_wait_dscnt 0x0
	v_dual_add_nc_u32 v2, 10, v39 :: v_dual_cndmask_b32 v56, s33, v6, vcc_lo
	s_delay_alu instid0(VALU_DEP_1)
	v_cmpx_gt_u32_e64 s15, v2
	s_cbranch_execz .LBB1938_69
; %bb.66:
	v_cmp_eq_u32_e32 vcc_lo, v4, v5
	v_add_nc_u32_e32 v2, 11, v39
                                        ; implicit-def: $sgpr6
                                        ; implicit-def: $vgpr60
	v_cndmask_b32_e32 v58, s33, v7, vcc_lo
	v_cmp_ne_u32_e32 vcc_lo, v4, v5
	v_cndmask_b32_e64 v59, 0, 1, vcc_lo
	s_delay_alu instid0(VALU_DEP_4) | instskip(SKIP_2) | instid1(SALU_CYCLE_1)
	v_cmp_gt_u32_e32 vcc_lo, s15, v2
	s_mov_b32 s15, 0
	s_and_saveexec_b32 s38, vcc_lo
	s_xor_b32 s38, exec_lo, s38
	s_cbranch_execz .LBB1938_68
; %bb.67:
	ds_load_b32 v1, v1 offset:44
	v_cmp_ne_u32_e64 s6, v5, v38
	s_mov_b32 s15, exec_lo
	s_wait_dscnt 0x0
	v_cndmask_b32_e64 v60, v1, s33, s6
.LBB1938_68:
	s_or_b32 exec_lo, exec_lo, s38
	s_delay_alu instid0(SALU_CYCLE_1)
	s_and_b32 s38, s15, exec_lo
.LBB1938_69:
	s_or_b32 exec_lo, exec_lo, s37
	v_mov_b64_e32 v[16:17], v[58:59]
	s_and_b32 s37, s38, exec_lo
.LBB1938_70:
	s_or_b32 exec_lo, exec_lo, s14
	v_mov_b64_e32 v[18:19], v[56:57]
	s_and_b32 s14, s37, exec_lo
.LBB1938_71:
	s_or_b32 exec_lo, exec_lo, s13
	v_mov_b64_e32 v[20:21], v[54:55]
	s_and_b32 s13, s14, exec_lo
.LBB1938_72:
	s_or_b32 exec_lo, exec_lo, s12
	v_mov_b64_e32 v[22:23], v[52:53]
	s_and_b32 s12, s13, exec_lo
.LBB1938_73:
	s_or_b32 exec_lo, exec_lo, s11
	v_mov_b64_e32 v[24:25], v[50:51]
	s_and_b32 s11, s12, exec_lo
.LBB1938_74:
	s_or_b32 exec_lo, exec_lo, s10
	v_mov_b64_e32 v[28:29], v[48:49]
	s_and_b32 s10, s11, exec_lo
.LBB1938_75:
	s_or_b32 exec_lo, exec_lo, s9
	v_mov_b64_e32 v[30:31], v[46:47]
	s_and_b32 s9, s10, exec_lo
.LBB1938_76:
	s_or_b32 exec_lo, exec_lo, s8
	v_mov_b64_e32 v[32:33], v[44:45]
	s_and_b32 s8, s9, exec_lo
.LBB1938_77:
	s_or_b32 exec_lo, exec_lo, s7
	v_mov_b64_e32 v[34:35], v[40:41]
	s_and_b32 s7, s8, exec_lo
.LBB1938_78:
	s_or_b32 exec_lo, exec_lo, s5
	v_mov_b64_e32 v[36:37], v[42:43]
	s_and_b32 s5, s7, exec_lo
.LBB1938_79:
	s_or_b32 exec_lo, exec_lo, s4
	v_lshlrev_b32_e32 v26, 2, v0
	s_and_b32 vcc_lo, exec_lo, s1
	s_cbranch_vccnz .LBB1938_81
	s_branch .LBB1938_86
.LBB1938_80:
                                        ; implicit-def: $sgpr6
                                        ; implicit-def: $vgpr14_vgpr15
                                        ; implicit-def: $vgpr42_vgpr43
                                        ; implicit-def: $vgpr40_vgpr41
                                        ; implicit-def: $vgpr44_vgpr45
                                        ; implicit-def: $vgpr46_vgpr47
                                        ; implicit-def: $vgpr48_vgpr49
                                        ; implicit-def: $vgpr50_vgpr51
                                        ; implicit-def: $vgpr52_vgpr53
                                        ; implicit-def: $vgpr54_vgpr55
                                        ; implicit-def: $vgpr56_vgpr57
                                        ; implicit-def: $vgpr58_vgpr59
                                        ; implicit-def: $vgpr60
                                        ; implicit-def: $vgpr36_vgpr37
                                        ; implicit-def: $vgpr34_vgpr35
                                        ; implicit-def: $vgpr32_vgpr33
                                        ; implicit-def: $vgpr30_vgpr31
                                        ; implicit-def: $vgpr28_vgpr29
                                        ; implicit-def: $vgpr24_vgpr25
                                        ; implicit-def: $vgpr22_vgpr23
                                        ; implicit-def: $vgpr20_vgpr21
                                        ; implicit-def: $vgpr18_vgpr19
                                        ; implicit-def: $vgpr16_vgpr17
	v_lshlrev_b32_e32 v26, 2, v0
	s_cbranch_execz .LBB1938_86
.LBB1938_81:
	s_clause 0xb
	flat_load_b32 v1, v0, s[34:35] scale_offset
	flat_load_b32 v2, v0, s[34:35] offset:1024 scale_offset
	flat_load_b32 v3, v0, s[34:35] offset:2048 scale_offset
	;; [unrolled: 1-line block ×11, first 2 shown]
	v_mov_b32_e32 v13, 0
	v_mad_u32_u24 v28, v0, 44, v26
	s_mov_b32 s1, exec_lo
	s_wait_loadcnt_dscnt 0xa0a
	ds_store_2addr_stride64_b32 v26, v1, v2 offset1:4
	s_wait_loadcnt_dscnt 0x809
	ds_store_2addr_stride64_b32 v26, v3, v4 offset0:8 offset1:12
	s_wait_loadcnt_dscnt 0x608
	ds_store_2addr_stride64_b32 v26, v5, v6 offset0:16 offset1:20
	;; [unrolled: 2-line block ×5, first 2 shown]
	s_wait_dscnt 0x0
	s_barrier_signal -1
	s_barrier_wait -1
	flat_load_b32 v1, v13, s[34:35] offset:12288
	s_wait_xcnt 0x0
	ds_load_b128 v[10:13], v28
	ds_load_b128 v[6:9], v28 offset:16
	ds_load_b128 v[2:5], v28 offset:32
	v_mad_i32_i24 v14, 0xffffffd4, v0, v28
	s_wait_dscnt 0x2
	ds_store_b32 v14, v10 offset:13312
	s_wait_loadcnt_dscnt 0x0
	s_barrier_signal -1
	s_barrier_wait -1
	v_cmpx_ne_u32_e32 0xff, v0
; %bb.82:
	v_mul_i32_i24_e32 v1, 0xffffffd4, v0
	s_delay_alu instid0(VALU_DEP_1)
	v_add_nc_u32_e32 v1, v28, v1
	ds_load_b32 v1, v1 offset:13316
; %bb.83:
	s_or_b32 exec_lo, exec_lo, s1
	s_wait_dscnt 0x0
	s_barrier_signal -1
	s_barrier_wait -1
	s_clause 0xb
	flat_load_b32 v14, v0, s[24:25] scale_offset
	flat_load_b32 v15, v0, s[24:25] offset:1024 scale_offset
	flat_load_b32 v16, v0, s[24:25] offset:2048 scale_offset
	;; [unrolled: 1-line block ×11, first 2 shown]
	v_cmp_eq_u32_e32 vcc_lo, v10, v11
	v_mov_b32_e32 v10, s33
	s_wait_loadcnt_dscnt 0xa0a
	ds_store_2addr_stride64_b32 v26, v14, v15 offset1:4
	s_wait_loadcnt_dscnt 0x809
	ds_store_2addr_stride64_b32 v26, v16, v17 offset0:8 offset1:12
	s_wait_loadcnt_dscnt 0x608
	ds_store_2addr_stride64_b32 v26, v18, v19 offset0:16 offset1:20
	;; [unrolled: 2-line block ×5, first 2 shown]
	s_wait_dscnt 0x0
	s_barrier_signal -1
	s_barrier_wait -1
	ds_load_2addr_b32 v[24:25], v28 offset0:1 offset1:2
	ds_load_2addr_b32 v[22:23], v28 offset0:3 offset1:4
	;; [unrolled: 1-line block ×5, first 2 shown]
	ds_load_b32 v27, v28 offset:44
	v_mov_b64_e32 v[14:15], 0x100000000
	s_and_saveexec_b32 s1, vcc_lo
; %bb.84:
	ds_load_b32 v10, v28
	v_mov_b64_e32 v[14:15], 0
; %bb.85:
	s_or_b32 exec_lo, exec_lo, s1
	v_cmp_eq_u32_e32 vcc_lo, v11, v12
	s_wait_dscnt 0x0
	s_delay_alu instid0(VALU_DEP_2)
	v_or_b32_e32 v14, v14, v10
	v_cmp_ne_u32_e64 s6, v5, v1
	s_mov_b32 s5, -1
	v_cndmask_b32_e32 v42, s33, v24, vcc_lo
	v_cmp_ne_u32_e32 vcc_lo, v11, v12
	v_cndmask_b32_e64 v60, v27, s33, s6
	v_cndmask_b32_e64 v43, 0, 1, vcc_lo
	v_cmp_eq_u32_e32 vcc_lo, v12, v13
	s_delay_alu instid0(VALU_DEP_2) | instskip(SKIP_4) | instid1(VALU_DEP_2)
	v_mov_b64_e32 v[36:37], v[42:43]
	v_cndmask_b32_e32 v40, s33, v25, vcc_lo
	v_cmp_ne_u32_e32 vcc_lo, v12, v13
	v_cndmask_b32_e64 v41, 0, 1, vcc_lo
	v_cmp_eq_u32_e32 vcc_lo, v13, v6
	v_mov_b64_e32 v[34:35], v[40:41]
	v_cndmask_b32_e32 v44, s33, v22, vcc_lo
	v_cmp_ne_u32_e32 vcc_lo, v13, v6
	v_cndmask_b32_e64 v45, 0, 1, vcc_lo
	v_cmp_eq_u32_e32 vcc_lo, v6, v7
	s_delay_alu instid0(VALU_DEP_2) | instskip(SKIP_4) | instid1(VALU_DEP_2)
	v_mov_b64_e32 v[32:33], v[44:45]
	v_cndmask_b32_e32 v46, s33, v23, vcc_lo
	v_cmp_ne_u32_e32 vcc_lo, v6, v7
	v_cndmask_b32_e64 v47, 0, 1, vcc_lo
	v_cmp_eq_u32_e32 vcc_lo, v7, v8
	v_mov_b64_e32 v[30:31], v[46:47]
	v_cndmask_b32_e32 v48, s33, v20, vcc_lo
	v_cmp_ne_u32_e32 vcc_lo, v7, v8
	;; [unrolled: 11-line block ×4, first 2 shown]
	v_cndmask_b32_e64 v57, 0, 1, vcc_lo
	v_cmp_eq_u32_e32 vcc_lo, v4, v5
	s_delay_alu instid0(VALU_DEP_2) | instskip(SKIP_3) | instid1(VALU_DEP_1)
	v_mov_b64_e32 v[18:19], v[56:57]
	v_cndmask_b32_e32 v58, s33, v17, vcc_lo
	v_cmp_ne_u32_e32 vcc_lo, v4, v5
	v_cndmask_b32_e64 v59, 0, 1, vcc_lo
	v_mov_b64_e32 v[16:17], v[58:59]
.LBB1938_86:
	v_mov_b64_e32 v[38:39], 0
	s_and_saveexec_b32 s1, s5
	s_cbranch_execz .LBB1938_88
; %bb.87:
	v_cndmask_b32_e64 v61, 0, 1, s6
	v_mov_b64_e32 v[16:17], v[58:59]
	v_mov_b64_e32 v[18:19], v[56:57]
	;; [unrolled: 1-line block ×11, first 2 shown]
.LBB1938_88:
	s_or_b32 exec_lo, exec_lo, s1
	v_dual_lshrrev_b32 v1, 2, v0 :: v_dual_bitop2_b32 v40, v23, v21 bitop3:0x54
	s_delay_alu instid0(VALU_DEP_3)
	v_or_b32_e32 v27, v19, v17
	s_cmp_lg_u32 s36, 0
	v_cmp_gt_u32_e32 vcc_lo, 32, v0
	s_barrier_signal -1
	s_barrier_wait -1
	s_cbranch_scc0 .LBB1938_116
; %bb.89:
	s_mov_b64 s[14:15], 0x100000000
	v_or3_b32 v3, v40, v25, v29
	v_cmp_gt_u64_e64 s1, s[14:15], v[36:37]
	v_cmp_gt_u64_e64 s4, s[14:15], v[34:35]
	;; [unrolled: 1-line block ×7, first 2 shown]
	v_dual_cndmask_b32 v2, 0, v14, s1 :: v_dual_bitop2_b32 v5, 56, v1 bitop3:0x40
	v_cmp_gt_u64_e64 s9, s[14:15], v[22:23]
	v_cmp_gt_u64_e64 s10, s[14:15], v[20:21]
	;; [unrolled: 1-line block ×3, first 2 shown]
	s_delay_alu instid0(VALU_DEP_4) | instskip(SKIP_3) | instid1(VALU_DEP_4)
	v_add_nc_u32_e32 v2, v2, v36
	v_or3_b32 v3, v3, v31, v33
	v_cmp_gt_u64_e64 s12, s[14:15], v[16:17]
	v_lshl_add_u32 v5, v0, 3, v5
	v_cndmask_b32_e64 v2, 0, v2, s4
	s_delay_alu instid0(VALU_DEP_4) | instskip(NEXT) | instid1(VALU_DEP_2)
	v_or3_b32 v3, v3, v35, v37
	v_add_nc_u32_e32 v2, v2, v34
	s_delay_alu instid0(VALU_DEP_2) | instskip(NEXT) | instid1(VALU_DEP_2)
	v_or3_b32 v3, v39, v27, v3
	v_cndmask_b32_e64 v2, 0, v2, s5
	s_delay_alu instid0(VALU_DEP_2) | instskip(NEXT) | instid1(VALU_DEP_2)
	v_and_b32_e32 v3, 0xff, v3
	v_add_nc_u32_e32 v2, v2, v32
	s_delay_alu instid0(VALU_DEP_1) | instskip(NEXT) | instid1(VALU_DEP_1)
	v_cndmask_b32_e64 v2, 0, v2, s6
	v_add_nc_u32_e32 v2, v2, v30
	s_delay_alu instid0(VALU_DEP_1) | instskip(NEXT) | instid1(VALU_DEP_1)
	v_cndmask_b32_e64 v2, 0, v2, s7
	;; [unrolled: 3-line block ×7, first 2 shown]
	v_dual_add_nc_u32 v4, v2, v16 :: v_dual_mov_b32 v2, 0
	s_delay_alu instid0(VALU_DEP_1) | instskip(NEXT) | instid1(VALU_DEP_2)
	v_cndmask_b32_e64 v4, 0, v4, s13
	v_cmp_eq_u64_e64 s13, 0, v[2:3]
	s_delay_alu instid0(VALU_DEP_1)
	v_dual_add_nc_u32 v12, v4, v38 :: v_dual_cndmask_b32 v13, 1, v15, s13
	ds_store_b32 v5, v12
	ds_store_b8 v5, v13 offset:4
	s_wait_dscnt 0x0
	s_barrier_signal -1
	s_barrier_wait -1
	s_and_saveexec_b32 s14, vcc_lo
	s_cbranch_execz .LBB1938_99
; %bb.90:
	v_dual_lshlrev_b32 v2, 1, v0 :: v_dual_lshlrev_b32 v3, 6, v0
	s_mov_b32 s15, exec_lo
	s_delay_alu instid0(VALU_DEP_1) | instskip(NEXT) | instid1(VALU_DEP_1)
	v_and_b32_e32 v2, 0x1f8, v2
	v_add_nc_u32_e32 v4, v2, v3
	ds_load_u8 v5, v4 offset:12
	ds_load_b64 v[2:3], v4
	ds_load_2addr_b32 v[6:7], v4 offset0:2 offset1:4
	ds_load_u8 v10, v4 offset:20
	ds_load_u8 v11, v4 offset:28
	;; [unrolled: 1-line block ×5, first 2 shown]
	ds_load_b32 v44, v4 offset:56
	s_wait_dscnt 0x8
	v_cmp_eq_u16_e64 s13, 0, v5
	s_wait_dscnt 0x5
	s_delay_alu instid0(VALU_DEP_1)
	v_dual_cndmask_b32 v45, 0, v2, s13 :: v_dual_bitop2_b32 v5, v10, v5 bitop3:0x54
	ds_load_2addr_b32 v[8:9], v4 offset0:6 offset1:8
	v_cmp_eq_u16_e64 s13, 0, v10
	s_wait_dscnt 0x4
	v_bitop3_b16 v5, v5, v41, v11 bitop3:0xfe
	v_add_nc_u32_e32 v6, v45, v6
	s_delay_alu instid0(VALU_DEP_1) | instskip(SKIP_1) | instid1(VALU_DEP_2)
	v_cndmask_b32_e64 v6, 0, v6, s13
	v_cmp_eq_u16_e64 s13, 0, v11
	v_add_nc_u32_e32 v6, v6, v7
	s_delay_alu instid0(VALU_DEP_1)
	v_cndmask_b32_e64 v45, 0, v6, s13
	ds_load_2addr_b32 v[6:7], v4 offset0:10 offset1:12
	v_cmp_eq_u16_e64 s13, 0, v41
	s_wait_dscnt 0x1
	v_add_nc_u32_e32 v8, v45, v8
	ds_load_u8 v45, v4 offset:60
	v_cndmask_b32_e64 v8, 0, v8, s13
	v_cmp_eq_u16_e64 s13, 0, v42
	s_delay_alu instid0(VALU_DEP_2) | instskip(SKIP_1) | instid1(VALU_DEP_2)
	v_add_nc_u32_e32 v8, v8, v9
	v_bitop3_b16 v9, v5, v43, v42 bitop3:0xfe
	v_dual_cndmask_b32 v8, 0, v8, s13 :: v_dual_bitop2_b32 v5, 1, v3 bitop3:0x40
	s_delay_alu instid0(VALU_DEP_2) | instskip(SKIP_1) | instid1(VALU_DEP_2)
	v_cmp_eq_u16_e64 s13, 0, v9
	s_wait_dscnt 0x0
	v_dual_add_nc_u32 v6, v8, v6 :: v_dual_bitop2_b32 v8, 1, v45 bitop3:0x40
	s_delay_alu instid0(VALU_DEP_2) | instskip(SKIP_1) | instid1(VALU_DEP_1)
	v_cndmask_b32_e64 v9, 1, v5, s13
	v_cmp_eq_u16_e64 s13, 0, v43
	v_cndmask_b32_e64 v6, 0, v6, s13
	s_delay_alu instid0(VALU_DEP_4) | instskip(SKIP_1) | instid1(VALU_DEP_2)
	v_cmp_eq_u32_e64 s13, 1, v8
	v_mbcnt_lo_u32_b32 v8, -1, 0
	v_cndmask_b32_e64 v9, v9, 1, s13
	v_cmp_eq_u16_e64 s13, 0, v45
	s_delay_alu instid0(VALU_DEP_2) | instskip(SKIP_2) | instid1(VALU_DEP_1)
	v_and_b32_e32 v10, 0xffff, v9
	v_add_nc_u32_e32 v7, v6, v7
	v_and_b32_e32 v6, 0xffffff00, v3
	v_dual_cndmask_b32 v7, 0, v7, s13 :: v_dual_bitop2_b32 v11, v6, v10 bitop3:0x54
	v_and_b32_e32 v10, 15, v8
	s_delay_alu instid0(VALU_DEP_2) | instskip(NEXT) | instid1(VALU_DEP_3)
	v_mov_b32_dpp v42, v11 row_shr:1 row_mask:0xf bank_mask:0xf
	v_add_nc_u32_e32 v7, v7, v44
	s_delay_alu instid0(VALU_DEP_1) | instskip(NEXT) | instid1(VALU_DEP_4)
	v_mov_b32_dpp v41, v7 row_shr:1 row_mask:0xf bank_mask:0xf
	v_cmpx_ne_u32_e32 0, v10
	s_cbranch_execz .LBB1938_92
; %bb.91:
	v_and_b32_e32 v11, 1, v9
	v_and_b32_e32 v42, 1, v42
	s_delay_alu instid0(VALU_DEP_2) | instskip(NEXT) | instid1(VALU_DEP_1)
	v_cmp_eq_u32_e64 s13, 1, v11
	v_cndmask_b32_e64 v42, v42, 1, s13
	v_cmp_eq_u16_e64 s13, 0, v9
	s_delay_alu instid0(VALU_DEP_2) | instskip(NEXT) | instid1(VALU_DEP_1)
	v_and_b32_e32 v11, 0xffff, v42
	v_dual_cndmask_b32 v9, 0, v41, s13 :: v_dual_bitop2_b32 v11, v6, v11 bitop3:0x54
	s_delay_alu instid0(VALU_DEP_1)
	v_dual_add_nc_u32 v7, v9, v7 :: v_dual_mov_b32 v9, v42
.LBB1938_92:
	s_or_b32 exec_lo, exec_lo, s15
	s_delay_alu instid0(VALU_DEP_1) | instskip(NEXT) | instid1(VALU_DEP_3)
	v_mov_b32_dpp v41, v7 row_shr:2 row_mask:0xf bank_mask:0xf
	v_mov_b32_dpp v42, v11 row_shr:2 row_mask:0xf bank_mask:0xf
	s_mov_b32 s15, exec_lo
	v_cmpx_lt_u32_e32 1, v10
	s_cbranch_execz .LBB1938_94
; %bb.93:
	v_and_b32_e32 v11, 1, v9
	v_and_b32_e32 v42, 1, v42
	s_delay_alu instid0(VALU_DEP_2) | instskip(NEXT) | instid1(VALU_DEP_1)
	v_cmp_eq_u32_e64 s13, 1, v11
	v_cndmask_b32_e64 v42, v42, 1, s13
	v_cmp_eq_u16_e64 s13, 0, v9
	s_delay_alu instid0(VALU_DEP_2) | instskip(NEXT) | instid1(VALU_DEP_1)
	v_and_b32_e32 v11, 0xffff, v42
	v_dual_cndmask_b32 v9, 0, v41, s13 :: v_dual_bitop2_b32 v11, v6, v11 bitop3:0x54
	s_delay_alu instid0(VALU_DEP_1)
	v_dual_add_nc_u32 v7, v9, v7 :: v_dual_mov_b32 v9, v42
.LBB1938_94:
	s_or_b32 exec_lo, exec_lo, s15
	s_delay_alu instid0(VALU_DEP_1) | instskip(NEXT) | instid1(VALU_DEP_3)
	v_mov_b32_dpp v41, v7 row_shr:4 row_mask:0xf bank_mask:0xf
	v_mov_b32_dpp v42, v11 row_shr:4 row_mask:0xf bank_mask:0xf
	s_mov_b32 s15, exec_lo
	v_cmpx_lt_u32_e32 3, v10
	;; [unrolled: 20-line block ×3, first 2 shown]
	s_cbranch_execz .LBB1938_98
; %bb.97:
	v_and_b32_e32 v10, 1, v9
	v_and_b32_e32 v11, 1, v42
	s_delay_alu instid0(VALU_DEP_2) | instskip(NEXT) | instid1(VALU_DEP_1)
	v_cmp_eq_u32_e64 s13, 1, v10
	v_cndmask_b32_e64 v10, v11, 1, s13
	v_cmp_eq_u16_e64 s13, 0, v9
	s_delay_alu instid0(VALU_DEP_2) | instskip(NEXT) | instid1(VALU_DEP_1)
	v_and_b32_e32 v11, 0xffff, v10
	v_dual_cndmask_b32 v9, 0, v41, s13 :: v_dual_bitop2_b32 v11, v6, v11 bitop3:0x54
	s_delay_alu instid0(VALU_DEP_1)
	v_dual_add_nc_u32 v7, v9, v7 :: v_dual_mov_b32 v9, v10
.LBB1938_98:
	s_or_b32 exec_lo, exec_lo, s15
	ds_swizzle_b32 v10, v11 offset:swizzle(BROADCAST,32,15)
	ds_swizzle_b32 v11, v7 offset:swizzle(BROADCAST,32,15)
	v_and_b32_e32 v41, 1, v9
	v_bfe_i32 v43, v8, 4, 1
	v_and_b32_e32 v3, 0xff, v3
	; wave barrier
	s_delay_alu instid0(VALU_DEP_3) | instskip(SKIP_2) | instid1(VALU_DEP_1)
	v_cmp_eq_u32_e64 s13, 1, v41
	s_wait_dscnt 0x1
	v_dual_add_nc_u32 v41, -1, v8 :: v_dual_bitop2_b32 v10, 1, v10 bitop3:0x40
	v_cndmask_b32_e64 v10, v10, 1, s13
	v_and_b32_e32 v42, 16, v8
	v_cmp_eq_u16_e64 s13, 0, v9
	s_wait_dscnt 0x0
	s_delay_alu instid0(VALU_DEP_1) | instskip(NEXT) | instid1(VALU_DEP_3)
	v_cndmask_b32_e64 v11, 0, v11, s13
	v_cmp_eq_u32_e64 s13, 0, v42
	s_delay_alu instid0(VALU_DEP_1) | instskip(SKIP_1) | instid1(VALU_DEP_4)
	v_cndmask_b32_e64 v9, v10, v9, s13
	v_cmp_gt_i32_e64 s13, 0, v41
	v_and_b32_e32 v10, v43, v11
	s_delay_alu instid0(VALU_DEP_3) | instskip(NEXT) | instid1(VALU_DEP_2)
	v_and_b32_e32 v9, 0xffff, v9
	v_dual_cndmask_b32 v8, v41, v8, s13 :: v_dual_add_nc_u32 v7, v10, v7
	v_cmp_eq_u16_e64 s13, 0, v3
	s_delay_alu instid0(VALU_DEP_2)
	v_lshlrev_b32_e32 v8, 2, v8
	ds_bpermute_b32 v7, v8, v7
	s_wait_dscnt 0x0
	v_dual_cndmask_b32 v3, 0, v7, s13 :: v_dual_bitop2_b32 v6, v6, v9 bitop3:0x54
	ds_bpermute_b32 v6, v8, v6
	v_cmp_eq_u32_e64 s13, 1, v5
	v_add_nc_u32_e32 v2, v3, v2
	s_wait_dscnt 0x0
	s_delay_alu instid0(VALU_DEP_1) | instskip(NEXT) | instid1(VALU_DEP_1)
	v_dual_cndmask_b32 v5, v2, v12, s2 :: v_dual_bitop2_b32 v6, 1, v6 bitop3:0x40
	v_cndmask_b32_e64 v3, v6, 1, s13
	s_delay_alu instid0(VALU_DEP_1)
	v_cndmask_b32_e64 v8, v3, v13, s2
	ds_store_b32 v4, v5
	ds_store_b8 v4, v8 offset:4
	; wave barrier
	ds_load_u8 v9, v4 offset:12
	ds_load_2addr_b32 v[2:3], v4 offset0:2 offset1:4
	ds_load_u8 v10, v4 offset:20
	ds_load_u8 v11, v4 offset:28
	;; [unrolled: 1-line block ×5, first 2 shown]
	ds_load_b32 v44, v4 offset:56
	ds_load_u8 v45, v4 offset:60
	ds_load_2addr_b32 v[6:7], v4 offset0:6 offset1:8
	s_wait_dscnt 0x9
	v_cmp_eq_u16_e64 s13, 0, v9
	v_and_b32_e32 v9, 1, v9
	s_delay_alu instid0(VALU_DEP_2) | instskip(SKIP_2) | instid1(VALU_DEP_2)
	v_cndmask_b32_e64 v5, 0, v5, s13
	s_wait_dscnt 0x7
	v_cmp_eq_u16_e64 s13, 0, v10
	v_add_nc_u32_e32 v5, v5, v2
	s_delay_alu instid0(VALU_DEP_1) | instskip(SKIP_2) | instid1(VALU_DEP_2)
	v_cndmask_b32_e64 v2, 0, v5, s13
	s_wait_dscnt 0x6
	v_cmp_eq_u16_e64 s13, 0, v11
	v_add_nc_u32_e32 v46, v2, v3
	ds_load_2addr_b32 v[2:3], v4 offset0:10 offset1:12
	v_cndmask_b32_e64 v47, 0, v46, s13
	s_wait_dscnt 0x6
	v_cmp_eq_u16_e64 s13, 0, v41
	ds_store_2addr_b32 v4, v5, v46 offset0:2 offset1:4
	s_wait_dscnt 0x2
	v_add_nc_u32_e32 v6, v47, v6
	s_delay_alu instid0(VALU_DEP_1) | instskip(SKIP_3) | instid1(VALU_DEP_4)
	v_cndmask_b32_e64 v47, 0, v6, s13
	v_cmp_eq_u32_e64 s13, 1, v9
	v_and_b32_e32 v9, 1, v11
	v_and_b32_e32 v11, 1, v41
	v_dual_add_nc_u32 v7, v47, v7 :: v_dual_bitop2_b32 v10, 1, v10 bitop3:0x40
	s_delay_alu instid0(VALU_DEP_4) | instskip(SKIP_1) | instid1(VALU_DEP_3)
	v_cndmask_b32_e64 v8, v8, 1, s13
	v_and_b32_e32 v47, 1, v45
	v_cmp_eq_u32_e64 s13, 1, v10
	s_delay_alu instid0(VALU_DEP_1) | instskip(SKIP_1) | instid1(VALU_DEP_1)
	v_cndmask_b32_e64 v10, v8, 1, s13
	v_cmp_eq_u16_e64 s13, 0, v42
	v_dual_cndmask_b32 v41, 0, v7, s13 :: v_dual_bitop2_b32 v42, 1, v42 bitop3:0x40
	v_cmp_eq_u32_e64 s13, 1, v9
	s_wait_dscnt 0x1
	s_delay_alu instid0(VALU_DEP_2) | instskip(NEXT) | instid1(VALU_DEP_2)
	v_dual_add_nc_u32 v2, v41, v2 :: v_dual_bitop2_b32 v41, 1, v43 bitop3:0x40
	v_cndmask_b32_e64 v9, v10, 1, s13
	v_cmp_eq_u32_e64 s13, 1, v11
	s_delay_alu instid0(VALU_DEP_1) | instskip(SKIP_1) | instid1(VALU_DEP_1)
	v_cndmask_b32_e64 v11, v9, 1, s13
	v_cmp_eq_u16_e64 s13, 0, v43
	v_cndmask_b32_e64 v43, 0, v2, s13
	v_cmp_eq_u32_e64 s13, 1, v42
	s_delay_alu instid0(VALU_DEP_2) | instskip(NEXT) | instid1(VALU_DEP_2)
	v_add_nc_u32_e32 v3, v43, v3
	v_cndmask_b32_e64 v42, v11, 1, s13
	v_cmp_eq_u32_e64 s13, 1, v41
	ds_store_2addr_b32 v4, v6, v7 offset0:6 offset1:8
	ds_store_2addr_b32 v4, v2, v3 offset0:10 offset1:12
	v_cndmask_b32_e64 v41, v42, 1, s13
	v_cmp_eq_u16_e64 s13, 0, v45
	s_delay_alu instid0(VALU_DEP_1) | instskip(SKIP_1) | instid1(VALU_DEP_2)
	v_cndmask_b32_e64 v5, 0, v3, s13
	v_cmp_eq_u32_e64 s13, 1, v47
	v_add_nc_u32_e32 v2, v5, v44
	s_delay_alu instid0(VALU_DEP_2)
	v_cndmask_b32_e64 v43, v41, 1, s13
	ds_store_b8 v4, v8 offset:12
	ds_store_b8 v4, v10 offset:20
	;; [unrolled: 1-line block ×6, first 2 shown]
	ds_store_b32 v4, v2 offset:56
	ds_store_b8 v4, v43 offset:60
.LBB1938_99:
	s_or_b32 exec_lo, exec_lo, s14
	s_wait_dscnt 0x0
	s_barrier_signal -1
	s_barrier_wait -1
	s_and_saveexec_b32 s13, s3
	s_cbranch_execz .LBB1938_101
; %bb.100:
	v_add_nc_u32_e32 v2, -1, v0
	s_delay_alu instid0(VALU_DEP_1) | instskip(NEXT) | instid1(VALU_DEP_1)
	v_lshrrev_b32_e32 v3, 2, v2
	v_and_b32_e32 v3, 0x3ffffff8, v3
	s_delay_alu instid0(VALU_DEP_1)
	v_lshl_add_u32 v2, v2, 3, v3
	ds_load_b32 v12, v2
	ds_load_u8 v13, v2 offset:4
.LBB1938_101:
	s_or_b32 exec_lo, exec_lo, s13
	s_and_saveexec_b32 s34, vcc_lo
	s_cbranch_execz .LBB1938_121
; %bb.102:
	v_mov_b32_e32 v5, 0
	v_mbcnt_lo_u32_b32 v41, -1, 0
	s_mov_b32 s15, 0
	ds_load_b64 v[2:3], v5 offset:2096
	v_cmp_eq_u32_e64 s13, 0, v41
	s_and_saveexec_b32 s24, s13
	s_cbranch_execz .LBB1938_104
; %bb.103:
	s_add_co_i32 s14, s36, 32
	v_mov_b32_e32 v4, 1
	s_lshl_b64 s[14:15], s[14:15], 4
	s_delay_alu instid0(SALU_CYCLE_1) | instskip(NEXT) | instid1(SALU_CYCLE_1)
	s_add_nc_u64 s[14:15], s[20:21], s[14:15]
	v_mov_b64_e32 v[6:7], s[14:15]
	s_wait_dscnt 0x0
	;;#ASMSTART
	global_store_b128 v[6:7], v[2:5] off scope:SCOPE_DEV	
s_wait_storecnt 0x0
	;;#ASMEND
.LBB1938_104:
	s_or_b32 exec_lo, exec_lo, s24
	v_xad_u32 v8, v41, -1, s36
	s_mov_b32 s14, exec_lo
	s_delay_alu instid0(VALU_DEP_1) | instskip(NEXT) | instid1(VALU_DEP_1)
	v_add_nc_u32_e32 v4, 32, v8
	v_lshl_add_u64 v[10:11], v[4:5], 4, s[20:21]
	;;#ASMSTART
	global_load_b128 v[4:7], v[10:11] off scope:SCOPE_DEV	
s_wait_loadcnt 0x0
	;;#ASMEND
	v_and_b32_e32 v7, 0xff, v6
	v_and_b32_e32 v5, 0xff, v5
	s_delay_alu instid0(VALU_DEP_2)
	v_cmpx_eq_u16_e32 0, v7
	s_cbranch_execz .LBB1938_108
; %bb.105:
	s_mov_b32 s15, 0
.LBB1938_106:                           ; =>This Inner Loop Header: Depth=1
	;;#ASMSTART
	global_load_b128 v[4:7], v[10:11] off scope:SCOPE_DEV	
s_wait_loadcnt 0x0
	;;#ASMEND
	v_and_b32_e32 v7, 0xff, v6
	s_delay_alu instid0(VALU_DEP_1) | instskip(SKIP_1) | instid1(SALU_CYCLE_1)
	v_cmp_ne_u16_e32 vcc_lo, 0, v7
	s_or_b32 s15, vcc_lo, s15
	s_and_not1_b32 exec_lo, exec_lo, s15
	s_cbranch_execnz .LBB1938_106
; %bb.107:
	s_or_b32 exec_lo, exec_lo, s15
	v_and_b32_e32 v5, 0xff, v5
.LBB1938_108:
	s_or_b32 exec_lo, exec_lo, s14
	v_cmp_ne_u32_e32 vcc_lo, 31, v41
	v_and_b32_e32 v9, 0xff, v6
	v_lshlrev_b32_e64 v43, v41, -1
	s_mov_b64 s[24:25], 0x100000000
	v_lshl_or_b32 v52, v41, 2, 64
	v_add_co_ci_u32_e64 v7, null, 0, v41, vcc_lo
	v_cmp_eq_u16_e32 vcc_lo, 2, v9
	v_cmp_gt_u64_e64 s14, s[24:25], v[4:5]
	s_delay_alu instid0(VALU_DEP_3) | instskip(SKIP_1) | instid1(VALU_DEP_2)
	v_dual_lshlrev_b32 v42, 2, v7 :: v_dual_bitop2_b32 v10, 1, v5 bitop3:0x40
	v_and_or_b32 v9, vcc_lo, v43, 0x80000000
	v_cmp_eq_u32_e32 vcc_lo, 1, v10
	ds_bpermute_b32 v7, v42, v5
	ds_bpermute_b32 v10, v42, v4
	v_ctz_i32_b32_e32 v9, v9
	s_wait_dscnt 0x1
	v_and_b32_e32 v7, 1, v7
	s_delay_alu instid0(VALU_DEP_1) | instskip(SKIP_1) | instid1(VALU_DEP_2)
	v_cndmask_b32_e64 v7, v7, 1, vcc_lo
	v_cmp_gt_u32_e32 vcc_lo, 30, v41
	v_and_b32_e32 v45, 0xffff, v7
	v_cndmask_b32_e64 v11, 0, 2, vcc_lo
	v_cmp_lt_u32_e32 vcc_lo, v41, v9
	s_delay_alu instid0(VALU_DEP_2) | instskip(NEXT) | instid1(VALU_DEP_4)
	v_add_lshl_u32 v44, v11, v41, 2
	v_dual_cndmask_b32 v11, v5, v45, vcc_lo :: v_dual_cndmask_b32 v7, v5, v7, vcc_lo
	s_and_b32 vcc_lo, vcc_lo, s14
	s_wait_dscnt 0x0
	v_cndmask_b32_e32 v10, 0, v10, vcc_lo
	ds_bpermute_b32 v5, v44, v11
	v_and_b32_e32 v46, 1, v7
	v_and_b32_e32 v48, 0xff, v7
	v_add_nc_u32_e32 v4, v10, v4
	s_delay_alu instid0(VALU_DEP_3) | instskip(NEXT) | instid1(VALU_DEP_3)
	v_cmp_eq_u32_e32 vcc_lo, 1, v46
	v_cmp_eq_u16_e64 s14, 0, v48
	ds_bpermute_b32 v10, v44, v4
	s_wait_dscnt 0x1
	v_and_b32_e32 v5, 1, v5
	s_delay_alu instid0(VALU_DEP_1) | instskip(SKIP_2) | instid1(VALU_DEP_3)
	v_cndmask_b32_e64 v5, v5, 1, vcc_lo
	v_add_nc_u32_e32 v45, 2, v41
	v_cmp_gt_u32_e32 vcc_lo, 28, v41
	v_and_b32_e32 v47, 0xffff, v5
	v_cndmask_b32_e64 v46, 0, 4, vcc_lo
	s_delay_alu instid0(VALU_DEP_4) | instskip(NEXT) | instid1(VALU_DEP_2)
	v_cmp_gt_u32_e32 vcc_lo, v45, v9
	v_add_lshl_u32 v46, v46, v41, 2
	v_cndmask_b32_e32 v5, v5, v7, vcc_lo
	s_wait_dscnt 0x0
	v_dual_cndmask_b32 v7, v47, v11, vcc_lo :: v_dual_cndmask_b32 v10, 0, v10, s14
	s_delay_alu instid0(VALU_DEP_2) | instskip(SKIP_4) | instid1(VALU_DEP_3)
	v_and_b32_e32 v48, 1, v5
	ds_bpermute_b32 v11, v46, v7
	v_cndmask_b32_e64 v10, v10, 0, vcc_lo
	v_cmp_eq_u32_e32 vcc_lo, 1, v48
	v_and_b32_e32 v48, 0xff, v5
	v_add_nc_u32_e32 v4, v10, v4
	s_delay_alu instid0(VALU_DEP_2)
	v_cmp_eq_u16_e64 s14, 0, v48
	s_wait_dscnt 0x0
	v_and_b32_e32 v11, 1, v11
	ds_bpermute_b32 v10, v46, v4
	v_add_nc_u32_e32 v47, 4, v41
	v_cndmask_b32_e64 v11, v11, 1, vcc_lo
	v_cmp_gt_u32_e32 vcc_lo, 24, v41
	s_delay_alu instid0(VALU_DEP_2) | instskip(SKIP_1) | instid1(VALU_DEP_1)
	v_and_b32_e32 v50, 0xffff, v11
	v_cndmask_b32_e64 v49, 0, 8, vcc_lo
	v_add_lshl_u32 v48, v49, v41, 2
	s_wait_dscnt 0x0
	v_dual_add_nc_u32 v49, 8, v41 :: v_dual_cndmask_b32 v10, 0, v10, s14
	v_cmp_gt_u32_e32 vcc_lo, v47, v9
	v_dual_cndmask_b32 v5, v11, v5, vcc_lo :: v_dual_cndmask_b32 v7, v50, v7, vcc_lo
	s_delay_alu instid0(VALU_DEP_3) | instskip(NEXT) | instid1(VALU_DEP_2)
	v_cndmask_b32_e64 v10, v10, 0, vcc_lo
	v_and_b32_e32 v50, 1, v5
	ds_bpermute_b32 v11, v48, v7
	v_add_nc_u32_e32 v4, v10, v4
	v_and_b32_e32 v51, 0xff, v5
	v_cmp_eq_u32_e32 vcc_lo, 1, v50
	ds_bpermute_b32 v10, v48, v4
	s_wait_dscnt 0x1
	v_and_b32_e32 v11, 1, v11
	s_delay_alu instid0(VALU_DEP_1) | instskip(SKIP_1) | instid1(VALU_DEP_2)
	v_cndmask_b32_e64 v11, v11, 1, vcc_lo
	v_cmp_eq_u16_e32 vcc_lo, 0, v51
	v_and_b32_e32 v50, 0xffff, v11
	s_wait_dscnt 0x0
	v_cndmask_b32_e32 v10, 0, v10, vcc_lo
	v_cmp_gt_u32_e32 vcc_lo, v49, v9
	s_delay_alu instid0(VALU_DEP_3) | instskip(NEXT) | instid1(VALU_DEP_3)
	v_dual_cndmask_b32 v5, v11, v5, vcc_lo :: v_dual_cndmask_b32 v7, v50, v7, vcc_lo
	v_cndmask_b32_e64 v10, v10, 0, vcc_lo
	s_delay_alu instid0(VALU_DEP_2) | instskip(SKIP_3) | instid1(VALU_DEP_1)
	v_and_b32_e32 v50, 1, v5
	ds_bpermute_b32 v7, v52, v7
	v_add_nc_u32_e32 v4, v10, v4
	v_and_b32_e32 v11, 0xff, v5
	v_cmp_eq_u16_e32 vcc_lo, 0, v11
	s_wait_dscnt 0x0
	v_and_b32_e32 v7, 1, v7
	ds_bpermute_b32 v10, v52, v4
	s_wait_dscnt 0x0
	v_dual_cndmask_b32 v10, 0, v10 :: v_dual_add_nc_u32 v53, 16, v41
	v_cmp_eq_u32_e32 vcc_lo, 1, v50
	v_cndmask_b32_e64 v7, v7, 1, vcc_lo
	s_delay_alu instid0(VALU_DEP_3) | instskip(NEXT) | instid1(VALU_DEP_2)
	v_cmp_gt_u32_e32 vcc_lo, v53, v9
	v_dual_mov_b32 v9, 0 :: v_dual_cndmask_b32 v5, v7, v5, vcc_lo
	v_cndmask_b32_e64 v7, v10, 0, vcc_lo
	s_delay_alu instid0(VALU_DEP_1)
	v_add_nc_u32_e32 v4, v7, v4
	s_branch .LBB1938_112
.LBB1938_109:                           ;   in Loop: Header=BB1938_112 Depth=1
	s_or_b32 exec_lo, exec_lo, s15
	v_and_b32_e32 v5, 0xff, v5
.LBB1938_110:                           ;   in Loop: Header=BB1938_112 Depth=1
	s_or_b32 exec_lo, exec_lo, s14
	ds_bpermute_b32 v7, v42, v5
	v_and_b32_e32 v10, 0xff, v6
	v_cmp_gt_u64_e64 s14, s[24:25], v[4:5]
	v_subrev_nc_u32_e32 v8, 32, v8
	s_delay_alu instid0(VALU_DEP_3) | instskip(SKIP_2) | instid1(VALU_DEP_2)
	v_cmp_eq_u16_e32 vcc_lo, 2, v10
	v_and_b32_e32 v10, 1, v5
	v_and_or_b32 v11, vcc_lo, v43, 0x80000000
	v_cmp_eq_u32_e32 vcc_lo, 1, v10
	s_delay_alu instid0(VALU_DEP_2) | instskip(SKIP_3) | instid1(VALU_DEP_1)
	v_ctz_i32_b32_e32 v10, v11
	ds_bpermute_b32 v11, v42, v4
	s_wait_dscnt 0x1
	v_and_b32_e32 v7, 1, v7
	v_cndmask_b32_e64 v7, v7, 1, vcc_lo
	v_cmp_lt_u32_e32 vcc_lo, v41, v10
	s_delay_alu instid0(VALU_DEP_2) | instskip(NEXT) | instid1(VALU_DEP_1)
	v_and_b32_e32 v54, 0xffff, v7
	v_dual_cndmask_b32 v7, v5, v7 :: v_dual_cndmask_b32 v54, v5, v54
	s_and_b32 vcc_lo, vcc_lo, s14
	s_delay_alu instid0(VALU_DEP_1)
	v_and_b32_e32 v56, 0xff, v7
	v_and_b32_e32 v55, 1, v7
	ds_bpermute_b32 v5, v44, v54
	s_wait_dscnt 0x1
	v_cndmask_b32_e32 v11, 0, v11, vcc_lo
	v_cmp_eq_u16_e64 s14, 0, v56
	v_cmp_eq_u32_e32 vcc_lo, 1, v55
	s_wait_dscnt 0x0
	s_delay_alu instid0(VALU_DEP_3) | instskip(NEXT) | instid1(VALU_DEP_1)
	v_dual_add_nc_u32 v4, v11, v4 :: v_dual_bitop2_b32 v5, 1, v5 bitop3:0x40
	v_cndmask_b32_e64 v5, v5, 1, vcc_lo
	ds_bpermute_b32 v11, v44, v4
	v_cmp_gt_u32_e32 vcc_lo, v45, v10
	v_and_b32_e32 v55, 0xffff, v5
	s_delay_alu instid0(VALU_DEP_1) | instskip(NEXT) | instid1(VALU_DEP_1)
	v_dual_cndmask_b32 v5, v5, v7, vcc_lo :: v_dual_cndmask_b32 v7, v55, v54, vcc_lo
	v_and_b32_e32 v55, 1, v5
	ds_bpermute_b32 v54, v46, v7
	s_wait_dscnt 0x1
	v_cndmask_b32_e64 v11, 0, v11, s14
	s_delay_alu instid0(VALU_DEP_1) | instskip(SKIP_2) | instid1(VALU_DEP_3)
	v_cndmask_b32_e64 v11, v11, 0, vcc_lo
	v_cmp_eq_u32_e32 vcc_lo, 1, v55
	v_and_b32_e32 v55, 0xff, v5
	v_add_nc_u32_e32 v4, v11, v4
	s_delay_alu instid0(VALU_DEP_2)
	v_cmp_eq_u16_e64 s14, 0, v55
	s_wait_dscnt 0x0
	v_and_b32_e32 v54, 1, v54
	ds_bpermute_b32 v11, v46, v4
	v_cndmask_b32_e64 v54, v54, 1, vcc_lo
	v_cmp_gt_u32_e32 vcc_lo, v47, v10
	s_delay_alu instid0(VALU_DEP_2) | instskip(SKIP_3) | instid1(VALU_DEP_1)
	v_and_b32_e32 v56, 0xffff, v54
	s_wait_dscnt 0x0
	v_dual_cndmask_b32 v5, v54, v5, vcc_lo :: v_dual_cndmask_b32 v11, 0, v11, s14
	s_mov_b32 s14, 0
	v_cndmask_b32_e64 v11, v11, 0, vcc_lo
	v_cndmask_b32_e32 v7, v56, v7, vcc_lo
	s_delay_alu instid0(VALU_DEP_3) | instskip(NEXT) | instid1(VALU_DEP_3)
	v_and_b32_e32 v56, 0xff, v5
	v_add_nc_u32_e32 v4, v11, v4
	ds_bpermute_b32 v54, v48, v7
	ds_bpermute_b32 v11, v48, v4
	v_and_b32_e32 v55, 1, v5
	s_delay_alu instid0(VALU_DEP_1) | instskip(SKIP_2) | instid1(VALU_DEP_1)
	v_cmp_eq_u32_e32 vcc_lo, 1, v55
	s_wait_dscnt 0x1
	v_and_b32_e32 v54, 1, v54
	v_cndmask_b32_e64 v54, v54, 1, vcc_lo
	v_cmp_eq_u16_e32 vcc_lo, 0, v56
	s_delay_alu instid0(VALU_DEP_2) | instskip(SKIP_3) | instid1(VALU_DEP_2)
	v_and_b32_e32 v55, 0xffff, v54
	s_wait_dscnt 0x0
	v_cndmask_b32_e32 v11, 0, v11, vcc_lo
	v_cmp_gt_u32_e32 vcc_lo, v49, v10
	v_cndmask_b32_e64 v11, v11, 0, vcc_lo
	v_dual_cndmask_b32 v7, v55, v7, vcc_lo :: v_dual_cndmask_b32 v5, v54, v5, vcc_lo
	s_delay_alu instid0(VALU_DEP_2) | instskip(SKIP_4) | instid1(VALU_DEP_1)
	v_add_nc_u32_e32 v4, v11, v4
	ds_bpermute_b32 v7, v52, v7
	v_and_b32_e32 v55, 0xff, v5
	ds_bpermute_b32 v11, v52, v4
	v_and_b32_e32 v54, 1, v5
	v_cmp_eq_u32_e32 vcc_lo, 1, v54
	s_wait_dscnt 0x1
	v_cndmask_b32_e64 v7, v7, 1, vcc_lo
	v_cmp_eq_u16_e32 vcc_lo, 0, v55
	s_wait_dscnt 0x0
	v_cndmask_b32_e32 v11, 0, v11, vcc_lo
	v_cmp_gt_u32_e32 vcc_lo, v53, v10
	v_and_b32_e32 v10, 0xff, v50
	v_cndmask_b32_e32 v5, v7, v5, vcc_lo
	s_delay_alu instid0(VALU_DEP_4) | instskip(NEXT) | instid1(VALU_DEP_3)
	v_cndmask_b32_e64 v7, v11, 0, vcc_lo
	v_cmp_eq_u16_e32 vcc_lo, 0, v10
	s_delay_alu instid0(VALU_DEP_2) | instskip(NEXT) | instid1(VALU_DEP_1)
	v_dual_add_nc_u32 v4, v7, v4 :: v_dual_bitop2_b32 v7, 1, v50 bitop3:0x40
	v_dual_cndmask_b32 v4, 0, v4, vcc_lo :: v_dual_bitop2_b32 v5, 1, v5 bitop3:0x40
	s_delay_alu instid0(VALU_DEP_2) | instskip(NEXT) | instid1(VALU_DEP_2)
	v_cmp_eq_u32_e32 vcc_lo, 1, v7
	v_add_nc_u32_e32 v4, v4, v51
	s_delay_alu instid0(VALU_DEP_3)
	v_cndmask_b32_e64 v5, v5, 1, vcc_lo
.LBB1938_111:                           ;   in Loop: Header=BB1938_112 Depth=1
	s_and_b32 vcc_lo, exec_lo, s14
	s_cbranch_vccnz .LBB1938_117
.LBB1938_112:                           ; =>This Loop Header: Depth=1
                                        ;     Child Loop BB1938_115 Depth 2
	v_and_b32_e32 v6, 0xff, v6
	s_delay_alu instid0(VALU_DEP_2) | instskip(SKIP_1) | instid1(VALU_DEP_2)
	v_dual_mov_b32 v50, v5 :: v_dual_mov_b32 v51, v4
	s_mov_b32 s14, -1
                                        ; implicit-def: $vgpr5
                                        ; implicit-def: $vgpr4
	v_cmp_ne_u16_e32 vcc_lo, 2, v6
                                        ; implicit-def: $vgpr6
	s_cmp_lg_u32 vcc_lo, exec_lo
	s_cbranch_scc1 .LBB1938_111
; %bb.113:                              ;   in Loop: Header=BB1938_112 Depth=1
	v_lshl_add_u64 v[10:11], v[8:9], 4, s[20:21]
	;;#ASMSTART
	global_load_b128 v[4:7], v[10:11] off scope:SCOPE_DEV	
s_wait_loadcnt 0x0
	;;#ASMEND
	v_and_b32_e32 v7, 0xff, v6
	v_and_b32_e32 v5, 0xff, v5
	s_mov_b32 s14, exec_lo
	s_delay_alu instid0(VALU_DEP_2)
	v_cmpx_eq_u16_e32 0, v7
	s_cbranch_execz .LBB1938_110
; %bb.114:                              ;   in Loop: Header=BB1938_112 Depth=1
	s_mov_b32 s15, 0
.LBB1938_115:                           ;   Parent Loop BB1938_112 Depth=1
                                        ; =>  This Inner Loop Header: Depth=2
	;;#ASMSTART
	global_load_b128 v[4:7], v[10:11] off scope:SCOPE_DEV	
s_wait_loadcnt 0x0
	;;#ASMEND
	v_and_b32_e32 v7, 0xff, v6
	s_delay_alu instid0(VALU_DEP_1) | instskip(SKIP_1) | instid1(SALU_CYCLE_1)
	v_cmp_ne_u16_e32 vcc_lo, 0, v7
	s_or_b32 s15, vcc_lo, s15
	s_and_not1_b32 exec_lo, exec_lo, s15
	s_cbranch_execnz .LBB1938_115
	s_branch .LBB1938_109
.LBB1938_116:
                                        ; implicit-def: $vgpr13
                                        ; implicit-def: $vgpr9
                                        ; implicit-def: $vgpr5
	s_cbranch_execnz .LBB1938_122
	s_branch .LBB1938_139
.LBB1938_117:
	s_and_saveexec_b32 s14, s13
	s_cbranch_execz .LBB1938_119
; %bb.118:
	v_and_b32_e32 v4, 0xff, v3
	s_mov_b32 s25, 0
	s_add_co_i32 s24, s36, 32
	v_and_b32_e32 v5, 1, v50
	s_lshl_b64 s[24:25], s[24:25], 4
	v_cmp_eq_u32_e32 vcc_lo, 0, v4
	s_add_nc_u64 s[24:25], s[20:21], s[24:25]
	s_delay_alu instid0(SALU_CYCLE_1) | instskip(SKIP_1) | instid1(VALU_DEP_1)
	v_mov_b64_e32 v[6:7], s[24:25]
	v_cndmask_b32_e32 v4, 0, v51, vcc_lo
	v_dual_add_nc_u32 v2, v4, v2 :: v_dual_bitop2_b32 v3, 1, v3 bitop3:0x40
	s_delay_alu instid0(VALU_DEP_1)
	v_cmp_eq_u32_e32 vcc_lo, 1, v3
	v_mov_b32_e32 v4, 2
	v_cndmask_b32_e64 v3, v5, 1, vcc_lo
	v_mov_b32_e32 v5, 0
	;;#ASMSTART
	global_store_b128 v[6:7], v[2:5] off scope:SCOPE_DEV	
s_wait_storecnt 0x0
	;;#ASMEND
.LBB1938_119:
	s_or_b32 exec_lo, exec_lo, s14
	s_delay_alu instid0(SALU_CYCLE_1)
	s_and_b32 exec_lo, exec_lo, s2
	s_cbranch_execz .LBB1938_121
; %bb.120:
	v_mov_b32_e32 v2, 0
	ds_store_b32 v2, v51
	ds_store_b8 v2, v50 offset:4
.LBB1938_121:
	s_or_b32 exec_lo, exec_lo, s34
	s_wait_dscnt 0x0
	v_and_b32_e32 v3, 0xff, v13
	s_barrier_signal -1
	s_barrier_wait -1
	s_delay_alu instid0(VALU_DEP_1)
	v_cmp_eq_u16_e32 vcc_lo, 0, v3
	v_mov_b32_e32 v4, 0
	v_and_b32_e32 v5, 0xff, v15
	ds_load_b32 v2, v4
	s_wait_dscnt 0x0
	v_cndmask_b32_e32 v3, 0, v2, vcc_lo
	v_cmp_eq_u64_e32 vcc_lo, 0, v[4:5]
	s_delay_alu instid0(VALU_DEP_2) | instskip(NEXT) | instid1(VALU_DEP_1)
	v_add_nc_u32_e32 v3, v3, v12
	v_cndmask_b32_e64 v2, v3, v2, s2
	s_delay_alu instid0(VALU_DEP_1) | instskip(NEXT) | instid1(VALU_DEP_1)
	v_cndmask_b32_e32 v3, 0, v2, vcc_lo
	v_add_nc_u32_e32 v3, v3, v14
	s_delay_alu instid0(VALU_DEP_1) | instskip(NEXT) | instid1(VALU_DEP_1)
	v_cndmask_b32_e64 v4, 0, v3, s1
	v_add_nc_u32_e32 v4, v4, v36
	s_delay_alu instid0(VALU_DEP_1) | instskip(NEXT) | instid1(VALU_DEP_1)
	v_cndmask_b32_e64 v5, 0, v4, s4
	v_add_nc_u32_e32 v5, v5, v34
	s_delay_alu instid0(VALU_DEP_1) | instskip(NEXT) | instid1(VALU_DEP_1)
	v_cndmask_b32_e64 v6, 0, v5, s5
	v_add_nc_u32_e32 v6, v6, v32
	s_delay_alu instid0(VALU_DEP_1) | instskip(NEXT) | instid1(VALU_DEP_1)
	v_cndmask_b32_e64 v7, 0, v6, s6
	v_add_nc_u32_e32 v7, v7, v30
	s_delay_alu instid0(VALU_DEP_1) | instskip(NEXT) | instid1(VALU_DEP_1)
	v_cndmask_b32_e64 v8, 0, v7, s7
	v_add_nc_u32_e32 v8, v8, v28
	s_delay_alu instid0(VALU_DEP_1) | instskip(NEXT) | instid1(VALU_DEP_1)
	v_cndmask_b32_e64 v9, 0, v8, s8
	v_add_nc_u32_e32 v9, v9, v24
	s_delay_alu instid0(VALU_DEP_1) | instskip(NEXT) | instid1(VALU_DEP_1)
	v_cndmask_b32_e64 v10, 0, v9, s9
	v_add_nc_u32_e32 v10, v10, v22
	s_delay_alu instid0(VALU_DEP_1) | instskip(NEXT) | instid1(VALU_DEP_1)
	v_cndmask_b32_e64 v11, 0, v10, s10
	v_add_nc_u32_e32 v11, v11, v20
	s_delay_alu instid0(VALU_DEP_1) | instskip(NEXT) | instid1(VALU_DEP_1)
	v_cndmask_b32_e64 v12, 0, v11, s11
	v_add_nc_u32_e32 v12, v12, v18
	s_delay_alu instid0(VALU_DEP_1) | instskip(NEXT) | instid1(VALU_DEP_1)
	v_cndmask_b32_e64 v13, 0, v12, s12
	v_add_nc_u32_e32 v13, v13, v16
	s_branch .LBB1938_139
.LBB1938_122:
	s_cmp_eq_u64 s[30:31], 0
	v_mov_b32_e32 v41, s33
	s_cselect_b32 s1, -1, 0
	s_cmp_eq_u64 s[26:27], 0
	s_cselect_b32 s4, -1, 0
	s_delay_alu instid0(SALU_CYCLE_1) | instskip(NEXT) | instid1(SALU_CYCLE_1)
	s_or_b32 s1, s1, s4
	s_and_b32 vcc_lo, exec_lo, s1
	s_cbranch_vccnz .LBB1938_124
; %bb.123:
	v_mov_b32_e32 v2, 0
	global_load_b32 v41, v2, s[26:27]
.LBB1938_124:
	s_mov_b64 s[12:13], 0x100000000
	v_or3_b32 v3, v40, v25, v29
	v_cmp_gt_u64_e32 vcc_lo, s[12:13], v[36:37]
	v_cmp_gt_u64_e64 s1, s[12:13], v[34:35]
	v_cmp_gt_u64_e64 s4, s[12:13], v[32:33]
	;; [unrolled: 1-line block ×6, first 2 shown]
	s_wait_xcnt 0x0
	v_dual_cndmask_b32 v2, 0, v14, vcc_lo :: v_dual_bitop2_b32 v1, 56, v1 bitop3:0x40
	v_cmp_gt_u64_e64 s9, s[12:13], v[20:21]
	v_cmp_gt_u64_e64 s10, s[12:13], v[18:19]
	;; [unrolled: 1-line block ×3, first 2 shown]
	s_delay_alu instid0(VALU_DEP_4)
	v_add_nc_u32_e32 v2, v2, v36
	v_cmp_gt_u64_e64 s12, s[12:13], v[38:39]
	v_or3_b32 v3, v3, v31, v33
	v_lshl_add_u32 v1, v0, 3, v1
	s_mov_b32 s13, exec_lo
	v_cndmask_b32_e64 v2, 0, v2, s1
	s_delay_alu instid0(VALU_DEP_3) | instskip(NEXT) | instid1(VALU_DEP_2)
	v_or3_b32 v3, v3, v35, v37
	v_add_nc_u32_e32 v2, v2, v34
	s_delay_alu instid0(VALU_DEP_2) | instskip(NEXT) | instid1(VALU_DEP_2)
	v_or3_b32 v3, v39, v27, v3
	v_cndmask_b32_e64 v2, 0, v2, s4
	s_delay_alu instid0(VALU_DEP_2) | instskip(NEXT) | instid1(VALU_DEP_2)
	v_and_b32_e32 v3, 0xff, v3
	v_add_nc_u32_e32 v2, v2, v32
	s_delay_alu instid0(VALU_DEP_1) | instskip(NEXT) | instid1(VALU_DEP_1)
	v_cndmask_b32_e64 v2, 0, v2, s5
	v_add_nc_u32_e32 v2, v2, v30
	s_delay_alu instid0(VALU_DEP_1) | instskip(NEXT) | instid1(VALU_DEP_1)
	v_cndmask_b32_e64 v2, 0, v2, s6
	;; [unrolled: 3-line block ×7, first 2 shown]
	v_dual_add_nc_u32 v4, v2, v16 :: v_dual_mov_b32 v2, 0
	s_delay_alu instid0(VALU_DEP_1) | instskip(NEXT) | instid1(VALU_DEP_2)
	v_cndmask_b32_e64 v4, 0, v4, s12
	v_cmp_eq_u64_e64 s12, 0, v[2:3]
	s_delay_alu instid0(VALU_DEP_1)
	v_dual_add_nc_u32 v4, v4, v38 :: v_dual_cndmask_b32 v5, 1, v15, s12
	ds_store_b32 v1, v4
	ds_store_b8 v1, v5 offset:4
	s_wait_loadcnt_dscnt 0x0
	s_barrier_signal -1
	s_barrier_wait -1
	v_cmpx_gt_u32_e32 32, v0
	s_cbranch_execz .LBB1938_134
; %bb.125:
	v_dual_lshlrev_b32 v1, 1, v0 :: v_dual_lshlrev_b32 v2, 6, v0
	s_mov_b32 s14, exec_lo
	s_delay_alu instid0(VALU_DEP_1) | instskip(NEXT) | instid1(VALU_DEP_1)
	v_and_b32_e32 v1, 0x1f8, v1
	v_add_nc_u32_e32 v1, v1, v2
	ds_load_u8 v12, v1 offset:12
	ds_load_b64 v[2:3], v1
	ds_load_2addr_b32 v[6:7], v1 offset0:2 offset1:4
	ds_load_u8 v13, v1 offset:20
	ds_load_u8 v17, v1 offset:28
	;; [unrolled: 1-line block ×5, first 2 shown]
	ds_load_b32 v25, v1 offset:56
	s_wait_dscnt 0x8
	v_cmp_eq_u16_e64 s12, 0, v12
	s_wait_dscnt 0x7
	s_delay_alu instid0(VALU_DEP_1)
	v_cndmask_b32_e64 v10, 0, v2, s12
	ds_load_2addr_b32 v[8:9], v1 offset0:6 offset1:8
	s_wait_dscnt 0x6
	v_cmp_eq_u16_e64 s12, 0, v13
	v_add_nc_u32_e32 v6, v10, v6
	ds_load_2addr_b32 v[10:11], v1 offset0:10 offset1:12
	v_cndmask_b32_e64 v6, 0, v6, s12
	s_wait_dscnt 0x6
	v_cmp_eq_u16_e64 s12, 0, v17
	s_delay_alu instid0(VALU_DEP_2) | instskip(NEXT) | instid1(VALU_DEP_1)
	v_dual_add_nc_u32 v6, v6, v7 :: v_dual_bitop2_b32 v7, v13, v12 bitop3:0x54
	v_cndmask_b32_e64 v6, 0, v6, s12
	s_wait_dscnt 0x5
	v_cmp_eq_u16_e64 s12, 0, v19
	s_delay_alu instid0(VALU_DEP_3)
	v_bitop3_b16 v7, v7, v19, v17 bitop3:0xfe
	s_wait_dscnt 0x1
	v_add_nc_u32_e32 v6, v6, v8
	ds_load_u8 v8, v1 offset:60
	v_bitop3_b16 v7, v7, v23, v21 bitop3:0xfe
	v_cndmask_b32_e64 v6, 0, v6, s12
	v_cmp_eq_u16_e64 s12, 0, v21
	s_delay_alu instid0(VALU_DEP_2) | instskip(NEXT) | instid1(VALU_DEP_1)
	v_add_nc_u32_e32 v6, v6, v9
	v_dual_cndmask_b32 v9, 0, v6, s12 :: v_dual_bitop2_b32 v6, 1, v3 bitop3:0x40
	v_cmp_eq_u16_e64 s12, 0, v7
	s_wait_dscnt 0x0
	s_delay_alu instid0(VALU_DEP_2) | instskip(NEXT) | instid1(VALU_DEP_2)
	v_dual_add_nc_u32 v9, v9, v10 :: v_dual_bitop2_b32 v10, 1, v8 bitop3:0x40
	v_cndmask_b32_e64 v7, 1, v6, s12
	v_cmp_eq_u16_e64 s12, 0, v23
	s_delay_alu instid0(VALU_DEP_1) | instskip(NEXT) | instid1(VALU_DEP_4)
	v_cndmask_b32_e64 v9, 0, v9, s12
	v_cmp_eq_u32_e64 s12, 1, v10
	s_delay_alu instid0(VALU_DEP_2) | instskip(NEXT) | instid1(VALU_DEP_2)
	v_add_nc_u32_e32 v9, v9, v11
	v_cndmask_b32_e64 v10, v7, 1, s12
	v_cmp_eq_u16_e64 s12, 0, v8
	v_and_b32_e32 v7, 0xffffff00, v3
	s_delay_alu instid0(VALU_DEP_3) | instskip(NEXT) | instid1(VALU_DEP_3)
	v_and_b32_e32 v11, 0xffff, v10
	v_cndmask_b32_e64 v8, 0, v9, s12
	v_mbcnt_lo_u32_b32 v9, -1, 0
	s_delay_alu instid0(VALU_DEP_2) | instskip(NEXT) | instid1(VALU_DEP_2)
	v_dual_add_nc_u32 v8, v8, v25 :: v_dual_bitop2_b32 v12, v7, v11 bitop3:0x54
	v_and_b32_e32 v11, 15, v9
	s_delay_alu instid0(VALU_DEP_2) | instskip(NEXT) | instid1(VALU_DEP_3)
	v_mov_b32_dpp v17, v12 row_shr:1 row_mask:0xf bank_mask:0xf
	v_mov_b32_dpp v13, v8 row_shr:1 row_mask:0xf bank_mask:0xf
	s_delay_alu instid0(VALU_DEP_3)
	v_cmpx_ne_u32_e32 0, v11
	s_cbranch_execz .LBB1938_127
; %bb.126:
	v_and_b32_e32 v12, 1, v10
	v_and_b32_e32 v17, 1, v17
	s_delay_alu instid0(VALU_DEP_2) | instskip(NEXT) | instid1(VALU_DEP_1)
	v_cmp_eq_u32_e64 s12, 1, v12
	v_cndmask_b32_e64 v17, v17, 1, s12
	v_cmp_eq_u16_e64 s12, 0, v10
	s_delay_alu instid0(VALU_DEP_2) | instskip(NEXT) | instid1(VALU_DEP_1)
	v_and_b32_e32 v12, 0xffff, v17
	v_dual_cndmask_b32 v10, 0, v13, s12 :: v_dual_bitop2_b32 v12, v7, v12 bitop3:0x54
	s_delay_alu instid0(VALU_DEP_1)
	v_dual_add_nc_u32 v8, v10, v8 :: v_dual_mov_b32 v10, v17
.LBB1938_127:
	s_or_b32 exec_lo, exec_lo, s14
	s_delay_alu instid0(VALU_DEP_1) | instskip(NEXT) | instid1(VALU_DEP_3)
	v_mov_b32_dpp v13, v8 row_shr:2 row_mask:0xf bank_mask:0xf
	v_mov_b32_dpp v17, v12 row_shr:2 row_mask:0xf bank_mask:0xf
	s_mov_b32 s14, exec_lo
	v_cmpx_lt_u32_e32 1, v11
	s_cbranch_execz .LBB1938_129
; %bb.128:
	v_and_b32_e32 v12, 1, v10
	v_and_b32_e32 v17, 1, v17
	s_delay_alu instid0(VALU_DEP_2) | instskip(NEXT) | instid1(VALU_DEP_1)
	v_cmp_eq_u32_e64 s12, 1, v12
	v_cndmask_b32_e64 v17, v17, 1, s12
	v_cmp_eq_u16_e64 s12, 0, v10
	s_delay_alu instid0(VALU_DEP_2) | instskip(NEXT) | instid1(VALU_DEP_1)
	v_and_b32_e32 v12, 0xffff, v17
	v_dual_cndmask_b32 v10, 0, v13, s12 :: v_dual_bitop2_b32 v12, v7, v12 bitop3:0x54
	s_delay_alu instid0(VALU_DEP_1)
	v_dual_add_nc_u32 v8, v10, v8 :: v_dual_mov_b32 v10, v17
.LBB1938_129:
	s_or_b32 exec_lo, exec_lo, s14
	s_delay_alu instid0(VALU_DEP_1) | instskip(NEXT) | instid1(VALU_DEP_3)
	v_mov_b32_dpp v13, v8 row_shr:4 row_mask:0xf bank_mask:0xf
	v_mov_b32_dpp v17, v12 row_shr:4 row_mask:0xf bank_mask:0xf
	s_mov_b32 s14, exec_lo
	v_cmpx_lt_u32_e32 3, v11
	;; [unrolled: 20-line block ×3, first 2 shown]
	s_cbranch_execz .LBB1938_133
; %bb.132:
	v_and_b32_e32 v11, 1, v10
	v_and_b32_e32 v12, 1, v17
	s_delay_alu instid0(VALU_DEP_2) | instskip(NEXT) | instid1(VALU_DEP_1)
	v_cmp_eq_u32_e64 s12, 1, v11
	v_cndmask_b32_e64 v11, v12, 1, s12
	v_cmp_eq_u16_e64 s12, 0, v10
	s_delay_alu instid0(VALU_DEP_2) | instskip(NEXT) | instid1(VALU_DEP_1)
	v_and_b32_e32 v12, 0xffff, v11
	v_dual_cndmask_b32 v10, 0, v13, s12 :: v_dual_bitop2_b32 v12, v7, v12 bitop3:0x54
	s_delay_alu instid0(VALU_DEP_1)
	v_dual_add_nc_u32 v8, v10, v8 :: v_dual_mov_b32 v10, v11
.LBB1938_133:
	s_or_b32 exec_lo, exec_lo, s14
	ds_swizzle_b32 v11, v12 offset:swizzle(BROADCAST,32,15)
	ds_swizzle_b32 v12, v8 offset:swizzle(BROADCAST,32,15)
	v_and_b32_e32 v13, 1, v10
	v_bfe_i32 v19, v9, 4, 1
	v_and_b32_e32 v3, 0xff, v3
	; wave barrier
	s_delay_alu instid0(VALU_DEP_3) | instskip(SKIP_2) | instid1(VALU_DEP_1)
	v_cmp_eq_u32_e64 s12, 1, v13
	s_wait_dscnt 0x1
	v_dual_add_nc_u32 v13, -1, v9 :: v_dual_bitop2_b32 v11, 1, v11 bitop3:0x40
	v_cndmask_b32_e64 v11, v11, 1, s12
	v_and_b32_e32 v17, 16, v9
	v_cmp_eq_u16_e64 s12, 0, v10
	s_wait_dscnt 0x0
	s_delay_alu instid0(VALU_DEP_1) | instskip(NEXT) | instid1(VALU_DEP_3)
	v_cndmask_b32_e64 v12, 0, v12, s12
	v_cmp_eq_u32_e64 s12, 0, v17
	s_delay_alu instid0(VALU_DEP_1) | instskip(SKIP_1) | instid1(VALU_DEP_4)
	v_cndmask_b32_e64 v10, v11, v10, s12
	v_cmp_gt_i32_e64 s12, 0, v13
	v_and_b32_e32 v11, v19, v12
	s_delay_alu instid0(VALU_DEP_3) | instskip(NEXT) | instid1(VALU_DEP_2)
	v_and_b32_e32 v10, 0xffff, v10
	v_dual_cndmask_b32 v9, v13, v9, s12 :: v_dual_add_nc_u32 v8, v11, v8
	v_cmp_eq_u16_e64 s12, 0, v3
	s_delay_alu instid0(VALU_DEP_2)
	v_lshlrev_b32_e32 v9, 2, v9
	ds_bpermute_b32 v8, v9, v8
	s_wait_dscnt 0x0
	v_dual_cndmask_b32 v3, 0, v8, s12 :: v_dual_bitop2_b32 v7, v7, v10 bitop3:0x54
	ds_bpermute_b32 v7, v9, v7
	v_cmp_eq_u32_e64 s12, 1, v6
	s_wait_dscnt 0x0
	v_dual_add_nc_u32 v2, v3, v2 :: v_dual_bitop2_b32 v7, 1, v7 bitop3:0x40
	s_delay_alu instid0(VALU_DEP_1) | instskip(NEXT) | instid1(VALU_DEP_1)
	v_cndmask_b32_e64 v3, v7, 1, s12
	v_dual_cndmask_b32 v4, v2, v4, s2 :: v_dual_cndmask_b32 v6, v3, v5, s2
	ds_store_b32 v1, v4
	ds_store_b8 v1, v6 offset:4
	; wave barrier
	ds_load_u8 v7, v1 offset:12
	ds_load_2addr_b32 v[2:3], v1 offset0:2 offset1:4
	ds_load_u8 v8, v1 offset:20
	ds_load_u8 v9, v1 offset:28
	;; [unrolled: 1-line block ×5, first 2 shown]
	ds_load_b32 v13, v1 offset:56
	ds_load_u8 v17, v1 offset:60
	s_wait_dscnt 0x8
	v_cmp_eq_u16_e64 s12, 0, v7
	s_delay_alu instid0(VALU_DEP_1) | instskip(SKIP_4) | instid1(VALU_DEP_1)
	v_cndmask_b32_e64 v19, 0, v4, s12
	ds_load_2addr_b32 v[4:5], v1 offset0:6 offset1:8
	s_wait_dscnt 0x7
	v_cmp_eq_u16_e64 s12, 0, v8
	v_add_nc_u32_e32 v19, v19, v2
	v_cndmask_b32_e64 v2, 0, v19, s12
	s_wait_dscnt 0x6
	v_cmp_eq_u16_e64 s12, 0, v9
	s_delay_alu instid0(VALU_DEP_2)
	v_add_nc_u32_e32 v21, v2, v3
	ds_load_2addr_b32 v[2:3], v1 offset0:10 offset1:12
	v_cndmask_b32_e64 v23, 0, v21, s12
	s_wait_dscnt 0x6
	v_cmp_eq_u16_e64 s12, 0, v10
	ds_store_2addr_b32 v1, v19, v21 offset0:2 offset1:4
	s_wait_dscnt 0x2
	v_dual_add_nc_u32 v4, v23, v4 :: v_dual_bitop2_b32 v7, 1, v7 bitop3:0x40
	s_delay_alu instid0(VALU_DEP_1) | instskip(SKIP_1) | instid1(VALU_DEP_3)
	v_cndmask_b32_e64 v23, 0, v4, s12
	v_and_b32_e32 v8, 1, v8
	v_cmp_eq_u32_e64 s12, 1, v7
	v_and_b32_e32 v7, 1, v9
	s_delay_alu instid0(VALU_DEP_4) | instskip(NEXT) | instid1(VALU_DEP_3)
	v_add_nc_u32_e32 v5, v23, v5
	v_cndmask_b32_e64 v6, v6, 1, s12
	v_cmp_eq_u32_e64 s12, 1, v8
	s_delay_alu instid0(VALU_DEP_1) | instskip(SKIP_1) | instid1(VALU_DEP_1)
	v_cndmask_b32_e64 v8, v6, 1, s12
	v_cmp_eq_u16_e64 s12, 0, v11
	v_dual_cndmask_b32 v10, 0, v5, s12 :: v_dual_bitop2_b32 v9, 1, v10 bitop3:0x40
	s_wait_dscnt 0x1
	s_delay_alu instid0(VALU_DEP_1) | instskip(SKIP_2) | instid1(VALU_DEP_2)
	v_add_nc_u32_e32 v2, v10, v2
	v_cmp_eq_u32_e64 s12, 1, v7
	v_and_b32_e32 v10, 1, v12
	v_cndmask_b32_e64 v7, v8, 1, s12
	v_cmp_eq_u32_e64 s12, 1, v9
	s_delay_alu instid0(VALU_DEP_1) | instskip(SKIP_1) | instid1(VALU_DEP_1)
	v_cndmask_b32_e64 v9, v7, 1, s12
	v_cmp_eq_u16_e64 s12, 0, v12
	v_dual_cndmask_b32 v12, 0, v2, s12 :: v_dual_bitop2_b32 v11, 1, v11 bitop3:0x40
	s_delay_alu instid0(VALU_DEP_1) | instskip(NEXT) | instid1(VALU_DEP_2)
	v_cmp_eq_u32_e64 s12, 1, v11
	v_add_nc_u32_e32 v3, v12, v3
	s_delay_alu instid0(VALU_DEP_2)
	v_cndmask_b32_e64 v11, v9, 1, s12
	v_cmp_eq_u32_e64 s12, 1, v10
	ds_store_2addr_b32 v1, v4, v5 offset0:6 offset1:8
	ds_store_2addr_b32 v1, v2, v3 offset0:10 offset1:12
	v_cndmask_b32_e64 v10, v11, 1, s12
	v_cmp_eq_u16_e64 s12, 0, v17
	s_delay_alu instid0(VALU_DEP_1) | instskip(NEXT) | instid1(VALU_DEP_1)
	v_dual_cndmask_b32 v12, 0, v3, s12 :: v_dual_bitop2_b32 v23, 1, v17 bitop3:0x40
	v_cmp_eq_u32_e64 s12, 1, v23
	s_delay_alu instid0(VALU_DEP_2) | instskip(NEXT) | instid1(VALU_DEP_2)
	v_add_nc_u32_e32 v2, v12, v13
	v_cndmask_b32_e64 v17, v10, 1, s12
	ds_store_b8 v1, v6 offset:12
	ds_store_b8 v1, v8 offset:20
	;; [unrolled: 1-line block ×6, first 2 shown]
	ds_store_b32 v1, v2 offset:56
	ds_store_b8 v1, v17 offset:60
.LBB1938_134:
	s_or_b32 exec_lo, exec_lo, s13
	v_mov_b32_e32 v2, v41
	s_wait_dscnt 0x0
	s_barrier_signal -1
	s_barrier_wait -1
	s_and_saveexec_b32 s12, s3
	s_cbranch_execz .LBB1938_136
; %bb.135:
	v_add_nc_u32_e32 v1, -1, v0
	s_delay_alu instid0(VALU_DEP_1) | instskip(NEXT) | instid1(VALU_DEP_1)
	v_lshrrev_b32_e32 v2, 2, v1
	v_and_b32_e32 v2, 0x3ffffff8, v2
	s_delay_alu instid0(VALU_DEP_1) | instskip(SKIP_4) | instid1(VALU_DEP_1)
	v_lshl_add_u32 v1, v1, 3, v2
	ds_load_u8 v2, v1 offset:4
	ds_load_b32 v1, v1
	s_wait_dscnt 0x1
	v_cmp_eq_u16_e64 s3, 0, v2
	v_cndmask_b32_e64 v2, 0, v41, s3
	s_wait_dscnt 0x0
	s_delay_alu instid0(VALU_DEP_1)
	v_add_nc_u32_e32 v2, v2, v1
.LBB1938_136:
	s_or_b32 exec_lo, exec_lo, s12
	v_and_b32_e32 v39, 0xff, v15
	v_mov_b32_e32 v38, 0
	s_delay_alu instid0(VALU_DEP_1) | instskip(NEXT) | instid1(VALU_DEP_1)
	v_cmp_eq_u64_e64 s3, 0, v[38:39]
	v_cndmask_b32_e64 v1, 0, v2, s3
	s_delay_alu instid0(VALU_DEP_1) | instskip(NEXT) | instid1(VALU_DEP_1)
	v_add_nc_u32_e32 v3, v1, v14
	v_cndmask_b32_e32 v1, 0, v3, vcc_lo
	s_delay_alu instid0(VALU_DEP_1) | instskip(NEXT) | instid1(VALU_DEP_1)
	v_add_nc_u32_e32 v4, v1, v36
	v_cndmask_b32_e64 v1, 0, v4, s1
	s_delay_alu instid0(VALU_DEP_1) | instskip(NEXT) | instid1(VALU_DEP_1)
	v_add_nc_u32_e32 v5, v1, v34
	v_cndmask_b32_e64 v1, 0, v5, s4
	s_delay_alu instid0(VALU_DEP_1) | instskip(NEXT) | instid1(VALU_DEP_1)
	v_add_nc_u32_e32 v6, v1, v32
	v_cndmask_b32_e64 v1, 0, v6, s5
	s_delay_alu instid0(VALU_DEP_1) | instskip(NEXT) | instid1(VALU_DEP_1)
	v_add_nc_u32_e32 v7, v1, v30
	v_cndmask_b32_e64 v1, 0, v7, s6
	s_delay_alu instid0(VALU_DEP_1) | instskip(NEXT) | instid1(VALU_DEP_1)
	v_add_nc_u32_e32 v8, v1, v28
	v_cndmask_b32_e64 v1, 0, v8, s7
	s_delay_alu instid0(VALU_DEP_1) | instskip(NEXT) | instid1(VALU_DEP_1)
	v_add_nc_u32_e32 v9, v1, v24
	v_cndmask_b32_e64 v1, 0, v9, s8
	s_delay_alu instid0(VALU_DEP_1) | instskip(NEXT) | instid1(VALU_DEP_1)
	v_add_nc_u32_e32 v10, v1, v22
	v_cndmask_b32_e64 v1, 0, v10, s9
	s_delay_alu instid0(VALU_DEP_1) | instskip(NEXT) | instid1(VALU_DEP_1)
	v_add_nc_u32_e32 v11, v1, v20
	v_cndmask_b32_e64 v1, 0, v11, s10
	s_delay_alu instid0(VALU_DEP_1) | instskip(NEXT) | instid1(VALU_DEP_1)
	v_add_nc_u32_e32 v12, v1, v18
	v_cndmask_b32_e64 v1, 0, v12, s11
	s_delay_alu instid0(VALU_DEP_1)
	v_add_nc_u32_e32 v13, v1, v16
	s_and_saveexec_b32 s1, s2
	s_cbranch_execz .LBB1938_138
; %bb.137:
	ds_load_u8 v1, v38 offset:2100
	ds_load_b32 v18, v38 offset:2096
	v_mov_b32_e32 v15, v38
	s_add_nc_u64 s[2:3], s[20:21], 0x200
	v_dual_mov_b32 v16, 2 :: v_dual_mov_b32 v17, v38
	s_wait_dscnt 0x1
	v_and_b32_e32 v14, 0xffff, v1
	s_delay_alu instid0(VALU_DEP_1) | instskip(SKIP_2) | instid1(VALU_DEP_1)
	v_cmp_eq_u64_e32 vcc_lo, 0, v[14:15]
	v_dual_cndmask_b32 v1, 0, v41, vcc_lo :: v_dual_mov_b32 v15, v14
	s_wait_dscnt 0x0
	v_add_nc_u32_e32 v14, v1, v18
	v_mov_b64_e32 v[18:19], s[2:3]
	;;#ASMSTART
	global_store_b128 v[18:19], v[14:17] off scope:SCOPE_DEV	
s_wait_storecnt 0x0
	;;#ASMEND
.LBB1938_138:
	s_or_b32 exec_lo, exec_lo, s1
.LBB1938_139:
	v_mov_b32_e32 v17, 0
	s_add_nc_u64 s[2:3], s[18:19], s[28:29]
	s_and_b32 vcc_lo, exec_lo, s0
	s_add_nc_u64 s[2:3], s[2:3], s[16:17]
	s_cbranch_vccz .LBB1938_183
; %bb.140:
	v_mul_u32_u24_e32 v1, 12, v0
	v_dual_mov_b32 v16, 0 :: v_dual_mov_b32 v22, 0
	v_dual_mov_b32 v23, 0 :: v_dual_mov_b32 v24, 0
	;; [unrolled: 1-line block ×5, first 2 shown]
	v_mov_b32_e32 v15, 0
	s_add_co_i32 s23, s23, s22
	s_mov_b32 s1, exec_lo
	v_cmpx_gt_u32_e64 s23, v1
	s_cbranch_execz .LBB1938_160
; %bb.141:
	v_dual_mov_b32 v15, 0 :: v_dual_bitop2_b32 v16, 1, v1 bitop3:0x54
	v_dual_mov_b32 v14, 0 :: v_dual_mov_b32 v21, 0
	v_dual_mov_b32 v20, 0 :: v_dual_mov_b32 v19, 0
	s_delay_alu instid0(VALU_DEP_3)
	v_cmp_gt_u32_e32 vcc_lo, s23, v16
	v_dual_mov_b32 v18, 0 :: v_dual_mov_b32 v25, 0
	v_dual_mov_b32 v24, 0 :: v_dual_mov_b32 v23, 0
	;; [unrolled: 1-line block ×3, first 2 shown]
	s_and_saveexec_b32 s4, vcc_lo
	s_cbranch_execz .LBB1938_159
; %bb.142:
	v_dual_mov_b32 v15, 0 :: v_dual_bitop2_b32 v16, 2, v1 bitop3:0x54
	v_dual_mov_b32 v14, 0 :: v_dual_mov_b32 v21, 0
	v_dual_mov_b32 v20, 0 :: v_dual_mov_b32 v19, 0
	s_delay_alu instid0(VALU_DEP_3)
	v_cmp_gt_u32_e32 vcc_lo, s23, v16
	v_dual_mov_b32 v18, 0 :: v_dual_mov_b32 v25, 0
	v_dual_mov_b32 v24, 0 :: v_dual_mov_b32 v16, 0
	v_mov_b32_e32 v17, 0
	s_and_saveexec_b32 s5, vcc_lo
	s_cbranch_execz .LBB1938_158
; %bb.143:
	v_dual_mov_b32 v15, 0 :: v_dual_bitop2_b32 v16, 3, v1 bitop3:0x54
	v_dual_mov_b32 v14, 0 :: v_dual_mov_b32 v21, 0
	v_dual_mov_b32 v20, 0 :: v_dual_mov_b32 v19, 0
	s_delay_alu instid0(VALU_DEP_3)
	v_cmp_gt_u32_e32 vcc_lo, s23, v16
	v_dual_mov_b32 v18, 0 :: v_dual_mov_b32 v25, 0
	v_dual_mov_b32 v16, 0 :: v_dual_mov_b32 v17, 0
	s_and_saveexec_b32 s6, vcc_lo
	s_cbranch_execz .LBB1938_157
; %bb.144:
	v_dual_mov_b32 v15, 0 :: v_dual_add_nc_u32 v16, 4, v1
	v_dual_mov_b32 v14, 0 :: v_dual_mov_b32 v21, 0
	v_dual_mov_b32 v20, 0 :: v_dual_mov_b32 v19, 0
	s_delay_alu instid0(VALU_DEP_3)
	v_cmp_gt_u32_e32 vcc_lo, s23, v16
	v_dual_mov_b32 v18, 0 :: v_dual_mov_b32 v16, 0
	v_mov_b32_e32 v17, 0
	s_and_saveexec_b32 s7, vcc_lo
	s_cbranch_execz .LBB1938_156
; %bb.145:
	v_dual_mov_b32 v15, 0 :: v_dual_add_nc_u32 v16, 5, v1
	v_dual_mov_b32 v14, 0 :: v_dual_mov_b32 v21, 0
	v_dual_mov_b32 v20, 0 :: v_dual_mov_b32 v19, 0
	s_delay_alu instid0(VALU_DEP_3)
	v_cmp_gt_u32_e32 vcc_lo, s23, v16
	v_dual_mov_b32 v16, 0 :: v_dual_mov_b32 v17, 0
	s_and_saveexec_b32 s8, vcc_lo
	s_cbranch_execz .LBB1938_155
; %bb.146:
	v_dual_mov_b32 v15, 0 :: v_dual_add_nc_u32 v16, 6, v1
	v_dual_mov_b32 v14, 0 :: v_dual_mov_b32 v21, 0
	v_mov_b32_e32 v20, 0
	s_delay_alu instid0(VALU_DEP_3)
	v_cmp_gt_u32_e32 vcc_lo, s23, v16
	v_dual_mov_b32 v16, 0 :: v_dual_mov_b32 v17, 0
	s_and_saveexec_b32 s9, vcc_lo
	s_cbranch_execz .LBB1938_154
; %bb.147:
	v_dual_add_nc_u32 v17, 7, v1 :: v_dual_mov_b32 v15, 0
	v_dual_mov_b32 v14, 0 :: v_dual_mov_b32 v21, 0
	v_mov_b32_e32 v16, 0
	s_delay_alu instid0(VALU_DEP_3)
	v_cmp_gt_u32_e32 vcc_lo, s23, v17
	v_mov_b32_e32 v17, 0
	s_and_saveexec_b32 s10, vcc_lo
	s_cbranch_execz .LBB1938_153
; %bb.148:
	v_dual_add_nc_u32 v17, 8, v1 :: v_dual_mov_b32 v15, 0
	v_dual_mov_b32 v14, 0 :: v_dual_mov_b32 v16, 0
	s_delay_alu instid0(VALU_DEP_2)
	v_cmp_gt_u32_e32 vcc_lo, s23, v17
	v_mov_b32_e32 v17, 0
	s_and_saveexec_b32 s11, vcc_lo
	s_cbranch_execz .LBB1938_152
; %bb.149:
	v_dual_mov_b32 v15, 0 :: v_dual_add_nc_u32 v14, 9, v1
	v_dual_mov_b32 v16, 0 :: v_dual_mov_b32 v17, 0
	s_mov_b32 s12, exec_lo
	s_delay_alu instid0(VALU_DEP_2)
	v_cmpx_gt_u32_e64 s23, v14
; %bb.150:
	v_dual_add_nc_u32 v14, 11, v1 :: v_dual_add_nc_u32 v15, 10, v1
	s_delay_alu instid0(VALU_DEP_1) | instskip(NEXT) | instid1(VALU_DEP_2)
	v_cmp_gt_u32_e32 vcc_lo, s23, v14
	v_cmp_gt_u32_e64 s0, s23, v15
	v_mov_b32_e32 v15, v11
	s_and_b32 vcc_lo, s0, vcc_lo
	s_delay_alu instid0(SALU_CYCLE_1)
	v_dual_cndmask_b32 v16, 0, v12, s0 :: v_dual_cndmask_b32 v17, 0, v13, vcc_lo
; %bb.151:
	s_or_b32 exec_lo, exec_lo, s12
	v_mov_b32_e32 v14, v10
.LBB1938_152:
	s_or_b32 exec_lo, exec_lo, s11
	v_mov_b32_e32 v21, v9
.LBB1938_153:
	s_or_b32 exec_lo, exec_lo, s10
	v_mov_b32_e32 v20, v8
.LBB1938_154:
	s_or_b32 exec_lo, exec_lo, s9
	v_mov_b32_e32 v19, v7
.LBB1938_155:
	s_or_b32 exec_lo, exec_lo, s8
	v_mov_b32_e32 v18, v6
.LBB1938_156:
	s_or_b32 exec_lo, exec_lo, s7
	v_mov_b32_e32 v25, v5
.LBB1938_157:
	s_or_b32 exec_lo, exec_lo, s6
	v_mov_b32_e32 v24, v4
.LBB1938_158:
	s_or_b32 exec_lo, exec_lo, s5
	v_mov_b32_e32 v23, v3
.LBB1938_159:
	s_or_b32 exec_lo, exec_lo, s4
	v_mov_b32_e32 v22, v2
.LBB1938_160:
	s_or_b32 exec_lo, exec_lo, s1
	v_dual_lshlrev_b32 v1, 2, v1 :: v_dual_mov_b32 v27, 0
	s_barrier_signal -1
	s_barrier_wait -1
	ds_store_b128 v1, v[22:25]
	ds_store_b128 v1, v[18:21] offset:16
	ds_store_b128 v1, v[14:17] offset:32
	v_mad_i32_i24 v14, 0xffffffd4, v0, v1
	s_wait_dscnt 0x0
	s_barrier_signal -1
	s_barrier_wait -1
	ds_load_2addr_stride64_b32 v[28:29], v14 offset0:4 offset1:8
	ds_load_2addr_stride64_b32 v[24:25], v14 offset0:12 offset1:16
	;; [unrolled: 1-line block ×5, first 2 shown]
	ds_load_b32 v15, v14 offset:11264
	v_add_nc_u64_e32 v[18:19], s[2:3], v[26:27]
	s_mov_b32 s0, exec_lo
	v_cmpx_gt_u32_e64 s23, v0
	s_cbranch_execz .LBB1938_162
; %bb.161:
	v_mul_i32_i24_e32 v14, 0xffffffd4, v0
	s_delay_alu instid0(VALU_DEP_1)
	v_add_nc_u32_e32 v1, v1, v14
	ds_load_b32 v1, v1
	s_wait_dscnt 0x0
	flat_store_b32 v[18:19], v1
.LBB1938_162:
	s_wait_xcnt 0x0
	s_or_b32 exec_lo, exec_lo, s0
	v_or_b32_e32 v1, 0x100, v0
	s_mov_b32 s0, exec_lo
	s_delay_alu instid0(VALU_DEP_1)
	v_cmpx_gt_u32_e64 s23, v1
	s_cbranch_execz .LBB1938_164
; %bb.163:
	s_wait_dscnt 0x5
	flat_store_b32 v[18:19], v28 offset:1024
.LBB1938_164:
	s_wait_xcnt 0x0
	s_or_b32 exec_lo, exec_lo, s0
	v_or_b32_e32 v1, 0x200, v0
	s_mov_b32 s0, exec_lo
	s_delay_alu instid0(VALU_DEP_1)
	v_cmpx_gt_u32_e64 s23, v1
	s_cbranch_execz .LBB1938_166
; %bb.165:
	s_wait_dscnt 0x5
	flat_store_b32 v[18:19], v29 offset:2048
.LBB1938_166:
	;; [unrolled: 11-line block ×10, first 2 shown]
	s_wait_xcnt 0x0
	s_or_b32 exec_lo, exec_lo, s0
	v_or_b32_e32 v1, 0xb00, v0
	s_delay_alu instid0(VALU_DEP_1)
	v_cmp_gt_u32_e64 s0, s23, v1
	s_branch .LBB1938_185
.LBB1938_183:
	s_mov_b32 s0, 0
                                        ; implicit-def: $vgpr15
	s_cbranch_execz .LBB1938_185
; %bb.184:
	v_mul_u32_u24_e32 v1, 48, v0
	v_mul_i32_i24_e32 v14, 0xffffffd4, v0
	s_wait_storecnt_dscnt 0x0
	s_barrier_signal -1
	s_barrier_wait -1
	ds_store_b128 v1, v[2:5]
	ds_store_b128 v1, v[6:9] offset:16
	ds_store_b128 v1, v[10:13] offset:32
	v_mad_u32_u24 v1, v0, 48, v14
	s_wait_dscnt 0x0
	s_barrier_signal -1
	s_barrier_wait -1
	ds_load_2addr_stride64_b32 v[2:3], v1 offset1:4
	ds_load_2addr_stride64_b32 v[4:5], v1 offset0:8 offset1:12
	ds_load_2addr_stride64_b32 v[6:7], v1 offset0:16 offset1:20
	;; [unrolled: 1-line block ×5, first 2 shown]
	s_or_b32 s0, s0, exec_lo
	s_wait_dscnt 0x5
	s_clause 0x1
	flat_store_b32 v0, v2, s[2:3] scale_offset
	flat_store_b32 v0, v3, s[2:3] offset:1024 scale_offset
	s_wait_dscnt 0x6
	s_clause 0x1
	flat_store_b32 v0, v4, s[2:3] offset:2048 scale_offset
	flat_store_b32 v0, v5, s[2:3] offset:3072 scale_offset
	s_wait_dscnt 0x7
	s_clause 0x1
	flat_store_b32 v0, v6, s[2:3] offset:4096 scale_offset
	;; [unrolled: 4-line block ×4, first 2 shown]
	flat_store_b32 v0, v11, s[2:3] offset:9216 scale_offset
	s_wait_dscnt 0xa
	flat_store_b32 v0, v14, s[2:3] offset:10240 scale_offset
.LBB1938_185:
	s_wait_xcnt 0x0
	s_delay_alu instid0(VALU_DEP_1)
	s_and_saveexec_b32 s1, s0
	s_cbranch_execnz .LBB1938_187
; %bb.186:
	s_endpgm
.LBB1938_187:
	s_wait_dscnt 0x0
	flat_store_b32 v0, v15, s[2:3] offset:11264 scale_offset
	s_endpgm
	.section	.rodata,"a",@progbits
	.p2align	6, 0x0
	.amdhsa_kernel _ZN7rocprim17ROCPRIM_400000_NS6detail17trampoline_kernelINS0_14default_configENS1_27scan_by_key_config_selectorIj11FixedVectorIiLj1EEEEZZNS1_16scan_by_key_implILNS1_25lookback_scan_determinismE0ELb1ES3_N6thrust23THRUST_200600_302600_NS6detail15normal_iteratorINSB_10device_ptrIjEEEENSD_INSE_IS6_EEEESI_S6_NSB_4plusIvEENSB_8equal_toIvEES6_EE10hipError_tPvRmT2_T3_T4_T5_mT6_T7_P12ihipStream_tbENKUlT_T0_E_clISt17integral_constantIbLb0EES12_IbLb1EEEEDaSY_SZ_EUlSY_E_NS1_11comp_targetILNS1_3genE0ELNS1_11target_archE4294967295ELNS1_3gpuE0ELNS1_3repE0EEENS1_30default_config_static_selectorELNS0_4arch9wavefront6targetE0EEEvT1_
		.amdhsa_group_segment_fixed_size 14336
		.amdhsa_private_segment_fixed_size 0
		.amdhsa_kernarg_size 112
		.amdhsa_user_sgpr_count 2
		.amdhsa_user_sgpr_dispatch_ptr 0
		.amdhsa_user_sgpr_queue_ptr 0
		.amdhsa_user_sgpr_kernarg_segment_ptr 1
		.amdhsa_user_sgpr_dispatch_id 0
		.amdhsa_user_sgpr_kernarg_preload_length 0
		.amdhsa_user_sgpr_kernarg_preload_offset 0
		.amdhsa_user_sgpr_private_segment_size 0
		.amdhsa_wavefront_size32 1
		.amdhsa_uses_dynamic_stack 0
		.amdhsa_enable_private_segment 0
		.amdhsa_system_sgpr_workgroup_id_x 1
		.amdhsa_system_sgpr_workgroup_id_y 0
		.amdhsa_system_sgpr_workgroup_id_z 0
		.amdhsa_system_sgpr_workgroup_info 0
		.amdhsa_system_vgpr_workitem_id 0
		.amdhsa_next_free_vgpr 62
		.amdhsa_next_free_sgpr 39
		.amdhsa_named_barrier_count 0
		.amdhsa_reserve_vcc 1
		.amdhsa_float_round_mode_32 0
		.amdhsa_float_round_mode_16_64 0
		.amdhsa_float_denorm_mode_32 3
		.amdhsa_float_denorm_mode_16_64 3
		.amdhsa_fp16_overflow 0
		.amdhsa_memory_ordered 1
		.amdhsa_forward_progress 1
		.amdhsa_inst_pref_size 98
		.amdhsa_round_robin_scheduling 0
		.amdhsa_exception_fp_ieee_invalid_op 0
		.amdhsa_exception_fp_denorm_src 0
		.amdhsa_exception_fp_ieee_div_zero 0
		.amdhsa_exception_fp_ieee_overflow 0
		.amdhsa_exception_fp_ieee_underflow 0
		.amdhsa_exception_fp_ieee_inexact 0
		.amdhsa_exception_int_div_zero 0
	.end_amdhsa_kernel
	.section	.text._ZN7rocprim17ROCPRIM_400000_NS6detail17trampoline_kernelINS0_14default_configENS1_27scan_by_key_config_selectorIj11FixedVectorIiLj1EEEEZZNS1_16scan_by_key_implILNS1_25lookback_scan_determinismE0ELb1ES3_N6thrust23THRUST_200600_302600_NS6detail15normal_iteratorINSB_10device_ptrIjEEEENSD_INSE_IS6_EEEESI_S6_NSB_4plusIvEENSB_8equal_toIvEES6_EE10hipError_tPvRmT2_T3_T4_T5_mT6_T7_P12ihipStream_tbENKUlT_T0_E_clISt17integral_constantIbLb0EES12_IbLb1EEEEDaSY_SZ_EUlSY_E_NS1_11comp_targetILNS1_3genE0ELNS1_11target_archE4294967295ELNS1_3gpuE0ELNS1_3repE0EEENS1_30default_config_static_selectorELNS0_4arch9wavefront6targetE0EEEvT1_,"axG",@progbits,_ZN7rocprim17ROCPRIM_400000_NS6detail17trampoline_kernelINS0_14default_configENS1_27scan_by_key_config_selectorIj11FixedVectorIiLj1EEEEZZNS1_16scan_by_key_implILNS1_25lookback_scan_determinismE0ELb1ES3_N6thrust23THRUST_200600_302600_NS6detail15normal_iteratorINSB_10device_ptrIjEEEENSD_INSE_IS6_EEEESI_S6_NSB_4plusIvEENSB_8equal_toIvEES6_EE10hipError_tPvRmT2_T3_T4_T5_mT6_T7_P12ihipStream_tbENKUlT_T0_E_clISt17integral_constantIbLb0EES12_IbLb1EEEEDaSY_SZ_EUlSY_E_NS1_11comp_targetILNS1_3genE0ELNS1_11target_archE4294967295ELNS1_3gpuE0ELNS1_3repE0EEENS1_30default_config_static_selectorELNS0_4arch9wavefront6targetE0EEEvT1_,comdat
.Lfunc_end1938:
	.size	_ZN7rocprim17ROCPRIM_400000_NS6detail17trampoline_kernelINS0_14default_configENS1_27scan_by_key_config_selectorIj11FixedVectorIiLj1EEEEZZNS1_16scan_by_key_implILNS1_25lookback_scan_determinismE0ELb1ES3_N6thrust23THRUST_200600_302600_NS6detail15normal_iteratorINSB_10device_ptrIjEEEENSD_INSE_IS6_EEEESI_S6_NSB_4plusIvEENSB_8equal_toIvEES6_EE10hipError_tPvRmT2_T3_T4_T5_mT6_T7_P12ihipStream_tbENKUlT_T0_E_clISt17integral_constantIbLb0EES12_IbLb1EEEEDaSY_SZ_EUlSY_E_NS1_11comp_targetILNS1_3genE0ELNS1_11target_archE4294967295ELNS1_3gpuE0ELNS1_3repE0EEENS1_30default_config_static_selectorELNS0_4arch9wavefront6targetE0EEEvT1_, .Lfunc_end1938-_ZN7rocprim17ROCPRIM_400000_NS6detail17trampoline_kernelINS0_14default_configENS1_27scan_by_key_config_selectorIj11FixedVectorIiLj1EEEEZZNS1_16scan_by_key_implILNS1_25lookback_scan_determinismE0ELb1ES3_N6thrust23THRUST_200600_302600_NS6detail15normal_iteratorINSB_10device_ptrIjEEEENSD_INSE_IS6_EEEESI_S6_NSB_4plusIvEENSB_8equal_toIvEES6_EE10hipError_tPvRmT2_T3_T4_T5_mT6_T7_P12ihipStream_tbENKUlT_T0_E_clISt17integral_constantIbLb0EES12_IbLb1EEEEDaSY_SZ_EUlSY_E_NS1_11comp_targetILNS1_3genE0ELNS1_11target_archE4294967295ELNS1_3gpuE0ELNS1_3repE0EEENS1_30default_config_static_selectorELNS0_4arch9wavefront6targetE0EEEvT1_
                                        ; -- End function
	.set _ZN7rocprim17ROCPRIM_400000_NS6detail17trampoline_kernelINS0_14default_configENS1_27scan_by_key_config_selectorIj11FixedVectorIiLj1EEEEZZNS1_16scan_by_key_implILNS1_25lookback_scan_determinismE0ELb1ES3_N6thrust23THRUST_200600_302600_NS6detail15normal_iteratorINSB_10device_ptrIjEEEENSD_INSE_IS6_EEEESI_S6_NSB_4plusIvEENSB_8equal_toIvEES6_EE10hipError_tPvRmT2_T3_T4_T5_mT6_T7_P12ihipStream_tbENKUlT_T0_E_clISt17integral_constantIbLb0EES12_IbLb1EEEEDaSY_SZ_EUlSY_E_NS1_11comp_targetILNS1_3genE0ELNS1_11target_archE4294967295ELNS1_3gpuE0ELNS1_3repE0EEENS1_30default_config_static_selectorELNS0_4arch9wavefront6targetE0EEEvT1_.num_vgpr, 62
	.set _ZN7rocprim17ROCPRIM_400000_NS6detail17trampoline_kernelINS0_14default_configENS1_27scan_by_key_config_selectorIj11FixedVectorIiLj1EEEEZZNS1_16scan_by_key_implILNS1_25lookback_scan_determinismE0ELb1ES3_N6thrust23THRUST_200600_302600_NS6detail15normal_iteratorINSB_10device_ptrIjEEEENSD_INSE_IS6_EEEESI_S6_NSB_4plusIvEENSB_8equal_toIvEES6_EE10hipError_tPvRmT2_T3_T4_T5_mT6_T7_P12ihipStream_tbENKUlT_T0_E_clISt17integral_constantIbLb0EES12_IbLb1EEEEDaSY_SZ_EUlSY_E_NS1_11comp_targetILNS1_3genE0ELNS1_11target_archE4294967295ELNS1_3gpuE0ELNS1_3repE0EEENS1_30default_config_static_selectorELNS0_4arch9wavefront6targetE0EEEvT1_.num_agpr, 0
	.set _ZN7rocprim17ROCPRIM_400000_NS6detail17trampoline_kernelINS0_14default_configENS1_27scan_by_key_config_selectorIj11FixedVectorIiLj1EEEEZZNS1_16scan_by_key_implILNS1_25lookback_scan_determinismE0ELb1ES3_N6thrust23THRUST_200600_302600_NS6detail15normal_iteratorINSB_10device_ptrIjEEEENSD_INSE_IS6_EEEESI_S6_NSB_4plusIvEENSB_8equal_toIvEES6_EE10hipError_tPvRmT2_T3_T4_T5_mT6_T7_P12ihipStream_tbENKUlT_T0_E_clISt17integral_constantIbLb0EES12_IbLb1EEEEDaSY_SZ_EUlSY_E_NS1_11comp_targetILNS1_3genE0ELNS1_11target_archE4294967295ELNS1_3gpuE0ELNS1_3repE0EEENS1_30default_config_static_selectorELNS0_4arch9wavefront6targetE0EEEvT1_.numbered_sgpr, 39
	.set _ZN7rocprim17ROCPRIM_400000_NS6detail17trampoline_kernelINS0_14default_configENS1_27scan_by_key_config_selectorIj11FixedVectorIiLj1EEEEZZNS1_16scan_by_key_implILNS1_25lookback_scan_determinismE0ELb1ES3_N6thrust23THRUST_200600_302600_NS6detail15normal_iteratorINSB_10device_ptrIjEEEENSD_INSE_IS6_EEEESI_S6_NSB_4plusIvEENSB_8equal_toIvEES6_EE10hipError_tPvRmT2_T3_T4_T5_mT6_T7_P12ihipStream_tbENKUlT_T0_E_clISt17integral_constantIbLb0EES12_IbLb1EEEEDaSY_SZ_EUlSY_E_NS1_11comp_targetILNS1_3genE0ELNS1_11target_archE4294967295ELNS1_3gpuE0ELNS1_3repE0EEENS1_30default_config_static_selectorELNS0_4arch9wavefront6targetE0EEEvT1_.num_named_barrier, 0
	.set _ZN7rocprim17ROCPRIM_400000_NS6detail17trampoline_kernelINS0_14default_configENS1_27scan_by_key_config_selectorIj11FixedVectorIiLj1EEEEZZNS1_16scan_by_key_implILNS1_25lookback_scan_determinismE0ELb1ES3_N6thrust23THRUST_200600_302600_NS6detail15normal_iteratorINSB_10device_ptrIjEEEENSD_INSE_IS6_EEEESI_S6_NSB_4plusIvEENSB_8equal_toIvEES6_EE10hipError_tPvRmT2_T3_T4_T5_mT6_T7_P12ihipStream_tbENKUlT_T0_E_clISt17integral_constantIbLb0EES12_IbLb1EEEEDaSY_SZ_EUlSY_E_NS1_11comp_targetILNS1_3genE0ELNS1_11target_archE4294967295ELNS1_3gpuE0ELNS1_3repE0EEENS1_30default_config_static_selectorELNS0_4arch9wavefront6targetE0EEEvT1_.private_seg_size, 0
	.set _ZN7rocprim17ROCPRIM_400000_NS6detail17trampoline_kernelINS0_14default_configENS1_27scan_by_key_config_selectorIj11FixedVectorIiLj1EEEEZZNS1_16scan_by_key_implILNS1_25lookback_scan_determinismE0ELb1ES3_N6thrust23THRUST_200600_302600_NS6detail15normal_iteratorINSB_10device_ptrIjEEEENSD_INSE_IS6_EEEESI_S6_NSB_4plusIvEENSB_8equal_toIvEES6_EE10hipError_tPvRmT2_T3_T4_T5_mT6_T7_P12ihipStream_tbENKUlT_T0_E_clISt17integral_constantIbLb0EES12_IbLb1EEEEDaSY_SZ_EUlSY_E_NS1_11comp_targetILNS1_3genE0ELNS1_11target_archE4294967295ELNS1_3gpuE0ELNS1_3repE0EEENS1_30default_config_static_selectorELNS0_4arch9wavefront6targetE0EEEvT1_.uses_vcc, 1
	.set _ZN7rocprim17ROCPRIM_400000_NS6detail17trampoline_kernelINS0_14default_configENS1_27scan_by_key_config_selectorIj11FixedVectorIiLj1EEEEZZNS1_16scan_by_key_implILNS1_25lookback_scan_determinismE0ELb1ES3_N6thrust23THRUST_200600_302600_NS6detail15normal_iteratorINSB_10device_ptrIjEEEENSD_INSE_IS6_EEEESI_S6_NSB_4plusIvEENSB_8equal_toIvEES6_EE10hipError_tPvRmT2_T3_T4_T5_mT6_T7_P12ihipStream_tbENKUlT_T0_E_clISt17integral_constantIbLb0EES12_IbLb1EEEEDaSY_SZ_EUlSY_E_NS1_11comp_targetILNS1_3genE0ELNS1_11target_archE4294967295ELNS1_3gpuE0ELNS1_3repE0EEENS1_30default_config_static_selectorELNS0_4arch9wavefront6targetE0EEEvT1_.uses_flat_scratch, 1
	.set _ZN7rocprim17ROCPRIM_400000_NS6detail17trampoline_kernelINS0_14default_configENS1_27scan_by_key_config_selectorIj11FixedVectorIiLj1EEEEZZNS1_16scan_by_key_implILNS1_25lookback_scan_determinismE0ELb1ES3_N6thrust23THRUST_200600_302600_NS6detail15normal_iteratorINSB_10device_ptrIjEEEENSD_INSE_IS6_EEEESI_S6_NSB_4plusIvEENSB_8equal_toIvEES6_EE10hipError_tPvRmT2_T3_T4_T5_mT6_T7_P12ihipStream_tbENKUlT_T0_E_clISt17integral_constantIbLb0EES12_IbLb1EEEEDaSY_SZ_EUlSY_E_NS1_11comp_targetILNS1_3genE0ELNS1_11target_archE4294967295ELNS1_3gpuE0ELNS1_3repE0EEENS1_30default_config_static_selectorELNS0_4arch9wavefront6targetE0EEEvT1_.has_dyn_sized_stack, 0
	.set _ZN7rocprim17ROCPRIM_400000_NS6detail17trampoline_kernelINS0_14default_configENS1_27scan_by_key_config_selectorIj11FixedVectorIiLj1EEEEZZNS1_16scan_by_key_implILNS1_25lookback_scan_determinismE0ELb1ES3_N6thrust23THRUST_200600_302600_NS6detail15normal_iteratorINSB_10device_ptrIjEEEENSD_INSE_IS6_EEEESI_S6_NSB_4plusIvEENSB_8equal_toIvEES6_EE10hipError_tPvRmT2_T3_T4_T5_mT6_T7_P12ihipStream_tbENKUlT_T0_E_clISt17integral_constantIbLb0EES12_IbLb1EEEEDaSY_SZ_EUlSY_E_NS1_11comp_targetILNS1_3genE0ELNS1_11target_archE4294967295ELNS1_3gpuE0ELNS1_3repE0EEENS1_30default_config_static_selectorELNS0_4arch9wavefront6targetE0EEEvT1_.has_recursion, 0
	.set _ZN7rocprim17ROCPRIM_400000_NS6detail17trampoline_kernelINS0_14default_configENS1_27scan_by_key_config_selectorIj11FixedVectorIiLj1EEEEZZNS1_16scan_by_key_implILNS1_25lookback_scan_determinismE0ELb1ES3_N6thrust23THRUST_200600_302600_NS6detail15normal_iteratorINSB_10device_ptrIjEEEENSD_INSE_IS6_EEEESI_S6_NSB_4plusIvEENSB_8equal_toIvEES6_EE10hipError_tPvRmT2_T3_T4_T5_mT6_T7_P12ihipStream_tbENKUlT_T0_E_clISt17integral_constantIbLb0EES12_IbLb1EEEEDaSY_SZ_EUlSY_E_NS1_11comp_targetILNS1_3genE0ELNS1_11target_archE4294967295ELNS1_3gpuE0ELNS1_3repE0EEENS1_30default_config_static_selectorELNS0_4arch9wavefront6targetE0EEEvT1_.has_indirect_call, 0
	.section	.AMDGPU.csdata,"",@progbits
; Kernel info:
; codeLenInByte = 12432
; TotalNumSgprs: 41
; NumVgprs: 62
; ScratchSize: 0
; MemoryBound: 0
; FloatMode: 240
; IeeeMode: 1
; LDSByteSize: 14336 bytes/workgroup (compile time only)
; SGPRBlocks: 0
; VGPRBlocks: 3
; NumSGPRsForWavesPerEU: 41
; NumVGPRsForWavesPerEU: 62
; NamedBarCnt: 0
; Occupancy: 16
; WaveLimiterHint : 1
; COMPUTE_PGM_RSRC2:SCRATCH_EN: 0
; COMPUTE_PGM_RSRC2:USER_SGPR: 2
; COMPUTE_PGM_RSRC2:TRAP_HANDLER: 0
; COMPUTE_PGM_RSRC2:TGID_X_EN: 1
; COMPUTE_PGM_RSRC2:TGID_Y_EN: 0
; COMPUTE_PGM_RSRC2:TGID_Z_EN: 0
; COMPUTE_PGM_RSRC2:TIDIG_COMP_CNT: 0
	.section	.text._ZN7rocprim17ROCPRIM_400000_NS6detail17trampoline_kernelINS0_14default_configENS1_27scan_by_key_config_selectorIj11FixedVectorIiLj1EEEEZZNS1_16scan_by_key_implILNS1_25lookback_scan_determinismE0ELb1ES3_N6thrust23THRUST_200600_302600_NS6detail15normal_iteratorINSB_10device_ptrIjEEEENSD_INSE_IS6_EEEESI_S6_NSB_4plusIvEENSB_8equal_toIvEES6_EE10hipError_tPvRmT2_T3_T4_T5_mT6_T7_P12ihipStream_tbENKUlT_T0_E_clISt17integral_constantIbLb0EES12_IbLb1EEEEDaSY_SZ_EUlSY_E_NS1_11comp_targetILNS1_3genE10ELNS1_11target_archE1201ELNS1_3gpuE5ELNS1_3repE0EEENS1_30default_config_static_selectorELNS0_4arch9wavefront6targetE0EEEvT1_,"axG",@progbits,_ZN7rocprim17ROCPRIM_400000_NS6detail17trampoline_kernelINS0_14default_configENS1_27scan_by_key_config_selectorIj11FixedVectorIiLj1EEEEZZNS1_16scan_by_key_implILNS1_25lookback_scan_determinismE0ELb1ES3_N6thrust23THRUST_200600_302600_NS6detail15normal_iteratorINSB_10device_ptrIjEEEENSD_INSE_IS6_EEEESI_S6_NSB_4plusIvEENSB_8equal_toIvEES6_EE10hipError_tPvRmT2_T3_T4_T5_mT6_T7_P12ihipStream_tbENKUlT_T0_E_clISt17integral_constantIbLb0EES12_IbLb1EEEEDaSY_SZ_EUlSY_E_NS1_11comp_targetILNS1_3genE10ELNS1_11target_archE1201ELNS1_3gpuE5ELNS1_3repE0EEENS1_30default_config_static_selectorELNS0_4arch9wavefront6targetE0EEEvT1_,comdat
	.protected	_ZN7rocprim17ROCPRIM_400000_NS6detail17trampoline_kernelINS0_14default_configENS1_27scan_by_key_config_selectorIj11FixedVectorIiLj1EEEEZZNS1_16scan_by_key_implILNS1_25lookback_scan_determinismE0ELb1ES3_N6thrust23THRUST_200600_302600_NS6detail15normal_iteratorINSB_10device_ptrIjEEEENSD_INSE_IS6_EEEESI_S6_NSB_4plusIvEENSB_8equal_toIvEES6_EE10hipError_tPvRmT2_T3_T4_T5_mT6_T7_P12ihipStream_tbENKUlT_T0_E_clISt17integral_constantIbLb0EES12_IbLb1EEEEDaSY_SZ_EUlSY_E_NS1_11comp_targetILNS1_3genE10ELNS1_11target_archE1201ELNS1_3gpuE5ELNS1_3repE0EEENS1_30default_config_static_selectorELNS0_4arch9wavefront6targetE0EEEvT1_ ; -- Begin function _ZN7rocprim17ROCPRIM_400000_NS6detail17trampoline_kernelINS0_14default_configENS1_27scan_by_key_config_selectorIj11FixedVectorIiLj1EEEEZZNS1_16scan_by_key_implILNS1_25lookback_scan_determinismE0ELb1ES3_N6thrust23THRUST_200600_302600_NS6detail15normal_iteratorINSB_10device_ptrIjEEEENSD_INSE_IS6_EEEESI_S6_NSB_4plusIvEENSB_8equal_toIvEES6_EE10hipError_tPvRmT2_T3_T4_T5_mT6_T7_P12ihipStream_tbENKUlT_T0_E_clISt17integral_constantIbLb0EES12_IbLb1EEEEDaSY_SZ_EUlSY_E_NS1_11comp_targetILNS1_3genE10ELNS1_11target_archE1201ELNS1_3gpuE5ELNS1_3repE0EEENS1_30default_config_static_selectorELNS0_4arch9wavefront6targetE0EEEvT1_
	.globl	_ZN7rocprim17ROCPRIM_400000_NS6detail17trampoline_kernelINS0_14default_configENS1_27scan_by_key_config_selectorIj11FixedVectorIiLj1EEEEZZNS1_16scan_by_key_implILNS1_25lookback_scan_determinismE0ELb1ES3_N6thrust23THRUST_200600_302600_NS6detail15normal_iteratorINSB_10device_ptrIjEEEENSD_INSE_IS6_EEEESI_S6_NSB_4plusIvEENSB_8equal_toIvEES6_EE10hipError_tPvRmT2_T3_T4_T5_mT6_T7_P12ihipStream_tbENKUlT_T0_E_clISt17integral_constantIbLb0EES12_IbLb1EEEEDaSY_SZ_EUlSY_E_NS1_11comp_targetILNS1_3genE10ELNS1_11target_archE1201ELNS1_3gpuE5ELNS1_3repE0EEENS1_30default_config_static_selectorELNS0_4arch9wavefront6targetE0EEEvT1_
	.p2align	8
	.type	_ZN7rocprim17ROCPRIM_400000_NS6detail17trampoline_kernelINS0_14default_configENS1_27scan_by_key_config_selectorIj11FixedVectorIiLj1EEEEZZNS1_16scan_by_key_implILNS1_25lookback_scan_determinismE0ELb1ES3_N6thrust23THRUST_200600_302600_NS6detail15normal_iteratorINSB_10device_ptrIjEEEENSD_INSE_IS6_EEEESI_S6_NSB_4plusIvEENSB_8equal_toIvEES6_EE10hipError_tPvRmT2_T3_T4_T5_mT6_T7_P12ihipStream_tbENKUlT_T0_E_clISt17integral_constantIbLb0EES12_IbLb1EEEEDaSY_SZ_EUlSY_E_NS1_11comp_targetILNS1_3genE10ELNS1_11target_archE1201ELNS1_3gpuE5ELNS1_3repE0EEENS1_30default_config_static_selectorELNS0_4arch9wavefront6targetE0EEEvT1_,@function
_ZN7rocprim17ROCPRIM_400000_NS6detail17trampoline_kernelINS0_14default_configENS1_27scan_by_key_config_selectorIj11FixedVectorIiLj1EEEEZZNS1_16scan_by_key_implILNS1_25lookback_scan_determinismE0ELb1ES3_N6thrust23THRUST_200600_302600_NS6detail15normal_iteratorINSB_10device_ptrIjEEEENSD_INSE_IS6_EEEESI_S6_NSB_4plusIvEENSB_8equal_toIvEES6_EE10hipError_tPvRmT2_T3_T4_T5_mT6_T7_P12ihipStream_tbENKUlT_T0_E_clISt17integral_constantIbLb0EES12_IbLb1EEEEDaSY_SZ_EUlSY_E_NS1_11comp_targetILNS1_3genE10ELNS1_11target_archE1201ELNS1_3gpuE5ELNS1_3repE0EEENS1_30default_config_static_selectorELNS0_4arch9wavefront6targetE0EEEvT1_: ; @_ZN7rocprim17ROCPRIM_400000_NS6detail17trampoline_kernelINS0_14default_configENS1_27scan_by_key_config_selectorIj11FixedVectorIiLj1EEEEZZNS1_16scan_by_key_implILNS1_25lookback_scan_determinismE0ELb1ES3_N6thrust23THRUST_200600_302600_NS6detail15normal_iteratorINSB_10device_ptrIjEEEENSD_INSE_IS6_EEEESI_S6_NSB_4plusIvEENSB_8equal_toIvEES6_EE10hipError_tPvRmT2_T3_T4_T5_mT6_T7_P12ihipStream_tbENKUlT_T0_E_clISt17integral_constantIbLb0EES12_IbLb1EEEEDaSY_SZ_EUlSY_E_NS1_11comp_targetILNS1_3genE10ELNS1_11target_archE1201ELNS1_3gpuE5ELNS1_3repE0EEENS1_30default_config_static_selectorELNS0_4arch9wavefront6targetE0EEEvT1_
; %bb.0:
	.section	.rodata,"a",@progbits
	.p2align	6, 0x0
	.amdhsa_kernel _ZN7rocprim17ROCPRIM_400000_NS6detail17trampoline_kernelINS0_14default_configENS1_27scan_by_key_config_selectorIj11FixedVectorIiLj1EEEEZZNS1_16scan_by_key_implILNS1_25lookback_scan_determinismE0ELb1ES3_N6thrust23THRUST_200600_302600_NS6detail15normal_iteratorINSB_10device_ptrIjEEEENSD_INSE_IS6_EEEESI_S6_NSB_4plusIvEENSB_8equal_toIvEES6_EE10hipError_tPvRmT2_T3_T4_T5_mT6_T7_P12ihipStream_tbENKUlT_T0_E_clISt17integral_constantIbLb0EES12_IbLb1EEEEDaSY_SZ_EUlSY_E_NS1_11comp_targetILNS1_3genE10ELNS1_11target_archE1201ELNS1_3gpuE5ELNS1_3repE0EEENS1_30default_config_static_selectorELNS0_4arch9wavefront6targetE0EEEvT1_
		.amdhsa_group_segment_fixed_size 0
		.amdhsa_private_segment_fixed_size 0
		.amdhsa_kernarg_size 112
		.amdhsa_user_sgpr_count 2
		.amdhsa_user_sgpr_dispatch_ptr 0
		.amdhsa_user_sgpr_queue_ptr 0
		.amdhsa_user_sgpr_kernarg_segment_ptr 1
		.amdhsa_user_sgpr_dispatch_id 0
		.amdhsa_user_sgpr_kernarg_preload_length 0
		.amdhsa_user_sgpr_kernarg_preload_offset 0
		.amdhsa_user_sgpr_private_segment_size 0
		.amdhsa_wavefront_size32 1
		.amdhsa_uses_dynamic_stack 0
		.amdhsa_enable_private_segment 0
		.amdhsa_system_sgpr_workgroup_id_x 1
		.amdhsa_system_sgpr_workgroup_id_y 0
		.amdhsa_system_sgpr_workgroup_id_z 0
		.amdhsa_system_sgpr_workgroup_info 0
		.amdhsa_system_vgpr_workitem_id 0
		.amdhsa_next_free_vgpr 1
		.amdhsa_next_free_sgpr 1
		.amdhsa_named_barrier_count 0
		.amdhsa_reserve_vcc 0
		.amdhsa_float_round_mode_32 0
		.amdhsa_float_round_mode_16_64 0
		.amdhsa_float_denorm_mode_32 3
		.amdhsa_float_denorm_mode_16_64 3
		.amdhsa_fp16_overflow 0
		.amdhsa_memory_ordered 1
		.amdhsa_forward_progress 1
		.amdhsa_inst_pref_size 0
		.amdhsa_round_robin_scheduling 0
		.amdhsa_exception_fp_ieee_invalid_op 0
		.amdhsa_exception_fp_denorm_src 0
		.amdhsa_exception_fp_ieee_div_zero 0
		.amdhsa_exception_fp_ieee_overflow 0
		.amdhsa_exception_fp_ieee_underflow 0
		.amdhsa_exception_fp_ieee_inexact 0
		.amdhsa_exception_int_div_zero 0
	.end_amdhsa_kernel
	.section	.text._ZN7rocprim17ROCPRIM_400000_NS6detail17trampoline_kernelINS0_14default_configENS1_27scan_by_key_config_selectorIj11FixedVectorIiLj1EEEEZZNS1_16scan_by_key_implILNS1_25lookback_scan_determinismE0ELb1ES3_N6thrust23THRUST_200600_302600_NS6detail15normal_iteratorINSB_10device_ptrIjEEEENSD_INSE_IS6_EEEESI_S6_NSB_4plusIvEENSB_8equal_toIvEES6_EE10hipError_tPvRmT2_T3_T4_T5_mT6_T7_P12ihipStream_tbENKUlT_T0_E_clISt17integral_constantIbLb0EES12_IbLb1EEEEDaSY_SZ_EUlSY_E_NS1_11comp_targetILNS1_3genE10ELNS1_11target_archE1201ELNS1_3gpuE5ELNS1_3repE0EEENS1_30default_config_static_selectorELNS0_4arch9wavefront6targetE0EEEvT1_,"axG",@progbits,_ZN7rocprim17ROCPRIM_400000_NS6detail17trampoline_kernelINS0_14default_configENS1_27scan_by_key_config_selectorIj11FixedVectorIiLj1EEEEZZNS1_16scan_by_key_implILNS1_25lookback_scan_determinismE0ELb1ES3_N6thrust23THRUST_200600_302600_NS6detail15normal_iteratorINSB_10device_ptrIjEEEENSD_INSE_IS6_EEEESI_S6_NSB_4plusIvEENSB_8equal_toIvEES6_EE10hipError_tPvRmT2_T3_T4_T5_mT6_T7_P12ihipStream_tbENKUlT_T0_E_clISt17integral_constantIbLb0EES12_IbLb1EEEEDaSY_SZ_EUlSY_E_NS1_11comp_targetILNS1_3genE10ELNS1_11target_archE1201ELNS1_3gpuE5ELNS1_3repE0EEENS1_30default_config_static_selectorELNS0_4arch9wavefront6targetE0EEEvT1_,comdat
.Lfunc_end1939:
	.size	_ZN7rocprim17ROCPRIM_400000_NS6detail17trampoline_kernelINS0_14default_configENS1_27scan_by_key_config_selectorIj11FixedVectorIiLj1EEEEZZNS1_16scan_by_key_implILNS1_25lookback_scan_determinismE0ELb1ES3_N6thrust23THRUST_200600_302600_NS6detail15normal_iteratorINSB_10device_ptrIjEEEENSD_INSE_IS6_EEEESI_S6_NSB_4plusIvEENSB_8equal_toIvEES6_EE10hipError_tPvRmT2_T3_T4_T5_mT6_T7_P12ihipStream_tbENKUlT_T0_E_clISt17integral_constantIbLb0EES12_IbLb1EEEEDaSY_SZ_EUlSY_E_NS1_11comp_targetILNS1_3genE10ELNS1_11target_archE1201ELNS1_3gpuE5ELNS1_3repE0EEENS1_30default_config_static_selectorELNS0_4arch9wavefront6targetE0EEEvT1_, .Lfunc_end1939-_ZN7rocprim17ROCPRIM_400000_NS6detail17trampoline_kernelINS0_14default_configENS1_27scan_by_key_config_selectorIj11FixedVectorIiLj1EEEEZZNS1_16scan_by_key_implILNS1_25lookback_scan_determinismE0ELb1ES3_N6thrust23THRUST_200600_302600_NS6detail15normal_iteratorINSB_10device_ptrIjEEEENSD_INSE_IS6_EEEESI_S6_NSB_4plusIvEENSB_8equal_toIvEES6_EE10hipError_tPvRmT2_T3_T4_T5_mT6_T7_P12ihipStream_tbENKUlT_T0_E_clISt17integral_constantIbLb0EES12_IbLb1EEEEDaSY_SZ_EUlSY_E_NS1_11comp_targetILNS1_3genE10ELNS1_11target_archE1201ELNS1_3gpuE5ELNS1_3repE0EEENS1_30default_config_static_selectorELNS0_4arch9wavefront6targetE0EEEvT1_
                                        ; -- End function
	.set _ZN7rocprim17ROCPRIM_400000_NS6detail17trampoline_kernelINS0_14default_configENS1_27scan_by_key_config_selectorIj11FixedVectorIiLj1EEEEZZNS1_16scan_by_key_implILNS1_25lookback_scan_determinismE0ELb1ES3_N6thrust23THRUST_200600_302600_NS6detail15normal_iteratorINSB_10device_ptrIjEEEENSD_INSE_IS6_EEEESI_S6_NSB_4plusIvEENSB_8equal_toIvEES6_EE10hipError_tPvRmT2_T3_T4_T5_mT6_T7_P12ihipStream_tbENKUlT_T0_E_clISt17integral_constantIbLb0EES12_IbLb1EEEEDaSY_SZ_EUlSY_E_NS1_11comp_targetILNS1_3genE10ELNS1_11target_archE1201ELNS1_3gpuE5ELNS1_3repE0EEENS1_30default_config_static_selectorELNS0_4arch9wavefront6targetE0EEEvT1_.num_vgpr, 0
	.set _ZN7rocprim17ROCPRIM_400000_NS6detail17trampoline_kernelINS0_14default_configENS1_27scan_by_key_config_selectorIj11FixedVectorIiLj1EEEEZZNS1_16scan_by_key_implILNS1_25lookback_scan_determinismE0ELb1ES3_N6thrust23THRUST_200600_302600_NS6detail15normal_iteratorINSB_10device_ptrIjEEEENSD_INSE_IS6_EEEESI_S6_NSB_4plusIvEENSB_8equal_toIvEES6_EE10hipError_tPvRmT2_T3_T4_T5_mT6_T7_P12ihipStream_tbENKUlT_T0_E_clISt17integral_constantIbLb0EES12_IbLb1EEEEDaSY_SZ_EUlSY_E_NS1_11comp_targetILNS1_3genE10ELNS1_11target_archE1201ELNS1_3gpuE5ELNS1_3repE0EEENS1_30default_config_static_selectorELNS0_4arch9wavefront6targetE0EEEvT1_.num_agpr, 0
	.set _ZN7rocprim17ROCPRIM_400000_NS6detail17trampoline_kernelINS0_14default_configENS1_27scan_by_key_config_selectorIj11FixedVectorIiLj1EEEEZZNS1_16scan_by_key_implILNS1_25lookback_scan_determinismE0ELb1ES3_N6thrust23THRUST_200600_302600_NS6detail15normal_iteratorINSB_10device_ptrIjEEEENSD_INSE_IS6_EEEESI_S6_NSB_4plusIvEENSB_8equal_toIvEES6_EE10hipError_tPvRmT2_T3_T4_T5_mT6_T7_P12ihipStream_tbENKUlT_T0_E_clISt17integral_constantIbLb0EES12_IbLb1EEEEDaSY_SZ_EUlSY_E_NS1_11comp_targetILNS1_3genE10ELNS1_11target_archE1201ELNS1_3gpuE5ELNS1_3repE0EEENS1_30default_config_static_selectorELNS0_4arch9wavefront6targetE0EEEvT1_.numbered_sgpr, 0
	.set _ZN7rocprim17ROCPRIM_400000_NS6detail17trampoline_kernelINS0_14default_configENS1_27scan_by_key_config_selectorIj11FixedVectorIiLj1EEEEZZNS1_16scan_by_key_implILNS1_25lookback_scan_determinismE0ELb1ES3_N6thrust23THRUST_200600_302600_NS6detail15normal_iteratorINSB_10device_ptrIjEEEENSD_INSE_IS6_EEEESI_S6_NSB_4plusIvEENSB_8equal_toIvEES6_EE10hipError_tPvRmT2_T3_T4_T5_mT6_T7_P12ihipStream_tbENKUlT_T0_E_clISt17integral_constantIbLb0EES12_IbLb1EEEEDaSY_SZ_EUlSY_E_NS1_11comp_targetILNS1_3genE10ELNS1_11target_archE1201ELNS1_3gpuE5ELNS1_3repE0EEENS1_30default_config_static_selectorELNS0_4arch9wavefront6targetE0EEEvT1_.num_named_barrier, 0
	.set _ZN7rocprim17ROCPRIM_400000_NS6detail17trampoline_kernelINS0_14default_configENS1_27scan_by_key_config_selectorIj11FixedVectorIiLj1EEEEZZNS1_16scan_by_key_implILNS1_25lookback_scan_determinismE0ELb1ES3_N6thrust23THRUST_200600_302600_NS6detail15normal_iteratorINSB_10device_ptrIjEEEENSD_INSE_IS6_EEEESI_S6_NSB_4plusIvEENSB_8equal_toIvEES6_EE10hipError_tPvRmT2_T3_T4_T5_mT6_T7_P12ihipStream_tbENKUlT_T0_E_clISt17integral_constantIbLb0EES12_IbLb1EEEEDaSY_SZ_EUlSY_E_NS1_11comp_targetILNS1_3genE10ELNS1_11target_archE1201ELNS1_3gpuE5ELNS1_3repE0EEENS1_30default_config_static_selectorELNS0_4arch9wavefront6targetE0EEEvT1_.private_seg_size, 0
	.set _ZN7rocprim17ROCPRIM_400000_NS6detail17trampoline_kernelINS0_14default_configENS1_27scan_by_key_config_selectorIj11FixedVectorIiLj1EEEEZZNS1_16scan_by_key_implILNS1_25lookback_scan_determinismE0ELb1ES3_N6thrust23THRUST_200600_302600_NS6detail15normal_iteratorINSB_10device_ptrIjEEEENSD_INSE_IS6_EEEESI_S6_NSB_4plusIvEENSB_8equal_toIvEES6_EE10hipError_tPvRmT2_T3_T4_T5_mT6_T7_P12ihipStream_tbENKUlT_T0_E_clISt17integral_constantIbLb0EES12_IbLb1EEEEDaSY_SZ_EUlSY_E_NS1_11comp_targetILNS1_3genE10ELNS1_11target_archE1201ELNS1_3gpuE5ELNS1_3repE0EEENS1_30default_config_static_selectorELNS0_4arch9wavefront6targetE0EEEvT1_.uses_vcc, 0
	.set _ZN7rocprim17ROCPRIM_400000_NS6detail17trampoline_kernelINS0_14default_configENS1_27scan_by_key_config_selectorIj11FixedVectorIiLj1EEEEZZNS1_16scan_by_key_implILNS1_25lookback_scan_determinismE0ELb1ES3_N6thrust23THRUST_200600_302600_NS6detail15normal_iteratorINSB_10device_ptrIjEEEENSD_INSE_IS6_EEEESI_S6_NSB_4plusIvEENSB_8equal_toIvEES6_EE10hipError_tPvRmT2_T3_T4_T5_mT6_T7_P12ihipStream_tbENKUlT_T0_E_clISt17integral_constantIbLb0EES12_IbLb1EEEEDaSY_SZ_EUlSY_E_NS1_11comp_targetILNS1_3genE10ELNS1_11target_archE1201ELNS1_3gpuE5ELNS1_3repE0EEENS1_30default_config_static_selectorELNS0_4arch9wavefront6targetE0EEEvT1_.uses_flat_scratch, 0
	.set _ZN7rocprim17ROCPRIM_400000_NS6detail17trampoline_kernelINS0_14default_configENS1_27scan_by_key_config_selectorIj11FixedVectorIiLj1EEEEZZNS1_16scan_by_key_implILNS1_25lookback_scan_determinismE0ELb1ES3_N6thrust23THRUST_200600_302600_NS6detail15normal_iteratorINSB_10device_ptrIjEEEENSD_INSE_IS6_EEEESI_S6_NSB_4plusIvEENSB_8equal_toIvEES6_EE10hipError_tPvRmT2_T3_T4_T5_mT6_T7_P12ihipStream_tbENKUlT_T0_E_clISt17integral_constantIbLb0EES12_IbLb1EEEEDaSY_SZ_EUlSY_E_NS1_11comp_targetILNS1_3genE10ELNS1_11target_archE1201ELNS1_3gpuE5ELNS1_3repE0EEENS1_30default_config_static_selectorELNS0_4arch9wavefront6targetE0EEEvT1_.has_dyn_sized_stack, 0
	.set _ZN7rocprim17ROCPRIM_400000_NS6detail17trampoline_kernelINS0_14default_configENS1_27scan_by_key_config_selectorIj11FixedVectorIiLj1EEEEZZNS1_16scan_by_key_implILNS1_25lookback_scan_determinismE0ELb1ES3_N6thrust23THRUST_200600_302600_NS6detail15normal_iteratorINSB_10device_ptrIjEEEENSD_INSE_IS6_EEEESI_S6_NSB_4plusIvEENSB_8equal_toIvEES6_EE10hipError_tPvRmT2_T3_T4_T5_mT6_T7_P12ihipStream_tbENKUlT_T0_E_clISt17integral_constantIbLb0EES12_IbLb1EEEEDaSY_SZ_EUlSY_E_NS1_11comp_targetILNS1_3genE10ELNS1_11target_archE1201ELNS1_3gpuE5ELNS1_3repE0EEENS1_30default_config_static_selectorELNS0_4arch9wavefront6targetE0EEEvT1_.has_recursion, 0
	.set _ZN7rocprim17ROCPRIM_400000_NS6detail17trampoline_kernelINS0_14default_configENS1_27scan_by_key_config_selectorIj11FixedVectorIiLj1EEEEZZNS1_16scan_by_key_implILNS1_25lookback_scan_determinismE0ELb1ES3_N6thrust23THRUST_200600_302600_NS6detail15normal_iteratorINSB_10device_ptrIjEEEENSD_INSE_IS6_EEEESI_S6_NSB_4plusIvEENSB_8equal_toIvEES6_EE10hipError_tPvRmT2_T3_T4_T5_mT6_T7_P12ihipStream_tbENKUlT_T0_E_clISt17integral_constantIbLb0EES12_IbLb1EEEEDaSY_SZ_EUlSY_E_NS1_11comp_targetILNS1_3genE10ELNS1_11target_archE1201ELNS1_3gpuE5ELNS1_3repE0EEENS1_30default_config_static_selectorELNS0_4arch9wavefront6targetE0EEEvT1_.has_indirect_call, 0
	.section	.AMDGPU.csdata,"",@progbits
; Kernel info:
; codeLenInByte = 0
; TotalNumSgprs: 0
; NumVgprs: 0
; ScratchSize: 0
; MemoryBound: 0
; FloatMode: 240
; IeeeMode: 1
; LDSByteSize: 0 bytes/workgroup (compile time only)
; SGPRBlocks: 0
; VGPRBlocks: 0
; NumSGPRsForWavesPerEU: 1
; NumVGPRsForWavesPerEU: 1
; NamedBarCnt: 0
; Occupancy: 16
; WaveLimiterHint : 0
; COMPUTE_PGM_RSRC2:SCRATCH_EN: 0
; COMPUTE_PGM_RSRC2:USER_SGPR: 2
; COMPUTE_PGM_RSRC2:TRAP_HANDLER: 0
; COMPUTE_PGM_RSRC2:TGID_X_EN: 1
; COMPUTE_PGM_RSRC2:TGID_Y_EN: 0
; COMPUTE_PGM_RSRC2:TGID_Z_EN: 0
; COMPUTE_PGM_RSRC2:TIDIG_COMP_CNT: 0
	.section	.text._ZN7rocprim17ROCPRIM_400000_NS6detail17trampoline_kernelINS0_14default_configENS1_27scan_by_key_config_selectorIj11FixedVectorIiLj1EEEEZZNS1_16scan_by_key_implILNS1_25lookback_scan_determinismE0ELb1ES3_N6thrust23THRUST_200600_302600_NS6detail15normal_iteratorINSB_10device_ptrIjEEEENSD_INSE_IS6_EEEESI_S6_NSB_4plusIvEENSB_8equal_toIvEES6_EE10hipError_tPvRmT2_T3_T4_T5_mT6_T7_P12ihipStream_tbENKUlT_T0_E_clISt17integral_constantIbLb0EES12_IbLb1EEEEDaSY_SZ_EUlSY_E_NS1_11comp_targetILNS1_3genE5ELNS1_11target_archE942ELNS1_3gpuE9ELNS1_3repE0EEENS1_30default_config_static_selectorELNS0_4arch9wavefront6targetE0EEEvT1_,"axG",@progbits,_ZN7rocprim17ROCPRIM_400000_NS6detail17trampoline_kernelINS0_14default_configENS1_27scan_by_key_config_selectorIj11FixedVectorIiLj1EEEEZZNS1_16scan_by_key_implILNS1_25lookback_scan_determinismE0ELb1ES3_N6thrust23THRUST_200600_302600_NS6detail15normal_iteratorINSB_10device_ptrIjEEEENSD_INSE_IS6_EEEESI_S6_NSB_4plusIvEENSB_8equal_toIvEES6_EE10hipError_tPvRmT2_T3_T4_T5_mT6_T7_P12ihipStream_tbENKUlT_T0_E_clISt17integral_constantIbLb0EES12_IbLb1EEEEDaSY_SZ_EUlSY_E_NS1_11comp_targetILNS1_3genE5ELNS1_11target_archE942ELNS1_3gpuE9ELNS1_3repE0EEENS1_30default_config_static_selectorELNS0_4arch9wavefront6targetE0EEEvT1_,comdat
	.protected	_ZN7rocprim17ROCPRIM_400000_NS6detail17trampoline_kernelINS0_14default_configENS1_27scan_by_key_config_selectorIj11FixedVectorIiLj1EEEEZZNS1_16scan_by_key_implILNS1_25lookback_scan_determinismE0ELb1ES3_N6thrust23THRUST_200600_302600_NS6detail15normal_iteratorINSB_10device_ptrIjEEEENSD_INSE_IS6_EEEESI_S6_NSB_4plusIvEENSB_8equal_toIvEES6_EE10hipError_tPvRmT2_T3_T4_T5_mT6_T7_P12ihipStream_tbENKUlT_T0_E_clISt17integral_constantIbLb0EES12_IbLb1EEEEDaSY_SZ_EUlSY_E_NS1_11comp_targetILNS1_3genE5ELNS1_11target_archE942ELNS1_3gpuE9ELNS1_3repE0EEENS1_30default_config_static_selectorELNS0_4arch9wavefront6targetE0EEEvT1_ ; -- Begin function _ZN7rocprim17ROCPRIM_400000_NS6detail17trampoline_kernelINS0_14default_configENS1_27scan_by_key_config_selectorIj11FixedVectorIiLj1EEEEZZNS1_16scan_by_key_implILNS1_25lookback_scan_determinismE0ELb1ES3_N6thrust23THRUST_200600_302600_NS6detail15normal_iteratorINSB_10device_ptrIjEEEENSD_INSE_IS6_EEEESI_S6_NSB_4plusIvEENSB_8equal_toIvEES6_EE10hipError_tPvRmT2_T3_T4_T5_mT6_T7_P12ihipStream_tbENKUlT_T0_E_clISt17integral_constantIbLb0EES12_IbLb1EEEEDaSY_SZ_EUlSY_E_NS1_11comp_targetILNS1_3genE5ELNS1_11target_archE942ELNS1_3gpuE9ELNS1_3repE0EEENS1_30default_config_static_selectorELNS0_4arch9wavefront6targetE0EEEvT1_
	.globl	_ZN7rocprim17ROCPRIM_400000_NS6detail17trampoline_kernelINS0_14default_configENS1_27scan_by_key_config_selectorIj11FixedVectorIiLj1EEEEZZNS1_16scan_by_key_implILNS1_25lookback_scan_determinismE0ELb1ES3_N6thrust23THRUST_200600_302600_NS6detail15normal_iteratorINSB_10device_ptrIjEEEENSD_INSE_IS6_EEEESI_S6_NSB_4plusIvEENSB_8equal_toIvEES6_EE10hipError_tPvRmT2_T3_T4_T5_mT6_T7_P12ihipStream_tbENKUlT_T0_E_clISt17integral_constantIbLb0EES12_IbLb1EEEEDaSY_SZ_EUlSY_E_NS1_11comp_targetILNS1_3genE5ELNS1_11target_archE942ELNS1_3gpuE9ELNS1_3repE0EEENS1_30default_config_static_selectorELNS0_4arch9wavefront6targetE0EEEvT1_
	.p2align	8
	.type	_ZN7rocprim17ROCPRIM_400000_NS6detail17trampoline_kernelINS0_14default_configENS1_27scan_by_key_config_selectorIj11FixedVectorIiLj1EEEEZZNS1_16scan_by_key_implILNS1_25lookback_scan_determinismE0ELb1ES3_N6thrust23THRUST_200600_302600_NS6detail15normal_iteratorINSB_10device_ptrIjEEEENSD_INSE_IS6_EEEESI_S6_NSB_4plusIvEENSB_8equal_toIvEES6_EE10hipError_tPvRmT2_T3_T4_T5_mT6_T7_P12ihipStream_tbENKUlT_T0_E_clISt17integral_constantIbLb0EES12_IbLb1EEEEDaSY_SZ_EUlSY_E_NS1_11comp_targetILNS1_3genE5ELNS1_11target_archE942ELNS1_3gpuE9ELNS1_3repE0EEENS1_30default_config_static_selectorELNS0_4arch9wavefront6targetE0EEEvT1_,@function
_ZN7rocprim17ROCPRIM_400000_NS6detail17trampoline_kernelINS0_14default_configENS1_27scan_by_key_config_selectorIj11FixedVectorIiLj1EEEEZZNS1_16scan_by_key_implILNS1_25lookback_scan_determinismE0ELb1ES3_N6thrust23THRUST_200600_302600_NS6detail15normal_iteratorINSB_10device_ptrIjEEEENSD_INSE_IS6_EEEESI_S6_NSB_4plusIvEENSB_8equal_toIvEES6_EE10hipError_tPvRmT2_T3_T4_T5_mT6_T7_P12ihipStream_tbENKUlT_T0_E_clISt17integral_constantIbLb0EES12_IbLb1EEEEDaSY_SZ_EUlSY_E_NS1_11comp_targetILNS1_3genE5ELNS1_11target_archE942ELNS1_3gpuE9ELNS1_3repE0EEENS1_30default_config_static_selectorELNS0_4arch9wavefront6targetE0EEEvT1_: ; @_ZN7rocprim17ROCPRIM_400000_NS6detail17trampoline_kernelINS0_14default_configENS1_27scan_by_key_config_selectorIj11FixedVectorIiLj1EEEEZZNS1_16scan_by_key_implILNS1_25lookback_scan_determinismE0ELb1ES3_N6thrust23THRUST_200600_302600_NS6detail15normal_iteratorINSB_10device_ptrIjEEEENSD_INSE_IS6_EEEESI_S6_NSB_4plusIvEENSB_8equal_toIvEES6_EE10hipError_tPvRmT2_T3_T4_T5_mT6_T7_P12ihipStream_tbENKUlT_T0_E_clISt17integral_constantIbLb0EES12_IbLb1EEEEDaSY_SZ_EUlSY_E_NS1_11comp_targetILNS1_3genE5ELNS1_11target_archE942ELNS1_3gpuE9ELNS1_3repE0EEENS1_30default_config_static_selectorELNS0_4arch9wavefront6targetE0EEEvT1_
; %bb.0:
	.section	.rodata,"a",@progbits
	.p2align	6, 0x0
	.amdhsa_kernel _ZN7rocprim17ROCPRIM_400000_NS6detail17trampoline_kernelINS0_14default_configENS1_27scan_by_key_config_selectorIj11FixedVectorIiLj1EEEEZZNS1_16scan_by_key_implILNS1_25lookback_scan_determinismE0ELb1ES3_N6thrust23THRUST_200600_302600_NS6detail15normal_iteratorINSB_10device_ptrIjEEEENSD_INSE_IS6_EEEESI_S6_NSB_4plusIvEENSB_8equal_toIvEES6_EE10hipError_tPvRmT2_T3_T4_T5_mT6_T7_P12ihipStream_tbENKUlT_T0_E_clISt17integral_constantIbLb0EES12_IbLb1EEEEDaSY_SZ_EUlSY_E_NS1_11comp_targetILNS1_3genE5ELNS1_11target_archE942ELNS1_3gpuE9ELNS1_3repE0EEENS1_30default_config_static_selectorELNS0_4arch9wavefront6targetE0EEEvT1_
		.amdhsa_group_segment_fixed_size 0
		.amdhsa_private_segment_fixed_size 0
		.amdhsa_kernarg_size 112
		.amdhsa_user_sgpr_count 2
		.amdhsa_user_sgpr_dispatch_ptr 0
		.amdhsa_user_sgpr_queue_ptr 0
		.amdhsa_user_sgpr_kernarg_segment_ptr 1
		.amdhsa_user_sgpr_dispatch_id 0
		.amdhsa_user_sgpr_kernarg_preload_length 0
		.amdhsa_user_sgpr_kernarg_preload_offset 0
		.amdhsa_user_sgpr_private_segment_size 0
		.amdhsa_wavefront_size32 1
		.amdhsa_uses_dynamic_stack 0
		.amdhsa_enable_private_segment 0
		.amdhsa_system_sgpr_workgroup_id_x 1
		.amdhsa_system_sgpr_workgroup_id_y 0
		.amdhsa_system_sgpr_workgroup_id_z 0
		.amdhsa_system_sgpr_workgroup_info 0
		.amdhsa_system_vgpr_workitem_id 0
		.amdhsa_next_free_vgpr 1
		.amdhsa_next_free_sgpr 1
		.amdhsa_named_barrier_count 0
		.amdhsa_reserve_vcc 0
		.amdhsa_float_round_mode_32 0
		.amdhsa_float_round_mode_16_64 0
		.amdhsa_float_denorm_mode_32 3
		.amdhsa_float_denorm_mode_16_64 3
		.amdhsa_fp16_overflow 0
		.amdhsa_memory_ordered 1
		.amdhsa_forward_progress 1
		.amdhsa_inst_pref_size 0
		.amdhsa_round_robin_scheduling 0
		.amdhsa_exception_fp_ieee_invalid_op 0
		.amdhsa_exception_fp_denorm_src 0
		.amdhsa_exception_fp_ieee_div_zero 0
		.amdhsa_exception_fp_ieee_overflow 0
		.amdhsa_exception_fp_ieee_underflow 0
		.amdhsa_exception_fp_ieee_inexact 0
		.amdhsa_exception_int_div_zero 0
	.end_amdhsa_kernel
	.section	.text._ZN7rocprim17ROCPRIM_400000_NS6detail17trampoline_kernelINS0_14default_configENS1_27scan_by_key_config_selectorIj11FixedVectorIiLj1EEEEZZNS1_16scan_by_key_implILNS1_25lookback_scan_determinismE0ELb1ES3_N6thrust23THRUST_200600_302600_NS6detail15normal_iteratorINSB_10device_ptrIjEEEENSD_INSE_IS6_EEEESI_S6_NSB_4plusIvEENSB_8equal_toIvEES6_EE10hipError_tPvRmT2_T3_T4_T5_mT6_T7_P12ihipStream_tbENKUlT_T0_E_clISt17integral_constantIbLb0EES12_IbLb1EEEEDaSY_SZ_EUlSY_E_NS1_11comp_targetILNS1_3genE5ELNS1_11target_archE942ELNS1_3gpuE9ELNS1_3repE0EEENS1_30default_config_static_selectorELNS0_4arch9wavefront6targetE0EEEvT1_,"axG",@progbits,_ZN7rocprim17ROCPRIM_400000_NS6detail17trampoline_kernelINS0_14default_configENS1_27scan_by_key_config_selectorIj11FixedVectorIiLj1EEEEZZNS1_16scan_by_key_implILNS1_25lookback_scan_determinismE0ELb1ES3_N6thrust23THRUST_200600_302600_NS6detail15normal_iteratorINSB_10device_ptrIjEEEENSD_INSE_IS6_EEEESI_S6_NSB_4plusIvEENSB_8equal_toIvEES6_EE10hipError_tPvRmT2_T3_T4_T5_mT6_T7_P12ihipStream_tbENKUlT_T0_E_clISt17integral_constantIbLb0EES12_IbLb1EEEEDaSY_SZ_EUlSY_E_NS1_11comp_targetILNS1_3genE5ELNS1_11target_archE942ELNS1_3gpuE9ELNS1_3repE0EEENS1_30default_config_static_selectorELNS0_4arch9wavefront6targetE0EEEvT1_,comdat
.Lfunc_end1940:
	.size	_ZN7rocprim17ROCPRIM_400000_NS6detail17trampoline_kernelINS0_14default_configENS1_27scan_by_key_config_selectorIj11FixedVectorIiLj1EEEEZZNS1_16scan_by_key_implILNS1_25lookback_scan_determinismE0ELb1ES3_N6thrust23THRUST_200600_302600_NS6detail15normal_iteratorINSB_10device_ptrIjEEEENSD_INSE_IS6_EEEESI_S6_NSB_4plusIvEENSB_8equal_toIvEES6_EE10hipError_tPvRmT2_T3_T4_T5_mT6_T7_P12ihipStream_tbENKUlT_T0_E_clISt17integral_constantIbLb0EES12_IbLb1EEEEDaSY_SZ_EUlSY_E_NS1_11comp_targetILNS1_3genE5ELNS1_11target_archE942ELNS1_3gpuE9ELNS1_3repE0EEENS1_30default_config_static_selectorELNS0_4arch9wavefront6targetE0EEEvT1_, .Lfunc_end1940-_ZN7rocprim17ROCPRIM_400000_NS6detail17trampoline_kernelINS0_14default_configENS1_27scan_by_key_config_selectorIj11FixedVectorIiLj1EEEEZZNS1_16scan_by_key_implILNS1_25lookback_scan_determinismE0ELb1ES3_N6thrust23THRUST_200600_302600_NS6detail15normal_iteratorINSB_10device_ptrIjEEEENSD_INSE_IS6_EEEESI_S6_NSB_4plusIvEENSB_8equal_toIvEES6_EE10hipError_tPvRmT2_T3_T4_T5_mT6_T7_P12ihipStream_tbENKUlT_T0_E_clISt17integral_constantIbLb0EES12_IbLb1EEEEDaSY_SZ_EUlSY_E_NS1_11comp_targetILNS1_3genE5ELNS1_11target_archE942ELNS1_3gpuE9ELNS1_3repE0EEENS1_30default_config_static_selectorELNS0_4arch9wavefront6targetE0EEEvT1_
                                        ; -- End function
	.set _ZN7rocprim17ROCPRIM_400000_NS6detail17trampoline_kernelINS0_14default_configENS1_27scan_by_key_config_selectorIj11FixedVectorIiLj1EEEEZZNS1_16scan_by_key_implILNS1_25lookback_scan_determinismE0ELb1ES3_N6thrust23THRUST_200600_302600_NS6detail15normal_iteratorINSB_10device_ptrIjEEEENSD_INSE_IS6_EEEESI_S6_NSB_4plusIvEENSB_8equal_toIvEES6_EE10hipError_tPvRmT2_T3_T4_T5_mT6_T7_P12ihipStream_tbENKUlT_T0_E_clISt17integral_constantIbLb0EES12_IbLb1EEEEDaSY_SZ_EUlSY_E_NS1_11comp_targetILNS1_3genE5ELNS1_11target_archE942ELNS1_3gpuE9ELNS1_3repE0EEENS1_30default_config_static_selectorELNS0_4arch9wavefront6targetE0EEEvT1_.num_vgpr, 0
	.set _ZN7rocprim17ROCPRIM_400000_NS6detail17trampoline_kernelINS0_14default_configENS1_27scan_by_key_config_selectorIj11FixedVectorIiLj1EEEEZZNS1_16scan_by_key_implILNS1_25lookback_scan_determinismE0ELb1ES3_N6thrust23THRUST_200600_302600_NS6detail15normal_iteratorINSB_10device_ptrIjEEEENSD_INSE_IS6_EEEESI_S6_NSB_4plusIvEENSB_8equal_toIvEES6_EE10hipError_tPvRmT2_T3_T4_T5_mT6_T7_P12ihipStream_tbENKUlT_T0_E_clISt17integral_constantIbLb0EES12_IbLb1EEEEDaSY_SZ_EUlSY_E_NS1_11comp_targetILNS1_3genE5ELNS1_11target_archE942ELNS1_3gpuE9ELNS1_3repE0EEENS1_30default_config_static_selectorELNS0_4arch9wavefront6targetE0EEEvT1_.num_agpr, 0
	.set _ZN7rocprim17ROCPRIM_400000_NS6detail17trampoline_kernelINS0_14default_configENS1_27scan_by_key_config_selectorIj11FixedVectorIiLj1EEEEZZNS1_16scan_by_key_implILNS1_25lookback_scan_determinismE0ELb1ES3_N6thrust23THRUST_200600_302600_NS6detail15normal_iteratorINSB_10device_ptrIjEEEENSD_INSE_IS6_EEEESI_S6_NSB_4plusIvEENSB_8equal_toIvEES6_EE10hipError_tPvRmT2_T3_T4_T5_mT6_T7_P12ihipStream_tbENKUlT_T0_E_clISt17integral_constantIbLb0EES12_IbLb1EEEEDaSY_SZ_EUlSY_E_NS1_11comp_targetILNS1_3genE5ELNS1_11target_archE942ELNS1_3gpuE9ELNS1_3repE0EEENS1_30default_config_static_selectorELNS0_4arch9wavefront6targetE0EEEvT1_.numbered_sgpr, 0
	.set _ZN7rocprim17ROCPRIM_400000_NS6detail17trampoline_kernelINS0_14default_configENS1_27scan_by_key_config_selectorIj11FixedVectorIiLj1EEEEZZNS1_16scan_by_key_implILNS1_25lookback_scan_determinismE0ELb1ES3_N6thrust23THRUST_200600_302600_NS6detail15normal_iteratorINSB_10device_ptrIjEEEENSD_INSE_IS6_EEEESI_S6_NSB_4plusIvEENSB_8equal_toIvEES6_EE10hipError_tPvRmT2_T3_T4_T5_mT6_T7_P12ihipStream_tbENKUlT_T0_E_clISt17integral_constantIbLb0EES12_IbLb1EEEEDaSY_SZ_EUlSY_E_NS1_11comp_targetILNS1_3genE5ELNS1_11target_archE942ELNS1_3gpuE9ELNS1_3repE0EEENS1_30default_config_static_selectorELNS0_4arch9wavefront6targetE0EEEvT1_.num_named_barrier, 0
	.set _ZN7rocprim17ROCPRIM_400000_NS6detail17trampoline_kernelINS0_14default_configENS1_27scan_by_key_config_selectorIj11FixedVectorIiLj1EEEEZZNS1_16scan_by_key_implILNS1_25lookback_scan_determinismE0ELb1ES3_N6thrust23THRUST_200600_302600_NS6detail15normal_iteratorINSB_10device_ptrIjEEEENSD_INSE_IS6_EEEESI_S6_NSB_4plusIvEENSB_8equal_toIvEES6_EE10hipError_tPvRmT2_T3_T4_T5_mT6_T7_P12ihipStream_tbENKUlT_T0_E_clISt17integral_constantIbLb0EES12_IbLb1EEEEDaSY_SZ_EUlSY_E_NS1_11comp_targetILNS1_3genE5ELNS1_11target_archE942ELNS1_3gpuE9ELNS1_3repE0EEENS1_30default_config_static_selectorELNS0_4arch9wavefront6targetE0EEEvT1_.private_seg_size, 0
	.set _ZN7rocprim17ROCPRIM_400000_NS6detail17trampoline_kernelINS0_14default_configENS1_27scan_by_key_config_selectorIj11FixedVectorIiLj1EEEEZZNS1_16scan_by_key_implILNS1_25lookback_scan_determinismE0ELb1ES3_N6thrust23THRUST_200600_302600_NS6detail15normal_iteratorINSB_10device_ptrIjEEEENSD_INSE_IS6_EEEESI_S6_NSB_4plusIvEENSB_8equal_toIvEES6_EE10hipError_tPvRmT2_T3_T4_T5_mT6_T7_P12ihipStream_tbENKUlT_T0_E_clISt17integral_constantIbLb0EES12_IbLb1EEEEDaSY_SZ_EUlSY_E_NS1_11comp_targetILNS1_3genE5ELNS1_11target_archE942ELNS1_3gpuE9ELNS1_3repE0EEENS1_30default_config_static_selectorELNS0_4arch9wavefront6targetE0EEEvT1_.uses_vcc, 0
	.set _ZN7rocprim17ROCPRIM_400000_NS6detail17trampoline_kernelINS0_14default_configENS1_27scan_by_key_config_selectorIj11FixedVectorIiLj1EEEEZZNS1_16scan_by_key_implILNS1_25lookback_scan_determinismE0ELb1ES3_N6thrust23THRUST_200600_302600_NS6detail15normal_iteratorINSB_10device_ptrIjEEEENSD_INSE_IS6_EEEESI_S6_NSB_4plusIvEENSB_8equal_toIvEES6_EE10hipError_tPvRmT2_T3_T4_T5_mT6_T7_P12ihipStream_tbENKUlT_T0_E_clISt17integral_constantIbLb0EES12_IbLb1EEEEDaSY_SZ_EUlSY_E_NS1_11comp_targetILNS1_3genE5ELNS1_11target_archE942ELNS1_3gpuE9ELNS1_3repE0EEENS1_30default_config_static_selectorELNS0_4arch9wavefront6targetE0EEEvT1_.uses_flat_scratch, 0
	.set _ZN7rocprim17ROCPRIM_400000_NS6detail17trampoline_kernelINS0_14default_configENS1_27scan_by_key_config_selectorIj11FixedVectorIiLj1EEEEZZNS1_16scan_by_key_implILNS1_25lookback_scan_determinismE0ELb1ES3_N6thrust23THRUST_200600_302600_NS6detail15normal_iteratorINSB_10device_ptrIjEEEENSD_INSE_IS6_EEEESI_S6_NSB_4plusIvEENSB_8equal_toIvEES6_EE10hipError_tPvRmT2_T3_T4_T5_mT6_T7_P12ihipStream_tbENKUlT_T0_E_clISt17integral_constantIbLb0EES12_IbLb1EEEEDaSY_SZ_EUlSY_E_NS1_11comp_targetILNS1_3genE5ELNS1_11target_archE942ELNS1_3gpuE9ELNS1_3repE0EEENS1_30default_config_static_selectorELNS0_4arch9wavefront6targetE0EEEvT1_.has_dyn_sized_stack, 0
	.set _ZN7rocprim17ROCPRIM_400000_NS6detail17trampoline_kernelINS0_14default_configENS1_27scan_by_key_config_selectorIj11FixedVectorIiLj1EEEEZZNS1_16scan_by_key_implILNS1_25lookback_scan_determinismE0ELb1ES3_N6thrust23THRUST_200600_302600_NS6detail15normal_iteratorINSB_10device_ptrIjEEEENSD_INSE_IS6_EEEESI_S6_NSB_4plusIvEENSB_8equal_toIvEES6_EE10hipError_tPvRmT2_T3_T4_T5_mT6_T7_P12ihipStream_tbENKUlT_T0_E_clISt17integral_constantIbLb0EES12_IbLb1EEEEDaSY_SZ_EUlSY_E_NS1_11comp_targetILNS1_3genE5ELNS1_11target_archE942ELNS1_3gpuE9ELNS1_3repE0EEENS1_30default_config_static_selectorELNS0_4arch9wavefront6targetE0EEEvT1_.has_recursion, 0
	.set _ZN7rocprim17ROCPRIM_400000_NS6detail17trampoline_kernelINS0_14default_configENS1_27scan_by_key_config_selectorIj11FixedVectorIiLj1EEEEZZNS1_16scan_by_key_implILNS1_25lookback_scan_determinismE0ELb1ES3_N6thrust23THRUST_200600_302600_NS6detail15normal_iteratorINSB_10device_ptrIjEEEENSD_INSE_IS6_EEEESI_S6_NSB_4plusIvEENSB_8equal_toIvEES6_EE10hipError_tPvRmT2_T3_T4_T5_mT6_T7_P12ihipStream_tbENKUlT_T0_E_clISt17integral_constantIbLb0EES12_IbLb1EEEEDaSY_SZ_EUlSY_E_NS1_11comp_targetILNS1_3genE5ELNS1_11target_archE942ELNS1_3gpuE9ELNS1_3repE0EEENS1_30default_config_static_selectorELNS0_4arch9wavefront6targetE0EEEvT1_.has_indirect_call, 0
	.section	.AMDGPU.csdata,"",@progbits
; Kernel info:
; codeLenInByte = 0
; TotalNumSgprs: 0
; NumVgprs: 0
; ScratchSize: 0
; MemoryBound: 0
; FloatMode: 240
; IeeeMode: 1
; LDSByteSize: 0 bytes/workgroup (compile time only)
; SGPRBlocks: 0
; VGPRBlocks: 0
; NumSGPRsForWavesPerEU: 1
; NumVGPRsForWavesPerEU: 1
; NamedBarCnt: 0
; Occupancy: 16
; WaveLimiterHint : 0
; COMPUTE_PGM_RSRC2:SCRATCH_EN: 0
; COMPUTE_PGM_RSRC2:USER_SGPR: 2
; COMPUTE_PGM_RSRC2:TRAP_HANDLER: 0
; COMPUTE_PGM_RSRC2:TGID_X_EN: 1
; COMPUTE_PGM_RSRC2:TGID_Y_EN: 0
; COMPUTE_PGM_RSRC2:TGID_Z_EN: 0
; COMPUTE_PGM_RSRC2:TIDIG_COMP_CNT: 0
	.section	.text._ZN7rocprim17ROCPRIM_400000_NS6detail17trampoline_kernelINS0_14default_configENS1_27scan_by_key_config_selectorIj11FixedVectorIiLj1EEEEZZNS1_16scan_by_key_implILNS1_25lookback_scan_determinismE0ELb1ES3_N6thrust23THRUST_200600_302600_NS6detail15normal_iteratorINSB_10device_ptrIjEEEENSD_INSE_IS6_EEEESI_S6_NSB_4plusIvEENSB_8equal_toIvEES6_EE10hipError_tPvRmT2_T3_T4_T5_mT6_T7_P12ihipStream_tbENKUlT_T0_E_clISt17integral_constantIbLb0EES12_IbLb1EEEEDaSY_SZ_EUlSY_E_NS1_11comp_targetILNS1_3genE4ELNS1_11target_archE910ELNS1_3gpuE8ELNS1_3repE0EEENS1_30default_config_static_selectorELNS0_4arch9wavefront6targetE0EEEvT1_,"axG",@progbits,_ZN7rocprim17ROCPRIM_400000_NS6detail17trampoline_kernelINS0_14default_configENS1_27scan_by_key_config_selectorIj11FixedVectorIiLj1EEEEZZNS1_16scan_by_key_implILNS1_25lookback_scan_determinismE0ELb1ES3_N6thrust23THRUST_200600_302600_NS6detail15normal_iteratorINSB_10device_ptrIjEEEENSD_INSE_IS6_EEEESI_S6_NSB_4plusIvEENSB_8equal_toIvEES6_EE10hipError_tPvRmT2_T3_T4_T5_mT6_T7_P12ihipStream_tbENKUlT_T0_E_clISt17integral_constantIbLb0EES12_IbLb1EEEEDaSY_SZ_EUlSY_E_NS1_11comp_targetILNS1_3genE4ELNS1_11target_archE910ELNS1_3gpuE8ELNS1_3repE0EEENS1_30default_config_static_selectorELNS0_4arch9wavefront6targetE0EEEvT1_,comdat
	.protected	_ZN7rocprim17ROCPRIM_400000_NS6detail17trampoline_kernelINS0_14default_configENS1_27scan_by_key_config_selectorIj11FixedVectorIiLj1EEEEZZNS1_16scan_by_key_implILNS1_25lookback_scan_determinismE0ELb1ES3_N6thrust23THRUST_200600_302600_NS6detail15normal_iteratorINSB_10device_ptrIjEEEENSD_INSE_IS6_EEEESI_S6_NSB_4plusIvEENSB_8equal_toIvEES6_EE10hipError_tPvRmT2_T3_T4_T5_mT6_T7_P12ihipStream_tbENKUlT_T0_E_clISt17integral_constantIbLb0EES12_IbLb1EEEEDaSY_SZ_EUlSY_E_NS1_11comp_targetILNS1_3genE4ELNS1_11target_archE910ELNS1_3gpuE8ELNS1_3repE0EEENS1_30default_config_static_selectorELNS0_4arch9wavefront6targetE0EEEvT1_ ; -- Begin function _ZN7rocprim17ROCPRIM_400000_NS6detail17trampoline_kernelINS0_14default_configENS1_27scan_by_key_config_selectorIj11FixedVectorIiLj1EEEEZZNS1_16scan_by_key_implILNS1_25lookback_scan_determinismE0ELb1ES3_N6thrust23THRUST_200600_302600_NS6detail15normal_iteratorINSB_10device_ptrIjEEEENSD_INSE_IS6_EEEESI_S6_NSB_4plusIvEENSB_8equal_toIvEES6_EE10hipError_tPvRmT2_T3_T4_T5_mT6_T7_P12ihipStream_tbENKUlT_T0_E_clISt17integral_constantIbLb0EES12_IbLb1EEEEDaSY_SZ_EUlSY_E_NS1_11comp_targetILNS1_3genE4ELNS1_11target_archE910ELNS1_3gpuE8ELNS1_3repE0EEENS1_30default_config_static_selectorELNS0_4arch9wavefront6targetE0EEEvT1_
	.globl	_ZN7rocprim17ROCPRIM_400000_NS6detail17trampoline_kernelINS0_14default_configENS1_27scan_by_key_config_selectorIj11FixedVectorIiLj1EEEEZZNS1_16scan_by_key_implILNS1_25lookback_scan_determinismE0ELb1ES3_N6thrust23THRUST_200600_302600_NS6detail15normal_iteratorINSB_10device_ptrIjEEEENSD_INSE_IS6_EEEESI_S6_NSB_4plusIvEENSB_8equal_toIvEES6_EE10hipError_tPvRmT2_T3_T4_T5_mT6_T7_P12ihipStream_tbENKUlT_T0_E_clISt17integral_constantIbLb0EES12_IbLb1EEEEDaSY_SZ_EUlSY_E_NS1_11comp_targetILNS1_3genE4ELNS1_11target_archE910ELNS1_3gpuE8ELNS1_3repE0EEENS1_30default_config_static_selectorELNS0_4arch9wavefront6targetE0EEEvT1_
	.p2align	8
	.type	_ZN7rocprim17ROCPRIM_400000_NS6detail17trampoline_kernelINS0_14default_configENS1_27scan_by_key_config_selectorIj11FixedVectorIiLj1EEEEZZNS1_16scan_by_key_implILNS1_25lookback_scan_determinismE0ELb1ES3_N6thrust23THRUST_200600_302600_NS6detail15normal_iteratorINSB_10device_ptrIjEEEENSD_INSE_IS6_EEEESI_S6_NSB_4plusIvEENSB_8equal_toIvEES6_EE10hipError_tPvRmT2_T3_T4_T5_mT6_T7_P12ihipStream_tbENKUlT_T0_E_clISt17integral_constantIbLb0EES12_IbLb1EEEEDaSY_SZ_EUlSY_E_NS1_11comp_targetILNS1_3genE4ELNS1_11target_archE910ELNS1_3gpuE8ELNS1_3repE0EEENS1_30default_config_static_selectorELNS0_4arch9wavefront6targetE0EEEvT1_,@function
_ZN7rocprim17ROCPRIM_400000_NS6detail17trampoline_kernelINS0_14default_configENS1_27scan_by_key_config_selectorIj11FixedVectorIiLj1EEEEZZNS1_16scan_by_key_implILNS1_25lookback_scan_determinismE0ELb1ES3_N6thrust23THRUST_200600_302600_NS6detail15normal_iteratorINSB_10device_ptrIjEEEENSD_INSE_IS6_EEEESI_S6_NSB_4plusIvEENSB_8equal_toIvEES6_EE10hipError_tPvRmT2_T3_T4_T5_mT6_T7_P12ihipStream_tbENKUlT_T0_E_clISt17integral_constantIbLb0EES12_IbLb1EEEEDaSY_SZ_EUlSY_E_NS1_11comp_targetILNS1_3genE4ELNS1_11target_archE910ELNS1_3gpuE8ELNS1_3repE0EEENS1_30default_config_static_selectorELNS0_4arch9wavefront6targetE0EEEvT1_: ; @_ZN7rocprim17ROCPRIM_400000_NS6detail17trampoline_kernelINS0_14default_configENS1_27scan_by_key_config_selectorIj11FixedVectorIiLj1EEEEZZNS1_16scan_by_key_implILNS1_25lookback_scan_determinismE0ELb1ES3_N6thrust23THRUST_200600_302600_NS6detail15normal_iteratorINSB_10device_ptrIjEEEENSD_INSE_IS6_EEEESI_S6_NSB_4plusIvEENSB_8equal_toIvEES6_EE10hipError_tPvRmT2_T3_T4_T5_mT6_T7_P12ihipStream_tbENKUlT_T0_E_clISt17integral_constantIbLb0EES12_IbLb1EEEEDaSY_SZ_EUlSY_E_NS1_11comp_targetILNS1_3genE4ELNS1_11target_archE910ELNS1_3gpuE8ELNS1_3repE0EEENS1_30default_config_static_selectorELNS0_4arch9wavefront6targetE0EEEvT1_
; %bb.0:
	.section	.rodata,"a",@progbits
	.p2align	6, 0x0
	.amdhsa_kernel _ZN7rocprim17ROCPRIM_400000_NS6detail17trampoline_kernelINS0_14default_configENS1_27scan_by_key_config_selectorIj11FixedVectorIiLj1EEEEZZNS1_16scan_by_key_implILNS1_25lookback_scan_determinismE0ELb1ES3_N6thrust23THRUST_200600_302600_NS6detail15normal_iteratorINSB_10device_ptrIjEEEENSD_INSE_IS6_EEEESI_S6_NSB_4plusIvEENSB_8equal_toIvEES6_EE10hipError_tPvRmT2_T3_T4_T5_mT6_T7_P12ihipStream_tbENKUlT_T0_E_clISt17integral_constantIbLb0EES12_IbLb1EEEEDaSY_SZ_EUlSY_E_NS1_11comp_targetILNS1_3genE4ELNS1_11target_archE910ELNS1_3gpuE8ELNS1_3repE0EEENS1_30default_config_static_selectorELNS0_4arch9wavefront6targetE0EEEvT1_
		.amdhsa_group_segment_fixed_size 0
		.amdhsa_private_segment_fixed_size 0
		.amdhsa_kernarg_size 112
		.amdhsa_user_sgpr_count 2
		.amdhsa_user_sgpr_dispatch_ptr 0
		.amdhsa_user_sgpr_queue_ptr 0
		.amdhsa_user_sgpr_kernarg_segment_ptr 1
		.amdhsa_user_sgpr_dispatch_id 0
		.amdhsa_user_sgpr_kernarg_preload_length 0
		.amdhsa_user_sgpr_kernarg_preload_offset 0
		.amdhsa_user_sgpr_private_segment_size 0
		.amdhsa_wavefront_size32 1
		.amdhsa_uses_dynamic_stack 0
		.amdhsa_enable_private_segment 0
		.amdhsa_system_sgpr_workgroup_id_x 1
		.amdhsa_system_sgpr_workgroup_id_y 0
		.amdhsa_system_sgpr_workgroup_id_z 0
		.amdhsa_system_sgpr_workgroup_info 0
		.amdhsa_system_vgpr_workitem_id 0
		.amdhsa_next_free_vgpr 1
		.amdhsa_next_free_sgpr 1
		.amdhsa_named_barrier_count 0
		.amdhsa_reserve_vcc 0
		.amdhsa_float_round_mode_32 0
		.amdhsa_float_round_mode_16_64 0
		.amdhsa_float_denorm_mode_32 3
		.amdhsa_float_denorm_mode_16_64 3
		.amdhsa_fp16_overflow 0
		.amdhsa_memory_ordered 1
		.amdhsa_forward_progress 1
		.amdhsa_inst_pref_size 0
		.amdhsa_round_robin_scheduling 0
		.amdhsa_exception_fp_ieee_invalid_op 0
		.amdhsa_exception_fp_denorm_src 0
		.amdhsa_exception_fp_ieee_div_zero 0
		.amdhsa_exception_fp_ieee_overflow 0
		.amdhsa_exception_fp_ieee_underflow 0
		.amdhsa_exception_fp_ieee_inexact 0
		.amdhsa_exception_int_div_zero 0
	.end_amdhsa_kernel
	.section	.text._ZN7rocprim17ROCPRIM_400000_NS6detail17trampoline_kernelINS0_14default_configENS1_27scan_by_key_config_selectorIj11FixedVectorIiLj1EEEEZZNS1_16scan_by_key_implILNS1_25lookback_scan_determinismE0ELb1ES3_N6thrust23THRUST_200600_302600_NS6detail15normal_iteratorINSB_10device_ptrIjEEEENSD_INSE_IS6_EEEESI_S6_NSB_4plusIvEENSB_8equal_toIvEES6_EE10hipError_tPvRmT2_T3_T4_T5_mT6_T7_P12ihipStream_tbENKUlT_T0_E_clISt17integral_constantIbLb0EES12_IbLb1EEEEDaSY_SZ_EUlSY_E_NS1_11comp_targetILNS1_3genE4ELNS1_11target_archE910ELNS1_3gpuE8ELNS1_3repE0EEENS1_30default_config_static_selectorELNS0_4arch9wavefront6targetE0EEEvT1_,"axG",@progbits,_ZN7rocprim17ROCPRIM_400000_NS6detail17trampoline_kernelINS0_14default_configENS1_27scan_by_key_config_selectorIj11FixedVectorIiLj1EEEEZZNS1_16scan_by_key_implILNS1_25lookback_scan_determinismE0ELb1ES3_N6thrust23THRUST_200600_302600_NS6detail15normal_iteratorINSB_10device_ptrIjEEEENSD_INSE_IS6_EEEESI_S6_NSB_4plusIvEENSB_8equal_toIvEES6_EE10hipError_tPvRmT2_T3_T4_T5_mT6_T7_P12ihipStream_tbENKUlT_T0_E_clISt17integral_constantIbLb0EES12_IbLb1EEEEDaSY_SZ_EUlSY_E_NS1_11comp_targetILNS1_3genE4ELNS1_11target_archE910ELNS1_3gpuE8ELNS1_3repE0EEENS1_30default_config_static_selectorELNS0_4arch9wavefront6targetE0EEEvT1_,comdat
.Lfunc_end1941:
	.size	_ZN7rocprim17ROCPRIM_400000_NS6detail17trampoline_kernelINS0_14default_configENS1_27scan_by_key_config_selectorIj11FixedVectorIiLj1EEEEZZNS1_16scan_by_key_implILNS1_25lookback_scan_determinismE0ELb1ES3_N6thrust23THRUST_200600_302600_NS6detail15normal_iteratorINSB_10device_ptrIjEEEENSD_INSE_IS6_EEEESI_S6_NSB_4plusIvEENSB_8equal_toIvEES6_EE10hipError_tPvRmT2_T3_T4_T5_mT6_T7_P12ihipStream_tbENKUlT_T0_E_clISt17integral_constantIbLb0EES12_IbLb1EEEEDaSY_SZ_EUlSY_E_NS1_11comp_targetILNS1_3genE4ELNS1_11target_archE910ELNS1_3gpuE8ELNS1_3repE0EEENS1_30default_config_static_selectorELNS0_4arch9wavefront6targetE0EEEvT1_, .Lfunc_end1941-_ZN7rocprim17ROCPRIM_400000_NS6detail17trampoline_kernelINS0_14default_configENS1_27scan_by_key_config_selectorIj11FixedVectorIiLj1EEEEZZNS1_16scan_by_key_implILNS1_25lookback_scan_determinismE0ELb1ES3_N6thrust23THRUST_200600_302600_NS6detail15normal_iteratorINSB_10device_ptrIjEEEENSD_INSE_IS6_EEEESI_S6_NSB_4plusIvEENSB_8equal_toIvEES6_EE10hipError_tPvRmT2_T3_T4_T5_mT6_T7_P12ihipStream_tbENKUlT_T0_E_clISt17integral_constantIbLb0EES12_IbLb1EEEEDaSY_SZ_EUlSY_E_NS1_11comp_targetILNS1_3genE4ELNS1_11target_archE910ELNS1_3gpuE8ELNS1_3repE0EEENS1_30default_config_static_selectorELNS0_4arch9wavefront6targetE0EEEvT1_
                                        ; -- End function
	.set _ZN7rocprim17ROCPRIM_400000_NS6detail17trampoline_kernelINS0_14default_configENS1_27scan_by_key_config_selectorIj11FixedVectorIiLj1EEEEZZNS1_16scan_by_key_implILNS1_25lookback_scan_determinismE0ELb1ES3_N6thrust23THRUST_200600_302600_NS6detail15normal_iteratorINSB_10device_ptrIjEEEENSD_INSE_IS6_EEEESI_S6_NSB_4plusIvEENSB_8equal_toIvEES6_EE10hipError_tPvRmT2_T3_T4_T5_mT6_T7_P12ihipStream_tbENKUlT_T0_E_clISt17integral_constantIbLb0EES12_IbLb1EEEEDaSY_SZ_EUlSY_E_NS1_11comp_targetILNS1_3genE4ELNS1_11target_archE910ELNS1_3gpuE8ELNS1_3repE0EEENS1_30default_config_static_selectorELNS0_4arch9wavefront6targetE0EEEvT1_.num_vgpr, 0
	.set _ZN7rocprim17ROCPRIM_400000_NS6detail17trampoline_kernelINS0_14default_configENS1_27scan_by_key_config_selectorIj11FixedVectorIiLj1EEEEZZNS1_16scan_by_key_implILNS1_25lookback_scan_determinismE0ELb1ES3_N6thrust23THRUST_200600_302600_NS6detail15normal_iteratorINSB_10device_ptrIjEEEENSD_INSE_IS6_EEEESI_S6_NSB_4plusIvEENSB_8equal_toIvEES6_EE10hipError_tPvRmT2_T3_T4_T5_mT6_T7_P12ihipStream_tbENKUlT_T0_E_clISt17integral_constantIbLb0EES12_IbLb1EEEEDaSY_SZ_EUlSY_E_NS1_11comp_targetILNS1_3genE4ELNS1_11target_archE910ELNS1_3gpuE8ELNS1_3repE0EEENS1_30default_config_static_selectorELNS0_4arch9wavefront6targetE0EEEvT1_.num_agpr, 0
	.set _ZN7rocprim17ROCPRIM_400000_NS6detail17trampoline_kernelINS0_14default_configENS1_27scan_by_key_config_selectorIj11FixedVectorIiLj1EEEEZZNS1_16scan_by_key_implILNS1_25lookback_scan_determinismE0ELb1ES3_N6thrust23THRUST_200600_302600_NS6detail15normal_iteratorINSB_10device_ptrIjEEEENSD_INSE_IS6_EEEESI_S6_NSB_4plusIvEENSB_8equal_toIvEES6_EE10hipError_tPvRmT2_T3_T4_T5_mT6_T7_P12ihipStream_tbENKUlT_T0_E_clISt17integral_constantIbLb0EES12_IbLb1EEEEDaSY_SZ_EUlSY_E_NS1_11comp_targetILNS1_3genE4ELNS1_11target_archE910ELNS1_3gpuE8ELNS1_3repE0EEENS1_30default_config_static_selectorELNS0_4arch9wavefront6targetE0EEEvT1_.numbered_sgpr, 0
	.set _ZN7rocprim17ROCPRIM_400000_NS6detail17trampoline_kernelINS0_14default_configENS1_27scan_by_key_config_selectorIj11FixedVectorIiLj1EEEEZZNS1_16scan_by_key_implILNS1_25lookback_scan_determinismE0ELb1ES3_N6thrust23THRUST_200600_302600_NS6detail15normal_iteratorINSB_10device_ptrIjEEEENSD_INSE_IS6_EEEESI_S6_NSB_4plusIvEENSB_8equal_toIvEES6_EE10hipError_tPvRmT2_T3_T4_T5_mT6_T7_P12ihipStream_tbENKUlT_T0_E_clISt17integral_constantIbLb0EES12_IbLb1EEEEDaSY_SZ_EUlSY_E_NS1_11comp_targetILNS1_3genE4ELNS1_11target_archE910ELNS1_3gpuE8ELNS1_3repE0EEENS1_30default_config_static_selectorELNS0_4arch9wavefront6targetE0EEEvT1_.num_named_barrier, 0
	.set _ZN7rocprim17ROCPRIM_400000_NS6detail17trampoline_kernelINS0_14default_configENS1_27scan_by_key_config_selectorIj11FixedVectorIiLj1EEEEZZNS1_16scan_by_key_implILNS1_25lookback_scan_determinismE0ELb1ES3_N6thrust23THRUST_200600_302600_NS6detail15normal_iteratorINSB_10device_ptrIjEEEENSD_INSE_IS6_EEEESI_S6_NSB_4plusIvEENSB_8equal_toIvEES6_EE10hipError_tPvRmT2_T3_T4_T5_mT6_T7_P12ihipStream_tbENKUlT_T0_E_clISt17integral_constantIbLb0EES12_IbLb1EEEEDaSY_SZ_EUlSY_E_NS1_11comp_targetILNS1_3genE4ELNS1_11target_archE910ELNS1_3gpuE8ELNS1_3repE0EEENS1_30default_config_static_selectorELNS0_4arch9wavefront6targetE0EEEvT1_.private_seg_size, 0
	.set _ZN7rocprim17ROCPRIM_400000_NS6detail17trampoline_kernelINS0_14default_configENS1_27scan_by_key_config_selectorIj11FixedVectorIiLj1EEEEZZNS1_16scan_by_key_implILNS1_25lookback_scan_determinismE0ELb1ES3_N6thrust23THRUST_200600_302600_NS6detail15normal_iteratorINSB_10device_ptrIjEEEENSD_INSE_IS6_EEEESI_S6_NSB_4plusIvEENSB_8equal_toIvEES6_EE10hipError_tPvRmT2_T3_T4_T5_mT6_T7_P12ihipStream_tbENKUlT_T0_E_clISt17integral_constantIbLb0EES12_IbLb1EEEEDaSY_SZ_EUlSY_E_NS1_11comp_targetILNS1_3genE4ELNS1_11target_archE910ELNS1_3gpuE8ELNS1_3repE0EEENS1_30default_config_static_selectorELNS0_4arch9wavefront6targetE0EEEvT1_.uses_vcc, 0
	.set _ZN7rocprim17ROCPRIM_400000_NS6detail17trampoline_kernelINS0_14default_configENS1_27scan_by_key_config_selectorIj11FixedVectorIiLj1EEEEZZNS1_16scan_by_key_implILNS1_25lookback_scan_determinismE0ELb1ES3_N6thrust23THRUST_200600_302600_NS6detail15normal_iteratorINSB_10device_ptrIjEEEENSD_INSE_IS6_EEEESI_S6_NSB_4plusIvEENSB_8equal_toIvEES6_EE10hipError_tPvRmT2_T3_T4_T5_mT6_T7_P12ihipStream_tbENKUlT_T0_E_clISt17integral_constantIbLb0EES12_IbLb1EEEEDaSY_SZ_EUlSY_E_NS1_11comp_targetILNS1_3genE4ELNS1_11target_archE910ELNS1_3gpuE8ELNS1_3repE0EEENS1_30default_config_static_selectorELNS0_4arch9wavefront6targetE0EEEvT1_.uses_flat_scratch, 0
	.set _ZN7rocprim17ROCPRIM_400000_NS6detail17trampoline_kernelINS0_14default_configENS1_27scan_by_key_config_selectorIj11FixedVectorIiLj1EEEEZZNS1_16scan_by_key_implILNS1_25lookback_scan_determinismE0ELb1ES3_N6thrust23THRUST_200600_302600_NS6detail15normal_iteratorINSB_10device_ptrIjEEEENSD_INSE_IS6_EEEESI_S6_NSB_4plusIvEENSB_8equal_toIvEES6_EE10hipError_tPvRmT2_T3_T4_T5_mT6_T7_P12ihipStream_tbENKUlT_T0_E_clISt17integral_constantIbLb0EES12_IbLb1EEEEDaSY_SZ_EUlSY_E_NS1_11comp_targetILNS1_3genE4ELNS1_11target_archE910ELNS1_3gpuE8ELNS1_3repE0EEENS1_30default_config_static_selectorELNS0_4arch9wavefront6targetE0EEEvT1_.has_dyn_sized_stack, 0
	.set _ZN7rocprim17ROCPRIM_400000_NS6detail17trampoline_kernelINS0_14default_configENS1_27scan_by_key_config_selectorIj11FixedVectorIiLj1EEEEZZNS1_16scan_by_key_implILNS1_25lookback_scan_determinismE0ELb1ES3_N6thrust23THRUST_200600_302600_NS6detail15normal_iteratorINSB_10device_ptrIjEEEENSD_INSE_IS6_EEEESI_S6_NSB_4plusIvEENSB_8equal_toIvEES6_EE10hipError_tPvRmT2_T3_T4_T5_mT6_T7_P12ihipStream_tbENKUlT_T0_E_clISt17integral_constantIbLb0EES12_IbLb1EEEEDaSY_SZ_EUlSY_E_NS1_11comp_targetILNS1_3genE4ELNS1_11target_archE910ELNS1_3gpuE8ELNS1_3repE0EEENS1_30default_config_static_selectorELNS0_4arch9wavefront6targetE0EEEvT1_.has_recursion, 0
	.set _ZN7rocprim17ROCPRIM_400000_NS6detail17trampoline_kernelINS0_14default_configENS1_27scan_by_key_config_selectorIj11FixedVectorIiLj1EEEEZZNS1_16scan_by_key_implILNS1_25lookback_scan_determinismE0ELb1ES3_N6thrust23THRUST_200600_302600_NS6detail15normal_iteratorINSB_10device_ptrIjEEEENSD_INSE_IS6_EEEESI_S6_NSB_4plusIvEENSB_8equal_toIvEES6_EE10hipError_tPvRmT2_T3_T4_T5_mT6_T7_P12ihipStream_tbENKUlT_T0_E_clISt17integral_constantIbLb0EES12_IbLb1EEEEDaSY_SZ_EUlSY_E_NS1_11comp_targetILNS1_3genE4ELNS1_11target_archE910ELNS1_3gpuE8ELNS1_3repE0EEENS1_30default_config_static_selectorELNS0_4arch9wavefront6targetE0EEEvT1_.has_indirect_call, 0
	.section	.AMDGPU.csdata,"",@progbits
; Kernel info:
; codeLenInByte = 0
; TotalNumSgprs: 0
; NumVgprs: 0
; ScratchSize: 0
; MemoryBound: 0
; FloatMode: 240
; IeeeMode: 1
; LDSByteSize: 0 bytes/workgroup (compile time only)
; SGPRBlocks: 0
; VGPRBlocks: 0
; NumSGPRsForWavesPerEU: 1
; NumVGPRsForWavesPerEU: 1
; NamedBarCnt: 0
; Occupancy: 16
; WaveLimiterHint : 0
; COMPUTE_PGM_RSRC2:SCRATCH_EN: 0
; COMPUTE_PGM_RSRC2:USER_SGPR: 2
; COMPUTE_PGM_RSRC2:TRAP_HANDLER: 0
; COMPUTE_PGM_RSRC2:TGID_X_EN: 1
; COMPUTE_PGM_RSRC2:TGID_Y_EN: 0
; COMPUTE_PGM_RSRC2:TGID_Z_EN: 0
; COMPUTE_PGM_RSRC2:TIDIG_COMP_CNT: 0
	.section	.text._ZN7rocprim17ROCPRIM_400000_NS6detail17trampoline_kernelINS0_14default_configENS1_27scan_by_key_config_selectorIj11FixedVectorIiLj1EEEEZZNS1_16scan_by_key_implILNS1_25lookback_scan_determinismE0ELb1ES3_N6thrust23THRUST_200600_302600_NS6detail15normal_iteratorINSB_10device_ptrIjEEEENSD_INSE_IS6_EEEESI_S6_NSB_4plusIvEENSB_8equal_toIvEES6_EE10hipError_tPvRmT2_T3_T4_T5_mT6_T7_P12ihipStream_tbENKUlT_T0_E_clISt17integral_constantIbLb0EES12_IbLb1EEEEDaSY_SZ_EUlSY_E_NS1_11comp_targetILNS1_3genE3ELNS1_11target_archE908ELNS1_3gpuE7ELNS1_3repE0EEENS1_30default_config_static_selectorELNS0_4arch9wavefront6targetE0EEEvT1_,"axG",@progbits,_ZN7rocprim17ROCPRIM_400000_NS6detail17trampoline_kernelINS0_14default_configENS1_27scan_by_key_config_selectorIj11FixedVectorIiLj1EEEEZZNS1_16scan_by_key_implILNS1_25lookback_scan_determinismE0ELb1ES3_N6thrust23THRUST_200600_302600_NS6detail15normal_iteratorINSB_10device_ptrIjEEEENSD_INSE_IS6_EEEESI_S6_NSB_4plusIvEENSB_8equal_toIvEES6_EE10hipError_tPvRmT2_T3_T4_T5_mT6_T7_P12ihipStream_tbENKUlT_T0_E_clISt17integral_constantIbLb0EES12_IbLb1EEEEDaSY_SZ_EUlSY_E_NS1_11comp_targetILNS1_3genE3ELNS1_11target_archE908ELNS1_3gpuE7ELNS1_3repE0EEENS1_30default_config_static_selectorELNS0_4arch9wavefront6targetE0EEEvT1_,comdat
	.protected	_ZN7rocprim17ROCPRIM_400000_NS6detail17trampoline_kernelINS0_14default_configENS1_27scan_by_key_config_selectorIj11FixedVectorIiLj1EEEEZZNS1_16scan_by_key_implILNS1_25lookback_scan_determinismE0ELb1ES3_N6thrust23THRUST_200600_302600_NS6detail15normal_iteratorINSB_10device_ptrIjEEEENSD_INSE_IS6_EEEESI_S6_NSB_4plusIvEENSB_8equal_toIvEES6_EE10hipError_tPvRmT2_T3_T4_T5_mT6_T7_P12ihipStream_tbENKUlT_T0_E_clISt17integral_constantIbLb0EES12_IbLb1EEEEDaSY_SZ_EUlSY_E_NS1_11comp_targetILNS1_3genE3ELNS1_11target_archE908ELNS1_3gpuE7ELNS1_3repE0EEENS1_30default_config_static_selectorELNS0_4arch9wavefront6targetE0EEEvT1_ ; -- Begin function _ZN7rocprim17ROCPRIM_400000_NS6detail17trampoline_kernelINS0_14default_configENS1_27scan_by_key_config_selectorIj11FixedVectorIiLj1EEEEZZNS1_16scan_by_key_implILNS1_25lookback_scan_determinismE0ELb1ES3_N6thrust23THRUST_200600_302600_NS6detail15normal_iteratorINSB_10device_ptrIjEEEENSD_INSE_IS6_EEEESI_S6_NSB_4plusIvEENSB_8equal_toIvEES6_EE10hipError_tPvRmT2_T3_T4_T5_mT6_T7_P12ihipStream_tbENKUlT_T0_E_clISt17integral_constantIbLb0EES12_IbLb1EEEEDaSY_SZ_EUlSY_E_NS1_11comp_targetILNS1_3genE3ELNS1_11target_archE908ELNS1_3gpuE7ELNS1_3repE0EEENS1_30default_config_static_selectorELNS0_4arch9wavefront6targetE0EEEvT1_
	.globl	_ZN7rocprim17ROCPRIM_400000_NS6detail17trampoline_kernelINS0_14default_configENS1_27scan_by_key_config_selectorIj11FixedVectorIiLj1EEEEZZNS1_16scan_by_key_implILNS1_25lookback_scan_determinismE0ELb1ES3_N6thrust23THRUST_200600_302600_NS6detail15normal_iteratorINSB_10device_ptrIjEEEENSD_INSE_IS6_EEEESI_S6_NSB_4plusIvEENSB_8equal_toIvEES6_EE10hipError_tPvRmT2_T3_T4_T5_mT6_T7_P12ihipStream_tbENKUlT_T0_E_clISt17integral_constantIbLb0EES12_IbLb1EEEEDaSY_SZ_EUlSY_E_NS1_11comp_targetILNS1_3genE3ELNS1_11target_archE908ELNS1_3gpuE7ELNS1_3repE0EEENS1_30default_config_static_selectorELNS0_4arch9wavefront6targetE0EEEvT1_
	.p2align	8
	.type	_ZN7rocprim17ROCPRIM_400000_NS6detail17trampoline_kernelINS0_14default_configENS1_27scan_by_key_config_selectorIj11FixedVectorIiLj1EEEEZZNS1_16scan_by_key_implILNS1_25lookback_scan_determinismE0ELb1ES3_N6thrust23THRUST_200600_302600_NS6detail15normal_iteratorINSB_10device_ptrIjEEEENSD_INSE_IS6_EEEESI_S6_NSB_4plusIvEENSB_8equal_toIvEES6_EE10hipError_tPvRmT2_T3_T4_T5_mT6_T7_P12ihipStream_tbENKUlT_T0_E_clISt17integral_constantIbLb0EES12_IbLb1EEEEDaSY_SZ_EUlSY_E_NS1_11comp_targetILNS1_3genE3ELNS1_11target_archE908ELNS1_3gpuE7ELNS1_3repE0EEENS1_30default_config_static_selectorELNS0_4arch9wavefront6targetE0EEEvT1_,@function
_ZN7rocprim17ROCPRIM_400000_NS6detail17trampoline_kernelINS0_14default_configENS1_27scan_by_key_config_selectorIj11FixedVectorIiLj1EEEEZZNS1_16scan_by_key_implILNS1_25lookback_scan_determinismE0ELb1ES3_N6thrust23THRUST_200600_302600_NS6detail15normal_iteratorINSB_10device_ptrIjEEEENSD_INSE_IS6_EEEESI_S6_NSB_4plusIvEENSB_8equal_toIvEES6_EE10hipError_tPvRmT2_T3_T4_T5_mT6_T7_P12ihipStream_tbENKUlT_T0_E_clISt17integral_constantIbLb0EES12_IbLb1EEEEDaSY_SZ_EUlSY_E_NS1_11comp_targetILNS1_3genE3ELNS1_11target_archE908ELNS1_3gpuE7ELNS1_3repE0EEENS1_30default_config_static_selectorELNS0_4arch9wavefront6targetE0EEEvT1_: ; @_ZN7rocprim17ROCPRIM_400000_NS6detail17trampoline_kernelINS0_14default_configENS1_27scan_by_key_config_selectorIj11FixedVectorIiLj1EEEEZZNS1_16scan_by_key_implILNS1_25lookback_scan_determinismE0ELb1ES3_N6thrust23THRUST_200600_302600_NS6detail15normal_iteratorINSB_10device_ptrIjEEEENSD_INSE_IS6_EEEESI_S6_NSB_4plusIvEENSB_8equal_toIvEES6_EE10hipError_tPvRmT2_T3_T4_T5_mT6_T7_P12ihipStream_tbENKUlT_T0_E_clISt17integral_constantIbLb0EES12_IbLb1EEEEDaSY_SZ_EUlSY_E_NS1_11comp_targetILNS1_3genE3ELNS1_11target_archE908ELNS1_3gpuE7ELNS1_3repE0EEENS1_30default_config_static_selectorELNS0_4arch9wavefront6targetE0EEEvT1_
; %bb.0:
	.section	.rodata,"a",@progbits
	.p2align	6, 0x0
	.amdhsa_kernel _ZN7rocprim17ROCPRIM_400000_NS6detail17trampoline_kernelINS0_14default_configENS1_27scan_by_key_config_selectorIj11FixedVectorIiLj1EEEEZZNS1_16scan_by_key_implILNS1_25lookback_scan_determinismE0ELb1ES3_N6thrust23THRUST_200600_302600_NS6detail15normal_iteratorINSB_10device_ptrIjEEEENSD_INSE_IS6_EEEESI_S6_NSB_4plusIvEENSB_8equal_toIvEES6_EE10hipError_tPvRmT2_T3_T4_T5_mT6_T7_P12ihipStream_tbENKUlT_T0_E_clISt17integral_constantIbLb0EES12_IbLb1EEEEDaSY_SZ_EUlSY_E_NS1_11comp_targetILNS1_3genE3ELNS1_11target_archE908ELNS1_3gpuE7ELNS1_3repE0EEENS1_30default_config_static_selectorELNS0_4arch9wavefront6targetE0EEEvT1_
		.amdhsa_group_segment_fixed_size 0
		.amdhsa_private_segment_fixed_size 0
		.amdhsa_kernarg_size 112
		.amdhsa_user_sgpr_count 2
		.amdhsa_user_sgpr_dispatch_ptr 0
		.amdhsa_user_sgpr_queue_ptr 0
		.amdhsa_user_sgpr_kernarg_segment_ptr 1
		.amdhsa_user_sgpr_dispatch_id 0
		.amdhsa_user_sgpr_kernarg_preload_length 0
		.amdhsa_user_sgpr_kernarg_preload_offset 0
		.amdhsa_user_sgpr_private_segment_size 0
		.amdhsa_wavefront_size32 1
		.amdhsa_uses_dynamic_stack 0
		.amdhsa_enable_private_segment 0
		.amdhsa_system_sgpr_workgroup_id_x 1
		.amdhsa_system_sgpr_workgroup_id_y 0
		.amdhsa_system_sgpr_workgroup_id_z 0
		.amdhsa_system_sgpr_workgroup_info 0
		.amdhsa_system_vgpr_workitem_id 0
		.amdhsa_next_free_vgpr 1
		.amdhsa_next_free_sgpr 1
		.amdhsa_named_barrier_count 0
		.amdhsa_reserve_vcc 0
		.amdhsa_float_round_mode_32 0
		.amdhsa_float_round_mode_16_64 0
		.amdhsa_float_denorm_mode_32 3
		.amdhsa_float_denorm_mode_16_64 3
		.amdhsa_fp16_overflow 0
		.amdhsa_memory_ordered 1
		.amdhsa_forward_progress 1
		.amdhsa_inst_pref_size 0
		.amdhsa_round_robin_scheduling 0
		.amdhsa_exception_fp_ieee_invalid_op 0
		.amdhsa_exception_fp_denorm_src 0
		.amdhsa_exception_fp_ieee_div_zero 0
		.amdhsa_exception_fp_ieee_overflow 0
		.amdhsa_exception_fp_ieee_underflow 0
		.amdhsa_exception_fp_ieee_inexact 0
		.amdhsa_exception_int_div_zero 0
	.end_amdhsa_kernel
	.section	.text._ZN7rocprim17ROCPRIM_400000_NS6detail17trampoline_kernelINS0_14default_configENS1_27scan_by_key_config_selectorIj11FixedVectorIiLj1EEEEZZNS1_16scan_by_key_implILNS1_25lookback_scan_determinismE0ELb1ES3_N6thrust23THRUST_200600_302600_NS6detail15normal_iteratorINSB_10device_ptrIjEEEENSD_INSE_IS6_EEEESI_S6_NSB_4plusIvEENSB_8equal_toIvEES6_EE10hipError_tPvRmT2_T3_T4_T5_mT6_T7_P12ihipStream_tbENKUlT_T0_E_clISt17integral_constantIbLb0EES12_IbLb1EEEEDaSY_SZ_EUlSY_E_NS1_11comp_targetILNS1_3genE3ELNS1_11target_archE908ELNS1_3gpuE7ELNS1_3repE0EEENS1_30default_config_static_selectorELNS0_4arch9wavefront6targetE0EEEvT1_,"axG",@progbits,_ZN7rocprim17ROCPRIM_400000_NS6detail17trampoline_kernelINS0_14default_configENS1_27scan_by_key_config_selectorIj11FixedVectorIiLj1EEEEZZNS1_16scan_by_key_implILNS1_25lookback_scan_determinismE0ELb1ES3_N6thrust23THRUST_200600_302600_NS6detail15normal_iteratorINSB_10device_ptrIjEEEENSD_INSE_IS6_EEEESI_S6_NSB_4plusIvEENSB_8equal_toIvEES6_EE10hipError_tPvRmT2_T3_T4_T5_mT6_T7_P12ihipStream_tbENKUlT_T0_E_clISt17integral_constantIbLb0EES12_IbLb1EEEEDaSY_SZ_EUlSY_E_NS1_11comp_targetILNS1_3genE3ELNS1_11target_archE908ELNS1_3gpuE7ELNS1_3repE0EEENS1_30default_config_static_selectorELNS0_4arch9wavefront6targetE0EEEvT1_,comdat
.Lfunc_end1942:
	.size	_ZN7rocprim17ROCPRIM_400000_NS6detail17trampoline_kernelINS0_14default_configENS1_27scan_by_key_config_selectorIj11FixedVectorIiLj1EEEEZZNS1_16scan_by_key_implILNS1_25lookback_scan_determinismE0ELb1ES3_N6thrust23THRUST_200600_302600_NS6detail15normal_iteratorINSB_10device_ptrIjEEEENSD_INSE_IS6_EEEESI_S6_NSB_4plusIvEENSB_8equal_toIvEES6_EE10hipError_tPvRmT2_T3_T4_T5_mT6_T7_P12ihipStream_tbENKUlT_T0_E_clISt17integral_constantIbLb0EES12_IbLb1EEEEDaSY_SZ_EUlSY_E_NS1_11comp_targetILNS1_3genE3ELNS1_11target_archE908ELNS1_3gpuE7ELNS1_3repE0EEENS1_30default_config_static_selectorELNS0_4arch9wavefront6targetE0EEEvT1_, .Lfunc_end1942-_ZN7rocprim17ROCPRIM_400000_NS6detail17trampoline_kernelINS0_14default_configENS1_27scan_by_key_config_selectorIj11FixedVectorIiLj1EEEEZZNS1_16scan_by_key_implILNS1_25lookback_scan_determinismE0ELb1ES3_N6thrust23THRUST_200600_302600_NS6detail15normal_iteratorINSB_10device_ptrIjEEEENSD_INSE_IS6_EEEESI_S6_NSB_4plusIvEENSB_8equal_toIvEES6_EE10hipError_tPvRmT2_T3_T4_T5_mT6_T7_P12ihipStream_tbENKUlT_T0_E_clISt17integral_constantIbLb0EES12_IbLb1EEEEDaSY_SZ_EUlSY_E_NS1_11comp_targetILNS1_3genE3ELNS1_11target_archE908ELNS1_3gpuE7ELNS1_3repE0EEENS1_30default_config_static_selectorELNS0_4arch9wavefront6targetE0EEEvT1_
                                        ; -- End function
	.set _ZN7rocprim17ROCPRIM_400000_NS6detail17trampoline_kernelINS0_14default_configENS1_27scan_by_key_config_selectorIj11FixedVectorIiLj1EEEEZZNS1_16scan_by_key_implILNS1_25lookback_scan_determinismE0ELb1ES3_N6thrust23THRUST_200600_302600_NS6detail15normal_iteratorINSB_10device_ptrIjEEEENSD_INSE_IS6_EEEESI_S6_NSB_4plusIvEENSB_8equal_toIvEES6_EE10hipError_tPvRmT2_T3_T4_T5_mT6_T7_P12ihipStream_tbENKUlT_T0_E_clISt17integral_constantIbLb0EES12_IbLb1EEEEDaSY_SZ_EUlSY_E_NS1_11comp_targetILNS1_3genE3ELNS1_11target_archE908ELNS1_3gpuE7ELNS1_3repE0EEENS1_30default_config_static_selectorELNS0_4arch9wavefront6targetE0EEEvT1_.num_vgpr, 0
	.set _ZN7rocprim17ROCPRIM_400000_NS6detail17trampoline_kernelINS0_14default_configENS1_27scan_by_key_config_selectorIj11FixedVectorIiLj1EEEEZZNS1_16scan_by_key_implILNS1_25lookback_scan_determinismE0ELb1ES3_N6thrust23THRUST_200600_302600_NS6detail15normal_iteratorINSB_10device_ptrIjEEEENSD_INSE_IS6_EEEESI_S6_NSB_4plusIvEENSB_8equal_toIvEES6_EE10hipError_tPvRmT2_T3_T4_T5_mT6_T7_P12ihipStream_tbENKUlT_T0_E_clISt17integral_constantIbLb0EES12_IbLb1EEEEDaSY_SZ_EUlSY_E_NS1_11comp_targetILNS1_3genE3ELNS1_11target_archE908ELNS1_3gpuE7ELNS1_3repE0EEENS1_30default_config_static_selectorELNS0_4arch9wavefront6targetE0EEEvT1_.num_agpr, 0
	.set _ZN7rocprim17ROCPRIM_400000_NS6detail17trampoline_kernelINS0_14default_configENS1_27scan_by_key_config_selectorIj11FixedVectorIiLj1EEEEZZNS1_16scan_by_key_implILNS1_25lookback_scan_determinismE0ELb1ES3_N6thrust23THRUST_200600_302600_NS6detail15normal_iteratorINSB_10device_ptrIjEEEENSD_INSE_IS6_EEEESI_S6_NSB_4plusIvEENSB_8equal_toIvEES6_EE10hipError_tPvRmT2_T3_T4_T5_mT6_T7_P12ihipStream_tbENKUlT_T0_E_clISt17integral_constantIbLb0EES12_IbLb1EEEEDaSY_SZ_EUlSY_E_NS1_11comp_targetILNS1_3genE3ELNS1_11target_archE908ELNS1_3gpuE7ELNS1_3repE0EEENS1_30default_config_static_selectorELNS0_4arch9wavefront6targetE0EEEvT1_.numbered_sgpr, 0
	.set _ZN7rocprim17ROCPRIM_400000_NS6detail17trampoline_kernelINS0_14default_configENS1_27scan_by_key_config_selectorIj11FixedVectorIiLj1EEEEZZNS1_16scan_by_key_implILNS1_25lookback_scan_determinismE0ELb1ES3_N6thrust23THRUST_200600_302600_NS6detail15normal_iteratorINSB_10device_ptrIjEEEENSD_INSE_IS6_EEEESI_S6_NSB_4plusIvEENSB_8equal_toIvEES6_EE10hipError_tPvRmT2_T3_T4_T5_mT6_T7_P12ihipStream_tbENKUlT_T0_E_clISt17integral_constantIbLb0EES12_IbLb1EEEEDaSY_SZ_EUlSY_E_NS1_11comp_targetILNS1_3genE3ELNS1_11target_archE908ELNS1_3gpuE7ELNS1_3repE0EEENS1_30default_config_static_selectorELNS0_4arch9wavefront6targetE0EEEvT1_.num_named_barrier, 0
	.set _ZN7rocprim17ROCPRIM_400000_NS6detail17trampoline_kernelINS0_14default_configENS1_27scan_by_key_config_selectorIj11FixedVectorIiLj1EEEEZZNS1_16scan_by_key_implILNS1_25lookback_scan_determinismE0ELb1ES3_N6thrust23THRUST_200600_302600_NS6detail15normal_iteratorINSB_10device_ptrIjEEEENSD_INSE_IS6_EEEESI_S6_NSB_4plusIvEENSB_8equal_toIvEES6_EE10hipError_tPvRmT2_T3_T4_T5_mT6_T7_P12ihipStream_tbENKUlT_T0_E_clISt17integral_constantIbLb0EES12_IbLb1EEEEDaSY_SZ_EUlSY_E_NS1_11comp_targetILNS1_3genE3ELNS1_11target_archE908ELNS1_3gpuE7ELNS1_3repE0EEENS1_30default_config_static_selectorELNS0_4arch9wavefront6targetE0EEEvT1_.private_seg_size, 0
	.set _ZN7rocprim17ROCPRIM_400000_NS6detail17trampoline_kernelINS0_14default_configENS1_27scan_by_key_config_selectorIj11FixedVectorIiLj1EEEEZZNS1_16scan_by_key_implILNS1_25lookback_scan_determinismE0ELb1ES3_N6thrust23THRUST_200600_302600_NS6detail15normal_iteratorINSB_10device_ptrIjEEEENSD_INSE_IS6_EEEESI_S6_NSB_4plusIvEENSB_8equal_toIvEES6_EE10hipError_tPvRmT2_T3_T4_T5_mT6_T7_P12ihipStream_tbENKUlT_T0_E_clISt17integral_constantIbLb0EES12_IbLb1EEEEDaSY_SZ_EUlSY_E_NS1_11comp_targetILNS1_3genE3ELNS1_11target_archE908ELNS1_3gpuE7ELNS1_3repE0EEENS1_30default_config_static_selectorELNS0_4arch9wavefront6targetE0EEEvT1_.uses_vcc, 0
	.set _ZN7rocprim17ROCPRIM_400000_NS6detail17trampoline_kernelINS0_14default_configENS1_27scan_by_key_config_selectorIj11FixedVectorIiLj1EEEEZZNS1_16scan_by_key_implILNS1_25lookback_scan_determinismE0ELb1ES3_N6thrust23THRUST_200600_302600_NS6detail15normal_iteratorINSB_10device_ptrIjEEEENSD_INSE_IS6_EEEESI_S6_NSB_4plusIvEENSB_8equal_toIvEES6_EE10hipError_tPvRmT2_T3_T4_T5_mT6_T7_P12ihipStream_tbENKUlT_T0_E_clISt17integral_constantIbLb0EES12_IbLb1EEEEDaSY_SZ_EUlSY_E_NS1_11comp_targetILNS1_3genE3ELNS1_11target_archE908ELNS1_3gpuE7ELNS1_3repE0EEENS1_30default_config_static_selectorELNS0_4arch9wavefront6targetE0EEEvT1_.uses_flat_scratch, 0
	.set _ZN7rocprim17ROCPRIM_400000_NS6detail17trampoline_kernelINS0_14default_configENS1_27scan_by_key_config_selectorIj11FixedVectorIiLj1EEEEZZNS1_16scan_by_key_implILNS1_25lookback_scan_determinismE0ELb1ES3_N6thrust23THRUST_200600_302600_NS6detail15normal_iteratorINSB_10device_ptrIjEEEENSD_INSE_IS6_EEEESI_S6_NSB_4plusIvEENSB_8equal_toIvEES6_EE10hipError_tPvRmT2_T3_T4_T5_mT6_T7_P12ihipStream_tbENKUlT_T0_E_clISt17integral_constantIbLb0EES12_IbLb1EEEEDaSY_SZ_EUlSY_E_NS1_11comp_targetILNS1_3genE3ELNS1_11target_archE908ELNS1_3gpuE7ELNS1_3repE0EEENS1_30default_config_static_selectorELNS0_4arch9wavefront6targetE0EEEvT1_.has_dyn_sized_stack, 0
	.set _ZN7rocprim17ROCPRIM_400000_NS6detail17trampoline_kernelINS0_14default_configENS1_27scan_by_key_config_selectorIj11FixedVectorIiLj1EEEEZZNS1_16scan_by_key_implILNS1_25lookback_scan_determinismE0ELb1ES3_N6thrust23THRUST_200600_302600_NS6detail15normal_iteratorINSB_10device_ptrIjEEEENSD_INSE_IS6_EEEESI_S6_NSB_4plusIvEENSB_8equal_toIvEES6_EE10hipError_tPvRmT2_T3_T4_T5_mT6_T7_P12ihipStream_tbENKUlT_T0_E_clISt17integral_constantIbLb0EES12_IbLb1EEEEDaSY_SZ_EUlSY_E_NS1_11comp_targetILNS1_3genE3ELNS1_11target_archE908ELNS1_3gpuE7ELNS1_3repE0EEENS1_30default_config_static_selectorELNS0_4arch9wavefront6targetE0EEEvT1_.has_recursion, 0
	.set _ZN7rocprim17ROCPRIM_400000_NS6detail17trampoline_kernelINS0_14default_configENS1_27scan_by_key_config_selectorIj11FixedVectorIiLj1EEEEZZNS1_16scan_by_key_implILNS1_25lookback_scan_determinismE0ELb1ES3_N6thrust23THRUST_200600_302600_NS6detail15normal_iteratorINSB_10device_ptrIjEEEENSD_INSE_IS6_EEEESI_S6_NSB_4plusIvEENSB_8equal_toIvEES6_EE10hipError_tPvRmT2_T3_T4_T5_mT6_T7_P12ihipStream_tbENKUlT_T0_E_clISt17integral_constantIbLb0EES12_IbLb1EEEEDaSY_SZ_EUlSY_E_NS1_11comp_targetILNS1_3genE3ELNS1_11target_archE908ELNS1_3gpuE7ELNS1_3repE0EEENS1_30default_config_static_selectorELNS0_4arch9wavefront6targetE0EEEvT1_.has_indirect_call, 0
	.section	.AMDGPU.csdata,"",@progbits
; Kernel info:
; codeLenInByte = 0
; TotalNumSgprs: 0
; NumVgprs: 0
; ScratchSize: 0
; MemoryBound: 0
; FloatMode: 240
; IeeeMode: 1
; LDSByteSize: 0 bytes/workgroup (compile time only)
; SGPRBlocks: 0
; VGPRBlocks: 0
; NumSGPRsForWavesPerEU: 1
; NumVGPRsForWavesPerEU: 1
; NamedBarCnt: 0
; Occupancy: 16
; WaveLimiterHint : 0
; COMPUTE_PGM_RSRC2:SCRATCH_EN: 0
; COMPUTE_PGM_RSRC2:USER_SGPR: 2
; COMPUTE_PGM_RSRC2:TRAP_HANDLER: 0
; COMPUTE_PGM_RSRC2:TGID_X_EN: 1
; COMPUTE_PGM_RSRC2:TGID_Y_EN: 0
; COMPUTE_PGM_RSRC2:TGID_Z_EN: 0
; COMPUTE_PGM_RSRC2:TIDIG_COMP_CNT: 0
	.section	.text._ZN7rocprim17ROCPRIM_400000_NS6detail17trampoline_kernelINS0_14default_configENS1_27scan_by_key_config_selectorIj11FixedVectorIiLj1EEEEZZNS1_16scan_by_key_implILNS1_25lookback_scan_determinismE0ELb1ES3_N6thrust23THRUST_200600_302600_NS6detail15normal_iteratorINSB_10device_ptrIjEEEENSD_INSE_IS6_EEEESI_S6_NSB_4plusIvEENSB_8equal_toIvEES6_EE10hipError_tPvRmT2_T3_T4_T5_mT6_T7_P12ihipStream_tbENKUlT_T0_E_clISt17integral_constantIbLb0EES12_IbLb1EEEEDaSY_SZ_EUlSY_E_NS1_11comp_targetILNS1_3genE2ELNS1_11target_archE906ELNS1_3gpuE6ELNS1_3repE0EEENS1_30default_config_static_selectorELNS0_4arch9wavefront6targetE0EEEvT1_,"axG",@progbits,_ZN7rocprim17ROCPRIM_400000_NS6detail17trampoline_kernelINS0_14default_configENS1_27scan_by_key_config_selectorIj11FixedVectorIiLj1EEEEZZNS1_16scan_by_key_implILNS1_25lookback_scan_determinismE0ELb1ES3_N6thrust23THRUST_200600_302600_NS6detail15normal_iteratorINSB_10device_ptrIjEEEENSD_INSE_IS6_EEEESI_S6_NSB_4plusIvEENSB_8equal_toIvEES6_EE10hipError_tPvRmT2_T3_T4_T5_mT6_T7_P12ihipStream_tbENKUlT_T0_E_clISt17integral_constantIbLb0EES12_IbLb1EEEEDaSY_SZ_EUlSY_E_NS1_11comp_targetILNS1_3genE2ELNS1_11target_archE906ELNS1_3gpuE6ELNS1_3repE0EEENS1_30default_config_static_selectorELNS0_4arch9wavefront6targetE0EEEvT1_,comdat
	.protected	_ZN7rocprim17ROCPRIM_400000_NS6detail17trampoline_kernelINS0_14default_configENS1_27scan_by_key_config_selectorIj11FixedVectorIiLj1EEEEZZNS1_16scan_by_key_implILNS1_25lookback_scan_determinismE0ELb1ES3_N6thrust23THRUST_200600_302600_NS6detail15normal_iteratorINSB_10device_ptrIjEEEENSD_INSE_IS6_EEEESI_S6_NSB_4plusIvEENSB_8equal_toIvEES6_EE10hipError_tPvRmT2_T3_T4_T5_mT6_T7_P12ihipStream_tbENKUlT_T0_E_clISt17integral_constantIbLb0EES12_IbLb1EEEEDaSY_SZ_EUlSY_E_NS1_11comp_targetILNS1_3genE2ELNS1_11target_archE906ELNS1_3gpuE6ELNS1_3repE0EEENS1_30default_config_static_selectorELNS0_4arch9wavefront6targetE0EEEvT1_ ; -- Begin function _ZN7rocprim17ROCPRIM_400000_NS6detail17trampoline_kernelINS0_14default_configENS1_27scan_by_key_config_selectorIj11FixedVectorIiLj1EEEEZZNS1_16scan_by_key_implILNS1_25lookback_scan_determinismE0ELb1ES3_N6thrust23THRUST_200600_302600_NS6detail15normal_iteratorINSB_10device_ptrIjEEEENSD_INSE_IS6_EEEESI_S6_NSB_4plusIvEENSB_8equal_toIvEES6_EE10hipError_tPvRmT2_T3_T4_T5_mT6_T7_P12ihipStream_tbENKUlT_T0_E_clISt17integral_constantIbLb0EES12_IbLb1EEEEDaSY_SZ_EUlSY_E_NS1_11comp_targetILNS1_3genE2ELNS1_11target_archE906ELNS1_3gpuE6ELNS1_3repE0EEENS1_30default_config_static_selectorELNS0_4arch9wavefront6targetE0EEEvT1_
	.globl	_ZN7rocprim17ROCPRIM_400000_NS6detail17trampoline_kernelINS0_14default_configENS1_27scan_by_key_config_selectorIj11FixedVectorIiLj1EEEEZZNS1_16scan_by_key_implILNS1_25lookback_scan_determinismE0ELb1ES3_N6thrust23THRUST_200600_302600_NS6detail15normal_iteratorINSB_10device_ptrIjEEEENSD_INSE_IS6_EEEESI_S6_NSB_4plusIvEENSB_8equal_toIvEES6_EE10hipError_tPvRmT2_T3_T4_T5_mT6_T7_P12ihipStream_tbENKUlT_T0_E_clISt17integral_constantIbLb0EES12_IbLb1EEEEDaSY_SZ_EUlSY_E_NS1_11comp_targetILNS1_3genE2ELNS1_11target_archE906ELNS1_3gpuE6ELNS1_3repE0EEENS1_30default_config_static_selectorELNS0_4arch9wavefront6targetE0EEEvT1_
	.p2align	8
	.type	_ZN7rocprim17ROCPRIM_400000_NS6detail17trampoline_kernelINS0_14default_configENS1_27scan_by_key_config_selectorIj11FixedVectorIiLj1EEEEZZNS1_16scan_by_key_implILNS1_25lookback_scan_determinismE0ELb1ES3_N6thrust23THRUST_200600_302600_NS6detail15normal_iteratorINSB_10device_ptrIjEEEENSD_INSE_IS6_EEEESI_S6_NSB_4plusIvEENSB_8equal_toIvEES6_EE10hipError_tPvRmT2_T3_T4_T5_mT6_T7_P12ihipStream_tbENKUlT_T0_E_clISt17integral_constantIbLb0EES12_IbLb1EEEEDaSY_SZ_EUlSY_E_NS1_11comp_targetILNS1_3genE2ELNS1_11target_archE906ELNS1_3gpuE6ELNS1_3repE0EEENS1_30default_config_static_selectorELNS0_4arch9wavefront6targetE0EEEvT1_,@function
_ZN7rocprim17ROCPRIM_400000_NS6detail17trampoline_kernelINS0_14default_configENS1_27scan_by_key_config_selectorIj11FixedVectorIiLj1EEEEZZNS1_16scan_by_key_implILNS1_25lookback_scan_determinismE0ELb1ES3_N6thrust23THRUST_200600_302600_NS6detail15normal_iteratorINSB_10device_ptrIjEEEENSD_INSE_IS6_EEEESI_S6_NSB_4plusIvEENSB_8equal_toIvEES6_EE10hipError_tPvRmT2_T3_T4_T5_mT6_T7_P12ihipStream_tbENKUlT_T0_E_clISt17integral_constantIbLb0EES12_IbLb1EEEEDaSY_SZ_EUlSY_E_NS1_11comp_targetILNS1_3genE2ELNS1_11target_archE906ELNS1_3gpuE6ELNS1_3repE0EEENS1_30default_config_static_selectorELNS0_4arch9wavefront6targetE0EEEvT1_: ; @_ZN7rocprim17ROCPRIM_400000_NS6detail17trampoline_kernelINS0_14default_configENS1_27scan_by_key_config_selectorIj11FixedVectorIiLj1EEEEZZNS1_16scan_by_key_implILNS1_25lookback_scan_determinismE0ELb1ES3_N6thrust23THRUST_200600_302600_NS6detail15normal_iteratorINSB_10device_ptrIjEEEENSD_INSE_IS6_EEEESI_S6_NSB_4plusIvEENSB_8equal_toIvEES6_EE10hipError_tPvRmT2_T3_T4_T5_mT6_T7_P12ihipStream_tbENKUlT_T0_E_clISt17integral_constantIbLb0EES12_IbLb1EEEEDaSY_SZ_EUlSY_E_NS1_11comp_targetILNS1_3genE2ELNS1_11target_archE906ELNS1_3gpuE6ELNS1_3repE0EEENS1_30default_config_static_selectorELNS0_4arch9wavefront6targetE0EEEvT1_
; %bb.0:
	.section	.rodata,"a",@progbits
	.p2align	6, 0x0
	.amdhsa_kernel _ZN7rocprim17ROCPRIM_400000_NS6detail17trampoline_kernelINS0_14default_configENS1_27scan_by_key_config_selectorIj11FixedVectorIiLj1EEEEZZNS1_16scan_by_key_implILNS1_25lookback_scan_determinismE0ELb1ES3_N6thrust23THRUST_200600_302600_NS6detail15normal_iteratorINSB_10device_ptrIjEEEENSD_INSE_IS6_EEEESI_S6_NSB_4plusIvEENSB_8equal_toIvEES6_EE10hipError_tPvRmT2_T3_T4_T5_mT6_T7_P12ihipStream_tbENKUlT_T0_E_clISt17integral_constantIbLb0EES12_IbLb1EEEEDaSY_SZ_EUlSY_E_NS1_11comp_targetILNS1_3genE2ELNS1_11target_archE906ELNS1_3gpuE6ELNS1_3repE0EEENS1_30default_config_static_selectorELNS0_4arch9wavefront6targetE0EEEvT1_
		.amdhsa_group_segment_fixed_size 0
		.amdhsa_private_segment_fixed_size 0
		.amdhsa_kernarg_size 112
		.amdhsa_user_sgpr_count 2
		.amdhsa_user_sgpr_dispatch_ptr 0
		.amdhsa_user_sgpr_queue_ptr 0
		.amdhsa_user_sgpr_kernarg_segment_ptr 1
		.amdhsa_user_sgpr_dispatch_id 0
		.amdhsa_user_sgpr_kernarg_preload_length 0
		.amdhsa_user_sgpr_kernarg_preload_offset 0
		.amdhsa_user_sgpr_private_segment_size 0
		.amdhsa_wavefront_size32 1
		.amdhsa_uses_dynamic_stack 0
		.amdhsa_enable_private_segment 0
		.amdhsa_system_sgpr_workgroup_id_x 1
		.amdhsa_system_sgpr_workgroup_id_y 0
		.amdhsa_system_sgpr_workgroup_id_z 0
		.amdhsa_system_sgpr_workgroup_info 0
		.amdhsa_system_vgpr_workitem_id 0
		.amdhsa_next_free_vgpr 1
		.amdhsa_next_free_sgpr 1
		.amdhsa_named_barrier_count 0
		.amdhsa_reserve_vcc 0
		.amdhsa_float_round_mode_32 0
		.amdhsa_float_round_mode_16_64 0
		.amdhsa_float_denorm_mode_32 3
		.amdhsa_float_denorm_mode_16_64 3
		.amdhsa_fp16_overflow 0
		.amdhsa_memory_ordered 1
		.amdhsa_forward_progress 1
		.amdhsa_inst_pref_size 0
		.amdhsa_round_robin_scheduling 0
		.amdhsa_exception_fp_ieee_invalid_op 0
		.amdhsa_exception_fp_denorm_src 0
		.amdhsa_exception_fp_ieee_div_zero 0
		.amdhsa_exception_fp_ieee_overflow 0
		.amdhsa_exception_fp_ieee_underflow 0
		.amdhsa_exception_fp_ieee_inexact 0
		.amdhsa_exception_int_div_zero 0
	.end_amdhsa_kernel
	.section	.text._ZN7rocprim17ROCPRIM_400000_NS6detail17trampoline_kernelINS0_14default_configENS1_27scan_by_key_config_selectorIj11FixedVectorIiLj1EEEEZZNS1_16scan_by_key_implILNS1_25lookback_scan_determinismE0ELb1ES3_N6thrust23THRUST_200600_302600_NS6detail15normal_iteratorINSB_10device_ptrIjEEEENSD_INSE_IS6_EEEESI_S6_NSB_4plusIvEENSB_8equal_toIvEES6_EE10hipError_tPvRmT2_T3_T4_T5_mT6_T7_P12ihipStream_tbENKUlT_T0_E_clISt17integral_constantIbLb0EES12_IbLb1EEEEDaSY_SZ_EUlSY_E_NS1_11comp_targetILNS1_3genE2ELNS1_11target_archE906ELNS1_3gpuE6ELNS1_3repE0EEENS1_30default_config_static_selectorELNS0_4arch9wavefront6targetE0EEEvT1_,"axG",@progbits,_ZN7rocprim17ROCPRIM_400000_NS6detail17trampoline_kernelINS0_14default_configENS1_27scan_by_key_config_selectorIj11FixedVectorIiLj1EEEEZZNS1_16scan_by_key_implILNS1_25lookback_scan_determinismE0ELb1ES3_N6thrust23THRUST_200600_302600_NS6detail15normal_iteratorINSB_10device_ptrIjEEEENSD_INSE_IS6_EEEESI_S6_NSB_4plusIvEENSB_8equal_toIvEES6_EE10hipError_tPvRmT2_T3_T4_T5_mT6_T7_P12ihipStream_tbENKUlT_T0_E_clISt17integral_constantIbLb0EES12_IbLb1EEEEDaSY_SZ_EUlSY_E_NS1_11comp_targetILNS1_3genE2ELNS1_11target_archE906ELNS1_3gpuE6ELNS1_3repE0EEENS1_30default_config_static_selectorELNS0_4arch9wavefront6targetE0EEEvT1_,comdat
.Lfunc_end1943:
	.size	_ZN7rocprim17ROCPRIM_400000_NS6detail17trampoline_kernelINS0_14default_configENS1_27scan_by_key_config_selectorIj11FixedVectorIiLj1EEEEZZNS1_16scan_by_key_implILNS1_25lookback_scan_determinismE0ELb1ES3_N6thrust23THRUST_200600_302600_NS6detail15normal_iteratorINSB_10device_ptrIjEEEENSD_INSE_IS6_EEEESI_S6_NSB_4plusIvEENSB_8equal_toIvEES6_EE10hipError_tPvRmT2_T3_T4_T5_mT6_T7_P12ihipStream_tbENKUlT_T0_E_clISt17integral_constantIbLb0EES12_IbLb1EEEEDaSY_SZ_EUlSY_E_NS1_11comp_targetILNS1_3genE2ELNS1_11target_archE906ELNS1_3gpuE6ELNS1_3repE0EEENS1_30default_config_static_selectorELNS0_4arch9wavefront6targetE0EEEvT1_, .Lfunc_end1943-_ZN7rocprim17ROCPRIM_400000_NS6detail17trampoline_kernelINS0_14default_configENS1_27scan_by_key_config_selectorIj11FixedVectorIiLj1EEEEZZNS1_16scan_by_key_implILNS1_25lookback_scan_determinismE0ELb1ES3_N6thrust23THRUST_200600_302600_NS6detail15normal_iteratorINSB_10device_ptrIjEEEENSD_INSE_IS6_EEEESI_S6_NSB_4plusIvEENSB_8equal_toIvEES6_EE10hipError_tPvRmT2_T3_T4_T5_mT6_T7_P12ihipStream_tbENKUlT_T0_E_clISt17integral_constantIbLb0EES12_IbLb1EEEEDaSY_SZ_EUlSY_E_NS1_11comp_targetILNS1_3genE2ELNS1_11target_archE906ELNS1_3gpuE6ELNS1_3repE0EEENS1_30default_config_static_selectorELNS0_4arch9wavefront6targetE0EEEvT1_
                                        ; -- End function
	.set _ZN7rocprim17ROCPRIM_400000_NS6detail17trampoline_kernelINS0_14default_configENS1_27scan_by_key_config_selectorIj11FixedVectorIiLj1EEEEZZNS1_16scan_by_key_implILNS1_25lookback_scan_determinismE0ELb1ES3_N6thrust23THRUST_200600_302600_NS6detail15normal_iteratorINSB_10device_ptrIjEEEENSD_INSE_IS6_EEEESI_S6_NSB_4plusIvEENSB_8equal_toIvEES6_EE10hipError_tPvRmT2_T3_T4_T5_mT6_T7_P12ihipStream_tbENKUlT_T0_E_clISt17integral_constantIbLb0EES12_IbLb1EEEEDaSY_SZ_EUlSY_E_NS1_11comp_targetILNS1_3genE2ELNS1_11target_archE906ELNS1_3gpuE6ELNS1_3repE0EEENS1_30default_config_static_selectorELNS0_4arch9wavefront6targetE0EEEvT1_.num_vgpr, 0
	.set _ZN7rocprim17ROCPRIM_400000_NS6detail17trampoline_kernelINS0_14default_configENS1_27scan_by_key_config_selectorIj11FixedVectorIiLj1EEEEZZNS1_16scan_by_key_implILNS1_25lookback_scan_determinismE0ELb1ES3_N6thrust23THRUST_200600_302600_NS6detail15normal_iteratorINSB_10device_ptrIjEEEENSD_INSE_IS6_EEEESI_S6_NSB_4plusIvEENSB_8equal_toIvEES6_EE10hipError_tPvRmT2_T3_T4_T5_mT6_T7_P12ihipStream_tbENKUlT_T0_E_clISt17integral_constantIbLb0EES12_IbLb1EEEEDaSY_SZ_EUlSY_E_NS1_11comp_targetILNS1_3genE2ELNS1_11target_archE906ELNS1_3gpuE6ELNS1_3repE0EEENS1_30default_config_static_selectorELNS0_4arch9wavefront6targetE0EEEvT1_.num_agpr, 0
	.set _ZN7rocprim17ROCPRIM_400000_NS6detail17trampoline_kernelINS0_14default_configENS1_27scan_by_key_config_selectorIj11FixedVectorIiLj1EEEEZZNS1_16scan_by_key_implILNS1_25lookback_scan_determinismE0ELb1ES3_N6thrust23THRUST_200600_302600_NS6detail15normal_iteratorINSB_10device_ptrIjEEEENSD_INSE_IS6_EEEESI_S6_NSB_4plusIvEENSB_8equal_toIvEES6_EE10hipError_tPvRmT2_T3_T4_T5_mT6_T7_P12ihipStream_tbENKUlT_T0_E_clISt17integral_constantIbLb0EES12_IbLb1EEEEDaSY_SZ_EUlSY_E_NS1_11comp_targetILNS1_3genE2ELNS1_11target_archE906ELNS1_3gpuE6ELNS1_3repE0EEENS1_30default_config_static_selectorELNS0_4arch9wavefront6targetE0EEEvT1_.numbered_sgpr, 0
	.set _ZN7rocprim17ROCPRIM_400000_NS6detail17trampoline_kernelINS0_14default_configENS1_27scan_by_key_config_selectorIj11FixedVectorIiLj1EEEEZZNS1_16scan_by_key_implILNS1_25lookback_scan_determinismE0ELb1ES3_N6thrust23THRUST_200600_302600_NS6detail15normal_iteratorINSB_10device_ptrIjEEEENSD_INSE_IS6_EEEESI_S6_NSB_4plusIvEENSB_8equal_toIvEES6_EE10hipError_tPvRmT2_T3_T4_T5_mT6_T7_P12ihipStream_tbENKUlT_T0_E_clISt17integral_constantIbLb0EES12_IbLb1EEEEDaSY_SZ_EUlSY_E_NS1_11comp_targetILNS1_3genE2ELNS1_11target_archE906ELNS1_3gpuE6ELNS1_3repE0EEENS1_30default_config_static_selectorELNS0_4arch9wavefront6targetE0EEEvT1_.num_named_barrier, 0
	.set _ZN7rocprim17ROCPRIM_400000_NS6detail17trampoline_kernelINS0_14default_configENS1_27scan_by_key_config_selectorIj11FixedVectorIiLj1EEEEZZNS1_16scan_by_key_implILNS1_25lookback_scan_determinismE0ELb1ES3_N6thrust23THRUST_200600_302600_NS6detail15normal_iteratorINSB_10device_ptrIjEEEENSD_INSE_IS6_EEEESI_S6_NSB_4plusIvEENSB_8equal_toIvEES6_EE10hipError_tPvRmT2_T3_T4_T5_mT6_T7_P12ihipStream_tbENKUlT_T0_E_clISt17integral_constantIbLb0EES12_IbLb1EEEEDaSY_SZ_EUlSY_E_NS1_11comp_targetILNS1_3genE2ELNS1_11target_archE906ELNS1_3gpuE6ELNS1_3repE0EEENS1_30default_config_static_selectorELNS0_4arch9wavefront6targetE0EEEvT1_.private_seg_size, 0
	.set _ZN7rocprim17ROCPRIM_400000_NS6detail17trampoline_kernelINS0_14default_configENS1_27scan_by_key_config_selectorIj11FixedVectorIiLj1EEEEZZNS1_16scan_by_key_implILNS1_25lookback_scan_determinismE0ELb1ES3_N6thrust23THRUST_200600_302600_NS6detail15normal_iteratorINSB_10device_ptrIjEEEENSD_INSE_IS6_EEEESI_S6_NSB_4plusIvEENSB_8equal_toIvEES6_EE10hipError_tPvRmT2_T3_T4_T5_mT6_T7_P12ihipStream_tbENKUlT_T0_E_clISt17integral_constantIbLb0EES12_IbLb1EEEEDaSY_SZ_EUlSY_E_NS1_11comp_targetILNS1_3genE2ELNS1_11target_archE906ELNS1_3gpuE6ELNS1_3repE0EEENS1_30default_config_static_selectorELNS0_4arch9wavefront6targetE0EEEvT1_.uses_vcc, 0
	.set _ZN7rocprim17ROCPRIM_400000_NS6detail17trampoline_kernelINS0_14default_configENS1_27scan_by_key_config_selectorIj11FixedVectorIiLj1EEEEZZNS1_16scan_by_key_implILNS1_25lookback_scan_determinismE0ELb1ES3_N6thrust23THRUST_200600_302600_NS6detail15normal_iteratorINSB_10device_ptrIjEEEENSD_INSE_IS6_EEEESI_S6_NSB_4plusIvEENSB_8equal_toIvEES6_EE10hipError_tPvRmT2_T3_T4_T5_mT6_T7_P12ihipStream_tbENKUlT_T0_E_clISt17integral_constantIbLb0EES12_IbLb1EEEEDaSY_SZ_EUlSY_E_NS1_11comp_targetILNS1_3genE2ELNS1_11target_archE906ELNS1_3gpuE6ELNS1_3repE0EEENS1_30default_config_static_selectorELNS0_4arch9wavefront6targetE0EEEvT1_.uses_flat_scratch, 0
	.set _ZN7rocprim17ROCPRIM_400000_NS6detail17trampoline_kernelINS0_14default_configENS1_27scan_by_key_config_selectorIj11FixedVectorIiLj1EEEEZZNS1_16scan_by_key_implILNS1_25lookback_scan_determinismE0ELb1ES3_N6thrust23THRUST_200600_302600_NS6detail15normal_iteratorINSB_10device_ptrIjEEEENSD_INSE_IS6_EEEESI_S6_NSB_4plusIvEENSB_8equal_toIvEES6_EE10hipError_tPvRmT2_T3_T4_T5_mT6_T7_P12ihipStream_tbENKUlT_T0_E_clISt17integral_constantIbLb0EES12_IbLb1EEEEDaSY_SZ_EUlSY_E_NS1_11comp_targetILNS1_3genE2ELNS1_11target_archE906ELNS1_3gpuE6ELNS1_3repE0EEENS1_30default_config_static_selectorELNS0_4arch9wavefront6targetE0EEEvT1_.has_dyn_sized_stack, 0
	.set _ZN7rocprim17ROCPRIM_400000_NS6detail17trampoline_kernelINS0_14default_configENS1_27scan_by_key_config_selectorIj11FixedVectorIiLj1EEEEZZNS1_16scan_by_key_implILNS1_25lookback_scan_determinismE0ELb1ES3_N6thrust23THRUST_200600_302600_NS6detail15normal_iteratorINSB_10device_ptrIjEEEENSD_INSE_IS6_EEEESI_S6_NSB_4plusIvEENSB_8equal_toIvEES6_EE10hipError_tPvRmT2_T3_T4_T5_mT6_T7_P12ihipStream_tbENKUlT_T0_E_clISt17integral_constantIbLb0EES12_IbLb1EEEEDaSY_SZ_EUlSY_E_NS1_11comp_targetILNS1_3genE2ELNS1_11target_archE906ELNS1_3gpuE6ELNS1_3repE0EEENS1_30default_config_static_selectorELNS0_4arch9wavefront6targetE0EEEvT1_.has_recursion, 0
	.set _ZN7rocprim17ROCPRIM_400000_NS6detail17trampoline_kernelINS0_14default_configENS1_27scan_by_key_config_selectorIj11FixedVectorIiLj1EEEEZZNS1_16scan_by_key_implILNS1_25lookback_scan_determinismE0ELb1ES3_N6thrust23THRUST_200600_302600_NS6detail15normal_iteratorINSB_10device_ptrIjEEEENSD_INSE_IS6_EEEESI_S6_NSB_4plusIvEENSB_8equal_toIvEES6_EE10hipError_tPvRmT2_T3_T4_T5_mT6_T7_P12ihipStream_tbENKUlT_T0_E_clISt17integral_constantIbLb0EES12_IbLb1EEEEDaSY_SZ_EUlSY_E_NS1_11comp_targetILNS1_3genE2ELNS1_11target_archE906ELNS1_3gpuE6ELNS1_3repE0EEENS1_30default_config_static_selectorELNS0_4arch9wavefront6targetE0EEEvT1_.has_indirect_call, 0
	.section	.AMDGPU.csdata,"",@progbits
; Kernel info:
; codeLenInByte = 0
; TotalNumSgprs: 0
; NumVgprs: 0
; ScratchSize: 0
; MemoryBound: 0
; FloatMode: 240
; IeeeMode: 1
; LDSByteSize: 0 bytes/workgroup (compile time only)
; SGPRBlocks: 0
; VGPRBlocks: 0
; NumSGPRsForWavesPerEU: 1
; NumVGPRsForWavesPerEU: 1
; NamedBarCnt: 0
; Occupancy: 16
; WaveLimiterHint : 0
; COMPUTE_PGM_RSRC2:SCRATCH_EN: 0
; COMPUTE_PGM_RSRC2:USER_SGPR: 2
; COMPUTE_PGM_RSRC2:TRAP_HANDLER: 0
; COMPUTE_PGM_RSRC2:TGID_X_EN: 1
; COMPUTE_PGM_RSRC2:TGID_Y_EN: 0
; COMPUTE_PGM_RSRC2:TGID_Z_EN: 0
; COMPUTE_PGM_RSRC2:TIDIG_COMP_CNT: 0
	.section	.text._ZN7rocprim17ROCPRIM_400000_NS6detail17trampoline_kernelINS0_14default_configENS1_27scan_by_key_config_selectorIj11FixedVectorIiLj1EEEEZZNS1_16scan_by_key_implILNS1_25lookback_scan_determinismE0ELb1ES3_N6thrust23THRUST_200600_302600_NS6detail15normal_iteratorINSB_10device_ptrIjEEEENSD_INSE_IS6_EEEESI_S6_NSB_4plusIvEENSB_8equal_toIvEES6_EE10hipError_tPvRmT2_T3_T4_T5_mT6_T7_P12ihipStream_tbENKUlT_T0_E_clISt17integral_constantIbLb0EES12_IbLb1EEEEDaSY_SZ_EUlSY_E_NS1_11comp_targetILNS1_3genE10ELNS1_11target_archE1200ELNS1_3gpuE4ELNS1_3repE0EEENS1_30default_config_static_selectorELNS0_4arch9wavefront6targetE0EEEvT1_,"axG",@progbits,_ZN7rocprim17ROCPRIM_400000_NS6detail17trampoline_kernelINS0_14default_configENS1_27scan_by_key_config_selectorIj11FixedVectorIiLj1EEEEZZNS1_16scan_by_key_implILNS1_25lookback_scan_determinismE0ELb1ES3_N6thrust23THRUST_200600_302600_NS6detail15normal_iteratorINSB_10device_ptrIjEEEENSD_INSE_IS6_EEEESI_S6_NSB_4plusIvEENSB_8equal_toIvEES6_EE10hipError_tPvRmT2_T3_T4_T5_mT6_T7_P12ihipStream_tbENKUlT_T0_E_clISt17integral_constantIbLb0EES12_IbLb1EEEEDaSY_SZ_EUlSY_E_NS1_11comp_targetILNS1_3genE10ELNS1_11target_archE1200ELNS1_3gpuE4ELNS1_3repE0EEENS1_30default_config_static_selectorELNS0_4arch9wavefront6targetE0EEEvT1_,comdat
	.protected	_ZN7rocprim17ROCPRIM_400000_NS6detail17trampoline_kernelINS0_14default_configENS1_27scan_by_key_config_selectorIj11FixedVectorIiLj1EEEEZZNS1_16scan_by_key_implILNS1_25lookback_scan_determinismE0ELb1ES3_N6thrust23THRUST_200600_302600_NS6detail15normal_iteratorINSB_10device_ptrIjEEEENSD_INSE_IS6_EEEESI_S6_NSB_4plusIvEENSB_8equal_toIvEES6_EE10hipError_tPvRmT2_T3_T4_T5_mT6_T7_P12ihipStream_tbENKUlT_T0_E_clISt17integral_constantIbLb0EES12_IbLb1EEEEDaSY_SZ_EUlSY_E_NS1_11comp_targetILNS1_3genE10ELNS1_11target_archE1200ELNS1_3gpuE4ELNS1_3repE0EEENS1_30default_config_static_selectorELNS0_4arch9wavefront6targetE0EEEvT1_ ; -- Begin function _ZN7rocprim17ROCPRIM_400000_NS6detail17trampoline_kernelINS0_14default_configENS1_27scan_by_key_config_selectorIj11FixedVectorIiLj1EEEEZZNS1_16scan_by_key_implILNS1_25lookback_scan_determinismE0ELb1ES3_N6thrust23THRUST_200600_302600_NS6detail15normal_iteratorINSB_10device_ptrIjEEEENSD_INSE_IS6_EEEESI_S6_NSB_4plusIvEENSB_8equal_toIvEES6_EE10hipError_tPvRmT2_T3_T4_T5_mT6_T7_P12ihipStream_tbENKUlT_T0_E_clISt17integral_constantIbLb0EES12_IbLb1EEEEDaSY_SZ_EUlSY_E_NS1_11comp_targetILNS1_3genE10ELNS1_11target_archE1200ELNS1_3gpuE4ELNS1_3repE0EEENS1_30default_config_static_selectorELNS0_4arch9wavefront6targetE0EEEvT1_
	.globl	_ZN7rocprim17ROCPRIM_400000_NS6detail17trampoline_kernelINS0_14default_configENS1_27scan_by_key_config_selectorIj11FixedVectorIiLj1EEEEZZNS1_16scan_by_key_implILNS1_25lookback_scan_determinismE0ELb1ES3_N6thrust23THRUST_200600_302600_NS6detail15normal_iteratorINSB_10device_ptrIjEEEENSD_INSE_IS6_EEEESI_S6_NSB_4plusIvEENSB_8equal_toIvEES6_EE10hipError_tPvRmT2_T3_T4_T5_mT6_T7_P12ihipStream_tbENKUlT_T0_E_clISt17integral_constantIbLb0EES12_IbLb1EEEEDaSY_SZ_EUlSY_E_NS1_11comp_targetILNS1_3genE10ELNS1_11target_archE1200ELNS1_3gpuE4ELNS1_3repE0EEENS1_30default_config_static_selectorELNS0_4arch9wavefront6targetE0EEEvT1_
	.p2align	8
	.type	_ZN7rocprim17ROCPRIM_400000_NS6detail17trampoline_kernelINS0_14default_configENS1_27scan_by_key_config_selectorIj11FixedVectorIiLj1EEEEZZNS1_16scan_by_key_implILNS1_25lookback_scan_determinismE0ELb1ES3_N6thrust23THRUST_200600_302600_NS6detail15normal_iteratorINSB_10device_ptrIjEEEENSD_INSE_IS6_EEEESI_S6_NSB_4plusIvEENSB_8equal_toIvEES6_EE10hipError_tPvRmT2_T3_T4_T5_mT6_T7_P12ihipStream_tbENKUlT_T0_E_clISt17integral_constantIbLb0EES12_IbLb1EEEEDaSY_SZ_EUlSY_E_NS1_11comp_targetILNS1_3genE10ELNS1_11target_archE1200ELNS1_3gpuE4ELNS1_3repE0EEENS1_30default_config_static_selectorELNS0_4arch9wavefront6targetE0EEEvT1_,@function
_ZN7rocprim17ROCPRIM_400000_NS6detail17trampoline_kernelINS0_14default_configENS1_27scan_by_key_config_selectorIj11FixedVectorIiLj1EEEEZZNS1_16scan_by_key_implILNS1_25lookback_scan_determinismE0ELb1ES3_N6thrust23THRUST_200600_302600_NS6detail15normal_iteratorINSB_10device_ptrIjEEEENSD_INSE_IS6_EEEESI_S6_NSB_4plusIvEENSB_8equal_toIvEES6_EE10hipError_tPvRmT2_T3_T4_T5_mT6_T7_P12ihipStream_tbENKUlT_T0_E_clISt17integral_constantIbLb0EES12_IbLb1EEEEDaSY_SZ_EUlSY_E_NS1_11comp_targetILNS1_3genE10ELNS1_11target_archE1200ELNS1_3gpuE4ELNS1_3repE0EEENS1_30default_config_static_selectorELNS0_4arch9wavefront6targetE0EEEvT1_: ; @_ZN7rocprim17ROCPRIM_400000_NS6detail17trampoline_kernelINS0_14default_configENS1_27scan_by_key_config_selectorIj11FixedVectorIiLj1EEEEZZNS1_16scan_by_key_implILNS1_25lookback_scan_determinismE0ELb1ES3_N6thrust23THRUST_200600_302600_NS6detail15normal_iteratorINSB_10device_ptrIjEEEENSD_INSE_IS6_EEEESI_S6_NSB_4plusIvEENSB_8equal_toIvEES6_EE10hipError_tPvRmT2_T3_T4_T5_mT6_T7_P12ihipStream_tbENKUlT_T0_E_clISt17integral_constantIbLb0EES12_IbLb1EEEEDaSY_SZ_EUlSY_E_NS1_11comp_targetILNS1_3genE10ELNS1_11target_archE1200ELNS1_3gpuE4ELNS1_3repE0EEENS1_30default_config_static_selectorELNS0_4arch9wavefront6targetE0EEEvT1_
; %bb.0:
	.section	.rodata,"a",@progbits
	.p2align	6, 0x0
	.amdhsa_kernel _ZN7rocprim17ROCPRIM_400000_NS6detail17trampoline_kernelINS0_14default_configENS1_27scan_by_key_config_selectorIj11FixedVectorIiLj1EEEEZZNS1_16scan_by_key_implILNS1_25lookback_scan_determinismE0ELb1ES3_N6thrust23THRUST_200600_302600_NS6detail15normal_iteratorINSB_10device_ptrIjEEEENSD_INSE_IS6_EEEESI_S6_NSB_4plusIvEENSB_8equal_toIvEES6_EE10hipError_tPvRmT2_T3_T4_T5_mT6_T7_P12ihipStream_tbENKUlT_T0_E_clISt17integral_constantIbLb0EES12_IbLb1EEEEDaSY_SZ_EUlSY_E_NS1_11comp_targetILNS1_3genE10ELNS1_11target_archE1200ELNS1_3gpuE4ELNS1_3repE0EEENS1_30default_config_static_selectorELNS0_4arch9wavefront6targetE0EEEvT1_
		.amdhsa_group_segment_fixed_size 0
		.amdhsa_private_segment_fixed_size 0
		.amdhsa_kernarg_size 112
		.amdhsa_user_sgpr_count 2
		.amdhsa_user_sgpr_dispatch_ptr 0
		.amdhsa_user_sgpr_queue_ptr 0
		.amdhsa_user_sgpr_kernarg_segment_ptr 1
		.amdhsa_user_sgpr_dispatch_id 0
		.amdhsa_user_sgpr_kernarg_preload_length 0
		.amdhsa_user_sgpr_kernarg_preload_offset 0
		.amdhsa_user_sgpr_private_segment_size 0
		.amdhsa_wavefront_size32 1
		.amdhsa_uses_dynamic_stack 0
		.amdhsa_enable_private_segment 0
		.amdhsa_system_sgpr_workgroup_id_x 1
		.amdhsa_system_sgpr_workgroup_id_y 0
		.amdhsa_system_sgpr_workgroup_id_z 0
		.amdhsa_system_sgpr_workgroup_info 0
		.amdhsa_system_vgpr_workitem_id 0
		.amdhsa_next_free_vgpr 1
		.amdhsa_next_free_sgpr 1
		.amdhsa_named_barrier_count 0
		.amdhsa_reserve_vcc 0
		.amdhsa_float_round_mode_32 0
		.amdhsa_float_round_mode_16_64 0
		.amdhsa_float_denorm_mode_32 3
		.amdhsa_float_denorm_mode_16_64 3
		.amdhsa_fp16_overflow 0
		.amdhsa_memory_ordered 1
		.amdhsa_forward_progress 1
		.amdhsa_inst_pref_size 0
		.amdhsa_round_robin_scheduling 0
		.amdhsa_exception_fp_ieee_invalid_op 0
		.amdhsa_exception_fp_denorm_src 0
		.amdhsa_exception_fp_ieee_div_zero 0
		.amdhsa_exception_fp_ieee_overflow 0
		.amdhsa_exception_fp_ieee_underflow 0
		.amdhsa_exception_fp_ieee_inexact 0
		.amdhsa_exception_int_div_zero 0
	.end_amdhsa_kernel
	.section	.text._ZN7rocprim17ROCPRIM_400000_NS6detail17trampoline_kernelINS0_14default_configENS1_27scan_by_key_config_selectorIj11FixedVectorIiLj1EEEEZZNS1_16scan_by_key_implILNS1_25lookback_scan_determinismE0ELb1ES3_N6thrust23THRUST_200600_302600_NS6detail15normal_iteratorINSB_10device_ptrIjEEEENSD_INSE_IS6_EEEESI_S6_NSB_4plusIvEENSB_8equal_toIvEES6_EE10hipError_tPvRmT2_T3_T4_T5_mT6_T7_P12ihipStream_tbENKUlT_T0_E_clISt17integral_constantIbLb0EES12_IbLb1EEEEDaSY_SZ_EUlSY_E_NS1_11comp_targetILNS1_3genE10ELNS1_11target_archE1200ELNS1_3gpuE4ELNS1_3repE0EEENS1_30default_config_static_selectorELNS0_4arch9wavefront6targetE0EEEvT1_,"axG",@progbits,_ZN7rocprim17ROCPRIM_400000_NS6detail17trampoline_kernelINS0_14default_configENS1_27scan_by_key_config_selectorIj11FixedVectorIiLj1EEEEZZNS1_16scan_by_key_implILNS1_25lookback_scan_determinismE0ELb1ES3_N6thrust23THRUST_200600_302600_NS6detail15normal_iteratorINSB_10device_ptrIjEEEENSD_INSE_IS6_EEEESI_S6_NSB_4plusIvEENSB_8equal_toIvEES6_EE10hipError_tPvRmT2_T3_T4_T5_mT6_T7_P12ihipStream_tbENKUlT_T0_E_clISt17integral_constantIbLb0EES12_IbLb1EEEEDaSY_SZ_EUlSY_E_NS1_11comp_targetILNS1_3genE10ELNS1_11target_archE1200ELNS1_3gpuE4ELNS1_3repE0EEENS1_30default_config_static_selectorELNS0_4arch9wavefront6targetE0EEEvT1_,comdat
.Lfunc_end1944:
	.size	_ZN7rocprim17ROCPRIM_400000_NS6detail17trampoline_kernelINS0_14default_configENS1_27scan_by_key_config_selectorIj11FixedVectorIiLj1EEEEZZNS1_16scan_by_key_implILNS1_25lookback_scan_determinismE0ELb1ES3_N6thrust23THRUST_200600_302600_NS6detail15normal_iteratorINSB_10device_ptrIjEEEENSD_INSE_IS6_EEEESI_S6_NSB_4plusIvEENSB_8equal_toIvEES6_EE10hipError_tPvRmT2_T3_T4_T5_mT6_T7_P12ihipStream_tbENKUlT_T0_E_clISt17integral_constantIbLb0EES12_IbLb1EEEEDaSY_SZ_EUlSY_E_NS1_11comp_targetILNS1_3genE10ELNS1_11target_archE1200ELNS1_3gpuE4ELNS1_3repE0EEENS1_30default_config_static_selectorELNS0_4arch9wavefront6targetE0EEEvT1_, .Lfunc_end1944-_ZN7rocprim17ROCPRIM_400000_NS6detail17trampoline_kernelINS0_14default_configENS1_27scan_by_key_config_selectorIj11FixedVectorIiLj1EEEEZZNS1_16scan_by_key_implILNS1_25lookback_scan_determinismE0ELb1ES3_N6thrust23THRUST_200600_302600_NS6detail15normal_iteratorINSB_10device_ptrIjEEEENSD_INSE_IS6_EEEESI_S6_NSB_4plusIvEENSB_8equal_toIvEES6_EE10hipError_tPvRmT2_T3_T4_T5_mT6_T7_P12ihipStream_tbENKUlT_T0_E_clISt17integral_constantIbLb0EES12_IbLb1EEEEDaSY_SZ_EUlSY_E_NS1_11comp_targetILNS1_3genE10ELNS1_11target_archE1200ELNS1_3gpuE4ELNS1_3repE0EEENS1_30default_config_static_selectorELNS0_4arch9wavefront6targetE0EEEvT1_
                                        ; -- End function
	.set _ZN7rocprim17ROCPRIM_400000_NS6detail17trampoline_kernelINS0_14default_configENS1_27scan_by_key_config_selectorIj11FixedVectorIiLj1EEEEZZNS1_16scan_by_key_implILNS1_25lookback_scan_determinismE0ELb1ES3_N6thrust23THRUST_200600_302600_NS6detail15normal_iteratorINSB_10device_ptrIjEEEENSD_INSE_IS6_EEEESI_S6_NSB_4plusIvEENSB_8equal_toIvEES6_EE10hipError_tPvRmT2_T3_T4_T5_mT6_T7_P12ihipStream_tbENKUlT_T0_E_clISt17integral_constantIbLb0EES12_IbLb1EEEEDaSY_SZ_EUlSY_E_NS1_11comp_targetILNS1_3genE10ELNS1_11target_archE1200ELNS1_3gpuE4ELNS1_3repE0EEENS1_30default_config_static_selectorELNS0_4arch9wavefront6targetE0EEEvT1_.num_vgpr, 0
	.set _ZN7rocprim17ROCPRIM_400000_NS6detail17trampoline_kernelINS0_14default_configENS1_27scan_by_key_config_selectorIj11FixedVectorIiLj1EEEEZZNS1_16scan_by_key_implILNS1_25lookback_scan_determinismE0ELb1ES3_N6thrust23THRUST_200600_302600_NS6detail15normal_iteratorINSB_10device_ptrIjEEEENSD_INSE_IS6_EEEESI_S6_NSB_4plusIvEENSB_8equal_toIvEES6_EE10hipError_tPvRmT2_T3_T4_T5_mT6_T7_P12ihipStream_tbENKUlT_T0_E_clISt17integral_constantIbLb0EES12_IbLb1EEEEDaSY_SZ_EUlSY_E_NS1_11comp_targetILNS1_3genE10ELNS1_11target_archE1200ELNS1_3gpuE4ELNS1_3repE0EEENS1_30default_config_static_selectorELNS0_4arch9wavefront6targetE0EEEvT1_.num_agpr, 0
	.set _ZN7rocprim17ROCPRIM_400000_NS6detail17trampoline_kernelINS0_14default_configENS1_27scan_by_key_config_selectorIj11FixedVectorIiLj1EEEEZZNS1_16scan_by_key_implILNS1_25lookback_scan_determinismE0ELb1ES3_N6thrust23THRUST_200600_302600_NS6detail15normal_iteratorINSB_10device_ptrIjEEEENSD_INSE_IS6_EEEESI_S6_NSB_4plusIvEENSB_8equal_toIvEES6_EE10hipError_tPvRmT2_T3_T4_T5_mT6_T7_P12ihipStream_tbENKUlT_T0_E_clISt17integral_constantIbLb0EES12_IbLb1EEEEDaSY_SZ_EUlSY_E_NS1_11comp_targetILNS1_3genE10ELNS1_11target_archE1200ELNS1_3gpuE4ELNS1_3repE0EEENS1_30default_config_static_selectorELNS0_4arch9wavefront6targetE0EEEvT1_.numbered_sgpr, 0
	.set _ZN7rocprim17ROCPRIM_400000_NS6detail17trampoline_kernelINS0_14default_configENS1_27scan_by_key_config_selectorIj11FixedVectorIiLj1EEEEZZNS1_16scan_by_key_implILNS1_25lookback_scan_determinismE0ELb1ES3_N6thrust23THRUST_200600_302600_NS6detail15normal_iteratorINSB_10device_ptrIjEEEENSD_INSE_IS6_EEEESI_S6_NSB_4plusIvEENSB_8equal_toIvEES6_EE10hipError_tPvRmT2_T3_T4_T5_mT6_T7_P12ihipStream_tbENKUlT_T0_E_clISt17integral_constantIbLb0EES12_IbLb1EEEEDaSY_SZ_EUlSY_E_NS1_11comp_targetILNS1_3genE10ELNS1_11target_archE1200ELNS1_3gpuE4ELNS1_3repE0EEENS1_30default_config_static_selectorELNS0_4arch9wavefront6targetE0EEEvT1_.num_named_barrier, 0
	.set _ZN7rocprim17ROCPRIM_400000_NS6detail17trampoline_kernelINS0_14default_configENS1_27scan_by_key_config_selectorIj11FixedVectorIiLj1EEEEZZNS1_16scan_by_key_implILNS1_25lookback_scan_determinismE0ELb1ES3_N6thrust23THRUST_200600_302600_NS6detail15normal_iteratorINSB_10device_ptrIjEEEENSD_INSE_IS6_EEEESI_S6_NSB_4plusIvEENSB_8equal_toIvEES6_EE10hipError_tPvRmT2_T3_T4_T5_mT6_T7_P12ihipStream_tbENKUlT_T0_E_clISt17integral_constantIbLb0EES12_IbLb1EEEEDaSY_SZ_EUlSY_E_NS1_11comp_targetILNS1_3genE10ELNS1_11target_archE1200ELNS1_3gpuE4ELNS1_3repE0EEENS1_30default_config_static_selectorELNS0_4arch9wavefront6targetE0EEEvT1_.private_seg_size, 0
	.set _ZN7rocprim17ROCPRIM_400000_NS6detail17trampoline_kernelINS0_14default_configENS1_27scan_by_key_config_selectorIj11FixedVectorIiLj1EEEEZZNS1_16scan_by_key_implILNS1_25lookback_scan_determinismE0ELb1ES3_N6thrust23THRUST_200600_302600_NS6detail15normal_iteratorINSB_10device_ptrIjEEEENSD_INSE_IS6_EEEESI_S6_NSB_4plusIvEENSB_8equal_toIvEES6_EE10hipError_tPvRmT2_T3_T4_T5_mT6_T7_P12ihipStream_tbENKUlT_T0_E_clISt17integral_constantIbLb0EES12_IbLb1EEEEDaSY_SZ_EUlSY_E_NS1_11comp_targetILNS1_3genE10ELNS1_11target_archE1200ELNS1_3gpuE4ELNS1_3repE0EEENS1_30default_config_static_selectorELNS0_4arch9wavefront6targetE0EEEvT1_.uses_vcc, 0
	.set _ZN7rocprim17ROCPRIM_400000_NS6detail17trampoline_kernelINS0_14default_configENS1_27scan_by_key_config_selectorIj11FixedVectorIiLj1EEEEZZNS1_16scan_by_key_implILNS1_25lookback_scan_determinismE0ELb1ES3_N6thrust23THRUST_200600_302600_NS6detail15normal_iteratorINSB_10device_ptrIjEEEENSD_INSE_IS6_EEEESI_S6_NSB_4plusIvEENSB_8equal_toIvEES6_EE10hipError_tPvRmT2_T3_T4_T5_mT6_T7_P12ihipStream_tbENKUlT_T0_E_clISt17integral_constantIbLb0EES12_IbLb1EEEEDaSY_SZ_EUlSY_E_NS1_11comp_targetILNS1_3genE10ELNS1_11target_archE1200ELNS1_3gpuE4ELNS1_3repE0EEENS1_30default_config_static_selectorELNS0_4arch9wavefront6targetE0EEEvT1_.uses_flat_scratch, 0
	.set _ZN7rocprim17ROCPRIM_400000_NS6detail17trampoline_kernelINS0_14default_configENS1_27scan_by_key_config_selectorIj11FixedVectorIiLj1EEEEZZNS1_16scan_by_key_implILNS1_25lookback_scan_determinismE0ELb1ES3_N6thrust23THRUST_200600_302600_NS6detail15normal_iteratorINSB_10device_ptrIjEEEENSD_INSE_IS6_EEEESI_S6_NSB_4plusIvEENSB_8equal_toIvEES6_EE10hipError_tPvRmT2_T3_T4_T5_mT6_T7_P12ihipStream_tbENKUlT_T0_E_clISt17integral_constantIbLb0EES12_IbLb1EEEEDaSY_SZ_EUlSY_E_NS1_11comp_targetILNS1_3genE10ELNS1_11target_archE1200ELNS1_3gpuE4ELNS1_3repE0EEENS1_30default_config_static_selectorELNS0_4arch9wavefront6targetE0EEEvT1_.has_dyn_sized_stack, 0
	.set _ZN7rocprim17ROCPRIM_400000_NS6detail17trampoline_kernelINS0_14default_configENS1_27scan_by_key_config_selectorIj11FixedVectorIiLj1EEEEZZNS1_16scan_by_key_implILNS1_25lookback_scan_determinismE0ELb1ES3_N6thrust23THRUST_200600_302600_NS6detail15normal_iteratorINSB_10device_ptrIjEEEENSD_INSE_IS6_EEEESI_S6_NSB_4plusIvEENSB_8equal_toIvEES6_EE10hipError_tPvRmT2_T3_T4_T5_mT6_T7_P12ihipStream_tbENKUlT_T0_E_clISt17integral_constantIbLb0EES12_IbLb1EEEEDaSY_SZ_EUlSY_E_NS1_11comp_targetILNS1_3genE10ELNS1_11target_archE1200ELNS1_3gpuE4ELNS1_3repE0EEENS1_30default_config_static_selectorELNS0_4arch9wavefront6targetE0EEEvT1_.has_recursion, 0
	.set _ZN7rocprim17ROCPRIM_400000_NS6detail17trampoline_kernelINS0_14default_configENS1_27scan_by_key_config_selectorIj11FixedVectorIiLj1EEEEZZNS1_16scan_by_key_implILNS1_25lookback_scan_determinismE0ELb1ES3_N6thrust23THRUST_200600_302600_NS6detail15normal_iteratorINSB_10device_ptrIjEEEENSD_INSE_IS6_EEEESI_S6_NSB_4plusIvEENSB_8equal_toIvEES6_EE10hipError_tPvRmT2_T3_T4_T5_mT6_T7_P12ihipStream_tbENKUlT_T0_E_clISt17integral_constantIbLb0EES12_IbLb1EEEEDaSY_SZ_EUlSY_E_NS1_11comp_targetILNS1_3genE10ELNS1_11target_archE1200ELNS1_3gpuE4ELNS1_3repE0EEENS1_30default_config_static_selectorELNS0_4arch9wavefront6targetE0EEEvT1_.has_indirect_call, 0
	.section	.AMDGPU.csdata,"",@progbits
; Kernel info:
; codeLenInByte = 0
; TotalNumSgprs: 0
; NumVgprs: 0
; ScratchSize: 0
; MemoryBound: 0
; FloatMode: 240
; IeeeMode: 1
; LDSByteSize: 0 bytes/workgroup (compile time only)
; SGPRBlocks: 0
; VGPRBlocks: 0
; NumSGPRsForWavesPerEU: 1
; NumVGPRsForWavesPerEU: 1
; NamedBarCnt: 0
; Occupancy: 16
; WaveLimiterHint : 0
; COMPUTE_PGM_RSRC2:SCRATCH_EN: 0
; COMPUTE_PGM_RSRC2:USER_SGPR: 2
; COMPUTE_PGM_RSRC2:TRAP_HANDLER: 0
; COMPUTE_PGM_RSRC2:TGID_X_EN: 1
; COMPUTE_PGM_RSRC2:TGID_Y_EN: 0
; COMPUTE_PGM_RSRC2:TGID_Z_EN: 0
; COMPUTE_PGM_RSRC2:TIDIG_COMP_CNT: 0
	.section	.text._ZN7rocprim17ROCPRIM_400000_NS6detail17trampoline_kernelINS0_14default_configENS1_27scan_by_key_config_selectorIj11FixedVectorIiLj1EEEEZZNS1_16scan_by_key_implILNS1_25lookback_scan_determinismE0ELb1ES3_N6thrust23THRUST_200600_302600_NS6detail15normal_iteratorINSB_10device_ptrIjEEEENSD_INSE_IS6_EEEESI_S6_NSB_4plusIvEENSB_8equal_toIvEES6_EE10hipError_tPvRmT2_T3_T4_T5_mT6_T7_P12ihipStream_tbENKUlT_T0_E_clISt17integral_constantIbLb0EES12_IbLb1EEEEDaSY_SZ_EUlSY_E_NS1_11comp_targetILNS1_3genE9ELNS1_11target_archE1100ELNS1_3gpuE3ELNS1_3repE0EEENS1_30default_config_static_selectorELNS0_4arch9wavefront6targetE0EEEvT1_,"axG",@progbits,_ZN7rocprim17ROCPRIM_400000_NS6detail17trampoline_kernelINS0_14default_configENS1_27scan_by_key_config_selectorIj11FixedVectorIiLj1EEEEZZNS1_16scan_by_key_implILNS1_25lookback_scan_determinismE0ELb1ES3_N6thrust23THRUST_200600_302600_NS6detail15normal_iteratorINSB_10device_ptrIjEEEENSD_INSE_IS6_EEEESI_S6_NSB_4plusIvEENSB_8equal_toIvEES6_EE10hipError_tPvRmT2_T3_T4_T5_mT6_T7_P12ihipStream_tbENKUlT_T0_E_clISt17integral_constantIbLb0EES12_IbLb1EEEEDaSY_SZ_EUlSY_E_NS1_11comp_targetILNS1_3genE9ELNS1_11target_archE1100ELNS1_3gpuE3ELNS1_3repE0EEENS1_30default_config_static_selectorELNS0_4arch9wavefront6targetE0EEEvT1_,comdat
	.protected	_ZN7rocprim17ROCPRIM_400000_NS6detail17trampoline_kernelINS0_14default_configENS1_27scan_by_key_config_selectorIj11FixedVectorIiLj1EEEEZZNS1_16scan_by_key_implILNS1_25lookback_scan_determinismE0ELb1ES3_N6thrust23THRUST_200600_302600_NS6detail15normal_iteratorINSB_10device_ptrIjEEEENSD_INSE_IS6_EEEESI_S6_NSB_4plusIvEENSB_8equal_toIvEES6_EE10hipError_tPvRmT2_T3_T4_T5_mT6_T7_P12ihipStream_tbENKUlT_T0_E_clISt17integral_constantIbLb0EES12_IbLb1EEEEDaSY_SZ_EUlSY_E_NS1_11comp_targetILNS1_3genE9ELNS1_11target_archE1100ELNS1_3gpuE3ELNS1_3repE0EEENS1_30default_config_static_selectorELNS0_4arch9wavefront6targetE0EEEvT1_ ; -- Begin function _ZN7rocprim17ROCPRIM_400000_NS6detail17trampoline_kernelINS0_14default_configENS1_27scan_by_key_config_selectorIj11FixedVectorIiLj1EEEEZZNS1_16scan_by_key_implILNS1_25lookback_scan_determinismE0ELb1ES3_N6thrust23THRUST_200600_302600_NS6detail15normal_iteratorINSB_10device_ptrIjEEEENSD_INSE_IS6_EEEESI_S6_NSB_4plusIvEENSB_8equal_toIvEES6_EE10hipError_tPvRmT2_T3_T4_T5_mT6_T7_P12ihipStream_tbENKUlT_T0_E_clISt17integral_constantIbLb0EES12_IbLb1EEEEDaSY_SZ_EUlSY_E_NS1_11comp_targetILNS1_3genE9ELNS1_11target_archE1100ELNS1_3gpuE3ELNS1_3repE0EEENS1_30default_config_static_selectorELNS0_4arch9wavefront6targetE0EEEvT1_
	.globl	_ZN7rocprim17ROCPRIM_400000_NS6detail17trampoline_kernelINS0_14default_configENS1_27scan_by_key_config_selectorIj11FixedVectorIiLj1EEEEZZNS1_16scan_by_key_implILNS1_25lookback_scan_determinismE0ELb1ES3_N6thrust23THRUST_200600_302600_NS6detail15normal_iteratorINSB_10device_ptrIjEEEENSD_INSE_IS6_EEEESI_S6_NSB_4plusIvEENSB_8equal_toIvEES6_EE10hipError_tPvRmT2_T3_T4_T5_mT6_T7_P12ihipStream_tbENKUlT_T0_E_clISt17integral_constantIbLb0EES12_IbLb1EEEEDaSY_SZ_EUlSY_E_NS1_11comp_targetILNS1_3genE9ELNS1_11target_archE1100ELNS1_3gpuE3ELNS1_3repE0EEENS1_30default_config_static_selectorELNS0_4arch9wavefront6targetE0EEEvT1_
	.p2align	8
	.type	_ZN7rocprim17ROCPRIM_400000_NS6detail17trampoline_kernelINS0_14default_configENS1_27scan_by_key_config_selectorIj11FixedVectorIiLj1EEEEZZNS1_16scan_by_key_implILNS1_25lookback_scan_determinismE0ELb1ES3_N6thrust23THRUST_200600_302600_NS6detail15normal_iteratorINSB_10device_ptrIjEEEENSD_INSE_IS6_EEEESI_S6_NSB_4plusIvEENSB_8equal_toIvEES6_EE10hipError_tPvRmT2_T3_T4_T5_mT6_T7_P12ihipStream_tbENKUlT_T0_E_clISt17integral_constantIbLb0EES12_IbLb1EEEEDaSY_SZ_EUlSY_E_NS1_11comp_targetILNS1_3genE9ELNS1_11target_archE1100ELNS1_3gpuE3ELNS1_3repE0EEENS1_30default_config_static_selectorELNS0_4arch9wavefront6targetE0EEEvT1_,@function
_ZN7rocprim17ROCPRIM_400000_NS6detail17trampoline_kernelINS0_14default_configENS1_27scan_by_key_config_selectorIj11FixedVectorIiLj1EEEEZZNS1_16scan_by_key_implILNS1_25lookback_scan_determinismE0ELb1ES3_N6thrust23THRUST_200600_302600_NS6detail15normal_iteratorINSB_10device_ptrIjEEEENSD_INSE_IS6_EEEESI_S6_NSB_4plusIvEENSB_8equal_toIvEES6_EE10hipError_tPvRmT2_T3_T4_T5_mT6_T7_P12ihipStream_tbENKUlT_T0_E_clISt17integral_constantIbLb0EES12_IbLb1EEEEDaSY_SZ_EUlSY_E_NS1_11comp_targetILNS1_3genE9ELNS1_11target_archE1100ELNS1_3gpuE3ELNS1_3repE0EEENS1_30default_config_static_selectorELNS0_4arch9wavefront6targetE0EEEvT1_: ; @_ZN7rocprim17ROCPRIM_400000_NS6detail17trampoline_kernelINS0_14default_configENS1_27scan_by_key_config_selectorIj11FixedVectorIiLj1EEEEZZNS1_16scan_by_key_implILNS1_25lookback_scan_determinismE0ELb1ES3_N6thrust23THRUST_200600_302600_NS6detail15normal_iteratorINSB_10device_ptrIjEEEENSD_INSE_IS6_EEEESI_S6_NSB_4plusIvEENSB_8equal_toIvEES6_EE10hipError_tPvRmT2_T3_T4_T5_mT6_T7_P12ihipStream_tbENKUlT_T0_E_clISt17integral_constantIbLb0EES12_IbLb1EEEEDaSY_SZ_EUlSY_E_NS1_11comp_targetILNS1_3genE9ELNS1_11target_archE1100ELNS1_3gpuE3ELNS1_3repE0EEENS1_30default_config_static_selectorELNS0_4arch9wavefront6targetE0EEEvT1_
; %bb.0:
	.section	.rodata,"a",@progbits
	.p2align	6, 0x0
	.amdhsa_kernel _ZN7rocprim17ROCPRIM_400000_NS6detail17trampoline_kernelINS0_14default_configENS1_27scan_by_key_config_selectorIj11FixedVectorIiLj1EEEEZZNS1_16scan_by_key_implILNS1_25lookback_scan_determinismE0ELb1ES3_N6thrust23THRUST_200600_302600_NS6detail15normal_iteratorINSB_10device_ptrIjEEEENSD_INSE_IS6_EEEESI_S6_NSB_4plusIvEENSB_8equal_toIvEES6_EE10hipError_tPvRmT2_T3_T4_T5_mT6_T7_P12ihipStream_tbENKUlT_T0_E_clISt17integral_constantIbLb0EES12_IbLb1EEEEDaSY_SZ_EUlSY_E_NS1_11comp_targetILNS1_3genE9ELNS1_11target_archE1100ELNS1_3gpuE3ELNS1_3repE0EEENS1_30default_config_static_selectorELNS0_4arch9wavefront6targetE0EEEvT1_
		.amdhsa_group_segment_fixed_size 0
		.amdhsa_private_segment_fixed_size 0
		.amdhsa_kernarg_size 112
		.amdhsa_user_sgpr_count 2
		.amdhsa_user_sgpr_dispatch_ptr 0
		.amdhsa_user_sgpr_queue_ptr 0
		.amdhsa_user_sgpr_kernarg_segment_ptr 1
		.amdhsa_user_sgpr_dispatch_id 0
		.amdhsa_user_sgpr_kernarg_preload_length 0
		.amdhsa_user_sgpr_kernarg_preload_offset 0
		.amdhsa_user_sgpr_private_segment_size 0
		.amdhsa_wavefront_size32 1
		.amdhsa_uses_dynamic_stack 0
		.amdhsa_enable_private_segment 0
		.amdhsa_system_sgpr_workgroup_id_x 1
		.amdhsa_system_sgpr_workgroup_id_y 0
		.amdhsa_system_sgpr_workgroup_id_z 0
		.amdhsa_system_sgpr_workgroup_info 0
		.amdhsa_system_vgpr_workitem_id 0
		.amdhsa_next_free_vgpr 1
		.amdhsa_next_free_sgpr 1
		.amdhsa_named_barrier_count 0
		.amdhsa_reserve_vcc 0
		.amdhsa_float_round_mode_32 0
		.amdhsa_float_round_mode_16_64 0
		.amdhsa_float_denorm_mode_32 3
		.amdhsa_float_denorm_mode_16_64 3
		.amdhsa_fp16_overflow 0
		.amdhsa_memory_ordered 1
		.amdhsa_forward_progress 1
		.amdhsa_inst_pref_size 0
		.amdhsa_round_robin_scheduling 0
		.amdhsa_exception_fp_ieee_invalid_op 0
		.amdhsa_exception_fp_denorm_src 0
		.amdhsa_exception_fp_ieee_div_zero 0
		.amdhsa_exception_fp_ieee_overflow 0
		.amdhsa_exception_fp_ieee_underflow 0
		.amdhsa_exception_fp_ieee_inexact 0
		.amdhsa_exception_int_div_zero 0
	.end_amdhsa_kernel
	.section	.text._ZN7rocprim17ROCPRIM_400000_NS6detail17trampoline_kernelINS0_14default_configENS1_27scan_by_key_config_selectorIj11FixedVectorIiLj1EEEEZZNS1_16scan_by_key_implILNS1_25lookback_scan_determinismE0ELb1ES3_N6thrust23THRUST_200600_302600_NS6detail15normal_iteratorINSB_10device_ptrIjEEEENSD_INSE_IS6_EEEESI_S6_NSB_4plusIvEENSB_8equal_toIvEES6_EE10hipError_tPvRmT2_T3_T4_T5_mT6_T7_P12ihipStream_tbENKUlT_T0_E_clISt17integral_constantIbLb0EES12_IbLb1EEEEDaSY_SZ_EUlSY_E_NS1_11comp_targetILNS1_3genE9ELNS1_11target_archE1100ELNS1_3gpuE3ELNS1_3repE0EEENS1_30default_config_static_selectorELNS0_4arch9wavefront6targetE0EEEvT1_,"axG",@progbits,_ZN7rocprim17ROCPRIM_400000_NS6detail17trampoline_kernelINS0_14default_configENS1_27scan_by_key_config_selectorIj11FixedVectorIiLj1EEEEZZNS1_16scan_by_key_implILNS1_25lookback_scan_determinismE0ELb1ES3_N6thrust23THRUST_200600_302600_NS6detail15normal_iteratorINSB_10device_ptrIjEEEENSD_INSE_IS6_EEEESI_S6_NSB_4plusIvEENSB_8equal_toIvEES6_EE10hipError_tPvRmT2_T3_T4_T5_mT6_T7_P12ihipStream_tbENKUlT_T0_E_clISt17integral_constantIbLb0EES12_IbLb1EEEEDaSY_SZ_EUlSY_E_NS1_11comp_targetILNS1_3genE9ELNS1_11target_archE1100ELNS1_3gpuE3ELNS1_3repE0EEENS1_30default_config_static_selectorELNS0_4arch9wavefront6targetE0EEEvT1_,comdat
.Lfunc_end1945:
	.size	_ZN7rocprim17ROCPRIM_400000_NS6detail17trampoline_kernelINS0_14default_configENS1_27scan_by_key_config_selectorIj11FixedVectorIiLj1EEEEZZNS1_16scan_by_key_implILNS1_25lookback_scan_determinismE0ELb1ES3_N6thrust23THRUST_200600_302600_NS6detail15normal_iteratorINSB_10device_ptrIjEEEENSD_INSE_IS6_EEEESI_S6_NSB_4plusIvEENSB_8equal_toIvEES6_EE10hipError_tPvRmT2_T3_T4_T5_mT6_T7_P12ihipStream_tbENKUlT_T0_E_clISt17integral_constantIbLb0EES12_IbLb1EEEEDaSY_SZ_EUlSY_E_NS1_11comp_targetILNS1_3genE9ELNS1_11target_archE1100ELNS1_3gpuE3ELNS1_3repE0EEENS1_30default_config_static_selectorELNS0_4arch9wavefront6targetE0EEEvT1_, .Lfunc_end1945-_ZN7rocprim17ROCPRIM_400000_NS6detail17trampoline_kernelINS0_14default_configENS1_27scan_by_key_config_selectorIj11FixedVectorIiLj1EEEEZZNS1_16scan_by_key_implILNS1_25lookback_scan_determinismE0ELb1ES3_N6thrust23THRUST_200600_302600_NS6detail15normal_iteratorINSB_10device_ptrIjEEEENSD_INSE_IS6_EEEESI_S6_NSB_4plusIvEENSB_8equal_toIvEES6_EE10hipError_tPvRmT2_T3_T4_T5_mT6_T7_P12ihipStream_tbENKUlT_T0_E_clISt17integral_constantIbLb0EES12_IbLb1EEEEDaSY_SZ_EUlSY_E_NS1_11comp_targetILNS1_3genE9ELNS1_11target_archE1100ELNS1_3gpuE3ELNS1_3repE0EEENS1_30default_config_static_selectorELNS0_4arch9wavefront6targetE0EEEvT1_
                                        ; -- End function
	.set _ZN7rocprim17ROCPRIM_400000_NS6detail17trampoline_kernelINS0_14default_configENS1_27scan_by_key_config_selectorIj11FixedVectorIiLj1EEEEZZNS1_16scan_by_key_implILNS1_25lookback_scan_determinismE0ELb1ES3_N6thrust23THRUST_200600_302600_NS6detail15normal_iteratorINSB_10device_ptrIjEEEENSD_INSE_IS6_EEEESI_S6_NSB_4plusIvEENSB_8equal_toIvEES6_EE10hipError_tPvRmT2_T3_T4_T5_mT6_T7_P12ihipStream_tbENKUlT_T0_E_clISt17integral_constantIbLb0EES12_IbLb1EEEEDaSY_SZ_EUlSY_E_NS1_11comp_targetILNS1_3genE9ELNS1_11target_archE1100ELNS1_3gpuE3ELNS1_3repE0EEENS1_30default_config_static_selectorELNS0_4arch9wavefront6targetE0EEEvT1_.num_vgpr, 0
	.set _ZN7rocprim17ROCPRIM_400000_NS6detail17trampoline_kernelINS0_14default_configENS1_27scan_by_key_config_selectorIj11FixedVectorIiLj1EEEEZZNS1_16scan_by_key_implILNS1_25lookback_scan_determinismE0ELb1ES3_N6thrust23THRUST_200600_302600_NS6detail15normal_iteratorINSB_10device_ptrIjEEEENSD_INSE_IS6_EEEESI_S6_NSB_4plusIvEENSB_8equal_toIvEES6_EE10hipError_tPvRmT2_T3_T4_T5_mT6_T7_P12ihipStream_tbENKUlT_T0_E_clISt17integral_constantIbLb0EES12_IbLb1EEEEDaSY_SZ_EUlSY_E_NS1_11comp_targetILNS1_3genE9ELNS1_11target_archE1100ELNS1_3gpuE3ELNS1_3repE0EEENS1_30default_config_static_selectorELNS0_4arch9wavefront6targetE0EEEvT1_.num_agpr, 0
	.set _ZN7rocprim17ROCPRIM_400000_NS6detail17trampoline_kernelINS0_14default_configENS1_27scan_by_key_config_selectorIj11FixedVectorIiLj1EEEEZZNS1_16scan_by_key_implILNS1_25lookback_scan_determinismE0ELb1ES3_N6thrust23THRUST_200600_302600_NS6detail15normal_iteratorINSB_10device_ptrIjEEEENSD_INSE_IS6_EEEESI_S6_NSB_4plusIvEENSB_8equal_toIvEES6_EE10hipError_tPvRmT2_T3_T4_T5_mT6_T7_P12ihipStream_tbENKUlT_T0_E_clISt17integral_constantIbLb0EES12_IbLb1EEEEDaSY_SZ_EUlSY_E_NS1_11comp_targetILNS1_3genE9ELNS1_11target_archE1100ELNS1_3gpuE3ELNS1_3repE0EEENS1_30default_config_static_selectorELNS0_4arch9wavefront6targetE0EEEvT1_.numbered_sgpr, 0
	.set _ZN7rocprim17ROCPRIM_400000_NS6detail17trampoline_kernelINS0_14default_configENS1_27scan_by_key_config_selectorIj11FixedVectorIiLj1EEEEZZNS1_16scan_by_key_implILNS1_25lookback_scan_determinismE0ELb1ES3_N6thrust23THRUST_200600_302600_NS6detail15normal_iteratorINSB_10device_ptrIjEEEENSD_INSE_IS6_EEEESI_S6_NSB_4plusIvEENSB_8equal_toIvEES6_EE10hipError_tPvRmT2_T3_T4_T5_mT6_T7_P12ihipStream_tbENKUlT_T0_E_clISt17integral_constantIbLb0EES12_IbLb1EEEEDaSY_SZ_EUlSY_E_NS1_11comp_targetILNS1_3genE9ELNS1_11target_archE1100ELNS1_3gpuE3ELNS1_3repE0EEENS1_30default_config_static_selectorELNS0_4arch9wavefront6targetE0EEEvT1_.num_named_barrier, 0
	.set _ZN7rocprim17ROCPRIM_400000_NS6detail17trampoline_kernelINS0_14default_configENS1_27scan_by_key_config_selectorIj11FixedVectorIiLj1EEEEZZNS1_16scan_by_key_implILNS1_25lookback_scan_determinismE0ELb1ES3_N6thrust23THRUST_200600_302600_NS6detail15normal_iteratorINSB_10device_ptrIjEEEENSD_INSE_IS6_EEEESI_S6_NSB_4plusIvEENSB_8equal_toIvEES6_EE10hipError_tPvRmT2_T3_T4_T5_mT6_T7_P12ihipStream_tbENKUlT_T0_E_clISt17integral_constantIbLb0EES12_IbLb1EEEEDaSY_SZ_EUlSY_E_NS1_11comp_targetILNS1_3genE9ELNS1_11target_archE1100ELNS1_3gpuE3ELNS1_3repE0EEENS1_30default_config_static_selectorELNS0_4arch9wavefront6targetE0EEEvT1_.private_seg_size, 0
	.set _ZN7rocprim17ROCPRIM_400000_NS6detail17trampoline_kernelINS0_14default_configENS1_27scan_by_key_config_selectorIj11FixedVectorIiLj1EEEEZZNS1_16scan_by_key_implILNS1_25lookback_scan_determinismE0ELb1ES3_N6thrust23THRUST_200600_302600_NS6detail15normal_iteratorINSB_10device_ptrIjEEEENSD_INSE_IS6_EEEESI_S6_NSB_4plusIvEENSB_8equal_toIvEES6_EE10hipError_tPvRmT2_T3_T4_T5_mT6_T7_P12ihipStream_tbENKUlT_T0_E_clISt17integral_constantIbLb0EES12_IbLb1EEEEDaSY_SZ_EUlSY_E_NS1_11comp_targetILNS1_3genE9ELNS1_11target_archE1100ELNS1_3gpuE3ELNS1_3repE0EEENS1_30default_config_static_selectorELNS0_4arch9wavefront6targetE0EEEvT1_.uses_vcc, 0
	.set _ZN7rocprim17ROCPRIM_400000_NS6detail17trampoline_kernelINS0_14default_configENS1_27scan_by_key_config_selectorIj11FixedVectorIiLj1EEEEZZNS1_16scan_by_key_implILNS1_25lookback_scan_determinismE0ELb1ES3_N6thrust23THRUST_200600_302600_NS6detail15normal_iteratorINSB_10device_ptrIjEEEENSD_INSE_IS6_EEEESI_S6_NSB_4plusIvEENSB_8equal_toIvEES6_EE10hipError_tPvRmT2_T3_T4_T5_mT6_T7_P12ihipStream_tbENKUlT_T0_E_clISt17integral_constantIbLb0EES12_IbLb1EEEEDaSY_SZ_EUlSY_E_NS1_11comp_targetILNS1_3genE9ELNS1_11target_archE1100ELNS1_3gpuE3ELNS1_3repE0EEENS1_30default_config_static_selectorELNS0_4arch9wavefront6targetE0EEEvT1_.uses_flat_scratch, 0
	.set _ZN7rocprim17ROCPRIM_400000_NS6detail17trampoline_kernelINS0_14default_configENS1_27scan_by_key_config_selectorIj11FixedVectorIiLj1EEEEZZNS1_16scan_by_key_implILNS1_25lookback_scan_determinismE0ELb1ES3_N6thrust23THRUST_200600_302600_NS6detail15normal_iteratorINSB_10device_ptrIjEEEENSD_INSE_IS6_EEEESI_S6_NSB_4plusIvEENSB_8equal_toIvEES6_EE10hipError_tPvRmT2_T3_T4_T5_mT6_T7_P12ihipStream_tbENKUlT_T0_E_clISt17integral_constantIbLb0EES12_IbLb1EEEEDaSY_SZ_EUlSY_E_NS1_11comp_targetILNS1_3genE9ELNS1_11target_archE1100ELNS1_3gpuE3ELNS1_3repE0EEENS1_30default_config_static_selectorELNS0_4arch9wavefront6targetE0EEEvT1_.has_dyn_sized_stack, 0
	.set _ZN7rocprim17ROCPRIM_400000_NS6detail17trampoline_kernelINS0_14default_configENS1_27scan_by_key_config_selectorIj11FixedVectorIiLj1EEEEZZNS1_16scan_by_key_implILNS1_25lookback_scan_determinismE0ELb1ES3_N6thrust23THRUST_200600_302600_NS6detail15normal_iteratorINSB_10device_ptrIjEEEENSD_INSE_IS6_EEEESI_S6_NSB_4plusIvEENSB_8equal_toIvEES6_EE10hipError_tPvRmT2_T3_T4_T5_mT6_T7_P12ihipStream_tbENKUlT_T0_E_clISt17integral_constantIbLb0EES12_IbLb1EEEEDaSY_SZ_EUlSY_E_NS1_11comp_targetILNS1_3genE9ELNS1_11target_archE1100ELNS1_3gpuE3ELNS1_3repE0EEENS1_30default_config_static_selectorELNS0_4arch9wavefront6targetE0EEEvT1_.has_recursion, 0
	.set _ZN7rocprim17ROCPRIM_400000_NS6detail17trampoline_kernelINS0_14default_configENS1_27scan_by_key_config_selectorIj11FixedVectorIiLj1EEEEZZNS1_16scan_by_key_implILNS1_25lookback_scan_determinismE0ELb1ES3_N6thrust23THRUST_200600_302600_NS6detail15normal_iteratorINSB_10device_ptrIjEEEENSD_INSE_IS6_EEEESI_S6_NSB_4plusIvEENSB_8equal_toIvEES6_EE10hipError_tPvRmT2_T3_T4_T5_mT6_T7_P12ihipStream_tbENKUlT_T0_E_clISt17integral_constantIbLb0EES12_IbLb1EEEEDaSY_SZ_EUlSY_E_NS1_11comp_targetILNS1_3genE9ELNS1_11target_archE1100ELNS1_3gpuE3ELNS1_3repE0EEENS1_30default_config_static_selectorELNS0_4arch9wavefront6targetE0EEEvT1_.has_indirect_call, 0
	.section	.AMDGPU.csdata,"",@progbits
; Kernel info:
; codeLenInByte = 0
; TotalNumSgprs: 0
; NumVgprs: 0
; ScratchSize: 0
; MemoryBound: 0
; FloatMode: 240
; IeeeMode: 1
; LDSByteSize: 0 bytes/workgroup (compile time only)
; SGPRBlocks: 0
; VGPRBlocks: 0
; NumSGPRsForWavesPerEU: 1
; NumVGPRsForWavesPerEU: 1
; NamedBarCnt: 0
; Occupancy: 16
; WaveLimiterHint : 0
; COMPUTE_PGM_RSRC2:SCRATCH_EN: 0
; COMPUTE_PGM_RSRC2:USER_SGPR: 2
; COMPUTE_PGM_RSRC2:TRAP_HANDLER: 0
; COMPUTE_PGM_RSRC2:TGID_X_EN: 1
; COMPUTE_PGM_RSRC2:TGID_Y_EN: 0
; COMPUTE_PGM_RSRC2:TGID_Z_EN: 0
; COMPUTE_PGM_RSRC2:TIDIG_COMP_CNT: 0
	.section	.text._ZN7rocprim17ROCPRIM_400000_NS6detail17trampoline_kernelINS0_14default_configENS1_27scan_by_key_config_selectorIj11FixedVectorIiLj1EEEEZZNS1_16scan_by_key_implILNS1_25lookback_scan_determinismE0ELb1ES3_N6thrust23THRUST_200600_302600_NS6detail15normal_iteratorINSB_10device_ptrIjEEEENSD_INSE_IS6_EEEESI_S6_NSB_4plusIvEENSB_8equal_toIvEES6_EE10hipError_tPvRmT2_T3_T4_T5_mT6_T7_P12ihipStream_tbENKUlT_T0_E_clISt17integral_constantIbLb0EES12_IbLb1EEEEDaSY_SZ_EUlSY_E_NS1_11comp_targetILNS1_3genE8ELNS1_11target_archE1030ELNS1_3gpuE2ELNS1_3repE0EEENS1_30default_config_static_selectorELNS0_4arch9wavefront6targetE0EEEvT1_,"axG",@progbits,_ZN7rocprim17ROCPRIM_400000_NS6detail17trampoline_kernelINS0_14default_configENS1_27scan_by_key_config_selectorIj11FixedVectorIiLj1EEEEZZNS1_16scan_by_key_implILNS1_25lookback_scan_determinismE0ELb1ES3_N6thrust23THRUST_200600_302600_NS6detail15normal_iteratorINSB_10device_ptrIjEEEENSD_INSE_IS6_EEEESI_S6_NSB_4plusIvEENSB_8equal_toIvEES6_EE10hipError_tPvRmT2_T3_T4_T5_mT6_T7_P12ihipStream_tbENKUlT_T0_E_clISt17integral_constantIbLb0EES12_IbLb1EEEEDaSY_SZ_EUlSY_E_NS1_11comp_targetILNS1_3genE8ELNS1_11target_archE1030ELNS1_3gpuE2ELNS1_3repE0EEENS1_30default_config_static_selectorELNS0_4arch9wavefront6targetE0EEEvT1_,comdat
	.protected	_ZN7rocprim17ROCPRIM_400000_NS6detail17trampoline_kernelINS0_14default_configENS1_27scan_by_key_config_selectorIj11FixedVectorIiLj1EEEEZZNS1_16scan_by_key_implILNS1_25lookback_scan_determinismE0ELb1ES3_N6thrust23THRUST_200600_302600_NS6detail15normal_iteratorINSB_10device_ptrIjEEEENSD_INSE_IS6_EEEESI_S6_NSB_4plusIvEENSB_8equal_toIvEES6_EE10hipError_tPvRmT2_T3_T4_T5_mT6_T7_P12ihipStream_tbENKUlT_T0_E_clISt17integral_constantIbLb0EES12_IbLb1EEEEDaSY_SZ_EUlSY_E_NS1_11comp_targetILNS1_3genE8ELNS1_11target_archE1030ELNS1_3gpuE2ELNS1_3repE0EEENS1_30default_config_static_selectorELNS0_4arch9wavefront6targetE0EEEvT1_ ; -- Begin function _ZN7rocprim17ROCPRIM_400000_NS6detail17trampoline_kernelINS0_14default_configENS1_27scan_by_key_config_selectorIj11FixedVectorIiLj1EEEEZZNS1_16scan_by_key_implILNS1_25lookback_scan_determinismE0ELb1ES3_N6thrust23THRUST_200600_302600_NS6detail15normal_iteratorINSB_10device_ptrIjEEEENSD_INSE_IS6_EEEESI_S6_NSB_4plusIvEENSB_8equal_toIvEES6_EE10hipError_tPvRmT2_T3_T4_T5_mT6_T7_P12ihipStream_tbENKUlT_T0_E_clISt17integral_constantIbLb0EES12_IbLb1EEEEDaSY_SZ_EUlSY_E_NS1_11comp_targetILNS1_3genE8ELNS1_11target_archE1030ELNS1_3gpuE2ELNS1_3repE0EEENS1_30default_config_static_selectorELNS0_4arch9wavefront6targetE0EEEvT1_
	.globl	_ZN7rocprim17ROCPRIM_400000_NS6detail17trampoline_kernelINS0_14default_configENS1_27scan_by_key_config_selectorIj11FixedVectorIiLj1EEEEZZNS1_16scan_by_key_implILNS1_25lookback_scan_determinismE0ELb1ES3_N6thrust23THRUST_200600_302600_NS6detail15normal_iteratorINSB_10device_ptrIjEEEENSD_INSE_IS6_EEEESI_S6_NSB_4plusIvEENSB_8equal_toIvEES6_EE10hipError_tPvRmT2_T3_T4_T5_mT6_T7_P12ihipStream_tbENKUlT_T0_E_clISt17integral_constantIbLb0EES12_IbLb1EEEEDaSY_SZ_EUlSY_E_NS1_11comp_targetILNS1_3genE8ELNS1_11target_archE1030ELNS1_3gpuE2ELNS1_3repE0EEENS1_30default_config_static_selectorELNS0_4arch9wavefront6targetE0EEEvT1_
	.p2align	8
	.type	_ZN7rocprim17ROCPRIM_400000_NS6detail17trampoline_kernelINS0_14default_configENS1_27scan_by_key_config_selectorIj11FixedVectorIiLj1EEEEZZNS1_16scan_by_key_implILNS1_25lookback_scan_determinismE0ELb1ES3_N6thrust23THRUST_200600_302600_NS6detail15normal_iteratorINSB_10device_ptrIjEEEENSD_INSE_IS6_EEEESI_S6_NSB_4plusIvEENSB_8equal_toIvEES6_EE10hipError_tPvRmT2_T3_T4_T5_mT6_T7_P12ihipStream_tbENKUlT_T0_E_clISt17integral_constantIbLb0EES12_IbLb1EEEEDaSY_SZ_EUlSY_E_NS1_11comp_targetILNS1_3genE8ELNS1_11target_archE1030ELNS1_3gpuE2ELNS1_3repE0EEENS1_30default_config_static_selectorELNS0_4arch9wavefront6targetE0EEEvT1_,@function
_ZN7rocprim17ROCPRIM_400000_NS6detail17trampoline_kernelINS0_14default_configENS1_27scan_by_key_config_selectorIj11FixedVectorIiLj1EEEEZZNS1_16scan_by_key_implILNS1_25lookback_scan_determinismE0ELb1ES3_N6thrust23THRUST_200600_302600_NS6detail15normal_iteratorINSB_10device_ptrIjEEEENSD_INSE_IS6_EEEESI_S6_NSB_4plusIvEENSB_8equal_toIvEES6_EE10hipError_tPvRmT2_T3_T4_T5_mT6_T7_P12ihipStream_tbENKUlT_T0_E_clISt17integral_constantIbLb0EES12_IbLb1EEEEDaSY_SZ_EUlSY_E_NS1_11comp_targetILNS1_3genE8ELNS1_11target_archE1030ELNS1_3gpuE2ELNS1_3repE0EEENS1_30default_config_static_selectorELNS0_4arch9wavefront6targetE0EEEvT1_: ; @_ZN7rocprim17ROCPRIM_400000_NS6detail17trampoline_kernelINS0_14default_configENS1_27scan_by_key_config_selectorIj11FixedVectorIiLj1EEEEZZNS1_16scan_by_key_implILNS1_25lookback_scan_determinismE0ELb1ES3_N6thrust23THRUST_200600_302600_NS6detail15normal_iteratorINSB_10device_ptrIjEEEENSD_INSE_IS6_EEEESI_S6_NSB_4plusIvEENSB_8equal_toIvEES6_EE10hipError_tPvRmT2_T3_T4_T5_mT6_T7_P12ihipStream_tbENKUlT_T0_E_clISt17integral_constantIbLb0EES12_IbLb1EEEEDaSY_SZ_EUlSY_E_NS1_11comp_targetILNS1_3genE8ELNS1_11target_archE1030ELNS1_3gpuE2ELNS1_3repE0EEENS1_30default_config_static_selectorELNS0_4arch9wavefront6targetE0EEEvT1_
; %bb.0:
	.section	.rodata,"a",@progbits
	.p2align	6, 0x0
	.amdhsa_kernel _ZN7rocprim17ROCPRIM_400000_NS6detail17trampoline_kernelINS0_14default_configENS1_27scan_by_key_config_selectorIj11FixedVectorIiLj1EEEEZZNS1_16scan_by_key_implILNS1_25lookback_scan_determinismE0ELb1ES3_N6thrust23THRUST_200600_302600_NS6detail15normal_iteratorINSB_10device_ptrIjEEEENSD_INSE_IS6_EEEESI_S6_NSB_4plusIvEENSB_8equal_toIvEES6_EE10hipError_tPvRmT2_T3_T4_T5_mT6_T7_P12ihipStream_tbENKUlT_T0_E_clISt17integral_constantIbLb0EES12_IbLb1EEEEDaSY_SZ_EUlSY_E_NS1_11comp_targetILNS1_3genE8ELNS1_11target_archE1030ELNS1_3gpuE2ELNS1_3repE0EEENS1_30default_config_static_selectorELNS0_4arch9wavefront6targetE0EEEvT1_
		.amdhsa_group_segment_fixed_size 0
		.amdhsa_private_segment_fixed_size 0
		.amdhsa_kernarg_size 112
		.amdhsa_user_sgpr_count 2
		.amdhsa_user_sgpr_dispatch_ptr 0
		.amdhsa_user_sgpr_queue_ptr 0
		.amdhsa_user_sgpr_kernarg_segment_ptr 1
		.amdhsa_user_sgpr_dispatch_id 0
		.amdhsa_user_sgpr_kernarg_preload_length 0
		.amdhsa_user_sgpr_kernarg_preload_offset 0
		.amdhsa_user_sgpr_private_segment_size 0
		.amdhsa_wavefront_size32 1
		.amdhsa_uses_dynamic_stack 0
		.amdhsa_enable_private_segment 0
		.amdhsa_system_sgpr_workgroup_id_x 1
		.amdhsa_system_sgpr_workgroup_id_y 0
		.amdhsa_system_sgpr_workgroup_id_z 0
		.amdhsa_system_sgpr_workgroup_info 0
		.amdhsa_system_vgpr_workitem_id 0
		.amdhsa_next_free_vgpr 1
		.amdhsa_next_free_sgpr 1
		.amdhsa_named_barrier_count 0
		.amdhsa_reserve_vcc 0
		.amdhsa_float_round_mode_32 0
		.amdhsa_float_round_mode_16_64 0
		.amdhsa_float_denorm_mode_32 3
		.amdhsa_float_denorm_mode_16_64 3
		.amdhsa_fp16_overflow 0
		.amdhsa_memory_ordered 1
		.amdhsa_forward_progress 1
		.amdhsa_inst_pref_size 0
		.amdhsa_round_robin_scheduling 0
		.amdhsa_exception_fp_ieee_invalid_op 0
		.amdhsa_exception_fp_denorm_src 0
		.amdhsa_exception_fp_ieee_div_zero 0
		.amdhsa_exception_fp_ieee_overflow 0
		.amdhsa_exception_fp_ieee_underflow 0
		.amdhsa_exception_fp_ieee_inexact 0
		.amdhsa_exception_int_div_zero 0
	.end_amdhsa_kernel
	.section	.text._ZN7rocprim17ROCPRIM_400000_NS6detail17trampoline_kernelINS0_14default_configENS1_27scan_by_key_config_selectorIj11FixedVectorIiLj1EEEEZZNS1_16scan_by_key_implILNS1_25lookback_scan_determinismE0ELb1ES3_N6thrust23THRUST_200600_302600_NS6detail15normal_iteratorINSB_10device_ptrIjEEEENSD_INSE_IS6_EEEESI_S6_NSB_4plusIvEENSB_8equal_toIvEES6_EE10hipError_tPvRmT2_T3_T4_T5_mT6_T7_P12ihipStream_tbENKUlT_T0_E_clISt17integral_constantIbLb0EES12_IbLb1EEEEDaSY_SZ_EUlSY_E_NS1_11comp_targetILNS1_3genE8ELNS1_11target_archE1030ELNS1_3gpuE2ELNS1_3repE0EEENS1_30default_config_static_selectorELNS0_4arch9wavefront6targetE0EEEvT1_,"axG",@progbits,_ZN7rocprim17ROCPRIM_400000_NS6detail17trampoline_kernelINS0_14default_configENS1_27scan_by_key_config_selectorIj11FixedVectorIiLj1EEEEZZNS1_16scan_by_key_implILNS1_25lookback_scan_determinismE0ELb1ES3_N6thrust23THRUST_200600_302600_NS6detail15normal_iteratorINSB_10device_ptrIjEEEENSD_INSE_IS6_EEEESI_S6_NSB_4plusIvEENSB_8equal_toIvEES6_EE10hipError_tPvRmT2_T3_T4_T5_mT6_T7_P12ihipStream_tbENKUlT_T0_E_clISt17integral_constantIbLb0EES12_IbLb1EEEEDaSY_SZ_EUlSY_E_NS1_11comp_targetILNS1_3genE8ELNS1_11target_archE1030ELNS1_3gpuE2ELNS1_3repE0EEENS1_30default_config_static_selectorELNS0_4arch9wavefront6targetE0EEEvT1_,comdat
.Lfunc_end1946:
	.size	_ZN7rocprim17ROCPRIM_400000_NS6detail17trampoline_kernelINS0_14default_configENS1_27scan_by_key_config_selectorIj11FixedVectorIiLj1EEEEZZNS1_16scan_by_key_implILNS1_25lookback_scan_determinismE0ELb1ES3_N6thrust23THRUST_200600_302600_NS6detail15normal_iteratorINSB_10device_ptrIjEEEENSD_INSE_IS6_EEEESI_S6_NSB_4plusIvEENSB_8equal_toIvEES6_EE10hipError_tPvRmT2_T3_T4_T5_mT6_T7_P12ihipStream_tbENKUlT_T0_E_clISt17integral_constantIbLb0EES12_IbLb1EEEEDaSY_SZ_EUlSY_E_NS1_11comp_targetILNS1_3genE8ELNS1_11target_archE1030ELNS1_3gpuE2ELNS1_3repE0EEENS1_30default_config_static_selectorELNS0_4arch9wavefront6targetE0EEEvT1_, .Lfunc_end1946-_ZN7rocprim17ROCPRIM_400000_NS6detail17trampoline_kernelINS0_14default_configENS1_27scan_by_key_config_selectorIj11FixedVectorIiLj1EEEEZZNS1_16scan_by_key_implILNS1_25lookback_scan_determinismE0ELb1ES3_N6thrust23THRUST_200600_302600_NS6detail15normal_iteratorINSB_10device_ptrIjEEEENSD_INSE_IS6_EEEESI_S6_NSB_4plusIvEENSB_8equal_toIvEES6_EE10hipError_tPvRmT2_T3_T4_T5_mT6_T7_P12ihipStream_tbENKUlT_T0_E_clISt17integral_constantIbLb0EES12_IbLb1EEEEDaSY_SZ_EUlSY_E_NS1_11comp_targetILNS1_3genE8ELNS1_11target_archE1030ELNS1_3gpuE2ELNS1_3repE0EEENS1_30default_config_static_selectorELNS0_4arch9wavefront6targetE0EEEvT1_
                                        ; -- End function
	.set _ZN7rocprim17ROCPRIM_400000_NS6detail17trampoline_kernelINS0_14default_configENS1_27scan_by_key_config_selectorIj11FixedVectorIiLj1EEEEZZNS1_16scan_by_key_implILNS1_25lookback_scan_determinismE0ELb1ES3_N6thrust23THRUST_200600_302600_NS6detail15normal_iteratorINSB_10device_ptrIjEEEENSD_INSE_IS6_EEEESI_S6_NSB_4plusIvEENSB_8equal_toIvEES6_EE10hipError_tPvRmT2_T3_T4_T5_mT6_T7_P12ihipStream_tbENKUlT_T0_E_clISt17integral_constantIbLb0EES12_IbLb1EEEEDaSY_SZ_EUlSY_E_NS1_11comp_targetILNS1_3genE8ELNS1_11target_archE1030ELNS1_3gpuE2ELNS1_3repE0EEENS1_30default_config_static_selectorELNS0_4arch9wavefront6targetE0EEEvT1_.num_vgpr, 0
	.set _ZN7rocprim17ROCPRIM_400000_NS6detail17trampoline_kernelINS0_14default_configENS1_27scan_by_key_config_selectorIj11FixedVectorIiLj1EEEEZZNS1_16scan_by_key_implILNS1_25lookback_scan_determinismE0ELb1ES3_N6thrust23THRUST_200600_302600_NS6detail15normal_iteratorINSB_10device_ptrIjEEEENSD_INSE_IS6_EEEESI_S6_NSB_4plusIvEENSB_8equal_toIvEES6_EE10hipError_tPvRmT2_T3_T4_T5_mT6_T7_P12ihipStream_tbENKUlT_T0_E_clISt17integral_constantIbLb0EES12_IbLb1EEEEDaSY_SZ_EUlSY_E_NS1_11comp_targetILNS1_3genE8ELNS1_11target_archE1030ELNS1_3gpuE2ELNS1_3repE0EEENS1_30default_config_static_selectorELNS0_4arch9wavefront6targetE0EEEvT1_.num_agpr, 0
	.set _ZN7rocprim17ROCPRIM_400000_NS6detail17trampoline_kernelINS0_14default_configENS1_27scan_by_key_config_selectorIj11FixedVectorIiLj1EEEEZZNS1_16scan_by_key_implILNS1_25lookback_scan_determinismE0ELb1ES3_N6thrust23THRUST_200600_302600_NS6detail15normal_iteratorINSB_10device_ptrIjEEEENSD_INSE_IS6_EEEESI_S6_NSB_4plusIvEENSB_8equal_toIvEES6_EE10hipError_tPvRmT2_T3_T4_T5_mT6_T7_P12ihipStream_tbENKUlT_T0_E_clISt17integral_constantIbLb0EES12_IbLb1EEEEDaSY_SZ_EUlSY_E_NS1_11comp_targetILNS1_3genE8ELNS1_11target_archE1030ELNS1_3gpuE2ELNS1_3repE0EEENS1_30default_config_static_selectorELNS0_4arch9wavefront6targetE0EEEvT1_.numbered_sgpr, 0
	.set _ZN7rocprim17ROCPRIM_400000_NS6detail17trampoline_kernelINS0_14default_configENS1_27scan_by_key_config_selectorIj11FixedVectorIiLj1EEEEZZNS1_16scan_by_key_implILNS1_25lookback_scan_determinismE0ELb1ES3_N6thrust23THRUST_200600_302600_NS6detail15normal_iteratorINSB_10device_ptrIjEEEENSD_INSE_IS6_EEEESI_S6_NSB_4plusIvEENSB_8equal_toIvEES6_EE10hipError_tPvRmT2_T3_T4_T5_mT6_T7_P12ihipStream_tbENKUlT_T0_E_clISt17integral_constantIbLb0EES12_IbLb1EEEEDaSY_SZ_EUlSY_E_NS1_11comp_targetILNS1_3genE8ELNS1_11target_archE1030ELNS1_3gpuE2ELNS1_3repE0EEENS1_30default_config_static_selectorELNS0_4arch9wavefront6targetE0EEEvT1_.num_named_barrier, 0
	.set _ZN7rocprim17ROCPRIM_400000_NS6detail17trampoline_kernelINS0_14default_configENS1_27scan_by_key_config_selectorIj11FixedVectorIiLj1EEEEZZNS1_16scan_by_key_implILNS1_25lookback_scan_determinismE0ELb1ES3_N6thrust23THRUST_200600_302600_NS6detail15normal_iteratorINSB_10device_ptrIjEEEENSD_INSE_IS6_EEEESI_S6_NSB_4plusIvEENSB_8equal_toIvEES6_EE10hipError_tPvRmT2_T3_T4_T5_mT6_T7_P12ihipStream_tbENKUlT_T0_E_clISt17integral_constantIbLb0EES12_IbLb1EEEEDaSY_SZ_EUlSY_E_NS1_11comp_targetILNS1_3genE8ELNS1_11target_archE1030ELNS1_3gpuE2ELNS1_3repE0EEENS1_30default_config_static_selectorELNS0_4arch9wavefront6targetE0EEEvT1_.private_seg_size, 0
	.set _ZN7rocprim17ROCPRIM_400000_NS6detail17trampoline_kernelINS0_14default_configENS1_27scan_by_key_config_selectorIj11FixedVectorIiLj1EEEEZZNS1_16scan_by_key_implILNS1_25lookback_scan_determinismE0ELb1ES3_N6thrust23THRUST_200600_302600_NS6detail15normal_iteratorINSB_10device_ptrIjEEEENSD_INSE_IS6_EEEESI_S6_NSB_4plusIvEENSB_8equal_toIvEES6_EE10hipError_tPvRmT2_T3_T4_T5_mT6_T7_P12ihipStream_tbENKUlT_T0_E_clISt17integral_constantIbLb0EES12_IbLb1EEEEDaSY_SZ_EUlSY_E_NS1_11comp_targetILNS1_3genE8ELNS1_11target_archE1030ELNS1_3gpuE2ELNS1_3repE0EEENS1_30default_config_static_selectorELNS0_4arch9wavefront6targetE0EEEvT1_.uses_vcc, 0
	.set _ZN7rocprim17ROCPRIM_400000_NS6detail17trampoline_kernelINS0_14default_configENS1_27scan_by_key_config_selectorIj11FixedVectorIiLj1EEEEZZNS1_16scan_by_key_implILNS1_25lookback_scan_determinismE0ELb1ES3_N6thrust23THRUST_200600_302600_NS6detail15normal_iteratorINSB_10device_ptrIjEEEENSD_INSE_IS6_EEEESI_S6_NSB_4plusIvEENSB_8equal_toIvEES6_EE10hipError_tPvRmT2_T3_T4_T5_mT6_T7_P12ihipStream_tbENKUlT_T0_E_clISt17integral_constantIbLb0EES12_IbLb1EEEEDaSY_SZ_EUlSY_E_NS1_11comp_targetILNS1_3genE8ELNS1_11target_archE1030ELNS1_3gpuE2ELNS1_3repE0EEENS1_30default_config_static_selectorELNS0_4arch9wavefront6targetE0EEEvT1_.uses_flat_scratch, 0
	.set _ZN7rocprim17ROCPRIM_400000_NS6detail17trampoline_kernelINS0_14default_configENS1_27scan_by_key_config_selectorIj11FixedVectorIiLj1EEEEZZNS1_16scan_by_key_implILNS1_25lookback_scan_determinismE0ELb1ES3_N6thrust23THRUST_200600_302600_NS6detail15normal_iteratorINSB_10device_ptrIjEEEENSD_INSE_IS6_EEEESI_S6_NSB_4plusIvEENSB_8equal_toIvEES6_EE10hipError_tPvRmT2_T3_T4_T5_mT6_T7_P12ihipStream_tbENKUlT_T0_E_clISt17integral_constantIbLb0EES12_IbLb1EEEEDaSY_SZ_EUlSY_E_NS1_11comp_targetILNS1_3genE8ELNS1_11target_archE1030ELNS1_3gpuE2ELNS1_3repE0EEENS1_30default_config_static_selectorELNS0_4arch9wavefront6targetE0EEEvT1_.has_dyn_sized_stack, 0
	.set _ZN7rocprim17ROCPRIM_400000_NS6detail17trampoline_kernelINS0_14default_configENS1_27scan_by_key_config_selectorIj11FixedVectorIiLj1EEEEZZNS1_16scan_by_key_implILNS1_25lookback_scan_determinismE0ELb1ES3_N6thrust23THRUST_200600_302600_NS6detail15normal_iteratorINSB_10device_ptrIjEEEENSD_INSE_IS6_EEEESI_S6_NSB_4plusIvEENSB_8equal_toIvEES6_EE10hipError_tPvRmT2_T3_T4_T5_mT6_T7_P12ihipStream_tbENKUlT_T0_E_clISt17integral_constantIbLb0EES12_IbLb1EEEEDaSY_SZ_EUlSY_E_NS1_11comp_targetILNS1_3genE8ELNS1_11target_archE1030ELNS1_3gpuE2ELNS1_3repE0EEENS1_30default_config_static_selectorELNS0_4arch9wavefront6targetE0EEEvT1_.has_recursion, 0
	.set _ZN7rocprim17ROCPRIM_400000_NS6detail17trampoline_kernelINS0_14default_configENS1_27scan_by_key_config_selectorIj11FixedVectorIiLj1EEEEZZNS1_16scan_by_key_implILNS1_25lookback_scan_determinismE0ELb1ES3_N6thrust23THRUST_200600_302600_NS6detail15normal_iteratorINSB_10device_ptrIjEEEENSD_INSE_IS6_EEEESI_S6_NSB_4plusIvEENSB_8equal_toIvEES6_EE10hipError_tPvRmT2_T3_T4_T5_mT6_T7_P12ihipStream_tbENKUlT_T0_E_clISt17integral_constantIbLb0EES12_IbLb1EEEEDaSY_SZ_EUlSY_E_NS1_11comp_targetILNS1_3genE8ELNS1_11target_archE1030ELNS1_3gpuE2ELNS1_3repE0EEENS1_30default_config_static_selectorELNS0_4arch9wavefront6targetE0EEEvT1_.has_indirect_call, 0
	.section	.AMDGPU.csdata,"",@progbits
; Kernel info:
; codeLenInByte = 0
; TotalNumSgprs: 0
; NumVgprs: 0
; ScratchSize: 0
; MemoryBound: 0
; FloatMode: 240
; IeeeMode: 1
; LDSByteSize: 0 bytes/workgroup (compile time only)
; SGPRBlocks: 0
; VGPRBlocks: 0
; NumSGPRsForWavesPerEU: 1
; NumVGPRsForWavesPerEU: 1
; NamedBarCnt: 0
; Occupancy: 16
; WaveLimiterHint : 0
; COMPUTE_PGM_RSRC2:SCRATCH_EN: 0
; COMPUTE_PGM_RSRC2:USER_SGPR: 2
; COMPUTE_PGM_RSRC2:TRAP_HANDLER: 0
; COMPUTE_PGM_RSRC2:TGID_X_EN: 1
; COMPUTE_PGM_RSRC2:TGID_Y_EN: 0
; COMPUTE_PGM_RSRC2:TGID_Z_EN: 0
; COMPUTE_PGM_RSRC2:TIDIG_COMP_CNT: 0
	.section	.text._ZN6thrust23THRUST_200600_302600_NS11hip_rocprim14__parallel_for6kernelILj256ENS1_10for_each_fINS0_10device_ptrI11FixedVectorIiLj2EEEENS0_6detail16wrapped_functionINS9_23allocator_traits_detail5gozerEvEEEElLj1EEEvT0_T1_SG_,"axG",@progbits,_ZN6thrust23THRUST_200600_302600_NS11hip_rocprim14__parallel_for6kernelILj256ENS1_10for_each_fINS0_10device_ptrI11FixedVectorIiLj2EEEENS0_6detail16wrapped_functionINS9_23allocator_traits_detail5gozerEvEEEElLj1EEEvT0_T1_SG_,comdat
	.protected	_ZN6thrust23THRUST_200600_302600_NS11hip_rocprim14__parallel_for6kernelILj256ENS1_10for_each_fINS0_10device_ptrI11FixedVectorIiLj2EEEENS0_6detail16wrapped_functionINS9_23allocator_traits_detail5gozerEvEEEElLj1EEEvT0_T1_SG_ ; -- Begin function _ZN6thrust23THRUST_200600_302600_NS11hip_rocprim14__parallel_for6kernelILj256ENS1_10for_each_fINS0_10device_ptrI11FixedVectorIiLj2EEEENS0_6detail16wrapped_functionINS9_23allocator_traits_detail5gozerEvEEEElLj1EEEvT0_T1_SG_
	.globl	_ZN6thrust23THRUST_200600_302600_NS11hip_rocprim14__parallel_for6kernelILj256ENS1_10for_each_fINS0_10device_ptrI11FixedVectorIiLj2EEEENS0_6detail16wrapped_functionINS9_23allocator_traits_detail5gozerEvEEEElLj1EEEvT0_T1_SG_
	.p2align	8
	.type	_ZN6thrust23THRUST_200600_302600_NS11hip_rocprim14__parallel_for6kernelILj256ENS1_10for_each_fINS0_10device_ptrI11FixedVectorIiLj2EEEENS0_6detail16wrapped_functionINS9_23allocator_traits_detail5gozerEvEEEElLj1EEEvT0_T1_SG_,@function
_ZN6thrust23THRUST_200600_302600_NS11hip_rocprim14__parallel_for6kernelILj256ENS1_10for_each_fINS0_10device_ptrI11FixedVectorIiLj2EEEENS0_6detail16wrapped_functionINS9_23allocator_traits_detail5gozerEvEEEElLj1EEEvT0_T1_SG_: ; @_ZN6thrust23THRUST_200600_302600_NS11hip_rocprim14__parallel_for6kernelILj256ENS1_10for_each_fINS0_10device_ptrI11FixedVectorIiLj2EEEENS0_6detail16wrapped_functionINS9_23allocator_traits_detail5gozerEvEEEElLj1EEEvT0_T1_SG_
; %bb.0:
	s_endpgm
	.section	.rodata,"a",@progbits
	.p2align	6, 0x0
	.amdhsa_kernel _ZN6thrust23THRUST_200600_302600_NS11hip_rocprim14__parallel_for6kernelILj256ENS1_10for_each_fINS0_10device_ptrI11FixedVectorIiLj2EEEENS0_6detail16wrapped_functionINS9_23allocator_traits_detail5gozerEvEEEElLj1EEEvT0_T1_SG_
		.amdhsa_group_segment_fixed_size 0
		.amdhsa_private_segment_fixed_size 0
		.amdhsa_kernarg_size 32
		.amdhsa_user_sgpr_count 2
		.amdhsa_user_sgpr_dispatch_ptr 0
		.amdhsa_user_sgpr_queue_ptr 0
		.amdhsa_user_sgpr_kernarg_segment_ptr 1
		.amdhsa_user_sgpr_dispatch_id 0
		.amdhsa_user_sgpr_kernarg_preload_length 0
		.amdhsa_user_sgpr_kernarg_preload_offset 0
		.amdhsa_user_sgpr_private_segment_size 0
		.amdhsa_wavefront_size32 1
		.amdhsa_uses_dynamic_stack 0
		.amdhsa_enable_private_segment 0
		.amdhsa_system_sgpr_workgroup_id_x 1
		.amdhsa_system_sgpr_workgroup_id_y 0
		.amdhsa_system_sgpr_workgroup_id_z 0
		.amdhsa_system_sgpr_workgroup_info 0
		.amdhsa_system_vgpr_workitem_id 0
		.amdhsa_next_free_vgpr 1
		.amdhsa_next_free_sgpr 1
		.amdhsa_named_barrier_count 0
		.amdhsa_reserve_vcc 0
		.amdhsa_float_round_mode_32 0
		.amdhsa_float_round_mode_16_64 0
		.amdhsa_float_denorm_mode_32 3
		.amdhsa_float_denorm_mode_16_64 3
		.amdhsa_fp16_overflow 0
		.amdhsa_memory_ordered 1
		.amdhsa_forward_progress 1
		.amdhsa_inst_pref_size 1
		.amdhsa_round_robin_scheduling 0
		.amdhsa_exception_fp_ieee_invalid_op 0
		.amdhsa_exception_fp_denorm_src 0
		.amdhsa_exception_fp_ieee_div_zero 0
		.amdhsa_exception_fp_ieee_overflow 0
		.amdhsa_exception_fp_ieee_underflow 0
		.amdhsa_exception_fp_ieee_inexact 0
		.amdhsa_exception_int_div_zero 0
	.end_amdhsa_kernel
	.section	.text._ZN6thrust23THRUST_200600_302600_NS11hip_rocprim14__parallel_for6kernelILj256ENS1_10for_each_fINS0_10device_ptrI11FixedVectorIiLj2EEEENS0_6detail16wrapped_functionINS9_23allocator_traits_detail5gozerEvEEEElLj1EEEvT0_T1_SG_,"axG",@progbits,_ZN6thrust23THRUST_200600_302600_NS11hip_rocprim14__parallel_for6kernelILj256ENS1_10for_each_fINS0_10device_ptrI11FixedVectorIiLj2EEEENS0_6detail16wrapped_functionINS9_23allocator_traits_detail5gozerEvEEEElLj1EEEvT0_T1_SG_,comdat
.Lfunc_end1947:
	.size	_ZN6thrust23THRUST_200600_302600_NS11hip_rocprim14__parallel_for6kernelILj256ENS1_10for_each_fINS0_10device_ptrI11FixedVectorIiLj2EEEENS0_6detail16wrapped_functionINS9_23allocator_traits_detail5gozerEvEEEElLj1EEEvT0_T1_SG_, .Lfunc_end1947-_ZN6thrust23THRUST_200600_302600_NS11hip_rocprim14__parallel_for6kernelILj256ENS1_10for_each_fINS0_10device_ptrI11FixedVectorIiLj2EEEENS0_6detail16wrapped_functionINS9_23allocator_traits_detail5gozerEvEEEElLj1EEEvT0_T1_SG_
                                        ; -- End function
	.set _ZN6thrust23THRUST_200600_302600_NS11hip_rocprim14__parallel_for6kernelILj256ENS1_10for_each_fINS0_10device_ptrI11FixedVectorIiLj2EEEENS0_6detail16wrapped_functionINS9_23allocator_traits_detail5gozerEvEEEElLj1EEEvT0_T1_SG_.num_vgpr, 0
	.set _ZN6thrust23THRUST_200600_302600_NS11hip_rocprim14__parallel_for6kernelILj256ENS1_10for_each_fINS0_10device_ptrI11FixedVectorIiLj2EEEENS0_6detail16wrapped_functionINS9_23allocator_traits_detail5gozerEvEEEElLj1EEEvT0_T1_SG_.num_agpr, 0
	.set _ZN6thrust23THRUST_200600_302600_NS11hip_rocprim14__parallel_for6kernelILj256ENS1_10for_each_fINS0_10device_ptrI11FixedVectorIiLj2EEEENS0_6detail16wrapped_functionINS9_23allocator_traits_detail5gozerEvEEEElLj1EEEvT0_T1_SG_.numbered_sgpr, 0
	.set _ZN6thrust23THRUST_200600_302600_NS11hip_rocprim14__parallel_for6kernelILj256ENS1_10for_each_fINS0_10device_ptrI11FixedVectorIiLj2EEEENS0_6detail16wrapped_functionINS9_23allocator_traits_detail5gozerEvEEEElLj1EEEvT0_T1_SG_.num_named_barrier, 0
	.set _ZN6thrust23THRUST_200600_302600_NS11hip_rocprim14__parallel_for6kernelILj256ENS1_10for_each_fINS0_10device_ptrI11FixedVectorIiLj2EEEENS0_6detail16wrapped_functionINS9_23allocator_traits_detail5gozerEvEEEElLj1EEEvT0_T1_SG_.private_seg_size, 0
	.set _ZN6thrust23THRUST_200600_302600_NS11hip_rocprim14__parallel_for6kernelILj256ENS1_10for_each_fINS0_10device_ptrI11FixedVectorIiLj2EEEENS0_6detail16wrapped_functionINS9_23allocator_traits_detail5gozerEvEEEElLj1EEEvT0_T1_SG_.uses_vcc, 0
	.set _ZN6thrust23THRUST_200600_302600_NS11hip_rocprim14__parallel_for6kernelILj256ENS1_10for_each_fINS0_10device_ptrI11FixedVectorIiLj2EEEENS0_6detail16wrapped_functionINS9_23allocator_traits_detail5gozerEvEEEElLj1EEEvT0_T1_SG_.uses_flat_scratch, 0
	.set _ZN6thrust23THRUST_200600_302600_NS11hip_rocprim14__parallel_for6kernelILj256ENS1_10for_each_fINS0_10device_ptrI11FixedVectorIiLj2EEEENS0_6detail16wrapped_functionINS9_23allocator_traits_detail5gozerEvEEEElLj1EEEvT0_T1_SG_.has_dyn_sized_stack, 0
	.set _ZN6thrust23THRUST_200600_302600_NS11hip_rocprim14__parallel_for6kernelILj256ENS1_10for_each_fINS0_10device_ptrI11FixedVectorIiLj2EEEENS0_6detail16wrapped_functionINS9_23allocator_traits_detail5gozerEvEEEElLj1EEEvT0_T1_SG_.has_recursion, 0
	.set _ZN6thrust23THRUST_200600_302600_NS11hip_rocprim14__parallel_for6kernelILj256ENS1_10for_each_fINS0_10device_ptrI11FixedVectorIiLj2EEEENS0_6detail16wrapped_functionINS9_23allocator_traits_detail5gozerEvEEEElLj1EEEvT0_T1_SG_.has_indirect_call, 0
	.section	.AMDGPU.csdata,"",@progbits
; Kernel info:
; codeLenInByte = 4
; TotalNumSgprs: 0
; NumVgprs: 0
; ScratchSize: 0
; MemoryBound: 0
; FloatMode: 240
; IeeeMode: 1
; LDSByteSize: 0 bytes/workgroup (compile time only)
; SGPRBlocks: 0
; VGPRBlocks: 0
; NumSGPRsForWavesPerEU: 1
; NumVGPRsForWavesPerEU: 1
; NamedBarCnt: 0
; Occupancy: 16
; WaveLimiterHint : 0
; COMPUTE_PGM_RSRC2:SCRATCH_EN: 0
; COMPUTE_PGM_RSRC2:USER_SGPR: 2
; COMPUTE_PGM_RSRC2:TRAP_HANDLER: 0
; COMPUTE_PGM_RSRC2:TGID_X_EN: 1
; COMPUTE_PGM_RSRC2:TGID_Y_EN: 0
; COMPUTE_PGM_RSRC2:TGID_Z_EN: 0
; COMPUTE_PGM_RSRC2:TIDIG_COMP_CNT: 0
	.section	.text._ZN6thrust23THRUST_200600_302600_NS11hip_rocprim14__parallel_for6kernelILj256ENS1_10for_each_fINS0_10device_ptrI11FixedVectorIiLj2EEEENS0_6detail16wrapped_functionINS9_23allocator_traits_detail24construct1_via_allocatorINS0_16device_allocatorIS7_EEEEvEEEEmLj1EEEvT0_T1_SJ_,"axG",@progbits,_ZN6thrust23THRUST_200600_302600_NS11hip_rocprim14__parallel_for6kernelILj256ENS1_10for_each_fINS0_10device_ptrI11FixedVectorIiLj2EEEENS0_6detail16wrapped_functionINS9_23allocator_traits_detail24construct1_via_allocatorINS0_16device_allocatorIS7_EEEEvEEEEmLj1EEEvT0_T1_SJ_,comdat
	.protected	_ZN6thrust23THRUST_200600_302600_NS11hip_rocprim14__parallel_for6kernelILj256ENS1_10for_each_fINS0_10device_ptrI11FixedVectorIiLj2EEEENS0_6detail16wrapped_functionINS9_23allocator_traits_detail24construct1_via_allocatorINS0_16device_allocatorIS7_EEEEvEEEEmLj1EEEvT0_T1_SJ_ ; -- Begin function _ZN6thrust23THRUST_200600_302600_NS11hip_rocprim14__parallel_for6kernelILj256ENS1_10for_each_fINS0_10device_ptrI11FixedVectorIiLj2EEEENS0_6detail16wrapped_functionINS9_23allocator_traits_detail24construct1_via_allocatorINS0_16device_allocatorIS7_EEEEvEEEEmLj1EEEvT0_T1_SJ_
	.globl	_ZN6thrust23THRUST_200600_302600_NS11hip_rocprim14__parallel_for6kernelILj256ENS1_10for_each_fINS0_10device_ptrI11FixedVectorIiLj2EEEENS0_6detail16wrapped_functionINS9_23allocator_traits_detail24construct1_via_allocatorINS0_16device_allocatorIS7_EEEEvEEEEmLj1EEEvT0_T1_SJ_
	.p2align	8
	.type	_ZN6thrust23THRUST_200600_302600_NS11hip_rocprim14__parallel_for6kernelILj256ENS1_10for_each_fINS0_10device_ptrI11FixedVectorIiLj2EEEENS0_6detail16wrapped_functionINS9_23allocator_traits_detail24construct1_via_allocatorINS0_16device_allocatorIS7_EEEEvEEEEmLj1EEEvT0_T1_SJ_,@function
_ZN6thrust23THRUST_200600_302600_NS11hip_rocprim14__parallel_for6kernelILj256ENS1_10for_each_fINS0_10device_ptrI11FixedVectorIiLj2EEEENS0_6detail16wrapped_functionINS9_23allocator_traits_detail24construct1_via_allocatorINS0_16device_allocatorIS7_EEEEvEEEEmLj1EEEvT0_T1_SJ_: ; @_ZN6thrust23THRUST_200600_302600_NS11hip_rocprim14__parallel_for6kernelILj256ENS1_10for_each_fINS0_10device_ptrI11FixedVectorIiLj2EEEENS0_6detail16wrapped_functionINS9_23allocator_traits_detail24construct1_via_allocatorINS0_16device_allocatorIS7_EEEEvEEEEmLj1EEEvT0_T1_SJ_
; %bb.0:
	s_load_b128 s[8:11], s[0:1], 0x10
	s_bfe_u32 s2, ttmp6, 0x4000c
	s_and_b32 s3, ttmp6, 15
	s_add_co_i32 s2, s2, 1
	s_getreg_b32 s4, hwreg(HW_REG_IB_STS2, 6, 4)
	s_mul_i32 s2, ttmp9, s2
	v_lshlrev_b32_e32 v2, 3, v0
	s_add_co_i32 s5, s3, s2
	s_load_b64 s[2:3], s[0:1], 0x0
	s_cmp_eq_u32 s4, 0
	s_wait_xcnt 0x0
	s_mov_b32 s1, 0
	s_cselect_b32 s0, ttmp9, s5
	s_delay_alu instid0(SALU_CYCLE_1) | instskip(SKIP_2) | instid1(SALU_CYCLE_1)
	s_lshl_b32 s0, s0, 8
	s_wait_kmcnt 0x0
	s_add_nc_u64 s[4:5], s[10:11], s[0:1]
	s_sub_nc_u64 s[6:7], s[8:9], s[4:5]
	s_delay_alu instid0(SALU_CYCLE_1)
	v_cmp_lt_u64_e64 s0, 0xff, s[6:7]
	s_and_b32 vcc_lo, exec_lo, s0
	s_cbranch_vccnz .LBB1948_2
; %bb.1:
	v_mov_b32_e32 v3, 0
	s_lshl_b64 s[0:1], s[4:5], 3
	v_cmp_gt_u32_e32 vcc_lo, s6, v0
	s_add_nc_u64 s[0:1], s[2:3], s[0:1]
	s_delay_alu instid0(VALU_DEP_2) | instid1(SALU_CYCLE_1)
	v_add_nc_u64_e32 v[0:1], s[0:1], v[2:3]
	s_and_b32 s1, vcc_lo, exec_lo
	s_cbranch_execz .LBB1948_3
	s_branch .LBB1948_4
.LBB1948_2:
                                        ; implicit-def: $vgpr0_vgpr1
.LBB1948_3:
	v_mov_b32_e32 v3, 0
	s_lshl_b64 s[4:5], s[4:5], 3
	s_or_b32 s1, s1, exec_lo
	s_add_nc_u64 s[2:3], s[2:3], s[4:5]
	s_delay_alu instid0(VALU_DEP_1) | instid1(SALU_CYCLE_1)
	v_add_nc_u64_e32 v[0:1], s[2:3], v[2:3]
.LBB1948_4:
	s_and_saveexec_b32 s0, s1
	s_cbranch_execnz .LBB1948_6
; %bb.5:
	s_endpgm
.LBB1948_6:
	v_mov_b64_e32 v[2:3], 0
	flat_store_b64 v[0:1], v[2:3]
	s_endpgm
	.section	.rodata,"a",@progbits
	.p2align	6, 0x0
	.amdhsa_kernel _ZN6thrust23THRUST_200600_302600_NS11hip_rocprim14__parallel_for6kernelILj256ENS1_10for_each_fINS0_10device_ptrI11FixedVectorIiLj2EEEENS0_6detail16wrapped_functionINS9_23allocator_traits_detail24construct1_via_allocatorINS0_16device_allocatorIS7_EEEEvEEEEmLj1EEEvT0_T1_SJ_
		.amdhsa_group_segment_fixed_size 0
		.amdhsa_private_segment_fixed_size 0
		.amdhsa_kernarg_size 32
		.amdhsa_user_sgpr_count 2
		.amdhsa_user_sgpr_dispatch_ptr 0
		.amdhsa_user_sgpr_queue_ptr 0
		.amdhsa_user_sgpr_kernarg_segment_ptr 1
		.amdhsa_user_sgpr_dispatch_id 0
		.amdhsa_user_sgpr_kernarg_preload_length 0
		.amdhsa_user_sgpr_kernarg_preload_offset 0
		.amdhsa_user_sgpr_private_segment_size 0
		.amdhsa_wavefront_size32 1
		.amdhsa_uses_dynamic_stack 0
		.amdhsa_enable_private_segment 0
		.amdhsa_system_sgpr_workgroup_id_x 1
		.amdhsa_system_sgpr_workgroup_id_y 0
		.amdhsa_system_sgpr_workgroup_id_z 0
		.amdhsa_system_sgpr_workgroup_info 0
		.amdhsa_system_vgpr_workitem_id 0
		.amdhsa_next_free_vgpr 4
		.amdhsa_next_free_sgpr 12
		.amdhsa_named_barrier_count 0
		.amdhsa_reserve_vcc 1
		.amdhsa_float_round_mode_32 0
		.amdhsa_float_round_mode_16_64 0
		.amdhsa_float_denorm_mode_32 3
		.amdhsa_float_denorm_mode_16_64 3
		.amdhsa_fp16_overflow 0
		.amdhsa_memory_ordered 1
		.amdhsa_forward_progress 1
		.amdhsa_inst_pref_size 2
		.amdhsa_round_robin_scheduling 0
		.amdhsa_exception_fp_ieee_invalid_op 0
		.amdhsa_exception_fp_denorm_src 0
		.amdhsa_exception_fp_ieee_div_zero 0
		.amdhsa_exception_fp_ieee_overflow 0
		.amdhsa_exception_fp_ieee_underflow 0
		.amdhsa_exception_fp_ieee_inexact 0
		.amdhsa_exception_int_div_zero 0
	.end_amdhsa_kernel
	.section	.text._ZN6thrust23THRUST_200600_302600_NS11hip_rocprim14__parallel_for6kernelILj256ENS1_10for_each_fINS0_10device_ptrI11FixedVectorIiLj2EEEENS0_6detail16wrapped_functionINS9_23allocator_traits_detail24construct1_via_allocatorINS0_16device_allocatorIS7_EEEEvEEEEmLj1EEEvT0_T1_SJ_,"axG",@progbits,_ZN6thrust23THRUST_200600_302600_NS11hip_rocprim14__parallel_for6kernelILj256ENS1_10for_each_fINS0_10device_ptrI11FixedVectorIiLj2EEEENS0_6detail16wrapped_functionINS9_23allocator_traits_detail24construct1_via_allocatorINS0_16device_allocatorIS7_EEEEvEEEEmLj1EEEvT0_T1_SJ_,comdat
.Lfunc_end1948:
	.size	_ZN6thrust23THRUST_200600_302600_NS11hip_rocprim14__parallel_for6kernelILj256ENS1_10for_each_fINS0_10device_ptrI11FixedVectorIiLj2EEEENS0_6detail16wrapped_functionINS9_23allocator_traits_detail24construct1_via_allocatorINS0_16device_allocatorIS7_EEEEvEEEEmLj1EEEvT0_T1_SJ_, .Lfunc_end1948-_ZN6thrust23THRUST_200600_302600_NS11hip_rocprim14__parallel_for6kernelILj256ENS1_10for_each_fINS0_10device_ptrI11FixedVectorIiLj2EEEENS0_6detail16wrapped_functionINS9_23allocator_traits_detail24construct1_via_allocatorINS0_16device_allocatorIS7_EEEEvEEEEmLj1EEEvT0_T1_SJ_
                                        ; -- End function
	.set _ZN6thrust23THRUST_200600_302600_NS11hip_rocprim14__parallel_for6kernelILj256ENS1_10for_each_fINS0_10device_ptrI11FixedVectorIiLj2EEEENS0_6detail16wrapped_functionINS9_23allocator_traits_detail24construct1_via_allocatorINS0_16device_allocatorIS7_EEEEvEEEEmLj1EEEvT0_T1_SJ_.num_vgpr, 4
	.set _ZN6thrust23THRUST_200600_302600_NS11hip_rocprim14__parallel_for6kernelILj256ENS1_10for_each_fINS0_10device_ptrI11FixedVectorIiLj2EEEENS0_6detail16wrapped_functionINS9_23allocator_traits_detail24construct1_via_allocatorINS0_16device_allocatorIS7_EEEEvEEEEmLj1EEEvT0_T1_SJ_.num_agpr, 0
	.set _ZN6thrust23THRUST_200600_302600_NS11hip_rocprim14__parallel_for6kernelILj256ENS1_10for_each_fINS0_10device_ptrI11FixedVectorIiLj2EEEENS0_6detail16wrapped_functionINS9_23allocator_traits_detail24construct1_via_allocatorINS0_16device_allocatorIS7_EEEEvEEEEmLj1EEEvT0_T1_SJ_.numbered_sgpr, 12
	.set _ZN6thrust23THRUST_200600_302600_NS11hip_rocprim14__parallel_for6kernelILj256ENS1_10for_each_fINS0_10device_ptrI11FixedVectorIiLj2EEEENS0_6detail16wrapped_functionINS9_23allocator_traits_detail24construct1_via_allocatorINS0_16device_allocatorIS7_EEEEvEEEEmLj1EEEvT0_T1_SJ_.num_named_barrier, 0
	.set _ZN6thrust23THRUST_200600_302600_NS11hip_rocprim14__parallel_for6kernelILj256ENS1_10for_each_fINS0_10device_ptrI11FixedVectorIiLj2EEEENS0_6detail16wrapped_functionINS9_23allocator_traits_detail24construct1_via_allocatorINS0_16device_allocatorIS7_EEEEvEEEEmLj1EEEvT0_T1_SJ_.private_seg_size, 0
	.set _ZN6thrust23THRUST_200600_302600_NS11hip_rocprim14__parallel_for6kernelILj256ENS1_10for_each_fINS0_10device_ptrI11FixedVectorIiLj2EEEENS0_6detail16wrapped_functionINS9_23allocator_traits_detail24construct1_via_allocatorINS0_16device_allocatorIS7_EEEEvEEEEmLj1EEEvT0_T1_SJ_.uses_vcc, 1
	.set _ZN6thrust23THRUST_200600_302600_NS11hip_rocprim14__parallel_for6kernelILj256ENS1_10for_each_fINS0_10device_ptrI11FixedVectorIiLj2EEEENS0_6detail16wrapped_functionINS9_23allocator_traits_detail24construct1_via_allocatorINS0_16device_allocatorIS7_EEEEvEEEEmLj1EEEvT0_T1_SJ_.uses_flat_scratch, 0
	.set _ZN6thrust23THRUST_200600_302600_NS11hip_rocprim14__parallel_for6kernelILj256ENS1_10for_each_fINS0_10device_ptrI11FixedVectorIiLj2EEEENS0_6detail16wrapped_functionINS9_23allocator_traits_detail24construct1_via_allocatorINS0_16device_allocatorIS7_EEEEvEEEEmLj1EEEvT0_T1_SJ_.has_dyn_sized_stack, 0
	.set _ZN6thrust23THRUST_200600_302600_NS11hip_rocprim14__parallel_for6kernelILj256ENS1_10for_each_fINS0_10device_ptrI11FixedVectorIiLj2EEEENS0_6detail16wrapped_functionINS9_23allocator_traits_detail24construct1_via_allocatorINS0_16device_allocatorIS7_EEEEvEEEEmLj1EEEvT0_T1_SJ_.has_recursion, 0
	.set _ZN6thrust23THRUST_200600_302600_NS11hip_rocprim14__parallel_for6kernelILj256ENS1_10for_each_fINS0_10device_ptrI11FixedVectorIiLj2EEEENS0_6detail16wrapped_functionINS9_23allocator_traits_detail24construct1_via_allocatorINS0_16device_allocatorIS7_EEEEvEEEEmLj1EEEvT0_T1_SJ_.has_indirect_call, 0
	.section	.AMDGPU.csdata,"",@progbits
; Kernel info:
; codeLenInByte = 200
; TotalNumSgprs: 14
; NumVgprs: 4
; ScratchSize: 0
; MemoryBound: 0
; FloatMode: 240
; IeeeMode: 1
; LDSByteSize: 0 bytes/workgroup (compile time only)
; SGPRBlocks: 0
; VGPRBlocks: 0
; NumSGPRsForWavesPerEU: 14
; NumVGPRsForWavesPerEU: 4
; NamedBarCnt: 0
; Occupancy: 16
; WaveLimiterHint : 0
; COMPUTE_PGM_RSRC2:SCRATCH_EN: 0
; COMPUTE_PGM_RSRC2:USER_SGPR: 2
; COMPUTE_PGM_RSRC2:TRAP_HANDLER: 0
; COMPUTE_PGM_RSRC2:TGID_X_EN: 1
; COMPUTE_PGM_RSRC2:TGID_Y_EN: 0
; COMPUTE_PGM_RSRC2:TGID_Z_EN: 0
; COMPUTE_PGM_RSRC2:TIDIG_COMP_CNT: 0
	.section	.text._ZN7rocprim17ROCPRIM_400000_NS6detail30init_device_scan_by_key_kernelINS1_19lookback_scan_stateINS0_5tupleIJ11FixedVectorIiLj2EEbEEELb0ELb1EEEN6thrust23THRUST_200600_302600_NS6detail15normal_iteratorINSA_10device_ptrIjEEEEjNS1_16block_id_wrapperIjLb0EEEEEvT_jjPNSI_10value_typeET0_PNSt15iterator_traitsISL_E10value_typeEmT1_T2_,"axG",@progbits,_ZN7rocprim17ROCPRIM_400000_NS6detail30init_device_scan_by_key_kernelINS1_19lookback_scan_stateINS0_5tupleIJ11FixedVectorIiLj2EEbEEELb0ELb1EEEN6thrust23THRUST_200600_302600_NS6detail15normal_iteratorINSA_10device_ptrIjEEEEjNS1_16block_id_wrapperIjLb0EEEEEvT_jjPNSI_10value_typeET0_PNSt15iterator_traitsISL_E10value_typeEmT1_T2_,comdat
	.protected	_ZN7rocprim17ROCPRIM_400000_NS6detail30init_device_scan_by_key_kernelINS1_19lookback_scan_stateINS0_5tupleIJ11FixedVectorIiLj2EEbEEELb0ELb1EEEN6thrust23THRUST_200600_302600_NS6detail15normal_iteratorINSA_10device_ptrIjEEEEjNS1_16block_id_wrapperIjLb0EEEEEvT_jjPNSI_10value_typeET0_PNSt15iterator_traitsISL_E10value_typeEmT1_T2_ ; -- Begin function _ZN7rocprim17ROCPRIM_400000_NS6detail30init_device_scan_by_key_kernelINS1_19lookback_scan_stateINS0_5tupleIJ11FixedVectorIiLj2EEbEEELb0ELb1EEEN6thrust23THRUST_200600_302600_NS6detail15normal_iteratorINSA_10device_ptrIjEEEEjNS1_16block_id_wrapperIjLb0EEEEEvT_jjPNSI_10value_typeET0_PNSt15iterator_traitsISL_E10value_typeEmT1_T2_
	.globl	_ZN7rocprim17ROCPRIM_400000_NS6detail30init_device_scan_by_key_kernelINS1_19lookback_scan_stateINS0_5tupleIJ11FixedVectorIiLj2EEbEEELb0ELb1EEEN6thrust23THRUST_200600_302600_NS6detail15normal_iteratorINSA_10device_ptrIjEEEEjNS1_16block_id_wrapperIjLb0EEEEEvT_jjPNSI_10value_typeET0_PNSt15iterator_traitsISL_E10value_typeEmT1_T2_
	.p2align	8
	.type	_ZN7rocprim17ROCPRIM_400000_NS6detail30init_device_scan_by_key_kernelINS1_19lookback_scan_stateINS0_5tupleIJ11FixedVectorIiLj2EEbEEELb0ELb1EEEN6thrust23THRUST_200600_302600_NS6detail15normal_iteratorINSA_10device_ptrIjEEEEjNS1_16block_id_wrapperIjLb0EEEEEvT_jjPNSI_10value_typeET0_PNSt15iterator_traitsISL_E10value_typeEmT1_T2_,@function
_ZN7rocprim17ROCPRIM_400000_NS6detail30init_device_scan_by_key_kernelINS1_19lookback_scan_stateINS0_5tupleIJ11FixedVectorIiLj2EEbEEELb0ELb1EEEN6thrust23THRUST_200600_302600_NS6detail15normal_iteratorINSA_10device_ptrIjEEEEjNS1_16block_id_wrapperIjLb0EEEEEvT_jjPNSI_10value_typeET0_PNSt15iterator_traitsISL_E10value_typeEmT1_T2_: ; @_ZN7rocprim17ROCPRIM_400000_NS6detail30init_device_scan_by_key_kernelINS1_19lookback_scan_stateINS0_5tupleIJ11FixedVectorIiLj2EEbEEELb0ELb1EEEN6thrust23THRUST_200600_302600_NS6detail15normal_iteratorINSA_10device_ptrIjEEEEjNS1_16block_id_wrapperIjLb0EEEEEvT_jjPNSI_10value_typeET0_PNSt15iterator_traitsISL_E10value_typeEmT1_T2_
; %bb.0:
	s_clause 0x2
	s_load_b32 s2, s[0:1], 0x44
	s_load_b32 s14, s[0:1], 0x38
	s_load_b256 s[4:11], s[0:1], 0x0
	s_bfe_u32 s3, ttmp6, 0x4000c
	s_and_b32 s12, ttmp6, 15
	s_add_co_i32 s3, s3, 1
	s_getreg_b32 s13, hwreg(HW_REG_IB_STS2, 6, 4)
	s_mul_i32 s3, ttmp9, s3
	s_delay_alu instid0(SALU_CYCLE_1)
	s_add_co_i32 s12, s12, s3
	s_wait_kmcnt 0x0
	s_and_b32 s15, s2, 0xffff
	s_cmp_eq_u32 s13, 0
	s_cselect_b32 s2, ttmp9, s12
	s_cmp_eq_u64 s[8:9], 0
	v_mad_u32 v4, s2, s15, v0
	s_cbranch_scc1 .LBB1949_8
; %bb.1:
	s_cmp_lt_u32 s7, s6
	s_mov_b32 s16, exec_lo
	s_cselect_b32 s2, s7, 0
	s_delay_alu instid0(VALU_DEP_1) | instid1(SALU_CYCLE_1)
	v_cmpx_eq_u32_e64 s2, v4
	s_cbranch_execz .LBB1949_7
; %bb.2:
	s_add_co_i32 s2, s7, 32
	s_mov_b32 s3, 0
	s_delay_alu instid0(SALU_CYCLE_1) | instskip(SKIP_2) | instid1(SALU_CYCLE_1)
	s_lshl_b64 s[12:13], s[2:3], 4
	s_mov_b32 s2, exec_lo
	s_add_nc_u64 s[12:13], s[4:5], s[12:13]
	v_mov_b64_e32 v[0:1], s[12:13]
	;;#ASMSTART
	global_load_b128 v[0:3], v[0:1] off scope:SCOPE_DEV	
s_wait_loadcnt 0x0
	;;#ASMEND
	s_delay_alu instid0(VALU_DEP_1) | instskip(SKIP_1) | instid1(VALU_DEP_1)
	v_dual_mov_b32 v6, 0 :: v_dual_mov_b32 v8, v1
	v_and_b32_e32 v7, 0xff, v3
	v_cmpx_eq_u64_e32 0, v[6:7]
	s_cbranch_execz .LBB1949_6
; %bb.3:
	v_mov_b64_e32 v[8:9], s[12:13]
.LBB1949_4:                             ; =>This Inner Loop Header: Depth=1
	;;#ASMSTART
	global_load_b128 v[0:3], v[8:9] off scope:SCOPE_DEV	
s_wait_loadcnt 0x0
	;;#ASMEND
	v_and_b32_e32 v7, 0xff, v3
	s_delay_alu instid0(VALU_DEP_1) | instskip(SKIP_1) | instid1(SALU_CYCLE_1)
	v_cmp_ne_u64_e32 vcc_lo, 0, v[6:7]
	s_or_b32 s3, vcc_lo, s3
	s_and_not1_b32 exec_lo, exec_lo, s3
	s_cbranch_execnz .LBB1949_4
; %bb.5:
	s_or_b32 exec_lo, exec_lo, s3
	v_mov_b32_e32 v8, v1
.LBB1949_6:
	s_or_b32 exec_lo, exec_lo, s2
	s_delay_alu instid0(VALU_DEP_1)
	v_dual_mov_b32 v3, 0 :: v_dual_mov_b32 v1, v8
	s_clause 0x1
	global_store_b64 v3, v[0:1], s[8:9]
	global_store_b8 v3, v2, s[8:9] offset:8
.LBB1949_7:
	s_wait_xcnt 0x0
	s_or_b32 exec_lo, exec_lo, s16
.LBB1949_8:
	s_delay_alu instid0(SALU_CYCLE_1) | instskip(NEXT) | instid1(VALU_DEP_1)
	s_mov_b32 s2, exec_lo
	v_cmpx_gt_u32_e64 s6, v4
	s_cbranch_execz .LBB1949_10
; %bb.9:
	v_dual_mov_b32 v0, 0 :: v_dual_add_nc_u32 v5, 32, v4
	s_delay_alu instid0(VALU_DEP_1)
	v_dual_mov_b32 v1, v0 :: v_dual_mov_b32 v2, v0
	v_mov_b32_e32 v3, v0
	global_store_b128 v5, v[0:3], s[4:5] scale_offset
.LBB1949_10:
	s_wait_xcnt 0x0
	s_or_b32 exec_lo, exec_lo, s2
	v_mov_b32_e32 v5, 0
	s_mov_b32 s2, exec_lo
	v_cmpx_lt_u32_e32 31, v4
	s_xor_b32 s2, exec_lo, s2
	s_delay_alu instid0(SALU_CYCLE_1)
	s_and_not1_saveexec_b32 s2, s2
	s_cbranch_execz .LBB1949_12
; %bb.11:
	v_dual_mov_b32 v0, 0 :: v_dual_mov_b32 v3, 0xff
	v_lshl_add_u64 v[6:7], v[4:5], 4, s[4:5]
	s_delay_alu instid0(VALU_DEP_2)
	v_dual_mov_b32 v1, v0 :: v_dual_mov_b32 v2, v0
	global_store_b128 v[6:7], v[0:3], off
.LBB1949_12:
	s_wait_xcnt 0x0
	s_or_b32 exec_lo, exec_lo, s2
	s_load_b64 s[2:3], s[0:1], 0x28
	s_mov_b32 s4, exec_lo
	s_wait_kmcnt 0x0
	v_cmpx_gt_u64_e64 s[2:3], v[4:5]
	s_cbranch_execz .LBB1949_15
; %bb.13:
	s_clause 0x1
	s_load_b32 s4, s[0:1], 0x30
	s_load_b64 s[6:7], s[0:1], 0x20
	s_mov_b32 s5, 0
	s_wait_xcnt 0x0
	s_mul_i32 s0, s14, s15
	s_mov_b32 s9, s5
	s_mov_b32 s1, s5
	s_wait_kmcnt 0x0
	v_mul_u64_e32 v[0:1], s[4:5], v[4:5]
	s_add_co_i32 s8, s4, -1
	v_lshl_add_u64 v[2:3], v[4:5], 2, s[6:7]
	s_lshl_b64 s[8:9], s[8:9], 2
	s_delay_alu instid0(SALU_CYCLE_1) | instskip(SKIP_1) | instid1(SALU_CYCLE_1)
	s_add_nc_u64 s[8:9], s[10:11], s[8:9]
	s_mul_u64 s[10:11], s[4:5], s[0:1]
	s_lshl_b64 s[6:7], s[10:11], 2
	s_delay_alu instid0(VALU_DEP_2)
	v_lshl_add_u64 v[0:1], v[0:1], 2, s[8:9]
	s_lshl_b64 s[8:9], s[0:1], 2
.LBB1949_14:                            ; =>This Inner Loop Header: Depth=1
	global_load_b32 v6, v[0:1], off
	v_add_nc_u64_e32 v[4:5], s[0:1], v[4:5]
	s_wait_xcnt 0x0
	v_add_nc_u64_e32 v[0:1], s[6:7], v[0:1]
	s_delay_alu instid0(VALU_DEP_2)
	v_cmp_le_u64_e32 vcc_lo, s[2:3], v[4:5]
	s_or_b32 s5, vcc_lo, s5
	s_wait_loadcnt 0x0
	global_store_b32 v[2:3], v6, off
	s_wait_xcnt 0x0
	v_add_nc_u64_e32 v[2:3], s[8:9], v[2:3]
	s_and_not1_b32 exec_lo, exec_lo, s5
	s_cbranch_execnz .LBB1949_14
.LBB1949_15:
	s_endpgm
	.section	.rodata,"a",@progbits
	.p2align	6, 0x0
	.amdhsa_kernel _ZN7rocprim17ROCPRIM_400000_NS6detail30init_device_scan_by_key_kernelINS1_19lookback_scan_stateINS0_5tupleIJ11FixedVectorIiLj2EEbEEELb0ELb1EEEN6thrust23THRUST_200600_302600_NS6detail15normal_iteratorINSA_10device_ptrIjEEEEjNS1_16block_id_wrapperIjLb0EEEEEvT_jjPNSI_10value_typeET0_PNSt15iterator_traitsISL_E10value_typeEmT1_T2_
		.amdhsa_group_segment_fixed_size 0
		.amdhsa_private_segment_fixed_size 0
		.amdhsa_kernarg_size 312
		.amdhsa_user_sgpr_count 2
		.amdhsa_user_sgpr_dispatch_ptr 0
		.amdhsa_user_sgpr_queue_ptr 0
		.amdhsa_user_sgpr_kernarg_segment_ptr 1
		.amdhsa_user_sgpr_dispatch_id 0
		.amdhsa_user_sgpr_kernarg_preload_length 0
		.amdhsa_user_sgpr_kernarg_preload_offset 0
		.amdhsa_user_sgpr_private_segment_size 0
		.amdhsa_wavefront_size32 1
		.amdhsa_uses_dynamic_stack 0
		.amdhsa_enable_private_segment 0
		.amdhsa_system_sgpr_workgroup_id_x 1
		.amdhsa_system_sgpr_workgroup_id_y 0
		.amdhsa_system_sgpr_workgroup_id_z 0
		.amdhsa_system_sgpr_workgroup_info 0
		.amdhsa_system_vgpr_workitem_id 0
		.amdhsa_next_free_vgpr 10
		.amdhsa_next_free_sgpr 17
		.amdhsa_named_barrier_count 0
		.amdhsa_reserve_vcc 1
		.amdhsa_float_round_mode_32 0
		.amdhsa_float_round_mode_16_64 0
		.amdhsa_float_denorm_mode_32 3
		.amdhsa_float_denorm_mode_16_64 3
		.amdhsa_fp16_overflow 0
		.amdhsa_memory_ordered 1
		.amdhsa_forward_progress 1
		.amdhsa_inst_pref_size 5
		.amdhsa_round_robin_scheduling 0
		.amdhsa_exception_fp_ieee_invalid_op 0
		.amdhsa_exception_fp_denorm_src 0
		.amdhsa_exception_fp_ieee_div_zero 0
		.amdhsa_exception_fp_ieee_overflow 0
		.amdhsa_exception_fp_ieee_underflow 0
		.amdhsa_exception_fp_ieee_inexact 0
		.amdhsa_exception_int_div_zero 0
	.end_amdhsa_kernel
	.section	.text._ZN7rocprim17ROCPRIM_400000_NS6detail30init_device_scan_by_key_kernelINS1_19lookback_scan_stateINS0_5tupleIJ11FixedVectorIiLj2EEbEEELb0ELb1EEEN6thrust23THRUST_200600_302600_NS6detail15normal_iteratorINSA_10device_ptrIjEEEEjNS1_16block_id_wrapperIjLb0EEEEEvT_jjPNSI_10value_typeET0_PNSt15iterator_traitsISL_E10value_typeEmT1_T2_,"axG",@progbits,_ZN7rocprim17ROCPRIM_400000_NS6detail30init_device_scan_by_key_kernelINS1_19lookback_scan_stateINS0_5tupleIJ11FixedVectorIiLj2EEbEEELb0ELb1EEEN6thrust23THRUST_200600_302600_NS6detail15normal_iteratorINSA_10device_ptrIjEEEEjNS1_16block_id_wrapperIjLb0EEEEEvT_jjPNSI_10value_typeET0_PNSt15iterator_traitsISL_E10value_typeEmT1_T2_,comdat
.Lfunc_end1949:
	.size	_ZN7rocprim17ROCPRIM_400000_NS6detail30init_device_scan_by_key_kernelINS1_19lookback_scan_stateINS0_5tupleIJ11FixedVectorIiLj2EEbEEELb0ELb1EEEN6thrust23THRUST_200600_302600_NS6detail15normal_iteratorINSA_10device_ptrIjEEEEjNS1_16block_id_wrapperIjLb0EEEEEvT_jjPNSI_10value_typeET0_PNSt15iterator_traitsISL_E10value_typeEmT1_T2_, .Lfunc_end1949-_ZN7rocprim17ROCPRIM_400000_NS6detail30init_device_scan_by_key_kernelINS1_19lookback_scan_stateINS0_5tupleIJ11FixedVectorIiLj2EEbEEELb0ELb1EEEN6thrust23THRUST_200600_302600_NS6detail15normal_iteratorINSA_10device_ptrIjEEEEjNS1_16block_id_wrapperIjLb0EEEEEvT_jjPNSI_10value_typeET0_PNSt15iterator_traitsISL_E10value_typeEmT1_T2_
                                        ; -- End function
	.set _ZN7rocprim17ROCPRIM_400000_NS6detail30init_device_scan_by_key_kernelINS1_19lookback_scan_stateINS0_5tupleIJ11FixedVectorIiLj2EEbEEELb0ELb1EEEN6thrust23THRUST_200600_302600_NS6detail15normal_iteratorINSA_10device_ptrIjEEEEjNS1_16block_id_wrapperIjLb0EEEEEvT_jjPNSI_10value_typeET0_PNSt15iterator_traitsISL_E10value_typeEmT1_T2_.num_vgpr, 10
	.set _ZN7rocprim17ROCPRIM_400000_NS6detail30init_device_scan_by_key_kernelINS1_19lookback_scan_stateINS0_5tupleIJ11FixedVectorIiLj2EEbEEELb0ELb1EEEN6thrust23THRUST_200600_302600_NS6detail15normal_iteratorINSA_10device_ptrIjEEEEjNS1_16block_id_wrapperIjLb0EEEEEvT_jjPNSI_10value_typeET0_PNSt15iterator_traitsISL_E10value_typeEmT1_T2_.num_agpr, 0
	.set _ZN7rocprim17ROCPRIM_400000_NS6detail30init_device_scan_by_key_kernelINS1_19lookback_scan_stateINS0_5tupleIJ11FixedVectorIiLj2EEbEEELb0ELb1EEEN6thrust23THRUST_200600_302600_NS6detail15normal_iteratorINSA_10device_ptrIjEEEEjNS1_16block_id_wrapperIjLb0EEEEEvT_jjPNSI_10value_typeET0_PNSt15iterator_traitsISL_E10value_typeEmT1_T2_.numbered_sgpr, 17
	.set _ZN7rocprim17ROCPRIM_400000_NS6detail30init_device_scan_by_key_kernelINS1_19lookback_scan_stateINS0_5tupleIJ11FixedVectorIiLj2EEbEEELb0ELb1EEEN6thrust23THRUST_200600_302600_NS6detail15normal_iteratorINSA_10device_ptrIjEEEEjNS1_16block_id_wrapperIjLb0EEEEEvT_jjPNSI_10value_typeET0_PNSt15iterator_traitsISL_E10value_typeEmT1_T2_.num_named_barrier, 0
	.set _ZN7rocprim17ROCPRIM_400000_NS6detail30init_device_scan_by_key_kernelINS1_19lookback_scan_stateINS0_5tupleIJ11FixedVectorIiLj2EEbEEELb0ELb1EEEN6thrust23THRUST_200600_302600_NS6detail15normal_iteratorINSA_10device_ptrIjEEEEjNS1_16block_id_wrapperIjLb0EEEEEvT_jjPNSI_10value_typeET0_PNSt15iterator_traitsISL_E10value_typeEmT1_T2_.private_seg_size, 0
	.set _ZN7rocprim17ROCPRIM_400000_NS6detail30init_device_scan_by_key_kernelINS1_19lookback_scan_stateINS0_5tupleIJ11FixedVectorIiLj2EEbEEELb0ELb1EEEN6thrust23THRUST_200600_302600_NS6detail15normal_iteratorINSA_10device_ptrIjEEEEjNS1_16block_id_wrapperIjLb0EEEEEvT_jjPNSI_10value_typeET0_PNSt15iterator_traitsISL_E10value_typeEmT1_T2_.uses_vcc, 1
	.set _ZN7rocprim17ROCPRIM_400000_NS6detail30init_device_scan_by_key_kernelINS1_19lookback_scan_stateINS0_5tupleIJ11FixedVectorIiLj2EEbEEELb0ELb1EEEN6thrust23THRUST_200600_302600_NS6detail15normal_iteratorINSA_10device_ptrIjEEEEjNS1_16block_id_wrapperIjLb0EEEEEvT_jjPNSI_10value_typeET0_PNSt15iterator_traitsISL_E10value_typeEmT1_T2_.uses_flat_scratch, 0
	.set _ZN7rocprim17ROCPRIM_400000_NS6detail30init_device_scan_by_key_kernelINS1_19lookback_scan_stateINS0_5tupleIJ11FixedVectorIiLj2EEbEEELb0ELb1EEEN6thrust23THRUST_200600_302600_NS6detail15normal_iteratorINSA_10device_ptrIjEEEEjNS1_16block_id_wrapperIjLb0EEEEEvT_jjPNSI_10value_typeET0_PNSt15iterator_traitsISL_E10value_typeEmT1_T2_.has_dyn_sized_stack, 0
	.set _ZN7rocprim17ROCPRIM_400000_NS6detail30init_device_scan_by_key_kernelINS1_19lookback_scan_stateINS0_5tupleIJ11FixedVectorIiLj2EEbEEELb0ELb1EEEN6thrust23THRUST_200600_302600_NS6detail15normal_iteratorINSA_10device_ptrIjEEEEjNS1_16block_id_wrapperIjLb0EEEEEvT_jjPNSI_10value_typeET0_PNSt15iterator_traitsISL_E10value_typeEmT1_T2_.has_recursion, 0
	.set _ZN7rocprim17ROCPRIM_400000_NS6detail30init_device_scan_by_key_kernelINS1_19lookback_scan_stateINS0_5tupleIJ11FixedVectorIiLj2EEbEEELb0ELb1EEEN6thrust23THRUST_200600_302600_NS6detail15normal_iteratorINSA_10device_ptrIjEEEEjNS1_16block_id_wrapperIjLb0EEEEEvT_jjPNSI_10value_typeET0_PNSt15iterator_traitsISL_E10value_typeEmT1_T2_.has_indirect_call, 0
	.section	.AMDGPU.csdata,"",@progbits
; Kernel info:
; codeLenInByte = 620
; TotalNumSgprs: 19
; NumVgprs: 10
; ScratchSize: 0
; MemoryBound: 0
; FloatMode: 240
; IeeeMode: 1
; LDSByteSize: 0 bytes/workgroup (compile time only)
; SGPRBlocks: 0
; VGPRBlocks: 0
; NumSGPRsForWavesPerEU: 19
; NumVGPRsForWavesPerEU: 10
; NamedBarCnt: 0
; Occupancy: 16
; WaveLimiterHint : 0
; COMPUTE_PGM_RSRC2:SCRATCH_EN: 0
; COMPUTE_PGM_RSRC2:USER_SGPR: 2
; COMPUTE_PGM_RSRC2:TRAP_HANDLER: 0
; COMPUTE_PGM_RSRC2:TGID_X_EN: 1
; COMPUTE_PGM_RSRC2:TGID_Y_EN: 0
; COMPUTE_PGM_RSRC2:TGID_Z_EN: 0
; COMPUTE_PGM_RSRC2:TIDIG_COMP_CNT: 0
	.section	.text._ZN7rocprim17ROCPRIM_400000_NS6detail30init_device_scan_by_key_kernelINS1_19lookback_scan_stateINS0_5tupleIJ11FixedVectorIiLj2EEbEEELb0ELb1EEENS1_16block_id_wrapperIjLb0EEEEEvT_jjPNSB_10value_typeET0_,"axG",@progbits,_ZN7rocprim17ROCPRIM_400000_NS6detail30init_device_scan_by_key_kernelINS1_19lookback_scan_stateINS0_5tupleIJ11FixedVectorIiLj2EEbEEELb0ELb1EEENS1_16block_id_wrapperIjLb0EEEEEvT_jjPNSB_10value_typeET0_,comdat
	.protected	_ZN7rocprim17ROCPRIM_400000_NS6detail30init_device_scan_by_key_kernelINS1_19lookback_scan_stateINS0_5tupleIJ11FixedVectorIiLj2EEbEEELb0ELb1EEENS1_16block_id_wrapperIjLb0EEEEEvT_jjPNSB_10value_typeET0_ ; -- Begin function _ZN7rocprim17ROCPRIM_400000_NS6detail30init_device_scan_by_key_kernelINS1_19lookback_scan_stateINS0_5tupleIJ11FixedVectorIiLj2EEbEEELb0ELb1EEENS1_16block_id_wrapperIjLb0EEEEEvT_jjPNSB_10value_typeET0_
	.globl	_ZN7rocprim17ROCPRIM_400000_NS6detail30init_device_scan_by_key_kernelINS1_19lookback_scan_stateINS0_5tupleIJ11FixedVectorIiLj2EEbEEELb0ELb1EEENS1_16block_id_wrapperIjLb0EEEEEvT_jjPNSB_10value_typeET0_
	.p2align	8
	.type	_ZN7rocprim17ROCPRIM_400000_NS6detail30init_device_scan_by_key_kernelINS1_19lookback_scan_stateINS0_5tupleIJ11FixedVectorIiLj2EEbEEELb0ELb1EEENS1_16block_id_wrapperIjLb0EEEEEvT_jjPNSB_10value_typeET0_,@function
_ZN7rocprim17ROCPRIM_400000_NS6detail30init_device_scan_by_key_kernelINS1_19lookback_scan_stateINS0_5tupleIJ11FixedVectorIiLj2EEbEEELb0ELb1EEENS1_16block_id_wrapperIjLb0EEEEEvT_jjPNSB_10value_typeET0_: ; @_ZN7rocprim17ROCPRIM_400000_NS6detail30init_device_scan_by_key_kernelINS1_19lookback_scan_stateINS0_5tupleIJ11FixedVectorIiLj2EEbEEELb0ELb1EEENS1_16block_id_wrapperIjLb0EEEEEvT_jjPNSB_10value_typeET0_
; %bb.0:
	s_clause 0x2
	s_load_b32 s8, s[0:1], 0x2c
	s_load_b128 s[4:7], s[0:1], 0x0
	s_load_b64 s[2:3], s[0:1], 0x10
	s_wait_xcnt 0x0
	s_bfe_u32 s0, ttmp6, 0x4000c
	s_and_b32 s1, ttmp6, 15
	s_add_co_i32 s0, s0, 1
	s_getreg_b32 s9, hwreg(HW_REG_IB_STS2, 6, 4)
	s_mul_i32 s0, ttmp9, s0
	s_delay_alu instid0(SALU_CYCLE_1)
	s_add_co_i32 s1, s1, s0
	s_wait_kmcnt 0x0
	s_and_b32 s8, s8, 0xffff
	s_cmp_eq_u32 s9, 0
	s_cselect_b32 s0, ttmp9, s1
	s_cmp_eq_u64 s[2:3], 0
	v_mad_u32 v8, s0, s8, v0
	s_cbranch_scc1 .LBB1950_8
; %bb.1:
	s_cmp_lt_u32 s7, s6
	s_mov_b32 s10, exec_lo
	s_cselect_b32 s0, s7, 0
	s_delay_alu instid0(VALU_DEP_1) | instid1(SALU_CYCLE_1)
	v_cmpx_eq_u32_e64 s0, v8
	s_cbranch_execz .LBB1950_7
; %bb.2:
	s_add_co_i32 s0, s7, 32
	s_mov_b32 s1, 0
	s_delay_alu instid0(SALU_CYCLE_1) | instskip(SKIP_2) | instid1(SALU_CYCLE_1)
	s_lshl_b64 s[8:9], s[0:1], 4
	s_mov_b32 s0, exec_lo
	s_add_nc_u64 s[8:9], s[4:5], s[8:9]
	v_mov_b64_e32 v[0:1], s[8:9]
	;;#ASMSTART
	global_load_b128 v[0:3], v[0:1] off scope:SCOPE_DEV	
s_wait_loadcnt 0x0
	;;#ASMEND
	s_delay_alu instid0(VALU_DEP_1) | instskip(SKIP_1) | instid1(VALU_DEP_1)
	v_dual_mov_b32 v4, 0 :: v_dual_mov_b32 v6, v1
	v_and_b32_e32 v5, 0xff, v3
	v_cmpx_eq_u64_e32 0, v[4:5]
	s_cbranch_execz .LBB1950_6
; %bb.3:
	v_mov_b64_e32 v[6:7], s[8:9]
.LBB1950_4:                             ; =>This Inner Loop Header: Depth=1
	;;#ASMSTART
	global_load_b128 v[0:3], v[6:7] off scope:SCOPE_DEV	
s_wait_loadcnt 0x0
	;;#ASMEND
	v_and_b32_e32 v5, 0xff, v3
	s_delay_alu instid0(VALU_DEP_1) | instskip(SKIP_1) | instid1(SALU_CYCLE_1)
	v_cmp_ne_u64_e32 vcc_lo, 0, v[4:5]
	s_or_b32 s1, vcc_lo, s1
	s_and_not1_b32 exec_lo, exec_lo, s1
	s_cbranch_execnz .LBB1950_4
; %bb.5:
	s_or_b32 exec_lo, exec_lo, s1
	v_mov_b32_e32 v6, v1
.LBB1950_6:
	s_or_b32 exec_lo, exec_lo, s0
	s_delay_alu instid0(VALU_DEP_1)
	v_dual_mov_b32 v3, 0 :: v_dual_mov_b32 v1, v6
	s_clause 0x1
	global_store_b64 v3, v[0:1], s[2:3]
	global_store_b8 v3, v2, s[2:3] offset:8
.LBB1950_7:
	s_wait_xcnt 0x0
	s_or_b32 exec_lo, exec_lo, s10
.LBB1950_8:
	s_delay_alu instid0(SALU_CYCLE_1) | instskip(NEXT) | instid1(VALU_DEP_1)
	s_mov_b32 s0, exec_lo
	v_cmpx_gt_u32_e64 s6, v8
	s_cbranch_execz .LBB1950_10
; %bb.9:
	v_dual_mov_b32 v0, 0 :: v_dual_add_nc_u32 v4, 32, v8
	s_delay_alu instid0(VALU_DEP_1)
	v_dual_mov_b32 v1, v0 :: v_dual_mov_b32 v2, v0
	v_mov_b32_e32 v3, v0
	global_store_b128 v4, v[0:3], s[4:5] scale_offset
.LBB1950_10:
	s_wait_xcnt 0x0
	s_or_b32 exec_lo, exec_lo, s0
	s_delay_alu instid0(SALU_CYCLE_1)
	s_mov_b32 s0, exec_lo
	v_cmpx_gt_u32_e32 32, v8
	s_cbranch_execz .LBB1950_12
; %bb.11:
	v_dual_mov_b32 v0, 0 :: v_dual_mov_b32 v3, 0xff
	s_delay_alu instid0(VALU_DEP_1)
	v_dual_mov_b32 v1, v0 :: v_dual_mov_b32 v2, v0
	global_store_b128 v8, v[0:3], s[4:5] scale_offset
.LBB1950_12:
	s_endpgm
	.section	.rodata,"a",@progbits
	.p2align	6, 0x0
	.amdhsa_kernel _ZN7rocprim17ROCPRIM_400000_NS6detail30init_device_scan_by_key_kernelINS1_19lookback_scan_stateINS0_5tupleIJ11FixedVectorIiLj2EEbEEELb0ELb1EEENS1_16block_id_wrapperIjLb0EEEEEvT_jjPNSB_10value_typeET0_
		.amdhsa_group_segment_fixed_size 0
		.amdhsa_private_segment_fixed_size 0
		.amdhsa_kernarg_size 288
		.amdhsa_user_sgpr_count 2
		.amdhsa_user_sgpr_dispatch_ptr 0
		.amdhsa_user_sgpr_queue_ptr 0
		.amdhsa_user_sgpr_kernarg_segment_ptr 1
		.amdhsa_user_sgpr_dispatch_id 0
		.amdhsa_user_sgpr_kernarg_preload_length 0
		.amdhsa_user_sgpr_kernarg_preload_offset 0
		.amdhsa_user_sgpr_private_segment_size 0
		.amdhsa_wavefront_size32 1
		.amdhsa_uses_dynamic_stack 0
		.amdhsa_enable_private_segment 0
		.amdhsa_system_sgpr_workgroup_id_x 1
		.amdhsa_system_sgpr_workgroup_id_y 0
		.amdhsa_system_sgpr_workgroup_id_z 0
		.amdhsa_system_sgpr_workgroup_info 0
		.amdhsa_system_vgpr_workitem_id 0
		.amdhsa_next_free_vgpr 9
		.amdhsa_next_free_sgpr 11
		.amdhsa_named_barrier_count 0
		.amdhsa_reserve_vcc 1
		.amdhsa_float_round_mode_32 0
		.amdhsa_float_round_mode_16_64 0
		.amdhsa_float_denorm_mode_32 3
		.amdhsa_float_denorm_mode_16_64 3
		.amdhsa_fp16_overflow 0
		.amdhsa_memory_ordered 1
		.amdhsa_forward_progress 1
		.amdhsa_inst_pref_size 4
		.amdhsa_round_robin_scheduling 0
		.amdhsa_exception_fp_ieee_invalid_op 0
		.amdhsa_exception_fp_denorm_src 0
		.amdhsa_exception_fp_ieee_div_zero 0
		.amdhsa_exception_fp_ieee_overflow 0
		.amdhsa_exception_fp_ieee_underflow 0
		.amdhsa_exception_fp_ieee_inexact 0
		.amdhsa_exception_int_div_zero 0
	.end_amdhsa_kernel
	.section	.text._ZN7rocprim17ROCPRIM_400000_NS6detail30init_device_scan_by_key_kernelINS1_19lookback_scan_stateINS0_5tupleIJ11FixedVectorIiLj2EEbEEELb0ELb1EEENS1_16block_id_wrapperIjLb0EEEEEvT_jjPNSB_10value_typeET0_,"axG",@progbits,_ZN7rocprim17ROCPRIM_400000_NS6detail30init_device_scan_by_key_kernelINS1_19lookback_scan_stateINS0_5tupleIJ11FixedVectorIiLj2EEbEEELb0ELb1EEENS1_16block_id_wrapperIjLb0EEEEEvT_jjPNSB_10value_typeET0_,comdat
.Lfunc_end1950:
	.size	_ZN7rocprim17ROCPRIM_400000_NS6detail30init_device_scan_by_key_kernelINS1_19lookback_scan_stateINS0_5tupleIJ11FixedVectorIiLj2EEbEEELb0ELb1EEENS1_16block_id_wrapperIjLb0EEEEEvT_jjPNSB_10value_typeET0_, .Lfunc_end1950-_ZN7rocprim17ROCPRIM_400000_NS6detail30init_device_scan_by_key_kernelINS1_19lookback_scan_stateINS0_5tupleIJ11FixedVectorIiLj2EEbEEELb0ELb1EEENS1_16block_id_wrapperIjLb0EEEEEvT_jjPNSB_10value_typeET0_
                                        ; -- End function
	.set _ZN7rocprim17ROCPRIM_400000_NS6detail30init_device_scan_by_key_kernelINS1_19lookback_scan_stateINS0_5tupleIJ11FixedVectorIiLj2EEbEEELb0ELb1EEENS1_16block_id_wrapperIjLb0EEEEEvT_jjPNSB_10value_typeET0_.num_vgpr, 9
	.set _ZN7rocprim17ROCPRIM_400000_NS6detail30init_device_scan_by_key_kernelINS1_19lookback_scan_stateINS0_5tupleIJ11FixedVectorIiLj2EEbEEELb0ELb1EEENS1_16block_id_wrapperIjLb0EEEEEvT_jjPNSB_10value_typeET0_.num_agpr, 0
	.set _ZN7rocprim17ROCPRIM_400000_NS6detail30init_device_scan_by_key_kernelINS1_19lookback_scan_stateINS0_5tupleIJ11FixedVectorIiLj2EEbEEELb0ELb1EEENS1_16block_id_wrapperIjLb0EEEEEvT_jjPNSB_10value_typeET0_.numbered_sgpr, 11
	.set _ZN7rocprim17ROCPRIM_400000_NS6detail30init_device_scan_by_key_kernelINS1_19lookback_scan_stateINS0_5tupleIJ11FixedVectorIiLj2EEbEEELb0ELb1EEENS1_16block_id_wrapperIjLb0EEEEEvT_jjPNSB_10value_typeET0_.num_named_barrier, 0
	.set _ZN7rocprim17ROCPRIM_400000_NS6detail30init_device_scan_by_key_kernelINS1_19lookback_scan_stateINS0_5tupleIJ11FixedVectorIiLj2EEbEEELb0ELb1EEENS1_16block_id_wrapperIjLb0EEEEEvT_jjPNSB_10value_typeET0_.private_seg_size, 0
	.set _ZN7rocprim17ROCPRIM_400000_NS6detail30init_device_scan_by_key_kernelINS1_19lookback_scan_stateINS0_5tupleIJ11FixedVectorIiLj2EEbEEELb0ELb1EEENS1_16block_id_wrapperIjLb0EEEEEvT_jjPNSB_10value_typeET0_.uses_vcc, 1
	.set _ZN7rocprim17ROCPRIM_400000_NS6detail30init_device_scan_by_key_kernelINS1_19lookback_scan_stateINS0_5tupleIJ11FixedVectorIiLj2EEbEEELb0ELb1EEENS1_16block_id_wrapperIjLb0EEEEEvT_jjPNSB_10value_typeET0_.uses_flat_scratch, 0
	.set _ZN7rocprim17ROCPRIM_400000_NS6detail30init_device_scan_by_key_kernelINS1_19lookback_scan_stateINS0_5tupleIJ11FixedVectorIiLj2EEbEEELb0ELb1EEENS1_16block_id_wrapperIjLb0EEEEEvT_jjPNSB_10value_typeET0_.has_dyn_sized_stack, 0
	.set _ZN7rocprim17ROCPRIM_400000_NS6detail30init_device_scan_by_key_kernelINS1_19lookback_scan_stateINS0_5tupleIJ11FixedVectorIiLj2EEbEEELb0ELb1EEENS1_16block_id_wrapperIjLb0EEEEEvT_jjPNSB_10value_typeET0_.has_recursion, 0
	.set _ZN7rocprim17ROCPRIM_400000_NS6detail30init_device_scan_by_key_kernelINS1_19lookback_scan_stateINS0_5tupleIJ11FixedVectorIiLj2EEbEEELb0ELb1EEENS1_16block_id_wrapperIjLb0EEEEEvT_jjPNSB_10value_typeET0_.has_indirect_call, 0
	.section	.AMDGPU.csdata,"",@progbits
; Kernel info:
; codeLenInByte = 408
; TotalNumSgprs: 13
; NumVgprs: 9
; ScratchSize: 0
; MemoryBound: 0
; FloatMode: 240
; IeeeMode: 1
; LDSByteSize: 0 bytes/workgroup (compile time only)
; SGPRBlocks: 0
; VGPRBlocks: 0
; NumSGPRsForWavesPerEU: 13
; NumVGPRsForWavesPerEU: 9
; NamedBarCnt: 0
; Occupancy: 16
; WaveLimiterHint : 0
; COMPUTE_PGM_RSRC2:SCRATCH_EN: 0
; COMPUTE_PGM_RSRC2:USER_SGPR: 2
; COMPUTE_PGM_RSRC2:TRAP_HANDLER: 0
; COMPUTE_PGM_RSRC2:TGID_X_EN: 1
; COMPUTE_PGM_RSRC2:TGID_Y_EN: 0
; COMPUTE_PGM_RSRC2:TGID_Z_EN: 0
; COMPUTE_PGM_RSRC2:TIDIG_COMP_CNT: 0
	.section	.text._ZN7rocprim17ROCPRIM_400000_NS6detail17trampoline_kernelINS0_14default_configENS1_27scan_by_key_config_selectorIj11FixedVectorIiLj2EEEEZZNS1_16scan_by_key_implILNS1_25lookback_scan_determinismE0ELb0ES3_N6thrust23THRUST_200600_302600_NS6detail15normal_iteratorINSB_10device_ptrIjEEEENSD_INSE_IS6_EEEESI_S6_NSB_4plusIvEENSB_8equal_toIvEES6_EE10hipError_tPvRmT2_T3_T4_T5_mT6_T7_P12ihipStream_tbENKUlT_T0_E_clISt17integral_constantIbLb0EES13_EEDaSY_SZ_EUlSY_E_NS1_11comp_targetILNS1_3genE0ELNS1_11target_archE4294967295ELNS1_3gpuE0ELNS1_3repE0EEENS1_30default_config_static_selectorELNS0_4arch9wavefront6targetE0EEEvT1_,"axG",@progbits,_ZN7rocprim17ROCPRIM_400000_NS6detail17trampoline_kernelINS0_14default_configENS1_27scan_by_key_config_selectorIj11FixedVectorIiLj2EEEEZZNS1_16scan_by_key_implILNS1_25lookback_scan_determinismE0ELb0ES3_N6thrust23THRUST_200600_302600_NS6detail15normal_iteratorINSB_10device_ptrIjEEEENSD_INSE_IS6_EEEESI_S6_NSB_4plusIvEENSB_8equal_toIvEES6_EE10hipError_tPvRmT2_T3_T4_T5_mT6_T7_P12ihipStream_tbENKUlT_T0_E_clISt17integral_constantIbLb0EES13_EEDaSY_SZ_EUlSY_E_NS1_11comp_targetILNS1_3genE0ELNS1_11target_archE4294967295ELNS1_3gpuE0ELNS1_3repE0EEENS1_30default_config_static_selectorELNS0_4arch9wavefront6targetE0EEEvT1_,comdat
	.protected	_ZN7rocprim17ROCPRIM_400000_NS6detail17trampoline_kernelINS0_14default_configENS1_27scan_by_key_config_selectorIj11FixedVectorIiLj2EEEEZZNS1_16scan_by_key_implILNS1_25lookback_scan_determinismE0ELb0ES3_N6thrust23THRUST_200600_302600_NS6detail15normal_iteratorINSB_10device_ptrIjEEEENSD_INSE_IS6_EEEESI_S6_NSB_4plusIvEENSB_8equal_toIvEES6_EE10hipError_tPvRmT2_T3_T4_T5_mT6_T7_P12ihipStream_tbENKUlT_T0_E_clISt17integral_constantIbLb0EES13_EEDaSY_SZ_EUlSY_E_NS1_11comp_targetILNS1_3genE0ELNS1_11target_archE4294967295ELNS1_3gpuE0ELNS1_3repE0EEENS1_30default_config_static_selectorELNS0_4arch9wavefront6targetE0EEEvT1_ ; -- Begin function _ZN7rocprim17ROCPRIM_400000_NS6detail17trampoline_kernelINS0_14default_configENS1_27scan_by_key_config_selectorIj11FixedVectorIiLj2EEEEZZNS1_16scan_by_key_implILNS1_25lookback_scan_determinismE0ELb0ES3_N6thrust23THRUST_200600_302600_NS6detail15normal_iteratorINSB_10device_ptrIjEEEENSD_INSE_IS6_EEEESI_S6_NSB_4plusIvEENSB_8equal_toIvEES6_EE10hipError_tPvRmT2_T3_T4_T5_mT6_T7_P12ihipStream_tbENKUlT_T0_E_clISt17integral_constantIbLb0EES13_EEDaSY_SZ_EUlSY_E_NS1_11comp_targetILNS1_3genE0ELNS1_11target_archE4294967295ELNS1_3gpuE0ELNS1_3repE0EEENS1_30default_config_static_selectorELNS0_4arch9wavefront6targetE0EEEvT1_
	.globl	_ZN7rocprim17ROCPRIM_400000_NS6detail17trampoline_kernelINS0_14default_configENS1_27scan_by_key_config_selectorIj11FixedVectorIiLj2EEEEZZNS1_16scan_by_key_implILNS1_25lookback_scan_determinismE0ELb0ES3_N6thrust23THRUST_200600_302600_NS6detail15normal_iteratorINSB_10device_ptrIjEEEENSD_INSE_IS6_EEEESI_S6_NSB_4plusIvEENSB_8equal_toIvEES6_EE10hipError_tPvRmT2_T3_T4_T5_mT6_T7_P12ihipStream_tbENKUlT_T0_E_clISt17integral_constantIbLb0EES13_EEDaSY_SZ_EUlSY_E_NS1_11comp_targetILNS1_3genE0ELNS1_11target_archE4294967295ELNS1_3gpuE0ELNS1_3repE0EEENS1_30default_config_static_selectorELNS0_4arch9wavefront6targetE0EEEvT1_
	.p2align	8
	.type	_ZN7rocprim17ROCPRIM_400000_NS6detail17trampoline_kernelINS0_14default_configENS1_27scan_by_key_config_selectorIj11FixedVectorIiLj2EEEEZZNS1_16scan_by_key_implILNS1_25lookback_scan_determinismE0ELb0ES3_N6thrust23THRUST_200600_302600_NS6detail15normal_iteratorINSB_10device_ptrIjEEEENSD_INSE_IS6_EEEESI_S6_NSB_4plusIvEENSB_8equal_toIvEES6_EE10hipError_tPvRmT2_T3_T4_T5_mT6_T7_P12ihipStream_tbENKUlT_T0_E_clISt17integral_constantIbLb0EES13_EEDaSY_SZ_EUlSY_E_NS1_11comp_targetILNS1_3genE0ELNS1_11target_archE4294967295ELNS1_3gpuE0ELNS1_3repE0EEENS1_30default_config_static_selectorELNS0_4arch9wavefront6targetE0EEEvT1_,@function
_ZN7rocprim17ROCPRIM_400000_NS6detail17trampoline_kernelINS0_14default_configENS1_27scan_by_key_config_selectorIj11FixedVectorIiLj2EEEEZZNS1_16scan_by_key_implILNS1_25lookback_scan_determinismE0ELb0ES3_N6thrust23THRUST_200600_302600_NS6detail15normal_iteratorINSB_10device_ptrIjEEEENSD_INSE_IS6_EEEESI_S6_NSB_4plusIvEENSB_8equal_toIvEES6_EE10hipError_tPvRmT2_T3_T4_T5_mT6_T7_P12ihipStream_tbENKUlT_T0_E_clISt17integral_constantIbLb0EES13_EEDaSY_SZ_EUlSY_E_NS1_11comp_targetILNS1_3genE0ELNS1_11target_archE4294967295ELNS1_3gpuE0ELNS1_3repE0EEENS1_30default_config_static_selectorELNS0_4arch9wavefront6targetE0EEEvT1_: ; @_ZN7rocprim17ROCPRIM_400000_NS6detail17trampoline_kernelINS0_14default_configENS1_27scan_by_key_config_selectorIj11FixedVectorIiLj2EEEEZZNS1_16scan_by_key_implILNS1_25lookback_scan_determinismE0ELb0ES3_N6thrust23THRUST_200600_302600_NS6detail15normal_iteratorINSB_10device_ptrIjEEEENSD_INSE_IS6_EEEESI_S6_NSB_4plusIvEENSB_8equal_toIvEES6_EE10hipError_tPvRmT2_T3_T4_T5_mT6_T7_P12ihipStream_tbENKUlT_T0_E_clISt17integral_constantIbLb0EES13_EEDaSY_SZ_EUlSY_E_NS1_11comp_targetILNS1_3genE0ELNS1_11target_archE4294967295ELNS1_3gpuE0ELNS1_3repE0EEENS1_30default_config_static_selectorELNS0_4arch9wavefront6targetE0EEEvT1_
; %bb.0:
	s_clause 0x3
	s_load_b256 s[8:15], s[0:1], 0x0
	s_load_b256 s[16:23], s[0:1], 0x50
	s_load_b96 s[28:30], s[0:1], 0x40
	s_load_b128 s[24:27], s[0:1], 0x30
	s_getreg_b32 s4, hwreg(HW_REG_IB_STS2, 6, 4)
	s_wait_xcnt 0x0
	s_mov_b32 s1, 0
	s_barrier_signal -1
	s_barrier_wait -1
	s_wait_kmcnt 0x0
	s_lshl_b64 s[34:35], s[10:11], 3
	s_lshl_b64 s[2:3], s[10:11], 2
	s_cmp_lg_u64 s[20:21], 0
	s_mov_b32 s21, s1
	s_cselect_b32 s33, -1, 0
	s_bfe_u32 s0, ttmp6, 0x4000c
	s_and_b32 s5, ttmp6, 15
	s_add_co_i32 s0, s0, 1
	s_add_nc_u64 s[2:3], s[8:9], s[2:3]
	s_mul_i32 s6, ttmp9, s0
	s_mov_b32 s0, s30
	s_add_co_i32 s6, s5, s6
	s_cmp_eq_u32 s4, 0
	s_mul_u64 s[4:5], s[28:29], s[0:1]
	s_cselect_b32 s20, ttmp9, s6
	s_add_nc_u64 s[6:7], s[12:13], s[34:35]
	s_add_nc_u64 s[30:31], s[4:5], s[20:21]
	s_add_nc_u64 s[4:5], s[16:17], -1
	s_mul_i32 s0, s20, 0x500
	v_cmp_ge_u64_e64 s27, s[30:31], s[4:5]
	s_lshl_b64 s[8:9], s[0:1], 2
	s_lshl_b64 s[16:17], s[0:1], 3
	s_add_nc_u64 s[12:13], s[2:3], s[8:9]
	s_add_nc_u64 s[10:11], s[6:7], s[16:17]
	s_mul_i32 s21, s4, 0xfffffb00
	s_and_b32 vcc_lo, exec_lo, s27
	s_cbranch_vccz .LBB1951_24
; %bb.1:
	v_mov_b32_e32 v1, 0
	s_add_co_i32 s38, s21, s26
	s_delay_alu instid0(SALU_CYCLE_1)
	v_cmp_gt_u32_e64 s0, s38, v0
	flat_load_b32 v1, v1, s[12:13]
	s_wait_loadcnt_dscnt 0x0
	v_mov_b32_e32 v2, v1
	s_and_saveexec_b32 s1, s0
	s_cbranch_execz .LBB1951_3
; %bb.2:
	flat_load_b32 v2, v0, s[12:13] scale_offset
.LBB1951_3:
	s_wait_xcnt 0x0
	s_or_b32 exec_lo, exec_lo, s1
	v_or_b32_e32 v3, 0x80, v0
	s_delay_alu instid0(VALU_DEP_1)
	v_cmp_gt_u32_e64 s1, s38, v3
	v_mov_b32_e32 v3, v1
	s_and_saveexec_b32 s2, s1
	s_cbranch_execz .LBB1951_5
; %bb.4:
	flat_load_b32 v3, v0, s[12:13] offset:512 scale_offset
.LBB1951_5:
	s_wait_xcnt 0x0
	s_or_b32 exec_lo, exec_lo, s2
	v_or_b32_e32 v4, 0x100, v0
	s_delay_alu instid0(VALU_DEP_1)
	v_cmp_gt_u32_e64 s2, s38, v4
	v_mov_b32_e32 v4, v1
	s_and_saveexec_b32 s3, s2
	s_cbranch_execz .LBB1951_7
; %bb.6:
	flat_load_b32 v4, v0, s[12:13] offset:1024 scale_offset
.LBB1951_7:
	;; [unrolled: 11-line block ×8, first 2 shown]
	s_wait_xcnt 0x0
	s_or_b32 exec_lo, exec_lo, s9
	v_or_b32_e32 v11, 0x480, v0
	s_mov_b32 s36, exec_lo
	s_delay_alu instid0(VALU_DEP_1) | instskip(SKIP_2) | instid1(SALU_CYCLE_1)
	v_cmp_gt_u32_e64 s9, s38, v11
	v_cmpx_le_u32_e64 s38, v11
	s_xor_b32 s36, exec_lo, s36
	s_and_not1_saveexec_b32 s36, s36
	s_cbranch_execz .LBB1951_21
; %bb.20:
	flat_load_b32 v1, v0, s[12:13] offset:4608 scale_offset
.LBB1951_21:
	s_wait_xcnt 0x0
	s_or_b32 exec_lo, exec_lo, s36
	v_lshlrev_b32_e32 v11, 2, v0
	s_cmp_eq_u64 s[30:31], 0
	s_mov_b64 s[36:37], s[12:13]
	s_wait_loadcnt_dscnt 0x0
	ds_store_2addr_stride64_b32 v11, v2, v3 offset1:2
	ds_store_2addr_stride64_b32 v11, v4, v5 offset0:4 offset1:6
	ds_store_2addr_stride64_b32 v11, v6, v7 offset0:8 offset1:10
	;; [unrolled: 1-line block ×4, first 2 shown]
	v_mad_u32_u24 v1, v0, 36, v11
	s_wait_dscnt 0x0
	s_barrier_signal -1
	s_barrier_wait -1
	ds_load_2addr_b64 v[32:35], v1 offset1:1
	ds_load_2addr_b64 v[24:27], v1 offset0:2 offset1:3
	ds_load_b64 v[48:49], v1 offset:32
	s_cbranch_scc1 .LBB1951_27
; %bb.22:
	s_and_not1_b32 vcc_lo, exec_lo, s33
	s_cbranch_vccnz .LBB1951_25
; %bb.23:
	s_lshl_b64 s[36:37], s[30:31], 2
	s_mov_b32 s39, 0
	s_add_nc_u64 s[36:37], s[22:23], s[36:37]
	s_delay_alu instid0(SALU_CYCLE_1)
	s_add_nc_u64 s[36:37], s[36:37], -4
	s_branch .LBB1951_26
.LBB1951_24:
                                        ; implicit-def: $sgpr36
                                        ; implicit-def: $vgpr8_vgpr9
                                        ; implicit-def: $vgpr2_vgpr3
                                        ; implicit-def: $vgpr20_vgpr21
                                        ; implicit-def: $vgpr16_vgpr17
                                        ; implicit-def: $vgpr12_vgpr13
                                        ; implicit-def: $vgpr1
                                        ; implicit-def: $vgpr52
                                        ; implicit-def: $vgpr53
                                        ; implicit-def: $vgpr54
                                        ; implicit-def: $vgpr56
                                        ; implicit-def: $vgpr59
                                        ; implicit-def: $vgpr30
                                        ; implicit-def: $vgpr28
                                        ; implicit-def: $vgpr46_vgpr47
                                        ; implicit-def: $vgpr44_vgpr45
                                        ; implicit-def: $vgpr42_vgpr43
                                        ; implicit-def: $vgpr40_vgpr41
                                        ; implicit-def: $vgpr38_vgpr39
                                        ; implicit-def: $vgpr36_vgpr37
                                        ; implicit-def: $vgpr10_vgpr11
                                        ; implicit-def: $vgpr55
                                        ; implicit-def: $vgpr64
                                        ; implicit-def: $vgpr57
                                        ; implicit-def: $vgpr58
                                        ; implicit-def: $vgpr65
                                        ; implicit-def: $vgpr66
                                        ; implicit-def: $vgpr60
                                        ; implicit-def: $vgpr51
                                        ; implicit-def: $vgpr50
	s_cbranch_execnz .LBB1951_68
	s_branch .LBB1951_76
.LBB1951_25:
	s_add_nc_u64 s[36:37], s[12:13], -4
	s_mov_b32 s39, -1
.LBB1951_26:
	s_delay_alu instid0(SALU_CYCLE_1)
	s_and_not1_b32 vcc_lo, exec_lo, s39
.LBB1951_27:
	v_mov_b32_e32 v2, 0
	v_mad_i32_i24 v1, 0xffffffdc, v0, v1
	flat_load_b32 v29, v2, s[36:37]
	s_wait_xcnt 0x0
	s_mov_b32 s36, exec_lo
	s_wait_dscnt 0x1
	ds_store_b32 v1, v49 offset:5120
	s_wait_loadcnt_dscnt 0x0
	s_barrier_signal -1
	s_barrier_wait -1
	v_cmpx_ne_u32_e32 0, v0
; %bb.28:
	ds_load_b32 v29, v1 offset:5116
; %bb.29:
	s_or_b32 exec_lo, exec_lo, s36
	v_mov_b64_e32 v[2:3], 0
	v_mov_b64_e32 v[4:5], 0
	s_wait_dscnt 0x0
	s_barrier_signal -1
	s_barrier_wait -1
	s_and_saveexec_b32 s36, s0
	s_cbranch_execz .LBB1951_31
; %bb.30:
	flat_load_b64 v[4:5], v0, s[10:11] scale_offset
.LBB1951_31:
	s_wait_xcnt 0x0
	s_or_b32 exec_lo, exec_lo, s36
	s_and_saveexec_b32 s0, s1
	s_cbranch_execz .LBB1951_33
; %bb.32:
	flat_load_b64 v[2:3], v0, s[10:11] offset:1024 scale_offset
.LBB1951_33:
	s_wait_xcnt 0x0
	s_or_b32 exec_lo, exec_lo, s0
	v_mov_b64_e32 v[6:7], 0
	v_mov_b64_e32 v[8:9], 0
	s_and_saveexec_b32 s0, s2
	s_cbranch_execz .LBB1951_35
; %bb.34:
	flat_load_b64 v[8:9], v0, s[10:11] offset:2048 scale_offset
.LBB1951_35:
	s_wait_xcnt 0x0
	s_or_b32 exec_lo, exec_lo, s0
	s_and_saveexec_b32 s0, s3
	s_cbranch_execz .LBB1951_37
; %bb.36:
	flat_load_b64 v[6:7], v0, s[10:11] offset:3072 scale_offset
.LBB1951_37:
	s_wait_xcnt 0x0
	s_or_b32 exec_lo, exec_lo, s0
	v_mov_b64_e32 v[10:11], 0
	v_mov_b64_e32 v[12:13], 0
	s_and_saveexec_b32 s0, s4
	s_cbranch_execz .LBB1951_39
; %bb.38:
	flat_load_b64 v[12:13], v0, s[10:11] offset:4096 scale_offset
.LBB1951_39:
	;; [unrolled: 16-line block ×4, first 2 shown]
	s_wait_xcnt 0x0
	s_or_b32 exec_lo, exec_lo, s0
	s_and_saveexec_b32 s0, s9
	s_cbranch_execz .LBB1951_49
; %bb.48:
	flat_load_b64 v[18:19], v0, s[10:11] offset:9216 scale_offset
.LBB1951_49:
	s_wait_xcnt 0x0
	s_or_b32 exec_lo, exec_lo, s0
	v_lshl_add_u32 v31, v0, 2, v1
	v_mul_u32_u24_e32 v61, 10, v0
	v_mov_b64_e32 v[22:23], 0
	v_mov_b64_e32 v[46:47], 0
	;; [unrolled: 1-line block ×3, first 2 shown]
	s_wait_loadcnt_dscnt 0x0
	ds_store_2addr_stride64_b64 v31, v[4:5], v[2:3] offset1:2
	ds_store_2addr_stride64_b64 v31, v[8:9], v[6:7] offset0:4 offset1:6
	ds_store_2addr_stride64_b64 v31, v[12:13], v[10:11] offset0:8 offset1:10
	;; [unrolled: 1-line block ×4, first 2 shown]
	v_mov_b64_e32 v[2:3], 0
	v_mov_b64_e32 v[4:5], 0
	;; [unrolled: 1-line block ×13, first 2 shown]
	v_cmp_gt_u32_e32 vcc_lo, s38, v61
	v_dual_mov_b32 v1, 0 :: v_dual_mov_b32 v52, 0
	v_dual_mov_b32 v53, 0 :: v_dual_mov_b32 v54, 0
	;; [unrolled: 1-line block ×8, first 2 shown]
	v_mov_b32_e32 v50, 0
	s_mov_b32 s9, 0
	s_mov_b32 s1, 0
	s_wait_dscnt 0x0
	s_barrier_signal -1
	s_barrier_wait -1
                                        ; implicit-def: $sgpr36
	s_and_saveexec_b32 s37, vcc_lo
	s_cbranch_execz .LBB1951_67
; %bb.50:
	v_mad_u32_u24 v2, 0x48, v0, v31
	v_dual_mov_b32 v1, 0 :: v_dual_bitop2_b32 v4, 1, v61 bitop3:0x54
	v_mov_b64_e32 v[20:21], 0
	v_mov_b64_e32 v[22:23], 0
	ds_load_b64 v[2:3], v2
	v_cmp_gt_u32_e64 s0, s38, v4
	v_mov_b64_e32 v[4:5], 0
	v_mov_b64_e32 v[16:17], 0
	;; [unrolled: 1-line block ×12, first 2 shown]
	v_dual_mov_b32 v52, 0 :: v_dual_mov_b32 v53, 0
	v_dual_mov_b32 v54, 0 :: v_dual_mov_b32 v56, 0
	;; [unrolled: 1-line block ×7, first 2 shown]
	v_cmp_ne_u32_e32 vcc_lo, v29, v32
                                        ; implicit-def: $sgpr36
	s_and_saveexec_b32 s39, s0
	s_cbranch_execz .LBB1951_66
; %bb.51:
	v_mul_u32_u24_e32 v4, 0x48, v0
	v_dual_add_nc_u32 v5, 2, v61 :: v_dual_mov_b32 v1, 0
	v_mov_b64_e32 v[20:21], 0
	v_mov_b64_e32 v[22:23], 0
	s_delay_alu instid0(VALU_DEP_4)
	v_dual_add_nc_u32 v4, v31, v4 :: v_dual_mov_b32 v52, 0
	v_mov_b64_e32 v[16:17], 0
	v_mov_b64_e32 v[18:19], 0
	;; [unrolled: 1-line block ×3, first 2 shown]
	ds_load_2addr_b64 v[28:31], v4 offset0:1 offset1:2
	v_mov_b64_e32 v[14:15], 0
	v_mov_b64_e32 v[42:43], 0
	;; [unrolled: 1-line block ×7, first 2 shown]
	v_cmp_ne_u32_e64 s0, v32, v33
	v_cmp_gt_u32_e64 s1, s38, v5
	v_dual_mov_b32 v53, 0 :: v_dual_mov_b32 v54, 0
	v_dual_mov_b32 v56, 0 :: v_dual_mov_b32 v59, 0
	;; [unrolled: 1-line block ×5, first 2 shown]
	v_mov_b32_e32 v60, 0
	s_mov_b32 s2, 0
                                        ; implicit-def: $sgpr36
	s_and_saveexec_b32 s40, s1
	s_cbranch_execz .LBB1951_65
; %bb.52:
	v_dual_add_nc_u32 v5, 3, v61 :: v_dual_mov_b32 v1, 0
	v_mov_b64_e32 v[22:23], 0
	v_mov_b64_e32 v[16:17], 0
	;; [unrolled: 1-line block ×10, first 2 shown]
	v_cmp_ne_u32_e64 s1, v33, v34
	v_cmp_gt_u32_e64 s2, s38, v5
	v_dual_mov_b32 v52, 0 :: v_dual_mov_b32 v53, 0
	v_dual_mov_b32 v54, 0 :: v_dual_mov_b32 v56, 0
	v_dual_mov_b32 v55, 0 :: v_dual_mov_b32 v64, 0
	v_dual_mov_b32 v57, 0 :: v_dual_mov_b32 v58, 0
	v_dual_mov_b32 v65, 0 :: v_dual_mov_b32 v66, 0
	s_mov_b32 s3, 0
                                        ; implicit-def: $sgpr36
	s_and_saveexec_b32 s41, s2
	s_cbranch_execz .LBB1951_64
; %bb.53:
	ds_load_2addr_b64 v[20:23], v4 offset0:3 offset1:4
	v_mov_b64_e32 v[16:17], 0
	v_mov_b64_e32 v[18:19], 0
	;; [unrolled: 1-line block ×8, first 2 shown]
	v_dual_add_nc_u32 v5, 4, v61 :: v_dual_mov_b32 v1, 0
	v_cmp_ne_u32_e64 s2, v34, v35
	v_dual_mov_b32 v52, 0 :: v_dual_mov_b32 v53, 0
	v_dual_mov_b32 v54, 0 :: v_dual_mov_b32 v55, 0
	;; [unrolled: 1-line block ×4, first 2 shown]
	s_mov_b32 s4, 0
	s_mov_b32 s42, exec_lo
                                        ; implicit-def: $sgpr36
	v_cmpx_gt_u32_e64 s38, v5
	s_cbranch_execz .LBB1951_63
; %bb.54:
	v_mov_b64_e32 v[18:19], 0
	v_mov_b64_e32 v[12:13], 0
	;; [unrolled: 1-line block ×6, first 2 shown]
	v_dual_add_nc_u32 v5, 5, v61 :: v_dual_mov_b32 v1, 0
	v_cmp_ne_u32_e64 s3, v35, v24
	v_dual_mov_b32 v52, 0 :: v_dual_mov_b32 v53, 0
	v_dual_mov_b32 v55, 0 :: v_dual_mov_b32 v64, 0
	;; [unrolled: 1-line block ×3, first 2 shown]
	s_mov_b32 s5, 0
	s_mov_b32 s43, exec_lo
                                        ; implicit-def: $sgpr36
	v_cmpx_gt_u32_e64 s38, v5
	s_cbranch_execz .LBB1951_62
; %bb.55:
	ds_load_2addr_b64 v[16:19], v4 offset0:5 offset1:6
	v_dual_mov_b32 v52, 0 :: v_dual_add_nc_u32 v1, 6, v61
	v_mov_b64_e32 v[12:13], 0
	v_mov_b64_e32 v[14:15], 0
	;; [unrolled: 1-line block ×4, first 2 shown]
	v_cmp_ne_u32_e64 s4, v24, v25
	v_cmp_gt_u32_e64 s5, s38, v1
	v_dual_mov_b32 v1, 0 :: v_dual_mov_b32 v55, 0
	v_mov_b32_e32 v57, 0
	s_mov_b32 s6, 0
                                        ; implicit-def: $sgpr36
	s_and_saveexec_b32 s44, s5
	s_cbranch_execz .LBB1951_61
; %bb.56:
	v_mov_b64_e32 v[10:11], 0
	v_mov_b64_e32 v[6:7], 0
	v_dual_add_nc_u32 v5, 7, v61 :: v_dual_mov_b32 v1, 0
	v_cmp_ne_u32_e64 s5, v25, v26
	v_mov_b32_e32 v55, 0
	s_mov_b32 s7, 0
	s_mov_b32 s45, exec_lo
                                        ; implicit-def: $sgpr36
	v_cmpx_gt_u32_e64 s38, v5
	s_cbranch_execz .LBB1951_60
; %bb.57:
	ds_load_2addr_b64 v[10:13], v4 offset0:7 offset1:8
	v_mov_b64_e32 v[6:7], 0
	v_dual_add_nc_u32 v1, 8, v61 :: v_dual_mov_b32 v55, 0
	v_cmp_ne_u32_e64 s6, v26, v27
	s_mov_b32 s8, 0
	s_mov_b32 s46, exec_lo
                                        ; implicit-def: $sgpr36
	v_cmpx_gt_u32_e64 s38, v1
	s_xor_b32 s46, exec_lo, s46
	s_cbranch_execz .LBB1951_59
; %bb.58:
	ds_load_b64 v[8:9], v4 offset:72
	v_add_nc_u32_e32 v1, 9, v61
	v_cmp_ne_u32_e64 s8, v27, v48
	s_wait_dscnt 0x1
	v_mov_b64_e32 v[6:7], v[12:13]
	v_cmp_ne_u32_e64 s36, v48, v49
	v_cmp_gt_u32_e64 s7, s38, v1
	v_cndmask_b32_e64 v55, 0, 1, s8
	s_and_b32 s8, s7, exec_lo
.LBB1951_59:
	s_or_b32 exec_lo, exec_lo, s46
	v_cndmask_b32_e64 v1, 0, 1, s6
	s_and_b32 s7, s8, exec_lo
.LBB1951_60:
	s_or_b32 exec_lo, exec_lo, s45
	v_cndmask_b32_e64 v52, 0, 1, s5
	s_wait_dscnt 0x0
	v_mov_b64_e32 v[12:13], v[18:19]
	v_mov_b64_e32 v[14:15], v[10:11]
	s_and_b32 s6, s7, exec_lo
	v_mov_b32_e32 v57, v52
.LBB1951_61:
	s_or_b32 exec_lo, exec_lo, s44
	v_cndmask_b32_e64 v53, 0, 1, s4
	s_wait_dscnt 0x0
	v_mov_b64_e32 v[18:19], v[16:17]
	v_mov_b64_e32 v[36:37], v[12:13]
	v_mov_b32_e32 v64, v1
	s_and_b32 s5, s6, exec_lo
	v_mov_b32_e32 v58, v53
.LBB1951_62:
	s_or_b32 exec_lo, exec_lo, s43
	v_cndmask_b32_e64 v54, 0, 1, s3
	s_wait_dscnt 0x0
	v_mov_b64_e32 v[16:17], v[22:23]
	v_mov_b64_e32 v[38:39], v[18:19]
	s_and_b32 s4, s5, exec_lo
	v_mov_b32_e32 v65, v54
.LBB1951_63:
	s_or_b32 exec_lo, exec_lo, s42
	v_cndmask_b32_e64 v56, 0, 1, s2
	s_wait_dscnt 0x0
	v_mov_b64_e32 v[22:23], v[20:21]
	v_mov_b64_e32 v[40:41], v[16:17]
	s_and_b32 s3, s4, exec_lo
	v_mov_b32_e32 v66, v56
.LBB1951_64:
	s_or_b32 exec_lo, exec_lo, s41
	v_cndmask_b32_e64 v59, 0, 1, s1
	s_wait_dscnt 0x0
	v_mov_b64_e32 v[20:21], v[30:31]
	v_mov_b64_e32 v[42:43], v[22:23]
	s_and_b32 s2, s3, exec_lo
	v_mov_b32_e32 v60, v59
.LBB1951_65:
	s_or_b32 exec_lo, exec_lo, s40
	s_wait_dscnt 0x0
	v_cndmask_b32_e64 v30, 0, 1, s0
	v_mov_b64_e32 v[4:5], v[28:29]
	v_mov_b64_e32 v[44:45], v[20:21]
	s_and_b32 s1, s2, exec_lo
	s_delay_alu instid0(VALU_DEP_3)
	v_mov_b32_e32 v51, v30
.LBB1951_66:
	s_or_b32 exec_lo, exec_lo, s39
	v_cndmask_b32_e64 v28, 0, 1, vcc_lo
	s_delay_alu instid0(VALU_DEP_4) | instskip(SKIP_1) | instid1(VALU_DEP_2)
	v_mov_b64_e32 v[46:47], v[4:5]
	s_and_b32 s1, s1, exec_lo
	v_mov_b32_e32 v50, v28
.LBB1951_67:
	s_or_b32 exec_lo, exec_lo, s37
	s_delay_alu instid0(SALU_CYCLE_1)
	s_and_b32 vcc_lo, exec_lo, s9
	s_cbranch_vccz .LBB1951_76
.LBB1951_68:
	s_wait_dscnt 0x0
	s_clause 0x9
	flat_load_b32 v2, v0, s[12:13] scale_offset
	flat_load_b32 v3, v0, s[12:13] offset:512 scale_offset
	flat_load_b32 v4, v0, s[12:13] offset:1024 scale_offset
	;; [unrolled: 1-line block ×9, first 2 shown]
	v_lshlrev_b32_e32 v12, 2, v0
	s_cmp_eq_u64 s[30:31], 0
	s_wait_loadcnt_dscnt 0x808
	ds_store_2addr_stride64_b32 v12, v2, v3 offset1:2
	s_wait_loadcnt_dscnt 0x607
	ds_store_2addr_stride64_b32 v12, v4, v5 offset0:4 offset1:6
	s_wait_loadcnt_dscnt 0x406
	ds_store_2addr_stride64_b32 v12, v6, v7 offset0:8 offset1:10
	;; [unrolled: 2-line block ×4, first 2 shown]
	v_mad_u32_u24 v1, v0, 36, v12
	s_wait_dscnt 0x0
	s_barrier_signal -1
	s_barrier_wait -1
	ds_load_2addr_b64 v[6:9], v1 offset1:1
	ds_load_2addr_b64 v[2:5], v1 offset0:2 offset1:3
	ds_load_b64 v[10:11], v1 offset:32
	v_mov_b32_e32 v12, 0
	s_cbranch_scc1 .LBB1951_73
; %bb.69:
	s_and_not1_b32 vcc_lo, exec_lo, s33
	s_cbranch_vccnz .LBB1951_71
; %bb.70:
	s_lshl_b64 s[0:1], s[30:31], 2
	s_delay_alu instid0(SALU_CYCLE_1) | instskip(NEXT) | instid1(SALU_CYCLE_1)
	s_add_nc_u64 s[0:1], s[22:23], s[0:1]
	s_add_nc_u64 s[12:13], s[0:1], -4
	s_mov_b32 s0, 0
	s_branch .LBB1951_72
.LBB1951_71:
	s_add_nc_u64 s[12:13], s[12:13], -4
	s_mov_b32 s0, -1
.LBB1951_72:
	s_delay_alu instid0(SALU_CYCLE_1)
	s_and_not1_b32 vcc_lo, exec_lo, s0
.LBB1951_73:
	flat_load_b32 v24, v12, s[12:13]
	s_wait_xcnt 0x0
	v_mad_i32_i24 v12, 0xffffffdc, v0, v1
	s_mov_b32 s0, exec_lo
	s_wait_dscnt 0x1
	ds_store_b32 v12, v11 offset:5120
	s_wait_loadcnt_dscnt 0x0
	s_barrier_signal -1
	s_barrier_wait -1
	v_cmpx_ne_u32_e32 0, v0
; %bb.74:
	ds_load_b32 v24, v12 offset:5116
; %bb.75:
	s_or_b32 exec_lo, exec_lo, s0
	s_wait_dscnt 0x0
	s_barrier_signal -1
	s_barrier_wait -1
	s_clause 0x9
	flat_load_b64 v[14:15], v0, s[10:11] scale_offset
	flat_load_b64 v[16:17], v0, s[10:11] offset:1024 scale_offset
	flat_load_b64 v[18:19], v0, s[10:11] offset:2048 scale_offset
	;; [unrolled: 1-line block ×9, first 2 shown]
	v_cmp_ne_u32_e32 vcc_lo, v5, v10
	v_cmp_ne_u32_e64 s36, v10, v11
	s_mov_b32 s1, -1
	v_cndmask_b32_e64 v55, 0, 1, vcc_lo
	v_cmp_ne_u32_e32 vcc_lo, v4, v5
	v_cndmask_b32_e64 v1, 0, 1, vcc_lo
	v_cmp_ne_u32_e32 vcc_lo, v3, v4
	v_lshl_add_u32 v4, v0, 2, v12
	s_wait_loadcnt_dscnt 0x808
	ds_store_2addr_stride64_b64 v4, v[14:15], v[16:17] offset1:2
	s_wait_loadcnt_dscnt 0x607
	ds_store_2addr_stride64_b64 v4, v[18:19], v[20:21] offset0:4 offset1:6
	s_wait_loadcnt_dscnt 0x406
	ds_store_2addr_stride64_b64 v4, v[22:23], v[26:27] offset0:8 offset1:10
	;; [unrolled: 2-line block ×4, first 2 shown]
	v_cndmask_b32_e64 v52, 0, 1, vcc_lo
	v_cmp_ne_u32_e32 vcc_lo, v2, v3
	v_mad_u32_u24 v10, 0x48, v0, v4
	s_wait_dscnt 0x0
	s_barrier_signal -1
	s_barrier_wait -1
	v_cndmask_b32_e64 v53, 0, 1, vcc_lo
	v_cmp_ne_u32_e32 vcc_lo, v9, v2
	ds_load_b128 v[2:5], v10
	ds_load_b128 v[20:23], v10 offset:16
	ds_load_b128 v[16:19], v10 offset:32
	;; [unrolled: 1-line block ×3, first 2 shown]
	v_dual_mov_b32 v64, v1 :: v_dual_mov_b32 v57, v52
	v_cndmask_b32_e64 v54, 0, 1, vcc_lo
	v_cmp_ne_u32_e32 vcc_lo, v8, v9
	s_delay_alu instid0(VALU_DEP_2)
	v_dual_mov_b32 v58, v53 :: v_dual_mov_b32 v65, v54
	v_cndmask_b32_e64 v56, 0, 1, vcc_lo
	v_cmp_ne_u32_e32 vcc_lo, v7, v8
	v_cndmask_b32_e64 v59, 0, 1, vcc_lo
	v_cmp_ne_u32_e32 vcc_lo, v6, v7
	s_wait_dscnt 0x3
	v_mov_b64_e32 v[46:47], v[4:5]
	s_wait_dscnt 0x2
	v_mov_b64_e32 v[44:45], v[20:21]
	v_mov_b64_e32 v[42:43], v[22:23]
	s_wait_dscnt 0x1
	v_mov_b64_e32 v[40:41], v[16:17]
	v_cndmask_b32_e64 v30, 0, 1, vcc_lo
	v_cmp_ne_u32_e32 vcc_lo, v24, v6
	ds_load_b128 v[6:9], v10 offset:64
	v_mov_b64_e32 v[38:39], v[18:19]
	s_wait_dscnt 0x1
	v_mov_b64_e32 v[36:37], v[12:13]
	v_mov_b64_e32 v[10:11], v[14:15]
	v_cndmask_b32_e64 v28, 0, 1, vcc_lo
	v_dual_mov_b32 v66, v56 :: v_dual_mov_b32 v60, v59
	s_delay_alu instid0(VALU_DEP_2)
	v_dual_mov_b32 v51, v30 :: v_dual_mov_b32 v50, v28
.LBB1951_76:
	v_mov_b64_e32 v[32:33], 0
	v_mov_b32_e32 v35, 0
	s_and_saveexec_b32 s0, s1
	s_cbranch_execz .LBB1951_78
; %bb.77:
	s_wait_dscnt 0x0
	v_mov_b64_e32 v[32:33], v[8:9]
	v_mov_b64_e32 v[10:11], v[14:15]
	;; [unrolled: 1-line block ×8, first 2 shown]
	v_cndmask_b32_e64 v35, 0, 1, s36
	v_dual_mov_b32 v50, v28 :: v_dual_mov_b32 v51, v30
	v_dual_mov_b32 v60, v59 :: v_dual_mov_b32 v66, v56
	v_dual_mov_b32 v65, v54 :: v_dual_mov_b32 v58, v53
	v_dual_mov_b32 v57, v52 :: v_dual_mov_b32 v64, v1
.LBB1951_78:
	s_or_b32 exec_lo, exec_lo, s0
	v_and_b32_e32 v54, 1, v55
	v_and_b32_e32 v53, 1, v35
	;; [unrolled: 1-line block ×12, first 2 shown]
	v_cmp_eq_u16_e64 s0, 0, v35
	v_bitop3_b16 v57, v64, 0xff, v57 bitop3:0xc8
	v_cmp_eq_u32_e64 s8, 1, v54
	v_bitop3_b16 v55, v65, 0xff, v66 bitop3:0xc8
	v_cmp_eq_u32_e64 s9, 1, v53
	v_cmp_eq_u32_e64 s10, 1, v52
	v_mbcnt_lo_u32_b32 v34, -1, 0
	s_cmp_lg_u32 s20, 0
	s_wait_dscnt 0x0
	v_cmp_eq_u32_e32 vcc_lo, 1, v49
	s_barrier_signal -1
	s_barrier_wait -1
	s_cbranch_scc0 .LBB1951_187
; %bb.79:
	v_dual_add_nc_u32 v1, v46, v2 :: v_dual_add_nc_u32 v4, v47, v3
	v_cmp_eq_u16_e64 s7, 0, v62
	v_cmp_eq_u16_e64 s6, 0, v63
	;; [unrolled: 1-line block ×5, first 2 shown]
	v_dual_cndmask_b32 v1, v46, v1, s7 :: v_dual_cndmask_b32 v4, v47, v4, s7
	v_cmp_eq_u16_e64 s2, 0, v58
	v_cmp_eq_u16_e64 s1, 0, v56
	v_cmp_ne_u16_e64 s11, 0, v57
	s_delay_alu instid0(VALU_DEP_4)
	v_dual_add_nc_u32 v1, v44, v1 :: v_dual_add_nc_u32 v4, v45, v4
	v_bitop3_b16 v5, v51, 0xff, v50 bitop3:0xc8
	v_cmp_ne_u16_e64 s12, 0, v55
	s_or_b32 s11, s11, s8
	v_dual_cndmask_b32 v1, v44, v1, s6 :: v_dual_cndmask_b32 v4, v45, v4, s6
	v_cmp_eq_u16_e64 s8, 0, v48
	s_or_b32 s12, s12, s10
	v_cmp_ne_u16_e64 s10, 0, v5
	v_dual_add_nc_u32 v1, v42, v1 :: v_dual_add_nc_u32 v4, v43, v4
	s_or_b32 s9, s9, s11
	s_delay_alu instid0(SALU_CYCLE_1) | instskip(NEXT) | instid1(VALU_DEP_1)
	s_or_b32 s9, s9, s12
	v_dual_cndmask_b32 v1, v42, v1, s5 :: v_dual_cndmask_b32 v4, v43, v4, s5
	s_or_b32 s10, s10, vcc_lo
	s_delay_alu instid0(SALU_CYCLE_1) | instskip(NEXT) | instid1(VALU_DEP_1)
	s_or_b32 s10, s9, s10
	v_dual_add_nc_u32 v1, v40, v1 :: v_dual_add_nc_u32 v4, v41, v4
	v_cndmask_b32_e64 v9, 0, 1, s10
	s_mov_b32 s9, exec_lo
	s_delay_alu instid0(VALU_DEP_2) | instskip(NEXT) | instid1(VALU_DEP_2)
	v_dual_cndmask_b32 v1, v40, v1, s4 :: v_dual_cndmask_b32 v4, v41, v4, s4
	v_mov_b32_dpp v5, v9 row_shr:1 row_mask:0xf bank_mask:0xf
	s_delay_alu instid0(VALU_DEP_2) | instskip(NEXT) | instid1(VALU_DEP_1)
	v_dual_add_nc_u32 v1, v38, v1 :: v_dual_add_nc_u32 v4, v39, v4
	v_dual_cndmask_b32 v1, v38, v1, s3 :: v_dual_cndmask_b32 v4, v39, v4, s3
	s_delay_alu instid0(VALU_DEP_1) | instskip(NEXT) | instid1(VALU_DEP_1)
	v_dual_add_nc_u32 v1, v36, v1 :: v_dual_add_nc_u32 v4, v37, v4
	v_dual_cndmask_b32 v1, v36, v1, s2 :: v_dual_cndmask_b32 v4, v37, v4, s2
	s_delay_alu instid0(VALU_DEP_1) | instskip(NEXT) | instid1(VALU_DEP_1)
	;; [unrolled: 3-line block ×4, first 2 shown]
	v_dual_add_nc_u32 v1, v32, v1 :: v_dual_add_nc_u32 v4, v33, v4
	v_dual_cndmask_b32 v8, v32, v1, s0 :: v_dual_cndmask_b32 v1, v33, v4, s0
	v_and_b32_e32 v4, 15, v34
	s_delay_alu instid0(VALU_DEP_2) | instskip(NEXT) | instid1(VALU_DEP_3)
	v_mov_b32_dpp v12, v8 row_shr:1 row_mask:0xf bank_mask:0xf
	v_mov_b32_dpp v13, v1 row_shr:1 row_mask:0xf bank_mask:0xf
	s_delay_alu instid0(VALU_DEP_3)
	v_cmpx_ne_u32_e32 0, v4
	s_cbranch_execz .LBB1951_83
; %bb.80:
	s_xor_b32 s11, s10, -1
	s_delay_alu instid0(SALU_CYCLE_1)
	s_and_saveexec_b32 s10, s11
; %bb.81:
	v_dual_add_nc_u32 v8, v8, v12 :: v_dual_add_nc_u32 v1, v1, v13
; %bb.82:
	s_or_b32 exec_lo, exec_lo, s10
	v_and_or_b32 v9, v5, 1, v9
.LBB1951_83:
	s_or_b32 exec_lo, exec_lo, s9
	s_delay_alu instid0(VALU_DEP_2) | instskip(SKIP_1) | instid1(VALU_DEP_3)
	v_mov_b32_dpp v12, v8 row_shr:2 row_mask:0xf bank_mask:0xf
	v_mov_b32_dpp v13, v1 row_shr:2 row_mask:0xf bank_mask:0xf
	v_mov_b32_dpp v5, v9 row_shr:2 row_mask:0xf bank_mask:0xf
	s_mov_b32 s9, exec_lo
	v_cmpx_lt_u32_e32 1, v4
	s_cbranch_execz .LBB1951_89
; %bb.84:
	s_mov_b32 s10, exec_lo
	v_cmpx_ne_u32_e32 0, v9
	s_xor_b32 s10, exec_lo, s10
; %bb.85:
                                        ; implicit-def: $vgpr12
                                        ; implicit-def: $vgpr13
; %bb.86:
	s_delay_alu instid0(SALU_CYCLE_1)
	s_and_not1_saveexec_b32 s10, s10
; %bb.87:
	v_dual_add_nc_u32 v8, v8, v12 :: v_dual_add_nc_u32 v1, v1, v13
; %bb.88:
	s_or_b32 exec_lo, exec_lo, s10
	v_bitop3_b32 v9, v5, 1, v9 bitop3:0xc8
.LBB1951_89:
	s_or_b32 exec_lo, exec_lo, s9
	s_delay_alu instid0(VALU_DEP_2) | instskip(SKIP_1) | instid1(VALU_DEP_3)
	v_mov_b32_dpp v12, v8 row_shr:4 row_mask:0xf bank_mask:0xf
	v_mov_b32_dpp v13, v1 row_shr:4 row_mask:0xf bank_mask:0xf
	v_mov_b32_dpp v5, v9 row_shr:4 row_mask:0xf bank_mask:0xf
	s_mov_b32 s9, exec_lo
	v_cmpx_lt_u32_e32 3, v4
	s_cbranch_execz .LBB1951_95
; %bb.90:
	s_mov_b32 s10, exec_lo
	v_cmpx_ne_u32_e32 0, v9
	s_xor_b32 s10, exec_lo, s10
; %bb.91:
                                        ; implicit-def: $vgpr12
                                        ; implicit-def: $vgpr13
; %bb.92:
	s_delay_alu instid0(SALU_CYCLE_1)
	s_and_not1_saveexec_b32 s10, s10
; %bb.93:
	v_dual_add_nc_u32 v8, v8, v12 :: v_dual_add_nc_u32 v1, v1, v13
; %bb.94:
	s_or_b32 exec_lo, exec_lo, s10
	v_bitop3_b32 v9, v5, 1, v9 bitop3:0xc8
.LBB1951_95:
	;; [unrolled: 24-line block ×3, first 2 shown]
	s_or_b32 exec_lo, exec_lo, s9
	ds_swizzle_b32 v5, v8 offset:swizzle(BROADCAST,32,15)
	ds_swizzle_b32 v12, v1 offset:swizzle(BROADCAST,32,15)
	;; [unrolled: 1-line block ×3, first 2 shown]
	v_and_b32_e32 v13, 16, v34
	s_delay_alu instid0(VALU_DEP_1)
	v_cmp_ne_u32_e32 vcc_lo, 0, v13
	v_mov_b32_e32 v13, v9
	s_and_saveexec_b32 s9, vcc_lo
	s_cbranch_execz .LBB1951_107
; %bb.102:
	s_mov_b32 s10, exec_lo
	v_cmpx_ne_u32_e32 0, v9
	s_xor_b32 s10, exec_lo, s10
; %bb.103:
                                        ; implicit-def: $vgpr5
                                        ; implicit-def: $vgpr12
; %bb.104:
	s_delay_alu instid0(SALU_CYCLE_1)
	s_and_not1_saveexec_b32 s10, s10
	s_cbranch_execz .LBB1951_106
; %bb.105:
	s_wait_dscnt 0x1
	v_dual_add_nc_u32 v8, v8, v5 :: v_dual_add_nc_u32 v1, v1, v12
.LBB1951_106:
	s_or_b32 exec_lo, exec_lo, s10
	s_wait_dscnt 0x0
	v_or_b32_e32 v5, v4, v9
	v_bitop3_b32 v9, v4, 1, v9 bitop3:0xc8
	s_delay_alu instid0(VALU_DEP_2)
	v_and_b32_e32 v13, 1, v5
.LBB1951_107:
	s_or_b32 exec_lo, exec_lo, s9
	s_wait_dscnt 0x0
	v_dual_lshrrev_b32 v12, 5, v0 :: v_dual_bitop2_b32 v4, 31, v0 bitop3:0x54
	s_mov_b32 s9, exec_lo
	s_delay_alu instid0(VALU_DEP_1)
	v_cmpx_eq_u32_e64 v0, v4
	s_cbranch_execz .LBB1951_109
; %bb.108:
	s_delay_alu instid0(VALU_DEP_2)
	v_mul_u32_u24_e32 v4, 12, v12
	ds_store_2addr_b32 v4, v8, v1 offset1:1
	ds_store_b8 v4, v13 offset:8
.LBB1951_109:
	s_or_b32 exec_lo, exec_lo, s9
	s_delay_alu instid0(SALU_CYCLE_1)
	s_mov_b32 s9, exec_lo
	s_wait_dscnt 0x0
	s_barrier_signal -1
	s_barrier_wait -1
	v_cmpx_gt_u32_e32 4, v0
	s_cbranch_execz .LBB1951_115
; %bb.110:
	v_mul_u32_u24_e32 v13, 12, v0
	v_and_b32_e32 v15, 3, v34
	s_mov_b32 s10, exec_lo
	ds_load_2addr_b32 v[4:5], v13 offset1:1
	ds_load_b32 v14, v13 offset:8
	s_wait_dscnt 0x1
	v_mov_b32_dpp v17, v4 row_shr:1 row_mask:0xf bank_mask:0xf
	v_mov_b32_dpp v18, v5 row_shr:1 row_mask:0xf bank_mask:0xf
	s_wait_dscnt 0x0
	v_mov_b32_dpp v16, v14 row_shr:1 row_mask:0xf bank_mask:0xf
	v_cmpx_ne_u32_e32 0, v15
; %bb.111:
	v_and_b32_e32 v19, 0xff, v14
	v_dual_add_nc_u32 v17, v4, v17 :: v_dual_add_nc_u32 v18, v5, v18
	s_delay_alu instid0(VALU_DEP_2) | instskip(NEXT) | instid1(VALU_DEP_2)
	v_cmp_eq_u32_e32 vcc_lo, 0, v19
	v_dual_cndmask_b32 v5, v5, v18, vcc_lo :: v_dual_bitop2_b32 v16, 1, v16 bitop3:0x40
	s_delay_alu instid0(VALU_DEP_3) | instskip(NEXT) | instid1(VALU_DEP_2)
	v_cndmask_b32_e32 v4, v4, v17, vcc_lo
	v_and_or_b32 v14, 0xffffff01, v14, v16
; %bb.112:
	s_or_b32 exec_lo, exec_lo, s10
	s_delay_alu instid0(VALU_DEP_2) | instskip(SKIP_1) | instid1(VALU_DEP_3)
	v_mov_b32_dpp v17, v4 row_shr:2 row_mask:0xf bank_mask:0xf
	v_mov_b32_dpp v18, v5 row_shr:2 row_mask:0xf bank_mask:0xf
	;; [unrolled: 1-line block ×3, first 2 shown]
	s_mov_b32 s10, exec_lo
	v_cmpx_lt_u32_e32 1, v15
; %bb.113:
	v_and_b32_e32 v15, 0xff, v14
	v_dual_add_nc_u32 v17, v4, v17 :: v_dual_add_nc_u32 v18, v5, v18
	v_bitop3_b32 v14, v16, 1, v14 bitop3:0xc8
	s_delay_alu instid0(VALU_DEP_3) | instskip(NEXT) | instid1(VALU_DEP_3)
	v_cmp_eq_u32_e32 vcc_lo, 0, v15
	v_dual_cndmask_b32 v5, v5, v18 :: v_dual_cndmask_b32 v4, v4, v17
; %bb.114:
	s_or_b32 exec_lo, exec_lo, s10
	ds_store_2addr_b32 v13, v4, v5 offset1:1
	ds_store_b8 v13, v14 offset:8
.LBB1951_115:
	s_or_b32 exec_lo, exec_lo, s9
	v_dual_mov_b32 v4, 0 :: v_dual_mov_b32 v5, 0
	v_mov_b32_e32 v20, 0
	s_mov_b32 s10, exec_lo
	v_cmp_gt_u32_e32 vcc_lo, 32, v0
	s_wait_dscnt 0x0
	s_barrier_signal -1
	s_barrier_wait -1
	v_cmpx_lt_u32_e32 31, v0
	s_cbranch_execz .LBB1951_117
; %bb.116:
	v_mad_u32_u24 v4, v12, 12, -12
	v_mad_u32_u24 v12, v12, 12, -4
	v_cmp_eq_u32_e64 s9, 0, v9
	ds_load_2addr_b32 v[4:5], v4 offset1:1
	ds_load_u8 v12, v12
	s_wait_dscnt 0x1
	v_dual_add_nc_u32 v13, v4, v8 :: v_dual_add_nc_u32 v14, v5, v1
	s_wait_dscnt 0x0
	v_or_b32_e32 v9, v12, v9
	s_delay_alu instid0(VALU_DEP_2) | instskip(NEXT) | instid1(VALU_DEP_2)
	v_dual_cndmask_b32 v8, v8, v13, s9 :: v_dual_bitop2_b32 v20, 1, v12 bitop3:0x40
	v_dual_cndmask_b32 v1, v1, v14, s9 :: v_dual_bitop2_b32 v9, 1, v9 bitop3:0x40
.LBB1951_117:
	s_or_b32 exec_lo, exec_lo, s10
	v_sub_co_u32 v12, s9, v34, 1
	s_delay_alu instid0(VALU_DEP_1) | instskip(NEXT) | instid1(VALU_DEP_1)
	v_cmp_gt_i32_e64 s10, 0, v12
	v_cndmask_b32_e64 v12, v12, v34, s10
	s_delay_alu instid0(VALU_DEP_1)
	v_lshlrev_b32_e32 v12, 2, v12
	ds_bpermute_b32 v22, v12, v8
	ds_bpermute_b32 v21, v12, v1
	;; [unrolled: 1-line block ×3, first 2 shown]
	s_and_saveexec_b32 s22, vcc_lo
	s_cbranch_execz .LBB1951_230
; %bb.118:
	v_mov_b32_e32 v17, 0
	ds_load_b64 v[8:9], v17 offset:40
	ds_load_b32 v12, v17 offset:36
	s_wait_dscnt 0x1
	v_readfirstlane_b32 s12, v8
	v_readfirstlane_b32 s13, v9
	s_and_saveexec_b32 s10, s9
	s_cbranch_execz .LBB1951_120
; %bb.119:
	s_mov_b32 s31, 0
	s_add_co_i32 s36, s20, 32
	s_mov_b32 s37, s31
	s_mov_b32 s30, s13
	s_lshl_b64 s[36:37], s[36:37], 4
	s_or_b64 s[30:31], s[30:31], 0x100000000
	s_add_nc_u64 s[36:37], s[24:25], s[36:37]
	v_dual_mov_b32 v13, s12 :: v_dual_mov_b32 v14, s30
	v_mov_b32_e32 v15, s31
	v_mov_b64_e32 v[8:9], s[36:37]
	s_wait_dscnt 0x0
	;;#ASMSTART
	global_store_b128 v[8:9], v[12:15] off scope:SCOPE_DEV	
s_wait_storecnt 0x0
	;;#ASMEND
.LBB1951_120:
	s_or_b32 exec_lo, exec_lo, s10
	v_xad_u32 v8, v34, -1, s20
	s_mov_b32 s11, 0
	s_mov_b32 s10, exec_lo
	s_delay_alu instid0(VALU_DEP_1) | instskip(NEXT) | instid1(VALU_DEP_1)
	v_add_nc_u32_e32 v16, 32, v8
	v_lshl_add_u64 v[18:19], v[16:17], 4, s[24:25]
	;;#ASMSTART
	global_load_b128 v[14:17], v[18:19] off scope:SCOPE_DEV	
s_wait_loadcnt 0x0
	;;#ASMEND
	v_alignbit_b32 v24, v15, v14, 8
	v_alignbit_b32 v26, v15, v14, 16
	v_and_b32_e32 v27, 0xff, v17
	v_alignbit_b32 v13, v15, v14, 24
	v_perm_b32 v9, v15, v16, 0x70605
	v_perm_b32 v25, v15, v16, 0x1000706
	;; [unrolled: 1-line block ×3, first 2 shown]
	v_cmpx_eq_u16_e32 0, v27
	s_cbranch_execz .LBB1951_123
.LBB1951_121:                           ; =>This Inner Loop Header: Depth=1
	;;#ASMSTART
	global_load_b128 v[14:17], v[18:19] off scope:SCOPE_DEV	
s_wait_loadcnt 0x0
	;;#ASMEND
	v_and_b32_e32 v1, 0xff, v17
	s_delay_alu instid0(VALU_DEP_1) | instskip(SKIP_1) | instid1(SALU_CYCLE_1)
	v_cmp_ne_u16_e32 vcc_lo, 0, v1
	s_or_b32 s11, vcc_lo, s11
	s_and_not1_b32 exec_lo, exec_lo, s11
	s_cbranch_execnz .LBB1951_121
; %bb.122:
	s_or_b32 exec_lo, exec_lo, s11
	v_perm_b32 v1, v15, v16, 0x2010007
	v_perm_b32 v25, v15, v16, 0x1000706
	;; [unrolled: 1-line block ×3, first 2 shown]
	v_alignbit_b32 v13, v15, v14, 24
	v_alignbit_b32 v26, v15, v14, 16
	v_alignbit_b32 v24, v15, v14, 8
.LBB1951_123:
	s_or_b32 exec_lo, exec_lo, s10
	s_delay_alu instid0(VALU_DEP_1) | instskip(SKIP_3) | instid1(VALU_DEP_4)
	v_dual_lshlrev_b32 v18, 16, v26 :: v_dual_lshlrev_b32 v19, 8, v24
	v_cmp_ne_u32_e32 vcc_lo, 31, v34
	v_lshlrev_b32_e32 v9, 8, v9
	v_and_b32_e32 v14, 0xff, v14
	v_perm_b32 v13, v13, v18, 0x4020c0c
	v_and_b32_e32 v18, 0xff00, v19
	v_add_co_ci_u32_e64 v19, null, 0, v34, vcc_lo
	v_lshlrev_b32_e32 v24, 16, v25
	v_and_b32_e32 v9, 0xff00, v9
	v_and_b32_e32 v15, 0xff, v15
	v_or3_b32 v14, v13, v18, v14
	v_lshlrev_b32_e32 v13, 2, v19
	v_perm_b32 v1, v1, v24, 0x4020c0c
	v_and_b32_e32 v24, 0xff, v17
	s_mov_b32 s10, exec_lo
	ds_bpermute_b32 v19, v13, v14
	v_or3_b32 v1, v1, v9, v15
	v_and_b32_e32 v15, 0xff, v16
	v_cmp_eq_u16_e32 vcc_lo, 2, v24
	v_lshlrev_b32_e64 v24, v34, -1
	ds_bpermute_b32 v25, v13, v1
	ds_bpermute_b32 v18, v13, v15
	v_and_or_b32 v9, vcc_lo, v24, 0x80000000
	s_delay_alu instid0(VALU_DEP_1) | instskip(NEXT) | instid1(VALU_DEP_1)
	v_ctz_i32_b32_e32 v9, v9
	v_cmpx_lt_u32_e64 v34, v9
	s_cbranch_execz .LBB1951_127
; %bb.124:
	s_mov_b32 s11, exec_lo
	v_cmpx_eq_u32_e32 0, v15
	s_cbranch_execz .LBB1951_126
; %bb.125:
	s_wait_dscnt 0x1
	v_dual_add_nc_u32 v14, v14, v19 :: v_dual_add_nc_u32 v1, v1, v25
.LBB1951_126:
	s_or_b32 exec_lo, exec_lo, s11
	s_wait_dscnt 0x0
	v_bitop3_b32 v15, v18, 1, v16 bitop3:0xc8
.LBB1951_127:
	s_or_b32 exec_lo, exec_lo, s10
	v_cmp_gt_u32_e32 vcc_lo, 30, v34
	v_add_nc_u32_e32 v26, 2, v34
	s_mov_b32 s10, exec_lo
	v_cndmask_b32_e64 v16, 0, 2, vcc_lo
	s_wait_dscnt 0x1
	s_delay_alu instid0(VALU_DEP_1)
	v_add_lshl_u32 v25, v16, v34, 2
	s_wait_dscnt 0x0
	ds_bpermute_b32 v18, v25, v14
	ds_bpermute_b32 v19, v25, v1
	;; [unrolled: 1-line block ×3, first 2 shown]
	v_cmpx_le_u32_e64 v26, v9
	s_cbranch_execz .LBB1951_133
; %bb.128:
	s_mov_b32 s11, exec_lo
	v_cmpx_ne_u32_e32 0, v15
	s_xor_b32 s11, exec_lo, s11
; %bb.129:
                                        ; implicit-def: $vgpr18
                                        ; implicit-def: $vgpr19
; %bb.130:
	s_delay_alu instid0(SALU_CYCLE_1)
	s_and_not1_saveexec_b32 s11, s11
	s_cbranch_execz .LBB1951_132
; %bb.131:
	s_wait_dscnt 0x1
	v_dual_add_nc_u32 v14, v14, v18 :: v_dual_add_nc_u32 v1, v1, v19
.LBB1951_132:
	s_or_b32 exec_lo, exec_lo, s11
	s_wait_dscnt 0x0
	v_bitop3_b32 v15, v16, 1, v15 bitop3:0xc8
.LBB1951_133:
	s_or_b32 exec_lo, exec_lo, s10
	v_cmp_gt_u32_e32 vcc_lo, 28, v34
	v_add_nc_u32_e32 v28, 4, v34
	s_mov_b32 s10, exec_lo
	s_wait_dscnt 0x0
	v_cndmask_b32_e64 v16, 0, 4, vcc_lo
	s_delay_alu instid0(VALU_DEP_1)
	v_add_lshl_u32 v27, v16, v34, 2
	ds_bpermute_b32 v18, v27, v14
	ds_bpermute_b32 v19, v27, v1
	;; [unrolled: 1-line block ×3, first 2 shown]
	v_cmpx_le_u32_e64 v28, v9
	s_cbranch_execz .LBB1951_139
; %bb.134:
	s_mov_b32 s11, exec_lo
	v_cmpx_ne_u32_e32 0, v15
	s_xor_b32 s11, exec_lo, s11
; %bb.135:
                                        ; implicit-def: $vgpr18
                                        ; implicit-def: $vgpr19
; %bb.136:
	s_delay_alu instid0(SALU_CYCLE_1)
	s_and_not1_saveexec_b32 s11, s11
	s_cbranch_execz .LBB1951_138
; %bb.137:
	s_wait_dscnt 0x1
	v_dual_add_nc_u32 v14, v14, v18 :: v_dual_add_nc_u32 v1, v1, v19
.LBB1951_138:
	s_or_b32 exec_lo, exec_lo, s11
	s_wait_dscnt 0x0
	v_bitop3_b32 v15, v16, 1, v15 bitop3:0xc8
.LBB1951_139:
	s_or_b32 exec_lo, exec_lo, s10
	v_cmp_gt_u32_e32 vcc_lo, 24, v34
	v_add_nc_u32_e32 v30, 8, v34
	s_mov_b32 s10, exec_lo
	s_wait_dscnt 0x0
	v_cndmask_b32_e64 v16, 0, 8, vcc_lo
	s_delay_alu instid0(VALU_DEP_1)
	v_add_lshl_u32 v29, v16, v34, 2
	ds_bpermute_b32 v18, v29, v14
	ds_bpermute_b32 v19, v29, v1
	;; [unrolled: 1-line block ×3, first 2 shown]
	v_cmpx_le_u32_e64 v30, v9
	s_cbranch_execz .LBB1951_145
; %bb.140:
	s_mov_b32 s11, exec_lo
	v_cmpx_ne_u32_e32 0, v15
	s_xor_b32 s11, exec_lo, s11
; %bb.141:
                                        ; implicit-def: $vgpr18
                                        ; implicit-def: $vgpr19
; %bb.142:
	s_delay_alu instid0(SALU_CYCLE_1)
	s_and_not1_saveexec_b32 s11, s11
	s_cbranch_execz .LBB1951_144
; %bb.143:
	s_wait_dscnt 0x1
	v_dual_add_nc_u32 v14, v14, v18 :: v_dual_add_nc_u32 v1, v1, v19
.LBB1951_144:
	s_or_b32 exec_lo, exec_lo, s11
	s_wait_dscnt 0x0
	v_bitop3_b32 v15, v16, 1, v15 bitop3:0xc8
.LBB1951_145:
	s_or_b32 exec_lo, exec_lo, s10
	v_lshl_or_b32 v31, v34, 2, 64
	v_add_nc_u32_e32 v64, 16, v34
	s_mov_b32 s10, exec_lo
	s_wait_dscnt 0x2
	ds_bpermute_b32 v18, v31, v14
	s_wait_dscnt 0x2
	ds_bpermute_b32 v19, v31, v1
	s_wait_dscnt 0x2
	ds_bpermute_b32 v16, v31, v15
	v_cmpx_le_u32_e64 v64, v9
	s_cbranch_execz .LBB1951_151
; %bb.146:
	s_mov_b32 s11, exec_lo
	v_cmpx_ne_u32_e32 0, v15
	s_xor_b32 s11, exec_lo, s11
; %bb.147:
                                        ; implicit-def: $vgpr18
                                        ; implicit-def: $vgpr19
; %bb.148:
	s_delay_alu instid0(SALU_CYCLE_1)
	s_and_not1_saveexec_b32 s11, s11
	s_cbranch_execz .LBB1951_150
; %bb.149:
	s_wait_dscnt 0x1
	v_dual_add_nc_u32 v14, v14, v18 :: v_dual_add_nc_u32 v1, v1, v19
.LBB1951_150:
	s_or_b32 exec_lo, exec_lo, s11
	s_wait_dscnt 0x0
	v_bitop3_b32 v15, v16, 1, v15 bitop3:0xc8
.LBB1951_151:
	s_or_b32 exec_lo, exec_lo, s10
	v_mov_b32_e32 v9, 0
	s_branch .LBB1951_155
.LBB1951_152:                           ;   in Loop: Header=BB1951_155 Depth=1
	s_or_b32 exec_lo, exec_lo, s11
	s_wait_dscnt 0x0
	v_or_b32_e32 v15, v16, v15
.LBB1951_153:                           ;   in Loop: Header=BB1951_155 Depth=1
	s_or_b32 exec_lo, exec_lo, s10
	s_wait_dscnt 0x0
	v_and_b32_e32 v16, 0xff, v66
	v_dual_add_nc_u32 v14, v14, v65 :: v_dual_bitop2_b32 v18, 1, v66 bitop3:0x40
	v_add_nc_u32_e32 v1, v1, v67
	v_subrev_nc_u32_e32 v8, 32, v8
	s_delay_alu instid0(VALU_DEP_4) | instskip(SKIP_3) | instid1(VALU_DEP_3)
	v_cmp_eq_u16_e32 vcc_lo, 0, v16
	v_and_b32_e32 v15, 1, v15
	v_cmp_eq_u32_e64 s10, 1, v18
	v_cndmask_b32_e32 v14, v65, v14, vcc_lo
	v_cmp_eq_u32_e64 s11, 1, v15
	v_cndmask_b32_e32 v1, v67, v1, vcc_lo
	s_or_b32 s10, s10, s11
	s_delay_alu instid0(SALU_CYCLE_1)
	v_cndmask_b32_e64 v15, 0, 1, s10
	s_mov_b32 s10, 0
.LBB1951_154:                           ;   in Loop: Header=BB1951_155 Depth=1
	s_delay_alu instid0(SALU_CYCLE_1)
	s_and_b32 vcc_lo, exec_lo, s10
	s_cbranch_vccnz .LBB1951_226
.LBB1951_155:                           ; =>This Loop Header: Depth=1
                                        ;     Child Loop BB1951_158 Depth 2
	s_wait_dscnt 0x0
	v_and_b32_e32 v16, 0xff, v17
	v_dual_mov_b32 v65, v14 :: v_dual_mov_b32 v67, v1
	v_mov_b32_e32 v66, v15
	s_mov_b32 s10, -1
	s_delay_alu instid0(VALU_DEP_3)
	v_cmp_ne_u16_e32 vcc_lo, 2, v16
                                        ; implicit-def: $vgpr14
                                        ; implicit-def: $vgpr17
                                        ; implicit-def: $vgpr15
                                        ; implicit-def: $vgpr1
	s_cmp_lg_u32 vcc_lo, exec_lo
	s_cbranch_scc1 .LBB1951_154
; %bb.156:                              ;   in Loop: Header=BB1951_155 Depth=1
	v_lshl_add_u64 v[18:19], v[8:9], 4, s[24:25]
	;;#ASMSTART
	global_load_b128 v[14:17], v[18:19] off scope:SCOPE_DEV	
s_wait_loadcnt 0x0
	;;#ASMEND
	v_alignbit_b32 v70, v15, v14, 8
	v_alignbit_b32 v72, v15, v14, 16
	v_and_b32_e32 v73, 0xff, v17
	v_alignbit_b32 v69, v15, v14, 24
	v_perm_b32 v68, v15, v16, 0x70605
	v_perm_b32 v71, v15, v16, 0x1000706
	;; [unrolled: 1-line block ×3, first 2 shown]
	s_mov_b32 s10, exec_lo
	v_cmpx_eq_u16_e32 0, v73
	s_cbranch_execz .LBB1951_160
; %bb.157:                              ;   in Loop: Header=BB1951_155 Depth=1
	s_mov_b32 s11, 0
.LBB1951_158:                           ;   Parent Loop BB1951_155 Depth=1
                                        ; =>  This Inner Loop Header: Depth=2
	;;#ASMSTART
	global_load_b128 v[14:17], v[18:19] off scope:SCOPE_DEV	
s_wait_loadcnt 0x0
	;;#ASMEND
	v_and_b32_e32 v1, 0xff, v17
	s_delay_alu instid0(VALU_DEP_1) | instskip(SKIP_1) | instid1(SALU_CYCLE_1)
	v_cmp_ne_u16_e32 vcc_lo, 0, v1
	s_or_b32 s11, vcc_lo, s11
	s_and_not1_b32 exec_lo, exec_lo, s11
	s_cbranch_execnz .LBB1951_158
; %bb.159:                              ;   in Loop: Header=BB1951_155 Depth=1
	s_or_b32 exec_lo, exec_lo, s11
	v_perm_b32 v1, v15, v16, 0x2010007
	v_perm_b32 v71, v15, v16, 0x1000706
	;; [unrolled: 1-line block ×3, first 2 shown]
	v_alignbit_b32 v69, v15, v14, 24
	v_alignbit_b32 v72, v15, v14, 16
	;; [unrolled: 1-line block ×3, first 2 shown]
.LBB1951_160:                           ;   in Loop: Header=BB1951_155 Depth=1
	s_or_b32 exec_lo, exec_lo, s10
	s_delay_alu instid0(VALU_DEP_1) | instskip(SKIP_2) | instid1(VALU_DEP_3)
	v_dual_lshlrev_b32 v18, 16, v72 :: v_dual_lshlrev_b32 v19, 8, v70
	v_dual_lshlrev_b32 v70, 16, v71 :: v_dual_lshlrev_b32 v68, 8, v68
	v_and_b32_e32 v14, 0xff, v14
	v_perm_b32 v18, v69, v18, 0x4020c0c
	s_delay_alu instid0(VALU_DEP_4) | instskip(NEXT) | instid1(VALU_DEP_4)
	v_and_b32_e32 v19, 0xff00, v19
	v_perm_b32 v1, v1, v70, 0x4020c0c
	v_and_b32_e32 v68, 0xff00, v68
	v_and_b32_e32 v15, 0xff, v15
	;; [unrolled: 1-line block ×3, first 2 shown]
	v_or3_b32 v14, v18, v19, v14
	s_mov_b32 s10, exec_lo
	s_delay_alu instid0(VALU_DEP_3)
	v_or3_b32 v1, v1, v68, v15
	v_and_b32_e32 v15, 0xff, v16
	v_cmp_eq_u16_e32 vcc_lo, 2, v69
	ds_bpermute_b32 v68, v13, v14
	ds_bpermute_b32 v69, v13, v1
	;; [unrolled: 1-line block ×3, first 2 shown]
	v_and_or_b32 v18, vcc_lo, v24, 0x80000000
	s_delay_alu instid0(VALU_DEP_1) | instskip(NEXT) | instid1(VALU_DEP_1)
	v_ctz_i32_b32_e32 v18, v18
	v_cmpx_lt_u32_e64 v34, v18
	s_cbranch_execz .LBB1951_164
; %bb.161:                              ;   in Loop: Header=BB1951_155 Depth=1
	s_mov_b32 s11, exec_lo
	v_cmpx_eq_u32_e32 0, v15
	s_cbranch_execz .LBB1951_163
; %bb.162:                              ;   in Loop: Header=BB1951_155 Depth=1
	s_wait_dscnt 0x1
	v_dual_add_nc_u32 v14, v14, v68 :: v_dual_add_nc_u32 v1, v1, v69
.LBB1951_163:                           ;   in Loop: Header=BB1951_155 Depth=1
	s_or_b32 exec_lo, exec_lo, s11
	s_wait_dscnt 0x0
	v_bitop3_b32 v15, v19, 1, v16 bitop3:0xc8
.LBB1951_164:                           ;   in Loop: Header=BB1951_155 Depth=1
	s_or_b32 exec_lo, exec_lo, s10
	s_wait_dscnt 0x0
	ds_bpermute_b32 v19, v25, v14
	ds_bpermute_b32 v68, v25, v1
	;; [unrolled: 1-line block ×3, first 2 shown]
	s_mov_b32 s10, exec_lo
	v_cmpx_le_u32_e64 v26, v18
	s_cbranch_execz .LBB1951_170
; %bb.165:                              ;   in Loop: Header=BB1951_155 Depth=1
	s_mov_b32 s11, exec_lo
	v_cmpx_ne_u32_e32 0, v15
	s_xor_b32 s11, exec_lo, s11
; %bb.166:                              ;   in Loop: Header=BB1951_155 Depth=1
                                        ; implicit-def: $vgpr19
                                        ; implicit-def: $vgpr68
; %bb.167:                              ;   in Loop: Header=BB1951_155 Depth=1
	s_delay_alu instid0(SALU_CYCLE_1)
	s_and_not1_saveexec_b32 s11, s11
	s_cbranch_execz .LBB1951_169
; %bb.168:                              ;   in Loop: Header=BB1951_155 Depth=1
	s_wait_dscnt 0x1
	v_dual_add_nc_u32 v14, v14, v19 :: v_dual_add_nc_u32 v1, v1, v68
.LBB1951_169:                           ;   in Loop: Header=BB1951_155 Depth=1
	s_or_b32 exec_lo, exec_lo, s11
	s_wait_dscnt 0x0
	v_bitop3_b32 v15, v16, 1, v15 bitop3:0xc8
.LBB1951_170:                           ;   in Loop: Header=BB1951_155 Depth=1
	s_or_b32 exec_lo, exec_lo, s10
	s_wait_dscnt 0x2
	ds_bpermute_b32 v19, v27, v14
	s_wait_dscnt 0x2
	ds_bpermute_b32 v68, v27, v1
	s_wait_dscnt 0x2
	ds_bpermute_b32 v16, v27, v15
	s_mov_b32 s10, exec_lo
	v_cmpx_le_u32_e64 v28, v18
	s_cbranch_execz .LBB1951_176
; %bb.171:                              ;   in Loop: Header=BB1951_155 Depth=1
	s_mov_b32 s11, exec_lo
	v_cmpx_ne_u32_e32 0, v15
	s_xor_b32 s11, exec_lo, s11
; %bb.172:                              ;   in Loop: Header=BB1951_155 Depth=1
                                        ; implicit-def: $vgpr19
                                        ; implicit-def: $vgpr68
; %bb.173:                              ;   in Loop: Header=BB1951_155 Depth=1
	s_delay_alu instid0(SALU_CYCLE_1)
	s_and_not1_saveexec_b32 s11, s11
	s_cbranch_execz .LBB1951_175
; %bb.174:                              ;   in Loop: Header=BB1951_155 Depth=1
	s_wait_dscnt 0x1
	v_dual_add_nc_u32 v14, v14, v19 :: v_dual_add_nc_u32 v1, v1, v68
.LBB1951_175:                           ;   in Loop: Header=BB1951_155 Depth=1
	s_or_b32 exec_lo, exec_lo, s11
	s_wait_dscnt 0x0
	v_bitop3_b32 v15, v16, 1, v15 bitop3:0xc8
.LBB1951_176:                           ;   in Loop: Header=BB1951_155 Depth=1
	s_or_b32 exec_lo, exec_lo, s10
	s_wait_dscnt 0x2
	ds_bpermute_b32 v19, v29, v14
	s_wait_dscnt 0x2
	ds_bpermute_b32 v68, v29, v1
	s_wait_dscnt 0x2
	ds_bpermute_b32 v16, v29, v15
	;; [unrolled: 29-line block ×3, first 2 shown]
	s_mov_b32 s10, exec_lo
	v_cmpx_le_u32_e64 v64, v18
	s_cbranch_execz .LBB1951_153
; %bb.183:                              ;   in Loop: Header=BB1951_155 Depth=1
	s_mov_b32 s11, exec_lo
	v_cmpx_ne_u32_e32 0, v15
	s_xor_b32 s11, exec_lo, s11
; %bb.184:                              ;   in Loop: Header=BB1951_155 Depth=1
                                        ; implicit-def: $vgpr19
                                        ; implicit-def: $vgpr68
; %bb.185:                              ;   in Loop: Header=BB1951_155 Depth=1
	s_delay_alu instid0(SALU_CYCLE_1)
	s_and_not1_saveexec_b32 s11, s11
	s_cbranch_execz .LBB1951_152
; %bb.186:                              ;   in Loop: Header=BB1951_155 Depth=1
	s_wait_dscnt 0x1
	v_dual_add_nc_u32 v14, v14, v19 :: v_dual_add_nc_u32 v1, v1, v68
	s_branch .LBB1951_152
.LBB1951_187:
                                        ; implicit-def: $vgpr12_vgpr13
                                        ; implicit-def: $vgpr16_vgpr17
                                        ; implicit-def: $vgpr20_vgpr21
                                        ; implicit-def: $vgpr24_vgpr25
                                        ; implicit-def: $vgpr28_vgpr29
	s_cbranch_execnz .LBB1951_237
.LBB1951_188:
	s_add_nc_u64 s[0:1], s[14:15], s[34:35]
	s_and_b32 vcc_lo, exec_lo, s27
	s_add_nc_u64 s[0:1], s[0:1], s[16:17]
	s_cbranch_vccz .LBB1951_316
.LBB1951_189:
	s_wait_dscnt 0x1
	v_mov_b64_e32 v[4:5], 0
	s_wait_dscnt 0x0
	v_mul_u32_u24_e32 v1, 10, v0
	s_add_co_i32 s21, s21, s26
	s_mov_b32 s2, exec_lo
	s_delay_alu instid0(VALU_DEP_2)
	v_mov_b64_e32 v[2:3], v[4:5]
	v_mov_b64_e32 v[8:9], v[4:5]
	;; [unrolled: 1-line block ×9, first 2 shown]
	v_cmpx_gt_u32_e64 s21, v1
	s_cbranch_execz .LBB1951_207
; %bb.190:
	v_mov_b64_e32 v[42:43], 0
	v_mov_b64_e32 v[36:37], 0
	;; [unrolled: 1-line block ×9, first 2 shown]
	v_or_b32_e32 v10, 1, v1
	s_mov_b32 s3, exec_lo
	s_delay_alu instid0(VALU_DEP_1)
	v_cmpx_gt_u32_e64 s21, v10
	s_cbranch_execz .LBB1951_206
; %bb.191:
	v_mov_b64_e32 v[36:37], 0
	v_mov_b64_e32 v[38:39], 0
	;; [unrolled: 1-line block ×8, first 2 shown]
	v_add_nc_u32_e32 v10, 2, v1
	s_mov_b32 s4, exec_lo
	s_delay_alu instid0(VALU_DEP_1)
	v_cmpx_gt_u32_e64 s21, v10
	s_cbranch_execz .LBB1951_205
; %bb.192:
	v_mov_b64_e32 v[38:39], 0
	v_mov_b64_e32 v[32:33], 0
	;; [unrolled: 1-line block ×7, first 2 shown]
	v_add_nc_u32_e32 v10, 3, v1
	s_mov_b32 s5, exec_lo
	s_delay_alu instid0(VALU_DEP_1)
	v_cmpx_gt_u32_e64 s21, v10
	s_cbranch_execz .LBB1951_204
; %bb.193:
	v_mov_b64_e32 v[32:33], 0
	v_mov_b64_e32 v[34:35], 0
	v_mov_b64_e32 v[6:7], 0
	v_mov_b64_e32 v[8:9], 0
	v_mov_b64_e32 v[2:3], 0
	v_mov_b64_e32 v[4:5], 0
	v_add_nc_u32_e32 v10, 4, v1
	s_mov_b32 s6, exec_lo
	s_delay_alu instid0(VALU_DEP_1)
	v_cmpx_gt_u32_e64 s21, v10
	s_cbranch_execz .LBB1951_203
; %bb.194:
	v_mov_b64_e32 v[34:35], 0
	v_mov_b64_e32 v[6:7], 0
	;; [unrolled: 1-line block ×5, first 2 shown]
	v_add_nc_u32_e32 v10, 5, v1
	s_mov_b32 s7, exec_lo
	s_delay_alu instid0(VALU_DEP_1)
	v_cmpx_gt_u32_e64 s21, v10
	s_cbranch_execz .LBB1951_202
; %bb.195:
	v_mov_b64_e32 v[6:7], 0
	v_mov_b64_e32 v[8:9], 0
	;; [unrolled: 1-line block ×4, first 2 shown]
	v_add_nc_u32_e32 v10, 6, v1
	s_mov_b32 s8, exec_lo
	s_delay_alu instid0(VALU_DEP_1)
	v_cmpx_gt_u32_e64 s21, v10
	s_cbranch_execz .LBB1951_201
; %bb.196:
	v_mov_b64_e32 v[8:9], 0
	v_mov_b64_e32 v[2:3], 0
	v_mov_b64_e32 v[4:5], 0
	v_add_nc_u32_e32 v6, 7, v1
	s_mov_b32 s9, exec_lo
	s_delay_alu instid0(VALU_DEP_1)
	v_cmpx_gt_u32_e64 s21, v6
	s_cbranch_execz .LBB1951_200
; %bb.197:
	v_mov_b64_e32 v[2:3], 0
	v_mov_b64_e32 v[4:5], 0
	v_add_nc_u32_e32 v6, 8, v1
	s_mov_b32 s10, exec_lo
	s_delay_alu instid0(VALU_DEP_1)
	v_cmpx_gt_u32_e64 s21, v6
; %bb.198:
	v_add_nc_u32_e32 v2, 9, v1
	s_delay_alu instid0(VALU_DEP_1)
	v_cmp_gt_u32_e32 vcc_lo, s21, v2
	v_mov_b64_e32 v[2:3], v[28:29]
	v_dual_cndmask_b32 v5, 0, v31 :: v_dual_cndmask_b32 v4, 0, v30
; %bb.199:
	s_or_b32 exec_lo, exec_lo, s10
	v_mov_b64_e32 v[8:9], v[26:27]
.LBB1951_200:
	s_or_b32 exec_lo, exec_lo, s9
	v_mov_b64_e32 v[6:7], v[24:25]
.LBB1951_201:
	s_or_b32 exec_lo, exec_lo, s8
	v_mov_b64_e32 v[34:35], v[22:23]
.LBB1951_202:
	s_or_b32 exec_lo, exec_lo, s7
	v_mov_b64_e32 v[32:33], v[20:21]
.LBB1951_203:
	s_or_b32 exec_lo, exec_lo, s6
	v_mov_b64_e32 v[38:39], v[18:19]
.LBB1951_204:
	s_or_b32 exec_lo, exec_lo, s5
	v_mov_b64_e32 v[36:37], v[16:17]
.LBB1951_205:
	s_or_b32 exec_lo, exec_lo, s4
	v_mov_b64_e32 v[42:43], v[14:15]
.LBB1951_206:
	s_or_b32 exec_lo, exec_lo, s3
	v_mov_b64_e32 v[40:41], v[12:13]
.LBB1951_207:
	s_or_b32 exec_lo, exec_lo, s2
	v_lshlrev_b32_e32 v1, 3, v1
	s_barrier_signal -1
	s_barrier_wait -1
	ds_store_b128 v1, v[40:43]
	ds_store_b128 v1, v[36:39] offset:16
	ds_store_b128 v1, v[32:35] offset:32
	;; [unrolled: 1-line block ×4, first 2 shown]
	v_mov_b32_e32 v3, 0
	v_mad_i32_i24 v2, 0xffffffb8, v0, v1
	s_wait_dscnt 0x0
	s_barrier_signal -1
	s_barrier_wait -1
	ds_load_2addr_stride64_b64 v[40:43], v2 offset0:2 offset1:4
	ds_load_2addr_stride64_b64 v[36:39], v2 offset0:6 offset1:8
	;; [unrolled: 1-line block ×4, first 2 shown]
	ds_load_b64 v[4:5], v2 offset:9216
	v_lshlrev_b32_e32 v2, 3, v0
	s_mov_b32 s2, exec_lo
	s_delay_alu instid0(VALU_DEP_1)
	v_add_nc_u64_e32 v[2:3], s[0:1], v[2:3]
	v_cmpx_gt_u32_e64 s21, v0
	s_cbranch_execz .LBB1951_209
; %bb.208:
	v_mul_i32_i24_e32 v10, 0xffffffb8, v0
	s_delay_alu instid0(VALU_DEP_1)
	v_add_nc_u32_e32 v1, v1, v10
	ds_load_b64 v[10:11], v1
	s_wait_dscnt 0x0
	flat_store_b64 v[2:3], v[10:11]
.LBB1951_209:
	s_wait_xcnt 0x0
	s_or_b32 exec_lo, exec_lo, s2
	v_or_b32_e32 v1, 0x80, v0
	s_mov_b32 s2, exec_lo
	s_delay_alu instid0(VALU_DEP_1)
	v_cmpx_gt_u32_e64 s21, v1
	s_cbranch_execz .LBB1951_211
; %bb.210:
	s_wait_dscnt 0x4
	flat_store_b64 v[2:3], v[40:41] offset:1024
.LBB1951_211:
	s_wait_xcnt 0x0
	s_or_b32 exec_lo, exec_lo, s2
	v_or_b32_e32 v1, 0x100, v0
	s_mov_b32 s2, exec_lo
	s_delay_alu instid0(VALU_DEP_1)
	v_cmpx_gt_u32_e64 s21, v1
	s_cbranch_execz .LBB1951_213
; %bb.212:
	s_wait_dscnt 0x4
	flat_store_b64 v[2:3], v[42:43] offset:2048
.LBB1951_213:
	;; [unrolled: 11-line block ×8, first 2 shown]
	s_wait_xcnt 0x0
	s_or_b32 exec_lo, exec_lo, s2
	v_or_b32_e32 v1, 0x480, v0
	s_delay_alu instid0(VALU_DEP_1)
	v_cmp_gt_u32_e64 s2, s21, v1
	s_branch .LBB1951_318
.LBB1951_226:
	s_and_saveexec_b32 s11, s9
	s_cbranch_execz .LBB1951_228
; %bb.227:
	s_and_b64 s[30:31], s[12:13], 0xff00000000
	v_dual_add_nc_u32 v1, v65, v12 :: v_dual_bitop2_b32 v8, 1, v66 bitop3:0x40
	s_cmp_eq_u64 s[30:31], 0
	s_mov_b32 s31, 0
	s_cselect_b32 vcc_lo, -1, 0
	s_bitcmp1_b32 s13, 0
	v_dual_cndmask_b32 v12, v12, v1 :: v_dual_add_nc_u32 v9, s12, v67
	v_cmp_eq_u32_e64 s10, 1, v8
	s_cselect_b32 s23, -1, 0
	s_add_co_i32 s30, s20, 32
	v_dual_cndmask_b32 v13, s12, v9, vcc_lo :: v_dual_mov_b32 v15, 2
	s_lshl_b64 s[30:31], s[30:31], 4
	s_or_b32 s10, s23, s10
	s_add_nc_u64 s[12:13], s[24:25], s[30:31]
	v_cndmask_b32_e64 v14, 0, 1, s10
	v_mov_b64_e32 v[8:9], s[12:13]
	;;#ASMSTART
	global_store_b128 v[8:9], v[12:15] off scope:SCOPE_DEV	
s_wait_storecnt 0x0
	;;#ASMEND
.LBB1951_228:
	s_or_b32 exec_lo, exec_lo, s11
	v_cmp_eq_u32_e32 vcc_lo, 0, v0
	s_and_b32 exec_lo, exec_lo, vcc_lo
	s_cbranch_execz .LBB1951_230
; %bb.229:
	v_mov_b32_e32 v1, 0
	ds_store_2addr_b32 v1, v65, v67 offset0:9 offset1:10
	ds_store_b8 v1, v66 offset:44
.LBB1951_230:
	s_or_b32 exec_lo, exec_lo, s22
	v_mov_b32_e32 v1, 0
	s_wait_dscnt 0x0
	s_barrier_signal -1
	s_barrier_wait -1
	ds_load_2addr_b32 v[8:9], v1 offset0:9 offset1:10
	v_mov_b64_e32 v[14:15], v[2:3]
	v_mov_b64_e32 v[12:13], v[2:3]
	v_mov_b32_e32 v1, v50
	s_mov_b32 s11, exec_lo
	v_cmpx_ne_u32_e32 0, v0
	s_cbranch_execz .LBB1951_232
; %bb.231:
	v_dual_cndmask_b32 v1, v22, v4, s9 :: v_dual_cndmask_b32 v5, v21, v5, s9
	v_dual_cndmask_b32 v4, v23, v20, s9 :: v_dual_bitop2_b32 v13, 1, v50 bitop3:0x40
	v_and_b32_e32 v12, 0xff, v50
	s_delay_alu instid0(VALU_DEP_3) | instskip(NEXT) | instid1(VALU_DEP_3)
	v_add_nc_u32_e32 v1, v2, v1
	v_dual_add_nc_u32 v5, v3, v5 :: v_dual_bitop2_b32 v4, 1, v4 bitop3:0x40
	s_delay_alu instid0(VALU_DEP_4) | instskip(NEXT) | instid1(VALU_DEP_4)
	v_cmp_eq_u32_e64 s9, 1, v13
	v_cmp_eq_u16_e32 vcc_lo, 0, v12
	s_delay_alu instid0(VALU_DEP_3) | instskip(SKIP_3) | instid1(SALU_CYCLE_1)
	v_cmp_eq_u32_e64 s10, 1, v4
	v_cndmask_b32_e32 v14, v2, v1, vcc_lo
	v_cndmask_b32_e32 v15, v3, v5, vcc_lo
	s_or_b32 s9, s9, s10
	v_cndmask_b32_e64 v1, 0, 1, s9
	s_delay_alu instid0(VALU_DEP_2)
	v_mov_b64_e32 v[12:13], v[14:15]
.LBB1951_232:
	s_or_b32 exec_lo, exec_lo, s11
	s_delay_alu instid0(VALU_DEP_2) | instskip(SKIP_1) | instid1(VALU_DEP_1)
	v_and_b32_e32 v1, 0xff, v1
	s_mov_b32 s9, exec_lo
	v_cmpx_ne_u16_e32 0, v1
	s_xor_b32 s9, exec_lo, s9
; %bb.233:
                                        ; implicit-def: $vgpr14_vgpr15
                                        ; implicit-def: $vgpr8_vgpr9
; %bb.234:
	s_delay_alu instid0(SALU_CYCLE_1)
	s_and_not1_saveexec_b32 s9, s9
	s_cbranch_execz .LBB1951_236
; %bb.235:
	s_wait_dscnt 0x0
	v_dual_add_nc_u32 v12, v14, v8 :: v_dual_add_nc_u32 v13, v15, v9
.LBB1951_236:
	s_or_b32 exec_lo, exec_lo, s9
	s_delay_alu instid0(VALU_DEP_1) | instskip(NEXT) | instid1(VALU_DEP_1)
	v_dual_add_nc_u32 v1, v46, v12 :: v_dual_add_nc_u32 v4, v47, v13
	v_dual_cndmask_b32 v14, v46, v1, s7 :: v_dual_cndmask_b32 v15, v47, v4, s7
	s_delay_alu instid0(VALU_DEP_1) | instskip(NEXT) | instid1(VALU_DEP_1)
	v_dual_add_nc_u32 v1, v44, v14 :: v_dual_add_nc_u32 v4, v45, v15
	v_dual_cndmask_b32 v16, v44, v1, s6 :: v_dual_cndmask_b32 v17, v45, v4, s6
	;; [unrolled: 3-line block ×9, first 2 shown]
	s_branch .LBB1951_188
.LBB1951_237:
	s_cmp_lg_u64 s[28:29], 0
	v_cmp_eq_u32_e32 vcc_lo, 0, v0
	s_cselect_b32 s0, -1, 0
	s_cmp_lg_u64 s[18:19], 0
	v_cmp_ne_u32_e64 s7, 0, v0
	s_cselect_b32 s1, -1, 0
	s_delay_alu instid0(SALU_CYCLE_1) | instskip(NEXT) | instid1(SALU_CYCLE_1)
	s_and_b32 s0, s0, s1
	s_and_b32 s0, vcc_lo, s0
	s_delay_alu instid0(SALU_CYCLE_1)
	s_and_saveexec_b32 s1, s0
	s_cbranch_execz .LBB1951_241
; %bb.238:
	v_and_b32_e32 v1, 0xff, v50
	s_delay_alu instid0(VALU_DEP_1) | instskip(SKIP_1) | instid1(SALU_CYCLE_1)
	v_cmp_ne_u16_e64 s0, 0, v1
	s_and_saveexec_b32 s2, s0
	s_xor_b32 s0, exec_lo, s2
	s_delay_alu instid0(SALU_CYCLE_1)
	s_and_not1_saveexec_b32 s0, s0
	s_cbranch_execz .LBB1951_240
; %bb.239:
	v_mov_b32_e32 v1, 0
	global_load_b64 v[4:5], v1, s[18:19]
	s_wait_loadcnt 0x0
	v_dual_add_nc_u32 v2, v2, v4 :: v_dual_add_nc_u32 v3, v3, v5
.LBB1951_240:
	s_or_b32 exec_lo, exec_lo, s0
	v_mov_b32_e32 v1, 0
	global_load_u8 v1, v1, s[18:19] offset:8
	s_wait_loadcnt 0x0
	v_bitop3_b16 v50, v50, 1, v1 bitop3:0xc8
.LBB1951_241:
	s_or_b32 exec_lo, exec_lo, s1
	v_dual_add_nc_u32 v1, v46, v2 :: v_dual_add_nc_u32 v4, v47, v3
	v_cmp_eq_u16_e64 s0, 0, v62
	v_cmp_eq_u16_e64 s11, 0, v56
	v_cmp_eq_u32_e64 s1, 1, v54
	v_bitop3_b16 v5, v51, 0xff, v50 bitop3:0xc8
	v_cmp_eq_u32_e64 s10, 1, v53
	v_dual_cndmask_b32 v1, v46, v1, s0 :: v_dual_cndmask_b32 v4, v47, v4, s0
	v_cmp_eq_u16_e64 s0, 0, v63
	v_cmp_eq_u32_e64 s12, 1, v52
	v_cmp_eq_u32_e64 s13, 1, v49
	s_delay_alu instid0(VALU_DEP_4) | instskip(SKIP_3) | instid1(VALU_DEP_4)
	v_dual_add_nc_u32 v1, v44, v1 :: v_dual_add_nc_u32 v4, v45, v4
	v_cmp_ne_u16_e64 s9, 0, v62
	v_cmp_ne_u16_e64 s8, 0, v63
	;; [unrolled: 1-line block ×3, first 2 shown]
	v_dual_cndmask_b32 v1, v44, v1, s0 :: v_dual_cndmask_b32 v4, v45, v4, s0
	v_cmp_eq_u16_e64 s0, 0, v61
	v_cmp_ne_u16_e64 s5, 0, v59
	v_cmp_ne_u16_e64 s4, 0, v60
	s_delay_alu instid0(VALU_DEP_4) | instskip(SKIP_2) | instid1(VALU_DEP_3)
	v_dual_add_nc_u32 v1, v42, v1 :: v_dual_add_nc_u32 v4, v43, v4
	v_cmp_ne_u16_e64 s3, 0, v58
	v_cmp_ne_u16_e64 s2, 0, v56
	v_dual_cndmask_b32 v1, v42, v1, s0 :: v_dual_cndmask_b32 v4, v43, v4, s0
	v_cmp_eq_u16_e64 s0, 0, v59
	s_delay_alu instid0(VALU_DEP_2) | instskip(NEXT) | instid1(VALU_DEP_1)
	v_dual_add_nc_u32 v1, v40, v1 :: v_dual_add_nc_u32 v4, v41, v4
	v_dual_cndmask_b32 v1, v40, v1, s0 :: v_dual_cndmask_b32 v4, v41, v4, s0
	v_cmp_eq_u16_e64 s0, 0, v60
	s_delay_alu instid0(VALU_DEP_2) | instskip(NEXT) | instid1(VALU_DEP_1)
	v_dual_add_nc_u32 v1, v38, v1 :: v_dual_add_nc_u32 v4, v39, v4
	;; [unrolled: 4-line block ×3, first 2 shown]
	v_dual_cndmask_b32 v1, v36, v1, s0 :: v_dual_cndmask_b32 v4, v37, v4, s0
	v_cmp_ne_u16_e64 s0, 0, v57
	s_delay_alu instid0(VALU_DEP_2) | instskip(SKIP_3) | instid1(VALU_DEP_3)
	v_dual_add_nc_u32 v1, v10, v1 :: v_dual_add_nc_u32 v4, v11, v4
	s_or_b32 s18, s0, s1
	v_cmp_eq_u16_e64 s0, 0, v48
	v_cmp_ne_u16_e64 s1, 0, v5
	v_dual_cndmask_b32 v1, v10, v1, s11 :: v_dual_cndmask_b32 v4, v11, v4, s11
	v_cmp_ne_u16_e64 s11, 0, v55
	s_or_b32 s10, s10, s18
	v_dual_add_nc_u32 v1, v6, v1 :: v_dual_add_nc_u32 v4, v7, v4
	s_or_b32 s11, s11, s12
	s_delay_alu instid0(SALU_CYCLE_1) | instskip(NEXT) | instid1(VALU_DEP_1)
	s_or_b32 s10, s10, s11
	v_dual_cndmask_b32 v1, v6, v1, s0 :: v_dual_cndmask_b32 v4, v7, v4, s0
	v_cmp_eq_u16_e64 s0, 0, v35
	s_or_b32 s11, s1, s13
	v_cmp_ne_u16_e64 s1, 0, v48
	s_wait_dscnt 0x0
	v_dual_add_nc_u32 v1, v32, v1 :: v_dual_add_nc_u32 v8, v33, v4
	s_or_b32 s12, s10, s11
	s_mov_b32 s11, exec_lo
	v_cndmask_b32_e64 v5, 0, 1, s12
	s_delay_alu instid0(VALU_DEP_2) | instskip(SKIP_2) | instid1(VALU_DEP_4)
	v_dual_cndmask_b32 v4, v32, v1, s0 :: v_dual_cndmask_b32 v1, v33, v8, s0
	v_and_b32_e32 v8, 15, v34
	v_cmp_ne_u16_e64 s0, 0, v35
	v_mov_b32_dpp v9, v5 row_shr:1 row_mask:0xf bank_mask:0xf
	s_delay_alu instid0(VALU_DEP_4)
	v_mov_b32_dpp v12, v4 row_shr:1 row_mask:0xf bank_mask:0xf
	v_mov_b32_dpp v13, v1 row_shr:1 row_mask:0xf bank_mask:0xf
	v_cmpx_ne_u32_e32 0, v8
	s_cbranch_execz .LBB1951_245
; %bb.242:
	s_xor_b32 s12, s12, -1
	s_delay_alu instid0(SALU_CYCLE_1)
	s_and_saveexec_b32 s10, s12
; %bb.243:
	v_dual_add_nc_u32 v4, v4, v12 :: v_dual_add_nc_u32 v1, v1, v13
; %bb.244:
	s_or_b32 exec_lo, exec_lo, s10
	v_and_or_b32 v5, v9, 1, v5
.LBB1951_245:
	s_or_b32 exec_lo, exec_lo, s11
	s_delay_alu instid0(VALU_DEP_2) | instskip(SKIP_1) | instid1(VALU_DEP_3)
	v_mov_b32_dpp v12, v4 row_shr:2 row_mask:0xf bank_mask:0xf
	v_mov_b32_dpp v13, v1 row_shr:2 row_mask:0xf bank_mask:0xf
	v_mov_b32_dpp v9, v5 row_shr:2 row_mask:0xf bank_mask:0xf
	s_mov_b32 s11, exec_lo
	v_cmpx_lt_u32_e32 1, v8
	s_cbranch_execz .LBB1951_251
; %bb.246:
	v_cmp_ne_u32_e64 s10, 0, v5
	s_and_saveexec_b32 s12, s10
	s_delay_alu instid0(SALU_CYCLE_1)
	s_xor_b32 s10, exec_lo, s12
; %bb.247:
                                        ; implicit-def: $vgpr12
                                        ; implicit-def: $vgpr13
; %bb.248:
	s_delay_alu instid0(SALU_CYCLE_1)
	s_and_not1_saveexec_b32 s10, s10
; %bb.249:
	v_dual_add_nc_u32 v4, v4, v12 :: v_dual_add_nc_u32 v1, v1, v13
; %bb.250:
	s_or_b32 exec_lo, exec_lo, s10
	v_bitop3_b32 v5, v9, 1, v5 bitop3:0xc8
.LBB1951_251:
	s_or_b32 exec_lo, exec_lo, s11
	s_delay_alu instid0(VALU_DEP_2) | instskip(SKIP_1) | instid1(VALU_DEP_3)
	v_mov_b32_dpp v12, v4 row_shr:4 row_mask:0xf bank_mask:0xf
	v_mov_b32_dpp v13, v1 row_shr:4 row_mask:0xf bank_mask:0xf
	v_mov_b32_dpp v9, v5 row_shr:4 row_mask:0xf bank_mask:0xf
	s_mov_b32 s11, exec_lo
	v_cmpx_lt_u32_e32 3, v8
	s_cbranch_execz .LBB1951_257
; %bb.252:
	v_cmp_ne_u32_e64 s10, 0, v5
	s_and_saveexec_b32 s12, s10
	s_delay_alu instid0(SALU_CYCLE_1)
	s_xor_b32 s10, exec_lo, s12
; %bb.253:
                                        ; implicit-def: $vgpr12
                                        ; implicit-def: $vgpr13
; %bb.254:
	s_delay_alu instid0(SALU_CYCLE_1)
	s_and_not1_saveexec_b32 s10, s10
; %bb.255:
	v_dual_add_nc_u32 v4, v4, v12 :: v_dual_add_nc_u32 v1, v1, v13
; %bb.256:
	s_or_b32 exec_lo, exec_lo, s10
	v_bitop3_b32 v5, v9, 1, v5 bitop3:0xc8
.LBB1951_257:
	;; [unrolled: 25-line block ×3, first 2 shown]
	s_or_b32 exec_lo, exec_lo, s11
	ds_swizzle_b32 v9, v4 offset:swizzle(BROADCAST,32,15)
	ds_swizzle_b32 v12, v1 offset:swizzle(BROADCAST,32,15)
	;; [unrolled: 1-line block ×3, first 2 shown]
	v_and_b32_e32 v13, 16, v34
	s_delay_alu instid0(VALU_DEP_1)
	v_cmp_ne_u32_e64 s10, 0, v13
	v_mov_b32_e32 v13, v5
	s_and_saveexec_b32 s11, s10
	s_cbranch_execz .LBB1951_269
; %bb.264:
	v_cmp_ne_u32_e64 s10, 0, v5
	s_and_saveexec_b32 s12, s10
	s_delay_alu instid0(SALU_CYCLE_1)
	s_xor_b32 s10, exec_lo, s12
; %bb.265:
                                        ; implicit-def: $vgpr9
                                        ; implicit-def: $vgpr12
; %bb.266:
	s_delay_alu instid0(SALU_CYCLE_1)
	s_and_not1_saveexec_b32 s10, s10
	s_cbranch_execz .LBB1951_268
; %bb.267:
	s_wait_dscnt 0x1
	v_dual_add_nc_u32 v4, v4, v9 :: v_dual_add_nc_u32 v1, v1, v12
.LBB1951_268:
	s_or_b32 exec_lo, exec_lo, s10
	s_wait_dscnt 0x0
	v_or_b32_e32 v9, v8, v5
	v_bitop3_b32 v5, v8, 1, v5 bitop3:0xc8
	s_delay_alu instid0(VALU_DEP_2)
	v_and_b32_e32 v13, 1, v9
.LBB1951_269:
	s_or_b32 exec_lo, exec_lo, s11
	s_wait_dscnt 0x0
	v_dual_lshrrev_b32 v12, 5, v0 :: v_dual_bitop2_b32 v8, 31, v0 bitop3:0x54
	s_mov_b32 s11, exec_lo
	s_delay_alu instid0(VALU_DEP_1)
	v_cmpx_eq_u32_e64 v0, v8
	s_cbranch_execz .LBB1951_271
; %bb.270:
	s_delay_alu instid0(VALU_DEP_2)
	v_mul_u32_u24_e32 v8, 12, v12
	ds_store_2addr_b32 v8, v4, v1 offset1:1
	ds_store_b8 v8, v13 offset:8
.LBB1951_271:
	s_or_b32 exec_lo, exec_lo, s11
	s_delay_alu instid0(SALU_CYCLE_1)
	s_mov_b32 s11, exec_lo
	s_wait_dscnt 0x0
	s_barrier_signal -1
	s_barrier_wait -1
	v_cmpx_gt_u32_e32 4, v0
	s_cbranch_execz .LBB1951_277
; %bb.272:
	v_mul_u32_u24_e32 v13, 12, v0
	v_and_b32_e32 v15, 3, v34
	s_mov_b32 s12, exec_lo
	ds_load_2addr_b32 v[8:9], v13 offset1:1
	ds_load_b32 v14, v13 offset:8
	s_wait_dscnt 0x1
	v_mov_b32_dpp v17, v8 row_shr:1 row_mask:0xf bank_mask:0xf
	v_mov_b32_dpp v18, v9 row_shr:1 row_mask:0xf bank_mask:0xf
	s_wait_dscnt 0x0
	v_mov_b32_dpp v16, v14 row_shr:1 row_mask:0xf bank_mask:0xf
	v_cmpx_ne_u32_e32 0, v15
; %bb.273:
	v_and_b32_e32 v19, 0xff, v14
	v_dual_add_nc_u32 v17, v8, v17 :: v_dual_add_nc_u32 v18, v9, v18
	s_delay_alu instid0(VALU_DEP_2) | instskip(NEXT) | instid1(VALU_DEP_1)
	v_cmp_eq_u32_e64 s10, 0, v19
	v_dual_cndmask_b32 v9, v9, v18, s10 :: v_dual_bitop2_b32 v16, 1, v16 bitop3:0x40
	s_delay_alu instid0(VALU_DEP_3) | instskip(NEXT) | instid1(VALU_DEP_2)
	v_cndmask_b32_e64 v8, v8, v17, s10
	v_and_or_b32 v14, 0xffffff01, v14, v16
; %bb.274:
	s_or_b32 exec_lo, exec_lo, s12
	s_delay_alu instid0(VALU_DEP_2) | instskip(SKIP_1) | instid1(VALU_DEP_3)
	v_mov_b32_dpp v17, v8 row_shr:2 row_mask:0xf bank_mask:0xf
	v_mov_b32_dpp v18, v9 row_shr:2 row_mask:0xf bank_mask:0xf
	;; [unrolled: 1-line block ×3, first 2 shown]
	s_mov_b32 s12, exec_lo
	v_cmpx_lt_u32_e32 1, v15
; %bb.275:
	v_and_b32_e32 v15, 0xff, v14
	v_dual_add_nc_u32 v17, v8, v17 :: v_dual_add_nc_u32 v18, v9, v18
	v_bitop3_b32 v14, v16, 1, v14 bitop3:0xc8
	s_delay_alu instid0(VALU_DEP_3) | instskip(NEXT) | instid1(VALU_DEP_1)
	v_cmp_eq_u32_e64 s10, 0, v15
	v_dual_cndmask_b32 v9, v9, v18, s10 :: v_dual_cndmask_b32 v8, v8, v17, s10
; %bb.276:
	s_or_b32 exec_lo, exec_lo, s12
	ds_store_2addr_b32 v13, v8, v9 offset1:1
	ds_store_b8 v13, v14 offset:8
.LBB1951_277:
	s_or_b32 exec_lo, exec_lo, s11
	v_dual_mov_b32 v8, 0 :: v_dual_mov_b32 v9, 0
	s_mov_b32 s11, exec_lo
	s_wait_dscnt 0x0
	s_barrier_signal -1
	s_barrier_wait -1
	v_cmpx_lt_u32_e32 31, v0
	s_cbranch_execz .LBB1951_279
; %bb.278:
	v_mad_u32_u24 v8, v12, 12, -12
	v_cmp_eq_u32_e64 s10, 0, v5
	ds_load_2addr_b32 v[8:9], v8 offset1:1
	s_wait_dscnt 0x0
	v_dual_add_nc_u32 v12, v8, v4 :: v_dual_add_nc_u32 v13, v9, v1
	s_delay_alu instid0(VALU_DEP_1)
	v_dual_cndmask_b32 v4, v4, v12, s10 :: v_dual_cndmask_b32 v1, v1, v13, s10
.LBB1951_279:
	s_or_b32 exec_lo, exec_lo, s11
	v_sub_co_u32 v5, s10, v34, 1
	s_delay_alu instid0(VALU_DEP_1) | instskip(NEXT) | instid1(VALU_DEP_1)
	v_cmp_gt_i32_e64 s11, 0, v5
	v_cndmask_b32_e64 v5, v5, v34, s11
	s_delay_alu instid0(VALU_DEP_1)
	v_lshlrev_b32_e32 v5, 2, v5
	ds_bpermute_b32 v4, v5, v4
	ds_bpermute_b32 v1, v5, v1
	s_and_saveexec_b32 s11, s7
	s_cbranch_execz .LBB1951_281
; %bb.280:
	s_wait_dscnt 0x0
	v_dual_cndmask_b32 v4, v4, v8, s10 :: v_dual_cndmask_b32 v1, v1, v9, s10
	v_and_b32_e32 v5, 0xff, v50
	;;#ASMSTART
	;;#ASMEND
	s_delay_alu instid0(VALU_DEP_2) | instskip(NEXT) | instid1(VALU_DEP_2)
	v_dual_add_nc_u32 v4, v4, v2 :: v_dual_add_nc_u32 v1, v1, v3
	v_cmp_eq_u16_e64 s7, 0, v5
	s_delay_alu instid0(VALU_DEP_1)
	v_dual_cndmask_b32 v3, v3, v1, s7 :: v_dual_cndmask_b32 v2, v2, v4, s7
.LBB1951_281:
	s_or_b32 exec_lo, exec_lo, s11
                                        ; implicit-def: $vgpr14_vgpr15
	s_and_saveexec_b32 s7, s9
	s_delay_alu instid0(SALU_CYCLE_1)
	s_xor_b32 s7, exec_lo, s7
	s_cbranch_execz .LBB1951_283
; %bb.282:
	v_mov_b64_e32 v[14:15], v[46:47]
	s_and_not1_saveexec_b32 s7, s7
                                        ; implicit-def: $vgpr18_vgpr19
	s_branch .LBB1951_284
.LBB1951_283:
	s_and_not1_saveexec_b32 s7, s7
                                        ; implicit-def: $vgpr18_vgpr19
.LBB1951_284:
	v_dual_add_nc_u32 v14, v46, v2 :: v_dual_add_nc_u32 v15, v47, v3
	s_delay_alu instid0(VALU_DEP_1)
	v_dual_mov_b32 v46, v14 :: v_dual_mov_b32 v47, v15
; %bb.285:
	s_or_b32 exec_lo, exec_lo, s7
                                        ; implicit-def: $vgpr16_vgpr17
	s_and_saveexec_b32 s7, s8
	s_delay_alu instid0(SALU_CYCLE_1)
	s_xor_b32 s7, exec_lo, s7
	s_cbranch_execz .LBB1951_289
; %bb.286:
	v_mov_b64_e32 v[16:17], v[44:45]
                                        ; implicit-def: $vgpr46
	s_and_not1_saveexec_b32 s7, s7
	s_cbranch_execnz .LBB1951_290
.LBB1951_287:
	s_or_b32 exec_lo, exec_lo, s7
	s_and_saveexec_b32 s7, s6
	s_delay_alu instid0(SALU_CYCLE_1)
	s_xor_b32 s6, exec_lo, s7
	s_cbranch_execz .LBB1951_291
.LBB1951_288:
	v_mov_b64_e32 v[18:19], v[42:43]
                                        ; implicit-def: $vgpr44
	s_and_not1_saveexec_b32 s6, s6
                                        ; implicit-def: $vgpr22_vgpr23
	s_branch .LBB1951_292
.LBB1951_289:
	s_and_not1_saveexec_b32 s7, s7
	s_cbranch_execz .LBB1951_287
.LBB1951_290:
	v_dual_add_nc_u32 v16, v44, v46 :: v_dual_add_nc_u32 v17, v45, v47
	s_delay_alu instid0(VALU_DEP_1) | instskip(SKIP_2) | instid1(SALU_CYCLE_1)
	v_dual_mov_b32 v44, v16 :: v_dual_mov_b32 v45, v17
	s_or_b32 exec_lo, exec_lo, s7
	s_and_saveexec_b32 s7, s6
	s_xor_b32 s6, exec_lo, s7
	s_cbranch_execnz .LBB1951_288
.LBB1951_291:
	s_and_not1_saveexec_b32 s6, s6
                                        ; implicit-def: $vgpr22_vgpr23
.LBB1951_292:
	v_dual_add_nc_u32 v18, v42, v44 :: v_dual_add_nc_u32 v19, v43, v45
	s_delay_alu instid0(VALU_DEP_1)
	v_dual_mov_b32 v42, v18 :: v_dual_mov_b32 v43, v19
; %bb.293:
	s_or_b32 exec_lo, exec_lo, s6
                                        ; implicit-def: $vgpr20_vgpr21
	s_and_saveexec_b32 s6, s5
	s_delay_alu instid0(SALU_CYCLE_1)
	s_xor_b32 s5, exec_lo, s6
	s_cbranch_execz .LBB1951_297
; %bb.294:
	v_mov_b64_e32 v[20:21], v[40:41]
                                        ; implicit-def: $vgpr42
	s_and_not1_saveexec_b32 s5, s5
	s_cbranch_execnz .LBB1951_298
.LBB1951_295:
	s_or_b32 exec_lo, exec_lo, s5
	s_and_saveexec_b32 s5, s4
	s_delay_alu instid0(SALU_CYCLE_1)
	s_xor_b32 s4, exec_lo, s5
	s_cbranch_execz .LBB1951_299
.LBB1951_296:
	v_mov_b64_e32 v[22:23], v[38:39]
                                        ; implicit-def: $vgpr40
	s_and_not1_saveexec_b32 s4, s4
                                        ; implicit-def: $vgpr26_vgpr27
	s_branch .LBB1951_300
.LBB1951_297:
	s_and_not1_saveexec_b32 s5, s5
	s_cbranch_execz .LBB1951_295
.LBB1951_298:
	v_dual_add_nc_u32 v20, v40, v42 :: v_dual_add_nc_u32 v21, v41, v43
	s_delay_alu instid0(VALU_DEP_1) | instskip(SKIP_2) | instid1(SALU_CYCLE_1)
	v_dual_mov_b32 v40, v20 :: v_dual_mov_b32 v41, v21
	s_or_b32 exec_lo, exec_lo, s5
	s_and_saveexec_b32 s5, s4
	s_xor_b32 s4, exec_lo, s5
	s_cbranch_execnz .LBB1951_296
.LBB1951_299:
	s_and_not1_saveexec_b32 s4, s4
                                        ; implicit-def: $vgpr26_vgpr27
.LBB1951_300:
	v_dual_add_nc_u32 v22, v38, v40 :: v_dual_add_nc_u32 v23, v39, v41
	s_delay_alu instid0(VALU_DEP_1)
	v_dual_mov_b32 v38, v22 :: v_dual_mov_b32 v39, v23
; %bb.301:
	s_or_b32 exec_lo, exec_lo, s4
                                        ; implicit-def: $vgpr24_vgpr25
	s_and_saveexec_b32 s4, s3
	s_delay_alu instid0(SALU_CYCLE_1)
	s_xor_b32 s3, exec_lo, s4
	s_cbranch_execz .LBB1951_305
; %bb.302:
	v_mov_b64_e32 v[24:25], v[36:37]
                                        ; implicit-def: $vgpr38
	s_and_not1_saveexec_b32 s3, s3
	s_cbranch_execnz .LBB1951_306
.LBB1951_303:
	s_or_b32 exec_lo, exec_lo, s3
	s_and_saveexec_b32 s3, s2
	s_delay_alu instid0(SALU_CYCLE_1)
	s_xor_b32 s2, exec_lo, s3
	s_cbranch_execz .LBB1951_307
.LBB1951_304:
	v_mov_b64_e32 v[26:27], v[10:11]
                                        ; implicit-def: $vgpr36
	s_and_not1_saveexec_b32 s2, s2
                                        ; implicit-def: $vgpr30_vgpr31
	s_branch .LBB1951_308
.LBB1951_305:
	s_and_not1_saveexec_b32 s3, s3
	s_cbranch_execz .LBB1951_303
.LBB1951_306:
	v_dual_add_nc_u32 v24, v36, v38 :: v_dual_add_nc_u32 v25, v37, v39
	s_delay_alu instid0(VALU_DEP_1) | instskip(SKIP_2) | instid1(SALU_CYCLE_1)
	v_dual_mov_b32 v36, v24 :: v_dual_mov_b32 v37, v25
	s_or_b32 exec_lo, exec_lo, s3
	s_and_saveexec_b32 s3, s2
	s_xor_b32 s2, exec_lo, s3
	s_cbranch_execnz .LBB1951_304
.LBB1951_307:
	s_and_not1_saveexec_b32 s2, s2
                                        ; implicit-def: $vgpr30_vgpr31
.LBB1951_308:
	v_dual_add_nc_u32 v26, v10, v36 :: v_dual_add_nc_u32 v27, v11, v37
	s_delay_alu instid0(VALU_DEP_1)
	v_dual_mov_b32 v10, v26 :: v_dual_mov_b32 v11, v27
; %bb.309:
	s_or_b32 exec_lo, exec_lo, s2
                                        ; implicit-def: $vgpr28_vgpr29
	s_and_saveexec_b32 s2, s1
	s_delay_alu instid0(SALU_CYCLE_1)
	s_xor_b32 s1, exec_lo, s2
	s_cbranch_execz .LBB1951_321
; %bb.310:
	v_mov_b64_e32 v[28:29], v[6:7]
                                        ; implicit-def: $vgpr10
	s_and_not1_saveexec_b32 s1, s1
	s_cbranch_execnz .LBB1951_322
.LBB1951_311:
	s_or_b32 exec_lo, exec_lo, s1
	s_and_saveexec_b32 s1, s0
	s_delay_alu instid0(SALU_CYCLE_1)
	s_xor_b32 s0, exec_lo, s1
	s_cbranch_execz .LBB1951_323
.LBB1951_312:
	v_mov_b64_e32 v[30:31], v[32:33]
                                        ; implicit-def: $vgpr32_vgpr33
                                        ; implicit-def: $vgpr6
	s_and_not1_saveexec_b32 s0, s0
	s_cbranch_execnz .LBB1951_324
.LBB1951_313:
	s_or_b32 exec_lo, exec_lo, s0
	s_and_saveexec_b32 s0, vcc_lo
	s_cbranch_execz .LBB1951_315
.LBB1951_314:
	s_wait_dscnt 0x0
	v_dual_mov_b32 v1, 0 :: v_dual_mov_b32 v7, 2
	s_add_nc_u64 s[2:3], s[24:25], 0x200
	ds_load_u8 v6, v1 offset:44
	ds_load_2addr_b32 v[4:5], v1 offset0:9 offset1:10
	v_mov_b64_e32 v[8:9], s[2:3]
	s_wait_dscnt 0x1
	v_and_b32_e32 v6, 0xffff, v6
	s_wait_dscnt 0x0
	;;#ASMSTART
	global_store_b128 v[8:9], v[4:7] off scope:SCOPE_DEV	
s_wait_storecnt 0x0
	;;#ASMEND
.LBB1951_315:
	s_or_b32 exec_lo, exec_lo, s0
	v_mov_b64_e32 v[12:13], v[2:3]
	s_add_nc_u64 s[0:1], s[14:15], s[34:35]
	s_and_b32 vcc_lo, exec_lo, s27
	s_add_nc_u64 s[0:1], s[0:1], s[16:17]
	s_cbranch_vccnz .LBB1951_189
.LBB1951_316:
	s_mov_b32 s2, 0
                                        ; implicit-def: $vgpr4_vgpr5
	s_cbranch_execz .LBB1951_318
; %bb.317:
	s_wait_dscnt 0x0
	v_mul_u32_u24_e32 v1, 0x50, v0
	v_mul_i32_i24_e32 v2, 0xffffffb8, v0
	s_wait_storecnt 0x0
	s_barrier_signal -1
	s_barrier_wait -1
	ds_store_b128 v1, v[12:15]
	ds_store_b128 v1, v[16:19] offset:16
	ds_store_b128 v1, v[20:23] offset:32
	;; [unrolled: 1-line block ×4, first 2 shown]
	v_mad_u32_u24 v1, 0x50, v0, v2
	s_wait_dscnt 0x0
	s_barrier_signal -1
	s_barrier_wait -1
	ds_load_2addr_stride64_b64 v[6:9], v1 offset1:2
	ds_load_2addr_stride64_b64 v[10:13], v1 offset0:4 offset1:6
	ds_load_2addr_stride64_b64 v[14:17], v1 offset0:8 offset1:10
	;; [unrolled: 1-line block ×4, first 2 shown]
	s_or_b32 s2, s2, exec_lo
	s_wait_dscnt 0x4
	s_clause 0x1
	flat_store_b64 v0, v[6:7], s[0:1] scale_offset
	flat_store_b64 v0, v[8:9], s[0:1] offset:1024 scale_offset
	s_wait_dscnt 0x5
	s_clause 0x1
	flat_store_b64 v0, v[10:11], s[0:1] offset:2048 scale_offset
	flat_store_b64 v0, v[12:13], s[0:1] offset:3072 scale_offset
	s_wait_dscnt 0x6
	s_clause 0x1
	flat_store_b64 v0, v[14:15], s[0:1] offset:4096 scale_offset
	;; [unrolled: 4-line block ×3, first 2 shown]
	flat_store_b64 v0, v[20:21], s[0:1] offset:7168 scale_offset
	s_wait_dscnt 0x8
	flat_store_b64 v0, v[2:3], s[0:1] offset:8192 scale_offset
.LBB1951_318:
	s_wait_xcnt 0x0
	s_delay_alu instid0(VALU_DEP_1)
	s_and_saveexec_b32 s3, s2
	s_cbranch_execz .LBB1951_320
; %bb.319:
	s_wait_dscnt 0x0
	flat_store_b64 v0, v[4:5], s[0:1] offset:9216 scale_offset
	s_sendmsg sendmsg(MSG_DEALLOC_VGPRS)
	s_endpgm
.LBB1951_320:
	s_sendmsg sendmsg(MSG_DEALLOC_VGPRS)
	s_endpgm
.LBB1951_321:
	s_and_not1_saveexec_b32 s1, s1
	s_cbranch_execz .LBB1951_311
.LBB1951_322:
	v_dual_add_nc_u32 v28, v6, v10 :: v_dual_add_nc_u32 v29, v7, v11
	s_delay_alu instid0(VALU_DEP_1) | instskip(SKIP_2) | instid1(SALU_CYCLE_1)
	v_dual_mov_b32 v6, v28 :: v_dual_mov_b32 v7, v29
	s_or_b32 exec_lo, exec_lo, s1
	s_and_saveexec_b32 s1, s0
	s_xor_b32 s0, exec_lo, s1
	s_cbranch_execnz .LBB1951_312
.LBB1951_323:
	s_and_not1_saveexec_b32 s0, s0
	s_cbranch_execz .LBB1951_313
.LBB1951_324:
	v_dual_add_nc_u32 v30, v32, v6 :: v_dual_add_nc_u32 v31, v33, v7
	s_or_b32 exec_lo, exec_lo, s0
	s_and_saveexec_b32 s0, vcc_lo
	s_cbranch_execnz .LBB1951_314
	s_branch .LBB1951_315
	.section	.rodata,"a",@progbits
	.p2align	6, 0x0
	.amdhsa_kernel _ZN7rocprim17ROCPRIM_400000_NS6detail17trampoline_kernelINS0_14default_configENS1_27scan_by_key_config_selectorIj11FixedVectorIiLj2EEEEZZNS1_16scan_by_key_implILNS1_25lookback_scan_determinismE0ELb0ES3_N6thrust23THRUST_200600_302600_NS6detail15normal_iteratorINSB_10device_ptrIjEEEENSD_INSE_IS6_EEEESI_S6_NSB_4plusIvEENSB_8equal_toIvEES6_EE10hipError_tPvRmT2_T3_T4_T5_mT6_T7_P12ihipStream_tbENKUlT_T0_E_clISt17integral_constantIbLb0EES13_EEDaSY_SZ_EUlSY_E_NS1_11comp_targetILNS1_3genE0ELNS1_11target_archE4294967295ELNS1_3gpuE0ELNS1_3repE0EEENS1_30default_config_static_selectorELNS0_4arch9wavefront6targetE0EEEvT1_
		.amdhsa_group_segment_fixed_size 10240
		.amdhsa_private_segment_fixed_size 0
		.amdhsa_kernarg_size 120
		.amdhsa_user_sgpr_count 2
		.amdhsa_user_sgpr_dispatch_ptr 0
		.amdhsa_user_sgpr_queue_ptr 0
		.amdhsa_user_sgpr_kernarg_segment_ptr 1
		.amdhsa_user_sgpr_dispatch_id 0
		.amdhsa_user_sgpr_kernarg_preload_length 0
		.amdhsa_user_sgpr_kernarg_preload_offset 0
		.amdhsa_user_sgpr_private_segment_size 0
		.amdhsa_wavefront_size32 1
		.amdhsa_uses_dynamic_stack 0
		.amdhsa_enable_private_segment 0
		.amdhsa_system_sgpr_workgroup_id_x 1
		.amdhsa_system_sgpr_workgroup_id_y 0
		.amdhsa_system_sgpr_workgroup_id_z 0
		.amdhsa_system_sgpr_workgroup_info 0
		.amdhsa_system_vgpr_workitem_id 0
		.amdhsa_next_free_vgpr 74
		.amdhsa_next_free_sgpr 47
		.amdhsa_named_barrier_count 0
		.amdhsa_reserve_vcc 1
		.amdhsa_float_round_mode_32 0
		.amdhsa_float_round_mode_16_64 0
		.amdhsa_float_denorm_mode_32 3
		.amdhsa_float_denorm_mode_16_64 3
		.amdhsa_fp16_overflow 0
		.amdhsa_memory_ordered 1
		.amdhsa_forward_progress 1
		.amdhsa_inst_pref_size 93
		.amdhsa_round_robin_scheduling 0
		.amdhsa_exception_fp_ieee_invalid_op 0
		.amdhsa_exception_fp_denorm_src 0
		.amdhsa_exception_fp_ieee_div_zero 0
		.amdhsa_exception_fp_ieee_overflow 0
		.amdhsa_exception_fp_ieee_underflow 0
		.amdhsa_exception_fp_ieee_inexact 0
		.amdhsa_exception_int_div_zero 0
	.end_amdhsa_kernel
	.section	.text._ZN7rocprim17ROCPRIM_400000_NS6detail17trampoline_kernelINS0_14default_configENS1_27scan_by_key_config_selectorIj11FixedVectorIiLj2EEEEZZNS1_16scan_by_key_implILNS1_25lookback_scan_determinismE0ELb0ES3_N6thrust23THRUST_200600_302600_NS6detail15normal_iteratorINSB_10device_ptrIjEEEENSD_INSE_IS6_EEEESI_S6_NSB_4plusIvEENSB_8equal_toIvEES6_EE10hipError_tPvRmT2_T3_T4_T5_mT6_T7_P12ihipStream_tbENKUlT_T0_E_clISt17integral_constantIbLb0EES13_EEDaSY_SZ_EUlSY_E_NS1_11comp_targetILNS1_3genE0ELNS1_11target_archE4294967295ELNS1_3gpuE0ELNS1_3repE0EEENS1_30default_config_static_selectorELNS0_4arch9wavefront6targetE0EEEvT1_,"axG",@progbits,_ZN7rocprim17ROCPRIM_400000_NS6detail17trampoline_kernelINS0_14default_configENS1_27scan_by_key_config_selectorIj11FixedVectorIiLj2EEEEZZNS1_16scan_by_key_implILNS1_25lookback_scan_determinismE0ELb0ES3_N6thrust23THRUST_200600_302600_NS6detail15normal_iteratorINSB_10device_ptrIjEEEENSD_INSE_IS6_EEEESI_S6_NSB_4plusIvEENSB_8equal_toIvEES6_EE10hipError_tPvRmT2_T3_T4_T5_mT6_T7_P12ihipStream_tbENKUlT_T0_E_clISt17integral_constantIbLb0EES13_EEDaSY_SZ_EUlSY_E_NS1_11comp_targetILNS1_3genE0ELNS1_11target_archE4294967295ELNS1_3gpuE0ELNS1_3repE0EEENS1_30default_config_static_selectorELNS0_4arch9wavefront6targetE0EEEvT1_,comdat
.Lfunc_end1951:
	.size	_ZN7rocprim17ROCPRIM_400000_NS6detail17trampoline_kernelINS0_14default_configENS1_27scan_by_key_config_selectorIj11FixedVectorIiLj2EEEEZZNS1_16scan_by_key_implILNS1_25lookback_scan_determinismE0ELb0ES3_N6thrust23THRUST_200600_302600_NS6detail15normal_iteratorINSB_10device_ptrIjEEEENSD_INSE_IS6_EEEESI_S6_NSB_4plusIvEENSB_8equal_toIvEES6_EE10hipError_tPvRmT2_T3_T4_T5_mT6_T7_P12ihipStream_tbENKUlT_T0_E_clISt17integral_constantIbLb0EES13_EEDaSY_SZ_EUlSY_E_NS1_11comp_targetILNS1_3genE0ELNS1_11target_archE4294967295ELNS1_3gpuE0ELNS1_3repE0EEENS1_30default_config_static_selectorELNS0_4arch9wavefront6targetE0EEEvT1_, .Lfunc_end1951-_ZN7rocprim17ROCPRIM_400000_NS6detail17trampoline_kernelINS0_14default_configENS1_27scan_by_key_config_selectorIj11FixedVectorIiLj2EEEEZZNS1_16scan_by_key_implILNS1_25lookback_scan_determinismE0ELb0ES3_N6thrust23THRUST_200600_302600_NS6detail15normal_iteratorINSB_10device_ptrIjEEEENSD_INSE_IS6_EEEESI_S6_NSB_4plusIvEENSB_8equal_toIvEES6_EE10hipError_tPvRmT2_T3_T4_T5_mT6_T7_P12ihipStream_tbENKUlT_T0_E_clISt17integral_constantIbLb0EES13_EEDaSY_SZ_EUlSY_E_NS1_11comp_targetILNS1_3genE0ELNS1_11target_archE4294967295ELNS1_3gpuE0ELNS1_3repE0EEENS1_30default_config_static_selectorELNS0_4arch9wavefront6targetE0EEEvT1_
                                        ; -- End function
	.set _ZN7rocprim17ROCPRIM_400000_NS6detail17trampoline_kernelINS0_14default_configENS1_27scan_by_key_config_selectorIj11FixedVectorIiLj2EEEEZZNS1_16scan_by_key_implILNS1_25lookback_scan_determinismE0ELb0ES3_N6thrust23THRUST_200600_302600_NS6detail15normal_iteratorINSB_10device_ptrIjEEEENSD_INSE_IS6_EEEESI_S6_NSB_4plusIvEENSB_8equal_toIvEES6_EE10hipError_tPvRmT2_T3_T4_T5_mT6_T7_P12ihipStream_tbENKUlT_T0_E_clISt17integral_constantIbLb0EES13_EEDaSY_SZ_EUlSY_E_NS1_11comp_targetILNS1_3genE0ELNS1_11target_archE4294967295ELNS1_3gpuE0ELNS1_3repE0EEENS1_30default_config_static_selectorELNS0_4arch9wavefront6targetE0EEEvT1_.num_vgpr, 74
	.set _ZN7rocprim17ROCPRIM_400000_NS6detail17trampoline_kernelINS0_14default_configENS1_27scan_by_key_config_selectorIj11FixedVectorIiLj2EEEEZZNS1_16scan_by_key_implILNS1_25lookback_scan_determinismE0ELb0ES3_N6thrust23THRUST_200600_302600_NS6detail15normal_iteratorINSB_10device_ptrIjEEEENSD_INSE_IS6_EEEESI_S6_NSB_4plusIvEENSB_8equal_toIvEES6_EE10hipError_tPvRmT2_T3_T4_T5_mT6_T7_P12ihipStream_tbENKUlT_T0_E_clISt17integral_constantIbLb0EES13_EEDaSY_SZ_EUlSY_E_NS1_11comp_targetILNS1_3genE0ELNS1_11target_archE4294967295ELNS1_3gpuE0ELNS1_3repE0EEENS1_30default_config_static_selectorELNS0_4arch9wavefront6targetE0EEEvT1_.num_agpr, 0
	.set _ZN7rocprim17ROCPRIM_400000_NS6detail17trampoline_kernelINS0_14default_configENS1_27scan_by_key_config_selectorIj11FixedVectorIiLj2EEEEZZNS1_16scan_by_key_implILNS1_25lookback_scan_determinismE0ELb0ES3_N6thrust23THRUST_200600_302600_NS6detail15normal_iteratorINSB_10device_ptrIjEEEENSD_INSE_IS6_EEEESI_S6_NSB_4plusIvEENSB_8equal_toIvEES6_EE10hipError_tPvRmT2_T3_T4_T5_mT6_T7_P12ihipStream_tbENKUlT_T0_E_clISt17integral_constantIbLb0EES13_EEDaSY_SZ_EUlSY_E_NS1_11comp_targetILNS1_3genE0ELNS1_11target_archE4294967295ELNS1_3gpuE0ELNS1_3repE0EEENS1_30default_config_static_selectorELNS0_4arch9wavefront6targetE0EEEvT1_.numbered_sgpr, 47
	.set _ZN7rocprim17ROCPRIM_400000_NS6detail17trampoline_kernelINS0_14default_configENS1_27scan_by_key_config_selectorIj11FixedVectorIiLj2EEEEZZNS1_16scan_by_key_implILNS1_25lookback_scan_determinismE0ELb0ES3_N6thrust23THRUST_200600_302600_NS6detail15normal_iteratorINSB_10device_ptrIjEEEENSD_INSE_IS6_EEEESI_S6_NSB_4plusIvEENSB_8equal_toIvEES6_EE10hipError_tPvRmT2_T3_T4_T5_mT6_T7_P12ihipStream_tbENKUlT_T0_E_clISt17integral_constantIbLb0EES13_EEDaSY_SZ_EUlSY_E_NS1_11comp_targetILNS1_3genE0ELNS1_11target_archE4294967295ELNS1_3gpuE0ELNS1_3repE0EEENS1_30default_config_static_selectorELNS0_4arch9wavefront6targetE0EEEvT1_.num_named_barrier, 0
	.set _ZN7rocprim17ROCPRIM_400000_NS6detail17trampoline_kernelINS0_14default_configENS1_27scan_by_key_config_selectorIj11FixedVectorIiLj2EEEEZZNS1_16scan_by_key_implILNS1_25lookback_scan_determinismE0ELb0ES3_N6thrust23THRUST_200600_302600_NS6detail15normal_iteratorINSB_10device_ptrIjEEEENSD_INSE_IS6_EEEESI_S6_NSB_4plusIvEENSB_8equal_toIvEES6_EE10hipError_tPvRmT2_T3_T4_T5_mT6_T7_P12ihipStream_tbENKUlT_T0_E_clISt17integral_constantIbLb0EES13_EEDaSY_SZ_EUlSY_E_NS1_11comp_targetILNS1_3genE0ELNS1_11target_archE4294967295ELNS1_3gpuE0ELNS1_3repE0EEENS1_30default_config_static_selectorELNS0_4arch9wavefront6targetE0EEEvT1_.private_seg_size, 0
	.set _ZN7rocprim17ROCPRIM_400000_NS6detail17trampoline_kernelINS0_14default_configENS1_27scan_by_key_config_selectorIj11FixedVectorIiLj2EEEEZZNS1_16scan_by_key_implILNS1_25lookback_scan_determinismE0ELb0ES3_N6thrust23THRUST_200600_302600_NS6detail15normal_iteratorINSB_10device_ptrIjEEEENSD_INSE_IS6_EEEESI_S6_NSB_4plusIvEENSB_8equal_toIvEES6_EE10hipError_tPvRmT2_T3_T4_T5_mT6_T7_P12ihipStream_tbENKUlT_T0_E_clISt17integral_constantIbLb0EES13_EEDaSY_SZ_EUlSY_E_NS1_11comp_targetILNS1_3genE0ELNS1_11target_archE4294967295ELNS1_3gpuE0ELNS1_3repE0EEENS1_30default_config_static_selectorELNS0_4arch9wavefront6targetE0EEEvT1_.uses_vcc, 1
	.set _ZN7rocprim17ROCPRIM_400000_NS6detail17trampoline_kernelINS0_14default_configENS1_27scan_by_key_config_selectorIj11FixedVectorIiLj2EEEEZZNS1_16scan_by_key_implILNS1_25lookback_scan_determinismE0ELb0ES3_N6thrust23THRUST_200600_302600_NS6detail15normal_iteratorINSB_10device_ptrIjEEEENSD_INSE_IS6_EEEESI_S6_NSB_4plusIvEENSB_8equal_toIvEES6_EE10hipError_tPvRmT2_T3_T4_T5_mT6_T7_P12ihipStream_tbENKUlT_T0_E_clISt17integral_constantIbLb0EES13_EEDaSY_SZ_EUlSY_E_NS1_11comp_targetILNS1_3genE0ELNS1_11target_archE4294967295ELNS1_3gpuE0ELNS1_3repE0EEENS1_30default_config_static_selectorELNS0_4arch9wavefront6targetE0EEEvT1_.uses_flat_scratch, 1
	.set _ZN7rocprim17ROCPRIM_400000_NS6detail17trampoline_kernelINS0_14default_configENS1_27scan_by_key_config_selectorIj11FixedVectorIiLj2EEEEZZNS1_16scan_by_key_implILNS1_25lookback_scan_determinismE0ELb0ES3_N6thrust23THRUST_200600_302600_NS6detail15normal_iteratorINSB_10device_ptrIjEEEENSD_INSE_IS6_EEEESI_S6_NSB_4plusIvEENSB_8equal_toIvEES6_EE10hipError_tPvRmT2_T3_T4_T5_mT6_T7_P12ihipStream_tbENKUlT_T0_E_clISt17integral_constantIbLb0EES13_EEDaSY_SZ_EUlSY_E_NS1_11comp_targetILNS1_3genE0ELNS1_11target_archE4294967295ELNS1_3gpuE0ELNS1_3repE0EEENS1_30default_config_static_selectorELNS0_4arch9wavefront6targetE0EEEvT1_.has_dyn_sized_stack, 0
	.set _ZN7rocprim17ROCPRIM_400000_NS6detail17trampoline_kernelINS0_14default_configENS1_27scan_by_key_config_selectorIj11FixedVectorIiLj2EEEEZZNS1_16scan_by_key_implILNS1_25lookback_scan_determinismE0ELb0ES3_N6thrust23THRUST_200600_302600_NS6detail15normal_iteratorINSB_10device_ptrIjEEEENSD_INSE_IS6_EEEESI_S6_NSB_4plusIvEENSB_8equal_toIvEES6_EE10hipError_tPvRmT2_T3_T4_T5_mT6_T7_P12ihipStream_tbENKUlT_T0_E_clISt17integral_constantIbLb0EES13_EEDaSY_SZ_EUlSY_E_NS1_11comp_targetILNS1_3genE0ELNS1_11target_archE4294967295ELNS1_3gpuE0ELNS1_3repE0EEENS1_30default_config_static_selectorELNS0_4arch9wavefront6targetE0EEEvT1_.has_recursion, 0
	.set _ZN7rocprim17ROCPRIM_400000_NS6detail17trampoline_kernelINS0_14default_configENS1_27scan_by_key_config_selectorIj11FixedVectorIiLj2EEEEZZNS1_16scan_by_key_implILNS1_25lookback_scan_determinismE0ELb0ES3_N6thrust23THRUST_200600_302600_NS6detail15normal_iteratorINSB_10device_ptrIjEEEENSD_INSE_IS6_EEEESI_S6_NSB_4plusIvEENSB_8equal_toIvEES6_EE10hipError_tPvRmT2_T3_T4_T5_mT6_T7_P12ihipStream_tbENKUlT_T0_E_clISt17integral_constantIbLb0EES13_EEDaSY_SZ_EUlSY_E_NS1_11comp_targetILNS1_3genE0ELNS1_11target_archE4294967295ELNS1_3gpuE0ELNS1_3repE0EEENS1_30default_config_static_selectorELNS0_4arch9wavefront6targetE0EEEvT1_.has_indirect_call, 0
	.section	.AMDGPU.csdata,"",@progbits
; Kernel info:
; codeLenInByte = 11860
; TotalNumSgprs: 49
; NumVgprs: 74
; ScratchSize: 0
; MemoryBound: 0
; FloatMode: 240
; IeeeMode: 1
; LDSByteSize: 10240 bytes/workgroup (compile time only)
; SGPRBlocks: 0
; VGPRBlocks: 4
; NumSGPRsForWavesPerEU: 49
; NumVGPRsForWavesPerEU: 74
; NamedBarCnt: 0
; Occupancy: 12
; WaveLimiterHint : 1
; COMPUTE_PGM_RSRC2:SCRATCH_EN: 0
; COMPUTE_PGM_RSRC2:USER_SGPR: 2
; COMPUTE_PGM_RSRC2:TRAP_HANDLER: 0
; COMPUTE_PGM_RSRC2:TGID_X_EN: 1
; COMPUTE_PGM_RSRC2:TGID_Y_EN: 0
; COMPUTE_PGM_RSRC2:TGID_Z_EN: 0
; COMPUTE_PGM_RSRC2:TIDIG_COMP_CNT: 0
	.section	.text._ZN7rocprim17ROCPRIM_400000_NS6detail17trampoline_kernelINS0_14default_configENS1_27scan_by_key_config_selectorIj11FixedVectorIiLj2EEEEZZNS1_16scan_by_key_implILNS1_25lookback_scan_determinismE0ELb0ES3_N6thrust23THRUST_200600_302600_NS6detail15normal_iteratorINSB_10device_ptrIjEEEENSD_INSE_IS6_EEEESI_S6_NSB_4plusIvEENSB_8equal_toIvEES6_EE10hipError_tPvRmT2_T3_T4_T5_mT6_T7_P12ihipStream_tbENKUlT_T0_E_clISt17integral_constantIbLb0EES13_EEDaSY_SZ_EUlSY_E_NS1_11comp_targetILNS1_3genE10ELNS1_11target_archE1201ELNS1_3gpuE5ELNS1_3repE0EEENS1_30default_config_static_selectorELNS0_4arch9wavefront6targetE0EEEvT1_,"axG",@progbits,_ZN7rocprim17ROCPRIM_400000_NS6detail17trampoline_kernelINS0_14default_configENS1_27scan_by_key_config_selectorIj11FixedVectorIiLj2EEEEZZNS1_16scan_by_key_implILNS1_25lookback_scan_determinismE0ELb0ES3_N6thrust23THRUST_200600_302600_NS6detail15normal_iteratorINSB_10device_ptrIjEEEENSD_INSE_IS6_EEEESI_S6_NSB_4plusIvEENSB_8equal_toIvEES6_EE10hipError_tPvRmT2_T3_T4_T5_mT6_T7_P12ihipStream_tbENKUlT_T0_E_clISt17integral_constantIbLb0EES13_EEDaSY_SZ_EUlSY_E_NS1_11comp_targetILNS1_3genE10ELNS1_11target_archE1201ELNS1_3gpuE5ELNS1_3repE0EEENS1_30default_config_static_selectorELNS0_4arch9wavefront6targetE0EEEvT1_,comdat
	.protected	_ZN7rocprim17ROCPRIM_400000_NS6detail17trampoline_kernelINS0_14default_configENS1_27scan_by_key_config_selectorIj11FixedVectorIiLj2EEEEZZNS1_16scan_by_key_implILNS1_25lookback_scan_determinismE0ELb0ES3_N6thrust23THRUST_200600_302600_NS6detail15normal_iteratorINSB_10device_ptrIjEEEENSD_INSE_IS6_EEEESI_S6_NSB_4plusIvEENSB_8equal_toIvEES6_EE10hipError_tPvRmT2_T3_T4_T5_mT6_T7_P12ihipStream_tbENKUlT_T0_E_clISt17integral_constantIbLb0EES13_EEDaSY_SZ_EUlSY_E_NS1_11comp_targetILNS1_3genE10ELNS1_11target_archE1201ELNS1_3gpuE5ELNS1_3repE0EEENS1_30default_config_static_selectorELNS0_4arch9wavefront6targetE0EEEvT1_ ; -- Begin function _ZN7rocprim17ROCPRIM_400000_NS6detail17trampoline_kernelINS0_14default_configENS1_27scan_by_key_config_selectorIj11FixedVectorIiLj2EEEEZZNS1_16scan_by_key_implILNS1_25lookback_scan_determinismE0ELb0ES3_N6thrust23THRUST_200600_302600_NS6detail15normal_iteratorINSB_10device_ptrIjEEEENSD_INSE_IS6_EEEESI_S6_NSB_4plusIvEENSB_8equal_toIvEES6_EE10hipError_tPvRmT2_T3_T4_T5_mT6_T7_P12ihipStream_tbENKUlT_T0_E_clISt17integral_constantIbLb0EES13_EEDaSY_SZ_EUlSY_E_NS1_11comp_targetILNS1_3genE10ELNS1_11target_archE1201ELNS1_3gpuE5ELNS1_3repE0EEENS1_30default_config_static_selectorELNS0_4arch9wavefront6targetE0EEEvT1_
	.globl	_ZN7rocprim17ROCPRIM_400000_NS6detail17trampoline_kernelINS0_14default_configENS1_27scan_by_key_config_selectorIj11FixedVectorIiLj2EEEEZZNS1_16scan_by_key_implILNS1_25lookback_scan_determinismE0ELb0ES3_N6thrust23THRUST_200600_302600_NS6detail15normal_iteratorINSB_10device_ptrIjEEEENSD_INSE_IS6_EEEESI_S6_NSB_4plusIvEENSB_8equal_toIvEES6_EE10hipError_tPvRmT2_T3_T4_T5_mT6_T7_P12ihipStream_tbENKUlT_T0_E_clISt17integral_constantIbLb0EES13_EEDaSY_SZ_EUlSY_E_NS1_11comp_targetILNS1_3genE10ELNS1_11target_archE1201ELNS1_3gpuE5ELNS1_3repE0EEENS1_30default_config_static_selectorELNS0_4arch9wavefront6targetE0EEEvT1_
	.p2align	8
	.type	_ZN7rocprim17ROCPRIM_400000_NS6detail17trampoline_kernelINS0_14default_configENS1_27scan_by_key_config_selectorIj11FixedVectorIiLj2EEEEZZNS1_16scan_by_key_implILNS1_25lookback_scan_determinismE0ELb0ES3_N6thrust23THRUST_200600_302600_NS6detail15normal_iteratorINSB_10device_ptrIjEEEENSD_INSE_IS6_EEEESI_S6_NSB_4plusIvEENSB_8equal_toIvEES6_EE10hipError_tPvRmT2_T3_T4_T5_mT6_T7_P12ihipStream_tbENKUlT_T0_E_clISt17integral_constantIbLb0EES13_EEDaSY_SZ_EUlSY_E_NS1_11comp_targetILNS1_3genE10ELNS1_11target_archE1201ELNS1_3gpuE5ELNS1_3repE0EEENS1_30default_config_static_selectorELNS0_4arch9wavefront6targetE0EEEvT1_,@function
_ZN7rocprim17ROCPRIM_400000_NS6detail17trampoline_kernelINS0_14default_configENS1_27scan_by_key_config_selectorIj11FixedVectorIiLj2EEEEZZNS1_16scan_by_key_implILNS1_25lookback_scan_determinismE0ELb0ES3_N6thrust23THRUST_200600_302600_NS6detail15normal_iteratorINSB_10device_ptrIjEEEENSD_INSE_IS6_EEEESI_S6_NSB_4plusIvEENSB_8equal_toIvEES6_EE10hipError_tPvRmT2_T3_T4_T5_mT6_T7_P12ihipStream_tbENKUlT_T0_E_clISt17integral_constantIbLb0EES13_EEDaSY_SZ_EUlSY_E_NS1_11comp_targetILNS1_3genE10ELNS1_11target_archE1201ELNS1_3gpuE5ELNS1_3repE0EEENS1_30default_config_static_selectorELNS0_4arch9wavefront6targetE0EEEvT1_: ; @_ZN7rocprim17ROCPRIM_400000_NS6detail17trampoline_kernelINS0_14default_configENS1_27scan_by_key_config_selectorIj11FixedVectorIiLj2EEEEZZNS1_16scan_by_key_implILNS1_25lookback_scan_determinismE0ELb0ES3_N6thrust23THRUST_200600_302600_NS6detail15normal_iteratorINSB_10device_ptrIjEEEENSD_INSE_IS6_EEEESI_S6_NSB_4plusIvEENSB_8equal_toIvEES6_EE10hipError_tPvRmT2_T3_T4_T5_mT6_T7_P12ihipStream_tbENKUlT_T0_E_clISt17integral_constantIbLb0EES13_EEDaSY_SZ_EUlSY_E_NS1_11comp_targetILNS1_3genE10ELNS1_11target_archE1201ELNS1_3gpuE5ELNS1_3repE0EEENS1_30default_config_static_selectorELNS0_4arch9wavefront6targetE0EEEvT1_
; %bb.0:
	.section	.rodata,"a",@progbits
	.p2align	6, 0x0
	.amdhsa_kernel _ZN7rocprim17ROCPRIM_400000_NS6detail17trampoline_kernelINS0_14default_configENS1_27scan_by_key_config_selectorIj11FixedVectorIiLj2EEEEZZNS1_16scan_by_key_implILNS1_25lookback_scan_determinismE0ELb0ES3_N6thrust23THRUST_200600_302600_NS6detail15normal_iteratorINSB_10device_ptrIjEEEENSD_INSE_IS6_EEEESI_S6_NSB_4plusIvEENSB_8equal_toIvEES6_EE10hipError_tPvRmT2_T3_T4_T5_mT6_T7_P12ihipStream_tbENKUlT_T0_E_clISt17integral_constantIbLb0EES13_EEDaSY_SZ_EUlSY_E_NS1_11comp_targetILNS1_3genE10ELNS1_11target_archE1201ELNS1_3gpuE5ELNS1_3repE0EEENS1_30default_config_static_selectorELNS0_4arch9wavefront6targetE0EEEvT1_
		.amdhsa_group_segment_fixed_size 0
		.amdhsa_private_segment_fixed_size 0
		.amdhsa_kernarg_size 120
		.amdhsa_user_sgpr_count 2
		.amdhsa_user_sgpr_dispatch_ptr 0
		.amdhsa_user_sgpr_queue_ptr 0
		.amdhsa_user_sgpr_kernarg_segment_ptr 1
		.amdhsa_user_sgpr_dispatch_id 0
		.amdhsa_user_sgpr_kernarg_preload_length 0
		.amdhsa_user_sgpr_kernarg_preload_offset 0
		.amdhsa_user_sgpr_private_segment_size 0
		.amdhsa_wavefront_size32 1
		.amdhsa_uses_dynamic_stack 0
		.amdhsa_enable_private_segment 0
		.amdhsa_system_sgpr_workgroup_id_x 1
		.amdhsa_system_sgpr_workgroup_id_y 0
		.amdhsa_system_sgpr_workgroup_id_z 0
		.amdhsa_system_sgpr_workgroup_info 0
		.amdhsa_system_vgpr_workitem_id 0
		.amdhsa_next_free_vgpr 1
		.amdhsa_next_free_sgpr 1
		.amdhsa_named_barrier_count 0
		.amdhsa_reserve_vcc 0
		.amdhsa_float_round_mode_32 0
		.amdhsa_float_round_mode_16_64 0
		.amdhsa_float_denorm_mode_32 3
		.amdhsa_float_denorm_mode_16_64 3
		.amdhsa_fp16_overflow 0
		.amdhsa_memory_ordered 1
		.amdhsa_forward_progress 1
		.amdhsa_inst_pref_size 0
		.amdhsa_round_robin_scheduling 0
		.amdhsa_exception_fp_ieee_invalid_op 0
		.amdhsa_exception_fp_denorm_src 0
		.amdhsa_exception_fp_ieee_div_zero 0
		.amdhsa_exception_fp_ieee_overflow 0
		.amdhsa_exception_fp_ieee_underflow 0
		.amdhsa_exception_fp_ieee_inexact 0
		.amdhsa_exception_int_div_zero 0
	.end_amdhsa_kernel
	.section	.text._ZN7rocprim17ROCPRIM_400000_NS6detail17trampoline_kernelINS0_14default_configENS1_27scan_by_key_config_selectorIj11FixedVectorIiLj2EEEEZZNS1_16scan_by_key_implILNS1_25lookback_scan_determinismE0ELb0ES3_N6thrust23THRUST_200600_302600_NS6detail15normal_iteratorINSB_10device_ptrIjEEEENSD_INSE_IS6_EEEESI_S6_NSB_4plusIvEENSB_8equal_toIvEES6_EE10hipError_tPvRmT2_T3_T4_T5_mT6_T7_P12ihipStream_tbENKUlT_T0_E_clISt17integral_constantIbLb0EES13_EEDaSY_SZ_EUlSY_E_NS1_11comp_targetILNS1_3genE10ELNS1_11target_archE1201ELNS1_3gpuE5ELNS1_3repE0EEENS1_30default_config_static_selectorELNS0_4arch9wavefront6targetE0EEEvT1_,"axG",@progbits,_ZN7rocprim17ROCPRIM_400000_NS6detail17trampoline_kernelINS0_14default_configENS1_27scan_by_key_config_selectorIj11FixedVectorIiLj2EEEEZZNS1_16scan_by_key_implILNS1_25lookback_scan_determinismE0ELb0ES3_N6thrust23THRUST_200600_302600_NS6detail15normal_iteratorINSB_10device_ptrIjEEEENSD_INSE_IS6_EEEESI_S6_NSB_4plusIvEENSB_8equal_toIvEES6_EE10hipError_tPvRmT2_T3_T4_T5_mT6_T7_P12ihipStream_tbENKUlT_T0_E_clISt17integral_constantIbLb0EES13_EEDaSY_SZ_EUlSY_E_NS1_11comp_targetILNS1_3genE10ELNS1_11target_archE1201ELNS1_3gpuE5ELNS1_3repE0EEENS1_30default_config_static_selectorELNS0_4arch9wavefront6targetE0EEEvT1_,comdat
.Lfunc_end1952:
	.size	_ZN7rocprim17ROCPRIM_400000_NS6detail17trampoline_kernelINS0_14default_configENS1_27scan_by_key_config_selectorIj11FixedVectorIiLj2EEEEZZNS1_16scan_by_key_implILNS1_25lookback_scan_determinismE0ELb0ES3_N6thrust23THRUST_200600_302600_NS6detail15normal_iteratorINSB_10device_ptrIjEEEENSD_INSE_IS6_EEEESI_S6_NSB_4plusIvEENSB_8equal_toIvEES6_EE10hipError_tPvRmT2_T3_T4_T5_mT6_T7_P12ihipStream_tbENKUlT_T0_E_clISt17integral_constantIbLb0EES13_EEDaSY_SZ_EUlSY_E_NS1_11comp_targetILNS1_3genE10ELNS1_11target_archE1201ELNS1_3gpuE5ELNS1_3repE0EEENS1_30default_config_static_selectorELNS0_4arch9wavefront6targetE0EEEvT1_, .Lfunc_end1952-_ZN7rocprim17ROCPRIM_400000_NS6detail17trampoline_kernelINS0_14default_configENS1_27scan_by_key_config_selectorIj11FixedVectorIiLj2EEEEZZNS1_16scan_by_key_implILNS1_25lookback_scan_determinismE0ELb0ES3_N6thrust23THRUST_200600_302600_NS6detail15normal_iteratorINSB_10device_ptrIjEEEENSD_INSE_IS6_EEEESI_S6_NSB_4plusIvEENSB_8equal_toIvEES6_EE10hipError_tPvRmT2_T3_T4_T5_mT6_T7_P12ihipStream_tbENKUlT_T0_E_clISt17integral_constantIbLb0EES13_EEDaSY_SZ_EUlSY_E_NS1_11comp_targetILNS1_3genE10ELNS1_11target_archE1201ELNS1_3gpuE5ELNS1_3repE0EEENS1_30default_config_static_selectorELNS0_4arch9wavefront6targetE0EEEvT1_
                                        ; -- End function
	.set _ZN7rocprim17ROCPRIM_400000_NS6detail17trampoline_kernelINS0_14default_configENS1_27scan_by_key_config_selectorIj11FixedVectorIiLj2EEEEZZNS1_16scan_by_key_implILNS1_25lookback_scan_determinismE0ELb0ES3_N6thrust23THRUST_200600_302600_NS6detail15normal_iteratorINSB_10device_ptrIjEEEENSD_INSE_IS6_EEEESI_S6_NSB_4plusIvEENSB_8equal_toIvEES6_EE10hipError_tPvRmT2_T3_T4_T5_mT6_T7_P12ihipStream_tbENKUlT_T0_E_clISt17integral_constantIbLb0EES13_EEDaSY_SZ_EUlSY_E_NS1_11comp_targetILNS1_3genE10ELNS1_11target_archE1201ELNS1_3gpuE5ELNS1_3repE0EEENS1_30default_config_static_selectorELNS0_4arch9wavefront6targetE0EEEvT1_.num_vgpr, 0
	.set _ZN7rocprim17ROCPRIM_400000_NS6detail17trampoline_kernelINS0_14default_configENS1_27scan_by_key_config_selectorIj11FixedVectorIiLj2EEEEZZNS1_16scan_by_key_implILNS1_25lookback_scan_determinismE0ELb0ES3_N6thrust23THRUST_200600_302600_NS6detail15normal_iteratorINSB_10device_ptrIjEEEENSD_INSE_IS6_EEEESI_S6_NSB_4plusIvEENSB_8equal_toIvEES6_EE10hipError_tPvRmT2_T3_T4_T5_mT6_T7_P12ihipStream_tbENKUlT_T0_E_clISt17integral_constantIbLb0EES13_EEDaSY_SZ_EUlSY_E_NS1_11comp_targetILNS1_3genE10ELNS1_11target_archE1201ELNS1_3gpuE5ELNS1_3repE0EEENS1_30default_config_static_selectorELNS0_4arch9wavefront6targetE0EEEvT1_.num_agpr, 0
	.set _ZN7rocprim17ROCPRIM_400000_NS6detail17trampoline_kernelINS0_14default_configENS1_27scan_by_key_config_selectorIj11FixedVectorIiLj2EEEEZZNS1_16scan_by_key_implILNS1_25lookback_scan_determinismE0ELb0ES3_N6thrust23THRUST_200600_302600_NS6detail15normal_iteratorINSB_10device_ptrIjEEEENSD_INSE_IS6_EEEESI_S6_NSB_4plusIvEENSB_8equal_toIvEES6_EE10hipError_tPvRmT2_T3_T4_T5_mT6_T7_P12ihipStream_tbENKUlT_T0_E_clISt17integral_constantIbLb0EES13_EEDaSY_SZ_EUlSY_E_NS1_11comp_targetILNS1_3genE10ELNS1_11target_archE1201ELNS1_3gpuE5ELNS1_3repE0EEENS1_30default_config_static_selectorELNS0_4arch9wavefront6targetE0EEEvT1_.numbered_sgpr, 0
	.set _ZN7rocprim17ROCPRIM_400000_NS6detail17trampoline_kernelINS0_14default_configENS1_27scan_by_key_config_selectorIj11FixedVectorIiLj2EEEEZZNS1_16scan_by_key_implILNS1_25lookback_scan_determinismE0ELb0ES3_N6thrust23THRUST_200600_302600_NS6detail15normal_iteratorINSB_10device_ptrIjEEEENSD_INSE_IS6_EEEESI_S6_NSB_4plusIvEENSB_8equal_toIvEES6_EE10hipError_tPvRmT2_T3_T4_T5_mT6_T7_P12ihipStream_tbENKUlT_T0_E_clISt17integral_constantIbLb0EES13_EEDaSY_SZ_EUlSY_E_NS1_11comp_targetILNS1_3genE10ELNS1_11target_archE1201ELNS1_3gpuE5ELNS1_3repE0EEENS1_30default_config_static_selectorELNS0_4arch9wavefront6targetE0EEEvT1_.num_named_barrier, 0
	.set _ZN7rocprim17ROCPRIM_400000_NS6detail17trampoline_kernelINS0_14default_configENS1_27scan_by_key_config_selectorIj11FixedVectorIiLj2EEEEZZNS1_16scan_by_key_implILNS1_25lookback_scan_determinismE0ELb0ES3_N6thrust23THRUST_200600_302600_NS6detail15normal_iteratorINSB_10device_ptrIjEEEENSD_INSE_IS6_EEEESI_S6_NSB_4plusIvEENSB_8equal_toIvEES6_EE10hipError_tPvRmT2_T3_T4_T5_mT6_T7_P12ihipStream_tbENKUlT_T0_E_clISt17integral_constantIbLb0EES13_EEDaSY_SZ_EUlSY_E_NS1_11comp_targetILNS1_3genE10ELNS1_11target_archE1201ELNS1_3gpuE5ELNS1_3repE0EEENS1_30default_config_static_selectorELNS0_4arch9wavefront6targetE0EEEvT1_.private_seg_size, 0
	.set _ZN7rocprim17ROCPRIM_400000_NS6detail17trampoline_kernelINS0_14default_configENS1_27scan_by_key_config_selectorIj11FixedVectorIiLj2EEEEZZNS1_16scan_by_key_implILNS1_25lookback_scan_determinismE0ELb0ES3_N6thrust23THRUST_200600_302600_NS6detail15normal_iteratorINSB_10device_ptrIjEEEENSD_INSE_IS6_EEEESI_S6_NSB_4plusIvEENSB_8equal_toIvEES6_EE10hipError_tPvRmT2_T3_T4_T5_mT6_T7_P12ihipStream_tbENKUlT_T0_E_clISt17integral_constantIbLb0EES13_EEDaSY_SZ_EUlSY_E_NS1_11comp_targetILNS1_3genE10ELNS1_11target_archE1201ELNS1_3gpuE5ELNS1_3repE0EEENS1_30default_config_static_selectorELNS0_4arch9wavefront6targetE0EEEvT1_.uses_vcc, 0
	.set _ZN7rocprim17ROCPRIM_400000_NS6detail17trampoline_kernelINS0_14default_configENS1_27scan_by_key_config_selectorIj11FixedVectorIiLj2EEEEZZNS1_16scan_by_key_implILNS1_25lookback_scan_determinismE0ELb0ES3_N6thrust23THRUST_200600_302600_NS6detail15normal_iteratorINSB_10device_ptrIjEEEENSD_INSE_IS6_EEEESI_S6_NSB_4plusIvEENSB_8equal_toIvEES6_EE10hipError_tPvRmT2_T3_T4_T5_mT6_T7_P12ihipStream_tbENKUlT_T0_E_clISt17integral_constantIbLb0EES13_EEDaSY_SZ_EUlSY_E_NS1_11comp_targetILNS1_3genE10ELNS1_11target_archE1201ELNS1_3gpuE5ELNS1_3repE0EEENS1_30default_config_static_selectorELNS0_4arch9wavefront6targetE0EEEvT1_.uses_flat_scratch, 0
	.set _ZN7rocprim17ROCPRIM_400000_NS6detail17trampoline_kernelINS0_14default_configENS1_27scan_by_key_config_selectorIj11FixedVectorIiLj2EEEEZZNS1_16scan_by_key_implILNS1_25lookback_scan_determinismE0ELb0ES3_N6thrust23THRUST_200600_302600_NS6detail15normal_iteratorINSB_10device_ptrIjEEEENSD_INSE_IS6_EEEESI_S6_NSB_4plusIvEENSB_8equal_toIvEES6_EE10hipError_tPvRmT2_T3_T4_T5_mT6_T7_P12ihipStream_tbENKUlT_T0_E_clISt17integral_constantIbLb0EES13_EEDaSY_SZ_EUlSY_E_NS1_11comp_targetILNS1_3genE10ELNS1_11target_archE1201ELNS1_3gpuE5ELNS1_3repE0EEENS1_30default_config_static_selectorELNS0_4arch9wavefront6targetE0EEEvT1_.has_dyn_sized_stack, 0
	.set _ZN7rocprim17ROCPRIM_400000_NS6detail17trampoline_kernelINS0_14default_configENS1_27scan_by_key_config_selectorIj11FixedVectorIiLj2EEEEZZNS1_16scan_by_key_implILNS1_25lookback_scan_determinismE0ELb0ES3_N6thrust23THRUST_200600_302600_NS6detail15normal_iteratorINSB_10device_ptrIjEEEENSD_INSE_IS6_EEEESI_S6_NSB_4plusIvEENSB_8equal_toIvEES6_EE10hipError_tPvRmT2_T3_T4_T5_mT6_T7_P12ihipStream_tbENKUlT_T0_E_clISt17integral_constantIbLb0EES13_EEDaSY_SZ_EUlSY_E_NS1_11comp_targetILNS1_3genE10ELNS1_11target_archE1201ELNS1_3gpuE5ELNS1_3repE0EEENS1_30default_config_static_selectorELNS0_4arch9wavefront6targetE0EEEvT1_.has_recursion, 0
	.set _ZN7rocprim17ROCPRIM_400000_NS6detail17trampoline_kernelINS0_14default_configENS1_27scan_by_key_config_selectorIj11FixedVectorIiLj2EEEEZZNS1_16scan_by_key_implILNS1_25lookback_scan_determinismE0ELb0ES3_N6thrust23THRUST_200600_302600_NS6detail15normal_iteratorINSB_10device_ptrIjEEEENSD_INSE_IS6_EEEESI_S6_NSB_4plusIvEENSB_8equal_toIvEES6_EE10hipError_tPvRmT2_T3_T4_T5_mT6_T7_P12ihipStream_tbENKUlT_T0_E_clISt17integral_constantIbLb0EES13_EEDaSY_SZ_EUlSY_E_NS1_11comp_targetILNS1_3genE10ELNS1_11target_archE1201ELNS1_3gpuE5ELNS1_3repE0EEENS1_30default_config_static_selectorELNS0_4arch9wavefront6targetE0EEEvT1_.has_indirect_call, 0
	.section	.AMDGPU.csdata,"",@progbits
; Kernel info:
; codeLenInByte = 0
; TotalNumSgprs: 0
; NumVgprs: 0
; ScratchSize: 0
; MemoryBound: 0
; FloatMode: 240
; IeeeMode: 1
; LDSByteSize: 0 bytes/workgroup (compile time only)
; SGPRBlocks: 0
; VGPRBlocks: 0
; NumSGPRsForWavesPerEU: 1
; NumVGPRsForWavesPerEU: 1
; NamedBarCnt: 0
; Occupancy: 16
; WaveLimiterHint : 0
; COMPUTE_PGM_RSRC2:SCRATCH_EN: 0
; COMPUTE_PGM_RSRC2:USER_SGPR: 2
; COMPUTE_PGM_RSRC2:TRAP_HANDLER: 0
; COMPUTE_PGM_RSRC2:TGID_X_EN: 1
; COMPUTE_PGM_RSRC2:TGID_Y_EN: 0
; COMPUTE_PGM_RSRC2:TGID_Z_EN: 0
; COMPUTE_PGM_RSRC2:TIDIG_COMP_CNT: 0
	.section	.text._ZN7rocprim17ROCPRIM_400000_NS6detail17trampoline_kernelINS0_14default_configENS1_27scan_by_key_config_selectorIj11FixedVectorIiLj2EEEEZZNS1_16scan_by_key_implILNS1_25lookback_scan_determinismE0ELb0ES3_N6thrust23THRUST_200600_302600_NS6detail15normal_iteratorINSB_10device_ptrIjEEEENSD_INSE_IS6_EEEESI_S6_NSB_4plusIvEENSB_8equal_toIvEES6_EE10hipError_tPvRmT2_T3_T4_T5_mT6_T7_P12ihipStream_tbENKUlT_T0_E_clISt17integral_constantIbLb0EES13_EEDaSY_SZ_EUlSY_E_NS1_11comp_targetILNS1_3genE5ELNS1_11target_archE942ELNS1_3gpuE9ELNS1_3repE0EEENS1_30default_config_static_selectorELNS0_4arch9wavefront6targetE0EEEvT1_,"axG",@progbits,_ZN7rocprim17ROCPRIM_400000_NS6detail17trampoline_kernelINS0_14default_configENS1_27scan_by_key_config_selectorIj11FixedVectorIiLj2EEEEZZNS1_16scan_by_key_implILNS1_25lookback_scan_determinismE0ELb0ES3_N6thrust23THRUST_200600_302600_NS6detail15normal_iteratorINSB_10device_ptrIjEEEENSD_INSE_IS6_EEEESI_S6_NSB_4plusIvEENSB_8equal_toIvEES6_EE10hipError_tPvRmT2_T3_T4_T5_mT6_T7_P12ihipStream_tbENKUlT_T0_E_clISt17integral_constantIbLb0EES13_EEDaSY_SZ_EUlSY_E_NS1_11comp_targetILNS1_3genE5ELNS1_11target_archE942ELNS1_3gpuE9ELNS1_3repE0EEENS1_30default_config_static_selectorELNS0_4arch9wavefront6targetE0EEEvT1_,comdat
	.protected	_ZN7rocprim17ROCPRIM_400000_NS6detail17trampoline_kernelINS0_14default_configENS1_27scan_by_key_config_selectorIj11FixedVectorIiLj2EEEEZZNS1_16scan_by_key_implILNS1_25lookback_scan_determinismE0ELb0ES3_N6thrust23THRUST_200600_302600_NS6detail15normal_iteratorINSB_10device_ptrIjEEEENSD_INSE_IS6_EEEESI_S6_NSB_4plusIvEENSB_8equal_toIvEES6_EE10hipError_tPvRmT2_T3_T4_T5_mT6_T7_P12ihipStream_tbENKUlT_T0_E_clISt17integral_constantIbLb0EES13_EEDaSY_SZ_EUlSY_E_NS1_11comp_targetILNS1_3genE5ELNS1_11target_archE942ELNS1_3gpuE9ELNS1_3repE0EEENS1_30default_config_static_selectorELNS0_4arch9wavefront6targetE0EEEvT1_ ; -- Begin function _ZN7rocprim17ROCPRIM_400000_NS6detail17trampoline_kernelINS0_14default_configENS1_27scan_by_key_config_selectorIj11FixedVectorIiLj2EEEEZZNS1_16scan_by_key_implILNS1_25lookback_scan_determinismE0ELb0ES3_N6thrust23THRUST_200600_302600_NS6detail15normal_iteratorINSB_10device_ptrIjEEEENSD_INSE_IS6_EEEESI_S6_NSB_4plusIvEENSB_8equal_toIvEES6_EE10hipError_tPvRmT2_T3_T4_T5_mT6_T7_P12ihipStream_tbENKUlT_T0_E_clISt17integral_constantIbLb0EES13_EEDaSY_SZ_EUlSY_E_NS1_11comp_targetILNS1_3genE5ELNS1_11target_archE942ELNS1_3gpuE9ELNS1_3repE0EEENS1_30default_config_static_selectorELNS0_4arch9wavefront6targetE0EEEvT1_
	.globl	_ZN7rocprim17ROCPRIM_400000_NS6detail17trampoline_kernelINS0_14default_configENS1_27scan_by_key_config_selectorIj11FixedVectorIiLj2EEEEZZNS1_16scan_by_key_implILNS1_25lookback_scan_determinismE0ELb0ES3_N6thrust23THRUST_200600_302600_NS6detail15normal_iteratorINSB_10device_ptrIjEEEENSD_INSE_IS6_EEEESI_S6_NSB_4plusIvEENSB_8equal_toIvEES6_EE10hipError_tPvRmT2_T3_T4_T5_mT6_T7_P12ihipStream_tbENKUlT_T0_E_clISt17integral_constantIbLb0EES13_EEDaSY_SZ_EUlSY_E_NS1_11comp_targetILNS1_3genE5ELNS1_11target_archE942ELNS1_3gpuE9ELNS1_3repE0EEENS1_30default_config_static_selectorELNS0_4arch9wavefront6targetE0EEEvT1_
	.p2align	8
	.type	_ZN7rocprim17ROCPRIM_400000_NS6detail17trampoline_kernelINS0_14default_configENS1_27scan_by_key_config_selectorIj11FixedVectorIiLj2EEEEZZNS1_16scan_by_key_implILNS1_25lookback_scan_determinismE0ELb0ES3_N6thrust23THRUST_200600_302600_NS6detail15normal_iteratorINSB_10device_ptrIjEEEENSD_INSE_IS6_EEEESI_S6_NSB_4plusIvEENSB_8equal_toIvEES6_EE10hipError_tPvRmT2_T3_T4_T5_mT6_T7_P12ihipStream_tbENKUlT_T0_E_clISt17integral_constantIbLb0EES13_EEDaSY_SZ_EUlSY_E_NS1_11comp_targetILNS1_3genE5ELNS1_11target_archE942ELNS1_3gpuE9ELNS1_3repE0EEENS1_30default_config_static_selectorELNS0_4arch9wavefront6targetE0EEEvT1_,@function
_ZN7rocprim17ROCPRIM_400000_NS6detail17trampoline_kernelINS0_14default_configENS1_27scan_by_key_config_selectorIj11FixedVectorIiLj2EEEEZZNS1_16scan_by_key_implILNS1_25lookback_scan_determinismE0ELb0ES3_N6thrust23THRUST_200600_302600_NS6detail15normal_iteratorINSB_10device_ptrIjEEEENSD_INSE_IS6_EEEESI_S6_NSB_4plusIvEENSB_8equal_toIvEES6_EE10hipError_tPvRmT2_T3_T4_T5_mT6_T7_P12ihipStream_tbENKUlT_T0_E_clISt17integral_constantIbLb0EES13_EEDaSY_SZ_EUlSY_E_NS1_11comp_targetILNS1_3genE5ELNS1_11target_archE942ELNS1_3gpuE9ELNS1_3repE0EEENS1_30default_config_static_selectorELNS0_4arch9wavefront6targetE0EEEvT1_: ; @_ZN7rocprim17ROCPRIM_400000_NS6detail17trampoline_kernelINS0_14default_configENS1_27scan_by_key_config_selectorIj11FixedVectorIiLj2EEEEZZNS1_16scan_by_key_implILNS1_25lookback_scan_determinismE0ELb0ES3_N6thrust23THRUST_200600_302600_NS6detail15normal_iteratorINSB_10device_ptrIjEEEENSD_INSE_IS6_EEEESI_S6_NSB_4plusIvEENSB_8equal_toIvEES6_EE10hipError_tPvRmT2_T3_T4_T5_mT6_T7_P12ihipStream_tbENKUlT_T0_E_clISt17integral_constantIbLb0EES13_EEDaSY_SZ_EUlSY_E_NS1_11comp_targetILNS1_3genE5ELNS1_11target_archE942ELNS1_3gpuE9ELNS1_3repE0EEENS1_30default_config_static_selectorELNS0_4arch9wavefront6targetE0EEEvT1_
; %bb.0:
	.section	.rodata,"a",@progbits
	.p2align	6, 0x0
	.amdhsa_kernel _ZN7rocprim17ROCPRIM_400000_NS6detail17trampoline_kernelINS0_14default_configENS1_27scan_by_key_config_selectorIj11FixedVectorIiLj2EEEEZZNS1_16scan_by_key_implILNS1_25lookback_scan_determinismE0ELb0ES3_N6thrust23THRUST_200600_302600_NS6detail15normal_iteratorINSB_10device_ptrIjEEEENSD_INSE_IS6_EEEESI_S6_NSB_4plusIvEENSB_8equal_toIvEES6_EE10hipError_tPvRmT2_T3_T4_T5_mT6_T7_P12ihipStream_tbENKUlT_T0_E_clISt17integral_constantIbLb0EES13_EEDaSY_SZ_EUlSY_E_NS1_11comp_targetILNS1_3genE5ELNS1_11target_archE942ELNS1_3gpuE9ELNS1_3repE0EEENS1_30default_config_static_selectorELNS0_4arch9wavefront6targetE0EEEvT1_
		.amdhsa_group_segment_fixed_size 0
		.amdhsa_private_segment_fixed_size 0
		.amdhsa_kernarg_size 120
		.amdhsa_user_sgpr_count 2
		.amdhsa_user_sgpr_dispatch_ptr 0
		.amdhsa_user_sgpr_queue_ptr 0
		.amdhsa_user_sgpr_kernarg_segment_ptr 1
		.amdhsa_user_sgpr_dispatch_id 0
		.amdhsa_user_sgpr_kernarg_preload_length 0
		.amdhsa_user_sgpr_kernarg_preload_offset 0
		.amdhsa_user_sgpr_private_segment_size 0
		.amdhsa_wavefront_size32 1
		.amdhsa_uses_dynamic_stack 0
		.amdhsa_enable_private_segment 0
		.amdhsa_system_sgpr_workgroup_id_x 1
		.amdhsa_system_sgpr_workgroup_id_y 0
		.amdhsa_system_sgpr_workgroup_id_z 0
		.amdhsa_system_sgpr_workgroup_info 0
		.amdhsa_system_vgpr_workitem_id 0
		.amdhsa_next_free_vgpr 1
		.amdhsa_next_free_sgpr 1
		.amdhsa_named_barrier_count 0
		.amdhsa_reserve_vcc 0
		.amdhsa_float_round_mode_32 0
		.amdhsa_float_round_mode_16_64 0
		.amdhsa_float_denorm_mode_32 3
		.amdhsa_float_denorm_mode_16_64 3
		.amdhsa_fp16_overflow 0
		.amdhsa_memory_ordered 1
		.amdhsa_forward_progress 1
		.amdhsa_inst_pref_size 0
		.amdhsa_round_robin_scheduling 0
		.amdhsa_exception_fp_ieee_invalid_op 0
		.amdhsa_exception_fp_denorm_src 0
		.amdhsa_exception_fp_ieee_div_zero 0
		.amdhsa_exception_fp_ieee_overflow 0
		.amdhsa_exception_fp_ieee_underflow 0
		.amdhsa_exception_fp_ieee_inexact 0
		.amdhsa_exception_int_div_zero 0
	.end_amdhsa_kernel
	.section	.text._ZN7rocprim17ROCPRIM_400000_NS6detail17trampoline_kernelINS0_14default_configENS1_27scan_by_key_config_selectorIj11FixedVectorIiLj2EEEEZZNS1_16scan_by_key_implILNS1_25lookback_scan_determinismE0ELb0ES3_N6thrust23THRUST_200600_302600_NS6detail15normal_iteratorINSB_10device_ptrIjEEEENSD_INSE_IS6_EEEESI_S6_NSB_4plusIvEENSB_8equal_toIvEES6_EE10hipError_tPvRmT2_T3_T4_T5_mT6_T7_P12ihipStream_tbENKUlT_T0_E_clISt17integral_constantIbLb0EES13_EEDaSY_SZ_EUlSY_E_NS1_11comp_targetILNS1_3genE5ELNS1_11target_archE942ELNS1_3gpuE9ELNS1_3repE0EEENS1_30default_config_static_selectorELNS0_4arch9wavefront6targetE0EEEvT1_,"axG",@progbits,_ZN7rocprim17ROCPRIM_400000_NS6detail17trampoline_kernelINS0_14default_configENS1_27scan_by_key_config_selectorIj11FixedVectorIiLj2EEEEZZNS1_16scan_by_key_implILNS1_25lookback_scan_determinismE0ELb0ES3_N6thrust23THRUST_200600_302600_NS6detail15normal_iteratorINSB_10device_ptrIjEEEENSD_INSE_IS6_EEEESI_S6_NSB_4plusIvEENSB_8equal_toIvEES6_EE10hipError_tPvRmT2_T3_T4_T5_mT6_T7_P12ihipStream_tbENKUlT_T0_E_clISt17integral_constantIbLb0EES13_EEDaSY_SZ_EUlSY_E_NS1_11comp_targetILNS1_3genE5ELNS1_11target_archE942ELNS1_3gpuE9ELNS1_3repE0EEENS1_30default_config_static_selectorELNS0_4arch9wavefront6targetE0EEEvT1_,comdat
.Lfunc_end1953:
	.size	_ZN7rocprim17ROCPRIM_400000_NS6detail17trampoline_kernelINS0_14default_configENS1_27scan_by_key_config_selectorIj11FixedVectorIiLj2EEEEZZNS1_16scan_by_key_implILNS1_25lookback_scan_determinismE0ELb0ES3_N6thrust23THRUST_200600_302600_NS6detail15normal_iteratorINSB_10device_ptrIjEEEENSD_INSE_IS6_EEEESI_S6_NSB_4plusIvEENSB_8equal_toIvEES6_EE10hipError_tPvRmT2_T3_T4_T5_mT6_T7_P12ihipStream_tbENKUlT_T0_E_clISt17integral_constantIbLb0EES13_EEDaSY_SZ_EUlSY_E_NS1_11comp_targetILNS1_3genE5ELNS1_11target_archE942ELNS1_3gpuE9ELNS1_3repE0EEENS1_30default_config_static_selectorELNS0_4arch9wavefront6targetE0EEEvT1_, .Lfunc_end1953-_ZN7rocprim17ROCPRIM_400000_NS6detail17trampoline_kernelINS0_14default_configENS1_27scan_by_key_config_selectorIj11FixedVectorIiLj2EEEEZZNS1_16scan_by_key_implILNS1_25lookback_scan_determinismE0ELb0ES3_N6thrust23THRUST_200600_302600_NS6detail15normal_iteratorINSB_10device_ptrIjEEEENSD_INSE_IS6_EEEESI_S6_NSB_4plusIvEENSB_8equal_toIvEES6_EE10hipError_tPvRmT2_T3_T4_T5_mT6_T7_P12ihipStream_tbENKUlT_T0_E_clISt17integral_constantIbLb0EES13_EEDaSY_SZ_EUlSY_E_NS1_11comp_targetILNS1_3genE5ELNS1_11target_archE942ELNS1_3gpuE9ELNS1_3repE0EEENS1_30default_config_static_selectorELNS0_4arch9wavefront6targetE0EEEvT1_
                                        ; -- End function
	.set _ZN7rocprim17ROCPRIM_400000_NS6detail17trampoline_kernelINS0_14default_configENS1_27scan_by_key_config_selectorIj11FixedVectorIiLj2EEEEZZNS1_16scan_by_key_implILNS1_25lookback_scan_determinismE0ELb0ES3_N6thrust23THRUST_200600_302600_NS6detail15normal_iteratorINSB_10device_ptrIjEEEENSD_INSE_IS6_EEEESI_S6_NSB_4plusIvEENSB_8equal_toIvEES6_EE10hipError_tPvRmT2_T3_T4_T5_mT6_T7_P12ihipStream_tbENKUlT_T0_E_clISt17integral_constantIbLb0EES13_EEDaSY_SZ_EUlSY_E_NS1_11comp_targetILNS1_3genE5ELNS1_11target_archE942ELNS1_3gpuE9ELNS1_3repE0EEENS1_30default_config_static_selectorELNS0_4arch9wavefront6targetE0EEEvT1_.num_vgpr, 0
	.set _ZN7rocprim17ROCPRIM_400000_NS6detail17trampoline_kernelINS0_14default_configENS1_27scan_by_key_config_selectorIj11FixedVectorIiLj2EEEEZZNS1_16scan_by_key_implILNS1_25lookback_scan_determinismE0ELb0ES3_N6thrust23THRUST_200600_302600_NS6detail15normal_iteratorINSB_10device_ptrIjEEEENSD_INSE_IS6_EEEESI_S6_NSB_4plusIvEENSB_8equal_toIvEES6_EE10hipError_tPvRmT2_T3_T4_T5_mT6_T7_P12ihipStream_tbENKUlT_T0_E_clISt17integral_constantIbLb0EES13_EEDaSY_SZ_EUlSY_E_NS1_11comp_targetILNS1_3genE5ELNS1_11target_archE942ELNS1_3gpuE9ELNS1_3repE0EEENS1_30default_config_static_selectorELNS0_4arch9wavefront6targetE0EEEvT1_.num_agpr, 0
	.set _ZN7rocprim17ROCPRIM_400000_NS6detail17trampoline_kernelINS0_14default_configENS1_27scan_by_key_config_selectorIj11FixedVectorIiLj2EEEEZZNS1_16scan_by_key_implILNS1_25lookback_scan_determinismE0ELb0ES3_N6thrust23THRUST_200600_302600_NS6detail15normal_iteratorINSB_10device_ptrIjEEEENSD_INSE_IS6_EEEESI_S6_NSB_4plusIvEENSB_8equal_toIvEES6_EE10hipError_tPvRmT2_T3_T4_T5_mT6_T7_P12ihipStream_tbENKUlT_T0_E_clISt17integral_constantIbLb0EES13_EEDaSY_SZ_EUlSY_E_NS1_11comp_targetILNS1_3genE5ELNS1_11target_archE942ELNS1_3gpuE9ELNS1_3repE0EEENS1_30default_config_static_selectorELNS0_4arch9wavefront6targetE0EEEvT1_.numbered_sgpr, 0
	.set _ZN7rocprim17ROCPRIM_400000_NS6detail17trampoline_kernelINS0_14default_configENS1_27scan_by_key_config_selectorIj11FixedVectorIiLj2EEEEZZNS1_16scan_by_key_implILNS1_25lookback_scan_determinismE0ELb0ES3_N6thrust23THRUST_200600_302600_NS6detail15normal_iteratorINSB_10device_ptrIjEEEENSD_INSE_IS6_EEEESI_S6_NSB_4plusIvEENSB_8equal_toIvEES6_EE10hipError_tPvRmT2_T3_T4_T5_mT6_T7_P12ihipStream_tbENKUlT_T0_E_clISt17integral_constantIbLb0EES13_EEDaSY_SZ_EUlSY_E_NS1_11comp_targetILNS1_3genE5ELNS1_11target_archE942ELNS1_3gpuE9ELNS1_3repE0EEENS1_30default_config_static_selectorELNS0_4arch9wavefront6targetE0EEEvT1_.num_named_barrier, 0
	.set _ZN7rocprim17ROCPRIM_400000_NS6detail17trampoline_kernelINS0_14default_configENS1_27scan_by_key_config_selectorIj11FixedVectorIiLj2EEEEZZNS1_16scan_by_key_implILNS1_25lookback_scan_determinismE0ELb0ES3_N6thrust23THRUST_200600_302600_NS6detail15normal_iteratorINSB_10device_ptrIjEEEENSD_INSE_IS6_EEEESI_S6_NSB_4plusIvEENSB_8equal_toIvEES6_EE10hipError_tPvRmT2_T3_T4_T5_mT6_T7_P12ihipStream_tbENKUlT_T0_E_clISt17integral_constantIbLb0EES13_EEDaSY_SZ_EUlSY_E_NS1_11comp_targetILNS1_3genE5ELNS1_11target_archE942ELNS1_3gpuE9ELNS1_3repE0EEENS1_30default_config_static_selectorELNS0_4arch9wavefront6targetE0EEEvT1_.private_seg_size, 0
	.set _ZN7rocprim17ROCPRIM_400000_NS6detail17trampoline_kernelINS0_14default_configENS1_27scan_by_key_config_selectorIj11FixedVectorIiLj2EEEEZZNS1_16scan_by_key_implILNS1_25lookback_scan_determinismE0ELb0ES3_N6thrust23THRUST_200600_302600_NS6detail15normal_iteratorINSB_10device_ptrIjEEEENSD_INSE_IS6_EEEESI_S6_NSB_4plusIvEENSB_8equal_toIvEES6_EE10hipError_tPvRmT2_T3_T4_T5_mT6_T7_P12ihipStream_tbENKUlT_T0_E_clISt17integral_constantIbLb0EES13_EEDaSY_SZ_EUlSY_E_NS1_11comp_targetILNS1_3genE5ELNS1_11target_archE942ELNS1_3gpuE9ELNS1_3repE0EEENS1_30default_config_static_selectorELNS0_4arch9wavefront6targetE0EEEvT1_.uses_vcc, 0
	.set _ZN7rocprim17ROCPRIM_400000_NS6detail17trampoline_kernelINS0_14default_configENS1_27scan_by_key_config_selectorIj11FixedVectorIiLj2EEEEZZNS1_16scan_by_key_implILNS1_25lookback_scan_determinismE0ELb0ES3_N6thrust23THRUST_200600_302600_NS6detail15normal_iteratorINSB_10device_ptrIjEEEENSD_INSE_IS6_EEEESI_S6_NSB_4plusIvEENSB_8equal_toIvEES6_EE10hipError_tPvRmT2_T3_T4_T5_mT6_T7_P12ihipStream_tbENKUlT_T0_E_clISt17integral_constantIbLb0EES13_EEDaSY_SZ_EUlSY_E_NS1_11comp_targetILNS1_3genE5ELNS1_11target_archE942ELNS1_3gpuE9ELNS1_3repE0EEENS1_30default_config_static_selectorELNS0_4arch9wavefront6targetE0EEEvT1_.uses_flat_scratch, 0
	.set _ZN7rocprim17ROCPRIM_400000_NS6detail17trampoline_kernelINS0_14default_configENS1_27scan_by_key_config_selectorIj11FixedVectorIiLj2EEEEZZNS1_16scan_by_key_implILNS1_25lookback_scan_determinismE0ELb0ES3_N6thrust23THRUST_200600_302600_NS6detail15normal_iteratorINSB_10device_ptrIjEEEENSD_INSE_IS6_EEEESI_S6_NSB_4plusIvEENSB_8equal_toIvEES6_EE10hipError_tPvRmT2_T3_T4_T5_mT6_T7_P12ihipStream_tbENKUlT_T0_E_clISt17integral_constantIbLb0EES13_EEDaSY_SZ_EUlSY_E_NS1_11comp_targetILNS1_3genE5ELNS1_11target_archE942ELNS1_3gpuE9ELNS1_3repE0EEENS1_30default_config_static_selectorELNS0_4arch9wavefront6targetE0EEEvT1_.has_dyn_sized_stack, 0
	.set _ZN7rocprim17ROCPRIM_400000_NS6detail17trampoline_kernelINS0_14default_configENS1_27scan_by_key_config_selectorIj11FixedVectorIiLj2EEEEZZNS1_16scan_by_key_implILNS1_25lookback_scan_determinismE0ELb0ES3_N6thrust23THRUST_200600_302600_NS6detail15normal_iteratorINSB_10device_ptrIjEEEENSD_INSE_IS6_EEEESI_S6_NSB_4plusIvEENSB_8equal_toIvEES6_EE10hipError_tPvRmT2_T3_T4_T5_mT6_T7_P12ihipStream_tbENKUlT_T0_E_clISt17integral_constantIbLb0EES13_EEDaSY_SZ_EUlSY_E_NS1_11comp_targetILNS1_3genE5ELNS1_11target_archE942ELNS1_3gpuE9ELNS1_3repE0EEENS1_30default_config_static_selectorELNS0_4arch9wavefront6targetE0EEEvT1_.has_recursion, 0
	.set _ZN7rocprim17ROCPRIM_400000_NS6detail17trampoline_kernelINS0_14default_configENS1_27scan_by_key_config_selectorIj11FixedVectorIiLj2EEEEZZNS1_16scan_by_key_implILNS1_25lookback_scan_determinismE0ELb0ES3_N6thrust23THRUST_200600_302600_NS6detail15normal_iteratorINSB_10device_ptrIjEEEENSD_INSE_IS6_EEEESI_S6_NSB_4plusIvEENSB_8equal_toIvEES6_EE10hipError_tPvRmT2_T3_T4_T5_mT6_T7_P12ihipStream_tbENKUlT_T0_E_clISt17integral_constantIbLb0EES13_EEDaSY_SZ_EUlSY_E_NS1_11comp_targetILNS1_3genE5ELNS1_11target_archE942ELNS1_3gpuE9ELNS1_3repE0EEENS1_30default_config_static_selectorELNS0_4arch9wavefront6targetE0EEEvT1_.has_indirect_call, 0
	.section	.AMDGPU.csdata,"",@progbits
; Kernel info:
; codeLenInByte = 0
; TotalNumSgprs: 0
; NumVgprs: 0
; ScratchSize: 0
; MemoryBound: 0
; FloatMode: 240
; IeeeMode: 1
; LDSByteSize: 0 bytes/workgroup (compile time only)
; SGPRBlocks: 0
; VGPRBlocks: 0
; NumSGPRsForWavesPerEU: 1
; NumVGPRsForWavesPerEU: 1
; NamedBarCnt: 0
; Occupancy: 16
; WaveLimiterHint : 0
; COMPUTE_PGM_RSRC2:SCRATCH_EN: 0
; COMPUTE_PGM_RSRC2:USER_SGPR: 2
; COMPUTE_PGM_RSRC2:TRAP_HANDLER: 0
; COMPUTE_PGM_RSRC2:TGID_X_EN: 1
; COMPUTE_PGM_RSRC2:TGID_Y_EN: 0
; COMPUTE_PGM_RSRC2:TGID_Z_EN: 0
; COMPUTE_PGM_RSRC2:TIDIG_COMP_CNT: 0
	.section	.text._ZN7rocprim17ROCPRIM_400000_NS6detail17trampoline_kernelINS0_14default_configENS1_27scan_by_key_config_selectorIj11FixedVectorIiLj2EEEEZZNS1_16scan_by_key_implILNS1_25lookback_scan_determinismE0ELb0ES3_N6thrust23THRUST_200600_302600_NS6detail15normal_iteratorINSB_10device_ptrIjEEEENSD_INSE_IS6_EEEESI_S6_NSB_4plusIvEENSB_8equal_toIvEES6_EE10hipError_tPvRmT2_T3_T4_T5_mT6_T7_P12ihipStream_tbENKUlT_T0_E_clISt17integral_constantIbLb0EES13_EEDaSY_SZ_EUlSY_E_NS1_11comp_targetILNS1_3genE4ELNS1_11target_archE910ELNS1_3gpuE8ELNS1_3repE0EEENS1_30default_config_static_selectorELNS0_4arch9wavefront6targetE0EEEvT1_,"axG",@progbits,_ZN7rocprim17ROCPRIM_400000_NS6detail17trampoline_kernelINS0_14default_configENS1_27scan_by_key_config_selectorIj11FixedVectorIiLj2EEEEZZNS1_16scan_by_key_implILNS1_25lookback_scan_determinismE0ELb0ES3_N6thrust23THRUST_200600_302600_NS6detail15normal_iteratorINSB_10device_ptrIjEEEENSD_INSE_IS6_EEEESI_S6_NSB_4plusIvEENSB_8equal_toIvEES6_EE10hipError_tPvRmT2_T3_T4_T5_mT6_T7_P12ihipStream_tbENKUlT_T0_E_clISt17integral_constantIbLb0EES13_EEDaSY_SZ_EUlSY_E_NS1_11comp_targetILNS1_3genE4ELNS1_11target_archE910ELNS1_3gpuE8ELNS1_3repE0EEENS1_30default_config_static_selectorELNS0_4arch9wavefront6targetE0EEEvT1_,comdat
	.protected	_ZN7rocprim17ROCPRIM_400000_NS6detail17trampoline_kernelINS0_14default_configENS1_27scan_by_key_config_selectorIj11FixedVectorIiLj2EEEEZZNS1_16scan_by_key_implILNS1_25lookback_scan_determinismE0ELb0ES3_N6thrust23THRUST_200600_302600_NS6detail15normal_iteratorINSB_10device_ptrIjEEEENSD_INSE_IS6_EEEESI_S6_NSB_4plusIvEENSB_8equal_toIvEES6_EE10hipError_tPvRmT2_T3_T4_T5_mT6_T7_P12ihipStream_tbENKUlT_T0_E_clISt17integral_constantIbLb0EES13_EEDaSY_SZ_EUlSY_E_NS1_11comp_targetILNS1_3genE4ELNS1_11target_archE910ELNS1_3gpuE8ELNS1_3repE0EEENS1_30default_config_static_selectorELNS0_4arch9wavefront6targetE0EEEvT1_ ; -- Begin function _ZN7rocprim17ROCPRIM_400000_NS6detail17trampoline_kernelINS0_14default_configENS1_27scan_by_key_config_selectorIj11FixedVectorIiLj2EEEEZZNS1_16scan_by_key_implILNS1_25lookback_scan_determinismE0ELb0ES3_N6thrust23THRUST_200600_302600_NS6detail15normal_iteratorINSB_10device_ptrIjEEEENSD_INSE_IS6_EEEESI_S6_NSB_4plusIvEENSB_8equal_toIvEES6_EE10hipError_tPvRmT2_T3_T4_T5_mT6_T7_P12ihipStream_tbENKUlT_T0_E_clISt17integral_constantIbLb0EES13_EEDaSY_SZ_EUlSY_E_NS1_11comp_targetILNS1_3genE4ELNS1_11target_archE910ELNS1_3gpuE8ELNS1_3repE0EEENS1_30default_config_static_selectorELNS0_4arch9wavefront6targetE0EEEvT1_
	.globl	_ZN7rocprim17ROCPRIM_400000_NS6detail17trampoline_kernelINS0_14default_configENS1_27scan_by_key_config_selectorIj11FixedVectorIiLj2EEEEZZNS1_16scan_by_key_implILNS1_25lookback_scan_determinismE0ELb0ES3_N6thrust23THRUST_200600_302600_NS6detail15normal_iteratorINSB_10device_ptrIjEEEENSD_INSE_IS6_EEEESI_S6_NSB_4plusIvEENSB_8equal_toIvEES6_EE10hipError_tPvRmT2_T3_T4_T5_mT6_T7_P12ihipStream_tbENKUlT_T0_E_clISt17integral_constantIbLb0EES13_EEDaSY_SZ_EUlSY_E_NS1_11comp_targetILNS1_3genE4ELNS1_11target_archE910ELNS1_3gpuE8ELNS1_3repE0EEENS1_30default_config_static_selectorELNS0_4arch9wavefront6targetE0EEEvT1_
	.p2align	8
	.type	_ZN7rocprim17ROCPRIM_400000_NS6detail17trampoline_kernelINS0_14default_configENS1_27scan_by_key_config_selectorIj11FixedVectorIiLj2EEEEZZNS1_16scan_by_key_implILNS1_25lookback_scan_determinismE0ELb0ES3_N6thrust23THRUST_200600_302600_NS6detail15normal_iteratorINSB_10device_ptrIjEEEENSD_INSE_IS6_EEEESI_S6_NSB_4plusIvEENSB_8equal_toIvEES6_EE10hipError_tPvRmT2_T3_T4_T5_mT6_T7_P12ihipStream_tbENKUlT_T0_E_clISt17integral_constantIbLb0EES13_EEDaSY_SZ_EUlSY_E_NS1_11comp_targetILNS1_3genE4ELNS1_11target_archE910ELNS1_3gpuE8ELNS1_3repE0EEENS1_30default_config_static_selectorELNS0_4arch9wavefront6targetE0EEEvT1_,@function
_ZN7rocprim17ROCPRIM_400000_NS6detail17trampoline_kernelINS0_14default_configENS1_27scan_by_key_config_selectorIj11FixedVectorIiLj2EEEEZZNS1_16scan_by_key_implILNS1_25lookback_scan_determinismE0ELb0ES3_N6thrust23THRUST_200600_302600_NS6detail15normal_iteratorINSB_10device_ptrIjEEEENSD_INSE_IS6_EEEESI_S6_NSB_4plusIvEENSB_8equal_toIvEES6_EE10hipError_tPvRmT2_T3_T4_T5_mT6_T7_P12ihipStream_tbENKUlT_T0_E_clISt17integral_constantIbLb0EES13_EEDaSY_SZ_EUlSY_E_NS1_11comp_targetILNS1_3genE4ELNS1_11target_archE910ELNS1_3gpuE8ELNS1_3repE0EEENS1_30default_config_static_selectorELNS0_4arch9wavefront6targetE0EEEvT1_: ; @_ZN7rocprim17ROCPRIM_400000_NS6detail17trampoline_kernelINS0_14default_configENS1_27scan_by_key_config_selectorIj11FixedVectorIiLj2EEEEZZNS1_16scan_by_key_implILNS1_25lookback_scan_determinismE0ELb0ES3_N6thrust23THRUST_200600_302600_NS6detail15normal_iteratorINSB_10device_ptrIjEEEENSD_INSE_IS6_EEEESI_S6_NSB_4plusIvEENSB_8equal_toIvEES6_EE10hipError_tPvRmT2_T3_T4_T5_mT6_T7_P12ihipStream_tbENKUlT_T0_E_clISt17integral_constantIbLb0EES13_EEDaSY_SZ_EUlSY_E_NS1_11comp_targetILNS1_3genE4ELNS1_11target_archE910ELNS1_3gpuE8ELNS1_3repE0EEENS1_30default_config_static_selectorELNS0_4arch9wavefront6targetE0EEEvT1_
; %bb.0:
	.section	.rodata,"a",@progbits
	.p2align	6, 0x0
	.amdhsa_kernel _ZN7rocprim17ROCPRIM_400000_NS6detail17trampoline_kernelINS0_14default_configENS1_27scan_by_key_config_selectorIj11FixedVectorIiLj2EEEEZZNS1_16scan_by_key_implILNS1_25lookback_scan_determinismE0ELb0ES3_N6thrust23THRUST_200600_302600_NS6detail15normal_iteratorINSB_10device_ptrIjEEEENSD_INSE_IS6_EEEESI_S6_NSB_4plusIvEENSB_8equal_toIvEES6_EE10hipError_tPvRmT2_T3_T4_T5_mT6_T7_P12ihipStream_tbENKUlT_T0_E_clISt17integral_constantIbLb0EES13_EEDaSY_SZ_EUlSY_E_NS1_11comp_targetILNS1_3genE4ELNS1_11target_archE910ELNS1_3gpuE8ELNS1_3repE0EEENS1_30default_config_static_selectorELNS0_4arch9wavefront6targetE0EEEvT1_
		.amdhsa_group_segment_fixed_size 0
		.amdhsa_private_segment_fixed_size 0
		.amdhsa_kernarg_size 120
		.amdhsa_user_sgpr_count 2
		.amdhsa_user_sgpr_dispatch_ptr 0
		.amdhsa_user_sgpr_queue_ptr 0
		.amdhsa_user_sgpr_kernarg_segment_ptr 1
		.amdhsa_user_sgpr_dispatch_id 0
		.amdhsa_user_sgpr_kernarg_preload_length 0
		.amdhsa_user_sgpr_kernarg_preload_offset 0
		.amdhsa_user_sgpr_private_segment_size 0
		.amdhsa_wavefront_size32 1
		.amdhsa_uses_dynamic_stack 0
		.amdhsa_enable_private_segment 0
		.amdhsa_system_sgpr_workgroup_id_x 1
		.amdhsa_system_sgpr_workgroup_id_y 0
		.amdhsa_system_sgpr_workgroup_id_z 0
		.amdhsa_system_sgpr_workgroup_info 0
		.amdhsa_system_vgpr_workitem_id 0
		.amdhsa_next_free_vgpr 1
		.amdhsa_next_free_sgpr 1
		.amdhsa_named_barrier_count 0
		.amdhsa_reserve_vcc 0
		.amdhsa_float_round_mode_32 0
		.amdhsa_float_round_mode_16_64 0
		.amdhsa_float_denorm_mode_32 3
		.amdhsa_float_denorm_mode_16_64 3
		.amdhsa_fp16_overflow 0
		.amdhsa_memory_ordered 1
		.amdhsa_forward_progress 1
		.amdhsa_inst_pref_size 0
		.amdhsa_round_robin_scheduling 0
		.amdhsa_exception_fp_ieee_invalid_op 0
		.amdhsa_exception_fp_denorm_src 0
		.amdhsa_exception_fp_ieee_div_zero 0
		.amdhsa_exception_fp_ieee_overflow 0
		.amdhsa_exception_fp_ieee_underflow 0
		.amdhsa_exception_fp_ieee_inexact 0
		.amdhsa_exception_int_div_zero 0
	.end_amdhsa_kernel
	.section	.text._ZN7rocprim17ROCPRIM_400000_NS6detail17trampoline_kernelINS0_14default_configENS1_27scan_by_key_config_selectorIj11FixedVectorIiLj2EEEEZZNS1_16scan_by_key_implILNS1_25lookback_scan_determinismE0ELb0ES3_N6thrust23THRUST_200600_302600_NS6detail15normal_iteratorINSB_10device_ptrIjEEEENSD_INSE_IS6_EEEESI_S6_NSB_4plusIvEENSB_8equal_toIvEES6_EE10hipError_tPvRmT2_T3_T4_T5_mT6_T7_P12ihipStream_tbENKUlT_T0_E_clISt17integral_constantIbLb0EES13_EEDaSY_SZ_EUlSY_E_NS1_11comp_targetILNS1_3genE4ELNS1_11target_archE910ELNS1_3gpuE8ELNS1_3repE0EEENS1_30default_config_static_selectorELNS0_4arch9wavefront6targetE0EEEvT1_,"axG",@progbits,_ZN7rocprim17ROCPRIM_400000_NS6detail17trampoline_kernelINS0_14default_configENS1_27scan_by_key_config_selectorIj11FixedVectorIiLj2EEEEZZNS1_16scan_by_key_implILNS1_25lookback_scan_determinismE0ELb0ES3_N6thrust23THRUST_200600_302600_NS6detail15normal_iteratorINSB_10device_ptrIjEEEENSD_INSE_IS6_EEEESI_S6_NSB_4plusIvEENSB_8equal_toIvEES6_EE10hipError_tPvRmT2_T3_T4_T5_mT6_T7_P12ihipStream_tbENKUlT_T0_E_clISt17integral_constantIbLb0EES13_EEDaSY_SZ_EUlSY_E_NS1_11comp_targetILNS1_3genE4ELNS1_11target_archE910ELNS1_3gpuE8ELNS1_3repE0EEENS1_30default_config_static_selectorELNS0_4arch9wavefront6targetE0EEEvT1_,comdat
.Lfunc_end1954:
	.size	_ZN7rocprim17ROCPRIM_400000_NS6detail17trampoline_kernelINS0_14default_configENS1_27scan_by_key_config_selectorIj11FixedVectorIiLj2EEEEZZNS1_16scan_by_key_implILNS1_25lookback_scan_determinismE0ELb0ES3_N6thrust23THRUST_200600_302600_NS6detail15normal_iteratorINSB_10device_ptrIjEEEENSD_INSE_IS6_EEEESI_S6_NSB_4plusIvEENSB_8equal_toIvEES6_EE10hipError_tPvRmT2_T3_T4_T5_mT6_T7_P12ihipStream_tbENKUlT_T0_E_clISt17integral_constantIbLb0EES13_EEDaSY_SZ_EUlSY_E_NS1_11comp_targetILNS1_3genE4ELNS1_11target_archE910ELNS1_3gpuE8ELNS1_3repE0EEENS1_30default_config_static_selectorELNS0_4arch9wavefront6targetE0EEEvT1_, .Lfunc_end1954-_ZN7rocprim17ROCPRIM_400000_NS6detail17trampoline_kernelINS0_14default_configENS1_27scan_by_key_config_selectorIj11FixedVectorIiLj2EEEEZZNS1_16scan_by_key_implILNS1_25lookback_scan_determinismE0ELb0ES3_N6thrust23THRUST_200600_302600_NS6detail15normal_iteratorINSB_10device_ptrIjEEEENSD_INSE_IS6_EEEESI_S6_NSB_4plusIvEENSB_8equal_toIvEES6_EE10hipError_tPvRmT2_T3_T4_T5_mT6_T7_P12ihipStream_tbENKUlT_T0_E_clISt17integral_constantIbLb0EES13_EEDaSY_SZ_EUlSY_E_NS1_11comp_targetILNS1_3genE4ELNS1_11target_archE910ELNS1_3gpuE8ELNS1_3repE0EEENS1_30default_config_static_selectorELNS0_4arch9wavefront6targetE0EEEvT1_
                                        ; -- End function
	.set _ZN7rocprim17ROCPRIM_400000_NS6detail17trampoline_kernelINS0_14default_configENS1_27scan_by_key_config_selectorIj11FixedVectorIiLj2EEEEZZNS1_16scan_by_key_implILNS1_25lookback_scan_determinismE0ELb0ES3_N6thrust23THRUST_200600_302600_NS6detail15normal_iteratorINSB_10device_ptrIjEEEENSD_INSE_IS6_EEEESI_S6_NSB_4plusIvEENSB_8equal_toIvEES6_EE10hipError_tPvRmT2_T3_T4_T5_mT6_T7_P12ihipStream_tbENKUlT_T0_E_clISt17integral_constantIbLb0EES13_EEDaSY_SZ_EUlSY_E_NS1_11comp_targetILNS1_3genE4ELNS1_11target_archE910ELNS1_3gpuE8ELNS1_3repE0EEENS1_30default_config_static_selectorELNS0_4arch9wavefront6targetE0EEEvT1_.num_vgpr, 0
	.set _ZN7rocprim17ROCPRIM_400000_NS6detail17trampoline_kernelINS0_14default_configENS1_27scan_by_key_config_selectorIj11FixedVectorIiLj2EEEEZZNS1_16scan_by_key_implILNS1_25lookback_scan_determinismE0ELb0ES3_N6thrust23THRUST_200600_302600_NS6detail15normal_iteratorINSB_10device_ptrIjEEEENSD_INSE_IS6_EEEESI_S6_NSB_4plusIvEENSB_8equal_toIvEES6_EE10hipError_tPvRmT2_T3_T4_T5_mT6_T7_P12ihipStream_tbENKUlT_T0_E_clISt17integral_constantIbLb0EES13_EEDaSY_SZ_EUlSY_E_NS1_11comp_targetILNS1_3genE4ELNS1_11target_archE910ELNS1_3gpuE8ELNS1_3repE0EEENS1_30default_config_static_selectorELNS0_4arch9wavefront6targetE0EEEvT1_.num_agpr, 0
	.set _ZN7rocprim17ROCPRIM_400000_NS6detail17trampoline_kernelINS0_14default_configENS1_27scan_by_key_config_selectorIj11FixedVectorIiLj2EEEEZZNS1_16scan_by_key_implILNS1_25lookback_scan_determinismE0ELb0ES3_N6thrust23THRUST_200600_302600_NS6detail15normal_iteratorINSB_10device_ptrIjEEEENSD_INSE_IS6_EEEESI_S6_NSB_4plusIvEENSB_8equal_toIvEES6_EE10hipError_tPvRmT2_T3_T4_T5_mT6_T7_P12ihipStream_tbENKUlT_T0_E_clISt17integral_constantIbLb0EES13_EEDaSY_SZ_EUlSY_E_NS1_11comp_targetILNS1_3genE4ELNS1_11target_archE910ELNS1_3gpuE8ELNS1_3repE0EEENS1_30default_config_static_selectorELNS0_4arch9wavefront6targetE0EEEvT1_.numbered_sgpr, 0
	.set _ZN7rocprim17ROCPRIM_400000_NS6detail17trampoline_kernelINS0_14default_configENS1_27scan_by_key_config_selectorIj11FixedVectorIiLj2EEEEZZNS1_16scan_by_key_implILNS1_25lookback_scan_determinismE0ELb0ES3_N6thrust23THRUST_200600_302600_NS6detail15normal_iteratorINSB_10device_ptrIjEEEENSD_INSE_IS6_EEEESI_S6_NSB_4plusIvEENSB_8equal_toIvEES6_EE10hipError_tPvRmT2_T3_T4_T5_mT6_T7_P12ihipStream_tbENKUlT_T0_E_clISt17integral_constantIbLb0EES13_EEDaSY_SZ_EUlSY_E_NS1_11comp_targetILNS1_3genE4ELNS1_11target_archE910ELNS1_3gpuE8ELNS1_3repE0EEENS1_30default_config_static_selectorELNS0_4arch9wavefront6targetE0EEEvT1_.num_named_barrier, 0
	.set _ZN7rocprim17ROCPRIM_400000_NS6detail17trampoline_kernelINS0_14default_configENS1_27scan_by_key_config_selectorIj11FixedVectorIiLj2EEEEZZNS1_16scan_by_key_implILNS1_25lookback_scan_determinismE0ELb0ES3_N6thrust23THRUST_200600_302600_NS6detail15normal_iteratorINSB_10device_ptrIjEEEENSD_INSE_IS6_EEEESI_S6_NSB_4plusIvEENSB_8equal_toIvEES6_EE10hipError_tPvRmT2_T3_T4_T5_mT6_T7_P12ihipStream_tbENKUlT_T0_E_clISt17integral_constantIbLb0EES13_EEDaSY_SZ_EUlSY_E_NS1_11comp_targetILNS1_3genE4ELNS1_11target_archE910ELNS1_3gpuE8ELNS1_3repE0EEENS1_30default_config_static_selectorELNS0_4arch9wavefront6targetE0EEEvT1_.private_seg_size, 0
	.set _ZN7rocprim17ROCPRIM_400000_NS6detail17trampoline_kernelINS0_14default_configENS1_27scan_by_key_config_selectorIj11FixedVectorIiLj2EEEEZZNS1_16scan_by_key_implILNS1_25lookback_scan_determinismE0ELb0ES3_N6thrust23THRUST_200600_302600_NS6detail15normal_iteratorINSB_10device_ptrIjEEEENSD_INSE_IS6_EEEESI_S6_NSB_4plusIvEENSB_8equal_toIvEES6_EE10hipError_tPvRmT2_T3_T4_T5_mT6_T7_P12ihipStream_tbENKUlT_T0_E_clISt17integral_constantIbLb0EES13_EEDaSY_SZ_EUlSY_E_NS1_11comp_targetILNS1_3genE4ELNS1_11target_archE910ELNS1_3gpuE8ELNS1_3repE0EEENS1_30default_config_static_selectorELNS0_4arch9wavefront6targetE0EEEvT1_.uses_vcc, 0
	.set _ZN7rocprim17ROCPRIM_400000_NS6detail17trampoline_kernelINS0_14default_configENS1_27scan_by_key_config_selectorIj11FixedVectorIiLj2EEEEZZNS1_16scan_by_key_implILNS1_25lookback_scan_determinismE0ELb0ES3_N6thrust23THRUST_200600_302600_NS6detail15normal_iteratorINSB_10device_ptrIjEEEENSD_INSE_IS6_EEEESI_S6_NSB_4plusIvEENSB_8equal_toIvEES6_EE10hipError_tPvRmT2_T3_T4_T5_mT6_T7_P12ihipStream_tbENKUlT_T0_E_clISt17integral_constantIbLb0EES13_EEDaSY_SZ_EUlSY_E_NS1_11comp_targetILNS1_3genE4ELNS1_11target_archE910ELNS1_3gpuE8ELNS1_3repE0EEENS1_30default_config_static_selectorELNS0_4arch9wavefront6targetE0EEEvT1_.uses_flat_scratch, 0
	.set _ZN7rocprim17ROCPRIM_400000_NS6detail17trampoline_kernelINS0_14default_configENS1_27scan_by_key_config_selectorIj11FixedVectorIiLj2EEEEZZNS1_16scan_by_key_implILNS1_25lookback_scan_determinismE0ELb0ES3_N6thrust23THRUST_200600_302600_NS6detail15normal_iteratorINSB_10device_ptrIjEEEENSD_INSE_IS6_EEEESI_S6_NSB_4plusIvEENSB_8equal_toIvEES6_EE10hipError_tPvRmT2_T3_T4_T5_mT6_T7_P12ihipStream_tbENKUlT_T0_E_clISt17integral_constantIbLb0EES13_EEDaSY_SZ_EUlSY_E_NS1_11comp_targetILNS1_3genE4ELNS1_11target_archE910ELNS1_3gpuE8ELNS1_3repE0EEENS1_30default_config_static_selectorELNS0_4arch9wavefront6targetE0EEEvT1_.has_dyn_sized_stack, 0
	.set _ZN7rocprim17ROCPRIM_400000_NS6detail17trampoline_kernelINS0_14default_configENS1_27scan_by_key_config_selectorIj11FixedVectorIiLj2EEEEZZNS1_16scan_by_key_implILNS1_25lookback_scan_determinismE0ELb0ES3_N6thrust23THRUST_200600_302600_NS6detail15normal_iteratorINSB_10device_ptrIjEEEENSD_INSE_IS6_EEEESI_S6_NSB_4plusIvEENSB_8equal_toIvEES6_EE10hipError_tPvRmT2_T3_T4_T5_mT6_T7_P12ihipStream_tbENKUlT_T0_E_clISt17integral_constantIbLb0EES13_EEDaSY_SZ_EUlSY_E_NS1_11comp_targetILNS1_3genE4ELNS1_11target_archE910ELNS1_3gpuE8ELNS1_3repE0EEENS1_30default_config_static_selectorELNS0_4arch9wavefront6targetE0EEEvT1_.has_recursion, 0
	.set _ZN7rocprim17ROCPRIM_400000_NS6detail17trampoline_kernelINS0_14default_configENS1_27scan_by_key_config_selectorIj11FixedVectorIiLj2EEEEZZNS1_16scan_by_key_implILNS1_25lookback_scan_determinismE0ELb0ES3_N6thrust23THRUST_200600_302600_NS6detail15normal_iteratorINSB_10device_ptrIjEEEENSD_INSE_IS6_EEEESI_S6_NSB_4plusIvEENSB_8equal_toIvEES6_EE10hipError_tPvRmT2_T3_T4_T5_mT6_T7_P12ihipStream_tbENKUlT_T0_E_clISt17integral_constantIbLb0EES13_EEDaSY_SZ_EUlSY_E_NS1_11comp_targetILNS1_3genE4ELNS1_11target_archE910ELNS1_3gpuE8ELNS1_3repE0EEENS1_30default_config_static_selectorELNS0_4arch9wavefront6targetE0EEEvT1_.has_indirect_call, 0
	.section	.AMDGPU.csdata,"",@progbits
; Kernel info:
; codeLenInByte = 0
; TotalNumSgprs: 0
; NumVgprs: 0
; ScratchSize: 0
; MemoryBound: 0
; FloatMode: 240
; IeeeMode: 1
; LDSByteSize: 0 bytes/workgroup (compile time only)
; SGPRBlocks: 0
; VGPRBlocks: 0
; NumSGPRsForWavesPerEU: 1
; NumVGPRsForWavesPerEU: 1
; NamedBarCnt: 0
; Occupancy: 16
; WaveLimiterHint : 0
; COMPUTE_PGM_RSRC2:SCRATCH_EN: 0
; COMPUTE_PGM_RSRC2:USER_SGPR: 2
; COMPUTE_PGM_RSRC2:TRAP_HANDLER: 0
; COMPUTE_PGM_RSRC2:TGID_X_EN: 1
; COMPUTE_PGM_RSRC2:TGID_Y_EN: 0
; COMPUTE_PGM_RSRC2:TGID_Z_EN: 0
; COMPUTE_PGM_RSRC2:TIDIG_COMP_CNT: 0
	.section	.text._ZN7rocprim17ROCPRIM_400000_NS6detail17trampoline_kernelINS0_14default_configENS1_27scan_by_key_config_selectorIj11FixedVectorIiLj2EEEEZZNS1_16scan_by_key_implILNS1_25lookback_scan_determinismE0ELb0ES3_N6thrust23THRUST_200600_302600_NS6detail15normal_iteratorINSB_10device_ptrIjEEEENSD_INSE_IS6_EEEESI_S6_NSB_4plusIvEENSB_8equal_toIvEES6_EE10hipError_tPvRmT2_T3_T4_T5_mT6_T7_P12ihipStream_tbENKUlT_T0_E_clISt17integral_constantIbLb0EES13_EEDaSY_SZ_EUlSY_E_NS1_11comp_targetILNS1_3genE3ELNS1_11target_archE908ELNS1_3gpuE7ELNS1_3repE0EEENS1_30default_config_static_selectorELNS0_4arch9wavefront6targetE0EEEvT1_,"axG",@progbits,_ZN7rocprim17ROCPRIM_400000_NS6detail17trampoline_kernelINS0_14default_configENS1_27scan_by_key_config_selectorIj11FixedVectorIiLj2EEEEZZNS1_16scan_by_key_implILNS1_25lookback_scan_determinismE0ELb0ES3_N6thrust23THRUST_200600_302600_NS6detail15normal_iteratorINSB_10device_ptrIjEEEENSD_INSE_IS6_EEEESI_S6_NSB_4plusIvEENSB_8equal_toIvEES6_EE10hipError_tPvRmT2_T3_T4_T5_mT6_T7_P12ihipStream_tbENKUlT_T0_E_clISt17integral_constantIbLb0EES13_EEDaSY_SZ_EUlSY_E_NS1_11comp_targetILNS1_3genE3ELNS1_11target_archE908ELNS1_3gpuE7ELNS1_3repE0EEENS1_30default_config_static_selectorELNS0_4arch9wavefront6targetE0EEEvT1_,comdat
	.protected	_ZN7rocprim17ROCPRIM_400000_NS6detail17trampoline_kernelINS0_14default_configENS1_27scan_by_key_config_selectorIj11FixedVectorIiLj2EEEEZZNS1_16scan_by_key_implILNS1_25lookback_scan_determinismE0ELb0ES3_N6thrust23THRUST_200600_302600_NS6detail15normal_iteratorINSB_10device_ptrIjEEEENSD_INSE_IS6_EEEESI_S6_NSB_4plusIvEENSB_8equal_toIvEES6_EE10hipError_tPvRmT2_T3_T4_T5_mT6_T7_P12ihipStream_tbENKUlT_T0_E_clISt17integral_constantIbLb0EES13_EEDaSY_SZ_EUlSY_E_NS1_11comp_targetILNS1_3genE3ELNS1_11target_archE908ELNS1_3gpuE7ELNS1_3repE0EEENS1_30default_config_static_selectorELNS0_4arch9wavefront6targetE0EEEvT1_ ; -- Begin function _ZN7rocprim17ROCPRIM_400000_NS6detail17trampoline_kernelINS0_14default_configENS1_27scan_by_key_config_selectorIj11FixedVectorIiLj2EEEEZZNS1_16scan_by_key_implILNS1_25lookback_scan_determinismE0ELb0ES3_N6thrust23THRUST_200600_302600_NS6detail15normal_iteratorINSB_10device_ptrIjEEEENSD_INSE_IS6_EEEESI_S6_NSB_4plusIvEENSB_8equal_toIvEES6_EE10hipError_tPvRmT2_T3_T4_T5_mT6_T7_P12ihipStream_tbENKUlT_T0_E_clISt17integral_constantIbLb0EES13_EEDaSY_SZ_EUlSY_E_NS1_11comp_targetILNS1_3genE3ELNS1_11target_archE908ELNS1_3gpuE7ELNS1_3repE0EEENS1_30default_config_static_selectorELNS0_4arch9wavefront6targetE0EEEvT1_
	.globl	_ZN7rocprim17ROCPRIM_400000_NS6detail17trampoline_kernelINS0_14default_configENS1_27scan_by_key_config_selectorIj11FixedVectorIiLj2EEEEZZNS1_16scan_by_key_implILNS1_25lookback_scan_determinismE0ELb0ES3_N6thrust23THRUST_200600_302600_NS6detail15normal_iteratorINSB_10device_ptrIjEEEENSD_INSE_IS6_EEEESI_S6_NSB_4plusIvEENSB_8equal_toIvEES6_EE10hipError_tPvRmT2_T3_T4_T5_mT6_T7_P12ihipStream_tbENKUlT_T0_E_clISt17integral_constantIbLb0EES13_EEDaSY_SZ_EUlSY_E_NS1_11comp_targetILNS1_3genE3ELNS1_11target_archE908ELNS1_3gpuE7ELNS1_3repE0EEENS1_30default_config_static_selectorELNS0_4arch9wavefront6targetE0EEEvT1_
	.p2align	8
	.type	_ZN7rocprim17ROCPRIM_400000_NS6detail17trampoline_kernelINS0_14default_configENS1_27scan_by_key_config_selectorIj11FixedVectorIiLj2EEEEZZNS1_16scan_by_key_implILNS1_25lookback_scan_determinismE0ELb0ES3_N6thrust23THRUST_200600_302600_NS6detail15normal_iteratorINSB_10device_ptrIjEEEENSD_INSE_IS6_EEEESI_S6_NSB_4plusIvEENSB_8equal_toIvEES6_EE10hipError_tPvRmT2_T3_T4_T5_mT6_T7_P12ihipStream_tbENKUlT_T0_E_clISt17integral_constantIbLb0EES13_EEDaSY_SZ_EUlSY_E_NS1_11comp_targetILNS1_3genE3ELNS1_11target_archE908ELNS1_3gpuE7ELNS1_3repE0EEENS1_30default_config_static_selectorELNS0_4arch9wavefront6targetE0EEEvT1_,@function
_ZN7rocprim17ROCPRIM_400000_NS6detail17trampoline_kernelINS0_14default_configENS1_27scan_by_key_config_selectorIj11FixedVectorIiLj2EEEEZZNS1_16scan_by_key_implILNS1_25lookback_scan_determinismE0ELb0ES3_N6thrust23THRUST_200600_302600_NS6detail15normal_iteratorINSB_10device_ptrIjEEEENSD_INSE_IS6_EEEESI_S6_NSB_4plusIvEENSB_8equal_toIvEES6_EE10hipError_tPvRmT2_T3_T4_T5_mT6_T7_P12ihipStream_tbENKUlT_T0_E_clISt17integral_constantIbLb0EES13_EEDaSY_SZ_EUlSY_E_NS1_11comp_targetILNS1_3genE3ELNS1_11target_archE908ELNS1_3gpuE7ELNS1_3repE0EEENS1_30default_config_static_selectorELNS0_4arch9wavefront6targetE0EEEvT1_: ; @_ZN7rocprim17ROCPRIM_400000_NS6detail17trampoline_kernelINS0_14default_configENS1_27scan_by_key_config_selectorIj11FixedVectorIiLj2EEEEZZNS1_16scan_by_key_implILNS1_25lookback_scan_determinismE0ELb0ES3_N6thrust23THRUST_200600_302600_NS6detail15normal_iteratorINSB_10device_ptrIjEEEENSD_INSE_IS6_EEEESI_S6_NSB_4plusIvEENSB_8equal_toIvEES6_EE10hipError_tPvRmT2_T3_T4_T5_mT6_T7_P12ihipStream_tbENKUlT_T0_E_clISt17integral_constantIbLb0EES13_EEDaSY_SZ_EUlSY_E_NS1_11comp_targetILNS1_3genE3ELNS1_11target_archE908ELNS1_3gpuE7ELNS1_3repE0EEENS1_30default_config_static_selectorELNS0_4arch9wavefront6targetE0EEEvT1_
; %bb.0:
	.section	.rodata,"a",@progbits
	.p2align	6, 0x0
	.amdhsa_kernel _ZN7rocprim17ROCPRIM_400000_NS6detail17trampoline_kernelINS0_14default_configENS1_27scan_by_key_config_selectorIj11FixedVectorIiLj2EEEEZZNS1_16scan_by_key_implILNS1_25lookback_scan_determinismE0ELb0ES3_N6thrust23THRUST_200600_302600_NS6detail15normal_iteratorINSB_10device_ptrIjEEEENSD_INSE_IS6_EEEESI_S6_NSB_4plusIvEENSB_8equal_toIvEES6_EE10hipError_tPvRmT2_T3_T4_T5_mT6_T7_P12ihipStream_tbENKUlT_T0_E_clISt17integral_constantIbLb0EES13_EEDaSY_SZ_EUlSY_E_NS1_11comp_targetILNS1_3genE3ELNS1_11target_archE908ELNS1_3gpuE7ELNS1_3repE0EEENS1_30default_config_static_selectorELNS0_4arch9wavefront6targetE0EEEvT1_
		.amdhsa_group_segment_fixed_size 0
		.amdhsa_private_segment_fixed_size 0
		.amdhsa_kernarg_size 120
		.amdhsa_user_sgpr_count 2
		.amdhsa_user_sgpr_dispatch_ptr 0
		.amdhsa_user_sgpr_queue_ptr 0
		.amdhsa_user_sgpr_kernarg_segment_ptr 1
		.amdhsa_user_sgpr_dispatch_id 0
		.amdhsa_user_sgpr_kernarg_preload_length 0
		.amdhsa_user_sgpr_kernarg_preload_offset 0
		.amdhsa_user_sgpr_private_segment_size 0
		.amdhsa_wavefront_size32 1
		.amdhsa_uses_dynamic_stack 0
		.amdhsa_enable_private_segment 0
		.amdhsa_system_sgpr_workgroup_id_x 1
		.amdhsa_system_sgpr_workgroup_id_y 0
		.amdhsa_system_sgpr_workgroup_id_z 0
		.amdhsa_system_sgpr_workgroup_info 0
		.amdhsa_system_vgpr_workitem_id 0
		.amdhsa_next_free_vgpr 1
		.amdhsa_next_free_sgpr 1
		.amdhsa_named_barrier_count 0
		.amdhsa_reserve_vcc 0
		.amdhsa_float_round_mode_32 0
		.amdhsa_float_round_mode_16_64 0
		.amdhsa_float_denorm_mode_32 3
		.amdhsa_float_denorm_mode_16_64 3
		.amdhsa_fp16_overflow 0
		.amdhsa_memory_ordered 1
		.amdhsa_forward_progress 1
		.amdhsa_inst_pref_size 0
		.amdhsa_round_robin_scheduling 0
		.amdhsa_exception_fp_ieee_invalid_op 0
		.amdhsa_exception_fp_denorm_src 0
		.amdhsa_exception_fp_ieee_div_zero 0
		.amdhsa_exception_fp_ieee_overflow 0
		.amdhsa_exception_fp_ieee_underflow 0
		.amdhsa_exception_fp_ieee_inexact 0
		.amdhsa_exception_int_div_zero 0
	.end_amdhsa_kernel
	.section	.text._ZN7rocprim17ROCPRIM_400000_NS6detail17trampoline_kernelINS0_14default_configENS1_27scan_by_key_config_selectorIj11FixedVectorIiLj2EEEEZZNS1_16scan_by_key_implILNS1_25lookback_scan_determinismE0ELb0ES3_N6thrust23THRUST_200600_302600_NS6detail15normal_iteratorINSB_10device_ptrIjEEEENSD_INSE_IS6_EEEESI_S6_NSB_4plusIvEENSB_8equal_toIvEES6_EE10hipError_tPvRmT2_T3_T4_T5_mT6_T7_P12ihipStream_tbENKUlT_T0_E_clISt17integral_constantIbLb0EES13_EEDaSY_SZ_EUlSY_E_NS1_11comp_targetILNS1_3genE3ELNS1_11target_archE908ELNS1_3gpuE7ELNS1_3repE0EEENS1_30default_config_static_selectorELNS0_4arch9wavefront6targetE0EEEvT1_,"axG",@progbits,_ZN7rocprim17ROCPRIM_400000_NS6detail17trampoline_kernelINS0_14default_configENS1_27scan_by_key_config_selectorIj11FixedVectorIiLj2EEEEZZNS1_16scan_by_key_implILNS1_25lookback_scan_determinismE0ELb0ES3_N6thrust23THRUST_200600_302600_NS6detail15normal_iteratorINSB_10device_ptrIjEEEENSD_INSE_IS6_EEEESI_S6_NSB_4plusIvEENSB_8equal_toIvEES6_EE10hipError_tPvRmT2_T3_T4_T5_mT6_T7_P12ihipStream_tbENKUlT_T0_E_clISt17integral_constantIbLb0EES13_EEDaSY_SZ_EUlSY_E_NS1_11comp_targetILNS1_3genE3ELNS1_11target_archE908ELNS1_3gpuE7ELNS1_3repE0EEENS1_30default_config_static_selectorELNS0_4arch9wavefront6targetE0EEEvT1_,comdat
.Lfunc_end1955:
	.size	_ZN7rocprim17ROCPRIM_400000_NS6detail17trampoline_kernelINS0_14default_configENS1_27scan_by_key_config_selectorIj11FixedVectorIiLj2EEEEZZNS1_16scan_by_key_implILNS1_25lookback_scan_determinismE0ELb0ES3_N6thrust23THRUST_200600_302600_NS6detail15normal_iteratorINSB_10device_ptrIjEEEENSD_INSE_IS6_EEEESI_S6_NSB_4plusIvEENSB_8equal_toIvEES6_EE10hipError_tPvRmT2_T3_T4_T5_mT6_T7_P12ihipStream_tbENKUlT_T0_E_clISt17integral_constantIbLb0EES13_EEDaSY_SZ_EUlSY_E_NS1_11comp_targetILNS1_3genE3ELNS1_11target_archE908ELNS1_3gpuE7ELNS1_3repE0EEENS1_30default_config_static_selectorELNS0_4arch9wavefront6targetE0EEEvT1_, .Lfunc_end1955-_ZN7rocprim17ROCPRIM_400000_NS6detail17trampoline_kernelINS0_14default_configENS1_27scan_by_key_config_selectorIj11FixedVectorIiLj2EEEEZZNS1_16scan_by_key_implILNS1_25lookback_scan_determinismE0ELb0ES3_N6thrust23THRUST_200600_302600_NS6detail15normal_iteratorINSB_10device_ptrIjEEEENSD_INSE_IS6_EEEESI_S6_NSB_4plusIvEENSB_8equal_toIvEES6_EE10hipError_tPvRmT2_T3_T4_T5_mT6_T7_P12ihipStream_tbENKUlT_T0_E_clISt17integral_constantIbLb0EES13_EEDaSY_SZ_EUlSY_E_NS1_11comp_targetILNS1_3genE3ELNS1_11target_archE908ELNS1_3gpuE7ELNS1_3repE0EEENS1_30default_config_static_selectorELNS0_4arch9wavefront6targetE0EEEvT1_
                                        ; -- End function
	.set _ZN7rocprim17ROCPRIM_400000_NS6detail17trampoline_kernelINS0_14default_configENS1_27scan_by_key_config_selectorIj11FixedVectorIiLj2EEEEZZNS1_16scan_by_key_implILNS1_25lookback_scan_determinismE0ELb0ES3_N6thrust23THRUST_200600_302600_NS6detail15normal_iteratorINSB_10device_ptrIjEEEENSD_INSE_IS6_EEEESI_S6_NSB_4plusIvEENSB_8equal_toIvEES6_EE10hipError_tPvRmT2_T3_T4_T5_mT6_T7_P12ihipStream_tbENKUlT_T0_E_clISt17integral_constantIbLb0EES13_EEDaSY_SZ_EUlSY_E_NS1_11comp_targetILNS1_3genE3ELNS1_11target_archE908ELNS1_3gpuE7ELNS1_3repE0EEENS1_30default_config_static_selectorELNS0_4arch9wavefront6targetE0EEEvT1_.num_vgpr, 0
	.set _ZN7rocprim17ROCPRIM_400000_NS6detail17trampoline_kernelINS0_14default_configENS1_27scan_by_key_config_selectorIj11FixedVectorIiLj2EEEEZZNS1_16scan_by_key_implILNS1_25lookback_scan_determinismE0ELb0ES3_N6thrust23THRUST_200600_302600_NS6detail15normal_iteratorINSB_10device_ptrIjEEEENSD_INSE_IS6_EEEESI_S6_NSB_4plusIvEENSB_8equal_toIvEES6_EE10hipError_tPvRmT2_T3_T4_T5_mT6_T7_P12ihipStream_tbENKUlT_T0_E_clISt17integral_constantIbLb0EES13_EEDaSY_SZ_EUlSY_E_NS1_11comp_targetILNS1_3genE3ELNS1_11target_archE908ELNS1_3gpuE7ELNS1_3repE0EEENS1_30default_config_static_selectorELNS0_4arch9wavefront6targetE0EEEvT1_.num_agpr, 0
	.set _ZN7rocprim17ROCPRIM_400000_NS6detail17trampoline_kernelINS0_14default_configENS1_27scan_by_key_config_selectorIj11FixedVectorIiLj2EEEEZZNS1_16scan_by_key_implILNS1_25lookback_scan_determinismE0ELb0ES3_N6thrust23THRUST_200600_302600_NS6detail15normal_iteratorINSB_10device_ptrIjEEEENSD_INSE_IS6_EEEESI_S6_NSB_4plusIvEENSB_8equal_toIvEES6_EE10hipError_tPvRmT2_T3_T4_T5_mT6_T7_P12ihipStream_tbENKUlT_T0_E_clISt17integral_constantIbLb0EES13_EEDaSY_SZ_EUlSY_E_NS1_11comp_targetILNS1_3genE3ELNS1_11target_archE908ELNS1_3gpuE7ELNS1_3repE0EEENS1_30default_config_static_selectorELNS0_4arch9wavefront6targetE0EEEvT1_.numbered_sgpr, 0
	.set _ZN7rocprim17ROCPRIM_400000_NS6detail17trampoline_kernelINS0_14default_configENS1_27scan_by_key_config_selectorIj11FixedVectorIiLj2EEEEZZNS1_16scan_by_key_implILNS1_25lookback_scan_determinismE0ELb0ES3_N6thrust23THRUST_200600_302600_NS6detail15normal_iteratorINSB_10device_ptrIjEEEENSD_INSE_IS6_EEEESI_S6_NSB_4plusIvEENSB_8equal_toIvEES6_EE10hipError_tPvRmT2_T3_T4_T5_mT6_T7_P12ihipStream_tbENKUlT_T0_E_clISt17integral_constantIbLb0EES13_EEDaSY_SZ_EUlSY_E_NS1_11comp_targetILNS1_3genE3ELNS1_11target_archE908ELNS1_3gpuE7ELNS1_3repE0EEENS1_30default_config_static_selectorELNS0_4arch9wavefront6targetE0EEEvT1_.num_named_barrier, 0
	.set _ZN7rocprim17ROCPRIM_400000_NS6detail17trampoline_kernelINS0_14default_configENS1_27scan_by_key_config_selectorIj11FixedVectorIiLj2EEEEZZNS1_16scan_by_key_implILNS1_25lookback_scan_determinismE0ELb0ES3_N6thrust23THRUST_200600_302600_NS6detail15normal_iteratorINSB_10device_ptrIjEEEENSD_INSE_IS6_EEEESI_S6_NSB_4plusIvEENSB_8equal_toIvEES6_EE10hipError_tPvRmT2_T3_T4_T5_mT6_T7_P12ihipStream_tbENKUlT_T0_E_clISt17integral_constantIbLb0EES13_EEDaSY_SZ_EUlSY_E_NS1_11comp_targetILNS1_3genE3ELNS1_11target_archE908ELNS1_3gpuE7ELNS1_3repE0EEENS1_30default_config_static_selectorELNS0_4arch9wavefront6targetE0EEEvT1_.private_seg_size, 0
	.set _ZN7rocprim17ROCPRIM_400000_NS6detail17trampoline_kernelINS0_14default_configENS1_27scan_by_key_config_selectorIj11FixedVectorIiLj2EEEEZZNS1_16scan_by_key_implILNS1_25lookback_scan_determinismE0ELb0ES3_N6thrust23THRUST_200600_302600_NS6detail15normal_iteratorINSB_10device_ptrIjEEEENSD_INSE_IS6_EEEESI_S6_NSB_4plusIvEENSB_8equal_toIvEES6_EE10hipError_tPvRmT2_T3_T4_T5_mT6_T7_P12ihipStream_tbENKUlT_T0_E_clISt17integral_constantIbLb0EES13_EEDaSY_SZ_EUlSY_E_NS1_11comp_targetILNS1_3genE3ELNS1_11target_archE908ELNS1_3gpuE7ELNS1_3repE0EEENS1_30default_config_static_selectorELNS0_4arch9wavefront6targetE0EEEvT1_.uses_vcc, 0
	.set _ZN7rocprim17ROCPRIM_400000_NS6detail17trampoline_kernelINS0_14default_configENS1_27scan_by_key_config_selectorIj11FixedVectorIiLj2EEEEZZNS1_16scan_by_key_implILNS1_25lookback_scan_determinismE0ELb0ES3_N6thrust23THRUST_200600_302600_NS6detail15normal_iteratorINSB_10device_ptrIjEEEENSD_INSE_IS6_EEEESI_S6_NSB_4plusIvEENSB_8equal_toIvEES6_EE10hipError_tPvRmT2_T3_T4_T5_mT6_T7_P12ihipStream_tbENKUlT_T0_E_clISt17integral_constantIbLb0EES13_EEDaSY_SZ_EUlSY_E_NS1_11comp_targetILNS1_3genE3ELNS1_11target_archE908ELNS1_3gpuE7ELNS1_3repE0EEENS1_30default_config_static_selectorELNS0_4arch9wavefront6targetE0EEEvT1_.uses_flat_scratch, 0
	.set _ZN7rocprim17ROCPRIM_400000_NS6detail17trampoline_kernelINS0_14default_configENS1_27scan_by_key_config_selectorIj11FixedVectorIiLj2EEEEZZNS1_16scan_by_key_implILNS1_25lookback_scan_determinismE0ELb0ES3_N6thrust23THRUST_200600_302600_NS6detail15normal_iteratorINSB_10device_ptrIjEEEENSD_INSE_IS6_EEEESI_S6_NSB_4plusIvEENSB_8equal_toIvEES6_EE10hipError_tPvRmT2_T3_T4_T5_mT6_T7_P12ihipStream_tbENKUlT_T0_E_clISt17integral_constantIbLb0EES13_EEDaSY_SZ_EUlSY_E_NS1_11comp_targetILNS1_3genE3ELNS1_11target_archE908ELNS1_3gpuE7ELNS1_3repE0EEENS1_30default_config_static_selectorELNS0_4arch9wavefront6targetE0EEEvT1_.has_dyn_sized_stack, 0
	.set _ZN7rocprim17ROCPRIM_400000_NS6detail17trampoline_kernelINS0_14default_configENS1_27scan_by_key_config_selectorIj11FixedVectorIiLj2EEEEZZNS1_16scan_by_key_implILNS1_25lookback_scan_determinismE0ELb0ES3_N6thrust23THRUST_200600_302600_NS6detail15normal_iteratorINSB_10device_ptrIjEEEENSD_INSE_IS6_EEEESI_S6_NSB_4plusIvEENSB_8equal_toIvEES6_EE10hipError_tPvRmT2_T3_T4_T5_mT6_T7_P12ihipStream_tbENKUlT_T0_E_clISt17integral_constantIbLb0EES13_EEDaSY_SZ_EUlSY_E_NS1_11comp_targetILNS1_3genE3ELNS1_11target_archE908ELNS1_3gpuE7ELNS1_3repE0EEENS1_30default_config_static_selectorELNS0_4arch9wavefront6targetE0EEEvT1_.has_recursion, 0
	.set _ZN7rocprim17ROCPRIM_400000_NS6detail17trampoline_kernelINS0_14default_configENS1_27scan_by_key_config_selectorIj11FixedVectorIiLj2EEEEZZNS1_16scan_by_key_implILNS1_25lookback_scan_determinismE0ELb0ES3_N6thrust23THRUST_200600_302600_NS6detail15normal_iteratorINSB_10device_ptrIjEEEENSD_INSE_IS6_EEEESI_S6_NSB_4plusIvEENSB_8equal_toIvEES6_EE10hipError_tPvRmT2_T3_T4_T5_mT6_T7_P12ihipStream_tbENKUlT_T0_E_clISt17integral_constantIbLb0EES13_EEDaSY_SZ_EUlSY_E_NS1_11comp_targetILNS1_3genE3ELNS1_11target_archE908ELNS1_3gpuE7ELNS1_3repE0EEENS1_30default_config_static_selectorELNS0_4arch9wavefront6targetE0EEEvT1_.has_indirect_call, 0
	.section	.AMDGPU.csdata,"",@progbits
; Kernel info:
; codeLenInByte = 0
; TotalNumSgprs: 0
; NumVgprs: 0
; ScratchSize: 0
; MemoryBound: 0
; FloatMode: 240
; IeeeMode: 1
; LDSByteSize: 0 bytes/workgroup (compile time only)
; SGPRBlocks: 0
; VGPRBlocks: 0
; NumSGPRsForWavesPerEU: 1
; NumVGPRsForWavesPerEU: 1
; NamedBarCnt: 0
; Occupancy: 16
; WaveLimiterHint : 0
; COMPUTE_PGM_RSRC2:SCRATCH_EN: 0
; COMPUTE_PGM_RSRC2:USER_SGPR: 2
; COMPUTE_PGM_RSRC2:TRAP_HANDLER: 0
; COMPUTE_PGM_RSRC2:TGID_X_EN: 1
; COMPUTE_PGM_RSRC2:TGID_Y_EN: 0
; COMPUTE_PGM_RSRC2:TGID_Z_EN: 0
; COMPUTE_PGM_RSRC2:TIDIG_COMP_CNT: 0
	.section	.text._ZN7rocprim17ROCPRIM_400000_NS6detail17trampoline_kernelINS0_14default_configENS1_27scan_by_key_config_selectorIj11FixedVectorIiLj2EEEEZZNS1_16scan_by_key_implILNS1_25lookback_scan_determinismE0ELb0ES3_N6thrust23THRUST_200600_302600_NS6detail15normal_iteratorINSB_10device_ptrIjEEEENSD_INSE_IS6_EEEESI_S6_NSB_4plusIvEENSB_8equal_toIvEES6_EE10hipError_tPvRmT2_T3_T4_T5_mT6_T7_P12ihipStream_tbENKUlT_T0_E_clISt17integral_constantIbLb0EES13_EEDaSY_SZ_EUlSY_E_NS1_11comp_targetILNS1_3genE2ELNS1_11target_archE906ELNS1_3gpuE6ELNS1_3repE0EEENS1_30default_config_static_selectorELNS0_4arch9wavefront6targetE0EEEvT1_,"axG",@progbits,_ZN7rocprim17ROCPRIM_400000_NS6detail17trampoline_kernelINS0_14default_configENS1_27scan_by_key_config_selectorIj11FixedVectorIiLj2EEEEZZNS1_16scan_by_key_implILNS1_25lookback_scan_determinismE0ELb0ES3_N6thrust23THRUST_200600_302600_NS6detail15normal_iteratorINSB_10device_ptrIjEEEENSD_INSE_IS6_EEEESI_S6_NSB_4plusIvEENSB_8equal_toIvEES6_EE10hipError_tPvRmT2_T3_T4_T5_mT6_T7_P12ihipStream_tbENKUlT_T0_E_clISt17integral_constantIbLb0EES13_EEDaSY_SZ_EUlSY_E_NS1_11comp_targetILNS1_3genE2ELNS1_11target_archE906ELNS1_3gpuE6ELNS1_3repE0EEENS1_30default_config_static_selectorELNS0_4arch9wavefront6targetE0EEEvT1_,comdat
	.protected	_ZN7rocprim17ROCPRIM_400000_NS6detail17trampoline_kernelINS0_14default_configENS1_27scan_by_key_config_selectorIj11FixedVectorIiLj2EEEEZZNS1_16scan_by_key_implILNS1_25lookback_scan_determinismE0ELb0ES3_N6thrust23THRUST_200600_302600_NS6detail15normal_iteratorINSB_10device_ptrIjEEEENSD_INSE_IS6_EEEESI_S6_NSB_4plusIvEENSB_8equal_toIvEES6_EE10hipError_tPvRmT2_T3_T4_T5_mT6_T7_P12ihipStream_tbENKUlT_T0_E_clISt17integral_constantIbLb0EES13_EEDaSY_SZ_EUlSY_E_NS1_11comp_targetILNS1_3genE2ELNS1_11target_archE906ELNS1_3gpuE6ELNS1_3repE0EEENS1_30default_config_static_selectorELNS0_4arch9wavefront6targetE0EEEvT1_ ; -- Begin function _ZN7rocprim17ROCPRIM_400000_NS6detail17trampoline_kernelINS0_14default_configENS1_27scan_by_key_config_selectorIj11FixedVectorIiLj2EEEEZZNS1_16scan_by_key_implILNS1_25lookback_scan_determinismE0ELb0ES3_N6thrust23THRUST_200600_302600_NS6detail15normal_iteratorINSB_10device_ptrIjEEEENSD_INSE_IS6_EEEESI_S6_NSB_4plusIvEENSB_8equal_toIvEES6_EE10hipError_tPvRmT2_T3_T4_T5_mT6_T7_P12ihipStream_tbENKUlT_T0_E_clISt17integral_constantIbLb0EES13_EEDaSY_SZ_EUlSY_E_NS1_11comp_targetILNS1_3genE2ELNS1_11target_archE906ELNS1_3gpuE6ELNS1_3repE0EEENS1_30default_config_static_selectorELNS0_4arch9wavefront6targetE0EEEvT1_
	.globl	_ZN7rocprim17ROCPRIM_400000_NS6detail17trampoline_kernelINS0_14default_configENS1_27scan_by_key_config_selectorIj11FixedVectorIiLj2EEEEZZNS1_16scan_by_key_implILNS1_25lookback_scan_determinismE0ELb0ES3_N6thrust23THRUST_200600_302600_NS6detail15normal_iteratorINSB_10device_ptrIjEEEENSD_INSE_IS6_EEEESI_S6_NSB_4plusIvEENSB_8equal_toIvEES6_EE10hipError_tPvRmT2_T3_T4_T5_mT6_T7_P12ihipStream_tbENKUlT_T0_E_clISt17integral_constantIbLb0EES13_EEDaSY_SZ_EUlSY_E_NS1_11comp_targetILNS1_3genE2ELNS1_11target_archE906ELNS1_3gpuE6ELNS1_3repE0EEENS1_30default_config_static_selectorELNS0_4arch9wavefront6targetE0EEEvT1_
	.p2align	8
	.type	_ZN7rocprim17ROCPRIM_400000_NS6detail17trampoline_kernelINS0_14default_configENS1_27scan_by_key_config_selectorIj11FixedVectorIiLj2EEEEZZNS1_16scan_by_key_implILNS1_25lookback_scan_determinismE0ELb0ES3_N6thrust23THRUST_200600_302600_NS6detail15normal_iteratorINSB_10device_ptrIjEEEENSD_INSE_IS6_EEEESI_S6_NSB_4plusIvEENSB_8equal_toIvEES6_EE10hipError_tPvRmT2_T3_T4_T5_mT6_T7_P12ihipStream_tbENKUlT_T0_E_clISt17integral_constantIbLb0EES13_EEDaSY_SZ_EUlSY_E_NS1_11comp_targetILNS1_3genE2ELNS1_11target_archE906ELNS1_3gpuE6ELNS1_3repE0EEENS1_30default_config_static_selectorELNS0_4arch9wavefront6targetE0EEEvT1_,@function
_ZN7rocprim17ROCPRIM_400000_NS6detail17trampoline_kernelINS0_14default_configENS1_27scan_by_key_config_selectorIj11FixedVectorIiLj2EEEEZZNS1_16scan_by_key_implILNS1_25lookback_scan_determinismE0ELb0ES3_N6thrust23THRUST_200600_302600_NS6detail15normal_iteratorINSB_10device_ptrIjEEEENSD_INSE_IS6_EEEESI_S6_NSB_4plusIvEENSB_8equal_toIvEES6_EE10hipError_tPvRmT2_T3_T4_T5_mT6_T7_P12ihipStream_tbENKUlT_T0_E_clISt17integral_constantIbLb0EES13_EEDaSY_SZ_EUlSY_E_NS1_11comp_targetILNS1_3genE2ELNS1_11target_archE906ELNS1_3gpuE6ELNS1_3repE0EEENS1_30default_config_static_selectorELNS0_4arch9wavefront6targetE0EEEvT1_: ; @_ZN7rocprim17ROCPRIM_400000_NS6detail17trampoline_kernelINS0_14default_configENS1_27scan_by_key_config_selectorIj11FixedVectorIiLj2EEEEZZNS1_16scan_by_key_implILNS1_25lookback_scan_determinismE0ELb0ES3_N6thrust23THRUST_200600_302600_NS6detail15normal_iteratorINSB_10device_ptrIjEEEENSD_INSE_IS6_EEEESI_S6_NSB_4plusIvEENSB_8equal_toIvEES6_EE10hipError_tPvRmT2_T3_T4_T5_mT6_T7_P12ihipStream_tbENKUlT_T0_E_clISt17integral_constantIbLb0EES13_EEDaSY_SZ_EUlSY_E_NS1_11comp_targetILNS1_3genE2ELNS1_11target_archE906ELNS1_3gpuE6ELNS1_3repE0EEENS1_30default_config_static_selectorELNS0_4arch9wavefront6targetE0EEEvT1_
; %bb.0:
	.section	.rodata,"a",@progbits
	.p2align	6, 0x0
	.amdhsa_kernel _ZN7rocprim17ROCPRIM_400000_NS6detail17trampoline_kernelINS0_14default_configENS1_27scan_by_key_config_selectorIj11FixedVectorIiLj2EEEEZZNS1_16scan_by_key_implILNS1_25lookback_scan_determinismE0ELb0ES3_N6thrust23THRUST_200600_302600_NS6detail15normal_iteratorINSB_10device_ptrIjEEEENSD_INSE_IS6_EEEESI_S6_NSB_4plusIvEENSB_8equal_toIvEES6_EE10hipError_tPvRmT2_T3_T4_T5_mT6_T7_P12ihipStream_tbENKUlT_T0_E_clISt17integral_constantIbLb0EES13_EEDaSY_SZ_EUlSY_E_NS1_11comp_targetILNS1_3genE2ELNS1_11target_archE906ELNS1_3gpuE6ELNS1_3repE0EEENS1_30default_config_static_selectorELNS0_4arch9wavefront6targetE0EEEvT1_
		.amdhsa_group_segment_fixed_size 0
		.amdhsa_private_segment_fixed_size 0
		.amdhsa_kernarg_size 120
		.amdhsa_user_sgpr_count 2
		.amdhsa_user_sgpr_dispatch_ptr 0
		.amdhsa_user_sgpr_queue_ptr 0
		.amdhsa_user_sgpr_kernarg_segment_ptr 1
		.amdhsa_user_sgpr_dispatch_id 0
		.amdhsa_user_sgpr_kernarg_preload_length 0
		.amdhsa_user_sgpr_kernarg_preload_offset 0
		.amdhsa_user_sgpr_private_segment_size 0
		.amdhsa_wavefront_size32 1
		.amdhsa_uses_dynamic_stack 0
		.amdhsa_enable_private_segment 0
		.amdhsa_system_sgpr_workgroup_id_x 1
		.amdhsa_system_sgpr_workgroup_id_y 0
		.amdhsa_system_sgpr_workgroup_id_z 0
		.amdhsa_system_sgpr_workgroup_info 0
		.amdhsa_system_vgpr_workitem_id 0
		.amdhsa_next_free_vgpr 1
		.amdhsa_next_free_sgpr 1
		.amdhsa_named_barrier_count 0
		.amdhsa_reserve_vcc 0
		.amdhsa_float_round_mode_32 0
		.amdhsa_float_round_mode_16_64 0
		.amdhsa_float_denorm_mode_32 3
		.amdhsa_float_denorm_mode_16_64 3
		.amdhsa_fp16_overflow 0
		.amdhsa_memory_ordered 1
		.amdhsa_forward_progress 1
		.amdhsa_inst_pref_size 0
		.amdhsa_round_robin_scheduling 0
		.amdhsa_exception_fp_ieee_invalid_op 0
		.amdhsa_exception_fp_denorm_src 0
		.amdhsa_exception_fp_ieee_div_zero 0
		.amdhsa_exception_fp_ieee_overflow 0
		.amdhsa_exception_fp_ieee_underflow 0
		.amdhsa_exception_fp_ieee_inexact 0
		.amdhsa_exception_int_div_zero 0
	.end_amdhsa_kernel
	.section	.text._ZN7rocprim17ROCPRIM_400000_NS6detail17trampoline_kernelINS0_14default_configENS1_27scan_by_key_config_selectorIj11FixedVectorIiLj2EEEEZZNS1_16scan_by_key_implILNS1_25lookback_scan_determinismE0ELb0ES3_N6thrust23THRUST_200600_302600_NS6detail15normal_iteratorINSB_10device_ptrIjEEEENSD_INSE_IS6_EEEESI_S6_NSB_4plusIvEENSB_8equal_toIvEES6_EE10hipError_tPvRmT2_T3_T4_T5_mT6_T7_P12ihipStream_tbENKUlT_T0_E_clISt17integral_constantIbLb0EES13_EEDaSY_SZ_EUlSY_E_NS1_11comp_targetILNS1_3genE2ELNS1_11target_archE906ELNS1_3gpuE6ELNS1_3repE0EEENS1_30default_config_static_selectorELNS0_4arch9wavefront6targetE0EEEvT1_,"axG",@progbits,_ZN7rocprim17ROCPRIM_400000_NS6detail17trampoline_kernelINS0_14default_configENS1_27scan_by_key_config_selectorIj11FixedVectorIiLj2EEEEZZNS1_16scan_by_key_implILNS1_25lookback_scan_determinismE0ELb0ES3_N6thrust23THRUST_200600_302600_NS6detail15normal_iteratorINSB_10device_ptrIjEEEENSD_INSE_IS6_EEEESI_S6_NSB_4plusIvEENSB_8equal_toIvEES6_EE10hipError_tPvRmT2_T3_T4_T5_mT6_T7_P12ihipStream_tbENKUlT_T0_E_clISt17integral_constantIbLb0EES13_EEDaSY_SZ_EUlSY_E_NS1_11comp_targetILNS1_3genE2ELNS1_11target_archE906ELNS1_3gpuE6ELNS1_3repE0EEENS1_30default_config_static_selectorELNS0_4arch9wavefront6targetE0EEEvT1_,comdat
.Lfunc_end1956:
	.size	_ZN7rocprim17ROCPRIM_400000_NS6detail17trampoline_kernelINS0_14default_configENS1_27scan_by_key_config_selectorIj11FixedVectorIiLj2EEEEZZNS1_16scan_by_key_implILNS1_25lookback_scan_determinismE0ELb0ES3_N6thrust23THRUST_200600_302600_NS6detail15normal_iteratorINSB_10device_ptrIjEEEENSD_INSE_IS6_EEEESI_S6_NSB_4plusIvEENSB_8equal_toIvEES6_EE10hipError_tPvRmT2_T3_T4_T5_mT6_T7_P12ihipStream_tbENKUlT_T0_E_clISt17integral_constantIbLb0EES13_EEDaSY_SZ_EUlSY_E_NS1_11comp_targetILNS1_3genE2ELNS1_11target_archE906ELNS1_3gpuE6ELNS1_3repE0EEENS1_30default_config_static_selectorELNS0_4arch9wavefront6targetE0EEEvT1_, .Lfunc_end1956-_ZN7rocprim17ROCPRIM_400000_NS6detail17trampoline_kernelINS0_14default_configENS1_27scan_by_key_config_selectorIj11FixedVectorIiLj2EEEEZZNS1_16scan_by_key_implILNS1_25lookback_scan_determinismE0ELb0ES3_N6thrust23THRUST_200600_302600_NS6detail15normal_iteratorINSB_10device_ptrIjEEEENSD_INSE_IS6_EEEESI_S6_NSB_4plusIvEENSB_8equal_toIvEES6_EE10hipError_tPvRmT2_T3_T4_T5_mT6_T7_P12ihipStream_tbENKUlT_T0_E_clISt17integral_constantIbLb0EES13_EEDaSY_SZ_EUlSY_E_NS1_11comp_targetILNS1_3genE2ELNS1_11target_archE906ELNS1_3gpuE6ELNS1_3repE0EEENS1_30default_config_static_selectorELNS0_4arch9wavefront6targetE0EEEvT1_
                                        ; -- End function
	.set _ZN7rocprim17ROCPRIM_400000_NS6detail17trampoline_kernelINS0_14default_configENS1_27scan_by_key_config_selectorIj11FixedVectorIiLj2EEEEZZNS1_16scan_by_key_implILNS1_25lookback_scan_determinismE0ELb0ES3_N6thrust23THRUST_200600_302600_NS6detail15normal_iteratorINSB_10device_ptrIjEEEENSD_INSE_IS6_EEEESI_S6_NSB_4plusIvEENSB_8equal_toIvEES6_EE10hipError_tPvRmT2_T3_T4_T5_mT6_T7_P12ihipStream_tbENKUlT_T0_E_clISt17integral_constantIbLb0EES13_EEDaSY_SZ_EUlSY_E_NS1_11comp_targetILNS1_3genE2ELNS1_11target_archE906ELNS1_3gpuE6ELNS1_3repE0EEENS1_30default_config_static_selectorELNS0_4arch9wavefront6targetE0EEEvT1_.num_vgpr, 0
	.set _ZN7rocprim17ROCPRIM_400000_NS6detail17trampoline_kernelINS0_14default_configENS1_27scan_by_key_config_selectorIj11FixedVectorIiLj2EEEEZZNS1_16scan_by_key_implILNS1_25lookback_scan_determinismE0ELb0ES3_N6thrust23THRUST_200600_302600_NS6detail15normal_iteratorINSB_10device_ptrIjEEEENSD_INSE_IS6_EEEESI_S6_NSB_4plusIvEENSB_8equal_toIvEES6_EE10hipError_tPvRmT2_T3_T4_T5_mT6_T7_P12ihipStream_tbENKUlT_T0_E_clISt17integral_constantIbLb0EES13_EEDaSY_SZ_EUlSY_E_NS1_11comp_targetILNS1_3genE2ELNS1_11target_archE906ELNS1_3gpuE6ELNS1_3repE0EEENS1_30default_config_static_selectorELNS0_4arch9wavefront6targetE0EEEvT1_.num_agpr, 0
	.set _ZN7rocprim17ROCPRIM_400000_NS6detail17trampoline_kernelINS0_14default_configENS1_27scan_by_key_config_selectorIj11FixedVectorIiLj2EEEEZZNS1_16scan_by_key_implILNS1_25lookback_scan_determinismE0ELb0ES3_N6thrust23THRUST_200600_302600_NS6detail15normal_iteratorINSB_10device_ptrIjEEEENSD_INSE_IS6_EEEESI_S6_NSB_4plusIvEENSB_8equal_toIvEES6_EE10hipError_tPvRmT2_T3_T4_T5_mT6_T7_P12ihipStream_tbENKUlT_T0_E_clISt17integral_constantIbLb0EES13_EEDaSY_SZ_EUlSY_E_NS1_11comp_targetILNS1_3genE2ELNS1_11target_archE906ELNS1_3gpuE6ELNS1_3repE0EEENS1_30default_config_static_selectorELNS0_4arch9wavefront6targetE0EEEvT1_.numbered_sgpr, 0
	.set _ZN7rocprim17ROCPRIM_400000_NS6detail17trampoline_kernelINS0_14default_configENS1_27scan_by_key_config_selectorIj11FixedVectorIiLj2EEEEZZNS1_16scan_by_key_implILNS1_25lookback_scan_determinismE0ELb0ES3_N6thrust23THRUST_200600_302600_NS6detail15normal_iteratorINSB_10device_ptrIjEEEENSD_INSE_IS6_EEEESI_S6_NSB_4plusIvEENSB_8equal_toIvEES6_EE10hipError_tPvRmT2_T3_T4_T5_mT6_T7_P12ihipStream_tbENKUlT_T0_E_clISt17integral_constantIbLb0EES13_EEDaSY_SZ_EUlSY_E_NS1_11comp_targetILNS1_3genE2ELNS1_11target_archE906ELNS1_3gpuE6ELNS1_3repE0EEENS1_30default_config_static_selectorELNS0_4arch9wavefront6targetE0EEEvT1_.num_named_barrier, 0
	.set _ZN7rocprim17ROCPRIM_400000_NS6detail17trampoline_kernelINS0_14default_configENS1_27scan_by_key_config_selectorIj11FixedVectorIiLj2EEEEZZNS1_16scan_by_key_implILNS1_25lookback_scan_determinismE0ELb0ES3_N6thrust23THRUST_200600_302600_NS6detail15normal_iteratorINSB_10device_ptrIjEEEENSD_INSE_IS6_EEEESI_S6_NSB_4plusIvEENSB_8equal_toIvEES6_EE10hipError_tPvRmT2_T3_T4_T5_mT6_T7_P12ihipStream_tbENKUlT_T0_E_clISt17integral_constantIbLb0EES13_EEDaSY_SZ_EUlSY_E_NS1_11comp_targetILNS1_3genE2ELNS1_11target_archE906ELNS1_3gpuE6ELNS1_3repE0EEENS1_30default_config_static_selectorELNS0_4arch9wavefront6targetE0EEEvT1_.private_seg_size, 0
	.set _ZN7rocprim17ROCPRIM_400000_NS6detail17trampoline_kernelINS0_14default_configENS1_27scan_by_key_config_selectorIj11FixedVectorIiLj2EEEEZZNS1_16scan_by_key_implILNS1_25lookback_scan_determinismE0ELb0ES3_N6thrust23THRUST_200600_302600_NS6detail15normal_iteratorINSB_10device_ptrIjEEEENSD_INSE_IS6_EEEESI_S6_NSB_4plusIvEENSB_8equal_toIvEES6_EE10hipError_tPvRmT2_T3_T4_T5_mT6_T7_P12ihipStream_tbENKUlT_T0_E_clISt17integral_constantIbLb0EES13_EEDaSY_SZ_EUlSY_E_NS1_11comp_targetILNS1_3genE2ELNS1_11target_archE906ELNS1_3gpuE6ELNS1_3repE0EEENS1_30default_config_static_selectorELNS0_4arch9wavefront6targetE0EEEvT1_.uses_vcc, 0
	.set _ZN7rocprim17ROCPRIM_400000_NS6detail17trampoline_kernelINS0_14default_configENS1_27scan_by_key_config_selectorIj11FixedVectorIiLj2EEEEZZNS1_16scan_by_key_implILNS1_25lookback_scan_determinismE0ELb0ES3_N6thrust23THRUST_200600_302600_NS6detail15normal_iteratorINSB_10device_ptrIjEEEENSD_INSE_IS6_EEEESI_S6_NSB_4plusIvEENSB_8equal_toIvEES6_EE10hipError_tPvRmT2_T3_T4_T5_mT6_T7_P12ihipStream_tbENKUlT_T0_E_clISt17integral_constantIbLb0EES13_EEDaSY_SZ_EUlSY_E_NS1_11comp_targetILNS1_3genE2ELNS1_11target_archE906ELNS1_3gpuE6ELNS1_3repE0EEENS1_30default_config_static_selectorELNS0_4arch9wavefront6targetE0EEEvT1_.uses_flat_scratch, 0
	.set _ZN7rocprim17ROCPRIM_400000_NS6detail17trampoline_kernelINS0_14default_configENS1_27scan_by_key_config_selectorIj11FixedVectorIiLj2EEEEZZNS1_16scan_by_key_implILNS1_25lookback_scan_determinismE0ELb0ES3_N6thrust23THRUST_200600_302600_NS6detail15normal_iteratorINSB_10device_ptrIjEEEENSD_INSE_IS6_EEEESI_S6_NSB_4plusIvEENSB_8equal_toIvEES6_EE10hipError_tPvRmT2_T3_T4_T5_mT6_T7_P12ihipStream_tbENKUlT_T0_E_clISt17integral_constantIbLb0EES13_EEDaSY_SZ_EUlSY_E_NS1_11comp_targetILNS1_3genE2ELNS1_11target_archE906ELNS1_3gpuE6ELNS1_3repE0EEENS1_30default_config_static_selectorELNS0_4arch9wavefront6targetE0EEEvT1_.has_dyn_sized_stack, 0
	.set _ZN7rocprim17ROCPRIM_400000_NS6detail17trampoline_kernelINS0_14default_configENS1_27scan_by_key_config_selectorIj11FixedVectorIiLj2EEEEZZNS1_16scan_by_key_implILNS1_25lookback_scan_determinismE0ELb0ES3_N6thrust23THRUST_200600_302600_NS6detail15normal_iteratorINSB_10device_ptrIjEEEENSD_INSE_IS6_EEEESI_S6_NSB_4plusIvEENSB_8equal_toIvEES6_EE10hipError_tPvRmT2_T3_T4_T5_mT6_T7_P12ihipStream_tbENKUlT_T0_E_clISt17integral_constantIbLb0EES13_EEDaSY_SZ_EUlSY_E_NS1_11comp_targetILNS1_3genE2ELNS1_11target_archE906ELNS1_3gpuE6ELNS1_3repE0EEENS1_30default_config_static_selectorELNS0_4arch9wavefront6targetE0EEEvT1_.has_recursion, 0
	.set _ZN7rocprim17ROCPRIM_400000_NS6detail17trampoline_kernelINS0_14default_configENS1_27scan_by_key_config_selectorIj11FixedVectorIiLj2EEEEZZNS1_16scan_by_key_implILNS1_25lookback_scan_determinismE0ELb0ES3_N6thrust23THRUST_200600_302600_NS6detail15normal_iteratorINSB_10device_ptrIjEEEENSD_INSE_IS6_EEEESI_S6_NSB_4plusIvEENSB_8equal_toIvEES6_EE10hipError_tPvRmT2_T3_T4_T5_mT6_T7_P12ihipStream_tbENKUlT_T0_E_clISt17integral_constantIbLb0EES13_EEDaSY_SZ_EUlSY_E_NS1_11comp_targetILNS1_3genE2ELNS1_11target_archE906ELNS1_3gpuE6ELNS1_3repE0EEENS1_30default_config_static_selectorELNS0_4arch9wavefront6targetE0EEEvT1_.has_indirect_call, 0
	.section	.AMDGPU.csdata,"",@progbits
; Kernel info:
; codeLenInByte = 0
; TotalNumSgprs: 0
; NumVgprs: 0
; ScratchSize: 0
; MemoryBound: 0
; FloatMode: 240
; IeeeMode: 1
; LDSByteSize: 0 bytes/workgroup (compile time only)
; SGPRBlocks: 0
; VGPRBlocks: 0
; NumSGPRsForWavesPerEU: 1
; NumVGPRsForWavesPerEU: 1
; NamedBarCnt: 0
; Occupancy: 16
; WaveLimiterHint : 0
; COMPUTE_PGM_RSRC2:SCRATCH_EN: 0
; COMPUTE_PGM_RSRC2:USER_SGPR: 2
; COMPUTE_PGM_RSRC2:TRAP_HANDLER: 0
; COMPUTE_PGM_RSRC2:TGID_X_EN: 1
; COMPUTE_PGM_RSRC2:TGID_Y_EN: 0
; COMPUTE_PGM_RSRC2:TGID_Z_EN: 0
; COMPUTE_PGM_RSRC2:TIDIG_COMP_CNT: 0
	.section	.text._ZN7rocprim17ROCPRIM_400000_NS6detail17trampoline_kernelINS0_14default_configENS1_27scan_by_key_config_selectorIj11FixedVectorIiLj2EEEEZZNS1_16scan_by_key_implILNS1_25lookback_scan_determinismE0ELb0ES3_N6thrust23THRUST_200600_302600_NS6detail15normal_iteratorINSB_10device_ptrIjEEEENSD_INSE_IS6_EEEESI_S6_NSB_4plusIvEENSB_8equal_toIvEES6_EE10hipError_tPvRmT2_T3_T4_T5_mT6_T7_P12ihipStream_tbENKUlT_T0_E_clISt17integral_constantIbLb0EES13_EEDaSY_SZ_EUlSY_E_NS1_11comp_targetILNS1_3genE10ELNS1_11target_archE1200ELNS1_3gpuE4ELNS1_3repE0EEENS1_30default_config_static_selectorELNS0_4arch9wavefront6targetE0EEEvT1_,"axG",@progbits,_ZN7rocprim17ROCPRIM_400000_NS6detail17trampoline_kernelINS0_14default_configENS1_27scan_by_key_config_selectorIj11FixedVectorIiLj2EEEEZZNS1_16scan_by_key_implILNS1_25lookback_scan_determinismE0ELb0ES3_N6thrust23THRUST_200600_302600_NS6detail15normal_iteratorINSB_10device_ptrIjEEEENSD_INSE_IS6_EEEESI_S6_NSB_4plusIvEENSB_8equal_toIvEES6_EE10hipError_tPvRmT2_T3_T4_T5_mT6_T7_P12ihipStream_tbENKUlT_T0_E_clISt17integral_constantIbLb0EES13_EEDaSY_SZ_EUlSY_E_NS1_11comp_targetILNS1_3genE10ELNS1_11target_archE1200ELNS1_3gpuE4ELNS1_3repE0EEENS1_30default_config_static_selectorELNS0_4arch9wavefront6targetE0EEEvT1_,comdat
	.protected	_ZN7rocprim17ROCPRIM_400000_NS6detail17trampoline_kernelINS0_14default_configENS1_27scan_by_key_config_selectorIj11FixedVectorIiLj2EEEEZZNS1_16scan_by_key_implILNS1_25lookback_scan_determinismE0ELb0ES3_N6thrust23THRUST_200600_302600_NS6detail15normal_iteratorINSB_10device_ptrIjEEEENSD_INSE_IS6_EEEESI_S6_NSB_4plusIvEENSB_8equal_toIvEES6_EE10hipError_tPvRmT2_T3_T4_T5_mT6_T7_P12ihipStream_tbENKUlT_T0_E_clISt17integral_constantIbLb0EES13_EEDaSY_SZ_EUlSY_E_NS1_11comp_targetILNS1_3genE10ELNS1_11target_archE1200ELNS1_3gpuE4ELNS1_3repE0EEENS1_30default_config_static_selectorELNS0_4arch9wavefront6targetE0EEEvT1_ ; -- Begin function _ZN7rocprim17ROCPRIM_400000_NS6detail17trampoline_kernelINS0_14default_configENS1_27scan_by_key_config_selectorIj11FixedVectorIiLj2EEEEZZNS1_16scan_by_key_implILNS1_25lookback_scan_determinismE0ELb0ES3_N6thrust23THRUST_200600_302600_NS6detail15normal_iteratorINSB_10device_ptrIjEEEENSD_INSE_IS6_EEEESI_S6_NSB_4plusIvEENSB_8equal_toIvEES6_EE10hipError_tPvRmT2_T3_T4_T5_mT6_T7_P12ihipStream_tbENKUlT_T0_E_clISt17integral_constantIbLb0EES13_EEDaSY_SZ_EUlSY_E_NS1_11comp_targetILNS1_3genE10ELNS1_11target_archE1200ELNS1_3gpuE4ELNS1_3repE0EEENS1_30default_config_static_selectorELNS0_4arch9wavefront6targetE0EEEvT1_
	.globl	_ZN7rocprim17ROCPRIM_400000_NS6detail17trampoline_kernelINS0_14default_configENS1_27scan_by_key_config_selectorIj11FixedVectorIiLj2EEEEZZNS1_16scan_by_key_implILNS1_25lookback_scan_determinismE0ELb0ES3_N6thrust23THRUST_200600_302600_NS6detail15normal_iteratorINSB_10device_ptrIjEEEENSD_INSE_IS6_EEEESI_S6_NSB_4plusIvEENSB_8equal_toIvEES6_EE10hipError_tPvRmT2_T3_T4_T5_mT6_T7_P12ihipStream_tbENKUlT_T0_E_clISt17integral_constantIbLb0EES13_EEDaSY_SZ_EUlSY_E_NS1_11comp_targetILNS1_3genE10ELNS1_11target_archE1200ELNS1_3gpuE4ELNS1_3repE0EEENS1_30default_config_static_selectorELNS0_4arch9wavefront6targetE0EEEvT1_
	.p2align	8
	.type	_ZN7rocprim17ROCPRIM_400000_NS6detail17trampoline_kernelINS0_14default_configENS1_27scan_by_key_config_selectorIj11FixedVectorIiLj2EEEEZZNS1_16scan_by_key_implILNS1_25lookback_scan_determinismE0ELb0ES3_N6thrust23THRUST_200600_302600_NS6detail15normal_iteratorINSB_10device_ptrIjEEEENSD_INSE_IS6_EEEESI_S6_NSB_4plusIvEENSB_8equal_toIvEES6_EE10hipError_tPvRmT2_T3_T4_T5_mT6_T7_P12ihipStream_tbENKUlT_T0_E_clISt17integral_constantIbLb0EES13_EEDaSY_SZ_EUlSY_E_NS1_11comp_targetILNS1_3genE10ELNS1_11target_archE1200ELNS1_3gpuE4ELNS1_3repE0EEENS1_30default_config_static_selectorELNS0_4arch9wavefront6targetE0EEEvT1_,@function
_ZN7rocprim17ROCPRIM_400000_NS6detail17trampoline_kernelINS0_14default_configENS1_27scan_by_key_config_selectorIj11FixedVectorIiLj2EEEEZZNS1_16scan_by_key_implILNS1_25lookback_scan_determinismE0ELb0ES3_N6thrust23THRUST_200600_302600_NS6detail15normal_iteratorINSB_10device_ptrIjEEEENSD_INSE_IS6_EEEESI_S6_NSB_4plusIvEENSB_8equal_toIvEES6_EE10hipError_tPvRmT2_T3_T4_T5_mT6_T7_P12ihipStream_tbENKUlT_T0_E_clISt17integral_constantIbLb0EES13_EEDaSY_SZ_EUlSY_E_NS1_11comp_targetILNS1_3genE10ELNS1_11target_archE1200ELNS1_3gpuE4ELNS1_3repE0EEENS1_30default_config_static_selectorELNS0_4arch9wavefront6targetE0EEEvT1_: ; @_ZN7rocprim17ROCPRIM_400000_NS6detail17trampoline_kernelINS0_14default_configENS1_27scan_by_key_config_selectorIj11FixedVectorIiLj2EEEEZZNS1_16scan_by_key_implILNS1_25lookback_scan_determinismE0ELb0ES3_N6thrust23THRUST_200600_302600_NS6detail15normal_iteratorINSB_10device_ptrIjEEEENSD_INSE_IS6_EEEESI_S6_NSB_4plusIvEENSB_8equal_toIvEES6_EE10hipError_tPvRmT2_T3_T4_T5_mT6_T7_P12ihipStream_tbENKUlT_T0_E_clISt17integral_constantIbLb0EES13_EEDaSY_SZ_EUlSY_E_NS1_11comp_targetILNS1_3genE10ELNS1_11target_archE1200ELNS1_3gpuE4ELNS1_3repE0EEENS1_30default_config_static_selectorELNS0_4arch9wavefront6targetE0EEEvT1_
; %bb.0:
	.section	.rodata,"a",@progbits
	.p2align	6, 0x0
	.amdhsa_kernel _ZN7rocprim17ROCPRIM_400000_NS6detail17trampoline_kernelINS0_14default_configENS1_27scan_by_key_config_selectorIj11FixedVectorIiLj2EEEEZZNS1_16scan_by_key_implILNS1_25lookback_scan_determinismE0ELb0ES3_N6thrust23THRUST_200600_302600_NS6detail15normal_iteratorINSB_10device_ptrIjEEEENSD_INSE_IS6_EEEESI_S6_NSB_4plusIvEENSB_8equal_toIvEES6_EE10hipError_tPvRmT2_T3_T4_T5_mT6_T7_P12ihipStream_tbENKUlT_T0_E_clISt17integral_constantIbLb0EES13_EEDaSY_SZ_EUlSY_E_NS1_11comp_targetILNS1_3genE10ELNS1_11target_archE1200ELNS1_3gpuE4ELNS1_3repE0EEENS1_30default_config_static_selectorELNS0_4arch9wavefront6targetE0EEEvT1_
		.amdhsa_group_segment_fixed_size 0
		.amdhsa_private_segment_fixed_size 0
		.amdhsa_kernarg_size 120
		.amdhsa_user_sgpr_count 2
		.amdhsa_user_sgpr_dispatch_ptr 0
		.amdhsa_user_sgpr_queue_ptr 0
		.amdhsa_user_sgpr_kernarg_segment_ptr 1
		.amdhsa_user_sgpr_dispatch_id 0
		.amdhsa_user_sgpr_kernarg_preload_length 0
		.amdhsa_user_sgpr_kernarg_preload_offset 0
		.amdhsa_user_sgpr_private_segment_size 0
		.amdhsa_wavefront_size32 1
		.amdhsa_uses_dynamic_stack 0
		.amdhsa_enable_private_segment 0
		.amdhsa_system_sgpr_workgroup_id_x 1
		.amdhsa_system_sgpr_workgroup_id_y 0
		.amdhsa_system_sgpr_workgroup_id_z 0
		.amdhsa_system_sgpr_workgroup_info 0
		.amdhsa_system_vgpr_workitem_id 0
		.amdhsa_next_free_vgpr 1
		.amdhsa_next_free_sgpr 1
		.amdhsa_named_barrier_count 0
		.amdhsa_reserve_vcc 0
		.amdhsa_float_round_mode_32 0
		.amdhsa_float_round_mode_16_64 0
		.amdhsa_float_denorm_mode_32 3
		.amdhsa_float_denorm_mode_16_64 3
		.amdhsa_fp16_overflow 0
		.amdhsa_memory_ordered 1
		.amdhsa_forward_progress 1
		.amdhsa_inst_pref_size 0
		.amdhsa_round_robin_scheduling 0
		.amdhsa_exception_fp_ieee_invalid_op 0
		.amdhsa_exception_fp_denorm_src 0
		.amdhsa_exception_fp_ieee_div_zero 0
		.amdhsa_exception_fp_ieee_overflow 0
		.amdhsa_exception_fp_ieee_underflow 0
		.amdhsa_exception_fp_ieee_inexact 0
		.amdhsa_exception_int_div_zero 0
	.end_amdhsa_kernel
	.section	.text._ZN7rocprim17ROCPRIM_400000_NS6detail17trampoline_kernelINS0_14default_configENS1_27scan_by_key_config_selectorIj11FixedVectorIiLj2EEEEZZNS1_16scan_by_key_implILNS1_25lookback_scan_determinismE0ELb0ES3_N6thrust23THRUST_200600_302600_NS6detail15normal_iteratorINSB_10device_ptrIjEEEENSD_INSE_IS6_EEEESI_S6_NSB_4plusIvEENSB_8equal_toIvEES6_EE10hipError_tPvRmT2_T3_T4_T5_mT6_T7_P12ihipStream_tbENKUlT_T0_E_clISt17integral_constantIbLb0EES13_EEDaSY_SZ_EUlSY_E_NS1_11comp_targetILNS1_3genE10ELNS1_11target_archE1200ELNS1_3gpuE4ELNS1_3repE0EEENS1_30default_config_static_selectorELNS0_4arch9wavefront6targetE0EEEvT1_,"axG",@progbits,_ZN7rocprim17ROCPRIM_400000_NS6detail17trampoline_kernelINS0_14default_configENS1_27scan_by_key_config_selectorIj11FixedVectorIiLj2EEEEZZNS1_16scan_by_key_implILNS1_25lookback_scan_determinismE0ELb0ES3_N6thrust23THRUST_200600_302600_NS6detail15normal_iteratorINSB_10device_ptrIjEEEENSD_INSE_IS6_EEEESI_S6_NSB_4plusIvEENSB_8equal_toIvEES6_EE10hipError_tPvRmT2_T3_T4_T5_mT6_T7_P12ihipStream_tbENKUlT_T0_E_clISt17integral_constantIbLb0EES13_EEDaSY_SZ_EUlSY_E_NS1_11comp_targetILNS1_3genE10ELNS1_11target_archE1200ELNS1_3gpuE4ELNS1_3repE0EEENS1_30default_config_static_selectorELNS0_4arch9wavefront6targetE0EEEvT1_,comdat
.Lfunc_end1957:
	.size	_ZN7rocprim17ROCPRIM_400000_NS6detail17trampoline_kernelINS0_14default_configENS1_27scan_by_key_config_selectorIj11FixedVectorIiLj2EEEEZZNS1_16scan_by_key_implILNS1_25lookback_scan_determinismE0ELb0ES3_N6thrust23THRUST_200600_302600_NS6detail15normal_iteratorINSB_10device_ptrIjEEEENSD_INSE_IS6_EEEESI_S6_NSB_4plusIvEENSB_8equal_toIvEES6_EE10hipError_tPvRmT2_T3_T4_T5_mT6_T7_P12ihipStream_tbENKUlT_T0_E_clISt17integral_constantIbLb0EES13_EEDaSY_SZ_EUlSY_E_NS1_11comp_targetILNS1_3genE10ELNS1_11target_archE1200ELNS1_3gpuE4ELNS1_3repE0EEENS1_30default_config_static_selectorELNS0_4arch9wavefront6targetE0EEEvT1_, .Lfunc_end1957-_ZN7rocprim17ROCPRIM_400000_NS6detail17trampoline_kernelINS0_14default_configENS1_27scan_by_key_config_selectorIj11FixedVectorIiLj2EEEEZZNS1_16scan_by_key_implILNS1_25lookback_scan_determinismE0ELb0ES3_N6thrust23THRUST_200600_302600_NS6detail15normal_iteratorINSB_10device_ptrIjEEEENSD_INSE_IS6_EEEESI_S6_NSB_4plusIvEENSB_8equal_toIvEES6_EE10hipError_tPvRmT2_T3_T4_T5_mT6_T7_P12ihipStream_tbENKUlT_T0_E_clISt17integral_constantIbLb0EES13_EEDaSY_SZ_EUlSY_E_NS1_11comp_targetILNS1_3genE10ELNS1_11target_archE1200ELNS1_3gpuE4ELNS1_3repE0EEENS1_30default_config_static_selectorELNS0_4arch9wavefront6targetE0EEEvT1_
                                        ; -- End function
	.set _ZN7rocprim17ROCPRIM_400000_NS6detail17trampoline_kernelINS0_14default_configENS1_27scan_by_key_config_selectorIj11FixedVectorIiLj2EEEEZZNS1_16scan_by_key_implILNS1_25lookback_scan_determinismE0ELb0ES3_N6thrust23THRUST_200600_302600_NS6detail15normal_iteratorINSB_10device_ptrIjEEEENSD_INSE_IS6_EEEESI_S6_NSB_4plusIvEENSB_8equal_toIvEES6_EE10hipError_tPvRmT2_T3_T4_T5_mT6_T7_P12ihipStream_tbENKUlT_T0_E_clISt17integral_constantIbLb0EES13_EEDaSY_SZ_EUlSY_E_NS1_11comp_targetILNS1_3genE10ELNS1_11target_archE1200ELNS1_3gpuE4ELNS1_3repE0EEENS1_30default_config_static_selectorELNS0_4arch9wavefront6targetE0EEEvT1_.num_vgpr, 0
	.set _ZN7rocprim17ROCPRIM_400000_NS6detail17trampoline_kernelINS0_14default_configENS1_27scan_by_key_config_selectorIj11FixedVectorIiLj2EEEEZZNS1_16scan_by_key_implILNS1_25lookback_scan_determinismE0ELb0ES3_N6thrust23THRUST_200600_302600_NS6detail15normal_iteratorINSB_10device_ptrIjEEEENSD_INSE_IS6_EEEESI_S6_NSB_4plusIvEENSB_8equal_toIvEES6_EE10hipError_tPvRmT2_T3_T4_T5_mT6_T7_P12ihipStream_tbENKUlT_T0_E_clISt17integral_constantIbLb0EES13_EEDaSY_SZ_EUlSY_E_NS1_11comp_targetILNS1_3genE10ELNS1_11target_archE1200ELNS1_3gpuE4ELNS1_3repE0EEENS1_30default_config_static_selectorELNS0_4arch9wavefront6targetE0EEEvT1_.num_agpr, 0
	.set _ZN7rocprim17ROCPRIM_400000_NS6detail17trampoline_kernelINS0_14default_configENS1_27scan_by_key_config_selectorIj11FixedVectorIiLj2EEEEZZNS1_16scan_by_key_implILNS1_25lookback_scan_determinismE0ELb0ES3_N6thrust23THRUST_200600_302600_NS6detail15normal_iteratorINSB_10device_ptrIjEEEENSD_INSE_IS6_EEEESI_S6_NSB_4plusIvEENSB_8equal_toIvEES6_EE10hipError_tPvRmT2_T3_T4_T5_mT6_T7_P12ihipStream_tbENKUlT_T0_E_clISt17integral_constantIbLb0EES13_EEDaSY_SZ_EUlSY_E_NS1_11comp_targetILNS1_3genE10ELNS1_11target_archE1200ELNS1_3gpuE4ELNS1_3repE0EEENS1_30default_config_static_selectorELNS0_4arch9wavefront6targetE0EEEvT1_.numbered_sgpr, 0
	.set _ZN7rocprim17ROCPRIM_400000_NS6detail17trampoline_kernelINS0_14default_configENS1_27scan_by_key_config_selectorIj11FixedVectorIiLj2EEEEZZNS1_16scan_by_key_implILNS1_25lookback_scan_determinismE0ELb0ES3_N6thrust23THRUST_200600_302600_NS6detail15normal_iteratorINSB_10device_ptrIjEEEENSD_INSE_IS6_EEEESI_S6_NSB_4plusIvEENSB_8equal_toIvEES6_EE10hipError_tPvRmT2_T3_T4_T5_mT6_T7_P12ihipStream_tbENKUlT_T0_E_clISt17integral_constantIbLb0EES13_EEDaSY_SZ_EUlSY_E_NS1_11comp_targetILNS1_3genE10ELNS1_11target_archE1200ELNS1_3gpuE4ELNS1_3repE0EEENS1_30default_config_static_selectorELNS0_4arch9wavefront6targetE0EEEvT1_.num_named_barrier, 0
	.set _ZN7rocprim17ROCPRIM_400000_NS6detail17trampoline_kernelINS0_14default_configENS1_27scan_by_key_config_selectorIj11FixedVectorIiLj2EEEEZZNS1_16scan_by_key_implILNS1_25lookback_scan_determinismE0ELb0ES3_N6thrust23THRUST_200600_302600_NS6detail15normal_iteratorINSB_10device_ptrIjEEEENSD_INSE_IS6_EEEESI_S6_NSB_4plusIvEENSB_8equal_toIvEES6_EE10hipError_tPvRmT2_T3_T4_T5_mT6_T7_P12ihipStream_tbENKUlT_T0_E_clISt17integral_constantIbLb0EES13_EEDaSY_SZ_EUlSY_E_NS1_11comp_targetILNS1_3genE10ELNS1_11target_archE1200ELNS1_3gpuE4ELNS1_3repE0EEENS1_30default_config_static_selectorELNS0_4arch9wavefront6targetE0EEEvT1_.private_seg_size, 0
	.set _ZN7rocprim17ROCPRIM_400000_NS6detail17trampoline_kernelINS0_14default_configENS1_27scan_by_key_config_selectorIj11FixedVectorIiLj2EEEEZZNS1_16scan_by_key_implILNS1_25lookback_scan_determinismE0ELb0ES3_N6thrust23THRUST_200600_302600_NS6detail15normal_iteratorINSB_10device_ptrIjEEEENSD_INSE_IS6_EEEESI_S6_NSB_4plusIvEENSB_8equal_toIvEES6_EE10hipError_tPvRmT2_T3_T4_T5_mT6_T7_P12ihipStream_tbENKUlT_T0_E_clISt17integral_constantIbLb0EES13_EEDaSY_SZ_EUlSY_E_NS1_11comp_targetILNS1_3genE10ELNS1_11target_archE1200ELNS1_3gpuE4ELNS1_3repE0EEENS1_30default_config_static_selectorELNS0_4arch9wavefront6targetE0EEEvT1_.uses_vcc, 0
	.set _ZN7rocprim17ROCPRIM_400000_NS6detail17trampoline_kernelINS0_14default_configENS1_27scan_by_key_config_selectorIj11FixedVectorIiLj2EEEEZZNS1_16scan_by_key_implILNS1_25lookback_scan_determinismE0ELb0ES3_N6thrust23THRUST_200600_302600_NS6detail15normal_iteratorINSB_10device_ptrIjEEEENSD_INSE_IS6_EEEESI_S6_NSB_4plusIvEENSB_8equal_toIvEES6_EE10hipError_tPvRmT2_T3_T4_T5_mT6_T7_P12ihipStream_tbENKUlT_T0_E_clISt17integral_constantIbLb0EES13_EEDaSY_SZ_EUlSY_E_NS1_11comp_targetILNS1_3genE10ELNS1_11target_archE1200ELNS1_3gpuE4ELNS1_3repE0EEENS1_30default_config_static_selectorELNS0_4arch9wavefront6targetE0EEEvT1_.uses_flat_scratch, 0
	.set _ZN7rocprim17ROCPRIM_400000_NS6detail17trampoline_kernelINS0_14default_configENS1_27scan_by_key_config_selectorIj11FixedVectorIiLj2EEEEZZNS1_16scan_by_key_implILNS1_25lookback_scan_determinismE0ELb0ES3_N6thrust23THRUST_200600_302600_NS6detail15normal_iteratorINSB_10device_ptrIjEEEENSD_INSE_IS6_EEEESI_S6_NSB_4plusIvEENSB_8equal_toIvEES6_EE10hipError_tPvRmT2_T3_T4_T5_mT6_T7_P12ihipStream_tbENKUlT_T0_E_clISt17integral_constantIbLb0EES13_EEDaSY_SZ_EUlSY_E_NS1_11comp_targetILNS1_3genE10ELNS1_11target_archE1200ELNS1_3gpuE4ELNS1_3repE0EEENS1_30default_config_static_selectorELNS0_4arch9wavefront6targetE0EEEvT1_.has_dyn_sized_stack, 0
	.set _ZN7rocprim17ROCPRIM_400000_NS6detail17trampoline_kernelINS0_14default_configENS1_27scan_by_key_config_selectorIj11FixedVectorIiLj2EEEEZZNS1_16scan_by_key_implILNS1_25lookback_scan_determinismE0ELb0ES3_N6thrust23THRUST_200600_302600_NS6detail15normal_iteratorINSB_10device_ptrIjEEEENSD_INSE_IS6_EEEESI_S6_NSB_4plusIvEENSB_8equal_toIvEES6_EE10hipError_tPvRmT2_T3_T4_T5_mT6_T7_P12ihipStream_tbENKUlT_T0_E_clISt17integral_constantIbLb0EES13_EEDaSY_SZ_EUlSY_E_NS1_11comp_targetILNS1_3genE10ELNS1_11target_archE1200ELNS1_3gpuE4ELNS1_3repE0EEENS1_30default_config_static_selectorELNS0_4arch9wavefront6targetE0EEEvT1_.has_recursion, 0
	.set _ZN7rocprim17ROCPRIM_400000_NS6detail17trampoline_kernelINS0_14default_configENS1_27scan_by_key_config_selectorIj11FixedVectorIiLj2EEEEZZNS1_16scan_by_key_implILNS1_25lookback_scan_determinismE0ELb0ES3_N6thrust23THRUST_200600_302600_NS6detail15normal_iteratorINSB_10device_ptrIjEEEENSD_INSE_IS6_EEEESI_S6_NSB_4plusIvEENSB_8equal_toIvEES6_EE10hipError_tPvRmT2_T3_T4_T5_mT6_T7_P12ihipStream_tbENKUlT_T0_E_clISt17integral_constantIbLb0EES13_EEDaSY_SZ_EUlSY_E_NS1_11comp_targetILNS1_3genE10ELNS1_11target_archE1200ELNS1_3gpuE4ELNS1_3repE0EEENS1_30default_config_static_selectorELNS0_4arch9wavefront6targetE0EEEvT1_.has_indirect_call, 0
	.section	.AMDGPU.csdata,"",@progbits
; Kernel info:
; codeLenInByte = 0
; TotalNumSgprs: 0
; NumVgprs: 0
; ScratchSize: 0
; MemoryBound: 0
; FloatMode: 240
; IeeeMode: 1
; LDSByteSize: 0 bytes/workgroup (compile time only)
; SGPRBlocks: 0
; VGPRBlocks: 0
; NumSGPRsForWavesPerEU: 1
; NumVGPRsForWavesPerEU: 1
; NamedBarCnt: 0
; Occupancy: 16
; WaveLimiterHint : 0
; COMPUTE_PGM_RSRC2:SCRATCH_EN: 0
; COMPUTE_PGM_RSRC2:USER_SGPR: 2
; COMPUTE_PGM_RSRC2:TRAP_HANDLER: 0
; COMPUTE_PGM_RSRC2:TGID_X_EN: 1
; COMPUTE_PGM_RSRC2:TGID_Y_EN: 0
; COMPUTE_PGM_RSRC2:TGID_Z_EN: 0
; COMPUTE_PGM_RSRC2:TIDIG_COMP_CNT: 0
	.section	.text._ZN7rocprim17ROCPRIM_400000_NS6detail17trampoline_kernelINS0_14default_configENS1_27scan_by_key_config_selectorIj11FixedVectorIiLj2EEEEZZNS1_16scan_by_key_implILNS1_25lookback_scan_determinismE0ELb0ES3_N6thrust23THRUST_200600_302600_NS6detail15normal_iteratorINSB_10device_ptrIjEEEENSD_INSE_IS6_EEEESI_S6_NSB_4plusIvEENSB_8equal_toIvEES6_EE10hipError_tPvRmT2_T3_T4_T5_mT6_T7_P12ihipStream_tbENKUlT_T0_E_clISt17integral_constantIbLb0EES13_EEDaSY_SZ_EUlSY_E_NS1_11comp_targetILNS1_3genE9ELNS1_11target_archE1100ELNS1_3gpuE3ELNS1_3repE0EEENS1_30default_config_static_selectorELNS0_4arch9wavefront6targetE0EEEvT1_,"axG",@progbits,_ZN7rocprim17ROCPRIM_400000_NS6detail17trampoline_kernelINS0_14default_configENS1_27scan_by_key_config_selectorIj11FixedVectorIiLj2EEEEZZNS1_16scan_by_key_implILNS1_25lookback_scan_determinismE0ELb0ES3_N6thrust23THRUST_200600_302600_NS6detail15normal_iteratorINSB_10device_ptrIjEEEENSD_INSE_IS6_EEEESI_S6_NSB_4plusIvEENSB_8equal_toIvEES6_EE10hipError_tPvRmT2_T3_T4_T5_mT6_T7_P12ihipStream_tbENKUlT_T0_E_clISt17integral_constantIbLb0EES13_EEDaSY_SZ_EUlSY_E_NS1_11comp_targetILNS1_3genE9ELNS1_11target_archE1100ELNS1_3gpuE3ELNS1_3repE0EEENS1_30default_config_static_selectorELNS0_4arch9wavefront6targetE0EEEvT1_,comdat
	.protected	_ZN7rocprim17ROCPRIM_400000_NS6detail17trampoline_kernelINS0_14default_configENS1_27scan_by_key_config_selectorIj11FixedVectorIiLj2EEEEZZNS1_16scan_by_key_implILNS1_25lookback_scan_determinismE0ELb0ES3_N6thrust23THRUST_200600_302600_NS6detail15normal_iteratorINSB_10device_ptrIjEEEENSD_INSE_IS6_EEEESI_S6_NSB_4plusIvEENSB_8equal_toIvEES6_EE10hipError_tPvRmT2_T3_T4_T5_mT6_T7_P12ihipStream_tbENKUlT_T0_E_clISt17integral_constantIbLb0EES13_EEDaSY_SZ_EUlSY_E_NS1_11comp_targetILNS1_3genE9ELNS1_11target_archE1100ELNS1_3gpuE3ELNS1_3repE0EEENS1_30default_config_static_selectorELNS0_4arch9wavefront6targetE0EEEvT1_ ; -- Begin function _ZN7rocprim17ROCPRIM_400000_NS6detail17trampoline_kernelINS0_14default_configENS1_27scan_by_key_config_selectorIj11FixedVectorIiLj2EEEEZZNS1_16scan_by_key_implILNS1_25lookback_scan_determinismE0ELb0ES3_N6thrust23THRUST_200600_302600_NS6detail15normal_iteratorINSB_10device_ptrIjEEEENSD_INSE_IS6_EEEESI_S6_NSB_4plusIvEENSB_8equal_toIvEES6_EE10hipError_tPvRmT2_T3_T4_T5_mT6_T7_P12ihipStream_tbENKUlT_T0_E_clISt17integral_constantIbLb0EES13_EEDaSY_SZ_EUlSY_E_NS1_11comp_targetILNS1_3genE9ELNS1_11target_archE1100ELNS1_3gpuE3ELNS1_3repE0EEENS1_30default_config_static_selectorELNS0_4arch9wavefront6targetE0EEEvT1_
	.globl	_ZN7rocprim17ROCPRIM_400000_NS6detail17trampoline_kernelINS0_14default_configENS1_27scan_by_key_config_selectorIj11FixedVectorIiLj2EEEEZZNS1_16scan_by_key_implILNS1_25lookback_scan_determinismE0ELb0ES3_N6thrust23THRUST_200600_302600_NS6detail15normal_iteratorINSB_10device_ptrIjEEEENSD_INSE_IS6_EEEESI_S6_NSB_4plusIvEENSB_8equal_toIvEES6_EE10hipError_tPvRmT2_T3_T4_T5_mT6_T7_P12ihipStream_tbENKUlT_T0_E_clISt17integral_constantIbLb0EES13_EEDaSY_SZ_EUlSY_E_NS1_11comp_targetILNS1_3genE9ELNS1_11target_archE1100ELNS1_3gpuE3ELNS1_3repE0EEENS1_30default_config_static_selectorELNS0_4arch9wavefront6targetE0EEEvT1_
	.p2align	8
	.type	_ZN7rocprim17ROCPRIM_400000_NS6detail17trampoline_kernelINS0_14default_configENS1_27scan_by_key_config_selectorIj11FixedVectorIiLj2EEEEZZNS1_16scan_by_key_implILNS1_25lookback_scan_determinismE0ELb0ES3_N6thrust23THRUST_200600_302600_NS6detail15normal_iteratorINSB_10device_ptrIjEEEENSD_INSE_IS6_EEEESI_S6_NSB_4plusIvEENSB_8equal_toIvEES6_EE10hipError_tPvRmT2_T3_T4_T5_mT6_T7_P12ihipStream_tbENKUlT_T0_E_clISt17integral_constantIbLb0EES13_EEDaSY_SZ_EUlSY_E_NS1_11comp_targetILNS1_3genE9ELNS1_11target_archE1100ELNS1_3gpuE3ELNS1_3repE0EEENS1_30default_config_static_selectorELNS0_4arch9wavefront6targetE0EEEvT1_,@function
_ZN7rocprim17ROCPRIM_400000_NS6detail17trampoline_kernelINS0_14default_configENS1_27scan_by_key_config_selectorIj11FixedVectorIiLj2EEEEZZNS1_16scan_by_key_implILNS1_25lookback_scan_determinismE0ELb0ES3_N6thrust23THRUST_200600_302600_NS6detail15normal_iteratorINSB_10device_ptrIjEEEENSD_INSE_IS6_EEEESI_S6_NSB_4plusIvEENSB_8equal_toIvEES6_EE10hipError_tPvRmT2_T3_T4_T5_mT6_T7_P12ihipStream_tbENKUlT_T0_E_clISt17integral_constantIbLb0EES13_EEDaSY_SZ_EUlSY_E_NS1_11comp_targetILNS1_3genE9ELNS1_11target_archE1100ELNS1_3gpuE3ELNS1_3repE0EEENS1_30default_config_static_selectorELNS0_4arch9wavefront6targetE0EEEvT1_: ; @_ZN7rocprim17ROCPRIM_400000_NS6detail17trampoline_kernelINS0_14default_configENS1_27scan_by_key_config_selectorIj11FixedVectorIiLj2EEEEZZNS1_16scan_by_key_implILNS1_25lookback_scan_determinismE0ELb0ES3_N6thrust23THRUST_200600_302600_NS6detail15normal_iteratorINSB_10device_ptrIjEEEENSD_INSE_IS6_EEEESI_S6_NSB_4plusIvEENSB_8equal_toIvEES6_EE10hipError_tPvRmT2_T3_T4_T5_mT6_T7_P12ihipStream_tbENKUlT_T0_E_clISt17integral_constantIbLb0EES13_EEDaSY_SZ_EUlSY_E_NS1_11comp_targetILNS1_3genE9ELNS1_11target_archE1100ELNS1_3gpuE3ELNS1_3repE0EEENS1_30default_config_static_selectorELNS0_4arch9wavefront6targetE0EEEvT1_
; %bb.0:
	.section	.rodata,"a",@progbits
	.p2align	6, 0x0
	.amdhsa_kernel _ZN7rocprim17ROCPRIM_400000_NS6detail17trampoline_kernelINS0_14default_configENS1_27scan_by_key_config_selectorIj11FixedVectorIiLj2EEEEZZNS1_16scan_by_key_implILNS1_25lookback_scan_determinismE0ELb0ES3_N6thrust23THRUST_200600_302600_NS6detail15normal_iteratorINSB_10device_ptrIjEEEENSD_INSE_IS6_EEEESI_S6_NSB_4plusIvEENSB_8equal_toIvEES6_EE10hipError_tPvRmT2_T3_T4_T5_mT6_T7_P12ihipStream_tbENKUlT_T0_E_clISt17integral_constantIbLb0EES13_EEDaSY_SZ_EUlSY_E_NS1_11comp_targetILNS1_3genE9ELNS1_11target_archE1100ELNS1_3gpuE3ELNS1_3repE0EEENS1_30default_config_static_selectorELNS0_4arch9wavefront6targetE0EEEvT1_
		.amdhsa_group_segment_fixed_size 0
		.amdhsa_private_segment_fixed_size 0
		.amdhsa_kernarg_size 120
		.amdhsa_user_sgpr_count 2
		.amdhsa_user_sgpr_dispatch_ptr 0
		.amdhsa_user_sgpr_queue_ptr 0
		.amdhsa_user_sgpr_kernarg_segment_ptr 1
		.amdhsa_user_sgpr_dispatch_id 0
		.amdhsa_user_sgpr_kernarg_preload_length 0
		.amdhsa_user_sgpr_kernarg_preload_offset 0
		.amdhsa_user_sgpr_private_segment_size 0
		.amdhsa_wavefront_size32 1
		.amdhsa_uses_dynamic_stack 0
		.amdhsa_enable_private_segment 0
		.amdhsa_system_sgpr_workgroup_id_x 1
		.amdhsa_system_sgpr_workgroup_id_y 0
		.amdhsa_system_sgpr_workgroup_id_z 0
		.amdhsa_system_sgpr_workgroup_info 0
		.amdhsa_system_vgpr_workitem_id 0
		.amdhsa_next_free_vgpr 1
		.amdhsa_next_free_sgpr 1
		.amdhsa_named_barrier_count 0
		.amdhsa_reserve_vcc 0
		.amdhsa_float_round_mode_32 0
		.amdhsa_float_round_mode_16_64 0
		.amdhsa_float_denorm_mode_32 3
		.amdhsa_float_denorm_mode_16_64 3
		.amdhsa_fp16_overflow 0
		.amdhsa_memory_ordered 1
		.amdhsa_forward_progress 1
		.amdhsa_inst_pref_size 0
		.amdhsa_round_robin_scheduling 0
		.amdhsa_exception_fp_ieee_invalid_op 0
		.amdhsa_exception_fp_denorm_src 0
		.amdhsa_exception_fp_ieee_div_zero 0
		.amdhsa_exception_fp_ieee_overflow 0
		.amdhsa_exception_fp_ieee_underflow 0
		.amdhsa_exception_fp_ieee_inexact 0
		.amdhsa_exception_int_div_zero 0
	.end_amdhsa_kernel
	.section	.text._ZN7rocprim17ROCPRIM_400000_NS6detail17trampoline_kernelINS0_14default_configENS1_27scan_by_key_config_selectorIj11FixedVectorIiLj2EEEEZZNS1_16scan_by_key_implILNS1_25lookback_scan_determinismE0ELb0ES3_N6thrust23THRUST_200600_302600_NS6detail15normal_iteratorINSB_10device_ptrIjEEEENSD_INSE_IS6_EEEESI_S6_NSB_4plusIvEENSB_8equal_toIvEES6_EE10hipError_tPvRmT2_T3_T4_T5_mT6_T7_P12ihipStream_tbENKUlT_T0_E_clISt17integral_constantIbLb0EES13_EEDaSY_SZ_EUlSY_E_NS1_11comp_targetILNS1_3genE9ELNS1_11target_archE1100ELNS1_3gpuE3ELNS1_3repE0EEENS1_30default_config_static_selectorELNS0_4arch9wavefront6targetE0EEEvT1_,"axG",@progbits,_ZN7rocprim17ROCPRIM_400000_NS6detail17trampoline_kernelINS0_14default_configENS1_27scan_by_key_config_selectorIj11FixedVectorIiLj2EEEEZZNS1_16scan_by_key_implILNS1_25lookback_scan_determinismE0ELb0ES3_N6thrust23THRUST_200600_302600_NS6detail15normal_iteratorINSB_10device_ptrIjEEEENSD_INSE_IS6_EEEESI_S6_NSB_4plusIvEENSB_8equal_toIvEES6_EE10hipError_tPvRmT2_T3_T4_T5_mT6_T7_P12ihipStream_tbENKUlT_T0_E_clISt17integral_constantIbLb0EES13_EEDaSY_SZ_EUlSY_E_NS1_11comp_targetILNS1_3genE9ELNS1_11target_archE1100ELNS1_3gpuE3ELNS1_3repE0EEENS1_30default_config_static_selectorELNS0_4arch9wavefront6targetE0EEEvT1_,comdat
.Lfunc_end1958:
	.size	_ZN7rocprim17ROCPRIM_400000_NS6detail17trampoline_kernelINS0_14default_configENS1_27scan_by_key_config_selectorIj11FixedVectorIiLj2EEEEZZNS1_16scan_by_key_implILNS1_25lookback_scan_determinismE0ELb0ES3_N6thrust23THRUST_200600_302600_NS6detail15normal_iteratorINSB_10device_ptrIjEEEENSD_INSE_IS6_EEEESI_S6_NSB_4plusIvEENSB_8equal_toIvEES6_EE10hipError_tPvRmT2_T3_T4_T5_mT6_T7_P12ihipStream_tbENKUlT_T0_E_clISt17integral_constantIbLb0EES13_EEDaSY_SZ_EUlSY_E_NS1_11comp_targetILNS1_3genE9ELNS1_11target_archE1100ELNS1_3gpuE3ELNS1_3repE0EEENS1_30default_config_static_selectorELNS0_4arch9wavefront6targetE0EEEvT1_, .Lfunc_end1958-_ZN7rocprim17ROCPRIM_400000_NS6detail17trampoline_kernelINS0_14default_configENS1_27scan_by_key_config_selectorIj11FixedVectorIiLj2EEEEZZNS1_16scan_by_key_implILNS1_25lookback_scan_determinismE0ELb0ES3_N6thrust23THRUST_200600_302600_NS6detail15normal_iteratorINSB_10device_ptrIjEEEENSD_INSE_IS6_EEEESI_S6_NSB_4plusIvEENSB_8equal_toIvEES6_EE10hipError_tPvRmT2_T3_T4_T5_mT6_T7_P12ihipStream_tbENKUlT_T0_E_clISt17integral_constantIbLb0EES13_EEDaSY_SZ_EUlSY_E_NS1_11comp_targetILNS1_3genE9ELNS1_11target_archE1100ELNS1_3gpuE3ELNS1_3repE0EEENS1_30default_config_static_selectorELNS0_4arch9wavefront6targetE0EEEvT1_
                                        ; -- End function
	.set _ZN7rocprim17ROCPRIM_400000_NS6detail17trampoline_kernelINS0_14default_configENS1_27scan_by_key_config_selectorIj11FixedVectorIiLj2EEEEZZNS1_16scan_by_key_implILNS1_25lookback_scan_determinismE0ELb0ES3_N6thrust23THRUST_200600_302600_NS6detail15normal_iteratorINSB_10device_ptrIjEEEENSD_INSE_IS6_EEEESI_S6_NSB_4plusIvEENSB_8equal_toIvEES6_EE10hipError_tPvRmT2_T3_T4_T5_mT6_T7_P12ihipStream_tbENKUlT_T0_E_clISt17integral_constantIbLb0EES13_EEDaSY_SZ_EUlSY_E_NS1_11comp_targetILNS1_3genE9ELNS1_11target_archE1100ELNS1_3gpuE3ELNS1_3repE0EEENS1_30default_config_static_selectorELNS0_4arch9wavefront6targetE0EEEvT1_.num_vgpr, 0
	.set _ZN7rocprim17ROCPRIM_400000_NS6detail17trampoline_kernelINS0_14default_configENS1_27scan_by_key_config_selectorIj11FixedVectorIiLj2EEEEZZNS1_16scan_by_key_implILNS1_25lookback_scan_determinismE0ELb0ES3_N6thrust23THRUST_200600_302600_NS6detail15normal_iteratorINSB_10device_ptrIjEEEENSD_INSE_IS6_EEEESI_S6_NSB_4plusIvEENSB_8equal_toIvEES6_EE10hipError_tPvRmT2_T3_T4_T5_mT6_T7_P12ihipStream_tbENKUlT_T0_E_clISt17integral_constantIbLb0EES13_EEDaSY_SZ_EUlSY_E_NS1_11comp_targetILNS1_3genE9ELNS1_11target_archE1100ELNS1_3gpuE3ELNS1_3repE0EEENS1_30default_config_static_selectorELNS0_4arch9wavefront6targetE0EEEvT1_.num_agpr, 0
	.set _ZN7rocprim17ROCPRIM_400000_NS6detail17trampoline_kernelINS0_14default_configENS1_27scan_by_key_config_selectorIj11FixedVectorIiLj2EEEEZZNS1_16scan_by_key_implILNS1_25lookback_scan_determinismE0ELb0ES3_N6thrust23THRUST_200600_302600_NS6detail15normal_iteratorINSB_10device_ptrIjEEEENSD_INSE_IS6_EEEESI_S6_NSB_4plusIvEENSB_8equal_toIvEES6_EE10hipError_tPvRmT2_T3_T4_T5_mT6_T7_P12ihipStream_tbENKUlT_T0_E_clISt17integral_constantIbLb0EES13_EEDaSY_SZ_EUlSY_E_NS1_11comp_targetILNS1_3genE9ELNS1_11target_archE1100ELNS1_3gpuE3ELNS1_3repE0EEENS1_30default_config_static_selectorELNS0_4arch9wavefront6targetE0EEEvT1_.numbered_sgpr, 0
	.set _ZN7rocprim17ROCPRIM_400000_NS6detail17trampoline_kernelINS0_14default_configENS1_27scan_by_key_config_selectorIj11FixedVectorIiLj2EEEEZZNS1_16scan_by_key_implILNS1_25lookback_scan_determinismE0ELb0ES3_N6thrust23THRUST_200600_302600_NS6detail15normal_iteratorINSB_10device_ptrIjEEEENSD_INSE_IS6_EEEESI_S6_NSB_4plusIvEENSB_8equal_toIvEES6_EE10hipError_tPvRmT2_T3_T4_T5_mT6_T7_P12ihipStream_tbENKUlT_T0_E_clISt17integral_constantIbLb0EES13_EEDaSY_SZ_EUlSY_E_NS1_11comp_targetILNS1_3genE9ELNS1_11target_archE1100ELNS1_3gpuE3ELNS1_3repE0EEENS1_30default_config_static_selectorELNS0_4arch9wavefront6targetE0EEEvT1_.num_named_barrier, 0
	.set _ZN7rocprim17ROCPRIM_400000_NS6detail17trampoline_kernelINS0_14default_configENS1_27scan_by_key_config_selectorIj11FixedVectorIiLj2EEEEZZNS1_16scan_by_key_implILNS1_25lookback_scan_determinismE0ELb0ES3_N6thrust23THRUST_200600_302600_NS6detail15normal_iteratorINSB_10device_ptrIjEEEENSD_INSE_IS6_EEEESI_S6_NSB_4plusIvEENSB_8equal_toIvEES6_EE10hipError_tPvRmT2_T3_T4_T5_mT6_T7_P12ihipStream_tbENKUlT_T0_E_clISt17integral_constantIbLb0EES13_EEDaSY_SZ_EUlSY_E_NS1_11comp_targetILNS1_3genE9ELNS1_11target_archE1100ELNS1_3gpuE3ELNS1_3repE0EEENS1_30default_config_static_selectorELNS0_4arch9wavefront6targetE0EEEvT1_.private_seg_size, 0
	.set _ZN7rocprim17ROCPRIM_400000_NS6detail17trampoline_kernelINS0_14default_configENS1_27scan_by_key_config_selectorIj11FixedVectorIiLj2EEEEZZNS1_16scan_by_key_implILNS1_25lookback_scan_determinismE0ELb0ES3_N6thrust23THRUST_200600_302600_NS6detail15normal_iteratorINSB_10device_ptrIjEEEENSD_INSE_IS6_EEEESI_S6_NSB_4plusIvEENSB_8equal_toIvEES6_EE10hipError_tPvRmT2_T3_T4_T5_mT6_T7_P12ihipStream_tbENKUlT_T0_E_clISt17integral_constantIbLb0EES13_EEDaSY_SZ_EUlSY_E_NS1_11comp_targetILNS1_3genE9ELNS1_11target_archE1100ELNS1_3gpuE3ELNS1_3repE0EEENS1_30default_config_static_selectorELNS0_4arch9wavefront6targetE0EEEvT1_.uses_vcc, 0
	.set _ZN7rocprim17ROCPRIM_400000_NS6detail17trampoline_kernelINS0_14default_configENS1_27scan_by_key_config_selectorIj11FixedVectorIiLj2EEEEZZNS1_16scan_by_key_implILNS1_25lookback_scan_determinismE0ELb0ES3_N6thrust23THRUST_200600_302600_NS6detail15normal_iteratorINSB_10device_ptrIjEEEENSD_INSE_IS6_EEEESI_S6_NSB_4plusIvEENSB_8equal_toIvEES6_EE10hipError_tPvRmT2_T3_T4_T5_mT6_T7_P12ihipStream_tbENKUlT_T0_E_clISt17integral_constantIbLb0EES13_EEDaSY_SZ_EUlSY_E_NS1_11comp_targetILNS1_3genE9ELNS1_11target_archE1100ELNS1_3gpuE3ELNS1_3repE0EEENS1_30default_config_static_selectorELNS0_4arch9wavefront6targetE0EEEvT1_.uses_flat_scratch, 0
	.set _ZN7rocprim17ROCPRIM_400000_NS6detail17trampoline_kernelINS0_14default_configENS1_27scan_by_key_config_selectorIj11FixedVectorIiLj2EEEEZZNS1_16scan_by_key_implILNS1_25lookback_scan_determinismE0ELb0ES3_N6thrust23THRUST_200600_302600_NS6detail15normal_iteratorINSB_10device_ptrIjEEEENSD_INSE_IS6_EEEESI_S6_NSB_4plusIvEENSB_8equal_toIvEES6_EE10hipError_tPvRmT2_T3_T4_T5_mT6_T7_P12ihipStream_tbENKUlT_T0_E_clISt17integral_constantIbLb0EES13_EEDaSY_SZ_EUlSY_E_NS1_11comp_targetILNS1_3genE9ELNS1_11target_archE1100ELNS1_3gpuE3ELNS1_3repE0EEENS1_30default_config_static_selectorELNS0_4arch9wavefront6targetE0EEEvT1_.has_dyn_sized_stack, 0
	.set _ZN7rocprim17ROCPRIM_400000_NS6detail17trampoline_kernelINS0_14default_configENS1_27scan_by_key_config_selectorIj11FixedVectorIiLj2EEEEZZNS1_16scan_by_key_implILNS1_25lookback_scan_determinismE0ELb0ES3_N6thrust23THRUST_200600_302600_NS6detail15normal_iteratorINSB_10device_ptrIjEEEENSD_INSE_IS6_EEEESI_S6_NSB_4plusIvEENSB_8equal_toIvEES6_EE10hipError_tPvRmT2_T3_T4_T5_mT6_T7_P12ihipStream_tbENKUlT_T0_E_clISt17integral_constantIbLb0EES13_EEDaSY_SZ_EUlSY_E_NS1_11comp_targetILNS1_3genE9ELNS1_11target_archE1100ELNS1_3gpuE3ELNS1_3repE0EEENS1_30default_config_static_selectorELNS0_4arch9wavefront6targetE0EEEvT1_.has_recursion, 0
	.set _ZN7rocprim17ROCPRIM_400000_NS6detail17trampoline_kernelINS0_14default_configENS1_27scan_by_key_config_selectorIj11FixedVectorIiLj2EEEEZZNS1_16scan_by_key_implILNS1_25lookback_scan_determinismE0ELb0ES3_N6thrust23THRUST_200600_302600_NS6detail15normal_iteratorINSB_10device_ptrIjEEEENSD_INSE_IS6_EEEESI_S6_NSB_4plusIvEENSB_8equal_toIvEES6_EE10hipError_tPvRmT2_T3_T4_T5_mT6_T7_P12ihipStream_tbENKUlT_T0_E_clISt17integral_constantIbLb0EES13_EEDaSY_SZ_EUlSY_E_NS1_11comp_targetILNS1_3genE9ELNS1_11target_archE1100ELNS1_3gpuE3ELNS1_3repE0EEENS1_30default_config_static_selectorELNS0_4arch9wavefront6targetE0EEEvT1_.has_indirect_call, 0
	.section	.AMDGPU.csdata,"",@progbits
; Kernel info:
; codeLenInByte = 0
; TotalNumSgprs: 0
; NumVgprs: 0
; ScratchSize: 0
; MemoryBound: 0
; FloatMode: 240
; IeeeMode: 1
; LDSByteSize: 0 bytes/workgroup (compile time only)
; SGPRBlocks: 0
; VGPRBlocks: 0
; NumSGPRsForWavesPerEU: 1
; NumVGPRsForWavesPerEU: 1
; NamedBarCnt: 0
; Occupancy: 16
; WaveLimiterHint : 0
; COMPUTE_PGM_RSRC2:SCRATCH_EN: 0
; COMPUTE_PGM_RSRC2:USER_SGPR: 2
; COMPUTE_PGM_RSRC2:TRAP_HANDLER: 0
; COMPUTE_PGM_RSRC2:TGID_X_EN: 1
; COMPUTE_PGM_RSRC2:TGID_Y_EN: 0
; COMPUTE_PGM_RSRC2:TGID_Z_EN: 0
; COMPUTE_PGM_RSRC2:TIDIG_COMP_CNT: 0
	.section	.text._ZN7rocprim17ROCPRIM_400000_NS6detail17trampoline_kernelINS0_14default_configENS1_27scan_by_key_config_selectorIj11FixedVectorIiLj2EEEEZZNS1_16scan_by_key_implILNS1_25lookback_scan_determinismE0ELb0ES3_N6thrust23THRUST_200600_302600_NS6detail15normal_iteratorINSB_10device_ptrIjEEEENSD_INSE_IS6_EEEESI_S6_NSB_4plusIvEENSB_8equal_toIvEES6_EE10hipError_tPvRmT2_T3_T4_T5_mT6_T7_P12ihipStream_tbENKUlT_T0_E_clISt17integral_constantIbLb0EES13_EEDaSY_SZ_EUlSY_E_NS1_11comp_targetILNS1_3genE8ELNS1_11target_archE1030ELNS1_3gpuE2ELNS1_3repE0EEENS1_30default_config_static_selectorELNS0_4arch9wavefront6targetE0EEEvT1_,"axG",@progbits,_ZN7rocprim17ROCPRIM_400000_NS6detail17trampoline_kernelINS0_14default_configENS1_27scan_by_key_config_selectorIj11FixedVectorIiLj2EEEEZZNS1_16scan_by_key_implILNS1_25lookback_scan_determinismE0ELb0ES3_N6thrust23THRUST_200600_302600_NS6detail15normal_iteratorINSB_10device_ptrIjEEEENSD_INSE_IS6_EEEESI_S6_NSB_4plusIvEENSB_8equal_toIvEES6_EE10hipError_tPvRmT2_T3_T4_T5_mT6_T7_P12ihipStream_tbENKUlT_T0_E_clISt17integral_constantIbLb0EES13_EEDaSY_SZ_EUlSY_E_NS1_11comp_targetILNS1_3genE8ELNS1_11target_archE1030ELNS1_3gpuE2ELNS1_3repE0EEENS1_30default_config_static_selectorELNS0_4arch9wavefront6targetE0EEEvT1_,comdat
	.protected	_ZN7rocprim17ROCPRIM_400000_NS6detail17trampoline_kernelINS0_14default_configENS1_27scan_by_key_config_selectorIj11FixedVectorIiLj2EEEEZZNS1_16scan_by_key_implILNS1_25lookback_scan_determinismE0ELb0ES3_N6thrust23THRUST_200600_302600_NS6detail15normal_iteratorINSB_10device_ptrIjEEEENSD_INSE_IS6_EEEESI_S6_NSB_4plusIvEENSB_8equal_toIvEES6_EE10hipError_tPvRmT2_T3_T4_T5_mT6_T7_P12ihipStream_tbENKUlT_T0_E_clISt17integral_constantIbLb0EES13_EEDaSY_SZ_EUlSY_E_NS1_11comp_targetILNS1_3genE8ELNS1_11target_archE1030ELNS1_3gpuE2ELNS1_3repE0EEENS1_30default_config_static_selectorELNS0_4arch9wavefront6targetE0EEEvT1_ ; -- Begin function _ZN7rocprim17ROCPRIM_400000_NS6detail17trampoline_kernelINS0_14default_configENS1_27scan_by_key_config_selectorIj11FixedVectorIiLj2EEEEZZNS1_16scan_by_key_implILNS1_25lookback_scan_determinismE0ELb0ES3_N6thrust23THRUST_200600_302600_NS6detail15normal_iteratorINSB_10device_ptrIjEEEENSD_INSE_IS6_EEEESI_S6_NSB_4plusIvEENSB_8equal_toIvEES6_EE10hipError_tPvRmT2_T3_T4_T5_mT6_T7_P12ihipStream_tbENKUlT_T0_E_clISt17integral_constantIbLb0EES13_EEDaSY_SZ_EUlSY_E_NS1_11comp_targetILNS1_3genE8ELNS1_11target_archE1030ELNS1_3gpuE2ELNS1_3repE0EEENS1_30default_config_static_selectorELNS0_4arch9wavefront6targetE0EEEvT1_
	.globl	_ZN7rocprim17ROCPRIM_400000_NS6detail17trampoline_kernelINS0_14default_configENS1_27scan_by_key_config_selectorIj11FixedVectorIiLj2EEEEZZNS1_16scan_by_key_implILNS1_25lookback_scan_determinismE0ELb0ES3_N6thrust23THRUST_200600_302600_NS6detail15normal_iteratorINSB_10device_ptrIjEEEENSD_INSE_IS6_EEEESI_S6_NSB_4plusIvEENSB_8equal_toIvEES6_EE10hipError_tPvRmT2_T3_T4_T5_mT6_T7_P12ihipStream_tbENKUlT_T0_E_clISt17integral_constantIbLb0EES13_EEDaSY_SZ_EUlSY_E_NS1_11comp_targetILNS1_3genE8ELNS1_11target_archE1030ELNS1_3gpuE2ELNS1_3repE0EEENS1_30default_config_static_selectorELNS0_4arch9wavefront6targetE0EEEvT1_
	.p2align	8
	.type	_ZN7rocprim17ROCPRIM_400000_NS6detail17trampoline_kernelINS0_14default_configENS1_27scan_by_key_config_selectorIj11FixedVectorIiLj2EEEEZZNS1_16scan_by_key_implILNS1_25lookback_scan_determinismE0ELb0ES3_N6thrust23THRUST_200600_302600_NS6detail15normal_iteratorINSB_10device_ptrIjEEEENSD_INSE_IS6_EEEESI_S6_NSB_4plusIvEENSB_8equal_toIvEES6_EE10hipError_tPvRmT2_T3_T4_T5_mT6_T7_P12ihipStream_tbENKUlT_T0_E_clISt17integral_constantIbLb0EES13_EEDaSY_SZ_EUlSY_E_NS1_11comp_targetILNS1_3genE8ELNS1_11target_archE1030ELNS1_3gpuE2ELNS1_3repE0EEENS1_30default_config_static_selectorELNS0_4arch9wavefront6targetE0EEEvT1_,@function
_ZN7rocprim17ROCPRIM_400000_NS6detail17trampoline_kernelINS0_14default_configENS1_27scan_by_key_config_selectorIj11FixedVectorIiLj2EEEEZZNS1_16scan_by_key_implILNS1_25lookback_scan_determinismE0ELb0ES3_N6thrust23THRUST_200600_302600_NS6detail15normal_iteratorINSB_10device_ptrIjEEEENSD_INSE_IS6_EEEESI_S6_NSB_4plusIvEENSB_8equal_toIvEES6_EE10hipError_tPvRmT2_T3_T4_T5_mT6_T7_P12ihipStream_tbENKUlT_T0_E_clISt17integral_constantIbLb0EES13_EEDaSY_SZ_EUlSY_E_NS1_11comp_targetILNS1_3genE8ELNS1_11target_archE1030ELNS1_3gpuE2ELNS1_3repE0EEENS1_30default_config_static_selectorELNS0_4arch9wavefront6targetE0EEEvT1_: ; @_ZN7rocprim17ROCPRIM_400000_NS6detail17trampoline_kernelINS0_14default_configENS1_27scan_by_key_config_selectorIj11FixedVectorIiLj2EEEEZZNS1_16scan_by_key_implILNS1_25lookback_scan_determinismE0ELb0ES3_N6thrust23THRUST_200600_302600_NS6detail15normal_iteratorINSB_10device_ptrIjEEEENSD_INSE_IS6_EEEESI_S6_NSB_4plusIvEENSB_8equal_toIvEES6_EE10hipError_tPvRmT2_T3_T4_T5_mT6_T7_P12ihipStream_tbENKUlT_T0_E_clISt17integral_constantIbLb0EES13_EEDaSY_SZ_EUlSY_E_NS1_11comp_targetILNS1_3genE8ELNS1_11target_archE1030ELNS1_3gpuE2ELNS1_3repE0EEENS1_30default_config_static_selectorELNS0_4arch9wavefront6targetE0EEEvT1_
; %bb.0:
	.section	.rodata,"a",@progbits
	.p2align	6, 0x0
	.amdhsa_kernel _ZN7rocprim17ROCPRIM_400000_NS6detail17trampoline_kernelINS0_14default_configENS1_27scan_by_key_config_selectorIj11FixedVectorIiLj2EEEEZZNS1_16scan_by_key_implILNS1_25lookback_scan_determinismE0ELb0ES3_N6thrust23THRUST_200600_302600_NS6detail15normal_iteratorINSB_10device_ptrIjEEEENSD_INSE_IS6_EEEESI_S6_NSB_4plusIvEENSB_8equal_toIvEES6_EE10hipError_tPvRmT2_T3_T4_T5_mT6_T7_P12ihipStream_tbENKUlT_T0_E_clISt17integral_constantIbLb0EES13_EEDaSY_SZ_EUlSY_E_NS1_11comp_targetILNS1_3genE8ELNS1_11target_archE1030ELNS1_3gpuE2ELNS1_3repE0EEENS1_30default_config_static_selectorELNS0_4arch9wavefront6targetE0EEEvT1_
		.amdhsa_group_segment_fixed_size 0
		.amdhsa_private_segment_fixed_size 0
		.amdhsa_kernarg_size 120
		.amdhsa_user_sgpr_count 2
		.amdhsa_user_sgpr_dispatch_ptr 0
		.amdhsa_user_sgpr_queue_ptr 0
		.amdhsa_user_sgpr_kernarg_segment_ptr 1
		.amdhsa_user_sgpr_dispatch_id 0
		.amdhsa_user_sgpr_kernarg_preload_length 0
		.amdhsa_user_sgpr_kernarg_preload_offset 0
		.amdhsa_user_sgpr_private_segment_size 0
		.amdhsa_wavefront_size32 1
		.amdhsa_uses_dynamic_stack 0
		.amdhsa_enable_private_segment 0
		.amdhsa_system_sgpr_workgroup_id_x 1
		.amdhsa_system_sgpr_workgroup_id_y 0
		.amdhsa_system_sgpr_workgroup_id_z 0
		.amdhsa_system_sgpr_workgroup_info 0
		.amdhsa_system_vgpr_workitem_id 0
		.amdhsa_next_free_vgpr 1
		.amdhsa_next_free_sgpr 1
		.amdhsa_named_barrier_count 0
		.amdhsa_reserve_vcc 0
		.amdhsa_float_round_mode_32 0
		.amdhsa_float_round_mode_16_64 0
		.amdhsa_float_denorm_mode_32 3
		.amdhsa_float_denorm_mode_16_64 3
		.amdhsa_fp16_overflow 0
		.amdhsa_memory_ordered 1
		.amdhsa_forward_progress 1
		.amdhsa_inst_pref_size 0
		.amdhsa_round_robin_scheduling 0
		.amdhsa_exception_fp_ieee_invalid_op 0
		.amdhsa_exception_fp_denorm_src 0
		.amdhsa_exception_fp_ieee_div_zero 0
		.amdhsa_exception_fp_ieee_overflow 0
		.amdhsa_exception_fp_ieee_underflow 0
		.amdhsa_exception_fp_ieee_inexact 0
		.amdhsa_exception_int_div_zero 0
	.end_amdhsa_kernel
	.section	.text._ZN7rocprim17ROCPRIM_400000_NS6detail17trampoline_kernelINS0_14default_configENS1_27scan_by_key_config_selectorIj11FixedVectorIiLj2EEEEZZNS1_16scan_by_key_implILNS1_25lookback_scan_determinismE0ELb0ES3_N6thrust23THRUST_200600_302600_NS6detail15normal_iteratorINSB_10device_ptrIjEEEENSD_INSE_IS6_EEEESI_S6_NSB_4plusIvEENSB_8equal_toIvEES6_EE10hipError_tPvRmT2_T3_T4_T5_mT6_T7_P12ihipStream_tbENKUlT_T0_E_clISt17integral_constantIbLb0EES13_EEDaSY_SZ_EUlSY_E_NS1_11comp_targetILNS1_3genE8ELNS1_11target_archE1030ELNS1_3gpuE2ELNS1_3repE0EEENS1_30default_config_static_selectorELNS0_4arch9wavefront6targetE0EEEvT1_,"axG",@progbits,_ZN7rocprim17ROCPRIM_400000_NS6detail17trampoline_kernelINS0_14default_configENS1_27scan_by_key_config_selectorIj11FixedVectorIiLj2EEEEZZNS1_16scan_by_key_implILNS1_25lookback_scan_determinismE0ELb0ES3_N6thrust23THRUST_200600_302600_NS6detail15normal_iteratorINSB_10device_ptrIjEEEENSD_INSE_IS6_EEEESI_S6_NSB_4plusIvEENSB_8equal_toIvEES6_EE10hipError_tPvRmT2_T3_T4_T5_mT6_T7_P12ihipStream_tbENKUlT_T0_E_clISt17integral_constantIbLb0EES13_EEDaSY_SZ_EUlSY_E_NS1_11comp_targetILNS1_3genE8ELNS1_11target_archE1030ELNS1_3gpuE2ELNS1_3repE0EEENS1_30default_config_static_selectorELNS0_4arch9wavefront6targetE0EEEvT1_,comdat
.Lfunc_end1959:
	.size	_ZN7rocprim17ROCPRIM_400000_NS6detail17trampoline_kernelINS0_14default_configENS1_27scan_by_key_config_selectorIj11FixedVectorIiLj2EEEEZZNS1_16scan_by_key_implILNS1_25lookback_scan_determinismE0ELb0ES3_N6thrust23THRUST_200600_302600_NS6detail15normal_iteratorINSB_10device_ptrIjEEEENSD_INSE_IS6_EEEESI_S6_NSB_4plusIvEENSB_8equal_toIvEES6_EE10hipError_tPvRmT2_T3_T4_T5_mT6_T7_P12ihipStream_tbENKUlT_T0_E_clISt17integral_constantIbLb0EES13_EEDaSY_SZ_EUlSY_E_NS1_11comp_targetILNS1_3genE8ELNS1_11target_archE1030ELNS1_3gpuE2ELNS1_3repE0EEENS1_30default_config_static_selectorELNS0_4arch9wavefront6targetE0EEEvT1_, .Lfunc_end1959-_ZN7rocprim17ROCPRIM_400000_NS6detail17trampoline_kernelINS0_14default_configENS1_27scan_by_key_config_selectorIj11FixedVectorIiLj2EEEEZZNS1_16scan_by_key_implILNS1_25lookback_scan_determinismE0ELb0ES3_N6thrust23THRUST_200600_302600_NS6detail15normal_iteratorINSB_10device_ptrIjEEEENSD_INSE_IS6_EEEESI_S6_NSB_4plusIvEENSB_8equal_toIvEES6_EE10hipError_tPvRmT2_T3_T4_T5_mT6_T7_P12ihipStream_tbENKUlT_T0_E_clISt17integral_constantIbLb0EES13_EEDaSY_SZ_EUlSY_E_NS1_11comp_targetILNS1_3genE8ELNS1_11target_archE1030ELNS1_3gpuE2ELNS1_3repE0EEENS1_30default_config_static_selectorELNS0_4arch9wavefront6targetE0EEEvT1_
                                        ; -- End function
	.set _ZN7rocprim17ROCPRIM_400000_NS6detail17trampoline_kernelINS0_14default_configENS1_27scan_by_key_config_selectorIj11FixedVectorIiLj2EEEEZZNS1_16scan_by_key_implILNS1_25lookback_scan_determinismE0ELb0ES3_N6thrust23THRUST_200600_302600_NS6detail15normal_iteratorINSB_10device_ptrIjEEEENSD_INSE_IS6_EEEESI_S6_NSB_4plusIvEENSB_8equal_toIvEES6_EE10hipError_tPvRmT2_T3_T4_T5_mT6_T7_P12ihipStream_tbENKUlT_T0_E_clISt17integral_constantIbLb0EES13_EEDaSY_SZ_EUlSY_E_NS1_11comp_targetILNS1_3genE8ELNS1_11target_archE1030ELNS1_3gpuE2ELNS1_3repE0EEENS1_30default_config_static_selectorELNS0_4arch9wavefront6targetE0EEEvT1_.num_vgpr, 0
	.set _ZN7rocprim17ROCPRIM_400000_NS6detail17trampoline_kernelINS0_14default_configENS1_27scan_by_key_config_selectorIj11FixedVectorIiLj2EEEEZZNS1_16scan_by_key_implILNS1_25lookback_scan_determinismE0ELb0ES3_N6thrust23THRUST_200600_302600_NS6detail15normal_iteratorINSB_10device_ptrIjEEEENSD_INSE_IS6_EEEESI_S6_NSB_4plusIvEENSB_8equal_toIvEES6_EE10hipError_tPvRmT2_T3_T4_T5_mT6_T7_P12ihipStream_tbENKUlT_T0_E_clISt17integral_constantIbLb0EES13_EEDaSY_SZ_EUlSY_E_NS1_11comp_targetILNS1_3genE8ELNS1_11target_archE1030ELNS1_3gpuE2ELNS1_3repE0EEENS1_30default_config_static_selectorELNS0_4arch9wavefront6targetE0EEEvT1_.num_agpr, 0
	.set _ZN7rocprim17ROCPRIM_400000_NS6detail17trampoline_kernelINS0_14default_configENS1_27scan_by_key_config_selectorIj11FixedVectorIiLj2EEEEZZNS1_16scan_by_key_implILNS1_25lookback_scan_determinismE0ELb0ES3_N6thrust23THRUST_200600_302600_NS6detail15normal_iteratorINSB_10device_ptrIjEEEENSD_INSE_IS6_EEEESI_S6_NSB_4plusIvEENSB_8equal_toIvEES6_EE10hipError_tPvRmT2_T3_T4_T5_mT6_T7_P12ihipStream_tbENKUlT_T0_E_clISt17integral_constantIbLb0EES13_EEDaSY_SZ_EUlSY_E_NS1_11comp_targetILNS1_3genE8ELNS1_11target_archE1030ELNS1_3gpuE2ELNS1_3repE0EEENS1_30default_config_static_selectorELNS0_4arch9wavefront6targetE0EEEvT1_.numbered_sgpr, 0
	.set _ZN7rocprim17ROCPRIM_400000_NS6detail17trampoline_kernelINS0_14default_configENS1_27scan_by_key_config_selectorIj11FixedVectorIiLj2EEEEZZNS1_16scan_by_key_implILNS1_25lookback_scan_determinismE0ELb0ES3_N6thrust23THRUST_200600_302600_NS6detail15normal_iteratorINSB_10device_ptrIjEEEENSD_INSE_IS6_EEEESI_S6_NSB_4plusIvEENSB_8equal_toIvEES6_EE10hipError_tPvRmT2_T3_T4_T5_mT6_T7_P12ihipStream_tbENKUlT_T0_E_clISt17integral_constantIbLb0EES13_EEDaSY_SZ_EUlSY_E_NS1_11comp_targetILNS1_3genE8ELNS1_11target_archE1030ELNS1_3gpuE2ELNS1_3repE0EEENS1_30default_config_static_selectorELNS0_4arch9wavefront6targetE0EEEvT1_.num_named_barrier, 0
	.set _ZN7rocprim17ROCPRIM_400000_NS6detail17trampoline_kernelINS0_14default_configENS1_27scan_by_key_config_selectorIj11FixedVectorIiLj2EEEEZZNS1_16scan_by_key_implILNS1_25lookback_scan_determinismE0ELb0ES3_N6thrust23THRUST_200600_302600_NS6detail15normal_iteratorINSB_10device_ptrIjEEEENSD_INSE_IS6_EEEESI_S6_NSB_4plusIvEENSB_8equal_toIvEES6_EE10hipError_tPvRmT2_T3_T4_T5_mT6_T7_P12ihipStream_tbENKUlT_T0_E_clISt17integral_constantIbLb0EES13_EEDaSY_SZ_EUlSY_E_NS1_11comp_targetILNS1_3genE8ELNS1_11target_archE1030ELNS1_3gpuE2ELNS1_3repE0EEENS1_30default_config_static_selectorELNS0_4arch9wavefront6targetE0EEEvT1_.private_seg_size, 0
	.set _ZN7rocprim17ROCPRIM_400000_NS6detail17trampoline_kernelINS0_14default_configENS1_27scan_by_key_config_selectorIj11FixedVectorIiLj2EEEEZZNS1_16scan_by_key_implILNS1_25lookback_scan_determinismE0ELb0ES3_N6thrust23THRUST_200600_302600_NS6detail15normal_iteratorINSB_10device_ptrIjEEEENSD_INSE_IS6_EEEESI_S6_NSB_4plusIvEENSB_8equal_toIvEES6_EE10hipError_tPvRmT2_T3_T4_T5_mT6_T7_P12ihipStream_tbENKUlT_T0_E_clISt17integral_constantIbLb0EES13_EEDaSY_SZ_EUlSY_E_NS1_11comp_targetILNS1_3genE8ELNS1_11target_archE1030ELNS1_3gpuE2ELNS1_3repE0EEENS1_30default_config_static_selectorELNS0_4arch9wavefront6targetE0EEEvT1_.uses_vcc, 0
	.set _ZN7rocprim17ROCPRIM_400000_NS6detail17trampoline_kernelINS0_14default_configENS1_27scan_by_key_config_selectorIj11FixedVectorIiLj2EEEEZZNS1_16scan_by_key_implILNS1_25lookback_scan_determinismE0ELb0ES3_N6thrust23THRUST_200600_302600_NS6detail15normal_iteratorINSB_10device_ptrIjEEEENSD_INSE_IS6_EEEESI_S6_NSB_4plusIvEENSB_8equal_toIvEES6_EE10hipError_tPvRmT2_T3_T4_T5_mT6_T7_P12ihipStream_tbENKUlT_T0_E_clISt17integral_constantIbLb0EES13_EEDaSY_SZ_EUlSY_E_NS1_11comp_targetILNS1_3genE8ELNS1_11target_archE1030ELNS1_3gpuE2ELNS1_3repE0EEENS1_30default_config_static_selectorELNS0_4arch9wavefront6targetE0EEEvT1_.uses_flat_scratch, 0
	.set _ZN7rocprim17ROCPRIM_400000_NS6detail17trampoline_kernelINS0_14default_configENS1_27scan_by_key_config_selectorIj11FixedVectorIiLj2EEEEZZNS1_16scan_by_key_implILNS1_25lookback_scan_determinismE0ELb0ES3_N6thrust23THRUST_200600_302600_NS6detail15normal_iteratorINSB_10device_ptrIjEEEENSD_INSE_IS6_EEEESI_S6_NSB_4plusIvEENSB_8equal_toIvEES6_EE10hipError_tPvRmT2_T3_T4_T5_mT6_T7_P12ihipStream_tbENKUlT_T0_E_clISt17integral_constantIbLb0EES13_EEDaSY_SZ_EUlSY_E_NS1_11comp_targetILNS1_3genE8ELNS1_11target_archE1030ELNS1_3gpuE2ELNS1_3repE0EEENS1_30default_config_static_selectorELNS0_4arch9wavefront6targetE0EEEvT1_.has_dyn_sized_stack, 0
	.set _ZN7rocprim17ROCPRIM_400000_NS6detail17trampoline_kernelINS0_14default_configENS1_27scan_by_key_config_selectorIj11FixedVectorIiLj2EEEEZZNS1_16scan_by_key_implILNS1_25lookback_scan_determinismE0ELb0ES3_N6thrust23THRUST_200600_302600_NS6detail15normal_iteratorINSB_10device_ptrIjEEEENSD_INSE_IS6_EEEESI_S6_NSB_4plusIvEENSB_8equal_toIvEES6_EE10hipError_tPvRmT2_T3_T4_T5_mT6_T7_P12ihipStream_tbENKUlT_T0_E_clISt17integral_constantIbLb0EES13_EEDaSY_SZ_EUlSY_E_NS1_11comp_targetILNS1_3genE8ELNS1_11target_archE1030ELNS1_3gpuE2ELNS1_3repE0EEENS1_30default_config_static_selectorELNS0_4arch9wavefront6targetE0EEEvT1_.has_recursion, 0
	.set _ZN7rocprim17ROCPRIM_400000_NS6detail17trampoline_kernelINS0_14default_configENS1_27scan_by_key_config_selectorIj11FixedVectorIiLj2EEEEZZNS1_16scan_by_key_implILNS1_25lookback_scan_determinismE0ELb0ES3_N6thrust23THRUST_200600_302600_NS6detail15normal_iteratorINSB_10device_ptrIjEEEENSD_INSE_IS6_EEEESI_S6_NSB_4plusIvEENSB_8equal_toIvEES6_EE10hipError_tPvRmT2_T3_T4_T5_mT6_T7_P12ihipStream_tbENKUlT_T0_E_clISt17integral_constantIbLb0EES13_EEDaSY_SZ_EUlSY_E_NS1_11comp_targetILNS1_3genE8ELNS1_11target_archE1030ELNS1_3gpuE2ELNS1_3repE0EEENS1_30default_config_static_selectorELNS0_4arch9wavefront6targetE0EEEvT1_.has_indirect_call, 0
	.section	.AMDGPU.csdata,"",@progbits
; Kernel info:
; codeLenInByte = 0
; TotalNumSgprs: 0
; NumVgprs: 0
; ScratchSize: 0
; MemoryBound: 0
; FloatMode: 240
; IeeeMode: 1
; LDSByteSize: 0 bytes/workgroup (compile time only)
; SGPRBlocks: 0
; VGPRBlocks: 0
; NumSGPRsForWavesPerEU: 1
; NumVGPRsForWavesPerEU: 1
; NamedBarCnt: 0
; Occupancy: 16
; WaveLimiterHint : 0
; COMPUTE_PGM_RSRC2:SCRATCH_EN: 0
; COMPUTE_PGM_RSRC2:USER_SGPR: 2
; COMPUTE_PGM_RSRC2:TRAP_HANDLER: 0
; COMPUTE_PGM_RSRC2:TGID_X_EN: 1
; COMPUTE_PGM_RSRC2:TGID_Y_EN: 0
; COMPUTE_PGM_RSRC2:TGID_Z_EN: 0
; COMPUTE_PGM_RSRC2:TIDIG_COMP_CNT: 0
	.section	.text._ZN7rocprim17ROCPRIM_400000_NS6detail30init_device_scan_by_key_kernelINS1_19lookback_scan_stateINS0_5tupleIJ11FixedVectorIiLj2EEbEEELb1ELb1EEEN6thrust23THRUST_200600_302600_NS6detail15normal_iteratorINSA_10device_ptrIjEEEEjNS1_16block_id_wrapperIjLb1EEEEEvT_jjPNSI_10value_typeET0_PNSt15iterator_traitsISL_E10value_typeEmT1_T2_,"axG",@progbits,_ZN7rocprim17ROCPRIM_400000_NS6detail30init_device_scan_by_key_kernelINS1_19lookback_scan_stateINS0_5tupleIJ11FixedVectorIiLj2EEbEEELb1ELb1EEEN6thrust23THRUST_200600_302600_NS6detail15normal_iteratorINSA_10device_ptrIjEEEEjNS1_16block_id_wrapperIjLb1EEEEEvT_jjPNSI_10value_typeET0_PNSt15iterator_traitsISL_E10value_typeEmT1_T2_,comdat
	.protected	_ZN7rocprim17ROCPRIM_400000_NS6detail30init_device_scan_by_key_kernelINS1_19lookback_scan_stateINS0_5tupleIJ11FixedVectorIiLj2EEbEEELb1ELb1EEEN6thrust23THRUST_200600_302600_NS6detail15normal_iteratorINSA_10device_ptrIjEEEEjNS1_16block_id_wrapperIjLb1EEEEEvT_jjPNSI_10value_typeET0_PNSt15iterator_traitsISL_E10value_typeEmT1_T2_ ; -- Begin function _ZN7rocprim17ROCPRIM_400000_NS6detail30init_device_scan_by_key_kernelINS1_19lookback_scan_stateINS0_5tupleIJ11FixedVectorIiLj2EEbEEELb1ELb1EEEN6thrust23THRUST_200600_302600_NS6detail15normal_iteratorINSA_10device_ptrIjEEEEjNS1_16block_id_wrapperIjLb1EEEEEvT_jjPNSI_10value_typeET0_PNSt15iterator_traitsISL_E10value_typeEmT1_T2_
	.globl	_ZN7rocprim17ROCPRIM_400000_NS6detail30init_device_scan_by_key_kernelINS1_19lookback_scan_stateINS0_5tupleIJ11FixedVectorIiLj2EEbEEELb1ELb1EEEN6thrust23THRUST_200600_302600_NS6detail15normal_iteratorINSA_10device_ptrIjEEEEjNS1_16block_id_wrapperIjLb1EEEEEvT_jjPNSI_10value_typeET0_PNSt15iterator_traitsISL_E10value_typeEmT1_T2_
	.p2align	8
	.type	_ZN7rocprim17ROCPRIM_400000_NS6detail30init_device_scan_by_key_kernelINS1_19lookback_scan_stateINS0_5tupleIJ11FixedVectorIiLj2EEbEEELb1ELb1EEEN6thrust23THRUST_200600_302600_NS6detail15normal_iteratorINSA_10device_ptrIjEEEEjNS1_16block_id_wrapperIjLb1EEEEEvT_jjPNSI_10value_typeET0_PNSt15iterator_traitsISL_E10value_typeEmT1_T2_,@function
_ZN7rocprim17ROCPRIM_400000_NS6detail30init_device_scan_by_key_kernelINS1_19lookback_scan_stateINS0_5tupleIJ11FixedVectorIiLj2EEbEEELb1ELb1EEEN6thrust23THRUST_200600_302600_NS6detail15normal_iteratorINSA_10device_ptrIjEEEEjNS1_16block_id_wrapperIjLb1EEEEEvT_jjPNSI_10value_typeET0_PNSt15iterator_traitsISL_E10value_typeEmT1_T2_: ; @_ZN7rocprim17ROCPRIM_400000_NS6detail30init_device_scan_by_key_kernelINS1_19lookback_scan_stateINS0_5tupleIJ11FixedVectorIiLj2EEbEEELb1ELb1EEEN6thrust23THRUST_200600_302600_NS6detail15normal_iteratorINSA_10device_ptrIjEEEEjNS1_16block_id_wrapperIjLb1EEEEEvT_jjPNSI_10value_typeET0_PNSt15iterator_traitsISL_E10value_typeEmT1_T2_
; %bb.0:
	s_clause 0x2
	s_load_b32 s2, s[0:1], 0x4c
	s_load_b32 s14, s[0:1], 0x40
	s_load_b256 s[4:11], s[0:1], 0x0
	s_bfe_u32 s3, ttmp6, 0x4000c
	s_and_b32 s12, ttmp6, 15
	s_add_co_i32 s3, s3, 1
	s_getreg_b32 s13, hwreg(HW_REG_IB_STS2, 6, 4)
	s_mul_i32 s3, ttmp9, s3
	s_delay_alu instid0(SALU_CYCLE_1)
	s_add_co_i32 s12, s12, s3
	s_wait_kmcnt 0x0
	s_and_b32 s15, s2, 0xffff
	s_cmp_eq_u32 s13, 0
	s_cselect_b32 s2, ttmp9, s12
	s_cmp_eq_u64 s[8:9], 0
	v_mad_u32 v4, s2, s15, v0
	s_cbranch_scc1 .LBB1960_10
; %bb.1:
	s_cmp_lt_u32 s7, s6
	s_mov_b32 s16, exec_lo
	s_cselect_b32 s2, s7, 0
	s_delay_alu instid0(VALU_DEP_1) | instid1(SALU_CYCLE_1)
	v_cmpx_eq_u32_e64 s2, v4
	s_cbranch_execz .LBB1960_9
; %bb.2:
	s_add_co_i32 s2, s7, 32
	s_mov_b32 s3, 0
	s_delay_alu instid0(SALU_CYCLE_1) | instskip(SKIP_2) | instid1(SALU_CYCLE_1)
	s_lshl_b64 s[12:13], s[2:3], 4
	s_mov_b32 s2, exec_lo
	s_add_nc_u64 s[12:13], s[4:5], s[12:13]
	v_mov_b64_e32 v[0:1], s[12:13]
	;;#ASMSTART
	global_load_b128 v[0:3], v[0:1] off scope:SCOPE_DEV	
s_wait_loadcnt 0x0
	;;#ASMEND
	s_delay_alu instid0(VALU_DEP_1) | instskip(SKIP_1) | instid1(VALU_DEP_1)
	v_dual_mov_b32 v6, 0 :: v_dual_mov_b32 v8, v1
	v_and_b32_e32 v7, 0xff, v3
	v_cmpx_eq_u64_e32 0, v[6:7]
	s_cbranch_execz .LBB1960_8
; %bb.3:
	v_mov_b64_e32 v[8:9], s[12:13]
	s_mov_b32 s7, 1
.LBB1960_4:                             ; =>This Loop Header: Depth=1
                                        ;     Child Loop BB1960_5 Depth 2
	s_delay_alu instid0(SALU_CYCLE_1)
	s_mov_b32 s12, s7
.LBB1960_5:                             ;   Parent Loop BB1960_4 Depth=1
                                        ; =>  This Inner Loop Header: Depth=2
	s_delay_alu instid0(SALU_CYCLE_1)
	s_add_co_i32 s12, s12, -1
	s_sleep 1
	s_cmp_eq_u32 s12, 0
	s_cbranch_scc0 .LBB1960_5
; %bb.6:                                ;   in Loop: Header=BB1960_4 Depth=1
	;;#ASMSTART
	global_load_b128 v[0:3], v[8:9] off scope:SCOPE_DEV	
s_wait_loadcnt 0x0
	;;#ASMEND
	v_and_b32_e32 v7, 0xff, v3
	s_cmp_lt_u32 s7, 32
	s_cselect_b32 s12, -1, 0
	s_delay_alu instid0(VALU_DEP_1) | instskip(SKIP_3) | instid1(SALU_CYCLE_1)
	v_cmp_ne_u64_e32 vcc_lo, 0, v[6:7]
	s_cmp_lg_u32 s12, 0
	s_add_co_ci_u32 s7, s7, 0
	s_or_b32 s3, vcc_lo, s3
	s_and_not1_b32 exec_lo, exec_lo, s3
	s_cbranch_execnz .LBB1960_4
; %bb.7:
	s_or_b32 exec_lo, exec_lo, s3
	v_mov_b32_e32 v8, v1
.LBB1960_8:
	s_or_b32 exec_lo, exec_lo, s2
	s_delay_alu instid0(VALU_DEP_1)
	v_dual_mov_b32 v3, 0 :: v_dual_mov_b32 v1, v8
	s_clause 0x1
	global_store_b64 v3, v[0:1], s[8:9]
	global_store_b8 v3, v2, s[8:9] offset:8
.LBB1960_9:
	s_wait_xcnt 0x0
	s_or_b32 exec_lo, exec_lo, s16
.LBB1960_10:
	s_delay_alu instid0(SALU_CYCLE_1) | instskip(NEXT) | instid1(VALU_DEP_1)
	s_mov_b32 s2, exec_lo
	v_cmpx_eq_u32_e32 0, v4
	s_cbranch_execz .LBB1960_12
; %bb.11:
	s_load_b64 s[8:9], s[0:1], 0x38
	v_mov_b32_e32 v0, 0
	s_wait_kmcnt 0x0
	global_store_b32 v0, v0, s[8:9]
.LBB1960_12:
	s_wait_xcnt 0x0
	s_or_b32 exec_lo, exec_lo, s2
	s_delay_alu instid0(SALU_CYCLE_1)
	s_mov_b32 s2, exec_lo
	v_cmpx_gt_u32_e64 s6, v4
	s_cbranch_execz .LBB1960_14
; %bb.13:
	v_dual_mov_b32 v0, 0 :: v_dual_add_nc_u32 v5, 32, v4
	s_delay_alu instid0(VALU_DEP_1)
	v_dual_mov_b32 v1, v0 :: v_dual_mov_b32 v2, v0
	v_mov_b32_e32 v3, v0
	global_store_b128 v5, v[0:3], s[4:5] scale_offset
.LBB1960_14:
	s_wait_xcnt 0x0
	s_or_b32 exec_lo, exec_lo, s2
	v_mov_b32_e32 v5, 0
	s_mov_b32 s2, exec_lo
	v_cmpx_lt_u32_e32 31, v4
	s_xor_b32 s2, exec_lo, s2
	s_delay_alu instid0(SALU_CYCLE_1)
	s_and_not1_saveexec_b32 s2, s2
	s_cbranch_execz .LBB1960_16
; %bb.15:
	v_dual_mov_b32 v0, 0 :: v_dual_mov_b32 v3, 0xff
	v_lshl_add_u64 v[6:7], v[4:5], 4, s[4:5]
	s_delay_alu instid0(VALU_DEP_2)
	v_dual_mov_b32 v1, v0 :: v_dual_mov_b32 v2, v0
	global_store_b128 v[6:7], v[0:3], off
.LBB1960_16:
	s_wait_xcnt 0x0
	s_or_b32 exec_lo, exec_lo, s2
	s_load_b64 s[2:3], s[0:1], 0x28
	s_mov_b32 s4, exec_lo
	s_wait_kmcnt 0x0
	v_cmpx_gt_u64_e64 s[2:3], v[4:5]
	s_cbranch_execz .LBB1960_19
; %bb.17:
	s_clause 0x1
	s_load_b32 s4, s[0:1], 0x30
	s_load_b64 s[6:7], s[0:1], 0x20
	s_mov_b32 s5, 0
	s_wait_xcnt 0x0
	s_mul_i32 s0, s14, s15
	s_mov_b32 s9, s5
	s_mov_b32 s1, s5
	s_wait_kmcnt 0x0
	v_mul_u64_e32 v[0:1], s[4:5], v[4:5]
	s_add_co_i32 s8, s4, -1
	v_lshl_add_u64 v[2:3], v[4:5], 2, s[6:7]
	s_lshl_b64 s[8:9], s[8:9], 2
	s_delay_alu instid0(SALU_CYCLE_1) | instskip(SKIP_1) | instid1(SALU_CYCLE_1)
	s_add_nc_u64 s[8:9], s[10:11], s[8:9]
	s_mul_u64 s[10:11], s[4:5], s[0:1]
	s_lshl_b64 s[6:7], s[10:11], 2
	s_delay_alu instid0(VALU_DEP_2)
	v_lshl_add_u64 v[0:1], v[0:1], 2, s[8:9]
	s_lshl_b64 s[8:9], s[0:1], 2
.LBB1960_18:                            ; =>This Inner Loop Header: Depth=1
	global_load_b32 v6, v[0:1], off
	v_add_nc_u64_e32 v[4:5], s[0:1], v[4:5]
	s_wait_xcnt 0x0
	v_add_nc_u64_e32 v[0:1], s[6:7], v[0:1]
	s_delay_alu instid0(VALU_DEP_2)
	v_cmp_le_u64_e32 vcc_lo, s[2:3], v[4:5]
	s_or_b32 s5, vcc_lo, s5
	s_wait_loadcnt 0x0
	global_store_b32 v[2:3], v6, off
	s_wait_xcnt 0x0
	v_add_nc_u64_e32 v[2:3], s[8:9], v[2:3]
	s_and_not1_b32 exec_lo, exec_lo, s5
	s_cbranch_execnz .LBB1960_18
.LBB1960_19:
	s_endpgm
	.section	.rodata,"a",@progbits
	.p2align	6, 0x0
	.amdhsa_kernel _ZN7rocprim17ROCPRIM_400000_NS6detail30init_device_scan_by_key_kernelINS1_19lookback_scan_stateINS0_5tupleIJ11FixedVectorIiLj2EEbEEELb1ELb1EEEN6thrust23THRUST_200600_302600_NS6detail15normal_iteratorINSA_10device_ptrIjEEEEjNS1_16block_id_wrapperIjLb1EEEEEvT_jjPNSI_10value_typeET0_PNSt15iterator_traitsISL_E10value_typeEmT1_T2_
		.amdhsa_group_segment_fixed_size 0
		.amdhsa_private_segment_fixed_size 0
		.amdhsa_kernarg_size 320
		.amdhsa_user_sgpr_count 2
		.amdhsa_user_sgpr_dispatch_ptr 0
		.amdhsa_user_sgpr_queue_ptr 0
		.amdhsa_user_sgpr_kernarg_segment_ptr 1
		.amdhsa_user_sgpr_dispatch_id 0
		.amdhsa_user_sgpr_kernarg_preload_length 0
		.amdhsa_user_sgpr_kernarg_preload_offset 0
		.amdhsa_user_sgpr_private_segment_size 0
		.amdhsa_wavefront_size32 1
		.amdhsa_uses_dynamic_stack 0
		.amdhsa_enable_private_segment 0
		.amdhsa_system_sgpr_workgroup_id_x 1
		.amdhsa_system_sgpr_workgroup_id_y 0
		.amdhsa_system_sgpr_workgroup_id_z 0
		.amdhsa_system_sgpr_workgroup_info 0
		.amdhsa_system_vgpr_workitem_id 0
		.amdhsa_next_free_vgpr 10
		.amdhsa_next_free_sgpr 17
		.amdhsa_named_barrier_count 0
		.amdhsa_reserve_vcc 1
		.amdhsa_float_round_mode_32 0
		.amdhsa_float_round_mode_16_64 0
		.amdhsa_float_denorm_mode_32 3
		.amdhsa_float_denorm_mode_16_64 3
		.amdhsa_fp16_overflow 0
		.amdhsa_memory_ordered 1
		.amdhsa_forward_progress 1
		.amdhsa_inst_pref_size 6
		.amdhsa_round_robin_scheduling 0
		.amdhsa_exception_fp_ieee_invalid_op 0
		.amdhsa_exception_fp_denorm_src 0
		.amdhsa_exception_fp_ieee_div_zero 0
		.amdhsa_exception_fp_ieee_overflow 0
		.amdhsa_exception_fp_ieee_underflow 0
		.amdhsa_exception_fp_ieee_inexact 0
		.amdhsa_exception_int_div_zero 0
	.end_amdhsa_kernel
	.section	.text._ZN7rocprim17ROCPRIM_400000_NS6detail30init_device_scan_by_key_kernelINS1_19lookback_scan_stateINS0_5tupleIJ11FixedVectorIiLj2EEbEEELb1ELb1EEEN6thrust23THRUST_200600_302600_NS6detail15normal_iteratorINSA_10device_ptrIjEEEEjNS1_16block_id_wrapperIjLb1EEEEEvT_jjPNSI_10value_typeET0_PNSt15iterator_traitsISL_E10value_typeEmT1_T2_,"axG",@progbits,_ZN7rocprim17ROCPRIM_400000_NS6detail30init_device_scan_by_key_kernelINS1_19lookback_scan_stateINS0_5tupleIJ11FixedVectorIiLj2EEbEEELb1ELb1EEEN6thrust23THRUST_200600_302600_NS6detail15normal_iteratorINSA_10device_ptrIjEEEEjNS1_16block_id_wrapperIjLb1EEEEEvT_jjPNSI_10value_typeET0_PNSt15iterator_traitsISL_E10value_typeEmT1_T2_,comdat
.Lfunc_end1960:
	.size	_ZN7rocprim17ROCPRIM_400000_NS6detail30init_device_scan_by_key_kernelINS1_19lookback_scan_stateINS0_5tupleIJ11FixedVectorIiLj2EEbEEELb1ELb1EEEN6thrust23THRUST_200600_302600_NS6detail15normal_iteratorINSA_10device_ptrIjEEEEjNS1_16block_id_wrapperIjLb1EEEEEvT_jjPNSI_10value_typeET0_PNSt15iterator_traitsISL_E10value_typeEmT1_T2_, .Lfunc_end1960-_ZN7rocprim17ROCPRIM_400000_NS6detail30init_device_scan_by_key_kernelINS1_19lookback_scan_stateINS0_5tupleIJ11FixedVectorIiLj2EEbEEELb1ELb1EEEN6thrust23THRUST_200600_302600_NS6detail15normal_iteratorINSA_10device_ptrIjEEEEjNS1_16block_id_wrapperIjLb1EEEEEvT_jjPNSI_10value_typeET0_PNSt15iterator_traitsISL_E10value_typeEmT1_T2_
                                        ; -- End function
	.set _ZN7rocprim17ROCPRIM_400000_NS6detail30init_device_scan_by_key_kernelINS1_19lookback_scan_stateINS0_5tupleIJ11FixedVectorIiLj2EEbEEELb1ELb1EEEN6thrust23THRUST_200600_302600_NS6detail15normal_iteratorINSA_10device_ptrIjEEEEjNS1_16block_id_wrapperIjLb1EEEEEvT_jjPNSI_10value_typeET0_PNSt15iterator_traitsISL_E10value_typeEmT1_T2_.num_vgpr, 10
	.set _ZN7rocprim17ROCPRIM_400000_NS6detail30init_device_scan_by_key_kernelINS1_19lookback_scan_stateINS0_5tupleIJ11FixedVectorIiLj2EEbEEELb1ELb1EEEN6thrust23THRUST_200600_302600_NS6detail15normal_iteratorINSA_10device_ptrIjEEEEjNS1_16block_id_wrapperIjLb1EEEEEvT_jjPNSI_10value_typeET0_PNSt15iterator_traitsISL_E10value_typeEmT1_T2_.num_agpr, 0
	.set _ZN7rocprim17ROCPRIM_400000_NS6detail30init_device_scan_by_key_kernelINS1_19lookback_scan_stateINS0_5tupleIJ11FixedVectorIiLj2EEbEEELb1ELb1EEEN6thrust23THRUST_200600_302600_NS6detail15normal_iteratorINSA_10device_ptrIjEEEEjNS1_16block_id_wrapperIjLb1EEEEEvT_jjPNSI_10value_typeET0_PNSt15iterator_traitsISL_E10value_typeEmT1_T2_.numbered_sgpr, 17
	.set _ZN7rocprim17ROCPRIM_400000_NS6detail30init_device_scan_by_key_kernelINS1_19lookback_scan_stateINS0_5tupleIJ11FixedVectorIiLj2EEbEEELb1ELb1EEEN6thrust23THRUST_200600_302600_NS6detail15normal_iteratorINSA_10device_ptrIjEEEEjNS1_16block_id_wrapperIjLb1EEEEEvT_jjPNSI_10value_typeET0_PNSt15iterator_traitsISL_E10value_typeEmT1_T2_.num_named_barrier, 0
	.set _ZN7rocprim17ROCPRIM_400000_NS6detail30init_device_scan_by_key_kernelINS1_19lookback_scan_stateINS0_5tupleIJ11FixedVectorIiLj2EEbEEELb1ELb1EEEN6thrust23THRUST_200600_302600_NS6detail15normal_iteratorINSA_10device_ptrIjEEEEjNS1_16block_id_wrapperIjLb1EEEEEvT_jjPNSI_10value_typeET0_PNSt15iterator_traitsISL_E10value_typeEmT1_T2_.private_seg_size, 0
	.set _ZN7rocprim17ROCPRIM_400000_NS6detail30init_device_scan_by_key_kernelINS1_19lookback_scan_stateINS0_5tupleIJ11FixedVectorIiLj2EEbEEELb1ELb1EEEN6thrust23THRUST_200600_302600_NS6detail15normal_iteratorINSA_10device_ptrIjEEEEjNS1_16block_id_wrapperIjLb1EEEEEvT_jjPNSI_10value_typeET0_PNSt15iterator_traitsISL_E10value_typeEmT1_T2_.uses_vcc, 1
	.set _ZN7rocprim17ROCPRIM_400000_NS6detail30init_device_scan_by_key_kernelINS1_19lookback_scan_stateINS0_5tupleIJ11FixedVectorIiLj2EEbEEELb1ELb1EEEN6thrust23THRUST_200600_302600_NS6detail15normal_iteratorINSA_10device_ptrIjEEEEjNS1_16block_id_wrapperIjLb1EEEEEvT_jjPNSI_10value_typeET0_PNSt15iterator_traitsISL_E10value_typeEmT1_T2_.uses_flat_scratch, 0
	.set _ZN7rocprim17ROCPRIM_400000_NS6detail30init_device_scan_by_key_kernelINS1_19lookback_scan_stateINS0_5tupleIJ11FixedVectorIiLj2EEbEEELb1ELb1EEEN6thrust23THRUST_200600_302600_NS6detail15normal_iteratorINSA_10device_ptrIjEEEEjNS1_16block_id_wrapperIjLb1EEEEEvT_jjPNSI_10value_typeET0_PNSt15iterator_traitsISL_E10value_typeEmT1_T2_.has_dyn_sized_stack, 0
	.set _ZN7rocprim17ROCPRIM_400000_NS6detail30init_device_scan_by_key_kernelINS1_19lookback_scan_stateINS0_5tupleIJ11FixedVectorIiLj2EEbEEELb1ELb1EEEN6thrust23THRUST_200600_302600_NS6detail15normal_iteratorINSA_10device_ptrIjEEEEjNS1_16block_id_wrapperIjLb1EEEEEvT_jjPNSI_10value_typeET0_PNSt15iterator_traitsISL_E10value_typeEmT1_T2_.has_recursion, 0
	.set _ZN7rocprim17ROCPRIM_400000_NS6detail30init_device_scan_by_key_kernelINS1_19lookback_scan_stateINS0_5tupleIJ11FixedVectorIiLj2EEbEEELb1ELb1EEEN6thrust23THRUST_200600_302600_NS6detail15normal_iteratorINSA_10device_ptrIjEEEEjNS1_16block_id_wrapperIjLb1EEEEEvT_jjPNSI_10value_typeET0_PNSt15iterator_traitsISL_E10value_typeEmT1_T2_.has_indirect_call, 0
	.section	.AMDGPU.csdata,"",@progbits
; Kernel info:
; codeLenInByte = 720
; TotalNumSgprs: 19
; NumVgprs: 10
; ScratchSize: 0
; MemoryBound: 0
; FloatMode: 240
; IeeeMode: 1
; LDSByteSize: 0 bytes/workgroup (compile time only)
; SGPRBlocks: 0
; VGPRBlocks: 0
; NumSGPRsForWavesPerEU: 19
; NumVGPRsForWavesPerEU: 10
; NamedBarCnt: 0
; Occupancy: 16
; WaveLimiterHint : 0
; COMPUTE_PGM_RSRC2:SCRATCH_EN: 0
; COMPUTE_PGM_RSRC2:USER_SGPR: 2
; COMPUTE_PGM_RSRC2:TRAP_HANDLER: 0
; COMPUTE_PGM_RSRC2:TGID_X_EN: 1
; COMPUTE_PGM_RSRC2:TGID_Y_EN: 0
; COMPUTE_PGM_RSRC2:TGID_Z_EN: 0
; COMPUTE_PGM_RSRC2:TIDIG_COMP_CNT: 0
	.section	.text._ZN7rocprim17ROCPRIM_400000_NS6detail30init_device_scan_by_key_kernelINS1_19lookback_scan_stateINS0_5tupleIJ11FixedVectorIiLj2EEbEEELb1ELb1EEENS1_16block_id_wrapperIjLb1EEEEEvT_jjPNSB_10value_typeET0_,"axG",@progbits,_ZN7rocprim17ROCPRIM_400000_NS6detail30init_device_scan_by_key_kernelINS1_19lookback_scan_stateINS0_5tupleIJ11FixedVectorIiLj2EEbEEELb1ELb1EEENS1_16block_id_wrapperIjLb1EEEEEvT_jjPNSB_10value_typeET0_,comdat
	.protected	_ZN7rocprim17ROCPRIM_400000_NS6detail30init_device_scan_by_key_kernelINS1_19lookback_scan_stateINS0_5tupleIJ11FixedVectorIiLj2EEbEEELb1ELb1EEENS1_16block_id_wrapperIjLb1EEEEEvT_jjPNSB_10value_typeET0_ ; -- Begin function _ZN7rocprim17ROCPRIM_400000_NS6detail30init_device_scan_by_key_kernelINS1_19lookback_scan_stateINS0_5tupleIJ11FixedVectorIiLj2EEbEEELb1ELb1EEENS1_16block_id_wrapperIjLb1EEEEEvT_jjPNSB_10value_typeET0_
	.globl	_ZN7rocprim17ROCPRIM_400000_NS6detail30init_device_scan_by_key_kernelINS1_19lookback_scan_stateINS0_5tupleIJ11FixedVectorIiLj2EEbEEELb1ELb1EEENS1_16block_id_wrapperIjLb1EEEEEvT_jjPNSB_10value_typeET0_
	.p2align	8
	.type	_ZN7rocprim17ROCPRIM_400000_NS6detail30init_device_scan_by_key_kernelINS1_19lookback_scan_stateINS0_5tupleIJ11FixedVectorIiLj2EEbEEELb1ELb1EEENS1_16block_id_wrapperIjLb1EEEEEvT_jjPNSB_10value_typeET0_,@function
_ZN7rocprim17ROCPRIM_400000_NS6detail30init_device_scan_by_key_kernelINS1_19lookback_scan_stateINS0_5tupleIJ11FixedVectorIiLj2EEbEEELb1ELb1EEENS1_16block_id_wrapperIjLb1EEEEEvT_jjPNSB_10value_typeET0_: ; @_ZN7rocprim17ROCPRIM_400000_NS6detail30init_device_scan_by_key_kernelINS1_19lookback_scan_stateINS0_5tupleIJ11FixedVectorIiLj2EEbEEELb1ELb1EEENS1_16block_id_wrapperIjLb1EEEEEvT_jjPNSB_10value_typeET0_
; %bb.0:
	s_clause 0x1
	s_load_b32 s2, s[0:1], 0x2c
	s_load_b256 s[4:11], s[0:1], 0x0
	s_wait_xcnt 0x0
	s_bfe_u32 s0, ttmp6, 0x4000c
	s_and_b32 s1, ttmp6, 15
	s_add_co_i32 s0, s0, 1
	s_getreg_b32 s3, hwreg(HW_REG_IB_STS2, 6, 4)
	s_mul_i32 s0, ttmp9, s0
	s_delay_alu instid0(SALU_CYCLE_1)
	s_add_co_i32 s1, s1, s0
	s_wait_kmcnt 0x0
	s_and_b32 s2, s2, 0xffff
	s_cmp_eq_u32 s3, 0
	s_cselect_b32 s0, ttmp9, s1
	s_cmp_eq_u64 s[8:9], 0
	v_mad_u32 v8, s0, s2, v0
	s_cbranch_scc1 .LBB1961_10
; %bb.1:
	s_cmp_lt_u32 s7, s6
	s_mov_b32 s12, exec_lo
	s_cselect_b32 s0, s7, 0
	s_delay_alu instid0(VALU_DEP_1) | instid1(SALU_CYCLE_1)
	v_cmpx_eq_u32_e64 s0, v8
	s_cbranch_execz .LBB1961_9
; %bb.2:
	s_add_co_i32 s0, s7, 32
	s_mov_b32 s1, 0
	s_delay_alu instid0(SALU_CYCLE_1) | instskip(SKIP_2) | instid1(SALU_CYCLE_1)
	s_lshl_b64 s[2:3], s[0:1], 4
	s_mov_b32 s0, exec_lo
	s_add_nc_u64 s[2:3], s[4:5], s[2:3]
	v_mov_b64_e32 v[0:1], s[2:3]
	;;#ASMSTART
	global_load_b128 v[0:3], v[0:1] off scope:SCOPE_DEV	
s_wait_loadcnt 0x0
	;;#ASMEND
	s_delay_alu instid0(VALU_DEP_1) | instskip(SKIP_1) | instid1(VALU_DEP_1)
	v_dual_mov_b32 v4, 0 :: v_dual_mov_b32 v6, v1
	v_and_b32_e32 v5, 0xff, v3
	v_cmpx_eq_u64_e32 0, v[4:5]
	s_cbranch_execz .LBB1961_8
; %bb.3:
	v_mov_b64_e32 v[6:7], s[2:3]
	s_mov_b32 s2, 1
.LBB1961_4:                             ; =>This Loop Header: Depth=1
                                        ;     Child Loop BB1961_5 Depth 2
	s_delay_alu instid0(SALU_CYCLE_1)
	s_mov_b32 s3, s2
.LBB1961_5:                             ;   Parent Loop BB1961_4 Depth=1
                                        ; =>  This Inner Loop Header: Depth=2
	s_delay_alu instid0(SALU_CYCLE_1)
	s_add_co_i32 s3, s3, -1
	s_sleep 1
	s_cmp_eq_u32 s3, 0
	s_cbranch_scc0 .LBB1961_5
; %bb.6:                                ;   in Loop: Header=BB1961_4 Depth=1
	;;#ASMSTART
	global_load_b128 v[0:3], v[6:7] off scope:SCOPE_DEV	
s_wait_loadcnt 0x0
	;;#ASMEND
	v_and_b32_e32 v5, 0xff, v3
	s_cmp_lt_u32 s2, 32
	s_cselect_b32 s3, -1, 0
	s_delay_alu instid0(VALU_DEP_1) | instskip(SKIP_3) | instid1(SALU_CYCLE_1)
	v_cmp_ne_u64_e32 vcc_lo, 0, v[4:5]
	s_cmp_lg_u32 s3, 0
	s_add_co_ci_u32 s2, s2, 0
	s_or_b32 s1, vcc_lo, s1
	s_and_not1_b32 exec_lo, exec_lo, s1
	s_cbranch_execnz .LBB1961_4
; %bb.7:
	s_or_b32 exec_lo, exec_lo, s1
	v_mov_b32_e32 v6, v1
.LBB1961_8:
	s_or_b32 exec_lo, exec_lo, s0
	s_delay_alu instid0(VALU_DEP_1)
	v_dual_mov_b32 v3, 0 :: v_dual_mov_b32 v1, v6
	s_clause 0x1
	global_store_b64 v3, v[0:1], s[8:9]
	global_store_b8 v3, v2, s[8:9] offset:8
.LBB1961_9:
	s_wait_xcnt 0x0
	s_or_b32 exec_lo, exec_lo, s12
.LBB1961_10:
	s_delay_alu instid0(SALU_CYCLE_1) | instskip(NEXT) | instid1(VALU_DEP_1)
	s_mov_b32 s0, exec_lo
	v_cmpx_eq_u32_e32 0, v8
	s_cbranch_execz .LBB1961_12
; %bb.11:
	v_mov_b32_e32 v0, 0
	global_store_b32 v0, v0, s[10:11]
.LBB1961_12:
	s_wait_xcnt 0x0
	s_or_b32 exec_lo, exec_lo, s0
	s_delay_alu instid0(SALU_CYCLE_1)
	s_mov_b32 s0, exec_lo
	v_cmpx_gt_u32_e64 s6, v8
	s_cbranch_execz .LBB1961_14
; %bb.13:
	v_dual_mov_b32 v0, 0 :: v_dual_add_nc_u32 v4, 32, v8
	s_delay_alu instid0(VALU_DEP_1)
	v_dual_mov_b32 v1, v0 :: v_dual_mov_b32 v2, v0
	v_mov_b32_e32 v3, v0
	global_store_b128 v4, v[0:3], s[4:5] scale_offset
.LBB1961_14:
	s_wait_xcnt 0x0
	s_or_b32 exec_lo, exec_lo, s0
	s_delay_alu instid0(SALU_CYCLE_1)
	s_mov_b32 s0, exec_lo
	v_cmpx_gt_u32_e32 32, v8
	s_cbranch_execz .LBB1961_16
; %bb.15:
	v_dual_mov_b32 v0, 0 :: v_dual_mov_b32 v3, 0xff
	s_delay_alu instid0(VALU_DEP_1)
	v_dual_mov_b32 v1, v0 :: v_dual_mov_b32 v2, v0
	global_store_b128 v8, v[0:3], s[4:5] scale_offset
.LBB1961_16:
	s_endpgm
	.section	.rodata,"a",@progbits
	.p2align	6, 0x0
	.amdhsa_kernel _ZN7rocprim17ROCPRIM_400000_NS6detail30init_device_scan_by_key_kernelINS1_19lookback_scan_stateINS0_5tupleIJ11FixedVectorIiLj2EEbEEELb1ELb1EEENS1_16block_id_wrapperIjLb1EEEEEvT_jjPNSB_10value_typeET0_
		.amdhsa_group_segment_fixed_size 0
		.amdhsa_private_segment_fixed_size 0
		.amdhsa_kernarg_size 288
		.amdhsa_user_sgpr_count 2
		.amdhsa_user_sgpr_dispatch_ptr 0
		.amdhsa_user_sgpr_queue_ptr 0
		.amdhsa_user_sgpr_kernarg_segment_ptr 1
		.amdhsa_user_sgpr_dispatch_id 0
		.amdhsa_user_sgpr_kernarg_preload_length 0
		.amdhsa_user_sgpr_kernarg_preload_offset 0
		.amdhsa_user_sgpr_private_segment_size 0
		.amdhsa_wavefront_size32 1
		.amdhsa_uses_dynamic_stack 0
		.amdhsa_enable_private_segment 0
		.amdhsa_system_sgpr_workgroup_id_x 1
		.amdhsa_system_sgpr_workgroup_id_y 0
		.amdhsa_system_sgpr_workgroup_id_z 0
		.amdhsa_system_sgpr_workgroup_info 0
		.amdhsa_system_vgpr_workitem_id 0
		.amdhsa_next_free_vgpr 9
		.amdhsa_next_free_sgpr 13
		.amdhsa_named_barrier_count 0
		.amdhsa_reserve_vcc 1
		.amdhsa_float_round_mode_32 0
		.amdhsa_float_round_mode_16_64 0
		.amdhsa_float_denorm_mode_32 3
		.amdhsa_float_denorm_mode_16_64 3
		.amdhsa_fp16_overflow 0
		.amdhsa_memory_ordered 1
		.amdhsa_forward_progress 1
		.amdhsa_inst_pref_size 4
		.amdhsa_round_robin_scheduling 0
		.amdhsa_exception_fp_ieee_invalid_op 0
		.amdhsa_exception_fp_denorm_src 0
		.amdhsa_exception_fp_ieee_div_zero 0
		.amdhsa_exception_fp_ieee_overflow 0
		.amdhsa_exception_fp_ieee_underflow 0
		.amdhsa_exception_fp_ieee_inexact 0
		.amdhsa_exception_int_div_zero 0
	.end_amdhsa_kernel
	.section	.text._ZN7rocprim17ROCPRIM_400000_NS6detail30init_device_scan_by_key_kernelINS1_19lookback_scan_stateINS0_5tupleIJ11FixedVectorIiLj2EEbEEELb1ELb1EEENS1_16block_id_wrapperIjLb1EEEEEvT_jjPNSB_10value_typeET0_,"axG",@progbits,_ZN7rocprim17ROCPRIM_400000_NS6detail30init_device_scan_by_key_kernelINS1_19lookback_scan_stateINS0_5tupleIJ11FixedVectorIiLj2EEbEEELb1ELb1EEENS1_16block_id_wrapperIjLb1EEEEEvT_jjPNSB_10value_typeET0_,comdat
.Lfunc_end1961:
	.size	_ZN7rocprim17ROCPRIM_400000_NS6detail30init_device_scan_by_key_kernelINS1_19lookback_scan_stateINS0_5tupleIJ11FixedVectorIiLj2EEbEEELb1ELb1EEENS1_16block_id_wrapperIjLb1EEEEEvT_jjPNSB_10value_typeET0_, .Lfunc_end1961-_ZN7rocprim17ROCPRIM_400000_NS6detail30init_device_scan_by_key_kernelINS1_19lookback_scan_stateINS0_5tupleIJ11FixedVectorIiLj2EEbEEELb1ELb1EEENS1_16block_id_wrapperIjLb1EEEEEvT_jjPNSB_10value_typeET0_
                                        ; -- End function
	.set _ZN7rocprim17ROCPRIM_400000_NS6detail30init_device_scan_by_key_kernelINS1_19lookback_scan_stateINS0_5tupleIJ11FixedVectorIiLj2EEbEEELb1ELb1EEENS1_16block_id_wrapperIjLb1EEEEEvT_jjPNSB_10value_typeET0_.num_vgpr, 9
	.set _ZN7rocprim17ROCPRIM_400000_NS6detail30init_device_scan_by_key_kernelINS1_19lookback_scan_stateINS0_5tupleIJ11FixedVectorIiLj2EEbEEELb1ELb1EEENS1_16block_id_wrapperIjLb1EEEEEvT_jjPNSB_10value_typeET0_.num_agpr, 0
	.set _ZN7rocprim17ROCPRIM_400000_NS6detail30init_device_scan_by_key_kernelINS1_19lookback_scan_stateINS0_5tupleIJ11FixedVectorIiLj2EEbEEELb1ELb1EEENS1_16block_id_wrapperIjLb1EEEEEvT_jjPNSB_10value_typeET0_.numbered_sgpr, 13
	.set _ZN7rocprim17ROCPRIM_400000_NS6detail30init_device_scan_by_key_kernelINS1_19lookback_scan_stateINS0_5tupleIJ11FixedVectorIiLj2EEbEEELb1ELb1EEENS1_16block_id_wrapperIjLb1EEEEEvT_jjPNSB_10value_typeET0_.num_named_barrier, 0
	.set _ZN7rocprim17ROCPRIM_400000_NS6detail30init_device_scan_by_key_kernelINS1_19lookback_scan_stateINS0_5tupleIJ11FixedVectorIiLj2EEbEEELb1ELb1EEENS1_16block_id_wrapperIjLb1EEEEEvT_jjPNSB_10value_typeET0_.private_seg_size, 0
	.set _ZN7rocprim17ROCPRIM_400000_NS6detail30init_device_scan_by_key_kernelINS1_19lookback_scan_stateINS0_5tupleIJ11FixedVectorIiLj2EEbEEELb1ELb1EEENS1_16block_id_wrapperIjLb1EEEEEvT_jjPNSB_10value_typeET0_.uses_vcc, 1
	.set _ZN7rocprim17ROCPRIM_400000_NS6detail30init_device_scan_by_key_kernelINS1_19lookback_scan_stateINS0_5tupleIJ11FixedVectorIiLj2EEbEEELb1ELb1EEENS1_16block_id_wrapperIjLb1EEEEEvT_jjPNSB_10value_typeET0_.uses_flat_scratch, 0
	.set _ZN7rocprim17ROCPRIM_400000_NS6detail30init_device_scan_by_key_kernelINS1_19lookback_scan_stateINS0_5tupleIJ11FixedVectorIiLj2EEbEEELb1ELb1EEENS1_16block_id_wrapperIjLb1EEEEEvT_jjPNSB_10value_typeET0_.has_dyn_sized_stack, 0
	.set _ZN7rocprim17ROCPRIM_400000_NS6detail30init_device_scan_by_key_kernelINS1_19lookback_scan_stateINS0_5tupleIJ11FixedVectorIiLj2EEbEEELb1ELb1EEENS1_16block_id_wrapperIjLb1EEEEEvT_jjPNSB_10value_typeET0_.has_recursion, 0
	.set _ZN7rocprim17ROCPRIM_400000_NS6detail30init_device_scan_by_key_kernelINS1_19lookback_scan_stateINS0_5tupleIJ11FixedVectorIiLj2EEbEEELb1ELb1EEENS1_16block_id_wrapperIjLb1EEEEEvT_jjPNSB_10value_typeET0_.has_indirect_call, 0
	.section	.AMDGPU.csdata,"",@progbits
; Kernel info:
; codeLenInByte = 488
; TotalNumSgprs: 15
; NumVgprs: 9
; ScratchSize: 0
; MemoryBound: 0
; FloatMode: 240
; IeeeMode: 1
; LDSByteSize: 0 bytes/workgroup (compile time only)
; SGPRBlocks: 0
; VGPRBlocks: 0
; NumSGPRsForWavesPerEU: 15
; NumVGPRsForWavesPerEU: 9
; NamedBarCnt: 0
; Occupancy: 16
; WaveLimiterHint : 0
; COMPUTE_PGM_RSRC2:SCRATCH_EN: 0
; COMPUTE_PGM_RSRC2:USER_SGPR: 2
; COMPUTE_PGM_RSRC2:TRAP_HANDLER: 0
; COMPUTE_PGM_RSRC2:TGID_X_EN: 1
; COMPUTE_PGM_RSRC2:TGID_Y_EN: 0
; COMPUTE_PGM_RSRC2:TGID_Z_EN: 0
; COMPUTE_PGM_RSRC2:TIDIG_COMP_CNT: 0
	.section	.text._ZN7rocprim17ROCPRIM_400000_NS6detail17trampoline_kernelINS0_14default_configENS1_27scan_by_key_config_selectorIj11FixedVectorIiLj2EEEEZZNS1_16scan_by_key_implILNS1_25lookback_scan_determinismE0ELb0ES3_N6thrust23THRUST_200600_302600_NS6detail15normal_iteratorINSB_10device_ptrIjEEEENSD_INSE_IS6_EEEESI_S6_NSB_4plusIvEENSB_8equal_toIvEES6_EE10hipError_tPvRmT2_T3_T4_T5_mT6_T7_P12ihipStream_tbENKUlT_T0_E_clISt17integral_constantIbLb1EES13_EEDaSY_SZ_EUlSY_E_NS1_11comp_targetILNS1_3genE0ELNS1_11target_archE4294967295ELNS1_3gpuE0ELNS1_3repE0EEENS1_30default_config_static_selectorELNS0_4arch9wavefront6targetE0EEEvT1_,"axG",@progbits,_ZN7rocprim17ROCPRIM_400000_NS6detail17trampoline_kernelINS0_14default_configENS1_27scan_by_key_config_selectorIj11FixedVectorIiLj2EEEEZZNS1_16scan_by_key_implILNS1_25lookback_scan_determinismE0ELb0ES3_N6thrust23THRUST_200600_302600_NS6detail15normal_iteratorINSB_10device_ptrIjEEEENSD_INSE_IS6_EEEESI_S6_NSB_4plusIvEENSB_8equal_toIvEES6_EE10hipError_tPvRmT2_T3_T4_T5_mT6_T7_P12ihipStream_tbENKUlT_T0_E_clISt17integral_constantIbLb1EES13_EEDaSY_SZ_EUlSY_E_NS1_11comp_targetILNS1_3genE0ELNS1_11target_archE4294967295ELNS1_3gpuE0ELNS1_3repE0EEENS1_30default_config_static_selectorELNS0_4arch9wavefront6targetE0EEEvT1_,comdat
	.protected	_ZN7rocprim17ROCPRIM_400000_NS6detail17trampoline_kernelINS0_14default_configENS1_27scan_by_key_config_selectorIj11FixedVectorIiLj2EEEEZZNS1_16scan_by_key_implILNS1_25lookback_scan_determinismE0ELb0ES3_N6thrust23THRUST_200600_302600_NS6detail15normal_iteratorINSB_10device_ptrIjEEEENSD_INSE_IS6_EEEESI_S6_NSB_4plusIvEENSB_8equal_toIvEES6_EE10hipError_tPvRmT2_T3_T4_T5_mT6_T7_P12ihipStream_tbENKUlT_T0_E_clISt17integral_constantIbLb1EES13_EEDaSY_SZ_EUlSY_E_NS1_11comp_targetILNS1_3genE0ELNS1_11target_archE4294967295ELNS1_3gpuE0ELNS1_3repE0EEENS1_30default_config_static_selectorELNS0_4arch9wavefront6targetE0EEEvT1_ ; -- Begin function _ZN7rocprim17ROCPRIM_400000_NS6detail17trampoline_kernelINS0_14default_configENS1_27scan_by_key_config_selectorIj11FixedVectorIiLj2EEEEZZNS1_16scan_by_key_implILNS1_25lookback_scan_determinismE0ELb0ES3_N6thrust23THRUST_200600_302600_NS6detail15normal_iteratorINSB_10device_ptrIjEEEENSD_INSE_IS6_EEEESI_S6_NSB_4plusIvEENSB_8equal_toIvEES6_EE10hipError_tPvRmT2_T3_T4_T5_mT6_T7_P12ihipStream_tbENKUlT_T0_E_clISt17integral_constantIbLb1EES13_EEDaSY_SZ_EUlSY_E_NS1_11comp_targetILNS1_3genE0ELNS1_11target_archE4294967295ELNS1_3gpuE0ELNS1_3repE0EEENS1_30default_config_static_selectorELNS0_4arch9wavefront6targetE0EEEvT1_
	.globl	_ZN7rocprim17ROCPRIM_400000_NS6detail17trampoline_kernelINS0_14default_configENS1_27scan_by_key_config_selectorIj11FixedVectorIiLj2EEEEZZNS1_16scan_by_key_implILNS1_25lookback_scan_determinismE0ELb0ES3_N6thrust23THRUST_200600_302600_NS6detail15normal_iteratorINSB_10device_ptrIjEEEENSD_INSE_IS6_EEEESI_S6_NSB_4plusIvEENSB_8equal_toIvEES6_EE10hipError_tPvRmT2_T3_T4_T5_mT6_T7_P12ihipStream_tbENKUlT_T0_E_clISt17integral_constantIbLb1EES13_EEDaSY_SZ_EUlSY_E_NS1_11comp_targetILNS1_3genE0ELNS1_11target_archE4294967295ELNS1_3gpuE0ELNS1_3repE0EEENS1_30default_config_static_selectorELNS0_4arch9wavefront6targetE0EEEvT1_
	.p2align	8
	.type	_ZN7rocprim17ROCPRIM_400000_NS6detail17trampoline_kernelINS0_14default_configENS1_27scan_by_key_config_selectorIj11FixedVectorIiLj2EEEEZZNS1_16scan_by_key_implILNS1_25lookback_scan_determinismE0ELb0ES3_N6thrust23THRUST_200600_302600_NS6detail15normal_iteratorINSB_10device_ptrIjEEEENSD_INSE_IS6_EEEESI_S6_NSB_4plusIvEENSB_8equal_toIvEES6_EE10hipError_tPvRmT2_T3_T4_T5_mT6_T7_P12ihipStream_tbENKUlT_T0_E_clISt17integral_constantIbLb1EES13_EEDaSY_SZ_EUlSY_E_NS1_11comp_targetILNS1_3genE0ELNS1_11target_archE4294967295ELNS1_3gpuE0ELNS1_3repE0EEENS1_30default_config_static_selectorELNS0_4arch9wavefront6targetE0EEEvT1_,@function
_ZN7rocprim17ROCPRIM_400000_NS6detail17trampoline_kernelINS0_14default_configENS1_27scan_by_key_config_selectorIj11FixedVectorIiLj2EEEEZZNS1_16scan_by_key_implILNS1_25lookback_scan_determinismE0ELb0ES3_N6thrust23THRUST_200600_302600_NS6detail15normal_iteratorINSB_10device_ptrIjEEEENSD_INSE_IS6_EEEESI_S6_NSB_4plusIvEENSB_8equal_toIvEES6_EE10hipError_tPvRmT2_T3_T4_T5_mT6_T7_P12ihipStream_tbENKUlT_T0_E_clISt17integral_constantIbLb1EES13_EEDaSY_SZ_EUlSY_E_NS1_11comp_targetILNS1_3genE0ELNS1_11target_archE4294967295ELNS1_3gpuE0ELNS1_3repE0EEENS1_30default_config_static_selectorELNS0_4arch9wavefront6targetE0EEEvT1_: ; @_ZN7rocprim17ROCPRIM_400000_NS6detail17trampoline_kernelINS0_14default_configENS1_27scan_by_key_config_selectorIj11FixedVectorIiLj2EEEEZZNS1_16scan_by_key_implILNS1_25lookback_scan_determinismE0ELb0ES3_N6thrust23THRUST_200600_302600_NS6detail15normal_iteratorINSB_10device_ptrIjEEEENSD_INSE_IS6_EEEESI_S6_NSB_4plusIvEENSB_8equal_toIvEES6_EE10hipError_tPvRmT2_T3_T4_T5_mT6_T7_P12ihipStream_tbENKUlT_T0_E_clISt17integral_constantIbLb1EES13_EEDaSY_SZ_EUlSY_E_NS1_11comp_targetILNS1_3genE0ELNS1_11target_archE4294967295ELNS1_3gpuE0ELNS1_3repE0EEENS1_30default_config_static_selectorELNS0_4arch9wavefront6targetE0EEEvT1_
; %bb.0:
	s_endpgm
	.section	.rodata,"a",@progbits
	.p2align	6, 0x0
	.amdhsa_kernel _ZN7rocprim17ROCPRIM_400000_NS6detail17trampoline_kernelINS0_14default_configENS1_27scan_by_key_config_selectorIj11FixedVectorIiLj2EEEEZZNS1_16scan_by_key_implILNS1_25lookback_scan_determinismE0ELb0ES3_N6thrust23THRUST_200600_302600_NS6detail15normal_iteratorINSB_10device_ptrIjEEEENSD_INSE_IS6_EEEESI_S6_NSB_4plusIvEENSB_8equal_toIvEES6_EE10hipError_tPvRmT2_T3_T4_T5_mT6_T7_P12ihipStream_tbENKUlT_T0_E_clISt17integral_constantIbLb1EES13_EEDaSY_SZ_EUlSY_E_NS1_11comp_targetILNS1_3genE0ELNS1_11target_archE4294967295ELNS1_3gpuE0ELNS1_3repE0EEENS1_30default_config_static_selectorELNS0_4arch9wavefront6targetE0EEEvT1_
		.amdhsa_group_segment_fixed_size 0
		.amdhsa_private_segment_fixed_size 0
		.amdhsa_kernarg_size 120
		.amdhsa_user_sgpr_count 2
		.amdhsa_user_sgpr_dispatch_ptr 0
		.amdhsa_user_sgpr_queue_ptr 0
		.amdhsa_user_sgpr_kernarg_segment_ptr 1
		.amdhsa_user_sgpr_dispatch_id 0
		.amdhsa_user_sgpr_kernarg_preload_length 0
		.amdhsa_user_sgpr_kernarg_preload_offset 0
		.amdhsa_user_sgpr_private_segment_size 0
		.amdhsa_wavefront_size32 1
		.amdhsa_uses_dynamic_stack 0
		.amdhsa_enable_private_segment 0
		.amdhsa_system_sgpr_workgroup_id_x 1
		.amdhsa_system_sgpr_workgroup_id_y 0
		.amdhsa_system_sgpr_workgroup_id_z 0
		.amdhsa_system_sgpr_workgroup_info 0
		.amdhsa_system_vgpr_workitem_id 0
		.amdhsa_next_free_vgpr 1
		.amdhsa_next_free_sgpr 1
		.amdhsa_named_barrier_count 0
		.amdhsa_reserve_vcc 0
		.amdhsa_float_round_mode_32 0
		.amdhsa_float_round_mode_16_64 0
		.amdhsa_float_denorm_mode_32 3
		.amdhsa_float_denorm_mode_16_64 3
		.amdhsa_fp16_overflow 0
		.amdhsa_memory_ordered 1
		.amdhsa_forward_progress 1
		.amdhsa_inst_pref_size 1
		.amdhsa_round_robin_scheduling 0
		.amdhsa_exception_fp_ieee_invalid_op 0
		.amdhsa_exception_fp_denorm_src 0
		.amdhsa_exception_fp_ieee_div_zero 0
		.amdhsa_exception_fp_ieee_overflow 0
		.amdhsa_exception_fp_ieee_underflow 0
		.amdhsa_exception_fp_ieee_inexact 0
		.amdhsa_exception_int_div_zero 0
	.end_amdhsa_kernel
	.section	.text._ZN7rocprim17ROCPRIM_400000_NS6detail17trampoline_kernelINS0_14default_configENS1_27scan_by_key_config_selectorIj11FixedVectorIiLj2EEEEZZNS1_16scan_by_key_implILNS1_25lookback_scan_determinismE0ELb0ES3_N6thrust23THRUST_200600_302600_NS6detail15normal_iteratorINSB_10device_ptrIjEEEENSD_INSE_IS6_EEEESI_S6_NSB_4plusIvEENSB_8equal_toIvEES6_EE10hipError_tPvRmT2_T3_T4_T5_mT6_T7_P12ihipStream_tbENKUlT_T0_E_clISt17integral_constantIbLb1EES13_EEDaSY_SZ_EUlSY_E_NS1_11comp_targetILNS1_3genE0ELNS1_11target_archE4294967295ELNS1_3gpuE0ELNS1_3repE0EEENS1_30default_config_static_selectorELNS0_4arch9wavefront6targetE0EEEvT1_,"axG",@progbits,_ZN7rocprim17ROCPRIM_400000_NS6detail17trampoline_kernelINS0_14default_configENS1_27scan_by_key_config_selectorIj11FixedVectorIiLj2EEEEZZNS1_16scan_by_key_implILNS1_25lookback_scan_determinismE0ELb0ES3_N6thrust23THRUST_200600_302600_NS6detail15normal_iteratorINSB_10device_ptrIjEEEENSD_INSE_IS6_EEEESI_S6_NSB_4plusIvEENSB_8equal_toIvEES6_EE10hipError_tPvRmT2_T3_T4_T5_mT6_T7_P12ihipStream_tbENKUlT_T0_E_clISt17integral_constantIbLb1EES13_EEDaSY_SZ_EUlSY_E_NS1_11comp_targetILNS1_3genE0ELNS1_11target_archE4294967295ELNS1_3gpuE0ELNS1_3repE0EEENS1_30default_config_static_selectorELNS0_4arch9wavefront6targetE0EEEvT1_,comdat
.Lfunc_end1962:
	.size	_ZN7rocprim17ROCPRIM_400000_NS6detail17trampoline_kernelINS0_14default_configENS1_27scan_by_key_config_selectorIj11FixedVectorIiLj2EEEEZZNS1_16scan_by_key_implILNS1_25lookback_scan_determinismE0ELb0ES3_N6thrust23THRUST_200600_302600_NS6detail15normal_iteratorINSB_10device_ptrIjEEEENSD_INSE_IS6_EEEESI_S6_NSB_4plusIvEENSB_8equal_toIvEES6_EE10hipError_tPvRmT2_T3_T4_T5_mT6_T7_P12ihipStream_tbENKUlT_T0_E_clISt17integral_constantIbLb1EES13_EEDaSY_SZ_EUlSY_E_NS1_11comp_targetILNS1_3genE0ELNS1_11target_archE4294967295ELNS1_3gpuE0ELNS1_3repE0EEENS1_30default_config_static_selectorELNS0_4arch9wavefront6targetE0EEEvT1_, .Lfunc_end1962-_ZN7rocprim17ROCPRIM_400000_NS6detail17trampoline_kernelINS0_14default_configENS1_27scan_by_key_config_selectorIj11FixedVectorIiLj2EEEEZZNS1_16scan_by_key_implILNS1_25lookback_scan_determinismE0ELb0ES3_N6thrust23THRUST_200600_302600_NS6detail15normal_iteratorINSB_10device_ptrIjEEEENSD_INSE_IS6_EEEESI_S6_NSB_4plusIvEENSB_8equal_toIvEES6_EE10hipError_tPvRmT2_T3_T4_T5_mT6_T7_P12ihipStream_tbENKUlT_T0_E_clISt17integral_constantIbLb1EES13_EEDaSY_SZ_EUlSY_E_NS1_11comp_targetILNS1_3genE0ELNS1_11target_archE4294967295ELNS1_3gpuE0ELNS1_3repE0EEENS1_30default_config_static_selectorELNS0_4arch9wavefront6targetE0EEEvT1_
                                        ; -- End function
	.set _ZN7rocprim17ROCPRIM_400000_NS6detail17trampoline_kernelINS0_14default_configENS1_27scan_by_key_config_selectorIj11FixedVectorIiLj2EEEEZZNS1_16scan_by_key_implILNS1_25lookback_scan_determinismE0ELb0ES3_N6thrust23THRUST_200600_302600_NS6detail15normal_iteratorINSB_10device_ptrIjEEEENSD_INSE_IS6_EEEESI_S6_NSB_4plusIvEENSB_8equal_toIvEES6_EE10hipError_tPvRmT2_T3_T4_T5_mT6_T7_P12ihipStream_tbENKUlT_T0_E_clISt17integral_constantIbLb1EES13_EEDaSY_SZ_EUlSY_E_NS1_11comp_targetILNS1_3genE0ELNS1_11target_archE4294967295ELNS1_3gpuE0ELNS1_3repE0EEENS1_30default_config_static_selectorELNS0_4arch9wavefront6targetE0EEEvT1_.num_vgpr, 0
	.set _ZN7rocprim17ROCPRIM_400000_NS6detail17trampoline_kernelINS0_14default_configENS1_27scan_by_key_config_selectorIj11FixedVectorIiLj2EEEEZZNS1_16scan_by_key_implILNS1_25lookback_scan_determinismE0ELb0ES3_N6thrust23THRUST_200600_302600_NS6detail15normal_iteratorINSB_10device_ptrIjEEEENSD_INSE_IS6_EEEESI_S6_NSB_4plusIvEENSB_8equal_toIvEES6_EE10hipError_tPvRmT2_T3_T4_T5_mT6_T7_P12ihipStream_tbENKUlT_T0_E_clISt17integral_constantIbLb1EES13_EEDaSY_SZ_EUlSY_E_NS1_11comp_targetILNS1_3genE0ELNS1_11target_archE4294967295ELNS1_3gpuE0ELNS1_3repE0EEENS1_30default_config_static_selectorELNS0_4arch9wavefront6targetE0EEEvT1_.num_agpr, 0
	.set _ZN7rocprim17ROCPRIM_400000_NS6detail17trampoline_kernelINS0_14default_configENS1_27scan_by_key_config_selectorIj11FixedVectorIiLj2EEEEZZNS1_16scan_by_key_implILNS1_25lookback_scan_determinismE0ELb0ES3_N6thrust23THRUST_200600_302600_NS6detail15normal_iteratorINSB_10device_ptrIjEEEENSD_INSE_IS6_EEEESI_S6_NSB_4plusIvEENSB_8equal_toIvEES6_EE10hipError_tPvRmT2_T3_T4_T5_mT6_T7_P12ihipStream_tbENKUlT_T0_E_clISt17integral_constantIbLb1EES13_EEDaSY_SZ_EUlSY_E_NS1_11comp_targetILNS1_3genE0ELNS1_11target_archE4294967295ELNS1_3gpuE0ELNS1_3repE0EEENS1_30default_config_static_selectorELNS0_4arch9wavefront6targetE0EEEvT1_.numbered_sgpr, 0
	.set _ZN7rocprim17ROCPRIM_400000_NS6detail17trampoline_kernelINS0_14default_configENS1_27scan_by_key_config_selectorIj11FixedVectorIiLj2EEEEZZNS1_16scan_by_key_implILNS1_25lookback_scan_determinismE0ELb0ES3_N6thrust23THRUST_200600_302600_NS6detail15normal_iteratorINSB_10device_ptrIjEEEENSD_INSE_IS6_EEEESI_S6_NSB_4plusIvEENSB_8equal_toIvEES6_EE10hipError_tPvRmT2_T3_T4_T5_mT6_T7_P12ihipStream_tbENKUlT_T0_E_clISt17integral_constantIbLb1EES13_EEDaSY_SZ_EUlSY_E_NS1_11comp_targetILNS1_3genE0ELNS1_11target_archE4294967295ELNS1_3gpuE0ELNS1_3repE0EEENS1_30default_config_static_selectorELNS0_4arch9wavefront6targetE0EEEvT1_.num_named_barrier, 0
	.set _ZN7rocprim17ROCPRIM_400000_NS6detail17trampoline_kernelINS0_14default_configENS1_27scan_by_key_config_selectorIj11FixedVectorIiLj2EEEEZZNS1_16scan_by_key_implILNS1_25lookback_scan_determinismE0ELb0ES3_N6thrust23THRUST_200600_302600_NS6detail15normal_iteratorINSB_10device_ptrIjEEEENSD_INSE_IS6_EEEESI_S6_NSB_4plusIvEENSB_8equal_toIvEES6_EE10hipError_tPvRmT2_T3_T4_T5_mT6_T7_P12ihipStream_tbENKUlT_T0_E_clISt17integral_constantIbLb1EES13_EEDaSY_SZ_EUlSY_E_NS1_11comp_targetILNS1_3genE0ELNS1_11target_archE4294967295ELNS1_3gpuE0ELNS1_3repE0EEENS1_30default_config_static_selectorELNS0_4arch9wavefront6targetE0EEEvT1_.private_seg_size, 0
	.set _ZN7rocprim17ROCPRIM_400000_NS6detail17trampoline_kernelINS0_14default_configENS1_27scan_by_key_config_selectorIj11FixedVectorIiLj2EEEEZZNS1_16scan_by_key_implILNS1_25lookback_scan_determinismE0ELb0ES3_N6thrust23THRUST_200600_302600_NS6detail15normal_iteratorINSB_10device_ptrIjEEEENSD_INSE_IS6_EEEESI_S6_NSB_4plusIvEENSB_8equal_toIvEES6_EE10hipError_tPvRmT2_T3_T4_T5_mT6_T7_P12ihipStream_tbENKUlT_T0_E_clISt17integral_constantIbLb1EES13_EEDaSY_SZ_EUlSY_E_NS1_11comp_targetILNS1_3genE0ELNS1_11target_archE4294967295ELNS1_3gpuE0ELNS1_3repE0EEENS1_30default_config_static_selectorELNS0_4arch9wavefront6targetE0EEEvT1_.uses_vcc, 0
	.set _ZN7rocprim17ROCPRIM_400000_NS6detail17trampoline_kernelINS0_14default_configENS1_27scan_by_key_config_selectorIj11FixedVectorIiLj2EEEEZZNS1_16scan_by_key_implILNS1_25lookback_scan_determinismE0ELb0ES3_N6thrust23THRUST_200600_302600_NS6detail15normal_iteratorINSB_10device_ptrIjEEEENSD_INSE_IS6_EEEESI_S6_NSB_4plusIvEENSB_8equal_toIvEES6_EE10hipError_tPvRmT2_T3_T4_T5_mT6_T7_P12ihipStream_tbENKUlT_T0_E_clISt17integral_constantIbLb1EES13_EEDaSY_SZ_EUlSY_E_NS1_11comp_targetILNS1_3genE0ELNS1_11target_archE4294967295ELNS1_3gpuE0ELNS1_3repE0EEENS1_30default_config_static_selectorELNS0_4arch9wavefront6targetE0EEEvT1_.uses_flat_scratch, 0
	.set _ZN7rocprim17ROCPRIM_400000_NS6detail17trampoline_kernelINS0_14default_configENS1_27scan_by_key_config_selectorIj11FixedVectorIiLj2EEEEZZNS1_16scan_by_key_implILNS1_25lookback_scan_determinismE0ELb0ES3_N6thrust23THRUST_200600_302600_NS6detail15normal_iteratorINSB_10device_ptrIjEEEENSD_INSE_IS6_EEEESI_S6_NSB_4plusIvEENSB_8equal_toIvEES6_EE10hipError_tPvRmT2_T3_T4_T5_mT6_T7_P12ihipStream_tbENKUlT_T0_E_clISt17integral_constantIbLb1EES13_EEDaSY_SZ_EUlSY_E_NS1_11comp_targetILNS1_3genE0ELNS1_11target_archE4294967295ELNS1_3gpuE0ELNS1_3repE0EEENS1_30default_config_static_selectorELNS0_4arch9wavefront6targetE0EEEvT1_.has_dyn_sized_stack, 0
	.set _ZN7rocprim17ROCPRIM_400000_NS6detail17trampoline_kernelINS0_14default_configENS1_27scan_by_key_config_selectorIj11FixedVectorIiLj2EEEEZZNS1_16scan_by_key_implILNS1_25lookback_scan_determinismE0ELb0ES3_N6thrust23THRUST_200600_302600_NS6detail15normal_iteratorINSB_10device_ptrIjEEEENSD_INSE_IS6_EEEESI_S6_NSB_4plusIvEENSB_8equal_toIvEES6_EE10hipError_tPvRmT2_T3_T4_T5_mT6_T7_P12ihipStream_tbENKUlT_T0_E_clISt17integral_constantIbLb1EES13_EEDaSY_SZ_EUlSY_E_NS1_11comp_targetILNS1_3genE0ELNS1_11target_archE4294967295ELNS1_3gpuE0ELNS1_3repE0EEENS1_30default_config_static_selectorELNS0_4arch9wavefront6targetE0EEEvT1_.has_recursion, 0
	.set _ZN7rocprim17ROCPRIM_400000_NS6detail17trampoline_kernelINS0_14default_configENS1_27scan_by_key_config_selectorIj11FixedVectorIiLj2EEEEZZNS1_16scan_by_key_implILNS1_25lookback_scan_determinismE0ELb0ES3_N6thrust23THRUST_200600_302600_NS6detail15normal_iteratorINSB_10device_ptrIjEEEENSD_INSE_IS6_EEEESI_S6_NSB_4plusIvEENSB_8equal_toIvEES6_EE10hipError_tPvRmT2_T3_T4_T5_mT6_T7_P12ihipStream_tbENKUlT_T0_E_clISt17integral_constantIbLb1EES13_EEDaSY_SZ_EUlSY_E_NS1_11comp_targetILNS1_3genE0ELNS1_11target_archE4294967295ELNS1_3gpuE0ELNS1_3repE0EEENS1_30default_config_static_selectorELNS0_4arch9wavefront6targetE0EEEvT1_.has_indirect_call, 0
	.section	.AMDGPU.csdata,"",@progbits
; Kernel info:
; codeLenInByte = 4
; TotalNumSgprs: 0
; NumVgprs: 0
; ScratchSize: 0
; MemoryBound: 0
; FloatMode: 240
; IeeeMode: 1
; LDSByteSize: 0 bytes/workgroup (compile time only)
; SGPRBlocks: 0
; VGPRBlocks: 0
; NumSGPRsForWavesPerEU: 1
; NumVGPRsForWavesPerEU: 1
; NamedBarCnt: 0
; Occupancy: 16
; WaveLimiterHint : 0
; COMPUTE_PGM_RSRC2:SCRATCH_EN: 0
; COMPUTE_PGM_RSRC2:USER_SGPR: 2
; COMPUTE_PGM_RSRC2:TRAP_HANDLER: 0
; COMPUTE_PGM_RSRC2:TGID_X_EN: 1
; COMPUTE_PGM_RSRC2:TGID_Y_EN: 0
; COMPUTE_PGM_RSRC2:TGID_Z_EN: 0
; COMPUTE_PGM_RSRC2:TIDIG_COMP_CNT: 0
	.section	.text._ZN7rocprim17ROCPRIM_400000_NS6detail17trampoline_kernelINS0_14default_configENS1_27scan_by_key_config_selectorIj11FixedVectorIiLj2EEEEZZNS1_16scan_by_key_implILNS1_25lookback_scan_determinismE0ELb0ES3_N6thrust23THRUST_200600_302600_NS6detail15normal_iteratorINSB_10device_ptrIjEEEENSD_INSE_IS6_EEEESI_S6_NSB_4plusIvEENSB_8equal_toIvEES6_EE10hipError_tPvRmT2_T3_T4_T5_mT6_T7_P12ihipStream_tbENKUlT_T0_E_clISt17integral_constantIbLb1EES13_EEDaSY_SZ_EUlSY_E_NS1_11comp_targetILNS1_3genE10ELNS1_11target_archE1201ELNS1_3gpuE5ELNS1_3repE0EEENS1_30default_config_static_selectorELNS0_4arch9wavefront6targetE0EEEvT1_,"axG",@progbits,_ZN7rocprim17ROCPRIM_400000_NS6detail17trampoline_kernelINS0_14default_configENS1_27scan_by_key_config_selectorIj11FixedVectorIiLj2EEEEZZNS1_16scan_by_key_implILNS1_25lookback_scan_determinismE0ELb0ES3_N6thrust23THRUST_200600_302600_NS6detail15normal_iteratorINSB_10device_ptrIjEEEENSD_INSE_IS6_EEEESI_S6_NSB_4plusIvEENSB_8equal_toIvEES6_EE10hipError_tPvRmT2_T3_T4_T5_mT6_T7_P12ihipStream_tbENKUlT_T0_E_clISt17integral_constantIbLb1EES13_EEDaSY_SZ_EUlSY_E_NS1_11comp_targetILNS1_3genE10ELNS1_11target_archE1201ELNS1_3gpuE5ELNS1_3repE0EEENS1_30default_config_static_selectorELNS0_4arch9wavefront6targetE0EEEvT1_,comdat
	.protected	_ZN7rocprim17ROCPRIM_400000_NS6detail17trampoline_kernelINS0_14default_configENS1_27scan_by_key_config_selectorIj11FixedVectorIiLj2EEEEZZNS1_16scan_by_key_implILNS1_25lookback_scan_determinismE0ELb0ES3_N6thrust23THRUST_200600_302600_NS6detail15normal_iteratorINSB_10device_ptrIjEEEENSD_INSE_IS6_EEEESI_S6_NSB_4plusIvEENSB_8equal_toIvEES6_EE10hipError_tPvRmT2_T3_T4_T5_mT6_T7_P12ihipStream_tbENKUlT_T0_E_clISt17integral_constantIbLb1EES13_EEDaSY_SZ_EUlSY_E_NS1_11comp_targetILNS1_3genE10ELNS1_11target_archE1201ELNS1_3gpuE5ELNS1_3repE0EEENS1_30default_config_static_selectorELNS0_4arch9wavefront6targetE0EEEvT1_ ; -- Begin function _ZN7rocprim17ROCPRIM_400000_NS6detail17trampoline_kernelINS0_14default_configENS1_27scan_by_key_config_selectorIj11FixedVectorIiLj2EEEEZZNS1_16scan_by_key_implILNS1_25lookback_scan_determinismE0ELb0ES3_N6thrust23THRUST_200600_302600_NS6detail15normal_iteratorINSB_10device_ptrIjEEEENSD_INSE_IS6_EEEESI_S6_NSB_4plusIvEENSB_8equal_toIvEES6_EE10hipError_tPvRmT2_T3_T4_T5_mT6_T7_P12ihipStream_tbENKUlT_T0_E_clISt17integral_constantIbLb1EES13_EEDaSY_SZ_EUlSY_E_NS1_11comp_targetILNS1_3genE10ELNS1_11target_archE1201ELNS1_3gpuE5ELNS1_3repE0EEENS1_30default_config_static_selectorELNS0_4arch9wavefront6targetE0EEEvT1_
	.globl	_ZN7rocprim17ROCPRIM_400000_NS6detail17trampoline_kernelINS0_14default_configENS1_27scan_by_key_config_selectorIj11FixedVectorIiLj2EEEEZZNS1_16scan_by_key_implILNS1_25lookback_scan_determinismE0ELb0ES3_N6thrust23THRUST_200600_302600_NS6detail15normal_iteratorINSB_10device_ptrIjEEEENSD_INSE_IS6_EEEESI_S6_NSB_4plusIvEENSB_8equal_toIvEES6_EE10hipError_tPvRmT2_T3_T4_T5_mT6_T7_P12ihipStream_tbENKUlT_T0_E_clISt17integral_constantIbLb1EES13_EEDaSY_SZ_EUlSY_E_NS1_11comp_targetILNS1_3genE10ELNS1_11target_archE1201ELNS1_3gpuE5ELNS1_3repE0EEENS1_30default_config_static_selectorELNS0_4arch9wavefront6targetE0EEEvT1_
	.p2align	8
	.type	_ZN7rocprim17ROCPRIM_400000_NS6detail17trampoline_kernelINS0_14default_configENS1_27scan_by_key_config_selectorIj11FixedVectorIiLj2EEEEZZNS1_16scan_by_key_implILNS1_25lookback_scan_determinismE0ELb0ES3_N6thrust23THRUST_200600_302600_NS6detail15normal_iteratorINSB_10device_ptrIjEEEENSD_INSE_IS6_EEEESI_S6_NSB_4plusIvEENSB_8equal_toIvEES6_EE10hipError_tPvRmT2_T3_T4_T5_mT6_T7_P12ihipStream_tbENKUlT_T0_E_clISt17integral_constantIbLb1EES13_EEDaSY_SZ_EUlSY_E_NS1_11comp_targetILNS1_3genE10ELNS1_11target_archE1201ELNS1_3gpuE5ELNS1_3repE0EEENS1_30default_config_static_selectorELNS0_4arch9wavefront6targetE0EEEvT1_,@function
_ZN7rocprim17ROCPRIM_400000_NS6detail17trampoline_kernelINS0_14default_configENS1_27scan_by_key_config_selectorIj11FixedVectorIiLj2EEEEZZNS1_16scan_by_key_implILNS1_25lookback_scan_determinismE0ELb0ES3_N6thrust23THRUST_200600_302600_NS6detail15normal_iteratorINSB_10device_ptrIjEEEENSD_INSE_IS6_EEEESI_S6_NSB_4plusIvEENSB_8equal_toIvEES6_EE10hipError_tPvRmT2_T3_T4_T5_mT6_T7_P12ihipStream_tbENKUlT_T0_E_clISt17integral_constantIbLb1EES13_EEDaSY_SZ_EUlSY_E_NS1_11comp_targetILNS1_3genE10ELNS1_11target_archE1201ELNS1_3gpuE5ELNS1_3repE0EEENS1_30default_config_static_selectorELNS0_4arch9wavefront6targetE0EEEvT1_: ; @_ZN7rocprim17ROCPRIM_400000_NS6detail17trampoline_kernelINS0_14default_configENS1_27scan_by_key_config_selectorIj11FixedVectorIiLj2EEEEZZNS1_16scan_by_key_implILNS1_25lookback_scan_determinismE0ELb0ES3_N6thrust23THRUST_200600_302600_NS6detail15normal_iteratorINSB_10device_ptrIjEEEENSD_INSE_IS6_EEEESI_S6_NSB_4plusIvEENSB_8equal_toIvEES6_EE10hipError_tPvRmT2_T3_T4_T5_mT6_T7_P12ihipStream_tbENKUlT_T0_E_clISt17integral_constantIbLb1EES13_EEDaSY_SZ_EUlSY_E_NS1_11comp_targetILNS1_3genE10ELNS1_11target_archE1201ELNS1_3gpuE5ELNS1_3repE0EEENS1_30default_config_static_selectorELNS0_4arch9wavefront6targetE0EEEvT1_
; %bb.0:
	.section	.rodata,"a",@progbits
	.p2align	6, 0x0
	.amdhsa_kernel _ZN7rocprim17ROCPRIM_400000_NS6detail17trampoline_kernelINS0_14default_configENS1_27scan_by_key_config_selectorIj11FixedVectorIiLj2EEEEZZNS1_16scan_by_key_implILNS1_25lookback_scan_determinismE0ELb0ES3_N6thrust23THRUST_200600_302600_NS6detail15normal_iteratorINSB_10device_ptrIjEEEENSD_INSE_IS6_EEEESI_S6_NSB_4plusIvEENSB_8equal_toIvEES6_EE10hipError_tPvRmT2_T3_T4_T5_mT6_T7_P12ihipStream_tbENKUlT_T0_E_clISt17integral_constantIbLb1EES13_EEDaSY_SZ_EUlSY_E_NS1_11comp_targetILNS1_3genE10ELNS1_11target_archE1201ELNS1_3gpuE5ELNS1_3repE0EEENS1_30default_config_static_selectorELNS0_4arch9wavefront6targetE0EEEvT1_
		.amdhsa_group_segment_fixed_size 0
		.amdhsa_private_segment_fixed_size 0
		.amdhsa_kernarg_size 120
		.amdhsa_user_sgpr_count 2
		.amdhsa_user_sgpr_dispatch_ptr 0
		.amdhsa_user_sgpr_queue_ptr 0
		.amdhsa_user_sgpr_kernarg_segment_ptr 1
		.amdhsa_user_sgpr_dispatch_id 0
		.amdhsa_user_sgpr_kernarg_preload_length 0
		.amdhsa_user_sgpr_kernarg_preload_offset 0
		.amdhsa_user_sgpr_private_segment_size 0
		.amdhsa_wavefront_size32 1
		.amdhsa_uses_dynamic_stack 0
		.amdhsa_enable_private_segment 0
		.amdhsa_system_sgpr_workgroup_id_x 1
		.amdhsa_system_sgpr_workgroup_id_y 0
		.amdhsa_system_sgpr_workgroup_id_z 0
		.amdhsa_system_sgpr_workgroup_info 0
		.amdhsa_system_vgpr_workitem_id 0
		.amdhsa_next_free_vgpr 1
		.amdhsa_next_free_sgpr 1
		.amdhsa_named_barrier_count 0
		.amdhsa_reserve_vcc 0
		.amdhsa_float_round_mode_32 0
		.amdhsa_float_round_mode_16_64 0
		.amdhsa_float_denorm_mode_32 3
		.amdhsa_float_denorm_mode_16_64 3
		.amdhsa_fp16_overflow 0
		.amdhsa_memory_ordered 1
		.amdhsa_forward_progress 1
		.amdhsa_inst_pref_size 0
		.amdhsa_round_robin_scheduling 0
		.amdhsa_exception_fp_ieee_invalid_op 0
		.amdhsa_exception_fp_denorm_src 0
		.amdhsa_exception_fp_ieee_div_zero 0
		.amdhsa_exception_fp_ieee_overflow 0
		.amdhsa_exception_fp_ieee_underflow 0
		.amdhsa_exception_fp_ieee_inexact 0
		.amdhsa_exception_int_div_zero 0
	.end_amdhsa_kernel
	.section	.text._ZN7rocprim17ROCPRIM_400000_NS6detail17trampoline_kernelINS0_14default_configENS1_27scan_by_key_config_selectorIj11FixedVectorIiLj2EEEEZZNS1_16scan_by_key_implILNS1_25lookback_scan_determinismE0ELb0ES3_N6thrust23THRUST_200600_302600_NS6detail15normal_iteratorINSB_10device_ptrIjEEEENSD_INSE_IS6_EEEESI_S6_NSB_4plusIvEENSB_8equal_toIvEES6_EE10hipError_tPvRmT2_T3_T4_T5_mT6_T7_P12ihipStream_tbENKUlT_T0_E_clISt17integral_constantIbLb1EES13_EEDaSY_SZ_EUlSY_E_NS1_11comp_targetILNS1_3genE10ELNS1_11target_archE1201ELNS1_3gpuE5ELNS1_3repE0EEENS1_30default_config_static_selectorELNS0_4arch9wavefront6targetE0EEEvT1_,"axG",@progbits,_ZN7rocprim17ROCPRIM_400000_NS6detail17trampoline_kernelINS0_14default_configENS1_27scan_by_key_config_selectorIj11FixedVectorIiLj2EEEEZZNS1_16scan_by_key_implILNS1_25lookback_scan_determinismE0ELb0ES3_N6thrust23THRUST_200600_302600_NS6detail15normal_iteratorINSB_10device_ptrIjEEEENSD_INSE_IS6_EEEESI_S6_NSB_4plusIvEENSB_8equal_toIvEES6_EE10hipError_tPvRmT2_T3_T4_T5_mT6_T7_P12ihipStream_tbENKUlT_T0_E_clISt17integral_constantIbLb1EES13_EEDaSY_SZ_EUlSY_E_NS1_11comp_targetILNS1_3genE10ELNS1_11target_archE1201ELNS1_3gpuE5ELNS1_3repE0EEENS1_30default_config_static_selectorELNS0_4arch9wavefront6targetE0EEEvT1_,comdat
.Lfunc_end1963:
	.size	_ZN7rocprim17ROCPRIM_400000_NS6detail17trampoline_kernelINS0_14default_configENS1_27scan_by_key_config_selectorIj11FixedVectorIiLj2EEEEZZNS1_16scan_by_key_implILNS1_25lookback_scan_determinismE0ELb0ES3_N6thrust23THRUST_200600_302600_NS6detail15normal_iteratorINSB_10device_ptrIjEEEENSD_INSE_IS6_EEEESI_S6_NSB_4plusIvEENSB_8equal_toIvEES6_EE10hipError_tPvRmT2_T3_T4_T5_mT6_T7_P12ihipStream_tbENKUlT_T0_E_clISt17integral_constantIbLb1EES13_EEDaSY_SZ_EUlSY_E_NS1_11comp_targetILNS1_3genE10ELNS1_11target_archE1201ELNS1_3gpuE5ELNS1_3repE0EEENS1_30default_config_static_selectorELNS0_4arch9wavefront6targetE0EEEvT1_, .Lfunc_end1963-_ZN7rocprim17ROCPRIM_400000_NS6detail17trampoline_kernelINS0_14default_configENS1_27scan_by_key_config_selectorIj11FixedVectorIiLj2EEEEZZNS1_16scan_by_key_implILNS1_25lookback_scan_determinismE0ELb0ES3_N6thrust23THRUST_200600_302600_NS6detail15normal_iteratorINSB_10device_ptrIjEEEENSD_INSE_IS6_EEEESI_S6_NSB_4plusIvEENSB_8equal_toIvEES6_EE10hipError_tPvRmT2_T3_T4_T5_mT6_T7_P12ihipStream_tbENKUlT_T0_E_clISt17integral_constantIbLb1EES13_EEDaSY_SZ_EUlSY_E_NS1_11comp_targetILNS1_3genE10ELNS1_11target_archE1201ELNS1_3gpuE5ELNS1_3repE0EEENS1_30default_config_static_selectorELNS0_4arch9wavefront6targetE0EEEvT1_
                                        ; -- End function
	.set _ZN7rocprim17ROCPRIM_400000_NS6detail17trampoline_kernelINS0_14default_configENS1_27scan_by_key_config_selectorIj11FixedVectorIiLj2EEEEZZNS1_16scan_by_key_implILNS1_25lookback_scan_determinismE0ELb0ES3_N6thrust23THRUST_200600_302600_NS6detail15normal_iteratorINSB_10device_ptrIjEEEENSD_INSE_IS6_EEEESI_S6_NSB_4plusIvEENSB_8equal_toIvEES6_EE10hipError_tPvRmT2_T3_T4_T5_mT6_T7_P12ihipStream_tbENKUlT_T0_E_clISt17integral_constantIbLb1EES13_EEDaSY_SZ_EUlSY_E_NS1_11comp_targetILNS1_3genE10ELNS1_11target_archE1201ELNS1_3gpuE5ELNS1_3repE0EEENS1_30default_config_static_selectorELNS0_4arch9wavefront6targetE0EEEvT1_.num_vgpr, 0
	.set _ZN7rocprim17ROCPRIM_400000_NS6detail17trampoline_kernelINS0_14default_configENS1_27scan_by_key_config_selectorIj11FixedVectorIiLj2EEEEZZNS1_16scan_by_key_implILNS1_25lookback_scan_determinismE0ELb0ES3_N6thrust23THRUST_200600_302600_NS6detail15normal_iteratorINSB_10device_ptrIjEEEENSD_INSE_IS6_EEEESI_S6_NSB_4plusIvEENSB_8equal_toIvEES6_EE10hipError_tPvRmT2_T3_T4_T5_mT6_T7_P12ihipStream_tbENKUlT_T0_E_clISt17integral_constantIbLb1EES13_EEDaSY_SZ_EUlSY_E_NS1_11comp_targetILNS1_3genE10ELNS1_11target_archE1201ELNS1_3gpuE5ELNS1_3repE0EEENS1_30default_config_static_selectorELNS0_4arch9wavefront6targetE0EEEvT1_.num_agpr, 0
	.set _ZN7rocprim17ROCPRIM_400000_NS6detail17trampoline_kernelINS0_14default_configENS1_27scan_by_key_config_selectorIj11FixedVectorIiLj2EEEEZZNS1_16scan_by_key_implILNS1_25lookback_scan_determinismE0ELb0ES3_N6thrust23THRUST_200600_302600_NS6detail15normal_iteratorINSB_10device_ptrIjEEEENSD_INSE_IS6_EEEESI_S6_NSB_4plusIvEENSB_8equal_toIvEES6_EE10hipError_tPvRmT2_T3_T4_T5_mT6_T7_P12ihipStream_tbENKUlT_T0_E_clISt17integral_constantIbLb1EES13_EEDaSY_SZ_EUlSY_E_NS1_11comp_targetILNS1_3genE10ELNS1_11target_archE1201ELNS1_3gpuE5ELNS1_3repE0EEENS1_30default_config_static_selectorELNS0_4arch9wavefront6targetE0EEEvT1_.numbered_sgpr, 0
	.set _ZN7rocprim17ROCPRIM_400000_NS6detail17trampoline_kernelINS0_14default_configENS1_27scan_by_key_config_selectorIj11FixedVectorIiLj2EEEEZZNS1_16scan_by_key_implILNS1_25lookback_scan_determinismE0ELb0ES3_N6thrust23THRUST_200600_302600_NS6detail15normal_iteratorINSB_10device_ptrIjEEEENSD_INSE_IS6_EEEESI_S6_NSB_4plusIvEENSB_8equal_toIvEES6_EE10hipError_tPvRmT2_T3_T4_T5_mT6_T7_P12ihipStream_tbENKUlT_T0_E_clISt17integral_constantIbLb1EES13_EEDaSY_SZ_EUlSY_E_NS1_11comp_targetILNS1_3genE10ELNS1_11target_archE1201ELNS1_3gpuE5ELNS1_3repE0EEENS1_30default_config_static_selectorELNS0_4arch9wavefront6targetE0EEEvT1_.num_named_barrier, 0
	.set _ZN7rocprim17ROCPRIM_400000_NS6detail17trampoline_kernelINS0_14default_configENS1_27scan_by_key_config_selectorIj11FixedVectorIiLj2EEEEZZNS1_16scan_by_key_implILNS1_25lookback_scan_determinismE0ELb0ES3_N6thrust23THRUST_200600_302600_NS6detail15normal_iteratorINSB_10device_ptrIjEEEENSD_INSE_IS6_EEEESI_S6_NSB_4plusIvEENSB_8equal_toIvEES6_EE10hipError_tPvRmT2_T3_T4_T5_mT6_T7_P12ihipStream_tbENKUlT_T0_E_clISt17integral_constantIbLb1EES13_EEDaSY_SZ_EUlSY_E_NS1_11comp_targetILNS1_3genE10ELNS1_11target_archE1201ELNS1_3gpuE5ELNS1_3repE0EEENS1_30default_config_static_selectorELNS0_4arch9wavefront6targetE0EEEvT1_.private_seg_size, 0
	.set _ZN7rocprim17ROCPRIM_400000_NS6detail17trampoline_kernelINS0_14default_configENS1_27scan_by_key_config_selectorIj11FixedVectorIiLj2EEEEZZNS1_16scan_by_key_implILNS1_25lookback_scan_determinismE0ELb0ES3_N6thrust23THRUST_200600_302600_NS6detail15normal_iteratorINSB_10device_ptrIjEEEENSD_INSE_IS6_EEEESI_S6_NSB_4plusIvEENSB_8equal_toIvEES6_EE10hipError_tPvRmT2_T3_T4_T5_mT6_T7_P12ihipStream_tbENKUlT_T0_E_clISt17integral_constantIbLb1EES13_EEDaSY_SZ_EUlSY_E_NS1_11comp_targetILNS1_3genE10ELNS1_11target_archE1201ELNS1_3gpuE5ELNS1_3repE0EEENS1_30default_config_static_selectorELNS0_4arch9wavefront6targetE0EEEvT1_.uses_vcc, 0
	.set _ZN7rocprim17ROCPRIM_400000_NS6detail17trampoline_kernelINS0_14default_configENS1_27scan_by_key_config_selectorIj11FixedVectorIiLj2EEEEZZNS1_16scan_by_key_implILNS1_25lookback_scan_determinismE0ELb0ES3_N6thrust23THRUST_200600_302600_NS6detail15normal_iteratorINSB_10device_ptrIjEEEENSD_INSE_IS6_EEEESI_S6_NSB_4plusIvEENSB_8equal_toIvEES6_EE10hipError_tPvRmT2_T3_T4_T5_mT6_T7_P12ihipStream_tbENKUlT_T0_E_clISt17integral_constantIbLb1EES13_EEDaSY_SZ_EUlSY_E_NS1_11comp_targetILNS1_3genE10ELNS1_11target_archE1201ELNS1_3gpuE5ELNS1_3repE0EEENS1_30default_config_static_selectorELNS0_4arch9wavefront6targetE0EEEvT1_.uses_flat_scratch, 0
	.set _ZN7rocprim17ROCPRIM_400000_NS6detail17trampoline_kernelINS0_14default_configENS1_27scan_by_key_config_selectorIj11FixedVectorIiLj2EEEEZZNS1_16scan_by_key_implILNS1_25lookback_scan_determinismE0ELb0ES3_N6thrust23THRUST_200600_302600_NS6detail15normal_iteratorINSB_10device_ptrIjEEEENSD_INSE_IS6_EEEESI_S6_NSB_4plusIvEENSB_8equal_toIvEES6_EE10hipError_tPvRmT2_T3_T4_T5_mT6_T7_P12ihipStream_tbENKUlT_T0_E_clISt17integral_constantIbLb1EES13_EEDaSY_SZ_EUlSY_E_NS1_11comp_targetILNS1_3genE10ELNS1_11target_archE1201ELNS1_3gpuE5ELNS1_3repE0EEENS1_30default_config_static_selectorELNS0_4arch9wavefront6targetE0EEEvT1_.has_dyn_sized_stack, 0
	.set _ZN7rocprim17ROCPRIM_400000_NS6detail17trampoline_kernelINS0_14default_configENS1_27scan_by_key_config_selectorIj11FixedVectorIiLj2EEEEZZNS1_16scan_by_key_implILNS1_25lookback_scan_determinismE0ELb0ES3_N6thrust23THRUST_200600_302600_NS6detail15normal_iteratorINSB_10device_ptrIjEEEENSD_INSE_IS6_EEEESI_S6_NSB_4plusIvEENSB_8equal_toIvEES6_EE10hipError_tPvRmT2_T3_T4_T5_mT6_T7_P12ihipStream_tbENKUlT_T0_E_clISt17integral_constantIbLb1EES13_EEDaSY_SZ_EUlSY_E_NS1_11comp_targetILNS1_3genE10ELNS1_11target_archE1201ELNS1_3gpuE5ELNS1_3repE0EEENS1_30default_config_static_selectorELNS0_4arch9wavefront6targetE0EEEvT1_.has_recursion, 0
	.set _ZN7rocprim17ROCPRIM_400000_NS6detail17trampoline_kernelINS0_14default_configENS1_27scan_by_key_config_selectorIj11FixedVectorIiLj2EEEEZZNS1_16scan_by_key_implILNS1_25lookback_scan_determinismE0ELb0ES3_N6thrust23THRUST_200600_302600_NS6detail15normal_iteratorINSB_10device_ptrIjEEEENSD_INSE_IS6_EEEESI_S6_NSB_4plusIvEENSB_8equal_toIvEES6_EE10hipError_tPvRmT2_T3_T4_T5_mT6_T7_P12ihipStream_tbENKUlT_T0_E_clISt17integral_constantIbLb1EES13_EEDaSY_SZ_EUlSY_E_NS1_11comp_targetILNS1_3genE10ELNS1_11target_archE1201ELNS1_3gpuE5ELNS1_3repE0EEENS1_30default_config_static_selectorELNS0_4arch9wavefront6targetE0EEEvT1_.has_indirect_call, 0
	.section	.AMDGPU.csdata,"",@progbits
; Kernel info:
; codeLenInByte = 0
; TotalNumSgprs: 0
; NumVgprs: 0
; ScratchSize: 0
; MemoryBound: 0
; FloatMode: 240
; IeeeMode: 1
; LDSByteSize: 0 bytes/workgroup (compile time only)
; SGPRBlocks: 0
; VGPRBlocks: 0
; NumSGPRsForWavesPerEU: 1
; NumVGPRsForWavesPerEU: 1
; NamedBarCnt: 0
; Occupancy: 16
; WaveLimiterHint : 0
; COMPUTE_PGM_RSRC2:SCRATCH_EN: 0
; COMPUTE_PGM_RSRC2:USER_SGPR: 2
; COMPUTE_PGM_RSRC2:TRAP_HANDLER: 0
; COMPUTE_PGM_RSRC2:TGID_X_EN: 1
; COMPUTE_PGM_RSRC2:TGID_Y_EN: 0
; COMPUTE_PGM_RSRC2:TGID_Z_EN: 0
; COMPUTE_PGM_RSRC2:TIDIG_COMP_CNT: 0
	.section	.text._ZN7rocprim17ROCPRIM_400000_NS6detail17trampoline_kernelINS0_14default_configENS1_27scan_by_key_config_selectorIj11FixedVectorIiLj2EEEEZZNS1_16scan_by_key_implILNS1_25lookback_scan_determinismE0ELb0ES3_N6thrust23THRUST_200600_302600_NS6detail15normal_iteratorINSB_10device_ptrIjEEEENSD_INSE_IS6_EEEESI_S6_NSB_4plusIvEENSB_8equal_toIvEES6_EE10hipError_tPvRmT2_T3_T4_T5_mT6_T7_P12ihipStream_tbENKUlT_T0_E_clISt17integral_constantIbLb1EES13_EEDaSY_SZ_EUlSY_E_NS1_11comp_targetILNS1_3genE5ELNS1_11target_archE942ELNS1_3gpuE9ELNS1_3repE0EEENS1_30default_config_static_selectorELNS0_4arch9wavefront6targetE0EEEvT1_,"axG",@progbits,_ZN7rocprim17ROCPRIM_400000_NS6detail17trampoline_kernelINS0_14default_configENS1_27scan_by_key_config_selectorIj11FixedVectorIiLj2EEEEZZNS1_16scan_by_key_implILNS1_25lookback_scan_determinismE0ELb0ES3_N6thrust23THRUST_200600_302600_NS6detail15normal_iteratorINSB_10device_ptrIjEEEENSD_INSE_IS6_EEEESI_S6_NSB_4plusIvEENSB_8equal_toIvEES6_EE10hipError_tPvRmT2_T3_T4_T5_mT6_T7_P12ihipStream_tbENKUlT_T0_E_clISt17integral_constantIbLb1EES13_EEDaSY_SZ_EUlSY_E_NS1_11comp_targetILNS1_3genE5ELNS1_11target_archE942ELNS1_3gpuE9ELNS1_3repE0EEENS1_30default_config_static_selectorELNS0_4arch9wavefront6targetE0EEEvT1_,comdat
	.protected	_ZN7rocprim17ROCPRIM_400000_NS6detail17trampoline_kernelINS0_14default_configENS1_27scan_by_key_config_selectorIj11FixedVectorIiLj2EEEEZZNS1_16scan_by_key_implILNS1_25lookback_scan_determinismE0ELb0ES3_N6thrust23THRUST_200600_302600_NS6detail15normal_iteratorINSB_10device_ptrIjEEEENSD_INSE_IS6_EEEESI_S6_NSB_4plusIvEENSB_8equal_toIvEES6_EE10hipError_tPvRmT2_T3_T4_T5_mT6_T7_P12ihipStream_tbENKUlT_T0_E_clISt17integral_constantIbLb1EES13_EEDaSY_SZ_EUlSY_E_NS1_11comp_targetILNS1_3genE5ELNS1_11target_archE942ELNS1_3gpuE9ELNS1_3repE0EEENS1_30default_config_static_selectorELNS0_4arch9wavefront6targetE0EEEvT1_ ; -- Begin function _ZN7rocprim17ROCPRIM_400000_NS6detail17trampoline_kernelINS0_14default_configENS1_27scan_by_key_config_selectorIj11FixedVectorIiLj2EEEEZZNS1_16scan_by_key_implILNS1_25lookback_scan_determinismE0ELb0ES3_N6thrust23THRUST_200600_302600_NS6detail15normal_iteratorINSB_10device_ptrIjEEEENSD_INSE_IS6_EEEESI_S6_NSB_4plusIvEENSB_8equal_toIvEES6_EE10hipError_tPvRmT2_T3_T4_T5_mT6_T7_P12ihipStream_tbENKUlT_T0_E_clISt17integral_constantIbLb1EES13_EEDaSY_SZ_EUlSY_E_NS1_11comp_targetILNS1_3genE5ELNS1_11target_archE942ELNS1_3gpuE9ELNS1_3repE0EEENS1_30default_config_static_selectorELNS0_4arch9wavefront6targetE0EEEvT1_
	.globl	_ZN7rocprim17ROCPRIM_400000_NS6detail17trampoline_kernelINS0_14default_configENS1_27scan_by_key_config_selectorIj11FixedVectorIiLj2EEEEZZNS1_16scan_by_key_implILNS1_25lookback_scan_determinismE0ELb0ES3_N6thrust23THRUST_200600_302600_NS6detail15normal_iteratorINSB_10device_ptrIjEEEENSD_INSE_IS6_EEEESI_S6_NSB_4plusIvEENSB_8equal_toIvEES6_EE10hipError_tPvRmT2_T3_T4_T5_mT6_T7_P12ihipStream_tbENKUlT_T0_E_clISt17integral_constantIbLb1EES13_EEDaSY_SZ_EUlSY_E_NS1_11comp_targetILNS1_3genE5ELNS1_11target_archE942ELNS1_3gpuE9ELNS1_3repE0EEENS1_30default_config_static_selectorELNS0_4arch9wavefront6targetE0EEEvT1_
	.p2align	8
	.type	_ZN7rocprim17ROCPRIM_400000_NS6detail17trampoline_kernelINS0_14default_configENS1_27scan_by_key_config_selectorIj11FixedVectorIiLj2EEEEZZNS1_16scan_by_key_implILNS1_25lookback_scan_determinismE0ELb0ES3_N6thrust23THRUST_200600_302600_NS6detail15normal_iteratorINSB_10device_ptrIjEEEENSD_INSE_IS6_EEEESI_S6_NSB_4plusIvEENSB_8equal_toIvEES6_EE10hipError_tPvRmT2_T3_T4_T5_mT6_T7_P12ihipStream_tbENKUlT_T0_E_clISt17integral_constantIbLb1EES13_EEDaSY_SZ_EUlSY_E_NS1_11comp_targetILNS1_3genE5ELNS1_11target_archE942ELNS1_3gpuE9ELNS1_3repE0EEENS1_30default_config_static_selectorELNS0_4arch9wavefront6targetE0EEEvT1_,@function
_ZN7rocprim17ROCPRIM_400000_NS6detail17trampoline_kernelINS0_14default_configENS1_27scan_by_key_config_selectorIj11FixedVectorIiLj2EEEEZZNS1_16scan_by_key_implILNS1_25lookback_scan_determinismE0ELb0ES3_N6thrust23THRUST_200600_302600_NS6detail15normal_iteratorINSB_10device_ptrIjEEEENSD_INSE_IS6_EEEESI_S6_NSB_4plusIvEENSB_8equal_toIvEES6_EE10hipError_tPvRmT2_T3_T4_T5_mT6_T7_P12ihipStream_tbENKUlT_T0_E_clISt17integral_constantIbLb1EES13_EEDaSY_SZ_EUlSY_E_NS1_11comp_targetILNS1_3genE5ELNS1_11target_archE942ELNS1_3gpuE9ELNS1_3repE0EEENS1_30default_config_static_selectorELNS0_4arch9wavefront6targetE0EEEvT1_: ; @_ZN7rocprim17ROCPRIM_400000_NS6detail17trampoline_kernelINS0_14default_configENS1_27scan_by_key_config_selectorIj11FixedVectorIiLj2EEEEZZNS1_16scan_by_key_implILNS1_25lookback_scan_determinismE0ELb0ES3_N6thrust23THRUST_200600_302600_NS6detail15normal_iteratorINSB_10device_ptrIjEEEENSD_INSE_IS6_EEEESI_S6_NSB_4plusIvEENSB_8equal_toIvEES6_EE10hipError_tPvRmT2_T3_T4_T5_mT6_T7_P12ihipStream_tbENKUlT_T0_E_clISt17integral_constantIbLb1EES13_EEDaSY_SZ_EUlSY_E_NS1_11comp_targetILNS1_3genE5ELNS1_11target_archE942ELNS1_3gpuE9ELNS1_3repE0EEENS1_30default_config_static_selectorELNS0_4arch9wavefront6targetE0EEEvT1_
; %bb.0:
	.section	.rodata,"a",@progbits
	.p2align	6, 0x0
	.amdhsa_kernel _ZN7rocprim17ROCPRIM_400000_NS6detail17trampoline_kernelINS0_14default_configENS1_27scan_by_key_config_selectorIj11FixedVectorIiLj2EEEEZZNS1_16scan_by_key_implILNS1_25lookback_scan_determinismE0ELb0ES3_N6thrust23THRUST_200600_302600_NS6detail15normal_iteratorINSB_10device_ptrIjEEEENSD_INSE_IS6_EEEESI_S6_NSB_4plusIvEENSB_8equal_toIvEES6_EE10hipError_tPvRmT2_T3_T4_T5_mT6_T7_P12ihipStream_tbENKUlT_T0_E_clISt17integral_constantIbLb1EES13_EEDaSY_SZ_EUlSY_E_NS1_11comp_targetILNS1_3genE5ELNS1_11target_archE942ELNS1_3gpuE9ELNS1_3repE0EEENS1_30default_config_static_selectorELNS0_4arch9wavefront6targetE0EEEvT1_
		.amdhsa_group_segment_fixed_size 0
		.amdhsa_private_segment_fixed_size 0
		.amdhsa_kernarg_size 120
		.amdhsa_user_sgpr_count 2
		.amdhsa_user_sgpr_dispatch_ptr 0
		.amdhsa_user_sgpr_queue_ptr 0
		.amdhsa_user_sgpr_kernarg_segment_ptr 1
		.amdhsa_user_sgpr_dispatch_id 0
		.amdhsa_user_sgpr_kernarg_preload_length 0
		.amdhsa_user_sgpr_kernarg_preload_offset 0
		.amdhsa_user_sgpr_private_segment_size 0
		.amdhsa_wavefront_size32 1
		.amdhsa_uses_dynamic_stack 0
		.amdhsa_enable_private_segment 0
		.amdhsa_system_sgpr_workgroup_id_x 1
		.amdhsa_system_sgpr_workgroup_id_y 0
		.amdhsa_system_sgpr_workgroup_id_z 0
		.amdhsa_system_sgpr_workgroup_info 0
		.amdhsa_system_vgpr_workitem_id 0
		.amdhsa_next_free_vgpr 1
		.amdhsa_next_free_sgpr 1
		.amdhsa_named_barrier_count 0
		.amdhsa_reserve_vcc 0
		.amdhsa_float_round_mode_32 0
		.amdhsa_float_round_mode_16_64 0
		.amdhsa_float_denorm_mode_32 3
		.amdhsa_float_denorm_mode_16_64 3
		.amdhsa_fp16_overflow 0
		.amdhsa_memory_ordered 1
		.amdhsa_forward_progress 1
		.amdhsa_inst_pref_size 0
		.amdhsa_round_robin_scheduling 0
		.amdhsa_exception_fp_ieee_invalid_op 0
		.amdhsa_exception_fp_denorm_src 0
		.amdhsa_exception_fp_ieee_div_zero 0
		.amdhsa_exception_fp_ieee_overflow 0
		.amdhsa_exception_fp_ieee_underflow 0
		.amdhsa_exception_fp_ieee_inexact 0
		.amdhsa_exception_int_div_zero 0
	.end_amdhsa_kernel
	.section	.text._ZN7rocprim17ROCPRIM_400000_NS6detail17trampoline_kernelINS0_14default_configENS1_27scan_by_key_config_selectorIj11FixedVectorIiLj2EEEEZZNS1_16scan_by_key_implILNS1_25lookback_scan_determinismE0ELb0ES3_N6thrust23THRUST_200600_302600_NS6detail15normal_iteratorINSB_10device_ptrIjEEEENSD_INSE_IS6_EEEESI_S6_NSB_4plusIvEENSB_8equal_toIvEES6_EE10hipError_tPvRmT2_T3_T4_T5_mT6_T7_P12ihipStream_tbENKUlT_T0_E_clISt17integral_constantIbLb1EES13_EEDaSY_SZ_EUlSY_E_NS1_11comp_targetILNS1_3genE5ELNS1_11target_archE942ELNS1_3gpuE9ELNS1_3repE0EEENS1_30default_config_static_selectorELNS0_4arch9wavefront6targetE0EEEvT1_,"axG",@progbits,_ZN7rocprim17ROCPRIM_400000_NS6detail17trampoline_kernelINS0_14default_configENS1_27scan_by_key_config_selectorIj11FixedVectorIiLj2EEEEZZNS1_16scan_by_key_implILNS1_25lookback_scan_determinismE0ELb0ES3_N6thrust23THRUST_200600_302600_NS6detail15normal_iteratorINSB_10device_ptrIjEEEENSD_INSE_IS6_EEEESI_S6_NSB_4plusIvEENSB_8equal_toIvEES6_EE10hipError_tPvRmT2_T3_T4_T5_mT6_T7_P12ihipStream_tbENKUlT_T0_E_clISt17integral_constantIbLb1EES13_EEDaSY_SZ_EUlSY_E_NS1_11comp_targetILNS1_3genE5ELNS1_11target_archE942ELNS1_3gpuE9ELNS1_3repE0EEENS1_30default_config_static_selectorELNS0_4arch9wavefront6targetE0EEEvT1_,comdat
.Lfunc_end1964:
	.size	_ZN7rocprim17ROCPRIM_400000_NS6detail17trampoline_kernelINS0_14default_configENS1_27scan_by_key_config_selectorIj11FixedVectorIiLj2EEEEZZNS1_16scan_by_key_implILNS1_25lookback_scan_determinismE0ELb0ES3_N6thrust23THRUST_200600_302600_NS6detail15normal_iteratorINSB_10device_ptrIjEEEENSD_INSE_IS6_EEEESI_S6_NSB_4plusIvEENSB_8equal_toIvEES6_EE10hipError_tPvRmT2_T3_T4_T5_mT6_T7_P12ihipStream_tbENKUlT_T0_E_clISt17integral_constantIbLb1EES13_EEDaSY_SZ_EUlSY_E_NS1_11comp_targetILNS1_3genE5ELNS1_11target_archE942ELNS1_3gpuE9ELNS1_3repE0EEENS1_30default_config_static_selectorELNS0_4arch9wavefront6targetE0EEEvT1_, .Lfunc_end1964-_ZN7rocprim17ROCPRIM_400000_NS6detail17trampoline_kernelINS0_14default_configENS1_27scan_by_key_config_selectorIj11FixedVectorIiLj2EEEEZZNS1_16scan_by_key_implILNS1_25lookback_scan_determinismE0ELb0ES3_N6thrust23THRUST_200600_302600_NS6detail15normal_iteratorINSB_10device_ptrIjEEEENSD_INSE_IS6_EEEESI_S6_NSB_4plusIvEENSB_8equal_toIvEES6_EE10hipError_tPvRmT2_T3_T4_T5_mT6_T7_P12ihipStream_tbENKUlT_T0_E_clISt17integral_constantIbLb1EES13_EEDaSY_SZ_EUlSY_E_NS1_11comp_targetILNS1_3genE5ELNS1_11target_archE942ELNS1_3gpuE9ELNS1_3repE0EEENS1_30default_config_static_selectorELNS0_4arch9wavefront6targetE0EEEvT1_
                                        ; -- End function
	.set _ZN7rocprim17ROCPRIM_400000_NS6detail17trampoline_kernelINS0_14default_configENS1_27scan_by_key_config_selectorIj11FixedVectorIiLj2EEEEZZNS1_16scan_by_key_implILNS1_25lookback_scan_determinismE0ELb0ES3_N6thrust23THRUST_200600_302600_NS6detail15normal_iteratorINSB_10device_ptrIjEEEENSD_INSE_IS6_EEEESI_S6_NSB_4plusIvEENSB_8equal_toIvEES6_EE10hipError_tPvRmT2_T3_T4_T5_mT6_T7_P12ihipStream_tbENKUlT_T0_E_clISt17integral_constantIbLb1EES13_EEDaSY_SZ_EUlSY_E_NS1_11comp_targetILNS1_3genE5ELNS1_11target_archE942ELNS1_3gpuE9ELNS1_3repE0EEENS1_30default_config_static_selectorELNS0_4arch9wavefront6targetE0EEEvT1_.num_vgpr, 0
	.set _ZN7rocprim17ROCPRIM_400000_NS6detail17trampoline_kernelINS0_14default_configENS1_27scan_by_key_config_selectorIj11FixedVectorIiLj2EEEEZZNS1_16scan_by_key_implILNS1_25lookback_scan_determinismE0ELb0ES3_N6thrust23THRUST_200600_302600_NS6detail15normal_iteratorINSB_10device_ptrIjEEEENSD_INSE_IS6_EEEESI_S6_NSB_4plusIvEENSB_8equal_toIvEES6_EE10hipError_tPvRmT2_T3_T4_T5_mT6_T7_P12ihipStream_tbENKUlT_T0_E_clISt17integral_constantIbLb1EES13_EEDaSY_SZ_EUlSY_E_NS1_11comp_targetILNS1_3genE5ELNS1_11target_archE942ELNS1_3gpuE9ELNS1_3repE0EEENS1_30default_config_static_selectorELNS0_4arch9wavefront6targetE0EEEvT1_.num_agpr, 0
	.set _ZN7rocprim17ROCPRIM_400000_NS6detail17trampoline_kernelINS0_14default_configENS1_27scan_by_key_config_selectorIj11FixedVectorIiLj2EEEEZZNS1_16scan_by_key_implILNS1_25lookback_scan_determinismE0ELb0ES3_N6thrust23THRUST_200600_302600_NS6detail15normal_iteratorINSB_10device_ptrIjEEEENSD_INSE_IS6_EEEESI_S6_NSB_4plusIvEENSB_8equal_toIvEES6_EE10hipError_tPvRmT2_T3_T4_T5_mT6_T7_P12ihipStream_tbENKUlT_T0_E_clISt17integral_constantIbLb1EES13_EEDaSY_SZ_EUlSY_E_NS1_11comp_targetILNS1_3genE5ELNS1_11target_archE942ELNS1_3gpuE9ELNS1_3repE0EEENS1_30default_config_static_selectorELNS0_4arch9wavefront6targetE0EEEvT1_.numbered_sgpr, 0
	.set _ZN7rocprim17ROCPRIM_400000_NS6detail17trampoline_kernelINS0_14default_configENS1_27scan_by_key_config_selectorIj11FixedVectorIiLj2EEEEZZNS1_16scan_by_key_implILNS1_25lookback_scan_determinismE0ELb0ES3_N6thrust23THRUST_200600_302600_NS6detail15normal_iteratorINSB_10device_ptrIjEEEENSD_INSE_IS6_EEEESI_S6_NSB_4plusIvEENSB_8equal_toIvEES6_EE10hipError_tPvRmT2_T3_T4_T5_mT6_T7_P12ihipStream_tbENKUlT_T0_E_clISt17integral_constantIbLb1EES13_EEDaSY_SZ_EUlSY_E_NS1_11comp_targetILNS1_3genE5ELNS1_11target_archE942ELNS1_3gpuE9ELNS1_3repE0EEENS1_30default_config_static_selectorELNS0_4arch9wavefront6targetE0EEEvT1_.num_named_barrier, 0
	.set _ZN7rocprim17ROCPRIM_400000_NS6detail17trampoline_kernelINS0_14default_configENS1_27scan_by_key_config_selectorIj11FixedVectorIiLj2EEEEZZNS1_16scan_by_key_implILNS1_25lookback_scan_determinismE0ELb0ES3_N6thrust23THRUST_200600_302600_NS6detail15normal_iteratorINSB_10device_ptrIjEEEENSD_INSE_IS6_EEEESI_S6_NSB_4plusIvEENSB_8equal_toIvEES6_EE10hipError_tPvRmT2_T3_T4_T5_mT6_T7_P12ihipStream_tbENKUlT_T0_E_clISt17integral_constantIbLb1EES13_EEDaSY_SZ_EUlSY_E_NS1_11comp_targetILNS1_3genE5ELNS1_11target_archE942ELNS1_3gpuE9ELNS1_3repE0EEENS1_30default_config_static_selectorELNS0_4arch9wavefront6targetE0EEEvT1_.private_seg_size, 0
	.set _ZN7rocprim17ROCPRIM_400000_NS6detail17trampoline_kernelINS0_14default_configENS1_27scan_by_key_config_selectorIj11FixedVectorIiLj2EEEEZZNS1_16scan_by_key_implILNS1_25lookback_scan_determinismE0ELb0ES3_N6thrust23THRUST_200600_302600_NS6detail15normal_iteratorINSB_10device_ptrIjEEEENSD_INSE_IS6_EEEESI_S6_NSB_4plusIvEENSB_8equal_toIvEES6_EE10hipError_tPvRmT2_T3_T4_T5_mT6_T7_P12ihipStream_tbENKUlT_T0_E_clISt17integral_constantIbLb1EES13_EEDaSY_SZ_EUlSY_E_NS1_11comp_targetILNS1_3genE5ELNS1_11target_archE942ELNS1_3gpuE9ELNS1_3repE0EEENS1_30default_config_static_selectorELNS0_4arch9wavefront6targetE0EEEvT1_.uses_vcc, 0
	.set _ZN7rocprim17ROCPRIM_400000_NS6detail17trampoline_kernelINS0_14default_configENS1_27scan_by_key_config_selectorIj11FixedVectorIiLj2EEEEZZNS1_16scan_by_key_implILNS1_25lookback_scan_determinismE0ELb0ES3_N6thrust23THRUST_200600_302600_NS6detail15normal_iteratorINSB_10device_ptrIjEEEENSD_INSE_IS6_EEEESI_S6_NSB_4plusIvEENSB_8equal_toIvEES6_EE10hipError_tPvRmT2_T3_T4_T5_mT6_T7_P12ihipStream_tbENKUlT_T0_E_clISt17integral_constantIbLb1EES13_EEDaSY_SZ_EUlSY_E_NS1_11comp_targetILNS1_3genE5ELNS1_11target_archE942ELNS1_3gpuE9ELNS1_3repE0EEENS1_30default_config_static_selectorELNS0_4arch9wavefront6targetE0EEEvT1_.uses_flat_scratch, 0
	.set _ZN7rocprim17ROCPRIM_400000_NS6detail17trampoline_kernelINS0_14default_configENS1_27scan_by_key_config_selectorIj11FixedVectorIiLj2EEEEZZNS1_16scan_by_key_implILNS1_25lookback_scan_determinismE0ELb0ES3_N6thrust23THRUST_200600_302600_NS6detail15normal_iteratorINSB_10device_ptrIjEEEENSD_INSE_IS6_EEEESI_S6_NSB_4plusIvEENSB_8equal_toIvEES6_EE10hipError_tPvRmT2_T3_T4_T5_mT6_T7_P12ihipStream_tbENKUlT_T0_E_clISt17integral_constantIbLb1EES13_EEDaSY_SZ_EUlSY_E_NS1_11comp_targetILNS1_3genE5ELNS1_11target_archE942ELNS1_3gpuE9ELNS1_3repE0EEENS1_30default_config_static_selectorELNS0_4arch9wavefront6targetE0EEEvT1_.has_dyn_sized_stack, 0
	.set _ZN7rocprim17ROCPRIM_400000_NS6detail17trampoline_kernelINS0_14default_configENS1_27scan_by_key_config_selectorIj11FixedVectorIiLj2EEEEZZNS1_16scan_by_key_implILNS1_25lookback_scan_determinismE0ELb0ES3_N6thrust23THRUST_200600_302600_NS6detail15normal_iteratorINSB_10device_ptrIjEEEENSD_INSE_IS6_EEEESI_S6_NSB_4plusIvEENSB_8equal_toIvEES6_EE10hipError_tPvRmT2_T3_T4_T5_mT6_T7_P12ihipStream_tbENKUlT_T0_E_clISt17integral_constantIbLb1EES13_EEDaSY_SZ_EUlSY_E_NS1_11comp_targetILNS1_3genE5ELNS1_11target_archE942ELNS1_3gpuE9ELNS1_3repE0EEENS1_30default_config_static_selectorELNS0_4arch9wavefront6targetE0EEEvT1_.has_recursion, 0
	.set _ZN7rocprim17ROCPRIM_400000_NS6detail17trampoline_kernelINS0_14default_configENS1_27scan_by_key_config_selectorIj11FixedVectorIiLj2EEEEZZNS1_16scan_by_key_implILNS1_25lookback_scan_determinismE0ELb0ES3_N6thrust23THRUST_200600_302600_NS6detail15normal_iteratorINSB_10device_ptrIjEEEENSD_INSE_IS6_EEEESI_S6_NSB_4plusIvEENSB_8equal_toIvEES6_EE10hipError_tPvRmT2_T3_T4_T5_mT6_T7_P12ihipStream_tbENKUlT_T0_E_clISt17integral_constantIbLb1EES13_EEDaSY_SZ_EUlSY_E_NS1_11comp_targetILNS1_3genE5ELNS1_11target_archE942ELNS1_3gpuE9ELNS1_3repE0EEENS1_30default_config_static_selectorELNS0_4arch9wavefront6targetE0EEEvT1_.has_indirect_call, 0
	.section	.AMDGPU.csdata,"",@progbits
; Kernel info:
; codeLenInByte = 0
; TotalNumSgprs: 0
; NumVgprs: 0
; ScratchSize: 0
; MemoryBound: 0
; FloatMode: 240
; IeeeMode: 1
; LDSByteSize: 0 bytes/workgroup (compile time only)
; SGPRBlocks: 0
; VGPRBlocks: 0
; NumSGPRsForWavesPerEU: 1
; NumVGPRsForWavesPerEU: 1
; NamedBarCnt: 0
; Occupancy: 16
; WaveLimiterHint : 0
; COMPUTE_PGM_RSRC2:SCRATCH_EN: 0
; COMPUTE_PGM_RSRC2:USER_SGPR: 2
; COMPUTE_PGM_RSRC2:TRAP_HANDLER: 0
; COMPUTE_PGM_RSRC2:TGID_X_EN: 1
; COMPUTE_PGM_RSRC2:TGID_Y_EN: 0
; COMPUTE_PGM_RSRC2:TGID_Z_EN: 0
; COMPUTE_PGM_RSRC2:TIDIG_COMP_CNT: 0
	.section	.text._ZN7rocprim17ROCPRIM_400000_NS6detail17trampoline_kernelINS0_14default_configENS1_27scan_by_key_config_selectorIj11FixedVectorIiLj2EEEEZZNS1_16scan_by_key_implILNS1_25lookback_scan_determinismE0ELb0ES3_N6thrust23THRUST_200600_302600_NS6detail15normal_iteratorINSB_10device_ptrIjEEEENSD_INSE_IS6_EEEESI_S6_NSB_4plusIvEENSB_8equal_toIvEES6_EE10hipError_tPvRmT2_T3_T4_T5_mT6_T7_P12ihipStream_tbENKUlT_T0_E_clISt17integral_constantIbLb1EES13_EEDaSY_SZ_EUlSY_E_NS1_11comp_targetILNS1_3genE4ELNS1_11target_archE910ELNS1_3gpuE8ELNS1_3repE0EEENS1_30default_config_static_selectorELNS0_4arch9wavefront6targetE0EEEvT1_,"axG",@progbits,_ZN7rocprim17ROCPRIM_400000_NS6detail17trampoline_kernelINS0_14default_configENS1_27scan_by_key_config_selectorIj11FixedVectorIiLj2EEEEZZNS1_16scan_by_key_implILNS1_25lookback_scan_determinismE0ELb0ES3_N6thrust23THRUST_200600_302600_NS6detail15normal_iteratorINSB_10device_ptrIjEEEENSD_INSE_IS6_EEEESI_S6_NSB_4plusIvEENSB_8equal_toIvEES6_EE10hipError_tPvRmT2_T3_T4_T5_mT6_T7_P12ihipStream_tbENKUlT_T0_E_clISt17integral_constantIbLb1EES13_EEDaSY_SZ_EUlSY_E_NS1_11comp_targetILNS1_3genE4ELNS1_11target_archE910ELNS1_3gpuE8ELNS1_3repE0EEENS1_30default_config_static_selectorELNS0_4arch9wavefront6targetE0EEEvT1_,comdat
	.protected	_ZN7rocprim17ROCPRIM_400000_NS6detail17trampoline_kernelINS0_14default_configENS1_27scan_by_key_config_selectorIj11FixedVectorIiLj2EEEEZZNS1_16scan_by_key_implILNS1_25lookback_scan_determinismE0ELb0ES3_N6thrust23THRUST_200600_302600_NS6detail15normal_iteratorINSB_10device_ptrIjEEEENSD_INSE_IS6_EEEESI_S6_NSB_4plusIvEENSB_8equal_toIvEES6_EE10hipError_tPvRmT2_T3_T4_T5_mT6_T7_P12ihipStream_tbENKUlT_T0_E_clISt17integral_constantIbLb1EES13_EEDaSY_SZ_EUlSY_E_NS1_11comp_targetILNS1_3genE4ELNS1_11target_archE910ELNS1_3gpuE8ELNS1_3repE0EEENS1_30default_config_static_selectorELNS0_4arch9wavefront6targetE0EEEvT1_ ; -- Begin function _ZN7rocprim17ROCPRIM_400000_NS6detail17trampoline_kernelINS0_14default_configENS1_27scan_by_key_config_selectorIj11FixedVectorIiLj2EEEEZZNS1_16scan_by_key_implILNS1_25lookback_scan_determinismE0ELb0ES3_N6thrust23THRUST_200600_302600_NS6detail15normal_iteratorINSB_10device_ptrIjEEEENSD_INSE_IS6_EEEESI_S6_NSB_4plusIvEENSB_8equal_toIvEES6_EE10hipError_tPvRmT2_T3_T4_T5_mT6_T7_P12ihipStream_tbENKUlT_T0_E_clISt17integral_constantIbLb1EES13_EEDaSY_SZ_EUlSY_E_NS1_11comp_targetILNS1_3genE4ELNS1_11target_archE910ELNS1_3gpuE8ELNS1_3repE0EEENS1_30default_config_static_selectorELNS0_4arch9wavefront6targetE0EEEvT1_
	.globl	_ZN7rocprim17ROCPRIM_400000_NS6detail17trampoline_kernelINS0_14default_configENS1_27scan_by_key_config_selectorIj11FixedVectorIiLj2EEEEZZNS1_16scan_by_key_implILNS1_25lookback_scan_determinismE0ELb0ES3_N6thrust23THRUST_200600_302600_NS6detail15normal_iteratorINSB_10device_ptrIjEEEENSD_INSE_IS6_EEEESI_S6_NSB_4plusIvEENSB_8equal_toIvEES6_EE10hipError_tPvRmT2_T3_T4_T5_mT6_T7_P12ihipStream_tbENKUlT_T0_E_clISt17integral_constantIbLb1EES13_EEDaSY_SZ_EUlSY_E_NS1_11comp_targetILNS1_3genE4ELNS1_11target_archE910ELNS1_3gpuE8ELNS1_3repE0EEENS1_30default_config_static_selectorELNS0_4arch9wavefront6targetE0EEEvT1_
	.p2align	8
	.type	_ZN7rocprim17ROCPRIM_400000_NS6detail17trampoline_kernelINS0_14default_configENS1_27scan_by_key_config_selectorIj11FixedVectorIiLj2EEEEZZNS1_16scan_by_key_implILNS1_25lookback_scan_determinismE0ELb0ES3_N6thrust23THRUST_200600_302600_NS6detail15normal_iteratorINSB_10device_ptrIjEEEENSD_INSE_IS6_EEEESI_S6_NSB_4plusIvEENSB_8equal_toIvEES6_EE10hipError_tPvRmT2_T3_T4_T5_mT6_T7_P12ihipStream_tbENKUlT_T0_E_clISt17integral_constantIbLb1EES13_EEDaSY_SZ_EUlSY_E_NS1_11comp_targetILNS1_3genE4ELNS1_11target_archE910ELNS1_3gpuE8ELNS1_3repE0EEENS1_30default_config_static_selectorELNS0_4arch9wavefront6targetE0EEEvT1_,@function
_ZN7rocprim17ROCPRIM_400000_NS6detail17trampoline_kernelINS0_14default_configENS1_27scan_by_key_config_selectorIj11FixedVectorIiLj2EEEEZZNS1_16scan_by_key_implILNS1_25lookback_scan_determinismE0ELb0ES3_N6thrust23THRUST_200600_302600_NS6detail15normal_iteratorINSB_10device_ptrIjEEEENSD_INSE_IS6_EEEESI_S6_NSB_4plusIvEENSB_8equal_toIvEES6_EE10hipError_tPvRmT2_T3_T4_T5_mT6_T7_P12ihipStream_tbENKUlT_T0_E_clISt17integral_constantIbLb1EES13_EEDaSY_SZ_EUlSY_E_NS1_11comp_targetILNS1_3genE4ELNS1_11target_archE910ELNS1_3gpuE8ELNS1_3repE0EEENS1_30default_config_static_selectorELNS0_4arch9wavefront6targetE0EEEvT1_: ; @_ZN7rocprim17ROCPRIM_400000_NS6detail17trampoline_kernelINS0_14default_configENS1_27scan_by_key_config_selectorIj11FixedVectorIiLj2EEEEZZNS1_16scan_by_key_implILNS1_25lookback_scan_determinismE0ELb0ES3_N6thrust23THRUST_200600_302600_NS6detail15normal_iteratorINSB_10device_ptrIjEEEENSD_INSE_IS6_EEEESI_S6_NSB_4plusIvEENSB_8equal_toIvEES6_EE10hipError_tPvRmT2_T3_T4_T5_mT6_T7_P12ihipStream_tbENKUlT_T0_E_clISt17integral_constantIbLb1EES13_EEDaSY_SZ_EUlSY_E_NS1_11comp_targetILNS1_3genE4ELNS1_11target_archE910ELNS1_3gpuE8ELNS1_3repE0EEENS1_30default_config_static_selectorELNS0_4arch9wavefront6targetE0EEEvT1_
; %bb.0:
	.section	.rodata,"a",@progbits
	.p2align	6, 0x0
	.amdhsa_kernel _ZN7rocprim17ROCPRIM_400000_NS6detail17trampoline_kernelINS0_14default_configENS1_27scan_by_key_config_selectorIj11FixedVectorIiLj2EEEEZZNS1_16scan_by_key_implILNS1_25lookback_scan_determinismE0ELb0ES3_N6thrust23THRUST_200600_302600_NS6detail15normal_iteratorINSB_10device_ptrIjEEEENSD_INSE_IS6_EEEESI_S6_NSB_4plusIvEENSB_8equal_toIvEES6_EE10hipError_tPvRmT2_T3_T4_T5_mT6_T7_P12ihipStream_tbENKUlT_T0_E_clISt17integral_constantIbLb1EES13_EEDaSY_SZ_EUlSY_E_NS1_11comp_targetILNS1_3genE4ELNS1_11target_archE910ELNS1_3gpuE8ELNS1_3repE0EEENS1_30default_config_static_selectorELNS0_4arch9wavefront6targetE0EEEvT1_
		.amdhsa_group_segment_fixed_size 0
		.amdhsa_private_segment_fixed_size 0
		.amdhsa_kernarg_size 120
		.amdhsa_user_sgpr_count 2
		.amdhsa_user_sgpr_dispatch_ptr 0
		.amdhsa_user_sgpr_queue_ptr 0
		.amdhsa_user_sgpr_kernarg_segment_ptr 1
		.amdhsa_user_sgpr_dispatch_id 0
		.amdhsa_user_sgpr_kernarg_preload_length 0
		.amdhsa_user_sgpr_kernarg_preload_offset 0
		.amdhsa_user_sgpr_private_segment_size 0
		.amdhsa_wavefront_size32 1
		.amdhsa_uses_dynamic_stack 0
		.amdhsa_enable_private_segment 0
		.amdhsa_system_sgpr_workgroup_id_x 1
		.amdhsa_system_sgpr_workgroup_id_y 0
		.amdhsa_system_sgpr_workgroup_id_z 0
		.amdhsa_system_sgpr_workgroup_info 0
		.amdhsa_system_vgpr_workitem_id 0
		.amdhsa_next_free_vgpr 1
		.amdhsa_next_free_sgpr 1
		.amdhsa_named_barrier_count 0
		.amdhsa_reserve_vcc 0
		.amdhsa_float_round_mode_32 0
		.amdhsa_float_round_mode_16_64 0
		.amdhsa_float_denorm_mode_32 3
		.amdhsa_float_denorm_mode_16_64 3
		.amdhsa_fp16_overflow 0
		.amdhsa_memory_ordered 1
		.amdhsa_forward_progress 1
		.amdhsa_inst_pref_size 0
		.amdhsa_round_robin_scheduling 0
		.amdhsa_exception_fp_ieee_invalid_op 0
		.amdhsa_exception_fp_denorm_src 0
		.amdhsa_exception_fp_ieee_div_zero 0
		.amdhsa_exception_fp_ieee_overflow 0
		.amdhsa_exception_fp_ieee_underflow 0
		.amdhsa_exception_fp_ieee_inexact 0
		.amdhsa_exception_int_div_zero 0
	.end_amdhsa_kernel
	.section	.text._ZN7rocprim17ROCPRIM_400000_NS6detail17trampoline_kernelINS0_14default_configENS1_27scan_by_key_config_selectorIj11FixedVectorIiLj2EEEEZZNS1_16scan_by_key_implILNS1_25lookback_scan_determinismE0ELb0ES3_N6thrust23THRUST_200600_302600_NS6detail15normal_iteratorINSB_10device_ptrIjEEEENSD_INSE_IS6_EEEESI_S6_NSB_4plusIvEENSB_8equal_toIvEES6_EE10hipError_tPvRmT2_T3_T4_T5_mT6_T7_P12ihipStream_tbENKUlT_T0_E_clISt17integral_constantIbLb1EES13_EEDaSY_SZ_EUlSY_E_NS1_11comp_targetILNS1_3genE4ELNS1_11target_archE910ELNS1_3gpuE8ELNS1_3repE0EEENS1_30default_config_static_selectorELNS0_4arch9wavefront6targetE0EEEvT1_,"axG",@progbits,_ZN7rocprim17ROCPRIM_400000_NS6detail17trampoline_kernelINS0_14default_configENS1_27scan_by_key_config_selectorIj11FixedVectorIiLj2EEEEZZNS1_16scan_by_key_implILNS1_25lookback_scan_determinismE0ELb0ES3_N6thrust23THRUST_200600_302600_NS6detail15normal_iteratorINSB_10device_ptrIjEEEENSD_INSE_IS6_EEEESI_S6_NSB_4plusIvEENSB_8equal_toIvEES6_EE10hipError_tPvRmT2_T3_T4_T5_mT6_T7_P12ihipStream_tbENKUlT_T0_E_clISt17integral_constantIbLb1EES13_EEDaSY_SZ_EUlSY_E_NS1_11comp_targetILNS1_3genE4ELNS1_11target_archE910ELNS1_3gpuE8ELNS1_3repE0EEENS1_30default_config_static_selectorELNS0_4arch9wavefront6targetE0EEEvT1_,comdat
.Lfunc_end1965:
	.size	_ZN7rocprim17ROCPRIM_400000_NS6detail17trampoline_kernelINS0_14default_configENS1_27scan_by_key_config_selectorIj11FixedVectorIiLj2EEEEZZNS1_16scan_by_key_implILNS1_25lookback_scan_determinismE0ELb0ES3_N6thrust23THRUST_200600_302600_NS6detail15normal_iteratorINSB_10device_ptrIjEEEENSD_INSE_IS6_EEEESI_S6_NSB_4plusIvEENSB_8equal_toIvEES6_EE10hipError_tPvRmT2_T3_T4_T5_mT6_T7_P12ihipStream_tbENKUlT_T0_E_clISt17integral_constantIbLb1EES13_EEDaSY_SZ_EUlSY_E_NS1_11comp_targetILNS1_3genE4ELNS1_11target_archE910ELNS1_3gpuE8ELNS1_3repE0EEENS1_30default_config_static_selectorELNS0_4arch9wavefront6targetE0EEEvT1_, .Lfunc_end1965-_ZN7rocprim17ROCPRIM_400000_NS6detail17trampoline_kernelINS0_14default_configENS1_27scan_by_key_config_selectorIj11FixedVectorIiLj2EEEEZZNS1_16scan_by_key_implILNS1_25lookback_scan_determinismE0ELb0ES3_N6thrust23THRUST_200600_302600_NS6detail15normal_iteratorINSB_10device_ptrIjEEEENSD_INSE_IS6_EEEESI_S6_NSB_4plusIvEENSB_8equal_toIvEES6_EE10hipError_tPvRmT2_T3_T4_T5_mT6_T7_P12ihipStream_tbENKUlT_T0_E_clISt17integral_constantIbLb1EES13_EEDaSY_SZ_EUlSY_E_NS1_11comp_targetILNS1_3genE4ELNS1_11target_archE910ELNS1_3gpuE8ELNS1_3repE0EEENS1_30default_config_static_selectorELNS0_4arch9wavefront6targetE0EEEvT1_
                                        ; -- End function
	.set _ZN7rocprim17ROCPRIM_400000_NS6detail17trampoline_kernelINS0_14default_configENS1_27scan_by_key_config_selectorIj11FixedVectorIiLj2EEEEZZNS1_16scan_by_key_implILNS1_25lookback_scan_determinismE0ELb0ES3_N6thrust23THRUST_200600_302600_NS6detail15normal_iteratorINSB_10device_ptrIjEEEENSD_INSE_IS6_EEEESI_S6_NSB_4plusIvEENSB_8equal_toIvEES6_EE10hipError_tPvRmT2_T3_T4_T5_mT6_T7_P12ihipStream_tbENKUlT_T0_E_clISt17integral_constantIbLb1EES13_EEDaSY_SZ_EUlSY_E_NS1_11comp_targetILNS1_3genE4ELNS1_11target_archE910ELNS1_3gpuE8ELNS1_3repE0EEENS1_30default_config_static_selectorELNS0_4arch9wavefront6targetE0EEEvT1_.num_vgpr, 0
	.set _ZN7rocprim17ROCPRIM_400000_NS6detail17trampoline_kernelINS0_14default_configENS1_27scan_by_key_config_selectorIj11FixedVectorIiLj2EEEEZZNS1_16scan_by_key_implILNS1_25lookback_scan_determinismE0ELb0ES3_N6thrust23THRUST_200600_302600_NS6detail15normal_iteratorINSB_10device_ptrIjEEEENSD_INSE_IS6_EEEESI_S6_NSB_4plusIvEENSB_8equal_toIvEES6_EE10hipError_tPvRmT2_T3_T4_T5_mT6_T7_P12ihipStream_tbENKUlT_T0_E_clISt17integral_constantIbLb1EES13_EEDaSY_SZ_EUlSY_E_NS1_11comp_targetILNS1_3genE4ELNS1_11target_archE910ELNS1_3gpuE8ELNS1_3repE0EEENS1_30default_config_static_selectorELNS0_4arch9wavefront6targetE0EEEvT1_.num_agpr, 0
	.set _ZN7rocprim17ROCPRIM_400000_NS6detail17trampoline_kernelINS0_14default_configENS1_27scan_by_key_config_selectorIj11FixedVectorIiLj2EEEEZZNS1_16scan_by_key_implILNS1_25lookback_scan_determinismE0ELb0ES3_N6thrust23THRUST_200600_302600_NS6detail15normal_iteratorINSB_10device_ptrIjEEEENSD_INSE_IS6_EEEESI_S6_NSB_4plusIvEENSB_8equal_toIvEES6_EE10hipError_tPvRmT2_T3_T4_T5_mT6_T7_P12ihipStream_tbENKUlT_T0_E_clISt17integral_constantIbLb1EES13_EEDaSY_SZ_EUlSY_E_NS1_11comp_targetILNS1_3genE4ELNS1_11target_archE910ELNS1_3gpuE8ELNS1_3repE0EEENS1_30default_config_static_selectorELNS0_4arch9wavefront6targetE0EEEvT1_.numbered_sgpr, 0
	.set _ZN7rocprim17ROCPRIM_400000_NS6detail17trampoline_kernelINS0_14default_configENS1_27scan_by_key_config_selectorIj11FixedVectorIiLj2EEEEZZNS1_16scan_by_key_implILNS1_25lookback_scan_determinismE0ELb0ES3_N6thrust23THRUST_200600_302600_NS6detail15normal_iteratorINSB_10device_ptrIjEEEENSD_INSE_IS6_EEEESI_S6_NSB_4plusIvEENSB_8equal_toIvEES6_EE10hipError_tPvRmT2_T3_T4_T5_mT6_T7_P12ihipStream_tbENKUlT_T0_E_clISt17integral_constantIbLb1EES13_EEDaSY_SZ_EUlSY_E_NS1_11comp_targetILNS1_3genE4ELNS1_11target_archE910ELNS1_3gpuE8ELNS1_3repE0EEENS1_30default_config_static_selectorELNS0_4arch9wavefront6targetE0EEEvT1_.num_named_barrier, 0
	.set _ZN7rocprim17ROCPRIM_400000_NS6detail17trampoline_kernelINS0_14default_configENS1_27scan_by_key_config_selectorIj11FixedVectorIiLj2EEEEZZNS1_16scan_by_key_implILNS1_25lookback_scan_determinismE0ELb0ES3_N6thrust23THRUST_200600_302600_NS6detail15normal_iteratorINSB_10device_ptrIjEEEENSD_INSE_IS6_EEEESI_S6_NSB_4plusIvEENSB_8equal_toIvEES6_EE10hipError_tPvRmT2_T3_T4_T5_mT6_T7_P12ihipStream_tbENKUlT_T0_E_clISt17integral_constantIbLb1EES13_EEDaSY_SZ_EUlSY_E_NS1_11comp_targetILNS1_3genE4ELNS1_11target_archE910ELNS1_3gpuE8ELNS1_3repE0EEENS1_30default_config_static_selectorELNS0_4arch9wavefront6targetE0EEEvT1_.private_seg_size, 0
	.set _ZN7rocprim17ROCPRIM_400000_NS6detail17trampoline_kernelINS0_14default_configENS1_27scan_by_key_config_selectorIj11FixedVectorIiLj2EEEEZZNS1_16scan_by_key_implILNS1_25lookback_scan_determinismE0ELb0ES3_N6thrust23THRUST_200600_302600_NS6detail15normal_iteratorINSB_10device_ptrIjEEEENSD_INSE_IS6_EEEESI_S6_NSB_4plusIvEENSB_8equal_toIvEES6_EE10hipError_tPvRmT2_T3_T4_T5_mT6_T7_P12ihipStream_tbENKUlT_T0_E_clISt17integral_constantIbLb1EES13_EEDaSY_SZ_EUlSY_E_NS1_11comp_targetILNS1_3genE4ELNS1_11target_archE910ELNS1_3gpuE8ELNS1_3repE0EEENS1_30default_config_static_selectorELNS0_4arch9wavefront6targetE0EEEvT1_.uses_vcc, 0
	.set _ZN7rocprim17ROCPRIM_400000_NS6detail17trampoline_kernelINS0_14default_configENS1_27scan_by_key_config_selectorIj11FixedVectorIiLj2EEEEZZNS1_16scan_by_key_implILNS1_25lookback_scan_determinismE0ELb0ES3_N6thrust23THRUST_200600_302600_NS6detail15normal_iteratorINSB_10device_ptrIjEEEENSD_INSE_IS6_EEEESI_S6_NSB_4plusIvEENSB_8equal_toIvEES6_EE10hipError_tPvRmT2_T3_T4_T5_mT6_T7_P12ihipStream_tbENKUlT_T0_E_clISt17integral_constantIbLb1EES13_EEDaSY_SZ_EUlSY_E_NS1_11comp_targetILNS1_3genE4ELNS1_11target_archE910ELNS1_3gpuE8ELNS1_3repE0EEENS1_30default_config_static_selectorELNS0_4arch9wavefront6targetE0EEEvT1_.uses_flat_scratch, 0
	.set _ZN7rocprim17ROCPRIM_400000_NS6detail17trampoline_kernelINS0_14default_configENS1_27scan_by_key_config_selectorIj11FixedVectorIiLj2EEEEZZNS1_16scan_by_key_implILNS1_25lookback_scan_determinismE0ELb0ES3_N6thrust23THRUST_200600_302600_NS6detail15normal_iteratorINSB_10device_ptrIjEEEENSD_INSE_IS6_EEEESI_S6_NSB_4plusIvEENSB_8equal_toIvEES6_EE10hipError_tPvRmT2_T3_T4_T5_mT6_T7_P12ihipStream_tbENKUlT_T0_E_clISt17integral_constantIbLb1EES13_EEDaSY_SZ_EUlSY_E_NS1_11comp_targetILNS1_3genE4ELNS1_11target_archE910ELNS1_3gpuE8ELNS1_3repE0EEENS1_30default_config_static_selectorELNS0_4arch9wavefront6targetE0EEEvT1_.has_dyn_sized_stack, 0
	.set _ZN7rocprim17ROCPRIM_400000_NS6detail17trampoline_kernelINS0_14default_configENS1_27scan_by_key_config_selectorIj11FixedVectorIiLj2EEEEZZNS1_16scan_by_key_implILNS1_25lookback_scan_determinismE0ELb0ES3_N6thrust23THRUST_200600_302600_NS6detail15normal_iteratorINSB_10device_ptrIjEEEENSD_INSE_IS6_EEEESI_S6_NSB_4plusIvEENSB_8equal_toIvEES6_EE10hipError_tPvRmT2_T3_T4_T5_mT6_T7_P12ihipStream_tbENKUlT_T0_E_clISt17integral_constantIbLb1EES13_EEDaSY_SZ_EUlSY_E_NS1_11comp_targetILNS1_3genE4ELNS1_11target_archE910ELNS1_3gpuE8ELNS1_3repE0EEENS1_30default_config_static_selectorELNS0_4arch9wavefront6targetE0EEEvT1_.has_recursion, 0
	.set _ZN7rocprim17ROCPRIM_400000_NS6detail17trampoline_kernelINS0_14default_configENS1_27scan_by_key_config_selectorIj11FixedVectorIiLj2EEEEZZNS1_16scan_by_key_implILNS1_25lookback_scan_determinismE0ELb0ES3_N6thrust23THRUST_200600_302600_NS6detail15normal_iteratorINSB_10device_ptrIjEEEENSD_INSE_IS6_EEEESI_S6_NSB_4plusIvEENSB_8equal_toIvEES6_EE10hipError_tPvRmT2_T3_T4_T5_mT6_T7_P12ihipStream_tbENKUlT_T0_E_clISt17integral_constantIbLb1EES13_EEDaSY_SZ_EUlSY_E_NS1_11comp_targetILNS1_3genE4ELNS1_11target_archE910ELNS1_3gpuE8ELNS1_3repE0EEENS1_30default_config_static_selectorELNS0_4arch9wavefront6targetE0EEEvT1_.has_indirect_call, 0
	.section	.AMDGPU.csdata,"",@progbits
; Kernel info:
; codeLenInByte = 0
; TotalNumSgprs: 0
; NumVgprs: 0
; ScratchSize: 0
; MemoryBound: 0
; FloatMode: 240
; IeeeMode: 1
; LDSByteSize: 0 bytes/workgroup (compile time only)
; SGPRBlocks: 0
; VGPRBlocks: 0
; NumSGPRsForWavesPerEU: 1
; NumVGPRsForWavesPerEU: 1
; NamedBarCnt: 0
; Occupancy: 16
; WaveLimiterHint : 0
; COMPUTE_PGM_RSRC2:SCRATCH_EN: 0
; COMPUTE_PGM_RSRC2:USER_SGPR: 2
; COMPUTE_PGM_RSRC2:TRAP_HANDLER: 0
; COMPUTE_PGM_RSRC2:TGID_X_EN: 1
; COMPUTE_PGM_RSRC2:TGID_Y_EN: 0
; COMPUTE_PGM_RSRC2:TGID_Z_EN: 0
; COMPUTE_PGM_RSRC2:TIDIG_COMP_CNT: 0
	.section	.text._ZN7rocprim17ROCPRIM_400000_NS6detail17trampoline_kernelINS0_14default_configENS1_27scan_by_key_config_selectorIj11FixedVectorIiLj2EEEEZZNS1_16scan_by_key_implILNS1_25lookback_scan_determinismE0ELb0ES3_N6thrust23THRUST_200600_302600_NS6detail15normal_iteratorINSB_10device_ptrIjEEEENSD_INSE_IS6_EEEESI_S6_NSB_4plusIvEENSB_8equal_toIvEES6_EE10hipError_tPvRmT2_T3_T4_T5_mT6_T7_P12ihipStream_tbENKUlT_T0_E_clISt17integral_constantIbLb1EES13_EEDaSY_SZ_EUlSY_E_NS1_11comp_targetILNS1_3genE3ELNS1_11target_archE908ELNS1_3gpuE7ELNS1_3repE0EEENS1_30default_config_static_selectorELNS0_4arch9wavefront6targetE0EEEvT1_,"axG",@progbits,_ZN7rocprim17ROCPRIM_400000_NS6detail17trampoline_kernelINS0_14default_configENS1_27scan_by_key_config_selectorIj11FixedVectorIiLj2EEEEZZNS1_16scan_by_key_implILNS1_25lookback_scan_determinismE0ELb0ES3_N6thrust23THRUST_200600_302600_NS6detail15normal_iteratorINSB_10device_ptrIjEEEENSD_INSE_IS6_EEEESI_S6_NSB_4plusIvEENSB_8equal_toIvEES6_EE10hipError_tPvRmT2_T3_T4_T5_mT6_T7_P12ihipStream_tbENKUlT_T0_E_clISt17integral_constantIbLb1EES13_EEDaSY_SZ_EUlSY_E_NS1_11comp_targetILNS1_3genE3ELNS1_11target_archE908ELNS1_3gpuE7ELNS1_3repE0EEENS1_30default_config_static_selectorELNS0_4arch9wavefront6targetE0EEEvT1_,comdat
	.protected	_ZN7rocprim17ROCPRIM_400000_NS6detail17trampoline_kernelINS0_14default_configENS1_27scan_by_key_config_selectorIj11FixedVectorIiLj2EEEEZZNS1_16scan_by_key_implILNS1_25lookback_scan_determinismE0ELb0ES3_N6thrust23THRUST_200600_302600_NS6detail15normal_iteratorINSB_10device_ptrIjEEEENSD_INSE_IS6_EEEESI_S6_NSB_4plusIvEENSB_8equal_toIvEES6_EE10hipError_tPvRmT2_T3_T4_T5_mT6_T7_P12ihipStream_tbENKUlT_T0_E_clISt17integral_constantIbLb1EES13_EEDaSY_SZ_EUlSY_E_NS1_11comp_targetILNS1_3genE3ELNS1_11target_archE908ELNS1_3gpuE7ELNS1_3repE0EEENS1_30default_config_static_selectorELNS0_4arch9wavefront6targetE0EEEvT1_ ; -- Begin function _ZN7rocprim17ROCPRIM_400000_NS6detail17trampoline_kernelINS0_14default_configENS1_27scan_by_key_config_selectorIj11FixedVectorIiLj2EEEEZZNS1_16scan_by_key_implILNS1_25lookback_scan_determinismE0ELb0ES3_N6thrust23THRUST_200600_302600_NS6detail15normal_iteratorINSB_10device_ptrIjEEEENSD_INSE_IS6_EEEESI_S6_NSB_4plusIvEENSB_8equal_toIvEES6_EE10hipError_tPvRmT2_T3_T4_T5_mT6_T7_P12ihipStream_tbENKUlT_T0_E_clISt17integral_constantIbLb1EES13_EEDaSY_SZ_EUlSY_E_NS1_11comp_targetILNS1_3genE3ELNS1_11target_archE908ELNS1_3gpuE7ELNS1_3repE0EEENS1_30default_config_static_selectorELNS0_4arch9wavefront6targetE0EEEvT1_
	.globl	_ZN7rocprim17ROCPRIM_400000_NS6detail17trampoline_kernelINS0_14default_configENS1_27scan_by_key_config_selectorIj11FixedVectorIiLj2EEEEZZNS1_16scan_by_key_implILNS1_25lookback_scan_determinismE0ELb0ES3_N6thrust23THRUST_200600_302600_NS6detail15normal_iteratorINSB_10device_ptrIjEEEENSD_INSE_IS6_EEEESI_S6_NSB_4plusIvEENSB_8equal_toIvEES6_EE10hipError_tPvRmT2_T3_T4_T5_mT6_T7_P12ihipStream_tbENKUlT_T0_E_clISt17integral_constantIbLb1EES13_EEDaSY_SZ_EUlSY_E_NS1_11comp_targetILNS1_3genE3ELNS1_11target_archE908ELNS1_3gpuE7ELNS1_3repE0EEENS1_30default_config_static_selectorELNS0_4arch9wavefront6targetE0EEEvT1_
	.p2align	8
	.type	_ZN7rocprim17ROCPRIM_400000_NS6detail17trampoline_kernelINS0_14default_configENS1_27scan_by_key_config_selectorIj11FixedVectorIiLj2EEEEZZNS1_16scan_by_key_implILNS1_25lookback_scan_determinismE0ELb0ES3_N6thrust23THRUST_200600_302600_NS6detail15normal_iteratorINSB_10device_ptrIjEEEENSD_INSE_IS6_EEEESI_S6_NSB_4plusIvEENSB_8equal_toIvEES6_EE10hipError_tPvRmT2_T3_T4_T5_mT6_T7_P12ihipStream_tbENKUlT_T0_E_clISt17integral_constantIbLb1EES13_EEDaSY_SZ_EUlSY_E_NS1_11comp_targetILNS1_3genE3ELNS1_11target_archE908ELNS1_3gpuE7ELNS1_3repE0EEENS1_30default_config_static_selectorELNS0_4arch9wavefront6targetE0EEEvT1_,@function
_ZN7rocprim17ROCPRIM_400000_NS6detail17trampoline_kernelINS0_14default_configENS1_27scan_by_key_config_selectorIj11FixedVectorIiLj2EEEEZZNS1_16scan_by_key_implILNS1_25lookback_scan_determinismE0ELb0ES3_N6thrust23THRUST_200600_302600_NS6detail15normal_iteratorINSB_10device_ptrIjEEEENSD_INSE_IS6_EEEESI_S6_NSB_4plusIvEENSB_8equal_toIvEES6_EE10hipError_tPvRmT2_T3_T4_T5_mT6_T7_P12ihipStream_tbENKUlT_T0_E_clISt17integral_constantIbLb1EES13_EEDaSY_SZ_EUlSY_E_NS1_11comp_targetILNS1_3genE3ELNS1_11target_archE908ELNS1_3gpuE7ELNS1_3repE0EEENS1_30default_config_static_selectorELNS0_4arch9wavefront6targetE0EEEvT1_: ; @_ZN7rocprim17ROCPRIM_400000_NS6detail17trampoline_kernelINS0_14default_configENS1_27scan_by_key_config_selectorIj11FixedVectorIiLj2EEEEZZNS1_16scan_by_key_implILNS1_25lookback_scan_determinismE0ELb0ES3_N6thrust23THRUST_200600_302600_NS6detail15normal_iteratorINSB_10device_ptrIjEEEENSD_INSE_IS6_EEEESI_S6_NSB_4plusIvEENSB_8equal_toIvEES6_EE10hipError_tPvRmT2_T3_T4_T5_mT6_T7_P12ihipStream_tbENKUlT_T0_E_clISt17integral_constantIbLb1EES13_EEDaSY_SZ_EUlSY_E_NS1_11comp_targetILNS1_3genE3ELNS1_11target_archE908ELNS1_3gpuE7ELNS1_3repE0EEENS1_30default_config_static_selectorELNS0_4arch9wavefront6targetE0EEEvT1_
; %bb.0:
	.section	.rodata,"a",@progbits
	.p2align	6, 0x0
	.amdhsa_kernel _ZN7rocprim17ROCPRIM_400000_NS6detail17trampoline_kernelINS0_14default_configENS1_27scan_by_key_config_selectorIj11FixedVectorIiLj2EEEEZZNS1_16scan_by_key_implILNS1_25lookback_scan_determinismE0ELb0ES3_N6thrust23THRUST_200600_302600_NS6detail15normal_iteratorINSB_10device_ptrIjEEEENSD_INSE_IS6_EEEESI_S6_NSB_4plusIvEENSB_8equal_toIvEES6_EE10hipError_tPvRmT2_T3_T4_T5_mT6_T7_P12ihipStream_tbENKUlT_T0_E_clISt17integral_constantIbLb1EES13_EEDaSY_SZ_EUlSY_E_NS1_11comp_targetILNS1_3genE3ELNS1_11target_archE908ELNS1_3gpuE7ELNS1_3repE0EEENS1_30default_config_static_selectorELNS0_4arch9wavefront6targetE0EEEvT1_
		.amdhsa_group_segment_fixed_size 0
		.amdhsa_private_segment_fixed_size 0
		.amdhsa_kernarg_size 120
		.amdhsa_user_sgpr_count 2
		.amdhsa_user_sgpr_dispatch_ptr 0
		.amdhsa_user_sgpr_queue_ptr 0
		.amdhsa_user_sgpr_kernarg_segment_ptr 1
		.amdhsa_user_sgpr_dispatch_id 0
		.amdhsa_user_sgpr_kernarg_preload_length 0
		.amdhsa_user_sgpr_kernarg_preload_offset 0
		.amdhsa_user_sgpr_private_segment_size 0
		.amdhsa_wavefront_size32 1
		.amdhsa_uses_dynamic_stack 0
		.amdhsa_enable_private_segment 0
		.amdhsa_system_sgpr_workgroup_id_x 1
		.amdhsa_system_sgpr_workgroup_id_y 0
		.amdhsa_system_sgpr_workgroup_id_z 0
		.amdhsa_system_sgpr_workgroup_info 0
		.amdhsa_system_vgpr_workitem_id 0
		.amdhsa_next_free_vgpr 1
		.amdhsa_next_free_sgpr 1
		.amdhsa_named_barrier_count 0
		.amdhsa_reserve_vcc 0
		.amdhsa_float_round_mode_32 0
		.amdhsa_float_round_mode_16_64 0
		.amdhsa_float_denorm_mode_32 3
		.amdhsa_float_denorm_mode_16_64 3
		.amdhsa_fp16_overflow 0
		.amdhsa_memory_ordered 1
		.amdhsa_forward_progress 1
		.amdhsa_inst_pref_size 0
		.amdhsa_round_robin_scheduling 0
		.amdhsa_exception_fp_ieee_invalid_op 0
		.amdhsa_exception_fp_denorm_src 0
		.amdhsa_exception_fp_ieee_div_zero 0
		.amdhsa_exception_fp_ieee_overflow 0
		.amdhsa_exception_fp_ieee_underflow 0
		.amdhsa_exception_fp_ieee_inexact 0
		.amdhsa_exception_int_div_zero 0
	.end_amdhsa_kernel
	.section	.text._ZN7rocprim17ROCPRIM_400000_NS6detail17trampoline_kernelINS0_14default_configENS1_27scan_by_key_config_selectorIj11FixedVectorIiLj2EEEEZZNS1_16scan_by_key_implILNS1_25lookback_scan_determinismE0ELb0ES3_N6thrust23THRUST_200600_302600_NS6detail15normal_iteratorINSB_10device_ptrIjEEEENSD_INSE_IS6_EEEESI_S6_NSB_4plusIvEENSB_8equal_toIvEES6_EE10hipError_tPvRmT2_T3_T4_T5_mT6_T7_P12ihipStream_tbENKUlT_T0_E_clISt17integral_constantIbLb1EES13_EEDaSY_SZ_EUlSY_E_NS1_11comp_targetILNS1_3genE3ELNS1_11target_archE908ELNS1_3gpuE7ELNS1_3repE0EEENS1_30default_config_static_selectorELNS0_4arch9wavefront6targetE0EEEvT1_,"axG",@progbits,_ZN7rocprim17ROCPRIM_400000_NS6detail17trampoline_kernelINS0_14default_configENS1_27scan_by_key_config_selectorIj11FixedVectorIiLj2EEEEZZNS1_16scan_by_key_implILNS1_25lookback_scan_determinismE0ELb0ES3_N6thrust23THRUST_200600_302600_NS6detail15normal_iteratorINSB_10device_ptrIjEEEENSD_INSE_IS6_EEEESI_S6_NSB_4plusIvEENSB_8equal_toIvEES6_EE10hipError_tPvRmT2_T3_T4_T5_mT6_T7_P12ihipStream_tbENKUlT_T0_E_clISt17integral_constantIbLb1EES13_EEDaSY_SZ_EUlSY_E_NS1_11comp_targetILNS1_3genE3ELNS1_11target_archE908ELNS1_3gpuE7ELNS1_3repE0EEENS1_30default_config_static_selectorELNS0_4arch9wavefront6targetE0EEEvT1_,comdat
.Lfunc_end1966:
	.size	_ZN7rocprim17ROCPRIM_400000_NS6detail17trampoline_kernelINS0_14default_configENS1_27scan_by_key_config_selectorIj11FixedVectorIiLj2EEEEZZNS1_16scan_by_key_implILNS1_25lookback_scan_determinismE0ELb0ES3_N6thrust23THRUST_200600_302600_NS6detail15normal_iteratorINSB_10device_ptrIjEEEENSD_INSE_IS6_EEEESI_S6_NSB_4plusIvEENSB_8equal_toIvEES6_EE10hipError_tPvRmT2_T3_T4_T5_mT6_T7_P12ihipStream_tbENKUlT_T0_E_clISt17integral_constantIbLb1EES13_EEDaSY_SZ_EUlSY_E_NS1_11comp_targetILNS1_3genE3ELNS1_11target_archE908ELNS1_3gpuE7ELNS1_3repE0EEENS1_30default_config_static_selectorELNS0_4arch9wavefront6targetE0EEEvT1_, .Lfunc_end1966-_ZN7rocprim17ROCPRIM_400000_NS6detail17trampoline_kernelINS0_14default_configENS1_27scan_by_key_config_selectorIj11FixedVectorIiLj2EEEEZZNS1_16scan_by_key_implILNS1_25lookback_scan_determinismE0ELb0ES3_N6thrust23THRUST_200600_302600_NS6detail15normal_iteratorINSB_10device_ptrIjEEEENSD_INSE_IS6_EEEESI_S6_NSB_4plusIvEENSB_8equal_toIvEES6_EE10hipError_tPvRmT2_T3_T4_T5_mT6_T7_P12ihipStream_tbENKUlT_T0_E_clISt17integral_constantIbLb1EES13_EEDaSY_SZ_EUlSY_E_NS1_11comp_targetILNS1_3genE3ELNS1_11target_archE908ELNS1_3gpuE7ELNS1_3repE0EEENS1_30default_config_static_selectorELNS0_4arch9wavefront6targetE0EEEvT1_
                                        ; -- End function
	.set _ZN7rocprim17ROCPRIM_400000_NS6detail17trampoline_kernelINS0_14default_configENS1_27scan_by_key_config_selectorIj11FixedVectorIiLj2EEEEZZNS1_16scan_by_key_implILNS1_25lookback_scan_determinismE0ELb0ES3_N6thrust23THRUST_200600_302600_NS6detail15normal_iteratorINSB_10device_ptrIjEEEENSD_INSE_IS6_EEEESI_S6_NSB_4plusIvEENSB_8equal_toIvEES6_EE10hipError_tPvRmT2_T3_T4_T5_mT6_T7_P12ihipStream_tbENKUlT_T0_E_clISt17integral_constantIbLb1EES13_EEDaSY_SZ_EUlSY_E_NS1_11comp_targetILNS1_3genE3ELNS1_11target_archE908ELNS1_3gpuE7ELNS1_3repE0EEENS1_30default_config_static_selectorELNS0_4arch9wavefront6targetE0EEEvT1_.num_vgpr, 0
	.set _ZN7rocprim17ROCPRIM_400000_NS6detail17trampoline_kernelINS0_14default_configENS1_27scan_by_key_config_selectorIj11FixedVectorIiLj2EEEEZZNS1_16scan_by_key_implILNS1_25lookback_scan_determinismE0ELb0ES3_N6thrust23THRUST_200600_302600_NS6detail15normal_iteratorINSB_10device_ptrIjEEEENSD_INSE_IS6_EEEESI_S6_NSB_4plusIvEENSB_8equal_toIvEES6_EE10hipError_tPvRmT2_T3_T4_T5_mT6_T7_P12ihipStream_tbENKUlT_T0_E_clISt17integral_constantIbLb1EES13_EEDaSY_SZ_EUlSY_E_NS1_11comp_targetILNS1_3genE3ELNS1_11target_archE908ELNS1_3gpuE7ELNS1_3repE0EEENS1_30default_config_static_selectorELNS0_4arch9wavefront6targetE0EEEvT1_.num_agpr, 0
	.set _ZN7rocprim17ROCPRIM_400000_NS6detail17trampoline_kernelINS0_14default_configENS1_27scan_by_key_config_selectorIj11FixedVectorIiLj2EEEEZZNS1_16scan_by_key_implILNS1_25lookback_scan_determinismE0ELb0ES3_N6thrust23THRUST_200600_302600_NS6detail15normal_iteratorINSB_10device_ptrIjEEEENSD_INSE_IS6_EEEESI_S6_NSB_4plusIvEENSB_8equal_toIvEES6_EE10hipError_tPvRmT2_T3_T4_T5_mT6_T7_P12ihipStream_tbENKUlT_T0_E_clISt17integral_constantIbLb1EES13_EEDaSY_SZ_EUlSY_E_NS1_11comp_targetILNS1_3genE3ELNS1_11target_archE908ELNS1_3gpuE7ELNS1_3repE0EEENS1_30default_config_static_selectorELNS0_4arch9wavefront6targetE0EEEvT1_.numbered_sgpr, 0
	.set _ZN7rocprim17ROCPRIM_400000_NS6detail17trampoline_kernelINS0_14default_configENS1_27scan_by_key_config_selectorIj11FixedVectorIiLj2EEEEZZNS1_16scan_by_key_implILNS1_25lookback_scan_determinismE0ELb0ES3_N6thrust23THRUST_200600_302600_NS6detail15normal_iteratorINSB_10device_ptrIjEEEENSD_INSE_IS6_EEEESI_S6_NSB_4plusIvEENSB_8equal_toIvEES6_EE10hipError_tPvRmT2_T3_T4_T5_mT6_T7_P12ihipStream_tbENKUlT_T0_E_clISt17integral_constantIbLb1EES13_EEDaSY_SZ_EUlSY_E_NS1_11comp_targetILNS1_3genE3ELNS1_11target_archE908ELNS1_3gpuE7ELNS1_3repE0EEENS1_30default_config_static_selectorELNS0_4arch9wavefront6targetE0EEEvT1_.num_named_barrier, 0
	.set _ZN7rocprim17ROCPRIM_400000_NS6detail17trampoline_kernelINS0_14default_configENS1_27scan_by_key_config_selectorIj11FixedVectorIiLj2EEEEZZNS1_16scan_by_key_implILNS1_25lookback_scan_determinismE0ELb0ES3_N6thrust23THRUST_200600_302600_NS6detail15normal_iteratorINSB_10device_ptrIjEEEENSD_INSE_IS6_EEEESI_S6_NSB_4plusIvEENSB_8equal_toIvEES6_EE10hipError_tPvRmT2_T3_T4_T5_mT6_T7_P12ihipStream_tbENKUlT_T0_E_clISt17integral_constantIbLb1EES13_EEDaSY_SZ_EUlSY_E_NS1_11comp_targetILNS1_3genE3ELNS1_11target_archE908ELNS1_3gpuE7ELNS1_3repE0EEENS1_30default_config_static_selectorELNS0_4arch9wavefront6targetE0EEEvT1_.private_seg_size, 0
	.set _ZN7rocprim17ROCPRIM_400000_NS6detail17trampoline_kernelINS0_14default_configENS1_27scan_by_key_config_selectorIj11FixedVectorIiLj2EEEEZZNS1_16scan_by_key_implILNS1_25lookback_scan_determinismE0ELb0ES3_N6thrust23THRUST_200600_302600_NS6detail15normal_iteratorINSB_10device_ptrIjEEEENSD_INSE_IS6_EEEESI_S6_NSB_4plusIvEENSB_8equal_toIvEES6_EE10hipError_tPvRmT2_T3_T4_T5_mT6_T7_P12ihipStream_tbENKUlT_T0_E_clISt17integral_constantIbLb1EES13_EEDaSY_SZ_EUlSY_E_NS1_11comp_targetILNS1_3genE3ELNS1_11target_archE908ELNS1_3gpuE7ELNS1_3repE0EEENS1_30default_config_static_selectorELNS0_4arch9wavefront6targetE0EEEvT1_.uses_vcc, 0
	.set _ZN7rocprim17ROCPRIM_400000_NS6detail17trampoline_kernelINS0_14default_configENS1_27scan_by_key_config_selectorIj11FixedVectorIiLj2EEEEZZNS1_16scan_by_key_implILNS1_25lookback_scan_determinismE0ELb0ES3_N6thrust23THRUST_200600_302600_NS6detail15normal_iteratorINSB_10device_ptrIjEEEENSD_INSE_IS6_EEEESI_S6_NSB_4plusIvEENSB_8equal_toIvEES6_EE10hipError_tPvRmT2_T3_T4_T5_mT6_T7_P12ihipStream_tbENKUlT_T0_E_clISt17integral_constantIbLb1EES13_EEDaSY_SZ_EUlSY_E_NS1_11comp_targetILNS1_3genE3ELNS1_11target_archE908ELNS1_3gpuE7ELNS1_3repE0EEENS1_30default_config_static_selectorELNS0_4arch9wavefront6targetE0EEEvT1_.uses_flat_scratch, 0
	.set _ZN7rocprim17ROCPRIM_400000_NS6detail17trampoline_kernelINS0_14default_configENS1_27scan_by_key_config_selectorIj11FixedVectorIiLj2EEEEZZNS1_16scan_by_key_implILNS1_25lookback_scan_determinismE0ELb0ES3_N6thrust23THRUST_200600_302600_NS6detail15normal_iteratorINSB_10device_ptrIjEEEENSD_INSE_IS6_EEEESI_S6_NSB_4plusIvEENSB_8equal_toIvEES6_EE10hipError_tPvRmT2_T3_T4_T5_mT6_T7_P12ihipStream_tbENKUlT_T0_E_clISt17integral_constantIbLb1EES13_EEDaSY_SZ_EUlSY_E_NS1_11comp_targetILNS1_3genE3ELNS1_11target_archE908ELNS1_3gpuE7ELNS1_3repE0EEENS1_30default_config_static_selectorELNS0_4arch9wavefront6targetE0EEEvT1_.has_dyn_sized_stack, 0
	.set _ZN7rocprim17ROCPRIM_400000_NS6detail17trampoline_kernelINS0_14default_configENS1_27scan_by_key_config_selectorIj11FixedVectorIiLj2EEEEZZNS1_16scan_by_key_implILNS1_25lookback_scan_determinismE0ELb0ES3_N6thrust23THRUST_200600_302600_NS6detail15normal_iteratorINSB_10device_ptrIjEEEENSD_INSE_IS6_EEEESI_S6_NSB_4plusIvEENSB_8equal_toIvEES6_EE10hipError_tPvRmT2_T3_T4_T5_mT6_T7_P12ihipStream_tbENKUlT_T0_E_clISt17integral_constantIbLb1EES13_EEDaSY_SZ_EUlSY_E_NS1_11comp_targetILNS1_3genE3ELNS1_11target_archE908ELNS1_3gpuE7ELNS1_3repE0EEENS1_30default_config_static_selectorELNS0_4arch9wavefront6targetE0EEEvT1_.has_recursion, 0
	.set _ZN7rocprim17ROCPRIM_400000_NS6detail17trampoline_kernelINS0_14default_configENS1_27scan_by_key_config_selectorIj11FixedVectorIiLj2EEEEZZNS1_16scan_by_key_implILNS1_25lookback_scan_determinismE0ELb0ES3_N6thrust23THRUST_200600_302600_NS6detail15normal_iteratorINSB_10device_ptrIjEEEENSD_INSE_IS6_EEEESI_S6_NSB_4plusIvEENSB_8equal_toIvEES6_EE10hipError_tPvRmT2_T3_T4_T5_mT6_T7_P12ihipStream_tbENKUlT_T0_E_clISt17integral_constantIbLb1EES13_EEDaSY_SZ_EUlSY_E_NS1_11comp_targetILNS1_3genE3ELNS1_11target_archE908ELNS1_3gpuE7ELNS1_3repE0EEENS1_30default_config_static_selectorELNS0_4arch9wavefront6targetE0EEEvT1_.has_indirect_call, 0
	.section	.AMDGPU.csdata,"",@progbits
; Kernel info:
; codeLenInByte = 0
; TotalNumSgprs: 0
; NumVgprs: 0
; ScratchSize: 0
; MemoryBound: 0
; FloatMode: 240
; IeeeMode: 1
; LDSByteSize: 0 bytes/workgroup (compile time only)
; SGPRBlocks: 0
; VGPRBlocks: 0
; NumSGPRsForWavesPerEU: 1
; NumVGPRsForWavesPerEU: 1
; NamedBarCnt: 0
; Occupancy: 16
; WaveLimiterHint : 0
; COMPUTE_PGM_RSRC2:SCRATCH_EN: 0
; COMPUTE_PGM_RSRC2:USER_SGPR: 2
; COMPUTE_PGM_RSRC2:TRAP_HANDLER: 0
; COMPUTE_PGM_RSRC2:TGID_X_EN: 1
; COMPUTE_PGM_RSRC2:TGID_Y_EN: 0
; COMPUTE_PGM_RSRC2:TGID_Z_EN: 0
; COMPUTE_PGM_RSRC2:TIDIG_COMP_CNT: 0
	.section	.text._ZN7rocprim17ROCPRIM_400000_NS6detail17trampoline_kernelINS0_14default_configENS1_27scan_by_key_config_selectorIj11FixedVectorIiLj2EEEEZZNS1_16scan_by_key_implILNS1_25lookback_scan_determinismE0ELb0ES3_N6thrust23THRUST_200600_302600_NS6detail15normal_iteratorINSB_10device_ptrIjEEEENSD_INSE_IS6_EEEESI_S6_NSB_4plusIvEENSB_8equal_toIvEES6_EE10hipError_tPvRmT2_T3_T4_T5_mT6_T7_P12ihipStream_tbENKUlT_T0_E_clISt17integral_constantIbLb1EES13_EEDaSY_SZ_EUlSY_E_NS1_11comp_targetILNS1_3genE2ELNS1_11target_archE906ELNS1_3gpuE6ELNS1_3repE0EEENS1_30default_config_static_selectorELNS0_4arch9wavefront6targetE0EEEvT1_,"axG",@progbits,_ZN7rocprim17ROCPRIM_400000_NS6detail17trampoline_kernelINS0_14default_configENS1_27scan_by_key_config_selectorIj11FixedVectorIiLj2EEEEZZNS1_16scan_by_key_implILNS1_25lookback_scan_determinismE0ELb0ES3_N6thrust23THRUST_200600_302600_NS6detail15normal_iteratorINSB_10device_ptrIjEEEENSD_INSE_IS6_EEEESI_S6_NSB_4plusIvEENSB_8equal_toIvEES6_EE10hipError_tPvRmT2_T3_T4_T5_mT6_T7_P12ihipStream_tbENKUlT_T0_E_clISt17integral_constantIbLb1EES13_EEDaSY_SZ_EUlSY_E_NS1_11comp_targetILNS1_3genE2ELNS1_11target_archE906ELNS1_3gpuE6ELNS1_3repE0EEENS1_30default_config_static_selectorELNS0_4arch9wavefront6targetE0EEEvT1_,comdat
	.protected	_ZN7rocprim17ROCPRIM_400000_NS6detail17trampoline_kernelINS0_14default_configENS1_27scan_by_key_config_selectorIj11FixedVectorIiLj2EEEEZZNS1_16scan_by_key_implILNS1_25lookback_scan_determinismE0ELb0ES3_N6thrust23THRUST_200600_302600_NS6detail15normal_iteratorINSB_10device_ptrIjEEEENSD_INSE_IS6_EEEESI_S6_NSB_4plusIvEENSB_8equal_toIvEES6_EE10hipError_tPvRmT2_T3_T4_T5_mT6_T7_P12ihipStream_tbENKUlT_T0_E_clISt17integral_constantIbLb1EES13_EEDaSY_SZ_EUlSY_E_NS1_11comp_targetILNS1_3genE2ELNS1_11target_archE906ELNS1_3gpuE6ELNS1_3repE0EEENS1_30default_config_static_selectorELNS0_4arch9wavefront6targetE0EEEvT1_ ; -- Begin function _ZN7rocprim17ROCPRIM_400000_NS6detail17trampoline_kernelINS0_14default_configENS1_27scan_by_key_config_selectorIj11FixedVectorIiLj2EEEEZZNS1_16scan_by_key_implILNS1_25lookback_scan_determinismE0ELb0ES3_N6thrust23THRUST_200600_302600_NS6detail15normal_iteratorINSB_10device_ptrIjEEEENSD_INSE_IS6_EEEESI_S6_NSB_4plusIvEENSB_8equal_toIvEES6_EE10hipError_tPvRmT2_T3_T4_T5_mT6_T7_P12ihipStream_tbENKUlT_T0_E_clISt17integral_constantIbLb1EES13_EEDaSY_SZ_EUlSY_E_NS1_11comp_targetILNS1_3genE2ELNS1_11target_archE906ELNS1_3gpuE6ELNS1_3repE0EEENS1_30default_config_static_selectorELNS0_4arch9wavefront6targetE0EEEvT1_
	.globl	_ZN7rocprim17ROCPRIM_400000_NS6detail17trampoline_kernelINS0_14default_configENS1_27scan_by_key_config_selectorIj11FixedVectorIiLj2EEEEZZNS1_16scan_by_key_implILNS1_25lookback_scan_determinismE0ELb0ES3_N6thrust23THRUST_200600_302600_NS6detail15normal_iteratorINSB_10device_ptrIjEEEENSD_INSE_IS6_EEEESI_S6_NSB_4plusIvEENSB_8equal_toIvEES6_EE10hipError_tPvRmT2_T3_T4_T5_mT6_T7_P12ihipStream_tbENKUlT_T0_E_clISt17integral_constantIbLb1EES13_EEDaSY_SZ_EUlSY_E_NS1_11comp_targetILNS1_3genE2ELNS1_11target_archE906ELNS1_3gpuE6ELNS1_3repE0EEENS1_30default_config_static_selectorELNS0_4arch9wavefront6targetE0EEEvT1_
	.p2align	8
	.type	_ZN7rocprim17ROCPRIM_400000_NS6detail17trampoline_kernelINS0_14default_configENS1_27scan_by_key_config_selectorIj11FixedVectorIiLj2EEEEZZNS1_16scan_by_key_implILNS1_25lookback_scan_determinismE0ELb0ES3_N6thrust23THRUST_200600_302600_NS6detail15normal_iteratorINSB_10device_ptrIjEEEENSD_INSE_IS6_EEEESI_S6_NSB_4plusIvEENSB_8equal_toIvEES6_EE10hipError_tPvRmT2_T3_T4_T5_mT6_T7_P12ihipStream_tbENKUlT_T0_E_clISt17integral_constantIbLb1EES13_EEDaSY_SZ_EUlSY_E_NS1_11comp_targetILNS1_3genE2ELNS1_11target_archE906ELNS1_3gpuE6ELNS1_3repE0EEENS1_30default_config_static_selectorELNS0_4arch9wavefront6targetE0EEEvT1_,@function
_ZN7rocprim17ROCPRIM_400000_NS6detail17trampoline_kernelINS0_14default_configENS1_27scan_by_key_config_selectorIj11FixedVectorIiLj2EEEEZZNS1_16scan_by_key_implILNS1_25lookback_scan_determinismE0ELb0ES3_N6thrust23THRUST_200600_302600_NS6detail15normal_iteratorINSB_10device_ptrIjEEEENSD_INSE_IS6_EEEESI_S6_NSB_4plusIvEENSB_8equal_toIvEES6_EE10hipError_tPvRmT2_T3_T4_T5_mT6_T7_P12ihipStream_tbENKUlT_T0_E_clISt17integral_constantIbLb1EES13_EEDaSY_SZ_EUlSY_E_NS1_11comp_targetILNS1_3genE2ELNS1_11target_archE906ELNS1_3gpuE6ELNS1_3repE0EEENS1_30default_config_static_selectorELNS0_4arch9wavefront6targetE0EEEvT1_: ; @_ZN7rocprim17ROCPRIM_400000_NS6detail17trampoline_kernelINS0_14default_configENS1_27scan_by_key_config_selectorIj11FixedVectorIiLj2EEEEZZNS1_16scan_by_key_implILNS1_25lookback_scan_determinismE0ELb0ES3_N6thrust23THRUST_200600_302600_NS6detail15normal_iteratorINSB_10device_ptrIjEEEENSD_INSE_IS6_EEEESI_S6_NSB_4plusIvEENSB_8equal_toIvEES6_EE10hipError_tPvRmT2_T3_T4_T5_mT6_T7_P12ihipStream_tbENKUlT_T0_E_clISt17integral_constantIbLb1EES13_EEDaSY_SZ_EUlSY_E_NS1_11comp_targetILNS1_3genE2ELNS1_11target_archE906ELNS1_3gpuE6ELNS1_3repE0EEENS1_30default_config_static_selectorELNS0_4arch9wavefront6targetE0EEEvT1_
; %bb.0:
	.section	.rodata,"a",@progbits
	.p2align	6, 0x0
	.amdhsa_kernel _ZN7rocprim17ROCPRIM_400000_NS6detail17trampoline_kernelINS0_14default_configENS1_27scan_by_key_config_selectorIj11FixedVectorIiLj2EEEEZZNS1_16scan_by_key_implILNS1_25lookback_scan_determinismE0ELb0ES3_N6thrust23THRUST_200600_302600_NS6detail15normal_iteratorINSB_10device_ptrIjEEEENSD_INSE_IS6_EEEESI_S6_NSB_4plusIvEENSB_8equal_toIvEES6_EE10hipError_tPvRmT2_T3_T4_T5_mT6_T7_P12ihipStream_tbENKUlT_T0_E_clISt17integral_constantIbLb1EES13_EEDaSY_SZ_EUlSY_E_NS1_11comp_targetILNS1_3genE2ELNS1_11target_archE906ELNS1_3gpuE6ELNS1_3repE0EEENS1_30default_config_static_selectorELNS0_4arch9wavefront6targetE0EEEvT1_
		.amdhsa_group_segment_fixed_size 0
		.amdhsa_private_segment_fixed_size 0
		.amdhsa_kernarg_size 120
		.amdhsa_user_sgpr_count 2
		.amdhsa_user_sgpr_dispatch_ptr 0
		.amdhsa_user_sgpr_queue_ptr 0
		.amdhsa_user_sgpr_kernarg_segment_ptr 1
		.amdhsa_user_sgpr_dispatch_id 0
		.amdhsa_user_sgpr_kernarg_preload_length 0
		.amdhsa_user_sgpr_kernarg_preload_offset 0
		.amdhsa_user_sgpr_private_segment_size 0
		.amdhsa_wavefront_size32 1
		.amdhsa_uses_dynamic_stack 0
		.amdhsa_enable_private_segment 0
		.amdhsa_system_sgpr_workgroup_id_x 1
		.amdhsa_system_sgpr_workgroup_id_y 0
		.amdhsa_system_sgpr_workgroup_id_z 0
		.amdhsa_system_sgpr_workgroup_info 0
		.amdhsa_system_vgpr_workitem_id 0
		.amdhsa_next_free_vgpr 1
		.amdhsa_next_free_sgpr 1
		.amdhsa_named_barrier_count 0
		.amdhsa_reserve_vcc 0
		.amdhsa_float_round_mode_32 0
		.amdhsa_float_round_mode_16_64 0
		.amdhsa_float_denorm_mode_32 3
		.amdhsa_float_denorm_mode_16_64 3
		.amdhsa_fp16_overflow 0
		.amdhsa_memory_ordered 1
		.amdhsa_forward_progress 1
		.amdhsa_inst_pref_size 0
		.amdhsa_round_robin_scheduling 0
		.amdhsa_exception_fp_ieee_invalid_op 0
		.amdhsa_exception_fp_denorm_src 0
		.amdhsa_exception_fp_ieee_div_zero 0
		.amdhsa_exception_fp_ieee_overflow 0
		.amdhsa_exception_fp_ieee_underflow 0
		.amdhsa_exception_fp_ieee_inexact 0
		.amdhsa_exception_int_div_zero 0
	.end_amdhsa_kernel
	.section	.text._ZN7rocprim17ROCPRIM_400000_NS6detail17trampoline_kernelINS0_14default_configENS1_27scan_by_key_config_selectorIj11FixedVectorIiLj2EEEEZZNS1_16scan_by_key_implILNS1_25lookback_scan_determinismE0ELb0ES3_N6thrust23THRUST_200600_302600_NS6detail15normal_iteratorINSB_10device_ptrIjEEEENSD_INSE_IS6_EEEESI_S6_NSB_4plusIvEENSB_8equal_toIvEES6_EE10hipError_tPvRmT2_T3_T4_T5_mT6_T7_P12ihipStream_tbENKUlT_T0_E_clISt17integral_constantIbLb1EES13_EEDaSY_SZ_EUlSY_E_NS1_11comp_targetILNS1_3genE2ELNS1_11target_archE906ELNS1_3gpuE6ELNS1_3repE0EEENS1_30default_config_static_selectorELNS0_4arch9wavefront6targetE0EEEvT1_,"axG",@progbits,_ZN7rocprim17ROCPRIM_400000_NS6detail17trampoline_kernelINS0_14default_configENS1_27scan_by_key_config_selectorIj11FixedVectorIiLj2EEEEZZNS1_16scan_by_key_implILNS1_25lookback_scan_determinismE0ELb0ES3_N6thrust23THRUST_200600_302600_NS6detail15normal_iteratorINSB_10device_ptrIjEEEENSD_INSE_IS6_EEEESI_S6_NSB_4plusIvEENSB_8equal_toIvEES6_EE10hipError_tPvRmT2_T3_T4_T5_mT6_T7_P12ihipStream_tbENKUlT_T0_E_clISt17integral_constantIbLb1EES13_EEDaSY_SZ_EUlSY_E_NS1_11comp_targetILNS1_3genE2ELNS1_11target_archE906ELNS1_3gpuE6ELNS1_3repE0EEENS1_30default_config_static_selectorELNS0_4arch9wavefront6targetE0EEEvT1_,comdat
.Lfunc_end1967:
	.size	_ZN7rocprim17ROCPRIM_400000_NS6detail17trampoline_kernelINS0_14default_configENS1_27scan_by_key_config_selectorIj11FixedVectorIiLj2EEEEZZNS1_16scan_by_key_implILNS1_25lookback_scan_determinismE0ELb0ES3_N6thrust23THRUST_200600_302600_NS6detail15normal_iteratorINSB_10device_ptrIjEEEENSD_INSE_IS6_EEEESI_S6_NSB_4plusIvEENSB_8equal_toIvEES6_EE10hipError_tPvRmT2_T3_T4_T5_mT6_T7_P12ihipStream_tbENKUlT_T0_E_clISt17integral_constantIbLb1EES13_EEDaSY_SZ_EUlSY_E_NS1_11comp_targetILNS1_3genE2ELNS1_11target_archE906ELNS1_3gpuE6ELNS1_3repE0EEENS1_30default_config_static_selectorELNS0_4arch9wavefront6targetE0EEEvT1_, .Lfunc_end1967-_ZN7rocprim17ROCPRIM_400000_NS6detail17trampoline_kernelINS0_14default_configENS1_27scan_by_key_config_selectorIj11FixedVectorIiLj2EEEEZZNS1_16scan_by_key_implILNS1_25lookback_scan_determinismE0ELb0ES3_N6thrust23THRUST_200600_302600_NS6detail15normal_iteratorINSB_10device_ptrIjEEEENSD_INSE_IS6_EEEESI_S6_NSB_4plusIvEENSB_8equal_toIvEES6_EE10hipError_tPvRmT2_T3_T4_T5_mT6_T7_P12ihipStream_tbENKUlT_T0_E_clISt17integral_constantIbLb1EES13_EEDaSY_SZ_EUlSY_E_NS1_11comp_targetILNS1_3genE2ELNS1_11target_archE906ELNS1_3gpuE6ELNS1_3repE0EEENS1_30default_config_static_selectorELNS0_4arch9wavefront6targetE0EEEvT1_
                                        ; -- End function
	.set _ZN7rocprim17ROCPRIM_400000_NS6detail17trampoline_kernelINS0_14default_configENS1_27scan_by_key_config_selectorIj11FixedVectorIiLj2EEEEZZNS1_16scan_by_key_implILNS1_25lookback_scan_determinismE0ELb0ES3_N6thrust23THRUST_200600_302600_NS6detail15normal_iteratorINSB_10device_ptrIjEEEENSD_INSE_IS6_EEEESI_S6_NSB_4plusIvEENSB_8equal_toIvEES6_EE10hipError_tPvRmT2_T3_T4_T5_mT6_T7_P12ihipStream_tbENKUlT_T0_E_clISt17integral_constantIbLb1EES13_EEDaSY_SZ_EUlSY_E_NS1_11comp_targetILNS1_3genE2ELNS1_11target_archE906ELNS1_3gpuE6ELNS1_3repE0EEENS1_30default_config_static_selectorELNS0_4arch9wavefront6targetE0EEEvT1_.num_vgpr, 0
	.set _ZN7rocprim17ROCPRIM_400000_NS6detail17trampoline_kernelINS0_14default_configENS1_27scan_by_key_config_selectorIj11FixedVectorIiLj2EEEEZZNS1_16scan_by_key_implILNS1_25lookback_scan_determinismE0ELb0ES3_N6thrust23THRUST_200600_302600_NS6detail15normal_iteratorINSB_10device_ptrIjEEEENSD_INSE_IS6_EEEESI_S6_NSB_4plusIvEENSB_8equal_toIvEES6_EE10hipError_tPvRmT2_T3_T4_T5_mT6_T7_P12ihipStream_tbENKUlT_T0_E_clISt17integral_constantIbLb1EES13_EEDaSY_SZ_EUlSY_E_NS1_11comp_targetILNS1_3genE2ELNS1_11target_archE906ELNS1_3gpuE6ELNS1_3repE0EEENS1_30default_config_static_selectorELNS0_4arch9wavefront6targetE0EEEvT1_.num_agpr, 0
	.set _ZN7rocprim17ROCPRIM_400000_NS6detail17trampoline_kernelINS0_14default_configENS1_27scan_by_key_config_selectorIj11FixedVectorIiLj2EEEEZZNS1_16scan_by_key_implILNS1_25lookback_scan_determinismE0ELb0ES3_N6thrust23THRUST_200600_302600_NS6detail15normal_iteratorINSB_10device_ptrIjEEEENSD_INSE_IS6_EEEESI_S6_NSB_4plusIvEENSB_8equal_toIvEES6_EE10hipError_tPvRmT2_T3_T4_T5_mT6_T7_P12ihipStream_tbENKUlT_T0_E_clISt17integral_constantIbLb1EES13_EEDaSY_SZ_EUlSY_E_NS1_11comp_targetILNS1_3genE2ELNS1_11target_archE906ELNS1_3gpuE6ELNS1_3repE0EEENS1_30default_config_static_selectorELNS0_4arch9wavefront6targetE0EEEvT1_.numbered_sgpr, 0
	.set _ZN7rocprim17ROCPRIM_400000_NS6detail17trampoline_kernelINS0_14default_configENS1_27scan_by_key_config_selectorIj11FixedVectorIiLj2EEEEZZNS1_16scan_by_key_implILNS1_25lookback_scan_determinismE0ELb0ES3_N6thrust23THRUST_200600_302600_NS6detail15normal_iteratorINSB_10device_ptrIjEEEENSD_INSE_IS6_EEEESI_S6_NSB_4plusIvEENSB_8equal_toIvEES6_EE10hipError_tPvRmT2_T3_T4_T5_mT6_T7_P12ihipStream_tbENKUlT_T0_E_clISt17integral_constantIbLb1EES13_EEDaSY_SZ_EUlSY_E_NS1_11comp_targetILNS1_3genE2ELNS1_11target_archE906ELNS1_3gpuE6ELNS1_3repE0EEENS1_30default_config_static_selectorELNS0_4arch9wavefront6targetE0EEEvT1_.num_named_barrier, 0
	.set _ZN7rocprim17ROCPRIM_400000_NS6detail17trampoline_kernelINS0_14default_configENS1_27scan_by_key_config_selectorIj11FixedVectorIiLj2EEEEZZNS1_16scan_by_key_implILNS1_25lookback_scan_determinismE0ELb0ES3_N6thrust23THRUST_200600_302600_NS6detail15normal_iteratorINSB_10device_ptrIjEEEENSD_INSE_IS6_EEEESI_S6_NSB_4plusIvEENSB_8equal_toIvEES6_EE10hipError_tPvRmT2_T3_T4_T5_mT6_T7_P12ihipStream_tbENKUlT_T0_E_clISt17integral_constantIbLb1EES13_EEDaSY_SZ_EUlSY_E_NS1_11comp_targetILNS1_3genE2ELNS1_11target_archE906ELNS1_3gpuE6ELNS1_3repE0EEENS1_30default_config_static_selectorELNS0_4arch9wavefront6targetE0EEEvT1_.private_seg_size, 0
	.set _ZN7rocprim17ROCPRIM_400000_NS6detail17trampoline_kernelINS0_14default_configENS1_27scan_by_key_config_selectorIj11FixedVectorIiLj2EEEEZZNS1_16scan_by_key_implILNS1_25lookback_scan_determinismE0ELb0ES3_N6thrust23THRUST_200600_302600_NS6detail15normal_iteratorINSB_10device_ptrIjEEEENSD_INSE_IS6_EEEESI_S6_NSB_4plusIvEENSB_8equal_toIvEES6_EE10hipError_tPvRmT2_T3_T4_T5_mT6_T7_P12ihipStream_tbENKUlT_T0_E_clISt17integral_constantIbLb1EES13_EEDaSY_SZ_EUlSY_E_NS1_11comp_targetILNS1_3genE2ELNS1_11target_archE906ELNS1_3gpuE6ELNS1_3repE0EEENS1_30default_config_static_selectorELNS0_4arch9wavefront6targetE0EEEvT1_.uses_vcc, 0
	.set _ZN7rocprim17ROCPRIM_400000_NS6detail17trampoline_kernelINS0_14default_configENS1_27scan_by_key_config_selectorIj11FixedVectorIiLj2EEEEZZNS1_16scan_by_key_implILNS1_25lookback_scan_determinismE0ELb0ES3_N6thrust23THRUST_200600_302600_NS6detail15normal_iteratorINSB_10device_ptrIjEEEENSD_INSE_IS6_EEEESI_S6_NSB_4plusIvEENSB_8equal_toIvEES6_EE10hipError_tPvRmT2_T3_T4_T5_mT6_T7_P12ihipStream_tbENKUlT_T0_E_clISt17integral_constantIbLb1EES13_EEDaSY_SZ_EUlSY_E_NS1_11comp_targetILNS1_3genE2ELNS1_11target_archE906ELNS1_3gpuE6ELNS1_3repE0EEENS1_30default_config_static_selectorELNS0_4arch9wavefront6targetE0EEEvT1_.uses_flat_scratch, 0
	.set _ZN7rocprim17ROCPRIM_400000_NS6detail17trampoline_kernelINS0_14default_configENS1_27scan_by_key_config_selectorIj11FixedVectorIiLj2EEEEZZNS1_16scan_by_key_implILNS1_25lookback_scan_determinismE0ELb0ES3_N6thrust23THRUST_200600_302600_NS6detail15normal_iteratorINSB_10device_ptrIjEEEENSD_INSE_IS6_EEEESI_S6_NSB_4plusIvEENSB_8equal_toIvEES6_EE10hipError_tPvRmT2_T3_T4_T5_mT6_T7_P12ihipStream_tbENKUlT_T0_E_clISt17integral_constantIbLb1EES13_EEDaSY_SZ_EUlSY_E_NS1_11comp_targetILNS1_3genE2ELNS1_11target_archE906ELNS1_3gpuE6ELNS1_3repE0EEENS1_30default_config_static_selectorELNS0_4arch9wavefront6targetE0EEEvT1_.has_dyn_sized_stack, 0
	.set _ZN7rocprim17ROCPRIM_400000_NS6detail17trampoline_kernelINS0_14default_configENS1_27scan_by_key_config_selectorIj11FixedVectorIiLj2EEEEZZNS1_16scan_by_key_implILNS1_25lookback_scan_determinismE0ELb0ES3_N6thrust23THRUST_200600_302600_NS6detail15normal_iteratorINSB_10device_ptrIjEEEENSD_INSE_IS6_EEEESI_S6_NSB_4plusIvEENSB_8equal_toIvEES6_EE10hipError_tPvRmT2_T3_T4_T5_mT6_T7_P12ihipStream_tbENKUlT_T0_E_clISt17integral_constantIbLb1EES13_EEDaSY_SZ_EUlSY_E_NS1_11comp_targetILNS1_3genE2ELNS1_11target_archE906ELNS1_3gpuE6ELNS1_3repE0EEENS1_30default_config_static_selectorELNS0_4arch9wavefront6targetE0EEEvT1_.has_recursion, 0
	.set _ZN7rocprim17ROCPRIM_400000_NS6detail17trampoline_kernelINS0_14default_configENS1_27scan_by_key_config_selectorIj11FixedVectorIiLj2EEEEZZNS1_16scan_by_key_implILNS1_25lookback_scan_determinismE0ELb0ES3_N6thrust23THRUST_200600_302600_NS6detail15normal_iteratorINSB_10device_ptrIjEEEENSD_INSE_IS6_EEEESI_S6_NSB_4plusIvEENSB_8equal_toIvEES6_EE10hipError_tPvRmT2_T3_T4_T5_mT6_T7_P12ihipStream_tbENKUlT_T0_E_clISt17integral_constantIbLb1EES13_EEDaSY_SZ_EUlSY_E_NS1_11comp_targetILNS1_3genE2ELNS1_11target_archE906ELNS1_3gpuE6ELNS1_3repE0EEENS1_30default_config_static_selectorELNS0_4arch9wavefront6targetE0EEEvT1_.has_indirect_call, 0
	.section	.AMDGPU.csdata,"",@progbits
; Kernel info:
; codeLenInByte = 0
; TotalNumSgprs: 0
; NumVgprs: 0
; ScratchSize: 0
; MemoryBound: 0
; FloatMode: 240
; IeeeMode: 1
; LDSByteSize: 0 bytes/workgroup (compile time only)
; SGPRBlocks: 0
; VGPRBlocks: 0
; NumSGPRsForWavesPerEU: 1
; NumVGPRsForWavesPerEU: 1
; NamedBarCnt: 0
; Occupancy: 16
; WaveLimiterHint : 0
; COMPUTE_PGM_RSRC2:SCRATCH_EN: 0
; COMPUTE_PGM_RSRC2:USER_SGPR: 2
; COMPUTE_PGM_RSRC2:TRAP_HANDLER: 0
; COMPUTE_PGM_RSRC2:TGID_X_EN: 1
; COMPUTE_PGM_RSRC2:TGID_Y_EN: 0
; COMPUTE_PGM_RSRC2:TGID_Z_EN: 0
; COMPUTE_PGM_RSRC2:TIDIG_COMP_CNT: 0
	.section	.text._ZN7rocprim17ROCPRIM_400000_NS6detail17trampoline_kernelINS0_14default_configENS1_27scan_by_key_config_selectorIj11FixedVectorIiLj2EEEEZZNS1_16scan_by_key_implILNS1_25lookback_scan_determinismE0ELb0ES3_N6thrust23THRUST_200600_302600_NS6detail15normal_iteratorINSB_10device_ptrIjEEEENSD_INSE_IS6_EEEESI_S6_NSB_4plusIvEENSB_8equal_toIvEES6_EE10hipError_tPvRmT2_T3_T4_T5_mT6_T7_P12ihipStream_tbENKUlT_T0_E_clISt17integral_constantIbLb1EES13_EEDaSY_SZ_EUlSY_E_NS1_11comp_targetILNS1_3genE10ELNS1_11target_archE1200ELNS1_3gpuE4ELNS1_3repE0EEENS1_30default_config_static_selectorELNS0_4arch9wavefront6targetE0EEEvT1_,"axG",@progbits,_ZN7rocprim17ROCPRIM_400000_NS6detail17trampoline_kernelINS0_14default_configENS1_27scan_by_key_config_selectorIj11FixedVectorIiLj2EEEEZZNS1_16scan_by_key_implILNS1_25lookback_scan_determinismE0ELb0ES3_N6thrust23THRUST_200600_302600_NS6detail15normal_iteratorINSB_10device_ptrIjEEEENSD_INSE_IS6_EEEESI_S6_NSB_4plusIvEENSB_8equal_toIvEES6_EE10hipError_tPvRmT2_T3_T4_T5_mT6_T7_P12ihipStream_tbENKUlT_T0_E_clISt17integral_constantIbLb1EES13_EEDaSY_SZ_EUlSY_E_NS1_11comp_targetILNS1_3genE10ELNS1_11target_archE1200ELNS1_3gpuE4ELNS1_3repE0EEENS1_30default_config_static_selectorELNS0_4arch9wavefront6targetE0EEEvT1_,comdat
	.protected	_ZN7rocprim17ROCPRIM_400000_NS6detail17trampoline_kernelINS0_14default_configENS1_27scan_by_key_config_selectorIj11FixedVectorIiLj2EEEEZZNS1_16scan_by_key_implILNS1_25lookback_scan_determinismE0ELb0ES3_N6thrust23THRUST_200600_302600_NS6detail15normal_iteratorINSB_10device_ptrIjEEEENSD_INSE_IS6_EEEESI_S6_NSB_4plusIvEENSB_8equal_toIvEES6_EE10hipError_tPvRmT2_T3_T4_T5_mT6_T7_P12ihipStream_tbENKUlT_T0_E_clISt17integral_constantIbLb1EES13_EEDaSY_SZ_EUlSY_E_NS1_11comp_targetILNS1_3genE10ELNS1_11target_archE1200ELNS1_3gpuE4ELNS1_3repE0EEENS1_30default_config_static_selectorELNS0_4arch9wavefront6targetE0EEEvT1_ ; -- Begin function _ZN7rocprim17ROCPRIM_400000_NS6detail17trampoline_kernelINS0_14default_configENS1_27scan_by_key_config_selectorIj11FixedVectorIiLj2EEEEZZNS1_16scan_by_key_implILNS1_25lookback_scan_determinismE0ELb0ES3_N6thrust23THRUST_200600_302600_NS6detail15normal_iteratorINSB_10device_ptrIjEEEENSD_INSE_IS6_EEEESI_S6_NSB_4plusIvEENSB_8equal_toIvEES6_EE10hipError_tPvRmT2_T3_T4_T5_mT6_T7_P12ihipStream_tbENKUlT_T0_E_clISt17integral_constantIbLb1EES13_EEDaSY_SZ_EUlSY_E_NS1_11comp_targetILNS1_3genE10ELNS1_11target_archE1200ELNS1_3gpuE4ELNS1_3repE0EEENS1_30default_config_static_selectorELNS0_4arch9wavefront6targetE0EEEvT1_
	.globl	_ZN7rocprim17ROCPRIM_400000_NS6detail17trampoline_kernelINS0_14default_configENS1_27scan_by_key_config_selectorIj11FixedVectorIiLj2EEEEZZNS1_16scan_by_key_implILNS1_25lookback_scan_determinismE0ELb0ES3_N6thrust23THRUST_200600_302600_NS6detail15normal_iteratorINSB_10device_ptrIjEEEENSD_INSE_IS6_EEEESI_S6_NSB_4plusIvEENSB_8equal_toIvEES6_EE10hipError_tPvRmT2_T3_T4_T5_mT6_T7_P12ihipStream_tbENKUlT_T0_E_clISt17integral_constantIbLb1EES13_EEDaSY_SZ_EUlSY_E_NS1_11comp_targetILNS1_3genE10ELNS1_11target_archE1200ELNS1_3gpuE4ELNS1_3repE0EEENS1_30default_config_static_selectorELNS0_4arch9wavefront6targetE0EEEvT1_
	.p2align	8
	.type	_ZN7rocprim17ROCPRIM_400000_NS6detail17trampoline_kernelINS0_14default_configENS1_27scan_by_key_config_selectorIj11FixedVectorIiLj2EEEEZZNS1_16scan_by_key_implILNS1_25lookback_scan_determinismE0ELb0ES3_N6thrust23THRUST_200600_302600_NS6detail15normal_iteratorINSB_10device_ptrIjEEEENSD_INSE_IS6_EEEESI_S6_NSB_4plusIvEENSB_8equal_toIvEES6_EE10hipError_tPvRmT2_T3_T4_T5_mT6_T7_P12ihipStream_tbENKUlT_T0_E_clISt17integral_constantIbLb1EES13_EEDaSY_SZ_EUlSY_E_NS1_11comp_targetILNS1_3genE10ELNS1_11target_archE1200ELNS1_3gpuE4ELNS1_3repE0EEENS1_30default_config_static_selectorELNS0_4arch9wavefront6targetE0EEEvT1_,@function
_ZN7rocprim17ROCPRIM_400000_NS6detail17trampoline_kernelINS0_14default_configENS1_27scan_by_key_config_selectorIj11FixedVectorIiLj2EEEEZZNS1_16scan_by_key_implILNS1_25lookback_scan_determinismE0ELb0ES3_N6thrust23THRUST_200600_302600_NS6detail15normal_iteratorINSB_10device_ptrIjEEEENSD_INSE_IS6_EEEESI_S6_NSB_4plusIvEENSB_8equal_toIvEES6_EE10hipError_tPvRmT2_T3_T4_T5_mT6_T7_P12ihipStream_tbENKUlT_T0_E_clISt17integral_constantIbLb1EES13_EEDaSY_SZ_EUlSY_E_NS1_11comp_targetILNS1_3genE10ELNS1_11target_archE1200ELNS1_3gpuE4ELNS1_3repE0EEENS1_30default_config_static_selectorELNS0_4arch9wavefront6targetE0EEEvT1_: ; @_ZN7rocprim17ROCPRIM_400000_NS6detail17trampoline_kernelINS0_14default_configENS1_27scan_by_key_config_selectorIj11FixedVectorIiLj2EEEEZZNS1_16scan_by_key_implILNS1_25lookback_scan_determinismE0ELb0ES3_N6thrust23THRUST_200600_302600_NS6detail15normal_iteratorINSB_10device_ptrIjEEEENSD_INSE_IS6_EEEESI_S6_NSB_4plusIvEENSB_8equal_toIvEES6_EE10hipError_tPvRmT2_T3_T4_T5_mT6_T7_P12ihipStream_tbENKUlT_T0_E_clISt17integral_constantIbLb1EES13_EEDaSY_SZ_EUlSY_E_NS1_11comp_targetILNS1_3genE10ELNS1_11target_archE1200ELNS1_3gpuE4ELNS1_3repE0EEENS1_30default_config_static_selectorELNS0_4arch9wavefront6targetE0EEEvT1_
; %bb.0:
	.section	.rodata,"a",@progbits
	.p2align	6, 0x0
	.amdhsa_kernel _ZN7rocprim17ROCPRIM_400000_NS6detail17trampoline_kernelINS0_14default_configENS1_27scan_by_key_config_selectorIj11FixedVectorIiLj2EEEEZZNS1_16scan_by_key_implILNS1_25lookback_scan_determinismE0ELb0ES3_N6thrust23THRUST_200600_302600_NS6detail15normal_iteratorINSB_10device_ptrIjEEEENSD_INSE_IS6_EEEESI_S6_NSB_4plusIvEENSB_8equal_toIvEES6_EE10hipError_tPvRmT2_T3_T4_T5_mT6_T7_P12ihipStream_tbENKUlT_T0_E_clISt17integral_constantIbLb1EES13_EEDaSY_SZ_EUlSY_E_NS1_11comp_targetILNS1_3genE10ELNS1_11target_archE1200ELNS1_3gpuE4ELNS1_3repE0EEENS1_30default_config_static_selectorELNS0_4arch9wavefront6targetE0EEEvT1_
		.amdhsa_group_segment_fixed_size 0
		.amdhsa_private_segment_fixed_size 0
		.amdhsa_kernarg_size 120
		.amdhsa_user_sgpr_count 2
		.amdhsa_user_sgpr_dispatch_ptr 0
		.amdhsa_user_sgpr_queue_ptr 0
		.amdhsa_user_sgpr_kernarg_segment_ptr 1
		.amdhsa_user_sgpr_dispatch_id 0
		.amdhsa_user_sgpr_kernarg_preload_length 0
		.amdhsa_user_sgpr_kernarg_preload_offset 0
		.amdhsa_user_sgpr_private_segment_size 0
		.amdhsa_wavefront_size32 1
		.amdhsa_uses_dynamic_stack 0
		.amdhsa_enable_private_segment 0
		.amdhsa_system_sgpr_workgroup_id_x 1
		.amdhsa_system_sgpr_workgroup_id_y 0
		.amdhsa_system_sgpr_workgroup_id_z 0
		.amdhsa_system_sgpr_workgroup_info 0
		.amdhsa_system_vgpr_workitem_id 0
		.amdhsa_next_free_vgpr 1
		.amdhsa_next_free_sgpr 1
		.amdhsa_named_barrier_count 0
		.amdhsa_reserve_vcc 0
		.amdhsa_float_round_mode_32 0
		.amdhsa_float_round_mode_16_64 0
		.amdhsa_float_denorm_mode_32 3
		.amdhsa_float_denorm_mode_16_64 3
		.amdhsa_fp16_overflow 0
		.amdhsa_memory_ordered 1
		.amdhsa_forward_progress 1
		.amdhsa_inst_pref_size 0
		.amdhsa_round_robin_scheduling 0
		.amdhsa_exception_fp_ieee_invalid_op 0
		.amdhsa_exception_fp_denorm_src 0
		.amdhsa_exception_fp_ieee_div_zero 0
		.amdhsa_exception_fp_ieee_overflow 0
		.amdhsa_exception_fp_ieee_underflow 0
		.amdhsa_exception_fp_ieee_inexact 0
		.amdhsa_exception_int_div_zero 0
	.end_amdhsa_kernel
	.section	.text._ZN7rocprim17ROCPRIM_400000_NS6detail17trampoline_kernelINS0_14default_configENS1_27scan_by_key_config_selectorIj11FixedVectorIiLj2EEEEZZNS1_16scan_by_key_implILNS1_25lookback_scan_determinismE0ELb0ES3_N6thrust23THRUST_200600_302600_NS6detail15normal_iteratorINSB_10device_ptrIjEEEENSD_INSE_IS6_EEEESI_S6_NSB_4plusIvEENSB_8equal_toIvEES6_EE10hipError_tPvRmT2_T3_T4_T5_mT6_T7_P12ihipStream_tbENKUlT_T0_E_clISt17integral_constantIbLb1EES13_EEDaSY_SZ_EUlSY_E_NS1_11comp_targetILNS1_3genE10ELNS1_11target_archE1200ELNS1_3gpuE4ELNS1_3repE0EEENS1_30default_config_static_selectorELNS0_4arch9wavefront6targetE0EEEvT1_,"axG",@progbits,_ZN7rocprim17ROCPRIM_400000_NS6detail17trampoline_kernelINS0_14default_configENS1_27scan_by_key_config_selectorIj11FixedVectorIiLj2EEEEZZNS1_16scan_by_key_implILNS1_25lookback_scan_determinismE0ELb0ES3_N6thrust23THRUST_200600_302600_NS6detail15normal_iteratorINSB_10device_ptrIjEEEENSD_INSE_IS6_EEEESI_S6_NSB_4plusIvEENSB_8equal_toIvEES6_EE10hipError_tPvRmT2_T3_T4_T5_mT6_T7_P12ihipStream_tbENKUlT_T0_E_clISt17integral_constantIbLb1EES13_EEDaSY_SZ_EUlSY_E_NS1_11comp_targetILNS1_3genE10ELNS1_11target_archE1200ELNS1_3gpuE4ELNS1_3repE0EEENS1_30default_config_static_selectorELNS0_4arch9wavefront6targetE0EEEvT1_,comdat
.Lfunc_end1968:
	.size	_ZN7rocprim17ROCPRIM_400000_NS6detail17trampoline_kernelINS0_14default_configENS1_27scan_by_key_config_selectorIj11FixedVectorIiLj2EEEEZZNS1_16scan_by_key_implILNS1_25lookback_scan_determinismE0ELb0ES3_N6thrust23THRUST_200600_302600_NS6detail15normal_iteratorINSB_10device_ptrIjEEEENSD_INSE_IS6_EEEESI_S6_NSB_4plusIvEENSB_8equal_toIvEES6_EE10hipError_tPvRmT2_T3_T4_T5_mT6_T7_P12ihipStream_tbENKUlT_T0_E_clISt17integral_constantIbLb1EES13_EEDaSY_SZ_EUlSY_E_NS1_11comp_targetILNS1_3genE10ELNS1_11target_archE1200ELNS1_3gpuE4ELNS1_3repE0EEENS1_30default_config_static_selectorELNS0_4arch9wavefront6targetE0EEEvT1_, .Lfunc_end1968-_ZN7rocprim17ROCPRIM_400000_NS6detail17trampoline_kernelINS0_14default_configENS1_27scan_by_key_config_selectorIj11FixedVectorIiLj2EEEEZZNS1_16scan_by_key_implILNS1_25lookback_scan_determinismE0ELb0ES3_N6thrust23THRUST_200600_302600_NS6detail15normal_iteratorINSB_10device_ptrIjEEEENSD_INSE_IS6_EEEESI_S6_NSB_4plusIvEENSB_8equal_toIvEES6_EE10hipError_tPvRmT2_T3_T4_T5_mT6_T7_P12ihipStream_tbENKUlT_T0_E_clISt17integral_constantIbLb1EES13_EEDaSY_SZ_EUlSY_E_NS1_11comp_targetILNS1_3genE10ELNS1_11target_archE1200ELNS1_3gpuE4ELNS1_3repE0EEENS1_30default_config_static_selectorELNS0_4arch9wavefront6targetE0EEEvT1_
                                        ; -- End function
	.set _ZN7rocprim17ROCPRIM_400000_NS6detail17trampoline_kernelINS0_14default_configENS1_27scan_by_key_config_selectorIj11FixedVectorIiLj2EEEEZZNS1_16scan_by_key_implILNS1_25lookback_scan_determinismE0ELb0ES3_N6thrust23THRUST_200600_302600_NS6detail15normal_iteratorINSB_10device_ptrIjEEEENSD_INSE_IS6_EEEESI_S6_NSB_4plusIvEENSB_8equal_toIvEES6_EE10hipError_tPvRmT2_T3_T4_T5_mT6_T7_P12ihipStream_tbENKUlT_T0_E_clISt17integral_constantIbLb1EES13_EEDaSY_SZ_EUlSY_E_NS1_11comp_targetILNS1_3genE10ELNS1_11target_archE1200ELNS1_3gpuE4ELNS1_3repE0EEENS1_30default_config_static_selectorELNS0_4arch9wavefront6targetE0EEEvT1_.num_vgpr, 0
	.set _ZN7rocprim17ROCPRIM_400000_NS6detail17trampoline_kernelINS0_14default_configENS1_27scan_by_key_config_selectorIj11FixedVectorIiLj2EEEEZZNS1_16scan_by_key_implILNS1_25lookback_scan_determinismE0ELb0ES3_N6thrust23THRUST_200600_302600_NS6detail15normal_iteratorINSB_10device_ptrIjEEEENSD_INSE_IS6_EEEESI_S6_NSB_4plusIvEENSB_8equal_toIvEES6_EE10hipError_tPvRmT2_T3_T4_T5_mT6_T7_P12ihipStream_tbENKUlT_T0_E_clISt17integral_constantIbLb1EES13_EEDaSY_SZ_EUlSY_E_NS1_11comp_targetILNS1_3genE10ELNS1_11target_archE1200ELNS1_3gpuE4ELNS1_3repE0EEENS1_30default_config_static_selectorELNS0_4arch9wavefront6targetE0EEEvT1_.num_agpr, 0
	.set _ZN7rocprim17ROCPRIM_400000_NS6detail17trampoline_kernelINS0_14default_configENS1_27scan_by_key_config_selectorIj11FixedVectorIiLj2EEEEZZNS1_16scan_by_key_implILNS1_25lookback_scan_determinismE0ELb0ES3_N6thrust23THRUST_200600_302600_NS6detail15normal_iteratorINSB_10device_ptrIjEEEENSD_INSE_IS6_EEEESI_S6_NSB_4plusIvEENSB_8equal_toIvEES6_EE10hipError_tPvRmT2_T3_T4_T5_mT6_T7_P12ihipStream_tbENKUlT_T0_E_clISt17integral_constantIbLb1EES13_EEDaSY_SZ_EUlSY_E_NS1_11comp_targetILNS1_3genE10ELNS1_11target_archE1200ELNS1_3gpuE4ELNS1_3repE0EEENS1_30default_config_static_selectorELNS0_4arch9wavefront6targetE0EEEvT1_.numbered_sgpr, 0
	.set _ZN7rocprim17ROCPRIM_400000_NS6detail17trampoline_kernelINS0_14default_configENS1_27scan_by_key_config_selectorIj11FixedVectorIiLj2EEEEZZNS1_16scan_by_key_implILNS1_25lookback_scan_determinismE0ELb0ES3_N6thrust23THRUST_200600_302600_NS6detail15normal_iteratorINSB_10device_ptrIjEEEENSD_INSE_IS6_EEEESI_S6_NSB_4plusIvEENSB_8equal_toIvEES6_EE10hipError_tPvRmT2_T3_T4_T5_mT6_T7_P12ihipStream_tbENKUlT_T0_E_clISt17integral_constantIbLb1EES13_EEDaSY_SZ_EUlSY_E_NS1_11comp_targetILNS1_3genE10ELNS1_11target_archE1200ELNS1_3gpuE4ELNS1_3repE0EEENS1_30default_config_static_selectorELNS0_4arch9wavefront6targetE0EEEvT1_.num_named_barrier, 0
	.set _ZN7rocprim17ROCPRIM_400000_NS6detail17trampoline_kernelINS0_14default_configENS1_27scan_by_key_config_selectorIj11FixedVectorIiLj2EEEEZZNS1_16scan_by_key_implILNS1_25lookback_scan_determinismE0ELb0ES3_N6thrust23THRUST_200600_302600_NS6detail15normal_iteratorINSB_10device_ptrIjEEEENSD_INSE_IS6_EEEESI_S6_NSB_4plusIvEENSB_8equal_toIvEES6_EE10hipError_tPvRmT2_T3_T4_T5_mT6_T7_P12ihipStream_tbENKUlT_T0_E_clISt17integral_constantIbLb1EES13_EEDaSY_SZ_EUlSY_E_NS1_11comp_targetILNS1_3genE10ELNS1_11target_archE1200ELNS1_3gpuE4ELNS1_3repE0EEENS1_30default_config_static_selectorELNS0_4arch9wavefront6targetE0EEEvT1_.private_seg_size, 0
	.set _ZN7rocprim17ROCPRIM_400000_NS6detail17trampoline_kernelINS0_14default_configENS1_27scan_by_key_config_selectorIj11FixedVectorIiLj2EEEEZZNS1_16scan_by_key_implILNS1_25lookback_scan_determinismE0ELb0ES3_N6thrust23THRUST_200600_302600_NS6detail15normal_iteratorINSB_10device_ptrIjEEEENSD_INSE_IS6_EEEESI_S6_NSB_4plusIvEENSB_8equal_toIvEES6_EE10hipError_tPvRmT2_T3_T4_T5_mT6_T7_P12ihipStream_tbENKUlT_T0_E_clISt17integral_constantIbLb1EES13_EEDaSY_SZ_EUlSY_E_NS1_11comp_targetILNS1_3genE10ELNS1_11target_archE1200ELNS1_3gpuE4ELNS1_3repE0EEENS1_30default_config_static_selectorELNS0_4arch9wavefront6targetE0EEEvT1_.uses_vcc, 0
	.set _ZN7rocprim17ROCPRIM_400000_NS6detail17trampoline_kernelINS0_14default_configENS1_27scan_by_key_config_selectorIj11FixedVectorIiLj2EEEEZZNS1_16scan_by_key_implILNS1_25lookback_scan_determinismE0ELb0ES3_N6thrust23THRUST_200600_302600_NS6detail15normal_iteratorINSB_10device_ptrIjEEEENSD_INSE_IS6_EEEESI_S6_NSB_4plusIvEENSB_8equal_toIvEES6_EE10hipError_tPvRmT2_T3_T4_T5_mT6_T7_P12ihipStream_tbENKUlT_T0_E_clISt17integral_constantIbLb1EES13_EEDaSY_SZ_EUlSY_E_NS1_11comp_targetILNS1_3genE10ELNS1_11target_archE1200ELNS1_3gpuE4ELNS1_3repE0EEENS1_30default_config_static_selectorELNS0_4arch9wavefront6targetE0EEEvT1_.uses_flat_scratch, 0
	.set _ZN7rocprim17ROCPRIM_400000_NS6detail17trampoline_kernelINS0_14default_configENS1_27scan_by_key_config_selectorIj11FixedVectorIiLj2EEEEZZNS1_16scan_by_key_implILNS1_25lookback_scan_determinismE0ELb0ES3_N6thrust23THRUST_200600_302600_NS6detail15normal_iteratorINSB_10device_ptrIjEEEENSD_INSE_IS6_EEEESI_S6_NSB_4plusIvEENSB_8equal_toIvEES6_EE10hipError_tPvRmT2_T3_T4_T5_mT6_T7_P12ihipStream_tbENKUlT_T0_E_clISt17integral_constantIbLb1EES13_EEDaSY_SZ_EUlSY_E_NS1_11comp_targetILNS1_3genE10ELNS1_11target_archE1200ELNS1_3gpuE4ELNS1_3repE0EEENS1_30default_config_static_selectorELNS0_4arch9wavefront6targetE0EEEvT1_.has_dyn_sized_stack, 0
	.set _ZN7rocprim17ROCPRIM_400000_NS6detail17trampoline_kernelINS0_14default_configENS1_27scan_by_key_config_selectorIj11FixedVectorIiLj2EEEEZZNS1_16scan_by_key_implILNS1_25lookback_scan_determinismE0ELb0ES3_N6thrust23THRUST_200600_302600_NS6detail15normal_iteratorINSB_10device_ptrIjEEEENSD_INSE_IS6_EEEESI_S6_NSB_4plusIvEENSB_8equal_toIvEES6_EE10hipError_tPvRmT2_T3_T4_T5_mT6_T7_P12ihipStream_tbENKUlT_T0_E_clISt17integral_constantIbLb1EES13_EEDaSY_SZ_EUlSY_E_NS1_11comp_targetILNS1_3genE10ELNS1_11target_archE1200ELNS1_3gpuE4ELNS1_3repE0EEENS1_30default_config_static_selectorELNS0_4arch9wavefront6targetE0EEEvT1_.has_recursion, 0
	.set _ZN7rocprim17ROCPRIM_400000_NS6detail17trampoline_kernelINS0_14default_configENS1_27scan_by_key_config_selectorIj11FixedVectorIiLj2EEEEZZNS1_16scan_by_key_implILNS1_25lookback_scan_determinismE0ELb0ES3_N6thrust23THRUST_200600_302600_NS6detail15normal_iteratorINSB_10device_ptrIjEEEENSD_INSE_IS6_EEEESI_S6_NSB_4plusIvEENSB_8equal_toIvEES6_EE10hipError_tPvRmT2_T3_T4_T5_mT6_T7_P12ihipStream_tbENKUlT_T0_E_clISt17integral_constantIbLb1EES13_EEDaSY_SZ_EUlSY_E_NS1_11comp_targetILNS1_3genE10ELNS1_11target_archE1200ELNS1_3gpuE4ELNS1_3repE0EEENS1_30default_config_static_selectorELNS0_4arch9wavefront6targetE0EEEvT1_.has_indirect_call, 0
	.section	.AMDGPU.csdata,"",@progbits
; Kernel info:
; codeLenInByte = 0
; TotalNumSgprs: 0
; NumVgprs: 0
; ScratchSize: 0
; MemoryBound: 0
; FloatMode: 240
; IeeeMode: 1
; LDSByteSize: 0 bytes/workgroup (compile time only)
; SGPRBlocks: 0
; VGPRBlocks: 0
; NumSGPRsForWavesPerEU: 1
; NumVGPRsForWavesPerEU: 1
; NamedBarCnt: 0
; Occupancy: 16
; WaveLimiterHint : 0
; COMPUTE_PGM_RSRC2:SCRATCH_EN: 0
; COMPUTE_PGM_RSRC2:USER_SGPR: 2
; COMPUTE_PGM_RSRC2:TRAP_HANDLER: 0
; COMPUTE_PGM_RSRC2:TGID_X_EN: 1
; COMPUTE_PGM_RSRC2:TGID_Y_EN: 0
; COMPUTE_PGM_RSRC2:TGID_Z_EN: 0
; COMPUTE_PGM_RSRC2:TIDIG_COMP_CNT: 0
	.section	.text._ZN7rocprim17ROCPRIM_400000_NS6detail17trampoline_kernelINS0_14default_configENS1_27scan_by_key_config_selectorIj11FixedVectorIiLj2EEEEZZNS1_16scan_by_key_implILNS1_25lookback_scan_determinismE0ELb0ES3_N6thrust23THRUST_200600_302600_NS6detail15normal_iteratorINSB_10device_ptrIjEEEENSD_INSE_IS6_EEEESI_S6_NSB_4plusIvEENSB_8equal_toIvEES6_EE10hipError_tPvRmT2_T3_T4_T5_mT6_T7_P12ihipStream_tbENKUlT_T0_E_clISt17integral_constantIbLb1EES13_EEDaSY_SZ_EUlSY_E_NS1_11comp_targetILNS1_3genE9ELNS1_11target_archE1100ELNS1_3gpuE3ELNS1_3repE0EEENS1_30default_config_static_selectorELNS0_4arch9wavefront6targetE0EEEvT1_,"axG",@progbits,_ZN7rocprim17ROCPRIM_400000_NS6detail17trampoline_kernelINS0_14default_configENS1_27scan_by_key_config_selectorIj11FixedVectorIiLj2EEEEZZNS1_16scan_by_key_implILNS1_25lookback_scan_determinismE0ELb0ES3_N6thrust23THRUST_200600_302600_NS6detail15normal_iteratorINSB_10device_ptrIjEEEENSD_INSE_IS6_EEEESI_S6_NSB_4plusIvEENSB_8equal_toIvEES6_EE10hipError_tPvRmT2_T3_T4_T5_mT6_T7_P12ihipStream_tbENKUlT_T0_E_clISt17integral_constantIbLb1EES13_EEDaSY_SZ_EUlSY_E_NS1_11comp_targetILNS1_3genE9ELNS1_11target_archE1100ELNS1_3gpuE3ELNS1_3repE0EEENS1_30default_config_static_selectorELNS0_4arch9wavefront6targetE0EEEvT1_,comdat
	.protected	_ZN7rocprim17ROCPRIM_400000_NS6detail17trampoline_kernelINS0_14default_configENS1_27scan_by_key_config_selectorIj11FixedVectorIiLj2EEEEZZNS1_16scan_by_key_implILNS1_25lookback_scan_determinismE0ELb0ES3_N6thrust23THRUST_200600_302600_NS6detail15normal_iteratorINSB_10device_ptrIjEEEENSD_INSE_IS6_EEEESI_S6_NSB_4plusIvEENSB_8equal_toIvEES6_EE10hipError_tPvRmT2_T3_T4_T5_mT6_T7_P12ihipStream_tbENKUlT_T0_E_clISt17integral_constantIbLb1EES13_EEDaSY_SZ_EUlSY_E_NS1_11comp_targetILNS1_3genE9ELNS1_11target_archE1100ELNS1_3gpuE3ELNS1_3repE0EEENS1_30default_config_static_selectorELNS0_4arch9wavefront6targetE0EEEvT1_ ; -- Begin function _ZN7rocprim17ROCPRIM_400000_NS6detail17trampoline_kernelINS0_14default_configENS1_27scan_by_key_config_selectorIj11FixedVectorIiLj2EEEEZZNS1_16scan_by_key_implILNS1_25lookback_scan_determinismE0ELb0ES3_N6thrust23THRUST_200600_302600_NS6detail15normal_iteratorINSB_10device_ptrIjEEEENSD_INSE_IS6_EEEESI_S6_NSB_4plusIvEENSB_8equal_toIvEES6_EE10hipError_tPvRmT2_T3_T4_T5_mT6_T7_P12ihipStream_tbENKUlT_T0_E_clISt17integral_constantIbLb1EES13_EEDaSY_SZ_EUlSY_E_NS1_11comp_targetILNS1_3genE9ELNS1_11target_archE1100ELNS1_3gpuE3ELNS1_3repE0EEENS1_30default_config_static_selectorELNS0_4arch9wavefront6targetE0EEEvT1_
	.globl	_ZN7rocprim17ROCPRIM_400000_NS6detail17trampoline_kernelINS0_14default_configENS1_27scan_by_key_config_selectorIj11FixedVectorIiLj2EEEEZZNS1_16scan_by_key_implILNS1_25lookback_scan_determinismE0ELb0ES3_N6thrust23THRUST_200600_302600_NS6detail15normal_iteratorINSB_10device_ptrIjEEEENSD_INSE_IS6_EEEESI_S6_NSB_4plusIvEENSB_8equal_toIvEES6_EE10hipError_tPvRmT2_T3_T4_T5_mT6_T7_P12ihipStream_tbENKUlT_T0_E_clISt17integral_constantIbLb1EES13_EEDaSY_SZ_EUlSY_E_NS1_11comp_targetILNS1_3genE9ELNS1_11target_archE1100ELNS1_3gpuE3ELNS1_3repE0EEENS1_30default_config_static_selectorELNS0_4arch9wavefront6targetE0EEEvT1_
	.p2align	8
	.type	_ZN7rocprim17ROCPRIM_400000_NS6detail17trampoline_kernelINS0_14default_configENS1_27scan_by_key_config_selectorIj11FixedVectorIiLj2EEEEZZNS1_16scan_by_key_implILNS1_25lookback_scan_determinismE0ELb0ES3_N6thrust23THRUST_200600_302600_NS6detail15normal_iteratorINSB_10device_ptrIjEEEENSD_INSE_IS6_EEEESI_S6_NSB_4plusIvEENSB_8equal_toIvEES6_EE10hipError_tPvRmT2_T3_T4_T5_mT6_T7_P12ihipStream_tbENKUlT_T0_E_clISt17integral_constantIbLb1EES13_EEDaSY_SZ_EUlSY_E_NS1_11comp_targetILNS1_3genE9ELNS1_11target_archE1100ELNS1_3gpuE3ELNS1_3repE0EEENS1_30default_config_static_selectorELNS0_4arch9wavefront6targetE0EEEvT1_,@function
_ZN7rocprim17ROCPRIM_400000_NS6detail17trampoline_kernelINS0_14default_configENS1_27scan_by_key_config_selectorIj11FixedVectorIiLj2EEEEZZNS1_16scan_by_key_implILNS1_25lookback_scan_determinismE0ELb0ES3_N6thrust23THRUST_200600_302600_NS6detail15normal_iteratorINSB_10device_ptrIjEEEENSD_INSE_IS6_EEEESI_S6_NSB_4plusIvEENSB_8equal_toIvEES6_EE10hipError_tPvRmT2_T3_T4_T5_mT6_T7_P12ihipStream_tbENKUlT_T0_E_clISt17integral_constantIbLb1EES13_EEDaSY_SZ_EUlSY_E_NS1_11comp_targetILNS1_3genE9ELNS1_11target_archE1100ELNS1_3gpuE3ELNS1_3repE0EEENS1_30default_config_static_selectorELNS0_4arch9wavefront6targetE0EEEvT1_: ; @_ZN7rocprim17ROCPRIM_400000_NS6detail17trampoline_kernelINS0_14default_configENS1_27scan_by_key_config_selectorIj11FixedVectorIiLj2EEEEZZNS1_16scan_by_key_implILNS1_25lookback_scan_determinismE0ELb0ES3_N6thrust23THRUST_200600_302600_NS6detail15normal_iteratorINSB_10device_ptrIjEEEENSD_INSE_IS6_EEEESI_S6_NSB_4plusIvEENSB_8equal_toIvEES6_EE10hipError_tPvRmT2_T3_T4_T5_mT6_T7_P12ihipStream_tbENKUlT_T0_E_clISt17integral_constantIbLb1EES13_EEDaSY_SZ_EUlSY_E_NS1_11comp_targetILNS1_3genE9ELNS1_11target_archE1100ELNS1_3gpuE3ELNS1_3repE0EEENS1_30default_config_static_selectorELNS0_4arch9wavefront6targetE0EEEvT1_
; %bb.0:
	.section	.rodata,"a",@progbits
	.p2align	6, 0x0
	.amdhsa_kernel _ZN7rocprim17ROCPRIM_400000_NS6detail17trampoline_kernelINS0_14default_configENS1_27scan_by_key_config_selectorIj11FixedVectorIiLj2EEEEZZNS1_16scan_by_key_implILNS1_25lookback_scan_determinismE0ELb0ES3_N6thrust23THRUST_200600_302600_NS6detail15normal_iteratorINSB_10device_ptrIjEEEENSD_INSE_IS6_EEEESI_S6_NSB_4plusIvEENSB_8equal_toIvEES6_EE10hipError_tPvRmT2_T3_T4_T5_mT6_T7_P12ihipStream_tbENKUlT_T0_E_clISt17integral_constantIbLb1EES13_EEDaSY_SZ_EUlSY_E_NS1_11comp_targetILNS1_3genE9ELNS1_11target_archE1100ELNS1_3gpuE3ELNS1_3repE0EEENS1_30default_config_static_selectorELNS0_4arch9wavefront6targetE0EEEvT1_
		.amdhsa_group_segment_fixed_size 0
		.amdhsa_private_segment_fixed_size 0
		.amdhsa_kernarg_size 120
		.amdhsa_user_sgpr_count 2
		.amdhsa_user_sgpr_dispatch_ptr 0
		.amdhsa_user_sgpr_queue_ptr 0
		.amdhsa_user_sgpr_kernarg_segment_ptr 1
		.amdhsa_user_sgpr_dispatch_id 0
		.amdhsa_user_sgpr_kernarg_preload_length 0
		.amdhsa_user_sgpr_kernarg_preload_offset 0
		.amdhsa_user_sgpr_private_segment_size 0
		.amdhsa_wavefront_size32 1
		.amdhsa_uses_dynamic_stack 0
		.amdhsa_enable_private_segment 0
		.amdhsa_system_sgpr_workgroup_id_x 1
		.amdhsa_system_sgpr_workgroup_id_y 0
		.amdhsa_system_sgpr_workgroup_id_z 0
		.amdhsa_system_sgpr_workgroup_info 0
		.amdhsa_system_vgpr_workitem_id 0
		.amdhsa_next_free_vgpr 1
		.amdhsa_next_free_sgpr 1
		.amdhsa_named_barrier_count 0
		.amdhsa_reserve_vcc 0
		.amdhsa_float_round_mode_32 0
		.amdhsa_float_round_mode_16_64 0
		.amdhsa_float_denorm_mode_32 3
		.amdhsa_float_denorm_mode_16_64 3
		.amdhsa_fp16_overflow 0
		.amdhsa_memory_ordered 1
		.amdhsa_forward_progress 1
		.amdhsa_inst_pref_size 0
		.amdhsa_round_robin_scheduling 0
		.amdhsa_exception_fp_ieee_invalid_op 0
		.amdhsa_exception_fp_denorm_src 0
		.amdhsa_exception_fp_ieee_div_zero 0
		.amdhsa_exception_fp_ieee_overflow 0
		.amdhsa_exception_fp_ieee_underflow 0
		.amdhsa_exception_fp_ieee_inexact 0
		.amdhsa_exception_int_div_zero 0
	.end_amdhsa_kernel
	.section	.text._ZN7rocprim17ROCPRIM_400000_NS6detail17trampoline_kernelINS0_14default_configENS1_27scan_by_key_config_selectorIj11FixedVectorIiLj2EEEEZZNS1_16scan_by_key_implILNS1_25lookback_scan_determinismE0ELb0ES3_N6thrust23THRUST_200600_302600_NS6detail15normal_iteratorINSB_10device_ptrIjEEEENSD_INSE_IS6_EEEESI_S6_NSB_4plusIvEENSB_8equal_toIvEES6_EE10hipError_tPvRmT2_T3_T4_T5_mT6_T7_P12ihipStream_tbENKUlT_T0_E_clISt17integral_constantIbLb1EES13_EEDaSY_SZ_EUlSY_E_NS1_11comp_targetILNS1_3genE9ELNS1_11target_archE1100ELNS1_3gpuE3ELNS1_3repE0EEENS1_30default_config_static_selectorELNS0_4arch9wavefront6targetE0EEEvT1_,"axG",@progbits,_ZN7rocprim17ROCPRIM_400000_NS6detail17trampoline_kernelINS0_14default_configENS1_27scan_by_key_config_selectorIj11FixedVectorIiLj2EEEEZZNS1_16scan_by_key_implILNS1_25lookback_scan_determinismE0ELb0ES3_N6thrust23THRUST_200600_302600_NS6detail15normal_iteratorINSB_10device_ptrIjEEEENSD_INSE_IS6_EEEESI_S6_NSB_4plusIvEENSB_8equal_toIvEES6_EE10hipError_tPvRmT2_T3_T4_T5_mT6_T7_P12ihipStream_tbENKUlT_T0_E_clISt17integral_constantIbLb1EES13_EEDaSY_SZ_EUlSY_E_NS1_11comp_targetILNS1_3genE9ELNS1_11target_archE1100ELNS1_3gpuE3ELNS1_3repE0EEENS1_30default_config_static_selectorELNS0_4arch9wavefront6targetE0EEEvT1_,comdat
.Lfunc_end1969:
	.size	_ZN7rocprim17ROCPRIM_400000_NS6detail17trampoline_kernelINS0_14default_configENS1_27scan_by_key_config_selectorIj11FixedVectorIiLj2EEEEZZNS1_16scan_by_key_implILNS1_25lookback_scan_determinismE0ELb0ES3_N6thrust23THRUST_200600_302600_NS6detail15normal_iteratorINSB_10device_ptrIjEEEENSD_INSE_IS6_EEEESI_S6_NSB_4plusIvEENSB_8equal_toIvEES6_EE10hipError_tPvRmT2_T3_T4_T5_mT6_T7_P12ihipStream_tbENKUlT_T0_E_clISt17integral_constantIbLb1EES13_EEDaSY_SZ_EUlSY_E_NS1_11comp_targetILNS1_3genE9ELNS1_11target_archE1100ELNS1_3gpuE3ELNS1_3repE0EEENS1_30default_config_static_selectorELNS0_4arch9wavefront6targetE0EEEvT1_, .Lfunc_end1969-_ZN7rocprim17ROCPRIM_400000_NS6detail17trampoline_kernelINS0_14default_configENS1_27scan_by_key_config_selectorIj11FixedVectorIiLj2EEEEZZNS1_16scan_by_key_implILNS1_25lookback_scan_determinismE0ELb0ES3_N6thrust23THRUST_200600_302600_NS6detail15normal_iteratorINSB_10device_ptrIjEEEENSD_INSE_IS6_EEEESI_S6_NSB_4plusIvEENSB_8equal_toIvEES6_EE10hipError_tPvRmT2_T3_T4_T5_mT6_T7_P12ihipStream_tbENKUlT_T0_E_clISt17integral_constantIbLb1EES13_EEDaSY_SZ_EUlSY_E_NS1_11comp_targetILNS1_3genE9ELNS1_11target_archE1100ELNS1_3gpuE3ELNS1_3repE0EEENS1_30default_config_static_selectorELNS0_4arch9wavefront6targetE0EEEvT1_
                                        ; -- End function
	.set _ZN7rocprim17ROCPRIM_400000_NS6detail17trampoline_kernelINS0_14default_configENS1_27scan_by_key_config_selectorIj11FixedVectorIiLj2EEEEZZNS1_16scan_by_key_implILNS1_25lookback_scan_determinismE0ELb0ES3_N6thrust23THRUST_200600_302600_NS6detail15normal_iteratorINSB_10device_ptrIjEEEENSD_INSE_IS6_EEEESI_S6_NSB_4plusIvEENSB_8equal_toIvEES6_EE10hipError_tPvRmT2_T3_T4_T5_mT6_T7_P12ihipStream_tbENKUlT_T0_E_clISt17integral_constantIbLb1EES13_EEDaSY_SZ_EUlSY_E_NS1_11comp_targetILNS1_3genE9ELNS1_11target_archE1100ELNS1_3gpuE3ELNS1_3repE0EEENS1_30default_config_static_selectorELNS0_4arch9wavefront6targetE0EEEvT1_.num_vgpr, 0
	.set _ZN7rocprim17ROCPRIM_400000_NS6detail17trampoline_kernelINS0_14default_configENS1_27scan_by_key_config_selectorIj11FixedVectorIiLj2EEEEZZNS1_16scan_by_key_implILNS1_25lookback_scan_determinismE0ELb0ES3_N6thrust23THRUST_200600_302600_NS6detail15normal_iteratorINSB_10device_ptrIjEEEENSD_INSE_IS6_EEEESI_S6_NSB_4plusIvEENSB_8equal_toIvEES6_EE10hipError_tPvRmT2_T3_T4_T5_mT6_T7_P12ihipStream_tbENKUlT_T0_E_clISt17integral_constantIbLb1EES13_EEDaSY_SZ_EUlSY_E_NS1_11comp_targetILNS1_3genE9ELNS1_11target_archE1100ELNS1_3gpuE3ELNS1_3repE0EEENS1_30default_config_static_selectorELNS0_4arch9wavefront6targetE0EEEvT1_.num_agpr, 0
	.set _ZN7rocprim17ROCPRIM_400000_NS6detail17trampoline_kernelINS0_14default_configENS1_27scan_by_key_config_selectorIj11FixedVectorIiLj2EEEEZZNS1_16scan_by_key_implILNS1_25lookback_scan_determinismE0ELb0ES3_N6thrust23THRUST_200600_302600_NS6detail15normal_iteratorINSB_10device_ptrIjEEEENSD_INSE_IS6_EEEESI_S6_NSB_4plusIvEENSB_8equal_toIvEES6_EE10hipError_tPvRmT2_T3_T4_T5_mT6_T7_P12ihipStream_tbENKUlT_T0_E_clISt17integral_constantIbLb1EES13_EEDaSY_SZ_EUlSY_E_NS1_11comp_targetILNS1_3genE9ELNS1_11target_archE1100ELNS1_3gpuE3ELNS1_3repE0EEENS1_30default_config_static_selectorELNS0_4arch9wavefront6targetE0EEEvT1_.numbered_sgpr, 0
	.set _ZN7rocprim17ROCPRIM_400000_NS6detail17trampoline_kernelINS0_14default_configENS1_27scan_by_key_config_selectorIj11FixedVectorIiLj2EEEEZZNS1_16scan_by_key_implILNS1_25lookback_scan_determinismE0ELb0ES3_N6thrust23THRUST_200600_302600_NS6detail15normal_iteratorINSB_10device_ptrIjEEEENSD_INSE_IS6_EEEESI_S6_NSB_4plusIvEENSB_8equal_toIvEES6_EE10hipError_tPvRmT2_T3_T4_T5_mT6_T7_P12ihipStream_tbENKUlT_T0_E_clISt17integral_constantIbLb1EES13_EEDaSY_SZ_EUlSY_E_NS1_11comp_targetILNS1_3genE9ELNS1_11target_archE1100ELNS1_3gpuE3ELNS1_3repE0EEENS1_30default_config_static_selectorELNS0_4arch9wavefront6targetE0EEEvT1_.num_named_barrier, 0
	.set _ZN7rocprim17ROCPRIM_400000_NS6detail17trampoline_kernelINS0_14default_configENS1_27scan_by_key_config_selectorIj11FixedVectorIiLj2EEEEZZNS1_16scan_by_key_implILNS1_25lookback_scan_determinismE0ELb0ES3_N6thrust23THRUST_200600_302600_NS6detail15normal_iteratorINSB_10device_ptrIjEEEENSD_INSE_IS6_EEEESI_S6_NSB_4plusIvEENSB_8equal_toIvEES6_EE10hipError_tPvRmT2_T3_T4_T5_mT6_T7_P12ihipStream_tbENKUlT_T0_E_clISt17integral_constantIbLb1EES13_EEDaSY_SZ_EUlSY_E_NS1_11comp_targetILNS1_3genE9ELNS1_11target_archE1100ELNS1_3gpuE3ELNS1_3repE0EEENS1_30default_config_static_selectorELNS0_4arch9wavefront6targetE0EEEvT1_.private_seg_size, 0
	.set _ZN7rocprim17ROCPRIM_400000_NS6detail17trampoline_kernelINS0_14default_configENS1_27scan_by_key_config_selectorIj11FixedVectorIiLj2EEEEZZNS1_16scan_by_key_implILNS1_25lookback_scan_determinismE0ELb0ES3_N6thrust23THRUST_200600_302600_NS6detail15normal_iteratorINSB_10device_ptrIjEEEENSD_INSE_IS6_EEEESI_S6_NSB_4plusIvEENSB_8equal_toIvEES6_EE10hipError_tPvRmT2_T3_T4_T5_mT6_T7_P12ihipStream_tbENKUlT_T0_E_clISt17integral_constantIbLb1EES13_EEDaSY_SZ_EUlSY_E_NS1_11comp_targetILNS1_3genE9ELNS1_11target_archE1100ELNS1_3gpuE3ELNS1_3repE0EEENS1_30default_config_static_selectorELNS0_4arch9wavefront6targetE0EEEvT1_.uses_vcc, 0
	.set _ZN7rocprim17ROCPRIM_400000_NS6detail17trampoline_kernelINS0_14default_configENS1_27scan_by_key_config_selectorIj11FixedVectorIiLj2EEEEZZNS1_16scan_by_key_implILNS1_25lookback_scan_determinismE0ELb0ES3_N6thrust23THRUST_200600_302600_NS6detail15normal_iteratorINSB_10device_ptrIjEEEENSD_INSE_IS6_EEEESI_S6_NSB_4plusIvEENSB_8equal_toIvEES6_EE10hipError_tPvRmT2_T3_T4_T5_mT6_T7_P12ihipStream_tbENKUlT_T0_E_clISt17integral_constantIbLb1EES13_EEDaSY_SZ_EUlSY_E_NS1_11comp_targetILNS1_3genE9ELNS1_11target_archE1100ELNS1_3gpuE3ELNS1_3repE0EEENS1_30default_config_static_selectorELNS0_4arch9wavefront6targetE0EEEvT1_.uses_flat_scratch, 0
	.set _ZN7rocprim17ROCPRIM_400000_NS6detail17trampoline_kernelINS0_14default_configENS1_27scan_by_key_config_selectorIj11FixedVectorIiLj2EEEEZZNS1_16scan_by_key_implILNS1_25lookback_scan_determinismE0ELb0ES3_N6thrust23THRUST_200600_302600_NS6detail15normal_iteratorINSB_10device_ptrIjEEEENSD_INSE_IS6_EEEESI_S6_NSB_4plusIvEENSB_8equal_toIvEES6_EE10hipError_tPvRmT2_T3_T4_T5_mT6_T7_P12ihipStream_tbENKUlT_T0_E_clISt17integral_constantIbLb1EES13_EEDaSY_SZ_EUlSY_E_NS1_11comp_targetILNS1_3genE9ELNS1_11target_archE1100ELNS1_3gpuE3ELNS1_3repE0EEENS1_30default_config_static_selectorELNS0_4arch9wavefront6targetE0EEEvT1_.has_dyn_sized_stack, 0
	.set _ZN7rocprim17ROCPRIM_400000_NS6detail17trampoline_kernelINS0_14default_configENS1_27scan_by_key_config_selectorIj11FixedVectorIiLj2EEEEZZNS1_16scan_by_key_implILNS1_25lookback_scan_determinismE0ELb0ES3_N6thrust23THRUST_200600_302600_NS6detail15normal_iteratorINSB_10device_ptrIjEEEENSD_INSE_IS6_EEEESI_S6_NSB_4plusIvEENSB_8equal_toIvEES6_EE10hipError_tPvRmT2_T3_T4_T5_mT6_T7_P12ihipStream_tbENKUlT_T0_E_clISt17integral_constantIbLb1EES13_EEDaSY_SZ_EUlSY_E_NS1_11comp_targetILNS1_3genE9ELNS1_11target_archE1100ELNS1_3gpuE3ELNS1_3repE0EEENS1_30default_config_static_selectorELNS0_4arch9wavefront6targetE0EEEvT1_.has_recursion, 0
	.set _ZN7rocprim17ROCPRIM_400000_NS6detail17trampoline_kernelINS0_14default_configENS1_27scan_by_key_config_selectorIj11FixedVectorIiLj2EEEEZZNS1_16scan_by_key_implILNS1_25lookback_scan_determinismE0ELb0ES3_N6thrust23THRUST_200600_302600_NS6detail15normal_iteratorINSB_10device_ptrIjEEEENSD_INSE_IS6_EEEESI_S6_NSB_4plusIvEENSB_8equal_toIvEES6_EE10hipError_tPvRmT2_T3_T4_T5_mT6_T7_P12ihipStream_tbENKUlT_T0_E_clISt17integral_constantIbLb1EES13_EEDaSY_SZ_EUlSY_E_NS1_11comp_targetILNS1_3genE9ELNS1_11target_archE1100ELNS1_3gpuE3ELNS1_3repE0EEENS1_30default_config_static_selectorELNS0_4arch9wavefront6targetE0EEEvT1_.has_indirect_call, 0
	.section	.AMDGPU.csdata,"",@progbits
; Kernel info:
; codeLenInByte = 0
; TotalNumSgprs: 0
; NumVgprs: 0
; ScratchSize: 0
; MemoryBound: 0
; FloatMode: 240
; IeeeMode: 1
; LDSByteSize: 0 bytes/workgroup (compile time only)
; SGPRBlocks: 0
; VGPRBlocks: 0
; NumSGPRsForWavesPerEU: 1
; NumVGPRsForWavesPerEU: 1
; NamedBarCnt: 0
; Occupancy: 16
; WaveLimiterHint : 0
; COMPUTE_PGM_RSRC2:SCRATCH_EN: 0
; COMPUTE_PGM_RSRC2:USER_SGPR: 2
; COMPUTE_PGM_RSRC2:TRAP_HANDLER: 0
; COMPUTE_PGM_RSRC2:TGID_X_EN: 1
; COMPUTE_PGM_RSRC2:TGID_Y_EN: 0
; COMPUTE_PGM_RSRC2:TGID_Z_EN: 0
; COMPUTE_PGM_RSRC2:TIDIG_COMP_CNT: 0
	.section	.text._ZN7rocprim17ROCPRIM_400000_NS6detail17trampoline_kernelINS0_14default_configENS1_27scan_by_key_config_selectorIj11FixedVectorIiLj2EEEEZZNS1_16scan_by_key_implILNS1_25lookback_scan_determinismE0ELb0ES3_N6thrust23THRUST_200600_302600_NS6detail15normal_iteratorINSB_10device_ptrIjEEEENSD_INSE_IS6_EEEESI_S6_NSB_4plusIvEENSB_8equal_toIvEES6_EE10hipError_tPvRmT2_T3_T4_T5_mT6_T7_P12ihipStream_tbENKUlT_T0_E_clISt17integral_constantIbLb1EES13_EEDaSY_SZ_EUlSY_E_NS1_11comp_targetILNS1_3genE8ELNS1_11target_archE1030ELNS1_3gpuE2ELNS1_3repE0EEENS1_30default_config_static_selectorELNS0_4arch9wavefront6targetE0EEEvT1_,"axG",@progbits,_ZN7rocprim17ROCPRIM_400000_NS6detail17trampoline_kernelINS0_14default_configENS1_27scan_by_key_config_selectorIj11FixedVectorIiLj2EEEEZZNS1_16scan_by_key_implILNS1_25lookback_scan_determinismE0ELb0ES3_N6thrust23THRUST_200600_302600_NS6detail15normal_iteratorINSB_10device_ptrIjEEEENSD_INSE_IS6_EEEESI_S6_NSB_4plusIvEENSB_8equal_toIvEES6_EE10hipError_tPvRmT2_T3_T4_T5_mT6_T7_P12ihipStream_tbENKUlT_T0_E_clISt17integral_constantIbLb1EES13_EEDaSY_SZ_EUlSY_E_NS1_11comp_targetILNS1_3genE8ELNS1_11target_archE1030ELNS1_3gpuE2ELNS1_3repE0EEENS1_30default_config_static_selectorELNS0_4arch9wavefront6targetE0EEEvT1_,comdat
	.protected	_ZN7rocprim17ROCPRIM_400000_NS6detail17trampoline_kernelINS0_14default_configENS1_27scan_by_key_config_selectorIj11FixedVectorIiLj2EEEEZZNS1_16scan_by_key_implILNS1_25lookback_scan_determinismE0ELb0ES3_N6thrust23THRUST_200600_302600_NS6detail15normal_iteratorINSB_10device_ptrIjEEEENSD_INSE_IS6_EEEESI_S6_NSB_4plusIvEENSB_8equal_toIvEES6_EE10hipError_tPvRmT2_T3_T4_T5_mT6_T7_P12ihipStream_tbENKUlT_T0_E_clISt17integral_constantIbLb1EES13_EEDaSY_SZ_EUlSY_E_NS1_11comp_targetILNS1_3genE8ELNS1_11target_archE1030ELNS1_3gpuE2ELNS1_3repE0EEENS1_30default_config_static_selectorELNS0_4arch9wavefront6targetE0EEEvT1_ ; -- Begin function _ZN7rocprim17ROCPRIM_400000_NS6detail17trampoline_kernelINS0_14default_configENS1_27scan_by_key_config_selectorIj11FixedVectorIiLj2EEEEZZNS1_16scan_by_key_implILNS1_25lookback_scan_determinismE0ELb0ES3_N6thrust23THRUST_200600_302600_NS6detail15normal_iteratorINSB_10device_ptrIjEEEENSD_INSE_IS6_EEEESI_S6_NSB_4plusIvEENSB_8equal_toIvEES6_EE10hipError_tPvRmT2_T3_T4_T5_mT6_T7_P12ihipStream_tbENKUlT_T0_E_clISt17integral_constantIbLb1EES13_EEDaSY_SZ_EUlSY_E_NS1_11comp_targetILNS1_3genE8ELNS1_11target_archE1030ELNS1_3gpuE2ELNS1_3repE0EEENS1_30default_config_static_selectorELNS0_4arch9wavefront6targetE0EEEvT1_
	.globl	_ZN7rocprim17ROCPRIM_400000_NS6detail17trampoline_kernelINS0_14default_configENS1_27scan_by_key_config_selectorIj11FixedVectorIiLj2EEEEZZNS1_16scan_by_key_implILNS1_25lookback_scan_determinismE0ELb0ES3_N6thrust23THRUST_200600_302600_NS6detail15normal_iteratorINSB_10device_ptrIjEEEENSD_INSE_IS6_EEEESI_S6_NSB_4plusIvEENSB_8equal_toIvEES6_EE10hipError_tPvRmT2_T3_T4_T5_mT6_T7_P12ihipStream_tbENKUlT_T0_E_clISt17integral_constantIbLb1EES13_EEDaSY_SZ_EUlSY_E_NS1_11comp_targetILNS1_3genE8ELNS1_11target_archE1030ELNS1_3gpuE2ELNS1_3repE0EEENS1_30default_config_static_selectorELNS0_4arch9wavefront6targetE0EEEvT1_
	.p2align	8
	.type	_ZN7rocprim17ROCPRIM_400000_NS6detail17trampoline_kernelINS0_14default_configENS1_27scan_by_key_config_selectorIj11FixedVectorIiLj2EEEEZZNS1_16scan_by_key_implILNS1_25lookback_scan_determinismE0ELb0ES3_N6thrust23THRUST_200600_302600_NS6detail15normal_iteratorINSB_10device_ptrIjEEEENSD_INSE_IS6_EEEESI_S6_NSB_4plusIvEENSB_8equal_toIvEES6_EE10hipError_tPvRmT2_T3_T4_T5_mT6_T7_P12ihipStream_tbENKUlT_T0_E_clISt17integral_constantIbLb1EES13_EEDaSY_SZ_EUlSY_E_NS1_11comp_targetILNS1_3genE8ELNS1_11target_archE1030ELNS1_3gpuE2ELNS1_3repE0EEENS1_30default_config_static_selectorELNS0_4arch9wavefront6targetE0EEEvT1_,@function
_ZN7rocprim17ROCPRIM_400000_NS6detail17trampoline_kernelINS0_14default_configENS1_27scan_by_key_config_selectorIj11FixedVectorIiLj2EEEEZZNS1_16scan_by_key_implILNS1_25lookback_scan_determinismE0ELb0ES3_N6thrust23THRUST_200600_302600_NS6detail15normal_iteratorINSB_10device_ptrIjEEEENSD_INSE_IS6_EEEESI_S6_NSB_4plusIvEENSB_8equal_toIvEES6_EE10hipError_tPvRmT2_T3_T4_T5_mT6_T7_P12ihipStream_tbENKUlT_T0_E_clISt17integral_constantIbLb1EES13_EEDaSY_SZ_EUlSY_E_NS1_11comp_targetILNS1_3genE8ELNS1_11target_archE1030ELNS1_3gpuE2ELNS1_3repE0EEENS1_30default_config_static_selectorELNS0_4arch9wavefront6targetE0EEEvT1_: ; @_ZN7rocprim17ROCPRIM_400000_NS6detail17trampoline_kernelINS0_14default_configENS1_27scan_by_key_config_selectorIj11FixedVectorIiLj2EEEEZZNS1_16scan_by_key_implILNS1_25lookback_scan_determinismE0ELb0ES3_N6thrust23THRUST_200600_302600_NS6detail15normal_iteratorINSB_10device_ptrIjEEEENSD_INSE_IS6_EEEESI_S6_NSB_4plusIvEENSB_8equal_toIvEES6_EE10hipError_tPvRmT2_T3_T4_T5_mT6_T7_P12ihipStream_tbENKUlT_T0_E_clISt17integral_constantIbLb1EES13_EEDaSY_SZ_EUlSY_E_NS1_11comp_targetILNS1_3genE8ELNS1_11target_archE1030ELNS1_3gpuE2ELNS1_3repE0EEENS1_30default_config_static_selectorELNS0_4arch9wavefront6targetE0EEEvT1_
; %bb.0:
	.section	.rodata,"a",@progbits
	.p2align	6, 0x0
	.amdhsa_kernel _ZN7rocprim17ROCPRIM_400000_NS6detail17trampoline_kernelINS0_14default_configENS1_27scan_by_key_config_selectorIj11FixedVectorIiLj2EEEEZZNS1_16scan_by_key_implILNS1_25lookback_scan_determinismE0ELb0ES3_N6thrust23THRUST_200600_302600_NS6detail15normal_iteratorINSB_10device_ptrIjEEEENSD_INSE_IS6_EEEESI_S6_NSB_4plusIvEENSB_8equal_toIvEES6_EE10hipError_tPvRmT2_T3_T4_T5_mT6_T7_P12ihipStream_tbENKUlT_T0_E_clISt17integral_constantIbLb1EES13_EEDaSY_SZ_EUlSY_E_NS1_11comp_targetILNS1_3genE8ELNS1_11target_archE1030ELNS1_3gpuE2ELNS1_3repE0EEENS1_30default_config_static_selectorELNS0_4arch9wavefront6targetE0EEEvT1_
		.amdhsa_group_segment_fixed_size 0
		.amdhsa_private_segment_fixed_size 0
		.amdhsa_kernarg_size 120
		.amdhsa_user_sgpr_count 2
		.amdhsa_user_sgpr_dispatch_ptr 0
		.amdhsa_user_sgpr_queue_ptr 0
		.amdhsa_user_sgpr_kernarg_segment_ptr 1
		.amdhsa_user_sgpr_dispatch_id 0
		.amdhsa_user_sgpr_kernarg_preload_length 0
		.amdhsa_user_sgpr_kernarg_preload_offset 0
		.amdhsa_user_sgpr_private_segment_size 0
		.amdhsa_wavefront_size32 1
		.amdhsa_uses_dynamic_stack 0
		.amdhsa_enable_private_segment 0
		.amdhsa_system_sgpr_workgroup_id_x 1
		.amdhsa_system_sgpr_workgroup_id_y 0
		.amdhsa_system_sgpr_workgroup_id_z 0
		.amdhsa_system_sgpr_workgroup_info 0
		.amdhsa_system_vgpr_workitem_id 0
		.amdhsa_next_free_vgpr 1
		.amdhsa_next_free_sgpr 1
		.amdhsa_named_barrier_count 0
		.amdhsa_reserve_vcc 0
		.amdhsa_float_round_mode_32 0
		.amdhsa_float_round_mode_16_64 0
		.amdhsa_float_denorm_mode_32 3
		.amdhsa_float_denorm_mode_16_64 3
		.amdhsa_fp16_overflow 0
		.amdhsa_memory_ordered 1
		.amdhsa_forward_progress 1
		.amdhsa_inst_pref_size 0
		.amdhsa_round_robin_scheduling 0
		.amdhsa_exception_fp_ieee_invalid_op 0
		.amdhsa_exception_fp_denorm_src 0
		.amdhsa_exception_fp_ieee_div_zero 0
		.amdhsa_exception_fp_ieee_overflow 0
		.amdhsa_exception_fp_ieee_underflow 0
		.amdhsa_exception_fp_ieee_inexact 0
		.amdhsa_exception_int_div_zero 0
	.end_amdhsa_kernel
	.section	.text._ZN7rocprim17ROCPRIM_400000_NS6detail17trampoline_kernelINS0_14default_configENS1_27scan_by_key_config_selectorIj11FixedVectorIiLj2EEEEZZNS1_16scan_by_key_implILNS1_25lookback_scan_determinismE0ELb0ES3_N6thrust23THRUST_200600_302600_NS6detail15normal_iteratorINSB_10device_ptrIjEEEENSD_INSE_IS6_EEEESI_S6_NSB_4plusIvEENSB_8equal_toIvEES6_EE10hipError_tPvRmT2_T3_T4_T5_mT6_T7_P12ihipStream_tbENKUlT_T0_E_clISt17integral_constantIbLb1EES13_EEDaSY_SZ_EUlSY_E_NS1_11comp_targetILNS1_3genE8ELNS1_11target_archE1030ELNS1_3gpuE2ELNS1_3repE0EEENS1_30default_config_static_selectorELNS0_4arch9wavefront6targetE0EEEvT1_,"axG",@progbits,_ZN7rocprim17ROCPRIM_400000_NS6detail17trampoline_kernelINS0_14default_configENS1_27scan_by_key_config_selectorIj11FixedVectorIiLj2EEEEZZNS1_16scan_by_key_implILNS1_25lookback_scan_determinismE0ELb0ES3_N6thrust23THRUST_200600_302600_NS6detail15normal_iteratorINSB_10device_ptrIjEEEENSD_INSE_IS6_EEEESI_S6_NSB_4plusIvEENSB_8equal_toIvEES6_EE10hipError_tPvRmT2_T3_T4_T5_mT6_T7_P12ihipStream_tbENKUlT_T0_E_clISt17integral_constantIbLb1EES13_EEDaSY_SZ_EUlSY_E_NS1_11comp_targetILNS1_3genE8ELNS1_11target_archE1030ELNS1_3gpuE2ELNS1_3repE0EEENS1_30default_config_static_selectorELNS0_4arch9wavefront6targetE0EEEvT1_,comdat
.Lfunc_end1970:
	.size	_ZN7rocprim17ROCPRIM_400000_NS6detail17trampoline_kernelINS0_14default_configENS1_27scan_by_key_config_selectorIj11FixedVectorIiLj2EEEEZZNS1_16scan_by_key_implILNS1_25lookback_scan_determinismE0ELb0ES3_N6thrust23THRUST_200600_302600_NS6detail15normal_iteratorINSB_10device_ptrIjEEEENSD_INSE_IS6_EEEESI_S6_NSB_4plusIvEENSB_8equal_toIvEES6_EE10hipError_tPvRmT2_T3_T4_T5_mT6_T7_P12ihipStream_tbENKUlT_T0_E_clISt17integral_constantIbLb1EES13_EEDaSY_SZ_EUlSY_E_NS1_11comp_targetILNS1_3genE8ELNS1_11target_archE1030ELNS1_3gpuE2ELNS1_3repE0EEENS1_30default_config_static_selectorELNS0_4arch9wavefront6targetE0EEEvT1_, .Lfunc_end1970-_ZN7rocprim17ROCPRIM_400000_NS6detail17trampoline_kernelINS0_14default_configENS1_27scan_by_key_config_selectorIj11FixedVectorIiLj2EEEEZZNS1_16scan_by_key_implILNS1_25lookback_scan_determinismE0ELb0ES3_N6thrust23THRUST_200600_302600_NS6detail15normal_iteratorINSB_10device_ptrIjEEEENSD_INSE_IS6_EEEESI_S6_NSB_4plusIvEENSB_8equal_toIvEES6_EE10hipError_tPvRmT2_T3_T4_T5_mT6_T7_P12ihipStream_tbENKUlT_T0_E_clISt17integral_constantIbLb1EES13_EEDaSY_SZ_EUlSY_E_NS1_11comp_targetILNS1_3genE8ELNS1_11target_archE1030ELNS1_3gpuE2ELNS1_3repE0EEENS1_30default_config_static_selectorELNS0_4arch9wavefront6targetE0EEEvT1_
                                        ; -- End function
	.set _ZN7rocprim17ROCPRIM_400000_NS6detail17trampoline_kernelINS0_14default_configENS1_27scan_by_key_config_selectorIj11FixedVectorIiLj2EEEEZZNS1_16scan_by_key_implILNS1_25lookback_scan_determinismE0ELb0ES3_N6thrust23THRUST_200600_302600_NS6detail15normal_iteratorINSB_10device_ptrIjEEEENSD_INSE_IS6_EEEESI_S6_NSB_4plusIvEENSB_8equal_toIvEES6_EE10hipError_tPvRmT2_T3_T4_T5_mT6_T7_P12ihipStream_tbENKUlT_T0_E_clISt17integral_constantIbLb1EES13_EEDaSY_SZ_EUlSY_E_NS1_11comp_targetILNS1_3genE8ELNS1_11target_archE1030ELNS1_3gpuE2ELNS1_3repE0EEENS1_30default_config_static_selectorELNS0_4arch9wavefront6targetE0EEEvT1_.num_vgpr, 0
	.set _ZN7rocprim17ROCPRIM_400000_NS6detail17trampoline_kernelINS0_14default_configENS1_27scan_by_key_config_selectorIj11FixedVectorIiLj2EEEEZZNS1_16scan_by_key_implILNS1_25lookback_scan_determinismE0ELb0ES3_N6thrust23THRUST_200600_302600_NS6detail15normal_iteratorINSB_10device_ptrIjEEEENSD_INSE_IS6_EEEESI_S6_NSB_4plusIvEENSB_8equal_toIvEES6_EE10hipError_tPvRmT2_T3_T4_T5_mT6_T7_P12ihipStream_tbENKUlT_T0_E_clISt17integral_constantIbLb1EES13_EEDaSY_SZ_EUlSY_E_NS1_11comp_targetILNS1_3genE8ELNS1_11target_archE1030ELNS1_3gpuE2ELNS1_3repE0EEENS1_30default_config_static_selectorELNS0_4arch9wavefront6targetE0EEEvT1_.num_agpr, 0
	.set _ZN7rocprim17ROCPRIM_400000_NS6detail17trampoline_kernelINS0_14default_configENS1_27scan_by_key_config_selectorIj11FixedVectorIiLj2EEEEZZNS1_16scan_by_key_implILNS1_25lookback_scan_determinismE0ELb0ES3_N6thrust23THRUST_200600_302600_NS6detail15normal_iteratorINSB_10device_ptrIjEEEENSD_INSE_IS6_EEEESI_S6_NSB_4plusIvEENSB_8equal_toIvEES6_EE10hipError_tPvRmT2_T3_T4_T5_mT6_T7_P12ihipStream_tbENKUlT_T0_E_clISt17integral_constantIbLb1EES13_EEDaSY_SZ_EUlSY_E_NS1_11comp_targetILNS1_3genE8ELNS1_11target_archE1030ELNS1_3gpuE2ELNS1_3repE0EEENS1_30default_config_static_selectorELNS0_4arch9wavefront6targetE0EEEvT1_.numbered_sgpr, 0
	.set _ZN7rocprim17ROCPRIM_400000_NS6detail17trampoline_kernelINS0_14default_configENS1_27scan_by_key_config_selectorIj11FixedVectorIiLj2EEEEZZNS1_16scan_by_key_implILNS1_25lookback_scan_determinismE0ELb0ES3_N6thrust23THRUST_200600_302600_NS6detail15normal_iteratorINSB_10device_ptrIjEEEENSD_INSE_IS6_EEEESI_S6_NSB_4plusIvEENSB_8equal_toIvEES6_EE10hipError_tPvRmT2_T3_T4_T5_mT6_T7_P12ihipStream_tbENKUlT_T0_E_clISt17integral_constantIbLb1EES13_EEDaSY_SZ_EUlSY_E_NS1_11comp_targetILNS1_3genE8ELNS1_11target_archE1030ELNS1_3gpuE2ELNS1_3repE0EEENS1_30default_config_static_selectorELNS0_4arch9wavefront6targetE0EEEvT1_.num_named_barrier, 0
	.set _ZN7rocprim17ROCPRIM_400000_NS6detail17trampoline_kernelINS0_14default_configENS1_27scan_by_key_config_selectorIj11FixedVectorIiLj2EEEEZZNS1_16scan_by_key_implILNS1_25lookback_scan_determinismE0ELb0ES3_N6thrust23THRUST_200600_302600_NS6detail15normal_iteratorINSB_10device_ptrIjEEEENSD_INSE_IS6_EEEESI_S6_NSB_4plusIvEENSB_8equal_toIvEES6_EE10hipError_tPvRmT2_T3_T4_T5_mT6_T7_P12ihipStream_tbENKUlT_T0_E_clISt17integral_constantIbLb1EES13_EEDaSY_SZ_EUlSY_E_NS1_11comp_targetILNS1_3genE8ELNS1_11target_archE1030ELNS1_3gpuE2ELNS1_3repE0EEENS1_30default_config_static_selectorELNS0_4arch9wavefront6targetE0EEEvT1_.private_seg_size, 0
	.set _ZN7rocprim17ROCPRIM_400000_NS6detail17trampoline_kernelINS0_14default_configENS1_27scan_by_key_config_selectorIj11FixedVectorIiLj2EEEEZZNS1_16scan_by_key_implILNS1_25lookback_scan_determinismE0ELb0ES3_N6thrust23THRUST_200600_302600_NS6detail15normal_iteratorINSB_10device_ptrIjEEEENSD_INSE_IS6_EEEESI_S6_NSB_4plusIvEENSB_8equal_toIvEES6_EE10hipError_tPvRmT2_T3_T4_T5_mT6_T7_P12ihipStream_tbENKUlT_T0_E_clISt17integral_constantIbLb1EES13_EEDaSY_SZ_EUlSY_E_NS1_11comp_targetILNS1_3genE8ELNS1_11target_archE1030ELNS1_3gpuE2ELNS1_3repE0EEENS1_30default_config_static_selectorELNS0_4arch9wavefront6targetE0EEEvT1_.uses_vcc, 0
	.set _ZN7rocprim17ROCPRIM_400000_NS6detail17trampoline_kernelINS0_14default_configENS1_27scan_by_key_config_selectorIj11FixedVectorIiLj2EEEEZZNS1_16scan_by_key_implILNS1_25lookback_scan_determinismE0ELb0ES3_N6thrust23THRUST_200600_302600_NS6detail15normal_iteratorINSB_10device_ptrIjEEEENSD_INSE_IS6_EEEESI_S6_NSB_4plusIvEENSB_8equal_toIvEES6_EE10hipError_tPvRmT2_T3_T4_T5_mT6_T7_P12ihipStream_tbENKUlT_T0_E_clISt17integral_constantIbLb1EES13_EEDaSY_SZ_EUlSY_E_NS1_11comp_targetILNS1_3genE8ELNS1_11target_archE1030ELNS1_3gpuE2ELNS1_3repE0EEENS1_30default_config_static_selectorELNS0_4arch9wavefront6targetE0EEEvT1_.uses_flat_scratch, 0
	.set _ZN7rocprim17ROCPRIM_400000_NS6detail17trampoline_kernelINS0_14default_configENS1_27scan_by_key_config_selectorIj11FixedVectorIiLj2EEEEZZNS1_16scan_by_key_implILNS1_25lookback_scan_determinismE0ELb0ES3_N6thrust23THRUST_200600_302600_NS6detail15normal_iteratorINSB_10device_ptrIjEEEENSD_INSE_IS6_EEEESI_S6_NSB_4plusIvEENSB_8equal_toIvEES6_EE10hipError_tPvRmT2_T3_T4_T5_mT6_T7_P12ihipStream_tbENKUlT_T0_E_clISt17integral_constantIbLb1EES13_EEDaSY_SZ_EUlSY_E_NS1_11comp_targetILNS1_3genE8ELNS1_11target_archE1030ELNS1_3gpuE2ELNS1_3repE0EEENS1_30default_config_static_selectorELNS0_4arch9wavefront6targetE0EEEvT1_.has_dyn_sized_stack, 0
	.set _ZN7rocprim17ROCPRIM_400000_NS6detail17trampoline_kernelINS0_14default_configENS1_27scan_by_key_config_selectorIj11FixedVectorIiLj2EEEEZZNS1_16scan_by_key_implILNS1_25lookback_scan_determinismE0ELb0ES3_N6thrust23THRUST_200600_302600_NS6detail15normal_iteratorINSB_10device_ptrIjEEEENSD_INSE_IS6_EEEESI_S6_NSB_4plusIvEENSB_8equal_toIvEES6_EE10hipError_tPvRmT2_T3_T4_T5_mT6_T7_P12ihipStream_tbENKUlT_T0_E_clISt17integral_constantIbLb1EES13_EEDaSY_SZ_EUlSY_E_NS1_11comp_targetILNS1_3genE8ELNS1_11target_archE1030ELNS1_3gpuE2ELNS1_3repE0EEENS1_30default_config_static_selectorELNS0_4arch9wavefront6targetE0EEEvT1_.has_recursion, 0
	.set _ZN7rocprim17ROCPRIM_400000_NS6detail17trampoline_kernelINS0_14default_configENS1_27scan_by_key_config_selectorIj11FixedVectorIiLj2EEEEZZNS1_16scan_by_key_implILNS1_25lookback_scan_determinismE0ELb0ES3_N6thrust23THRUST_200600_302600_NS6detail15normal_iteratorINSB_10device_ptrIjEEEENSD_INSE_IS6_EEEESI_S6_NSB_4plusIvEENSB_8equal_toIvEES6_EE10hipError_tPvRmT2_T3_T4_T5_mT6_T7_P12ihipStream_tbENKUlT_T0_E_clISt17integral_constantIbLb1EES13_EEDaSY_SZ_EUlSY_E_NS1_11comp_targetILNS1_3genE8ELNS1_11target_archE1030ELNS1_3gpuE2ELNS1_3repE0EEENS1_30default_config_static_selectorELNS0_4arch9wavefront6targetE0EEEvT1_.has_indirect_call, 0
	.section	.AMDGPU.csdata,"",@progbits
; Kernel info:
; codeLenInByte = 0
; TotalNumSgprs: 0
; NumVgprs: 0
; ScratchSize: 0
; MemoryBound: 0
; FloatMode: 240
; IeeeMode: 1
; LDSByteSize: 0 bytes/workgroup (compile time only)
; SGPRBlocks: 0
; VGPRBlocks: 0
; NumSGPRsForWavesPerEU: 1
; NumVGPRsForWavesPerEU: 1
; NamedBarCnt: 0
; Occupancy: 16
; WaveLimiterHint : 0
; COMPUTE_PGM_RSRC2:SCRATCH_EN: 0
; COMPUTE_PGM_RSRC2:USER_SGPR: 2
; COMPUTE_PGM_RSRC2:TRAP_HANDLER: 0
; COMPUTE_PGM_RSRC2:TGID_X_EN: 1
; COMPUTE_PGM_RSRC2:TGID_Y_EN: 0
; COMPUTE_PGM_RSRC2:TGID_Z_EN: 0
; COMPUTE_PGM_RSRC2:TIDIG_COMP_CNT: 0
	.section	.text._ZN7rocprim17ROCPRIM_400000_NS6detail30init_device_scan_by_key_kernelINS1_19lookback_scan_stateINS0_5tupleIJ11FixedVectorIiLj2EEbEEELb1ELb1EEEN6thrust23THRUST_200600_302600_NS6detail15normal_iteratorINSA_10device_ptrIjEEEEjNS1_16block_id_wrapperIjLb0EEEEEvT_jjPNSI_10value_typeET0_PNSt15iterator_traitsISL_E10value_typeEmT1_T2_,"axG",@progbits,_ZN7rocprim17ROCPRIM_400000_NS6detail30init_device_scan_by_key_kernelINS1_19lookback_scan_stateINS0_5tupleIJ11FixedVectorIiLj2EEbEEELb1ELb1EEEN6thrust23THRUST_200600_302600_NS6detail15normal_iteratorINSA_10device_ptrIjEEEEjNS1_16block_id_wrapperIjLb0EEEEEvT_jjPNSI_10value_typeET0_PNSt15iterator_traitsISL_E10value_typeEmT1_T2_,comdat
	.protected	_ZN7rocprim17ROCPRIM_400000_NS6detail30init_device_scan_by_key_kernelINS1_19lookback_scan_stateINS0_5tupleIJ11FixedVectorIiLj2EEbEEELb1ELb1EEEN6thrust23THRUST_200600_302600_NS6detail15normal_iteratorINSA_10device_ptrIjEEEEjNS1_16block_id_wrapperIjLb0EEEEEvT_jjPNSI_10value_typeET0_PNSt15iterator_traitsISL_E10value_typeEmT1_T2_ ; -- Begin function _ZN7rocprim17ROCPRIM_400000_NS6detail30init_device_scan_by_key_kernelINS1_19lookback_scan_stateINS0_5tupleIJ11FixedVectorIiLj2EEbEEELb1ELb1EEEN6thrust23THRUST_200600_302600_NS6detail15normal_iteratorINSA_10device_ptrIjEEEEjNS1_16block_id_wrapperIjLb0EEEEEvT_jjPNSI_10value_typeET0_PNSt15iterator_traitsISL_E10value_typeEmT1_T2_
	.globl	_ZN7rocprim17ROCPRIM_400000_NS6detail30init_device_scan_by_key_kernelINS1_19lookback_scan_stateINS0_5tupleIJ11FixedVectorIiLj2EEbEEELb1ELb1EEEN6thrust23THRUST_200600_302600_NS6detail15normal_iteratorINSA_10device_ptrIjEEEEjNS1_16block_id_wrapperIjLb0EEEEEvT_jjPNSI_10value_typeET0_PNSt15iterator_traitsISL_E10value_typeEmT1_T2_
	.p2align	8
	.type	_ZN7rocprim17ROCPRIM_400000_NS6detail30init_device_scan_by_key_kernelINS1_19lookback_scan_stateINS0_5tupleIJ11FixedVectorIiLj2EEbEEELb1ELb1EEEN6thrust23THRUST_200600_302600_NS6detail15normal_iteratorINSA_10device_ptrIjEEEEjNS1_16block_id_wrapperIjLb0EEEEEvT_jjPNSI_10value_typeET0_PNSt15iterator_traitsISL_E10value_typeEmT1_T2_,@function
_ZN7rocprim17ROCPRIM_400000_NS6detail30init_device_scan_by_key_kernelINS1_19lookback_scan_stateINS0_5tupleIJ11FixedVectorIiLj2EEbEEELb1ELb1EEEN6thrust23THRUST_200600_302600_NS6detail15normal_iteratorINSA_10device_ptrIjEEEEjNS1_16block_id_wrapperIjLb0EEEEEvT_jjPNSI_10value_typeET0_PNSt15iterator_traitsISL_E10value_typeEmT1_T2_: ; @_ZN7rocprim17ROCPRIM_400000_NS6detail30init_device_scan_by_key_kernelINS1_19lookback_scan_stateINS0_5tupleIJ11FixedVectorIiLj2EEbEEELb1ELb1EEEN6thrust23THRUST_200600_302600_NS6detail15normal_iteratorINSA_10device_ptrIjEEEEjNS1_16block_id_wrapperIjLb0EEEEEvT_jjPNSI_10value_typeET0_PNSt15iterator_traitsISL_E10value_typeEmT1_T2_
; %bb.0:
	s_clause 0x2
	s_load_b32 s2, s[0:1], 0x44
	s_load_b32 s14, s[0:1], 0x38
	s_load_b256 s[4:11], s[0:1], 0x0
	s_bfe_u32 s3, ttmp6, 0x4000c
	s_and_b32 s12, ttmp6, 15
	s_add_co_i32 s3, s3, 1
	s_getreg_b32 s13, hwreg(HW_REG_IB_STS2, 6, 4)
	s_mul_i32 s3, ttmp9, s3
	s_delay_alu instid0(SALU_CYCLE_1)
	s_add_co_i32 s12, s12, s3
	s_wait_kmcnt 0x0
	s_and_b32 s15, s2, 0xffff
	s_cmp_eq_u32 s13, 0
	s_cselect_b32 s2, ttmp9, s12
	s_cmp_eq_u64 s[8:9], 0
	v_mad_u32 v4, s2, s15, v0
	s_cbranch_scc1 .LBB1971_10
; %bb.1:
	s_cmp_lt_u32 s7, s6
	s_mov_b32 s16, exec_lo
	s_cselect_b32 s2, s7, 0
	s_delay_alu instid0(VALU_DEP_1) | instid1(SALU_CYCLE_1)
	v_cmpx_eq_u32_e64 s2, v4
	s_cbranch_execz .LBB1971_9
; %bb.2:
	s_add_co_i32 s2, s7, 32
	s_mov_b32 s3, 0
	s_delay_alu instid0(SALU_CYCLE_1) | instskip(SKIP_2) | instid1(SALU_CYCLE_1)
	s_lshl_b64 s[12:13], s[2:3], 4
	s_mov_b32 s2, exec_lo
	s_add_nc_u64 s[12:13], s[4:5], s[12:13]
	v_mov_b64_e32 v[0:1], s[12:13]
	;;#ASMSTART
	global_load_b128 v[0:3], v[0:1] off scope:SCOPE_DEV	
s_wait_loadcnt 0x0
	;;#ASMEND
	s_delay_alu instid0(VALU_DEP_1) | instskip(SKIP_1) | instid1(VALU_DEP_1)
	v_dual_mov_b32 v6, 0 :: v_dual_mov_b32 v8, v1
	v_and_b32_e32 v7, 0xff, v3
	v_cmpx_eq_u64_e32 0, v[6:7]
	s_cbranch_execz .LBB1971_8
; %bb.3:
	v_mov_b64_e32 v[8:9], s[12:13]
	s_mov_b32 s7, 1
.LBB1971_4:                             ; =>This Loop Header: Depth=1
                                        ;     Child Loop BB1971_5 Depth 2
	s_delay_alu instid0(SALU_CYCLE_1)
	s_mov_b32 s12, s7
.LBB1971_5:                             ;   Parent Loop BB1971_4 Depth=1
                                        ; =>  This Inner Loop Header: Depth=2
	s_delay_alu instid0(SALU_CYCLE_1)
	s_add_co_i32 s12, s12, -1
	s_sleep 1
	s_cmp_eq_u32 s12, 0
	s_cbranch_scc0 .LBB1971_5
; %bb.6:                                ;   in Loop: Header=BB1971_4 Depth=1
	;;#ASMSTART
	global_load_b128 v[0:3], v[8:9] off scope:SCOPE_DEV	
s_wait_loadcnt 0x0
	;;#ASMEND
	v_and_b32_e32 v7, 0xff, v3
	s_cmp_lt_u32 s7, 32
	s_cselect_b32 s12, -1, 0
	s_delay_alu instid0(VALU_DEP_1) | instskip(SKIP_3) | instid1(SALU_CYCLE_1)
	v_cmp_ne_u64_e32 vcc_lo, 0, v[6:7]
	s_cmp_lg_u32 s12, 0
	s_add_co_ci_u32 s7, s7, 0
	s_or_b32 s3, vcc_lo, s3
	s_and_not1_b32 exec_lo, exec_lo, s3
	s_cbranch_execnz .LBB1971_4
; %bb.7:
	s_or_b32 exec_lo, exec_lo, s3
	v_mov_b32_e32 v8, v1
.LBB1971_8:
	s_or_b32 exec_lo, exec_lo, s2
	s_delay_alu instid0(VALU_DEP_1)
	v_dual_mov_b32 v3, 0 :: v_dual_mov_b32 v1, v8
	s_clause 0x1
	global_store_b64 v3, v[0:1], s[8:9]
	global_store_b8 v3, v2, s[8:9] offset:8
.LBB1971_9:
	s_wait_xcnt 0x0
	s_or_b32 exec_lo, exec_lo, s16
.LBB1971_10:
	s_delay_alu instid0(SALU_CYCLE_1) | instskip(NEXT) | instid1(VALU_DEP_1)
	s_mov_b32 s2, exec_lo
	v_cmpx_gt_u32_e64 s6, v4
	s_cbranch_execz .LBB1971_12
; %bb.11:
	v_dual_mov_b32 v0, 0 :: v_dual_add_nc_u32 v5, 32, v4
	s_delay_alu instid0(VALU_DEP_1)
	v_dual_mov_b32 v1, v0 :: v_dual_mov_b32 v2, v0
	v_mov_b32_e32 v3, v0
	global_store_b128 v5, v[0:3], s[4:5] scale_offset
.LBB1971_12:
	s_wait_xcnt 0x0
	s_or_b32 exec_lo, exec_lo, s2
	v_mov_b32_e32 v5, 0
	s_mov_b32 s2, exec_lo
	v_cmpx_lt_u32_e32 31, v4
	s_xor_b32 s2, exec_lo, s2
	s_delay_alu instid0(SALU_CYCLE_1)
	s_and_not1_saveexec_b32 s2, s2
	s_cbranch_execz .LBB1971_14
; %bb.13:
	v_dual_mov_b32 v0, 0 :: v_dual_mov_b32 v3, 0xff
	v_lshl_add_u64 v[6:7], v[4:5], 4, s[4:5]
	s_delay_alu instid0(VALU_DEP_2)
	v_dual_mov_b32 v1, v0 :: v_dual_mov_b32 v2, v0
	global_store_b128 v[6:7], v[0:3], off
.LBB1971_14:
	s_wait_xcnt 0x0
	s_or_b32 exec_lo, exec_lo, s2
	s_load_b64 s[2:3], s[0:1], 0x28
	s_mov_b32 s4, exec_lo
	s_wait_kmcnt 0x0
	v_cmpx_gt_u64_e64 s[2:3], v[4:5]
	s_cbranch_execz .LBB1971_17
; %bb.15:
	s_clause 0x1
	s_load_b32 s4, s[0:1], 0x30
	s_load_b64 s[6:7], s[0:1], 0x20
	s_mov_b32 s5, 0
	s_wait_xcnt 0x0
	s_mul_i32 s0, s14, s15
	s_mov_b32 s9, s5
	s_mov_b32 s1, s5
	s_wait_kmcnt 0x0
	v_mul_u64_e32 v[0:1], s[4:5], v[4:5]
	s_add_co_i32 s8, s4, -1
	v_lshl_add_u64 v[2:3], v[4:5], 2, s[6:7]
	s_lshl_b64 s[8:9], s[8:9], 2
	s_delay_alu instid0(SALU_CYCLE_1) | instskip(SKIP_1) | instid1(SALU_CYCLE_1)
	s_add_nc_u64 s[8:9], s[10:11], s[8:9]
	s_mul_u64 s[10:11], s[4:5], s[0:1]
	s_lshl_b64 s[6:7], s[10:11], 2
	s_delay_alu instid0(VALU_DEP_2)
	v_lshl_add_u64 v[0:1], v[0:1], 2, s[8:9]
	s_lshl_b64 s[8:9], s[0:1], 2
.LBB1971_16:                            ; =>This Inner Loop Header: Depth=1
	global_load_b32 v6, v[0:1], off
	v_add_nc_u64_e32 v[4:5], s[0:1], v[4:5]
	s_wait_xcnt 0x0
	v_add_nc_u64_e32 v[0:1], s[6:7], v[0:1]
	s_delay_alu instid0(VALU_DEP_2)
	v_cmp_le_u64_e32 vcc_lo, s[2:3], v[4:5]
	s_or_b32 s5, vcc_lo, s5
	s_wait_loadcnt 0x0
	global_store_b32 v[2:3], v6, off
	s_wait_xcnt 0x0
	v_add_nc_u64_e32 v[2:3], s[8:9], v[2:3]
	s_and_not1_b32 exec_lo, exec_lo, s5
	s_cbranch_execnz .LBB1971_16
.LBB1971_17:
	s_endpgm
	.section	.rodata,"a",@progbits
	.p2align	6, 0x0
	.amdhsa_kernel _ZN7rocprim17ROCPRIM_400000_NS6detail30init_device_scan_by_key_kernelINS1_19lookback_scan_stateINS0_5tupleIJ11FixedVectorIiLj2EEbEEELb1ELb1EEEN6thrust23THRUST_200600_302600_NS6detail15normal_iteratorINSA_10device_ptrIjEEEEjNS1_16block_id_wrapperIjLb0EEEEEvT_jjPNSI_10value_typeET0_PNSt15iterator_traitsISL_E10value_typeEmT1_T2_
		.amdhsa_group_segment_fixed_size 0
		.amdhsa_private_segment_fixed_size 0
		.amdhsa_kernarg_size 312
		.amdhsa_user_sgpr_count 2
		.amdhsa_user_sgpr_dispatch_ptr 0
		.amdhsa_user_sgpr_queue_ptr 0
		.amdhsa_user_sgpr_kernarg_segment_ptr 1
		.amdhsa_user_sgpr_dispatch_id 0
		.amdhsa_user_sgpr_kernarg_preload_length 0
		.amdhsa_user_sgpr_kernarg_preload_offset 0
		.amdhsa_user_sgpr_private_segment_size 0
		.amdhsa_wavefront_size32 1
		.amdhsa_uses_dynamic_stack 0
		.amdhsa_enable_private_segment 0
		.amdhsa_system_sgpr_workgroup_id_x 1
		.amdhsa_system_sgpr_workgroup_id_y 0
		.amdhsa_system_sgpr_workgroup_id_z 0
		.amdhsa_system_sgpr_workgroup_info 0
		.amdhsa_system_vgpr_workitem_id 0
		.amdhsa_next_free_vgpr 10
		.amdhsa_next_free_sgpr 17
		.amdhsa_named_barrier_count 0
		.amdhsa_reserve_vcc 1
		.amdhsa_float_round_mode_32 0
		.amdhsa_float_round_mode_16_64 0
		.amdhsa_float_denorm_mode_32 3
		.amdhsa_float_denorm_mode_16_64 3
		.amdhsa_fp16_overflow 0
		.amdhsa_memory_ordered 1
		.amdhsa_forward_progress 1
		.amdhsa_inst_pref_size 6
		.amdhsa_round_robin_scheduling 0
		.amdhsa_exception_fp_ieee_invalid_op 0
		.amdhsa_exception_fp_denorm_src 0
		.amdhsa_exception_fp_ieee_div_zero 0
		.amdhsa_exception_fp_ieee_overflow 0
		.amdhsa_exception_fp_ieee_underflow 0
		.amdhsa_exception_fp_ieee_inexact 0
		.amdhsa_exception_int_div_zero 0
	.end_amdhsa_kernel
	.section	.text._ZN7rocprim17ROCPRIM_400000_NS6detail30init_device_scan_by_key_kernelINS1_19lookback_scan_stateINS0_5tupleIJ11FixedVectorIiLj2EEbEEELb1ELb1EEEN6thrust23THRUST_200600_302600_NS6detail15normal_iteratorINSA_10device_ptrIjEEEEjNS1_16block_id_wrapperIjLb0EEEEEvT_jjPNSI_10value_typeET0_PNSt15iterator_traitsISL_E10value_typeEmT1_T2_,"axG",@progbits,_ZN7rocprim17ROCPRIM_400000_NS6detail30init_device_scan_by_key_kernelINS1_19lookback_scan_stateINS0_5tupleIJ11FixedVectorIiLj2EEbEEELb1ELb1EEEN6thrust23THRUST_200600_302600_NS6detail15normal_iteratorINSA_10device_ptrIjEEEEjNS1_16block_id_wrapperIjLb0EEEEEvT_jjPNSI_10value_typeET0_PNSt15iterator_traitsISL_E10value_typeEmT1_T2_,comdat
.Lfunc_end1971:
	.size	_ZN7rocprim17ROCPRIM_400000_NS6detail30init_device_scan_by_key_kernelINS1_19lookback_scan_stateINS0_5tupleIJ11FixedVectorIiLj2EEbEEELb1ELb1EEEN6thrust23THRUST_200600_302600_NS6detail15normal_iteratorINSA_10device_ptrIjEEEEjNS1_16block_id_wrapperIjLb0EEEEEvT_jjPNSI_10value_typeET0_PNSt15iterator_traitsISL_E10value_typeEmT1_T2_, .Lfunc_end1971-_ZN7rocprim17ROCPRIM_400000_NS6detail30init_device_scan_by_key_kernelINS1_19lookback_scan_stateINS0_5tupleIJ11FixedVectorIiLj2EEbEEELb1ELb1EEEN6thrust23THRUST_200600_302600_NS6detail15normal_iteratorINSA_10device_ptrIjEEEEjNS1_16block_id_wrapperIjLb0EEEEEvT_jjPNSI_10value_typeET0_PNSt15iterator_traitsISL_E10value_typeEmT1_T2_
                                        ; -- End function
	.set _ZN7rocprim17ROCPRIM_400000_NS6detail30init_device_scan_by_key_kernelINS1_19lookback_scan_stateINS0_5tupleIJ11FixedVectorIiLj2EEbEEELb1ELb1EEEN6thrust23THRUST_200600_302600_NS6detail15normal_iteratorINSA_10device_ptrIjEEEEjNS1_16block_id_wrapperIjLb0EEEEEvT_jjPNSI_10value_typeET0_PNSt15iterator_traitsISL_E10value_typeEmT1_T2_.num_vgpr, 10
	.set _ZN7rocprim17ROCPRIM_400000_NS6detail30init_device_scan_by_key_kernelINS1_19lookback_scan_stateINS0_5tupleIJ11FixedVectorIiLj2EEbEEELb1ELb1EEEN6thrust23THRUST_200600_302600_NS6detail15normal_iteratorINSA_10device_ptrIjEEEEjNS1_16block_id_wrapperIjLb0EEEEEvT_jjPNSI_10value_typeET0_PNSt15iterator_traitsISL_E10value_typeEmT1_T2_.num_agpr, 0
	.set _ZN7rocprim17ROCPRIM_400000_NS6detail30init_device_scan_by_key_kernelINS1_19lookback_scan_stateINS0_5tupleIJ11FixedVectorIiLj2EEbEEELb1ELb1EEEN6thrust23THRUST_200600_302600_NS6detail15normal_iteratorINSA_10device_ptrIjEEEEjNS1_16block_id_wrapperIjLb0EEEEEvT_jjPNSI_10value_typeET0_PNSt15iterator_traitsISL_E10value_typeEmT1_T2_.numbered_sgpr, 17
	.set _ZN7rocprim17ROCPRIM_400000_NS6detail30init_device_scan_by_key_kernelINS1_19lookback_scan_stateINS0_5tupleIJ11FixedVectorIiLj2EEbEEELb1ELb1EEEN6thrust23THRUST_200600_302600_NS6detail15normal_iteratorINSA_10device_ptrIjEEEEjNS1_16block_id_wrapperIjLb0EEEEEvT_jjPNSI_10value_typeET0_PNSt15iterator_traitsISL_E10value_typeEmT1_T2_.num_named_barrier, 0
	.set _ZN7rocprim17ROCPRIM_400000_NS6detail30init_device_scan_by_key_kernelINS1_19lookback_scan_stateINS0_5tupleIJ11FixedVectorIiLj2EEbEEELb1ELb1EEEN6thrust23THRUST_200600_302600_NS6detail15normal_iteratorINSA_10device_ptrIjEEEEjNS1_16block_id_wrapperIjLb0EEEEEvT_jjPNSI_10value_typeET0_PNSt15iterator_traitsISL_E10value_typeEmT1_T2_.private_seg_size, 0
	.set _ZN7rocprim17ROCPRIM_400000_NS6detail30init_device_scan_by_key_kernelINS1_19lookback_scan_stateINS0_5tupleIJ11FixedVectorIiLj2EEbEEELb1ELb1EEEN6thrust23THRUST_200600_302600_NS6detail15normal_iteratorINSA_10device_ptrIjEEEEjNS1_16block_id_wrapperIjLb0EEEEEvT_jjPNSI_10value_typeET0_PNSt15iterator_traitsISL_E10value_typeEmT1_T2_.uses_vcc, 1
	.set _ZN7rocprim17ROCPRIM_400000_NS6detail30init_device_scan_by_key_kernelINS1_19lookback_scan_stateINS0_5tupleIJ11FixedVectorIiLj2EEbEEELb1ELb1EEEN6thrust23THRUST_200600_302600_NS6detail15normal_iteratorINSA_10device_ptrIjEEEEjNS1_16block_id_wrapperIjLb0EEEEEvT_jjPNSI_10value_typeET0_PNSt15iterator_traitsISL_E10value_typeEmT1_T2_.uses_flat_scratch, 0
	.set _ZN7rocprim17ROCPRIM_400000_NS6detail30init_device_scan_by_key_kernelINS1_19lookback_scan_stateINS0_5tupleIJ11FixedVectorIiLj2EEbEEELb1ELb1EEEN6thrust23THRUST_200600_302600_NS6detail15normal_iteratorINSA_10device_ptrIjEEEEjNS1_16block_id_wrapperIjLb0EEEEEvT_jjPNSI_10value_typeET0_PNSt15iterator_traitsISL_E10value_typeEmT1_T2_.has_dyn_sized_stack, 0
	.set _ZN7rocprim17ROCPRIM_400000_NS6detail30init_device_scan_by_key_kernelINS1_19lookback_scan_stateINS0_5tupleIJ11FixedVectorIiLj2EEbEEELb1ELb1EEEN6thrust23THRUST_200600_302600_NS6detail15normal_iteratorINSA_10device_ptrIjEEEEjNS1_16block_id_wrapperIjLb0EEEEEvT_jjPNSI_10value_typeET0_PNSt15iterator_traitsISL_E10value_typeEmT1_T2_.has_recursion, 0
	.set _ZN7rocprim17ROCPRIM_400000_NS6detail30init_device_scan_by_key_kernelINS1_19lookback_scan_stateINS0_5tupleIJ11FixedVectorIiLj2EEbEEELb1ELb1EEEN6thrust23THRUST_200600_302600_NS6detail15normal_iteratorINSA_10device_ptrIjEEEEjNS1_16block_id_wrapperIjLb0EEEEEvT_jjPNSI_10value_typeET0_PNSt15iterator_traitsISL_E10value_typeEmT1_T2_.has_indirect_call, 0
	.section	.AMDGPU.csdata,"",@progbits
; Kernel info:
; codeLenInByte = 668
; TotalNumSgprs: 19
; NumVgprs: 10
; ScratchSize: 0
; MemoryBound: 0
; FloatMode: 240
; IeeeMode: 1
; LDSByteSize: 0 bytes/workgroup (compile time only)
; SGPRBlocks: 0
; VGPRBlocks: 0
; NumSGPRsForWavesPerEU: 19
; NumVGPRsForWavesPerEU: 10
; NamedBarCnt: 0
; Occupancy: 16
; WaveLimiterHint : 0
; COMPUTE_PGM_RSRC2:SCRATCH_EN: 0
; COMPUTE_PGM_RSRC2:USER_SGPR: 2
; COMPUTE_PGM_RSRC2:TRAP_HANDLER: 0
; COMPUTE_PGM_RSRC2:TGID_X_EN: 1
; COMPUTE_PGM_RSRC2:TGID_Y_EN: 0
; COMPUTE_PGM_RSRC2:TGID_Z_EN: 0
; COMPUTE_PGM_RSRC2:TIDIG_COMP_CNT: 0
	.section	.text._ZN7rocprim17ROCPRIM_400000_NS6detail30init_device_scan_by_key_kernelINS1_19lookback_scan_stateINS0_5tupleIJ11FixedVectorIiLj2EEbEEELb1ELb1EEENS1_16block_id_wrapperIjLb0EEEEEvT_jjPNSB_10value_typeET0_,"axG",@progbits,_ZN7rocprim17ROCPRIM_400000_NS6detail30init_device_scan_by_key_kernelINS1_19lookback_scan_stateINS0_5tupleIJ11FixedVectorIiLj2EEbEEELb1ELb1EEENS1_16block_id_wrapperIjLb0EEEEEvT_jjPNSB_10value_typeET0_,comdat
	.protected	_ZN7rocprim17ROCPRIM_400000_NS6detail30init_device_scan_by_key_kernelINS1_19lookback_scan_stateINS0_5tupleIJ11FixedVectorIiLj2EEbEEELb1ELb1EEENS1_16block_id_wrapperIjLb0EEEEEvT_jjPNSB_10value_typeET0_ ; -- Begin function _ZN7rocprim17ROCPRIM_400000_NS6detail30init_device_scan_by_key_kernelINS1_19lookback_scan_stateINS0_5tupleIJ11FixedVectorIiLj2EEbEEELb1ELb1EEENS1_16block_id_wrapperIjLb0EEEEEvT_jjPNSB_10value_typeET0_
	.globl	_ZN7rocprim17ROCPRIM_400000_NS6detail30init_device_scan_by_key_kernelINS1_19lookback_scan_stateINS0_5tupleIJ11FixedVectorIiLj2EEbEEELb1ELb1EEENS1_16block_id_wrapperIjLb0EEEEEvT_jjPNSB_10value_typeET0_
	.p2align	8
	.type	_ZN7rocprim17ROCPRIM_400000_NS6detail30init_device_scan_by_key_kernelINS1_19lookback_scan_stateINS0_5tupleIJ11FixedVectorIiLj2EEbEEELb1ELb1EEENS1_16block_id_wrapperIjLb0EEEEEvT_jjPNSB_10value_typeET0_,@function
_ZN7rocprim17ROCPRIM_400000_NS6detail30init_device_scan_by_key_kernelINS1_19lookback_scan_stateINS0_5tupleIJ11FixedVectorIiLj2EEbEEELb1ELb1EEENS1_16block_id_wrapperIjLb0EEEEEvT_jjPNSB_10value_typeET0_: ; @_ZN7rocprim17ROCPRIM_400000_NS6detail30init_device_scan_by_key_kernelINS1_19lookback_scan_stateINS0_5tupleIJ11FixedVectorIiLj2EEbEEELb1ELb1EEENS1_16block_id_wrapperIjLb0EEEEEvT_jjPNSB_10value_typeET0_
; %bb.0:
	s_clause 0x2
	s_load_b32 s8, s[0:1], 0x2c
	s_load_b128 s[4:7], s[0:1], 0x0
	s_load_b64 s[2:3], s[0:1], 0x10
	s_wait_xcnt 0x0
	s_bfe_u32 s0, ttmp6, 0x4000c
	s_and_b32 s1, ttmp6, 15
	s_add_co_i32 s0, s0, 1
	s_getreg_b32 s9, hwreg(HW_REG_IB_STS2, 6, 4)
	s_mul_i32 s0, ttmp9, s0
	s_delay_alu instid0(SALU_CYCLE_1)
	s_add_co_i32 s1, s1, s0
	s_wait_kmcnt 0x0
	s_and_b32 s8, s8, 0xffff
	s_cmp_eq_u32 s9, 0
	s_cselect_b32 s0, ttmp9, s1
	s_cmp_eq_u64 s[2:3], 0
	v_mad_u32 v8, s0, s8, v0
	s_cbranch_scc1 .LBB1972_10
; %bb.1:
	s_cmp_lt_u32 s7, s6
	s_mov_b32 s10, exec_lo
	s_cselect_b32 s0, s7, 0
	s_delay_alu instid0(VALU_DEP_1) | instid1(SALU_CYCLE_1)
	v_cmpx_eq_u32_e64 s0, v8
	s_cbranch_execz .LBB1972_9
; %bb.2:
	s_add_co_i32 s0, s7, 32
	s_mov_b32 s1, 0
	s_delay_alu instid0(SALU_CYCLE_1) | instskip(SKIP_2) | instid1(SALU_CYCLE_1)
	s_lshl_b64 s[8:9], s[0:1], 4
	s_mov_b32 s0, exec_lo
	s_add_nc_u64 s[8:9], s[4:5], s[8:9]
	v_mov_b64_e32 v[0:1], s[8:9]
	;;#ASMSTART
	global_load_b128 v[0:3], v[0:1] off scope:SCOPE_DEV	
s_wait_loadcnt 0x0
	;;#ASMEND
	s_delay_alu instid0(VALU_DEP_1) | instskip(SKIP_1) | instid1(VALU_DEP_1)
	v_dual_mov_b32 v4, 0 :: v_dual_mov_b32 v6, v1
	v_and_b32_e32 v5, 0xff, v3
	v_cmpx_eq_u64_e32 0, v[4:5]
	s_cbranch_execz .LBB1972_8
; %bb.3:
	v_mov_b64_e32 v[6:7], s[8:9]
	s_mov_b32 s7, 1
.LBB1972_4:                             ; =>This Loop Header: Depth=1
                                        ;     Child Loop BB1972_5 Depth 2
	s_delay_alu instid0(SALU_CYCLE_1)
	s_mov_b32 s8, s7
.LBB1972_5:                             ;   Parent Loop BB1972_4 Depth=1
                                        ; =>  This Inner Loop Header: Depth=2
	s_delay_alu instid0(SALU_CYCLE_1)
	s_add_co_i32 s8, s8, -1
	s_sleep 1
	s_cmp_eq_u32 s8, 0
	s_cbranch_scc0 .LBB1972_5
; %bb.6:                                ;   in Loop: Header=BB1972_4 Depth=1
	;;#ASMSTART
	global_load_b128 v[0:3], v[6:7] off scope:SCOPE_DEV	
s_wait_loadcnt 0x0
	;;#ASMEND
	v_and_b32_e32 v5, 0xff, v3
	s_cmp_lt_u32 s7, 32
	s_cselect_b32 s8, -1, 0
	s_delay_alu instid0(VALU_DEP_1) | instskip(SKIP_3) | instid1(SALU_CYCLE_1)
	v_cmp_ne_u64_e32 vcc_lo, 0, v[4:5]
	s_cmp_lg_u32 s8, 0
	s_add_co_ci_u32 s7, s7, 0
	s_or_b32 s1, vcc_lo, s1
	s_and_not1_b32 exec_lo, exec_lo, s1
	s_cbranch_execnz .LBB1972_4
; %bb.7:
	s_or_b32 exec_lo, exec_lo, s1
	v_mov_b32_e32 v6, v1
.LBB1972_8:
	s_or_b32 exec_lo, exec_lo, s0
	s_delay_alu instid0(VALU_DEP_1)
	v_dual_mov_b32 v3, 0 :: v_dual_mov_b32 v1, v6
	s_clause 0x1
	global_store_b64 v3, v[0:1], s[2:3]
	global_store_b8 v3, v2, s[2:3] offset:8
.LBB1972_9:
	s_wait_xcnt 0x0
	s_or_b32 exec_lo, exec_lo, s10
.LBB1972_10:
	s_delay_alu instid0(SALU_CYCLE_1) | instskip(NEXT) | instid1(VALU_DEP_1)
	s_mov_b32 s0, exec_lo
	v_cmpx_gt_u32_e64 s6, v8
	s_cbranch_execz .LBB1972_12
; %bb.11:
	v_dual_mov_b32 v0, 0 :: v_dual_add_nc_u32 v4, 32, v8
	s_delay_alu instid0(VALU_DEP_1)
	v_dual_mov_b32 v1, v0 :: v_dual_mov_b32 v2, v0
	v_mov_b32_e32 v3, v0
	global_store_b128 v4, v[0:3], s[4:5] scale_offset
.LBB1972_12:
	s_wait_xcnt 0x0
	s_or_b32 exec_lo, exec_lo, s0
	s_delay_alu instid0(SALU_CYCLE_1)
	s_mov_b32 s0, exec_lo
	v_cmpx_gt_u32_e32 32, v8
	s_cbranch_execz .LBB1972_14
; %bb.13:
	v_dual_mov_b32 v0, 0 :: v_dual_mov_b32 v3, 0xff
	s_delay_alu instid0(VALU_DEP_1)
	v_dual_mov_b32 v1, v0 :: v_dual_mov_b32 v2, v0
	global_store_b128 v8, v[0:3], s[4:5] scale_offset
.LBB1972_14:
	s_endpgm
	.section	.rodata,"a",@progbits
	.p2align	6, 0x0
	.amdhsa_kernel _ZN7rocprim17ROCPRIM_400000_NS6detail30init_device_scan_by_key_kernelINS1_19lookback_scan_stateINS0_5tupleIJ11FixedVectorIiLj2EEbEEELb1ELb1EEENS1_16block_id_wrapperIjLb0EEEEEvT_jjPNSB_10value_typeET0_
		.amdhsa_group_segment_fixed_size 0
		.amdhsa_private_segment_fixed_size 0
		.amdhsa_kernarg_size 288
		.amdhsa_user_sgpr_count 2
		.amdhsa_user_sgpr_dispatch_ptr 0
		.amdhsa_user_sgpr_queue_ptr 0
		.amdhsa_user_sgpr_kernarg_segment_ptr 1
		.amdhsa_user_sgpr_dispatch_id 0
		.amdhsa_user_sgpr_kernarg_preload_length 0
		.amdhsa_user_sgpr_kernarg_preload_offset 0
		.amdhsa_user_sgpr_private_segment_size 0
		.amdhsa_wavefront_size32 1
		.amdhsa_uses_dynamic_stack 0
		.amdhsa_enable_private_segment 0
		.amdhsa_system_sgpr_workgroup_id_x 1
		.amdhsa_system_sgpr_workgroup_id_y 0
		.amdhsa_system_sgpr_workgroup_id_z 0
		.amdhsa_system_sgpr_workgroup_info 0
		.amdhsa_system_vgpr_workitem_id 0
		.amdhsa_next_free_vgpr 9
		.amdhsa_next_free_sgpr 11
		.amdhsa_named_barrier_count 0
		.amdhsa_reserve_vcc 1
		.amdhsa_float_round_mode_32 0
		.amdhsa_float_round_mode_16_64 0
		.amdhsa_float_denorm_mode_32 3
		.amdhsa_float_denorm_mode_16_64 3
		.amdhsa_fp16_overflow 0
		.amdhsa_memory_ordered 1
		.amdhsa_forward_progress 1
		.amdhsa_inst_pref_size 4
		.amdhsa_round_robin_scheduling 0
		.amdhsa_exception_fp_ieee_invalid_op 0
		.amdhsa_exception_fp_denorm_src 0
		.amdhsa_exception_fp_ieee_div_zero 0
		.amdhsa_exception_fp_ieee_overflow 0
		.amdhsa_exception_fp_ieee_underflow 0
		.amdhsa_exception_fp_ieee_inexact 0
		.amdhsa_exception_int_div_zero 0
	.end_amdhsa_kernel
	.section	.text._ZN7rocprim17ROCPRIM_400000_NS6detail30init_device_scan_by_key_kernelINS1_19lookback_scan_stateINS0_5tupleIJ11FixedVectorIiLj2EEbEEELb1ELb1EEENS1_16block_id_wrapperIjLb0EEEEEvT_jjPNSB_10value_typeET0_,"axG",@progbits,_ZN7rocprim17ROCPRIM_400000_NS6detail30init_device_scan_by_key_kernelINS1_19lookback_scan_stateINS0_5tupleIJ11FixedVectorIiLj2EEbEEELb1ELb1EEENS1_16block_id_wrapperIjLb0EEEEEvT_jjPNSB_10value_typeET0_,comdat
.Lfunc_end1972:
	.size	_ZN7rocprim17ROCPRIM_400000_NS6detail30init_device_scan_by_key_kernelINS1_19lookback_scan_stateINS0_5tupleIJ11FixedVectorIiLj2EEbEEELb1ELb1EEENS1_16block_id_wrapperIjLb0EEEEEvT_jjPNSB_10value_typeET0_, .Lfunc_end1972-_ZN7rocprim17ROCPRIM_400000_NS6detail30init_device_scan_by_key_kernelINS1_19lookback_scan_stateINS0_5tupleIJ11FixedVectorIiLj2EEbEEELb1ELb1EEENS1_16block_id_wrapperIjLb0EEEEEvT_jjPNSB_10value_typeET0_
                                        ; -- End function
	.set _ZN7rocprim17ROCPRIM_400000_NS6detail30init_device_scan_by_key_kernelINS1_19lookback_scan_stateINS0_5tupleIJ11FixedVectorIiLj2EEbEEELb1ELb1EEENS1_16block_id_wrapperIjLb0EEEEEvT_jjPNSB_10value_typeET0_.num_vgpr, 9
	.set _ZN7rocprim17ROCPRIM_400000_NS6detail30init_device_scan_by_key_kernelINS1_19lookback_scan_stateINS0_5tupleIJ11FixedVectorIiLj2EEbEEELb1ELb1EEENS1_16block_id_wrapperIjLb0EEEEEvT_jjPNSB_10value_typeET0_.num_agpr, 0
	.set _ZN7rocprim17ROCPRIM_400000_NS6detail30init_device_scan_by_key_kernelINS1_19lookback_scan_stateINS0_5tupleIJ11FixedVectorIiLj2EEbEEELb1ELb1EEENS1_16block_id_wrapperIjLb0EEEEEvT_jjPNSB_10value_typeET0_.numbered_sgpr, 11
	.set _ZN7rocprim17ROCPRIM_400000_NS6detail30init_device_scan_by_key_kernelINS1_19lookback_scan_stateINS0_5tupleIJ11FixedVectorIiLj2EEbEEELb1ELb1EEENS1_16block_id_wrapperIjLb0EEEEEvT_jjPNSB_10value_typeET0_.num_named_barrier, 0
	.set _ZN7rocprim17ROCPRIM_400000_NS6detail30init_device_scan_by_key_kernelINS1_19lookback_scan_stateINS0_5tupleIJ11FixedVectorIiLj2EEbEEELb1ELb1EEENS1_16block_id_wrapperIjLb0EEEEEvT_jjPNSB_10value_typeET0_.private_seg_size, 0
	.set _ZN7rocprim17ROCPRIM_400000_NS6detail30init_device_scan_by_key_kernelINS1_19lookback_scan_stateINS0_5tupleIJ11FixedVectorIiLj2EEbEEELb1ELb1EEENS1_16block_id_wrapperIjLb0EEEEEvT_jjPNSB_10value_typeET0_.uses_vcc, 1
	.set _ZN7rocprim17ROCPRIM_400000_NS6detail30init_device_scan_by_key_kernelINS1_19lookback_scan_stateINS0_5tupleIJ11FixedVectorIiLj2EEbEEELb1ELb1EEENS1_16block_id_wrapperIjLb0EEEEEvT_jjPNSB_10value_typeET0_.uses_flat_scratch, 0
	.set _ZN7rocprim17ROCPRIM_400000_NS6detail30init_device_scan_by_key_kernelINS1_19lookback_scan_stateINS0_5tupleIJ11FixedVectorIiLj2EEbEEELb1ELb1EEENS1_16block_id_wrapperIjLb0EEEEEvT_jjPNSB_10value_typeET0_.has_dyn_sized_stack, 0
	.set _ZN7rocprim17ROCPRIM_400000_NS6detail30init_device_scan_by_key_kernelINS1_19lookback_scan_stateINS0_5tupleIJ11FixedVectorIiLj2EEbEEELb1ELb1EEENS1_16block_id_wrapperIjLb0EEEEEvT_jjPNSB_10value_typeET0_.has_recursion, 0
	.set _ZN7rocprim17ROCPRIM_400000_NS6detail30init_device_scan_by_key_kernelINS1_19lookback_scan_stateINS0_5tupleIJ11FixedVectorIiLj2EEbEEELb1ELb1EEENS1_16block_id_wrapperIjLb0EEEEEvT_jjPNSB_10value_typeET0_.has_indirect_call, 0
	.section	.AMDGPU.csdata,"",@progbits
; Kernel info:
; codeLenInByte = 456
; TotalNumSgprs: 13
; NumVgprs: 9
; ScratchSize: 0
; MemoryBound: 0
; FloatMode: 240
; IeeeMode: 1
; LDSByteSize: 0 bytes/workgroup (compile time only)
; SGPRBlocks: 0
; VGPRBlocks: 0
; NumSGPRsForWavesPerEU: 13
; NumVGPRsForWavesPerEU: 9
; NamedBarCnt: 0
; Occupancy: 16
; WaveLimiterHint : 0
; COMPUTE_PGM_RSRC2:SCRATCH_EN: 0
; COMPUTE_PGM_RSRC2:USER_SGPR: 2
; COMPUTE_PGM_RSRC2:TRAP_HANDLER: 0
; COMPUTE_PGM_RSRC2:TGID_X_EN: 1
; COMPUTE_PGM_RSRC2:TGID_Y_EN: 0
; COMPUTE_PGM_RSRC2:TGID_Z_EN: 0
; COMPUTE_PGM_RSRC2:TIDIG_COMP_CNT: 0
	.section	.text._ZN7rocprim17ROCPRIM_400000_NS6detail17trampoline_kernelINS0_14default_configENS1_27scan_by_key_config_selectorIj11FixedVectorIiLj2EEEEZZNS1_16scan_by_key_implILNS1_25lookback_scan_determinismE0ELb0ES3_N6thrust23THRUST_200600_302600_NS6detail15normal_iteratorINSB_10device_ptrIjEEEENSD_INSE_IS6_EEEESI_S6_NSB_4plusIvEENSB_8equal_toIvEES6_EE10hipError_tPvRmT2_T3_T4_T5_mT6_T7_P12ihipStream_tbENKUlT_T0_E_clISt17integral_constantIbLb1EES12_IbLb0EEEEDaSY_SZ_EUlSY_E_NS1_11comp_targetILNS1_3genE0ELNS1_11target_archE4294967295ELNS1_3gpuE0ELNS1_3repE0EEENS1_30default_config_static_selectorELNS0_4arch9wavefront6targetE0EEEvT1_,"axG",@progbits,_ZN7rocprim17ROCPRIM_400000_NS6detail17trampoline_kernelINS0_14default_configENS1_27scan_by_key_config_selectorIj11FixedVectorIiLj2EEEEZZNS1_16scan_by_key_implILNS1_25lookback_scan_determinismE0ELb0ES3_N6thrust23THRUST_200600_302600_NS6detail15normal_iteratorINSB_10device_ptrIjEEEENSD_INSE_IS6_EEEESI_S6_NSB_4plusIvEENSB_8equal_toIvEES6_EE10hipError_tPvRmT2_T3_T4_T5_mT6_T7_P12ihipStream_tbENKUlT_T0_E_clISt17integral_constantIbLb1EES12_IbLb0EEEEDaSY_SZ_EUlSY_E_NS1_11comp_targetILNS1_3genE0ELNS1_11target_archE4294967295ELNS1_3gpuE0ELNS1_3repE0EEENS1_30default_config_static_selectorELNS0_4arch9wavefront6targetE0EEEvT1_,comdat
	.protected	_ZN7rocprim17ROCPRIM_400000_NS6detail17trampoline_kernelINS0_14default_configENS1_27scan_by_key_config_selectorIj11FixedVectorIiLj2EEEEZZNS1_16scan_by_key_implILNS1_25lookback_scan_determinismE0ELb0ES3_N6thrust23THRUST_200600_302600_NS6detail15normal_iteratorINSB_10device_ptrIjEEEENSD_INSE_IS6_EEEESI_S6_NSB_4plusIvEENSB_8equal_toIvEES6_EE10hipError_tPvRmT2_T3_T4_T5_mT6_T7_P12ihipStream_tbENKUlT_T0_E_clISt17integral_constantIbLb1EES12_IbLb0EEEEDaSY_SZ_EUlSY_E_NS1_11comp_targetILNS1_3genE0ELNS1_11target_archE4294967295ELNS1_3gpuE0ELNS1_3repE0EEENS1_30default_config_static_selectorELNS0_4arch9wavefront6targetE0EEEvT1_ ; -- Begin function _ZN7rocprim17ROCPRIM_400000_NS6detail17trampoline_kernelINS0_14default_configENS1_27scan_by_key_config_selectorIj11FixedVectorIiLj2EEEEZZNS1_16scan_by_key_implILNS1_25lookback_scan_determinismE0ELb0ES3_N6thrust23THRUST_200600_302600_NS6detail15normal_iteratorINSB_10device_ptrIjEEEENSD_INSE_IS6_EEEESI_S6_NSB_4plusIvEENSB_8equal_toIvEES6_EE10hipError_tPvRmT2_T3_T4_T5_mT6_T7_P12ihipStream_tbENKUlT_T0_E_clISt17integral_constantIbLb1EES12_IbLb0EEEEDaSY_SZ_EUlSY_E_NS1_11comp_targetILNS1_3genE0ELNS1_11target_archE4294967295ELNS1_3gpuE0ELNS1_3repE0EEENS1_30default_config_static_selectorELNS0_4arch9wavefront6targetE0EEEvT1_
	.globl	_ZN7rocprim17ROCPRIM_400000_NS6detail17trampoline_kernelINS0_14default_configENS1_27scan_by_key_config_selectorIj11FixedVectorIiLj2EEEEZZNS1_16scan_by_key_implILNS1_25lookback_scan_determinismE0ELb0ES3_N6thrust23THRUST_200600_302600_NS6detail15normal_iteratorINSB_10device_ptrIjEEEENSD_INSE_IS6_EEEESI_S6_NSB_4plusIvEENSB_8equal_toIvEES6_EE10hipError_tPvRmT2_T3_T4_T5_mT6_T7_P12ihipStream_tbENKUlT_T0_E_clISt17integral_constantIbLb1EES12_IbLb0EEEEDaSY_SZ_EUlSY_E_NS1_11comp_targetILNS1_3genE0ELNS1_11target_archE4294967295ELNS1_3gpuE0ELNS1_3repE0EEENS1_30default_config_static_selectorELNS0_4arch9wavefront6targetE0EEEvT1_
	.p2align	8
	.type	_ZN7rocprim17ROCPRIM_400000_NS6detail17trampoline_kernelINS0_14default_configENS1_27scan_by_key_config_selectorIj11FixedVectorIiLj2EEEEZZNS1_16scan_by_key_implILNS1_25lookback_scan_determinismE0ELb0ES3_N6thrust23THRUST_200600_302600_NS6detail15normal_iteratorINSB_10device_ptrIjEEEENSD_INSE_IS6_EEEESI_S6_NSB_4plusIvEENSB_8equal_toIvEES6_EE10hipError_tPvRmT2_T3_T4_T5_mT6_T7_P12ihipStream_tbENKUlT_T0_E_clISt17integral_constantIbLb1EES12_IbLb0EEEEDaSY_SZ_EUlSY_E_NS1_11comp_targetILNS1_3genE0ELNS1_11target_archE4294967295ELNS1_3gpuE0ELNS1_3repE0EEENS1_30default_config_static_selectorELNS0_4arch9wavefront6targetE0EEEvT1_,@function
_ZN7rocprim17ROCPRIM_400000_NS6detail17trampoline_kernelINS0_14default_configENS1_27scan_by_key_config_selectorIj11FixedVectorIiLj2EEEEZZNS1_16scan_by_key_implILNS1_25lookback_scan_determinismE0ELb0ES3_N6thrust23THRUST_200600_302600_NS6detail15normal_iteratorINSB_10device_ptrIjEEEENSD_INSE_IS6_EEEESI_S6_NSB_4plusIvEENSB_8equal_toIvEES6_EE10hipError_tPvRmT2_T3_T4_T5_mT6_T7_P12ihipStream_tbENKUlT_T0_E_clISt17integral_constantIbLb1EES12_IbLb0EEEEDaSY_SZ_EUlSY_E_NS1_11comp_targetILNS1_3genE0ELNS1_11target_archE4294967295ELNS1_3gpuE0ELNS1_3repE0EEENS1_30default_config_static_selectorELNS0_4arch9wavefront6targetE0EEEvT1_: ; @_ZN7rocprim17ROCPRIM_400000_NS6detail17trampoline_kernelINS0_14default_configENS1_27scan_by_key_config_selectorIj11FixedVectorIiLj2EEEEZZNS1_16scan_by_key_implILNS1_25lookback_scan_determinismE0ELb0ES3_N6thrust23THRUST_200600_302600_NS6detail15normal_iteratorINSB_10device_ptrIjEEEENSD_INSE_IS6_EEEESI_S6_NSB_4plusIvEENSB_8equal_toIvEES6_EE10hipError_tPvRmT2_T3_T4_T5_mT6_T7_P12ihipStream_tbENKUlT_T0_E_clISt17integral_constantIbLb1EES12_IbLb0EEEEDaSY_SZ_EUlSY_E_NS1_11comp_targetILNS1_3genE0ELNS1_11target_archE4294967295ELNS1_3gpuE0ELNS1_3repE0EEENS1_30default_config_static_selectorELNS0_4arch9wavefront6targetE0EEEvT1_
; %bb.0:
	s_endpgm
	.section	.rodata,"a",@progbits
	.p2align	6, 0x0
	.amdhsa_kernel _ZN7rocprim17ROCPRIM_400000_NS6detail17trampoline_kernelINS0_14default_configENS1_27scan_by_key_config_selectorIj11FixedVectorIiLj2EEEEZZNS1_16scan_by_key_implILNS1_25lookback_scan_determinismE0ELb0ES3_N6thrust23THRUST_200600_302600_NS6detail15normal_iteratorINSB_10device_ptrIjEEEENSD_INSE_IS6_EEEESI_S6_NSB_4plusIvEENSB_8equal_toIvEES6_EE10hipError_tPvRmT2_T3_T4_T5_mT6_T7_P12ihipStream_tbENKUlT_T0_E_clISt17integral_constantIbLb1EES12_IbLb0EEEEDaSY_SZ_EUlSY_E_NS1_11comp_targetILNS1_3genE0ELNS1_11target_archE4294967295ELNS1_3gpuE0ELNS1_3repE0EEENS1_30default_config_static_selectorELNS0_4arch9wavefront6targetE0EEEvT1_
		.amdhsa_group_segment_fixed_size 0
		.amdhsa_private_segment_fixed_size 0
		.amdhsa_kernarg_size 120
		.amdhsa_user_sgpr_count 2
		.amdhsa_user_sgpr_dispatch_ptr 0
		.amdhsa_user_sgpr_queue_ptr 0
		.amdhsa_user_sgpr_kernarg_segment_ptr 1
		.amdhsa_user_sgpr_dispatch_id 0
		.amdhsa_user_sgpr_kernarg_preload_length 0
		.amdhsa_user_sgpr_kernarg_preload_offset 0
		.amdhsa_user_sgpr_private_segment_size 0
		.amdhsa_wavefront_size32 1
		.amdhsa_uses_dynamic_stack 0
		.amdhsa_enable_private_segment 0
		.amdhsa_system_sgpr_workgroup_id_x 1
		.amdhsa_system_sgpr_workgroup_id_y 0
		.amdhsa_system_sgpr_workgroup_id_z 0
		.amdhsa_system_sgpr_workgroup_info 0
		.amdhsa_system_vgpr_workitem_id 0
		.amdhsa_next_free_vgpr 1
		.amdhsa_next_free_sgpr 1
		.amdhsa_named_barrier_count 0
		.amdhsa_reserve_vcc 0
		.amdhsa_float_round_mode_32 0
		.amdhsa_float_round_mode_16_64 0
		.amdhsa_float_denorm_mode_32 3
		.amdhsa_float_denorm_mode_16_64 3
		.amdhsa_fp16_overflow 0
		.amdhsa_memory_ordered 1
		.amdhsa_forward_progress 1
		.amdhsa_inst_pref_size 1
		.amdhsa_round_robin_scheduling 0
		.amdhsa_exception_fp_ieee_invalid_op 0
		.amdhsa_exception_fp_denorm_src 0
		.amdhsa_exception_fp_ieee_div_zero 0
		.amdhsa_exception_fp_ieee_overflow 0
		.amdhsa_exception_fp_ieee_underflow 0
		.amdhsa_exception_fp_ieee_inexact 0
		.amdhsa_exception_int_div_zero 0
	.end_amdhsa_kernel
	.section	.text._ZN7rocprim17ROCPRIM_400000_NS6detail17trampoline_kernelINS0_14default_configENS1_27scan_by_key_config_selectorIj11FixedVectorIiLj2EEEEZZNS1_16scan_by_key_implILNS1_25lookback_scan_determinismE0ELb0ES3_N6thrust23THRUST_200600_302600_NS6detail15normal_iteratorINSB_10device_ptrIjEEEENSD_INSE_IS6_EEEESI_S6_NSB_4plusIvEENSB_8equal_toIvEES6_EE10hipError_tPvRmT2_T3_T4_T5_mT6_T7_P12ihipStream_tbENKUlT_T0_E_clISt17integral_constantIbLb1EES12_IbLb0EEEEDaSY_SZ_EUlSY_E_NS1_11comp_targetILNS1_3genE0ELNS1_11target_archE4294967295ELNS1_3gpuE0ELNS1_3repE0EEENS1_30default_config_static_selectorELNS0_4arch9wavefront6targetE0EEEvT1_,"axG",@progbits,_ZN7rocprim17ROCPRIM_400000_NS6detail17trampoline_kernelINS0_14default_configENS1_27scan_by_key_config_selectorIj11FixedVectorIiLj2EEEEZZNS1_16scan_by_key_implILNS1_25lookback_scan_determinismE0ELb0ES3_N6thrust23THRUST_200600_302600_NS6detail15normal_iteratorINSB_10device_ptrIjEEEENSD_INSE_IS6_EEEESI_S6_NSB_4plusIvEENSB_8equal_toIvEES6_EE10hipError_tPvRmT2_T3_T4_T5_mT6_T7_P12ihipStream_tbENKUlT_T0_E_clISt17integral_constantIbLb1EES12_IbLb0EEEEDaSY_SZ_EUlSY_E_NS1_11comp_targetILNS1_3genE0ELNS1_11target_archE4294967295ELNS1_3gpuE0ELNS1_3repE0EEENS1_30default_config_static_selectorELNS0_4arch9wavefront6targetE0EEEvT1_,comdat
.Lfunc_end1973:
	.size	_ZN7rocprim17ROCPRIM_400000_NS6detail17trampoline_kernelINS0_14default_configENS1_27scan_by_key_config_selectorIj11FixedVectorIiLj2EEEEZZNS1_16scan_by_key_implILNS1_25lookback_scan_determinismE0ELb0ES3_N6thrust23THRUST_200600_302600_NS6detail15normal_iteratorINSB_10device_ptrIjEEEENSD_INSE_IS6_EEEESI_S6_NSB_4plusIvEENSB_8equal_toIvEES6_EE10hipError_tPvRmT2_T3_T4_T5_mT6_T7_P12ihipStream_tbENKUlT_T0_E_clISt17integral_constantIbLb1EES12_IbLb0EEEEDaSY_SZ_EUlSY_E_NS1_11comp_targetILNS1_3genE0ELNS1_11target_archE4294967295ELNS1_3gpuE0ELNS1_3repE0EEENS1_30default_config_static_selectorELNS0_4arch9wavefront6targetE0EEEvT1_, .Lfunc_end1973-_ZN7rocprim17ROCPRIM_400000_NS6detail17trampoline_kernelINS0_14default_configENS1_27scan_by_key_config_selectorIj11FixedVectorIiLj2EEEEZZNS1_16scan_by_key_implILNS1_25lookback_scan_determinismE0ELb0ES3_N6thrust23THRUST_200600_302600_NS6detail15normal_iteratorINSB_10device_ptrIjEEEENSD_INSE_IS6_EEEESI_S6_NSB_4plusIvEENSB_8equal_toIvEES6_EE10hipError_tPvRmT2_T3_T4_T5_mT6_T7_P12ihipStream_tbENKUlT_T0_E_clISt17integral_constantIbLb1EES12_IbLb0EEEEDaSY_SZ_EUlSY_E_NS1_11comp_targetILNS1_3genE0ELNS1_11target_archE4294967295ELNS1_3gpuE0ELNS1_3repE0EEENS1_30default_config_static_selectorELNS0_4arch9wavefront6targetE0EEEvT1_
                                        ; -- End function
	.set _ZN7rocprim17ROCPRIM_400000_NS6detail17trampoline_kernelINS0_14default_configENS1_27scan_by_key_config_selectorIj11FixedVectorIiLj2EEEEZZNS1_16scan_by_key_implILNS1_25lookback_scan_determinismE0ELb0ES3_N6thrust23THRUST_200600_302600_NS6detail15normal_iteratorINSB_10device_ptrIjEEEENSD_INSE_IS6_EEEESI_S6_NSB_4plusIvEENSB_8equal_toIvEES6_EE10hipError_tPvRmT2_T3_T4_T5_mT6_T7_P12ihipStream_tbENKUlT_T0_E_clISt17integral_constantIbLb1EES12_IbLb0EEEEDaSY_SZ_EUlSY_E_NS1_11comp_targetILNS1_3genE0ELNS1_11target_archE4294967295ELNS1_3gpuE0ELNS1_3repE0EEENS1_30default_config_static_selectorELNS0_4arch9wavefront6targetE0EEEvT1_.num_vgpr, 0
	.set _ZN7rocprim17ROCPRIM_400000_NS6detail17trampoline_kernelINS0_14default_configENS1_27scan_by_key_config_selectorIj11FixedVectorIiLj2EEEEZZNS1_16scan_by_key_implILNS1_25lookback_scan_determinismE0ELb0ES3_N6thrust23THRUST_200600_302600_NS6detail15normal_iteratorINSB_10device_ptrIjEEEENSD_INSE_IS6_EEEESI_S6_NSB_4plusIvEENSB_8equal_toIvEES6_EE10hipError_tPvRmT2_T3_T4_T5_mT6_T7_P12ihipStream_tbENKUlT_T0_E_clISt17integral_constantIbLb1EES12_IbLb0EEEEDaSY_SZ_EUlSY_E_NS1_11comp_targetILNS1_3genE0ELNS1_11target_archE4294967295ELNS1_3gpuE0ELNS1_3repE0EEENS1_30default_config_static_selectorELNS0_4arch9wavefront6targetE0EEEvT1_.num_agpr, 0
	.set _ZN7rocprim17ROCPRIM_400000_NS6detail17trampoline_kernelINS0_14default_configENS1_27scan_by_key_config_selectorIj11FixedVectorIiLj2EEEEZZNS1_16scan_by_key_implILNS1_25lookback_scan_determinismE0ELb0ES3_N6thrust23THRUST_200600_302600_NS6detail15normal_iteratorINSB_10device_ptrIjEEEENSD_INSE_IS6_EEEESI_S6_NSB_4plusIvEENSB_8equal_toIvEES6_EE10hipError_tPvRmT2_T3_T4_T5_mT6_T7_P12ihipStream_tbENKUlT_T0_E_clISt17integral_constantIbLb1EES12_IbLb0EEEEDaSY_SZ_EUlSY_E_NS1_11comp_targetILNS1_3genE0ELNS1_11target_archE4294967295ELNS1_3gpuE0ELNS1_3repE0EEENS1_30default_config_static_selectorELNS0_4arch9wavefront6targetE0EEEvT1_.numbered_sgpr, 0
	.set _ZN7rocprim17ROCPRIM_400000_NS6detail17trampoline_kernelINS0_14default_configENS1_27scan_by_key_config_selectorIj11FixedVectorIiLj2EEEEZZNS1_16scan_by_key_implILNS1_25lookback_scan_determinismE0ELb0ES3_N6thrust23THRUST_200600_302600_NS6detail15normal_iteratorINSB_10device_ptrIjEEEENSD_INSE_IS6_EEEESI_S6_NSB_4plusIvEENSB_8equal_toIvEES6_EE10hipError_tPvRmT2_T3_T4_T5_mT6_T7_P12ihipStream_tbENKUlT_T0_E_clISt17integral_constantIbLb1EES12_IbLb0EEEEDaSY_SZ_EUlSY_E_NS1_11comp_targetILNS1_3genE0ELNS1_11target_archE4294967295ELNS1_3gpuE0ELNS1_3repE0EEENS1_30default_config_static_selectorELNS0_4arch9wavefront6targetE0EEEvT1_.num_named_barrier, 0
	.set _ZN7rocprim17ROCPRIM_400000_NS6detail17trampoline_kernelINS0_14default_configENS1_27scan_by_key_config_selectorIj11FixedVectorIiLj2EEEEZZNS1_16scan_by_key_implILNS1_25lookback_scan_determinismE0ELb0ES3_N6thrust23THRUST_200600_302600_NS6detail15normal_iteratorINSB_10device_ptrIjEEEENSD_INSE_IS6_EEEESI_S6_NSB_4plusIvEENSB_8equal_toIvEES6_EE10hipError_tPvRmT2_T3_T4_T5_mT6_T7_P12ihipStream_tbENKUlT_T0_E_clISt17integral_constantIbLb1EES12_IbLb0EEEEDaSY_SZ_EUlSY_E_NS1_11comp_targetILNS1_3genE0ELNS1_11target_archE4294967295ELNS1_3gpuE0ELNS1_3repE0EEENS1_30default_config_static_selectorELNS0_4arch9wavefront6targetE0EEEvT1_.private_seg_size, 0
	.set _ZN7rocprim17ROCPRIM_400000_NS6detail17trampoline_kernelINS0_14default_configENS1_27scan_by_key_config_selectorIj11FixedVectorIiLj2EEEEZZNS1_16scan_by_key_implILNS1_25lookback_scan_determinismE0ELb0ES3_N6thrust23THRUST_200600_302600_NS6detail15normal_iteratorINSB_10device_ptrIjEEEENSD_INSE_IS6_EEEESI_S6_NSB_4plusIvEENSB_8equal_toIvEES6_EE10hipError_tPvRmT2_T3_T4_T5_mT6_T7_P12ihipStream_tbENKUlT_T0_E_clISt17integral_constantIbLb1EES12_IbLb0EEEEDaSY_SZ_EUlSY_E_NS1_11comp_targetILNS1_3genE0ELNS1_11target_archE4294967295ELNS1_3gpuE0ELNS1_3repE0EEENS1_30default_config_static_selectorELNS0_4arch9wavefront6targetE0EEEvT1_.uses_vcc, 0
	.set _ZN7rocprim17ROCPRIM_400000_NS6detail17trampoline_kernelINS0_14default_configENS1_27scan_by_key_config_selectorIj11FixedVectorIiLj2EEEEZZNS1_16scan_by_key_implILNS1_25lookback_scan_determinismE0ELb0ES3_N6thrust23THRUST_200600_302600_NS6detail15normal_iteratorINSB_10device_ptrIjEEEENSD_INSE_IS6_EEEESI_S6_NSB_4plusIvEENSB_8equal_toIvEES6_EE10hipError_tPvRmT2_T3_T4_T5_mT6_T7_P12ihipStream_tbENKUlT_T0_E_clISt17integral_constantIbLb1EES12_IbLb0EEEEDaSY_SZ_EUlSY_E_NS1_11comp_targetILNS1_3genE0ELNS1_11target_archE4294967295ELNS1_3gpuE0ELNS1_3repE0EEENS1_30default_config_static_selectorELNS0_4arch9wavefront6targetE0EEEvT1_.uses_flat_scratch, 0
	.set _ZN7rocprim17ROCPRIM_400000_NS6detail17trampoline_kernelINS0_14default_configENS1_27scan_by_key_config_selectorIj11FixedVectorIiLj2EEEEZZNS1_16scan_by_key_implILNS1_25lookback_scan_determinismE0ELb0ES3_N6thrust23THRUST_200600_302600_NS6detail15normal_iteratorINSB_10device_ptrIjEEEENSD_INSE_IS6_EEEESI_S6_NSB_4plusIvEENSB_8equal_toIvEES6_EE10hipError_tPvRmT2_T3_T4_T5_mT6_T7_P12ihipStream_tbENKUlT_T0_E_clISt17integral_constantIbLb1EES12_IbLb0EEEEDaSY_SZ_EUlSY_E_NS1_11comp_targetILNS1_3genE0ELNS1_11target_archE4294967295ELNS1_3gpuE0ELNS1_3repE0EEENS1_30default_config_static_selectorELNS0_4arch9wavefront6targetE0EEEvT1_.has_dyn_sized_stack, 0
	.set _ZN7rocprim17ROCPRIM_400000_NS6detail17trampoline_kernelINS0_14default_configENS1_27scan_by_key_config_selectorIj11FixedVectorIiLj2EEEEZZNS1_16scan_by_key_implILNS1_25lookback_scan_determinismE0ELb0ES3_N6thrust23THRUST_200600_302600_NS6detail15normal_iteratorINSB_10device_ptrIjEEEENSD_INSE_IS6_EEEESI_S6_NSB_4plusIvEENSB_8equal_toIvEES6_EE10hipError_tPvRmT2_T3_T4_T5_mT6_T7_P12ihipStream_tbENKUlT_T0_E_clISt17integral_constantIbLb1EES12_IbLb0EEEEDaSY_SZ_EUlSY_E_NS1_11comp_targetILNS1_3genE0ELNS1_11target_archE4294967295ELNS1_3gpuE0ELNS1_3repE0EEENS1_30default_config_static_selectorELNS0_4arch9wavefront6targetE0EEEvT1_.has_recursion, 0
	.set _ZN7rocprim17ROCPRIM_400000_NS6detail17trampoline_kernelINS0_14default_configENS1_27scan_by_key_config_selectorIj11FixedVectorIiLj2EEEEZZNS1_16scan_by_key_implILNS1_25lookback_scan_determinismE0ELb0ES3_N6thrust23THRUST_200600_302600_NS6detail15normal_iteratorINSB_10device_ptrIjEEEENSD_INSE_IS6_EEEESI_S6_NSB_4plusIvEENSB_8equal_toIvEES6_EE10hipError_tPvRmT2_T3_T4_T5_mT6_T7_P12ihipStream_tbENKUlT_T0_E_clISt17integral_constantIbLb1EES12_IbLb0EEEEDaSY_SZ_EUlSY_E_NS1_11comp_targetILNS1_3genE0ELNS1_11target_archE4294967295ELNS1_3gpuE0ELNS1_3repE0EEENS1_30default_config_static_selectorELNS0_4arch9wavefront6targetE0EEEvT1_.has_indirect_call, 0
	.section	.AMDGPU.csdata,"",@progbits
; Kernel info:
; codeLenInByte = 4
; TotalNumSgprs: 0
; NumVgprs: 0
; ScratchSize: 0
; MemoryBound: 0
; FloatMode: 240
; IeeeMode: 1
; LDSByteSize: 0 bytes/workgroup (compile time only)
; SGPRBlocks: 0
; VGPRBlocks: 0
; NumSGPRsForWavesPerEU: 1
; NumVGPRsForWavesPerEU: 1
; NamedBarCnt: 0
; Occupancy: 16
; WaveLimiterHint : 0
; COMPUTE_PGM_RSRC2:SCRATCH_EN: 0
; COMPUTE_PGM_RSRC2:USER_SGPR: 2
; COMPUTE_PGM_RSRC2:TRAP_HANDLER: 0
; COMPUTE_PGM_RSRC2:TGID_X_EN: 1
; COMPUTE_PGM_RSRC2:TGID_Y_EN: 0
; COMPUTE_PGM_RSRC2:TGID_Z_EN: 0
; COMPUTE_PGM_RSRC2:TIDIG_COMP_CNT: 0
	.section	.text._ZN7rocprim17ROCPRIM_400000_NS6detail17trampoline_kernelINS0_14default_configENS1_27scan_by_key_config_selectorIj11FixedVectorIiLj2EEEEZZNS1_16scan_by_key_implILNS1_25lookback_scan_determinismE0ELb0ES3_N6thrust23THRUST_200600_302600_NS6detail15normal_iteratorINSB_10device_ptrIjEEEENSD_INSE_IS6_EEEESI_S6_NSB_4plusIvEENSB_8equal_toIvEES6_EE10hipError_tPvRmT2_T3_T4_T5_mT6_T7_P12ihipStream_tbENKUlT_T0_E_clISt17integral_constantIbLb1EES12_IbLb0EEEEDaSY_SZ_EUlSY_E_NS1_11comp_targetILNS1_3genE10ELNS1_11target_archE1201ELNS1_3gpuE5ELNS1_3repE0EEENS1_30default_config_static_selectorELNS0_4arch9wavefront6targetE0EEEvT1_,"axG",@progbits,_ZN7rocprim17ROCPRIM_400000_NS6detail17trampoline_kernelINS0_14default_configENS1_27scan_by_key_config_selectorIj11FixedVectorIiLj2EEEEZZNS1_16scan_by_key_implILNS1_25lookback_scan_determinismE0ELb0ES3_N6thrust23THRUST_200600_302600_NS6detail15normal_iteratorINSB_10device_ptrIjEEEENSD_INSE_IS6_EEEESI_S6_NSB_4plusIvEENSB_8equal_toIvEES6_EE10hipError_tPvRmT2_T3_T4_T5_mT6_T7_P12ihipStream_tbENKUlT_T0_E_clISt17integral_constantIbLb1EES12_IbLb0EEEEDaSY_SZ_EUlSY_E_NS1_11comp_targetILNS1_3genE10ELNS1_11target_archE1201ELNS1_3gpuE5ELNS1_3repE0EEENS1_30default_config_static_selectorELNS0_4arch9wavefront6targetE0EEEvT1_,comdat
	.protected	_ZN7rocprim17ROCPRIM_400000_NS6detail17trampoline_kernelINS0_14default_configENS1_27scan_by_key_config_selectorIj11FixedVectorIiLj2EEEEZZNS1_16scan_by_key_implILNS1_25lookback_scan_determinismE0ELb0ES3_N6thrust23THRUST_200600_302600_NS6detail15normal_iteratorINSB_10device_ptrIjEEEENSD_INSE_IS6_EEEESI_S6_NSB_4plusIvEENSB_8equal_toIvEES6_EE10hipError_tPvRmT2_T3_T4_T5_mT6_T7_P12ihipStream_tbENKUlT_T0_E_clISt17integral_constantIbLb1EES12_IbLb0EEEEDaSY_SZ_EUlSY_E_NS1_11comp_targetILNS1_3genE10ELNS1_11target_archE1201ELNS1_3gpuE5ELNS1_3repE0EEENS1_30default_config_static_selectorELNS0_4arch9wavefront6targetE0EEEvT1_ ; -- Begin function _ZN7rocprim17ROCPRIM_400000_NS6detail17trampoline_kernelINS0_14default_configENS1_27scan_by_key_config_selectorIj11FixedVectorIiLj2EEEEZZNS1_16scan_by_key_implILNS1_25lookback_scan_determinismE0ELb0ES3_N6thrust23THRUST_200600_302600_NS6detail15normal_iteratorINSB_10device_ptrIjEEEENSD_INSE_IS6_EEEESI_S6_NSB_4plusIvEENSB_8equal_toIvEES6_EE10hipError_tPvRmT2_T3_T4_T5_mT6_T7_P12ihipStream_tbENKUlT_T0_E_clISt17integral_constantIbLb1EES12_IbLb0EEEEDaSY_SZ_EUlSY_E_NS1_11comp_targetILNS1_3genE10ELNS1_11target_archE1201ELNS1_3gpuE5ELNS1_3repE0EEENS1_30default_config_static_selectorELNS0_4arch9wavefront6targetE0EEEvT1_
	.globl	_ZN7rocprim17ROCPRIM_400000_NS6detail17trampoline_kernelINS0_14default_configENS1_27scan_by_key_config_selectorIj11FixedVectorIiLj2EEEEZZNS1_16scan_by_key_implILNS1_25lookback_scan_determinismE0ELb0ES3_N6thrust23THRUST_200600_302600_NS6detail15normal_iteratorINSB_10device_ptrIjEEEENSD_INSE_IS6_EEEESI_S6_NSB_4plusIvEENSB_8equal_toIvEES6_EE10hipError_tPvRmT2_T3_T4_T5_mT6_T7_P12ihipStream_tbENKUlT_T0_E_clISt17integral_constantIbLb1EES12_IbLb0EEEEDaSY_SZ_EUlSY_E_NS1_11comp_targetILNS1_3genE10ELNS1_11target_archE1201ELNS1_3gpuE5ELNS1_3repE0EEENS1_30default_config_static_selectorELNS0_4arch9wavefront6targetE0EEEvT1_
	.p2align	8
	.type	_ZN7rocprim17ROCPRIM_400000_NS6detail17trampoline_kernelINS0_14default_configENS1_27scan_by_key_config_selectorIj11FixedVectorIiLj2EEEEZZNS1_16scan_by_key_implILNS1_25lookback_scan_determinismE0ELb0ES3_N6thrust23THRUST_200600_302600_NS6detail15normal_iteratorINSB_10device_ptrIjEEEENSD_INSE_IS6_EEEESI_S6_NSB_4plusIvEENSB_8equal_toIvEES6_EE10hipError_tPvRmT2_T3_T4_T5_mT6_T7_P12ihipStream_tbENKUlT_T0_E_clISt17integral_constantIbLb1EES12_IbLb0EEEEDaSY_SZ_EUlSY_E_NS1_11comp_targetILNS1_3genE10ELNS1_11target_archE1201ELNS1_3gpuE5ELNS1_3repE0EEENS1_30default_config_static_selectorELNS0_4arch9wavefront6targetE0EEEvT1_,@function
_ZN7rocprim17ROCPRIM_400000_NS6detail17trampoline_kernelINS0_14default_configENS1_27scan_by_key_config_selectorIj11FixedVectorIiLj2EEEEZZNS1_16scan_by_key_implILNS1_25lookback_scan_determinismE0ELb0ES3_N6thrust23THRUST_200600_302600_NS6detail15normal_iteratorINSB_10device_ptrIjEEEENSD_INSE_IS6_EEEESI_S6_NSB_4plusIvEENSB_8equal_toIvEES6_EE10hipError_tPvRmT2_T3_T4_T5_mT6_T7_P12ihipStream_tbENKUlT_T0_E_clISt17integral_constantIbLb1EES12_IbLb0EEEEDaSY_SZ_EUlSY_E_NS1_11comp_targetILNS1_3genE10ELNS1_11target_archE1201ELNS1_3gpuE5ELNS1_3repE0EEENS1_30default_config_static_selectorELNS0_4arch9wavefront6targetE0EEEvT1_: ; @_ZN7rocprim17ROCPRIM_400000_NS6detail17trampoline_kernelINS0_14default_configENS1_27scan_by_key_config_selectorIj11FixedVectorIiLj2EEEEZZNS1_16scan_by_key_implILNS1_25lookback_scan_determinismE0ELb0ES3_N6thrust23THRUST_200600_302600_NS6detail15normal_iteratorINSB_10device_ptrIjEEEENSD_INSE_IS6_EEEESI_S6_NSB_4plusIvEENSB_8equal_toIvEES6_EE10hipError_tPvRmT2_T3_T4_T5_mT6_T7_P12ihipStream_tbENKUlT_T0_E_clISt17integral_constantIbLb1EES12_IbLb0EEEEDaSY_SZ_EUlSY_E_NS1_11comp_targetILNS1_3genE10ELNS1_11target_archE1201ELNS1_3gpuE5ELNS1_3repE0EEENS1_30default_config_static_selectorELNS0_4arch9wavefront6targetE0EEEvT1_
; %bb.0:
	.section	.rodata,"a",@progbits
	.p2align	6, 0x0
	.amdhsa_kernel _ZN7rocprim17ROCPRIM_400000_NS6detail17trampoline_kernelINS0_14default_configENS1_27scan_by_key_config_selectorIj11FixedVectorIiLj2EEEEZZNS1_16scan_by_key_implILNS1_25lookback_scan_determinismE0ELb0ES3_N6thrust23THRUST_200600_302600_NS6detail15normal_iteratorINSB_10device_ptrIjEEEENSD_INSE_IS6_EEEESI_S6_NSB_4plusIvEENSB_8equal_toIvEES6_EE10hipError_tPvRmT2_T3_T4_T5_mT6_T7_P12ihipStream_tbENKUlT_T0_E_clISt17integral_constantIbLb1EES12_IbLb0EEEEDaSY_SZ_EUlSY_E_NS1_11comp_targetILNS1_3genE10ELNS1_11target_archE1201ELNS1_3gpuE5ELNS1_3repE0EEENS1_30default_config_static_selectorELNS0_4arch9wavefront6targetE0EEEvT1_
		.amdhsa_group_segment_fixed_size 0
		.amdhsa_private_segment_fixed_size 0
		.amdhsa_kernarg_size 120
		.amdhsa_user_sgpr_count 2
		.amdhsa_user_sgpr_dispatch_ptr 0
		.amdhsa_user_sgpr_queue_ptr 0
		.amdhsa_user_sgpr_kernarg_segment_ptr 1
		.amdhsa_user_sgpr_dispatch_id 0
		.amdhsa_user_sgpr_kernarg_preload_length 0
		.amdhsa_user_sgpr_kernarg_preload_offset 0
		.amdhsa_user_sgpr_private_segment_size 0
		.amdhsa_wavefront_size32 1
		.amdhsa_uses_dynamic_stack 0
		.amdhsa_enable_private_segment 0
		.amdhsa_system_sgpr_workgroup_id_x 1
		.amdhsa_system_sgpr_workgroup_id_y 0
		.amdhsa_system_sgpr_workgroup_id_z 0
		.amdhsa_system_sgpr_workgroup_info 0
		.amdhsa_system_vgpr_workitem_id 0
		.amdhsa_next_free_vgpr 1
		.amdhsa_next_free_sgpr 1
		.amdhsa_named_barrier_count 0
		.amdhsa_reserve_vcc 0
		.amdhsa_float_round_mode_32 0
		.amdhsa_float_round_mode_16_64 0
		.amdhsa_float_denorm_mode_32 3
		.amdhsa_float_denorm_mode_16_64 3
		.amdhsa_fp16_overflow 0
		.amdhsa_memory_ordered 1
		.amdhsa_forward_progress 1
		.amdhsa_inst_pref_size 0
		.amdhsa_round_robin_scheduling 0
		.amdhsa_exception_fp_ieee_invalid_op 0
		.amdhsa_exception_fp_denorm_src 0
		.amdhsa_exception_fp_ieee_div_zero 0
		.amdhsa_exception_fp_ieee_overflow 0
		.amdhsa_exception_fp_ieee_underflow 0
		.amdhsa_exception_fp_ieee_inexact 0
		.amdhsa_exception_int_div_zero 0
	.end_amdhsa_kernel
	.section	.text._ZN7rocprim17ROCPRIM_400000_NS6detail17trampoline_kernelINS0_14default_configENS1_27scan_by_key_config_selectorIj11FixedVectorIiLj2EEEEZZNS1_16scan_by_key_implILNS1_25lookback_scan_determinismE0ELb0ES3_N6thrust23THRUST_200600_302600_NS6detail15normal_iteratorINSB_10device_ptrIjEEEENSD_INSE_IS6_EEEESI_S6_NSB_4plusIvEENSB_8equal_toIvEES6_EE10hipError_tPvRmT2_T3_T4_T5_mT6_T7_P12ihipStream_tbENKUlT_T0_E_clISt17integral_constantIbLb1EES12_IbLb0EEEEDaSY_SZ_EUlSY_E_NS1_11comp_targetILNS1_3genE10ELNS1_11target_archE1201ELNS1_3gpuE5ELNS1_3repE0EEENS1_30default_config_static_selectorELNS0_4arch9wavefront6targetE0EEEvT1_,"axG",@progbits,_ZN7rocprim17ROCPRIM_400000_NS6detail17trampoline_kernelINS0_14default_configENS1_27scan_by_key_config_selectorIj11FixedVectorIiLj2EEEEZZNS1_16scan_by_key_implILNS1_25lookback_scan_determinismE0ELb0ES3_N6thrust23THRUST_200600_302600_NS6detail15normal_iteratorINSB_10device_ptrIjEEEENSD_INSE_IS6_EEEESI_S6_NSB_4plusIvEENSB_8equal_toIvEES6_EE10hipError_tPvRmT2_T3_T4_T5_mT6_T7_P12ihipStream_tbENKUlT_T0_E_clISt17integral_constantIbLb1EES12_IbLb0EEEEDaSY_SZ_EUlSY_E_NS1_11comp_targetILNS1_3genE10ELNS1_11target_archE1201ELNS1_3gpuE5ELNS1_3repE0EEENS1_30default_config_static_selectorELNS0_4arch9wavefront6targetE0EEEvT1_,comdat
.Lfunc_end1974:
	.size	_ZN7rocprim17ROCPRIM_400000_NS6detail17trampoline_kernelINS0_14default_configENS1_27scan_by_key_config_selectorIj11FixedVectorIiLj2EEEEZZNS1_16scan_by_key_implILNS1_25lookback_scan_determinismE0ELb0ES3_N6thrust23THRUST_200600_302600_NS6detail15normal_iteratorINSB_10device_ptrIjEEEENSD_INSE_IS6_EEEESI_S6_NSB_4plusIvEENSB_8equal_toIvEES6_EE10hipError_tPvRmT2_T3_T4_T5_mT6_T7_P12ihipStream_tbENKUlT_T0_E_clISt17integral_constantIbLb1EES12_IbLb0EEEEDaSY_SZ_EUlSY_E_NS1_11comp_targetILNS1_3genE10ELNS1_11target_archE1201ELNS1_3gpuE5ELNS1_3repE0EEENS1_30default_config_static_selectorELNS0_4arch9wavefront6targetE0EEEvT1_, .Lfunc_end1974-_ZN7rocprim17ROCPRIM_400000_NS6detail17trampoline_kernelINS0_14default_configENS1_27scan_by_key_config_selectorIj11FixedVectorIiLj2EEEEZZNS1_16scan_by_key_implILNS1_25lookback_scan_determinismE0ELb0ES3_N6thrust23THRUST_200600_302600_NS6detail15normal_iteratorINSB_10device_ptrIjEEEENSD_INSE_IS6_EEEESI_S6_NSB_4plusIvEENSB_8equal_toIvEES6_EE10hipError_tPvRmT2_T3_T4_T5_mT6_T7_P12ihipStream_tbENKUlT_T0_E_clISt17integral_constantIbLb1EES12_IbLb0EEEEDaSY_SZ_EUlSY_E_NS1_11comp_targetILNS1_3genE10ELNS1_11target_archE1201ELNS1_3gpuE5ELNS1_3repE0EEENS1_30default_config_static_selectorELNS0_4arch9wavefront6targetE0EEEvT1_
                                        ; -- End function
	.set _ZN7rocprim17ROCPRIM_400000_NS6detail17trampoline_kernelINS0_14default_configENS1_27scan_by_key_config_selectorIj11FixedVectorIiLj2EEEEZZNS1_16scan_by_key_implILNS1_25lookback_scan_determinismE0ELb0ES3_N6thrust23THRUST_200600_302600_NS6detail15normal_iteratorINSB_10device_ptrIjEEEENSD_INSE_IS6_EEEESI_S6_NSB_4plusIvEENSB_8equal_toIvEES6_EE10hipError_tPvRmT2_T3_T4_T5_mT6_T7_P12ihipStream_tbENKUlT_T0_E_clISt17integral_constantIbLb1EES12_IbLb0EEEEDaSY_SZ_EUlSY_E_NS1_11comp_targetILNS1_3genE10ELNS1_11target_archE1201ELNS1_3gpuE5ELNS1_3repE0EEENS1_30default_config_static_selectorELNS0_4arch9wavefront6targetE0EEEvT1_.num_vgpr, 0
	.set _ZN7rocprim17ROCPRIM_400000_NS6detail17trampoline_kernelINS0_14default_configENS1_27scan_by_key_config_selectorIj11FixedVectorIiLj2EEEEZZNS1_16scan_by_key_implILNS1_25lookback_scan_determinismE0ELb0ES3_N6thrust23THRUST_200600_302600_NS6detail15normal_iteratorINSB_10device_ptrIjEEEENSD_INSE_IS6_EEEESI_S6_NSB_4plusIvEENSB_8equal_toIvEES6_EE10hipError_tPvRmT2_T3_T4_T5_mT6_T7_P12ihipStream_tbENKUlT_T0_E_clISt17integral_constantIbLb1EES12_IbLb0EEEEDaSY_SZ_EUlSY_E_NS1_11comp_targetILNS1_3genE10ELNS1_11target_archE1201ELNS1_3gpuE5ELNS1_3repE0EEENS1_30default_config_static_selectorELNS0_4arch9wavefront6targetE0EEEvT1_.num_agpr, 0
	.set _ZN7rocprim17ROCPRIM_400000_NS6detail17trampoline_kernelINS0_14default_configENS1_27scan_by_key_config_selectorIj11FixedVectorIiLj2EEEEZZNS1_16scan_by_key_implILNS1_25lookback_scan_determinismE0ELb0ES3_N6thrust23THRUST_200600_302600_NS6detail15normal_iteratorINSB_10device_ptrIjEEEENSD_INSE_IS6_EEEESI_S6_NSB_4plusIvEENSB_8equal_toIvEES6_EE10hipError_tPvRmT2_T3_T4_T5_mT6_T7_P12ihipStream_tbENKUlT_T0_E_clISt17integral_constantIbLb1EES12_IbLb0EEEEDaSY_SZ_EUlSY_E_NS1_11comp_targetILNS1_3genE10ELNS1_11target_archE1201ELNS1_3gpuE5ELNS1_3repE0EEENS1_30default_config_static_selectorELNS0_4arch9wavefront6targetE0EEEvT1_.numbered_sgpr, 0
	.set _ZN7rocprim17ROCPRIM_400000_NS6detail17trampoline_kernelINS0_14default_configENS1_27scan_by_key_config_selectorIj11FixedVectorIiLj2EEEEZZNS1_16scan_by_key_implILNS1_25lookback_scan_determinismE0ELb0ES3_N6thrust23THRUST_200600_302600_NS6detail15normal_iteratorINSB_10device_ptrIjEEEENSD_INSE_IS6_EEEESI_S6_NSB_4plusIvEENSB_8equal_toIvEES6_EE10hipError_tPvRmT2_T3_T4_T5_mT6_T7_P12ihipStream_tbENKUlT_T0_E_clISt17integral_constantIbLb1EES12_IbLb0EEEEDaSY_SZ_EUlSY_E_NS1_11comp_targetILNS1_3genE10ELNS1_11target_archE1201ELNS1_3gpuE5ELNS1_3repE0EEENS1_30default_config_static_selectorELNS0_4arch9wavefront6targetE0EEEvT1_.num_named_barrier, 0
	.set _ZN7rocprim17ROCPRIM_400000_NS6detail17trampoline_kernelINS0_14default_configENS1_27scan_by_key_config_selectorIj11FixedVectorIiLj2EEEEZZNS1_16scan_by_key_implILNS1_25lookback_scan_determinismE0ELb0ES3_N6thrust23THRUST_200600_302600_NS6detail15normal_iteratorINSB_10device_ptrIjEEEENSD_INSE_IS6_EEEESI_S6_NSB_4plusIvEENSB_8equal_toIvEES6_EE10hipError_tPvRmT2_T3_T4_T5_mT6_T7_P12ihipStream_tbENKUlT_T0_E_clISt17integral_constantIbLb1EES12_IbLb0EEEEDaSY_SZ_EUlSY_E_NS1_11comp_targetILNS1_3genE10ELNS1_11target_archE1201ELNS1_3gpuE5ELNS1_3repE0EEENS1_30default_config_static_selectorELNS0_4arch9wavefront6targetE0EEEvT1_.private_seg_size, 0
	.set _ZN7rocprim17ROCPRIM_400000_NS6detail17trampoline_kernelINS0_14default_configENS1_27scan_by_key_config_selectorIj11FixedVectorIiLj2EEEEZZNS1_16scan_by_key_implILNS1_25lookback_scan_determinismE0ELb0ES3_N6thrust23THRUST_200600_302600_NS6detail15normal_iteratorINSB_10device_ptrIjEEEENSD_INSE_IS6_EEEESI_S6_NSB_4plusIvEENSB_8equal_toIvEES6_EE10hipError_tPvRmT2_T3_T4_T5_mT6_T7_P12ihipStream_tbENKUlT_T0_E_clISt17integral_constantIbLb1EES12_IbLb0EEEEDaSY_SZ_EUlSY_E_NS1_11comp_targetILNS1_3genE10ELNS1_11target_archE1201ELNS1_3gpuE5ELNS1_3repE0EEENS1_30default_config_static_selectorELNS0_4arch9wavefront6targetE0EEEvT1_.uses_vcc, 0
	.set _ZN7rocprim17ROCPRIM_400000_NS6detail17trampoline_kernelINS0_14default_configENS1_27scan_by_key_config_selectorIj11FixedVectorIiLj2EEEEZZNS1_16scan_by_key_implILNS1_25lookback_scan_determinismE0ELb0ES3_N6thrust23THRUST_200600_302600_NS6detail15normal_iteratorINSB_10device_ptrIjEEEENSD_INSE_IS6_EEEESI_S6_NSB_4plusIvEENSB_8equal_toIvEES6_EE10hipError_tPvRmT2_T3_T4_T5_mT6_T7_P12ihipStream_tbENKUlT_T0_E_clISt17integral_constantIbLb1EES12_IbLb0EEEEDaSY_SZ_EUlSY_E_NS1_11comp_targetILNS1_3genE10ELNS1_11target_archE1201ELNS1_3gpuE5ELNS1_3repE0EEENS1_30default_config_static_selectorELNS0_4arch9wavefront6targetE0EEEvT1_.uses_flat_scratch, 0
	.set _ZN7rocprim17ROCPRIM_400000_NS6detail17trampoline_kernelINS0_14default_configENS1_27scan_by_key_config_selectorIj11FixedVectorIiLj2EEEEZZNS1_16scan_by_key_implILNS1_25lookback_scan_determinismE0ELb0ES3_N6thrust23THRUST_200600_302600_NS6detail15normal_iteratorINSB_10device_ptrIjEEEENSD_INSE_IS6_EEEESI_S6_NSB_4plusIvEENSB_8equal_toIvEES6_EE10hipError_tPvRmT2_T3_T4_T5_mT6_T7_P12ihipStream_tbENKUlT_T0_E_clISt17integral_constantIbLb1EES12_IbLb0EEEEDaSY_SZ_EUlSY_E_NS1_11comp_targetILNS1_3genE10ELNS1_11target_archE1201ELNS1_3gpuE5ELNS1_3repE0EEENS1_30default_config_static_selectorELNS0_4arch9wavefront6targetE0EEEvT1_.has_dyn_sized_stack, 0
	.set _ZN7rocprim17ROCPRIM_400000_NS6detail17trampoline_kernelINS0_14default_configENS1_27scan_by_key_config_selectorIj11FixedVectorIiLj2EEEEZZNS1_16scan_by_key_implILNS1_25lookback_scan_determinismE0ELb0ES3_N6thrust23THRUST_200600_302600_NS6detail15normal_iteratorINSB_10device_ptrIjEEEENSD_INSE_IS6_EEEESI_S6_NSB_4plusIvEENSB_8equal_toIvEES6_EE10hipError_tPvRmT2_T3_T4_T5_mT6_T7_P12ihipStream_tbENKUlT_T0_E_clISt17integral_constantIbLb1EES12_IbLb0EEEEDaSY_SZ_EUlSY_E_NS1_11comp_targetILNS1_3genE10ELNS1_11target_archE1201ELNS1_3gpuE5ELNS1_3repE0EEENS1_30default_config_static_selectorELNS0_4arch9wavefront6targetE0EEEvT1_.has_recursion, 0
	.set _ZN7rocprim17ROCPRIM_400000_NS6detail17trampoline_kernelINS0_14default_configENS1_27scan_by_key_config_selectorIj11FixedVectorIiLj2EEEEZZNS1_16scan_by_key_implILNS1_25lookback_scan_determinismE0ELb0ES3_N6thrust23THRUST_200600_302600_NS6detail15normal_iteratorINSB_10device_ptrIjEEEENSD_INSE_IS6_EEEESI_S6_NSB_4plusIvEENSB_8equal_toIvEES6_EE10hipError_tPvRmT2_T3_T4_T5_mT6_T7_P12ihipStream_tbENKUlT_T0_E_clISt17integral_constantIbLb1EES12_IbLb0EEEEDaSY_SZ_EUlSY_E_NS1_11comp_targetILNS1_3genE10ELNS1_11target_archE1201ELNS1_3gpuE5ELNS1_3repE0EEENS1_30default_config_static_selectorELNS0_4arch9wavefront6targetE0EEEvT1_.has_indirect_call, 0
	.section	.AMDGPU.csdata,"",@progbits
; Kernel info:
; codeLenInByte = 0
; TotalNumSgprs: 0
; NumVgprs: 0
; ScratchSize: 0
; MemoryBound: 0
; FloatMode: 240
; IeeeMode: 1
; LDSByteSize: 0 bytes/workgroup (compile time only)
; SGPRBlocks: 0
; VGPRBlocks: 0
; NumSGPRsForWavesPerEU: 1
; NumVGPRsForWavesPerEU: 1
; NamedBarCnt: 0
; Occupancy: 16
; WaveLimiterHint : 0
; COMPUTE_PGM_RSRC2:SCRATCH_EN: 0
; COMPUTE_PGM_RSRC2:USER_SGPR: 2
; COMPUTE_PGM_RSRC2:TRAP_HANDLER: 0
; COMPUTE_PGM_RSRC2:TGID_X_EN: 1
; COMPUTE_PGM_RSRC2:TGID_Y_EN: 0
; COMPUTE_PGM_RSRC2:TGID_Z_EN: 0
; COMPUTE_PGM_RSRC2:TIDIG_COMP_CNT: 0
	.section	.text._ZN7rocprim17ROCPRIM_400000_NS6detail17trampoline_kernelINS0_14default_configENS1_27scan_by_key_config_selectorIj11FixedVectorIiLj2EEEEZZNS1_16scan_by_key_implILNS1_25lookback_scan_determinismE0ELb0ES3_N6thrust23THRUST_200600_302600_NS6detail15normal_iteratorINSB_10device_ptrIjEEEENSD_INSE_IS6_EEEESI_S6_NSB_4plusIvEENSB_8equal_toIvEES6_EE10hipError_tPvRmT2_T3_T4_T5_mT6_T7_P12ihipStream_tbENKUlT_T0_E_clISt17integral_constantIbLb1EES12_IbLb0EEEEDaSY_SZ_EUlSY_E_NS1_11comp_targetILNS1_3genE5ELNS1_11target_archE942ELNS1_3gpuE9ELNS1_3repE0EEENS1_30default_config_static_selectorELNS0_4arch9wavefront6targetE0EEEvT1_,"axG",@progbits,_ZN7rocprim17ROCPRIM_400000_NS6detail17trampoline_kernelINS0_14default_configENS1_27scan_by_key_config_selectorIj11FixedVectorIiLj2EEEEZZNS1_16scan_by_key_implILNS1_25lookback_scan_determinismE0ELb0ES3_N6thrust23THRUST_200600_302600_NS6detail15normal_iteratorINSB_10device_ptrIjEEEENSD_INSE_IS6_EEEESI_S6_NSB_4plusIvEENSB_8equal_toIvEES6_EE10hipError_tPvRmT2_T3_T4_T5_mT6_T7_P12ihipStream_tbENKUlT_T0_E_clISt17integral_constantIbLb1EES12_IbLb0EEEEDaSY_SZ_EUlSY_E_NS1_11comp_targetILNS1_3genE5ELNS1_11target_archE942ELNS1_3gpuE9ELNS1_3repE0EEENS1_30default_config_static_selectorELNS0_4arch9wavefront6targetE0EEEvT1_,comdat
	.protected	_ZN7rocprim17ROCPRIM_400000_NS6detail17trampoline_kernelINS0_14default_configENS1_27scan_by_key_config_selectorIj11FixedVectorIiLj2EEEEZZNS1_16scan_by_key_implILNS1_25lookback_scan_determinismE0ELb0ES3_N6thrust23THRUST_200600_302600_NS6detail15normal_iteratorINSB_10device_ptrIjEEEENSD_INSE_IS6_EEEESI_S6_NSB_4plusIvEENSB_8equal_toIvEES6_EE10hipError_tPvRmT2_T3_T4_T5_mT6_T7_P12ihipStream_tbENKUlT_T0_E_clISt17integral_constantIbLb1EES12_IbLb0EEEEDaSY_SZ_EUlSY_E_NS1_11comp_targetILNS1_3genE5ELNS1_11target_archE942ELNS1_3gpuE9ELNS1_3repE0EEENS1_30default_config_static_selectorELNS0_4arch9wavefront6targetE0EEEvT1_ ; -- Begin function _ZN7rocprim17ROCPRIM_400000_NS6detail17trampoline_kernelINS0_14default_configENS1_27scan_by_key_config_selectorIj11FixedVectorIiLj2EEEEZZNS1_16scan_by_key_implILNS1_25lookback_scan_determinismE0ELb0ES3_N6thrust23THRUST_200600_302600_NS6detail15normal_iteratorINSB_10device_ptrIjEEEENSD_INSE_IS6_EEEESI_S6_NSB_4plusIvEENSB_8equal_toIvEES6_EE10hipError_tPvRmT2_T3_T4_T5_mT6_T7_P12ihipStream_tbENKUlT_T0_E_clISt17integral_constantIbLb1EES12_IbLb0EEEEDaSY_SZ_EUlSY_E_NS1_11comp_targetILNS1_3genE5ELNS1_11target_archE942ELNS1_3gpuE9ELNS1_3repE0EEENS1_30default_config_static_selectorELNS0_4arch9wavefront6targetE0EEEvT1_
	.globl	_ZN7rocprim17ROCPRIM_400000_NS6detail17trampoline_kernelINS0_14default_configENS1_27scan_by_key_config_selectorIj11FixedVectorIiLj2EEEEZZNS1_16scan_by_key_implILNS1_25lookback_scan_determinismE0ELb0ES3_N6thrust23THRUST_200600_302600_NS6detail15normal_iteratorINSB_10device_ptrIjEEEENSD_INSE_IS6_EEEESI_S6_NSB_4plusIvEENSB_8equal_toIvEES6_EE10hipError_tPvRmT2_T3_T4_T5_mT6_T7_P12ihipStream_tbENKUlT_T0_E_clISt17integral_constantIbLb1EES12_IbLb0EEEEDaSY_SZ_EUlSY_E_NS1_11comp_targetILNS1_3genE5ELNS1_11target_archE942ELNS1_3gpuE9ELNS1_3repE0EEENS1_30default_config_static_selectorELNS0_4arch9wavefront6targetE0EEEvT1_
	.p2align	8
	.type	_ZN7rocprim17ROCPRIM_400000_NS6detail17trampoline_kernelINS0_14default_configENS1_27scan_by_key_config_selectorIj11FixedVectorIiLj2EEEEZZNS1_16scan_by_key_implILNS1_25lookback_scan_determinismE0ELb0ES3_N6thrust23THRUST_200600_302600_NS6detail15normal_iteratorINSB_10device_ptrIjEEEENSD_INSE_IS6_EEEESI_S6_NSB_4plusIvEENSB_8equal_toIvEES6_EE10hipError_tPvRmT2_T3_T4_T5_mT6_T7_P12ihipStream_tbENKUlT_T0_E_clISt17integral_constantIbLb1EES12_IbLb0EEEEDaSY_SZ_EUlSY_E_NS1_11comp_targetILNS1_3genE5ELNS1_11target_archE942ELNS1_3gpuE9ELNS1_3repE0EEENS1_30default_config_static_selectorELNS0_4arch9wavefront6targetE0EEEvT1_,@function
_ZN7rocprim17ROCPRIM_400000_NS6detail17trampoline_kernelINS0_14default_configENS1_27scan_by_key_config_selectorIj11FixedVectorIiLj2EEEEZZNS1_16scan_by_key_implILNS1_25lookback_scan_determinismE0ELb0ES3_N6thrust23THRUST_200600_302600_NS6detail15normal_iteratorINSB_10device_ptrIjEEEENSD_INSE_IS6_EEEESI_S6_NSB_4plusIvEENSB_8equal_toIvEES6_EE10hipError_tPvRmT2_T3_T4_T5_mT6_T7_P12ihipStream_tbENKUlT_T0_E_clISt17integral_constantIbLb1EES12_IbLb0EEEEDaSY_SZ_EUlSY_E_NS1_11comp_targetILNS1_3genE5ELNS1_11target_archE942ELNS1_3gpuE9ELNS1_3repE0EEENS1_30default_config_static_selectorELNS0_4arch9wavefront6targetE0EEEvT1_: ; @_ZN7rocprim17ROCPRIM_400000_NS6detail17trampoline_kernelINS0_14default_configENS1_27scan_by_key_config_selectorIj11FixedVectorIiLj2EEEEZZNS1_16scan_by_key_implILNS1_25lookback_scan_determinismE0ELb0ES3_N6thrust23THRUST_200600_302600_NS6detail15normal_iteratorINSB_10device_ptrIjEEEENSD_INSE_IS6_EEEESI_S6_NSB_4plusIvEENSB_8equal_toIvEES6_EE10hipError_tPvRmT2_T3_T4_T5_mT6_T7_P12ihipStream_tbENKUlT_T0_E_clISt17integral_constantIbLb1EES12_IbLb0EEEEDaSY_SZ_EUlSY_E_NS1_11comp_targetILNS1_3genE5ELNS1_11target_archE942ELNS1_3gpuE9ELNS1_3repE0EEENS1_30default_config_static_selectorELNS0_4arch9wavefront6targetE0EEEvT1_
; %bb.0:
	.section	.rodata,"a",@progbits
	.p2align	6, 0x0
	.amdhsa_kernel _ZN7rocprim17ROCPRIM_400000_NS6detail17trampoline_kernelINS0_14default_configENS1_27scan_by_key_config_selectorIj11FixedVectorIiLj2EEEEZZNS1_16scan_by_key_implILNS1_25lookback_scan_determinismE0ELb0ES3_N6thrust23THRUST_200600_302600_NS6detail15normal_iteratorINSB_10device_ptrIjEEEENSD_INSE_IS6_EEEESI_S6_NSB_4plusIvEENSB_8equal_toIvEES6_EE10hipError_tPvRmT2_T3_T4_T5_mT6_T7_P12ihipStream_tbENKUlT_T0_E_clISt17integral_constantIbLb1EES12_IbLb0EEEEDaSY_SZ_EUlSY_E_NS1_11comp_targetILNS1_3genE5ELNS1_11target_archE942ELNS1_3gpuE9ELNS1_3repE0EEENS1_30default_config_static_selectorELNS0_4arch9wavefront6targetE0EEEvT1_
		.amdhsa_group_segment_fixed_size 0
		.amdhsa_private_segment_fixed_size 0
		.amdhsa_kernarg_size 120
		.amdhsa_user_sgpr_count 2
		.amdhsa_user_sgpr_dispatch_ptr 0
		.amdhsa_user_sgpr_queue_ptr 0
		.amdhsa_user_sgpr_kernarg_segment_ptr 1
		.amdhsa_user_sgpr_dispatch_id 0
		.amdhsa_user_sgpr_kernarg_preload_length 0
		.amdhsa_user_sgpr_kernarg_preload_offset 0
		.amdhsa_user_sgpr_private_segment_size 0
		.amdhsa_wavefront_size32 1
		.amdhsa_uses_dynamic_stack 0
		.amdhsa_enable_private_segment 0
		.amdhsa_system_sgpr_workgroup_id_x 1
		.amdhsa_system_sgpr_workgroup_id_y 0
		.amdhsa_system_sgpr_workgroup_id_z 0
		.amdhsa_system_sgpr_workgroup_info 0
		.amdhsa_system_vgpr_workitem_id 0
		.amdhsa_next_free_vgpr 1
		.amdhsa_next_free_sgpr 1
		.amdhsa_named_barrier_count 0
		.amdhsa_reserve_vcc 0
		.amdhsa_float_round_mode_32 0
		.amdhsa_float_round_mode_16_64 0
		.amdhsa_float_denorm_mode_32 3
		.amdhsa_float_denorm_mode_16_64 3
		.amdhsa_fp16_overflow 0
		.amdhsa_memory_ordered 1
		.amdhsa_forward_progress 1
		.amdhsa_inst_pref_size 0
		.amdhsa_round_robin_scheduling 0
		.amdhsa_exception_fp_ieee_invalid_op 0
		.amdhsa_exception_fp_denorm_src 0
		.amdhsa_exception_fp_ieee_div_zero 0
		.amdhsa_exception_fp_ieee_overflow 0
		.amdhsa_exception_fp_ieee_underflow 0
		.amdhsa_exception_fp_ieee_inexact 0
		.amdhsa_exception_int_div_zero 0
	.end_amdhsa_kernel
	.section	.text._ZN7rocprim17ROCPRIM_400000_NS6detail17trampoline_kernelINS0_14default_configENS1_27scan_by_key_config_selectorIj11FixedVectorIiLj2EEEEZZNS1_16scan_by_key_implILNS1_25lookback_scan_determinismE0ELb0ES3_N6thrust23THRUST_200600_302600_NS6detail15normal_iteratorINSB_10device_ptrIjEEEENSD_INSE_IS6_EEEESI_S6_NSB_4plusIvEENSB_8equal_toIvEES6_EE10hipError_tPvRmT2_T3_T4_T5_mT6_T7_P12ihipStream_tbENKUlT_T0_E_clISt17integral_constantIbLb1EES12_IbLb0EEEEDaSY_SZ_EUlSY_E_NS1_11comp_targetILNS1_3genE5ELNS1_11target_archE942ELNS1_3gpuE9ELNS1_3repE0EEENS1_30default_config_static_selectorELNS0_4arch9wavefront6targetE0EEEvT1_,"axG",@progbits,_ZN7rocprim17ROCPRIM_400000_NS6detail17trampoline_kernelINS0_14default_configENS1_27scan_by_key_config_selectorIj11FixedVectorIiLj2EEEEZZNS1_16scan_by_key_implILNS1_25lookback_scan_determinismE0ELb0ES3_N6thrust23THRUST_200600_302600_NS6detail15normal_iteratorINSB_10device_ptrIjEEEENSD_INSE_IS6_EEEESI_S6_NSB_4plusIvEENSB_8equal_toIvEES6_EE10hipError_tPvRmT2_T3_T4_T5_mT6_T7_P12ihipStream_tbENKUlT_T0_E_clISt17integral_constantIbLb1EES12_IbLb0EEEEDaSY_SZ_EUlSY_E_NS1_11comp_targetILNS1_3genE5ELNS1_11target_archE942ELNS1_3gpuE9ELNS1_3repE0EEENS1_30default_config_static_selectorELNS0_4arch9wavefront6targetE0EEEvT1_,comdat
.Lfunc_end1975:
	.size	_ZN7rocprim17ROCPRIM_400000_NS6detail17trampoline_kernelINS0_14default_configENS1_27scan_by_key_config_selectorIj11FixedVectorIiLj2EEEEZZNS1_16scan_by_key_implILNS1_25lookback_scan_determinismE0ELb0ES3_N6thrust23THRUST_200600_302600_NS6detail15normal_iteratorINSB_10device_ptrIjEEEENSD_INSE_IS6_EEEESI_S6_NSB_4plusIvEENSB_8equal_toIvEES6_EE10hipError_tPvRmT2_T3_T4_T5_mT6_T7_P12ihipStream_tbENKUlT_T0_E_clISt17integral_constantIbLb1EES12_IbLb0EEEEDaSY_SZ_EUlSY_E_NS1_11comp_targetILNS1_3genE5ELNS1_11target_archE942ELNS1_3gpuE9ELNS1_3repE0EEENS1_30default_config_static_selectorELNS0_4arch9wavefront6targetE0EEEvT1_, .Lfunc_end1975-_ZN7rocprim17ROCPRIM_400000_NS6detail17trampoline_kernelINS0_14default_configENS1_27scan_by_key_config_selectorIj11FixedVectorIiLj2EEEEZZNS1_16scan_by_key_implILNS1_25lookback_scan_determinismE0ELb0ES3_N6thrust23THRUST_200600_302600_NS6detail15normal_iteratorINSB_10device_ptrIjEEEENSD_INSE_IS6_EEEESI_S6_NSB_4plusIvEENSB_8equal_toIvEES6_EE10hipError_tPvRmT2_T3_T4_T5_mT6_T7_P12ihipStream_tbENKUlT_T0_E_clISt17integral_constantIbLb1EES12_IbLb0EEEEDaSY_SZ_EUlSY_E_NS1_11comp_targetILNS1_3genE5ELNS1_11target_archE942ELNS1_3gpuE9ELNS1_3repE0EEENS1_30default_config_static_selectorELNS0_4arch9wavefront6targetE0EEEvT1_
                                        ; -- End function
	.set _ZN7rocprim17ROCPRIM_400000_NS6detail17trampoline_kernelINS0_14default_configENS1_27scan_by_key_config_selectorIj11FixedVectorIiLj2EEEEZZNS1_16scan_by_key_implILNS1_25lookback_scan_determinismE0ELb0ES3_N6thrust23THRUST_200600_302600_NS6detail15normal_iteratorINSB_10device_ptrIjEEEENSD_INSE_IS6_EEEESI_S6_NSB_4plusIvEENSB_8equal_toIvEES6_EE10hipError_tPvRmT2_T3_T4_T5_mT6_T7_P12ihipStream_tbENKUlT_T0_E_clISt17integral_constantIbLb1EES12_IbLb0EEEEDaSY_SZ_EUlSY_E_NS1_11comp_targetILNS1_3genE5ELNS1_11target_archE942ELNS1_3gpuE9ELNS1_3repE0EEENS1_30default_config_static_selectorELNS0_4arch9wavefront6targetE0EEEvT1_.num_vgpr, 0
	.set _ZN7rocprim17ROCPRIM_400000_NS6detail17trampoline_kernelINS0_14default_configENS1_27scan_by_key_config_selectorIj11FixedVectorIiLj2EEEEZZNS1_16scan_by_key_implILNS1_25lookback_scan_determinismE0ELb0ES3_N6thrust23THRUST_200600_302600_NS6detail15normal_iteratorINSB_10device_ptrIjEEEENSD_INSE_IS6_EEEESI_S6_NSB_4plusIvEENSB_8equal_toIvEES6_EE10hipError_tPvRmT2_T3_T4_T5_mT6_T7_P12ihipStream_tbENKUlT_T0_E_clISt17integral_constantIbLb1EES12_IbLb0EEEEDaSY_SZ_EUlSY_E_NS1_11comp_targetILNS1_3genE5ELNS1_11target_archE942ELNS1_3gpuE9ELNS1_3repE0EEENS1_30default_config_static_selectorELNS0_4arch9wavefront6targetE0EEEvT1_.num_agpr, 0
	.set _ZN7rocprim17ROCPRIM_400000_NS6detail17trampoline_kernelINS0_14default_configENS1_27scan_by_key_config_selectorIj11FixedVectorIiLj2EEEEZZNS1_16scan_by_key_implILNS1_25lookback_scan_determinismE0ELb0ES3_N6thrust23THRUST_200600_302600_NS6detail15normal_iteratorINSB_10device_ptrIjEEEENSD_INSE_IS6_EEEESI_S6_NSB_4plusIvEENSB_8equal_toIvEES6_EE10hipError_tPvRmT2_T3_T4_T5_mT6_T7_P12ihipStream_tbENKUlT_T0_E_clISt17integral_constantIbLb1EES12_IbLb0EEEEDaSY_SZ_EUlSY_E_NS1_11comp_targetILNS1_3genE5ELNS1_11target_archE942ELNS1_3gpuE9ELNS1_3repE0EEENS1_30default_config_static_selectorELNS0_4arch9wavefront6targetE0EEEvT1_.numbered_sgpr, 0
	.set _ZN7rocprim17ROCPRIM_400000_NS6detail17trampoline_kernelINS0_14default_configENS1_27scan_by_key_config_selectorIj11FixedVectorIiLj2EEEEZZNS1_16scan_by_key_implILNS1_25lookback_scan_determinismE0ELb0ES3_N6thrust23THRUST_200600_302600_NS6detail15normal_iteratorINSB_10device_ptrIjEEEENSD_INSE_IS6_EEEESI_S6_NSB_4plusIvEENSB_8equal_toIvEES6_EE10hipError_tPvRmT2_T3_T4_T5_mT6_T7_P12ihipStream_tbENKUlT_T0_E_clISt17integral_constantIbLb1EES12_IbLb0EEEEDaSY_SZ_EUlSY_E_NS1_11comp_targetILNS1_3genE5ELNS1_11target_archE942ELNS1_3gpuE9ELNS1_3repE0EEENS1_30default_config_static_selectorELNS0_4arch9wavefront6targetE0EEEvT1_.num_named_barrier, 0
	.set _ZN7rocprim17ROCPRIM_400000_NS6detail17trampoline_kernelINS0_14default_configENS1_27scan_by_key_config_selectorIj11FixedVectorIiLj2EEEEZZNS1_16scan_by_key_implILNS1_25lookback_scan_determinismE0ELb0ES3_N6thrust23THRUST_200600_302600_NS6detail15normal_iteratorINSB_10device_ptrIjEEEENSD_INSE_IS6_EEEESI_S6_NSB_4plusIvEENSB_8equal_toIvEES6_EE10hipError_tPvRmT2_T3_T4_T5_mT6_T7_P12ihipStream_tbENKUlT_T0_E_clISt17integral_constantIbLb1EES12_IbLb0EEEEDaSY_SZ_EUlSY_E_NS1_11comp_targetILNS1_3genE5ELNS1_11target_archE942ELNS1_3gpuE9ELNS1_3repE0EEENS1_30default_config_static_selectorELNS0_4arch9wavefront6targetE0EEEvT1_.private_seg_size, 0
	.set _ZN7rocprim17ROCPRIM_400000_NS6detail17trampoline_kernelINS0_14default_configENS1_27scan_by_key_config_selectorIj11FixedVectorIiLj2EEEEZZNS1_16scan_by_key_implILNS1_25lookback_scan_determinismE0ELb0ES3_N6thrust23THRUST_200600_302600_NS6detail15normal_iteratorINSB_10device_ptrIjEEEENSD_INSE_IS6_EEEESI_S6_NSB_4plusIvEENSB_8equal_toIvEES6_EE10hipError_tPvRmT2_T3_T4_T5_mT6_T7_P12ihipStream_tbENKUlT_T0_E_clISt17integral_constantIbLb1EES12_IbLb0EEEEDaSY_SZ_EUlSY_E_NS1_11comp_targetILNS1_3genE5ELNS1_11target_archE942ELNS1_3gpuE9ELNS1_3repE0EEENS1_30default_config_static_selectorELNS0_4arch9wavefront6targetE0EEEvT1_.uses_vcc, 0
	.set _ZN7rocprim17ROCPRIM_400000_NS6detail17trampoline_kernelINS0_14default_configENS1_27scan_by_key_config_selectorIj11FixedVectorIiLj2EEEEZZNS1_16scan_by_key_implILNS1_25lookback_scan_determinismE0ELb0ES3_N6thrust23THRUST_200600_302600_NS6detail15normal_iteratorINSB_10device_ptrIjEEEENSD_INSE_IS6_EEEESI_S6_NSB_4plusIvEENSB_8equal_toIvEES6_EE10hipError_tPvRmT2_T3_T4_T5_mT6_T7_P12ihipStream_tbENKUlT_T0_E_clISt17integral_constantIbLb1EES12_IbLb0EEEEDaSY_SZ_EUlSY_E_NS1_11comp_targetILNS1_3genE5ELNS1_11target_archE942ELNS1_3gpuE9ELNS1_3repE0EEENS1_30default_config_static_selectorELNS0_4arch9wavefront6targetE0EEEvT1_.uses_flat_scratch, 0
	.set _ZN7rocprim17ROCPRIM_400000_NS6detail17trampoline_kernelINS0_14default_configENS1_27scan_by_key_config_selectorIj11FixedVectorIiLj2EEEEZZNS1_16scan_by_key_implILNS1_25lookback_scan_determinismE0ELb0ES3_N6thrust23THRUST_200600_302600_NS6detail15normal_iteratorINSB_10device_ptrIjEEEENSD_INSE_IS6_EEEESI_S6_NSB_4plusIvEENSB_8equal_toIvEES6_EE10hipError_tPvRmT2_T3_T4_T5_mT6_T7_P12ihipStream_tbENKUlT_T0_E_clISt17integral_constantIbLb1EES12_IbLb0EEEEDaSY_SZ_EUlSY_E_NS1_11comp_targetILNS1_3genE5ELNS1_11target_archE942ELNS1_3gpuE9ELNS1_3repE0EEENS1_30default_config_static_selectorELNS0_4arch9wavefront6targetE0EEEvT1_.has_dyn_sized_stack, 0
	.set _ZN7rocprim17ROCPRIM_400000_NS6detail17trampoline_kernelINS0_14default_configENS1_27scan_by_key_config_selectorIj11FixedVectorIiLj2EEEEZZNS1_16scan_by_key_implILNS1_25lookback_scan_determinismE0ELb0ES3_N6thrust23THRUST_200600_302600_NS6detail15normal_iteratorINSB_10device_ptrIjEEEENSD_INSE_IS6_EEEESI_S6_NSB_4plusIvEENSB_8equal_toIvEES6_EE10hipError_tPvRmT2_T3_T4_T5_mT6_T7_P12ihipStream_tbENKUlT_T0_E_clISt17integral_constantIbLb1EES12_IbLb0EEEEDaSY_SZ_EUlSY_E_NS1_11comp_targetILNS1_3genE5ELNS1_11target_archE942ELNS1_3gpuE9ELNS1_3repE0EEENS1_30default_config_static_selectorELNS0_4arch9wavefront6targetE0EEEvT1_.has_recursion, 0
	.set _ZN7rocprim17ROCPRIM_400000_NS6detail17trampoline_kernelINS0_14default_configENS1_27scan_by_key_config_selectorIj11FixedVectorIiLj2EEEEZZNS1_16scan_by_key_implILNS1_25lookback_scan_determinismE0ELb0ES3_N6thrust23THRUST_200600_302600_NS6detail15normal_iteratorINSB_10device_ptrIjEEEENSD_INSE_IS6_EEEESI_S6_NSB_4plusIvEENSB_8equal_toIvEES6_EE10hipError_tPvRmT2_T3_T4_T5_mT6_T7_P12ihipStream_tbENKUlT_T0_E_clISt17integral_constantIbLb1EES12_IbLb0EEEEDaSY_SZ_EUlSY_E_NS1_11comp_targetILNS1_3genE5ELNS1_11target_archE942ELNS1_3gpuE9ELNS1_3repE0EEENS1_30default_config_static_selectorELNS0_4arch9wavefront6targetE0EEEvT1_.has_indirect_call, 0
	.section	.AMDGPU.csdata,"",@progbits
; Kernel info:
; codeLenInByte = 0
; TotalNumSgprs: 0
; NumVgprs: 0
; ScratchSize: 0
; MemoryBound: 0
; FloatMode: 240
; IeeeMode: 1
; LDSByteSize: 0 bytes/workgroup (compile time only)
; SGPRBlocks: 0
; VGPRBlocks: 0
; NumSGPRsForWavesPerEU: 1
; NumVGPRsForWavesPerEU: 1
; NamedBarCnt: 0
; Occupancy: 16
; WaveLimiterHint : 0
; COMPUTE_PGM_RSRC2:SCRATCH_EN: 0
; COMPUTE_PGM_RSRC2:USER_SGPR: 2
; COMPUTE_PGM_RSRC2:TRAP_HANDLER: 0
; COMPUTE_PGM_RSRC2:TGID_X_EN: 1
; COMPUTE_PGM_RSRC2:TGID_Y_EN: 0
; COMPUTE_PGM_RSRC2:TGID_Z_EN: 0
; COMPUTE_PGM_RSRC2:TIDIG_COMP_CNT: 0
	.section	.text._ZN7rocprim17ROCPRIM_400000_NS6detail17trampoline_kernelINS0_14default_configENS1_27scan_by_key_config_selectorIj11FixedVectorIiLj2EEEEZZNS1_16scan_by_key_implILNS1_25lookback_scan_determinismE0ELb0ES3_N6thrust23THRUST_200600_302600_NS6detail15normal_iteratorINSB_10device_ptrIjEEEENSD_INSE_IS6_EEEESI_S6_NSB_4plusIvEENSB_8equal_toIvEES6_EE10hipError_tPvRmT2_T3_T4_T5_mT6_T7_P12ihipStream_tbENKUlT_T0_E_clISt17integral_constantIbLb1EES12_IbLb0EEEEDaSY_SZ_EUlSY_E_NS1_11comp_targetILNS1_3genE4ELNS1_11target_archE910ELNS1_3gpuE8ELNS1_3repE0EEENS1_30default_config_static_selectorELNS0_4arch9wavefront6targetE0EEEvT1_,"axG",@progbits,_ZN7rocprim17ROCPRIM_400000_NS6detail17trampoline_kernelINS0_14default_configENS1_27scan_by_key_config_selectorIj11FixedVectorIiLj2EEEEZZNS1_16scan_by_key_implILNS1_25lookback_scan_determinismE0ELb0ES3_N6thrust23THRUST_200600_302600_NS6detail15normal_iteratorINSB_10device_ptrIjEEEENSD_INSE_IS6_EEEESI_S6_NSB_4plusIvEENSB_8equal_toIvEES6_EE10hipError_tPvRmT2_T3_T4_T5_mT6_T7_P12ihipStream_tbENKUlT_T0_E_clISt17integral_constantIbLb1EES12_IbLb0EEEEDaSY_SZ_EUlSY_E_NS1_11comp_targetILNS1_3genE4ELNS1_11target_archE910ELNS1_3gpuE8ELNS1_3repE0EEENS1_30default_config_static_selectorELNS0_4arch9wavefront6targetE0EEEvT1_,comdat
	.protected	_ZN7rocprim17ROCPRIM_400000_NS6detail17trampoline_kernelINS0_14default_configENS1_27scan_by_key_config_selectorIj11FixedVectorIiLj2EEEEZZNS1_16scan_by_key_implILNS1_25lookback_scan_determinismE0ELb0ES3_N6thrust23THRUST_200600_302600_NS6detail15normal_iteratorINSB_10device_ptrIjEEEENSD_INSE_IS6_EEEESI_S6_NSB_4plusIvEENSB_8equal_toIvEES6_EE10hipError_tPvRmT2_T3_T4_T5_mT6_T7_P12ihipStream_tbENKUlT_T0_E_clISt17integral_constantIbLb1EES12_IbLb0EEEEDaSY_SZ_EUlSY_E_NS1_11comp_targetILNS1_3genE4ELNS1_11target_archE910ELNS1_3gpuE8ELNS1_3repE0EEENS1_30default_config_static_selectorELNS0_4arch9wavefront6targetE0EEEvT1_ ; -- Begin function _ZN7rocprim17ROCPRIM_400000_NS6detail17trampoline_kernelINS0_14default_configENS1_27scan_by_key_config_selectorIj11FixedVectorIiLj2EEEEZZNS1_16scan_by_key_implILNS1_25lookback_scan_determinismE0ELb0ES3_N6thrust23THRUST_200600_302600_NS6detail15normal_iteratorINSB_10device_ptrIjEEEENSD_INSE_IS6_EEEESI_S6_NSB_4plusIvEENSB_8equal_toIvEES6_EE10hipError_tPvRmT2_T3_T4_T5_mT6_T7_P12ihipStream_tbENKUlT_T0_E_clISt17integral_constantIbLb1EES12_IbLb0EEEEDaSY_SZ_EUlSY_E_NS1_11comp_targetILNS1_3genE4ELNS1_11target_archE910ELNS1_3gpuE8ELNS1_3repE0EEENS1_30default_config_static_selectorELNS0_4arch9wavefront6targetE0EEEvT1_
	.globl	_ZN7rocprim17ROCPRIM_400000_NS6detail17trampoline_kernelINS0_14default_configENS1_27scan_by_key_config_selectorIj11FixedVectorIiLj2EEEEZZNS1_16scan_by_key_implILNS1_25lookback_scan_determinismE0ELb0ES3_N6thrust23THRUST_200600_302600_NS6detail15normal_iteratorINSB_10device_ptrIjEEEENSD_INSE_IS6_EEEESI_S6_NSB_4plusIvEENSB_8equal_toIvEES6_EE10hipError_tPvRmT2_T3_T4_T5_mT6_T7_P12ihipStream_tbENKUlT_T0_E_clISt17integral_constantIbLb1EES12_IbLb0EEEEDaSY_SZ_EUlSY_E_NS1_11comp_targetILNS1_3genE4ELNS1_11target_archE910ELNS1_3gpuE8ELNS1_3repE0EEENS1_30default_config_static_selectorELNS0_4arch9wavefront6targetE0EEEvT1_
	.p2align	8
	.type	_ZN7rocprim17ROCPRIM_400000_NS6detail17trampoline_kernelINS0_14default_configENS1_27scan_by_key_config_selectorIj11FixedVectorIiLj2EEEEZZNS1_16scan_by_key_implILNS1_25lookback_scan_determinismE0ELb0ES3_N6thrust23THRUST_200600_302600_NS6detail15normal_iteratorINSB_10device_ptrIjEEEENSD_INSE_IS6_EEEESI_S6_NSB_4plusIvEENSB_8equal_toIvEES6_EE10hipError_tPvRmT2_T3_T4_T5_mT6_T7_P12ihipStream_tbENKUlT_T0_E_clISt17integral_constantIbLb1EES12_IbLb0EEEEDaSY_SZ_EUlSY_E_NS1_11comp_targetILNS1_3genE4ELNS1_11target_archE910ELNS1_3gpuE8ELNS1_3repE0EEENS1_30default_config_static_selectorELNS0_4arch9wavefront6targetE0EEEvT1_,@function
_ZN7rocprim17ROCPRIM_400000_NS6detail17trampoline_kernelINS0_14default_configENS1_27scan_by_key_config_selectorIj11FixedVectorIiLj2EEEEZZNS1_16scan_by_key_implILNS1_25lookback_scan_determinismE0ELb0ES3_N6thrust23THRUST_200600_302600_NS6detail15normal_iteratorINSB_10device_ptrIjEEEENSD_INSE_IS6_EEEESI_S6_NSB_4plusIvEENSB_8equal_toIvEES6_EE10hipError_tPvRmT2_T3_T4_T5_mT6_T7_P12ihipStream_tbENKUlT_T0_E_clISt17integral_constantIbLb1EES12_IbLb0EEEEDaSY_SZ_EUlSY_E_NS1_11comp_targetILNS1_3genE4ELNS1_11target_archE910ELNS1_3gpuE8ELNS1_3repE0EEENS1_30default_config_static_selectorELNS0_4arch9wavefront6targetE0EEEvT1_: ; @_ZN7rocprim17ROCPRIM_400000_NS6detail17trampoline_kernelINS0_14default_configENS1_27scan_by_key_config_selectorIj11FixedVectorIiLj2EEEEZZNS1_16scan_by_key_implILNS1_25lookback_scan_determinismE0ELb0ES3_N6thrust23THRUST_200600_302600_NS6detail15normal_iteratorINSB_10device_ptrIjEEEENSD_INSE_IS6_EEEESI_S6_NSB_4plusIvEENSB_8equal_toIvEES6_EE10hipError_tPvRmT2_T3_T4_T5_mT6_T7_P12ihipStream_tbENKUlT_T0_E_clISt17integral_constantIbLb1EES12_IbLb0EEEEDaSY_SZ_EUlSY_E_NS1_11comp_targetILNS1_3genE4ELNS1_11target_archE910ELNS1_3gpuE8ELNS1_3repE0EEENS1_30default_config_static_selectorELNS0_4arch9wavefront6targetE0EEEvT1_
; %bb.0:
	.section	.rodata,"a",@progbits
	.p2align	6, 0x0
	.amdhsa_kernel _ZN7rocprim17ROCPRIM_400000_NS6detail17trampoline_kernelINS0_14default_configENS1_27scan_by_key_config_selectorIj11FixedVectorIiLj2EEEEZZNS1_16scan_by_key_implILNS1_25lookback_scan_determinismE0ELb0ES3_N6thrust23THRUST_200600_302600_NS6detail15normal_iteratorINSB_10device_ptrIjEEEENSD_INSE_IS6_EEEESI_S6_NSB_4plusIvEENSB_8equal_toIvEES6_EE10hipError_tPvRmT2_T3_T4_T5_mT6_T7_P12ihipStream_tbENKUlT_T0_E_clISt17integral_constantIbLb1EES12_IbLb0EEEEDaSY_SZ_EUlSY_E_NS1_11comp_targetILNS1_3genE4ELNS1_11target_archE910ELNS1_3gpuE8ELNS1_3repE0EEENS1_30default_config_static_selectorELNS0_4arch9wavefront6targetE0EEEvT1_
		.amdhsa_group_segment_fixed_size 0
		.amdhsa_private_segment_fixed_size 0
		.amdhsa_kernarg_size 120
		.amdhsa_user_sgpr_count 2
		.amdhsa_user_sgpr_dispatch_ptr 0
		.amdhsa_user_sgpr_queue_ptr 0
		.amdhsa_user_sgpr_kernarg_segment_ptr 1
		.amdhsa_user_sgpr_dispatch_id 0
		.amdhsa_user_sgpr_kernarg_preload_length 0
		.amdhsa_user_sgpr_kernarg_preload_offset 0
		.amdhsa_user_sgpr_private_segment_size 0
		.amdhsa_wavefront_size32 1
		.amdhsa_uses_dynamic_stack 0
		.amdhsa_enable_private_segment 0
		.amdhsa_system_sgpr_workgroup_id_x 1
		.amdhsa_system_sgpr_workgroup_id_y 0
		.amdhsa_system_sgpr_workgroup_id_z 0
		.amdhsa_system_sgpr_workgroup_info 0
		.amdhsa_system_vgpr_workitem_id 0
		.amdhsa_next_free_vgpr 1
		.amdhsa_next_free_sgpr 1
		.amdhsa_named_barrier_count 0
		.amdhsa_reserve_vcc 0
		.amdhsa_float_round_mode_32 0
		.amdhsa_float_round_mode_16_64 0
		.amdhsa_float_denorm_mode_32 3
		.amdhsa_float_denorm_mode_16_64 3
		.amdhsa_fp16_overflow 0
		.amdhsa_memory_ordered 1
		.amdhsa_forward_progress 1
		.amdhsa_inst_pref_size 0
		.amdhsa_round_robin_scheduling 0
		.amdhsa_exception_fp_ieee_invalid_op 0
		.amdhsa_exception_fp_denorm_src 0
		.amdhsa_exception_fp_ieee_div_zero 0
		.amdhsa_exception_fp_ieee_overflow 0
		.amdhsa_exception_fp_ieee_underflow 0
		.amdhsa_exception_fp_ieee_inexact 0
		.amdhsa_exception_int_div_zero 0
	.end_amdhsa_kernel
	.section	.text._ZN7rocprim17ROCPRIM_400000_NS6detail17trampoline_kernelINS0_14default_configENS1_27scan_by_key_config_selectorIj11FixedVectorIiLj2EEEEZZNS1_16scan_by_key_implILNS1_25lookback_scan_determinismE0ELb0ES3_N6thrust23THRUST_200600_302600_NS6detail15normal_iteratorINSB_10device_ptrIjEEEENSD_INSE_IS6_EEEESI_S6_NSB_4plusIvEENSB_8equal_toIvEES6_EE10hipError_tPvRmT2_T3_T4_T5_mT6_T7_P12ihipStream_tbENKUlT_T0_E_clISt17integral_constantIbLb1EES12_IbLb0EEEEDaSY_SZ_EUlSY_E_NS1_11comp_targetILNS1_3genE4ELNS1_11target_archE910ELNS1_3gpuE8ELNS1_3repE0EEENS1_30default_config_static_selectorELNS0_4arch9wavefront6targetE0EEEvT1_,"axG",@progbits,_ZN7rocprim17ROCPRIM_400000_NS6detail17trampoline_kernelINS0_14default_configENS1_27scan_by_key_config_selectorIj11FixedVectorIiLj2EEEEZZNS1_16scan_by_key_implILNS1_25lookback_scan_determinismE0ELb0ES3_N6thrust23THRUST_200600_302600_NS6detail15normal_iteratorINSB_10device_ptrIjEEEENSD_INSE_IS6_EEEESI_S6_NSB_4plusIvEENSB_8equal_toIvEES6_EE10hipError_tPvRmT2_T3_T4_T5_mT6_T7_P12ihipStream_tbENKUlT_T0_E_clISt17integral_constantIbLb1EES12_IbLb0EEEEDaSY_SZ_EUlSY_E_NS1_11comp_targetILNS1_3genE4ELNS1_11target_archE910ELNS1_3gpuE8ELNS1_3repE0EEENS1_30default_config_static_selectorELNS0_4arch9wavefront6targetE0EEEvT1_,comdat
.Lfunc_end1976:
	.size	_ZN7rocprim17ROCPRIM_400000_NS6detail17trampoline_kernelINS0_14default_configENS1_27scan_by_key_config_selectorIj11FixedVectorIiLj2EEEEZZNS1_16scan_by_key_implILNS1_25lookback_scan_determinismE0ELb0ES3_N6thrust23THRUST_200600_302600_NS6detail15normal_iteratorINSB_10device_ptrIjEEEENSD_INSE_IS6_EEEESI_S6_NSB_4plusIvEENSB_8equal_toIvEES6_EE10hipError_tPvRmT2_T3_T4_T5_mT6_T7_P12ihipStream_tbENKUlT_T0_E_clISt17integral_constantIbLb1EES12_IbLb0EEEEDaSY_SZ_EUlSY_E_NS1_11comp_targetILNS1_3genE4ELNS1_11target_archE910ELNS1_3gpuE8ELNS1_3repE0EEENS1_30default_config_static_selectorELNS0_4arch9wavefront6targetE0EEEvT1_, .Lfunc_end1976-_ZN7rocprim17ROCPRIM_400000_NS6detail17trampoline_kernelINS0_14default_configENS1_27scan_by_key_config_selectorIj11FixedVectorIiLj2EEEEZZNS1_16scan_by_key_implILNS1_25lookback_scan_determinismE0ELb0ES3_N6thrust23THRUST_200600_302600_NS6detail15normal_iteratorINSB_10device_ptrIjEEEENSD_INSE_IS6_EEEESI_S6_NSB_4plusIvEENSB_8equal_toIvEES6_EE10hipError_tPvRmT2_T3_T4_T5_mT6_T7_P12ihipStream_tbENKUlT_T0_E_clISt17integral_constantIbLb1EES12_IbLb0EEEEDaSY_SZ_EUlSY_E_NS1_11comp_targetILNS1_3genE4ELNS1_11target_archE910ELNS1_3gpuE8ELNS1_3repE0EEENS1_30default_config_static_selectorELNS0_4arch9wavefront6targetE0EEEvT1_
                                        ; -- End function
	.set _ZN7rocprim17ROCPRIM_400000_NS6detail17trampoline_kernelINS0_14default_configENS1_27scan_by_key_config_selectorIj11FixedVectorIiLj2EEEEZZNS1_16scan_by_key_implILNS1_25lookback_scan_determinismE0ELb0ES3_N6thrust23THRUST_200600_302600_NS6detail15normal_iteratorINSB_10device_ptrIjEEEENSD_INSE_IS6_EEEESI_S6_NSB_4plusIvEENSB_8equal_toIvEES6_EE10hipError_tPvRmT2_T3_T4_T5_mT6_T7_P12ihipStream_tbENKUlT_T0_E_clISt17integral_constantIbLb1EES12_IbLb0EEEEDaSY_SZ_EUlSY_E_NS1_11comp_targetILNS1_3genE4ELNS1_11target_archE910ELNS1_3gpuE8ELNS1_3repE0EEENS1_30default_config_static_selectorELNS0_4arch9wavefront6targetE0EEEvT1_.num_vgpr, 0
	.set _ZN7rocprim17ROCPRIM_400000_NS6detail17trampoline_kernelINS0_14default_configENS1_27scan_by_key_config_selectorIj11FixedVectorIiLj2EEEEZZNS1_16scan_by_key_implILNS1_25lookback_scan_determinismE0ELb0ES3_N6thrust23THRUST_200600_302600_NS6detail15normal_iteratorINSB_10device_ptrIjEEEENSD_INSE_IS6_EEEESI_S6_NSB_4plusIvEENSB_8equal_toIvEES6_EE10hipError_tPvRmT2_T3_T4_T5_mT6_T7_P12ihipStream_tbENKUlT_T0_E_clISt17integral_constantIbLb1EES12_IbLb0EEEEDaSY_SZ_EUlSY_E_NS1_11comp_targetILNS1_3genE4ELNS1_11target_archE910ELNS1_3gpuE8ELNS1_3repE0EEENS1_30default_config_static_selectorELNS0_4arch9wavefront6targetE0EEEvT1_.num_agpr, 0
	.set _ZN7rocprim17ROCPRIM_400000_NS6detail17trampoline_kernelINS0_14default_configENS1_27scan_by_key_config_selectorIj11FixedVectorIiLj2EEEEZZNS1_16scan_by_key_implILNS1_25lookback_scan_determinismE0ELb0ES3_N6thrust23THRUST_200600_302600_NS6detail15normal_iteratorINSB_10device_ptrIjEEEENSD_INSE_IS6_EEEESI_S6_NSB_4plusIvEENSB_8equal_toIvEES6_EE10hipError_tPvRmT2_T3_T4_T5_mT6_T7_P12ihipStream_tbENKUlT_T0_E_clISt17integral_constantIbLb1EES12_IbLb0EEEEDaSY_SZ_EUlSY_E_NS1_11comp_targetILNS1_3genE4ELNS1_11target_archE910ELNS1_3gpuE8ELNS1_3repE0EEENS1_30default_config_static_selectorELNS0_4arch9wavefront6targetE0EEEvT1_.numbered_sgpr, 0
	.set _ZN7rocprim17ROCPRIM_400000_NS6detail17trampoline_kernelINS0_14default_configENS1_27scan_by_key_config_selectorIj11FixedVectorIiLj2EEEEZZNS1_16scan_by_key_implILNS1_25lookback_scan_determinismE0ELb0ES3_N6thrust23THRUST_200600_302600_NS6detail15normal_iteratorINSB_10device_ptrIjEEEENSD_INSE_IS6_EEEESI_S6_NSB_4plusIvEENSB_8equal_toIvEES6_EE10hipError_tPvRmT2_T3_T4_T5_mT6_T7_P12ihipStream_tbENKUlT_T0_E_clISt17integral_constantIbLb1EES12_IbLb0EEEEDaSY_SZ_EUlSY_E_NS1_11comp_targetILNS1_3genE4ELNS1_11target_archE910ELNS1_3gpuE8ELNS1_3repE0EEENS1_30default_config_static_selectorELNS0_4arch9wavefront6targetE0EEEvT1_.num_named_barrier, 0
	.set _ZN7rocprim17ROCPRIM_400000_NS6detail17trampoline_kernelINS0_14default_configENS1_27scan_by_key_config_selectorIj11FixedVectorIiLj2EEEEZZNS1_16scan_by_key_implILNS1_25lookback_scan_determinismE0ELb0ES3_N6thrust23THRUST_200600_302600_NS6detail15normal_iteratorINSB_10device_ptrIjEEEENSD_INSE_IS6_EEEESI_S6_NSB_4plusIvEENSB_8equal_toIvEES6_EE10hipError_tPvRmT2_T3_T4_T5_mT6_T7_P12ihipStream_tbENKUlT_T0_E_clISt17integral_constantIbLb1EES12_IbLb0EEEEDaSY_SZ_EUlSY_E_NS1_11comp_targetILNS1_3genE4ELNS1_11target_archE910ELNS1_3gpuE8ELNS1_3repE0EEENS1_30default_config_static_selectorELNS0_4arch9wavefront6targetE0EEEvT1_.private_seg_size, 0
	.set _ZN7rocprim17ROCPRIM_400000_NS6detail17trampoline_kernelINS0_14default_configENS1_27scan_by_key_config_selectorIj11FixedVectorIiLj2EEEEZZNS1_16scan_by_key_implILNS1_25lookback_scan_determinismE0ELb0ES3_N6thrust23THRUST_200600_302600_NS6detail15normal_iteratorINSB_10device_ptrIjEEEENSD_INSE_IS6_EEEESI_S6_NSB_4plusIvEENSB_8equal_toIvEES6_EE10hipError_tPvRmT2_T3_T4_T5_mT6_T7_P12ihipStream_tbENKUlT_T0_E_clISt17integral_constantIbLb1EES12_IbLb0EEEEDaSY_SZ_EUlSY_E_NS1_11comp_targetILNS1_3genE4ELNS1_11target_archE910ELNS1_3gpuE8ELNS1_3repE0EEENS1_30default_config_static_selectorELNS0_4arch9wavefront6targetE0EEEvT1_.uses_vcc, 0
	.set _ZN7rocprim17ROCPRIM_400000_NS6detail17trampoline_kernelINS0_14default_configENS1_27scan_by_key_config_selectorIj11FixedVectorIiLj2EEEEZZNS1_16scan_by_key_implILNS1_25lookback_scan_determinismE0ELb0ES3_N6thrust23THRUST_200600_302600_NS6detail15normal_iteratorINSB_10device_ptrIjEEEENSD_INSE_IS6_EEEESI_S6_NSB_4plusIvEENSB_8equal_toIvEES6_EE10hipError_tPvRmT2_T3_T4_T5_mT6_T7_P12ihipStream_tbENKUlT_T0_E_clISt17integral_constantIbLb1EES12_IbLb0EEEEDaSY_SZ_EUlSY_E_NS1_11comp_targetILNS1_3genE4ELNS1_11target_archE910ELNS1_3gpuE8ELNS1_3repE0EEENS1_30default_config_static_selectorELNS0_4arch9wavefront6targetE0EEEvT1_.uses_flat_scratch, 0
	.set _ZN7rocprim17ROCPRIM_400000_NS6detail17trampoline_kernelINS0_14default_configENS1_27scan_by_key_config_selectorIj11FixedVectorIiLj2EEEEZZNS1_16scan_by_key_implILNS1_25lookback_scan_determinismE0ELb0ES3_N6thrust23THRUST_200600_302600_NS6detail15normal_iteratorINSB_10device_ptrIjEEEENSD_INSE_IS6_EEEESI_S6_NSB_4plusIvEENSB_8equal_toIvEES6_EE10hipError_tPvRmT2_T3_T4_T5_mT6_T7_P12ihipStream_tbENKUlT_T0_E_clISt17integral_constantIbLb1EES12_IbLb0EEEEDaSY_SZ_EUlSY_E_NS1_11comp_targetILNS1_3genE4ELNS1_11target_archE910ELNS1_3gpuE8ELNS1_3repE0EEENS1_30default_config_static_selectorELNS0_4arch9wavefront6targetE0EEEvT1_.has_dyn_sized_stack, 0
	.set _ZN7rocprim17ROCPRIM_400000_NS6detail17trampoline_kernelINS0_14default_configENS1_27scan_by_key_config_selectorIj11FixedVectorIiLj2EEEEZZNS1_16scan_by_key_implILNS1_25lookback_scan_determinismE0ELb0ES3_N6thrust23THRUST_200600_302600_NS6detail15normal_iteratorINSB_10device_ptrIjEEEENSD_INSE_IS6_EEEESI_S6_NSB_4plusIvEENSB_8equal_toIvEES6_EE10hipError_tPvRmT2_T3_T4_T5_mT6_T7_P12ihipStream_tbENKUlT_T0_E_clISt17integral_constantIbLb1EES12_IbLb0EEEEDaSY_SZ_EUlSY_E_NS1_11comp_targetILNS1_3genE4ELNS1_11target_archE910ELNS1_3gpuE8ELNS1_3repE0EEENS1_30default_config_static_selectorELNS0_4arch9wavefront6targetE0EEEvT1_.has_recursion, 0
	.set _ZN7rocprim17ROCPRIM_400000_NS6detail17trampoline_kernelINS0_14default_configENS1_27scan_by_key_config_selectorIj11FixedVectorIiLj2EEEEZZNS1_16scan_by_key_implILNS1_25lookback_scan_determinismE0ELb0ES3_N6thrust23THRUST_200600_302600_NS6detail15normal_iteratorINSB_10device_ptrIjEEEENSD_INSE_IS6_EEEESI_S6_NSB_4plusIvEENSB_8equal_toIvEES6_EE10hipError_tPvRmT2_T3_T4_T5_mT6_T7_P12ihipStream_tbENKUlT_T0_E_clISt17integral_constantIbLb1EES12_IbLb0EEEEDaSY_SZ_EUlSY_E_NS1_11comp_targetILNS1_3genE4ELNS1_11target_archE910ELNS1_3gpuE8ELNS1_3repE0EEENS1_30default_config_static_selectorELNS0_4arch9wavefront6targetE0EEEvT1_.has_indirect_call, 0
	.section	.AMDGPU.csdata,"",@progbits
; Kernel info:
; codeLenInByte = 0
; TotalNumSgprs: 0
; NumVgprs: 0
; ScratchSize: 0
; MemoryBound: 0
; FloatMode: 240
; IeeeMode: 1
; LDSByteSize: 0 bytes/workgroup (compile time only)
; SGPRBlocks: 0
; VGPRBlocks: 0
; NumSGPRsForWavesPerEU: 1
; NumVGPRsForWavesPerEU: 1
; NamedBarCnt: 0
; Occupancy: 16
; WaveLimiterHint : 0
; COMPUTE_PGM_RSRC2:SCRATCH_EN: 0
; COMPUTE_PGM_RSRC2:USER_SGPR: 2
; COMPUTE_PGM_RSRC2:TRAP_HANDLER: 0
; COMPUTE_PGM_RSRC2:TGID_X_EN: 1
; COMPUTE_PGM_RSRC2:TGID_Y_EN: 0
; COMPUTE_PGM_RSRC2:TGID_Z_EN: 0
; COMPUTE_PGM_RSRC2:TIDIG_COMP_CNT: 0
	.section	.text._ZN7rocprim17ROCPRIM_400000_NS6detail17trampoline_kernelINS0_14default_configENS1_27scan_by_key_config_selectorIj11FixedVectorIiLj2EEEEZZNS1_16scan_by_key_implILNS1_25lookback_scan_determinismE0ELb0ES3_N6thrust23THRUST_200600_302600_NS6detail15normal_iteratorINSB_10device_ptrIjEEEENSD_INSE_IS6_EEEESI_S6_NSB_4plusIvEENSB_8equal_toIvEES6_EE10hipError_tPvRmT2_T3_T4_T5_mT6_T7_P12ihipStream_tbENKUlT_T0_E_clISt17integral_constantIbLb1EES12_IbLb0EEEEDaSY_SZ_EUlSY_E_NS1_11comp_targetILNS1_3genE3ELNS1_11target_archE908ELNS1_3gpuE7ELNS1_3repE0EEENS1_30default_config_static_selectorELNS0_4arch9wavefront6targetE0EEEvT1_,"axG",@progbits,_ZN7rocprim17ROCPRIM_400000_NS6detail17trampoline_kernelINS0_14default_configENS1_27scan_by_key_config_selectorIj11FixedVectorIiLj2EEEEZZNS1_16scan_by_key_implILNS1_25lookback_scan_determinismE0ELb0ES3_N6thrust23THRUST_200600_302600_NS6detail15normal_iteratorINSB_10device_ptrIjEEEENSD_INSE_IS6_EEEESI_S6_NSB_4plusIvEENSB_8equal_toIvEES6_EE10hipError_tPvRmT2_T3_T4_T5_mT6_T7_P12ihipStream_tbENKUlT_T0_E_clISt17integral_constantIbLb1EES12_IbLb0EEEEDaSY_SZ_EUlSY_E_NS1_11comp_targetILNS1_3genE3ELNS1_11target_archE908ELNS1_3gpuE7ELNS1_3repE0EEENS1_30default_config_static_selectorELNS0_4arch9wavefront6targetE0EEEvT1_,comdat
	.protected	_ZN7rocprim17ROCPRIM_400000_NS6detail17trampoline_kernelINS0_14default_configENS1_27scan_by_key_config_selectorIj11FixedVectorIiLj2EEEEZZNS1_16scan_by_key_implILNS1_25lookback_scan_determinismE0ELb0ES3_N6thrust23THRUST_200600_302600_NS6detail15normal_iteratorINSB_10device_ptrIjEEEENSD_INSE_IS6_EEEESI_S6_NSB_4plusIvEENSB_8equal_toIvEES6_EE10hipError_tPvRmT2_T3_T4_T5_mT6_T7_P12ihipStream_tbENKUlT_T0_E_clISt17integral_constantIbLb1EES12_IbLb0EEEEDaSY_SZ_EUlSY_E_NS1_11comp_targetILNS1_3genE3ELNS1_11target_archE908ELNS1_3gpuE7ELNS1_3repE0EEENS1_30default_config_static_selectorELNS0_4arch9wavefront6targetE0EEEvT1_ ; -- Begin function _ZN7rocprim17ROCPRIM_400000_NS6detail17trampoline_kernelINS0_14default_configENS1_27scan_by_key_config_selectorIj11FixedVectorIiLj2EEEEZZNS1_16scan_by_key_implILNS1_25lookback_scan_determinismE0ELb0ES3_N6thrust23THRUST_200600_302600_NS6detail15normal_iteratorINSB_10device_ptrIjEEEENSD_INSE_IS6_EEEESI_S6_NSB_4plusIvEENSB_8equal_toIvEES6_EE10hipError_tPvRmT2_T3_T4_T5_mT6_T7_P12ihipStream_tbENKUlT_T0_E_clISt17integral_constantIbLb1EES12_IbLb0EEEEDaSY_SZ_EUlSY_E_NS1_11comp_targetILNS1_3genE3ELNS1_11target_archE908ELNS1_3gpuE7ELNS1_3repE0EEENS1_30default_config_static_selectorELNS0_4arch9wavefront6targetE0EEEvT1_
	.globl	_ZN7rocprim17ROCPRIM_400000_NS6detail17trampoline_kernelINS0_14default_configENS1_27scan_by_key_config_selectorIj11FixedVectorIiLj2EEEEZZNS1_16scan_by_key_implILNS1_25lookback_scan_determinismE0ELb0ES3_N6thrust23THRUST_200600_302600_NS6detail15normal_iteratorINSB_10device_ptrIjEEEENSD_INSE_IS6_EEEESI_S6_NSB_4plusIvEENSB_8equal_toIvEES6_EE10hipError_tPvRmT2_T3_T4_T5_mT6_T7_P12ihipStream_tbENKUlT_T0_E_clISt17integral_constantIbLb1EES12_IbLb0EEEEDaSY_SZ_EUlSY_E_NS1_11comp_targetILNS1_3genE3ELNS1_11target_archE908ELNS1_3gpuE7ELNS1_3repE0EEENS1_30default_config_static_selectorELNS0_4arch9wavefront6targetE0EEEvT1_
	.p2align	8
	.type	_ZN7rocprim17ROCPRIM_400000_NS6detail17trampoline_kernelINS0_14default_configENS1_27scan_by_key_config_selectorIj11FixedVectorIiLj2EEEEZZNS1_16scan_by_key_implILNS1_25lookback_scan_determinismE0ELb0ES3_N6thrust23THRUST_200600_302600_NS6detail15normal_iteratorINSB_10device_ptrIjEEEENSD_INSE_IS6_EEEESI_S6_NSB_4plusIvEENSB_8equal_toIvEES6_EE10hipError_tPvRmT2_T3_T4_T5_mT6_T7_P12ihipStream_tbENKUlT_T0_E_clISt17integral_constantIbLb1EES12_IbLb0EEEEDaSY_SZ_EUlSY_E_NS1_11comp_targetILNS1_3genE3ELNS1_11target_archE908ELNS1_3gpuE7ELNS1_3repE0EEENS1_30default_config_static_selectorELNS0_4arch9wavefront6targetE0EEEvT1_,@function
_ZN7rocprim17ROCPRIM_400000_NS6detail17trampoline_kernelINS0_14default_configENS1_27scan_by_key_config_selectorIj11FixedVectorIiLj2EEEEZZNS1_16scan_by_key_implILNS1_25lookback_scan_determinismE0ELb0ES3_N6thrust23THRUST_200600_302600_NS6detail15normal_iteratorINSB_10device_ptrIjEEEENSD_INSE_IS6_EEEESI_S6_NSB_4plusIvEENSB_8equal_toIvEES6_EE10hipError_tPvRmT2_T3_T4_T5_mT6_T7_P12ihipStream_tbENKUlT_T0_E_clISt17integral_constantIbLb1EES12_IbLb0EEEEDaSY_SZ_EUlSY_E_NS1_11comp_targetILNS1_3genE3ELNS1_11target_archE908ELNS1_3gpuE7ELNS1_3repE0EEENS1_30default_config_static_selectorELNS0_4arch9wavefront6targetE0EEEvT1_: ; @_ZN7rocprim17ROCPRIM_400000_NS6detail17trampoline_kernelINS0_14default_configENS1_27scan_by_key_config_selectorIj11FixedVectorIiLj2EEEEZZNS1_16scan_by_key_implILNS1_25lookback_scan_determinismE0ELb0ES3_N6thrust23THRUST_200600_302600_NS6detail15normal_iteratorINSB_10device_ptrIjEEEENSD_INSE_IS6_EEEESI_S6_NSB_4plusIvEENSB_8equal_toIvEES6_EE10hipError_tPvRmT2_T3_T4_T5_mT6_T7_P12ihipStream_tbENKUlT_T0_E_clISt17integral_constantIbLb1EES12_IbLb0EEEEDaSY_SZ_EUlSY_E_NS1_11comp_targetILNS1_3genE3ELNS1_11target_archE908ELNS1_3gpuE7ELNS1_3repE0EEENS1_30default_config_static_selectorELNS0_4arch9wavefront6targetE0EEEvT1_
; %bb.0:
	.section	.rodata,"a",@progbits
	.p2align	6, 0x0
	.amdhsa_kernel _ZN7rocprim17ROCPRIM_400000_NS6detail17trampoline_kernelINS0_14default_configENS1_27scan_by_key_config_selectorIj11FixedVectorIiLj2EEEEZZNS1_16scan_by_key_implILNS1_25lookback_scan_determinismE0ELb0ES3_N6thrust23THRUST_200600_302600_NS6detail15normal_iteratorINSB_10device_ptrIjEEEENSD_INSE_IS6_EEEESI_S6_NSB_4plusIvEENSB_8equal_toIvEES6_EE10hipError_tPvRmT2_T3_T4_T5_mT6_T7_P12ihipStream_tbENKUlT_T0_E_clISt17integral_constantIbLb1EES12_IbLb0EEEEDaSY_SZ_EUlSY_E_NS1_11comp_targetILNS1_3genE3ELNS1_11target_archE908ELNS1_3gpuE7ELNS1_3repE0EEENS1_30default_config_static_selectorELNS0_4arch9wavefront6targetE0EEEvT1_
		.amdhsa_group_segment_fixed_size 0
		.amdhsa_private_segment_fixed_size 0
		.amdhsa_kernarg_size 120
		.amdhsa_user_sgpr_count 2
		.amdhsa_user_sgpr_dispatch_ptr 0
		.amdhsa_user_sgpr_queue_ptr 0
		.amdhsa_user_sgpr_kernarg_segment_ptr 1
		.amdhsa_user_sgpr_dispatch_id 0
		.amdhsa_user_sgpr_kernarg_preload_length 0
		.amdhsa_user_sgpr_kernarg_preload_offset 0
		.amdhsa_user_sgpr_private_segment_size 0
		.amdhsa_wavefront_size32 1
		.amdhsa_uses_dynamic_stack 0
		.amdhsa_enable_private_segment 0
		.amdhsa_system_sgpr_workgroup_id_x 1
		.amdhsa_system_sgpr_workgroup_id_y 0
		.amdhsa_system_sgpr_workgroup_id_z 0
		.amdhsa_system_sgpr_workgroup_info 0
		.amdhsa_system_vgpr_workitem_id 0
		.amdhsa_next_free_vgpr 1
		.amdhsa_next_free_sgpr 1
		.amdhsa_named_barrier_count 0
		.amdhsa_reserve_vcc 0
		.amdhsa_float_round_mode_32 0
		.amdhsa_float_round_mode_16_64 0
		.amdhsa_float_denorm_mode_32 3
		.amdhsa_float_denorm_mode_16_64 3
		.amdhsa_fp16_overflow 0
		.amdhsa_memory_ordered 1
		.amdhsa_forward_progress 1
		.amdhsa_inst_pref_size 0
		.amdhsa_round_robin_scheduling 0
		.amdhsa_exception_fp_ieee_invalid_op 0
		.amdhsa_exception_fp_denorm_src 0
		.amdhsa_exception_fp_ieee_div_zero 0
		.amdhsa_exception_fp_ieee_overflow 0
		.amdhsa_exception_fp_ieee_underflow 0
		.amdhsa_exception_fp_ieee_inexact 0
		.amdhsa_exception_int_div_zero 0
	.end_amdhsa_kernel
	.section	.text._ZN7rocprim17ROCPRIM_400000_NS6detail17trampoline_kernelINS0_14default_configENS1_27scan_by_key_config_selectorIj11FixedVectorIiLj2EEEEZZNS1_16scan_by_key_implILNS1_25lookback_scan_determinismE0ELb0ES3_N6thrust23THRUST_200600_302600_NS6detail15normal_iteratorINSB_10device_ptrIjEEEENSD_INSE_IS6_EEEESI_S6_NSB_4plusIvEENSB_8equal_toIvEES6_EE10hipError_tPvRmT2_T3_T4_T5_mT6_T7_P12ihipStream_tbENKUlT_T0_E_clISt17integral_constantIbLb1EES12_IbLb0EEEEDaSY_SZ_EUlSY_E_NS1_11comp_targetILNS1_3genE3ELNS1_11target_archE908ELNS1_3gpuE7ELNS1_3repE0EEENS1_30default_config_static_selectorELNS0_4arch9wavefront6targetE0EEEvT1_,"axG",@progbits,_ZN7rocprim17ROCPRIM_400000_NS6detail17trampoline_kernelINS0_14default_configENS1_27scan_by_key_config_selectorIj11FixedVectorIiLj2EEEEZZNS1_16scan_by_key_implILNS1_25lookback_scan_determinismE0ELb0ES3_N6thrust23THRUST_200600_302600_NS6detail15normal_iteratorINSB_10device_ptrIjEEEENSD_INSE_IS6_EEEESI_S6_NSB_4plusIvEENSB_8equal_toIvEES6_EE10hipError_tPvRmT2_T3_T4_T5_mT6_T7_P12ihipStream_tbENKUlT_T0_E_clISt17integral_constantIbLb1EES12_IbLb0EEEEDaSY_SZ_EUlSY_E_NS1_11comp_targetILNS1_3genE3ELNS1_11target_archE908ELNS1_3gpuE7ELNS1_3repE0EEENS1_30default_config_static_selectorELNS0_4arch9wavefront6targetE0EEEvT1_,comdat
.Lfunc_end1977:
	.size	_ZN7rocprim17ROCPRIM_400000_NS6detail17trampoline_kernelINS0_14default_configENS1_27scan_by_key_config_selectorIj11FixedVectorIiLj2EEEEZZNS1_16scan_by_key_implILNS1_25lookback_scan_determinismE0ELb0ES3_N6thrust23THRUST_200600_302600_NS6detail15normal_iteratorINSB_10device_ptrIjEEEENSD_INSE_IS6_EEEESI_S6_NSB_4plusIvEENSB_8equal_toIvEES6_EE10hipError_tPvRmT2_T3_T4_T5_mT6_T7_P12ihipStream_tbENKUlT_T0_E_clISt17integral_constantIbLb1EES12_IbLb0EEEEDaSY_SZ_EUlSY_E_NS1_11comp_targetILNS1_3genE3ELNS1_11target_archE908ELNS1_3gpuE7ELNS1_3repE0EEENS1_30default_config_static_selectorELNS0_4arch9wavefront6targetE0EEEvT1_, .Lfunc_end1977-_ZN7rocprim17ROCPRIM_400000_NS6detail17trampoline_kernelINS0_14default_configENS1_27scan_by_key_config_selectorIj11FixedVectorIiLj2EEEEZZNS1_16scan_by_key_implILNS1_25lookback_scan_determinismE0ELb0ES3_N6thrust23THRUST_200600_302600_NS6detail15normal_iteratorINSB_10device_ptrIjEEEENSD_INSE_IS6_EEEESI_S6_NSB_4plusIvEENSB_8equal_toIvEES6_EE10hipError_tPvRmT2_T3_T4_T5_mT6_T7_P12ihipStream_tbENKUlT_T0_E_clISt17integral_constantIbLb1EES12_IbLb0EEEEDaSY_SZ_EUlSY_E_NS1_11comp_targetILNS1_3genE3ELNS1_11target_archE908ELNS1_3gpuE7ELNS1_3repE0EEENS1_30default_config_static_selectorELNS0_4arch9wavefront6targetE0EEEvT1_
                                        ; -- End function
	.set _ZN7rocprim17ROCPRIM_400000_NS6detail17trampoline_kernelINS0_14default_configENS1_27scan_by_key_config_selectorIj11FixedVectorIiLj2EEEEZZNS1_16scan_by_key_implILNS1_25lookback_scan_determinismE0ELb0ES3_N6thrust23THRUST_200600_302600_NS6detail15normal_iteratorINSB_10device_ptrIjEEEENSD_INSE_IS6_EEEESI_S6_NSB_4plusIvEENSB_8equal_toIvEES6_EE10hipError_tPvRmT2_T3_T4_T5_mT6_T7_P12ihipStream_tbENKUlT_T0_E_clISt17integral_constantIbLb1EES12_IbLb0EEEEDaSY_SZ_EUlSY_E_NS1_11comp_targetILNS1_3genE3ELNS1_11target_archE908ELNS1_3gpuE7ELNS1_3repE0EEENS1_30default_config_static_selectorELNS0_4arch9wavefront6targetE0EEEvT1_.num_vgpr, 0
	.set _ZN7rocprim17ROCPRIM_400000_NS6detail17trampoline_kernelINS0_14default_configENS1_27scan_by_key_config_selectorIj11FixedVectorIiLj2EEEEZZNS1_16scan_by_key_implILNS1_25lookback_scan_determinismE0ELb0ES3_N6thrust23THRUST_200600_302600_NS6detail15normal_iteratorINSB_10device_ptrIjEEEENSD_INSE_IS6_EEEESI_S6_NSB_4plusIvEENSB_8equal_toIvEES6_EE10hipError_tPvRmT2_T3_T4_T5_mT6_T7_P12ihipStream_tbENKUlT_T0_E_clISt17integral_constantIbLb1EES12_IbLb0EEEEDaSY_SZ_EUlSY_E_NS1_11comp_targetILNS1_3genE3ELNS1_11target_archE908ELNS1_3gpuE7ELNS1_3repE0EEENS1_30default_config_static_selectorELNS0_4arch9wavefront6targetE0EEEvT1_.num_agpr, 0
	.set _ZN7rocprim17ROCPRIM_400000_NS6detail17trampoline_kernelINS0_14default_configENS1_27scan_by_key_config_selectorIj11FixedVectorIiLj2EEEEZZNS1_16scan_by_key_implILNS1_25lookback_scan_determinismE0ELb0ES3_N6thrust23THRUST_200600_302600_NS6detail15normal_iteratorINSB_10device_ptrIjEEEENSD_INSE_IS6_EEEESI_S6_NSB_4plusIvEENSB_8equal_toIvEES6_EE10hipError_tPvRmT2_T3_T4_T5_mT6_T7_P12ihipStream_tbENKUlT_T0_E_clISt17integral_constantIbLb1EES12_IbLb0EEEEDaSY_SZ_EUlSY_E_NS1_11comp_targetILNS1_3genE3ELNS1_11target_archE908ELNS1_3gpuE7ELNS1_3repE0EEENS1_30default_config_static_selectorELNS0_4arch9wavefront6targetE0EEEvT1_.numbered_sgpr, 0
	.set _ZN7rocprim17ROCPRIM_400000_NS6detail17trampoline_kernelINS0_14default_configENS1_27scan_by_key_config_selectorIj11FixedVectorIiLj2EEEEZZNS1_16scan_by_key_implILNS1_25lookback_scan_determinismE0ELb0ES3_N6thrust23THRUST_200600_302600_NS6detail15normal_iteratorINSB_10device_ptrIjEEEENSD_INSE_IS6_EEEESI_S6_NSB_4plusIvEENSB_8equal_toIvEES6_EE10hipError_tPvRmT2_T3_T4_T5_mT6_T7_P12ihipStream_tbENKUlT_T0_E_clISt17integral_constantIbLb1EES12_IbLb0EEEEDaSY_SZ_EUlSY_E_NS1_11comp_targetILNS1_3genE3ELNS1_11target_archE908ELNS1_3gpuE7ELNS1_3repE0EEENS1_30default_config_static_selectorELNS0_4arch9wavefront6targetE0EEEvT1_.num_named_barrier, 0
	.set _ZN7rocprim17ROCPRIM_400000_NS6detail17trampoline_kernelINS0_14default_configENS1_27scan_by_key_config_selectorIj11FixedVectorIiLj2EEEEZZNS1_16scan_by_key_implILNS1_25lookback_scan_determinismE0ELb0ES3_N6thrust23THRUST_200600_302600_NS6detail15normal_iteratorINSB_10device_ptrIjEEEENSD_INSE_IS6_EEEESI_S6_NSB_4plusIvEENSB_8equal_toIvEES6_EE10hipError_tPvRmT2_T3_T4_T5_mT6_T7_P12ihipStream_tbENKUlT_T0_E_clISt17integral_constantIbLb1EES12_IbLb0EEEEDaSY_SZ_EUlSY_E_NS1_11comp_targetILNS1_3genE3ELNS1_11target_archE908ELNS1_3gpuE7ELNS1_3repE0EEENS1_30default_config_static_selectorELNS0_4arch9wavefront6targetE0EEEvT1_.private_seg_size, 0
	.set _ZN7rocprim17ROCPRIM_400000_NS6detail17trampoline_kernelINS0_14default_configENS1_27scan_by_key_config_selectorIj11FixedVectorIiLj2EEEEZZNS1_16scan_by_key_implILNS1_25lookback_scan_determinismE0ELb0ES3_N6thrust23THRUST_200600_302600_NS6detail15normal_iteratorINSB_10device_ptrIjEEEENSD_INSE_IS6_EEEESI_S6_NSB_4plusIvEENSB_8equal_toIvEES6_EE10hipError_tPvRmT2_T3_T4_T5_mT6_T7_P12ihipStream_tbENKUlT_T0_E_clISt17integral_constantIbLb1EES12_IbLb0EEEEDaSY_SZ_EUlSY_E_NS1_11comp_targetILNS1_3genE3ELNS1_11target_archE908ELNS1_3gpuE7ELNS1_3repE0EEENS1_30default_config_static_selectorELNS0_4arch9wavefront6targetE0EEEvT1_.uses_vcc, 0
	.set _ZN7rocprim17ROCPRIM_400000_NS6detail17trampoline_kernelINS0_14default_configENS1_27scan_by_key_config_selectorIj11FixedVectorIiLj2EEEEZZNS1_16scan_by_key_implILNS1_25lookback_scan_determinismE0ELb0ES3_N6thrust23THRUST_200600_302600_NS6detail15normal_iteratorINSB_10device_ptrIjEEEENSD_INSE_IS6_EEEESI_S6_NSB_4plusIvEENSB_8equal_toIvEES6_EE10hipError_tPvRmT2_T3_T4_T5_mT6_T7_P12ihipStream_tbENKUlT_T0_E_clISt17integral_constantIbLb1EES12_IbLb0EEEEDaSY_SZ_EUlSY_E_NS1_11comp_targetILNS1_3genE3ELNS1_11target_archE908ELNS1_3gpuE7ELNS1_3repE0EEENS1_30default_config_static_selectorELNS0_4arch9wavefront6targetE0EEEvT1_.uses_flat_scratch, 0
	.set _ZN7rocprim17ROCPRIM_400000_NS6detail17trampoline_kernelINS0_14default_configENS1_27scan_by_key_config_selectorIj11FixedVectorIiLj2EEEEZZNS1_16scan_by_key_implILNS1_25lookback_scan_determinismE0ELb0ES3_N6thrust23THRUST_200600_302600_NS6detail15normal_iteratorINSB_10device_ptrIjEEEENSD_INSE_IS6_EEEESI_S6_NSB_4plusIvEENSB_8equal_toIvEES6_EE10hipError_tPvRmT2_T3_T4_T5_mT6_T7_P12ihipStream_tbENKUlT_T0_E_clISt17integral_constantIbLb1EES12_IbLb0EEEEDaSY_SZ_EUlSY_E_NS1_11comp_targetILNS1_3genE3ELNS1_11target_archE908ELNS1_3gpuE7ELNS1_3repE0EEENS1_30default_config_static_selectorELNS0_4arch9wavefront6targetE0EEEvT1_.has_dyn_sized_stack, 0
	.set _ZN7rocprim17ROCPRIM_400000_NS6detail17trampoline_kernelINS0_14default_configENS1_27scan_by_key_config_selectorIj11FixedVectorIiLj2EEEEZZNS1_16scan_by_key_implILNS1_25lookback_scan_determinismE0ELb0ES3_N6thrust23THRUST_200600_302600_NS6detail15normal_iteratorINSB_10device_ptrIjEEEENSD_INSE_IS6_EEEESI_S6_NSB_4plusIvEENSB_8equal_toIvEES6_EE10hipError_tPvRmT2_T3_T4_T5_mT6_T7_P12ihipStream_tbENKUlT_T0_E_clISt17integral_constantIbLb1EES12_IbLb0EEEEDaSY_SZ_EUlSY_E_NS1_11comp_targetILNS1_3genE3ELNS1_11target_archE908ELNS1_3gpuE7ELNS1_3repE0EEENS1_30default_config_static_selectorELNS0_4arch9wavefront6targetE0EEEvT1_.has_recursion, 0
	.set _ZN7rocprim17ROCPRIM_400000_NS6detail17trampoline_kernelINS0_14default_configENS1_27scan_by_key_config_selectorIj11FixedVectorIiLj2EEEEZZNS1_16scan_by_key_implILNS1_25lookback_scan_determinismE0ELb0ES3_N6thrust23THRUST_200600_302600_NS6detail15normal_iteratorINSB_10device_ptrIjEEEENSD_INSE_IS6_EEEESI_S6_NSB_4plusIvEENSB_8equal_toIvEES6_EE10hipError_tPvRmT2_T3_T4_T5_mT6_T7_P12ihipStream_tbENKUlT_T0_E_clISt17integral_constantIbLb1EES12_IbLb0EEEEDaSY_SZ_EUlSY_E_NS1_11comp_targetILNS1_3genE3ELNS1_11target_archE908ELNS1_3gpuE7ELNS1_3repE0EEENS1_30default_config_static_selectorELNS0_4arch9wavefront6targetE0EEEvT1_.has_indirect_call, 0
	.section	.AMDGPU.csdata,"",@progbits
; Kernel info:
; codeLenInByte = 0
; TotalNumSgprs: 0
; NumVgprs: 0
; ScratchSize: 0
; MemoryBound: 0
; FloatMode: 240
; IeeeMode: 1
; LDSByteSize: 0 bytes/workgroup (compile time only)
; SGPRBlocks: 0
; VGPRBlocks: 0
; NumSGPRsForWavesPerEU: 1
; NumVGPRsForWavesPerEU: 1
; NamedBarCnt: 0
; Occupancy: 16
; WaveLimiterHint : 0
; COMPUTE_PGM_RSRC2:SCRATCH_EN: 0
; COMPUTE_PGM_RSRC2:USER_SGPR: 2
; COMPUTE_PGM_RSRC2:TRAP_HANDLER: 0
; COMPUTE_PGM_RSRC2:TGID_X_EN: 1
; COMPUTE_PGM_RSRC2:TGID_Y_EN: 0
; COMPUTE_PGM_RSRC2:TGID_Z_EN: 0
; COMPUTE_PGM_RSRC2:TIDIG_COMP_CNT: 0
	.section	.text._ZN7rocprim17ROCPRIM_400000_NS6detail17trampoline_kernelINS0_14default_configENS1_27scan_by_key_config_selectorIj11FixedVectorIiLj2EEEEZZNS1_16scan_by_key_implILNS1_25lookback_scan_determinismE0ELb0ES3_N6thrust23THRUST_200600_302600_NS6detail15normal_iteratorINSB_10device_ptrIjEEEENSD_INSE_IS6_EEEESI_S6_NSB_4plusIvEENSB_8equal_toIvEES6_EE10hipError_tPvRmT2_T3_T4_T5_mT6_T7_P12ihipStream_tbENKUlT_T0_E_clISt17integral_constantIbLb1EES12_IbLb0EEEEDaSY_SZ_EUlSY_E_NS1_11comp_targetILNS1_3genE2ELNS1_11target_archE906ELNS1_3gpuE6ELNS1_3repE0EEENS1_30default_config_static_selectorELNS0_4arch9wavefront6targetE0EEEvT1_,"axG",@progbits,_ZN7rocprim17ROCPRIM_400000_NS6detail17trampoline_kernelINS0_14default_configENS1_27scan_by_key_config_selectorIj11FixedVectorIiLj2EEEEZZNS1_16scan_by_key_implILNS1_25lookback_scan_determinismE0ELb0ES3_N6thrust23THRUST_200600_302600_NS6detail15normal_iteratorINSB_10device_ptrIjEEEENSD_INSE_IS6_EEEESI_S6_NSB_4plusIvEENSB_8equal_toIvEES6_EE10hipError_tPvRmT2_T3_T4_T5_mT6_T7_P12ihipStream_tbENKUlT_T0_E_clISt17integral_constantIbLb1EES12_IbLb0EEEEDaSY_SZ_EUlSY_E_NS1_11comp_targetILNS1_3genE2ELNS1_11target_archE906ELNS1_3gpuE6ELNS1_3repE0EEENS1_30default_config_static_selectorELNS0_4arch9wavefront6targetE0EEEvT1_,comdat
	.protected	_ZN7rocprim17ROCPRIM_400000_NS6detail17trampoline_kernelINS0_14default_configENS1_27scan_by_key_config_selectorIj11FixedVectorIiLj2EEEEZZNS1_16scan_by_key_implILNS1_25lookback_scan_determinismE0ELb0ES3_N6thrust23THRUST_200600_302600_NS6detail15normal_iteratorINSB_10device_ptrIjEEEENSD_INSE_IS6_EEEESI_S6_NSB_4plusIvEENSB_8equal_toIvEES6_EE10hipError_tPvRmT2_T3_T4_T5_mT6_T7_P12ihipStream_tbENKUlT_T0_E_clISt17integral_constantIbLb1EES12_IbLb0EEEEDaSY_SZ_EUlSY_E_NS1_11comp_targetILNS1_3genE2ELNS1_11target_archE906ELNS1_3gpuE6ELNS1_3repE0EEENS1_30default_config_static_selectorELNS0_4arch9wavefront6targetE0EEEvT1_ ; -- Begin function _ZN7rocprim17ROCPRIM_400000_NS6detail17trampoline_kernelINS0_14default_configENS1_27scan_by_key_config_selectorIj11FixedVectorIiLj2EEEEZZNS1_16scan_by_key_implILNS1_25lookback_scan_determinismE0ELb0ES3_N6thrust23THRUST_200600_302600_NS6detail15normal_iteratorINSB_10device_ptrIjEEEENSD_INSE_IS6_EEEESI_S6_NSB_4plusIvEENSB_8equal_toIvEES6_EE10hipError_tPvRmT2_T3_T4_T5_mT6_T7_P12ihipStream_tbENKUlT_T0_E_clISt17integral_constantIbLb1EES12_IbLb0EEEEDaSY_SZ_EUlSY_E_NS1_11comp_targetILNS1_3genE2ELNS1_11target_archE906ELNS1_3gpuE6ELNS1_3repE0EEENS1_30default_config_static_selectorELNS0_4arch9wavefront6targetE0EEEvT1_
	.globl	_ZN7rocprim17ROCPRIM_400000_NS6detail17trampoline_kernelINS0_14default_configENS1_27scan_by_key_config_selectorIj11FixedVectorIiLj2EEEEZZNS1_16scan_by_key_implILNS1_25lookback_scan_determinismE0ELb0ES3_N6thrust23THRUST_200600_302600_NS6detail15normal_iteratorINSB_10device_ptrIjEEEENSD_INSE_IS6_EEEESI_S6_NSB_4plusIvEENSB_8equal_toIvEES6_EE10hipError_tPvRmT2_T3_T4_T5_mT6_T7_P12ihipStream_tbENKUlT_T0_E_clISt17integral_constantIbLb1EES12_IbLb0EEEEDaSY_SZ_EUlSY_E_NS1_11comp_targetILNS1_3genE2ELNS1_11target_archE906ELNS1_3gpuE6ELNS1_3repE0EEENS1_30default_config_static_selectorELNS0_4arch9wavefront6targetE0EEEvT1_
	.p2align	8
	.type	_ZN7rocprim17ROCPRIM_400000_NS6detail17trampoline_kernelINS0_14default_configENS1_27scan_by_key_config_selectorIj11FixedVectorIiLj2EEEEZZNS1_16scan_by_key_implILNS1_25lookback_scan_determinismE0ELb0ES3_N6thrust23THRUST_200600_302600_NS6detail15normal_iteratorINSB_10device_ptrIjEEEENSD_INSE_IS6_EEEESI_S6_NSB_4plusIvEENSB_8equal_toIvEES6_EE10hipError_tPvRmT2_T3_T4_T5_mT6_T7_P12ihipStream_tbENKUlT_T0_E_clISt17integral_constantIbLb1EES12_IbLb0EEEEDaSY_SZ_EUlSY_E_NS1_11comp_targetILNS1_3genE2ELNS1_11target_archE906ELNS1_3gpuE6ELNS1_3repE0EEENS1_30default_config_static_selectorELNS0_4arch9wavefront6targetE0EEEvT1_,@function
_ZN7rocprim17ROCPRIM_400000_NS6detail17trampoline_kernelINS0_14default_configENS1_27scan_by_key_config_selectorIj11FixedVectorIiLj2EEEEZZNS1_16scan_by_key_implILNS1_25lookback_scan_determinismE0ELb0ES3_N6thrust23THRUST_200600_302600_NS6detail15normal_iteratorINSB_10device_ptrIjEEEENSD_INSE_IS6_EEEESI_S6_NSB_4plusIvEENSB_8equal_toIvEES6_EE10hipError_tPvRmT2_T3_T4_T5_mT6_T7_P12ihipStream_tbENKUlT_T0_E_clISt17integral_constantIbLb1EES12_IbLb0EEEEDaSY_SZ_EUlSY_E_NS1_11comp_targetILNS1_3genE2ELNS1_11target_archE906ELNS1_3gpuE6ELNS1_3repE0EEENS1_30default_config_static_selectorELNS0_4arch9wavefront6targetE0EEEvT1_: ; @_ZN7rocprim17ROCPRIM_400000_NS6detail17trampoline_kernelINS0_14default_configENS1_27scan_by_key_config_selectorIj11FixedVectorIiLj2EEEEZZNS1_16scan_by_key_implILNS1_25lookback_scan_determinismE0ELb0ES3_N6thrust23THRUST_200600_302600_NS6detail15normal_iteratorINSB_10device_ptrIjEEEENSD_INSE_IS6_EEEESI_S6_NSB_4plusIvEENSB_8equal_toIvEES6_EE10hipError_tPvRmT2_T3_T4_T5_mT6_T7_P12ihipStream_tbENKUlT_T0_E_clISt17integral_constantIbLb1EES12_IbLb0EEEEDaSY_SZ_EUlSY_E_NS1_11comp_targetILNS1_3genE2ELNS1_11target_archE906ELNS1_3gpuE6ELNS1_3repE0EEENS1_30default_config_static_selectorELNS0_4arch9wavefront6targetE0EEEvT1_
; %bb.0:
	.section	.rodata,"a",@progbits
	.p2align	6, 0x0
	.amdhsa_kernel _ZN7rocprim17ROCPRIM_400000_NS6detail17trampoline_kernelINS0_14default_configENS1_27scan_by_key_config_selectorIj11FixedVectorIiLj2EEEEZZNS1_16scan_by_key_implILNS1_25lookback_scan_determinismE0ELb0ES3_N6thrust23THRUST_200600_302600_NS6detail15normal_iteratorINSB_10device_ptrIjEEEENSD_INSE_IS6_EEEESI_S6_NSB_4plusIvEENSB_8equal_toIvEES6_EE10hipError_tPvRmT2_T3_T4_T5_mT6_T7_P12ihipStream_tbENKUlT_T0_E_clISt17integral_constantIbLb1EES12_IbLb0EEEEDaSY_SZ_EUlSY_E_NS1_11comp_targetILNS1_3genE2ELNS1_11target_archE906ELNS1_3gpuE6ELNS1_3repE0EEENS1_30default_config_static_selectorELNS0_4arch9wavefront6targetE0EEEvT1_
		.amdhsa_group_segment_fixed_size 0
		.amdhsa_private_segment_fixed_size 0
		.amdhsa_kernarg_size 120
		.amdhsa_user_sgpr_count 2
		.amdhsa_user_sgpr_dispatch_ptr 0
		.amdhsa_user_sgpr_queue_ptr 0
		.amdhsa_user_sgpr_kernarg_segment_ptr 1
		.amdhsa_user_sgpr_dispatch_id 0
		.amdhsa_user_sgpr_kernarg_preload_length 0
		.amdhsa_user_sgpr_kernarg_preload_offset 0
		.amdhsa_user_sgpr_private_segment_size 0
		.amdhsa_wavefront_size32 1
		.amdhsa_uses_dynamic_stack 0
		.amdhsa_enable_private_segment 0
		.amdhsa_system_sgpr_workgroup_id_x 1
		.amdhsa_system_sgpr_workgroup_id_y 0
		.amdhsa_system_sgpr_workgroup_id_z 0
		.amdhsa_system_sgpr_workgroup_info 0
		.amdhsa_system_vgpr_workitem_id 0
		.amdhsa_next_free_vgpr 1
		.amdhsa_next_free_sgpr 1
		.amdhsa_named_barrier_count 0
		.amdhsa_reserve_vcc 0
		.amdhsa_float_round_mode_32 0
		.amdhsa_float_round_mode_16_64 0
		.amdhsa_float_denorm_mode_32 3
		.amdhsa_float_denorm_mode_16_64 3
		.amdhsa_fp16_overflow 0
		.amdhsa_memory_ordered 1
		.amdhsa_forward_progress 1
		.amdhsa_inst_pref_size 0
		.amdhsa_round_robin_scheduling 0
		.amdhsa_exception_fp_ieee_invalid_op 0
		.amdhsa_exception_fp_denorm_src 0
		.amdhsa_exception_fp_ieee_div_zero 0
		.amdhsa_exception_fp_ieee_overflow 0
		.amdhsa_exception_fp_ieee_underflow 0
		.amdhsa_exception_fp_ieee_inexact 0
		.amdhsa_exception_int_div_zero 0
	.end_amdhsa_kernel
	.section	.text._ZN7rocprim17ROCPRIM_400000_NS6detail17trampoline_kernelINS0_14default_configENS1_27scan_by_key_config_selectorIj11FixedVectorIiLj2EEEEZZNS1_16scan_by_key_implILNS1_25lookback_scan_determinismE0ELb0ES3_N6thrust23THRUST_200600_302600_NS6detail15normal_iteratorINSB_10device_ptrIjEEEENSD_INSE_IS6_EEEESI_S6_NSB_4plusIvEENSB_8equal_toIvEES6_EE10hipError_tPvRmT2_T3_T4_T5_mT6_T7_P12ihipStream_tbENKUlT_T0_E_clISt17integral_constantIbLb1EES12_IbLb0EEEEDaSY_SZ_EUlSY_E_NS1_11comp_targetILNS1_3genE2ELNS1_11target_archE906ELNS1_3gpuE6ELNS1_3repE0EEENS1_30default_config_static_selectorELNS0_4arch9wavefront6targetE0EEEvT1_,"axG",@progbits,_ZN7rocprim17ROCPRIM_400000_NS6detail17trampoline_kernelINS0_14default_configENS1_27scan_by_key_config_selectorIj11FixedVectorIiLj2EEEEZZNS1_16scan_by_key_implILNS1_25lookback_scan_determinismE0ELb0ES3_N6thrust23THRUST_200600_302600_NS6detail15normal_iteratorINSB_10device_ptrIjEEEENSD_INSE_IS6_EEEESI_S6_NSB_4plusIvEENSB_8equal_toIvEES6_EE10hipError_tPvRmT2_T3_T4_T5_mT6_T7_P12ihipStream_tbENKUlT_T0_E_clISt17integral_constantIbLb1EES12_IbLb0EEEEDaSY_SZ_EUlSY_E_NS1_11comp_targetILNS1_3genE2ELNS1_11target_archE906ELNS1_3gpuE6ELNS1_3repE0EEENS1_30default_config_static_selectorELNS0_4arch9wavefront6targetE0EEEvT1_,comdat
.Lfunc_end1978:
	.size	_ZN7rocprim17ROCPRIM_400000_NS6detail17trampoline_kernelINS0_14default_configENS1_27scan_by_key_config_selectorIj11FixedVectorIiLj2EEEEZZNS1_16scan_by_key_implILNS1_25lookback_scan_determinismE0ELb0ES3_N6thrust23THRUST_200600_302600_NS6detail15normal_iteratorINSB_10device_ptrIjEEEENSD_INSE_IS6_EEEESI_S6_NSB_4plusIvEENSB_8equal_toIvEES6_EE10hipError_tPvRmT2_T3_T4_T5_mT6_T7_P12ihipStream_tbENKUlT_T0_E_clISt17integral_constantIbLb1EES12_IbLb0EEEEDaSY_SZ_EUlSY_E_NS1_11comp_targetILNS1_3genE2ELNS1_11target_archE906ELNS1_3gpuE6ELNS1_3repE0EEENS1_30default_config_static_selectorELNS0_4arch9wavefront6targetE0EEEvT1_, .Lfunc_end1978-_ZN7rocprim17ROCPRIM_400000_NS6detail17trampoline_kernelINS0_14default_configENS1_27scan_by_key_config_selectorIj11FixedVectorIiLj2EEEEZZNS1_16scan_by_key_implILNS1_25lookback_scan_determinismE0ELb0ES3_N6thrust23THRUST_200600_302600_NS6detail15normal_iteratorINSB_10device_ptrIjEEEENSD_INSE_IS6_EEEESI_S6_NSB_4plusIvEENSB_8equal_toIvEES6_EE10hipError_tPvRmT2_T3_T4_T5_mT6_T7_P12ihipStream_tbENKUlT_T0_E_clISt17integral_constantIbLb1EES12_IbLb0EEEEDaSY_SZ_EUlSY_E_NS1_11comp_targetILNS1_3genE2ELNS1_11target_archE906ELNS1_3gpuE6ELNS1_3repE0EEENS1_30default_config_static_selectorELNS0_4arch9wavefront6targetE0EEEvT1_
                                        ; -- End function
	.set _ZN7rocprim17ROCPRIM_400000_NS6detail17trampoline_kernelINS0_14default_configENS1_27scan_by_key_config_selectorIj11FixedVectorIiLj2EEEEZZNS1_16scan_by_key_implILNS1_25lookback_scan_determinismE0ELb0ES3_N6thrust23THRUST_200600_302600_NS6detail15normal_iteratorINSB_10device_ptrIjEEEENSD_INSE_IS6_EEEESI_S6_NSB_4plusIvEENSB_8equal_toIvEES6_EE10hipError_tPvRmT2_T3_T4_T5_mT6_T7_P12ihipStream_tbENKUlT_T0_E_clISt17integral_constantIbLb1EES12_IbLb0EEEEDaSY_SZ_EUlSY_E_NS1_11comp_targetILNS1_3genE2ELNS1_11target_archE906ELNS1_3gpuE6ELNS1_3repE0EEENS1_30default_config_static_selectorELNS0_4arch9wavefront6targetE0EEEvT1_.num_vgpr, 0
	.set _ZN7rocprim17ROCPRIM_400000_NS6detail17trampoline_kernelINS0_14default_configENS1_27scan_by_key_config_selectorIj11FixedVectorIiLj2EEEEZZNS1_16scan_by_key_implILNS1_25lookback_scan_determinismE0ELb0ES3_N6thrust23THRUST_200600_302600_NS6detail15normal_iteratorINSB_10device_ptrIjEEEENSD_INSE_IS6_EEEESI_S6_NSB_4plusIvEENSB_8equal_toIvEES6_EE10hipError_tPvRmT2_T3_T4_T5_mT6_T7_P12ihipStream_tbENKUlT_T0_E_clISt17integral_constantIbLb1EES12_IbLb0EEEEDaSY_SZ_EUlSY_E_NS1_11comp_targetILNS1_3genE2ELNS1_11target_archE906ELNS1_3gpuE6ELNS1_3repE0EEENS1_30default_config_static_selectorELNS0_4arch9wavefront6targetE0EEEvT1_.num_agpr, 0
	.set _ZN7rocprim17ROCPRIM_400000_NS6detail17trampoline_kernelINS0_14default_configENS1_27scan_by_key_config_selectorIj11FixedVectorIiLj2EEEEZZNS1_16scan_by_key_implILNS1_25lookback_scan_determinismE0ELb0ES3_N6thrust23THRUST_200600_302600_NS6detail15normal_iteratorINSB_10device_ptrIjEEEENSD_INSE_IS6_EEEESI_S6_NSB_4plusIvEENSB_8equal_toIvEES6_EE10hipError_tPvRmT2_T3_T4_T5_mT6_T7_P12ihipStream_tbENKUlT_T0_E_clISt17integral_constantIbLb1EES12_IbLb0EEEEDaSY_SZ_EUlSY_E_NS1_11comp_targetILNS1_3genE2ELNS1_11target_archE906ELNS1_3gpuE6ELNS1_3repE0EEENS1_30default_config_static_selectorELNS0_4arch9wavefront6targetE0EEEvT1_.numbered_sgpr, 0
	.set _ZN7rocprim17ROCPRIM_400000_NS6detail17trampoline_kernelINS0_14default_configENS1_27scan_by_key_config_selectorIj11FixedVectorIiLj2EEEEZZNS1_16scan_by_key_implILNS1_25lookback_scan_determinismE0ELb0ES3_N6thrust23THRUST_200600_302600_NS6detail15normal_iteratorINSB_10device_ptrIjEEEENSD_INSE_IS6_EEEESI_S6_NSB_4plusIvEENSB_8equal_toIvEES6_EE10hipError_tPvRmT2_T3_T4_T5_mT6_T7_P12ihipStream_tbENKUlT_T0_E_clISt17integral_constantIbLb1EES12_IbLb0EEEEDaSY_SZ_EUlSY_E_NS1_11comp_targetILNS1_3genE2ELNS1_11target_archE906ELNS1_3gpuE6ELNS1_3repE0EEENS1_30default_config_static_selectorELNS0_4arch9wavefront6targetE0EEEvT1_.num_named_barrier, 0
	.set _ZN7rocprim17ROCPRIM_400000_NS6detail17trampoline_kernelINS0_14default_configENS1_27scan_by_key_config_selectorIj11FixedVectorIiLj2EEEEZZNS1_16scan_by_key_implILNS1_25lookback_scan_determinismE0ELb0ES3_N6thrust23THRUST_200600_302600_NS6detail15normal_iteratorINSB_10device_ptrIjEEEENSD_INSE_IS6_EEEESI_S6_NSB_4plusIvEENSB_8equal_toIvEES6_EE10hipError_tPvRmT2_T3_T4_T5_mT6_T7_P12ihipStream_tbENKUlT_T0_E_clISt17integral_constantIbLb1EES12_IbLb0EEEEDaSY_SZ_EUlSY_E_NS1_11comp_targetILNS1_3genE2ELNS1_11target_archE906ELNS1_3gpuE6ELNS1_3repE0EEENS1_30default_config_static_selectorELNS0_4arch9wavefront6targetE0EEEvT1_.private_seg_size, 0
	.set _ZN7rocprim17ROCPRIM_400000_NS6detail17trampoline_kernelINS0_14default_configENS1_27scan_by_key_config_selectorIj11FixedVectorIiLj2EEEEZZNS1_16scan_by_key_implILNS1_25lookback_scan_determinismE0ELb0ES3_N6thrust23THRUST_200600_302600_NS6detail15normal_iteratorINSB_10device_ptrIjEEEENSD_INSE_IS6_EEEESI_S6_NSB_4plusIvEENSB_8equal_toIvEES6_EE10hipError_tPvRmT2_T3_T4_T5_mT6_T7_P12ihipStream_tbENKUlT_T0_E_clISt17integral_constantIbLb1EES12_IbLb0EEEEDaSY_SZ_EUlSY_E_NS1_11comp_targetILNS1_3genE2ELNS1_11target_archE906ELNS1_3gpuE6ELNS1_3repE0EEENS1_30default_config_static_selectorELNS0_4arch9wavefront6targetE0EEEvT1_.uses_vcc, 0
	.set _ZN7rocprim17ROCPRIM_400000_NS6detail17trampoline_kernelINS0_14default_configENS1_27scan_by_key_config_selectorIj11FixedVectorIiLj2EEEEZZNS1_16scan_by_key_implILNS1_25lookback_scan_determinismE0ELb0ES3_N6thrust23THRUST_200600_302600_NS6detail15normal_iteratorINSB_10device_ptrIjEEEENSD_INSE_IS6_EEEESI_S6_NSB_4plusIvEENSB_8equal_toIvEES6_EE10hipError_tPvRmT2_T3_T4_T5_mT6_T7_P12ihipStream_tbENKUlT_T0_E_clISt17integral_constantIbLb1EES12_IbLb0EEEEDaSY_SZ_EUlSY_E_NS1_11comp_targetILNS1_3genE2ELNS1_11target_archE906ELNS1_3gpuE6ELNS1_3repE0EEENS1_30default_config_static_selectorELNS0_4arch9wavefront6targetE0EEEvT1_.uses_flat_scratch, 0
	.set _ZN7rocprim17ROCPRIM_400000_NS6detail17trampoline_kernelINS0_14default_configENS1_27scan_by_key_config_selectorIj11FixedVectorIiLj2EEEEZZNS1_16scan_by_key_implILNS1_25lookback_scan_determinismE0ELb0ES3_N6thrust23THRUST_200600_302600_NS6detail15normal_iteratorINSB_10device_ptrIjEEEENSD_INSE_IS6_EEEESI_S6_NSB_4plusIvEENSB_8equal_toIvEES6_EE10hipError_tPvRmT2_T3_T4_T5_mT6_T7_P12ihipStream_tbENKUlT_T0_E_clISt17integral_constantIbLb1EES12_IbLb0EEEEDaSY_SZ_EUlSY_E_NS1_11comp_targetILNS1_3genE2ELNS1_11target_archE906ELNS1_3gpuE6ELNS1_3repE0EEENS1_30default_config_static_selectorELNS0_4arch9wavefront6targetE0EEEvT1_.has_dyn_sized_stack, 0
	.set _ZN7rocprim17ROCPRIM_400000_NS6detail17trampoline_kernelINS0_14default_configENS1_27scan_by_key_config_selectorIj11FixedVectorIiLj2EEEEZZNS1_16scan_by_key_implILNS1_25lookback_scan_determinismE0ELb0ES3_N6thrust23THRUST_200600_302600_NS6detail15normal_iteratorINSB_10device_ptrIjEEEENSD_INSE_IS6_EEEESI_S6_NSB_4plusIvEENSB_8equal_toIvEES6_EE10hipError_tPvRmT2_T3_T4_T5_mT6_T7_P12ihipStream_tbENKUlT_T0_E_clISt17integral_constantIbLb1EES12_IbLb0EEEEDaSY_SZ_EUlSY_E_NS1_11comp_targetILNS1_3genE2ELNS1_11target_archE906ELNS1_3gpuE6ELNS1_3repE0EEENS1_30default_config_static_selectorELNS0_4arch9wavefront6targetE0EEEvT1_.has_recursion, 0
	.set _ZN7rocprim17ROCPRIM_400000_NS6detail17trampoline_kernelINS0_14default_configENS1_27scan_by_key_config_selectorIj11FixedVectorIiLj2EEEEZZNS1_16scan_by_key_implILNS1_25lookback_scan_determinismE0ELb0ES3_N6thrust23THRUST_200600_302600_NS6detail15normal_iteratorINSB_10device_ptrIjEEEENSD_INSE_IS6_EEEESI_S6_NSB_4plusIvEENSB_8equal_toIvEES6_EE10hipError_tPvRmT2_T3_T4_T5_mT6_T7_P12ihipStream_tbENKUlT_T0_E_clISt17integral_constantIbLb1EES12_IbLb0EEEEDaSY_SZ_EUlSY_E_NS1_11comp_targetILNS1_3genE2ELNS1_11target_archE906ELNS1_3gpuE6ELNS1_3repE0EEENS1_30default_config_static_selectorELNS0_4arch9wavefront6targetE0EEEvT1_.has_indirect_call, 0
	.section	.AMDGPU.csdata,"",@progbits
; Kernel info:
; codeLenInByte = 0
; TotalNumSgprs: 0
; NumVgprs: 0
; ScratchSize: 0
; MemoryBound: 0
; FloatMode: 240
; IeeeMode: 1
; LDSByteSize: 0 bytes/workgroup (compile time only)
; SGPRBlocks: 0
; VGPRBlocks: 0
; NumSGPRsForWavesPerEU: 1
; NumVGPRsForWavesPerEU: 1
; NamedBarCnt: 0
; Occupancy: 16
; WaveLimiterHint : 0
; COMPUTE_PGM_RSRC2:SCRATCH_EN: 0
; COMPUTE_PGM_RSRC2:USER_SGPR: 2
; COMPUTE_PGM_RSRC2:TRAP_HANDLER: 0
; COMPUTE_PGM_RSRC2:TGID_X_EN: 1
; COMPUTE_PGM_RSRC2:TGID_Y_EN: 0
; COMPUTE_PGM_RSRC2:TGID_Z_EN: 0
; COMPUTE_PGM_RSRC2:TIDIG_COMP_CNT: 0
	.section	.text._ZN7rocprim17ROCPRIM_400000_NS6detail17trampoline_kernelINS0_14default_configENS1_27scan_by_key_config_selectorIj11FixedVectorIiLj2EEEEZZNS1_16scan_by_key_implILNS1_25lookback_scan_determinismE0ELb0ES3_N6thrust23THRUST_200600_302600_NS6detail15normal_iteratorINSB_10device_ptrIjEEEENSD_INSE_IS6_EEEESI_S6_NSB_4plusIvEENSB_8equal_toIvEES6_EE10hipError_tPvRmT2_T3_T4_T5_mT6_T7_P12ihipStream_tbENKUlT_T0_E_clISt17integral_constantIbLb1EES12_IbLb0EEEEDaSY_SZ_EUlSY_E_NS1_11comp_targetILNS1_3genE10ELNS1_11target_archE1200ELNS1_3gpuE4ELNS1_3repE0EEENS1_30default_config_static_selectorELNS0_4arch9wavefront6targetE0EEEvT1_,"axG",@progbits,_ZN7rocprim17ROCPRIM_400000_NS6detail17trampoline_kernelINS0_14default_configENS1_27scan_by_key_config_selectorIj11FixedVectorIiLj2EEEEZZNS1_16scan_by_key_implILNS1_25lookback_scan_determinismE0ELb0ES3_N6thrust23THRUST_200600_302600_NS6detail15normal_iteratorINSB_10device_ptrIjEEEENSD_INSE_IS6_EEEESI_S6_NSB_4plusIvEENSB_8equal_toIvEES6_EE10hipError_tPvRmT2_T3_T4_T5_mT6_T7_P12ihipStream_tbENKUlT_T0_E_clISt17integral_constantIbLb1EES12_IbLb0EEEEDaSY_SZ_EUlSY_E_NS1_11comp_targetILNS1_3genE10ELNS1_11target_archE1200ELNS1_3gpuE4ELNS1_3repE0EEENS1_30default_config_static_selectorELNS0_4arch9wavefront6targetE0EEEvT1_,comdat
	.protected	_ZN7rocprim17ROCPRIM_400000_NS6detail17trampoline_kernelINS0_14default_configENS1_27scan_by_key_config_selectorIj11FixedVectorIiLj2EEEEZZNS1_16scan_by_key_implILNS1_25lookback_scan_determinismE0ELb0ES3_N6thrust23THRUST_200600_302600_NS6detail15normal_iteratorINSB_10device_ptrIjEEEENSD_INSE_IS6_EEEESI_S6_NSB_4plusIvEENSB_8equal_toIvEES6_EE10hipError_tPvRmT2_T3_T4_T5_mT6_T7_P12ihipStream_tbENKUlT_T0_E_clISt17integral_constantIbLb1EES12_IbLb0EEEEDaSY_SZ_EUlSY_E_NS1_11comp_targetILNS1_3genE10ELNS1_11target_archE1200ELNS1_3gpuE4ELNS1_3repE0EEENS1_30default_config_static_selectorELNS0_4arch9wavefront6targetE0EEEvT1_ ; -- Begin function _ZN7rocprim17ROCPRIM_400000_NS6detail17trampoline_kernelINS0_14default_configENS1_27scan_by_key_config_selectorIj11FixedVectorIiLj2EEEEZZNS1_16scan_by_key_implILNS1_25lookback_scan_determinismE0ELb0ES3_N6thrust23THRUST_200600_302600_NS6detail15normal_iteratorINSB_10device_ptrIjEEEENSD_INSE_IS6_EEEESI_S6_NSB_4plusIvEENSB_8equal_toIvEES6_EE10hipError_tPvRmT2_T3_T4_T5_mT6_T7_P12ihipStream_tbENKUlT_T0_E_clISt17integral_constantIbLb1EES12_IbLb0EEEEDaSY_SZ_EUlSY_E_NS1_11comp_targetILNS1_3genE10ELNS1_11target_archE1200ELNS1_3gpuE4ELNS1_3repE0EEENS1_30default_config_static_selectorELNS0_4arch9wavefront6targetE0EEEvT1_
	.globl	_ZN7rocprim17ROCPRIM_400000_NS6detail17trampoline_kernelINS0_14default_configENS1_27scan_by_key_config_selectorIj11FixedVectorIiLj2EEEEZZNS1_16scan_by_key_implILNS1_25lookback_scan_determinismE0ELb0ES3_N6thrust23THRUST_200600_302600_NS6detail15normal_iteratorINSB_10device_ptrIjEEEENSD_INSE_IS6_EEEESI_S6_NSB_4plusIvEENSB_8equal_toIvEES6_EE10hipError_tPvRmT2_T3_T4_T5_mT6_T7_P12ihipStream_tbENKUlT_T0_E_clISt17integral_constantIbLb1EES12_IbLb0EEEEDaSY_SZ_EUlSY_E_NS1_11comp_targetILNS1_3genE10ELNS1_11target_archE1200ELNS1_3gpuE4ELNS1_3repE0EEENS1_30default_config_static_selectorELNS0_4arch9wavefront6targetE0EEEvT1_
	.p2align	8
	.type	_ZN7rocprim17ROCPRIM_400000_NS6detail17trampoline_kernelINS0_14default_configENS1_27scan_by_key_config_selectorIj11FixedVectorIiLj2EEEEZZNS1_16scan_by_key_implILNS1_25lookback_scan_determinismE0ELb0ES3_N6thrust23THRUST_200600_302600_NS6detail15normal_iteratorINSB_10device_ptrIjEEEENSD_INSE_IS6_EEEESI_S6_NSB_4plusIvEENSB_8equal_toIvEES6_EE10hipError_tPvRmT2_T3_T4_T5_mT6_T7_P12ihipStream_tbENKUlT_T0_E_clISt17integral_constantIbLb1EES12_IbLb0EEEEDaSY_SZ_EUlSY_E_NS1_11comp_targetILNS1_3genE10ELNS1_11target_archE1200ELNS1_3gpuE4ELNS1_3repE0EEENS1_30default_config_static_selectorELNS0_4arch9wavefront6targetE0EEEvT1_,@function
_ZN7rocprim17ROCPRIM_400000_NS6detail17trampoline_kernelINS0_14default_configENS1_27scan_by_key_config_selectorIj11FixedVectorIiLj2EEEEZZNS1_16scan_by_key_implILNS1_25lookback_scan_determinismE0ELb0ES3_N6thrust23THRUST_200600_302600_NS6detail15normal_iteratorINSB_10device_ptrIjEEEENSD_INSE_IS6_EEEESI_S6_NSB_4plusIvEENSB_8equal_toIvEES6_EE10hipError_tPvRmT2_T3_T4_T5_mT6_T7_P12ihipStream_tbENKUlT_T0_E_clISt17integral_constantIbLb1EES12_IbLb0EEEEDaSY_SZ_EUlSY_E_NS1_11comp_targetILNS1_3genE10ELNS1_11target_archE1200ELNS1_3gpuE4ELNS1_3repE0EEENS1_30default_config_static_selectorELNS0_4arch9wavefront6targetE0EEEvT1_: ; @_ZN7rocprim17ROCPRIM_400000_NS6detail17trampoline_kernelINS0_14default_configENS1_27scan_by_key_config_selectorIj11FixedVectorIiLj2EEEEZZNS1_16scan_by_key_implILNS1_25lookback_scan_determinismE0ELb0ES3_N6thrust23THRUST_200600_302600_NS6detail15normal_iteratorINSB_10device_ptrIjEEEENSD_INSE_IS6_EEEESI_S6_NSB_4plusIvEENSB_8equal_toIvEES6_EE10hipError_tPvRmT2_T3_T4_T5_mT6_T7_P12ihipStream_tbENKUlT_T0_E_clISt17integral_constantIbLb1EES12_IbLb0EEEEDaSY_SZ_EUlSY_E_NS1_11comp_targetILNS1_3genE10ELNS1_11target_archE1200ELNS1_3gpuE4ELNS1_3repE0EEENS1_30default_config_static_selectorELNS0_4arch9wavefront6targetE0EEEvT1_
; %bb.0:
	.section	.rodata,"a",@progbits
	.p2align	6, 0x0
	.amdhsa_kernel _ZN7rocprim17ROCPRIM_400000_NS6detail17trampoline_kernelINS0_14default_configENS1_27scan_by_key_config_selectorIj11FixedVectorIiLj2EEEEZZNS1_16scan_by_key_implILNS1_25lookback_scan_determinismE0ELb0ES3_N6thrust23THRUST_200600_302600_NS6detail15normal_iteratorINSB_10device_ptrIjEEEENSD_INSE_IS6_EEEESI_S6_NSB_4plusIvEENSB_8equal_toIvEES6_EE10hipError_tPvRmT2_T3_T4_T5_mT6_T7_P12ihipStream_tbENKUlT_T0_E_clISt17integral_constantIbLb1EES12_IbLb0EEEEDaSY_SZ_EUlSY_E_NS1_11comp_targetILNS1_3genE10ELNS1_11target_archE1200ELNS1_3gpuE4ELNS1_3repE0EEENS1_30default_config_static_selectorELNS0_4arch9wavefront6targetE0EEEvT1_
		.amdhsa_group_segment_fixed_size 0
		.amdhsa_private_segment_fixed_size 0
		.amdhsa_kernarg_size 120
		.amdhsa_user_sgpr_count 2
		.amdhsa_user_sgpr_dispatch_ptr 0
		.amdhsa_user_sgpr_queue_ptr 0
		.amdhsa_user_sgpr_kernarg_segment_ptr 1
		.amdhsa_user_sgpr_dispatch_id 0
		.amdhsa_user_sgpr_kernarg_preload_length 0
		.amdhsa_user_sgpr_kernarg_preload_offset 0
		.amdhsa_user_sgpr_private_segment_size 0
		.amdhsa_wavefront_size32 1
		.amdhsa_uses_dynamic_stack 0
		.amdhsa_enable_private_segment 0
		.amdhsa_system_sgpr_workgroup_id_x 1
		.amdhsa_system_sgpr_workgroup_id_y 0
		.amdhsa_system_sgpr_workgroup_id_z 0
		.amdhsa_system_sgpr_workgroup_info 0
		.amdhsa_system_vgpr_workitem_id 0
		.amdhsa_next_free_vgpr 1
		.amdhsa_next_free_sgpr 1
		.amdhsa_named_barrier_count 0
		.amdhsa_reserve_vcc 0
		.amdhsa_float_round_mode_32 0
		.amdhsa_float_round_mode_16_64 0
		.amdhsa_float_denorm_mode_32 3
		.amdhsa_float_denorm_mode_16_64 3
		.amdhsa_fp16_overflow 0
		.amdhsa_memory_ordered 1
		.amdhsa_forward_progress 1
		.amdhsa_inst_pref_size 0
		.amdhsa_round_robin_scheduling 0
		.amdhsa_exception_fp_ieee_invalid_op 0
		.amdhsa_exception_fp_denorm_src 0
		.amdhsa_exception_fp_ieee_div_zero 0
		.amdhsa_exception_fp_ieee_overflow 0
		.amdhsa_exception_fp_ieee_underflow 0
		.amdhsa_exception_fp_ieee_inexact 0
		.amdhsa_exception_int_div_zero 0
	.end_amdhsa_kernel
	.section	.text._ZN7rocprim17ROCPRIM_400000_NS6detail17trampoline_kernelINS0_14default_configENS1_27scan_by_key_config_selectorIj11FixedVectorIiLj2EEEEZZNS1_16scan_by_key_implILNS1_25lookback_scan_determinismE0ELb0ES3_N6thrust23THRUST_200600_302600_NS6detail15normal_iteratorINSB_10device_ptrIjEEEENSD_INSE_IS6_EEEESI_S6_NSB_4plusIvEENSB_8equal_toIvEES6_EE10hipError_tPvRmT2_T3_T4_T5_mT6_T7_P12ihipStream_tbENKUlT_T0_E_clISt17integral_constantIbLb1EES12_IbLb0EEEEDaSY_SZ_EUlSY_E_NS1_11comp_targetILNS1_3genE10ELNS1_11target_archE1200ELNS1_3gpuE4ELNS1_3repE0EEENS1_30default_config_static_selectorELNS0_4arch9wavefront6targetE0EEEvT1_,"axG",@progbits,_ZN7rocprim17ROCPRIM_400000_NS6detail17trampoline_kernelINS0_14default_configENS1_27scan_by_key_config_selectorIj11FixedVectorIiLj2EEEEZZNS1_16scan_by_key_implILNS1_25lookback_scan_determinismE0ELb0ES3_N6thrust23THRUST_200600_302600_NS6detail15normal_iteratorINSB_10device_ptrIjEEEENSD_INSE_IS6_EEEESI_S6_NSB_4plusIvEENSB_8equal_toIvEES6_EE10hipError_tPvRmT2_T3_T4_T5_mT6_T7_P12ihipStream_tbENKUlT_T0_E_clISt17integral_constantIbLb1EES12_IbLb0EEEEDaSY_SZ_EUlSY_E_NS1_11comp_targetILNS1_3genE10ELNS1_11target_archE1200ELNS1_3gpuE4ELNS1_3repE0EEENS1_30default_config_static_selectorELNS0_4arch9wavefront6targetE0EEEvT1_,comdat
.Lfunc_end1979:
	.size	_ZN7rocprim17ROCPRIM_400000_NS6detail17trampoline_kernelINS0_14default_configENS1_27scan_by_key_config_selectorIj11FixedVectorIiLj2EEEEZZNS1_16scan_by_key_implILNS1_25lookback_scan_determinismE0ELb0ES3_N6thrust23THRUST_200600_302600_NS6detail15normal_iteratorINSB_10device_ptrIjEEEENSD_INSE_IS6_EEEESI_S6_NSB_4plusIvEENSB_8equal_toIvEES6_EE10hipError_tPvRmT2_T3_T4_T5_mT6_T7_P12ihipStream_tbENKUlT_T0_E_clISt17integral_constantIbLb1EES12_IbLb0EEEEDaSY_SZ_EUlSY_E_NS1_11comp_targetILNS1_3genE10ELNS1_11target_archE1200ELNS1_3gpuE4ELNS1_3repE0EEENS1_30default_config_static_selectorELNS0_4arch9wavefront6targetE0EEEvT1_, .Lfunc_end1979-_ZN7rocprim17ROCPRIM_400000_NS6detail17trampoline_kernelINS0_14default_configENS1_27scan_by_key_config_selectorIj11FixedVectorIiLj2EEEEZZNS1_16scan_by_key_implILNS1_25lookback_scan_determinismE0ELb0ES3_N6thrust23THRUST_200600_302600_NS6detail15normal_iteratorINSB_10device_ptrIjEEEENSD_INSE_IS6_EEEESI_S6_NSB_4plusIvEENSB_8equal_toIvEES6_EE10hipError_tPvRmT2_T3_T4_T5_mT6_T7_P12ihipStream_tbENKUlT_T0_E_clISt17integral_constantIbLb1EES12_IbLb0EEEEDaSY_SZ_EUlSY_E_NS1_11comp_targetILNS1_3genE10ELNS1_11target_archE1200ELNS1_3gpuE4ELNS1_3repE0EEENS1_30default_config_static_selectorELNS0_4arch9wavefront6targetE0EEEvT1_
                                        ; -- End function
	.set _ZN7rocprim17ROCPRIM_400000_NS6detail17trampoline_kernelINS0_14default_configENS1_27scan_by_key_config_selectorIj11FixedVectorIiLj2EEEEZZNS1_16scan_by_key_implILNS1_25lookback_scan_determinismE0ELb0ES3_N6thrust23THRUST_200600_302600_NS6detail15normal_iteratorINSB_10device_ptrIjEEEENSD_INSE_IS6_EEEESI_S6_NSB_4plusIvEENSB_8equal_toIvEES6_EE10hipError_tPvRmT2_T3_T4_T5_mT6_T7_P12ihipStream_tbENKUlT_T0_E_clISt17integral_constantIbLb1EES12_IbLb0EEEEDaSY_SZ_EUlSY_E_NS1_11comp_targetILNS1_3genE10ELNS1_11target_archE1200ELNS1_3gpuE4ELNS1_3repE0EEENS1_30default_config_static_selectorELNS0_4arch9wavefront6targetE0EEEvT1_.num_vgpr, 0
	.set _ZN7rocprim17ROCPRIM_400000_NS6detail17trampoline_kernelINS0_14default_configENS1_27scan_by_key_config_selectorIj11FixedVectorIiLj2EEEEZZNS1_16scan_by_key_implILNS1_25lookback_scan_determinismE0ELb0ES3_N6thrust23THRUST_200600_302600_NS6detail15normal_iteratorINSB_10device_ptrIjEEEENSD_INSE_IS6_EEEESI_S6_NSB_4plusIvEENSB_8equal_toIvEES6_EE10hipError_tPvRmT2_T3_T4_T5_mT6_T7_P12ihipStream_tbENKUlT_T0_E_clISt17integral_constantIbLb1EES12_IbLb0EEEEDaSY_SZ_EUlSY_E_NS1_11comp_targetILNS1_3genE10ELNS1_11target_archE1200ELNS1_3gpuE4ELNS1_3repE0EEENS1_30default_config_static_selectorELNS0_4arch9wavefront6targetE0EEEvT1_.num_agpr, 0
	.set _ZN7rocprim17ROCPRIM_400000_NS6detail17trampoline_kernelINS0_14default_configENS1_27scan_by_key_config_selectorIj11FixedVectorIiLj2EEEEZZNS1_16scan_by_key_implILNS1_25lookback_scan_determinismE0ELb0ES3_N6thrust23THRUST_200600_302600_NS6detail15normal_iteratorINSB_10device_ptrIjEEEENSD_INSE_IS6_EEEESI_S6_NSB_4plusIvEENSB_8equal_toIvEES6_EE10hipError_tPvRmT2_T3_T4_T5_mT6_T7_P12ihipStream_tbENKUlT_T0_E_clISt17integral_constantIbLb1EES12_IbLb0EEEEDaSY_SZ_EUlSY_E_NS1_11comp_targetILNS1_3genE10ELNS1_11target_archE1200ELNS1_3gpuE4ELNS1_3repE0EEENS1_30default_config_static_selectorELNS0_4arch9wavefront6targetE0EEEvT1_.numbered_sgpr, 0
	.set _ZN7rocprim17ROCPRIM_400000_NS6detail17trampoline_kernelINS0_14default_configENS1_27scan_by_key_config_selectorIj11FixedVectorIiLj2EEEEZZNS1_16scan_by_key_implILNS1_25lookback_scan_determinismE0ELb0ES3_N6thrust23THRUST_200600_302600_NS6detail15normal_iteratorINSB_10device_ptrIjEEEENSD_INSE_IS6_EEEESI_S6_NSB_4plusIvEENSB_8equal_toIvEES6_EE10hipError_tPvRmT2_T3_T4_T5_mT6_T7_P12ihipStream_tbENKUlT_T0_E_clISt17integral_constantIbLb1EES12_IbLb0EEEEDaSY_SZ_EUlSY_E_NS1_11comp_targetILNS1_3genE10ELNS1_11target_archE1200ELNS1_3gpuE4ELNS1_3repE0EEENS1_30default_config_static_selectorELNS0_4arch9wavefront6targetE0EEEvT1_.num_named_barrier, 0
	.set _ZN7rocprim17ROCPRIM_400000_NS6detail17trampoline_kernelINS0_14default_configENS1_27scan_by_key_config_selectorIj11FixedVectorIiLj2EEEEZZNS1_16scan_by_key_implILNS1_25lookback_scan_determinismE0ELb0ES3_N6thrust23THRUST_200600_302600_NS6detail15normal_iteratorINSB_10device_ptrIjEEEENSD_INSE_IS6_EEEESI_S6_NSB_4plusIvEENSB_8equal_toIvEES6_EE10hipError_tPvRmT2_T3_T4_T5_mT6_T7_P12ihipStream_tbENKUlT_T0_E_clISt17integral_constantIbLb1EES12_IbLb0EEEEDaSY_SZ_EUlSY_E_NS1_11comp_targetILNS1_3genE10ELNS1_11target_archE1200ELNS1_3gpuE4ELNS1_3repE0EEENS1_30default_config_static_selectorELNS0_4arch9wavefront6targetE0EEEvT1_.private_seg_size, 0
	.set _ZN7rocprim17ROCPRIM_400000_NS6detail17trampoline_kernelINS0_14default_configENS1_27scan_by_key_config_selectorIj11FixedVectorIiLj2EEEEZZNS1_16scan_by_key_implILNS1_25lookback_scan_determinismE0ELb0ES3_N6thrust23THRUST_200600_302600_NS6detail15normal_iteratorINSB_10device_ptrIjEEEENSD_INSE_IS6_EEEESI_S6_NSB_4plusIvEENSB_8equal_toIvEES6_EE10hipError_tPvRmT2_T3_T4_T5_mT6_T7_P12ihipStream_tbENKUlT_T0_E_clISt17integral_constantIbLb1EES12_IbLb0EEEEDaSY_SZ_EUlSY_E_NS1_11comp_targetILNS1_3genE10ELNS1_11target_archE1200ELNS1_3gpuE4ELNS1_3repE0EEENS1_30default_config_static_selectorELNS0_4arch9wavefront6targetE0EEEvT1_.uses_vcc, 0
	.set _ZN7rocprim17ROCPRIM_400000_NS6detail17trampoline_kernelINS0_14default_configENS1_27scan_by_key_config_selectorIj11FixedVectorIiLj2EEEEZZNS1_16scan_by_key_implILNS1_25lookback_scan_determinismE0ELb0ES3_N6thrust23THRUST_200600_302600_NS6detail15normal_iteratorINSB_10device_ptrIjEEEENSD_INSE_IS6_EEEESI_S6_NSB_4plusIvEENSB_8equal_toIvEES6_EE10hipError_tPvRmT2_T3_T4_T5_mT6_T7_P12ihipStream_tbENKUlT_T0_E_clISt17integral_constantIbLb1EES12_IbLb0EEEEDaSY_SZ_EUlSY_E_NS1_11comp_targetILNS1_3genE10ELNS1_11target_archE1200ELNS1_3gpuE4ELNS1_3repE0EEENS1_30default_config_static_selectorELNS0_4arch9wavefront6targetE0EEEvT1_.uses_flat_scratch, 0
	.set _ZN7rocprim17ROCPRIM_400000_NS6detail17trampoline_kernelINS0_14default_configENS1_27scan_by_key_config_selectorIj11FixedVectorIiLj2EEEEZZNS1_16scan_by_key_implILNS1_25lookback_scan_determinismE0ELb0ES3_N6thrust23THRUST_200600_302600_NS6detail15normal_iteratorINSB_10device_ptrIjEEEENSD_INSE_IS6_EEEESI_S6_NSB_4plusIvEENSB_8equal_toIvEES6_EE10hipError_tPvRmT2_T3_T4_T5_mT6_T7_P12ihipStream_tbENKUlT_T0_E_clISt17integral_constantIbLb1EES12_IbLb0EEEEDaSY_SZ_EUlSY_E_NS1_11comp_targetILNS1_3genE10ELNS1_11target_archE1200ELNS1_3gpuE4ELNS1_3repE0EEENS1_30default_config_static_selectorELNS0_4arch9wavefront6targetE0EEEvT1_.has_dyn_sized_stack, 0
	.set _ZN7rocprim17ROCPRIM_400000_NS6detail17trampoline_kernelINS0_14default_configENS1_27scan_by_key_config_selectorIj11FixedVectorIiLj2EEEEZZNS1_16scan_by_key_implILNS1_25lookback_scan_determinismE0ELb0ES3_N6thrust23THRUST_200600_302600_NS6detail15normal_iteratorINSB_10device_ptrIjEEEENSD_INSE_IS6_EEEESI_S6_NSB_4plusIvEENSB_8equal_toIvEES6_EE10hipError_tPvRmT2_T3_T4_T5_mT6_T7_P12ihipStream_tbENKUlT_T0_E_clISt17integral_constantIbLb1EES12_IbLb0EEEEDaSY_SZ_EUlSY_E_NS1_11comp_targetILNS1_3genE10ELNS1_11target_archE1200ELNS1_3gpuE4ELNS1_3repE0EEENS1_30default_config_static_selectorELNS0_4arch9wavefront6targetE0EEEvT1_.has_recursion, 0
	.set _ZN7rocprim17ROCPRIM_400000_NS6detail17trampoline_kernelINS0_14default_configENS1_27scan_by_key_config_selectorIj11FixedVectorIiLj2EEEEZZNS1_16scan_by_key_implILNS1_25lookback_scan_determinismE0ELb0ES3_N6thrust23THRUST_200600_302600_NS6detail15normal_iteratorINSB_10device_ptrIjEEEENSD_INSE_IS6_EEEESI_S6_NSB_4plusIvEENSB_8equal_toIvEES6_EE10hipError_tPvRmT2_T3_T4_T5_mT6_T7_P12ihipStream_tbENKUlT_T0_E_clISt17integral_constantIbLb1EES12_IbLb0EEEEDaSY_SZ_EUlSY_E_NS1_11comp_targetILNS1_3genE10ELNS1_11target_archE1200ELNS1_3gpuE4ELNS1_3repE0EEENS1_30default_config_static_selectorELNS0_4arch9wavefront6targetE0EEEvT1_.has_indirect_call, 0
	.section	.AMDGPU.csdata,"",@progbits
; Kernel info:
; codeLenInByte = 0
; TotalNumSgprs: 0
; NumVgprs: 0
; ScratchSize: 0
; MemoryBound: 0
; FloatMode: 240
; IeeeMode: 1
; LDSByteSize: 0 bytes/workgroup (compile time only)
; SGPRBlocks: 0
; VGPRBlocks: 0
; NumSGPRsForWavesPerEU: 1
; NumVGPRsForWavesPerEU: 1
; NamedBarCnt: 0
; Occupancy: 16
; WaveLimiterHint : 0
; COMPUTE_PGM_RSRC2:SCRATCH_EN: 0
; COMPUTE_PGM_RSRC2:USER_SGPR: 2
; COMPUTE_PGM_RSRC2:TRAP_HANDLER: 0
; COMPUTE_PGM_RSRC2:TGID_X_EN: 1
; COMPUTE_PGM_RSRC2:TGID_Y_EN: 0
; COMPUTE_PGM_RSRC2:TGID_Z_EN: 0
; COMPUTE_PGM_RSRC2:TIDIG_COMP_CNT: 0
	.section	.text._ZN7rocprim17ROCPRIM_400000_NS6detail17trampoline_kernelINS0_14default_configENS1_27scan_by_key_config_selectorIj11FixedVectorIiLj2EEEEZZNS1_16scan_by_key_implILNS1_25lookback_scan_determinismE0ELb0ES3_N6thrust23THRUST_200600_302600_NS6detail15normal_iteratorINSB_10device_ptrIjEEEENSD_INSE_IS6_EEEESI_S6_NSB_4plusIvEENSB_8equal_toIvEES6_EE10hipError_tPvRmT2_T3_T4_T5_mT6_T7_P12ihipStream_tbENKUlT_T0_E_clISt17integral_constantIbLb1EES12_IbLb0EEEEDaSY_SZ_EUlSY_E_NS1_11comp_targetILNS1_3genE9ELNS1_11target_archE1100ELNS1_3gpuE3ELNS1_3repE0EEENS1_30default_config_static_selectorELNS0_4arch9wavefront6targetE0EEEvT1_,"axG",@progbits,_ZN7rocprim17ROCPRIM_400000_NS6detail17trampoline_kernelINS0_14default_configENS1_27scan_by_key_config_selectorIj11FixedVectorIiLj2EEEEZZNS1_16scan_by_key_implILNS1_25lookback_scan_determinismE0ELb0ES3_N6thrust23THRUST_200600_302600_NS6detail15normal_iteratorINSB_10device_ptrIjEEEENSD_INSE_IS6_EEEESI_S6_NSB_4plusIvEENSB_8equal_toIvEES6_EE10hipError_tPvRmT2_T3_T4_T5_mT6_T7_P12ihipStream_tbENKUlT_T0_E_clISt17integral_constantIbLb1EES12_IbLb0EEEEDaSY_SZ_EUlSY_E_NS1_11comp_targetILNS1_3genE9ELNS1_11target_archE1100ELNS1_3gpuE3ELNS1_3repE0EEENS1_30default_config_static_selectorELNS0_4arch9wavefront6targetE0EEEvT1_,comdat
	.protected	_ZN7rocprim17ROCPRIM_400000_NS6detail17trampoline_kernelINS0_14default_configENS1_27scan_by_key_config_selectorIj11FixedVectorIiLj2EEEEZZNS1_16scan_by_key_implILNS1_25lookback_scan_determinismE0ELb0ES3_N6thrust23THRUST_200600_302600_NS6detail15normal_iteratorINSB_10device_ptrIjEEEENSD_INSE_IS6_EEEESI_S6_NSB_4plusIvEENSB_8equal_toIvEES6_EE10hipError_tPvRmT2_T3_T4_T5_mT6_T7_P12ihipStream_tbENKUlT_T0_E_clISt17integral_constantIbLb1EES12_IbLb0EEEEDaSY_SZ_EUlSY_E_NS1_11comp_targetILNS1_3genE9ELNS1_11target_archE1100ELNS1_3gpuE3ELNS1_3repE0EEENS1_30default_config_static_selectorELNS0_4arch9wavefront6targetE0EEEvT1_ ; -- Begin function _ZN7rocprim17ROCPRIM_400000_NS6detail17trampoline_kernelINS0_14default_configENS1_27scan_by_key_config_selectorIj11FixedVectorIiLj2EEEEZZNS1_16scan_by_key_implILNS1_25lookback_scan_determinismE0ELb0ES3_N6thrust23THRUST_200600_302600_NS6detail15normal_iteratorINSB_10device_ptrIjEEEENSD_INSE_IS6_EEEESI_S6_NSB_4plusIvEENSB_8equal_toIvEES6_EE10hipError_tPvRmT2_T3_T4_T5_mT6_T7_P12ihipStream_tbENKUlT_T0_E_clISt17integral_constantIbLb1EES12_IbLb0EEEEDaSY_SZ_EUlSY_E_NS1_11comp_targetILNS1_3genE9ELNS1_11target_archE1100ELNS1_3gpuE3ELNS1_3repE0EEENS1_30default_config_static_selectorELNS0_4arch9wavefront6targetE0EEEvT1_
	.globl	_ZN7rocprim17ROCPRIM_400000_NS6detail17trampoline_kernelINS0_14default_configENS1_27scan_by_key_config_selectorIj11FixedVectorIiLj2EEEEZZNS1_16scan_by_key_implILNS1_25lookback_scan_determinismE0ELb0ES3_N6thrust23THRUST_200600_302600_NS6detail15normal_iteratorINSB_10device_ptrIjEEEENSD_INSE_IS6_EEEESI_S6_NSB_4plusIvEENSB_8equal_toIvEES6_EE10hipError_tPvRmT2_T3_T4_T5_mT6_T7_P12ihipStream_tbENKUlT_T0_E_clISt17integral_constantIbLb1EES12_IbLb0EEEEDaSY_SZ_EUlSY_E_NS1_11comp_targetILNS1_3genE9ELNS1_11target_archE1100ELNS1_3gpuE3ELNS1_3repE0EEENS1_30default_config_static_selectorELNS0_4arch9wavefront6targetE0EEEvT1_
	.p2align	8
	.type	_ZN7rocprim17ROCPRIM_400000_NS6detail17trampoline_kernelINS0_14default_configENS1_27scan_by_key_config_selectorIj11FixedVectorIiLj2EEEEZZNS1_16scan_by_key_implILNS1_25lookback_scan_determinismE0ELb0ES3_N6thrust23THRUST_200600_302600_NS6detail15normal_iteratorINSB_10device_ptrIjEEEENSD_INSE_IS6_EEEESI_S6_NSB_4plusIvEENSB_8equal_toIvEES6_EE10hipError_tPvRmT2_T3_T4_T5_mT6_T7_P12ihipStream_tbENKUlT_T0_E_clISt17integral_constantIbLb1EES12_IbLb0EEEEDaSY_SZ_EUlSY_E_NS1_11comp_targetILNS1_3genE9ELNS1_11target_archE1100ELNS1_3gpuE3ELNS1_3repE0EEENS1_30default_config_static_selectorELNS0_4arch9wavefront6targetE0EEEvT1_,@function
_ZN7rocprim17ROCPRIM_400000_NS6detail17trampoline_kernelINS0_14default_configENS1_27scan_by_key_config_selectorIj11FixedVectorIiLj2EEEEZZNS1_16scan_by_key_implILNS1_25lookback_scan_determinismE0ELb0ES3_N6thrust23THRUST_200600_302600_NS6detail15normal_iteratorINSB_10device_ptrIjEEEENSD_INSE_IS6_EEEESI_S6_NSB_4plusIvEENSB_8equal_toIvEES6_EE10hipError_tPvRmT2_T3_T4_T5_mT6_T7_P12ihipStream_tbENKUlT_T0_E_clISt17integral_constantIbLb1EES12_IbLb0EEEEDaSY_SZ_EUlSY_E_NS1_11comp_targetILNS1_3genE9ELNS1_11target_archE1100ELNS1_3gpuE3ELNS1_3repE0EEENS1_30default_config_static_selectorELNS0_4arch9wavefront6targetE0EEEvT1_: ; @_ZN7rocprim17ROCPRIM_400000_NS6detail17trampoline_kernelINS0_14default_configENS1_27scan_by_key_config_selectorIj11FixedVectorIiLj2EEEEZZNS1_16scan_by_key_implILNS1_25lookback_scan_determinismE0ELb0ES3_N6thrust23THRUST_200600_302600_NS6detail15normal_iteratorINSB_10device_ptrIjEEEENSD_INSE_IS6_EEEESI_S6_NSB_4plusIvEENSB_8equal_toIvEES6_EE10hipError_tPvRmT2_T3_T4_T5_mT6_T7_P12ihipStream_tbENKUlT_T0_E_clISt17integral_constantIbLb1EES12_IbLb0EEEEDaSY_SZ_EUlSY_E_NS1_11comp_targetILNS1_3genE9ELNS1_11target_archE1100ELNS1_3gpuE3ELNS1_3repE0EEENS1_30default_config_static_selectorELNS0_4arch9wavefront6targetE0EEEvT1_
; %bb.0:
	.section	.rodata,"a",@progbits
	.p2align	6, 0x0
	.amdhsa_kernel _ZN7rocprim17ROCPRIM_400000_NS6detail17trampoline_kernelINS0_14default_configENS1_27scan_by_key_config_selectorIj11FixedVectorIiLj2EEEEZZNS1_16scan_by_key_implILNS1_25lookback_scan_determinismE0ELb0ES3_N6thrust23THRUST_200600_302600_NS6detail15normal_iteratorINSB_10device_ptrIjEEEENSD_INSE_IS6_EEEESI_S6_NSB_4plusIvEENSB_8equal_toIvEES6_EE10hipError_tPvRmT2_T3_T4_T5_mT6_T7_P12ihipStream_tbENKUlT_T0_E_clISt17integral_constantIbLb1EES12_IbLb0EEEEDaSY_SZ_EUlSY_E_NS1_11comp_targetILNS1_3genE9ELNS1_11target_archE1100ELNS1_3gpuE3ELNS1_3repE0EEENS1_30default_config_static_selectorELNS0_4arch9wavefront6targetE0EEEvT1_
		.amdhsa_group_segment_fixed_size 0
		.amdhsa_private_segment_fixed_size 0
		.amdhsa_kernarg_size 120
		.amdhsa_user_sgpr_count 2
		.amdhsa_user_sgpr_dispatch_ptr 0
		.amdhsa_user_sgpr_queue_ptr 0
		.amdhsa_user_sgpr_kernarg_segment_ptr 1
		.amdhsa_user_sgpr_dispatch_id 0
		.amdhsa_user_sgpr_kernarg_preload_length 0
		.amdhsa_user_sgpr_kernarg_preload_offset 0
		.amdhsa_user_sgpr_private_segment_size 0
		.amdhsa_wavefront_size32 1
		.amdhsa_uses_dynamic_stack 0
		.amdhsa_enable_private_segment 0
		.amdhsa_system_sgpr_workgroup_id_x 1
		.amdhsa_system_sgpr_workgroup_id_y 0
		.amdhsa_system_sgpr_workgroup_id_z 0
		.amdhsa_system_sgpr_workgroup_info 0
		.amdhsa_system_vgpr_workitem_id 0
		.amdhsa_next_free_vgpr 1
		.amdhsa_next_free_sgpr 1
		.amdhsa_named_barrier_count 0
		.amdhsa_reserve_vcc 0
		.amdhsa_float_round_mode_32 0
		.amdhsa_float_round_mode_16_64 0
		.amdhsa_float_denorm_mode_32 3
		.amdhsa_float_denorm_mode_16_64 3
		.amdhsa_fp16_overflow 0
		.amdhsa_memory_ordered 1
		.amdhsa_forward_progress 1
		.amdhsa_inst_pref_size 0
		.amdhsa_round_robin_scheduling 0
		.amdhsa_exception_fp_ieee_invalid_op 0
		.amdhsa_exception_fp_denorm_src 0
		.amdhsa_exception_fp_ieee_div_zero 0
		.amdhsa_exception_fp_ieee_overflow 0
		.amdhsa_exception_fp_ieee_underflow 0
		.amdhsa_exception_fp_ieee_inexact 0
		.amdhsa_exception_int_div_zero 0
	.end_amdhsa_kernel
	.section	.text._ZN7rocprim17ROCPRIM_400000_NS6detail17trampoline_kernelINS0_14default_configENS1_27scan_by_key_config_selectorIj11FixedVectorIiLj2EEEEZZNS1_16scan_by_key_implILNS1_25lookback_scan_determinismE0ELb0ES3_N6thrust23THRUST_200600_302600_NS6detail15normal_iteratorINSB_10device_ptrIjEEEENSD_INSE_IS6_EEEESI_S6_NSB_4plusIvEENSB_8equal_toIvEES6_EE10hipError_tPvRmT2_T3_T4_T5_mT6_T7_P12ihipStream_tbENKUlT_T0_E_clISt17integral_constantIbLb1EES12_IbLb0EEEEDaSY_SZ_EUlSY_E_NS1_11comp_targetILNS1_3genE9ELNS1_11target_archE1100ELNS1_3gpuE3ELNS1_3repE0EEENS1_30default_config_static_selectorELNS0_4arch9wavefront6targetE0EEEvT1_,"axG",@progbits,_ZN7rocprim17ROCPRIM_400000_NS6detail17trampoline_kernelINS0_14default_configENS1_27scan_by_key_config_selectorIj11FixedVectorIiLj2EEEEZZNS1_16scan_by_key_implILNS1_25lookback_scan_determinismE0ELb0ES3_N6thrust23THRUST_200600_302600_NS6detail15normal_iteratorINSB_10device_ptrIjEEEENSD_INSE_IS6_EEEESI_S6_NSB_4plusIvEENSB_8equal_toIvEES6_EE10hipError_tPvRmT2_T3_T4_T5_mT6_T7_P12ihipStream_tbENKUlT_T0_E_clISt17integral_constantIbLb1EES12_IbLb0EEEEDaSY_SZ_EUlSY_E_NS1_11comp_targetILNS1_3genE9ELNS1_11target_archE1100ELNS1_3gpuE3ELNS1_3repE0EEENS1_30default_config_static_selectorELNS0_4arch9wavefront6targetE0EEEvT1_,comdat
.Lfunc_end1980:
	.size	_ZN7rocprim17ROCPRIM_400000_NS6detail17trampoline_kernelINS0_14default_configENS1_27scan_by_key_config_selectorIj11FixedVectorIiLj2EEEEZZNS1_16scan_by_key_implILNS1_25lookback_scan_determinismE0ELb0ES3_N6thrust23THRUST_200600_302600_NS6detail15normal_iteratorINSB_10device_ptrIjEEEENSD_INSE_IS6_EEEESI_S6_NSB_4plusIvEENSB_8equal_toIvEES6_EE10hipError_tPvRmT2_T3_T4_T5_mT6_T7_P12ihipStream_tbENKUlT_T0_E_clISt17integral_constantIbLb1EES12_IbLb0EEEEDaSY_SZ_EUlSY_E_NS1_11comp_targetILNS1_3genE9ELNS1_11target_archE1100ELNS1_3gpuE3ELNS1_3repE0EEENS1_30default_config_static_selectorELNS0_4arch9wavefront6targetE0EEEvT1_, .Lfunc_end1980-_ZN7rocprim17ROCPRIM_400000_NS6detail17trampoline_kernelINS0_14default_configENS1_27scan_by_key_config_selectorIj11FixedVectorIiLj2EEEEZZNS1_16scan_by_key_implILNS1_25lookback_scan_determinismE0ELb0ES3_N6thrust23THRUST_200600_302600_NS6detail15normal_iteratorINSB_10device_ptrIjEEEENSD_INSE_IS6_EEEESI_S6_NSB_4plusIvEENSB_8equal_toIvEES6_EE10hipError_tPvRmT2_T3_T4_T5_mT6_T7_P12ihipStream_tbENKUlT_T0_E_clISt17integral_constantIbLb1EES12_IbLb0EEEEDaSY_SZ_EUlSY_E_NS1_11comp_targetILNS1_3genE9ELNS1_11target_archE1100ELNS1_3gpuE3ELNS1_3repE0EEENS1_30default_config_static_selectorELNS0_4arch9wavefront6targetE0EEEvT1_
                                        ; -- End function
	.set _ZN7rocprim17ROCPRIM_400000_NS6detail17trampoline_kernelINS0_14default_configENS1_27scan_by_key_config_selectorIj11FixedVectorIiLj2EEEEZZNS1_16scan_by_key_implILNS1_25lookback_scan_determinismE0ELb0ES3_N6thrust23THRUST_200600_302600_NS6detail15normal_iteratorINSB_10device_ptrIjEEEENSD_INSE_IS6_EEEESI_S6_NSB_4plusIvEENSB_8equal_toIvEES6_EE10hipError_tPvRmT2_T3_T4_T5_mT6_T7_P12ihipStream_tbENKUlT_T0_E_clISt17integral_constantIbLb1EES12_IbLb0EEEEDaSY_SZ_EUlSY_E_NS1_11comp_targetILNS1_3genE9ELNS1_11target_archE1100ELNS1_3gpuE3ELNS1_3repE0EEENS1_30default_config_static_selectorELNS0_4arch9wavefront6targetE0EEEvT1_.num_vgpr, 0
	.set _ZN7rocprim17ROCPRIM_400000_NS6detail17trampoline_kernelINS0_14default_configENS1_27scan_by_key_config_selectorIj11FixedVectorIiLj2EEEEZZNS1_16scan_by_key_implILNS1_25lookback_scan_determinismE0ELb0ES3_N6thrust23THRUST_200600_302600_NS6detail15normal_iteratorINSB_10device_ptrIjEEEENSD_INSE_IS6_EEEESI_S6_NSB_4plusIvEENSB_8equal_toIvEES6_EE10hipError_tPvRmT2_T3_T4_T5_mT6_T7_P12ihipStream_tbENKUlT_T0_E_clISt17integral_constantIbLb1EES12_IbLb0EEEEDaSY_SZ_EUlSY_E_NS1_11comp_targetILNS1_3genE9ELNS1_11target_archE1100ELNS1_3gpuE3ELNS1_3repE0EEENS1_30default_config_static_selectorELNS0_4arch9wavefront6targetE0EEEvT1_.num_agpr, 0
	.set _ZN7rocprim17ROCPRIM_400000_NS6detail17trampoline_kernelINS0_14default_configENS1_27scan_by_key_config_selectorIj11FixedVectorIiLj2EEEEZZNS1_16scan_by_key_implILNS1_25lookback_scan_determinismE0ELb0ES3_N6thrust23THRUST_200600_302600_NS6detail15normal_iteratorINSB_10device_ptrIjEEEENSD_INSE_IS6_EEEESI_S6_NSB_4plusIvEENSB_8equal_toIvEES6_EE10hipError_tPvRmT2_T3_T4_T5_mT6_T7_P12ihipStream_tbENKUlT_T0_E_clISt17integral_constantIbLb1EES12_IbLb0EEEEDaSY_SZ_EUlSY_E_NS1_11comp_targetILNS1_3genE9ELNS1_11target_archE1100ELNS1_3gpuE3ELNS1_3repE0EEENS1_30default_config_static_selectorELNS0_4arch9wavefront6targetE0EEEvT1_.numbered_sgpr, 0
	.set _ZN7rocprim17ROCPRIM_400000_NS6detail17trampoline_kernelINS0_14default_configENS1_27scan_by_key_config_selectorIj11FixedVectorIiLj2EEEEZZNS1_16scan_by_key_implILNS1_25lookback_scan_determinismE0ELb0ES3_N6thrust23THRUST_200600_302600_NS6detail15normal_iteratorINSB_10device_ptrIjEEEENSD_INSE_IS6_EEEESI_S6_NSB_4plusIvEENSB_8equal_toIvEES6_EE10hipError_tPvRmT2_T3_T4_T5_mT6_T7_P12ihipStream_tbENKUlT_T0_E_clISt17integral_constantIbLb1EES12_IbLb0EEEEDaSY_SZ_EUlSY_E_NS1_11comp_targetILNS1_3genE9ELNS1_11target_archE1100ELNS1_3gpuE3ELNS1_3repE0EEENS1_30default_config_static_selectorELNS0_4arch9wavefront6targetE0EEEvT1_.num_named_barrier, 0
	.set _ZN7rocprim17ROCPRIM_400000_NS6detail17trampoline_kernelINS0_14default_configENS1_27scan_by_key_config_selectorIj11FixedVectorIiLj2EEEEZZNS1_16scan_by_key_implILNS1_25lookback_scan_determinismE0ELb0ES3_N6thrust23THRUST_200600_302600_NS6detail15normal_iteratorINSB_10device_ptrIjEEEENSD_INSE_IS6_EEEESI_S6_NSB_4plusIvEENSB_8equal_toIvEES6_EE10hipError_tPvRmT2_T3_T4_T5_mT6_T7_P12ihipStream_tbENKUlT_T0_E_clISt17integral_constantIbLb1EES12_IbLb0EEEEDaSY_SZ_EUlSY_E_NS1_11comp_targetILNS1_3genE9ELNS1_11target_archE1100ELNS1_3gpuE3ELNS1_3repE0EEENS1_30default_config_static_selectorELNS0_4arch9wavefront6targetE0EEEvT1_.private_seg_size, 0
	.set _ZN7rocprim17ROCPRIM_400000_NS6detail17trampoline_kernelINS0_14default_configENS1_27scan_by_key_config_selectorIj11FixedVectorIiLj2EEEEZZNS1_16scan_by_key_implILNS1_25lookback_scan_determinismE0ELb0ES3_N6thrust23THRUST_200600_302600_NS6detail15normal_iteratorINSB_10device_ptrIjEEEENSD_INSE_IS6_EEEESI_S6_NSB_4plusIvEENSB_8equal_toIvEES6_EE10hipError_tPvRmT2_T3_T4_T5_mT6_T7_P12ihipStream_tbENKUlT_T0_E_clISt17integral_constantIbLb1EES12_IbLb0EEEEDaSY_SZ_EUlSY_E_NS1_11comp_targetILNS1_3genE9ELNS1_11target_archE1100ELNS1_3gpuE3ELNS1_3repE0EEENS1_30default_config_static_selectorELNS0_4arch9wavefront6targetE0EEEvT1_.uses_vcc, 0
	.set _ZN7rocprim17ROCPRIM_400000_NS6detail17trampoline_kernelINS0_14default_configENS1_27scan_by_key_config_selectorIj11FixedVectorIiLj2EEEEZZNS1_16scan_by_key_implILNS1_25lookback_scan_determinismE0ELb0ES3_N6thrust23THRUST_200600_302600_NS6detail15normal_iteratorINSB_10device_ptrIjEEEENSD_INSE_IS6_EEEESI_S6_NSB_4plusIvEENSB_8equal_toIvEES6_EE10hipError_tPvRmT2_T3_T4_T5_mT6_T7_P12ihipStream_tbENKUlT_T0_E_clISt17integral_constantIbLb1EES12_IbLb0EEEEDaSY_SZ_EUlSY_E_NS1_11comp_targetILNS1_3genE9ELNS1_11target_archE1100ELNS1_3gpuE3ELNS1_3repE0EEENS1_30default_config_static_selectorELNS0_4arch9wavefront6targetE0EEEvT1_.uses_flat_scratch, 0
	.set _ZN7rocprim17ROCPRIM_400000_NS6detail17trampoline_kernelINS0_14default_configENS1_27scan_by_key_config_selectorIj11FixedVectorIiLj2EEEEZZNS1_16scan_by_key_implILNS1_25lookback_scan_determinismE0ELb0ES3_N6thrust23THRUST_200600_302600_NS6detail15normal_iteratorINSB_10device_ptrIjEEEENSD_INSE_IS6_EEEESI_S6_NSB_4plusIvEENSB_8equal_toIvEES6_EE10hipError_tPvRmT2_T3_T4_T5_mT6_T7_P12ihipStream_tbENKUlT_T0_E_clISt17integral_constantIbLb1EES12_IbLb0EEEEDaSY_SZ_EUlSY_E_NS1_11comp_targetILNS1_3genE9ELNS1_11target_archE1100ELNS1_3gpuE3ELNS1_3repE0EEENS1_30default_config_static_selectorELNS0_4arch9wavefront6targetE0EEEvT1_.has_dyn_sized_stack, 0
	.set _ZN7rocprim17ROCPRIM_400000_NS6detail17trampoline_kernelINS0_14default_configENS1_27scan_by_key_config_selectorIj11FixedVectorIiLj2EEEEZZNS1_16scan_by_key_implILNS1_25lookback_scan_determinismE0ELb0ES3_N6thrust23THRUST_200600_302600_NS6detail15normal_iteratorINSB_10device_ptrIjEEEENSD_INSE_IS6_EEEESI_S6_NSB_4plusIvEENSB_8equal_toIvEES6_EE10hipError_tPvRmT2_T3_T4_T5_mT6_T7_P12ihipStream_tbENKUlT_T0_E_clISt17integral_constantIbLb1EES12_IbLb0EEEEDaSY_SZ_EUlSY_E_NS1_11comp_targetILNS1_3genE9ELNS1_11target_archE1100ELNS1_3gpuE3ELNS1_3repE0EEENS1_30default_config_static_selectorELNS0_4arch9wavefront6targetE0EEEvT1_.has_recursion, 0
	.set _ZN7rocprim17ROCPRIM_400000_NS6detail17trampoline_kernelINS0_14default_configENS1_27scan_by_key_config_selectorIj11FixedVectorIiLj2EEEEZZNS1_16scan_by_key_implILNS1_25lookback_scan_determinismE0ELb0ES3_N6thrust23THRUST_200600_302600_NS6detail15normal_iteratorINSB_10device_ptrIjEEEENSD_INSE_IS6_EEEESI_S6_NSB_4plusIvEENSB_8equal_toIvEES6_EE10hipError_tPvRmT2_T3_T4_T5_mT6_T7_P12ihipStream_tbENKUlT_T0_E_clISt17integral_constantIbLb1EES12_IbLb0EEEEDaSY_SZ_EUlSY_E_NS1_11comp_targetILNS1_3genE9ELNS1_11target_archE1100ELNS1_3gpuE3ELNS1_3repE0EEENS1_30default_config_static_selectorELNS0_4arch9wavefront6targetE0EEEvT1_.has_indirect_call, 0
	.section	.AMDGPU.csdata,"",@progbits
; Kernel info:
; codeLenInByte = 0
; TotalNumSgprs: 0
; NumVgprs: 0
; ScratchSize: 0
; MemoryBound: 0
; FloatMode: 240
; IeeeMode: 1
; LDSByteSize: 0 bytes/workgroup (compile time only)
; SGPRBlocks: 0
; VGPRBlocks: 0
; NumSGPRsForWavesPerEU: 1
; NumVGPRsForWavesPerEU: 1
; NamedBarCnt: 0
; Occupancy: 16
; WaveLimiterHint : 0
; COMPUTE_PGM_RSRC2:SCRATCH_EN: 0
; COMPUTE_PGM_RSRC2:USER_SGPR: 2
; COMPUTE_PGM_RSRC2:TRAP_HANDLER: 0
; COMPUTE_PGM_RSRC2:TGID_X_EN: 1
; COMPUTE_PGM_RSRC2:TGID_Y_EN: 0
; COMPUTE_PGM_RSRC2:TGID_Z_EN: 0
; COMPUTE_PGM_RSRC2:TIDIG_COMP_CNT: 0
	.section	.text._ZN7rocprim17ROCPRIM_400000_NS6detail17trampoline_kernelINS0_14default_configENS1_27scan_by_key_config_selectorIj11FixedVectorIiLj2EEEEZZNS1_16scan_by_key_implILNS1_25lookback_scan_determinismE0ELb0ES3_N6thrust23THRUST_200600_302600_NS6detail15normal_iteratorINSB_10device_ptrIjEEEENSD_INSE_IS6_EEEESI_S6_NSB_4plusIvEENSB_8equal_toIvEES6_EE10hipError_tPvRmT2_T3_T4_T5_mT6_T7_P12ihipStream_tbENKUlT_T0_E_clISt17integral_constantIbLb1EES12_IbLb0EEEEDaSY_SZ_EUlSY_E_NS1_11comp_targetILNS1_3genE8ELNS1_11target_archE1030ELNS1_3gpuE2ELNS1_3repE0EEENS1_30default_config_static_selectorELNS0_4arch9wavefront6targetE0EEEvT1_,"axG",@progbits,_ZN7rocprim17ROCPRIM_400000_NS6detail17trampoline_kernelINS0_14default_configENS1_27scan_by_key_config_selectorIj11FixedVectorIiLj2EEEEZZNS1_16scan_by_key_implILNS1_25lookback_scan_determinismE0ELb0ES3_N6thrust23THRUST_200600_302600_NS6detail15normal_iteratorINSB_10device_ptrIjEEEENSD_INSE_IS6_EEEESI_S6_NSB_4plusIvEENSB_8equal_toIvEES6_EE10hipError_tPvRmT2_T3_T4_T5_mT6_T7_P12ihipStream_tbENKUlT_T0_E_clISt17integral_constantIbLb1EES12_IbLb0EEEEDaSY_SZ_EUlSY_E_NS1_11comp_targetILNS1_3genE8ELNS1_11target_archE1030ELNS1_3gpuE2ELNS1_3repE0EEENS1_30default_config_static_selectorELNS0_4arch9wavefront6targetE0EEEvT1_,comdat
	.protected	_ZN7rocprim17ROCPRIM_400000_NS6detail17trampoline_kernelINS0_14default_configENS1_27scan_by_key_config_selectorIj11FixedVectorIiLj2EEEEZZNS1_16scan_by_key_implILNS1_25lookback_scan_determinismE0ELb0ES3_N6thrust23THRUST_200600_302600_NS6detail15normal_iteratorINSB_10device_ptrIjEEEENSD_INSE_IS6_EEEESI_S6_NSB_4plusIvEENSB_8equal_toIvEES6_EE10hipError_tPvRmT2_T3_T4_T5_mT6_T7_P12ihipStream_tbENKUlT_T0_E_clISt17integral_constantIbLb1EES12_IbLb0EEEEDaSY_SZ_EUlSY_E_NS1_11comp_targetILNS1_3genE8ELNS1_11target_archE1030ELNS1_3gpuE2ELNS1_3repE0EEENS1_30default_config_static_selectorELNS0_4arch9wavefront6targetE0EEEvT1_ ; -- Begin function _ZN7rocprim17ROCPRIM_400000_NS6detail17trampoline_kernelINS0_14default_configENS1_27scan_by_key_config_selectorIj11FixedVectorIiLj2EEEEZZNS1_16scan_by_key_implILNS1_25lookback_scan_determinismE0ELb0ES3_N6thrust23THRUST_200600_302600_NS6detail15normal_iteratorINSB_10device_ptrIjEEEENSD_INSE_IS6_EEEESI_S6_NSB_4plusIvEENSB_8equal_toIvEES6_EE10hipError_tPvRmT2_T3_T4_T5_mT6_T7_P12ihipStream_tbENKUlT_T0_E_clISt17integral_constantIbLb1EES12_IbLb0EEEEDaSY_SZ_EUlSY_E_NS1_11comp_targetILNS1_3genE8ELNS1_11target_archE1030ELNS1_3gpuE2ELNS1_3repE0EEENS1_30default_config_static_selectorELNS0_4arch9wavefront6targetE0EEEvT1_
	.globl	_ZN7rocprim17ROCPRIM_400000_NS6detail17trampoline_kernelINS0_14default_configENS1_27scan_by_key_config_selectorIj11FixedVectorIiLj2EEEEZZNS1_16scan_by_key_implILNS1_25lookback_scan_determinismE0ELb0ES3_N6thrust23THRUST_200600_302600_NS6detail15normal_iteratorINSB_10device_ptrIjEEEENSD_INSE_IS6_EEEESI_S6_NSB_4plusIvEENSB_8equal_toIvEES6_EE10hipError_tPvRmT2_T3_T4_T5_mT6_T7_P12ihipStream_tbENKUlT_T0_E_clISt17integral_constantIbLb1EES12_IbLb0EEEEDaSY_SZ_EUlSY_E_NS1_11comp_targetILNS1_3genE8ELNS1_11target_archE1030ELNS1_3gpuE2ELNS1_3repE0EEENS1_30default_config_static_selectorELNS0_4arch9wavefront6targetE0EEEvT1_
	.p2align	8
	.type	_ZN7rocprim17ROCPRIM_400000_NS6detail17trampoline_kernelINS0_14default_configENS1_27scan_by_key_config_selectorIj11FixedVectorIiLj2EEEEZZNS1_16scan_by_key_implILNS1_25lookback_scan_determinismE0ELb0ES3_N6thrust23THRUST_200600_302600_NS6detail15normal_iteratorINSB_10device_ptrIjEEEENSD_INSE_IS6_EEEESI_S6_NSB_4plusIvEENSB_8equal_toIvEES6_EE10hipError_tPvRmT2_T3_T4_T5_mT6_T7_P12ihipStream_tbENKUlT_T0_E_clISt17integral_constantIbLb1EES12_IbLb0EEEEDaSY_SZ_EUlSY_E_NS1_11comp_targetILNS1_3genE8ELNS1_11target_archE1030ELNS1_3gpuE2ELNS1_3repE0EEENS1_30default_config_static_selectorELNS0_4arch9wavefront6targetE0EEEvT1_,@function
_ZN7rocprim17ROCPRIM_400000_NS6detail17trampoline_kernelINS0_14default_configENS1_27scan_by_key_config_selectorIj11FixedVectorIiLj2EEEEZZNS1_16scan_by_key_implILNS1_25lookback_scan_determinismE0ELb0ES3_N6thrust23THRUST_200600_302600_NS6detail15normal_iteratorINSB_10device_ptrIjEEEENSD_INSE_IS6_EEEESI_S6_NSB_4plusIvEENSB_8equal_toIvEES6_EE10hipError_tPvRmT2_T3_T4_T5_mT6_T7_P12ihipStream_tbENKUlT_T0_E_clISt17integral_constantIbLb1EES12_IbLb0EEEEDaSY_SZ_EUlSY_E_NS1_11comp_targetILNS1_3genE8ELNS1_11target_archE1030ELNS1_3gpuE2ELNS1_3repE0EEENS1_30default_config_static_selectorELNS0_4arch9wavefront6targetE0EEEvT1_: ; @_ZN7rocprim17ROCPRIM_400000_NS6detail17trampoline_kernelINS0_14default_configENS1_27scan_by_key_config_selectorIj11FixedVectorIiLj2EEEEZZNS1_16scan_by_key_implILNS1_25lookback_scan_determinismE0ELb0ES3_N6thrust23THRUST_200600_302600_NS6detail15normal_iteratorINSB_10device_ptrIjEEEENSD_INSE_IS6_EEEESI_S6_NSB_4plusIvEENSB_8equal_toIvEES6_EE10hipError_tPvRmT2_T3_T4_T5_mT6_T7_P12ihipStream_tbENKUlT_T0_E_clISt17integral_constantIbLb1EES12_IbLb0EEEEDaSY_SZ_EUlSY_E_NS1_11comp_targetILNS1_3genE8ELNS1_11target_archE1030ELNS1_3gpuE2ELNS1_3repE0EEENS1_30default_config_static_selectorELNS0_4arch9wavefront6targetE0EEEvT1_
; %bb.0:
	.section	.rodata,"a",@progbits
	.p2align	6, 0x0
	.amdhsa_kernel _ZN7rocprim17ROCPRIM_400000_NS6detail17trampoline_kernelINS0_14default_configENS1_27scan_by_key_config_selectorIj11FixedVectorIiLj2EEEEZZNS1_16scan_by_key_implILNS1_25lookback_scan_determinismE0ELb0ES3_N6thrust23THRUST_200600_302600_NS6detail15normal_iteratorINSB_10device_ptrIjEEEENSD_INSE_IS6_EEEESI_S6_NSB_4plusIvEENSB_8equal_toIvEES6_EE10hipError_tPvRmT2_T3_T4_T5_mT6_T7_P12ihipStream_tbENKUlT_T0_E_clISt17integral_constantIbLb1EES12_IbLb0EEEEDaSY_SZ_EUlSY_E_NS1_11comp_targetILNS1_3genE8ELNS1_11target_archE1030ELNS1_3gpuE2ELNS1_3repE0EEENS1_30default_config_static_selectorELNS0_4arch9wavefront6targetE0EEEvT1_
		.amdhsa_group_segment_fixed_size 0
		.amdhsa_private_segment_fixed_size 0
		.amdhsa_kernarg_size 120
		.amdhsa_user_sgpr_count 2
		.amdhsa_user_sgpr_dispatch_ptr 0
		.amdhsa_user_sgpr_queue_ptr 0
		.amdhsa_user_sgpr_kernarg_segment_ptr 1
		.amdhsa_user_sgpr_dispatch_id 0
		.amdhsa_user_sgpr_kernarg_preload_length 0
		.amdhsa_user_sgpr_kernarg_preload_offset 0
		.amdhsa_user_sgpr_private_segment_size 0
		.amdhsa_wavefront_size32 1
		.amdhsa_uses_dynamic_stack 0
		.amdhsa_enable_private_segment 0
		.amdhsa_system_sgpr_workgroup_id_x 1
		.amdhsa_system_sgpr_workgroup_id_y 0
		.amdhsa_system_sgpr_workgroup_id_z 0
		.amdhsa_system_sgpr_workgroup_info 0
		.amdhsa_system_vgpr_workitem_id 0
		.amdhsa_next_free_vgpr 1
		.amdhsa_next_free_sgpr 1
		.amdhsa_named_barrier_count 0
		.amdhsa_reserve_vcc 0
		.amdhsa_float_round_mode_32 0
		.amdhsa_float_round_mode_16_64 0
		.amdhsa_float_denorm_mode_32 3
		.amdhsa_float_denorm_mode_16_64 3
		.amdhsa_fp16_overflow 0
		.amdhsa_memory_ordered 1
		.amdhsa_forward_progress 1
		.amdhsa_inst_pref_size 0
		.amdhsa_round_robin_scheduling 0
		.amdhsa_exception_fp_ieee_invalid_op 0
		.amdhsa_exception_fp_denorm_src 0
		.amdhsa_exception_fp_ieee_div_zero 0
		.amdhsa_exception_fp_ieee_overflow 0
		.amdhsa_exception_fp_ieee_underflow 0
		.amdhsa_exception_fp_ieee_inexact 0
		.amdhsa_exception_int_div_zero 0
	.end_amdhsa_kernel
	.section	.text._ZN7rocprim17ROCPRIM_400000_NS6detail17trampoline_kernelINS0_14default_configENS1_27scan_by_key_config_selectorIj11FixedVectorIiLj2EEEEZZNS1_16scan_by_key_implILNS1_25lookback_scan_determinismE0ELb0ES3_N6thrust23THRUST_200600_302600_NS6detail15normal_iteratorINSB_10device_ptrIjEEEENSD_INSE_IS6_EEEESI_S6_NSB_4plusIvEENSB_8equal_toIvEES6_EE10hipError_tPvRmT2_T3_T4_T5_mT6_T7_P12ihipStream_tbENKUlT_T0_E_clISt17integral_constantIbLb1EES12_IbLb0EEEEDaSY_SZ_EUlSY_E_NS1_11comp_targetILNS1_3genE8ELNS1_11target_archE1030ELNS1_3gpuE2ELNS1_3repE0EEENS1_30default_config_static_selectorELNS0_4arch9wavefront6targetE0EEEvT1_,"axG",@progbits,_ZN7rocprim17ROCPRIM_400000_NS6detail17trampoline_kernelINS0_14default_configENS1_27scan_by_key_config_selectorIj11FixedVectorIiLj2EEEEZZNS1_16scan_by_key_implILNS1_25lookback_scan_determinismE0ELb0ES3_N6thrust23THRUST_200600_302600_NS6detail15normal_iteratorINSB_10device_ptrIjEEEENSD_INSE_IS6_EEEESI_S6_NSB_4plusIvEENSB_8equal_toIvEES6_EE10hipError_tPvRmT2_T3_T4_T5_mT6_T7_P12ihipStream_tbENKUlT_T0_E_clISt17integral_constantIbLb1EES12_IbLb0EEEEDaSY_SZ_EUlSY_E_NS1_11comp_targetILNS1_3genE8ELNS1_11target_archE1030ELNS1_3gpuE2ELNS1_3repE0EEENS1_30default_config_static_selectorELNS0_4arch9wavefront6targetE0EEEvT1_,comdat
.Lfunc_end1981:
	.size	_ZN7rocprim17ROCPRIM_400000_NS6detail17trampoline_kernelINS0_14default_configENS1_27scan_by_key_config_selectorIj11FixedVectorIiLj2EEEEZZNS1_16scan_by_key_implILNS1_25lookback_scan_determinismE0ELb0ES3_N6thrust23THRUST_200600_302600_NS6detail15normal_iteratorINSB_10device_ptrIjEEEENSD_INSE_IS6_EEEESI_S6_NSB_4plusIvEENSB_8equal_toIvEES6_EE10hipError_tPvRmT2_T3_T4_T5_mT6_T7_P12ihipStream_tbENKUlT_T0_E_clISt17integral_constantIbLb1EES12_IbLb0EEEEDaSY_SZ_EUlSY_E_NS1_11comp_targetILNS1_3genE8ELNS1_11target_archE1030ELNS1_3gpuE2ELNS1_3repE0EEENS1_30default_config_static_selectorELNS0_4arch9wavefront6targetE0EEEvT1_, .Lfunc_end1981-_ZN7rocprim17ROCPRIM_400000_NS6detail17trampoline_kernelINS0_14default_configENS1_27scan_by_key_config_selectorIj11FixedVectorIiLj2EEEEZZNS1_16scan_by_key_implILNS1_25lookback_scan_determinismE0ELb0ES3_N6thrust23THRUST_200600_302600_NS6detail15normal_iteratorINSB_10device_ptrIjEEEENSD_INSE_IS6_EEEESI_S6_NSB_4plusIvEENSB_8equal_toIvEES6_EE10hipError_tPvRmT2_T3_T4_T5_mT6_T7_P12ihipStream_tbENKUlT_T0_E_clISt17integral_constantIbLb1EES12_IbLb0EEEEDaSY_SZ_EUlSY_E_NS1_11comp_targetILNS1_3genE8ELNS1_11target_archE1030ELNS1_3gpuE2ELNS1_3repE0EEENS1_30default_config_static_selectorELNS0_4arch9wavefront6targetE0EEEvT1_
                                        ; -- End function
	.set _ZN7rocprim17ROCPRIM_400000_NS6detail17trampoline_kernelINS0_14default_configENS1_27scan_by_key_config_selectorIj11FixedVectorIiLj2EEEEZZNS1_16scan_by_key_implILNS1_25lookback_scan_determinismE0ELb0ES3_N6thrust23THRUST_200600_302600_NS6detail15normal_iteratorINSB_10device_ptrIjEEEENSD_INSE_IS6_EEEESI_S6_NSB_4plusIvEENSB_8equal_toIvEES6_EE10hipError_tPvRmT2_T3_T4_T5_mT6_T7_P12ihipStream_tbENKUlT_T0_E_clISt17integral_constantIbLb1EES12_IbLb0EEEEDaSY_SZ_EUlSY_E_NS1_11comp_targetILNS1_3genE8ELNS1_11target_archE1030ELNS1_3gpuE2ELNS1_3repE0EEENS1_30default_config_static_selectorELNS0_4arch9wavefront6targetE0EEEvT1_.num_vgpr, 0
	.set _ZN7rocprim17ROCPRIM_400000_NS6detail17trampoline_kernelINS0_14default_configENS1_27scan_by_key_config_selectorIj11FixedVectorIiLj2EEEEZZNS1_16scan_by_key_implILNS1_25lookback_scan_determinismE0ELb0ES3_N6thrust23THRUST_200600_302600_NS6detail15normal_iteratorINSB_10device_ptrIjEEEENSD_INSE_IS6_EEEESI_S6_NSB_4plusIvEENSB_8equal_toIvEES6_EE10hipError_tPvRmT2_T3_T4_T5_mT6_T7_P12ihipStream_tbENKUlT_T0_E_clISt17integral_constantIbLb1EES12_IbLb0EEEEDaSY_SZ_EUlSY_E_NS1_11comp_targetILNS1_3genE8ELNS1_11target_archE1030ELNS1_3gpuE2ELNS1_3repE0EEENS1_30default_config_static_selectorELNS0_4arch9wavefront6targetE0EEEvT1_.num_agpr, 0
	.set _ZN7rocprim17ROCPRIM_400000_NS6detail17trampoline_kernelINS0_14default_configENS1_27scan_by_key_config_selectorIj11FixedVectorIiLj2EEEEZZNS1_16scan_by_key_implILNS1_25lookback_scan_determinismE0ELb0ES3_N6thrust23THRUST_200600_302600_NS6detail15normal_iteratorINSB_10device_ptrIjEEEENSD_INSE_IS6_EEEESI_S6_NSB_4plusIvEENSB_8equal_toIvEES6_EE10hipError_tPvRmT2_T3_T4_T5_mT6_T7_P12ihipStream_tbENKUlT_T0_E_clISt17integral_constantIbLb1EES12_IbLb0EEEEDaSY_SZ_EUlSY_E_NS1_11comp_targetILNS1_3genE8ELNS1_11target_archE1030ELNS1_3gpuE2ELNS1_3repE0EEENS1_30default_config_static_selectorELNS0_4arch9wavefront6targetE0EEEvT1_.numbered_sgpr, 0
	.set _ZN7rocprim17ROCPRIM_400000_NS6detail17trampoline_kernelINS0_14default_configENS1_27scan_by_key_config_selectorIj11FixedVectorIiLj2EEEEZZNS1_16scan_by_key_implILNS1_25lookback_scan_determinismE0ELb0ES3_N6thrust23THRUST_200600_302600_NS6detail15normal_iteratorINSB_10device_ptrIjEEEENSD_INSE_IS6_EEEESI_S6_NSB_4plusIvEENSB_8equal_toIvEES6_EE10hipError_tPvRmT2_T3_T4_T5_mT6_T7_P12ihipStream_tbENKUlT_T0_E_clISt17integral_constantIbLb1EES12_IbLb0EEEEDaSY_SZ_EUlSY_E_NS1_11comp_targetILNS1_3genE8ELNS1_11target_archE1030ELNS1_3gpuE2ELNS1_3repE0EEENS1_30default_config_static_selectorELNS0_4arch9wavefront6targetE0EEEvT1_.num_named_barrier, 0
	.set _ZN7rocprim17ROCPRIM_400000_NS6detail17trampoline_kernelINS0_14default_configENS1_27scan_by_key_config_selectorIj11FixedVectorIiLj2EEEEZZNS1_16scan_by_key_implILNS1_25lookback_scan_determinismE0ELb0ES3_N6thrust23THRUST_200600_302600_NS6detail15normal_iteratorINSB_10device_ptrIjEEEENSD_INSE_IS6_EEEESI_S6_NSB_4plusIvEENSB_8equal_toIvEES6_EE10hipError_tPvRmT2_T3_T4_T5_mT6_T7_P12ihipStream_tbENKUlT_T0_E_clISt17integral_constantIbLb1EES12_IbLb0EEEEDaSY_SZ_EUlSY_E_NS1_11comp_targetILNS1_3genE8ELNS1_11target_archE1030ELNS1_3gpuE2ELNS1_3repE0EEENS1_30default_config_static_selectorELNS0_4arch9wavefront6targetE0EEEvT1_.private_seg_size, 0
	.set _ZN7rocprim17ROCPRIM_400000_NS6detail17trampoline_kernelINS0_14default_configENS1_27scan_by_key_config_selectorIj11FixedVectorIiLj2EEEEZZNS1_16scan_by_key_implILNS1_25lookback_scan_determinismE0ELb0ES3_N6thrust23THRUST_200600_302600_NS6detail15normal_iteratorINSB_10device_ptrIjEEEENSD_INSE_IS6_EEEESI_S6_NSB_4plusIvEENSB_8equal_toIvEES6_EE10hipError_tPvRmT2_T3_T4_T5_mT6_T7_P12ihipStream_tbENKUlT_T0_E_clISt17integral_constantIbLb1EES12_IbLb0EEEEDaSY_SZ_EUlSY_E_NS1_11comp_targetILNS1_3genE8ELNS1_11target_archE1030ELNS1_3gpuE2ELNS1_3repE0EEENS1_30default_config_static_selectorELNS0_4arch9wavefront6targetE0EEEvT1_.uses_vcc, 0
	.set _ZN7rocprim17ROCPRIM_400000_NS6detail17trampoline_kernelINS0_14default_configENS1_27scan_by_key_config_selectorIj11FixedVectorIiLj2EEEEZZNS1_16scan_by_key_implILNS1_25lookback_scan_determinismE0ELb0ES3_N6thrust23THRUST_200600_302600_NS6detail15normal_iteratorINSB_10device_ptrIjEEEENSD_INSE_IS6_EEEESI_S6_NSB_4plusIvEENSB_8equal_toIvEES6_EE10hipError_tPvRmT2_T3_T4_T5_mT6_T7_P12ihipStream_tbENKUlT_T0_E_clISt17integral_constantIbLb1EES12_IbLb0EEEEDaSY_SZ_EUlSY_E_NS1_11comp_targetILNS1_3genE8ELNS1_11target_archE1030ELNS1_3gpuE2ELNS1_3repE0EEENS1_30default_config_static_selectorELNS0_4arch9wavefront6targetE0EEEvT1_.uses_flat_scratch, 0
	.set _ZN7rocprim17ROCPRIM_400000_NS6detail17trampoline_kernelINS0_14default_configENS1_27scan_by_key_config_selectorIj11FixedVectorIiLj2EEEEZZNS1_16scan_by_key_implILNS1_25lookback_scan_determinismE0ELb0ES3_N6thrust23THRUST_200600_302600_NS6detail15normal_iteratorINSB_10device_ptrIjEEEENSD_INSE_IS6_EEEESI_S6_NSB_4plusIvEENSB_8equal_toIvEES6_EE10hipError_tPvRmT2_T3_T4_T5_mT6_T7_P12ihipStream_tbENKUlT_T0_E_clISt17integral_constantIbLb1EES12_IbLb0EEEEDaSY_SZ_EUlSY_E_NS1_11comp_targetILNS1_3genE8ELNS1_11target_archE1030ELNS1_3gpuE2ELNS1_3repE0EEENS1_30default_config_static_selectorELNS0_4arch9wavefront6targetE0EEEvT1_.has_dyn_sized_stack, 0
	.set _ZN7rocprim17ROCPRIM_400000_NS6detail17trampoline_kernelINS0_14default_configENS1_27scan_by_key_config_selectorIj11FixedVectorIiLj2EEEEZZNS1_16scan_by_key_implILNS1_25lookback_scan_determinismE0ELb0ES3_N6thrust23THRUST_200600_302600_NS6detail15normal_iteratorINSB_10device_ptrIjEEEENSD_INSE_IS6_EEEESI_S6_NSB_4plusIvEENSB_8equal_toIvEES6_EE10hipError_tPvRmT2_T3_T4_T5_mT6_T7_P12ihipStream_tbENKUlT_T0_E_clISt17integral_constantIbLb1EES12_IbLb0EEEEDaSY_SZ_EUlSY_E_NS1_11comp_targetILNS1_3genE8ELNS1_11target_archE1030ELNS1_3gpuE2ELNS1_3repE0EEENS1_30default_config_static_selectorELNS0_4arch9wavefront6targetE0EEEvT1_.has_recursion, 0
	.set _ZN7rocprim17ROCPRIM_400000_NS6detail17trampoline_kernelINS0_14default_configENS1_27scan_by_key_config_selectorIj11FixedVectorIiLj2EEEEZZNS1_16scan_by_key_implILNS1_25lookback_scan_determinismE0ELb0ES3_N6thrust23THRUST_200600_302600_NS6detail15normal_iteratorINSB_10device_ptrIjEEEENSD_INSE_IS6_EEEESI_S6_NSB_4plusIvEENSB_8equal_toIvEES6_EE10hipError_tPvRmT2_T3_T4_T5_mT6_T7_P12ihipStream_tbENKUlT_T0_E_clISt17integral_constantIbLb1EES12_IbLb0EEEEDaSY_SZ_EUlSY_E_NS1_11comp_targetILNS1_3genE8ELNS1_11target_archE1030ELNS1_3gpuE2ELNS1_3repE0EEENS1_30default_config_static_selectorELNS0_4arch9wavefront6targetE0EEEvT1_.has_indirect_call, 0
	.section	.AMDGPU.csdata,"",@progbits
; Kernel info:
; codeLenInByte = 0
; TotalNumSgprs: 0
; NumVgprs: 0
; ScratchSize: 0
; MemoryBound: 0
; FloatMode: 240
; IeeeMode: 1
; LDSByteSize: 0 bytes/workgroup (compile time only)
; SGPRBlocks: 0
; VGPRBlocks: 0
; NumSGPRsForWavesPerEU: 1
; NumVGPRsForWavesPerEU: 1
; NamedBarCnt: 0
; Occupancy: 16
; WaveLimiterHint : 0
; COMPUTE_PGM_RSRC2:SCRATCH_EN: 0
; COMPUTE_PGM_RSRC2:USER_SGPR: 2
; COMPUTE_PGM_RSRC2:TRAP_HANDLER: 0
; COMPUTE_PGM_RSRC2:TGID_X_EN: 1
; COMPUTE_PGM_RSRC2:TGID_Y_EN: 0
; COMPUTE_PGM_RSRC2:TGID_Z_EN: 0
; COMPUTE_PGM_RSRC2:TIDIG_COMP_CNT: 0
	.section	.text._ZN7rocprim17ROCPRIM_400000_NS6detail30init_device_scan_by_key_kernelINS1_19lookback_scan_stateINS0_5tupleIJ11FixedVectorIiLj2EEbEEELb0ELb1EEEN6thrust23THRUST_200600_302600_NS6detail15normal_iteratorINSA_10device_ptrIjEEEEjNS1_16block_id_wrapperIjLb1EEEEEvT_jjPNSI_10value_typeET0_PNSt15iterator_traitsISL_E10value_typeEmT1_T2_,"axG",@progbits,_ZN7rocprim17ROCPRIM_400000_NS6detail30init_device_scan_by_key_kernelINS1_19lookback_scan_stateINS0_5tupleIJ11FixedVectorIiLj2EEbEEELb0ELb1EEEN6thrust23THRUST_200600_302600_NS6detail15normal_iteratorINSA_10device_ptrIjEEEEjNS1_16block_id_wrapperIjLb1EEEEEvT_jjPNSI_10value_typeET0_PNSt15iterator_traitsISL_E10value_typeEmT1_T2_,comdat
	.protected	_ZN7rocprim17ROCPRIM_400000_NS6detail30init_device_scan_by_key_kernelINS1_19lookback_scan_stateINS0_5tupleIJ11FixedVectorIiLj2EEbEEELb0ELb1EEEN6thrust23THRUST_200600_302600_NS6detail15normal_iteratorINSA_10device_ptrIjEEEEjNS1_16block_id_wrapperIjLb1EEEEEvT_jjPNSI_10value_typeET0_PNSt15iterator_traitsISL_E10value_typeEmT1_T2_ ; -- Begin function _ZN7rocprim17ROCPRIM_400000_NS6detail30init_device_scan_by_key_kernelINS1_19lookback_scan_stateINS0_5tupleIJ11FixedVectorIiLj2EEbEEELb0ELb1EEEN6thrust23THRUST_200600_302600_NS6detail15normal_iteratorINSA_10device_ptrIjEEEEjNS1_16block_id_wrapperIjLb1EEEEEvT_jjPNSI_10value_typeET0_PNSt15iterator_traitsISL_E10value_typeEmT1_T2_
	.globl	_ZN7rocprim17ROCPRIM_400000_NS6detail30init_device_scan_by_key_kernelINS1_19lookback_scan_stateINS0_5tupleIJ11FixedVectorIiLj2EEbEEELb0ELb1EEEN6thrust23THRUST_200600_302600_NS6detail15normal_iteratorINSA_10device_ptrIjEEEEjNS1_16block_id_wrapperIjLb1EEEEEvT_jjPNSI_10value_typeET0_PNSt15iterator_traitsISL_E10value_typeEmT1_T2_
	.p2align	8
	.type	_ZN7rocprim17ROCPRIM_400000_NS6detail30init_device_scan_by_key_kernelINS1_19lookback_scan_stateINS0_5tupleIJ11FixedVectorIiLj2EEbEEELb0ELb1EEEN6thrust23THRUST_200600_302600_NS6detail15normal_iteratorINSA_10device_ptrIjEEEEjNS1_16block_id_wrapperIjLb1EEEEEvT_jjPNSI_10value_typeET0_PNSt15iterator_traitsISL_E10value_typeEmT1_T2_,@function
_ZN7rocprim17ROCPRIM_400000_NS6detail30init_device_scan_by_key_kernelINS1_19lookback_scan_stateINS0_5tupleIJ11FixedVectorIiLj2EEbEEELb0ELb1EEEN6thrust23THRUST_200600_302600_NS6detail15normal_iteratorINSA_10device_ptrIjEEEEjNS1_16block_id_wrapperIjLb1EEEEEvT_jjPNSI_10value_typeET0_PNSt15iterator_traitsISL_E10value_typeEmT1_T2_: ; @_ZN7rocprim17ROCPRIM_400000_NS6detail30init_device_scan_by_key_kernelINS1_19lookback_scan_stateINS0_5tupleIJ11FixedVectorIiLj2EEbEEELb0ELb1EEEN6thrust23THRUST_200600_302600_NS6detail15normal_iteratorINSA_10device_ptrIjEEEEjNS1_16block_id_wrapperIjLb1EEEEEvT_jjPNSI_10value_typeET0_PNSt15iterator_traitsISL_E10value_typeEmT1_T2_
; %bb.0:
	s_clause 0x2
	s_load_b32 s2, s[0:1], 0x4c
	s_load_b32 s14, s[0:1], 0x40
	s_load_b256 s[4:11], s[0:1], 0x0
	s_bfe_u32 s3, ttmp6, 0x4000c
	s_and_b32 s12, ttmp6, 15
	s_add_co_i32 s3, s3, 1
	s_getreg_b32 s13, hwreg(HW_REG_IB_STS2, 6, 4)
	s_mul_i32 s3, ttmp9, s3
	s_delay_alu instid0(SALU_CYCLE_1)
	s_add_co_i32 s12, s12, s3
	s_wait_kmcnt 0x0
	s_and_b32 s15, s2, 0xffff
	s_cmp_eq_u32 s13, 0
	s_cselect_b32 s2, ttmp9, s12
	s_cmp_eq_u64 s[8:9], 0
	v_mad_u32 v4, s2, s15, v0
	s_cbranch_scc1 .LBB1982_8
; %bb.1:
	s_cmp_lt_u32 s7, s6
	s_mov_b32 s16, exec_lo
	s_cselect_b32 s2, s7, 0
	s_delay_alu instid0(VALU_DEP_1) | instid1(SALU_CYCLE_1)
	v_cmpx_eq_u32_e64 s2, v4
	s_cbranch_execz .LBB1982_7
; %bb.2:
	s_add_co_i32 s2, s7, 32
	s_mov_b32 s3, 0
	s_delay_alu instid0(SALU_CYCLE_1) | instskip(SKIP_2) | instid1(SALU_CYCLE_1)
	s_lshl_b64 s[12:13], s[2:3], 4
	s_mov_b32 s2, exec_lo
	s_add_nc_u64 s[12:13], s[4:5], s[12:13]
	v_mov_b64_e32 v[0:1], s[12:13]
	;;#ASMSTART
	global_load_b128 v[0:3], v[0:1] off scope:SCOPE_DEV	
s_wait_loadcnt 0x0
	;;#ASMEND
	s_delay_alu instid0(VALU_DEP_1) | instskip(SKIP_1) | instid1(VALU_DEP_1)
	v_dual_mov_b32 v6, 0 :: v_dual_mov_b32 v8, v1
	v_and_b32_e32 v7, 0xff, v3
	v_cmpx_eq_u64_e32 0, v[6:7]
	s_cbranch_execz .LBB1982_6
; %bb.3:
	v_mov_b64_e32 v[8:9], s[12:13]
.LBB1982_4:                             ; =>This Inner Loop Header: Depth=1
	;;#ASMSTART
	global_load_b128 v[0:3], v[8:9] off scope:SCOPE_DEV	
s_wait_loadcnt 0x0
	;;#ASMEND
	v_and_b32_e32 v7, 0xff, v3
	s_delay_alu instid0(VALU_DEP_1) | instskip(SKIP_1) | instid1(SALU_CYCLE_1)
	v_cmp_ne_u64_e32 vcc_lo, 0, v[6:7]
	s_or_b32 s3, vcc_lo, s3
	s_and_not1_b32 exec_lo, exec_lo, s3
	s_cbranch_execnz .LBB1982_4
; %bb.5:
	s_or_b32 exec_lo, exec_lo, s3
	v_mov_b32_e32 v8, v1
.LBB1982_6:
	s_or_b32 exec_lo, exec_lo, s2
	s_delay_alu instid0(VALU_DEP_1)
	v_dual_mov_b32 v3, 0 :: v_dual_mov_b32 v1, v8
	s_clause 0x1
	global_store_b64 v3, v[0:1], s[8:9]
	global_store_b8 v3, v2, s[8:9] offset:8
.LBB1982_7:
	s_wait_xcnt 0x0
	s_or_b32 exec_lo, exec_lo, s16
.LBB1982_8:
	s_delay_alu instid0(SALU_CYCLE_1) | instskip(NEXT) | instid1(VALU_DEP_1)
	s_mov_b32 s2, exec_lo
	v_cmpx_eq_u32_e32 0, v4
	s_cbranch_execz .LBB1982_10
; %bb.9:
	s_load_b64 s[8:9], s[0:1], 0x38
	v_mov_b32_e32 v0, 0
	s_wait_kmcnt 0x0
	global_store_b32 v0, v0, s[8:9]
.LBB1982_10:
	s_wait_xcnt 0x0
	s_or_b32 exec_lo, exec_lo, s2
	s_delay_alu instid0(SALU_CYCLE_1)
	s_mov_b32 s2, exec_lo
	v_cmpx_gt_u32_e64 s6, v4
	s_cbranch_execz .LBB1982_12
; %bb.11:
	v_dual_mov_b32 v0, 0 :: v_dual_add_nc_u32 v5, 32, v4
	s_delay_alu instid0(VALU_DEP_1)
	v_dual_mov_b32 v1, v0 :: v_dual_mov_b32 v2, v0
	v_mov_b32_e32 v3, v0
	global_store_b128 v5, v[0:3], s[4:5] scale_offset
.LBB1982_12:
	s_wait_xcnt 0x0
	s_or_b32 exec_lo, exec_lo, s2
	v_mov_b32_e32 v5, 0
	s_mov_b32 s2, exec_lo
	v_cmpx_lt_u32_e32 31, v4
	s_xor_b32 s2, exec_lo, s2
	s_delay_alu instid0(SALU_CYCLE_1)
	s_and_not1_saveexec_b32 s2, s2
	s_cbranch_execz .LBB1982_14
; %bb.13:
	v_dual_mov_b32 v0, 0 :: v_dual_mov_b32 v3, 0xff
	v_lshl_add_u64 v[6:7], v[4:5], 4, s[4:5]
	s_delay_alu instid0(VALU_DEP_2)
	v_dual_mov_b32 v1, v0 :: v_dual_mov_b32 v2, v0
	global_store_b128 v[6:7], v[0:3], off
.LBB1982_14:
	s_wait_xcnt 0x0
	s_or_b32 exec_lo, exec_lo, s2
	s_load_b64 s[2:3], s[0:1], 0x28
	s_mov_b32 s4, exec_lo
	s_wait_kmcnt 0x0
	v_cmpx_gt_u64_e64 s[2:3], v[4:5]
	s_cbranch_execz .LBB1982_17
; %bb.15:
	s_clause 0x1
	s_load_b32 s4, s[0:1], 0x30
	s_load_b64 s[6:7], s[0:1], 0x20
	s_mov_b32 s5, 0
	s_wait_xcnt 0x0
	s_mul_i32 s0, s14, s15
	s_mov_b32 s9, s5
	s_mov_b32 s1, s5
	s_wait_kmcnt 0x0
	v_mul_u64_e32 v[0:1], s[4:5], v[4:5]
	s_add_co_i32 s8, s4, -1
	v_lshl_add_u64 v[2:3], v[4:5], 2, s[6:7]
	s_lshl_b64 s[8:9], s[8:9], 2
	s_delay_alu instid0(SALU_CYCLE_1) | instskip(SKIP_1) | instid1(SALU_CYCLE_1)
	s_add_nc_u64 s[8:9], s[10:11], s[8:9]
	s_mul_u64 s[10:11], s[4:5], s[0:1]
	s_lshl_b64 s[6:7], s[10:11], 2
	s_delay_alu instid0(VALU_DEP_2)
	v_lshl_add_u64 v[0:1], v[0:1], 2, s[8:9]
	s_lshl_b64 s[8:9], s[0:1], 2
.LBB1982_16:                            ; =>This Inner Loop Header: Depth=1
	global_load_b32 v6, v[0:1], off
	v_add_nc_u64_e32 v[4:5], s[0:1], v[4:5]
	s_wait_xcnt 0x0
	v_add_nc_u64_e32 v[0:1], s[6:7], v[0:1]
	s_delay_alu instid0(VALU_DEP_2)
	v_cmp_le_u64_e32 vcc_lo, s[2:3], v[4:5]
	s_or_b32 s5, vcc_lo, s5
	s_wait_loadcnt 0x0
	global_store_b32 v[2:3], v6, off
	s_wait_xcnt 0x0
	v_add_nc_u64_e32 v[2:3], s[8:9], v[2:3]
	s_and_not1_b32 exec_lo, exec_lo, s5
	s_cbranch_execnz .LBB1982_16
.LBB1982_17:
	s_endpgm
	.section	.rodata,"a",@progbits
	.p2align	6, 0x0
	.amdhsa_kernel _ZN7rocprim17ROCPRIM_400000_NS6detail30init_device_scan_by_key_kernelINS1_19lookback_scan_stateINS0_5tupleIJ11FixedVectorIiLj2EEbEEELb0ELb1EEEN6thrust23THRUST_200600_302600_NS6detail15normal_iteratorINSA_10device_ptrIjEEEEjNS1_16block_id_wrapperIjLb1EEEEEvT_jjPNSI_10value_typeET0_PNSt15iterator_traitsISL_E10value_typeEmT1_T2_
		.amdhsa_group_segment_fixed_size 0
		.amdhsa_private_segment_fixed_size 0
		.amdhsa_kernarg_size 320
		.amdhsa_user_sgpr_count 2
		.amdhsa_user_sgpr_dispatch_ptr 0
		.amdhsa_user_sgpr_queue_ptr 0
		.amdhsa_user_sgpr_kernarg_segment_ptr 1
		.amdhsa_user_sgpr_dispatch_id 0
		.amdhsa_user_sgpr_kernarg_preload_length 0
		.amdhsa_user_sgpr_kernarg_preload_offset 0
		.amdhsa_user_sgpr_private_segment_size 0
		.amdhsa_wavefront_size32 1
		.amdhsa_uses_dynamic_stack 0
		.amdhsa_enable_private_segment 0
		.amdhsa_system_sgpr_workgroup_id_x 1
		.amdhsa_system_sgpr_workgroup_id_y 0
		.amdhsa_system_sgpr_workgroup_id_z 0
		.amdhsa_system_sgpr_workgroup_info 0
		.amdhsa_system_vgpr_workitem_id 0
		.amdhsa_next_free_vgpr 10
		.amdhsa_next_free_sgpr 17
		.amdhsa_named_barrier_count 0
		.amdhsa_reserve_vcc 1
		.amdhsa_float_round_mode_32 0
		.amdhsa_float_round_mode_16_64 0
		.amdhsa_float_denorm_mode_32 3
		.amdhsa_float_denorm_mode_16_64 3
		.amdhsa_fp16_overflow 0
		.amdhsa_memory_ordered 1
		.amdhsa_forward_progress 1
		.amdhsa_inst_pref_size 6
		.amdhsa_round_robin_scheduling 0
		.amdhsa_exception_fp_ieee_invalid_op 0
		.amdhsa_exception_fp_denorm_src 0
		.amdhsa_exception_fp_ieee_div_zero 0
		.amdhsa_exception_fp_ieee_overflow 0
		.amdhsa_exception_fp_ieee_underflow 0
		.amdhsa_exception_fp_ieee_inexact 0
		.amdhsa_exception_int_div_zero 0
	.end_amdhsa_kernel
	.section	.text._ZN7rocprim17ROCPRIM_400000_NS6detail30init_device_scan_by_key_kernelINS1_19lookback_scan_stateINS0_5tupleIJ11FixedVectorIiLj2EEbEEELb0ELb1EEEN6thrust23THRUST_200600_302600_NS6detail15normal_iteratorINSA_10device_ptrIjEEEEjNS1_16block_id_wrapperIjLb1EEEEEvT_jjPNSI_10value_typeET0_PNSt15iterator_traitsISL_E10value_typeEmT1_T2_,"axG",@progbits,_ZN7rocprim17ROCPRIM_400000_NS6detail30init_device_scan_by_key_kernelINS1_19lookback_scan_stateINS0_5tupleIJ11FixedVectorIiLj2EEbEEELb0ELb1EEEN6thrust23THRUST_200600_302600_NS6detail15normal_iteratorINSA_10device_ptrIjEEEEjNS1_16block_id_wrapperIjLb1EEEEEvT_jjPNSI_10value_typeET0_PNSt15iterator_traitsISL_E10value_typeEmT1_T2_,comdat
.Lfunc_end1982:
	.size	_ZN7rocprim17ROCPRIM_400000_NS6detail30init_device_scan_by_key_kernelINS1_19lookback_scan_stateINS0_5tupleIJ11FixedVectorIiLj2EEbEEELb0ELb1EEEN6thrust23THRUST_200600_302600_NS6detail15normal_iteratorINSA_10device_ptrIjEEEEjNS1_16block_id_wrapperIjLb1EEEEEvT_jjPNSI_10value_typeET0_PNSt15iterator_traitsISL_E10value_typeEmT1_T2_, .Lfunc_end1982-_ZN7rocprim17ROCPRIM_400000_NS6detail30init_device_scan_by_key_kernelINS1_19lookback_scan_stateINS0_5tupleIJ11FixedVectorIiLj2EEbEEELb0ELb1EEEN6thrust23THRUST_200600_302600_NS6detail15normal_iteratorINSA_10device_ptrIjEEEEjNS1_16block_id_wrapperIjLb1EEEEEvT_jjPNSI_10value_typeET0_PNSt15iterator_traitsISL_E10value_typeEmT1_T2_
                                        ; -- End function
	.set _ZN7rocprim17ROCPRIM_400000_NS6detail30init_device_scan_by_key_kernelINS1_19lookback_scan_stateINS0_5tupleIJ11FixedVectorIiLj2EEbEEELb0ELb1EEEN6thrust23THRUST_200600_302600_NS6detail15normal_iteratorINSA_10device_ptrIjEEEEjNS1_16block_id_wrapperIjLb1EEEEEvT_jjPNSI_10value_typeET0_PNSt15iterator_traitsISL_E10value_typeEmT1_T2_.num_vgpr, 10
	.set _ZN7rocprim17ROCPRIM_400000_NS6detail30init_device_scan_by_key_kernelINS1_19lookback_scan_stateINS0_5tupleIJ11FixedVectorIiLj2EEbEEELb0ELb1EEEN6thrust23THRUST_200600_302600_NS6detail15normal_iteratorINSA_10device_ptrIjEEEEjNS1_16block_id_wrapperIjLb1EEEEEvT_jjPNSI_10value_typeET0_PNSt15iterator_traitsISL_E10value_typeEmT1_T2_.num_agpr, 0
	.set _ZN7rocprim17ROCPRIM_400000_NS6detail30init_device_scan_by_key_kernelINS1_19lookback_scan_stateINS0_5tupleIJ11FixedVectorIiLj2EEbEEELb0ELb1EEEN6thrust23THRUST_200600_302600_NS6detail15normal_iteratorINSA_10device_ptrIjEEEEjNS1_16block_id_wrapperIjLb1EEEEEvT_jjPNSI_10value_typeET0_PNSt15iterator_traitsISL_E10value_typeEmT1_T2_.numbered_sgpr, 17
	.set _ZN7rocprim17ROCPRIM_400000_NS6detail30init_device_scan_by_key_kernelINS1_19lookback_scan_stateINS0_5tupleIJ11FixedVectorIiLj2EEbEEELb0ELb1EEEN6thrust23THRUST_200600_302600_NS6detail15normal_iteratorINSA_10device_ptrIjEEEEjNS1_16block_id_wrapperIjLb1EEEEEvT_jjPNSI_10value_typeET0_PNSt15iterator_traitsISL_E10value_typeEmT1_T2_.num_named_barrier, 0
	.set _ZN7rocprim17ROCPRIM_400000_NS6detail30init_device_scan_by_key_kernelINS1_19lookback_scan_stateINS0_5tupleIJ11FixedVectorIiLj2EEbEEELb0ELb1EEEN6thrust23THRUST_200600_302600_NS6detail15normal_iteratorINSA_10device_ptrIjEEEEjNS1_16block_id_wrapperIjLb1EEEEEvT_jjPNSI_10value_typeET0_PNSt15iterator_traitsISL_E10value_typeEmT1_T2_.private_seg_size, 0
	.set _ZN7rocprim17ROCPRIM_400000_NS6detail30init_device_scan_by_key_kernelINS1_19lookback_scan_stateINS0_5tupleIJ11FixedVectorIiLj2EEbEEELb0ELb1EEEN6thrust23THRUST_200600_302600_NS6detail15normal_iteratorINSA_10device_ptrIjEEEEjNS1_16block_id_wrapperIjLb1EEEEEvT_jjPNSI_10value_typeET0_PNSt15iterator_traitsISL_E10value_typeEmT1_T2_.uses_vcc, 1
	.set _ZN7rocprim17ROCPRIM_400000_NS6detail30init_device_scan_by_key_kernelINS1_19lookback_scan_stateINS0_5tupleIJ11FixedVectorIiLj2EEbEEELb0ELb1EEEN6thrust23THRUST_200600_302600_NS6detail15normal_iteratorINSA_10device_ptrIjEEEEjNS1_16block_id_wrapperIjLb1EEEEEvT_jjPNSI_10value_typeET0_PNSt15iterator_traitsISL_E10value_typeEmT1_T2_.uses_flat_scratch, 0
	.set _ZN7rocprim17ROCPRIM_400000_NS6detail30init_device_scan_by_key_kernelINS1_19lookback_scan_stateINS0_5tupleIJ11FixedVectorIiLj2EEbEEELb0ELb1EEEN6thrust23THRUST_200600_302600_NS6detail15normal_iteratorINSA_10device_ptrIjEEEEjNS1_16block_id_wrapperIjLb1EEEEEvT_jjPNSI_10value_typeET0_PNSt15iterator_traitsISL_E10value_typeEmT1_T2_.has_dyn_sized_stack, 0
	.set _ZN7rocprim17ROCPRIM_400000_NS6detail30init_device_scan_by_key_kernelINS1_19lookback_scan_stateINS0_5tupleIJ11FixedVectorIiLj2EEbEEELb0ELb1EEEN6thrust23THRUST_200600_302600_NS6detail15normal_iteratorINSA_10device_ptrIjEEEEjNS1_16block_id_wrapperIjLb1EEEEEvT_jjPNSI_10value_typeET0_PNSt15iterator_traitsISL_E10value_typeEmT1_T2_.has_recursion, 0
	.set _ZN7rocprim17ROCPRIM_400000_NS6detail30init_device_scan_by_key_kernelINS1_19lookback_scan_stateINS0_5tupleIJ11FixedVectorIiLj2EEbEEELb0ELb1EEEN6thrust23THRUST_200600_302600_NS6detail15normal_iteratorINSA_10device_ptrIjEEEEjNS1_16block_id_wrapperIjLb1EEEEEvT_jjPNSI_10value_typeET0_PNSt15iterator_traitsISL_E10value_typeEmT1_T2_.has_indirect_call, 0
	.section	.AMDGPU.csdata,"",@progbits
; Kernel info:
; codeLenInByte = 672
; TotalNumSgprs: 19
; NumVgprs: 10
; ScratchSize: 0
; MemoryBound: 0
; FloatMode: 240
; IeeeMode: 1
; LDSByteSize: 0 bytes/workgroup (compile time only)
; SGPRBlocks: 0
; VGPRBlocks: 0
; NumSGPRsForWavesPerEU: 19
; NumVGPRsForWavesPerEU: 10
; NamedBarCnt: 0
; Occupancy: 16
; WaveLimiterHint : 0
; COMPUTE_PGM_RSRC2:SCRATCH_EN: 0
; COMPUTE_PGM_RSRC2:USER_SGPR: 2
; COMPUTE_PGM_RSRC2:TRAP_HANDLER: 0
; COMPUTE_PGM_RSRC2:TGID_X_EN: 1
; COMPUTE_PGM_RSRC2:TGID_Y_EN: 0
; COMPUTE_PGM_RSRC2:TGID_Z_EN: 0
; COMPUTE_PGM_RSRC2:TIDIG_COMP_CNT: 0
	.section	.text._ZN7rocprim17ROCPRIM_400000_NS6detail30init_device_scan_by_key_kernelINS1_19lookback_scan_stateINS0_5tupleIJ11FixedVectorIiLj2EEbEEELb0ELb1EEENS1_16block_id_wrapperIjLb1EEEEEvT_jjPNSB_10value_typeET0_,"axG",@progbits,_ZN7rocprim17ROCPRIM_400000_NS6detail30init_device_scan_by_key_kernelINS1_19lookback_scan_stateINS0_5tupleIJ11FixedVectorIiLj2EEbEEELb0ELb1EEENS1_16block_id_wrapperIjLb1EEEEEvT_jjPNSB_10value_typeET0_,comdat
	.protected	_ZN7rocprim17ROCPRIM_400000_NS6detail30init_device_scan_by_key_kernelINS1_19lookback_scan_stateINS0_5tupleIJ11FixedVectorIiLj2EEbEEELb0ELb1EEENS1_16block_id_wrapperIjLb1EEEEEvT_jjPNSB_10value_typeET0_ ; -- Begin function _ZN7rocprim17ROCPRIM_400000_NS6detail30init_device_scan_by_key_kernelINS1_19lookback_scan_stateINS0_5tupleIJ11FixedVectorIiLj2EEbEEELb0ELb1EEENS1_16block_id_wrapperIjLb1EEEEEvT_jjPNSB_10value_typeET0_
	.globl	_ZN7rocprim17ROCPRIM_400000_NS6detail30init_device_scan_by_key_kernelINS1_19lookback_scan_stateINS0_5tupleIJ11FixedVectorIiLj2EEbEEELb0ELb1EEENS1_16block_id_wrapperIjLb1EEEEEvT_jjPNSB_10value_typeET0_
	.p2align	8
	.type	_ZN7rocprim17ROCPRIM_400000_NS6detail30init_device_scan_by_key_kernelINS1_19lookback_scan_stateINS0_5tupleIJ11FixedVectorIiLj2EEbEEELb0ELb1EEENS1_16block_id_wrapperIjLb1EEEEEvT_jjPNSB_10value_typeET0_,@function
_ZN7rocprim17ROCPRIM_400000_NS6detail30init_device_scan_by_key_kernelINS1_19lookback_scan_stateINS0_5tupleIJ11FixedVectorIiLj2EEbEEELb0ELb1EEENS1_16block_id_wrapperIjLb1EEEEEvT_jjPNSB_10value_typeET0_: ; @_ZN7rocprim17ROCPRIM_400000_NS6detail30init_device_scan_by_key_kernelINS1_19lookback_scan_stateINS0_5tupleIJ11FixedVectorIiLj2EEbEEELb0ELb1EEENS1_16block_id_wrapperIjLb1EEEEEvT_jjPNSB_10value_typeET0_
; %bb.0:
	s_clause 0x1
	s_load_b32 s2, s[0:1], 0x2c
	s_load_b256 s[4:11], s[0:1], 0x0
	s_wait_xcnt 0x0
	s_bfe_u32 s0, ttmp6, 0x4000c
	s_and_b32 s1, ttmp6, 15
	s_add_co_i32 s0, s0, 1
	s_getreg_b32 s3, hwreg(HW_REG_IB_STS2, 6, 4)
	s_mul_i32 s0, ttmp9, s0
	s_delay_alu instid0(SALU_CYCLE_1)
	s_add_co_i32 s1, s1, s0
	s_wait_kmcnt 0x0
	s_and_b32 s2, s2, 0xffff
	s_cmp_eq_u32 s3, 0
	s_cselect_b32 s0, ttmp9, s1
	s_cmp_eq_u64 s[8:9], 0
	v_mad_u32 v8, s0, s2, v0
	s_cbranch_scc1 .LBB1983_8
; %bb.1:
	s_cmp_lt_u32 s7, s6
	s_mov_b32 s12, exec_lo
	s_cselect_b32 s0, s7, 0
	s_delay_alu instid0(VALU_DEP_1) | instid1(SALU_CYCLE_1)
	v_cmpx_eq_u32_e64 s0, v8
	s_cbranch_execz .LBB1983_7
; %bb.2:
	s_add_co_i32 s0, s7, 32
	s_mov_b32 s1, 0
	s_delay_alu instid0(SALU_CYCLE_1) | instskip(SKIP_2) | instid1(SALU_CYCLE_1)
	s_lshl_b64 s[2:3], s[0:1], 4
	s_mov_b32 s0, exec_lo
	s_add_nc_u64 s[2:3], s[4:5], s[2:3]
	v_mov_b64_e32 v[0:1], s[2:3]
	;;#ASMSTART
	global_load_b128 v[0:3], v[0:1] off scope:SCOPE_DEV	
s_wait_loadcnt 0x0
	;;#ASMEND
	s_delay_alu instid0(VALU_DEP_1) | instskip(SKIP_1) | instid1(VALU_DEP_1)
	v_dual_mov_b32 v4, 0 :: v_dual_mov_b32 v6, v1
	v_and_b32_e32 v5, 0xff, v3
	v_cmpx_eq_u64_e32 0, v[4:5]
	s_cbranch_execz .LBB1983_6
; %bb.3:
	v_mov_b64_e32 v[6:7], s[2:3]
.LBB1983_4:                             ; =>This Inner Loop Header: Depth=1
	;;#ASMSTART
	global_load_b128 v[0:3], v[6:7] off scope:SCOPE_DEV	
s_wait_loadcnt 0x0
	;;#ASMEND
	v_and_b32_e32 v5, 0xff, v3
	s_delay_alu instid0(VALU_DEP_1) | instskip(SKIP_1) | instid1(SALU_CYCLE_1)
	v_cmp_ne_u64_e32 vcc_lo, 0, v[4:5]
	s_or_b32 s1, vcc_lo, s1
	s_and_not1_b32 exec_lo, exec_lo, s1
	s_cbranch_execnz .LBB1983_4
; %bb.5:
	s_or_b32 exec_lo, exec_lo, s1
	v_mov_b32_e32 v6, v1
.LBB1983_6:
	s_or_b32 exec_lo, exec_lo, s0
	s_delay_alu instid0(VALU_DEP_1)
	v_dual_mov_b32 v3, 0 :: v_dual_mov_b32 v1, v6
	s_clause 0x1
	global_store_b64 v3, v[0:1], s[8:9]
	global_store_b8 v3, v2, s[8:9] offset:8
.LBB1983_7:
	s_wait_xcnt 0x0
	s_or_b32 exec_lo, exec_lo, s12
.LBB1983_8:
	s_delay_alu instid0(SALU_CYCLE_1) | instskip(NEXT) | instid1(VALU_DEP_1)
	s_mov_b32 s0, exec_lo
	v_cmpx_eq_u32_e32 0, v8
	s_cbranch_execz .LBB1983_10
; %bb.9:
	v_mov_b32_e32 v0, 0
	global_store_b32 v0, v0, s[10:11]
.LBB1983_10:
	s_wait_xcnt 0x0
	s_or_b32 exec_lo, exec_lo, s0
	s_delay_alu instid0(SALU_CYCLE_1)
	s_mov_b32 s0, exec_lo
	v_cmpx_gt_u32_e64 s6, v8
	s_cbranch_execz .LBB1983_12
; %bb.11:
	v_dual_mov_b32 v0, 0 :: v_dual_add_nc_u32 v4, 32, v8
	s_delay_alu instid0(VALU_DEP_1)
	v_dual_mov_b32 v1, v0 :: v_dual_mov_b32 v2, v0
	v_mov_b32_e32 v3, v0
	global_store_b128 v4, v[0:3], s[4:5] scale_offset
.LBB1983_12:
	s_wait_xcnt 0x0
	s_or_b32 exec_lo, exec_lo, s0
	s_delay_alu instid0(SALU_CYCLE_1)
	s_mov_b32 s0, exec_lo
	v_cmpx_gt_u32_e32 32, v8
	s_cbranch_execz .LBB1983_14
; %bb.13:
	v_dual_mov_b32 v0, 0 :: v_dual_mov_b32 v3, 0xff
	s_delay_alu instid0(VALU_DEP_1)
	v_dual_mov_b32 v1, v0 :: v_dual_mov_b32 v2, v0
	global_store_b128 v8, v[0:3], s[4:5] scale_offset
.LBB1983_14:
	s_endpgm
	.section	.rodata,"a",@progbits
	.p2align	6, 0x0
	.amdhsa_kernel _ZN7rocprim17ROCPRIM_400000_NS6detail30init_device_scan_by_key_kernelINS1_19lookback_scan_stateINS0_5tupleIJ11FixedVectorIiLj2EEbEEELb0ELb1EEENS1_16block_id_wrapperIjLb1EEEEEvT_jjPNSB_10value_typeET0_
		.amdhsa_group_segment_fixed_size 0
		.amdhsa_private_segment_fixed_size 0
		.amdhsa_kernarg_size 288
		.amdhsa_user_sgpr_count 2
		.amdhsa_user_sgpr_dispatch_ptr 0
		.amdhsa_user_sgpr_queue_ptr 0
		.amdhsa_user_sgpr_kernarg_segment_ptr 1
		.amdhsa_user_sgpr_dispatch_id 0
		.amdhsa_user_sgpr_kernarg_preload_length 0
		.amdhsa_user_sgpr_kernarg_preload_offset 0
		.amdhsa_user_sgpr_private_segment_size 0
		.amdhsa_wavefront_size32 1
		.amdhsa_uses_dynamic_stack 0
		.amdhsa_enable_private_segment 0
		.amdhsa_system_sgpr_workgroup_id_x 1
		.amdhsa_system_sgpr_workgroup_id_y 0
		.amdhsa_system_sgpr_workgroup_id_z 0
		.amdhsa_system_sgpr_workgroup_info 0
		.amdhsa_system_vgpr_workitem_id 0
		.amdhsa_next_free_vgpr 9
		.amdhsa_next_free_sgpr 13
		.amdhsa_named_barrier_count 0
		.amdhsa_reserve_vcc 1
		.amdhsa_float_round_mode_32 0
		.amdhsa_float_round_mode_16_64 0
		.amdhsa_float_denorm_mode_32 3
		.amdhsa_float_denorm_mode_16_64 3
		.amdhsa_fp16_overflow 0
		.amdhsa_memory_ordered 1
		.amdhsa_forward_progress 1
		.amdhsa_inst_pref_size 4
		.amdhsa_round_robin_scheduling 0
		.amdhsa_exception_fp_ieee_invalid_op 0
		.amdhsa_exception_fp_denorm_src 0
		.amdhsa_exception_fp_ieee_div_zero 0
		.amdhsa_exception_fp_ieee_overflow 0
		.amdhsa_exception_fp_ieee_underflow 0
		.amdhsa_exception_fp_ieee_inexact 0
		.amdhsa_exception_int_div_zero 0
	.end_amdhsa_kernel
	.section	.text._ZN7rocprim17ROCPRIM_400000_NS6detail30init_device_scan_by_key_kernelINS1_19lookback_scan_stateINS0_5tupleIJ11FixedVectorIiLj2EEbEEELb0ELb1EEENS1_16block_id_wrapperIjLb1EEEEEvT_jjPNSB_10value_typeET0_,"axG",@progbits,_ZN7rocprim17ROCPRIM_400000_NS6detail30init_device_scan_by_key_kernelINS1_19lookback_scan_stateINS0_5tupleIJ11FixedVectorIiLj2EEbEEELb0ELb1EEENS1_16block_id_wrapperIjLb1EEEEEvT_jjPNSB_10value_typeET0_,comdat
.Lfunc_end1983:
	.size	_ZN7rocprim17ROCPRIM_400000_NS6detail30init_device_scan_by_key_kernelINS1_19lookback_scan_stateINS0_5tupleIJ11FixedVectorIiLj2EEbEEELb0ELb1EEENS1_16block_id_wrapperIjLb1EEEEEvT_jjPNSB_10value_typeET0_, .Lfunc_end1983-_ZN7rocprim17ROCPRIM_400000_NS6detail30init_device_scan_by_key_kernelINS1_19lookback_scan_stateINS0_5tupleIJ11FixedVectorIiLj2EEbEEELb0ELb1EEENS1_16block_id_wrapperIjLb1EEEEEvT_jjPNSB_10value_typeET0_
                                        ; -- End function
	.set _ZN7rocprim17ROCPRIM_400000_NS6detail30init_device_scan_by_key_kernelINS1_19lookback_scan_stateINS0_5tupleIJ11FixedVectorIiLj2EEbEEELb0ELb1EEENS1_16block_id_wrapperIjLb1EEEEEvT_jjPNSB_10value_typeET0_.num_vgpr, 9
	.set _ZN7rocprim17ROCPRIM_400000_NS6detail30init_device_scan_by_key_kernelINS1_19lookback_scan_stateINS0_5tupleIJ11FixedVectorIiLj2EEbEEELb0ELb1EEENS1_16block_id_wrapperIjLb1EEEEEvT_jjPNSB_10value_typeET0_.num_agpr, 0
	.set _ZN7rocprim17ROCPRIM_400000_NS6detail30init_device_scan_by_key_kernelINS1_19lookback_scan_stateINS0_5tupleIJ11FixedVectorIiLj2EEbEEELb0ELb1EEENS1_16block_id_wrapperIjLb1EEEEEvT_jjPNSB_10value_typeET0_.numbered_sgpr, 13
	.set _ZN7rocprim17ROCPRIM_400000_NS6detail30init_device_scan_by_key_kernelINS1_19lookback_scan_stateINS0_5tupleIJ11FixedVectorIiLj2EEbEEELb0ELb1EEENS1_16block_id_wrapperIjLb1EEEEEvT_jjPNSB_10value_typeET0_.num_named_barrier, 0
	.set _ZN7rocprim17ROCPRIM_400000_NS6detail30init_device_scan_by_key_kernelINS1_19lookback_scan_stateINS0_5tupleIJ11FixedVectorIiLj2EEbEEELb0ELb1EEENS1_16block_id_wrapperIjLb1EEEEEvT_jjPNSB_10value_typeET0_.private_seg_size, 0
	.set _ZN7rocprim17ROCPRIM_400000_NS6detail30init_device_scan_by_key_kernelINS1_19lookback_scan_stateINS0_5tupleIJ11FixedVectorIiLj2EEbEEELb0ELb1EEENS1_16block_id_wrapperIjLb1EEEEEvT_jjPNSB_10value_typeET0_.uses_vcc, 1
	.set _ZN7rocprim17ROCPRIM_400000_NS6detail30init_device_scan_by_key_kernelINS1_19lookback_scan_stateINS0_5tupleIJ11FixedVectorIiLj2EEbEEELb0ELb1EEENS1_16block_id_wrapperIjLb1EEEEEvT_jjPNSB_10value_typeET0_.uses_flat_scratch, 0
	.set _ZN7rocprim17ROCPRIM_400000_NS6detail30init_device_scan_by_key_kernelINS1_19lookback_scan_stateINS0_5tupleIJ11FixedVectorIiLj2EEbEEELb0ELb1EEENS1_16block_id_wrapperIjLb1EEEEEvT_jjPNSB_10value_typeET0_.has_dyn_sized_stack, 0
	.set _ZN7rocprim17ROCPRIM_400000_NS6detail30init_device_scan_by_key_kernelINS1_19lookback_scan_stateINS0_5tupleIJ11FixedVectorIiLj2EEbEEELb0ELb1EEENS1_16block_id_wrapperIjLb1EEEEEvT_jjPNSB_10value_typeET0_.has_recursion, 0
	.set _ZN7rocprim17ROCPRIM_400000_NS6detail30init_device_scan_by_key_kernelINS1_19lookback_scan_stateINS0_5tupleIJ11FixedVectorIiLj2EEbEEELb0ELb1EEENS1_16block_id_wrapperIjLb1EEEEEvT_jjPNSB_10value_typeET0_.has_indirect_call, 0
	.section	.AMDGPU.csdata,"",@progbits
; Kernel info:
; codeLenInByte = 440
; TotalNumSgprs: 15
; NumVgprs: 9
; ScratchSize: 0
; MemoryBound: 0
; FloatMode: 240
; IeeeMode: 1
; LDSByteSize: 0 bytes/workgroup (compile time only)
; SGPRBlocks: 0
; VGPRBlocks: 0
; NumSGPRsForWavesPerEU: 15
; NumVGPRsForWavesPerEU: 9
; NamedBarCnt: 0
; Occupancy: 16
; WaveLimiterHint : 0
; COMPUTE_PGM_RSRC2:SCRATCH_EN: 0
; COMPUTE_PGM_RSRC2:USER_SGPR: 2
; COMPUTE_PGM_RSRC2:TRAP_HANDLER: 0
; COMPUTE_PGM_RSRC2:TGID_X_EN: 1
; COMPUTE_PGM_RSRC2:TGID_Y_EN: 0
; COMPUTE_PGM_RSRC2:TGID_Z_EN: 0
; COMPUTE_PGM_RSRC2:TIDIG_COMP_CNT: 0
	.section	.text._ZN7rocprim17ROCPRIM_400000_NS6detail17trampoline_kernelINS0_14default_configENS1_27scan_by_key_config_selectorIj11FixedVectorIiLj2EEEEZZNS1_16scan_by_key_implILNS1_25lookback_scan_determinismE0ELb0ES3_N6thrust23THRUST_200600_302600_NS6detail15normal_iteratorINSB_10device_ptrIjEEEENSD_INSE_IS6_EEEESI_S6_NSB_4plusIvEENSB_8equal_toIvEES6_EE10hipError_tPvRmT2_T3_T4_T5_mT6_T7_P12ihipStream_tbENKUlT_T0_E_clISt17integral_constantIbLb0EES12_IbLb1EEEEDaSY_SZ_EUlSY_E_NS1_11comp_targetILNS1_3genE0ELNS1_11target_archE4294967295ELNS1_3gpuE0ELNS1_3repE0EEENS1_30default_config_static_selectorELNS0_4arch9wavefront6targetE0EEEvT1_,"axG",@progbits,_ZN7rocprim17ROCPRIM_400000_NS6detail17trampoline_kernelINS0_14default_configENS1_27scan_by_key_config_selectorIj11FixedVectorIiLj2EEEEZZNS1_16scan_by_key_implILNS1_25lookback_scan_determinismE0ELb0ES3_N6thrust23THRUST_200600_302600_NS6detail15normal_iteratorINSB_10device_ptrIjEEEENSD_INSE_IS6_EEEESI_S6_NSB_4plusIvEENSB_8equal_toIvEES6_EE10hipError_tPvRmT2_T3_T4_T5_mT6_T7_P12ihipStream_tbENKUlT_T0_E_clISt17integral_constantIbLb0EES12_IbLb1EEEEDaSY_SZ_EUlSY_E_NS1_11comp_targetILNS1_3genE0ELNS1_11target_archE4294967295ELNS1_3gpuE0ELNS1_3repE0EEENS1_30default_config_static_selectorELNS0_4arch9wavefront6targetE0EEEvT1_,comdat
	.protected	_ZN7rocprim17ROCPRIM_400000_NS6detail17trampoline_kernelINS0_14default_configENS1_27scan_by_key_config_selectorIj11FixedVectorIiLj2EEEEZZNS1_16scan_by_key_implILNS1_25lookback_scan_determinismE0ELb0ES3_N6thrust23THRUST_200600_302600_NS6detail15normal_iteratorINSB_10device_ptrIjEEEENSD_INSE_IS6_EEEESI_S6_NSB_4plusIvEENSB_8equal_toIvEES6_EE10hipError_tPvRmT2_T3_T4_T5_mT6_T7_P12ihipStream_tbENKUlT_T0_E_clISt17integral_constantIbLb0EES12_IbLb1EEEEDaSY_SZ_EUlSY_E_NS1_11comp_targetILNS1_3genE0ELNS1_11target_archE4294967295ELNS1_3gpuE0ELNS1_3repE0EEENS1_30default_config_static_selectorELNS0_4arch9wavefront6targetE0EEEvT1_ ; -- Begin function _ZN7rocprim17ROCPRIM_400000_NS6detail17trampoline_kernelINS0_14default_configENS1_27scan_by_key_config_selectorIj11FixedVectorIiLj2EEEEZZNS1_16scan_by_key_implILNS1_25lookback_scan_determinismE0ELb0ES3_N6thrust23THRUST_200600_302600_NS6detail15normal_iteratorINSB_10device_ptrIjEEEENSD_INSE_IS6_EEEESI_S6_NSB_4plusIvEENSB_8equal_toIvEES6_EE10hipError_tPvRmT2_T3_T4_T5_mT6_T7_P12ihipStream_tbENKUlT_T0_E_clISt17integral_constantIbLb0EES12_IbLb1EEEEDaSY_SZ_EUlSY_E_NS1_11comp_targetILNS1_3genE0ELNS1_11target_archE4294967295ELNS1_3gpuE0ELNS1_3repE0EEENS1_30default_config_static_selectorELNS0_4arch9wavefront6targetE0EEEvT1_
	.globl	_ZN7rocprim17ROCPRIM_400000_NS6detail17trampoline_kernelINS0_14default_configENS1_27scan_by_key_config_selectorIj11FixedVectorIiLj2EEEEZZNS1_16scan_by_key_implILNS1_25lookback_scan_determinismE0ELb0ES3_N6thrust23THRUST_200600_302600_NS6detail15normal_iteratorINSB_10device_ptrIjEEEENSD_INSE_IS6_EEEESI_S6_NSB_4plusIvEENSB_8equal_toIvEES6_EE10hipError_tPvRmT2_T3_T4_T5_mT6_T7_P12ihipStream_tbENKUlT_T0_E_clISt17integral_constantIbLb0EES12_IbLb1EEEEDaSY_SZ_EUlSY_E_NS1_11comp_targetILNS1_3genE0ELNS1_11target_archE4294967295ELNS1_3gpuE0ELNS1_3repE0EEENS1_30default_config_static_selectorELNS0_4arch9wavefront6targetE0EEEvT1_
	.p2align	8
	.type	_ZN7rocprim17ROCPRIM_400000_NS6detail17trampoline_kernelINS0_14default_configENS1_27scan_by_key_config_selectorIj11FixedVectorIiLj2EEEEZZNS1_16scan_by_key_implILNS1_25lookback_scan_determinismE0ELb0ES3_N6thrust23THRUST_200600_302600_NS6detail15normal_iteratorINSB_10device_ptrIjEEEENSD_INSE_IS6_EEEESI_S6_NSB_4plusIvEENSB_8equal_toIvEES6_EE10hipError_tPvRmT2_T3_T4_T5_mT6_T7_P12ihipStream_tbENKUlT_T0_E_clISt17integral_constantIbLb0EES12_IbLb1EEEEDaSY_SZ_EUlSY_E_NS1_11comp_targetILNS1_3genE0ELNS1_11target_archE4294967295ELNS1_3gpuE0ELNS1_3repE0EEENS1_30default_config_static_selectorELNS0_4arch9wavefront6targetE0EEEvT1_,@function
_ZN7rocprim17ROCPRIM_400000_NS6detail17trampoline_kernelINS0_14default_configENS1_27scan_by_key_config_selectorIj11FixedVectorIiLj2EEEEZZNS1_16scan_by_key_implILNS1_25lookback_scan_determinismE0ELb0ES3_N6thrust23THRUST_200600_302600_NS6detail15normal_iteratorINSB_10device_ptrIjEEEENSD_INSE_IS6_EEEESI_S6_NSB_4plusIvEENSB_8equal_toIvEES6_EE10hipError_tPvRmT2_T3_T4_T5_mT6_T7_P12ihipStream_tbENKUlT_T0_E_clISt17integral_constantIbLb0EES12_IbLb1EEEEDaSY_SZ_EUlSY_E_NS1_11comp_targetILNS1_3genE0ELNS1_11target_archE4294967295ELNS1_3gpuE0ELNS1_3repE0EEENS1_30default_config_static_selectorELNS0_4arch9wavefront6targetE0EEEvT1_: ; @_ZN7rocprim17ROCPRIM_400000_NS6detail17trampoline_kernelINS0_14default_configENS1_27scan_by_key_config_selectorIj11FixedVectorIiLj2EEEEZZNS1_16scan_by_key_implILNS1_25lookback_scan_determinismE0ELb0ES3_N6thrust23THRUST_200600_302600_NS6detail15normal_iteratorINSB_10device_ptrIjEEEENSD_INSE_IS6_EEEESI_S6_NSB_4plusIvEENSB_8equal_toIvEES6_EE10hipError_tPvRmT2_T3_T4_T5_mT6_T7_P12ihipStream_tbENKUlT_T0_E_clISt17integral_constantIbLb0EES12_IbLb1EEEEDaSY_SZ_EUlSY_E_NS1_11comp_targetILNS1_3genE0ELNS1_11target_archE4294967295ELNS1_3gpuE0ELNS1_3repE0EEENS1_30default_config_static_selectorELNS0_4arch9wavefront6targetE0EEEvT1_
; %bb.0:
	s_clause 0x1
	s_load_b128 s[28:31], s[0:1], 0x30
	s_load_b64 s[36:37], s[0:1], 0x40
	v_cmp_ne_u32_e64 s3, 0, v0
	v_cmp_eq_u32_e64 s2, 0, v0
	s_and_saveexec_b32 s4, s2
	s_cbranch_execz .LBB1984_4
; %bb.1:
	s_mov_b32 s6, exec_lo
	s_mov_b32 s5, exec_lo
	v_mbcnt_lo_u32_b32 v1, s6, 0
                                        ; implicit-def: $vgpr2
	s_delay_alu instid0(VALU_DEP_1)
	v_cmpx_eq_u32_e32 0, v1
	s_cbranch_execz .LBB1984_3
; %bb.2:
	s_load_b64 s[8:9], s[0:1], 0x70
	s_bcnt1_i32_b32 s6, s6
	s_delay_alu instid0(SALU_CYCLE_1)
	v_dual_mov_b32 v2, 0 :: v_dual_mov_b32 v3, s6
	s_wait_xcnt 0x0
	s_wait_kmcnt 0x0
	global_atomic_add_u32 v2, v2, v3, s[8:9] th:TH_ATOMIC_RETURN scope:SCOPE_DEV
.LBB1984_3:
	s_wait_xcnt 0x0
	s_or_b32 exec_lo, exec_lo, s5
	s_wait_loadcnt 0x0
	v_readfirstlane_b32 s5, v2
	s_delay_alu instid0(VALU_DEP_1)
	v_dual_mov_b32 v2, 0 :: v_dual_add_nc_u32 v1, s5, v1
	ds_store_b32 v2, v1
.LBB1984_4:
	s_or_b32 exec_lo, exec_lo, s4
	v_mov_b32_e32 v1, 0
	s_clause 0x2
	s_load_b256 s[12:19], s[0:1], 0x0
	s_load_b32 s38, s[0:1], 0x48
	s_load_b256 s[20:27], s[0:1], 0x50
	s_wait_dscnt 0x0
	s_barrier_signal -1
	s_barrier_wait -1
	ds_load_b32 v2, v1
	s_mov_b32 s39, 0
	s_wait_dscnt 0x0
	s_mov_b32 s9, s39
	s_barrier_signal -1
	s_barrier_wait -1
	s_barrier_signal -1
	s_barrier_wait -1
	s_wait_kmcnt 0x0
	s_lshl_b64 s[0:1], s[14:15], 2
	s_mul_u64 s[6:7], s[36:37], s[38:39]
	s_lshl_b64 s[34:35], s[14:15], 3
	s_cmp_lg_u64 s[24:25], 0
	s_add_nc_u64 s[0:1], s[12:13], s[0:1]
	s_add_nc_u64 s[4:5], s[16:17], s[34:35]
	s_cselect_b32 s40, -1, 0
	v_readfirstlane_b32 s38, v2
	s_add_nc_u64 s[24:25], s[6:7], s[38:39]
	s_add_nc_u64 s[6:7], s[20:21], -1
	s_mul_i32 s8, s38, 0x500
	v_cmp_ge_u64_e64 s33, s[24:25], s[6:7]
	s_lshl_b64 s[10:11], s[8:9], 2
	s_lshl_b64 s[16:17], s[8:9], 3
	s_add_nc_u64 s[14:15], s[0:1], s[10:11]
	s_add_nc_u64 s[12:13], s[4:5], s[16:17]
	s_mul_i32 s31, s6, 0xfffffb00
	s_and_b32 vcc_lo, exec_lo, s33
	s_cbranch_vccz .LBB1984_28
; %bb.5:
	flat_load_b32 v1, v1, s[14:15]
	s_add_co_i32 s41, s31, s30
	s_delay_alu instid0(SALU_CYCLE_1)
	v_cmp_gt_u32_e64 s0, s41, v0
	s_wait_loadcnt_dscnt 0x0
	v_mov_b32_e32 v2, v1
	s_and_saveexec_b32 s1, s0
	s_cbranch_execz .LBB1984_7
; %bb.6:
	flat_load_b32 v2, v0, s[14:15] scale_offset
.LBB1984_7:
	s_wait_xcnt 0x0
	s_or_b32 exec_lo, exec_lo, s1
	v_or_b32_e32 v3, 0x80, v0
	s_delay_alu instid0(VALU_DEP_1)
	v_cmp_gt_u32_e64 s1, s41, v3
	v_mov_b32_e32 v3, v1
	s_and_saveexec_b32 s4, s1
	s_cbranch_execz .LBB1984_9
; %bb.8:
	flat_load_b32 v3, v0, s[14:15] offset:512 scale_offset
.LBB1984_9:
	s_wait_xcnt 0x0
	s_or_b32 exec_lo, exec_lo, s4
	v_or_b32_e32 v4, 0x100, v0
	s_delay_alu instid0(VALU_DEP_1)
	v_cmp_gt_u32_e64 s4, s41, v4
	v_mov_b32_e32 v4, v1
	s_and_saveexec_b32 s5, s4
	s_cbranch_execz .LBB1984_11
; %bb.10:
	flat_load_b32 v4, v0, s[14:15] offset:1024 scale_offset
.LBB1984_11:
	;; [unrolled: 11-line block ×8, first 2 shown]
	s_wait_xcnt 0x0
	s_or_b32 exec_lo, exec_lo, s11
	v_or_b32_e32 v11, 0x480, v0
	s_mov_b32 s20, exec_lo
	s_delay_alu instid0(VALU_DEP_1) | instskip(SKIP_2) | instid1(SALU_CYCLE_1)
	v_cmp_gt_u32_e64 s11, s41, v11
	v_cmpx_le_u32_e64 s41, v11
	s_xor_b32 s20, exec_lo, s20
	s_and_not1_saveexec_b32 s20, s20
	s_cbranch_execz .LBB1984_25
; %bb.24:
	flat_load_b32 v1, v0, s[14:15] offset:4608 scale_offset
.LBB1984_25:
	s_wait_xcnt 0x0
	s_or_b32 exec_lo, exec_lo, s20
	v_lshlrev_b32_e32 v11, 2, v0
	s_cmp_eq_u64 s[24:25], 0
	s_mov_b64 s[20:21], s[14:15]
	s_wait_loadcnt_dscnt 0x0
	ds_store_2addr_stride64_b32 v11, v2, v3 offset1:2
	ds_store_2addr_stride64_b32 v11, v4, v5 offset0:4 offset1:6
	ds_store_2addr_stride64_b32 v11, v6, v7 offset0:8 offset1:10
	;; [unrolled: 1-line block ×4, first 2 shown]
	v_mad_u32_u24 v1, v0, 36, v11
	s_wait_dscnt 0x0
	s_barrier_signal -1
	s_barrier_wait -1
	ds_load_2addr_b64 v[32:35], v1 offset1:1
	ds_load_2addr_b64 v[24:27], v1 offset0:2 offset1:3
	ds_load_b64 v[48:49], v1 offset:32
	s_cbranch_scc1 .LBB1984_31
; %bb.26:
	s_and_not1_b32 vcc_lo, exec_lo, s40
	s_cbranch_vccnz .LBB1984_29
; %bb.27:
	s_lshl_b64 s[20:21], s[24:25], 2
	s_delay_alu instid0(SALU_CYCLE_1) | instskip(NEXT) | instid1(SALU_CYCLE_1)
	s_add_nc_u64 s[20:21], s[26:27], s[20:21]
	s_add_nc_u64 s[20:21], s[20:21], -4
	s_branch .LBB1984_30
.LBB1984_28:
                                        ; implicit-def: $sgpr20
                                        ; implicit-def: $vgpr8_vgpr9
                                        ; implicit-def: $vgpr2_vgpr3
                                        ; implicit-def: $vgpr20_vgpr21
                                        ; implicit-def: $vgpr16_vgpr17
                                        ; implicit-def: $vgpr12_vgpr13
                                        ; implicit-def: $vgpr1
                                        ; implicit-def: $vgpr52
                                        ; implicit-def: $vgpr53
                                        ; implicit-def: $vgpr54
                                        ; implicit-def: $vgpr56
                                        ; implicit-def: $vgpr59
                                        ; implicit-def: $vgpr30
                                        ; implicit-def: $vgpr28
                                        ; implicit-def: $vgpr46_vgpr47
                                        ; implicit-def: $vgpr44_vgpr45
                                        ; implicit-def: $vgpr42_vgpr43
                                        ; implicit-def: $vgpr40_vgpr41
                                        ; implicit-def: $vgpr38_vgpr39
                                        ; implicit-def: $vgpr36_vgpr37
                                        ; implicit-def: $vgpr10_vgpr11
                                        ; implicit-def: $vgpr55
                                        ; implicit-def: $vgpr64
                                        ; implicit-def: $vgpr57
                                        ; implicit-def: $vgpr58
                                        ; implicit-def: $vgpr65
                                        ; implicit-def: $vgpr66
                                        ; implicit-def: $vgpr60
                                        ; implicit-def: $vgpr51
                                        ; implicit-def: $vgpr50
	s_cbranch_execnz .LBB1984_72
	s_branch .LBB1984_80
.LBB1984_29:
	s_add_nc_u64 s[20:21], s[14:15], -4
	s_mov_b32 s39, -1
.LBB1984_30:
	s_delay_alu instid0(SALU_CYCLE_1)
	s_and_not1_b32 vcc_lo, exec_lo, s39
.LBB1984_31:
	v_mov_b32_e32 v2, 0
	v_mad_i32_i24 v1, 0xffffffdc, v0, v1
	flat_load_b32 v29, v2, s[20:21]
	s_wait_dscnt 0x1
	ds_store_b32 v1, v49 offset:5120
	s_wait_loadcnt_dscnt 0x0
	s_barrier_signal -1
	s_barrier_wait -1
	s_and_saveexec_b32 s20, s3
; %bb.32:
	ds_load_b32 v29, v1 offset:5116
; %bb.33:
	s_or_b32 exec_lo, exec_lo, s20
	v_mov_b64_e32 v[2:3], 0
	v_mov_b64_e32 v[4:5], 0
	s_wait_dscnt 0x0
	s_barrier_signal -1
	s_barrier_wait -1
	s_and_saveexec_b32 s20, s0
	s_cbranch_execz .LBB1984_35
; %bb.34:
	flat_load_b64 v[4:5], v0, s[12:13] scale_offset
.LBB1984_35:
	s_wait_xcnt 0x0
	s_or_b32 exec_lo, exec_lo, s20
	s_and_saveexec_b32 s0, s1
	s_cbranch_execz .LBB1984_37
; %bb.36:
	flat_load_b64 v[2:3], v0, s[12:13] offset:1024 scale_offset
.LBB1984_37:
	s_wait_xcnt 0x0
	s_or_b32 exec_lo, exec_lo, s0
	v_mov_b64_e32 v[6:7], 0
	v_mov_b64_e32 v[8:9], 0
	s_and_saveexec_b32 s0, s4
	s_cbranch_execz .LBB1984_39
; %bb.38:
	flat_load_b64 v[8:9], v0, s[12:13] offset:2048 scale_offset
.LBB1984_39:
	s_wait_xcnt 0x0
	s_or_b32 exec_lo, exec_lo, s0
	s_and_saveexec_b32 s0, s5
	s_cbranch_execz .LBB1984_41
; %bb.40:
	flat_load_b64 v[6:7], v0, s[12:13] offset:3072 scale_offset
.LBB1984_41:
	s_wait_xcnt 0x0
	s_or_b32 exec_lo, exec_lo, s0
	v_mov_b64_e32 v[10:11], 0
	v_mov_b64_e32 v[12:13], 0
	s_and_saveexec_b32 s0, s6
	s_cbranch_execz .LBB1984_43
; %bb.42:
	flat_load_b64 v[12:13], v0, s[12:13] offset:4096 scale_offset
.LBB1984_43:
	;; [unrolled: 16-line block ×4, first 2 shown]
	s_wait_xcnt 0x0
	s_or_b32 exec_lo, exec_lo, s0
	s_and_saveexec_b32 s0, s11
	s_cbranch_execz .LBB1984_53
; %bb.52:
	flat_load_b64 v[18:19], v0, s[12:13] offset:9216 scale_offset
.LBB1984_53:
	s_wait_xcnt 0x0
	s_or_b32 exec_lo, exec_lo, s0
	v_lshl_add_u32 v31, v0, 2, v1
	v_mul_u32_u24_e32 v61, 10, v0
	v_mov_b64_e32 v[22:23], 0
	v_mov_b64_e32 v[46:47], 0
	;; [unrolled: 1-line block ×3, first 2 shown]
	s_wait_loadcnt_dscnt 0x0
	ds_store_2addr_stride64_b64 v31, v[4:5], v[2:3] offset1:2
	ds_store_2addr_stride64_b64 v31, v[8:9], v[6:7] offset0:4 offset1:6
	ds_store_2addr_stride64_b64 v31, v[12:13], v[10:11] offset0:8 offset1:10
	;; [unrolled: 1-line block ×4, first 2 shown]
	v_mov_b64_e32 v[2:3], 0
	v_mov_b64_e32 v[4:5], 0
	v_mov_b64_e32 v[20:21], 0
	v_mov_b64_e32 v[16:17], 0
	v_mov_b64_e32 v[18:19], 0
	v_mov_b64_e32 v[12:13], 0
	v_mov_b64_e32 v[14:15], 0
	v_mov_b64_e32 v[42:43], 0
	v_mov_b64_e32 v[40:41], 0
	v_mov_b64_e32 v[38:39], 0
	v_mov_b64_e32 v[36:37], 0
	v_mov_b64_e32 v[10:11], 0
	v_mov_b64_e32 v[6:7], 0
	v_cmp_gt_u32_e32 vcc_lo, s41, v61
	v_dual_mov_b32 v1, 0 :: v_dual_mov_b32 v52, 0
	v_dual_mov_b32 v53, 0 :: v_dual_mov_b32 v54, 0
	;; [unrolled: 1-line block ×8, first 2 shown]
	v_mov_b32_e32 v50, 0
	s_mov_b32 s11, 0
	s_mov_b32 s39, 0
	s_wait_dscnt 0x0
	s_barrier_signal -1
	s_barrier_wait -1
                                        ; implicit-def: $sgpr20
	s_and_saveexec_b32 s21, vcc_lo
	s_cbranch_execz .LBB1984_71
; %bb.54:
	v_mad_u32_u24 v2, 0x48, v0, v31
	v_dual_mov_b32 v1, 0 :: v_dual_bitop2_b32 v4, 1, v61 bitop3:0x54
	v_mov_b64_e32 v[20:21], 0
	v_mov_b64_e32 v[22:23], 0
	ds_load_b64 v[2:3], v2
	v_cmp_gt_u32_e64 s0, s41, v4
	v_mov_b64_e32 v[4:5], 0
	v_mov_b64_e32 v[16:17], 0
	;; [unrolled: 1-line block ×12, first 2 shown]
	v_dual_mov_b32 v52, 0 :: v_dual_mov_b32 v53, 0
	v_dual_mov_b32 v54, 0 :: v_dual_mov_b32 v56, 0
	;; [unrolled: 1-line block ×7, first 2 shown]
	s_mov_b32 s1, 0
	v_cmp_ne_u32_e32 vcc_lo, v29, v32
                                        ; implicit-def: $sgpr20
	s_and_saveexec_b32 s39, s0
	s_cbranch_execz .LBB1984_70
; %bb.55:
	v_mul_u32_u24_e32 v4, 0x48, v0
	v_dual_add_nc_u32 v5, 2, v61 :: v_dual_mov_b32 v1, 0
	v_mov_b64_e32 v[20:21], 0
	v_mov_b64_e32 v[22:23], 0
	s_delay_alu instid0(VALU_DEP_4)
	v_dual_add_nc_u32 v4, v31, v4 :: v_dual_mov_b32 v52, 0
	v_mov_b64_e32 v[16:17], 0
	v_mov_b64_e32 v[18:19], 0
	v_mov_b64_e32 v[12:13], 0
	ds_load_2addr_b64 v[28:31], v4 offset0:1 offset1:2
	v_mov_b64_e32 v[14:15], 0
	v_mov_b64_e32 v[42:43], 0
	;; [unrolled: 1-line block ×7, first 2 shown]
	v_cmp_ne_u32_e64 s0, v32, v33
	v_cmp_gt_u32_e64 s1, s41, v5
	v_dual_mov_b32 v53, 0 :: v_dual_mov_b32 v54, 0
	v_dual_mov_b32 v56, 0 :: v_dual_mov_b32 v59, 0
	;; [unrolled: 1-line block ×5, first 2 shown]
	v_mov_b32_e32 v60, 0
	s_mov_b32 s4, 0
                                        ; implicit-def: $sgpr20
	s_and_saveexec_b32 s42, s1
	s_cbranch_execz .LBB1984_69
; %bb.56:
	v_dual_add_nc_u32 v5, 3, v61 :: v_dual_mov_b32 v1, 0
	v_mov_b64_e32 v[22:23], 0
	v_mov_b64_e32 v[16:17], 0
	;; [unrolled: 1-line block ×10, first 2 shown]
	v_cmp_ne_u32_e64 s1, v33, v34
	v_cmp_gt_u32_e64 s4, s41, v5
	v_dual_mov_b32 v52, 0 :: v_dual_mov_b32 v53, 0
	v_dual_mov_b32 v54, 0 :: v_dual_mov_b32 v56, 0
	;; [unrolled: 1-line block ×5, first 2 shown]
	s_mov_b32 s5, 0
                                        ; implicit-def: $sgpr20
	s_and_saveexec_b32 s43, s4
	s_cbranch_execz .LBB1984_68
; %bb.57:
	ds_load_2addr_b64 v[20:23], v4 offset0:3 offset1:4
	v_mov_b64_e32 v[16:17], 0
	v_mov_b64_e32 v[18:19], 0
	;; [unrolled: 1-line block ×8, first 2 shown]
	v_dual_add_nc_u32 v5, 4, v61 :: v_dual_mov_b32 v1, 0
	v_cmp_ne_u32_e64 s4, v34, v35
	v_dual_mov_b32 v52, 0 :: v_dual_mov_b32 v53, 0
	v_dual_mov_b32 v54, 0 :: v_dual_mov_b32 v55, 0
	;; [unrolled: 1-line block ×4, first 2 shown]
	s_mov_b32 s6, 0
	s_mov_b32 s44, exec_lo
                                        ; implicit-def: $sgpr20
	v_cmpx_gt_u32_e64 s41, v5
	s_cbranch_execz .LBB1984_67
; %bb.58:
	v_mov_b64_e32 v[18:19], 0
	v_mov_b64_e32 v[12:13], 0
	;; [unrolled: 1-line block ×6, first 2 shown]
	v_dual_add_nc_u32 v5, 5, v61 :: v_dual_mov_b32 v1, 0
	v_cmp_ne_u32_e64 s5, v35, v24
	v_dual_mov_b32 v52, 0 :: v_dual_mov_b32 v53, 0
	v_dual_mov_b32 v55, 0 :: v_dual_mov_b32 v64, 0
	;; [unrolled: 1-line block ×3, first 2 shown]
	s_mov_b32 s7, 0
	s_mov_b32 s45, exec_lo
                                        ; implicit-def: $sgpr20
	v_cmpx_gt_u32_e64 s41, v5
	s_cbranch_execz .LBB1984_66
; %bb.59:
	ds_load_2addr_b64 v[16:19], v4 offset0:5 offset1:6
	v_dual_mov_b32 v52, 0 :: v_dual_add_nc_u32 v1, 6, v61
	v_mov_b64_e32 v[12:13], 0
	v_mov_b64_e32 v[14:15], 0
	;; [unrolled: 1-line block ×4, first 2 shown]
	v_cmp_ne_u32_e64 s6, v24, v25
	v_cmp_gt_u32_e64 s7, s41, v1
	v_dual_mov_b32 v1, 0 :: v_dual_mov_b32 v55, 0
	v_mov_b32_e32 v57, 0
	s_mov_b32 s8, 0
                                        ; implicit-def: $sgpr20
	s_and_saveexec_b32 s46, s7
	s_cbranch_execz .LBB1984_65
; %bb.60:
	v_mov_b64_e32 v[10:11], 0
	v_mov_b64_e32 v[6:7], 0
	v_dual_add_nc_u32 v5, 7, v61 :: v_dual_mov_b32 v1, 0
	v_cmp_ne_u32_e64 s7, v25, v26
	v_mov_b32_e32 v55, 0
	s_mov_b32 s9, 0
	s_mov_b32 s47, exec_lo
                                        ; implicit-def: $sgpr20
	v_cmpx_gt_u32_e64 s41, v5
	s_cbranch_execz .LBB1984_64
; %bb.61:
	ds_load_2addr_b64 v[10:13], v4 offset0:7 offset1:8
	v_mov_b64_e32 v[6:7], 0
	v_dual_add_nc_u32 v1, 8, v61 :: v_dual_mov_b32 v55, 0
	v_cmp_ne_u32_e64 s8, v26, v27
	s_mov_b32 s10, 0
	s_mov_b32 s48, exec_lo
                                        ; implicit-def: $sgpr20
	v_cmpx_gt_u32_e64 s41, v1
	s_xor_b32 s48, exec_lo, s48
	s_cbranch_execz .LBB1984_63
; %bb.62:
	ds_load_b64 v[8:9], v4 offset:72
	v_add_nc_u32_e32 v1, 9, v61
	v_cmp_ne_u32_e64 s10, v27, v48
	s_wait_dscnt 0x1
	v_mov_b64_e32 v[6:7], v[12:13]
	v_cmp_ne_u32_e64 s20, v48, v49
	v_cmp_gt_u32_e64 s9, s41, v1
	v_cndmask_b32_e64 v55, 0, 1, s10
	s_and_b32 s10, s9, exec_lo
.LBB1984_63:
	s_or_b32 exec_lo, exec_lo, s48
	v_cndmask_b32_e64 v1, 0, 1, s8
	s_and_b32 s9, s10, exec_lo
.LBB1984_64:
	s_or_b32 exec_lo, exec_lo, s47
	v_cndmask_b32_e64 v52, 0, 1, s7
	s_wait_dscnt 0x0
	v_mov_b64_e32 v[12:13], v[18:19]
	v_mov_b64_e32 v[14:15], v[10:11]
	s_and_b32 s8, s9, exec_lo
	v_mov_b32_e32 v57, v52
.LBB1984_65:
	s_or_b32 exec_lo, exec_lo, s46
	v_cndmask_b32_e64 v53, 0, 1, s6
	s_wait_dscnt 0x0
	v_mov_b64_e32 v[18:19], v[16:17]
	v_mov_b64_e32 v[36:37], v[12:13]
	v_mov_b32_e32 v64, v1
	s_and_b32 s7, s8, exec_lo
	v_mov_b32_e32 v58, v53
.LBB1984_66:
	s_or_b32 exec_lo, exec_lo, s45
	v_cndmask_b32_e64 v54, 0, 1, s5
	s_wait_dscnt 0x0
	v_mov_b64_e32 v[16:17], v[22:23]
	v_mov_b64_e32 v[38:39], v[18:19]
	s_and_b32 s6, s7, exec_lo
	v_mov_b32_e32 v65, v54
.LBB1984_67:
	s_or_b32 exec_lo, exec_lo, s44
	v_cndmask_b32_e64 v56, 0, 1, s4
	s_wait_dscnt 0x0
	v_mov_b64_e32 v[22:23], v[20:21]
	v_mov_b64_e32 v[40:41], v[16:17]
	s_and_b32 s5, s6, exec_lo
	v_mov_b32_e32 v66, v56
.LBB1984_68:
	s_or_b32 exec_lo, exec_lo, s43
	v_cndmask_b32_e64 v59, 0, 1, s1
	s_wait_dscnt 0x0
	v_mov_b64_e32 v[20:21], v[30:31]
	v_mov_b64_e32 v[42:43], v[22:23]
	s_and_b32 s4, s5, exec_lo
	v_mov_b32_e32 v60, v59
.LBB1984_69:
	s_or_b32 exec_lo, exec_lo, s42
	s_wait_dscnt 0x0
	v_cndmask_b32_e64 v30, 0, 1, s0
	v_mov_b64_e32 v[4:5], v[28:29]
	v_mov_b64_e32 v[44:45], v[20:21]
	s_and_b32 s1, s4, exec_lo
	s_delay_alu instid0(VALU_DEP_3)
	v_mov_b32_e32 v51, v30
.LBB1984_70:
	s_or_b32 exec_lo, exec_lo, s39
	v_cndmask_b32_e64 v28, 0, 1, vcc_lo
	s_delay_alu instid0(VALU_DEP_4) | instskip(SKIP_1) | instid1(VALU_DEP_2)
	v_mov_b64_e32 v[46:47], v[4:5]
	s_and_b32 s39, s1, exec_lo
	v_mov_b32_e32 v50, v28
.LBB1984_71:
	s_or_b32 exec_lo, exec_lo, s21
	s_delay_alu instid0(SALU_CYCLE_1)
	s_and_b32 vcc_lo, exec_lo, s11
	s_cbranch_vccz .LBB1984_80
.LBB1984_72:
	s_wait_dscnt 0x0
	s_clause 0x9
	flat_load_b32 v2, v0, s[14:15] scale_offset
	flat_load_b32 v3, v0, s[14:15] offset:512 scale_offset
	flat_load_b32 v4, v0, s[14:15] offset:1024 scale_offset
	;; [unrolled: 1-line block ×9, first 2 shown]
	v_lshlrev_b32_e32 v12, 2, v0
	s_cmp_eq_u64 s[24:25], 0
	s_wait_loadcnt_dscnt 0x808
	ds_store_2addr_stride64_b32 v12, v2, v3 offset1:2
	s_wait_loadcnt_dscnt 0x607
	ds_store_2addr_stride64_b32 v12, v4, v5 offset0:4 offset1:6
	s_wait_loadcnt_dscnt 0x406
	ds_store_2addr_stride64_b32 v12, v6, v7 offset0:8 offset1:10
	;; [unrolled: 2-line block ×4, first 2 shown]
	v_mad_u32_u24 v1, v0, 36, v12
	s_wait_dscnt 0x0
	s_barrier_signal -1
	s_barrier_wait -1
	ds_load_2addr_b64 v[6:9], v1 offset1:1
	ds_load_2addr_b64 v[2:5], v1 offset0:2 offset1:3
	ds_load_b64 v[10:11], v1 offset:32
	v_mov_b32_e32 v12, 0
	s_cbranch_scc1 .LBB1984_77
; %bb.73:
	s_and_not1_b32 vcc_lo, exec_lo, s40
	s_cbranch_vccnz .LBB1984_75
; %bb.74:
	s_lshl_b64 s[0:1], s[24:25], 2
	s_delay_alu instid0(SALU_CYCLE_1) | instskip(NEXT) | instid1(SALU_CYCLE_1)
	s_add_nc_u64 s[0:1], s[26:27], s[0:1]
	s_add_nc_u64 s[14:15], s[0:1], -4
	s_mov_b32 s0, 0
	s_branch .LBB1984_76
.LBB1984_75:
	s_add_nc_u64 s[14:15], s[14:15], -4
	s_mov_b32 s0, -1
.LBB1984_76:
	s_delay_alu instid0(SALU_CYCLE_1)
	s_and_not1_b32 vcc_lo, exec_lo, s0
.LBB1984_77:
	flat_load_b32 v24, v12, s[14:15]
	s_wait_xcnt 0x0
	v_mad_i32_i24 v12, 0xffffffdc, v0, v1
	s_wait_dscnt 0x1
	ds_store_b32 v12, v11 offset:5120
	s_wait_loadcnt_dscnt 0x0
	s_barrier_signal -1
	s_barrier_wait -1
	s_and_saveexec_b32 s0, s3
; %bb.78:
	ds_load_b32 v24, v12 offset:5116
; %bb.79:
	s_or_b32 exec_lo, exec_lo, s0
	s_wait_dscnt 0x0
	s_barrier_signal -1
	s_barrier_wait -1
	s_clause 0x9
	flat_load_b64 v[14:15], v0, s[12:13] scale_offset
	flat_load_b64 v[16:17], v0, s[12:13] offset:1024 scale_offset
	flat_load_b64 v[18:19], v0, s[12:13] offset:2048 scale_offset
	;; [unrolled: 1-line block ×9, first 2 shown]
	v_cmp_ne_u32_e32 vcc_lo, v5, v10
	v_cmp_ne_u32_e64 s20, v10, v11
	s_mov_b32 s39, -1
	v_cndmask_b32_e64 v55, 0, 1, vcc_lo
	v_cmp_ne_u32_e32 vcc_lo, v4, v5
	v_cndmask_b32_e64 v1, 0, 1, vcc_lo
	v_cmp_ne_u32_e32 vcc_lo, v3, v4
	v_lshl_add_u32 v4, v0, 2, v12
	s_wait_loadcnt_dscnt 0x808
	ds_store_2addr_stride64_b64 v4, v[14:15], v[16:17] offset1:2
	s_wait_loadcnt_dscnt 0x607
	ds_store_2addr_stride64_b64 v4, v[18:19], v[20:21] offset0:4 offset1:6
	s_wait_loadcnt_dscnt 0x406
	ds_store_2addr_stride64_b64 v4, v[22:23], v[26:27] offset0:8 offset1:10
	;; [unrolled: 2-line block ×4, first 2 shown]
	v_cndmask_b32_e64 v52, 0, 1, vcc_lo
	v_cmp_ne_u32_e32 vcc_lo, v2, v3
	v_mad_u32_u24 v10, 0x48, v0, v4
	s_wait_dscnt 0x0
	s_barrier_signal -1
	s_barrier_wait -1
	v_cndmask_b32_e64 v53, 0, 1, vcc_lo
	v_cmp_ne_u32_e32 vcc_lo, v9, v2
	ds_load_b128 v[2:5], v10
	ds_load_b128 v[20:23], v10 offset:16
	ds_load_b128 v[16:19], v10 offset:32
	;; [unrolled: 1-line block ×3, first 2 shown]
	v_dual_mov_b32 v64, v1 :: v_dual_mov_b32 v57, v52
	v_cndmask_b32_e64 v54, 0, 1, vcc_lo
	v_cmp_ne_u32_e32 vcc_lo, v8, v9
	s_delay_alu instid0(VALU_DEP_2)
	v_dual_mov_b32 v58, v53 :: v_dual_mov_b32 v65, v54
	v_cndmask_b32_e64 v56, 0, 1, vcc_lo
	v_cmp_ne_u32_e32 vcc_lo, v7, v8
	v_cndmask_b32_e64 v59, 0, 1, vcc_lo
	v_cmp_ne_u32_e32 vcc_lo, v6, v7
	s_wait_dscnt 0x3
	v_mov_b64_e32 v[46:47], v[4:5]
	s_wait_dscnt 0x2
	v_mov_b64_e32 v[44:45], v[20:21]
	v_mov_b64_e32 v[42:43], v[22:23]
	s_wait_dscnt 0x1
	v_mov_b64_e32 v[40:41], v[16:17]
	v_cndmask_b32_e64 v30, 0, 1, vcc_lo
	v_cmp_ne_u32_e32 vcc_lo, v24, v6
	ds_load_b128 v[6:9], v10 offset:64
	v_mov_b64_e32 v[38:39], v[18:19]
	s_wait_dscnt 0x1
	v_mov_b64_e32 v[36:37], v[12:13]
	v_mov_b64_e32 v[10:11], v[14:15]
	v_cndmask_b32_e64 v28, 0, 1, vcc_lo
	v_dual_mov_b32 v66, v56 :: v_dual_mov_b32 v60, v59
	s_delay_alu instid0(VALU_DEP_2)
	v_dual_mov_b32 v51, v30 :: v_dual_mov_b32 v50, v28
.LBB1984_80:
	v_mov_b64_e32 v[32:33], 0
	v_mov_b32_e32 v35, 0
	s_and_saveexec_b32 s0, s39
	s_cbranch_execz .LBB1984_82
; %bb.81:
	s_wait_dscnt 0x0
	v_mov_b64_e32 v[32:33], v[8:9]
	v_mov_b64_e32 v[10:11], v[14:15]
	;; [unrolled: 1-line block ×8, first 2 shown]
	v_cndmask_b32_e64 v35, 0, 1, s20
	v_dual_mov_b32 v50, v28 :: v_dual_mov_b32 v51, v30
	v_dual_mov_b32 v60, v59 :: v_dual_mov_b32 v66, v56
	;; [unrolled: 1-line block ×4, first 2 shown]
.LBB1984_82:
	s_or_b32 exec_lo, exec_lo, s0
	v_and_b32_e32 v54, 1, v55
	v_and_b32_e32 v53, 1, v35
	;; [unrolled: 1-line block ×12, first 2 shown]
	v_cmp_eq_u16_e64 s0, 0, v35
	v_bitop3_b16 v57, v64, 0xff, v57 bitop3:0xc8
	v_cmp_eq_u32_e64 s10, 1, v54
	v_bitop3_b16 v55, v65, 0xff, v66 bitop3:0xc8
	v_cmp_eq_u32_e64 s11, 1, v53
	v_cmp_eq_u32_e64 s12, 1, v52
	v_mbcnt_lo_u32_b32 v34, -1, 0
	s_cmp_lg_u32 s38, 0
	s_wait_dscnt 0x0
	v_cmp_eq_u32_e32 vcc_lo, 1, v49
	s_barrier_signal -1
	s_barrier_wait -1
	s_cbranch_scc0 .LBB1984_191
; %bb.83:
	v_dual_add_nc_u32 v1, v46, v2 :: v_dual_add_nc_u32 v4, v47, v3
	v_cmp_eq_u16_e64 s9, 0, v62
	v_cmp_eq_u16_e64 s8, 0, v63
	;; [unrolled: 1-line block ×5, first 2 shown]
	v_dual_cndmask_b32 v1, v46, v1, s9 :: v_dual_cndmask_b32 v4, v47, v4, s9
	v_cmp_eq_u16_e64 s4, 0, v58
	v_cmp_eq_u16_e64 s1, 0, v56
	v_cmp_ne_u16_e64 s13, 0, v57
	s_delay_alu instid0(VALU_DEP_4)
	v_dual_add_nc_u32 v1, v44, v1 :: v_dual_add_nc_u32 v4, v45, v4
	v_bitop3_b16 v5, v51, 0xff, v50 bitop3:0xc8
	v_cmp_ne_u16_e64 s14, 0, v55
	s_or_b32 s13, s13, s10
	v_dual_cndmask_b32 v1, v44, v1, s8 :: v_dual_cndmask_b32 v4, v45, v4, s8
	v_cmp_eq_u16_e64 s10, 0, v48
	s_or_b32 s14, s14, s12
	v_cmp_ne_u16_e64 s12, 0, v5
	v_dual_add_nc_u32 v1, v42, v1 :: v_dual_add_nc_u32 v4, v43, v4
	s_or_b32 s11, s11, s13
	s_delay_alu instid0(SALU_CYCLE_1) | instskip(NEXT) | instid1(VALU_DEP_1)
	s_or_b32 s11, s11, s14
	v_dual_cndmask_b32 v1, v42, v1, s7 :: v_dual_cndmask_b32 v4, v43, v4, s7
	s_or_b32 s12, s12, vcc_lo
	s_delay_alu instid0(SALU_CYCLE_1) | instskip(NEXT) | instid1(VALU_DEP_1)
	s_or_b32 s12, s11, s12
	v_dual_add_nc_u32 v1, v40, v1 :: v_dual_add_nc_u32 v4, v41, v4
	v_cndmask_b32_e64 v9, 0, 1, s12
	s_mov_b32 s11, exec_lo
	s_delay_alu instid0(VALU_DEP_2) | instskip(NEXT) | instid1(VALU_DEP_2)
	v_dual_cndmask_b32 v1, v40, v1, s6 :: v_dual_cndmask_b32 v4, v41, v4, s6
	v_mov_b32_dpp v5, v9 row_shr:1 row_mask:0xf bank_mask:0xf
	s_delay_alu instid0(VALU_DEP_2) | instskip(NEXT) | instid1(VALU_DEP_1)
	v_dual_add_nc_u32 v1, v38, v1 :: v_dual_add_nc_u32 v4, v39, v4
	v_dual_cndmask_b32 v1, v38, v1, s5 :: v_dual_cndmask_b32 v4, v39, v4, s5
	s_delay_alu instid0(VALU_DEP_1) | instskip(NEXT) | instid1(VALU_DEP_1)
	v_dual_add_nc_u32 v1, v36, v1 :: v_dual_add_nc_u32 v4, v37, v4
	v_dual_cndmask_b32 v1, v36, v1, s4 :: v_dual_cndmask_b32 v4, v37, v4, s4
	s_delay_alu instid0(VALU_DEP_1) | instskip(NEXT) | instid1(VALU_DEP_1)
	;; [unrolled: 3-line block ×4, first 2 shown]
	v_dual_add_nc_u32 v1, v32, v1 :: v_dual_add_nc_u32 v4, v33, v4
	v_dual_cndmask_b32 v8, v32, v1, s0 :: v_dual_cndmask_b32 v1, v33, v4, s0
	v_and_b32_e32 v4, 15, v34
	s_delay_alu instid0(VALU_DEP_2) | instskip(NEXT) | instid1(VALU_DEP_3)
	v_mov_b32_dpp v12, v8 row_shr:1 row_mask:0xf bank_mask:0xf
	v_mov_b32_dpp v13, v1 row_shr:1 row_mask:0xf bank_mask:0xf
	s_delay_alu instid0(VALU_DEP_3)
	v_cmpx_ne_u32_e32 0, v4
	s_cbranch_execz .LBB1984_87
; %bb.84:
	s_xor_b32 s13, s12, -1
	s_delay_alu instid0(SALU_CYCLE_1)
	s_and_saveexec_b32 s12, s13
; %bb.85:
	v_dual_add_nc_u32 v8, v8, v12 :: v_dual_add_nc_u32 v1, v1, v13
; %bb.86:
	s_or_b32 exec_lo, exec_lo, s12
	v_and_or_b32 v9, v5, 1, v9
.LBB1984_87:
	s_or_b32 exec_lo, exec_lo, s11
	s_delay_alu instid0(VALU_DEP_2) | instskip(SKIP_1) | instid1(VALU_DEP_3)
	v_mov_b32_dpp v12, v8 row_shr:2 row_mask:0xf bank_mask:0xf
	v_mov_b32_dpp v13, v1 row_shr:2 row_mask:0xf bank_mask:0xf
	v_mov_b32_dpp v5, v9 row_shr:2 row_mask:0xf bank_mask:0xf
	s_mov_b32 s11, exec_lo
	v_cmpx_lt_u32_e32 1, v4
	s_cbranch_execz .LBB1984_93
; %bb.88:
	s_mov_b32 s12, exec_lo
	v_cmpx_ne_u32_e32 0, v9
	s_xor_b32 s12, exec_lo, s12
; %bb.89:
                                        ; implicit-def: $vgpr12
                                        ; implicit-def: $vgpr13
; %bb.90:
	s_delay_alu instid0(SALU_CYCLE_1)
	s_and_not1_saveexec_b32 s12, s12
; %bb.91:
	v_dual_add_nc_u32 v8, v8, v12 :: v_dual_add_nc_u32 v1, v1, v13
; %bb.92:
	s_or_b32 exec_lo, exec_lo, s12
	v_bitop3_b32 v9, v5, 1, v9 bitop3:0xc8
.LBB1984_93:
	s_or_b32 exec_lo, exec_lo, s11
	s_delay_alu instid0(VALU_DEP_2) | instskip(SKIP_1) | instid1(VALU_DEP_3)
	v_mov_b32_dpp v12, v8 row_shr:4 row_mask:0xf bank_mask:0xf
	v_mov_b32_dpp v13, v1 row_shr:4 row_mask:0xf bank_mask:0xf
	v_mov_b32_dpp v5, v9 row_shr:4 row_mask:0xf bank_mask:0xf
	s_mov_b32 s11, exec_lo
	v_cmpx_lt_u32_e32 3, v4
	s_cbranch_execz .LBB1984_99
; %bb.94:
	s_mov_b32 s12, exec_lo
	v_cmpx_ne_u32_e32 0, v9
	s_xor_b32 s12, exec_lo, s12
; %bb.95:
                                        ; implicit-def: $vgpr12
                                        ; implicit-def: $vgpr13
; %bb.96:
	s_delay_alu instid0(SALU_CYCLE_1)
	s_and_not1_saveexec_b32 s12, s12
; %bb.97:
	v_dual_add_nc_u32 v8, v8, v12 :: v_dual_add_nc_u32 v1, v1, v13
; %bb.98:
	s_or_b32 exec_lo, exec_lo, s12
	v_bitop3_b32 v9, v5, 1, v9 bitop3:0xc8
.LBB1984_99:
	;; [unrolled: 24-line block ×3, first 2 shown]
	s_or_b32 exec_lo, exec_lo, s11
	ds_swizzle_b32 v5, v8 offset:swizzle(BROADCAST,32,15)
	ds_swizzle_b32 v12, v1 offset:swizzle(BROADCAST,32,15)
	;; [unrolled: 1-line block ×3, first 2 shown]
	v_and_b32_e32 v13, 16, v34
	s_delay_alu instid0(VALU_DEP_1)
	v_cmp_ne_u32_e32 vcc_lo, 0, v13
	v_mov_b32_e32 v13, v9
	s_and_saveexec_b32 s11, vcc_lo
	s_cbranch_execz .LBB1984_111
; %bb.106:
	s_mov_b32 s12, exec_lo
	v_cmpx_ne_u32_e32 0, v9
	s_xor_b32 s12, exec_lo, s12
; %bb.107:
                                        ; implicit-def: $vgpr5
                                        ; implicit-def: $vgpr12
; %bb.108:
	s_delay_alu instid0(SALU_CYCLE_1)
	s_and_not1_saveexec_b32 s12, s12
	s_cbranch_execz .LBB1984_110
; %bb.109:
	s_wait_dscnt 0x1
	v_dual_add_nc_u32 v8, v8, v5 :: v_dual_add_nc_u32 v1, v1, v12
.LBB1984_110:
	s_or_b32 exec_lo, exec_lo, s12
	s_wait_dscnt 0x0
	v_or_b32_e32 v5, v4, v9
	v_bitop3_b32 v9, v4, 1, v9 bitop3:0xc8
	s_delay_alu instid0(VALU_DEP_2)
	v_and_b32_e32 v13, 1, v5
.LBB1984_111:
	s_or_b32 exec_lo, exec_lo, s11
	s_wait_dscnt 0x0
	v_dual_lshrrev_b32 v12, 5, v0 :: v_dual_bitop2_b32 v4, 31, v0 bitop3:0x54
	s_mov_b32 s11, exec_lo
	s_delay_alu instid0(VALU_DEP_1)
	v_cmpx_eq_u32_e64 v0, v4
	s_cbranch_execz .LBB1984_113
; %bb.112:
	s_delay_alu instid0(VALU_DEP_2)
	v_mul_u32_u24_e32 v4, 12, v12
	ds_store_2addr_b32 v4, v8, v1 offset1:1
	ds_store_b8 v4, v13 offset:8
.LBB1984_113:
	s_or_b32 exec_lo, exec_lo, s11
	s_delay_alu instid0(SALU_CYCLE_1)
	s_mov_b32 s11, exec_lo
	s_wait_dscnt 0x0
	s_barrier_signal -1
	s_barrier_wait -1
	v_cmpx_gt_u32_e32 4, v0
	s_cbranch_execz .LBB1984_119
; %bb.114:
	v_mul_u32_u24_e32 v13, 12, v0
	v_and_b32_e32 v15, 3, v34
	s_mov_b32 s12, exec_lo
	ds_load_2addr_b32 v[4:5], v13 offset1:1
	ds_load_b32 v14, v13 offset:8
	s_wait_dscnt 0x1
	v_mov_b32_dpp v17, v4 row_shr:1 row_mask:0xf bank_mask:0xf
	v_mov_b32_dpp v18, v5 row_shr:1 row_mask:0xf bank_mask:0xf
	s_wait_dscnt 0x0
	v_mov_b32_dpp v16, v14 row_shr:1 row_mask:0xf bank_mask:0xf
	v_cmpx_ne_u32_e32 0, v15
; %bb.115:
	v_and_b32_e32 v19, 0xff, v14
	v_dual_add_nc_u32 v17, v4, v17 :: v_dual_add_nc_u32 v18, v5, v18
	s_delay_alu instid0(VALU_DEP_2) | instskip(NEXT) | instid1(VALU_DEP_2)
	v_cmp_eq_u32_e32 vcc_lo, 0, v19
	v_dual_cndmask_b32 v5, v5, v18, vcc_lo :: v_dual_bitop2_b32 v16, 1, v16 bitop3:0x40
	s_delay_alu instid0(VALU_DEP_3) | instskip(NEXT) | instid1(VALU_DEP_2)
	v_cndmask_b32_e32 v4, v4, v17, vcc_lo
	v_and_or_b32 v14, 0xffffff01, v14, v16
; %bb.116:
	s_or_b32 exec_lo, exec_lo, s12
	s_delay_alu instid0(VALU_DEP_2) | instskip(SKIP_1) | instid1(VALU_DEP_3)
	v_mov_b32_dpp v17, v4 row_shr:2 row_mask:0xf bank_mask:0xf
	v_mov_b32_dpp v18, v5 row_shr:2 row_mask:0xf bank_mask:0xf
	;; [unrolled: 1-line block ×3, first 2 shown]
	s_mov_b32 s12, exec_lo
	v_cmpx_lt_u32_e32 1, v15
; %bb.117:
	v_and_b32_e32 v15, 0xff, v14
	v_dual_add_nc_u32 v17, v4, v17 :: v_dual_add_nc_u32 v18, v5, v18
	v_bitop3_b32 v14, v16, 1, v14 bitop3:0xc8
	s_delay_alu instid0(VALU_DEP_3) | instskip(NEXT) | instid1(VALU_DEP_3)
	v_cmp_eq_u32_e32 vcc_lo, 0, v15
	v_dual_cndmask_b32 v5, v5, v18 :: v_dual_cndmask_b32 v4, v4, v17
; %bb.118:
	s_or_b32 exec_lo, exec_lo, s12
	ds_store_2addr_b32 v13, v4, v5 offset1:1
	ds_store_b8 v13, v14 offset:8
.LBB1984_119:
	s_or_b32 exec_lo, exec_lo, s11
	v_dual_mov_b32 v4, 0 :: v_dual_mov_b32 v5, 0
	v_mov_b32_e32 v20, 0
	s_mov_b32 s12, exec_lo
	v_cmp_gt_u32_e32 vcc_lo, 32, v0
	s_wait_dscnt 0x0
	s_barrier_signal -1
	s_barrier_wait -1
	v_cmpx_lt_u32_e32 31, v0
	s_cbranch_execz .LBB1984_121
; %bb.120:
	v_mad_u32_u24 v4, v12, 12, -12
	v_mad_u32_u24 v12, v12, 12, -4
	v_cmp_eq_u32_e64 s11, 0, v9
	ds_load_2addr_b32 v[4:5], v4 offset1:1
	ds_load_u8 v12, v12
	s_wait_dscnt 0x1
	v_dual_add_nc_u32 v13, v4, v8 :: v_dual_add_nc_u32 v14, v5, v1
	s_wait_dscnt 0x0
	v_or_b32_e32 v9, v12, v9
	s_delay_alu instid0(VALU_DEP_2) | instskip(NEXT) | instid1(VALU_DEP_2)
	v_dual_cndmask_b32 v8, v8, v13, s11 :: v_dual_bitop2_b32 v20, 1, v12 bitop3:0x40
	v_dual_cndmask_b32 v1, v1, v14, s11 :: v_dual_bitop2_b32 v9, 1, v9 bitop3:0x40
.LBB1984_121:
	s_or_b32 exec_lo, exec_lo, s12
	v_sub_co_u32 v12, s11, v34, 1
	s_delay_alu instid0(VALU_DEP_1) | instskip(NEXT) | instid1(VALU_DEP_1)
	v_cmp_gt_i32_e64 s12, 0, v12
	v_cndmask_b32_e64 v12, v12, v34, s12
	s_delay_alu instid0(VALU_DEP_1)
	v_lshlrev_b32_e32 v12, 2, v12
	ds_bpermute_b32 v22, v12, v8
	ds_bpermute_b32 v21, v12, v1
	;; [unrolled: 1-line block ×3, first 2 shown]
	s_and_saveexec_b32 s20, vcc_lo
	s_cbranch_execz .LBB1984_234
; %bb.122:
	v_mov_b32_e32 v17, 0
	ds_load_b64 v[8:9], v17 offset:40
	ds_load_b32 v12, v17 offset:36
	s_wait_dscnt 0x1
	v_readfirstlane_b32 s14, v8
	v_readfirstlane_b32 s15, v9
	s_and_saveexec_b32 s12, s11
	s_cbranch_execz .LBB1984_124
; %bb.123:
	s_mov_b32 s25, 0
	s_add_co_i32 s26, s38, 32
	s_mov_b32 s27, s25
	s_mov_b32 s24, s15
	s_lshl_b64 s[26:27], s[26:27], 4
	s_or_b64 s[24:25], s[24:25], 0x100000000
	s_add_nc_u64 s[26:27], s[28:29], s[26:27]
	v_dual_mov_b32 v13, s14 :: v_dual_mov_b32 v14, s24
	v_mov_b32_e32 v15, s25
	v_mov_b64_e32 v[8:9], s[26:27]
	s_wait_dscnt 0x0
	;;#ASMSTART
	global_store_b128 v[8:9], v[12:15] off scope:SCOPE_DEV	
s_wait_storecnt 0x0
	;;#ASMEND
.LBB1984_124:
	s_or_b32 exec_lo, exec_lo, s12
	v_xad_u32 v8, v34, -1, s38
	s_mov_b32 s13, 0
	s_mov_b32 s12, exec_lo
	s_delay_alu instid0(VALU_DEP_1) | instskip(NEXT) | instid1(VALU_DEP_1)
	v_add_nc_u32_e32 v16, 32, v8
	v_lshl_add_u64 v[18:19], v[16:17], 4, s[28:29]
	;;#ASMSTART
	global_load_b128 v[14:17], v[18:19] off scope:SCOPE_DEV	
s_wait_loadcnt 0x0
	;;#ASMEND
	v_alignbit_b32 v24, v15, v14, 8
	v_alignbit_b32 v26, v15, v14, 16
	v_and_b32_e32 v27, 0xff, v17
	v_alignbit_b32 v13, v15, v14, 24
	v_perm_b32 v9, v15, v16, 0x70605
	v_perm_b32 v25, v15, v16, 0x1000706
	;; [unrolled: 1-line block ×3, first 2 shown]
	v_cmpx_eq_u16_e32 0, v27
	s_cbranch_execz .LBB1984_127
.LBB1984_125:                           ; =>This Inner Loop Header: Depth=1
	;;#ASMSTART
	global_load_b128 v[14:17], v[18:19] off scope:SCOPE_DEV	
s_wait_loadcnt 0x0
	;;#ASMEND
	v_and_b32_e32 v1, 0xff, v17
	s_delay_alu instid0(VALU_DEP_1) | instskip(SKIP_1) | instid1(SALU_CYCLE_1)
	v_cmp_ne_u16_e32 vcc_lo, 0, v1
	s_or_b32 s13, vcc_lo, s13
	s_and_not1_b32 exec_lo, exec_lo, s13
	s_cbranch_execnz .LBB1984_125
; %bb.126:
	s_or_b32 exec_lo, exec_lo, s13
	v_perm_b32 v1, v15, v16, 0x2010007
	v_perm_b32 v25, v15, v16, 0x1000706
	;; [unrolled: 1-line block ×3, first 2 shown]
	v_alignbit_b32 v13, v15, v14, 24
	v_alignbit_b32 v26, v15, v14, 16
	v_alignbit_b32 v24, v15, v14, 8
.LBB1984_127:
	s_or_b32 exec_lo, exec_lo, s12
	s_delay_alu instid0(VALU_DEP_1) | instskip(SKIP_3) | instid1(VALU_DEP_4)
	v_dual_lshlrev_b32 v18, 16, v26 :: v_dual_lshlrev_b32 v19, 8, v24
	v_cmp_ne_u32_e32 vcc_lo, 31, v34
	v_lshlrev_b32_e32 v9, 8, v9
	v_and_b32_e32 v14, 0xff, v14
	v_perm_b32 v13, v13, v18, 0x4020c0c
	v_and_b32_e32 v18, 0xff00, v19
	v_add_co_ci_u32_e64 v19, null, 0, v34, vcc_lo
	v_lshlrev_b32_e32 v24, 16, v25
	v_and_b32_e32 v9, 0xff00, v9
	v_and_b32_e32 v15, 0xff, v15
	v_or3_b32 v14, v13, v18, v14
	v_lshlrev_b32_e32 v13, 2, v19
	v_perm_b32 v1, v1, v24, 0x4020c0c
	v_and_b32_e32 v24, 0xff, v17
	s_mov_b32 s12, exec_lo
	ds_bpermute_b32 v19, v13, v14
	v_or3_b32 v1, v1, v9, v15
	v_and_b32_e32 v15, 0xff, v16
	v_cmp_eq_u16_e32 vcc_lo, 2, v24
	v_lshlrev_b32_e64 v24, v34, -1
	ds_bpermute_b32 v25, v13, v1
	ds_bpermute_b32 v18, v13, v15
	v_and_or_b32 v9, vcc_lo, v24, 0x80000000
	s_delay_alu instid0(VALU_DEP_1) | instskip(NEXT) | instid1(VALU_DEP_1)
	v_ctz_i32_b32_e32 v9, v9
	v_cmpx_lt_u32_e64 v34, v9
	s_cbranch_execz .LBB1984_131
; %bb.128:
	s_mov_b32 s13, exec_lo
	v_cmpx_eq_u32_e32 0, v15
	s_cbranch_execz .LBB1984_130
; %bb.129:
	s_wait_dscnt 0x1
	v_dual_add_nc_u32 v14, v14, v19 :: v_dual_add_nc_u32 v1, v1, v25
.LBB1984_130:
	s_or_b32 exec_lo, exec_lo, s13
	s_wait_dscnt 0x0
	v_bitop3_b32 v15, v18, 1, v16 bitop3:0xc8
.LBB1984_131:
	s_or_b32 exec_lo, exec_lo, s12
	v_cmp_gt_u32_e32 vcc_lo, 30, v34
	v_add_nc_u32_e32 v26, 2, v34
	s_mov_b32 s12, exec_lo
	v_cndmask_b32_e64 v16, 0, 2, vcc_lo
	s_wait_dscnt 0x1
	s_delay_alu instid0(VALU_DEP_1)
	v_add_lshl_u32 v25, v16, v34, 2
	s_wait_dscnt 0x0
	ds_bpermute_b32 v18, v25, v14
	ds_bpermute_b32 v19, v25, v1
	;; [unrolled: 1-line block ×3, first 2 shown]
	v_cmpx_le_u32_e64 v26, v9
	s_cbranch_execz .LBB1984_137
; %bb.132:
	s_mov_b32 s13, exec_lo
	v_cmpx_ne_u32_e32 0, v15
	s_xor_b32 s13, exec_lo, s13
; %bb.133:
                                        ; implicit-def: $vgpr18
                                        ; implicit-def: $vgpr19
; %bb.134:
	s_delay_alu instid0(SALU_CYCLE_1)
	s_and_not1_saveexec_b32 s13, s13
	s_cbranch_execz .LBB1984_136
; %bb.135:
	s_wait_dscnt 0x1
	v_dual_add_nc_u32 v14, v14, v18 :: v_dual_add_nc_u32 v1, v1, v19
.LBB1984_136:
	s_or_b32 exec_lo, exec_lo, s13
	s_wait_dscnt 0x0
	v_bitop3_b32 v15, v16, 1, v15 bitop3:0xc8
.LBB1984_137:
	s_or_b32 exec_lo, exec_lo, s12
	v_cmp_gt_u32_e32 vcc_lo, 28, v34
	v_add_nc_u32_e32 v28, 4, v34
	s_mov_b32 s12, exec_lo
	s_wait_dscnt 0x0
	v_cndmask_b32_e64 v16, 0, 4, vcc_lo
	s_delay_alu instid0(VALU_DEP_1)
	v_add_lshl_u32 v27, v16, v34, 2
	ds_bpermute_b32 v18, v27, v14
	ds_bpermute_b32 v19, v27, v1
	;; [unrolled: 1-line block ×3, first 2 shown]
	v_cmpx_le_u32_e64 v28, v9
	s_cbranch_execz .LBB1984_143
; %bb.138:
	s_mov_b32 s13, exec_lo
	v_cmpx_ne_u32_e32 0, v15
	s_xor_b32 s13, exec_lo, s13
; %bb.139:
                                        ; implicit-def: $vgpr18
                                        ; implicit-def: $vgpr19
; %bb.140:
	s_delay_alu instid0(SALU_CYCLE_1)
	s_and_not1_saveexec_b32 s13, s13
	s_cbranch_execz .LBB1984_142
; %bb.141:
	s_wait_dscnt 0x1
	v_dual_add_nc_u32 v14, v14, v18 :: v_dual_add_nc_u32 v1, v1, v19
.LBB1984_142:
	s_or_b32 exec_lo, exec_lo, s13
	s_wait_dscnt 0x0
	v_bitop3_b32 v15, v16, 1, v15 bitop3:0xc8
.LBB1984_143:
	s_or_b32 exec_lo, exec_lo, s12
	v_cmp_gt_u32_e32 vcc_lo, 24, v34
	v_add_nc_u32_e32 v30, 8, v34
	s_mov_b32 s12, exec_lo
	s_wait_dscnt 0x0
	v_cndmask_b32_e64 v16, 0, 8, vcc_lo
	s_delay_alu instid0(VALU_DEP_1)
	v_add_lshl_u32 v29, v16, v34, 2
	ds_bpermute_b32 v18, v29, v14
	ds_bpermute_b32 v19, v29, v1
	;; [unrolled: 1-line block ×3, first 2 shown]
	v_cmpx_le_u32_e64 v30, v9
	s_cbranch_execz .LBB1984_149
; %bb.144:
	s_mov_b32 s13, exec_lo
	v_cmpx_ne_u32_e32 0, v15
	s_xor_b32 s13, exec_lo, s13
; %bb.145:
                                        ; implicit-def: $vgpr18
                                        ; implicit-def: $vgpr19
; %bb.146:
	s_delay_alu instid0(SALU_CYCLE_1)
	s_and_not1_saveexec_b32 s13, s13
	s_cbranch_execz .LBB1984_148
; %bb.147:
	s_wait_dscnt 0x1
	v_dual_add_nc_u32 v14, v14, v18 :: v_dual_add_nc_u32 v1, v1, v19
.LBB1984_148:
	s_or_b32 exec_lo, exec_lo, s13
	s_wait_dscnt 0x0
	v_bitop3_b32 v15, v16, 1, v15 bitop3:0xc8
.LBB1984_149:
	s_or_b32 exec_lo, exec_lo, s12
	v_lshl_or_b32 v31, v34, 2, 64
	v_add_nc_u32_e32 v64, 16, v34
	s_mov_b32 s12, exec_lo
	s_wait_dscnt 0x2
	ds_bpermute_b32 v18, v31, v14
	s_wait_dscnt 0x2
	ds_bpermute_b32 v19, v31, v1
	;; [unrolled: 2-line block ×3, first 2 shown]
	v_cmpx_le_u32_e64 v64, v9
	s_cbranch_execz .LBB1984_155
; %bb.150:
	s_mov_b32 s13, exec_lo
	v_cmpx_ne_u32_e32 0, v15
	s_xor_b32 s13, exec_lo, s13
; %bb.151:
                                        ; implicit-def: $vgpr18
                                        ; implicit-def: $vgpr19
; %bb.152:
	s_delay_alu instid0(SALU_CYCLE_1)
	s_and_not1_saveexec_b32 s13, s13
	s_cbranch_execz .LBB1984_154
; %bb.153:
	s_wait_dscnt 0x1
	v_dual_add_nc_u32 v14, v14, v18 :: v_dual_add_nc_u32 v1, v1, v19
.LBB1984_154:
	s_or_b32 exec_lo, exec_lo, s13
	s_wait_dscnt 0x0
	v_bitop3_b32 v15, v16, 1, v15 bitop3:0xc8
.LBB1984_155:
	s_or_b32 exec_lo, exec_lo, s12
	v_mov_b32_e32 v9, 0
	s_branch .LBB1984_159
.LBB1984_156:                           ;   in Loop: Header=BB1984_159 Depth=1
	s_or_b32 exec_lo, exec_lo, s13
	s_wait_dscnt 0x0
	v_or_b32_e32 v15, v16, v15
.LBB1984_157:                           ;   in Loop: Header=BB1984_159 Depth=1
	s_or_b32 exec_lo, exec_lo, s12
	s_wait_dscnt 0x0
	v_and_b32_e32 v16, 0xff, v66
	v_dual_add_nc_u32 v14, v14, v65 :: v_dual_bitop2_b32 v18, 1, v66 bitop3:0x40
	v_add_nc_u32_e32 v1, v1, v67
	v_subrev_nc_u32_e32 v8, 32, v8
	s_delay_alu instid0(VALU_DEP_4) | instskip(SKIP_3) | instid1(VALU_DEP_3)
	v_cmp_eq_u16_e32 vcc_lo, 0, v16
	v_and_b32_e32 v15, 1, v15
	v_cmp_eq_u32_e64 s12, 1, v18
	v_cndmask_b32_e32 v14, v65, v14, vcc_lo
	v_cmp_eq_u32_e64 s13, 1, v15
	v_cndmask_b32_e32 v1, v67, v1, vcc_lo
	s_or_b32 s12, s12, s13
	s_delay_alu instid0(SALU_CYCLE_1)
	v_cndmask_b32_e64 v15, 0, 1, s12
	s_mov_b32 s12, 0
.LBB1984_158:                           ;   in Loop: Header=BB1984_159 Depth=1
	s_delay_alu instid0(SALU_CYCLE_1)
	s_and_b32 vcc_lo, exec_lo, s12
	s_cbranch_vccnz .LBB1984_230
.LBB1984_159:                           ; =>This Loop Header: Depth=1
                                        ;     Child Loop BB1984_162 Depth 2
	s_wait_dscnt 0x0
	v_and_b32_e32 v16, 0xff, v17
	v_dual_mov_b32 v65, v14 :: v_dual_mov_b32 v67, v1
	v_mov_b32_e32 v66, v15
	s_mov_b32 s12, -1
	s_delay_alu instid0(VALU_DEP_3)
	v_cmp_ne_u16_e32 vcc_lo, 2, v16
                                        ; implicit-def: $vgpr14
                                        ; implicit-def: $vgpr17
                                        ; implicit-def: $vgpr15
                                        ; implicit-def: $vgpr1
	s_cmp_lg_u32 vcc_lo, exec_lo
	s_cbranch_scc1 .LBB1984_158
; %bb.160:                              ;   in Loop: Header=BB1984_159 Depth=1
	v_lshl_add_u64 v[18:19], v[8:9], 4, s[28:29]
	;;#ASMSTART
	global_load_b128 v[14:17], v[18:19] off scope:SCOPE_DEV	
s_wait_loadcnt 0x0
	;;#ASMEND
	v_alignbit_b32 v70, v15, v14, 8
	v_alignbit_b32 v72, v15, v14, 16
	v_and_b32_e32 v73, 0xff, v17
	v_alignbit_b32 v69, v15, v14, 24
	v_perm_b32 v68, v15, v16, 0x70605
	v_perm_b32 v71, v15, v16, 0x1000706
	;; [unrolled: 1-line block ×3, first 2 shown]
	s_mov_b32 s12, exec_lo
	v_cmpx_eq_u16_e32 0, v73
	s_cbranch_execz .LBB1984_164
; %bb.161:                              ;   in Loop: Header=BB1984_159 Depth=1
	s_mov_b32 s13, 0
.LBB1984_162:                           ;   Parent Loop BB1984_159 Depth=1
                                        ; =>  This Inner Loop Header: Depth=2
	;;#ASMSTART
	global_load_b128 v[14:17], v[18:19] off scope:SCOPE_DEV	
s_wait_loadcnt 0x0
	;;#ASMEND
	v_and_b32_e32 v1, 0xff, v17
	s_delay_alu instid0(VALU_DEP_1) | instskip(SKIP_1) | instid1(SALU_CYCLE_1)
	v_cmp_ne_u16_e32 vcc_lo, 0, v1
	s_or_b32 s13, vcc_lo, s13
	s_and_not1_b32 exec_lo, exec_lo, s13
	s_cbranch_execnz .LBB1984_162
; %bb.163:                              ;   in Loop: Header=BB1984_159 Depth=1
	s_or_b32 exec_lo, exec_lo, s13
	v_perm_b32 v1, v15, v16, 0x2010007
	v_perm_b32 v71, v15, v16, 0x1000706
	;; [unrolled: 1-line block ×3, first 2 shown]
	v_alignbit_b32 v69, v15, v14, 24
	v_alignbit_b32 v72, v15, v14, 16
	;; [unrolled: 1-line block ×3, first 2 shown]
.LBB1984_164:                           ;   in Loop: Header=BB1984_159 Depth=1
	s_or_b32 exec_lo, exec_lo, s12
	s_delay_alu instid0(VALU_DEP_1) | instskip(SKIP_2) | instid1(VALU_DEP_3)
	v_dual_lshlrev_b32 v18, 16, v72 :: v_dual_lshlrev_b32 v19, 8, v70
	v_dual_lshlrev_b32 v70, 16, v71 :: v_dual_lshlrev_b32 v68, 8, v68
	v_and_b32_e32 v14, 0xff, v14
	v_perm_b32 v18, v69, v18, 0x4020c0c
	s_delay_alu instid0(VALU_DEP_4) | instskip(NEXT) | instid1(VALU_DEP_4)
	v_and_b32_e32 v19, 0xff00, v19
	v_perm_b32 v1, v1, v70, 0x4020c0c
	v_and_b32_e32 v68, 0xff00, v68
	v_and_b32_e32 v15, 0xff, v15
	;; [unrolled: 1-line block ×3, first 2 shown]
	v_or3_b32 v14, v18, v19, v14
	s_mov_b32 s12, exec_lo
	s_delay_alu instid0(VALU_DEP_3)
	v_or3_b32 v1, v1, v68, v15
	v_and_b32_e32 v15, 0xff, v16
	v_cmp_eq_u16_e32 vcc_lo, 2, v69
	ds_bpermute_b32 v68, v13, v14
	ds_bpermute_b32 v69, v13, v1
	;; [unrolled: 1-line block ×3, first 2 shown]
	v_and_or_b32 v18, vcc_lo, v24, 0x80000000
	s_delay_alu instid0(VALU_DEP_1) | instskip(NEXT) | instid1(VALU_DEP_1)
	v_ctz_i32_b32_e32 v18, v18
	v_cmpx_lt_u32_e64 v34, v18
	s_cbranch_execz .LBB1984_168
; %bb.165:                              ;   in Loop: Header=BB1984_159 Depth=1
	s_mov_b32 s13, exec_lo
	v_cmpx_eq_u32_e32 0, v15
	s_cbranch_execz .LBB1984_167
; %bb.166:                              ;   in Loop: Header=BB1984_159 Depth=1
	s_wait_dscnt 0x1
	v_dual_add_nc_u32 v14, v14, v68 :: v_dual_add_nc_u32 v1, v1, v69
.LBB1984_167:                           ;   in Loop: Header=BB1984_159 Depth=1
	s_or_b32 exec_lo, exec_lo, s13
	s_wait_dscnt 0x0
	v_bitop3_b32 v15, v19, 1, v16 bitop3:0xc8
.LBB1984_168:                           ;   in Loop: Header=BB1984_159 Depth=1
	s_or_b32 exec_lo, exec_lo, s12
	s_wait_dscnt 0x0
	ds_bpermute_b32 v19, v25, v14
	ds_bpermute_b32 v68, v25, v1
	;; [unrolled: 1-line block ×3, first 2 shown]
	s_mov_b32 s12, exec_lo
	v_cmpx_le_u32_e64 v26, v18
	s_cbranch_execz .LBB1984_174
; %bb.169:                              ;   in Loop: Header=BB1984_159 Depth=1
	s_mov_b32 s13, exec_lo
	v_cmpx_ne_u32_e32 0, v15
	s_xor_b32 s13, exec_lo, s13
; %bb.170:                              ;   in Loop: Header=BB1984_159 Depth=1
                                        ; implicit-def: $vgpr19
                                        ; implicit-def: $vgpr68
; %bb.171:                              ;   in Loop: Header=BB1984_159 Depth=1
	s_delay_alu instid0(SALU_CYCLE_1)
	s_and_not1_saveexec_b32 s13, s13
	s_cbranch_execz .LBB1984_173
; %bb.172:                              ;   in Loop: Header=BB1984_159 Depth=1
	s_wait_dscnt 0x1
	v_dual_add_nc_u32 v14, v14, v19 :: v_dual_add_nc_u32 v1, v1, v68
.LBB1984_173:                           ;   in Loop: Header=BB1984_159 Depth=1
	s_or_b32 exec_lo, exec_lo, s13
	s_wait_dscnt 0x0
	v_bitop3_b32 v15, v16, 1, v15 bitop3:0xc8
.LBB1984_174:                           ;   in Loop: Header=BB1984_159 Depth=1
	s_or_b32 exec_lo, exec_lo, s12
	s_wait_dscnt 0x2
	ds_bpermute_b32 v19, v27, v14
	s_wait_dscnt 0x2
	ds_bpermute_b32 v68, v27, v1
	s_wait_dscnt 0x2
	ds_bpermute_b32 v16, v27, v15
	s_mov_b32 s12, exec_lo
	v_cmpx_le_u32_e64 v28, v18
	s_cbranch_execz .LBB1984_180
; %bb.175:                              ;   in Loop: Header=BB1984_159 Depth=1
	s_mov_b32 s13, exec_lo
	v_cmpx_ne_u32_e32 0, v15
	s_xor_b32 s13, exec_lo, s13
; %bb.176:                              ;   in Loop: Header=BB1984_159 Depth=1
                                        ; implicit-def: $vgpr19
                                        ; implicit-def: $vgpr68
; %bb.177:                              ;   in Loop: Header=BB1984_159 Depth=1
	s_delay_alu instid0(SALU_CYCLE_1)
	s_and_not1_saveexec_b32 s13, s13
	s_cbranch_execz .LBB1984_179
; %bb.178:                              ;   in Loop: Header=BB1984_159 Depth=1
	s_wait_dscnt 0x1
	v_dual_add_nc_u32 v14, v14, v19 :: v_dual_add_nc_u32 v1, v1, v68
.LBB1984_179:                           ;   in Loop: Header=BB1984_159 Depth=1
	s_or_b32 exec_lo, exec_lo, s13
	s_wait_dscnt 0x0
	v_bitop3_b32 v15, v16, 1, v15 bitop3:0xc8
.LBB1984_180:                           ;   in Loop: Header=BB1984_159 Depth=1
	s_or_b32 exec_lo, exec_lo, s12
	s_wait_dscnt 0x2
	ds_bpermute_b32 v19, v29, v14
	s_wait_dscnt 0x2
	ds_bpermute_b32 v68, v29, v1
	s_wait_dscnt 0x2
	ds_bpermute_b32 v16, v29, v15
	;; [unrolled: 29-line block ×3, first 2 shown]
	s_mov_b32 s12, exec_lo
	v_cmpx_le_u32_e64 v64, v18
	s_cbranch_execz .LBB1984_157
; %bb.187:                              ;   in Loop: Header=BB1984_159 Depth=1
	s_mov_b32 s13, exec_lo
	v_cmpx_ne_u32_e32 0, v15
	s_xor_b32 s13, exec_lo, s13
; %bb.188:                              ;   in Loop: Header=BB1984_159 Depth=1
                                        ; implicit-def: $vgpr19
                                        ; implicit-def: $vgpr68
; %bb.189:                              ;   in Loop: Header=BB1984_159 Depth=1
	s_delay_alu instid0(SALU_CYCLE_1)
	s_and_not1_saveexec_b32 s13, s13
	s_cbranch_execz .LBB1984_156
; %bb.190:                              ;   in Loop: Header=BB1984_159 Depth=1
	s_wait_dscnt 0x1
	v_dual_add_nc_u32 v14, v14, v19 :: v_dual_add_nc_u32 v1, v1, v68
	s_branch .LBB1984_156
.LBB1984_191:
                                        ; implicit-def: $vgpr12_vgpr13
                                        ; implicit-def: $vgpr16_vgpr17
                                        ; implicit-def: $vgpr20_vgpr21
                                        ; implicit-def: $vgpr24_vgpr25
                                        ; implicit-def: $vgpr28_vgpr29
	s_cbranch_execnz .LBB1984_241
.LBB1984_192:
	s_add_nc_u64 s[0:1], s[18:19], s[34:35]
	s_and_b32 vcc_lo, exec_lo, s33
	s_add_nc_u64 s[0:1], s[0:1], s[16:17]
	s_cbranch_vccz .LBB1984_320
.LBB1984_193:
	s_wait_dscnt 0x1
	v_mov_b64_e32 v[4:5], 0
	s_wait_dscnt 0x0
	v_mul_u32_u24_e32 v1, 10, v0
	s_add_co_i32 s31, s31, s30
	s_mov_b32 s2, exec_lo
	s_delay_alu instid0(VALU_DEP_2)
	v_mov_b64_e32 v[2:3], v[4:5]
	v_mov_b64_e32 v[8:9], v[4:5]
	;; [unrolled: 1-line block ×9, first 2 shown]
	v_cmpx_gt_u32_e64 s31, v1
	s_cbranch_execz .LBB1984_211
; %bb.194:
	v_mov_b64_e32 v[42:43], 0
	v_mov_b64_e32 v[36:37], 0
	;; [unrolled: 1-line block ×9, first 2 shown]
	v_or_b32_e32 v10, 1, v1
	s_mov_b32 s3, exec_lo
	s_delay_alu instid0(VALU_DEP_1)
	v_cmpx_gt_u32_e64 s31, v10
	s_cbranch_execz .LBB1984_210
; %bb.195:
	v_mov_b64_e32 v[36:37], 0
	v_mov_b64_e32 v[38:39], 0
	;; [unrolled: 1-line block ×8, first 2 shown]
	v_add_nc_u32_e32 v10, 2, v1
	s_mov_b32 s4, exec_lo
	s_delay_alu instid0(VALU_DEP_1)
	v_cmpx_gt_u32_e64 s31, v10
	s_cbranch_execz .LBB1984_209
; %bb.196:
	v_mov_b64_e32 v[38:39], 0
	v_mov_b64_e32 v[32:33], 0
	v_mov_b64_e32 v[34:35], 0
	v_mov_b64_e32 v[6:7], 0
	v_mov_b64_e32 v[8:9], 0
	v_mov_b64_e32 v[2:3], 0
	v_mov_b64_e32 v[4:5], 0
	v_add_nc_u32_e32 v10, 3, v1
	s_mov_b32 s5, exec_lo
	s_delay_alu instid0(VALU_DEP_1)
	v_cmpx_gt_u32_e64 s31, v10
	s_cbranch_execz .LBB1984_208
; %bb.197:
	v_mov_b64_e32 v[32:33], 0
	v_mov_b64_e32 v[34:35], 0
	;; [unrolled: 1-line block ×6, first 2 shown]
	v_add_nc_u32_e32 v10, 4, v1
	s_mov_b32 s6, exec_lo
	s_delay_alu instid0(VALU_DEP_1)
	v_cmpx_gt_u32_e64 s31, v10
	s_cbranch_execz .LBB1984_207
; %bb.198:
	v_mov_b64_e32 v[34:35], 0
	v_mov_b64_e32 v[6:7], 0
	;; [unrolled: 1-line block ×5, first 2 shown]
	v_add_nc_u32_e32 v10, 5, v1
	s_mov_b32 s7, exec_lo
	s_delay_alu instid0(VALU_DEP_1)
	v_cmpx_gt_u32_e64 s31, v10
	s_cbranch_execz .LBB1984_206
; %bb.199:
	v_mov_b64_e32 v[6:7], 0
	v_mov_b64_e32 v[8:9], 0
	;; [unrolled: 1-line block ×4, first 2 shown]
	v_add_nc_u32_e32 v10, 6, v1
	s_mov_b32 s8, exec_lo
	s_delay_alu instid0(VALU_DEP_1)
	v_cmpx_gt_u32_e64 s31, v10
	s_cbranch_execz .LBB1984_205
; %bb.200:
	v_mov_b64_e32 v[8:9], 0
	v_mov_b64_e32 v[2:3], 0
	;; [unrolled: 1-line block ×3, first 2 shown]
	v_add_nc_u32_e32 v6, 7, v1
	s_mov_b32 s9, exec_lo
	s_delay_alu instid0(VALU_DEP_1)
	v_cmpx_gt_u32_e64 s31, v6
	s_cbranch_execz .LBB1984_204
; %bb.201:
	v_mov_b64_e32 v[2:3], 0
	v_mov_b64_e32 v[4:5], 0
	v_add_nc_u32_e32 v6, 8, v1
	s_mov_b32 s10, exec_lo
	s_delay_alu instid0(VALU_DEP_1)
	v_cmpx_gt_u32_e64 s31, v6
; %bb.202:
	v_add_nc_u32_e32 v2, 9, v1
	s_delay_alu instid0(VALU_DEP_1)
	v_cmp_gt_u32_e32 vcc_lo, s31, v2
	v_mov_b64_e32 v[2:3], v[28:29]
	v_dual_cndmask_b32 v5, 0, v31 :: v_dual_cndmask_b32 v4, 0, v30
; %bb.203:
	s_or_b32 exec_lo, exec_lo, s10
	v_mov_b64_e32 v[8:9], v[26:27]
.LBB1984_204:
	s_or_b32 exec_lo, exec_lo, s9
	v_mov_b64_e32 v[6:7], v[24:25]
.LBB1984_205:
	s_or_b32 exec_lo, exec_lo, s8
	v_mov_b64_e32 v[34:35], v[22:23]
.LBB1984_206:
	s_or_b32 exec_lo, exec_lo, s7
	v_mov_b64_e32 v[32:33], v[20:21]
.LBB1984_207:
	s_or_b32 exec_lo, exec_lo, s6
	v_mov_b64_e32 v[38:39], v[18:19]
.LBB1984_208:
	s_or_b32 exec_lo, exec_lo, s5
	v_mov_b64_e32 v[36:37], v[16:17]
.LBB1984_209:
	s_or_b32 exec_lo, exec_lo, s4
	v_mov_b64_e32 v[42:43], v[14:15]
.LBB1984_210:
	s_or_b32 exec_lo, exec_lo, s3
	v_mov_b64_e32 v[40:41], v[12:13]
.LBB1984_211:
	s_or_b32 exec_lo, exec_lo, s2
	v_lshlrev_b32_e32 v1, 3, v1
	s_barrier_signal -1
	s_barrier_wait -1
	ds_store_b128 v1, v[40:43]
	ds_store_b128 v1, v[36:39] offset:16
	ds_store_b128 v1, v[32:35] offset:32
	ds_store_b128 v1, v[6:9] offset:48
	ds_store_b128 v1, v[2:5] offset:64
	v_mov_b32_e32 v3, 0
	v_mad_i32_i24 v2, 0xffffffb8, v0, v1
	s_wait_dscnt 0x0
	s_barrier_signal -1
	s_barrier_wait -1
	ds_load_2addr_stride64_b64 v[40:43], v2 offset0:2 offset1:4
	ds_load_2addr_stride64_b64 v[36:39], v2 offset0:6 offset1:8
	;; [unrolled: 1-line block ×4, first 2 shown]
	ds_load_b64 v[4:5], v2 offset:9216
	v_lshlrev_b32_e32 v2, 3, v0
	s_mov_b32 s2, exec_lo
	s_delay_alu instid0(VALU_DEP_1)
	v_add_nc_u64_e32 v[2:3], s[0:1], v[2:3]
	v_cmpx_gt_u32_e64 s31, v0
	s_cbranch_execz .LBB1984_213
; %bb.212:
	v_mul_i32_i24_e32 v10, 0xffffffb8, v0
	s_delay_alu instid0(VALU_DEP_1)
	v_add_nc_u32_e32 v1, v1, v10
	ds_load_b64 v[10:11], v1
	s_wait_dscnt 0x0
	flat_store_b64 v[2:3], v[10:11]
.LBB1984_213:
	s_wait_xcnt 0x0
	s_or_b32 exec_lo, exec_lo, s2
	v_or_b32_e32 v1, 0x80, v0
	s_mov_b32 s2, exec_lo
	s_delay_alu instid0(VALU_DEP_1)
	v_cmpx_gt_u32_e64 s31, v1
	s_cbranch_execz .LBB1984_215
; %bb.214:
	s_wait_dscnt 0x4
	flat_store_b64 v[2:3], v[40:41] offset:1024
.LBB1984_215:
	s_wait_xcnt 0x0
	s_or_b32 exec_lo, exec_lo, s2
	v_or_b32_e32 v1, 0x100, v0
	s_mov_b32 s2, exec_lo
	s_delay_alu instid0(VALU_DEP_1)
	v_cmpx_gt_u32_e64 s31, v1
	s_cbranch_execz .LBB1984_217
; %bb.216:
	s_wait_dscnt 0x4
	flat_store_b64 v[2:3], v[42:43] offset:2048
.LBB1984_217:
	;; [unrolled: 11-line block ×8, first 2 shown]
	s_wait_xcnt 0x0
	s_or_b32 exec_lo, exec_lo, s2
	v_or_b32_e32 v1, 0x480, v0
	s_delay_alu instid0(VALU_DEP_1)
	v_cmp_gt_u32_e64 s2, s31, v1
	s_branch .LBB1984_322
.LBB1984_230:
	s_and_saveexec_b32 s13, s11
	s_cbranch_execz .LBB1984_232
; %bb.231:
	s_and_b64 s[24:25], s[14:15], 0xff00000000
	v_dual_add_nc_u32 v1, v65, v12 :: v_dual_bitop2_b32 v8, 1, v66 bitop3:0x40
	s_cmp_eq_u64 s[24:25], 0
	s_mov_b32 s25, 0
	s_cselect_b32 vcc_lo, -1, 0
	s_bitcmp1_b32 s15, 0
	v_dual_cndmask_b32 v12, v12, v1 :: v_dual_add_nc_u32 v9, s14, v67
	v_cmp_eq_u32_e64 s12, 1, v8
	s_cselect_b32 s21, -1, 0
	s_add_co_i32 s24, s38, 32
	v_dual_cndmask_b32 v13, s14, v9, vcc_lo :: v_dual_mov_b32 v15, 2
	s_lshl_b64 s[24:25], s[24:25], 4
	s_or_b32 s12, s21, s12
	s_add_nc_u64 s[14:15], s[28:29], s[24:25]
	v_cndmask_b32_e64 v14, 0, 1, s12
	v_mov_b64_e32 v[8:9], s[14:15]
	;;#ASMSTART
	global_store_b128 v[8:9], v[12:15] off scope:SCOPE_DEV	
s_wait_storecnt 0x0
	;;#ASMEND
.LBB1984_232:
	s_or_b32 exec_lo, exec_lo, s13
	s_delay_alu instid0(SALU_CYCLE_1)
	s_and_b32 exec_lo, exec_lo, s2
	s_cbranch_execz .LBB1984_234
; %bb.233:
	v_mov_b32_e32 v1, 0
	ds_store_2addr_b32 v1, v65, v67 offset0:9 offset1:10
	ds_store_b8 v1, v66 offset:44
.LBB1984_234:
	s_or_b32 exec_lo, exec_lo, s20
	v_mov_b32_e32 v1, 0
	s_wait_dscnt 0x0
	s_barrier_signal -1
	s_barrier_wait -1
	ds_load_2addr_b32 v[8:9], v1 offset0:9 offset1:10
	v_mov_b64_e32 v[14:15], v[2:3]
	v_mov_b64_e32 v[12:13], v[2:3]
	v_mov_b32_e32 v1, v50
	s_and_saveexec_b32 s13, s3
	s_cbranch_execz .LBB1984_236
; %bb.235:
	v_dual_cndmask_b32 v1, v22, v4, s11 :: v_dual_cndmask_b32 v5, v21, v5, s11
	v_dual_cndmask_b32 v4, v23, v20, s11 :: v_dual_bitop2_b32 v13, 1, v50 bitop3:0x40
	v_and_b32_e32 v12, 0xff, v50
	s_delay_alu instid0(VALU_DEP_3) | instskip(NEXT) | instid1(VALU_DEP_3)
	v_add_nc_u32_e32 v1, v2, v1
	v_dual_add_nc_u32 v5, v3, v5 :: v_dual_bitop2_b32 v4, 1, v4 bitop3:0x40
	s_delay_alu instid0(VALU_DEP_4) | instskip(NEXT) | instid1(VALU_DEP_4)
	v_cmp_eq_u32_e64 s11, 1, v13
	v_cmp_eq_u16_e32 vcc_lo, 0, v12
	s_delay_alu instid0(VALU_DEP_3) | instskip(SKIP_3) | instid1(SALU_CYCLE_1)
	v_cmp_eq_u32_e64 s12, 1, v4
	v_cndmask_b32_e32 v14, v2, v1, vcc_lo
	v_cndmask_b32_e32 v15, v3, v5, vcc_lo
	s_or_b32 s11, s11, s12
	v_cndmask_b32_e64 v1, 0, 1, s11
	s_delay_alu instid0(VALU_DEP_2)
	v_mov_b64_e32 v[12:13], v[14:15]
.LBB1984_236:
	s_or_b32 exec_lo, exec_lo, s13
	s_delay_alu instid0(VALU_DEP_1) | instskip(SKIP_1) | instid1(VALU_DEP_1)
	v_and_b32_e32 v1, 0xff, v1
	s_mov_b32 s11, exec_lo
	v_cmpx_ne_u16_e32 0, v1
	s_xor_b32 s11, exec_lo, s11
; %bb.237:
                                        ; implicit-def: $vgpr14_vgpr15
                                        ; implicit-def: $vgpr8_vgpr9
; %bb.238:
	s_delay_alu instid0(SALU_CYCLE_1)
	s_and_not1_saveexec_b32 s11, s11
	s_cbranch_execz .LBB1984_240
; %bb.239:
	s_wait_dscnt 0x0
	v_dual_add_nc_u32 v12, v14, v8 :: v_dual_add_nc_u32 v13, v15, v9
.LBB1984_240:
	s_or_b32 exec_lo, exec_lo, s11
	s_delay_alu instid0(VALU_DEP_1) | instskip(NEXT) | instid1(VALU_DEP_1)
	v_dual_add_nc_u32 v1, v46, v12 :: v_dual_add_nc_u32 v4, v47, v13
	v_dual_cndmask_b32 v14, v46, v1, s9 :: v_dual_cndmask_b32 v15, v47, v4, s9
	s_delay_alu instid0(VALU_DEP_1) | instskip(NEXT) | instid1(VALU_DEP_1)
	v_dual_add_nc_u32 v1, v44, v14 :: v_dual_add_nc_u32 v4, v45, v15
	v_dual_cndmask_b32 v16, v44, v1, s8 :: v_dual_cndmask_b32 v17, v45, v4, s8
	;; [unrolled: 3-line block ×9, first 2 shown]
	s_branch .LBB1984_192
.LBB1984_241:
	s_cmp_lg_u64 s[36:37], 0
	s_cselect_b32 s0, -1, 0
	s_cmp_lg_u64 s[22:23], 0
	s_cselect_b32 s1, -1, 0
	s_delay_alu instid0(SALU_CYCLE_1) | instskip(NEXT) | instid1(SALU_CYCLE_1)
	s_and_b32 s0, s0, s1
	s_and_b32 s1, s2, s0
	s_delay_alu instid0(SALU_CYCLE_1)
	s_and_saveexec_b32 s0, s1
	s_cbranch_execz .LBB1984_245
; %bb.242:
	v_and_b32_e32 v1, 0xff, v50
	s_mov_b32 s1, exec_lo
	s_delay_alu instid0(VALU_DEP_1) | instskip(SKIP_1) | instid1(SALU_CYCLE_1)
	v_cmpx_ne_u16_e32 0, v1
	s_xor_b32 s1, exec_lo, s1
	s_and_not1_saveexec_b32 s1, s1
	s_cbranch_execz .LBB1984_244
; %bb.243:
	v_mov_b32_e32 v1, 0
	global_load_b64 v[4:5], v1, s[22:23]
	s_wait_loadcnt 0x0
	v_dual_add_nc_u32 v2, v2, v4 :: v_dual_add_nc_u32 v3, v3, v5
.LBB1984_244:
	s_or_b32 exec_lo, exec_lo, s1
	v_mov_b32_e32 v1, 0
	global_load_u8 v1, v1, s[22:23] offset:8
	s_wait_loadcnt 0x0
	v_bitop3_b16 v50, v50, 1, v1 bitop3:0xc8
.LBB1984_245:
	s_or_b32 exec_lo, exec_lo, s0
	v_dual_add_nc_u32 v1, v46, v2 :: v_dual_add_nc_u32 v4, v47, v3
	v_cmp_eq_u16_e32 vcc_lo, 0, v62
	v_cmp_eq_u16_e64 s11, 0, v56
	v_cmp_eq_u32_e64 s0, 1, v54
	v_bitop3_b16 v5, v51, 0xff, v50 bitop3:0xc8
	v_cmp_eq_u32_e64 s10, 1, v53
	v_dual_cndmask_b32 v1, v46, v1 :: v_dual_cndmask_b32 v4, v47, v4
	v_cmp_eq_u16_e32 vcc_lo, 0, v63
	v_cmp_eq_u32_e64 s12, 1, v52
	v_cmp_eq_u32_e64 s13, 1, v49
	s_delay_alu instid0(VALU_DEP_4) | instskip(SKIP_3) | instid1(VALU_DEP_4)
	v_dual_add_nc_u32 v1, v44, v1 :: v_dual_add_nc_u32 v4, v45, v4
	v_cmp_ne_u16_e64 s9, 0, v62
	v_cmp_ne_u16_e64 s8, 0, v63
	;; [unrolled: 1-line block ×3, first 2 shown]
	v_dual_cndmask_b32 v1, v44, v1 :: v_dual_cndmask_b32 v4, v45, v4
	v_cmp_eq_u16_e32 vcc_lo, 0, v61
	v_cmp_ne_u16_e64 s6, 0, v59
	v_cmp_ne_u16_e64 s5, 0, v60
	s_delay_alu instid0(VALU_DEP_4) | instskip(SKIP_2) | instid1(VALU_DEP_3)
	v_dual_add_nc_u32 v1, v42, v1 :: v_dual_add_nc_u32 v4, v43, v4
	v_cmp_ne_u16_e64 s4, 0, v58
	v_cmp_ne_u16_e64 s1, 0, v56
	v_dual_cndmask_b32 v1, v42, v1 :: v_dual_cndmask_b32 v4, v43, v4
	v_cmp_eq_u16_e32 vcc_lo, 0, v59
	s_delay_alu instid0(VALU_DEP_2) | instskip(NEXT) | instid1(VALU_DEP_1)
	v_dual_add_nc_u32 v1, v40, v1 :: v_dual_add_nc_u32 v4, v41, v4
	v_dual_cndmask_b32 v1, v40, v1 :: v_dual_cndmask_b32 v4, v41, v4
	v_cmp_eq_u16_e32 vcc_lo, 0, v60
	s_delay_alu instid0(VALU_DEP_2) | instskip(NEXT) | instid1(VALU_DEP_1)
	v_dual_add_nc_u32 v1, v38, v1 :: v_dual_add_nc_u32 v4, v39, v4
	;; [unrolled: 4-line block ×3, first 2 shown]
	v_dual_cndmask_b32 v1, v36, v1 :: v_dual_cndmask_b32 v4, v37, v4
	v_cmp_ne_u16_e32 vcc_lo, 0, v57
	s_delay_alu instid0(VALU_DEP_2) | instskip(SKIP_3) | instid1(VALU_DEP_3)
	v_dual_add_nc_u32 v1, v10, v1 :: v_dual_add_nc_u32 v4, v11, v4
	s_or_b32 s14, vcc_lo, s0
	v_cmp_eq_u16_e32 vcc_lo, 0, v48
	v_cmp_ne_u16_e64 s0, 0, v5
	v_dual_cndmask_b32 v1, v10, v1, s11 :: v_dual_cndmask_b32 v4, v11, v4, s11
	v_cmp_ne_u16_e64 s11, 0, v55
	s_or_b32 s10, s10, s14
	v_dual_add_nc_u32 v1, v6, v1 :: v_dual_add_nc_u32 v4, v7, v4
	s_or_b32 s11, s11, s12
	s_delay_alu instid0(SALU_CYCLE_1) | instskip(NEXT) | instid1(VALU_DEP_1)
	s_or_b32 s10, s10, s11
	v_dual_cndmask_b32 v1, v6, v1 :: v_dual_cndmask_b32 v4, v7, v4
	v_cmp_eq_u16_e32 vcc_lo, 0, v35
	s_or_b32 s11, s0, s13
	v_cmp_ne_u16_e64 s0, 0, v48
	s_wait_dscnt 0x0
	v_dual_add_nc_u32 v1, v32, v1 :: v_dual_add_nc_u32 v8, v33, v4
	s_or_b32 s12, s10, s11
	s_mov_b32 s11, exec_lo
	v_cndmask_b32_e64 v5, 0, 1, s12
	s_delay_alu instid0(VALU_DEP_2) | instskip(SKIP_2) | instid1(VALU_DEP_4)
	v_dual_cndmask_b32 v4, v32, v1 :: v_dual_cndmask_b32 v1, v33, v8
	v_and_b32_e32 v8, 15, v34
	v_cmp_ne_u16_e32 vcc_lo, 0, v35
	v_mov_b32_dpp v9, v5 row_shr:1 row_mask:0xf bank_mask:0xf
	s_delay_alu instid0(VALU_DEP_4)
	v_mov_b32_dpp v12, v4 row_shr:1 row_mask:0xf bank_mask:0xf
	v_mov_b32_dpp v13, v1 row_shr:1 row_mask:0xf bank_mask:0xf
	v_cmpx_ne_u32_e32 0, v8
	s_cbranch_execz .LBB1984_249
; %bb.246:
	s_xor_b32 s12, s12, -1
	s_delay_alu instid0(SALU_CYCLE_1)
	s_and_saveexec_b32 s10, s12
; %bb.247:
	v_dual_add_nc_u32 v4, v4, v12 :: v_dual_add_nc_u32 v1, v1, v13
; %bb.248:
	s_or_b32 exec_lo, exec_lo, s10
	v_and_or_b32 v5, v9, 1, v5
.LBB1984_249:
	s_or_b32 exec_lo, exec_lo, s11
	s_delay_alu instid0(VALU_DEP_2) | instskip(SKIP_1) | instid1(VALU_DEP_3)
	v_mov_b32_dpp v12, v4 row_shr:2 row_mask:0xf bank_mask:0xf
	v_mov_b32_dpp v13, v1 row_shr:2 row_mask:0xf bank_mask:0xf
	v_mov_b32_dpp v9, v5 row_shr:2 row_mask:0xf bank_mask:0xf
	s_mov_b32 s11, exec_lo
	v_cmpx_lt_u32_e32 1, v8
	s_cbranch_execz .LBB1984_255
; %bb.250:
	v_cmp_ne_u32_e64 s10, 0, v5
	s_and_saveexec_b32 s12, s10
	s_delay_alu instid0(SALU_CYCLE_1)
	s_xor_b32 s10, exec_lo, s12
; %bb.251:
                                        ; implicit-def: $vgpr12
                                        ; implicit-def: $vgpr13
; %bb.252:
	s_delay_alu instid0(SALU_CYCLE_1)
	s_and_not1_saveexec_b32 s10, s10
; %bb.253:
	v_dual_add_nc_u32 v4, v4, v12 :: v_dual_add_nc_u32 v1, v1, v13
; %bb.254:
	s_or_b32 exec_lo, exec_lo, s10
	v_bitop3_b32 v5, v9, 1, v5 bitop3:0xc8
.LBB1984_255:
	s_or_b32 exec_lo, exec_lo, s11
	s_delay_alu instid0(VALU_DEP_2) | instskip(SKIP_1) | instid1(VALU_DEP_3)
	v_mov_b32_dpp v12, v4 row_shr:4 row_mask:0xf bank_mask:0xf
	v_mov_b32_dpp v13, v1 row_shr:4 row_mask:0xf bank_mask:0xf
	v_mov_b32_dpp v9, v5 row_shr:4 row_mask:0xf bank_mask:0xf
	s_mov_b32 s11, exec_lo
	v_cmpx_lt_u32_e32 3, v8
	s_cbranch_execz .LBB1984_261
; %bb.256:
	v_cmp_ne_u32_e64 s10, 0, v5
	s_and_saveexec_b32 s12, s10
	s_delay_alu instid0(SALU_CYCLE_1)
	s_xor_b32 s10, exec_lo, s12
; %bb.257:
                                        ; implicit-def: $vgpr12
                                        ; implicit-def: $vgpr13
; %bb.258:
	s_delay_alu instid0(SALU_CYCLE_1)
	s_and_not1_saveexec_b32 s10, s10
; %bb.259:
	v_dual_add_nc_u32 v4, v4, v12 :: v_dual_add_nc_u32 v1, v1, v13
; %bb.260:
	s_or_b32 exec_lo, exec_lo, s10
	v_bitop3_b32 v5, v9, 1, v5 bitop3:0xc8
.LBB1984_261:
	;; [unrolled: 25-line block ×3, first 2 shown]
	s_or_b32 exec_lo, exec_lo, s11
	ds_swizzle_b32 v9, v4 offset:swizzle(BROADCAST,32,15)
	ds_swizzle_b32 v12, v1 offset:swizzle(BROADCAST,32,15)
	;; [unrolled: 1-line block ×3, first 2 shown]
	v_and_b32_e32 v13, 16, v34
	s_delay_alu instid0(VALU_DEP_1)
	v_cmp_ne_u32_e64 s10, 0, v13
	v_mov_b32_e32 v13, v5
	s_and_saveexec_b32 s11, s10
	s_cbranch_execz .LBB1984_273
; %bb.268:
	v_cmp_ne_u32_e64 s10, 0, v5
	s_and_saveexec_b32 s12, s10
	s_delay_alu instid0(SALU_CYCLE_1)
	s_xor_b32 s10, exec_lo, s12
; %bb.269:
                                        ; implicit-def: $vgpr9
                                        ; implicit-def: $vgpr12
; %bb.270:
	s_delay_alu instid0(SALU_CYCLE_1)
	s_and_not1_saveexec_b32 s10, s10
	s_cbranch_execz .LBB1984_272
; %bb.271:
	s_wait_dscnt 0x1
	v_dual_add_nc_u32 v4, v4, v9 :: v_dual_add_nc_u32 v1, v1, v12
.LBB1984_272:
	s_or_b32 exec_lo, exec_lo, s10
	s_wait_dscnt 0x0
	v_or_b32_e32 v9, v8, v5
	v_bitop3_b32 v5, v8, 1, v5 bitop3:0xc8
	s_delay_alu instid0(VALU_DEP_2)
	v_and_b32_e32 v13, 1, v9
.LBB1984_273:
	s_or_b32 exec_lo, exec_lo, s11
	s_wait_dscnt 0x0
	v_dual_lshrrev_b32 v12, 5, v0 :: v_dual_bitop2_b32 v8, 31, v0 bitop3:0x54
	s_mov_b32 s11, exec_lo
	s_delay_alu instid0(VALU_DEP_1)
	v_cmpx_eq_u32_e64 v0, v8
	s_cbranch_execz .LBB1984_275
; %bb.274:
	s_delay_alu instid0(VALU_DEP_2)
	v_mul_u32_u24_e32 v8, 12, v12
	ds_store_2addr_b32 v8, v4, v1 offset1:1
	ds_store_b8 v8, v13 offset:8
.LBB1984_275:
	s_or_b32 exec_lo, exec_lo, s11
	s_delay_alu instid0(SALU_CYCLE_1)
	s_mov_b32 s11, exec_lo
	s_wait_dscnt 0x0
	s_barrier_signal -1
	s_barrier_wait -1
	v_cmpx_gt_u32_e32 4, v0
	s_cbranch_execz .LBB1984_281
; %bb.276:
	v_mul_u32_u24_e32 v13, 12, v0
	v_and_b32_e32 v15, 3, v34
	s_mov_b32 s12, exec_lo
	ds_load_2addr_b32 v[8:9], v13 offset1:1
	ds_load_b32 v14, v13 offset:8
	s_wait_dscnt 0x1
	v_mov_b32_dpp v17, v8 row_shr:1 row_mask:0xf bank_mask:0xf
	v_mov_b32_dpp v18, v9 row_shr:1 row_mask:0xf bank_mask:0xf
	s_wait_dscnt 0x0
	v_mov_b32_dpp v16, v14 row_shr:1 row_mask:0xf bank_mask:0xf
	v_cmpx_ne_u32_e32 0, v15
; %bb.277:
	v_and_b32_e32 v19, 0xff, v14
	v_dual_add_nc_u32 v17, v8, v17 :: v_dual_add_nc_u32 v18, v9, v18
	s_delay_alu instid0(VALU_DEP_2) | instskip(NEXT) | instid1(VALU_DEP_1)
	v_cmp_eq_u32_e64 s10, 0, v19
	v_dual_cndmask_b32 v9, v9, v18, s10 :: v_dual_bitop2_b32 v16, 1, v16 bitop3:0x40
	s_delay_alu instid0(VALU_DEP_3) | instskip(NEXT) | instid1(VALU_DEP_2)
	v_cndmask_b32_e64 v8, v8, v17, s10
	v_and_or_b32 v14, 0xffffff01, v14, v16
; %bb.278:
	s_or_b32 exec_lo, exec_lo, s12
	s_delay_alu instid0(VALU_DEP_2) | instskip(SKIP_1) | instid1(VALU_DEP_3)
	v_mov_b32_dpp v17, v8 row_shr:2 row_mask:0xf bank_mask:0xf
	v_mov_b32_dpp v18, v9 row_shr:2 row_mask:0xf bank_mask:0xf
	v_mov_b32_dpp v16, v14 row_shr:2 row_mask:0xf bank_mask:0xf
	s_mov_b32 s12, exec_lo
	v_cmpx_lt_u32_e32 1, v15
; %bb.279:
	v_and_b32_e32 v15, 0xff, v14
	v_dual_add_nc_u32 v17, v8, v17 :: v_dual_add_nc_u32 v18, v9, v18
	v_bitop3_b32 v14, v16, 1, v14 bitop3:0xc8
	s_delay_alu instid0(VALU_DEP_3) | instskip(NEXT) | instid1(VALU_DEP_1)
	v_cmp_eq_u32_e64 s10, 0, v15
	v_dual_cndmask_b32 v9, v9, v18, s10 :: v_dual_cndmask_b32 v8, v8, v17, s10
; %bb.280:
	s_or_b32 exec_lo, exec_lo, s12
	ds_store_2addr_b32 v13, v8, v9 offset1:1
	ds_store_b8 v13, v14 offset:8
.LBB1984_281:
	s_or_b32 exec_lo, exec_lo, s11
	v_dual_mov_b32 v8, 0 :: v_dual_mov_b32 v9, 0
	s_mov_b32 s11, exec_lo
	s_wait_dscnt 0x0
	s_barrier_signal -1
	s_barrier_wait -1
	v_cmpx_lt_u32_e32 31, v0
	s_cbranch_execz .LBB1984_283
; %bb.282:
	v_mad_u32_u24 v8, v12, 12, -12
	v_cmp_eq_u32_e64 s10, 0, v5
	ds_load_2addr_b32 v[8:9], v8 offset1:1
	s_wait_dscnt 0x0
	v_dual_add_nc_u32 v12, v8, v4 :: v_dual_add_nc_u32 v13, v9, v1
	s_delay_alu instid0(VALU_DEP_1)
	v_dual_cndmask_b32 v4, v4, v12, s10 :: v_dual_cndmask_b32 v1, v1, v13, s10
.LBB1984_283:
	s_or_b32 exec_lo, exec_lo, s11
	v_sub_co_u32 v5, s10, v34, 1
	s_delay_alu instid0(VALU_DEP_1) | instskip(NEXT) | instid1(VALU_DEP_1)
	v_cmp_gt_i32_e64 s11, 0, v5
	v_cndmask_b32_e64 v5, v5, v34, s11
	s_delay_alu instid0(VALU_DEP_1)
	v_lshlrev_b32_e32 v5, 2, v5
	ds_bpermute_b32 v4, v5, v4
	ds_bpermute_b32 v1, v5, v1
	s_and_saveexec_b32 s11, s3
	s_cbranch_execz .LBB1984_285
; %bb.284:
	s_wait_dscnt 0x0
	v_dual_cndmask_b32 v4, v4, v8, s10 :: v_dual_cndmask_b32 v1, v1, v9, s10
	v_and_b32_e32 v5, 0xff, v50
	;;#ASMSTART
	;;#ASMEND
	s_delay_alu instid0(VALU_DEP_2) | instskip(NEXT) | instid1(VALU_DEP_2)
	v_dual_add_nc_u32 v4, v4, v2 :: v_dual_add_nc_u32 v1, v1, v3
	v_cmp_eq_u16_e64 s3, 0, v5
	s_delay_alu instid0(VALU_DEP_1)
	v_dual_cndmask_b32 v3, v3, v1, s3 :: v_dual_cndmask_b32 v2, v2, v4, s3
.LBB1984_285:
	s_or_b32 exec_lo, exec_lo, s11
                                        ; implicit-def: $vgpr14_vgpr15
	s_and_saveexec_b32 s3, s9
	s_delay_alu instid0(SALU_CYCLE_1)
	s_xor_b32 s3, exec_lo, s3
	s_cbranch_execz .LBB1984_287
; %bb.286:
	v_mov_b64_e32 v[14:15], v[46:47]
	s_and_not1_saveexec_b32 s3, s3
                                        ; implicit-def: $vgpr18_vgpr19
	s_branch .LBB1984_288
.LBB1984_287:
	s_and_not1_saveexec_b32 s3, s3
                                        ; implicit-def: $vgpr18_vgpr19
.LBB1984_288:
	v_dual_add_nc_u32 v14, v46, v2 :: v_dual_add_nc_u32 v15, v47, v3
	s_delay_alu instid0(VALU_DEP_1)
	v_dual_mov_b32 v46, v14 :: v_dual_mov_b32 v47, v15
; %bb.289:
	s_or_b32 exec_lo, exec_lo, s3
                                        ; implicit-def: $vgpr16_vgpr17
	s_and_saveexec_b32 s3, s8
	s_delay_alu instid0(SALU_CYCLE_1)
	s_xor_b32 s3, exec_lo, s3
	s_cbranch_execz .LBB1984_293
; %bb.290:
	v_mov_b64_e32 v[16:17], v[44:45]
                                        ; implicit-def: $vgpr46
	s_and_not1_saveexec_b32 s3, s3
	s_cbranch_execnz .LBB1984_294
.LBB1984_291:
	s_or_b32 exec_lo, exec_lo, s3
	s_and_saveexec_b32 s3, s7
	s_delay_alu instid0(SALU_CYCLE_1)
	s_xor_b32 s3, exec_lo, s3
	s_cbranch_execz .LBB1984_295
.LBB1984_292:
	v_mov_b64_e32 v[18:19], v[42:43]
                                        ; implicit-def: $vgpr44
	s_and_not1_saveexec_b32 s3, s3
                                        ; implicit-def: $vgpr22_vgpr23
	s_branch .LBB1984_296
.LBB1984_293:
	s_and_not1_saveexec_b32 s3, s3
	s_cbranch_execz .LBB1984_291
.LBB1984_294:
	v_dual_add_nc_u32 v16, v44, v46 :: v_dual_add_nc_u32 v17, v45, v47
	s_delay_alu instid0(VALU_DEP_1) | instskip(SKIP_2) | instid1(SALU_CYCLE_1)
	v_dual_mov_b32 v44, v16 :: v_dual_mov_b32 v45, v17
	s_or_b32 exec_lo, exec_lo, s3
	s_and_saveexec_b32 s3, s7
	s_xor_b32 s3, exec_lo, s3
	s_cbranch_execnz .LBB1984_292
.LBB1984_295:
	s_and_not1_saveexec_b32 s3, s3
                                        ; implicit-def: $vgpr22_vgpr23
.LBB1984_296:
	v_dual_add_nc_u32 v18, v42, v44 :: v_dual_add_nc_u32 v19, v43, v45
	s_delay_alu instid0(VALU_DEP_1)
	v_dual_mov_b32 v42, v18 :: v_dual_mov_b32 v43, v19
; %bb.297:
	s_or_b32 exec_lo, exec_lo, s3
                                        ; implicit-def: $vgpr20_vgpr21
	s_and_saveexec_b32 s3, s6
	s_delay_alu instid0(SALU_CYCLE_1)
	s_xor_b32 s3, exec_lo, s3
	s_cbranch_execz .LBB1984_301
; %bb.298:
	v_mov_b64_e32 v[20:21], v[40:41]
                                        ; implicit-def: $vgpr42
	s_and_not1_saveexec_b32 s3, s3
	s_cbranch_execnz .LBB1984_302
.LBB1984_299:
	s_or_b32 exec_lo, exec_lo, s3
	s_and_saveexec_b32 s3, s5
	s_delay_alu instid0(SALU_CYCLE_1)
	s_xor_b32 s3, exec_lo, s3
	s_cbranch_execz .LBB1984_303
.LBB1984_300:
	v_mov_b64_e32 v[22:23], v[38:39]
                                        ; implicit-def: $vgpr40
	s_and_not1_saveexec_b32 s3, s3
                                        ; implicit-def: $vgpr26_vgpr27
	s_branch .LBB1984_304
.LBB1984_301:
	s_and_not1_saveexec_b32 s3, s3
	s_cbranch_execz .LBB1984_299
.LBB1984_302:
	v_dual_add_nc_u32 v20, v40, v42 :: v_dual_add_nc_u32 v21, v41, v43
	s_delay_alu instid0(VALU_DEP_1) | instskip(SKIP_2) | instid1(SALU_CYCLE_1)
	v_dual_mov_b32 v40, v20 :: v_dual_mov_b32 v41, v21
	s_or_b32 exec_lo, exec_lo, s3
	s_and_saveexec_b32 s3, s5
	s_xor_b32 s3, exec_lo, s3
	s_cbranch_execnz .LBB1984_300
.LBB1984_303:
	s_and_not1_saveexec_b32 s3, s3
                                        ; implicit-def: $vgpr26_vgpr27
.LBB1984_304:
	v_dual_add_nc_u32 v22, v38, v40 :: v_dual_add_nc_u32 v23, v39, v41
	s_delay_alu instid0(VALU_DEP_1)
	v_dual_mov_b32 v38, v22 :: v_dual_mov_b32 v39, v23
; %bb.305:
	s_or_b32 exec_lo, exec_lo, s3
                                        ; implicit-def: $vgpr24_vgpr25
	s_and_saveexec_b32 s3, s4
	s_delay_alu instid0(SALU_CYCLE_1)
	s_xor_b32 s3, exec_lo, s3
	s_cbranch_execz .LBB1984_309
; %bb.306:
	v_mov_b64_e32 v[24:25], v[36:37]
                                        ; implicit-def: $vgpr38
	s_and_not1_saveexec_b32 s3, s3
	s_cbranch_execnz .LBB1984_310
.LBB1984_307:
	s_or_b32 exec_lo, exec_lo, s3
	s_and_saveexec_b32 s3, s1
	s_delay_alu instid0(SALU_CYCLE_1)
	s_xor_b32 s1, exec_lo, s3
	s_cbranch_execz .LBB1984_311
.LBB1984_308:
	v_mov_b64_e32 v[26:27], v[10:11]
                                        ; implicit-def: $vgpr36
	s_and_not1_saveexec_b32 s1, s1
                                        ; implicit-def: $vgpr30_vgpr31
	s_branch .LBB1984_312
.LBB1984_309:
	s_and_not1_saveexec_b32 s3, s3
	s_cbranch_execz .LBB1984_307
.LBB1984_310:
	v_dual_add_nc_u32 v24, v36, v38 :: v_dual_add_nc_u32 v25, v37, v39
	s_delay_alu instid0(VALU_DEP_1) | instskip(SKIP_2) | instid1(SALU_CYCLE_1)
	v_dual_mov_b32 v36, v24 :: v_dual_mov_b32 v37, v25
	s_or_b32 exec_lo, exec_lo, s3
	s_and_saveexec_b32 s3, s1
	s_xor_b32 s1, exec_lo, s3
	s_cbranch_execnz .LBB1984_308
.LBB1984_311:
	s_and_not1_saveexec_b32 s1, s1
                                        ; implicit-def: $vgpr30_vgpr31
.LBB1984_312:
	v_dual_add_nc_u32 v26, v10, v36 :: v_dual_add_nc_u32 v27, v11, v37
	s_delay_alu instid0(VALU_DEP_1)
	v_dual_mov_b32 v10, v26 :: v_dual_mov_b32 v11, v27
; %bb.313:
	s_or_b32 exec_lo, exec_lo, s1
                                        ; implicit-def: $vgpr28_vgpr29
	s_and_saveexec_b32 s1, s0
	s_delay_alu instid0(SALU_CYCLE_1)
	s_xor_b32 s0, exec_lo, s1
	s_cbranch_execz .LBB1984_325
; %bb.314:
	v_mov_b64_e32 v[28:29], v[6:7]
                                        ; implicit-def: $vgpr10
	s_and_not1_saveexec_b32 s0, s0
	s_cbranch_execnz .LBB1984_326
.LBB1984_315:
	s_or_b32 exec_lo, exec_lo, s0
	s_and_saveexec_b32 s0, vcc_lo
	s_delay_alu instid0(SALU_CYCLE_1)
	s_xor_b32 s0, exec_lo, s0
	s_cbranch_execz .LBB1984_327
.LBB1984_316:
	v_mov_b64_e32 v[30:31], v[32:33]
                                        ; implicit-def: $vgpr32_vgpr33
                                        ; implicit-def: $vgpr6
	s_and_not1_saveexec_b32 s0, s0
	s_cbranch_execnz .LBB1984_328
.LBB1984_317:
	s_or_b32 exec_lo, exec_lo, s0
	s_and_saveexec_b32 s0, s2
	s_cbranch_execz .LBB1984_319
.LBB1984_318:
	s_wait_dscnt 0x0
	v_dual_mov_b32 v1, 0 :: v_dual_mov_b32 v7, 2
	s_add_nc_u64 s[2:3], s[28:29], 0x200
	ds_load_u8 v6, v1 offset:44
	ds_load_2addr_b32 v[4:5], v1 offset0:9 offset1:10
	v_mov_b64_e32 v[8:9], s[2:3]
	s_wait_dscnt 0x1
	v_and_b32_e32 v6, 0xffff, v6
	s_wait_dscnt 0x0
	;;#ASMSTART
	global_store_b128 v[8:9], v[4:7] off scope:SCOPE_DEV	
s_wait_storecnt 0x0
	;;#ASMEND
.LBB1984_319:
	s_or_b32 exec_lo, exec_lo, s0
	v_mov_b64_e32 v[12:13], v[2:3]
	s_add_nc_u64 s[0:1], s[18:19], s[34:35]
	s_and_b32 vcc_lo, exec_lo, s33
	s_add_nc_u64 s[0:1], s[0:1], s[16:17]
	s_cbranch_vccnz .LBB1984_193
.LBB1984_320:
	s_mov_b32 s2, 0
                                        ; implicit-def: $vgpr4_vgpr5
	s_cbranch_execz .LBB1984_322
; %bb.321:
	s_wait_dscnt 0x0
	v_mul_u32_u24_e32 v1, 0x50, v0
	v_mul_i32_i24_e32 v2, 0xffffffb8, v0
	s_wait_storecnt 0x0
	s_barrier_signal -1
	s_barrier_wait -1
	ds_store_b128 v1, v[12:15]
	ds_store_b128 v1, v[16:19] offset:16
	ds_store_b128 v1, v[20:23] offset:32
	;; [unrolled: 1-line block ×4, first 2 shown]
	v_mad_u32_u24 v1, 0x50, v0, v2
	s_wait_dscnt 0x0
	s_barrier_signal -1
	s_barrier_wait -1
	ds_load_2addr_stride64_b64 v[6:9], v1 offset1:2
	ds_load_2addr_stride64_b64 v[10:13], v1 offset0:4 offset1:6
	ds_load_2addr_stride64_b64 v[14:17], v1 offset0:8 offset1:10
	ds_load_2addr_stride64_b64 v[18:21], v1 offset0:12 offset1:14
	ds_load_2addr_stride64_b64 v[2:5], v1 offset0:16 offset1:18
	s_or_b32 s2, s2, exec_lo
	s_wait_dscnt 0x4
	s_clause 0x1
	flat_store_b64 v0, v[6:7], s[0:1] scale_offset
	flat_store_b64 v0, v[8:9], s[0:1] offset:1024 scale_offset
	s_wait_dscnt 0x5
	s_clause 0x1
	flat_store_b64 v0, v[10:11], s[0:1] offset:2048 scale_offset
	flat_store_b64 v0, v[12:13], s[0:1] offset:3072 scale_offset
	s_wait_dscnt 0x6
	s_clause 0x1
	flat_store_b64 v0, v[14:15], s[0:1] offset:4096 scale_offset
	;; [unrolled: 4-line block ×3, first 2 shown]
	flat_store_b64 v0, v[20:21], s[0:1] offset:7168 scale_offset
	s_wait_dscnt 0x8
	flat_store_b64 v0, v[2:3], s[0:1] offset:8192 scale_offset
.LBB1984_322:
	s_wait_xcnt 0x0
	s_delay_alu instid0(VALU_DEP_1)
	s_and_saveexec_b32 s3, s2
	s_cbranch_execz .LBB1984_324
; %bb.323:
	s_wait_dscnt 0x0
	flat_store_b64 v0, v[4:5], s[0:1] offset:9216 scale_offset
	s_sendmsg sendmsg(MSG_DEALLOC_VGPRS)
	s_endpgm
.LBB1984_324:
	s_sendmsg sendmsg(MSG_DEALLOC_VGPRS)
	s_endpgm
.LBB1984_325:
	s_and_not1_saveexec_b32 s0, s0
	s_cbranch_execz .LBB1984_315
.LBB1984_326:
	v_dual_add_nc_u32 v28, v6, v10 :: v_dual_add_nc_u32 v29, v7, v11
	s_delay_alu instid0(VALU_DEP_1) | instskip(SKIP_2) | instid1(SALU_CYCLE_1)
	v_dual_mov_b32 v6, v28 :: v_dual_mov_b32 v7, v29
	s_or_b32 exec_lo, exec_lo, s0
	s_and_saveexec_b32 s0, vcc_lo
	s_xor_b32 s0, exec_lo, s0
	s_cbranch_execnz .LBB1984_316
.LBB1984_327:
	s_and_not1_saveexec_b32 s0, s0
	s_cbranch_execz .LBB1984_317
.LBB1984_328:
	v_dual_add_nc_u32 v30, v32, v6 :: v_dual_add_nc_u32 v31, v33, v7
	s_or_b32 exec_lo, exec_lo, s0
	s_and_saveexec_b32 s0, s2
	s_cbranch_execnz .LBB1984_318
	s_branch .LBB1984_319
	.section	.rodata,"a",@progbits
	.p2align	6, 0x0
	.amdhsa_kernel _ZN7rocprim17ROCPRIM_400000_NS6detail17trampoline_kernelINS0_14default_configENS1_27scan_by_key_config_selectorIj11FixedVectorIiLj2EEEEZZNS1_16scan_by_key_implILNS1_25lookback_scan_determinismE0ELb0ES3_N6thrust23THRUST_200600_302600_NS6detail15normal_iteratorINSB_10device_ptrIjEEEENSD_INSE_IS6_EEEESI_S6_NSB_4plusIvEENSB_8equal_toIvEES6_EE10hipError_tPvRmT2_T3_T4_T5_mT6_T7_P12ihipStream_tbENKUlT_T0_E_clISt17integral_constantIbLb0EES12_IbLb1EEEEDaSY_SZ_EUlSY_E_NS1_11comp_targetILNS1_3genE0ELNS1_11target_archE4294967295ELNS1_3gpuE0ELNS1_3repE0EEENS1_30default_config_static_selectorELNS0_4arch9wavefront6targetE0EEEvT1_
		.amdhsa_group_segment_fixed_size 10240
		.amdhsa_private_segment_fixed_size 0
		.amdhsa_kernarg_size 120
		.amdhsa_user_sgpr_count 2
		.amdhsa_user_sgpr_dispatch_ptr 0
		.amdhsa_user_sgpr_queue_ptr 0
		.amdhsa_user_sgpr_kernarg_segment_ptr 1
		.amdhsa_user_sgpr_dispatch_id 0
		.amdhsa_user_sgpr_kernarg_preload_length 0
		.amdhsa_user_sgpr_kernarg_preload_offset 0
		.amdhsa_user_sgpr_private_segment_size 0
		.amdhsa_wavefront_size32 1
		.amdhsa_uses_dynamic_stack 0
		.amdhsa_enable_private_segment 0
		.amdhsa_system_sgpr_workgroup_id_x 1
		.amdhsa_system_sgpr_workgroup_id_y 0
		.amdhsa_system_sgpr_workgroup_id_z 0
		.amdhsa_system_sgpr_workgroup_info 0
		.amdhsa_system_vgpr_workitem_id 0
		.amdhsa_next_free_vgpr 74
		.amdhsa_next_free_sgpr 49
		.amdhsa_named_barrier_count 0
		.amdhsa_reserve_vcc 1
		.amdhsa_float_round_mode_32 0
		.amdhsa_float_round_mode_16_64 0
		.amdhsa_float_denorm_mode_32 3
		.amdhsa_float_denorm_mode_16_64 3
		.amdhsa_fp16_overflow 0
		.amdhsa_memory_ordered 1
		.amdhsa_forward_progress 1
		.amdhsa_inst_pref_size 93
		.amdhsa_round_robin_scheduling 0
		.amdhsa_exception_fp_ieee_invalid_op 0
		.amdhsa_exception_fp_denorm_src 0
		.amdhsa_exception_fp_ieee_div_zero 0
		.amdhsa_exception_fp_ieee_overflow 0
		.amdhsa_exception_fp_ieee_underflow 0
		.amdhsa_exception_fp_ieee_inexact 0
		.amdhsa_exception_int_div_zero 0
	.end_amdhsa_kernel
	.section	.text._ZN7rocprim17ROCPRIM_400000_NS6detail17trampoline_kernelINS0_14default_configENS1_27scan_by_key_config_selectorIj11FixedVectorIiLj2EEEEZZNS1_16scan_by_key_implILNS1_25lookback_scan_determinismE0ELb0ES3_N6thrust23THRUST_200600_302600_NS6detail15normal_iteratorINSB_10device_ptrIjEEEENSD_INSE_IS6_EEEESI_S6_NSB_4plusIvEENSB_8equal_toIvEES6_EE10hipError_tPvRmT2_T3_T4_T5_mT6_T7_P12ihipStream_tbENKUlT_T0_E_clISt17integral_constantIbLb0EES12_IbLb1EEEEDaSY_SZ_EUlSY_E_NS1_11comp_targetILNS1_3genE0ELNS1_11target_archE4294967295ELNS1_3gpuE0ELNS1_3repE0EEENS1_30default_config_static_selectorELNS0_4arch9wavefront6targetE0EEEvT1_,"axG",@progbits,_ZN7rocprim17ROCPRIM_400000_NS6detail17trampoline_kernelINS0_14default_configENS1_27scan_by_key_config_selectorIj11FixedVectorIiLj2EEEEZZNS1_16scan_by_key_implILNS1_25lookback_scan_determinismE0ELb0ES3_N6thrust23THRUST_200600_302600_NS6detail15normal_iteratorINSB_10device_ptrIjEEEENSD_INSE_IS6_EEEESI_S6_NSB_4plusIvEENSB_8equal_toIvEES6_EE10hipError_tPvRmT2_T3_T4_T5_mT6_T7_P12ihipStream_tbENKUlT_T0_E_clISt17integral_constantIbLb0EES12_IbLb1EEEEDaSY_SZ_EUlSY_E_NS1_11comp_targetILNS1_3genE0ELNS1_11target_archE4294967295ELNS1_3gpuE0ELNS1_3repE0EEENS1_30default_config_static_selectorELNS0_4arch9wavefront6targetE0EEEvT1_,comdat
.Lfunc_end1984:
	.size	_ZN7rocprim17ROCPRIM_400000_NS6detail17trampoline_kernelINS0_14default_configENS1_27scan_by_key_config_selectorIj11FixedVectorIiLj2EEEEZZNS1_16scan_by_key_implILNS1_25lookback_scan_determinismE0ELb0ES3_N6thrust23THRUST_200600_302600_NS6detail15normal_iteratorINSB_10device_ptrIjEEEENSD_INSE_IS6_EEEESI_S6_NSB_4plusIvEENSB_8equal_toIvEES6_EE10hipError_tPvRmT2_T3_T4_T5_mT6_T7_P12ihipStream_tbENKUlT_T0_E_clISt17integral_constantIbLb0EES12_IbLb1EEEEDaSY_SZ_EUlSY_E_NS1_11comp_targetILNS1_3genE0ELNS1_11target_archE4294967295ELNS1_3gpuE0ELNS1_3repE0EEENS1_30default_config_static_selectorELNS0_4arch9wavefront6targetE0EEEvT1_, .Lfunc_end1984-_ZN7rocprim17ROCPRIM_400000_NS6detail17trampoline_kernelINS0_14default_configENS1_27scan_by_key_config_selectorIj11FixedVectorIiLj2EEEEZZNS1_16scan_by_key_implILNS1_25lookback_scan_determinismE0ELb0ES3_N6thrust23THRUST_200600_302600_NS6detail15normal_iteratorINSB_10device_ptrIjEEEENSD_INSE_IS6_EEEESI_S6_NSB_4plusIvEENSB_8equal_toIvEES6_EE10hipError_tPvRmT2_T3_T4_T5_mT6_T7_P12ihipStream_tbENKUlT_T0_E_clISt17integral_constantIbLb0EES12_IbLb1EEEEDaSY_SZ_EUlSY_E_NS1_11comp_targetILNS1_3genE0ELNS1_11target_archE4294967295ELNS1_3gpuE0ELNS1_3repE0EEENS1_30default_config_static_selectorELNS0_4arch9wavefront6targetE0EEEvT1_
                                        ; -- End function
	.set _ZN7rocprim17ROCPRIM_400000_NS6detail17trampoline_kernelINS0_14default_configENS1_27scan_by_key_config_selectorIj11FixedVectorIiLj2EEEEZZNS1_16scan_by_key_implILNS1_25lookback_scan_determinismE0ELb0ES3_N6thrust23THRUST_200600_302600_NS6detail15normal_iteratorINSB_10device_ptrIjEEEENSD_INSE_IS6_EEEESI_S6_NSB_4plusIvEENSB_8equal_toIvEES6_EE10hipError_tPvRmT2_T3_T4_T5_mT6_T7_P12ihipStream_tbENKUlT_T0_E_clISt17integral_constantIbLb0EES12_IbLb1EEEEDaSY_SZ_EUlSY_E_NS1_11comp_targetILNS1_3genE0ELNS1_11target_archE4294967295ELNS1_3gpuE0ELNS1_3repE0EEENS1_30default_config_static_selectorELNS0_4arch9wavefront6targetE0EEEvT1_.num_vgpr, 74
	.set _ZN7rocprim17ROCPRIM_400000_NS6detail17trampoline_kernelINS0_14default_configENS1_27scan_by_key_config_selectorIj11FixedVectorIiLj2EEEEZZNS1_16scan_by_key_implILNS1_25lookback_scan_determinismE0ELb0ES3_N6thrust23THRUST_200600_302600_NS6detail15normal_iteratorINSB_10device_ptrIjEEEENSD_INSE_IS6_EEEESI_S6_NSB_4plusIvEENSB_8equal_toIvEES6_EE10hipError_tPvRmT2_T3_T4_T5_mT6_T7_P12ihipStream_tbENKUlT_T0_E_clISt17integral_constantIbLb0EES12_IbLb1EEEEDaSY_SZ_EUlSY_E_NS1_11comp_targetILNS1_3genE0ELNS1_11target_archE4294967295ELNS1_3gpuE0ELNS1_3repE0EEENS1_30default_config_static_selectorELNS0_4arch9wavefront6targetE0EEEvT1_.num_agpr, 0
	.set _ZN7rocprim17ROCPRIM_400000_NS6detail17trampoline_kernelINS0_14default_configENS1_27scan_by_key_config_selectorIj11FixedVectorIiLj2EEEEZZNS1_16scan_by_key_implILNS1_25lookback_scan_determinismE0ELb0ES3_N6thrust23THRUST_200600_302600_NS6detail15normal_iteratorINSB_10device_ptrIjEEEENSD_INSE_IS6_EEEESI_S6_NSB_4plusIvEENSB_8equal_toIvEES6_EE10hipError_tPvRmT2_T3_T4_T5_mT6_T7_P12ihipStream_tbENKUlT_T0_E_clISt17integral_constantIbLb0EES12_IbLb1EEEEDaSY_SZ_EUlSY_E_NS1_11comp_targetILNS1_3genE0ELNS1_11target_archE4294967295ELNS1_3gpuE0ELNS1_3repE0EEENS1_30default_config_static_selectorELNS0_4arch9wavefront6targetE0EEEvT1_.numbered_sgpr, 49
	.set _ZN7rocprim17ROCPRIM_400000_NS6detail17trampoline_kernelINS0_14default_configENS1_27scan_by_key_config_selectorIj11FixedVectorIiLj2EEEEZZNS1_16scan_by_key_implILNS1_25lookback_scan_determinismE0ELb0ES3_N6thrust23THRUST_200600_302600_NS6detail15normal_iteratorINSB_10device_ptrIjEEEENSD_INSE_IS6_EEEESI_S6_NSB_4plusIvEENSB_8equal_toIvEES6_EE10hipError_tPvRmT2_T3_T4_T5_mT6_T7_P12ihipStream_tbENKUlT_T0_E_clISt17integral_constantIbLb0EES12_IbLb1EEEEDaSY_SZ_EUlSY_E_NS1_11comp_targetILNS1_3genE0ELNS1_11target_archE4294967295ELNS1_3gpuE0ELNS1_3repE0EEENS1_30default_config_static_selectorELNS0_4arch9wavefront6targetE0EEEvT1_.num_named_barrier, 0
	.set _ZN7rocprim17ROCPRIM_400000_NS6detail17trampoline_kernelINS0_14default_configENS1_27scan_by_key_config_selectorIj11FixedVectorIiLj2EEEEZZNS1_16scan_by_key_implILNS1_25lookback_scan_determinismE0ELb0ES3_N6thrust23THRUST_200600_302600_NS6detail15normal_iteratorINSB_10device_ptrIjEEEENSD_INSE_IS6_EEEESI_S6_NSB_4plusIvEENSB_8equal_toIvEES6_EE10hipError_tPvRmT2_T3_T4_T5_mT6_T7_P12ihipStream_tbENKUlT_T0_E_clISt17integral_constantIbLb0EES12_IbLb1EEEEDaSY_SZ_EUlSY_E_NS1_11comp_targetILNS1_3genE0ELNS1_11target_archE4294967295ELNS1_3gpuE0ELNS1_3repE0EEENS1_30default_config_static_selectorELNS0_4arch9wavefront6targetE0EEEvT1_.private_seg_size, 0
	.set _ZN7rocprim17ROCPRIM_400000_NS6detail17trampoline_kernelINS0_14default_configENS1_27scan_by_key_config_selectorIj11FixedVectorIiLj2EEEEZZNS1_16scan_by_key_implILNS1_25lookback_scan_determinismE0ELb0ES3_N6thrust23THRUST_200600_302600_NS6detail15normal_iteratorINSB_10device_ptrIjEEEENSD_INSE_IS6_EEEESI_S6_NSB_4plusIvEENSB_8equal_toIvEES6_EE10hipError_tPvRmT2_T3_T4_T5_mT6_T7_P12ihipStream_tbENKUlT_T0_E_clISt17integral_constantIbLb0EES12_IbLb1EEEEDaSY_SZ_EUlSY_E_NS1_11comp_targetILNS1_3genE0ELNS1_11target_archE4294967295ELNS1_3gpuE0ELNS1_3repE0EEENS1_30default_config_static_selectorELNS0_4arch9wavefront6targetE0EEEvT1_.uses_vcc, 1
	.set _ZN7rocprim17ROCPRIM_400000_NS6detail17trampoline_kernelINS0_14default_configENS1_27scan_by_key_config_selectorIj11FixedVectorIiLj2EEEEZZNS1_16scan_by_key_implILNS1_25lookback_scan_determinismE0ELb0ES3_N6thrust23THRUST_200600_302600_NS6detail15normal_iteratorINSB_10device_ptrIjEEEENSD_INSE_IS6_EEEESI_S6_NSB_4plusIvEENSB_8equal_toIvEES6_EE10hipError_tPvRmT2_T3_T4_T5_mT6_T7_P12ihipStream_tbENKUlT_T0_E_clISt17integral_constantIbLb0EES12_IbLb1EEEEDaSY_SZ_EUlSY_E_NS1_11comp_targetILNS1_3genE0ELNS1_11target_archE4294967295ELNS1_3gpuE0ELNS1_3repE0EEENS1_30default_config_static_selectorELNS0_4arch9wavefront6targetE0EEEvT1_.uses_flat_scratch, 1
	.set _ZN7rocprim17ROCPRIM_400000_NS6detail17trampoline_kernelINS0_14default_configENS1_27scan_by_key_config_selectorIj11FixedVectorIiLj2EEEEZZNS1_16scan_by_key_implILNS1_25lookback_scan_determinismE0ELb0ES3_N6thrust23THRUST_200600_302600_NS6detail15normal_iteratorINSB_10device_ptrIjEEEENSD_INSE_IS6_EEEESI_S6_NSB_4plusIvEENSB_8equal_toIvEES6_EE10hipError_tPvRmT2_T3_T4_T5_mT6_T7_P12ihipStream_tbENKUlT_T0_E_clISt17integral_constantIbLb0EES12_IbLb1EEEEDaSY_SZ_EUlSY_E_NS1_11comp_targetILNS1_3genE0ELNS1_11target_archE4294967295ELNS1_3gpuE0ELNS1_3repE0EEENS1_30default_config_static_selectorELNS0_4arch9wavefront6targetE0EEEvT1_.has_dyn_sized_stack, 0
	.set _ZN7rocprim17ROCPRIM_400000_NS6detail17trampoline_kernelINS0_14default_configENS1_27scan_by_key_config_selectorIj11FixedVectorIiLj2EEEEZZNS1_16scan_by_key_implILNS1_25lookback_scan_determinismE0ELb0ES3_N6thrust23THRUST_200600_302600_NS6detail15normal_iteratorINSB_10device_ptrIjEEEENSD_INSE_IS6_EEEESI_S6_NSB_4plusIvEENSB_8equal_toIvEES6_EE10hipError_tPvRmT2_T3_T4_T5_mT6_T7_P12ihipStream_tbENKUlT_T0_E_clISt17integral_constantIbLb0EES12_IbLb1EEEEDaSY_SZ_EUlSY_E_NS1_11comp_targetILNS1_3genE0ELNS1_11target_archE4294967295ELNS1_3gpuE0ELNS1_3repE0EEENS1_30default_config_static_selectorELNS0_4arch9wavefront6targetE0EEEvT1_.has_recursion, 0
	.set _ZN7rocprim17ROCPRIM_400000_NS6detail17trampoline_kernelINS0_14default_configENS1_27scan_by_key_config_selectorIj11FixedVectorIiLj2EEEEZZNS1_16scan_by_key_implILNS1_25lookback_scan_determinismE0ELb0ES3_N6thrust23THRUST_200600_302600_NS6detail15normal_iteratorINSB_10device_ptrIjEEEENSD_INSE_IS6_EEEESI_S6_NSB_4plusIvEENSB_8equal_toIvEES6_EE10hipError_tPvRmT2_T3_T4_T5_mT6_T7_P12ihipStream_tbENKUlT_T0_E_clISt17integral_constantIbLb0EES12_IbLb1EEEEDaSY_SZ_EUlSY_E_NS1_11comp_targetILNS1_3genE0ELNS1_11target_archE4294967295ELNS1_3gpuE0ELNS1_3repE0EEENS1_30default_config_static_selectorELNS0_4arch9wavefront6targetE0EEEvT1_.has_indirect_call, 0
	.section	.AMDGPU.csdata,"",@progbits
; Kernel info:
; codeLenInByte = 11892
; TotalNumSgprs: 51
; NumVgprs: 74
; ScratchSize: 0
; MemoryBound: 0
; FloatMode: 240
; IeeeMode: 1
; LDSByteSize: 10240 bytes/workgroup (compile time only)
; SGPRBlocks: 0
; VGPRBlocks: 4
; NumSGPRsForWavesPerEU: 51
; NumVGPRsForWavesPerEU: 74
; NamedBarCnt: 0
; Occupancy: 12
; WaveLimiterHint : 1
; COMPUTE_PGM_RSRC2:SCRATCH_EN: 0
; COMPUTE_PGM_RSRC2:USER_SGPR: 2
; COMPUTE_PGM_RSRC2:TRAP_HANDLER: 0
; COMPUTE_PGM_RSRC2:TGID_X_EN: 1
; COMPUTE_PGM_RSRC2:TGID_Y_EN: 0
; COMPUTE_PGM_RSRC2:TGID_Z_EN: 0
; COMPUTE_PGM_RSRC2:TIDIG_COMP_CNT: 0
	.section	.text._ZN7rocprim17ROCPRIM_400000_NS6detail17trampoline_kernelINS0_14default_configENS1_27scan_by_key_config_selectorIj11FixedVectorIiLj2EEEEZZNS1_16scan_by_key_implILNS1_25lookback_scan_determinismE0ELb0ES3_N6thrust23THRUST_200600_302600_NS6detail15normal_iteratorINSB_10device_ptrIjEEEENSD_INSE_IS6_EEEESI_S6_NSB_4plusIvEENSB_8equal_toIvEES6_EE10hipError_tPvRmT2_T3_T4_T5_mT6_T7_P12ihipStream_tbENKUlT_T0_E_clISt17integral_constantIbLb0EES12_IbLb1EEEEDaSY_SZ_EUlSY_E_NS1_11comp_targetILNS1_3genE10ELNS1_11target_archE1201ELNS1_3gpuE5ELNS1_3repE0EEENS1_30default_config_static_selectorELNS0_4arch9wavefront6targetE0EEEvT1_,"axG",@progbits,_ZN7rocprim17ROCPRIM_400000_NS6detail17trampoline_kernelINS0_14default_configENS1_27scan_by_key_config_selectorIj11FixedVectorIiLj2EEEEZZNS1_16scan_by_key_implILNS1_25lookback_scan_determinismE0ELb0ES3_N6thrust23THRUST_200600_302600_NS6detail15normal_iteratorINSB_10device_ptrIjEEEENSD_INSE_IS6_EEEESI_S6_NSB_4plusIvEENSB_8equal_toIvEES6_EE10hipError_tPvRmT2_T3_T4_T5_mT6_T7_P12ihipStream_tbENKUlT_T0_E_clISt17integral_constantIbLb0EES12_IbLb1EEEEDaSY_SZ_EUlSY_E_NS1_11comp_targetILNS1_3genE10ELNS1_11target_archE1201ELNS1_3gpuE5ELNS1_3repE0EEENS1_30default_config_static_selectorELNS0_4arch9wavefront6targetE0EEEvT1_,comdat
	.protected	_ZN7rocprim17ROCPRIM_400000_NS6detail17trampoline_kernelINS0_14default_configENS1_27scan_by_key_config_selectorIj11FixedVectorIiLj2EEEEZZNS1_16scan_by_key_implILNS1_25lookback_scan_determinismE0ELb0ES3_N6thrust23THRUST_200600_302600_NS6detail15normal_iteratorINSB_10device_ptrIjEEEENSD_INSE_IS6_EEEESI_S6_NSB_4plusIvEENSB_8equal_toIvEES6_EE10hipError_tPvRmT2_T3_T4_T5_mT6_T7_P12ihipStream_tbENKUlT_T0_E_clISt17integral_constantIbLb0EES12_IbLb1EEEEDaSY_SZ_EUlSY_E_NS1_11comp_targetILNS1_3genE10ELNS1_11target_archE1201ELNS1_3gpuE5ELNS1_3repE0EEENS1_30default_config_static_selectorELNS0_4arch9wavefront6targetE0EEEvT1_ ; -- Begin function _ZN7rocprim17ROCPRIM_400000_NS6detail17trampoline_kernelINS0_14default_configENS1_27scan_by_key_config_selectorIj11FixedVectorIiLj2EEEEZZNS1_16scan_by_key_implILNS1_25lookback_scan_determinismE0ELb0ES3_N6thrust23THRUST_200600_302600_NS6detail15normal_iteratorINSB_10device_ptrIjEEEENSD_INSE_IS6_EEEESI_S6_NSB_4plusIvEENSB_8equal_toIvEES6_EE10hipError_tPvRmT2_T3_T4_T5_mT6_T7_P12ihipStream_tbENKUlT_T0_E_clISt17integral_constantIbLb0EES12_IbLb1EEEEDaSY_SZ_EUlSY_E_NS1_11comp_targetILNS1_3genE10ELNS1_11target_archE1201ELNS1_3gpuE5ELNS1_3repE0EEENS1_30default_config_static_selectorELNS0_4arch9wavefront6targetE0EEEvT1_
	.globl	_ZN7rocprim17ROCPRIM_400000_NS6detail17trampoline_kernelINS0_14default_configENS1_27scan_by_key_config_selectorIj11FixedVectorIiLj2EEEEZZNS1_16scan_by_key_implILNS1_25lookback_scan_determinismE0ELb0ES3_N6thrust23THRUST_200600_302600_NS6detail15normal_iteratorINSB_10device_ptrIjEEEENSD_INSE_IS6_EEEESI_S6_NSB_4plusIvEENSB_8equal_toIvEES6_EE10hipError_tPvRmT2_T3_T4_T5_mT6_T7_P12ihipStream_tbENKUlT_T0_E_clISt17integral_constantIbLb0EES12_IbLb1EEEEDaSY_SZ_EUlSY_E_NS1_11comp_targetILNS1_3genE10ELNS1_11target_archE1201ELNS1_3gpuE5ELNS1_3repE0EEENS1_30default_config_static_selectorELNS0_4arch9wavefront6targetE0EEEvT1_
	.p2align	8
	.type	_ZN7rocprim17ROCPRIM_400000_NS6detail17trampoline_kernelINS0_14default_configENS1_27scan_by_key_config_selectorIj11FixedVectorIiLj2EEEEZZNS1_16scan_by_key_implILNS1_25lookback_scan_determinismE0ELb0ES3_N6thrust23THRUST_200600_302600_NS6detail15normal_iteratorINSB_10device_ptrIjEEEENSD_INSE_IS6_EEEESI_S6_NSB_4plusIvEENSB_8equal_toIvEES6_EE10hipError_tPvRmT2_T3_T4_T5_mT6_T7_P12ihipStream_tbENKUlT_T0_E_clISt17integral_constantIbLb0EES12_IbLb1EEEEDaSY_SZ_EUlSY_E_NS1_11comp_targetILNS1_3genE10ELNS1_11target_archE1201ELNS1_3gpuE5ELNS1_3repE0EEENS1_30default_config_static_selectorELNS0_4arch9wavefront6targetE0EEEvT1_,@function
_ZN7rocprim17ROCPRIM_400000_NS6detail17trampoline_kernelINS0_14default_configENS1_27scan_by_key_config_selectorIj11FixedVectorIiLj2EEEEZZNS1_16scan_by_key_implILNS1_25lookback_scan_determinismE0ELb0ES3_N6thrust23THRUST_200600_302600_NS6detail15normal_iteratorINSB_10device_ptrIjEEEENSD_INSE_IS6_EEEESI_S6_NSB_4plusIvEENSB_8equal_toIvEES6_EE10hipError_tPvRmT2_T3_T4_T5_mT6_T7_P12ihipStream_tbENKUlT_T0_E_clISt17integral_constantIbLb0EES12_IbLb1EEEEDaSY_SZ_EUlSY_E_NS1_11comp_targetILNS1_3genE10ELNS1_11target_archE1201ELNS1_3gpuE5ELNS1_3repE0EEENS1_30default_config_static_selectorELNS0_4arch9wavefront6targetE0EEEvT1_: ; @_ZN7rocprim17ROCPRIM_400000_NS6detail17trampoline_kernelINS0_14default_configENS1_27scan_by_key_config_selectorIj11FixedVectorIiLj2EEEEZZNS1_16scan_by_key_implILNS1_25lookback_scan_determinismE0ELb0ES3_N6thrust23THRUST_200600_302600_NS6detail15normal_iteratorINSB_10device_ptrIjEEEENSD_INSE_IS6_EEEESI_S6_NSB_4plusIvEENSB_8equal_toIvEES6_EE10hipError_tPvRmT2_T3_T4_T5_mT6_T7_P12ihipStream_tbENKUlT_T0_E_clISt17integral_constantIbLb0EES12_IbLb1EEEEDaSY_SZ_EUlSY_E_NS1_11comp_targetILNS1_3genE10ELNS1_11target_archE1201ELNS1_3gpuE5ELNS1_3repE0EEENS1_30default_config_static_selectorELNS0_4arch9wavefront6targetE0EEEvT1_
; %bb.0:
	.section	.rodata,"a",@progbits
	.p2align	6, 0x0
	.amdhsa_kernel _ZN7rocprim17ROCPRIM_400000_NS6detail17trampoline_kernelINS0_14default_configENS1_27scan_by_key_config_selectorIj11FixedVectorIiLj2EEEEZZNS1_16scan_by_key_implILNS1_25lookback_scan_determinismE0ELb0ES3_N6thrust23THRUST_200600_302600_NS6detail15normal_iteratorINSB_10device_ptrIjEEEENSD_INSE_IS6_EEEESI_S6_NSB_4plusIvEENSB_8equal_toIvEES6_EE10hipError_tPvRmT2_T3_T4_T5_mT6_T7_P12ihipStream_tbENKUlT_T0_E_clISt17integral_constantIbLb0EES12_IbLb1EEEEDaSY_SZ_EUlSY_E_NS1_11comp_targetILNS1_3genE10ELNS1_11target_archE1201ELNS1_3gpuE5ELNS1_3repE0EEENS1_30default_config_static_selectorELNS0_4arch9wavefront6targetE0EEEvT1_
		.amdhsa_group_segment_fixed_size 0
		.amdhsa_private_segment_fixed_size 0
		.amdhsa_kernarg_size 120
		.amdhsa_user_sgpr_count 2
		.amdhsa_user_sgpr_dispatch_ptr 0
		.amdhsa_user_sgpr_queue_ptr 0
		.amdhsa_user_sgpr_kernarg_segment_ptr 1
		.amdhsa_user_sgpr_dispatch_id 0
		.amdhsa_user_sgpr_kernarg_preload_length 0
		.amdhsa_user_sgpr_kernarg_preload_offset 0
		.amdhsa_user_sgpr_private_segment_size 0
		.amdhsa_wavefront_size32 1
		.amdhsa_uses_dynamic_stack 0
		.amdhsa_enable_private_segment 0
		.amdhsa_system_sgpr_workgroup_id_x 1
		.amdhsa_system_sgpr_workgroup_id_y 0
		.amdhsa_system_sgpr_workgroup_id_z 0
		.amdhsa_system_sgpr_workgroup_info 0
		.amdhsa_system_vgpr_workitem_id 0
		.amdhsa_next_free_vgpr 1
		.amdhsa_next_free_sgpr 1
		.amdhsa_named_barrier_count 0
		.amdhsa_reserve_vcc 0
		.amdhsa_float_round_mode_32 0
		.amdhsa_float_round_mode_16_64 0
		.amdhsa_float_denorm_mode_32 3
		.amdhsa_float_denorm_mode_16_64 3
		.amdhsa_fp16_overflow 0
		.amdhsa_memory_ordered 1
		.amdhsa_forward_progress 1
		.amdhsa_inst_pref_size 0
		.amdhsa_round_robin_scheduling 0
		.amdhsa_exception_fp_ieee_invalid_op 0
		.amdhsa_exception_fp_denorm_src 0
		.amdhsa_exception_fp_ieee_div_zero 0
		.amdhsa_exception_fp_ieee_overflow 0
		.amdhsa_exception_fp_ieee_underflow 0
		.amdhsa_exception_fp_ieee_inexact 0
		.amdhsa_exception_int_div_zero 0
	.end_amdhsa_kernel
	.section	.text._ZN7rocprim17ROCPRIM_400000_NS6detail17trampoline_kernelINS0_14default_configENS1_27scan_by_key_config_selectorIj11FixedVectorIiLj2EEEEZZNS1_16scan_by_key_implILNS1_25lookback_scan_determinismE0ELb0ES3_N6thrust23THRUST_200600_302600_NS6detail15normal_iteratorINSB_10device_ptrIjEEEENSD_INSE_IS6_EEEESI_S6_NSB_4plusIvEENSB_8equal_toIvEES6_EE10hipError_tPvRmT2_T3_T4_T5_mT6_T7_P12ihipStream_tbENKUlT_T0_E_clISt17integral_constantIbLb0EES12_IbLb1EEEEDaSY_SZ_EUlSY_E_NS1_11comp_targetILNS1_3genE10ELNS1_11target_archE1201ELNS1_3gpuE5ELNS1_3repE0EEENS1_30default_config_static_selectorELNS0_4arch9wavefront6targetE0EEEvT1_,"axG",@progbits,_ZN7rocprim17ROCPRIM_400000_NS6detail17trampoline_kernelINS0_14default_configENS1_27scan_by_key_config_selectorIj11FixedVectorIiLj2EEEEZZNS1_16scan_by_key_implILNS1_25lookback_scan_determinismE0ELb0ES3_N6thrust23THRUST_200600_302600_NS6detail15normal_iteratorINSB_10device_ptrIjEEEENSD_INSE_IS6_EEEESI_S6_NSB_4plusIvEENSB_8equal_toIvEES6_EE10hipError_tPvRmT2_T3_T4_T5_mT6_T7_P12ihipStream_tbENKUlT_T0_E_clISt17integral_constantIbLb0EES12_IbLb1EEEEDaSY_SZ_EUlSY_E_NS1_11comp_targetILNS1_3genE10ELNS1_11target_archE1201ELNS1_3gpuE5ELNS1_3repE0EEENS1_30default_config_static_selectorELNS0_4arch9wavefront6targetE0EEEvT1_,comdat
.Lfunc_end1985:
	.size	_ZN7rocprim17ROCPRIM_400000_NS6detail17trampoline_kernelINS0_14default_configENS1_27scan_by_key_config_selectorIj11FixedVectorIiLj2EEEEZZNS1_16scan_by_key_implILNS1_25lookback_scan_determinismE0ELb0ES3_N6thrust23THRUST_200600_302600_NS6detail15normal_iteratorINSB_10device_ptrIjEEEENSD_INSE_IS6_EEEESI_S6_NSB_4plusIvEENSB_8equal_toIvEES6_EE10hipError_tPvRmT2_T3_T4_T5_mT6_T7_P12ihipStream_tbENKUlT_T0_E_clISt17integral_constantIbLb0EES12_IbLb1EEEEDaSY_SZ_EUlSY_E_NS1_11comp_targetILNS1_3genE10ELNS1_11target_archE1201ELNS1_3gpuE5ELNS1_3repE0EEENS1_30default_config_static_selectorELNS0_4arch9wavefront6targetE0EEEvT1_, .Lfunc_end1985-_ZN7rocprim17ROCPRIM_400000_NS6detail17trampoline_kernelINS0_14default_configENS1_27scan_by_key_config_selectorIj11FixedVectorIiLj2EEEEZZNS1_16scan_by_key_implILNS1_25lookback_scan_determinismE0ELb0ES3_N6thrust23THRUST_200600_302600_NS6detail15normal_iteratorINSB_10device_ptrIjEEEENSD_INSE_IS6_EEEESI_S6_NSB_4plusIvEENSB_8equal_toIvEES6_EE10hipError_tPvRmT2_T3_T4_T5_mT6_T7_P12ihipStream_tbENKUlT_T0_E_clISt17integral_constantIbLb0EES12_IbLb1EEEEDaSY_SZ_EUlSY_E_NS1_11comp_targetILNS1_3genE10ELNS1_11target_archE1201ELNS1_3gpuE5ELNS1_3repE0EEENS1_30default_config_static_selectorELNS0_4arch9wavefront6targetE0EEEvT1_
                                        ; -- End function
	.set _ZN7rocprim17ROCPRIM_400000_NS6detail17trampoline_kernelINS0_14default_configENS1_27scan_by_key_config_selectorIj11FixedVectorIiLj2EEEEZZNS1_16scan_by_key_implILNS1_25lookback_scan_determinismE0ELb0ES3_N6thrust23THRUST_200600_302600_NS6detail15normal_iteratorINSB_10device_ptrIjEEEENSD_INSE_IS6_EEEESI_S6_NSB_4plusIvEENSB_8equal_toIvEES6_EE10hipError_tPvRmT2_T3_T4_T5_mT6_T7_P12ihipStream_tbENKUlT_T0_E_clISt17integral_constantIbLb0EES12_IbLb1EEEEDaSY_SZ_EUlSY_E_NS1_11comp_targetILNS1_3genE10ELNS1_11target_archE1201ELNS1_3gpuE5ELNS1_3repE0EEENS1_30default_config_static_selectorELNS0_4arch9wavefront6targetE0EEEvT1_.num_vgpr, 0
	.set _ZN7rocprim17ROCPRIM_400000_NS6detail17trampoline_kernelINS0_14default_configENS1_27scan_by_key_config_selectorIj11FixedVectorIiLj2EEEEZZNS1_16scan_by_key_implILNS1_25lookback_scan_determinismE0ELb0ES3_N6thrust23THRUST_200600_302600_NS6detail15normal_iteratorINSB_10device_ptrIjEEEENSD_INSE_IS6_EEEESI_S6_NSB_4plusIvEENSB_8equal_toIvEES6_EE10hipError_tPvRmT2_T3_T4_T5_mT6_T7_P12ihipStream_tbENKUlT_T0_E_clISt17integral_constantIbLb0EES12_IbLb1EEEEDaSY_SZ_EUlSY_E_NS1_11comp_targetILNS1_3genE10ELNS1_11target_archE1201ELNS1_3gpuE5ELNS1_3repE0EEENS1_30default_config_static_selectorELNS0_4arch9wavefront6targetE0EEEvT1_.num_agpr, 0
	.set _ZN7rocprim17ROCPRIM_400000_NS6detail17trampoline_kernelINS0_14default_configENS1_27scan_by_key_config_selectorIj11FixedVectorIiLj2EEEEZZNS1_16scan_by_key_implILNS1_25lookback_scan_determinismE0ELb0ES3_N6thrust23THRUST_200600_302600_NS6detail15normal_iteratorINSB_10device_ptrIjEEEENSD_INSE_IS6_EEEESI_S6_NSB_4plusIvEENSB_8equal_toIvEES6_EE10hipError_tPvRmT2_T3_T4_T5_mT6_T7_P12ihipStream_tbENKUlT_T0_E_clISt17integral_constantIbLb0EES12_IbLb1EEEEDaSY_SZ_EUlSY_E_NS1_11comp_targetILNS1_3genE10ELNS1_11target_archE1201ELNS1_3gpuE5ELNS1_3repE0EEENS1_30default_config_static_selectorELNS0_4arch9wavefront6targetE0EEEvT1_.numbered_sgpr, 0
	.set _ZN7rocprim17ROCPRIM_400000_NS6detail17trampoline_kernelINS0_14default_configENS1_27scan_by_key_config_selectorIj11FixedVectorIiLj2EEEEZZNS1_16scan_by_key_implILNS1_25lookback_scan_determinismE0ELb0ES3_N6thrust23THRUST_200600_302600_NS6detail15normal_iteratorINSB_10device_ptrIjEEEENSD_INSE_IS6_EEEESI_S6_NSB_4plusIvEENSB_8equal_toIvEES6_EE10hipError_tPvRmT2_T3_T4_T5_mT6_T7_P12ihipStream_tbENKUlT_T0_E_clISt17integral_constantIbLb0EES12_IbLb1EEEEDaSY_SZ_EUlSY_E_NS1_11comp_targetILNS1_3genE10ELNS1_11target_archE1201ELNS1_3gpuE5ELNS1_3repE0EEENS1_30default_config_static_selectorELNS0_4arch9wavefront6targetE0EEEvT1_.num_named_barrier, 0
	.set _ZN7rocprim17ROCPRIM_400000_NS6detail17trampoline_kernelINS0_14default_configENS1_27scan_by_key_config_selectorIj11FixedVectorIiLj2EEEEZZNS1_16scan_by_key_implILNS1_25lookback_scan_determinismE0ELb0ES3_N6thrust23THRUST_200600_302600_NS6detail15normal_iteratorINSB_10device_ptrIjEEEENSD_INSE_IS6_EEEESI_S6_NSB_4plusIvEENSB_8equal_toIvEES6_EE10hipError_tPvRmT2_T3_T4_T5_mT6_T7_P12ihipStream_tbENKUlT_T0_E_clISt17integral_constantIbLb0EES12_IbLb1EEEEDaSY_SZ_EUlSY_E_NS1_11comp_targetILNS1_3genE10ELNS1_11target_archE1201ELNS1_3gpuE5ELNS1_3repE0EEENS1_30default_config_static_selectorELNS0_4arch9wavefront6targetE0EEEvT1_.private_seg_size, 0
	.set _ZN7rocprim17ROCPRIM_400000_NS6detail17trampoline_kernelINS0_14default_configENS1_27scan_by_key_config_selectorIj11FixedVectorIiLj2EEEEZZNS1_16scan_by_key_implILNS1_25lookback_scan_determinismE0ELb0ES3_N6thrust23THRUST_200600_302600_NS6detail15normal_iteratorINSB_10device_ptrIjEEEENSD_INSE_IS6_EEEESI_S6_NSB_4plusIvEENSB_8equal_toIvEES6_EE10hipError_tPvRmT2_T3_T4_T5_mT6_T7_P12ihipStream_tbENKUlT_T0_E_clISt17integral_constantIbLb0EES12_IbLb1EEEEDaSY_SZ_EUlSY_E_NS1_11comp_targetILNS1_3genE10ELNS1_11target_archE1201ELNS1_3gpuE5ELNS1_3repE0EEENS1_30default_config_static_selectorELNS0_4arch9wavefront6targetE0EEEvT1_.uses_vcc, 0
	.set _ZN7rocprim17ROCPRIM_400000_NS6detail17trampoline_kernelINS0_14default_configENS1_27scan_by_key_config_selectorIj11FixedVectorIiLj2EEEEZZNS1_16scan_by_key_implILNS1_25lookback_scan_determinismE0ELb0ES3_N6thrust23THRUST_200600_302600_NS6detail15normal_iteratorINSB_10device_ptrIjEEEENSD_INSE_IS6_EEEESI_S6_NSB_4plusIvEENSB_8equal_toIvEES6_EE10hipError_tPvRmT2_T3_T4_T5_mT6_T7_P12ihipStream_tbENKUlT_T0_E_clISt17integral_constantIbLb0EES12_IbLb1EEEEDaSY_SZ_EUlSY_E_NS1_11comp_targetILNS1_3genE10ELNS1_11target_archE1201ELNS1_3gpuE5ELNS1_3repE0EEENS1_30default_config_static_selectorELNS0_4arch9wavefront6targetE0EEEvT1_.uses_flat_scratch, 0
	.set _ZN7rocprim17ROCPRIM_400000_NS6detail17trampoline_kernelINS0_14default_configENS1_27scan_by_key_config_selectorIj11FixedVectorIiLj2EEEEZZNS1_16scan_by_key_implILNS1_25lookback_scan_determinismE0ELb0ES3_N6thrust23THRUST_200600_302600_NS6detail15normal_iteratorINSB_10device_ptrIjEEEENSD_INSE_IS6_EEEESI_S6_NSB_4plusIvEENSB_8equal_toIvEES6_EE10hipError_tPvRmT2_T3_T4_T5_mT6_T7_P12ihipStream_tbENKUlT_T0_E_clISt17integral_constantIbLb0EES12_IbLb1EEEEDaSY_SZ_EUlSY_E_NS1_11comp_targetILNS1_3genE10ELNS1_11target_archE1201ELNS1_3gpuE5ELNS1_3repE0EEENS1_30default_config_static_selectorELNS0_4arch9wavefront6targetE0EEEvT1_.has_dyn_sized_stack, 0
	.set _ZN7rocprim17ROCPRIM_400000_NS6detail17trampoline_kernelINS0_14default_configENS1_27scan_by_key_config_selectorIj11FixedVectorIiLj2EEEEZZNS1_16scan_by_key_implILNS1_25lookback_scan_determinismE0ELb0ES3_N6thrust23THRUST_200600_302600_NS6detail15normal_iteratorINSB_10device_ptrIjEEEENSD_INSE_IS6_EEEESI_S6_NSB_4plusIvEENSB_8equal_toIvEES6_EE10hipError_tPvRmT2_T3_T4_T5_mT6_T7_P12ihipStream_tbENKUlT_T0_E_clISt17integral_constantIbLb0EES12_IbLb1EEEEDaSY_SZ_EUlSY_E_NS1_11comp_targetILNS1_3genE10ELNS1_11target_archE1201ELNS1_3gpuE5ELNS1_3repE0EEENS1_30default_config_static_selectorELNS0_4arch9wavefront6targetE0EEEvT1_.has_recursion, 0
	.set _ZN7rocprim17ROCPRIM_400000_NS6detail17trampoline_kernelINS0_14default_configENS1_27scan_by_key_config_selectorIj11FixedVectorIiLj2EEEEZZNS1_16scan_by_key_implILNS1_25lookback_scan_determinismE0ELb0ES3_N6thrust23THRUST_200600_302600_NS6detail15normal_iteratorINSB_10device_ptrIjEEEENSD_INSE_IS6_EEEESI_S6_NSB_4plusIvEENSB_8equal_toIvEES6_EE10hipError_tPvRmT2_T3_T4_T5_mT6_T7_P12ihipStream_tbENKUlT_T0_E_clISt17integral_constantIbLb0EES12_IbLb1EEEEDaSY_SZ_EUlSY_E_NS1_11comp_targetILNS1_3genE10ELNS1_11target_archE1201ELNS1_3gpuE5ELNS1_3repE0EEENS1_30default_config_static_selectorELNS0_4arch9wavefront6targetE0EEEvT1_.has_indirect_call, 0
	.section	.AMDGPU.csdata,"",@progbits
; Kernel info:
; codeLenInByte = 0
; TotalNumSgprs: 0
; NumVgprs: 0
; ScratchSize: 0
; MemoryBound: 0
; FloatMode: 240
; IeeeMode: 1
; LDSByteSize: 0 bytes/workgroup (compile time only)
; SGPRBlocks: 0
; VGPRBlocks: 0
; NumSGPRsForWavesPerEU: 1
; NumVGPRsForWavesPerEU: 1
; NamedBarCnt: 0
; Occupancy: 16
; WaveLimiterHint : 0
; COMPUTE_PGM_RSRC2:SCRATCH_EN: 0
; COMPUTE_PGM_RSRC2:USER_SGPR: 2
; COMPUTE_PGM_RSRC2:TRAP_HANDLER: 0
; COMPUTE_PGM_RSRC2:TGID_X_EN: 1
; COMPUTE_PGM_RSRC2:TGID_Y_EN: 0
; COMPUTE_PGM_RSRC2:TGID_Z_EN: 0
; COMPUTE_PGM_RSRC2:TIDIG_COMP_CNT: 0
	.section	.text._ZN7rocprim17ROCPRIM_400000_NS6detail17trampoline_kernelINS0_14default_configENS1_27scan_by_key_config_selectorIj11FixedVectorIiLj2EEEEZZNS1_16scan_by_key_implILNS1_25lookback_scan_determinismE0ELb0ES3_N6thrust23THRUST_200600_302600_NS6detail15normal_iteratorINSB_10device_ptrIjEEEENSD_INSE_IS6_EEEESI_S6_NSB_4plusIvEENSB_8equal_toIvEES6_EE10hipError_tPvRmT2_T3_T4_T5_mT6_T7_P12ihipStream_tbENKUlT_T0_E_clISt17integral_constantIbLb0EES12_IbLb1EEEEDaSY_SZ_EUlSY_E_NS1_11comp_targetILNS1_3genE5ELNS1_11target_archE942ELNS1_3gpuE9ELNS1_3repE0EEENS1_30default_config_static_selectorELNS0_4arch9wavefront6targetE0EEEvT1_,"axG",@progbits,_ZN7rocprim17ROCPRIM_400000_NS6detail17trampoline_kernelINS0_14default_configENS1_27scan_by_key_config_selectorIj11FixedVectorIiLj2EEEEZZNS1_16scan_by_key_implILNS1_25lookback_scan_determinismE0ELb0ES3_N6thrust23THRUST_200600_302600_NS6detail15normal_iteratorINSB_10device_ptrIjEEEENSD_INSE_IS6_EEEESI_S6_NSB_4plusIvEENSB_8equal_toIvEES6_EE10hipError_tPvRmT2_T3_T4_T5_mT6_T7_P12ihipStream_tbENKUlT_T0_E_clISt17integral_constantIbLb0EES12_IbLb1EEEEDaSY_SZ_EUlSY_E_NS1_11comp_targetILNS1_3genE5ELNS1_11target_archE942ELNS1_3gpuE9ELNS1_3repE0EEENS1_30default_config_static_selectorELNS0_4arch9wavefront6targetE0EEEvT1_,comdat
	.protected	_ZN7rocprim17ROCPRIM_400000_NS6detail17trampoline_kernelINS0_14default_configENS1_27scan_by_key_config_selectorIj11FixedVectorIiLj2EEEEZZNS1_16scan_by_key_implILNS1_25lookback_scan_determinismE0ELb0ES3_N6thrust23THRUST_200600_302600_NS6detail15normal_iteratorINSB_10device_ptrIjEEEENSD_INSE_IS6_EEEESI_S6_NSB_4plusIvEENSB_8equal_toIvEES6_EE10hipError_tPvRmT2_T3_T4_T5_mT6_T7_P12ihipStream_tbENKUlT_T0_E_clISt17integral_constantIbLb0EES12_IbLb1EEEEDaSY_SZ_EUlSY_E_NS1_11comp_targetILNS1_3genE5ELNS1_11target_archE942ELNS1_3gpuE9ELNS1_3repE0EEENS1_30default_config_static_selectorELNS0_4arch9wavefront6targetE0EEEvT1_ ; -- Begin function _ZN7rocprim17ROCPRIM_400000_NS6detail17trampoline_kernelINS0_14default_configENS1_27scan_by_key_config_selectorIj11FixedVectorIiLj2EEEEZZNS1_16scan_by_key_implILNS1_25lookback_scan_determinismE0ELb0ES3_N6thrust23THRUST_200600_302600_NS6detail15normal_iteratorINSB_10device_ptrIjEEEENSD_INSE_IS6_EEEESI_S6_NSB_4plusIvEENSB_8equal_toIvEES6_EE10hipError_tPvRmT2_T3_T4_T5_mT6_T7_P12ihipStream_tbENKUlT_T0_E_clISt17integral_constantIbLb0EES12_IbLb1EEEEDaSY_SZ_EUlSY_E_NS1_11comp_targetILNS1_3genE5ELNS1_11target_archE942ELNS1_3gpuE9ELNS1_3repE0EEENS1_30default_config_static_selectorELNS0_4arch9wavefront6targetE0EEEvT1_
	.globl	_ZN7rocprim17ROCPRIM_400000_NS6detail17trampoline_kernelINS0_14default_configENS1_27scan_by_key_config_selectorIj11FixedVectorIiLj2EEEEZZNS1_16scan_by_key_implILNS1_25lookback_scan_determinismE0ELb0ES3_N6thrust23THRUST_200600_302600_NS6detail15normal_iteratorINSB_10device_ptrIjEEEENSD_INSE_IS6_EEEESI_S6_NSB_4plusIvEENSB_8equal_toIvEES6_EE10hipError_tPvRmT2_T3_T4_T5_mT6_T7_P12ihipStream_tbENKUlT_T0_E_clISt17integral_constantIbLb0EES12_IbLb1EEEEDaSY_SZ_EUlSY_E_NS1_11comp_targetILNS1_3genE5ELNS1_11target_archE942ELNS1_3gpuE9ELNS1_3repE0EEENS1_30default_config_static_selectorELNS0_4arch9wavefront6targetE0EEEvT1_
	.p2align	8
	.type	_ZN7rocprim17ROCPRIM_400000_NS6detail17trampoline_kernelINS0_14default_configENS1_27scan_by_key_config_selectorIj11FixedVectorIiLj2EEEEZZNS1_16scan_by_key_implILNS1_25lookback_scan_determinismE0ELb0ES3_N6thrust23THRUST_200600_302600_NS6detail15normal_iteratorINSB_10device_ptrIjEEEENSD_INSE_IS6_EEEESI_S6_NSB_4plusIvEENSB_8equal_toIvEES6_EE10hipError_tPvRmT2_T3_T4_T5_mT6_T7_P12ihipStream_tbENKUlT_T0_E_clISt17integral_constantIbLb0EES12_IbLb1EEEEDaSY_SZ_EUlSY_E_NS1_11comp_targetILNS1_3genE5ELNS1_11target_archE942ELNS1_3gpuE9ELNS1_3repE0EEENS1_30default_config_static_selectorELNS0_4arch9wavefront6targetE0EEEvT1_,@function
_ZN7rocprim17ROCPRIM_400000_NS6detail17trampoline_kernelINS0_14default_configENS1_27scan_by_key_config_selectorIj11FixedVectorIiLj2EEEEZZNS1_16scan_by_key_implILNS1_25lookback_scan_determinismE0ELb0ES3_N6thrust23THRUST_200600_302600_NS6detail15normal_iteratorINSB_10device_ptrIjEEEENSD_INSE_IS6_EEEESI_S6_NSB_4plusIvEENSB_8equal_toIvEES6_EE10hipError_tPvRmT2_T3_T4_T5_mT6_T7_P12ihipStream_tbENKUlT_T0_E_clISt17integral_constantIbLb0EES12_IbLb1EEEEDaSY_SZ_EUlSY_E_NS1_11comp_targetILNS1_3genE5ELNS1_11target_archE942ELNS1_3gpuE9ELNS1_3repE0EEENS1_30default_config_static_selectorELNS0_4arch9wavefront6targetE0EEEvT1_: ; @_ZN7rocprim17ROCPRIM_400000_NS6detail17trampoline_kernelINS0_14default_configENS1_27scan_by_key_config_selectorIj11FixedVectorIiLj2EEEEZZNS1_16scan_by_key_implILNS1_25lookback_scan_determinismE0ELb0ES3_N6thrust23THRUST_200600_302600_NS6detail15normal_iteratorINSB_10device_ptrIjEEEENSD_INSE_IS6_EEEESI_S6_NSB_4plusIvEENSB_8equal_toIvEES6_EE10hipError_tPvRmT2_T3_T4_T5_mT6_T7_P12ihipStream_tbENKUlT_T0_E_clISt17integral_constantIbLb0EES12_IbLb1EEEEDaSY_SZ_EUlSY_E_NS1_11comp_targetILNS1_3genE5ELNS1_11target_archE942ELNS1_3gpuE9ELNS1_3repE0EEENS1_30default_config_static_selectorELNS0_4arch9wavefront6targetE0EEEvT1_
; %bb.0:
	.section	.rodata,"a",@progbits
	.p2align	6, 0x0
	.amdhsa_kernel _ZN7rocprim17ROCPRIM_400000_NS6detail17trampoline_kernelINS0_14default_configENS1_27scan_by_key_config_selectorIj11FixedVectorIiLj2EEEEZZNS1_16scan_by_key_implILNS1_25lookback_scan_determinismE0ELb0ES3_N6thrust23THRUST_200600_302600_NS6detail15normal_iteratorINSB_10device_ptrIjEEEENSD_INSE_IS6_EEEESI_S6_NSB_4plusIvEENSB_8equal_toIvEES6_EE10hipError_tPvRmT2_T3_T4_T5_mT6_T7_P12ihipStream_tbENKUlT_T0_E_clISt17integral_constantIbLb0EES12_IbLb1EEEEDaSY_SZ_EUlSY_E_NS1_11comp_targetILNS1_3genE5ELNS1_11target_archE942ELNS1_3gpuE9ELNS1_3repE0EEENS1_30default_config_static_selectorELNS0_4arch9wavefront6targetE0EEEvT1_
		.amdhsa_group_segment_fixed_size 0
		.amdhsa_private_segment_fixed_size 0
		.amdhsa_kernarg_size 120
		.amdhsa_user_sgpr_count 2
		.amdhsa_user_sgpr_dispatch_ptr 0
		.amdhsa_user_sgpr_queue_ptr 0
		.amdhsa_user_sgpr_kernarg_segment_ptr 1
		.amdhsa_user_sgpr_dispatch_id 0
		.amdhsa_user_sgpr_kernarg_preload_length 0
		.amdhsa_user_sgpr_kernarg_preload_offset 0
		.amdhsa_user_sgpr_private_segment_size 0
		.amdhsa_wavefront_size32 1
		.amdhsa_uses_dynamic_stack 0
		.amdhsa_enable_private_segment 0
		.amdhsa_system_sgpr_workgroup_id_x 1
		.amdhsa_system_sgpr_workgroup_id_y 0
		.amdhsa_system_sgpr_workgroup_id_z 0
		.amdhsa_system_sgpr_workgroup_info 0
		.amdhsa_system_vgpr_workitem_id 0
		.amdhsa_next_free_vgpr 1
		.amdhsa_next_free_sgpr 1
		.amdhsa_named_barrier_count 0
		.amdhsa_reserve_vcc 0
		.amdhsa_float_round_mode_32 0
		.amdhsa_float_round_mode_16_64 0
		.amdhsa_float_denorm_mode_32 3
		.amdhsa_float_denorm_mode_16_64 3
		.amdhsa_fp16_overflow 0
		.amdhsa_memory_ordered 1
		.amdhsa_forward_progress 1
		.amdhsa_inst_pref_size 0
		.amdhsa_round_robin_scheduling 0
		.amdhsa_exception_fp_ieee_invalid_op 0
		.amdhsa_exception_fp_denorm_src 0
		.amdhsa_exception_fp_ieee_div_zero 0
		.amdhsa_exception_fp_ieee_overflow 0
		.amdhsa_exception_fp_ieee_underflow 0
		.amdhsa_exception_fp_ieee_inexact 0
		.amdhsa_exception_int_div_zero 0
	.end_amdhsa_kernel
	.section	.text._ZN7rocprim17ROCPRIM_400000_NS6detail17trampoline_kernelINS0_14default_configENS1_27scan_by_key_config_selectorIj11FixedVectorIiLj2EEEEZZNS1_16scan_by_key_implILNS1_25lookback_scan_determinismE0ELb0ES3_N6thrust23THRUST_200600_302600_NS6detail15normal_iteratorINSB_10device_ptrIjEEEENSD_INSE_IS6_EEEESI_S6_NSB_4plusIvEENSB_8equal_toIvEES6_EE10hipError_tPvRmT2_T3_T4_T5_mT6_T7_P12ihipStream_tbENKUlT_T0_E_clISt17integral_constantIbLb0EES12_IbLb1EEEEDaSY_SZ_EUlSY_E_NS1_11comp_targetILNS1_3genE5ELNS1_11target_archE942ELNS1_3gpuE9ELNS1_3repE0EEENS1_30default_config_static_selectorELNS0_4arch9wavefront6targetE0EEEvT1_,"axG",@progbits,_ZN7rocprim17ROCPRIM_400000_NS6detail17trampoline_kernelINS0_14default_configENS1_27scan_by_key_config_selectorIj11FixedVectorIiLj2EEEEZZNS1_16scan_by_key_implILNS1_25lookback_scan_determinismE0ELb0ES3_N6thrust23THRUST_200600_302600_NS6detail15normal_iteratorINSB_10device_ptrIjEEEENSD_INSE_IS6_EEEESI_S6_NSB_4plusIvEENSB_8equal_toIvEES6_EE10hipError_tPvRmT2_T3_T4_T5_mT6_T7_P12ihipStream_tbENKUlT_T0_E_clISt17integral_constantIbLb0EES12_IbLb1EEEEDaSY_SZ_EUlSY_E_NS1_11comp_targetILNS1_3genE5ELNS1_11target_archE942ELNS1_3gpuE9ELNS1_3repE0EEENS1_30default_config_static_selectorELNS0_4arch9wavefront6targetE0EEEvT1_,comdat
.Lfunc_end1986:
	.size	_ZN7rocprim17ROCPRIM_400000_NS6detail17trampoline_kernelINS0_14default_configENS1_27scan_by_key_config_selectorIj11FixedVectorIiLj2EEEEZZNS1_16scan_by_key_implILNS1_25lookback_scan_determinismE0ELb0ES3_N6thrust23THRUST_200600_302600_NS6detail15normal_iteratorINSB_10device_ptrIjEEEENSD_INSE_IS6_EEEESI_S6_NSB_4plusIvEENSB_8equal_toIvEES6_EE10hipError_tPvRmT2_T3_T4_T5_mT6_T7_P12ihipStream_tbENKUlT_T0_E_clISt17integral_constantIbLb0EES12_IbLb1EEEEDaSY_SZ_EUlSY_E_NS1_11comp_targetILNS1_3genE5ELNS1_11target_archE942ELNS1_3gpuE9ELNS1_3repE0EEENS1_30default_config_static_selectorELNS0_4arch9wavefront6targetE0EEEvT1_, .Lfunc_end1986-_ZN7rocprim17ROCPRIM_400000_NS6detail17trampoline_kernelINS0_14default_configENS1_27scan_by_key_config_selectorIj11FixedVectorIiLj2EEEEZZNS1_16scan_by_key_implILNS1_25lookback_scan_determinismE0ELb0ES3_N6thrust23THRUST_200600_302600_NS6detail15normal_iteratorINSB_10device_ptrIjEEEENSD_INSE_IS6_EEEESI_S6_NSB_4plusIvEENSB_8equal_toIvEES6_EE10hipError_tPvRmT2_T3_T4_T5_mT6_T7_P12ihipStream_tbENKUlT_T0_E_clISt17integral_constantIbLb0EES12_IbLb1EEEEDaSY_SZ_EUlSY_E_NS1_11comp_targetILNS1_3genE5ELNS1_11target_archE942ELNS1_3gpuE9ELNS1_3repE0EEENS1_30default_config_static_selectorELNS0_4arch9wavefront6targetE0EEEvT1_
                                        ; -- End function
	.set _ZN7rocprim17ROCPRIM_400000_NS6detail17trampoline_kernelINS0_14default_configENS1_27scan_by_key_config_selectorIj11FixedVectorIiLj2EEEEZZNS1_16scan_by_key_implILNS1_25lookback_scan_determinismE0ELb0ES3_N6thrust23THRUST_200600_302600_NS6detail15normal_iteratorINSB_10device_ptrIjEEEENSD_INSE_IS6_EEEESI_S6_NSB_4plusIvEENSB_8equal_toIvEES6_EE10hipError_tPvRmT2_T3_T4_T5_mT6_T7_P12ihipStream_tbENKUlT_T0_E_clISt17integral_constantIbLb0EES12_IbLb1EEEEDaSY_SZ_EUlSY_E_NS1_11comp_targetILNS1_3genE5ELNS1_11target_archE942ELNS1_3gpuE9ELNS1_3repE0EEENS1_30default_config_static_selectorELNS0_4arch9wavefront6targetE0EEEvT1_.num_vgpr, 0
	.set _ZN7rocprim17ROCPRIM_400000_NS6detail17trampoline_kernelINS0_14default_configENS1_27scan_by_key_config_selectorIj11FixedVectorIiLj2EEEEZZNS1_16scan_by_key_implILNS1_25lookback_scan_determinismE0ELb0ES3_N6thrust23THRUST_200600_302600_NS6detail15normal_iteratorINSB_10device_ptrIjEEEENSD_INSE_IS6_EEEESI_S6_NSB_4plusIvEENSB_8equal_toIvEES6_EE10hipError_tPvRmT2_T3_T4_T5_mT6_T7_P12ihipStream_tbENKUlT_T0_E_clISt17integral_constantIbLb0EES12_IbLb1EEEEDaSY_SZ_EUlSY_E_NS1_11comp_targetILNS1_3genE5ELNS1_11target_archE942ELNS1_3gpuE9ELNS1_3repE0EEENS1_30default_config_static_selectorELNS0_4arch9wavefront6targetE0EEEvT1_.num_agpr, 0
	.set _ZN7rocprim17ROCPRIM_400000_NS6detail17trampoline_kernelINS0_14default_configENS1_27scan_by_key_config_selectorIj11FixedVectorIiLj2EEEEZZNS1_16scan_by_key_implILNS1_25lookback_scan_determinismE0ELb0ES3_N6thrust23THRUST_200600_302600_NS6detail15normal_iteratorINSB_10device_ptrIjEEEENSD_INSE_IS6_EEEESI_S6_NSB_4plusIvEENSB_8equal_toIvEES6_EE10hipError_tPvRmT2_T3_T4_T5_mT6_T7_P12ihipStream_tbENKUlT_T0_E_clISt17integral_constantIbLb0EES12_IbLb1EEEEDaSY_SZ_EUlSY_E_NS1_11comp_targetILNS1_3genE5ELNS1_11target_archE942ELNS1_3gpuE9ELNS1_3repE0EEENS1_30default_config_static_selectorELNS0_4arch9wavefront6targetE0EEEvT1_.numbered_sgpr, 0
	.set _ZN7rocprim17ROCPRIM_400000_NS6detail17trampoline_kernelINS0_14default_configENS1_27scan_by_key_config_selectorIj11FixedVectorIiLj2EEEEZZNS1_16scan_by_key_implILNS1_25lookback_scan_determinismE0ELb0ES3_N6thrust23THRUST_200600_302600_NS6detail15normal_iteratorINSB_10device_ptrIjEEEENSD_INSE_IS6_EEEESI_S6_NSB_4plusIvEENSB_8equal_toIvEES6_EE10hipError_tPvRmT2_T3_T4_T5_mT6_T7_P12ihipStream_tbENKUlT_T0_E_clISt17integral_constantIbLb0EES12_IbLb1EEEEDaSY_SZ_EUlSY_E_NS1_11comp_targetILNS1_3genE5ELNS1_11target_archE942ELNS1_3gpuE9ELNS1_3repE0EEENS1_30default_config_static_selectorELNS0_4arch9wavefront6targetE0EEEvT1_.num_named_barrier, 0
	.set _ZN7rocprim17ROCPRIM_400000_NS6detail17trampoline_kernelINS0_14default_configENS1_27scan_by_key_config_selectorIj11FixedVectorIiLj2EEEEZZNS1_16scan_by_key_implILNS1_25lookback_scan_determinismE0ELb0ES3_N6thrust23THRUST_200600_302600_NS6detail15normal_iteratorINSB_10device_ptrIjEEEENSD_INSE_IS6_EEEESI_S6_NSB_4plusIvEENSB_8equal_toIvEES6_EE10hipError_tPvRmT2_T3_T4_T5_mT6_T7_P12ihipStream_tbENKUlT_T0_E_clISt17integral_constantIbLb0EES12_IbLb1EEEEDaSY_SZ_EUlSY_E_NS1_11comp_targetILNS1_3genE5ELNS1_11target_archE942ELNS1_3gpuE9ELNS1_3repE0EEENS1_30default_config_static_selectorELNS0_4arch9wavefront6targetE0EEEvT1_.private_seg_size, 0
	.set _ZN7rocprim17ROCPRIM_400000_NS6detail17trampoline_kernelINS0_14default_configENS1_27scan_by_key_config_selectorIj11FixedVectorIiLj2EEEEZZNS1_16scan_by_key_implILNS1_25lookback_scan_determinismE0ELb0ES3_N6thrust23THRUST_200600_302600_NS6detail15normal_iteratorINSB_10device_ptrIjEEEENSD_INSE_IS6_EEEESI_S6_NSB_4plusIvEENSB_8equal_toIvEES6_EE10hipError_tPvRmT2_T3_T4_T5_mT6_T7_P12ihipStream_tbENKUlT_T0_E_clISt17integral_constantIbLb0EES12_IbLb1EEEEDaSY_SZ_EUlSY_E_NS1_11comp_targetILNS1_3genE5ELNS1_11target_archE942ELNS1_3gpuE9ELNS1_3repE0EEENS1_30default_config_static_selectorELNS0_4arch9wavefront6targetE0EEEvT1_.uses_vcc, 0
	.set _ZN7rocprim17ROCPRIM_400000_NS6detail17trampoline_kernelINS0_14default_configENS1_27scan_by_key_config_selectorIj11FixedVectorIiLj2EEEEZZNS1_16scan_by_key_implILNS1_25lookback_scan_determinismE0ELb0ES3_N6thrust23THRUST_200600_302600_NS6detail15normal_iteratorINSB_10device_ptrIjEEEENSD_INSE_IS6_EEEESI_S6_NSB_4plusIvEENSB_8equal_toIvEES6_EE10hipError_tPvRmT2_T3_T4_T5_mT6_T7_P12ihipStream_tbENKUlT_T0_E_clISt17integral_constantIbLb0EES12_IbLb1EEEEDaSY_SZ_EUlSY_E_NS1_11comp_targetILNS1_3genE5ELNS1_11target_archE942ELNS1_3gpuE9ELNS1_3repE0EEENS1_30default_config_static_selectorELNS0_4arch9wavefront6targetE0EEEvT1_.uses_flat_scratch, 0
	.set _ZN7rocprim17ROCPRIM_400000_NS6detail17trampoline_kernelINS0_14default_configENS1_27scan_by_key_config_selectorIj11FixedVectorIiLj2EEEEZZNS1_16scan_by_key_implILNS1_25lookback_scan_determinismE0ELb0ES3_N6thrust23THRUST_200600_302600_NS6detail15normal_iteratorINSB_10device_ptrIjEEEENSD_INSE_IS6_EEEESI_S6_NSB_4plusIvEENSB_8equal_toIvEES6_EE10hipError_tPvRmT2_T3_T4_T5_mT6_T7_P12ihipStream_tbENKUlT_T0_E_clISt17integral_constantIbLb0EES12_IbLb1EEEEDaSY_SZ_EUlSY_E_NS1_11comp_targetILNS1_3genE5ELNS1_11target_archE942ELNS1_3gpuE9ELNS1_3repE0EEENS1_30default_config_static_selectorELNS0_4arch9wavefront6targetE0EEEvT1_.has_dyn_sized_stack, 0
	.set _ZN7rocprim17ROCPRIM_400000_NS6detail17trampoline_kernelINS0_14default_configENS1_27scan_by_key_config_selectorIj11FixedVectorIiLj2EEEEZZNS1_16scan_by_key_implILNS1_25lookback_scan_determinismE0ELb0ES3_N6thrust23THRUST_200600_302600_NS6detail15normal_iteratorINSB_10device_ptrIjEEEENSD_INSE_IS6_EEEESI_S6_NSB_4plusIvEENSB_8equal_toIvEES6_EE10hipError_tPvRmT2_T3_T4_T5_mT6_T7_P12ihipStream_tbENKUlT_T0_E_clISt17integral_constantIbLb0EES12_IbLb1EEEEDaSY_SZ_EUlSY_E_NS1_11comp_targetILNS1_3genE5ELNS1_11target_archE942ELNS1_3gpuE9ELNS1_3repE0EEENS1_30default_config_static_selectorELNS0_4arch9wavefront6targetE0EEEvT1_.has_recursion, 0
	.set _ZN7rocprim17ROCPRIM_400000_NS6detail17trampoline_kernelINS0_14default_configENS1_27scan_by_key_config_selectorIj11FixedVectorIiLj2EEEEZZNS1_16scan_by_key_implILNS1_25lookback_scan_determinismE0ELb0ES3_N6thrust23THRUST_200600_302600_NS6detail15normal_iteratorINSB_10device_ptrIjEEEENSD_INSE_IS6_EEEESI_S6_NSB_4plusIvEENSB_8equal_toIvEES6_EE10hipError_tPvRmT2_T3_T4_T5_mT6_T7_P12ihipStream_tbENKUlT_T0_E_clISt17integral_constantIbLb0EES12_IbLb1EEEEDaSY_SZ_EUlSY_E_NS1_11comp_targetILNS1_3genE5ELNS1_11target_archE942ELNS1_3gpuE9ELNS1_3repE0EEENS1_30default_config_static_selectorELNS0_4arch9wavefront6targetE0EEEvT1_.has_indirect_call, 0
	.section	.AMDGPU.csdata,"",@progbits
; Kernel info:
; codeLenInByte = 0
; TotalNumSgprs: 0
; NumVgprs: 0
; ScratchSize: 0
; MemoryBound: 0
; FloatMode: 240
; IeeeMode: 1
; LDSByteSize: 0 bytes/workgroup (compile time only)
; SGPRBlocks: 0
; VGPRBlocks: 0
; NumSGPRsForWavesPerEU: 1
; NumVGPRsForWavesPerEU: 1
; NamedBarCnt: 0
; Occupancy: 16
; WaveLimiterHint : 0
; COMPUTE_PGM_RSRC2:SCRATCH_EN: 0
; COMPUTE_PGM_RSRC2:USER_SGPR: 2
; COMPUTE_PGM_RSRC2:TRAP_HANDLER: 0
; COMPUTE_PGM_RSRC2:TGID_X_EN: 1
; COMPUTE_PGM_RSRC2:TGID_Y_EN: 0
; COMPUTE_PGM_RSRC2:TGID_Z_EN: 0
; COMPUTE_PGM_RSRC2:TIDIG_COMP_CNT: 0
	.section	.text._ZN7rocprim17ROCPRIM_400000_NS6detail17trampoline_kernelINS0_14default_configENS1_27scan_by_key_config_selectorIj11FixedVectorIiLj2EEEEZZNS1_16scan_by_key_implILNS1_25lookback_scan_determinismE0ELb0ES3_N6thrust23THRUST_200600_302600_NS6detail15normal_iteratorINSB_10device_ptrIjEEEENSD_INSE_IS6_EEEESI_S6_NSB_4plusIvEENSB_8equal_toIvEES6_EE10hipError_tPvRmT2_T3_T4_T5_mT6_T7_P12ihipStream_tbENKUlT_T0_E_clISt17integral_constantIbLb0EES12_IbLb1EEEEDaSY_SZ_EUlSY_E_NS1_11comp_targetILNS1_3genE4ELNS1_11target_archE910ELNS1_3gpuE8ELNS1_3repE0EEENS1_30default_config_static_selectorELNS0_4arch9wavefront6targetE0EEEvT1_,"axG",@progbits,_ZN7rocprim17ROCPRIM_400000_NS6detail17trampoline_kernelINS0_14default_configENS1_27scan_by_key_config_selectorIj11FixedVectorIiLj2EEEEZZNS1_16scan_by_key_implILNS1_25lookback_scan_determinismE0ELb0ES3_N6thrust23THRUST_200600_302600_NS6detail15normal_iteratorINSB_10device_ptrIjEEEENSD_INSE_IS6_EEEESI_S6_NSB_4plusIvEENSB_8equal_toIvEES6_EE10hipError_tPvRmT2_T3_T4_T5_mT6_T7_P12ihipStream_tbENKUlT_T0_E_clISt17integral_constantIbLb0EES12_IbLb1EEEEDaSY_SZ_EUlSY_E_NS1_11comp_targetILNS1_3genE4ELNS1_11target_archE910ELNS1_3gpuE8ELNS1_3repE0EEENS1_30default_config_static_selectorELNS0_4arch9wavefront6targetE0EEEvT1_,comdat
	.protected	_ZN7rocprim17ROCPRIM_400000_NS6detail17trampoline_kernelINS0_14default_configENS1_27scan_by_key_config_selectorIj11FixedVectorIiLj2EEEEZZNS1_16scan_by_key_implILNS1_25lookback_scan_determinismE0ELb0ES3_N6thrust23THRUST_200600_302600_NS6detail15normal_iteratorINSB_10device_ptrIjEEEENSD_INSE_IS6_EEEESI_S6_NSB_4plusIvEENSB_8equal_toIvEES6_EE10hipError_tPvRmT2_T3_T4_T5_mT6_T7_P12ihipStream_tbENKUlT_T0_E_clISt17integral_constantIbLb0EES12_IbLb1EEEEDaSY_SZ_EUlSY_E_NS1_11comp_targetILNS1_3genE4ELNS1_11target_archE910ELNS1_3gpuE8ELNS1_3repE0EEENS1_30default_config_static_selectorELNS0_4arch9wavefront6targetE0EEEvT1_ ; -- Begin function _ZN7rocprim17ROCPRIM_400000_NS6detail17trampoline_kernelINS0_14default_configENS1_27scan_by_key_config_selectorIj11FixedVectorIiLj2EEEEZZNS1_16scan_by_key_implILNS1_25lookback_scan_determinismE0ELb0ES3_N6thrust23THRUST_200600_302600_NS6detail15normal_iteratorINSB_10device_ptrIjEEEENSD_INSE_IS6_EEEESI_S6_NSB_4plusIvEENSB_8equal_toIvEES6_EE10hipError_tPvRmT2_T3_T4_T5_mT6_T7_P12ihipStream_tbENKUlT_T0_E_clISt17integral_constantIbLb0EES12_IbLb1EEEEDaSY_SZ_EUlSY_E_NS1_11comp_targetILNS1_3genE4ELNS1_11target_archE910ELNS1_3gpuE8ELNS1_3repE0EEENS1_30default_config_static_selectorELNS0_4arch9wavefront6targetE0EEEvT1_
	.globl	_ZN7rocprim17ROCPRIM_400000_NS6detail17trampoline_kernelINS0_14default_configENS1_27scan_by_key_config_selectorIj11FixedVectorIiLj2EEEEZZNS1_16scan_by_key_implILNS1_25lookback_scan_determinismE0ELb0ES3_N6thrust23THRUST_200600_302600_NS6detail15normal_iteratorINSB_10device_ptrIjEEEENSD_INSE_IS6_EEEESI_S6_NSB_4plusIvEENSB_8equal_toIvEES6_EE10hipError_tPvRmT2_T3_T4_T5_mT6_T7_P12ihipStream_tbENKUlT_T0_E_clISt17integral_constantIbLb0EES12_IbLb1EEEEDaSY_SZ_EUlSY_E_NS1_11comp_targetILNS1_3genE4ELNS1_11target_archE910ELNS1_3gpuE8ELNS1_3repE0EEENS1_30default_config_static_selectorELNS0_4arch9wavefront6targetE0EEEvT1_
	.p2align	8
	.type	_ZN7rocprim17ROCPRIM_400000_NS6detail17trampoline_kernelINS0_14default_configENS1_27scan_by_key_config_selectorIj11FixedVectorIiLj2EEEEZZNS1_16scan_by_key_implILNS1_25lookback_scan_determinismE0ELb0ES3_N6thrust23THRUST_200600_302600_NS6detail15normal_iteratorINSB_10device_ptrIjEEEENSD_INSE_IS6_EEEESI_S6_NSB_4plusIvEENSB_8equal_toIvEES6_EE10hipError_tPvRmT2_T3_T4_T5_mT6_T7_P12ihipStream_tbENKUlT_T0_E_clISt17integral_constantIbLb0EES12_IbLb1EEEEDaSY_SZ_EUlSY_E_NS1_11comp_targetILNS1_3genE4ELNS1_11target_archE910ELNS1_3gpuE8ELNS1_3repE0EEENS1_30default_config_static_selectorELNS0_4arch9wavefront6targetE0EEEvT1_,@function
_ZN7rocprim17ROCPRIM_400000_NS6detail17trampoline_kernelINS0_14default_configENS1_27scan_by_key_config_selectorIj11FixedVectorIiLj2EEEEZZNS1_16scan_by_key_implILNS1_25lookback_scan_determinismE0ELb0ES3_N6thrust23THRUST_200600_302600_NS6detail15normal_iteratorINSB_10device_ptrIjEEEENSD_INSE_IS6_EEEESI_S6_NSB_4plusIvEENSB_8equal_toIvEES6_EE10hipError_tPvRmT2_T3_T4_T5_mT6_T7_P12ihipStream_tbENKUlT_T0_E_clISt17integral_constantIbLb0EES12_IbLb1EEEEDaSY_SZ_EUlSY_E_NS1_11comp_targetILNS1_3genE4ELNS1_11target_archE910ELNS1_3gpuE8ELNS1_3repE0EEENS1_30default_config_static_selectorELNS0_4arch9wavefront6targetE0EEEvT1_: ; @_ZN7rocprim17ROCPRIM_400000_NS6detail17trampoline_kernelINS0_14default_configENS1_27scan_by_key_config_selectorIj11FixedVectorIiLj2EEEEZZNS1_16scan_by_key_implILNS1_25lookback_scan_determinismE0ELb0ES3_N6thrust23THRUST_200600_302600_NS6detail15normal_iteratorINSB_10device_ptrIjEEEENSD_INSE_IS6_EEEESI_S6_NSB_4plusIvEENSB_8equal_toIvEES6_EE10hipError_tPvRmT2_T3_T4_T5_mT6_T7_P12ihipStream_tbENKUlT_T0_E_clISt17integral_constantIbLb0EES12_IbLb1EEEEDaSY_SZ_EUlSY_E_NS1_11comp_targetILNS1_3genE4ELNS1_11target_archE910ELNS1_3gpuE8ELNS1_3repE0EEENS1_30default_config_static_selectorELNS0_4arch9wavefront6targetE0EEEvT1_
; %bb.0:
	.section	.rodata,"a",@progbits
	.p2align	6, 0x0
	.amdhsa_kernel _ZN7rocprim17ROCPRIM_400000_NS6detail17trampoline_kernelINS0_14default_configENS1_27scan_by_key_config_selectorIj11FixedVectorIiLj2EEEEZZNS1_16scan_by_key_implILNS1_25lookback_scan_determinismE0ELb0ES3_N6thrust23THRUST_200600_302600_NS6detail15normal_iteratorINSB_10device_ptrIjEEEENSD_INSE_IS6_EEEESI_S6_NSB_4plusIvEENSB_8equal_toIvEES6_EE10hipError_tPvRmT2_T3_T4_T5_mT6_T7_P12ihipStream_tbENKUlT_T0_E_clISt17integral_constantIbLb0EES12_IbLb1EEEEDaSY_SZ_EUlSY_E_NS1_11comp_targetILNS1_3genE4ELNS1_11target_archE910ELNS1_3gpuE8ELNS1_3repE0EEENS1_30default_config_static_selectorELNS0_4arch9wavefront6targetE0EEEvT1_
		.amdhsa_group_segment_fixed_size 0
		.amdhsa_private_segment_fixed_size 0
		.amdhsa_kernarg_size 120
		.amdhsa_user_sgpr_count 2
		.amdhsa_user_sgpr_dispatch_ptr 0
		.amdhsa_user_sgpr_queue_ptr 0
		.amdhsa_user_sgpr_kernarg_segment_ptr 1
		.amdhsa_user_sgpr_dispatch_id 0
		.amdhsa_user_sgpr_kernarg_preload_length 0
		.amdhsa_user_sgpr_kernarg_preload_offset 0
		.amdhsa_user_sgpr_private_segment_size 0
		.amdhsa_wavefront_size32 1
		.amdhsa_uses_dynamic_stack 0
		.amdhsa_enable_private_segment 0
		.amdhsa_system_sgpr_workgroup_id_x 1
		.amdhsa_system_sgpr_workgroup_id_y 0
		.amdhsa_system_sgpr_workgroup_id_z 0
		.amdhsa_system_sgpr_workgroup_info 0
		.amdhsa_system_vgpr_workitem_id 0
		.amdhsa_next_free_vgpr 1
		.amdhsa_next_free_sgpr 1
		.amdhsa_named_barrier_count 0
		.amdhsa_reserve_vcc 0
		.amdhsa_float_round_mode_32 0
		.amdhsa_float_round_mode_16_64 0
		.amdhsa_float_denorm_mode_32 3
		.amdhsa_float_denorm_mode_16_64 3
		.amdhsa_fp16_overflow 0
		.amdhsa_memory_ordered 1
		.amdhsa_forward_progress 1
		.amdhsa_inst_pref_size 0
		.amdhsa_round_robin_scheduling 0
		.amdhsa_exception_fp_ieee_invalid_op 0
		.amdhsa_exception_fp_denorm_src 0
		.amdhsa_exception_fp_ieee_div_zero 0
		.amdhsa_exception_fp_ieee_overflow 0
		.amdhsa_exception_fp_ieee_underflow 0
		.amdhsa_exception_fp_ieee_inexact 0
		.amdhsa_exception_int_div_zero 0
	.end_amdhsa_kernel
	.section	.text._ZN7rocprim17ROCPRIM_400000_NS6detail17trampoline_kernelINS0_14default_configENS1_27scan_by_key_config_selectorIj11FixedVectorIiLj2EEEEZZNS1_16scan_by_key_implILNS1_25lookback_scan_determinismE0ELb0ES3_N6thrust23THRUST_200600_302600_NS6detail15normal_iteratorINSB_10device_ptrIjEEEENSD_INSE_IS6_EEEESI_S6_NSB_4plusIvEENSB_8equal_toIvEES6_EE10hipError_tPvRmT2_T3_T4_T5_mT6_T7_P12ihipStream_tbENKUlT_T0_E_clISt17integral_constantIbLb0EES12_IbLb1EEEEDaSY_SZ_EUlSY_E_NS1_11comp_targetILNS1_3genE4ELNS1_11target_archE910ELNS1_3gpuE8ELNS1_3repE0EEENS1_30default_config_static_selectorELNS0_4arch9wavefront6targetE0EEEvT1_,"axG",@progbits,_ZN7rocprim17ROCPRIM_400000_NS6detail17trampoline_kernelINS0_14default_configENS1_27scan_by_key_config_selectorIj11FixedVectorIiLj2EEEEZZNS1_16scan_by_key_implILNS1_25lookback_scan_determinismE0ELb0ES3_N6thrust23THRUST_200600_302600_NS6detail15normal_iteratorINSB_10device_ptrIjEEEENSD_INSE_IS6_EEEESI_S6_NSB_4plusIvEENSB_8equal_toIvEES6_EE10hipError_tPvRmT2_T3_T4_T5_mT6_T7_P12ihipStream_tbENKUlT_T0_E_clISt17integral_constantIbLb0EES12_IbLb1EEEEDaSY_SZ_EUlSY_E_NS1_11comp_targetILNS1_3genE4ELNS1_11target_archE910ELNS1_3gpuE8ELNS1_3repE0EEENS1_30default_config_static_selectorELNS0_4arch9wavefront6targetE0EEEvT1_,comdat
.Lfunc_end1987:
	.size	_ZN7rocprim17ROCPRIM_400000_NS6detail17trampoline_kernelINS0_14default_configENS1_27scan_by_key_config_selectorIj11FixedVectorIiLj2EEEEZZNS1_16scan_by_key_implILNS1_25lookback_scan_determinismE0ELb0ES3_N6thrust23THRUST_200600_302600_NS6detail15normal_iteratorINSB_10device_ptrIjEEEENSD_INSE_IS6_EEEESI_S6_NSB_4plusIvEENSB_8equal_toIvEES6_EE10hipError_tPvRmT2_T3_T4_T5_mT6_T7_P12ihipStream_tbENKUlT_T0_E_clISt17integral_constantIbLb0EES12_IbLb1EEEEDaSY_SZ_EUlSY_E_NS1_11comp_targetILNS1_3genE4ELNS1_11target_archE910ELNS1_3gpuE8ELNS1_3repE0EEENS1_30default_config_static_selectorELNS0_4arch9wavefront6targetE0EEEvT1_, .Lfunc_end1987-_ZN7rocprim17ROCPRIM_400000_NS6detail17trampoline_kernelINS0_14default_configENS1_27scan_by_key_config_selectorIj11FixedVectorIiLj2EEEEZZNS1_16scan_by_key_implILNS1_25lookback_scan_determinismE0ELb0ES3_N6thrust23THRUST_200600_302600_NS6detail15normal_iteratorINSB_10device_ptrIjEEEENSD_INSE_IS6_EEEESI_S6_NSB_4plusIvEENSB_8equal_toIvEES6_EE10hipError_tPvRmT2_T3_T4_T5_mT6_T7_P12ihipStream_tbENKUlT_T0_E_clISt17integral_constantIbLb0EES12_IbLb1EEEEDaSY_SZ_EUlSY_E_NS1_11comp_targetILNS1_3genE4ELNS1_11target_archE910ELNS1_3gpuE8ELNS1_3repE0EEENS1_30default_config_static_selectorELNS0_4arch9wavefront6targetE0EEEvT1_
                                        ; -- End function
	.set _ZN7rocprim17ROCPRIM_400000_NS6detail17trampoline_kernelINS0_14default_configENS1_27scan_by_key_config_selectorIj11FixedVectorIiLj2EEEEZZNS1_16scan_by_key_implILNS1_25lookback_scan_determinismE0ELb0ES3_N6thrust23THRUST_200600_302600_NS6detail15normal_iteratorINSB_10device_ptrIjEEEENSD_INSE_IS6_EEEESI_S6_NSB_4plusIvEENSB_8equal_toIvEES6_EE10hipError_tPvRmT2_T3_T4_T5_mT6_T7_P12ihipStream_tbENKUlT_T0_E_clISt17integral_constantIbLb0EES12_IbLb1EEEEDaSY_SZ_EUlSY_E_NS1_11comp_targetILNS1_3genE4ELNS1_11target_archE910ELNS1_3gpuE8ELNS1_3repE0EEENS1_30default_config_static_selectorELNS0_4arch9wavefront6targetE0EEEvT1_.num_vgpr, 0
	.set _ZN7rocprim17ROCPRIM_400000_NS6detail17trampoline_kernelINS0_14default_configENS1_27scan_by_key_config_selectorIj11FixedVectorIiLj2EEEEZZNS1_16scan_by_key_implILNS1_25lookback_scan_determinismE0ELb0ES3_N6thrust23THRUST_200600_302600_NS6detail15normal_iteratorINSB_10device_ptrIjEEEENSD_INSE_IS6_EEEESI_S6_NSB_4plusIvEENSB_8equal_toIvEES6_EE10hipError_tPvRmT2_T3_T4_T5_mT6_T7_P12ihipStream_tbENKUlT_T0_E_clISt17integral_constantIbLb0EES12_IbLb1EEEEDaSY_SZ_EUlSY_E_NS1_11comp_targetILNS1_3genE4ELNS1_11target_archE910ELNS1_3gpuE8ELNS1_3repE0EEENS1_30default_config_static_selectorELNS0_4arch9wavefront6targetE0EEEvT1_.num_agpr, 0
	.set _ZN7rocprim17ROCPRIM_400000_NS6detail17trampoline_kernelINS0_14default_configENS1_27scan_by_key_config_selectorIj11FixedVectorIiLj2EEEEZZNS1_16scan_by_key_implILNS1_25lookback_scan_determinismE0ELb0ES3_N6thrust23THRUST_200600_302600_NS6detail15normal_iteratorINSB_10device_ptrIjEEEENSD_INSE_IS6_EEEESI_S6_NSB_4plusIvEENSB_8equal_toIvEES6_EE10hipError_tPvRmT2_T3_T4_T5_mT6_T7_P12ihipStream_tbENKUlT_T0_E_clISt17integral_constantIbLb0EES12_IbLb1EEEEDaSY_SZ_EUlSY_E_NS1_11comp_targetILNS1_3genE4ELNS1_11target_archE910ELNS1_3gpuE8ELNS1_3repE0EEENS1_30default_config_static_selectorELNS0_4arch9wavefront6targetE0EEEvT1_.numbered_sgpr, 0
	.set _ZN7rocprim17ROCPRIM_400000_NS6detail17trampoline_kernelINS0_14default_configENS1_27scan_by_key_config_selectorIj11FixedVectorIiLj2EEEEZZNS1_16scan_by_key_implILNS1_25lookback_scan_determinismE0ELb0ES3_N6thrust23THRUST_200600_302600_NS6detail15normal_iteratorINSB_10device_ptrIjEEEENSD_INSE_IS6_EEEESI_S6_NSB_4plusIvEENSB_8equal_toIvEES6_EE10hipError_tPvRmT2_T3_T4_T5_mT6_T7_P12ihipStream_tbENKUlT_T0_E_clISt17integral_constantIbLb0EES12_IbLb1EEEEDaSY_SZ_EUlSY_E_NS1_11comp_targetILNS1_3genE4ELNS1_11target_archE910ELNS1_3gpuE8ELNS1_3repE0EEENS1_30default_config_static_selectorELNS0_4arch9wavefront6targetE0EEEvT1_.num_named_barrier, 0
	.set _ZN7rocprim17ROCPRIM_400000_NS6detail17trampoline_kernelINS0_14default_configENS1_27scan_by_key_config_selectorIj11FixedVectorIiLj2EEEEZZNS1_16scan_by_key_implILNS1_25lookback_scan_determinismE0ELb0ES3_N6thrust23THRUST_200600_302600_NS6detail15normal_iteratorINSB_10device_ptrIjEEEENSD_INSE_IS6_EEEESI_S6_NSB_4plusIvEENSB_8equal_toIvEES6_EE10hipError_tPvRmT2_T3_T4_T5_mT6_T7_P12ihipStream_tbENKUlT_T0_E_clISt17integral_constantIbLb0EES12_IbLb1EEEEDaSY_SZ_EUlSY_E_NS1_11comp_targetILNS1_3genE4ELNS1_11target_archE910ELNS1_3gpuE8ELNS1_3repE0EEENS1_30default_config_static_selectorELNS0_4arch9wavefront6targetE0EEEvT1_.private_seg_size, 0
	.set _ZN7rocprim17ROCPRIM_400000_NS6detail17trampoline_kernelINS0_14default_configENS1_27scan_by_key_config_selectorIj11FixedVectorIiLj2EEEEZZNS1_16scan_by_key_implILNS1_25lookback_scan_determinismE0ELb0ES3_N6thrust23THRUST_200600_302600_NS6detail15normal_iteratorINSB_10device_ptrIjEEEENSD_INSE_IS6_EEEESI_S6_NSB_4plusIvEENSB_8equal_toIvEES6_EE10hipError_tPvRmT2_T3_T4_T5_mT6_T7_P12ihipStream_tbENKUlT_T0_E_clISt17integral_constantIbLb0EES12_IbLb1EEEEDaSY_SZ_EUlSY_E_NS1_11comp_targetILNS1_3genE4ELNS1_11target_archE910ELNS1_3gpuE8ELNS1_3repE0EEENS1_30default_config_static_selectorELNS0_4arch9wavefront6targetE0EEEvT1_.uses_vcc, 0
	.set _ZN7rocprim17ROCPRIM_400000_NS6detail17trampoline_kernelINS0_14default_configENS1_27scan_by_key_config_selectorIj11FixedVectorIiLj2EEEEZZNS1_16scan_by_key_implILNS1_25lookback_scan_determinismE0ELb0ES3_N6thrust23THRUST_200600_302600_NS6detail15normal_iteratorINSB_10device_ptrIjEEEENSD_INSE_IS6_EEEESI_S6_NSB_4plusIvEENSB_8equal_toIvEES6_EE10hipError_tPvRmT2_T3_T4_T5_mT6_T7_P12ihipStream_tbENKUlT_T0_E_clISt17integral_constantIbLb0EES12_IbLb1EEEEDaSY_SZ_EUlSY_E_NS1_11comp_targetILNS1_3genE4ELNS1_11target_archE910ELNS1_3gpuE8ELNS1_3repE0EEENS1_30default_config_static_selectorELNS0_4arch9wavefront6targetE0EEEvT1_.uses_flat_scratch, 0
	.set _ZN7rocprim17ROCPRIM_400000_NS6detail17trampoline_kernelINS0_14default_configENS1_27scan_by_key_config_selectorIj11FixedVectorIiLj2EEEEZZNS1_16scan_by_key_implILNS1_25lookback_scan_determinismE0ELb0ES3_N6thrust23THRUST_200600_302600_NS6detail15normal_iteratorINSB_10device_ptrIjEEEENSD_INSE_IS6_EEEESI_S6_NSB_4plusIvEENSB_8equal_toIvEES6_EE10hipError_tPvRmT2_T3_T4_T5_mT6_T7_P12ihipStream_tbENKUlT_T0_E_clISt17integral_constantIbLb0EES12_IbLb1EEEEDaSY_SZ_EUlSY_E_NS1_11comp_targetILNS1_3genE4ELNS1_11target_archE910ELNS1_3gpuE8ELNS1_3repE0EEENS1_30default_config_static_selectorELNS0_4arch9wavefront6targetE0EEEvT1_.has_dyn_sized_stack, 0
	.set _ZN7rocprim17ROCPRIM_400000_NS6detail17trampoline_kernelINS0_14default_configENS1_27scan_by_key_config_selectorIj11FixedVectorIiLj2EEEEZZNS1_16scan_by_key_implILNS1_25lookback_scan_determinismE0ELb0ES3_N6thrust23THRUST_200600_302600_NS6detail15normal_iteratorINSB_10device_ptrIjEEEENSD_INSE_IS6_EEEESI_S6_NSB_4plusIvEENSB_8equal_toIvEES6_EE10hipError_tPvRmT2_T3_T4_T5_mT6_T7_P12ihipStream_tbENKUlT_T0_E_clISt17integral_constantIbLb0EES12_IbLb1EEEEDaSY_SZ_EUlSY_E_NS1_11comp_targetILNS1_3genE4ELNS1_11target_archE910ELNS1_3gpuE8ELNS1_3repE0EEENS1_30default_config_static_selectorELNS0_4arch9wavefront6targetE0EEEvT1_.has_recursion, 0
	.set _ZN7rocprim17ROCPRIM_400000_NS6detail17trampoline_kernelINS0_14default_configENS1_27scan_by_key_config_selectorIj11FixedVectorIiLj2EEEEZZNS1_16scan_by_key_implILNS1_25lookback_scan_determinismE0ELb0ES3_N6thrust23THRUST_200600_302600_NS6detail15normal_iteratorINSB_10device_ptrIjEEEENSD_INSE_IS6_EEEESI_S6_NSB_4plusIvEENSB_8equal_toIvEES6_EE10hipError_tPvRmT2_T3_T4_T5_mT6_T7_P12ihipStream_tbENKUlT_T0_E_clISt17integral_constantIbLb0EES12_IbLb1EEEEDaSY_SZ_EUlSY_E_NS1_11comp_targetILNS1_3genE4ELNS1_11target_archE910ELNS1_3gpuE8ELNS1_3repE0EEENS1_30default_config_static_selectorELNS0_4arch9wavefront6targetE0EEEvT1_.has_indirect_call, 0
	.section	.AMDGPU.csdata,"",@progbits
; Kernel info:
; codeLenInByte = 0
; TotalNumSgprs: 0
; NumVgprs: 0
; ScratchSize: 0
; MemoryBound: 0
; FloatMode: 240
; IeeeMode: 1
; LDSByteSize: 0 bytes/workgroup (compile time only)
; SGPRBlocks: 0
; VGPRBlocks: 0
; NumSGPRsForWavesPerEU: 1
; NumVGPRsForWavesPerEU: 1
; NamedBarCnt: 0
; Occupancy: 16
; WaveLimiterHint : 0
; COMPUTE_PGM_RSRC2:SCRATCH_EN: 0
; COMPUTE_PGM_RSRC2:USER_SGPR: 2
; COMPUTE_PGM_RSRC2:TRAP_HANDLER: 0
; COMPUTE_PGM_RSRC2:TGID_X_EN: 1
; COMPUTE_PGM_RSRC2:TGID_Y_EN: 0
; COMPUTE_PGM_RSRC2:TGID_Z_EN: 0
; COMPUTE_PGM_RSRC2:TIDIG_COMP_CNT: 0
	.section	.text._ZN7rocprim17ROCPRIM_400000_NS6detail17trampoline_kernelINS0_14default_configENS1_27scan_by_key_config_selectorIj11FixedVectorIiLj2EEEEZZNS1_16scan_by_key_implILNS1_25lookback_scan_determinismE0ELb0ES3_N6thrust23THRUST_200600_302600_NS6detail15normal_iteratorINSB_10device_ptrIjEEEENSD_INSE_IS6_EEEESI_S6_NSB_4plusIvEENSB_8equal_toIvEES6_EE10hipError_tPvRmT2_T3_T4_T5_mT6_T7_P12ihipStream_tbENKUlT_T0_E_clISt17integral_constantIbLb0EES12_IbLb1EEEEDaSY_SZ_EUlSY_E_NS1_11comp_targetILNS1_3genE3ELNS1_11target_archE908ELNS1_3gpuE7ELNS1_3repE0EEENS1_30default_config_static_selectorELNS0_4arch9wavefront6targetE0EEEvT1_,"axG",@progbits,_ZN7rocprim17ROCPRIM_400000_NS6detail17trampoline_kernelINS0_14default_configENS1_27scan_by_key_config_selectorIj11FixedVectorIiLj2EEEEZZNS1_16scan_by_key_implILNS1_25lookback_scan_determinismE0ELb0ES3_N6thrust23THRUST_200600_302600_NS6detail15normal_iteratorINSB_10device_ptrIjEEEENSD_INSE_IS6_EEEESI_S6_NSB_4plusIvEENSB_8equal_toIvEES6_EE10hipError_tPvRmT2_T3_T4_T5_mT6_T7_P12ihipStream_tbENKUlT_T0_E_clISt17integral_constantIbLb0EES12_IbLb1EEEEDaSY_SZ_EUlSY_E_NS1_11comp_targetILNS1_3genE3ELNS1_11target_archE908ELNS1_3gpuE7ELNS1_3repE0EEENS1_30default_config_static_selectorELNS0_4arch9wavefront6targetE0EEEvT1_,comdat
	.protected	_ZN7rocprim17ROCPRIM_400000_NS6detail17trampoline_kernelINS0_14default_configENS1_27scan_by_key_config_selectorIj11FixedVectorIiLj2EEEEZZNS1_16scan_by_key_implILNS1_25lookback_scan_determinismE0ELb0ES3_N6thrust23THRUST_200600_302600_NS6detail15normal_iteratorINSB_10device_ptrIjEEEENSD_INSE_IS6_EEEESI_S6_NSB_4plusIvEENSB_8equal_toIvEES6_EE10hipError_tPvRmT2_T3_T4_T5_mT6_T7_P12ihipStream_tbENKUlT_T0_E_clISt17integral_constantIbLb0EES12_IbLb1EEEEDaSY_SZ_EUlSY_E_NS1_11comp_targetILNS1_3genE3ELNS1_11target_archE908ELNS1_3gpuE7ELNS1_3repE0EEENS1_30default_config_static_selectorELNS0_4arch9wavefront6targetE0EEEvT1_ ; -- Begin function _ZN7rocprim17ROCPRIM_400000_NS6detail17trampoline_kernelINS0_14default_configENS1_27scan_by_key_config_selectorIj11FixedVectorIiLj2EEEEZZNS1_16scan_by_key_implILNS1_25lookback_scan_determinismE0ELb0ES3_N6thrust23THRUST_200600_302600_NS6detail15normal_iteratorINSB_10device_ptrIjEEEENSD_INSE_IS6_EEEESI_S6_NSB_4plusIvEENSB_8equal_toIvEES6_EE10hipError_tPvRmT2_T3_T4_T5_mT6_T7_P12ihipStream_tbENKUlT_T0_E_clISt17integral_constantIbLb0EES12_IbLb1EEEEDaSY_SZ_EUlSY_E_NS1_11comp_targetILNS1_3genE3ELNS1_11target_archE908ELNS1_3gpuE7ELNS1_3repE0EEENS1_30default_config_static_selectorELNS0_4arch9wavefront6targetE0EEEvT1_
	.globl	_ZN7rocprim17ROCPRIM_400000_NS6detail17trampoline_kernelINS0_14default_configENS1_27scan_by_key_config_selectorIj11FixedVectorIiLj2EEEEZZNS1_16scan_by_key_implILNS1_25lookback_scan_determinismE0ELb0ES3_N6thrust23THRUST_200600_302600_NS6detail15normal_iteratorINSB_10device_ptrIjEEEENSD_INSE_IS6_EEEESI_S6_NSB_4plusIvEENSB_8equal_toIvEES6_EE10hipError_tPvRmT2_T3_T4_T5_mT6_T7_P12ihipStream_tbENKUlT_T0_E_clISt17integral_constantIbLb0EES12_IbLb1EEEEDaSY_SZ_EUlSY_E_NS1_11comp_targetILNS1_3genE3ELNS1_11target_archE908ELNS1_3gpuE7ELNS1_3repE0EEENS1_30default_config_static_selectorELNS0_4arch9wavefront6targetE0EEEvT1_
	.p2align	8
	.type	_ZN7rocprim17ROCPRIM_400000_NS6detail17trampoline_kernelINS0_14default_configENS1_27scan_by_key_config_selectorIj11FixedVectorIiLj2EEEEZZNS1_16scan_by_key_implILNS1_25lookback_scan_determinismE0ELb0ES3_N6thrust23THRUST_200600_302600_NS6detail15normal_iteratorINSB_10device_ptrIjEEEENSD_INSE_IS6_EEEESI_S6_NSB_4plusIvEENSB_8equal_toIvEES6_EE10hipError_tPvRmT2_T3_T4_T5_mT6_T7_P12ihipStream_tbENKUlT_T0_E_clISt17integral_constantIbLb0EES12_IbLb1EEEEDaSY_SZ_EUlSY_E_NS1_11comp_targetILNS1_3genE3ELNS1_11target_archE908ELNS1_3gpuE7ELNS1_3repE0EEENS1_30default_config_static_selectorELNS0_4arch9wavefront6targetE0EEEvT1_,@function
_ZN7rocprim17ROCPRIM_400000_NS6detail17trampoline_kernelINS0_14default_configENS1_27scan_by_key_config_selectorIj11FixedVectorIiLj2EEEEZZNS1_16scan_by_key_implILNS1_25lookback_scan_determinismE0ELb0ES3_N6thrust23THRUST_200600_302600_NS6detail15normal_iteratorINSB_10device_ptrIjEEEENSD_INSE_IS6_EEEESI_S6_NSB_4plusIvEENSB_8equal_toIvEES6_EE10hipError_tPvRmT2_T3_T4_T5_mT6_T7_P12ihipStream_tbENKUlT_T0_E_clISt17integral_constantIbLb0EES12_IbLb1EEEEDaSY_SZ_EUlSY_E_NS1_11comp_targetILNS1_3genE3ELNS1_11target_archE908ELNS1_3gpuE7ELNS1_3repE0EEENS1_30default_config_static_selectorELNS0_4arch9wavefront6targetE0EEEvT1_: ; @_ZN7rocprim17ROCPRIM_400000_NS6detail17trampoline_kernelINS0_14default_configENS1_27scan_by_key_config_selectorIj11FixedVectorIiLj2EEEEZZNS1_16scan_by_key_implILNS1_25lookback_scan_determinismE0ELb0ES3_N6thrust23THRUST_200600_302600_NS6detail15normal_iteratorINSB_10device_ptrIjEEEENSD_INSE_IS6_EEEESI_S6_NSB_4plusIvEENSB_8equal_toIvEES6_EE10hipError_tPvRmT2_T3_T4_T5_mT6_T7_P12ihipStream_tbENKUlT_T0_E_clISt17integral_constantIbLb0EES12_IbLb1EEEEDaSY_SZ_EUlSY_E_NS1_11comp_targetILNS1_3genE3ELNS1_11target_archE908ELNS1_3gpuE7ELNS1_3repE0EEENS1_30default_config_static_selectorELNS0_4arch9wavefront6targetE0EEEvT1_
; %bb.0:
	.section	.rodata,"a",@progbits
	.p2align	6, 0x0
	.amdhsa_kernel _ZN7rocprim17ROCPRIM_400000_NS6detail17trampoline_kernelINS0_14default_configENS1_27scan_by_key_config_selectorIj11FixedVectorIiLj2EEEEZZNS1_16scan_by_key_implILNS1_25lookback_scan_determinismE0ELb0ES3_N6thrust23THRUST_200600_302600_NS6detail15normal_iteratorINSB_10device_ptrIjEEEENSD_INSE_IS6_EEEESI_S6_NSB_4plusIvEENSB_8equal_toIvEES6_EE10hipError_tPvRmT2_T3_T4_T5_mT6_T7_P12ihipStream_tbENKUlT_T0_E_clISt17integral_constantIbLb0EES12_IbLb1EEEEDaSY_SZ_EUlSY_E_NS1_11comp_targetILNS1_3genE3ELNS1_11target_archE908ELNS1_3gpuE7ELNS1_3repE0EEENS1_30default_config_static_selectorELNS0_4arch9wavefront6targetE0EEEvT1_
		.amdhsa_group_segment_fixed_size 0
		.amdhsa_private_segment_fixed_size 0
		.amdhsa_kernarg_size 120
		.amdhsa_user_sgpr_count 2
		.amdhsa_user_sgpr_dispatch_ptr 0
		.amdhsa_user_sgpr_queue_ptr 0
		.amdhsa_user_sgpr_kernarg_segment_ptr 1
		.amdhsa_user_sgpr_dispatch_id 0
		.amdhsa_user_sgpr_kernarg_preload_length 0
		.amdhsa_user_sgpr_kernarg_preload_offset 0
		.amdhsa_user_sgpr_private_segment_size 0
		.amdhsa_wavefront_size32 1
		.amdhsa_uses_dynamic_stack 0
		.amdhsa_enable_private_segment 0
		.amdhsa_system_sgpr_workgroup_id_x 1
		.amdhsa_system_sgpr_workgroup_id_y 0
		.amdhsa_system_sgpr_workgroup_id_z 0
		.amdhsa_system_sgpr_workgroup_info 0
		.amdhsa_system_vgpr_workitem_id 0
		.amdhsa_next_free_vgpr 1
		.amdhsa_next_free_sgpr 1
		.amdhsa_named_barrier_count 0
		.amdhsa_reserve_vcc 0
		.amdhsa_float_round_mode_32 0
		.amdhsa_float_round_mode_16_64 0
		.amdhsa_float_denorm_mode_32 3
		.amdhsa_float_denorm_mode_16_64 3
		.amdhsa_fp16_overflow 0
		.amdhsa_memory_ordered 1
		.amdhsa_forward_progress 1
		.amdhsa_inst_pref_size 0
		.amdhsa_round_robin_scheduling 0
		.amdhsa_exception_fp_ieee_invalid_op 0
		.amdhsa_exception_fp_denorm_src 0
		.amdhsa_exception_fp_ieee_div_zero 0
		.amdhsa_exception_fp_ieee_overflow 0
		.amdhsa_exception_fp_ieee_underflow 0
		.amdhsa_exception_fp_ieee_inexact 0
		.amdhsa_exception_int_div_zero 0
	.end_amdhsa_kernel
	.section	.text._ZN7rocprim17ROCPRIM_400000_NS6detail17trampoline_kernelINS0_14default_configENS1_27scan_by_key_config_selectorIj11FixedVectorIiLj2EEEEZZNS1_16scan_by_key_implILNS1_25lookback_scan_determinismE0ELb0ES3_N6thrust23THRUST_200600_302600_NS6detail15normal_iteratorINSB_10device_ptrIjEEEENSD_INSE_IS6_EEEESI_S6_NSB_4plusIvEENSB_8equal_toIvEES6_EE10hipError_tPvRmT2_T3_T4_T5_mT6_T7_P12ihipStream_tbENKUlT_T0_E_clISt17integral_constantIbLb0EES12_IbLb1EEEEDaSY_SZ_EUlSY_E_NS1_11comp_targetILNS1_3genE3ELNS1_11target_archE908ELNS1_3gpuE7ELNS1_3repE0EEENS1_30default_config_static_selectorELNS0_4arch9wavefront6targetE0EEEvT1_,"axG",@progbits,_ZN7rocprim17ROCPRIM_400000_NS6detail17trampoline_kernelINS0_14default_configENS1_27scan_by_key_config_selectorIj11FixedVectorIiLj2EEEEZZNS1_16scan_by_key_implILNS1_25lookback_scan_determinismE0ELb0ES3_N6thrust23THRUST_200600_302600_NS6detail15normal_iteratorINSB_10device_ptrIjEEEENSD_INSE_IS6_EEEESI_S6_NSB_4plusIvEENSB_8equal_toIvEES6_EE10hipError_tPvRmT2_T3_T4_T5_mT6_T7_P12ihipStream_tbENKUlT_T0_E_clISt17integral_constantIbLb0EES12_IbLb1EEEEDaSY_SZ_EUlSY_E_NS1_11comp_targetILNS1_3genE3ELNS1_11target_archE908ELNS1_3gpuE7ELNS1_3repE0EEENS1_30default_config_static_selectorELNS0_4arch9wavefront6targetE0EEEvT1_,comdat
.Lfunc_end1988:
	.size	_ZN7rocprim17ROCPRIM_400000_NS6detail17trampoline_kernelINS0_14default_configENS1_27scan_by_key_config_selectorIj11FixedVectorIiLj2EEEEZZNS1_16scan_by_key_implILNS1_25lookback_scan_determinismE0ELb0ES3_N6thrust23THRUST_200600_302600_NS6detail15normal_iteratorINSB_10device_ptrIjEEEENSD_INSE_IS6_EEEESI_S6_NSB_4plusIvEENSB_8equal_toIvEES6_EE10hipError_tPvRmT2_T3_T4_T5_mT6_T7_P12ihipStream_tbENKUlT_T0_E_clISt17integral_constantIbLb0EES12_IbLb1EEEEDaSY_SZ_EUlSY_E_NS1_11comp_targetILNS1_3genE3ELNS1_11target_archE908ELNS1_3gpuE7ELNS1_3repE0EEENS1_30default_config_static_selectorELNS0_4arch9wavefront6targetE0EEEvT1_, .Lfunc_end1988-_ZN7rocprim17ROCPRIM_400000_NS6detail17trampoline_kernelINS0_14default_configENS1_27scan_by_key_config_selectorIj11FixedVectorIiLj2EEEEZZNS1_16scan_by_key_implILNS1_25lookback_scan_determinismE0ELb0ES3_N6thrust23THRUST_200600_302600_NS6detail15normal_iteratorINSB_10device_ptrIjEEEENSD_INSE_IS6_EEEESI_S6_NSB_4plusIvEENSB_8equal_toIvEES6_EE10hipError_tPvRmT2_T3_T4_T5_mT6_T7_P12ihipStream_tbENKUlT_T0_E_clISt17integral_constantIbLb0EES12_IbLb1EEEEDaSY_SZ_EUlSY_E_NS1_11comp_targetILNS1_3genE3ELNS1_11target_archE908ELNS1_3gpuE7ELNS1_3repE0EEENS1_30default_config_static_selectorELNS0_4arch9wavefront6targetE0EEEvT1_
                                        ; -- End function
	.set _ZN7rocprim17ROCPRIM_400000_NS6detail17trampoline_kernelINS0_14default_configENS1_27scan_by_key_config_selectorIj11FixedVectorIiLj2EEEEZZNS1_16scan_by_key_implILNS1_25lookback_scan_determinismE0ELb0ES3_N6thrust23THRUST_200600_302600_NS6detail15normal_iteratorINSB_10device_ptrIjEEEENSD_INSE_IS6_EEEESI_S6_NSB_4plusIvEENSB_8equal_toIvEES6_EE10hipError_tPvRmT2_T3_T4_T5_mT6_T7_P12ihipStream_tbENKUlT_T0_E_clISt17integral_constantIbLb0EES12_IbLb1EEEEDaSY_SZ_EUlSY_E_NS1_11comp_targetILNS1_3genE3ELNS1_11target_archE908ELNS1_3gpuE7ELNS1_3repE0EEENS1_30default_config_static_selectorELNS0_4arch9wavefront6targetE0EEEvT1_.num_vgpr, 0
	.set _ZN7rocprim17ROCPRIM_400000_NS6detail17trampoline_kernelINS0_14default_configENS1_27scan_by_key_config_selectorIj11FixedVectorIiLj2EEEEZZNS1_16scan_by_key_implILNS1_25lookback_scan_determinismE0ELb0ES3_N6thrust23THRUST_200600_302600_NS6detail15normal_iteratorINSB_10device_ptrIjEEEENSD_INSE_IS6_EEEESI_S6_NSB_4plusIvEENSB_8equal_toIvEES6_EE10hipError_tPvRmT2_T3_T4_T5_mT6_T7_P12ihipStream_tbENKUlT_T0_E_clISt17integral_constantIbLb0EES12_IbLb1EEEEDaSY_SZ_EUlSY_E_NS1_11comp_targetILNS1_3genE3ELNS1_11target_archE908ELNS1_3gpuE7ELNS1_3repE0EEENS1_30default_config_static_selectorELNS0_4arch9wavefront6targetE0EEEvT1_.num_agpr, 0
	.set _ZN7rocprim17ROCPRIM_400000_NS6detail17trampoline_kernelINS0_14default_configENS1_27scan_by_key_config_selectorIj11FixedVectorIiLj2EEEEZZNS1_16scan_by_key_implILNS1_25lookback_scan_determinismE0ELb0ES3_N6thrust23THRUST_200600_302600_NS6detail15normal_iteratorINSB_10device_ptrIjEEEENSD_INSE_IS6_EEEESI_S6_NSB_4plusIvEENSB_8equal_toIvEES6_EE10hipError_tPvRmT2_T3_T4_T5_mT6_T7_P12ihipStream_tbENKUlT_T0_E_clISt17integral_constantIbLb0EES12_IbLb1EEEEDaSY_SZ_EUlSY_E_NS1_11comp_targetILNS1_3genE3ELNS1_11target_archE908ELNS1_3gpuE7ELNS1_3repE0EEENS1_30default_config_static_selectorELNS0_4arch9wavefront6targetE0EEEvT1_.numbered_sgpr, 0
	.set _ZN7rocprim17ROCPRIM_400000_NS6detail17trampoline_kernelINS0_14default_configENS1_27scan_by_key_config_selectorIj11FixedVectorIiLj2EEEEZZNS1_16scan_by_key_implILNS1_25lookback_scan_determinismE0ELb0ES3_N6thrust23THRUST_200600_302600_NS6detail15normal_iteratorINSB_10device_ptrIjEEEENSD_INSE_IS6_EEEESI_S6_NSB_4plusIvEENSB_8equal_toIvEES6_EE10hipError_tPvRmT2_T3_T4_T5_mT6_T7_P12ihipStream_tbENKUlT_T0_E_clISt17integral_constantIbLb0EES12_IbLb1EEEEDaSY_SZ_EUlSY_E_NS1_11comp_targetILNS1_3genE3ELNS1_11target_archE908ELNS1_3gpuE7ELNS1_3repE0EEENS1_30default_config_static_selectorELNS0_4arch9wavefront6targetE0EEEvT1_.num_named_barrier, 0
	.set _ZN7rocprim17ROCPRIM_400000_NS6detail17trampoline_kernelINS0_14default_configENS1_27scan_by_key_config_selectorIj11FixedVectorIiLj2EEEEZZNS1_16scan_by_key_implILNS1_25lookback_scan_determinismE0ELb0ES3_N6thrust23THRUST_200600_302600_NS6detail15normal_iteratorINSB_10device_ptrIjEEEENSD_INSE_IS6_EEEESI_S6_NSB_4plusIvEENSB_8equal_toIvEES6_EE10hipError_tPvRmT2_T3_T4_T5_mT6_T7_P12ihipStream_tbENKUlT_T0_E_clISt17integral_constantIbLb0EES12_IbLb1EEEEDaSY_SZ_EUlSY_E_NS1_11comp_targetILNS1_3genE3ELNS1_11target_archE908ELNS1_3gpuE7ELNS1_3repE0EEENS1_30default_config_static_selectorELNS0_4arch9wavefront6targetE0EEEvT1_.private_seg_size, 0
	.set _ZN7rocprim17ROCPRIM_400000_NS6detail17trampoline_kernelINS0_14default_configENS1_27scan_by_key_config_selectorIj11FixedVectorIiLj2EEEEZZNS1_16scan_by_key_implILNS1_25lookback_scan_determinismE0ELb0ES3_N6thrust23THRUST_200600_302600_NS6detail15normal_iteratorINSB_10device_ptrIjEEEENSD_INSE_IS6_EEEESI_S6_NSB_4plusIvEENSB_8equal_toIvEES6_EE10hipError_tPvRmT2_T3_T4_T5_mT6_T7_P12ihipStream_tbENKUlT_T0_E_clISt17integral_constantIbLb0EES12_IbLb1EEEEDaSY_SZ_EUlSY_E_NS1_11comp_targetILNS1_3genE3ELNS1_11target_archE908ELNS1_3gpuE7ELNS1_3repE0EEENS1_30default_config_static_selectorELNS0_4arch9wavefront6targetE0EEEvT1_.uses_vcc, 0
	.set _ZN7rocprim17ROCPRIM_400000_NS6detail17trampoline_kernelINS0_14default_configENS1_27scan_by_key_config_selectorIj11FixedVectorIiLj2EEEEZZNS1_16scan_by_key_implILNS1_25lookback_scan_determinismE0ELb0ES3_N6thrust23THRUST_200600_302600_NS6detail15normal_iteratorINSB_10device_ptrIjEEEENSD_INSE_IS6_EEEESI_S6_NSB_4plusIvEENSB_8equal_toIvEES6_EE10hipError_tPvRmT2_T3_T4_T5_mT6_T7_P12ihipStream_tbENKUlT_T0_E_clISt17integral_constantIbLb0EES12_IbLb1EEEEDaSY_SZ_EUlSY_E_NS1_11comp_targetILNS1_3genE3ELNS1_11target_archE908ELNS1_3gpuE7ELNS1_3repE0EEENS1_30default_config_static_selectorELNS0_4arch9wavefront6targetE0EEEvT1_.uses_flat_scratch, 0
	.set _ZN7rocprim17ROCPRIM_400000_NS6detail17trampoline_kernelINS0_14default_configENS1_27scan_by_key_config_selectorIj11FixedVectorIiLj2EEEEZZNS1_16scan_by_key_implILNS1_25lookback_scan_determinismE0ELb0ES3_N6thrust23THRUST_200600_302600_NS6detail15normal_iteratorINSB_10device_ptrIjEEEENSD_INSE_IS6_EEEESI_S6_NSB_4plusIvEENSB_8equal_toIvEES6_EE10hipError_tPvRmT2_T3_T4_T5_mT6_T7_P12ihipStream_tbENKUlT_T0_E_clISt17integral_constantIbLb0EES12_IbLb1EEEEDaSY_SZ_EUlSY_E_NS1_11comp_targetILNS1_3genE3ELNS1_11target_archE908ELNS1_3gpuE7ELNS1_3repE0EEENS1_30default_config_static_selectorELNS0_4arch9wavefront6targetE0EEEvT1_.has_dyn_sized_stack, 0
	.set _ZN7rocprim17ROCPRIM_400000_NS6detail17trampoline_kernelINS0_14default_configENS1_27scan_by_key_config_selectorIj11FixedVectorIiLj2EEEEZZNS1_16scan_by_key_implILNS1_25lookback_scan_determinismE0ELb0ES3_N6thrust23THRUST_200600_302600_NS6detail15normal_iteratorINSB_10device_ptrIjEEEENSD_INSE_IS6_EEEESI_S6_NSB_4plusIvEENSB_8equal_toIvEES6_EE10hipError_tPvRmT2_T3_T4_T5_mT6_T7_P12ihipStream_tbENKUlT_T0_E_clISt17integral_constantIbLb0EES12_IbLb1EEEEDaSY_SZ_EUlSY_E_NS1_11comp_targetILNS1_3genE3ELNS1_11target_archE908ELNS1_3gpuE7ELNS1_3repE0EEENS1_30default_config_static_selectorELNS0_4arch9wavefront6targetE0EEEvT1_.has_recursion, 0
	.set _ZN7rocprim17ROCPRIM_400000_NS6detail17trampoline_kernelINS0_14default_configENS1_27scan_by_key_config_selectorIj11FixedVectorIiLj2EEEEZZNS1_16scan_by_key_implILNS1_25lookback_scan_determinismE0ELb0ES3_N6thrust23THRUST_200600_302600_NS6detail15normal_iteratorINSB_10device_ptrIjEEEENSD_INSE_IS6_EEEESI_S6_NSB_4plusIvEENSB_8equal_toIvEES6_EE10hipError_tPvRmT2_T3_T4_T5_mT6_T7_P12ihipStream_tbENKUlT_T0_E_clISt17integral_constantIbLb0EES12_IbLb1EEEEDaSY_SZ_EUlSY_E_NS1_11comp_targetILNS1_3genE3ELNS1_11target_archE908ELNS1_3gpuE7ELNS1_3repE0EEENS1_30default_config_static_selectorELNS0_4arch9wavefront6targetE0EEEvT1_.has_indirect_call, 0
	.section	.AMDGPU.csdata,"",@progbits
; Kernel info:
; codeLenInByte = 0
; TotalNumSgprs: 0
; NumVgprs: 0
; ScratchSize: 0
; MemoryBound: 0
; FloatMode: 240
; IeeeMode: 1
; LDSByteSize: 0 bytes/workgroup (compile time only)
; SGPRBlocks: 0
; VGPRBlocks: 0
; NumSGPRsForWavesPerEU: 1
; NumVGPRsForWavesPerEU: 1
; NamedBarCnt: 0
; Occupancy: 16
; WaveLimiterHint : 0
; COMPUTE_PGM_RSRC2:SCRATCH_EN: 0
; COMPUTE_PGM_RSRC2:USER_SGPR: 2
; COMPUTE_PGM_RSRC2:TRAP_HANDLER: 0
; COMPUTE_PGM_RSRC2:TGID_X_EN: 1
; COMPUTE_PGM_RSRC2:TGID_Y_EN: 0
; COMPUTE_PGM_RSRC2:TGID_Z_EN: 0
; COMPUTE_PGM_RSRC2:TIDIG_COMP_CNT: 0
	.section	.text._ZN7rocprim17ROCPRIM_400000_NS6detail17trampoline_kernelINS0_14default_configENS1_27scan_by_key_config_selectorIj11FixedVectorIiLj2EEEEZZNS1_16scan_by_key_implILNS1_25lookback_scan_determinismE0ELb0ES3_N6thrust23THRUST_200600_302600_NS6detail15normal_iteratorINSB_10device_ptrIjEEEENSD_INSE_IS6_EEEESI_S6_NSB_4plusIvEENSB_8equal_toIvEES6_EE10hipError_tPvRmT2_T3_T4_T5_mT6_T7_P12ihipStream_tbENKUlT_T0_E_clISt17integral_constantIbLb0EES12_IbLb1EEEEDaSY_SZ_EUlSY_E_NS1_11comp_targetILNS1_3genE2ELNS1_11target_archE906ELNS1_3gpuE6ELNS1_3repE0EEENS1_30default_config_static_selectorELNS0_4arch9wavefront6targetE0EEEvT1_,"axG",@progbits,_ZN7rocprim17ROCPRIM_400000_NS6detail17trampoline_kernelINS0_14default_configENS1_27scan_by_key_config_selectorIj11FixedVectorIiLj2EEEEZZNS1_16scan_by_key_implILNS1_25lookback_scan_determinismE0ELb0ES3_N6thrust23THRUST_200600_302600_NS6detail15normal_iteratorINSB_10device_ptrIjEEEENSD_INSE_IS6_EEEESI_S6_NSB_4plusIvEENSB_8equal_toIvEES6_EE10hipError_tPvRmT2_T3_T4_T5_mT6_T7_P12ihipStream_tbENKUlT_T0_E_clISt17integral_constantIbLb0EES12_IbLb1EEEEDaSY_SZ_EUlSY_E_NS1_11comp_targetILNS1_3genE2ELNS1_11target_archE906ELNS1_3gpuE6ELNS1_3repE0EEENS1_30default_config_static_selectorELNS0_4arch9wavefront6targetE0EEEvT1_,comdat
	.protected	_ZN7rocprim17ROCPRIM_400000_NS6detail17trampoline_kernelINS0_14default_configENS1_27scan_by_key_config_selectorIj11FixedVectorIiLj2EEEEZZNS1_16scan_by_key_implILNS1_25lookback_scan_determinismE0ELb0ES3_N6thrust23THRUST_200600_302600_NS6detail15normal_iteratorINSB_10device_ptrIjEEEENSD_INSE_IS6_EEEESI_S6_NSB_4plusIvEENSB_8equal_toIvEES6_EE10hipError_tPvRmT2_T3_T4_T5_mT6_T7_P12ihipStream_tbENKUlT_T0_E_clISt17integral_constantIbLb0EES12_IbLb1EEEEDaSY_SZ_EUlSY_E_NS1_11comp_targetILNS1_3genE2ELNS1_11target_archE906ELNS1_3gpuE6ELNS1_3repE0EEENS1_30default_config_static_selectorELNS0_4arch9wavefront6targetE0EEEvT1_ ; -- Begin function _ZN7rocprim17ROCPRIM_400000_NS6detail17trampoline_kernelINS0_14default_configENS1_27scan_by_key_config_selectorIj11FixedVectorIiLj2EEEEZZNS1_16scan_by_key_implILNS1_25lookback_scan_determinismE0ELb0ES3_N6thrust23THRUST_200600_302600_NS6detail15normal_iteratorINSB_10device_ptrIjEEEENSD_INSE_IS6_EEEESI_S6_NSB_4plusIvEENSB_8equal_toIvEES6_EE10hipError_tPvRmT2_T3_T4_T5_mT6_T7_P12ihipStream_tbENKUlT_T0_E_clISt17integral_constantIbLb0EES12_IbLb1EEEEDaSY_SZ_EUlSY_E_NS1_11comp_targetILNS1_3genE2ELNS1_11target_archE906ELNS1_3gpuE6ELNS1_3repE0EEENS1_30default_config_static_selectorELNS0_4arch9wavefront6targetE0EEEvT1_
	.globl	_ZN7rocprim17ROCPRIM_400000_NS6detail17trampoline_kernelINS0_14default_configENS1_27scan_by_key_config_selectorIj11FixedVectorIiLj2EEEEZZNS1_16scan_by_key_implILNS1_25lookback_scan_determinismE0ELb0ES3_N6thrust23THRUST_200600_302600_NS6detail15normal_iteratorINSB_10device_ptrIjEEEENSD_INSE_IS6_EEEESI_S6_NSB_4plusIvEENSB_8equal_toIvEES6_EE10hipError_tPvRmT2_T3_T4_T5_mT6_T7_P12ihipStream_tbENKUlT_T0_E_clISt17integral_constantIbLb0EES12_IbLb1EEEEDaSY_SZ_EUlSY_E_NS1_11comp_targetILNS1_3genE2ELNS1_11target_archE906ELNS1_3gpuE6ELNS1_3repE0EEENS1_30default_config_static_selectorELNS0_4arch9wavefront6targetE0EEEvT1_
	.p2align	8
	.type	_ZN7rocprim17ROCPRIM_400000_NS6detail17trampoline_kernelINS0_14default_configENS1_27scan_by_key_config_selectorIj11FixedVectorIiLj2EEEEZZNS1_16scan_by_key_implILNS1_25lookback_scan_determinismE0ELb0ES3_N6thrust23THRUST_200600_302600_NS6detail15normal_iteratorINSB_10device_ptrIjEEEENSD_INSE_IS6_EEEESI_S6_NSB_4plusIvEENSB_8equal_toIvEES6_EE10hipError_tPvRmT2_T3_T4_T5_mT6_T7_P12ihipStream_tbENKUlT_T0_E_clISt17integral_constantIbLb0EES12_IbLb1EEEEDaSY_SZ_EUlSY_E_NS1_11comp_targetILNS1_3genE2ELNS1_11target_archE906ELNS1_3gpuE6ELNS1_3repE0EEENS1_30default_config_static_selectorELNS0_4arch9wavefront6targetE0EEEvT1_,@function
_ZN7rocprim17ROCPRIM_400000_NS6detail17trampoline_kernelINS0_14default_configENS1_27scan_by_key_config_selectorIj11FixedVectorIiLj2EEEEZZNS1_16scan_by_key_implILNS1_25lookback_scan_determinismE0ELb0ES3_N6thrust23THRUST_200600_302600_NS6detail15normal_iteratorINSB_10device_ptrIjEEEENSD_INSE_IS6_EEEESI_S6_NSB_4plusIvEENSB_8equal_toIvEES6_EE10hipError_tPvRmT2_T3_T4_T5_mT6_T7_P12ihipStream_tbENKUlT_T0_E_clISt17integral_constantIbLb0EES12_IbLb1EEEEDaSY_SZ_EUlSY_E_NS1_11comp_targetILNS1_3genE2ELNS1_11target_archE906ELNS1_3gpuE6ELNS1_3repE0EEENS1_30default_config_static_selectorELNS0_4arch9wavefront6targetE0EEEvT1_: ; @_ZN7rocprim17ROCPRIM_400000_NS6detail17trampoline_kernelINS0_14default_configENS1_27scan_by_key_config_selectorIj11FixedVectorIiLj2EEEEZZNS1_16scan_by_key_implILNS1_25lookback_scan_determinismE0ELb0ES3_N6thrust23THRUST_200600_302600_NS6detail15normal_iteratorINSB_10device_ptrIjEEEENSD_INSE_IS6_EEEESI_S6_NSB_4plusIvEENSB_8equal_toIvEES6_EE10hipError_tPvRmT2_T3_T4_T5_mT6_T7_P12ihipStream_tbENKUlT_T0_E_clISt17integral_constantIbLb0EES12_IbLb1EEEEDaSY_SZ_EUlSY_E_NS1_11comp_targetILNS1_3genE2ELNS1_11target_archE906ELNS1_3gpuE6ELNS1_3repE0EEENS1_30default_config_static_selectorELNS0_4arch9wavefront6targetE0EEEvT1_
; %bb.0:
	.section	.rodata,"a",@progbits
	.p2align	6, 0x0
	.amdhsa_kernel _ZN7rocprim17ROCPRIM_400000_NS6detail17trampoline_kernelINS0_14default_configENS1_27scan_by_key_config_selectorIj11FixedVectorIiLj2EEEEZZNS1_16scan_by_key_implILNS1_25lookback_scan_determinismE0ELb0ES3_N6thrust23THRUST_200600_302600_NS6detail15normal_iteratorINSB_10device_ptrIjEEEENSD_INSE_IS6_EEEESI_S6_NSB_4plusIvEENSB_8equal_toIvEES6_EE10hipError_tPvRmT2_T3_T4_T5_mT6_T7_P12ihipStream_tbENKUlT_T0_E_clISt17integral_constantIbLb0EES12_IbLb1EEEEDaSY_SZ_EUlSY_E_NS1_11comp_targetILNS1_3genE2ELNS1_11target_archE906ELNS1_3gpuE6ELNS1_3repE0EEENS1_30default_config_static_selectorELNS0_4arch9wavefront6targetE0EEEvT1_
		.amdhsa_group_segment_fixed_size 0
		.amdhsa_private_segment_fixed_size 0
		.amdhsa_kernarg_size 120
		.amdhsa_user_sgpr_count 2
		.amdhsa_user_sgpr_dispatch_ptr 0
		.amdhsa_user_sgpr_queue_ptr 0
		.amdhsa_user_sgpr_kernarg_segment_ptr 1
		.amdhsa_user_sgpr_dispatch_id 0
		.amdhsa_user_sgpr_kernarg_preload_length 0
		.amdhsa_user_sgpr_kernarg_preload_offset 0
		.amdhsa_user_sgpr_private_segment_size 0
		.amdhsa_wavefront_size32 1
		.amdhsa_uses_dynamic_stack 0
		.amdhsa_enable_private_segment 0
		.amdhsa_system_sgpr_workgroup_id_x 1
		.amdhsa_system_sgpr_workgroup_id_y 0
		.amdhsa_system_sgpr_workgroup_id_z 0
		.amdhsa_system_sgpr_workgroup_info 0
		.amdhsa_system_vgpr_workitem_id 0
		.amdhsa_next_free_vgpr 1
		.amdhsa_next_free_sgpr 1
		.amdhsa_named_barrier_count 0
		.amdhsa_reserve_vcc 0
		.amdhsa_float_round_mode_32 0
		.amdhsa_float_round_mode_16_64 0
		.amdhsa_float_denorm_mode_32 3
		.amdhsa_float_denorm_mode_16_64 3
		.amdhsa_fp16_overflow 0
		.amdhsa_memory_ordered 1
		.amdhsa_forward_progress 1
		.amdhsa_inst_pref_size 0
		.amdhsa_round_robin_scheduling 0
		.amdhsa_exception_fp_ieee_invalid_op 0
		.amdhsa_exception_fp_denorm_src 0
		.amdhsa_exception_fp_ieee_div_zero 0
		.amdhsa_exception_fp_ieee_overflow 0
		.amdhsa_exception_fp_ieee_underflow 0
		.amdhsa_exception_fp_ieee_inexact 0
		.amdhsa_exception_int_div_zero 0
	.end_amdhsa_kernel
	.section	.text._ZN7rocprim17ROCPRIM_400000_NS6detail17trampoline_kernelINS0_14default_configENS1_27scan_by_key_config_selectorIj11FixedVectorIiLj2EEEEZZNS1_16scan_by_key_implILNS1_25lookback_scan_determinismE0ELb0ES3_N6thrust23THRUST_200600_302600_NS6detail15normal_iteratorINSB_10device_ptrIjEEEENSD_INSE_IS6_EEEESI_S6_NSB_4plusIvEENSB_8equal_toIvEES6_EE10hipError_tPvRmT2_T3_T4_T5_mT6_T7_P12ihipStream_tbENKUlT_T0_E_clISt17integral_constantIbLb0EES12_IbLb1EEEEDaSY_SZ_EUlSY_E_NS1_11comp_targetILNS1_3genE2ELNS1_11target_archE906ELNS1_3gpuE6ELNS1_3repE0EEENS1_30default_config_static_selectorELNS0_4arch9wavefront6targetE0EEEvT1_,"axG",@progbits,_ZN7rocprim17ROCPRIM_400000_NS6detail17trampoline_kernelINS0_14default_configENS1_27scan_by_key_config_selectorIj11FixedVectorIiLj2EEEEZZNS1_16scan_by_key_implILNS1_25lookback_scan_determinismE0ELb0ES3_N6thrust23THRUST_200600_302600_NS6detail15normal_iteratorINSB_10device_ptrIjEEEENSD_INSE_IS6_EEEESI_S6_NSB_4plusIvEENSB_8equal_toIvEES6_EE10hipError_tPvRmT2_T3_T4_T5_mT6_T7_P12ihipStream_tbENKUlT_T0_E_clISt17integral_constantIbLb0EES12_IbLb1EEEEDaSY_SZ_EUlSY_E_NS1_11comp_targetILNS1_3genE2ELNS1_11target_archE906ELNS1_3gpuE6ELNS1_3repE0EEENS1_30default_config_static_selectorELNS0_4arch9wavefront6targetE0EEEvT1_,comdat
.Lfunc_end1989:
	.size	_ZN7rocprim17ROCPRIM_400000_NS6detail17trampoline_kernelINS0_14default_configENS1_27scan_by_key_config_selectorIj11FixedVectorIiLj2EEEEZZNS1_16scan_by_key_implILNS1_25lookback_scan_determinismE0ELb0ES3_N6thrust23THRUST_200600_302600_NS6detail15normal_iteratorINSB_10device_ptrIjEEEENSD_INSE_IS6_EEEESI_S6_NSB_4plusIvEENSB_8equal_toIvEES6_EE10hipError_tPvRmT2_T3_T4_T5_mT6_T7_P12ihipStream_tbENKUlT_T0_E_clISt17integral_constantIbLb0EES12_IbLb1EEEEDaSY_SZ_EUlSY_E_NS1_11comp_targetILNS1_3genE2ELNS1_11target_archE906ELNS1_3gpuE6ELNS1_3repE0EEENS1_30default_config_static_selectorELNS0_4arch9wavefront6targetE0EEEvT1_, .Lfunc_end1989-_ZN7rocprim17ROCPRIM_400000_NS6detail17trampoline_kernelINS0_14default_configENS1_27scan_by_key_config_selectorIj11FixedVectorIiLj2EEEEZZNS1_16scan_by_key_implILNS1_25lookback_scan_determinismE0ELb0ES3_N6thrust23THRUST_200600_302600_NS6detail15normal_iteratorINSB_10device_ptrIjEEEENSD_INSE_IS6_EEEESI_S6_NSB_4plusIvEENSB_8equal_toIvEES6_EE10hipError_tPvRmT2_T3_T4_T5_mT6_T7_P12ihipStream_tbENKUlT_T0_E_clISt17integral_constantIbLb0EES12_IbLb1EEEEDaSY_SZ_EUlSY_E_NS1_11comp_targetILNS1_3genE2ELNS1_11target_archE906ELNS1_3gpuE6ELNS1_3repE0EEENS1_30default_config_static_selectorELNS0_4arch9wavefront6targetE0EEEvT1_
                                        ; -- End function
	.set _ZN7rocprim17ROCPRIM_400000_NS6detail17trampoline_kernelINS0_14default_configENS1_27scan_by_key_config_selectorIj11FixedVectorIiLj2EEEEZZNS1_16scan_by_key_implILNS1_25lookback_scan_determinismE0ELb0ES3_N6thrust23THRUST_200600_302600_NS6detail15normal_iteratorINSB_10device_ptrIjEEEENSD_INSE_IS6_EEEESI_S6_NSB_4plusIvEENSB_8equal_toIvEES6_EE10hipError_tPvRmT2_T3_T4_T5_mT6_T7_P12ihipStream_tbENKUlT_T0_E_clISt17integral_constantIbLb0EES12_IbLb1EEEEDaSY_SZ_EUlSY_E_NS1_11comp_targetILNS1_3genE2ELNS1_11target_archE906ELNS1_3gpuE6ELNS1_3repE0EEENS1_30default_config_static_selectorELNS0_4arch9wavefront6targetE0EEEvT1_.num_vgpr, 0
	.set _ZN7rocprim17ROCPRIM_400000_NS6detail17trampoline_kernelINS0_14default_configENS1_27scan_by_key_config_selectorIj11FixedVectorIiLj2EEEEZZNS1_16scan_by_key_implILNS1_25lookback_scan_determinismE0ELb0ES3_N6thrust23THRUST_200600_302600_NS6detail15normal_iteratorINSB_10device_ptrIjEEEENSD_INSE_IS6_EEEESI_S6_NSB_4plusIvEENSB_8equal_toIvEES6_EE10hipError_tPvRmT2_T3_T4_T5_mT6_T7_P12ihipStream_tbENKUlT_T0_E_clISt17integral_constantIbLb0EES12_IbLb1EEEEDaSY_SZ_EUlSY_E_NS1_11comp_targetILNS1_3genE2ELNS1_11target_archE906ELNS1_3gpuE6ELNS1_3repE0EEENS1_30default_config_static_selectorELNS0_4arch9wavefront6targetE0EEEvT1_.num_agpr, 0
	.set _ZN7rocprim17ROCPRIM_400000_NS6detail17trampoline_kernelINS0_14default_configENS1_27scan_by_key_config_selectorIj11FixedVectorIiLj2EEEEZZNS1_16scan_by_key_implILNS1_25lookback_scan_determinismE0ELb0ES3_N6thrust23THRUST_200600_302600_NS6detail15normal_iteratorINSB_10device_ptrIjEEEENSD_INSE_IS6_EEEESI_S6_NSB_4plusIvEENSB_8equal_toIvEES6_EE10hipError_tPvRmT2_T3_T4_T5_mT6_T7_P12ihipStream_tbENKUlT_T0_E_clISt17integral_constantIbLb0EES12_IbLb1EEEEDaSY_SZ_EUlSY_E_NS1_11comp_targetILNS1_3genE2ELNS1_11target_archE906ELNS1_3gpuE6ELNS1_3repE0EEENS1_30default_config_static_selectorELNS0_4arch9wavefront6targetE0EEEvT1_.numbered_sgpr, 0
	.set _ZN7rocprim17ROCPRIM_400000_NS6detail17trampoline_kernelINS0_14default_configENS1_27scan_by_key_config_selectorIj11FixedVectorIiLj2EEEEZZNS1_16scan_by_key_implILNS1_25lookback_scan_determinismE0ELb0ES3_N6thrust23THRUST_200600_302600_NS6detail15normal_iteratorINSB_10device_ptrIjEEEENSD_INSE_IS6_EEEESI_S6_NSB_4plusIvEENSB_8equal_toIvEES6_EE10hipError_tPvRmT2_T3_T4_T5_mT6_T7_P12ihipStream_tbENKUlT_T0_E_clISt17integral_constantIbLb0EES12_IbLb1EEEEDaSY_SZ_EUlSY_E_NS1_11comp_targetILNS1_3genE2ELNS1_11target_archE906ELNS1_3gpuE6ELNS1_3repE0EEENS1_30default_config_static_selectorELNS0_4arch9wavefront6targetE0EEEvT1_.num_named_barrier, 0
	.set _ZN7rocprim17ROCPRIM_400000_NS6detail17trampoline_kernelINS0_14default_configENS1_27scan_by_key_config_selectorIj11FixedVectorIiLj2EEEEZZNS1_16scan_by_key_implILNS1_25lookback_scan_determinismE0ELb0ES3_N6thrust23THRUST_200600_302600_NS6detail15normal_iteratorINSB_10device_ptrIjEEEENSD_INSE_IS6_EEEESI_S6_NSB_4plusIvEENSB_8equal_toIvEES6_EE10hipError_tPvRmT2_T3_T4_T5_mT6_T7_P12ihipStream_tbENKUlT_T0_E_clISt17integral_constantIbLb0EES12_IbLb1EEEEDaSY_SZ_EUlSY_E_NS1_11comp_targetILNS1_3genE2ELNS1_11target_archE906ELNS1_3gpuE6ELNS1_3repE0EEENS1_30default_config_static_selectorELNS0_4arch9wavefront6targetE0EEEvT1_.private_seg_size, 0
	.set _ZN7rocprim17ROCPRIM_400000_NS6detail17trampoline_kernelINS0_14default_configENS1_27scan_by_key_config_selectorIj11FixedVectorIiLj2EEEEZZNS1_16scan_by_key_implILNS1_25lookback_scan_determinismE0ELb0ES3_N6thrust23THRUST_200600_302600_NS6detail15normal_iteratorINSB_10device_ptrIjEEEENSD_INSE_IS6_EEEESI_S6_NSB_4plusIvEENSB_8equal_toIvEES6_EE10hipError_tPvRmT2_T3_T4_T5_mT6_T7_P12ihipStream_tbENKUlT_T0_E_clISt17integral_constantIbLb0EES12_IbLb1EEEEDaSY_SZ_EUlSY_E_NS1_11comp_targetILNS1_3genE2ELNS1_11target_archE906ELNS1_3gpuE6ELNS1_3repE0EEENS1_30default_config_static_selectorELNS0_4arch9wavefront6targetE0EEEvT1_.uses_vcc, 0
	.set _ZN7rocprim17ROCPRIM_400000_NS6detail17trampoline_kernelINS0_14default_configENS1_27scan_by_key_config_selectorIj11FixedVectorIiLj2EEEEZZNS1_16scan_by_key_implILNS1_25lookback_scan_determinismE0ELb0ES3_N6thrust23THRUST_200600_302600_NS6detail15normal_iteratorINSB_10device_ptrIjEEEENSD_INSE_IS6_EEEESI_S6_NSB_4plusIvEENSB_8equal_toIvEES6_EE10hipError_tPvRmT2_T3_T4_T5_mT6_T7_P12ihipStream_tbENKUlT_T0_E_clISt17integral_constantIbLb0EES12_IbLb1EEEEDaSY_SZ_EUlSY_E_NS1_11comp_targetILNS1_3genE2ELNS1_11target_archE906ELNS1_3gpuE6ELNS1_3repE0EEENS1_30default_config_static_selectorELNS0_4arch9wavefront6targetE0EEEvT1_.uses_flat_scratch, 0
	.set _ZN7rocprim17ROCPRIM_400000_NS6detail17trampoline_kernelINS0_14default_configENS1_27scan_by_key_config_selectorIj11FixedVectorIiLj2EEEEZZNS1_16scan_by_key_implILNS1_25lookback_scan_determinismE0ELb0ES3_N6thrust23THRUST_200600_302600_NS6detail15normal_iteratorINSB_10device_ptrIjEEEENSD_INSE_IS6_EEEESI_S6_NSB_4plusIvEENSB_8equal_toIvEES6_EE10hipError_tPvRmT2_T3_T4_T5_mT6_T7_P12ihipStream_tbENKUlT_T0_E_clISt17integral_constantIbLb0EES12_IbLb1EEEEDaSY_SZ_EUlSY_E_NS1_11comp_targetILNS1_3genE2ELNS1_11target_archE906ELNS1_3gpuE6ELNS1_3repE0EEENS1_30default_config_static_selectorELNS0_4arch9wavefront6targetE0EEEvT1_.has_dyn_sized_stack, 0
	.set _ZN7rocprim17ROCPRIM_400000_NS6detail17trampoline_kernelINS0_14default_configENS1_27scan_by_key_config_selectorIj11FixedVectorIiLj2EEEEZZNS1_16scan_by_key_implILNS1_25lookback_scan_determinismE0ELb0ES3_N6thrust23THRUST_200600_302600_NS6detail15normal_iteratorINSB_10device_ptrIjEEEENSD_INSE_IS6_EEEESI_S6_NSB_4plusIvEENSB_8equal_toIvEES6_EE10hipError_tPvRmT2_T3_T4_T5_mT6_T7_P12ihipStream_tbENKUlT_T0_E_clISt17integral_constantIbLb0EES12_IbLb1EEEEDaSY_SZ_EUlSY_E_NS1_11comp_targetILNS1_3genE2ELNS1_11target_archE906ELNS1_3gpuE6ELNS1_3repE0EEENS1_30default_config_static_selectorELNS0_4arch9wavefront6targetE0EEEvT1_.has_recursion, 0
	.set _ZN7rocprim17ROCPRIM_400000_NS6detail17trampoline_kernelINS0_14default_configENS1_27scan_by_key_config_selectorIj11FixedVectorIiLj2EEEEZZNS1_16scan_by_key_implILNS1_25lookback_scan_determinismE0ELb0ES3_N6thrust23THRUST_200600_302600_NS6detail15normal_iteratorINSB_10device_ptrIjEEEENSD_INSE_IS6_EEEESI_S6_NSB_4plusIvEENSB_8equal_toIvEES6_EE10hipError_tPvRmT2_T3_T4_T5_mT6_T7_P12ihipStream_tbENKUlT_T0_E_clISt17integral_constantIbLb0EES12_IbLb1EEEEDaSY_SZ_EUlSY_E_NS1_11comp_targetILNS1_3genE2ELNS1_11target_archE906ELNS1_3gpuE6ELNS1_3repE0EEENS1_30default_config_static_selectorELNS0_4arch9wavefront6targetE0EEEvT1_.has_indirect_call, 0
	.section	.AMDGPU.csdata,"",@progbits
; Kernel info:
; codeLenInByte = 0
; TotalNumSgprs: 0
; NumVgprs: 0
; ScratchSize: 0
; MemoryBound: 0
; FloatMode: 240
; IeeeMode: 1
; LDSByteSize: 0 bytes/workgroup (compile time only)
; SGPRBlocks: 0
; VGPRBlocks: 0
; NumSGPRsForWavesPerEU: 1
; NumVGPRsForWavesPerEU: 1
; NamedBarCnt: 0
; Occupancy: 16
; WaveLimiterHint : 0
; COMPUTE_PGM_RSRC2:SCRATCH_EN: 0
; COMPUTE_PGM_RSRC2:USER_SGPR: 2
; COMPUTE_PGM_RSRC2:TRAP_HANDLER: 0
; COMPUTE_PGM_RSRC2:TGID_X_EN: 1
; COMPUTE_PGM_RSRC2:TGID_Y_EN: 0
; COMPUTE_PGM_RSRC2:TGID_Z_EN: 0
; COMPUTE_PGM_RSRC2:TIDIG_COMP_CNT: 0
	.section	.text._ZN7rocprim17ROCPRIM_400000_NS6detail17trampoline_kernelINS0_14default_configENS1_27scan_by_key_config_selectorIj11FixedVectorIiLj2EEEEZZNS1_16scan_by_key_implILNS1_25lookback_scan_determinismE0ELb0ES3_N6thrust23THRUST_200600_302600_NS6detail15normal_iteratorINSB_10device_ptrIjEEEENSD_INSE_IS6_EEEESI_S6_NSB_4plusIvEENSB_8equal_toIvEES6_EE10hipError_tPvRmT2_T3_T4_T5_mT6_T7_P12ihipStream_tbENKUlT_T0_E_clISt17integral_constantIbLb0EES12_IbLb1EEEEDaSY_SZ_EUlSY_E_NS1_11comp_targetILNS1_3genE10ELNS1_11target_archE1200ELNS1_3gpuE4ELNS1_3repE0EEENS1_30default_config_static_selectorELNS0_4arch9wavefront6targetE0EEEvT1_,"axG",@progbits,_ZN7rocprim17ROCPRIM_400000_NS6detail17trampoline_kernelINS0_14default_configENS1_27scan_by_key_config_selectorIj11FixedVectorIiLj2EEEEZZNS1_16scan_by_key_implILNS1_25lookback_scan_determinismE0ELb0ES3_N6thrust23THRUST_200600_302600_NS6detail15normal_iteratorINSB_10device_ptrIjEEEENSD_INSE_IS6_EEEESI_S6_NSB_4plusIvEENSB_8equal_toIvEES6_EE10hipError_tPvRmT2_T3_T4_T5_mT6_T7_P12ihipStream_tbENKUlT_T0_E_clISt17integral_constantIbLb0EES12_IbLb1EEEEDaSY_SZ_EUlSY_E_NS1_11comp_targetILNS1_3genE10ELNS1_11target_archE1200ELNS1_3gpuE4ELNS1_3repE0EEENS1_30default_config_static_selectorELNS0_4arch9wavefront6targetE0EEEvT1_,comdat
	.protected	_ZN7rocprim17ROCPRIM_400000_NS6detail17trampoline_kernelINS0_14default_configENS1_27scan_by_key_config_selectorIj11FixedVectorIiLj2EEEEZZNS1_16scan_by_key_implILNS1_25lookback_scan_determinismE0ELb0ES3_N6thrust23THRUST_200600_302600_NS6detail15normal_iteratorINSB_10device_ptrIjEEEENSD_INSE_IS6_EEEESI_S6_NSB_4plusIvEENSB_8equal_toIvEES6_EE10hipError_tPvRmT2_T3_T4_T5_mT6_T7_P12ihipStream_tbENKUlT_T0_E_clISt17integral_constantIbLb0EES12_IbLb1EEEEDaSY_SZ_EUlSY_E_NS1_11comp_targetILNS1_3genE10ELNS1_11target_archE1200ELNS1_3gpuE4ELNS1_3repE0EEENS1_30default_config_static_selectorELNS0_4arch9wavefront6targetE0EEEvT1_ ; -- Begin function _ZN7rocprim17ROCPRIM_400000_NS6detail17trampoline_kernelINS0_14default_configENS1_27scan_by_key_config_selectorIj11FixedVectorIiLj2EEEEZZNS1_16scan_by_key_implILNS1_25lookback_scan_determinismE0ELb0ES3_N6thrust23THRUST_200600_302600_NS6detail15normal_iteratorINSB_10device_ptrIjEEEENSD_INSE_IS6_EEEESI_S6_NSB_4plusIvEENSB_8equal_toIvEES6_EE10hipError_tPvRmT2_T3_T4_T5_mT6_T7_P12ihipStream_tbENKUlT_T0_E_clISt17integral_constantIbLb0EES12_IbLb1EEEEDaSY_SZ_EUlSY_E_NS1_11comp_targetILNS1_3genE10ELNS1_11target_archE1200ELNS1_3gpuE4ELNS1_3repE0EEENS1_30default_config_static_selectorELNS0_4arch9wavefront6targetE0EEEvT1_
	.globl	_ZN7rocprim17ROCPRIM_400000_NS6detail17trampoline_kernelINS0_14default_configENS1_27scan_by_key_config_selectorIj11FixedVectorIiLj2EEEEZZNS1_16scan_by_key_implILNS1_25lookback_scan_determinismE0ELb0ES3_N6thrust23THRUST_200600_302600_NS6detail15normal_iteratorINSB_10device_ptrIjEEEENSD_INSE_IS6_EEEESI_S6_NSB_4plusIvEENSB_8equal_toIvEES6_EE10hipError_tPvRmT2_T3_T4_T5_mT6_T7_P12ihipStream_tbENKUlT_T0_E_clISt17integral_constantIbLb0EES12_IbLb1EEEEDaSY_SZ_EUlSY_E_NS1_11comp_targetILNS1_3genE10ELNS1_11target_archE1200ELNS1_3gpuE4ELNS1_3repE0EEENS1_30default_config_static_selectorELNS0_4arch9wavefront6targetE0EEEvT1_
	.p2align	8
	.type	_ZN7rocprim17ROCPRIM_400000_NS6detail17trampoline_kernelINS0_14default_configENS1_27scan_by_key_config_selectorIj11FixedVectorIiLj2EEEEZZNS1_16scan_by_key_implILNS1_25lookback_scan_determinismE0ELb0ES3_N6thrust23THRUST_200600_302600_NS6detail15normal_iteratorINSB_10device_ptrIjEEEENSD_INSE_IS6_EEEESI_S6_NSB_4plusIvEENSB_8equal_toIvEES6_EE10hipError_tPvRmT2_T3_T4_T5_mT6_T7_P12ihipStream_tbENKUlT_T0_E_clISt17integral_constantIbLb0EES12_IbLb1EEEEDaSY_SZ_EUlSY_E_NS1_11comp_targetILNS1_3genE10ELNS1_11target_archE1200ELNS1_3gpuE4ELNS1_3repE0EEENS1_30default_config_static_selectorELNS0_4arch9wavefront6targetE0EEEvT1_,@function
_ZN7rocprim17ROCPRIM_400000_NS6detail17trampoline_kernelINS0_14default_configENS1_27scan_by_key_config_selectorIj11FixedVectorIiLj2EEEEZZNS1_16scan_by_key_implILNS1_25lookback_scan_determinismE0ELb0ES3_N6thrust23THRUST_200600_302600_NS6detail15normal_iteratorINSB_10device_ptrIjEEEENSD_INSE_IS6_EEEESI_S6_NSB_4plusIvEENSB_8equal_toIvEES6_EE10hipError_tPvRmT2_T3_T4_T5_mT6_T7_P12ihipStream_tbENKUlT_T0_E_clISt17integral_constantIbLb0EES12_IbLb1EEEEDaSY_SZ_EUlSY_E_NS1_11comp_targetILNS1_3genE10ELNS1_11target_archE1200ELNS1_3gpuE4ELNS1_3repE0EEENS1_30default_config_static_selectorELNS0_4arch9wavefront6targetE0EEEvT1_: ; @_ZN7rocprim17ROCPRIM_400000_NS6detail17trampoline_kernelINS0_14default_configENS1_27scan_by_key_config_selectorIj11FixedVectorIiLj2EEEEZZNS1_16scan_by_key_implILNS1_25lookback_scan_determinismE0ELb0ES3_N6thrust23THRUST_200600_302600_NS6detail15normal_iteratorINSB_10device_ptrIjEEEENSD_INSE_IS6_EEEESI_S6_NSB_4plusIvEENSB_8equal_toIvEES6_EE10hipError_tPvRmT2_T3_T4_T5_mT6_T7_P12ihipStream_tbENKUlT_T0_E_clISt17integral_constantIbLb0EES12_IbLb1EEEEDaSY_SZ_EUlSY_E_NS1_11comp_targetILNS1_3genE10ELNS1_11target_archE1200ELNS1_3gpuE4ELNS1_3repE0EEENS1_30default_config_static_selectorELNS0_4arch9wavefront6targetE0EEEvT1_
; %bb.0:
	.section	.rodata,"a",@progbits
	.p2align	6, 0x0
	.amdhsa_kernel _ZN7rocprim17ROCPRIM_400000_NS6detail17trampoline_kernelINS0_14default_configENS1_27scan_by_key_config_selectorIj11FixedVectorIiLj2EEEEZZNS1_16scan_by_key_implILNS1_25lookback_scan_determinismE0ELb0ES3_N6thrust23THRUST_200600_302600_NS6detail15normal_iteratorINSB_10device_ptrIjEEEENSD_INSE_IS6_EEEESI_S6_NSB_4plusIvEENSB_8equal_toIvEES6_EE10hipError_tPvRmT2_T3_T4_T5_mT6_T7_P12ihipStream_tbENKUlT_T0_E_clISt17integral_constantIbLb0EES12_IbLb1EEEEDaSY_SZ_EUlSY_E_NS1_11comp_targetILNS1_3genE10ELNS1_11target_archE1200ELNS1_3gpuE4ELNS1_3repE0EEENS1_30default_config_static_selectorELNS0_4arch9wavefront6targetE0EEEvT1_
		.amdhsa_group_segment_fixed_size 0
		.amdhsa_private_segment_fixed_size 0
		.amdhsa_kernarg_size 120
		.amdhsa_user_sgpr_count 2
		.amdhsa_user_sgpr_dispatch_ptr 0
		.amdhsa_user_sgpr_queue_ptr 0
		.amdhsa_user_sgpr_kernarg_segment_ptr 1
		.amdhsa_user_sgpr_dispatch_id 0
		.amdhsa_user_sgpr_kernarg_preload_length 0
		.amdhsa_user_sgpr_kernarg_preload_offset 0
		.amdhsa_user_sgpr_private_segment_size 0
		.amdhsa_wavefront_size32 1
		.amdhsa_uses_dynamic_stack 0
		.amdhsa_enable_private_segment 0
		.amdhsa_system_sgpr_workgroup_id_x 1
		.amdhsa_system_sgpr_workgroup_id_y 0
		.amdhsa_system_sgpr_workgroup_id_z 0
		.amdhsa_system_sgpr_workgroup_info 0
		.amdhsa_system_vgpr_workitem_id 0
		.amdhsa_next_free_vgpr 1
		.amdhsa_next_free_sgpr 1
		.amdhsa_named_barrier_count 0
		.amdhsa_reserve_vcc 0
		.amdhsa_float_round_mode_32 0
		.amdhsa_float_round_mode_16_64 0
		.amdhsa_float_denorm_mode_32 3
		.amdhsa_float_denorm_mode_16_64 3
		.amdhsa_fp16_overflow 0
		.amdhsa_memory_ordered 1
		.amdhsa_forward_progress 1
		.amdhsa_inst_pref_size 0
		.amdhsa_round_robin_scheduling 0
		.amdhsa_exception_fp_ieee_invalid_op 0
		.amdhsa_exception_fp_denorm_src 0
		.amdhsa_exception_fp_ieee_div_zero 0
		.amdhsa_exception_fp_ieee_overflow 0
		.amdhsa_exception_fp_ieee_underflow 0
		.amdhsa_exception_fp_ieee_inexact 0
		.amdhsa_exception_int_div_zero 0
	.end_amdhsa_kernel
	.section	.text._ZN7rocprim17ROCPRIM_400000_NS6detail17trampoline_kernelINS0_14default_configENS1_27scan_by_key_config_selectorIj11FixedVectorIiLj2EEEEZZNS1_16scan_by_key_implILNS1_25lookback_scan_determinismE0ELb0ES3_N6thrust23THRUST_200600_302600_NS6detail15normal_iteratorINSB_10device_ptrIjEEEENSD_INSE_IS6_EEEESI_S6_NSB_4plusIvEENSB_8equal_toIvEES6_EE10hipError_tPvRmT2_T3_T4_T5_mT6_T7_P12ihipStream_tbENKUlT_T0_E_clISt17integral_constantIbLb0EES12_IbLb1EEEEDaSY_SZ_EUlSY_E_NS1_11comp_targetILNS1_3genE10ELNS1_11target_archE1200ELNS1_3gpuE4ELNS1_3repE0EEENS1_30default_config_static_selectorELNS0_4arch9wavefront6targetE0EEEvT1_,"axG",@progbits,_ZN7rocprim17ROCPRIM_400000_NS6detail17trampoline_kernelINS0_14default_configENS1_27scan_by_key_config_selectorIj11FixedVectorIiLj2EEEEZZNS1_16scan_by_key_implILNS1_25lookback_scan_determinismE0ELb0ES3_N6thrust23THRUST_200600_302600_NS6detail15normal_iteratorINSB_10device_ptrIjEEEENSD_INSE_IS6_EEEESI_S6_NSB_4plusIvEENSB_8equal_toIvEES6_EE10hipError_tPvRmT2_T3_T4_T5_mT6_T7_P12ihipStream_tbENKUlT_T0_E_clISt17integral_constantIbLb0EES12_IbLb1EEEEDaSY_SZ_EUlSY_E_NS1_11comp_targetILNS1_3genE10ELNS1_11target_archE1200ELNS1_3gpuE4ELNS1_3repE0EEENS1_30default_config_static_selectorELNS0_4arch9wavefront6targetE0EEEvT1_,comdat
.Lfunc_end1990:
	.size	_ZN7rocprim17ROCPRIM_400000_NS6detail17trampoline_kernelINS0_14default_configENS1_27scan_by_key_config_selectorIj11FixedVectorIiLj2EEEEZZNS1_16scan_by_key_implILNS1_25lookback_scan_determinismE0ELb0ES3_N6thrust23THRUST_200600_302600_NS6detail15normal_iteratorINSB_10device_ptrIjEEEENSD_INSE_IS6_EEEESI_S6_NSB_4plusIvEENSB_8equal_toIvEES6_EE10hipError_tPvRmT2_T3_T4_T5_mT6_T7_P12ihipStream_tbENKUlT_T0_E_clISt17integral_constantIbLb0EES12_IbLb1EEEEDaSY_SZ_EUlSY_E_NS1_11comp_targetILNS1_3genE10ELNS1_11target_archE1200ELNS1_3gpuE4ELNS1_3repE0EEENS1_30default_config_static_selectorELNS0_4arch9wavefront6targetE0EEEvT1_, .Lfunc_end1990-_ZN7rocprim17ROCPRIM_400000_NS6detail17trampoline_kernelINS0_14default_configENS1_27scan_by_key_config_selectorIj11FixedVectorIiLj2EEEEZZNS1_16scan_by_key_implILNS1_25lookback_scan_determinismE0ELb0ES3_N6thrust23THRUST_200600_302600_NS6detail15normal_iteratorINSB_10device_ptrIjEEEENSD_INSE_IS6_EEEESI_S6_NSB_4plusIvEENSB_8equal_toIvEES6_EE10hipError_tPvRmT2_T3_T4_T5_mT6_T7_P12ihipStream_tbENKUlT_T0_E_clISt17integral_constantIbLb0EES12_IbLb1EEEEDaSY_SZ_EUlSY_E_NS1_11comp_targetILNS1_3genE10ELNS1_11target_archE1200ELNS1_3gpuE4ELNS1_3repE0EEENS1_30default_config_static_selectorELNS0_4arch9wavefront6targetE0EEEvT1_
                                        ; -- End function
	.set _ZN7rocprim17ROCPRIM_400000_NS6detail17trampoline_kernelINS0_14default_configENS1_27scan_by_key_config_selectorIj11FixedVectorIiLj2EEEEZZNS1_16scan_by_key_implILNS1_25lookback_scan_determinismE0ELb0ES3_N6thrust23THRUST_200600_302600_NS6detail15normal_iteratorINSB_10device_ptrIjEEEENSD_INSE_IS6_EEEESI_S6_NSB_4plusIvEENSB_8equal_toIvEES6_EE10hipError_tPvRmT2_T3_T4_T5_mT6_T7_P12ihipStream_tbENKUlT_T0_E_clISt17integral_constantIbLb0EES12_IbLb1EEEEDaSY_SZ_EUlSY_E_NS1_11comp_targetILNS1_3genE10ELNS1_11target_archE1200ELNS1_3gpuE4ELNS1_3repE0EEENS1_30default_config_static_selectorELNS0_4arch9wavefront6targetE0EEEvT1_.num_vgpr, 0
	.set _ZN7rocprim17ROCPRIM_400000_NS6detail17trampoline_kernelINS0_14default_configENS1_27scan_by_key_config_selectorIj11FixedVectorIiLj2EEEEZZNS1_16scan_by_key_implILNS1_25lookback_scan_determinismE0ELb0ES3_N6thrust23THRUST_200600_302600_NS6detail15normal_iteratorINSB_10device_ptrIjEEEENSD_INSE_IS6_EEEESI_S6_NSB_4plusIvEENSB_8equal_toIvEES6_EE10hipError_tPvRmT2_T3_T4_T5_mT6_T7_P12ihipStream_tbENKUlT_T0_E_clISt17integral_constantIbLb0EES12_IbLb1EEEEDaSY_SZ_EUlSY_E_NS1_11comp_targetILNS1_3genE10ELNS1_11target_archE1200ELNS1_3gpuE4ELNS1_3repE0EEENS1_30default_config_static_selectorELNS0_4arch9wavefront6targetE0EEEvT1_.num_agpr, 0
	.set _ZN7rocprim17ROCPRIM_400000_NS6detail17trampoline_kernelINS0_14default_configENS1_27scan_by_key_config_selectorIj11FixedVectorIiLj2EEEEZZNS1_16scan_by_key_implILNS1_25lookback_scan_determinismE0ELb0ES3_N6thrust23THRUST_200600_302600_NS6detail15normal_iteratorINSB_10device_ptrIjEEEENSD_INSE_IS6_EEEESI_S6_NSB_4plusIvEENSB_8equal_toIvEES6_EE10hipError_tPvRmT2_T3_T4_T5_mT6_T7_P12ihipStream_tbENKUlT_T0_E_clISt17integral_constantIbLb0EES12_IbLb1EEEEDaSY_SZ_EUlSY_E_NS1_11comp_targetILNS1_3genE10ELNS1_11target_archE1200ELNS1_3gpuE4ELNS1_3repE0EEENS1_30default_config_static_selectorELNS0_4arch9wavefront6targetE0EEEvT1_.numbered_sgpr, 0
	.set _ZN7rocprim17ROCPRIM_400000_NS6detail17trampoline_kernelINS0_14default_configENS1_27scan_by_key_config_selectorIj11FixedVectorIiLj2EEEEZZNS1_16scan_by_key_implILNS1_25lookback_scan_determinismE0ELb0ES3_N6thrust23THRUST_200600_302600_NS6detail15normal_iteratorINSB_10device_ptrIjEEEENSD_INSE_IS6_EEEESI_S6_NSB_4plusIvEENSB_8equal_toIvEES6_EE10hipError_tPvRmT2_T3_T4_T5_mT6_T7_P12ihipStream_tbENKUlT_T0_E_clISt17integral_constantIbLb0EES12_IbLb1EEEEDaSY_SZ_EUlSY_E_NS1_11comp_targetILNS1_3genE10ELNS1_11target_archE1200ELNS1_3gpuE4ELNS1_3repE0EEENS1_30default_config_static_selectorELNS0_4arch9wavefront6targetE0EEEvT1_.num_named_barrier, 0
	.set _ZN7rocprim17ROCPRIM_400000_NS6detail17trampoline_kernelINS0_14default_configENS1_27scan_by_key_config_selectorIj11FixedVectorIiLj2EEEEZZNS1_16scan_by_key_implILNS1_25lookback_scan_determinismE0ELb0ES3_N6thrust23THRUST_200600_302600_NS6detail15normal_iteratorINSB_10device_ptrIjEEEENSD_INSE_IS6_EEEESI_S6_NSB_4plusIvEENSB_8equal_toIvEES6_EE10hipError_tPvRmT2_T3_T4_T5_mT6_T7_P12ihipStream_tbENKUlT_T0_E_clISt17integral_constantIbLb0EES12_IbLb1EEEEDaSY_SZ_EUlSY_E_NS1_11comp_targetILNS1_3genE10ELNS1_11target_archE1200ELNS1_3gpuE4ELNS1_3repE0EEENS1_30default_config_static_selectorELNS0_4arch9wavefront6targetE0EEEvT1_.private_seg_size, 0
	.set _ZN7rocprim17ROCPRIM_400000_NS6detail17trampoline_kernelINS0_14default_configENS1_27scan_by_key_config_selectorIj11FixedVectorIiLj2EEEEZZNS1_16scan_by_key_implILNS1_25lookback_scan_determinismE0ELb0ES3_N6thrust23THRUST_200600_302600_NS6detail15normal_iteratorINSB_10device_ptrIjEEEENSD_INSE_IS6_EEEESI_S6_NSB_4plusIvEENSB_8equal_toIvEES6_EE10hipError_tPvRmT2_T3_T4_T5_mT6_T7_P12ihipStream_tbENKUlT_T0_E_clISt17integral_constantIbLb0EES12_IbLb1EEEEDaSY_SZ_EUlSY_E_NS1_11comp_targetILNS1_3genE10ELNS1_11target_archE1200ELNS1_3gpuE4ELNS1_3repE0EEENS1_30default_config_static_selectorELNS0_4arch9wavefront6targetE0EEEvT1_.uses_vcc, 0
	.set _ZN7rocprim17ROCPRIM_400000_NS6detail17trampoline_kernelINS0_14default_configENS1_27scan_by_key_config_selectorIj11FixedVectorIiLj2EEEEZZNS1_16scan_by_key_implILNS1_25lookback_scan_determinismE0ELb0ES3_N6thrust23THRUST_200600_302600_NS6detail15normal_iteratorINSB_10device_ptrIjEEEENSD_INSE_IS6_EEEESI_S6_NSB_4plusIvEENSB_8equal_toIvEES6_EE10hipError_tPvRmT2_T3_T4_T5_mT6_T7_P12ihipStream_tbENKUlT_T0_E_clISt17integral_constantIbLb0EES12_IbLb1EEEEDaSY_SZ_EUlSY_E_NS1_11comp_targetILNS1_3genE10ELNS1_11target_archE1200ELNS1_3gpuE4ELNS1_3repE0EEENS1_30default_config_static_selectorELNS0_4arch9wavefront6targetE0EEEvT1_.uses_flat_scratch, 0
	.set _ZN7rocprim17ROCPRIM_400000_NS6detail17trampoline_kernelINS0_14default_configENS1_27scan_by_key_config_selectorIj11FixedVectorIiLj2EEEEZZNS1_16scan_by_key_implILNS1_25lookback_scan_determinismE0ELb0ES3_N6thrust23THRUST_200600_302600_NS6detail15normal_iteratorINSB_10device_ptrIjEEEENSD_INSE_IS6_EEEESI_S6_NSB_4plusIvEENSB_8equal_toIvEES6_EE10hipError_tPvRmT2_T3_T4_T5_mT6_T7_P12ihipStream_tbENKUlT_T0_E_clISt17integral_constantIbLb0EES12_IbLb1EEEEDaSY_SZ_EUlSY_E_NS1_11comp_targetILNS1_3genE10ELNS1_11target_archE1200ELNS1_3gpuE4ELNS1_3repE0EEENS1_30default_config_static_selectorELNS0_4arch9wavefront6targetE0EEEvT1_.has_dyn_sized_stack, 0
	.set _ZN7rocprim17ROCPRIM_400000_NS6detail17trampoline_kernelINS0_14default_configENS1_27scan_by_key_config_selectorIj11FixedVectorIiLj2EEEEZZNS1_16scan_by_key_implILNS1_25lookback_scan_determinismE0ELb0ES3_N6thrust23THRUST_200600_302600_NS6detail15normal_iteratorINSB_10device_ptrIjEEEENSD_INSE_IS6_EEEESI_S6_NSB_4plusIvEENSB_8equal_toIvEES6_EE10hipError_tPvRmT2_T3_T4_T5_mT6_T7_P12ihipStream_tbENKUlT_T0_E_clISt17integral_constantIbLb0EES12_IbLb1EEEEDaSY_SZ_EUlSY_E_NS1_11comp_targetILNS1_3genE10ELNS1_11target_archE1200ELNS1_3gpuE4ELNS1_3repE0EEENS1_30default_config_static_selectorELNS0_4arch9wavefront6targetE0EEEvT1_.has_recursion, 0
	.set _ZN7rocprim17ROCPRIM_400000_NS6detail17trampoline_kernelINS0_14default_configENS1_27scan_by_key_config_selectorIj11FixedVectorIiLj2EEEEZZNS1_16scan_by_key_implILNS1_25lookback_scan_determinismE0ELb0ES3_N6thrust23THRUST_200600_302600_NS6detail15normal_iteratorINSB_10device_ptrIjEEEENSD_INSE_IS6_EEEESI_S6_NSB_4plusIvEENSB_8equal_toIvEES6_EE10hipError_tPvRmT2_T3_T4_T5_mT6_T7_P12ihipStream_tbENKUlT_T0_E_clISt17integral_constantIbLb0EES12_IbLb1EEEEDaSY_SZ_EUlSY_E_NS1_11comp_targetILNS1_3genE10ELNS1_11target_archE1200ELNS1_3gpuE4ELNS1_3repE0EEENS1_30default_config_static_selectorELNS0_4arch9wavefront6targetE0EEEvT1_.has_indirect_call, 0
	.section	.AMDGPU.csdata,"",@progbits
; Kernel info:
; codeLenInByte = 0
; TotalNumSgprs: 0
; NumVgprs: 0
; ScratchSize: 0
; MemoryBound: 0
; FloatMode: 240
; IeeeMode: 1
; LDSByteSize: 0 bytes/workgroup (compile time only)
; SGPRBlocks: 0
; VGPRBlocks: 0
; NumSGPRsForWavesPerEU: 1
; NumVGPRsForWavesPerEU: 1
; NamedBarCnt: 0
; Occupancy: 16
; WaveLimiterHint : 0
; COMPUTE_PGM_RSRC2:SCRATCH_EN: 0
; COMPUTE_PGM_RSRC2:USER_SGPR: 2
; COMPUTE_PGM_RSRC2:TRAP_HANDLER: 0
; COMPUTE_PGM_RSRC2:TGID_X_EN: 1
; COMPUTE_PGM_RSRC2:TGID_Y_EN: 0
; COMPUTE_PGM_RSRC2:TGID_Z_EN: 0
; COMPUTE_PGM_RSRC2:TIDIG_COMP_CNT: 0
	.section	.text._ZN7rocprim17ROCPRIM_400000_NS6detail17trampoline_kernelINS0_14default_configENS1_27scan_by_key_config_selectorIj11FixedVectorIiLj2EEEEZZNS1_16scan_by_key_implILNS1_25lookback_scan_determinismE0ELb0ES3_N6thrust23THRUST_200600_302600_NS6detail15normal_iteratorINSB_10device_ptrIjEEEENSD_INSE_IS6_EEEESI_S6_NSB_4plusIvEENSB_8equal_toIvEES6_EE10hipError_tPvRmT2_T3_T4_T5_mT6_T7_P12ihipStream_tbENKUlT_T0_E_clISt17integral_constantIbLb0EES12_IbLb1EEEEDaSY_SZ_EUlSY_E_NS1_11comp_targetILNS1_3genE9ELNS1_11target_archE1100ELNS1_3gpuE3ELNS1_3repE0EEENS1_30default_config_static_selectorELNS0_4arch9wavefront6targetE0EEEvT1_,"axG",@progbits,_ZN7rocprim17ROCPRIM_400000_NS6detail17trampoline_kernelINS0_14default_configENS1_27scan_by_key_config_selectorIj11FixedVectorIiLj2EEEEZZNS1_16scan_by_key_implILNS1_25lookback_scan_determinismE0ELb0ES3_N6thrust23THRUST_200600_302600_NS6detail15normal_iteratorINSB_10device_ptrIjEEEENSD_INSE_IS6_EEEESI_S6_NSB_4plusIvEENSB_8equal_toIvEES6_EE10hipError_tPvRmT2_T3_T4_T5_mT6_T7_P12ihipStream_tbENKUlT_T0_E_clISt17integral_constantIbLb0EES12_IbLb1EEEEDaSY_SZ_EUlSY_E_NS1_11comp_targetILNS1_3genE9ELNS1_11target_archE1100ELNS1_3gpuE3ELNS1_3repE0EEENS1_30default_config_static_selectorELNS0_4arch9wavefront6targetE0EEEvT1_,comdat
	.protected	_ZN7rocprim17ROCPRIM_400000_NS6detail17trampoline_kernelINS0_14default_configENS1_27scan_by_key_config_selectorIj11FixedVectorIiLj2EEEEZZNS1_16scan_by_key_implILNS1_25lookback_scan_determinismE0ELb0ES3_N6thrust23THRUST_200600_302600_NS6detail15normal_iteratorINSB_10device_ptrIjEEEENSD_INSE_IS6_EEEESI_S6_NSB_4plusIvEENSB_8equal_toIvEES6_EE10hipError_tPvRmT2_T3_T4_T5_mT6_T7_P12ihipStream_tbENKUlT_T0_E_clISt17integral_constantIbLb0EES12_IbLb1EEEEDaSY_SZ_EUlSY_E_NS1_11comp_targetILNS1_3genE9ELNS1_11target_archE1100ELNS1_3gpuE3ELNS1_3repE0EEENS1_30default_config_static_selectorELNS0_4arch9wavefront6targetE0EEEvT1_ ; -- Begin function _ZN7rocprim17ROCPRIM_400000_NS6detail17trampoline_kernelINS0_14default_configENS1_27scan_by_key_config_selectorIj11FixedVectorIiLj2EEEEZZNS1_16scan_by_key_implILNS1_25lookback_scan_determinismE0ELb0ES3_N6thrust23THRUST_200600_302600_NS6detail15normal_iteratorINSB_10device_ptrIjEEEENSD_INSE_IS6_EEEESI_S6_NSB_4plusIvEENSB_8equal_toIvEES6_EE10hipError_tPvRmT2_T3_T4_T5_mT6_T7_P12ihipStream_tbENKUlT_T0_E_clISt17integral_constantIbLb0EES12_IbLb1EEEEDaSY_SZ_EUlSY_E_NS1_11comp_targetILNS1_3genE9ELNS1_11target_archE1100ELNS1_3gpuE3ELNS1_3repE0EEENS1_30default_config_static_selectorELNS0_4arch9wavefront6targetE0EEEvT1_
	.globl	_ZN7rocprim17ROCPRIM_400000_NS6detail17trampoline_kernelINS0_14default_configENS1_27scan_by_key_config_selectorIj11FixedVectorIiLj2EEEEZZNS1_16scan_by_key_implILNS1_25lookback_scan_determinismE0ELb0ES3_N6thrust23THRUST_200600_302600_NS6detail15normal_iteratorINSB_10device_ptrIjEEEENSD_INSE_IS6_EEEESI_S6_NSB_4plusIvEENSB_8equal_toIvEES6_EE10hipError_tPvRmT2_T3_T4_T5_mT6_T7_P12ihipStream_tbENKUlT_T0_E_clISt17integral_constantIbLb0EES12_IbLb1EEEEDaSY_SZ_EUlSY_E_NS1_11comp_targetILNS1_3genE9ELNS1_11target_archE1100ELNS1_3gpuE3ELNS1_3repE0EEENS1_30default_config_static_selectorELNS0_4arch9wavefront6targetE0EEEvT1_
	.p2align	8
	.type	_ZN7rocprim17ROCPRIM_400000_NS6detail17trampoline_kernelINS0_14default_configENS1_27scan_by_key_config_selectorIj11FixedVectorIiLj2EEEEZZNS1_16scan_by_key_implILNS1_25lookback_scan_determinismE0ELb0ES3_N6thrust23THRUST_200600_302600_NS6detail15normal_iteratorINSB_10device_ptrIjEEEENSD_INSE_IS6_EEEESI_S6_NSB_4plusIvEENSB_8equal_toIvEES6_EE10hipError_tPvRmT2_T3_T4_T5_mT6_T7_P12ihipStream_tbENKUlT_T0_E_clISt17integral_constantIbLb0EES12_IbLb1EEEEDaSY_SZ_EUlSY_E_NS1_11comp_targetILNS1_3genE9ELNS1_11target_archE1100ELNS1_3gpuE3ELNS1_3repE0EEENS1_30default_config_static_selectorELNS0_4arch9wavefront6targetE0EEEvT1_,@function
_ZN7rocprim17ROCPRIM_400000_NS6detail17trampoline_kernelINS0_14default_configENS1_27scan_by_key_config_selectorIj11FixedVectorIiLj2EEEEZZNS1_16scan_by_key_implILNS1_25lookback_scan_determinismE0ELb0ES3_N6thrust23THRUST_200600_302600_NS6detail15normal_iteratorINSB_10device_ptrIjEEEENSD_INSE_IS6_EEEESI_S6_NSB_4plusIvEENSB_8equal_toIvEES6_EE10hipError_tPvRmT2_T3_T4_T5_mT6_T7_P12ihipStream_tbENKUlT_T0_E_clISt17integral_constantIbLb0EES12_IbLb1EEEEDaSY_SZ_EUlSY_E_NS1_11comp_targetILNS1_3genE9ELNS1_11target_archE1100ELNS1_3gpuE3ELNS1_3repE0EEENS1_30default_config_static_selectorELNS0_4arch9wavefront6targetE0EEEvT1_: ; @_ZN7rocprim17ROCPRIM_400000_NS6detail17trampoline_kernelINS0_14default_configENS1_27scan_by_key_config_selectorIj11FixedVectorIiLj2EEEEZZNS1_16scan_by_key_implILNS1_25lookback_scan_determinismE0ELb0ES3_N6thrust23THRUST_200600_302600_NS6detail15normal_iteratorINSB_10device_ptrIjEEEENSD_INSE_IS6_EEEESI_S6_NSB_4plusIvEENSB_8equal_toIvEES6_EE10hipError_tPvRmT2_T3_T4_T5_mT6_T7_P12ihipStream_tbENKUlT_T0_E_clISt17integral_constantIbLb0EES12_IbLb1EEEEDaSY_SZ_EUlSY_E_NS1_11comp_targetILNS1_3genE9ELNS1_11target_archE1100ELNS1_3gpuE3ELNS1_3repE0EEENS1_30default_config_static_selectorELNS0_4arch9wavefront6targetE0EEEvT1_
; %bb.0:
	.section	.rodata,"a",@progbits
	.p2align	6, 0x0
	.amdhsa_kernel _ZN7rocprim17ROCPRIM_400000_NS6detail17trampoline_kernelINS0_14default_configENS1_27scan_by_key_config_selectorIj11FixedVectorIiLj2EEEEZZNS1_16scan_by_key_implILNS1_25lookback_scan_determinismE0ELb0ES3_N6thrust23THRUST_200600_302600_NS6detail15normal_iteratorINSB_10device_ptrIjEEEENSD_INSE_IS6_EEEESI_S6_NSB_4plusIvEENSB_8equal_toIvEES6_EE10hipError_tPvRmT2_T3_T4_T5_mT6_T7_P12ihipStream_tbENKUlT_T0_E_clISt17integral_constantIbLb0EES12_IbLb1EEEEDaSY_SZ_EUlSY_E_NS1_11comp_targetILNS1_3genE9ELNS1_11target_archE1100ELNS1_3gpuE3ELNS1_3repE0EEENS1_30default_config_static_selectorELNS0_4arch9wavefront6targetE0EEEvT1_
		.amdhsa_group_segment_fixed_size 0
		.amdhsa_private_segment_fixed_size 0
		.amdhsa_kernarg_size 120
		.amdhsa_user_sgpr_count 2
		.amdhsa_user_sgpr_dispatch_ptr 0
		.amdhsa_user_sgpr_queue_ptr 0
		.amdhsa_user_sgpr_kernarg_segment_ptr 1
		.amdhsa_user_sgpr_dispatch_id 0
		.amdhsa_user_sgpr_kernarg_preload_length 0
		.amdhsa_user_sgpr_kernarg_preload_offset 0
		.amdhsa_user_sgpr_private_segment_size 0
		.amdhsa_wavefront_size32 1
		.amdhsa_uses_dynamic_stack 0
		.amdhsa_enable_private_segment 0
		.amdhsa_system_sgpr_workgroup_id_x 1
		.amdhsa_system_sgpr_workgroup_id_y 0
		.amdhsa_system_sgpr_workgroup_id_z 0
		.amdhsa_system_sgpr_workgroup_info 0
		.amdhsa_system_vgpr_workitem_id 0
		.amdhsa_next_free_vgpr 1
		.amdhsa_next_free_sgpr 1
		.amdhsa_named_barrier_count 0
		.amdhsa_reserve_vcc 0
		.amdhsa_float_round_mode_32 0
		.amdhsa_float_round_mode_16_64 0
		.amdhsa_float_denorm_mode_32 3
		.amdhsa_float_denorm_mode_16_64 3
		.amdhsa_fp16_overflow 0
		.amdhsa_memory_ordered 1
		.amdhsa_forward_progress 1
		.amdhsa_inst_pref_size 0
		.amdhsa_round_robin_scheduling 0
		.amdhsa_exception_fp_ieee_invalid_op 0
		.amdhsa_exception_fp_denorm_src 0
		.amdhsa_exception_fp_ieee_div_zero 0
		.amdhsa_exception_fp_ieee_overflow 0
		.amdhsa_exception_fp_ieee_underflow 0
		.amdhsa_exception_fp_ieee_inexact 0
		.amdhsa_exception_int_div_zero 0
	.end_amdhsa_kernel
	.section	.text._ZN7rocprim17ROCPRIM_400000_NS6detail17trampoline_kernelINS0_14default_configENS1_27scan_by_key_config_selectorIj11FixedVectorIiLj2EEEEZZNS1_16scan_by_key_implILNS1_25lookback_scan_determinismE0ELb0ES3_N6thrust23THRUST_200600_302600_NS6detail15normal_iteratorINSB_10device_ptrIjEEEENSD_INSE_IS6_EEEESI_S6_NSB_4plusIvEENSB_8equal_toIvEES6_EE10hipError_tPvRmT2_T3_T4_T5_mT6_T7_P12ihipStream_tbENKUlT_T0_E_clISt17integral_constantIbLb0EES12_IbLb1EEEEDaSY_SZ_EUlSY_E_NS1_11comp_targetILNS1_3genE9ELNS1_11target_archE1100ELNS1_3gpuE3ELNS1_3repE0EEENS1_30default_config_static_selectorELNS0_4arch9wavefront6targetE0EEEvT1_,"axG",@progbits,_ZN7rocprim17ROCPRIM_400000_NS6detail17trampoline_kernelINS0_14default_configENS1_27scan_by_key_config_selectorIj11FixedVectorIiLj2EEEEZZNS1_16scan_by_key_implILNS1_25lookback_scan_determinismE0ELb0ES3_N6thrust23THRUST_200600_302600_NS6detail15normal_iteratorINSB_10device_ptrIjEEEENSD_INSE_IS6_EEEESI_S6_NSB_4plusIvEENSB_8equal_toIvEES6_EE10hipError_tPvRmT2_T3_T4_T5_mT6_T7_P12ihipStream_tbENKUlT_T0_E_clISt17integral_constantIbLb0EES12_IbLb1EEEEDaSY_SZ_EUlSY_E_NS1_11comp_targetILNS1_3genE9ELNS1_11target_archE1100ELNS1_3gpuE3ELNS1_3repE0EEENS1_30default_config_static_selectorELNS0_4arch9wavefront6targetE0EEEvT1_,comdat
.Lfunc_end1991:
	.size	_ZN7rocprim17ROCPRIM_400000_NS6detail17trampoline_kernelINS0_14default_configENS1_27scan_by_key_config_selectorIj11FixedVectorIiLj2EEEEZZNS1_16scan_by_key_implILNS1_25lookback_scan_determinismE0ELb0ES3_N6thrust23THRUST_200600_302600_NS6detail15normal_iteratorINSB_10device_ptrIjEEEENSD_INSE_IS6_EEEESI_S6_NSB_4plusIvEENSB_8equal_toIvEES6_EE10hipError_tPvRmT2_T3_T4_T5_mT6_T7_P12ihipStream_tbENKUlT_T0_E_clISt17integral_constantIbLb0EES12_IbLb1EEEEDaSY_SZ_EUlSY_E_NS1_11comp_targetILNS1_3genE9ELNS1_11target_archE1100ELNS1_3gpuE3ELNS1_3repE0EEENS1_30default_config_static_selectorELNS0_4arch9wavefront6targetE0EEEvT1_, .Lfunc_end1991-_ZN7rocprim17ROCPRIM_400000_NS6detail17trampoline_kernelINS0_14default_configENS1_27scan_by_key_config_selectorIj11FixedVectorIiLj2EEEEZZNS1_16scan_by_key_implILNS1_25lookback_scan_determinismE0ELb0ES3_N6thrust23THRUST_200600_302600_NS6detail15normal_iteratorINSB_10device_ptrIjEEEENSD_INSE_IS6_EEEESI_S6_NSB_4plusIvEENSB_8equal_toIvEES6_EE10hipError_tPvRmT2_T3_T4_T5_mT6_T7_P12ihipStream_tbENKUlT_T0_E_clISt17integral_constantIbLb0EES12_IbLb1EEEEDaSY_SZ_EUlSY_E_NS1_11comp_targetILNS1_3genE9ELNS1_11target_archE1100ELNS1_3gpuE3ELNS1_3repE0EEENS1_30default_config_static_selectorELNS0_4arch9wavefront6targetE0EEEvT1_
                                        ; -- End function
	.set _ZN7rocprim17ROCPRIM_400000_NS6detail17trampoline_kernelINS0_14default_configENS1_27scan_by_key_config_selectorIj11FixedVectorIiLj2EEEEZZNS1_16scan_by_key_implILNS1_25lookback_scan_determinismE0ELb0ES3_N6thrust23THRUST_200600_302600_NS6detail15normal_iteratorINSB_10device_ptrIjEEEENSD_INSE_IS6_EEEESI_S6_NSB_4plusIvEENSB_8equal_toIvEES6_EE10hipError_tPvRmT2_T3_T4_T5_mT6_T7_P12ihipStream_tbENKUlT_T0_E_clISt17integral_constantIbLb0EES12_IbLb1EEEEDaSY_SZ_EUlSY_E_NS1_11comp_targetILNS1_3genE9ELNS1_11target_archE1100ELNS1_3gpuE3ELNS1_3repE0EEENS1_30default_config_static_selectorELNS0_4arch9wavefront6targetE0EEEvT1_.num_vgpr, 0
	.set _ZN7rocprim17ROCPRIM_400000_NS6detail17trampoline_kernelINS0_14default_configENS1_27scan_by_key_config_selectorIj11FixedVectorIiLj2EEEEZZNS1_16scan_by_key_implILNS1_25lookback_scan_determinismE0ELb0ES3_N6thrust23THRUST_200600_302600_NS6detail15normal_iteratorINSB_10device_ptrIjEEEENSD_INSE_IS6_EEEESI_S6_NSB_4plusIvEENSB_8equal_toIvEES6_EE10hipError_tPvRmT2_T3_T4_T5_mT6_T7_P12ihipStream_tbENKUlT_T0_E_clISt17integral_constantIbLb0EES12_IbLb1EEEEDaSY_SZ_EUlSY_E_NS1_11comp_targetILNS1_3genE9ELNS1_11target_archE1100ELNS1_3gpuE3ELNS1_3repE0EEENS1_30default_config_static_selectorELNS0_4arch9wavefront6targetE0EEEvT1_.num_agpr, 0
	.set _ZN7rocprim17ROCPRIM_400000_NS6detail17trampoline_kernelINS0_14default_configENS1_27scan_by_key_config_selectorIj11FixedVectorIiLj2EEEEZZNS1_16scan_by_key_implILNS1_25lookback_scan_determinismE0ELb0ES3_N6thrust23THRUST_200600_302600_NS6detail15normal_iteratorINSB_10device_ptrIjEEEENSD_INSE_IS6_EEEESI_S6_NSB_4plusIvEENSB_8equal_toIvEES6_EE10hipError_tPvRmT2_T3_T4_T5_mT6_T7_P12ihipStream_tbENKUlT_T0_E_clISt17integral_constantIbLb0EES12_IbLb1EEEEDaSY_SZ_EUlSY_E_NS1_11comp_targetILNS1_3genE9ELNS1_11target_archE1100ELNS1_3gpuE3ELNS1_3repE0EEENS1_30default_config_static_selectorELNS0_4arch9wavefront6targetE0EEEvT1_.numbered_sgpr, 0
	.set _ZN7rocprim17ROCPRIM_400000_NS6detail17trampoline_kernelINS0_14default_configENS1_27scan_by_key_config_selectorIj11FixedVectorIiLj2EEEEZZNS1_16scan_by_key_implILNS1_25lookback_scan_determinismE0ELb0ES3_N6thrust23THRUST_200600_302600_NS6detail15normal_iteratorINSB_10device_ptrIjEEEENSD_INSE_IS6_EEEESI_S6_NSB_4plusIvEENSB_8equal_toIvEES6_EE10hipError_tPvRmT2_T3_T4_T5_mT6_T7_P12ihipStream_tbENKUlT_T0_E_clISt17integral_constantIbLb0EES12_IbLb1EEEEDaSY_SZ_EUlSY_E_NS1_11comp_targetILNS1_3genE9ELNS1_11target_archE1100ELNS1_3gpuE3ELNS1_3repE0EEENS1_30default_config_static_selectorELNS0_4arch9wavefront6targetE0EEEvT1_.num_named_barrier, 0
	.set _ZN7rocprim17ROCPRIM_400000_NS6detail17trampoline_kernelINS0_14default_configENS1_27scan_by_key_config_selectorIj11FixedVectorIiLj2EEEEZZNS1_16scan_by_key_implILNS1_25lookback_scan_determinismE0ELb0ES3_N6thrust23THRUST_200600_302600_NS6detail15normal_iteratorINSB_10device_ptrIjEEEENSD_INSE_IS6_EEEESI_S6_NSB_4plusIvEENSB_8equal_toIvEES6_EE10hipError_tPvRmT2_T3_T4_T5_mT6_T7_P12ihipStream_tbENKUlT_T0_E_clISt17integral_constantIbLb0EES12_IbLb1EEEEDaSY_SZ_EUlSY_E_NS1_11comp_targetILNS1_3genE9ELNS1_11target_archE1100ELNS1_3gpuE3ELNS1_3repE0EEENS1_30default_config_static_selectorELNS0_4arch9wavefront6targetE0EEEvT1_.private_seg_size, 0
	.set _ZN7rocprim17ROCPRIM_400000_NS6detail17trampoline_kernelINS0_14default_configENS1_27scan_by_key_config_selectorIj11FixedVectorIiLj2EEEEZZNS1_16scan_by_key_implILNS1_25lookback_scan_determinismE0ELb0ES3_N6thrust23THRUST_200600_302600_NS6detail15normal_iteratorINSB_10device_ptrIjEEEENSD_INSE_IS6_EEEESI_S6_NSB_4plusIvEENSB_8equal_toIvEES6_EE10hipError_tPvRmT2_T3_T4_T5_mT6_T7_P12ihipStream_tbENKUlT_T0_E_clISt17integral_constantIbLb0EES12_IbLb1EEEEDaSY_SZ_EUlSY_E_NS1_11comp_targetILNS1_3genE9ELNS1_11target_archE1100ELNS1_3gpuE3ELNS1_3repE0EEENS1_30default_config_static_selectorELNS0_4arch9wavefront6targetE0EEEvT1_.uses_vcc, 0
	.set _ZN7rocprim17ROCPRIM_400000_NS6detail17trampoline_kernelINS0_14default_configENS1_27scan_by_key_config_selectorIj11FixedVectorIiLj2EEEEZZNS1_16scan_by_key_implILNS1_25lookback_scan_determinismE0ELb0ES3_N6thrust23THRUST_200600_302600_NS6detail15normal_iteratorINSB_10device_ptrIjEEEENSD_INSE_IS6_EEEESI_S6_NSB_4plusIvEENSB_8equal_toIvEES6_EE10hipError_tPvRmT2_T3_T4_T5_mT6_T7_P12ihipStream_tbENKUlT_T0_E_clISt17integral_constantIbLb0EES12_IbLb1EEEEDaSY_SZ_EUlSY_E_NS1_11comp_targetILNS1_3genE9ELNS1_11target_archE1100ELNS1_3gpuE3ELNS1_3repE0EEENS1_30default_config_static_selectorELNS0_4arch9wavefront6targetE0EEEvT1_.uses_flat_scratch, 0
	.set _ZN7rocprim17ROCPRIM_400000_NS6detail17trampoline_kernelINS0_14default_configENS1_27scan_by_key_config_selectorIj11FixedVectorIiLj2EEEEZZNS1_16scan_by_key_implILNS1_25lookback_scan_determinismE0ELb0ES3_N6thrust23THRUST_200600_302600_NS6detail15normal_iteratorINSB_10device_ptrIjEEEENSD_INSE_IS6_EEEESI_S6_NSB_4plusIvEENSB_8equal_toIvEES6_EE10hipError_tPvRmT2_T3_T4_T5_mT6_T7_P12ihipStream_tbENKUlT_T0_E_clISt17integral_constantIbLb0EES12_IbLb1EEEEDaSY_SZ_EUlSY_E_NS1_11comp_targetILNS1_3genE9ELNS1_11target_archE1100ELNS1_3gpuE3ELNS1_3repE0EEENS1_30default_config_static_selectorELNS0_4arch9wavefront6targetE0EEEvT1_.has_dyn_sized_stack, 0
	.set _ZN7rocprim17ROCPRIM_400000_NS6detail17trampoline_kernelINS0_14default_configENS1_27scan_by_key_config_selectorIj11FixedVectorIiLj2EEEEZZNS1_16scan_by_key_implILNS1_25lookback_scan_determinismE0ELb0ES3_N6thrust23THRUST_200600_302600_NS6detail15normal_iteratorINSB_10device_ptrIjEEEENSD_INSE_IS6_EEEESI_S6_NSB_4plusIvEENSB_8equal_toIvEES6_EE10hipError_tPvRmT2_T3_T4_T5_mT6_T7_P12ihipStream_tbENKUlT_T0_E_clISt17integral_constantIbLb0EES12_IbLb1EEEEDaSY_SZ_EUlSY_E_NS1_11comp_targetILNS1_3genE9ELNS1_11target_archE1100ELNS1_3gpuE3ELNS1_3repE0EEENS1_30default_config_static_selectorELNS0_4arch9wavefront6targetE0EEEvT1_.has_recursion, 0
	.set _ZN7rocprim17ROCPRIM_400000_NS6detail17trampoline_kernelINS0_14default_configENS1_27scan_by_key_config_selectorIj11FixedVectorIiLj2EEEEZZNS1_16scan_by_key_implILNS1_25lookback_scan_determinismE0ELb0ES3_N6thrust23THRUST_200600_302600_NS6detail15normal_iteratorINSB_10device_ptrIjEEEENSD_INSE_IS6_EEEESI_S6_NSB_4plusIvEENSB_8equal_toIvEES6_EE10hipError_tPvRmT2_T3_T4_T5_mT6_T7_P12ihipStream_tbENKUlT_T0_E_clISt17integral_constantIbLb0EES12_IbLb1EEEEDaSY_SZ_EUlSY_E_NS1_11comp_targetILNS1_3genE9ELNS1_11target_archE1100ELNS1_3gpuE3ELNS1_3repE0EEENS1_30default_config_static_selectorELNS0_4arch9wavefront6targetE0EEEvT1_.has_indirect_call, 0
	.section	.AMDGPU.csdata,"",@progbits
; Kernel info:
; codeLenInByte = 0
; TotalNumSgprs: 0
; NumVgprs: 0
; ScratchSize: 0
; MemoryBound: 0
; FloatMode: 240
; IeeeMode: 1
; LDSByteSize: 0 bytes/workgroup (compile time only)
; SGPRBlocks: 0
; VGPRBlocks: 0
; NumSGPRsForWavesPerEU: 1
; NumVGPRsForWavesPerEU: 1
; NamedBarCnt: 0
; Occupancy: 16
; WaveLimiterHint : 0
; COMPUTE_PGM_RSRC2:SCRATCH_EN: 0
; COMPUTE_PGM_RSRC2:USER_SGPR: 2
; COMPUTE_PGM_RSRC2:TRAP_HANDLER: 0
; COMPUTE_PGM_RSRC2:TGID_X_EN: 1
; COMPUTE_PGM_RSRC2:TGID_Y_EN: 0
; COMPUTE_PGM_RSRC2:TGID_Z_EN: 0
; COMPUTE_PGM_RSRC2:TIDIG_COMP_CNT: 0
	.section	.text._ZN7rocprim17ROCPRIM_400000_NS6detail17trampoline_kernelINS0_14default_configENS1_27scan_by_key_config_selectorIj11FixedVectorIiLj2EEEEZZNS1_16scan_by_key_implILNS1_25lookback_scan_determinismE0ELb0ES3_N6thrust23THRUST_200600_302600_NS6detail15normal_iteratorINSB_10device_ptrIjEEEENSD_INSE_IS6_EEEESI_S6_NSB_4plusIvEENSB_8equal_toIvEES6_EE10hipError_tPvRmT2_T3_T4_T5_mT6_T7_P12ihipStream_tbENKUlT_T0_E_clISt17integral_constantIbLb0EES12_IbLb1EEEEDaSY_SZ_EUlSY_E_NS1_11comp_targetILNS1_3genE8ELNS1_11target_archE1030ELNS1_3gpuE2ELNS1_3repE0EEENS1_30default_config_static_selectorELNS0_4arch9wavefront6targetE0EEEvT1_,"axG",@progbits,_ZN7rocprim17ROCPRIM_400000_NS6detail17trampoline_kernelINS0_14default_configENS1_27scan_by_key_config_selectorIj11FixedVectorIiLj2EEEEZZNS1_16scan_by_key_implILNS1_25lookback_scan_determinismE0ELb0ES3_N6thrust23THRUST_200600_302600_NS6detail15normal_iteratorINSB_10device_ptrIjEEEENSD_INSE_IS6_EEEESI_S6_NSB_4plusIvEENSB_8equal_toIvEES6_EE10hipError_tPvRmT2_T3_T4_T5_mT6_T7_P12ihipStream_tbENKUlT_T0_E_clISt17integral_constantIbLb0EES12_IbLb1EEEEDaSY_SZ_EUlSY_E_NS1_11comp_targetILNS1_3genE8ELNS1_11target_archE1030ELNS1_3gpuE2ELNS1_3repE0EEENS1_30default_config_static_selectorELNS0_4arch9wavefront6targetE0EEEvT1_,comdat
	.protected	_ZN7rocprim17ROCPRIM_400000_NS6detail17trampoline_kernelINS0_14default_configENS1_27scan_by_key_config_selectorIj11FixedVectorIiLj2EEEEZZNS1_16scan_by_key_implILNS1_25lookback_scan_determinismE0ELb0ES3_N6thrust23THRUST_200600_302600_NS6detail15normal_iteratorINSB_10device_ptrIjEEEENSD_INSE_IS6_EEEESI_S6_NSB_4plusIvEENSB_8equal_toIvEES6_EE10hipError_tPvRmT2_T3_T4_T5_mT6_T7_P12ihipStream_tbENKUlT_T0_E_clISt17integral_constantIbLb0EES12_IbLb1EEEEDaSY_SZ_EUlSY_E_NS1_11comp_targetILNS1_3genE8ELNS1_11target_archE1030ELNS1_3gpuE2ELNS1_3repE0EEENS1_30default_config_static_selectorELNS0_4arch9wavefront6targetE0EEEvT1_ ; -- Begin function _ZN7rocprim17ROCPRIM_400000_NS6detail17trampoline_kernelINS0_14default_configENS1_27scan_by_key_config_selectorIj11FixedVectorIiLj2EEEEZZNS1_16scan_by_key_implILNS1_25lookback_scan_determinismE0ELb0ES3_N6thrust23THRUST_200600_302600_NS6detail15normal_iteratorINSB_10device_ptrIjEEEENSD_INSE_IS6_EEEESI_S6_NSB_4plusIvEENSB_8equal_toIvEES6_EE10hipError_tPvRmT2_T3_T4_T5_mT6_T7_P12ihipStream_tbENKUlT_T0_E_clISt17integral_constantIbLb0EES12_IbLb1EEEEDaSY_SZ_EUlSY_E_NS1_11comp_targetILNS1_3genE8ELNS1_11target_archE1030ELNS1_3gpuE2ELNS1_3repE0EEENS1_30default_config_static_selectorELNS0_4arch9wavefront6targetE0EEEvT1_
	.globl	_ZN7rocprim17ROCPRIM_400000_NS6detail17trampoline_kernelINS0_14default_configENS1_27scan_by_key_config_selectorIj11FixedVectorIiLj2EEEEZZNS1_16scan_by_key_implILNS1_25lookback_scan_determinismE0ELb0ES3_N6thrust23THRUST_200600_302600_NS6detail15normal_iteratorINSB_10device_ptrIjEEEENSD_INSE_IS6_EEEESI_S6_NSB_4plusIvEENSB_8equal_toIvEES6_EE10hipError_tPvRmT2_T3_T4_T5_mT6_T7_P12ihipStream_tbENKUlT_T0_E_clISt17integral_constantIbLb0EES12_IbLb1EEEEDaSY_SZ_EUlSY_E_NS1_11comp_targetILNS1_3genE8ELNS1_11target_archE1030ELNS1_3gpuE2ELNS1_3repE0EEENS1_30default_config_static_selectorELNS0_4arch9wavefront6targetE0EEEvT1_
	.p2align	8
	.type	_ZN7rocprim17ROCPRIM_400000_NS6detail17trampoline_kernelINS0_14default_configENS1_27scan_by_key_config_selectorIj11FixedVectorIiLj2EEEEZZNS1_16scan_by_key_implILNS1_25lookback_scan_determinismE0ELb0ES3_N6thrust23THRUST_200600_302600_NS6detail15normal_iteratorINSB_10device_ptrIjEEEENSD_INSE_IS6_EEEESI_S6_NSB_4plusIvEENSB_8equal_toIvEES6_EE10hipError_tPvRmT2_T3_T4_T5_mT6_T7_P12ihipStream_tbENKUlT_T0_E_clISt17integral_constantIbLb0EES12_IbLb1EEEEDaSY_SZ_EUlSY_E_NS1_11comp_targetILNS1_3genE8ELNS1_11target_archE1030ELNS1_3gpuE2ELNS1_3repE0EEENS1_30default_config_static_selectorELNS0_4arch9wavefront6targetE0EEEvT1_,@function
_ZN7rocprim17ROCPRIM_400000_NS6detail17trampoline_kernelINS0_14default_configENS1_27scan_by_key_config_selectorIj11FixedVectorIiLj2EEEEZZNS1_16scan_by_key_implILNS1_25lookback_scan_determinismE0ELb0ES3_N6thrust23THRUST_200600_302600_NS6detail15normal_iteratorINSB_10device_ptrIjEEEENSD_INSE_IS6_EEEESI_S6_NSB_4plusIvEENSB_8equal_toIvEES6_EE10hipError_tPvRmT2_T3_T4_T5_mT6_T7_P12ihipStream_tbENKUlT_T0_E_clISt17integral_constantIbLb0EES12_IbLb1EEEEDaSY_SZ_EUlSY_E_NS1_11comp_targetILNS1_3genE8ELNS1_11target_archE1030ELNS1_3gpuE2ELNS1_3repE0EEENS1_30default_config_static_selectorELNS0_4arch9wavefront6targetE0EEEvT1_: ; @_ZN7rocprim17ROCPRIM_400000_NS6detail17trampoline_kernelINS0_14default_configENS1_27scan_by_key_config_selectorIj11FixedVectorIiLj2EEEEZZNS1_16scan_by_key_implILNS1_25lookback_scan_determinismE0ELb0ES3_N6thrust23THRUST_200600_302600_NS6detail15normal_iteratorINSB_10device_ptrIjEEEENSD_INSE_IS6_EEEESI_S6_NSB_4plusIvEENSB_8equal_toIvEES6_EE10hipError_tPvRmT2_T3_T4_T5_mT6_T7_P12ihipStream_tbENKUlT_T0_E_clISt17integral_constantIbLb0EES12_IbLb1EEEEDaSY_SZ_EUlSY_E_NS1_11comp_targetILNS1_3genE8ELNS1_11target_archE1030ELNS1_3gpuE2ELNS1_3repE0EEENS1_30default_config_static_selectorELNS0_4arch9wavefront6targetE0EEEvT1_
; %bb.0:
	.section	.rodata,"a",@progbits
	.p2align	6, 0x0
	.amdhsa_kernel _ZN7rocprim17ROCPRIM_400000_NS6detail17trampoline_kernelINS0_14default_configENS1_27scan_by_key_config_selectorIj11FixedVectorIiLj2EEEEZZNS1_16scan_by_key_implILNS1_25lookback_scan_determinismE0ELb0ES3_N6thrust23THRUST_200600_302600_NS6detail15normal_iteratorINSB_10device_ptrIjEEEENSD_INSE_IS6_EEEESI_S6_NSB_4plusIvEENSB_8equal_toIvEES6_EE10hipError_tPvRmT2_T3_T4_T5_mT6_T7_P12ihipStream_tbENKUlT_T0_E_clISt17integral_constantIbLb0EES12_IbLb1EEEEDaSY_SZ_EUlSY_E_NS1_11comp_targetILNS1_3genE8ELNS1_11target_archE1030ELNS1_3gpuE2ELNS1_3repE0EEENS1_30default_config_static_selectorELNS0_4arch9wavefront6targetE0EEEvT1_
		.amdhsa_group_segment_fixed_size 0
		.amdhsa_private_segment_fixed_size 0
		.amdhsa_kernarg_size 120
		.amdhsa_user_sgpr_count 2
		.amdhsa_user_sgpr_dispatch_ptr 0
		.amdhsa_user_sgpr_queue_ptr 0
		.amdhsa_user_sgpr_kernarg_segment_ptr 1
		.amdhsa_user_sgpr_dispatch_id 0
		.amdhsa_user_sgpr_kernarg_preload_length 0
		.amdhsa_user_sgpr_kernarg_preload_offset 0
		.amdhsa_user_sgpr_private_segment_size 0
		.amdhsa_wavefront_size32 1
		.amdhsa_uses_dynamic_stack 0
		.amdhsa_enable_private_segment 0
		.amdhsa_system_sgpr_workgroup_id_x 1
		.amdhsa_system_sgpr_workgroup_id_y 0
		.amdhsa_system_sgpr_workgroup_id_z 0
		.amdhsa_system_sgpr_workgroup_info 0
		.amdhsa_system_vgpr_workitem_id 0
		.amdhsa_next_free_vgpr 1
		.amdhsa_next_free_sgpr 1
		.amdhsa_named_barrier_count 0
		.amdhsa_reserve_vcc 0
		.amdhsa_float_round_mode_32 0
		.amdhsa_float_round_mode_16_64 0
		.amdhsa_float_denorm_mode_32 3
		.amdhsa_float_denorm_mode_16_64 3
		.amdhsa_fp16_overflow 0
		.amdhsa_memory_ordered 1
		.amdhsa_forward_progress 1
		.amdhsa_inst_pref_size 0
		.amdhsa_round_robin_scheduling 0
		.amdhsa_exception_fp_ieee_invalid_op 0
		.amdhsa_exception_fp_denorm_src 0
		.amdhsa_exception_fp_ieee_div_zero 0
		.amdhsa_exception_fp_ieee_overflow 0
		.amdhsa_exception_fp_ieee_underflow 0
		.amdhsa_exception_fp_ieee_inexact 0
		.amdhsa_exception_int_div_zero 0
	.end_amdhsa_kernel
	.section	.text._ZN7rocprim17ROCPRIM_400000_NS6detail17trampoline_kernelINS0_14default_configENS1_27scan_by_key_config_selectorIj11FixedVectorIiLj2EEEEZZNS1_16scan_by_key_implILNS1_25lookback_scan_determinismE0ELb0ES3_N6thrust23THRUST_200600_302600_NS6detail15normal_iteratorINSB_10device_ptrIjEEEENSD_INSE_IS6_EEEESI_S6_NSB_4plusIvEENSB_8equal_toIvEES6_EE10hipError_tPvRmT2_T3_T4_T5_mT6_T7_P12ihipStream_tbENKUlT_T0_E_clISt17integral_constantIbLb0EES12_IbLb1EEEEDaSY_SZ_EUlSY_E_NS1_11comp_targetILNS1_3genE8ELNS1_11target_archE1030ELNS1_3gpuE2ELNS1_3repE0EEENS1_30default_config_static_selectorELNS0_4arch9wavefront6targetE0EEEvT1_,"axG",@progbits,_ZN7rocprim17ROCPRIM_400000_NS6detail17trampoline_kernelINS0_14default_configENS1_27scan_by_key_config_selectorIj11FixedVectorIiLj2EEEEZZNS1_16scan_by_key_implILNS1_25lookback_scan_determinismE0ELb0ES3_N6thrust23THRUST_200600_302600_NS6detail15normal_iteratorINSB_10device_ptrIjEEEENSD_INSE_IS6_EEEESI_S6_NSB_4plusIvEENSB_8equal_toIvEES6_EE10hipError_tPvRmT2_T3_T4_T5_mT6_T7_P12ihipStream_tbENKUlT_T0_E_clISt17integral_constantIbLb0EES12_IbLb1EEEEDaSY_SZ_EUlSY_E_NS1_11comp_targetILNS1_3genE8ELNS1_11target_archE1030ELNS1_3gpuE2ELNS1_3repE0EEENS1_30default_config_static_selectorELNS0_4arch9wavefront6targetE0EEEvT1_,comdat
.Lfunc_end1992:
	.size	_ZN7rocprim17ROCPRIM_400000_NS6detail17trampoline_kernelINS0_14default_configENS1_27scan_by_key_config_selectorIj11FixedVectorIiLj2EEEEZZNS1_16scan_by_key_implILNS1_25lookback_scan_determinismE0ELb0ES3_N6thrust23THRUST_200600_302600_NS6detail15normal_iteratorINSB_10device_ptrIjEEEENSD_INSE_IS6_EEEESI_S6_NSB_4plusIvEENSB_8equal_toIvEES6_EE10hipError_tPvRmT2_T3_T4_T5_mT6_T7_P12ihipStream_tbENKUlT_T0_E_clISt17integral_constantIbLb0EES12_IbLb1EEEEDaSY_SZ_EUlSY_E_NS1_11comp_targetILNS1_3genE8ELNS1_11target_archE1030ELNS1_3gpuE2ELNS1_3repE0EEENS1_30default_config_static_selectorELNS0_4arch9wavefront6targetE0EEEvT1_, .Lfunc_end1992-_ZN7rocprim17ROCPRIM_400000_NS6detail17trampoline_kernelINS0_14default_configENS1_27scan_by_key_config_selectorIj11FixedVectorIiLj2EEEEZZNS1_16scan_by_key_implILNS1_25lookback_scan_determinismE0ELb0ES3_N6thrust23THRUST_200600_302600_NS6detail15normal_iteratorINSB_10device_ptrIjEEEENSD_INSE_IS6_EEEESI_S6_NSB_4plusIvEENSB_8equal_toIvEES6_EE10hipError_tPvRmT2_T3_T4_T5_mT6_T7_P12ihipStream_tbENKUlT_T0_E_clISt17integral_constantIbLb0EES12_IbLb1EEEEDaSY_SZ_EUlSY_E_NS1_11comp_targetILNS1_3genE8ELNS1_11target_archE1030ELNS1_3gpuE2ELNS1_3repE0EEENS1_30default_config_static_selectorELNS0_4arch9wavefront6targetE0EEEvT1_
                                        ; -- End function
	.set _ZN7rocprim17ROCPRIM_400000_NS6detail17trampoline_kernelINS0_14default_configENS1_27scan_by_key_config_selectorIj11FixedVectorIiLj2EEEEZZNS1_16scan_by_key_implILNS1_25lookback_scan_determinismE0ELb0ES3_N6thrust23THRUST_200600_302600_NS6detail15normal_iteratorINSB_10device_ptrIjEEEENSD_INSE_IS6_EEEESI_S6_NSB_4plusIvEENSB_8equal_toIvEES6_EE10hipError_tPvRmT2_T3_T4_T5_mT6_T7_P12ihipStream_tbENKUlT_T0_E_clISt17integral_constantIbLb0EES12_IbLb1EEEEDaSY_SZ_EUlSY_E_NS1_11comp_targetILNS1_3genE8ELNS1_11target_archE1030ELNS1_3gpuE2ELNS1_3repE0EEENS1_30default_config_static_selectorELNS0_4arch9wavefront6targetE0EEEvT1_.num_vgpr, 0
	.set _ZN7rocprim17ROCPRIM_400000_NS6detail17trampoline_kernelINS0_14default_configENS1_27scan_by_key_config_selectorIj11FixedVectorIiLj2EEEEZZNS1_16scan_by_key_implILNS1_25lookback_scan_determinismE0ELb0ES3_N6thrust23THRUST_200600_302600_NS6detail15normal_iteratorINSB_10device_ptrIjEEEENSD_INSE_IS6_EEEESI_S6_NSB_4plusIvEENSB_8equal_toIvEES6_EE10hipError_tPvRmT2_T3_T4_T5_mT6_T7_P12ihipStream_tbENKUlT_T0_E_clISt17integral_constantIbLb0EES12_IbLb1EEEEDaSY_SZ_EUlSY_E_NS1_11comp_targetILNS1_3genE8ELNS1_11target_archE1030ELNS1_3gpuE2ELNS1_3repE0EEENS1_30default_config_static_selectorELNS0_4arch9wavefront6targetE0EEEvT1_.num_agpr, 0
	.set _ZN7rocprim17ROCPRIM_400000_NS6detail17trampoline_kernelINS0_14default_configENS1_27scan_by_key_config_selectorIj11FixedVectorIiLj2EEEEZZNS1_16scan_by_key_implILNS1_25lookback_scan_determinismE0ELb0ES3_N6thrust23THRUST_200600_302600_NS6detail15normal_iteratorINSB_10device_ptrIjEEEENSD_INSE_IS6_EEEESI_S6_NSB_4plusIvEENSB_8equal_toIvEES6_EE10hipError_tPvRmT2_T3_T4_T5_mT6_T7_P12ihipStream_tbENKUlT_T0_E_clISt17integral_constantIbLb0EES12_IbLb1EEEEDaSY_SZ_EUlSY_E_NS1_11comp_targetILNS1_3genE8ELNS1_11target_archE1030ELNS1_3gpuE2ELNS1_3repE0EEENS1_30default_config_static_selectorELNS0_4arch9wavefront6targetE0EEEvT1_.numbered_sgpr, 0
	.set _ZN7rocprim17ROCPRIM_400000_NS6detail17trampoline_kernelINS0_14default_configENS1_27scan_by_key_config_selectorIj11FixedVectorIiLj2EEEEZZNS1_16scan_by_key_implILNS1_25lookback_scan_determinismE0ELb0ES3_N6thrust23THRUST_200600_302600_NS6detail15normal_iteratorINSB_10device_ptrIjEEEENSD_INSE_IS6_EEEESI_S6_NSB_4plusIvEENSB_8equal_toIvEES6_EE10hipError_tPvRmT2_T3_T4_T5_mT6_T7_P12ihipStream_tbENKUlT_T0_E_clISt17integral_constantIbLb0EES12_IbLb1EEEEDaSY_SZ_EUlSY_E_NS1_11comp_targetILNS1_3genE8ELNS1_11target_archE1030ELNS1_3gpuE2ELNS1_3repE0EEENS1_30default_config_static_selectorELNS0_4arch9wavefront6targetE0EEEvT1_.num_named_barrier, 0
	.set _ZN7rocprim17ROCPRIM_400000_NS6detail17trampoline_kernelINS0_14default_configENS1_27scan_by_key_config_selectorIj11FixedVectorIiLj2EEEEZZNS1_16scan_by_key_implILNS1_25lookback_scan_determinismE0ELb0ES3_N6thrust23THRUST_200600_302600_NS6detail15normal_iteratorINSB_10device_ptrIjEEEENSD_INSE_IS6_EEEESI_S6_NSB_4plusIvEENSB_8equal_toIvEES6_EE10hipError_tPvRmT2_T3_T4_T5_mT6_T7_P12ihipStream_tbENKUlT_T0_E_clISt17integral_constantIbLb0EES12_IbLb1EEEEDaSY_SZ_EUlSY_E_NS1_11comp_targetILNS1_3genE8ELNS1_11target_archE1030ELNS1_3gpuE2ELNS1_3repE0EEENS1_30default_config_static_selectorELNS0_4arch9wavefront6targetE0EEEvT1_.private_seg_size, 0
	.set _ZN7rocprim17ROCPRIM_400000_NS6detail17trampoline_kernelINS0_14default_configENS1_27scan_by_key_config_selectorIj11FixedVectorIiLj2EEEEZZNS1_16scan_by_key_implILNS1_25lookback_scan_determinismE0ELb0ES3_N6thrust23THRUST_200600_302600_NS6detail15normal_iteratorINSB_10device_ptrIjEEEENSD_INSE_IS6_EEEESI_S6_NSB_4plusIvEENSB_8equal_toIvEES6_EE10hipError_tPvRmT2_T3_T4_T5_mT6_T7_P12ihipStream_tbENKUlT_T0_E_clISt17integral_constantIbLb0EES12_IbLb1EEEEDaSY_SZ_EUlSY_E_NS1_11comp_targetILNS1_3genE8ELNS1_11target_archE1030ELNS1_3gpuE2ELNS1_3repE0EEENS1_30default_config_static_selectorELNS0_4arch9wavefront6targetE0EEEvT1_.uses_vcc, 0
	.set _ZN7rocprim17ROCPRIM_400000_NS6detail17trampoline_kernelINS0_14default_configENS1_27scan_by_key_config_selectorIj11FixedVectorIiLj2EEEEZZNS1_16scan_by_key_implILNS1_25lookback_scan_determinismE0ELb0ES3_N6thrust23THRUST_200600_302600_NS6detail15normal_iteratorINSB_10device_ptrIjEEEENSD_INSE_IS6_EEEESI_S6_NSB_4plusIvEENSB_8equal_toIvEES6_EE10hipError_tPvRmT2_T3_T4_T5_mT6_T7_P12ihipStream_tbENKUlT_T0_E_clISt17integral_constantIbLb0EES12_IbLb1EEEEDaSY_SZ_EUlSY_E_NS1_11comp_targetILNS1_3genE8ELNS1_11target_archE1030ELNS1_3gpuE2ELNS1_3repE0EEENS1_30default_config_static_selectorELNS0_4arch9wavefront6targetE0EEEvT1_.uses_flat_scratch, 0
	.set _ZN7rocprim17ROCPRIM_400000_NS6detail17trampoline_kernelINS0_14default_configENS1_27scan_by_key_config_selectorIj11FixedVectorIiLj2EEEEZZNS1_16scan_by_key_implILNS1_25lookback_scan_determinismE0ELb0ES3_N6thrust23THRUST_200600_302600_NS6detail15normal_iteratorINSB_10device_ptrIjEEEENSD_INSE_IS6_EEEESI_S6_NSB_4plusIvEENSB_8equal_toIvEES6_EE10hipError_tPvRmT2_T3_T4_T5_mT6_T7_P12ihipStream_tbENKUlT_T0_E_clISt17integral_constantIbLb0EES12_IbLb1EEEEDaSY_SZ_EUlSY_E_NS1_11comp_targetILNS1_3genE8ELNS1_11target_archE1030ELNS1_3gpuE2ELNS1_3repE0EEENS1_30default_config_static_selectorELNS0_4arch9wavefront6targetE0EEEvT1_.has_dyn_sized_stack, 0
	.set _ZN7rocprim17ROCPRIM_400000_NS6detail17trampoline_kernelINS0_14default_configENS1_27scan_by_key_config_selectorIj11FixedVectorIiLj2EEEEZZNS1_16scan_by_key_implILNS1_25lookback_scan_determinismE0ELb0ES3_N6thrust23THRUST_200600_302600_NS6detail15normal_iteratorINSB_10device_ptrIjEEEENSD_INSE_IS6_EEEESI_S6_NSB_4plusIvEENSB_8equal_toIvEES6_EE10hipError_tPvRmT2_T3_T4_T5_mT6_T7_P12ihipStream_tbENKUlT_T0_E_clISt17integral_constantIbLb0EES12_IbLb1EEEEDaSY_SZ_EUlSY_E_NS1_11comp_targetILNS1_3genE8ELNS1_11target_archE1030ELNS1_3gpuE2ELNS1_3repE0EEENS1_30default_config_static_selectorELNS0_4arch9wavefront6targetE0EEEvT1_.has_recursion, 0
	.set _ZN7rocprim17ROCPRIM_400000_NS6detail17trampoline_kernelINS0_14default_configENS1_27scan_by_key_config_selectorIj11FixedVectorIiLj2EEEEZZNS1_16scan_by_key_implILNS1_25lookback_scan_determinismE0ELb0ES3_N6thrust23THRUST_200600_302600_NS6detail15normal_iteratorINSB_10device_ptrIjEEEENSD_INSE_IS6_EEEESI_S6_NSB_4plusIvEENSB_8equal_toIvEES6_EE10hipError_tPvRmT2_T3_T4_T5_mT6_T7_P12ihipStream_tbENKUlT_T0_E_clISt17integral_constantIbLb0EES12_IbLb1EEEEDaSY_SZ_EUlSY_E_NS1_11comp_targetILNS1_3genE8ELNS1_11target_archE1030ELNS1_3gpuE2ELNS1_3repE0EEENS1_30default_config_static_selectorELNS0_4arch9wavefront6targetE0EEEvT1_.has_indirect_call, 0
	.section	.AMDGPU.csdata,"",@progbits
; Kernel info:
; codeLenInByte = 0
; TotalNumSgprs: 0
; NumVgprs: 0
; ScratchSize: 0
; MemoryBound: 0
; FloatMode: 240
; IeeeMode: 1
; LDSByteSize: 0 bytes/workgroup (compile time only)
; SGPRBlocks: 0
; VGPRBlocks: 0
; NumSGPRsForWavesPerEU: 1
; NumVGPRsForWavesPerEU: 1
; NamedBarCnt: 0
; Occupancy: 16
; WaveLimiterHint : 0
; COMPUTE_PGM_RSRC2:SCRATCH_EN: 0
; COMPUTE_PGM_RSRC2:USER_SGPR: 2
; COMPUTE_PGM_RSRC2:TRAP_HANDLER: 0
; COMPUTE_PGM_RSRC2:TGID_X_EN: 1
; COMPUTE_PGM_RSRC2:TGID_Y_EN: 0
; COMPUTE_PGM_RSRC2:TGID_Z_EN: 0
; COMPUTE_PGM_RSRC2:TIDIG_COMP_CNT: 0
	.section	.text._ZN7rocprim17ROCPRIM_400000_NS6detail17trampoline_kernelINS0_14default_configENS1_27scan_by_key_config_selectorIj11FixedVectorIiLj2EEEEZZNS1_16scan_by_key_implILNS1_25lookback_scan_determinismE0ELb1ES3_N6thrust23THRUST_200600_302600_NS6detail15normal_iteratorINSB_10device_ptrIjEEEENSD_INSE_IS6_EEEESI_S6_NSB_4plusIvEENSB_8equal_toIvEES6_EE10hipError_tPvRmT2_T3_T4_T5_mT6_T7_P12ihipStream_tbENKUlT_T0_E_clISt17integral_constantIbLb0EES13_EEDaSY_SZ_EUlSY_E_NS1_11comp_targetILNS1_3genE0ELNS1_11target_archE4294967295ELNS1_3gpuE0ELNS1_3repE0EEENS1_30default_config_static_selectorELNS0_4arch9wavefront6targetE0EEEvT1_,"axG",@progbits,_ZN7rocprim17ROCPRIM_400000_NS6detail17trampoline_kernelINS0_14default_configENS1_27scan_by_key_config_selectorIj11FixedVectorIiLj2EEEEZZNS1_16scan_by_key_implILNS1_25lookback_scan_determinismE0ELb1ES3_N6thrust23THRUST_200600_302600_NS6detail15normal_iteratorINSB_10device_ptrIjEEEENSD_INSE_IS6_EEEESI_S6_NSB_4plusIvEENSB_8equal_toIvEES6_EE10hipError_tPvRmT2_T3_T4_T5_mT6_T7_P12ihipStream_tbENKUlT_T0_E_clISt17integral_constantIbLb0EES13_EEDaSY_SZ_EUlSY_E_NS1_11comp_targetILNS1_3genE0ELNS1_11target_archE4294967295ELNS1_3gpuE0ELNS1_3repE0EEENS1_30default_config_static_selectorELNS0_4arch9wavefront6targetE0EEEvT1_,comdat
	.protected	_ZN7rocprim17ROCPRIM_400000_NS6detail17trampoline_kernelINS0_14default_configENS1_27scan_by_key_config_selectorIj11FixedVectorIiLj2EEEEZZNS1_16scan_by_key_implILNS1_25lookback_scan_determinismE0ELb1ES3_N6thrust23THRUST_200600_302600_NS6detail15normal_iteratorINSB_10device_ptrIjEEEENSD_INSE_IS6_EEEESI_S6_NSB_4plusIvEENSB_8equal_toIvEES6_EE10hipError_tPvRmT2_T3_T4_T5_mT6_T7_P12ihipStream_tbENKUlT_T0_E_clISt17integral_constantIbLb0EES13_EEDaSY_SZ_EUlSY_E_NS1_11comp_targetILNS1_3genE0ELNS1_11target_archE4294967295ELNS1_3gpuE0ELNS1_3repE0EEENS1_30default_config_static_selectorELNS0_4arch9wavefront6targetE0EEEvT1_ ; -- Begin function _ZN7rocprim17ROCPRIM_400000_NS6detail17trampoline_kernelINS0_14default_configENS1_27scan_by_key_config_selectorIj11FixedVectorIiLj2EEEEZZNS1_16scan_by_key_implILNS1_25lookback_scan_determinismE0ELb1ES3_N6thrust23THRUST_200600_302600_NS6detail15normal_iteratorINSB_10device_ptrIjEEEENSD_INSE_IS6_EEEESI_S6_NSB_4plusIvEENSB_8equal_toIvEES6_EE10hipError_tPvRmT2_T3_T4_T5_mT6_T7_P12ihipStream_tbENKUlT_T0_E_clISt17integral_constantIbLb0EES13_EEDaSY_SZ_EUlSY_E_NS1_11comp_targetILNS1_3genE0ELNS1_11target_archE4294967295ELNS1_3gpuE0ELNS1_3repE0EEENS1_30default_config_static_selectorELNS0_4arch9wavefront6targetE0EEEvT1_
	.globl	_ZN7rocprim17ROCPRIM_400000_NS6detail17trampoline_kernelINS0_14default_configENS1_27scan_by_key_config_selectorIj11FixedVectorIiLj2EEEEZZNS1_16scan_by_key_implILNS1_25lookback_scan_determinismE0ELb1ES3_N6thrust23THRUST_200600_302600_NS6detail15normal_iteratorINSB_10device_ptrIjEEEENSD_INSE_IS6_EEEESI_S6_NSB_4plusIvEENSB_8equal_toIvEES6_EE10hipError_tPvRmT2_T3_T4_T5_mT6_T7_P12ihipStream_tbENKUlT_T0_E_clISt17integral_constantIbLb0EES13_EEDaSY_SZ_EUlSY_E_NS1_11comp_targetILNS1_3genE0ELNS1_11target_archE4294967295ELNS1_3gpuE0ELNS1_3repE0EEENS1_30default_config_static_selectorELNS0_4arch9wavefront6targetE0EEEvT1_
	.p2align	8
	.type	_ZN7rocprim17ROCPRIM_400000_NS6detail17trampoline_kernelINS0_14default_configENS1_27scan_by_key_config_selectorIj11FixedVectorIiLj2EEEEZZNS1_16scan_by_key_implILNS1_25lookback_scan_determinismE0ELb1ES3_N6thrust23THRUST_200600_302600_NS6detail15normal_iteratorINSB_10device_ptrIjEEEENSD_INSE_IS6_EEEESI_S6_NSB_4plusIvEENSB_8equal_toIvEES6_EE10hipError_tPvRmT2_T3_T4_T5_mT6_T7_P12ihipStream_tbENKUlT_T0_E_clISt17integral_constantIbLb0EES13_EEDaSY_SZ_EUlSY_E_NS1_11comp_targetILNS1_3genE0ELNS1_11target_archE4294967295ELNS1_3gpuE0ELNS1_3repE0EEENS1_30default_config_static_selectorELNS0_4arch9wavefront6targetE0EEEvT1_,@function
_ZN7rocprim17ROCPRIM_400000_NS6detail17trampoline_kernelINS0_14default_configENS1_27scan_by_key_config_selectorIj11FixedVectorIiLj2EEEEZZNS1_16scan_by_key_implILNS1_25lookback_scan_determinismE0ELb1ES3_N6thrust23THRUST_200600_302600_NS6detail15normal_iteratorINSB_10device_ptrIjEEEENSD_INSE_IS6_EEEESI_S6_NSB_4plusIvEENSB_8equal_toIvEES6_EE10hipError_tPvRmT2_T3_T4_T5_mT6_T7_P12ihipStream_tbENKUlT_T0_E_clISt17integral_constantIbLb0EES13_EEDaSY_SZ_EUlSY_E_NS1_11comp_targetILNS1_3genE0ELNS1_11target_archE4294967295ELNS1_3gpuE0ELNS1_3repE0EEENS1_30default_config_static_selectorELNS0_4arch9wavefront6targetE0EEEvT1_: ; @_ZN7rocprim17ROCPRIM_400000_NS6detail17trampoline_kernelINS0_14default_configENS1_27scan_by_key_config_selectorIj11FixedVectorIiLj2EEEEZZNS1_16scan_by_key_implILNS1_25lookback_scan_determinismE0ELb1ES3_N6thrust23THRUST_200600_302600_NS6detail15normal_iteratorINSB_10device_ptrIjEEEENSD_INSE_IS6_EEEESI_S6_NSB_4plusIvEENSB_8equal_toIvEES6_EE10hipError_tPvRmT2_T3_T4_T5_mT6_T7_P12ihipStream_tbENKUlT_T0_E_clISt17integral_constantIbLb0EES13_EEDaSY_SZ_EUlSY_E_NS1_11comp_targetILNS1_3genE0ELNS1_11target_archE4294967295ELNS1_3gpuE0ELNS1_3repE0EEENS1_30default_config_static_selectorELNS0_4arch9wavefront6targetE0EEEvT1_
; %bb.0:
	s_clause 0x2
	s_load_b96 s[24:26], s[0:1], 0x40
	s_load_b256 s[8:15], s[0:1], 0x0
	s_load_b128 s[20:23], s[0:1], 0x50
	s_bfe_u32 s4, ttmp6, 0x4000c
	s_barrier_signal -1
	s_barrier_wait -1
	s_add_co_i32 s4, s4, 1
	s_clause 0x1
	s_load_b64 s[28:29], s[0:1], 0x20
	s_load_b128 s[16:19], s[0:1], 0x30
	s_and_b32 s2, ttmp6, 15
	s_wait_xcnt 0x0
	s_mul_i32 s0, ttmp9, s4
	s_getreg_b32 s5, hwreg(HW_REG_IB_STS2, 6, 4)
	s_add_co_i32 s4, s2, s0
	s_mov_b32 s3, 0
	s_delay_alu instid0(SALU_CYCLE_1)
	s_mov_b32 s31, s3
	s_wait_kmcnt 0x0
	s_mov_b32 s2, s26
	s_lshl_b64 s[26:27], s[10:11], 3
	s_cmp_eq_u32 s5, 0
	s_mul_u64 s[0:1], s[24:25], s[2:3]
	s_cselect_b32 s30, ttmp9, s4
	s_add_nc_u64 s[6:7], s[20:21], -1
	s_add_nc_u64 s[0:1], s[0:1], s[30:31]
	s_lshl_b64 s[10:11], s[10:11], 2
	v_cmp_ge_u64_e64 s31, s[0:1], s[6:7]
	s_mul_i32 s2, s30, 0x500
	s_add_nc_u64 s[4:5], s[12:13], s[26:27]
	s_add_nc_u64 s[0:1], s[8:9], s[10:11]
	s_lshl_b64 s[8:9], s[2:3], 2
	s_lshl_b64 s[12:13], s[2:3], 3
	s_add_nc_u64 s[20:21], s[0:1], s[8:9]
	s_add_nc_u64 s[10:11], s[4:5], s[12:13]
	s_and_b32 vcc_lo, exec_lo, s31
	s_mul_i32 s19, s6, 0xfffffb00
	s_cbranch_vccz .LBB1993_62
; %bb.1:
	v_mov_b32_e32 v1, 0
	s_add_co_i32 s35, s19, s18
	s_delay_alu instid0(SALU_CYCLE_1)
	v_cmp_gt_u32_e32 vcc_lo, s35, v0
	flat_load_b32 v1, v1, s[20:21]
	s_wait_loadcnt_dscnt 0x0
	v_mov_b32_e32 v2, v1
	s_and_saveexec_b32 s0, vcc_lo
	s_cbranch_execz .LBB1993_3
; %bb.2:
	flat_load_b32 v2, v0, s[20:21] scale_offset
.LBB1993_3:
	s_wait_xcnt 0x0
	s_or_b32 exec_lo, exec_lo, s0
	v_or_b32_e32 v3, 0x80, v0
	s_delay_alu instid0(VALU_DEP_1)
	v_cmp_gt_u32_e64 s0, s35, v3
	v_mov_b32_e32 v3, v1
	s_and_saveexec_b32 s1, s0
	s_cbranch_execz .LBB1993_5
; %bb.4:
	flat_load_b32 v3, v0, s[20:21] offset:512 scale_offset
.LBB1993_5:
	s_wait_xcnt 0x0
	s_or_b32 exec_lo, exec_lo, s1
	v_or_b32_e32 v4, 0x100, v0
	s_delay_alu instid0(VALU_DEP_1)
	v_cmp_gt_u32_e64 s1, s35, v4
	v_mov_b32_e32 v4, v1
	s_and_saveexec_b32 s2, s1
	s_cbranch_execz .LBB1993_7
; %bb.6:
	flat_load_b32 v4, v0, s[20:21] offset:1024 scale_offset
.LBB1993_7:
	;; [unrolled: 11-line block ×8, first 2 shown]
	s_wait_xcnt 0x0
	s_or_b32 exec_lo, exec_lo, s8
	v_or_b32_e32 v11, 0x480, v0
	s_delay_alu instid0(VALU_DEP_1) | instskip(SKIP_2) | instid1(SALU_CYCLE_1)
	v_cmp_gt_u32_e64 s8, s35, v11
	v_cmp_le_u32_e64 s9, s35, v11
	s_and_saveexec_b32 s33, s9
	s_xor_b32 s9, exec_lo, s33
	s_delay_alu instid0(SALU_CYCLE_1)
	s_and_not1_saveexec_b32 s9, s9
	s_cbranch_execz .LBB1993_21
; %bb.20:
	flat_load_b32 v1, v0, s[20:21] offset:4608 scale_offset
.LBB1993_21:
	s_wait_xcnt 0x0
	s_or_b32 exec_lo, exec_lo, s9
	v_lshlrev_b32_e32 v11, 2, v0
	s_mov_b32 s33, exec_lo
	s_wait_loadcnt_dscnt 0x0
	ds_store_2addr_stride64_b32 v11, v2, v3 offset1:2
	ds_store_2addr_stride64_b32 v11, v4, v5 offset0:4 offset1:6
	ds_store_2addr_stride64_b32 v11, v6, v7 offset0:8 offset1:10
	;; [unrolled: 1-line block ×4, first 2 shown]
	v_mov_b32_e32 v1, 0
	s_wait_dscnt 0x0
	s_barrier_signal -1
	s_barrier_wait -1
	flat_load_b32 v54, v1, s[20:21]
	s_wait_xcnt 0x0
	v_mad_u32_u24 v1, v0, 36, v11
	ds_load_2addr_b64 v[10:13], v1 offset1:1
	ds_load_2addr_b64 v[6:9], v1 offset0:2 offset1:3
	ds_load_b64 v[2:3], v1 offset:32
	v_mad_i32_i24 v1, 0xffffffdc, v0, v1
	s_wait_dscnt 0x2
	ds_store_b32 v1, v10 offset:5632
	s_wait_loadcnt_dscnt 0x0
	s_barrier_signal -1
	s_barrier_wait -1
	v_cmpx_ne_u32_e32 0x7f, v0
; %bb.22:
	ds_load_b32 v54, v1 offset:5636
; %bb.23:
	s_or_b32 exec_lo, exec_lo, s33
	v_mov_b64_e32 v[4:5], 0
	v_mov_b64_e32 v[14:15], 0
	s_wait_dscnt 0x0
	s_barrier_signal -1
	s_barrier_wait -1
	s_and_saveexec_b32 s9, vcc_lo
	s_cbranch_execz .LBB1993_25
; %bb.24:
	flat_load_b64 v[14:15], v0, s[10:11] scale_offset
.LBB1993_25:
	s_wait_xcnt 0x0
	s_or_b32 exec_lo, exec_lo, s9
	s_and_saveexec_b32 s9, s0
	s_cbranch_execz .LBB1993_27
; %bb.26:
	flat_load_b64 v[4:5], v0, s[10:11] offset:1024 scale_offset
.LBB1993_27:
	s_wait_xcnt 0x0
	s_or_b32 exec_lo, exec_lo, s9
	v_mov_b64_e32 v[16:17], 0
	v_mov_b64_e32 v[18:19], 0
	s_and_saveexec_b32 s0, s1
	s_cbranch_execz .LBB1993_29
; %bb.28:
	flat_load_b64 v[18:19], v0, s[10:11] offset:2048 scale_offset
.LBB1993_29:
	s_wait_xcnt 0x0
	s_or_b32 exec_lo, exec_lo, s0
	s_and_saveexec_b32 s0, s2
	s_cbranch_execz .LBB1993_31
; %bb.30:
	flat_load_b64 v[16:17], v0, s[10:11] offset:3072 scale_offset
.LBB1993_31:
	s_wait_xcnt 0x0
	s_or_b32 exec_lo, exec_lo, s0
	v_mov_b64_e32 v[20:21], 0
	v_mov_b64_e32 v[22:23], 0
	s_and_saveexec_b32 s0, s3
	s_cbranch_execz .LBB1993_33
; %bb.32:
	flat_load_b64 v[22:23], v0, s[10:11] offset:4096 scale_offset
.LBB1993_33:
	;; [unrolled: 16-line block ×4, first 2 shown]
	s_wait_xcnt 0x0
	s_or_b32 exec_lo, exec_lo, s0
	v_mul_u32_u24_e32 v55, 10, v0
	s_and_saveexec_b32 s0, s8
	s_cbranch_execz .LBB1993_43
; %bb.42:
	flat_load_b64 v[28:29], v0, s[10:11] offset:9216 scale_offset
.LBB1993_43:
	s_wait_xcnt 0x0
	s_or_b32 exec_lo, exec_lo, s0
	v_lshl_add_u32 v56, v0, 2, v1
	v_mov_b64_e32 v[44:45], 0
	v_mov_b64_e32 v[46:47], 0
	v_mov_b64_e32 v[48:49], 0
	v_mov_b64_e32 v[42:43], 0
	s_wait_loadcnt_dscnt 0x0
	ds_store_2addr_stride64_b64 v56, v[14:15], v[4:5] offset1:2
	ds_store_2addr_stride64_b64 v56, v[18:19], v[16:17] offset0:4 offset1:6
	ds_store_2addr_stride64_b64 v56, v[22:23], v[20:21] offset0:8 offset1:10
	;; [unrolled: 1-line block ×4, first 2 shown]
	v_mov_b64_e32 v[26:27], 0
	v_mov_b64_e32 v[20:21], 0
	;; [unrolled: 1-line block ×12, first 2 shown]
	v_cmp_gt_u32_e32 vcc_lo, s35, v55
	v_dual_mov_b32 v1, 0 :: v_dual_mov_b32 v50, 0
	v_dual_mov_b32 v57, 0 :: v_dual_mov_b32 v58, 0
	;; [unrolled: 1-line block ×8, first 2 shown]
	s_mov_b32 s9, 0
	s_mov_b32 s3, 0
	s_wait_dscnt 0x0
	s_barrier_signal -1
	s_barrier_wait -1
                                        ; implicit-def: $sgpr33
                                        ; implicit-def: $vgpr4_vgpr5
	s_and_saveexec_b32 s34, vcc_lo
	s_cbranch_execz .LBB1993_61
; %bb.44:
	v_mad_u32_u24 v4, 0x48, v0, v56
	v_dual_mov_b32 v1, 0 :: v_dual_bitop2_b32 v15, 1, v55 bitop3:0x54
	v_cmp_ne_u32_e32 vcc_lo, v10, v11
	v_mov_b64_e32 v[20:21], 0
	ds_load_b64 v[4:5], v4
	v_mov_b64_e32 v[18:19], 0
	v_mov_b64_e32 v[24:25], 0
	;; [unrolled: 1-line block ×13, first 2 shown]
	v_dual_mov_b32 v57, 0 :: v_dual_mov_b32 v58, 0
	v_dual_mov_b32 v59, 0 :: v_dual_mov_b32 v60, 0
	;; [unrolled: 1-line block ×3, first 2 shown]
	v_cmp_gt_u32_e64 s0, s35, v15
	s_wait_dscnt 0x0
	v_cndmask_b32_e64 v27, v5, s29, vcc_lo
	v_cndmask_b32_e64 v26, v4, s28, vcc_lo
	v_dual_mov_b32 v51, 0 :: v_dual_mov_b32 v53, 0
	v_dual_mov_b32 v52, 0 :: v_dual_mov_b32 v62, 0
	;; [unrolled: 1-line block ×4, first 2 shown]
	s_mov_b32 s1, 0
                                        ; implicit-def: $sgpr33
                                        ; implicit-def: $vgpr4_vgpr5
	s_and_saveexec_b32 s36, s0
	s_cbranch_execz .LBB1993_60
; %bb.45:
	v_mul_u32_u24_e32 v4, 0x48, v0
	v_dual_add_nc_u32 v5, 2, v55 :: v_dual_mov_b32 v1, 0
	v_cmp_ne_u32_e64 s0, v11, v12
	v_mov_b64_e32 v[18:19], 0
	s_delay_alu instid0(VALU_DEP_4)
	v_dual_mov_b32 v57, 0 :: v_dual_add_nc_u32 v40, v56, v4
	v_mov_b64_e32 v[24:25], 0
	v_mov_b64_e32 v[22:23], 0
	;; [unrolled: 1-line block ×3, first 2 shown]
	ds_load_2addr_b64 v[14:17], v40 offset0:1 offset1:2
	v_mov_b64_e32 v[46:47], 0
	v_mov_b64_e32 v[48:49], 0
	;; [unrolled: 1-line block ×8, first 2 shown]
	v_dual_mov_b32 v58, 0 :: v_dual_mov_b32 v59, 0
	v_dual_mov_b32 v60, 0 :: v_dual_mov_b32 v61, 0
	;; [unrolled: 1-line block ×4, first 2 shown]
	v_mov_b32_e32 v63, 0
	v_cmp_gt_u32_e64 s1, s35, v5
	v_mov_b32_e32 v64, 0
	s_wait_dscnt 0x0
	v_cndmask_b32_e64 v21, v15, s29, s0
	v_cndmask_b32_e64 v20, v14, s28, s0
	v_mov_b32_e32 v15, 0
	s_mov_b32 s2, 0
                                        ; implicit-def: $sgpr33
                                        ; implicit-def: $vgpr4_vgpr5
	s_and_saveexec_b32 s37, s1
	s_cbranch_execz .LBB1993_59
; %bb.46:
	v_cmp_ne_u32_e64 s1, v12, v13
	v_dual_mov_b32 v1, 0 :: v_dual_add_nc_u32 v4, 3, v55
	v_mov_b64_e32 v[24:25], 0
	v_mov_b64_e32 v[22:23], 0
	;; [unrolled: 1-line block ×10, first 2 shown]
	v_cndmask_b32_e64 v19, v17, s29, s1
	v_cndmask_b32_e64 v18, v16, s28, s1
	v_cmp_gt_u32_e64 s2, s35, v4
	v_dual_mov_b32 v57, 0 :: v_dual_mov_b32 v58, 0
	v_dual_mov_b32 v59, 0 :: v_dual_mov_b32 v60, 0
	;; [unrolled: 1-line block ×5, first 2 shown]
                                        ; implicit-def: $sgpr33
                                        ; implicit-def: $vgpr4_vgpr5
	s_and_saveexec_b32 s38, s2
	s_cbranch_execz .LBB1993_58
; %bb.47:
	ds_load_2addr_b64 v[14:17], v40 offset0:3 offset1:4
	v_cmp_ne_u32_e64 s2, v13, v6
	v_dual_mov_b32 v1, 0 :: v_dual_add_nc_u32 v4, 4, v55
	v_mov_b64_e32 v[22:23], 0
	v_mov_b64_e32 v[44:45], 0
	;; [unrolled: 1-line block ×8, first 2 shown]
	v_dual_mov_b32 v57, 0 :: v_dual_mov_b32 v58, 0
	v_dual_mov_b32 v59, 0 :: v_dual_mov_b32 v51, 0
	;; [unrolled: 1-line block ×3, first 2 shown]
	v_cmp_gt_u32_e64 s3, s35, v4
	v_dual_mov_b32 v62, 0 :: v_dual_mov_b32 v63, 0
	s_wait_dscnt 0x0
	v_cndmask_b32_e64 v25, v15, s29, s2
	v_cndmask_b32_e64 v24, v14, s28, s2
	s_mov_b32 s4, 0
                                        ; implicit-def: $sgpr33
                                        ; implicit-def: $vgpr4_vgpr5
	s_and_saveexec_b32 s39, s3
	s_cbranch_execz .LBB1993_57
; %bb.48:
	v_cmp_ne_u32_e64 s3, v6, v7
	v_dual_mov_b32 v1, 0 :: v_dual_add_nc_u32 v4, 5, v55
	v_mov_b64_e32 v[44:45], 0
	v_mov_b64_e32 v[46:47], 0
	;; [unrolled: 1-line block ×6, first 2 shown]
	v_cndmask_b32_e64 v23, v17, s29, s3
	v_cndmask_b32_e64 v22, v16, s28, s3
	v_cmp_gt_u32_e64 s4, s35, v4
	v_dual_mov_b32 v57, 0 :: v_dual_mov_b32 v58, 0
	v_dual_mov_b32 v51, 0 :: v_dual_mov_b32 v53, 0
	;; [unrolled: 1-line block ×3, first 2 shown]
	s_mov_b32 s5, 0
                                        ; implicit-def: $sgpr33
                                        ; implicit-def: $vgpr4_vgpr5
	s_and_saveexec_b32 s40, s4
	s_cbranch_execz .LBB1993_56
; %bb.49:
	ds_load_2addr_b64 v[10:13], v40 offset0:5 offset1:6
	v_cmp_ne_u32_e64 s4, v7, v8
	v_dual_mov_b32 v1, 0 :: v_dual_add_nc_u32 v4, 6, v55
	v_mov_b64_e32 v[46:47], 0
	v_mov_b64_e32 v[48:49], 0
	;; [unrolled: 1-line block ×4, first 2 shown]
	v_dual_mov_b32 v57, 0 :: v_dual_mov_b32 v51, 0
	v_cmp_gt_u32_e64 s5, s35, v4
	v_mov_b32_e32 v52, 0
	s_mov_b32 s6, 0
                                        ; implicit-def: $sgpr33
                                        ; implicit-def: $vgpr4_vgpr5
	s_wait_dscnt 0x0
	v_cndmask_b32_e64 v45, v11, s29, s4
	v_cndmask_b32_e64 v44, v10, s28, s4
	s_and_saveexec_b32 s41, s5
	s_cbranch_execz .LBB1993_55
; %bb.50:
	v_cmp_ne_u32_e64 s5, v8, v9
	v_dual_add_nc_u32 v1, 7, v55 :: v_dual_mov_b32 v51, 0
	v_mov_b64_e32 v[48:49], 0
	v_mov_b64_e32 v[28:29], 0
	s_delay_alu instid0(VALU_DEP_4)
	v_cndmask_b32_e64 v47, v13, s29, s5
	v_cndmask_b32_e64 v46, v12, s28, s5
	v_cmp_gt_u32_e64 s6, s35, v1
	v_mov_b32_e32 v1, 0
	s_mov_b32 s7, 0
                                        ; implicit-def: $sgpr33
                                        ; implicit-def: $vgpr4_vgpr5
	s_and_saveexec_b32 s42, s6
	s_cbranch_execz .LBB1993_54
; %bb.51:
	ds_load_2addr_b64 v[4:7], v40 offset0:7 offset1:8
	v_cmp_ne_u32_e64 s6, v9, v2
	v_mov_b64_e32 v[28:29], 0
	v_dual_add_nc_u32 v1, 8, v55 :: v_dual_mov_b32 v51, 0
	s_mov_b32 s8, 0
	s_mov_b32 s43, exec_lo
                                        ; implicit-def: $sgpr33
	s_wait_dscnt 0x0
	v_cndmask_b32_e64 v49, v5, s29, s6
	v_cndmask_b32_e64 v48, v4, s28, s6
                                        ; implicit-def: $vgpr4_vgpr5
	v_cmpx_gt_u32_e64 s35, v1
	s_xor_b32 s43, exec_lo, s43
	s_cbranch_execz .LBB1993_53
; %bb.52:
	ds_load_b64 v[4:5], v40 offset:72
	v_add_nc_u32_e32 v1, 9, v55
	v_cmp_ne_u32_e64 s7, v2, v3
	v_cmp_ne_u32_e64 s33, v3, v54
	s_delay_alu instid0(VALU_DEP_3) | instskip(NEXT) | instid1(VALU_DEP_3)
	v_cmp_gt_u32_e64 s8, s35, v1
	v_cndmask_b32_e64 v51, 0, 1, s7
	v_cndmask_b32_e64 v29, v7, s29, s7
	;; [unrolled: 1-line block ×3, first 2 shown]
	s_and_b32 s8, s8, exec_lo
.LBB1993_53:
	s_or_b32 exec_lo, exec_lo, s43
	v_cndmask_b32_e64 v1, 0, 1, s6
	s_and_b32 s7, s8, exec_lo
.LBB1993_54:
	s_or_b32 exec_lo, exec_lo, s42
	v_cndmask_b32_e64 v57, 0, 1, s5
	v_mov_b64_e32 v[30:31], v[48:49]
	s_and_b32 s6, s7, exec_lo
	s_delay_alu instid0(VALU_DEP_2)
	v_mov_b32_e32 v52, v57
.LBB1993_55:
	s_or_b32 exec_lo, exec_lo, s41
	v_cndmask_b32_e64 v58, 0, 1, s4
	v_mov_b64_e32 v[32:33], v[46:47]
	v_mov_b32_e32 v53, v1
	s_and_b32 s5, s6, exec_lo
	s_delay_alu instid0(VALU_DEP_3)
	v_mov_b32_e32 v62, v58
.LBB1993_56:
	s_or_b32 exec_lo, exec_lo, s40
	v_cndmask_b32_e64 v59, 0, 1, s3
	v_mov_b64_e32 v[34:35], v[44:45]
	s_and_b32 s4, s5, exec_lo
	s_delay_alu instid0(VALU_DEP_2)
	v_mov_b32_e32 v63, v59
.LBB1993_57:
	s_or_b32 exec_lo, exec_lo, s39
	v_cndmask_b32_e64 v60, 0, 1, s2
	v_mov_b64_e32 v[36:37], v[22:23]
	s_and_b32 s3, s4, exec_lo
	s_delay_alu instid0(VALU_DEP_2)
	v_mov_b32_e32 v15, v60
.LBB1993_58:
	s_or_b32 exec_lo, exec_lo, s38
	v_cndmask_b32_e64 v61, 0, 1, s1
	v_mov_b64_e32 v[38:39], v[24:25]
	s_and_b32 s2, s3, exec_lo
	s_delay_alu instid0(VALU_DEP_2)
	v_mov_b32_e32 v64, v61
.LBB1993_59:
	s_or_b32 exec_lo, exec_lo, s37
	v_cndmask_b32_e64 v14, 0, 1, s0
	v_mov_b64_e32 v[40:41], v[18:19]
	s_and_b32 s1, s2, exec_lo
	s_delay_alu instid0(VALU_DEP_2)
	v_mov_b32_e32 v16, v14
.LBB1993_60:
	s_or_b32 exec_lo, exec_lo, s36
	v_mov_b64_e32 v[42:43], v[20:21]
	v_cndmask_b32_e64 v50, 0, 1, vcc_lo
	s_and_b32 s3, s1, exec_lo
.LBB1993_61:
	s_or_b32 exec_lo, exec_lo, s34
	s_delay_alu instid0(SALU_CYCLE_1)
	s_and_b32 vcc_lo, exec_lo, s9
	s_cbranch_vccnz .LBB1993_63
	s_branch .LBB1993_66
.LBB1993_62:
                                        ; implicit-def: $sgpr33
                                        ; implicit-def: $vgpr4_vgpr5
                                        ; implicit-def: $vgpr26_vgpr27
                                        ; implicit-def: $vgpr50
                                        ; implicit-def: $vgpr20_vgpr21
                                        ; implicit-def: $vgpr18_vgpr19
                                        ; implicit-def: $vgpr24_vgpr25
                                        ; implicit-def: $vgpr22_vgpr23
                                        ; implicit-def: $vgpr44_vgpr45
                                        ; implicit-def: $vgpr46_vgpr47
                                        ; implicit-def: $vgpr48_vgpr49
                                        ; implicit-def: $vgpr1
                                        ; implicit-def: $vgpr57
                                        ; implicit-def: $vgpr58
                                        ; implicit-def: $vgpr59
                                        ; implicit-def: $vgpr60
                                        ; implicit-def: $vgpr61
                                        ; implicit-def: $vgpr14
                                        ; implicit-def: $vgpr42_vgpr43
                                        ; implicit-def: $vgpr40_vgpr41
                                        ; implicit-def: $vgpr38_vgpr39
                                        ; implicit-def: $vgpr36_vgpr37
                                        ; implicit-def: $vgpr34_vgpr35
                                        ; implicit-def: $vgpr32_vgpr33
                                        ; implicit-def: $vgpr30_vgpr31
                                        ; implicit-def: $vgpr28_vgpr29
                                        ; implicit-def: $vgpr51
                                        ; implicit-def: $vgpr53
                                        ; implicit-def: $vgpr52
                                        ; implicit-def: $vgpr62
                                        ; implicit-def: $vgpr63
                                        ; implicit-def: $vgpr15
                                        ; implicit-def: $vgpr64
                                        ; implicit-def: $vgpr16
	s_cbranch_execz .LBB1993_66
.LBB1993_63:
	s_clause 0x2
	flat_load_b32 v1, v0, s[20:21] scale_offset
	flat_load_b32 v2, v0, s[20:21] offset:512 scale_offset
	flat_load_b32 v3, v0, s[20:21] offset:1024 scale_offset
	s_wait_dscnt 0x3
	s_clause 0x6
	flat_load_b32 v4, v0, s[20:21] offset:1536 scale_offset
	flat_load_b32 v5, v0, s[20:21] offset:2048 scale_offset
	;; [unrolled: 1-line block ×7, first 2 shown]
	v_dual_mov_b32 v12, 0 :: v_dual_lshlrev_b32 v11, 2, v0
	s_mov_b32 s0, exec_lo
	s_wait_loadcnt_dscnt 0x808
	ds_store_2addr_stride64_b32 v11, v1, v2 offset1:2
	s_wait_loadcnt_dscnt 0x607
	ds_store_2addr_stride64_b32 v11, v3, v4 offset0:4 offset1:6
	s_wait_loadcnt_dscnt 0x406
	ds_store_2addr_stride64_b32 v11, v5, v6 offset0:8 offset1:10
	;; [unrolled: 2-line block ×4, first 2 shown]
	s_wait_dscnt 0x0
	s_barrier_signal -1
	s_barrier_wait -1
	flat_load_b32 v12, v12, s[20:21] offset:5120
	v_mad_u32_u24 v1, v0, 36, v11
	ds_load_2addr_b64 v[2:5], v1 offset1:1
	ds_load_2addr_b64 v[6:9], v1 offset0:2 offset1:3
	ds_load_b64 v[10:11], v1 offset:32
	v_mad_i32_i24 v1, 0xffffffdc, v0, v1
	s_wait_dscnt 0x2
	ds_store_b32 v1, v2 offset:5632
	s_wait_loadcnt_dscnt 0x0
	s_barrier_signal -1
	s_barrier_wait -1
	v_cmpx_ne_u32_e32 0x7f, v0
; %bb.64:
	ds_load_b32 v12, v1 offset:5636
; %bb.65:
	s_or_b32 exec_lo, exec_lo, s0
	s_wait_dscnt 0x0
	s_barrier_signal -1
	s_barrier_wait -1
	s_clause 0x9
	flat_load_b64 v[16:17], v0, s[10:11] scale_offset
	flat_load_b64 v[18:19], v0, s[10:11] offset:1024 scale_offset
	flat_load_b64 v[20:21], v0, s[10:11] offset:2048 scale_offset
	;; [unrolled: 1-line block ×9, first 2 shown]
	v_lshl_add_u32 v1, v0, 2, v1
	v_cmp_ne_u32_e32 vcc_lo, v3, v4
	v_cmp_ne_u32_e64 s0, v4, v5
	v_cmp_ne_u32_e64 s1, v5, v6
	;; [unrolled: 1-line block ×3, first 2 shown]
	v_mad_u32_u24 v4, 0x48, v0, v1
	v_cmp_ne_u32_e64 s3, v7, v8
	v_cmp_ne_u32_e64 s4, v8, v9
	;; [unrolled: 1-line block ×6, first 2 shown]
	v_cndmask_b32_e64 v14, 0, 1, vcc_lo
	v_cndmask_b32_e64 v61, 0, 1, s0
	v_cndmask_b32_e64 v60, 0, 1, s1
	;; [unrolled: 1-line block ×6, first 2 shown]
	v_dual_mov_b32 v15, v60 :: v_dual_mov_b32 v64, v61
	s_delay_alu instid0(VALU_DEP_4)
	v_dual_mov_b32 v62, v58 :: v_dual_mov_b32 v63, v59
	v_cndmask_b32_e64 v50, 0, 1, s7
	s_wait_loadcnt_dscnt 0x808
	ds_store_2addr_stride64_b64 v1, v[16:17], v[18:19] offset1:2
	s_wait_loadcnt_dscnt 0x607
	ds_store_2addr_stride64_b64 v1, v[20:21], v[22:23] offset0:4 offset1:6
	s_wait_loadcnt_dscnt 0x406
	ds_store_2addr_stride64_b64 v1, v[24:25], v[26:27] offset0:8 offset1:10
	;; [unrolled: 2-line block ×4, first 2 shown]
	s_wait_dscnt 0x0
	s_barrier_signal -1
	s_barrier_wait -1
	ds_load_b128 v[16:19], v4
	ds_load_b128 v[22:25], v4 offset:16
	ds_load_b128 v[6:9], v4 offset:32
	;; [unrolled: 1-line block ×4, first 2 shown]
	v_cndmask_b32_e64 v1, 0, 1, s5
	s_delay_alu instid0(VALU_DEP_1)
	v_dual_mov_b32 v52, v57 :: v_dual_mov_b32 v53, v1
	s_wait_dscnt 0x4
	v_cndmask_b32_e64 v21, v19, s29, vcc_lo
	v_cndmask_b32_e64 v20, v18, s28, vcc_lo
	s_wait_dscnt 0x3
	v_cndmask_b32_e64 v19, v23, s29, s0
	v_cndmask_b32_e64 v18, v22, s28, s0
	v_cndmask_b32_e64 v25, v25, s29, s1
	v_cndmask_b32_e64 v24, v24, s28, s1
	s_wait_dscnt 0x2
	v_cndmask_b32_e64 v23, v7, s29, s2
	v_cndmask_b32_e64 v22, v6, s28, s2
	v_cndmask_b32_e64 v45, v9, s29, s3
	v_cndmask_b32_e64 v44, v8, s28, s3
	;; [unrolled: 5-line block ×3, first 2 shown]
	v_mov_b64_e32 v[42:43], v[20:21]
	v_mov_b64_e32 v[40:41], v[18:19]
	;; [unrolled: 1-line block ×7, first 2 shown]
	v_cndmask_b32_e64 v27, v17, s29, s7
	v_cndmask_b32_e64 v26, v16, s28, s7
	s_wait_dscnt 0x0
	v_cndmask_b32_e64 v29, v3, s29, s6
	v_cndmask_b32_e64 v28, v2, s28, s6
	v_mov_b32_e32 v16, v14
	s_mov_b32 s3, -1
.LBB1993_66:
	v_dual_mov_b32 v54, 0 :: v_dual_mov_b32 v55, 0
	v_mov_b32_e32 v56, 0
	s_and_saveexec_b32 s0, s3
	s_cbranch_execz .LBB1993_68
; %bb.67:
	v_mov_b64_e32 v[30:31], v[48:49]
	v_mov_b64_e32 v[32:33], v[46:47]
	;; [unrolled: 1-line block ×7, first 2 shown]
	v_cndmask_b32_e64 v55, 0, 1, s33
	s_wait_dscnt 0x0
	v_cndmask_b32_e64 v54, v4, s28, s33
	v_cndmask_b32_e64 v56, v5, s29, s33
	v_dual_mov_b32 v16, v14 :: v_dual_mov_b32 v64, v61
	v_dual_mov_b32 v15, v60 :: v_dual_mov_b32 v63, v59
	;; [unrolled: 1-line block ×3, first 2 shown]
	v_mov_b32_e32 v53, v1
.LBB1993_68:
	s_or_b32 exec_lo, exec_lo, s0
	s_delay_alu instid0(VALU_DEP_3)
	v_bitop3_b16 v1, v64, v15, v16 bitop3:0xfe
	v_dual_add_nc_u32 v60, v42, v26 :: v_dual_bitop2_b32 v24, 1, v55 bitop3:0x40
	v_and_b32_e32 v59, 0xff, v16
	v_dual_add_nc_u32 v61, v43, v27 :: v_dual_bitop2_b32 v25, 1, v50 bitop3:0x40
	v_and_b32_e32 v23, 0xffffff00, v50
	v_and_b32_e32 v58, 0xff, v64
	v_and_b32_e32 v57, 0xff, v15
	v_and_b32_e32 v49, 0xff, v63
	v_and_b32_e32 v48, 0xff, v62
	v_and_b32_e32 v47, 0xff, v52
	v_bitop3_b16 v45, v1, v62, v63 bitop3:0xfe
	v_and_b32_e32 v46, 0xff, v53
	v_and_b32_e32 v44, 0xff, v51
	v_cmp_eq_u32_e64 s8, 1, v24
	v_mbcnt_lo_u32_b32 v22, -1, 0
	s_cmp_lg_u32 s30, 0
	s_wait_dscnt 0x0
	v_cmp_eq_u16_e32 vcc_lo, 0, v55
	s_barrier_signal -1
	s_barrier_wait -1
	s_cbranch_scc0 .LBB1993_177
; %bb.69:
	v_cmp_eq_u16_e64 s7, 0, v59
	v_cmp_eq_u16_e64 s6, 0, v58
	;; [unrolled: 1-line block ×5, first 2 shown]
	v_dual_cndmask_b32 v1, v42, v60, s7 :: v_dual_cndmask_b32 v2, v43, v61, s7
	v_cmp_eq_u16_e64 s1, 0, v47
	v_bitop3_b16 v3, v45, v53, v52 bitop3:0xfe
	v_cmp_eq_u16_e64 s0, 0, v46
	s_delay_alu instid0(VALU_DEP_4) | instskip(SKIP_1) | instid1(VALU_DEP_4)
	v_dual_add_nc_u32 v1, v40, v1 :: v_dual_add_nc_u32 v2, v41, v2
	v_cmp_eq_u16_e64 s3, 0, v44
	v_bitop3_b16 v3, v3, 0xff, v51 bitop3:0xc8
	s_delay_alu instid0(VALU_DEP_3) | instskip(NEXT) | instid1(VALU_DEP_2)
	v_dual_cndmask_b32 v1, v40, v1, s6 :: v_dual_cndmask_b32 v2, v41, v2, s6
	v_cmp_eq_u16_e64 s9, 0, v3
	s_delay_alu instid0(VALU_DEP_2) | instskip(NEXT) | instid1(VALU_DEP_1)
	v_dual_add_nc_u32 v1, v38, v1 :: v_dual_add_nc_u32 v2, v39, v2
	v_dual_cndmask_b32 v1, v38, v1, s5 :: v_dual_cndmask_b32 v2, v39, v2, s5
	s_delay_alu instid0(VALU_DEP_1) | instskip(NEXT) | instid1(VALU_DEP_1)
	v_dual_add_nc_u32 v1, v36, v1 :: v_dual_add_nc_u32 v2, v37, v2
	v_dual_cndmask_b32 v1, v36, v1, s4 :: v_dual_cndmask_b32 v2, v37, v2, s4
	s_delay_alu instid0(VALU_DEP_1) | instskip(NEXT) | instid1(VALU_DEP_1)
	;; [unrolled: 3-line block ×5, first 2 shown]
	v_dual_add_nc_u32 v1, v28, v1 :: v_dual_add_nc_u32 v2, v29, v2
	v_dual_cndmask_b32 v3, 1, v25, s9 :: v_dual_cndmask_b32 v2, v29, v2, s3
	s_delay_alu instid0(VALU_DEP_1) | instskip(NEXT) | instid1(VALU_DEP_3)
	v_cndmask_b32_e64 v5, v3, 1, s8
	v_cndmask_b32_e64 v1, v28, v1, s3
	s_mov_b32 s8, exec_lo
	s_delay_alu instid0(VALU_DEP_2) | instskip(NEXT) | instid1(VALU_DEP_2)
	v_dual_add_nc_u32 v4, v56, v2 :: v_dual_bitop2_b32 v3, v5, v23 bitop3:0x54
	v_add_nc_u32_e32 v1, v54, v1
	s_delay_alu instid0(VALU_DEP_2) | instskip(NEXT) | instid1(VALU_DEP_2)
	v_mov_b32_dpp v6, v3 row_shr:1 row_mask:0xf bank_mask:0xf
	v_dual_cndmask_b32 v2, v54, v1 :: v_dual_cndmask_b32 v1, v56, v4
	v_and_b32_e32 v4, 15, v22
	s_delay_alu instid0(VALU_DEP_2) | instskip(NEXT) | instid1(VALU_DEP_3)
	v_mov_b32_dpp v7, v2 row_shr:1 row_mask:0xf bank_mask:0xf
	v_mov_b32_dpp v8, v1 row_shr:1 row_mask:0xf bank_mask:0xf
	s_delay_alu instid0(VALU_DEP_3)
	v_cmpx_ne_u32_e32 0, v4
	s_cbranch_execz .LBB1993_73
; %bb.70:
	s_mov_b32 s9, exec_lo
	v_cmpx_eq_u32_e32 0, v5
; %bb.71:
	v_dual_add_nc_u32 v2, v2, v7 :: v_dual_add_nc_u32 v1, v1, v8
; %bb.72:
	s_or_b32 exec_lo, exec_lo, s9
	v_and_b32_e32 v3, 1, v6
	s_delay_alu instid0(VALU_DEP_1)
	v_or3_b32 v3, v23, v3, v5
.LBB1993_73:
	s_or_b32 exec_lo, exec_lo, s8
	v_mov_b32_dpp v6, v2 row_shr:2 row_mask:0xf bank_mask:0xf
	v_mov_b32_dpp v7, v1 row_shr:2 row_mask:0xf bank_mask:0xf
	s_delay_alu instid0(VALU_DEP_3)
	v_mov_b32_dpp v5, v3 row_shr:2 row_mask:0xf bank_mask:0xf
	s_mov_b32 s8, exec_lo
	v_cmpx_lt_u32_e32 1, v4
	s_cbranch_execz .LBB1993_79
; %bb.74:
	v_and_b32_e32 v8, 0xff, v3
	s_mov_b32 s9, exec_lo
	s_delay_alu instid0(VALU_DEP_1)
	v_cmpx_ne_u32_e32 0, v8
	s_xor_b32 s9, exec_lo, s9
; %bb.75:
                                        ; implicit-def: $vgpr6
                                        ; implicit-def: $vgpr7
; %bb.76:
	s_delay_alu instid0(SALU_CYCLE_1)
	s_and_not1_saveexec_b32 s9, s9
; %bb.77:
	v_dual_add_nc_u32 v2, v2, v6 :: v_dual_add_nc_u32 v1, v1, v7
; %bb.78:
	s_or_b32 exec_lo, exec_lo, s9
	v_and_b32_e32 v5, 1, v5
	s_delay_alu instid0(VALU_DEP_1)
	v_and_or_b32 v3, 0xffffff01, v3, v5
.LBB1993_79:
	s_or_b32 exec_lo, exec_lo, s8
	v_mov_b32_dpp v6, v2 row_shr:4 row_mask:0xf bank_mask:0xf
	v_mov_b32_dpp v7, v1 row_shr:4 row_mask:0xf bank_mask:0xf
	s_delay_alu instid0(VALU_DEP_3)
	v_mov_b32_dpp v5, v3 row_shr:4 row_mask:0xf bank_mask:0xf
	s_mov_b32 s8, exec_lo
	v_cmpx_lt_u32_e32 3, v4
	s_cbranch_execz .LBB1993_85
; %bb.80:
	v_and_b32_e32 v8, 0xff, v3
	s_mov_b32 s9, exec_lo
	s_delay_alu instid0(VALU_DEP_1)
	v_cmpx_ne_u32_e32 0, v8
	s_xor_b32 s9, exec_lo, s9
; %bb.81:
                                        ; implicit-def: $vgpr6
                                        ; implicit-def: $vgpr7
; %bb.82:
	s_delay_alu instid0(SALU_CYCLE_1)
	s_and_not1_saveexec_b32 s9, s9
; %bb.83:
	v_dual_add_nc_u32 v2, v2, v6 :: v_dual_add_nc_u32 v1, v1, v7
; %bb.84:
	s_or_b32 exec_lo, exec_lo, s9
	v_and_b32_e32 v5, 1, v5
	s_delay_alu instid0(VALU_DEP_1)
	v_and_or_b32 v3, 0xffffff01, v3, v5
.LBB1993_85:
	s_or_b32 exec_lo, exec_lo, s8
	v_mov_b32_dpp v6, v2 row_shr:8 row_mask:0xf bank_mask:0xf
	v_mov_b32_dpp v7, v1 row_shr:8 row_mask:0xf bank_mask:0xf
	s_delay_alu instid0(VALU_DEP_3)
	v_mov_b32_dpp v5, v3 row_shr:8 row_mask:0xf bank_mask:0xf
	s_mov_b32 s8, exec_lo
	v_cmpx_lt_u32_e32 7, v4
	s_cbranch_execz .LBB1993_91
; %bb.86:
	v_and_b32_e32 v4, 0xff, v3
	s_mov_b32 s9, exec_lo
	s_delay_alu instid0(VALU_DEP_1)
	v_cmpx_ne_u32_e32 0, v4
	s_xor_b32 s9, exec_lo, s9
; %bb.87:
                                        ; implicit-def: $vgpr6
                                        ; implicit-def: $vgpr7
; %bb.88:
	s_delay_alu instid0(SALU_CYCLE_1)
	s_and_not1_saveexec_b32 s9, s9
; %bb.89:
	v_dual_add_nc_u32 v2, v2, v6 :: v_dual_add_nc_u32 v1, v1, v7
; %bb.90:
	s_or_b32 exec_lo, exec_lo, s9
	v_and_b32_e32 v4, 1, v5
	s_delay_alu instid0(VALU_DEP_1)
	v_and_or_b32 v3, 0xffffff01, v3, v4
.LBB1993_91:
	s_or_b32 exec_lo, exec_lo, s8
	ds_swizzle_b32 v5, v2 offset:swizzle(BROADCAST,32,15)
	ds_swizzle_b32 v6, v1 offset:swizzle(BROADCAST,32,15)
	ds_swizzle_b32 v4, v3 offset:swizzle(BROADCAST,32,15)
	v_and_b32_e32 v7, 16, v22
	s_delay_alu instid0(VALU_DEP_1)
	v_cmp_ne_u32_e32 vcc_lo, 0, v7
	v_mov_b32_e32 v7, v3
	s_and_saveexec_b32 s8, vcc_lo
	s_cbranch_execz .LBB1993_97
; %bb.92:
	v_and_b32_e32 v7, 0xff, v3
	s_mov_b32 s9, exec_lo
	s_delay_alu instid0(VALU_DEP_1)
	v_cmpx_ne_u32_e32 0, v7
	s_xor_b32 s9, exec_lo, s9
; %bb.93:
                                        ; implicit-def: $vgpr5
                                        ; implicit-def: $vgpr6
; %bb.94:
	s_delay_alu instid0(SALU_CYCLE_1)
	s_and_not1_saveexec_b32 s9, s9
	s_cbranch_execz .LBB1993_96
; %bb.95:
	s_wait_dscnt 0x1
	v_dual_add_nc_u32 v2, v2, v5 :: v_dual_add_nc_u32 v1, v1, v6
.LBB1993_96:
	s_or_b32 exec_lo, exec_lo, s9
	s_wait_dscnt 0x0
	v_or_b32_e32 v5, v4, v3
	v_and_b32_e32 v4, 1, v4
	s_delay_alu instid0(VALU_DEP_2) | instskip(NEXT) | instid1(VALU_DEP_2)
	v_and_b32_e32 v7, 1, v5
	v_and_or_b32 v3, 0xffffff01, v3, v4
.LBB1993_97:
	s_or_b32 exec_lo, exec_lo, s8
	s_wait_dscnt 0x0
	v_dual_lshrrev_b32 v6, 5, v0 :: v_dual_bitop2_b32 v4, 31, v0 bitop3:0x54
	s_mov_b32 s8, exec_lo
	s_delay_alu instid0(VALU_DEP_1)
	v_cmpx_eq_u32_e64 v0, v4
	s_cbranch_execz .LBB1993_99
; %bb.98:
	s_delay_alu instid0(VALU_DEP_2)
	v_mul_u32_u24_e32 v4, 12, v6
	ds_store_2addr_b32 v4, v2, v1 offset1:1
	ds_store_b8 v4, v7 offset:8
.LBB1993_99:
	s_or_b32 exec_lo, exec_lo, s8
	s_delay_alu instid0(SALU_CYCLE_1)
	s_mov_b32 s8, exec_lo
	s_wait_dscnt 0x0
	s_barrier_signal -1
	s_barrier_wait -1
	v_cmpx_gt_u32_e32 4, v0
	s_cbranch_execz .LBB1993_105
; %bb.100:
	v_mul_u32_u24_e32 v7, 12, v0
	v_and_b32_e32 v9, 3, v22
	s_mov_b32 s9, exec_lo
	ds_load_2addr_b32 v[4:5], v7 offset1:1
	ds_load_b32 v8, v7 offset:8
	s_wait_dscnt 0x1
	v_mov_b32_dpp v11, v4 row_shr:1 row_mask:0xf bank_mask:0xf
	v_mov_b32_dpp v12, v5 row_shr:1 row_mask:0xf bank_mask:0xf
	s_wait_dscnt 0x0
	v_mov_b32_dpp v10, v8 row_shr:1 row_mask:0xf bank_mask:0xf
	v_cmpx_ne_u32_e32 0, v9
; %bb.101:
	v_and_b32_e32 v13, 0xff, v8
	v_dual_add_nc_u32 v11, v4, v11 :: v_dual_add_nc_u32 v12, v5, v12
	s_delay_alu instid0(VALU_DEP_2) | instskip(NEXT) | instid1(VALU_DEP_2)
	v_cmp_eq_u32_e32 vcc_lo, 0, v13
	v_dual_cndmask_b32 v5, v5, v12, vcc_lo :: v_dual_bitop2_b32 v10, 1, v10 bitop3:0x40
	s_delay_alu instid0(VALU_DEP_3) | instskip(NEXT) | instid1(VALU_DEP_2)
	v_cndmask_b32_e32 v4, v4, v11, vcc_lo
	v_and_or_b32 v8, 0xffffff01, v8, v10
; %bb.102:
	s_or_b32 exec_lo, exec_lo, s9
	s_delay_alu instid0(VALU_DEP_2) | instskip(SKIP_1) | instid1(VALU_DEP_3)
	v_mov_b32_dpp v11, v4 row_shr:2 row_mask:0xf bank_mask:0xf
	v_mov_b32_dpp v12, v5 row_shr:2 row_mask:0xf bank_mask:0xf
	;; [unrolled: 1-line block ×3, first 2 shown]
	s_mov_b32 s9, exec_lo
	v_cmpx_lt_u32_e32 1, v9
; %bb.103:
	v_and_b32_e32 v9, 0xff, v8
	v_dual_add_nc_u32 v11, v4, v11 :: v_dual_add_nc_u32 v12, v5, v12
	v_bitop3_b32 v8, v10, 1, v8 bitop3:0xc8
	s_delay_alu instid0(VALU_DEP_3) | instskip(NEXT) | instid1(VALU_DEP_3)
	v_cmp_eq_u32_e32 vcc_lo, 0, v9
	v_dual_cndmask_b32 v5, v5, v12 :: v_dual_cndmask_b32 v4, v4, v11
; %bb.104:
	s_or_b32 exec_lo, exec_lo, s9
	ds_store_2addr_b32 v7, v4, v5 offset1:1
	ds_store_b8 v7, v8 offset:8
.LBB1993_105:
	s_or_b32 exec_lo, exec_lo, s8
	v_dual_mov_b32 v8, 0 :: v_dual_mov_b32 v9, 0
	v_mov_b32_e32 v14, 0
	s_mov_b32 s9, exec_lo
	v_cmp_gt_u32_e32 vcc_lo, 32, v0
	s_wait_dscnt 0x0
	s_barrier_signal -1
	s_barrier_wait -1
	v_cmpx_lt_u32_e32 31, v0
	s_cbranch_execz .LBB1993_107
; %bb.106:
	v_mad_u32_u24 v4, v6, 12, -12
	v_mad_u32_u24 v5, v6, 12, -4
	ds_load_2addr_b32 v[8:9], v4 offset1:1
	ds_load_u8 v4, v5
	v_and_b32_e32 v5, 0xff, v3
	s_delay_alu instid0(VALU_DEP_1) | instskip(SKIP_4) | instid1(VALU_DEP_2)
	v_cmp_eq_u16_e64 s8, 0, v5
	s_wait_dscnt 0x1
	v_dual_add_nc_u32 v6, v8, v2 :: v_dual_add_nc_u32 v5, v9, v1
	s_wait_dscnt 0x0
	v_or_b32_e32 v7, v4, v3
	v_dual_cndmask_b32 v2, v2, v6, s8 :: v_dual_bitop2_b32 v14, 1, v4 bitop3:0x40
	s_delay_alu instid0(VALU_DEP_3) | instskip(NEXT) | instid1(VALU_DEP_3)
	v_cndmask_b32_e64 v1, v1, v5, s8
	v_perm_b32 v3, v3, v7, 0x7060500
.LBB1993_107:
	s_or_b32 exec_lo, exec_lo, s9
	v_sub_co_u32 v4, s8, v22, 1
	s_delay_alu instid0(VALU_DEP_1) | instskip(NEXT) | instid1(VALU_DEP_1)
	v_cmp_gt_i32_e64 s9, 0, v4
	v_cndmask_b32_e64 v4, v4, v22, s9
	s_delay_alu instid0(VALU_DEP_1)
	v_lshlrev_b32_e32 v4, 2, v4
	ds_bpermute_b32 v15, v4, v2
	ds_bpermute_b32 v16, v4, v1
	;; [unrolled: 1-line block ×3, first 2 shown]
	s_and_saveexec_b32 s11, vcc_lo
	s_cbranch_execz .LBB1993_220
; %bb.108:
	v_mov_b32_e32 v7, 0
	ds_load_b64 v[4:5], v7 offset:40
	ds_load_b32 v2, v7 offset:36
	s_wait_dscnt 0x1
	v_readfirstlane_b32 s20, v4
	v_readfirstlane_b32 s21, v5
	s_and_saveexec_b32 s9, s8
	s_cbranch_execz .LBB1993_110
; %bb.109:
	s_mov_b32 s35, 0
	s_add_co_i32 s36, s30, 32
	s_mov_b32 s37, s35
	s_mov_b32 s34, s21
	s_lshl_b64 s[36:37], s[36:37], 4
	s_or_b64 s[34:35], s[34:35], 0x100000000
	s_add_nc_u64 s[36:37], s[16:17], s[36:37]
	v_dual_mov_b32 v3, s20 :: v_dual_mov_b32 v4, s34
	v_mov_b32_e32 v5, s35
	v_mov_b64_e32 v[10:11], s[36:37]
	s_wait_dscnt 0x0
	;;#ASMSTART
	global_store_b128 v[10:11], v[2:5] off scope:SCOPE_DEV	
s_wait_storecnt 0x0
	;;#ASMEND
.LBB1993_110:
	s_or_b32 exec_lo, exec_lo, s9
	v_xad_u32 v10, v22, -1, s30
	s_mov_b32 s10, 0
	s_mov_b32 s9, exec_lo
	s_delay_alu instid0(VALU_DEP_1) | instskip(NEXT) | instid1(VALU_DEP_1)
	v_add_nc_u32_e32 v6, 32, v10
	v_lshl_add_u64 v[12:13], v[6:7], 4, s[16:17]
	;;#ASMSTART
	global_load_b128 v[4:7], v[12:13] off scope:SCOPE_DEV	
s_wait_loadcnt 0x0
	;;#ASMEND
	v_alignbit_b32 v18, v5, v4, 8
	v_alignbit_b32 v20, v5, v4, 16
	v_and_b32_e32 v21, 0xff, v7
	v_alignbit_b32 v11, v5, v4, 24
	v_perm_b32 v3, v5, v6, 0x70605
	v_perm_b32 v19, v5, v6, 0x1000706
	;; [unrolled: 1-line block ×3, first 2 shown]
	v_cmpx_eq_u16_e32 0, v21
	s_cbranch_execz .LBB1993_113
.LBB1993_111:                           ; =>This Inner Loop Header: Depth=1
	;;#ASMSTART
	global_load_b128 v[4:7], v[12:13] off scope:SCOPE_DEV	
s_wait_loadcnt 0x0
	;;#ASMEND
	v_and_b32_e32 v1, 0xff, v7
	s_delay_alu instid0(VALU_DEP_1) | instskip(SKIP_1) | instid1(SALU_CYCLE_1)
	v_cmp_ne_u16_e32 vcc_lo, 0, v1
	s_or_b32 s10, vcc_lo, s10
	s_and_not1_b32 exec_lo, exec_lo, s10
	s_cbranch_execnz .LBB1993_111
; %bb.112:
	s_or_b32 exec_lo, exec_lo, s10
	v_perm_b32 v1, v5, v6, 0x2010007
	v_perm_b32 v19, v5, v6, 0x1000706
	;; [unrolled: 1-line block ×3, first 2 shown]
	v_alignbit_b32 v11, v5, v4, 24
	v_alignbit_b32 v20, v5, v4, 16
	;; [unrolled: 1-line block ×3, first 2 shown]
.LBB1993_113:
	s_or_b32 exec_lo, exec_lo, s9
	s_delay_alu instid0(VALU_DEP_1) | instskip(SKIP_3) | instid1(VALU_DEP_4)
	v_dual_lshlrev_b32 v12, 16, v20 :: v_dual_lshlrev_b32 v13, 8, v18
	v_lshlrev_b32_e32 v18, 16, v19
	v_lshlrev_b32_e32 v3, 8, v3
	v_cmp_ne_u32_e32 vcc_lo, 31, v22
	v_perm_b32 v11, v11, v12, 0x4020c0c
	v_and_b32_e32 v12, 0xff00, v13
	v_and_b32_e32 v4, 0xff, v4
	v_perm_b32 v1, v1, v18, 0x4020c0c
	v_and_b32_e32 v13, 0xff00, v3
	v_add_co_ci_u32_e64 v3, null, 0, v22, vcc_lo
	v_and_b32_e32 v5, 0xff, v5
	v_or3_b32 v4, v11, v12, v4
	v_and_b32_e32 v18, 0xff, v7
	s_delay_alu instid0(VALU_DEP_4)
	v_lshlrev_b32_e32 v3, 2, v3
	s_mov_b32 s9, exec_lo
	v_or3_b32 v1, v1, v13, v5
	v_and_b32_e32 v5, 0xff, v6
	v_cmp_eq_u16_e32 vcc_lo, 2, v18
	ds_bpermute_b32 v13, v3, v4
	v_lshlrev_b32_e64 v18, v22, -1
	ds_bpermute_b32 v19, v3, v1
	ds_bpermute_b32 v12, v3, v5
	v_and_or_b32 v11, vcc_lo, v18, 0x80000000
	s_delay_alu instid0(VALU_DEP_1) | instskip(NEXT) | instid1(VALU_DEP_1)
	v_ctz_i32_b32_e32 v11, v11
	v_cmpx_lt_u32_e64 v22, v11
	s_cbranch_execz .LBB1993_117
; %bb.114:
	s_mov_b32 s10, exec_lo
	v_cmpx_eq_u32_e32 0, v5
	s_cbranch_execz .LBB1993_116
; %bb.115:
	s_wait_dscnt 0x1
	v_dual_add_nc_u32 v4, v4, v13 :: v_dual_add_nc_u32 v1, v1, v19
.LBB1993_116:
	s_or_b32 exec_lo, exec_lo, s10
	s_wait_dscnt 0x0
	v_bitop3_b32 v5, v12, 1, v6 bitop3:0xc8
.LBB1993_117:
	s_or_b32 exec_lo, exec_lo, s9
	v_cmp_gt_u32_e32 vcc_lo, 30, v22
	v_add_nc_u32_e32 v20, 2, v22
	s_mov_b32 s9, exec_lo
	v_cndmask_b32_e64 v6, 0, 2, vcc_lo
	s_wait_dscnt 0x1
	s_delay_alu instid0(VALU_DEP_1)
	v_add_lshl_u32 v19, v6, v22, 2
	s_wait_dscnt 0x0
	ds_bpermute_b32 v12, v19, v4
	ds_bpermute_b32 v13, v19, v1
	;; [unrolled: 1-line block ×3, first 2 shown]
	v_cmpx_le_u32_e64 v20, v11
	s_cbranch_execz .LBB1993_123
; %bb.118:
	s_mov_b32 s10, exec_lo
	v_cmpx_ne_u32_e32 0, v5
	s_xor_b32 s10, exec_lo, s10
; %bb.119:
                                        ; implicit-def: $vgpr12
                                        ; implicit-def: $vgpr13
; %bb.120:
	s_delay_alu instid0(SALU_CYCLE_1)
	s_and_not1_saveexec_b32 s10, s10
	s_cbranch_execz .LBB1993_122
; %bb.121:
	s_wait_dscnt 0x1
	v_dual_add_nc_u32 v4, v4, v12 :: v_dual_add_nc_u32 v1, v1, v13
.LBB1993_122:
	s_or_b32 exec_lo, exec_lo, s10
	s_wait_dscnt 0x0
	v_bitop3_b32 v5, v6, 1, v5 bitop3:0xc8
.LBB1993_123:
	s_or_b32 exec_lo, exec_lo, s9
	v_cmp_gt_u32_e32 vcc_lo, 28, v22
	v_add_nc_u32_e32 v62, 4, v22
	s_mov_b32 s9, exec_lo
	s_wait_dscnt 0x0
	v_cndmask_b32_e64 v6, 0, 4, vcc_lo
	s_delay_alu instid0(VALU_DEP_1)
	v_add_lshl_u32 v21, v6, v22, 2
	ds_bpermute_b32 v12, v21, v4
	ds_bpermute_b32 v13, v21, v1
	;; [unrolled: 1-line block ×3, first 2 shown]
	v_cmpx_le_u32_e64 v62, v11
	s_cbranch_execz .LBB1993_129
; %bb.124:
	s_mov_b32 s10, exec_lo
	v_cmpx_ne_u32_e32 0, v5
	s_xor_b32 s10, exec_lo, s10
; %bb.125:
                                        ; implicit-def: $vgpr12
                                        ; implicit-def: $vgpr13
; %bb.126:
	s_delay_alu instid0(SALU_CYCLE_1)
	s_and_not1_saveexec_b32 s10, s10
	s_cbranch_execz .LBB1993_128
; %bb.127:
	s_wait_dscnt 0x1
	v_dual_add_nc_u32 v4, v4, v12 :: v_dual_add_nc_u32 v1, v1, v13
.LBB1993_128:
	s_or_b32 exec_lo, exec_lo, s10
	s_wait_dscnt 0x0
	v_bitop3_b32 v5, v6, 1, v5 bitop3:0xc8
.LBB1993_129:
	s_or_b32 exec_lo, exec_lo, s9
	v_cmp_gt_u32_e32 vcc_lo, 24, v22
	v_add_nc_u32_e32 v64, 8, v22
	s_mov_b32 s9, exec_lo
	s_wait_dscnt 0x0
	v_cndmask_b32_e64 v6, 0, 8, vcc_lo
	s_delay_alu instid0(VALU_DEP_1)
	v_add_lshl_u32 v63, v6, v22, 2
	ds_bpermute_b32 v12, v63, v4
	ds_bpermute_b32 v13, v63, v1
	;; [unrolled: 1-line block ×3, first 2 shown]
	v_cmpx_le_u32_e64 v64, v11
	s_cbranch_execz .LBB1993_135
; %bb.130:
	s_mov_b32 s10, exec_lo
	v_cmpx_ne_u32_e32 0, v5
	s_xor_b32 s10, exec_lo, s10
; %bb.131:
                                        ; implicit-def: $vgpr12
                                        ; implicit-def: $vgpr13
; %bb.132:
	s_delay_alu instid0(SALU_CYCLE_1)
	s_and_not1_saveexec_b32 s10, s10
	s_cbranch_execz .LBB1993_134
; %bb.133:
	s_wait_dscnt 0x1
	v_dual_add_nc_u32 v4, v4, v12 :: v_dual_add_nc_u32 v1, v1, v13
.LBB1993_134:
	s_or_b32 exec_lo, exec_lo, s10
	s_wait_dscnt 0x0
	v_bitop3_b32 v5, v6, 1, v5 bitop3:0xc8
.LBB1993_135:
	s_or_b32 exec_lo, exec_lo, s9
	v_lshl_or_b32 v65, v22, 2, 64
	v_add_nc_u32_e32 v66, 16, v22
	s_mov_b32 s9, exec_lo
	s_wait_dscnt 0x2
	ds_bpermute_b32 v12, v65, v4
	s_wait_dscnt 0x2
	ds_bpermute_b32 v13, v65, v1
	;; [unrolled: 2-line block ×3, first 2 shown]
	v_cmpx_le_u32_e64 v66, v11
	s_cbranch_execz .LBB1993_141
; %bb.136:
	s_mov_b32 s10, exec_lo
	v_cmpx_ne_u32_e32 0, v5
	s_xor_b32 s10, exec_lo, s10
; %bb.137:
                                        ; implicit-def: $vgpr12
                                        ; implicit-def: $vgpr13
; %bb.138:
	s_delay_alu instid0(SALU_CYCLE_1)
	s_and_not1_saveexec_b32 s10, s10
	s_cbranch_execz .LBB1993_140
; %bb.139:
	s_wait_dscnt 0x1
	v_dual_add_nc_u32 v4, v4, v12 :: v_dual_add_nc_u32 v1, v1, v13
.LBB1993_140:
	s_or_b32 exec_lo, exec_lo, s10
	s_wait_dscnt 0x0
	v_bitop3_b32 v5, v6, 1, v5 bitop3:0xc8
.LBB1993_141:
	s_or_b32 exec_lo, exec_lo, s9
	v_mov_b32_e32 v11, 0
	s_branch .LBB1993_145
.LBB1993_142:                           ;   in Loop: Header=BB1993_145 Depth=1
	s_or_b32 exec_lo, exec_lo, s10
	s_wait_dscnt 0x0
	v_or_b32_e32 v5, v6, v5
.LBB1993_143:                           ;   in Loop: Header=BB1993_145 Depth=1
	s_or_b32 exec_lo, exec_lo, s9
	s_wait_dscnt 0x0
	v_and_b32_e32 v6, 0xff, v68
	v_dual_add_nc_u32 v4, v4, v67 :: v_dual_bitop2_b32 v12, 1, v68 bitop3:0x40
	v_add_nc_u32_e32 v1, v1, v69
	v_subrev_nc_u32_e32 v10, 32, v10
	s_delay_alu instid0(VALU_DEP_4) | instskip(SKIP_3) | instid1(VALU_DEP_3)
	v_cmp_eq_u16_e32 vcc_lo, 0, v6
	v_and_b32_e32 v5, 1, v5
	v_cmp_eq_u32_e64 s9, 1, v12
	v_cndmask_b32_e32 v4, v67, v4, vcc_lo
	v_cmp_eq_u32_e64 s10, 1, v5
	v_cndmask_b32_e32 v1, v69, v1, vcc_lo
	s_or_b32 s9, s9, s10
	s_delay_alu instid0(SALU_CYCLE_1)
	v_cndmask_b32_e64 v5, 0, 1, s9
	s_mov_b32 s9, 0
.LBB1993_144:                           ;   in Loop: Header=BB1993_145 Depth=1
	s_delay_alu instid0(SALU_CYCLE_1)
	s_and_b32 vcc_lo, exec_lo, s9
	s_cbranch_vccnz .LBB1993_216
.LBB1993_145:                           ; =>This Loop Header: Depth=1
                                        ;     Child Loop BB1993_148 Depth 2
	s_wait_dscnt 0x0
	v_and_b32_e32 v6, 0xff, v7
	v_dual_mov_b32 v67, v4 :: v_dual_mov_b32 v69, v1
	v_mov_b32_e32 v68, v5
	s_mov_b32 s9, -1
	s_delay_alu instid0(VALU_DEP_3)
	v_cmp_ne_u16_e32 vcc_lo, 2, v6
                                        ; implicit-def: $vgpr4
                                        ; implicit-def: $vgpr7
                                        ; implicit-def: $vgpr5
                                        ; implicit-def: $vgpr1
	s_cmp_lg_u32 vcc_lo, exec_lo
	s_cbranch_scc1 .LBB1993_144
; %bb.146:                              ;   in Loop: Header=BB1993_145 Depth=1
	v_lshl_add_u64 v[12:13], v[10:11], 4, s[16:17]
	;;#ASMSTART
	global_load_b128 v[4:7], v[12:13] off scope:SCOPE_DEV	
s_wait_loadcnt 0x0
	;;#ASMEND
	v_alignbit_b32 v72, v5, v4, 8
	v_alignbit_b32 v74, v5, v4, 16
	v_and_b32_e32 v75, 0xff, v7
	v_alignbit_b32 v71, v5, v4, 24
	v_perm_b32 v70, v5, v6, 0x70605
	v_perm_b32 v73, v5, v6, 0x1000706
	;; [unrolled: 1-line block ×3, first 2 shown]
	s_mov_b32 s9, exec_lo
	v_cmpx_eq_u16_e32 0, v75
	s_cbranch_execz .LBB1993_150
; %bb.147:                              ;   in Loop: Header=BB1993_145 Depth=1
	s_mov_b32 s10, 0
.LBB1993_148:                           ;   Parent Loop BB1993_145 Depth=1
                                        ; =>  This Inner Loop Header: Depth=2
	;;#ASMSTART
	global_load_b128 v[4:7], v[12:13] off scope:SCOPE_DEV	
s_wait_loadcnt 0x0
	;;#ASMEND
	v_and_b32_e32 v1, 0xff, v7
	s_delay_alu instid0(VALU_DEP_1) | instskip(SKIP_1) | instid1(SALU_CYCLE_1)
	v_cmp_ne_u16_e32 vcc_lo, 0, v1
	s_or_b32 s10, vcc_lo, s10
	s_and_not1_b32 exec_lo, exec_lo, s10
	s_cbranch_execnz .LBB1993_148
; %bb.149:                              ;   in Loop: Header=BB1993_145 Depth=1
	s_or_b32 exec_lo, exec_lo, s10
	v_perm_b32 v1, v5, v6, 0x2010007
	v_perm_b32 v73, v5, v6, 0x1000706
	v_perm_b32 v70, v5, v6, 0x70605
	v_alignbit_b32 v71, v5, v4, 24
	v_alignbit_b32 v74, v5, v4, 16
	;; [unrolled: 1-line block ×3, first 2 shown]
.LBB1993_150:                           ;   in Loop: Header=BB1993_145 Depth=1
	s_or_b32 exec_lo, exec_lo, s9
	s_delay_alu instid0(VALU_DEP_1) | instskip(SKIP_2) | instid1(VALU_DEP_3)
	v_dual_lshlrev_b32 v12, 16, v74 :: v_dual_lshlrev_b32 v13, 8, v72
	v_dual_lshlrev_b32 v72, 16, v73 :: v_dual_lshlrev_b32 v70, 8, v70
	v_and_b32_e32 v4, 0xff, v4
	v_perm_b32 v12, v71, v12, 0x4020c0c
	s_delay_alu instid0(VALU_DEP_4) | instskip(NEXT) | instid1(VALU_DEP_4)
	v_and_b32_e32 v13, 0xff00, v13
	v_perm_b32 v1, v1, v72, 0x4020c0c
	v_and_b32_e32 v70, 0xff00, v70
	v_and_b32_e32 v5, 0xff, v5
	;; [unrolled: 1-line block ×3, first 2 shown]
	v_or3_b32 v4, v12, v13, v4
	s_mov_b32 s9, exec_lo
	s_delay_alu instid0(VALU_DEP_3)
	v_or3_b32 v1, v1, v70, v5
	v_and_b32_e32 v5, 0xff, v6
	v_cmp_eq_u16_e32 vcc_lo, 2, v71
	ds_bpermute_b32 v70, v3, v4
	ds_bpermute_b32 v71, v3, v1
	;; [unrolled: 1-line block ×3, first 2 shown]
	v_and_or_b32 v12, vcc_lo, v18, 0x80000000
	s_delay_alu instid0(VALU_DEP_1) | instskip(NEXT) | instid1(VALU_DEP_1)
	v_ctz_i32_b32_e32 v12, v12
	v_cmpx_lt_u32_e64 v22, v12
	s_cbranch_execz .LBB1993_154
; %bb.151:                              ;   in Loop: Header=BB1993_145 Depth=1
	s_mov_b32 s10, exec_lo
	v_cmpx_eq_u32_e32 0, v5
	s_cbranch_execz .LBB1993_153
; %bb.152:                              ;   in Loop: Header=BB1993_145 Depth=1
	s_wait_dscnt 0x1
	v_dual_add_nc_u32 v4, v4, v70 :: v_dual_add_nc_u32 v1, v1, v71
.LBB1993_153:                           ;   in Loop: Header=BB1993_145 Depth=1
	s_or_b32 exec_lo, exec_lo, s10
	s_wait_dscnt 0x0
	v_bitop3_b32 v5, v13, 1, v6 bitop3:0xc8
.LBB1993_154:                           ;   in Loop: Header=BB1993_145 Depth=1
	s_or_b32 exec_lo, exec_lo, s9
	s_wait_dscnt 0x0
	ds_bpermute_b32 v13, v19, v4
	ds_bpermute_b32 v70, v19, v1
	;; [unrolled: 1-line block ×3, first 2 shown]
	s_mov_b32 s9, exec_lo
	v_cmpx_le_u32_e64 v20, v12
	s_cbranch_execz .LBB1993_160
; %bb.155:                              ;   in Loop: Header=BB1993_145 Depth=1
	s_mov_b32 s10, exec_lo
	v_cmpx_ne_u32_e32 0, v5
	s_xor_b32 s10, exec_lo, s10
; %bb.156:                              ;   in Loop: Header=BB1993_145 Depth=1
                                        ; implicit-def: $vgpr13
                                        ; implicit-def: $vgpr70
; %bb.157:                              ;   in Loop: Header=BB1993_145 Depth=1
	s_delay_alu instid0(SALU_CYCLE_1)
	s_and_not1_saveexec_b32 s10, s10
	s_cbranch_execz .LBB1993_159
; %bb.158:                              ;   in Loop: Header=BB1993_145 Depth=1
	s_wait_dscnt 0x1
	v_dual_add_nc_u32 v4, v4, v13 :: v_dual_add_nc_u32 v1, v1, v70
.LBB1993_159:                           ;   in Loop: Header=BB1993_145 Depth=1
	s_or_b32 exec_lo, exec_lo, s10
	s_wait_dscnt 0x0
	v_bitop3_b32 v5, v6, 1, v5 bitop3:0xc8
.LBB1993_160:                           ;   in Loop: Header=BB1993_145 Depth=1
	s_or_b32 exec_lo, exec_lo, s9
	s_wait_dscnt 0x2
	ds_bpermute_b32 v13, v21, v4
	s_wait_dscnt 0x2
	ds_bpermute_b32 v70, v21, v1
	s_wait_dscnt 0x2
	ds_bpermute_b32 v6, v21, v5
	s_mov_b32 s9, exec_lo
	v_cmpx_le_u32_e64 v62, v12
	s_cbranch_execz .LBB1993_166
; %bb.161:                              ;   in Loop: Header=BB1993_145 Depth=1
	s_mov_b32 s10, exec_lo
	v_cmpx_ne_u32_e32 0, v5
	s_xor_b32 s10, exec_lo, s10
; %bb.162:                              ;   in Loop: Header=BB1993_145 Depth=1
                                        ; implicit-def: $vgpr13
                                        ; implicit-def: $vgpr70
; %bb.163:                              ;   in Loop: Header=BB1993_145 Depth=1
	s_delay_alu instid0(SALU_CYCLE_1)
	s_and_not1_saveexec_b32 s10, s10
	s_cbranch_execz .LBB1993_165
; %bb.164:                              ;   in Loop: Header=BB1993_145 Depth=1
	s_wait_dscnt 0x1
	v_dual_add_nc_u32 v4, v4, v13 :: v_dual_add_nc_u32 v1, v1, v70
.LBB1993_165:                           ;   in Loop: Header=BB1993_145 Depth=1
	s_or_b32 exec_lo, exec_lo, s10
	s_wait_dscnt 0x0
	v_bitop3_b32 v5, v6, 1, v5 bitop3:0xc8
.LBB1993_166:                           ;   in Loop: Header=BB1993_145 Depth=1
	s_or_b32 exec_lo, exec_lo, s9
	s_wait_dscnt 0x2
	ds_bpermute_b32 v13, v63, v4
	s_wait_dscnt 0x2
	ds_bpermute_b32 v70, v63, v1
	s_wait_dscnt 0x2
	ds_bpermute_b32 v6, v63, v5
	;; [unrolled: 29-line block ×3, first 2 shown]
	s_mov_b32 s9, exec_lo
	v_cmpx_le_u32_e64 v66, v12
	s_cbranch_execz .LBB1993_143
; %bb.173:                              ;   in Loop: Header=BB1993_145 Depth=1
	s_mov_b32 s10, exec_lo
	v_cmpx_ne_u32_e32 0, v5
	s_xor_b32 s10, exec_lo, s10
; %bb.174:                              ;   in Loop: Header=BB1993_145 Depth=1
                                        ; implicit-def: $vgpr13
                                        ; implicit-def: $vgpr70
; %bb.175:                              ;   in Loop: Header=BB1993_145 Depth=1
	s_delay_alu instid0(SALU_CYCLE_1)
	s_and_not1_saveexec_b32 s10, s10
	s_cbranch_execz .LBB1993_142
; %bb.176:                              ;   in Loop: Header=BB1993_145 Depth=1
	s_wait_dscnt 0x1
	v_dual_add_nc_u32 v4, v4, v13 :: v_dual_add_nc_u32 v1, v1, v70
	s_branch .LBB1993_142
.LBB1993_177:
                                        ; implicit-def: $vgpr4_vgpr5
                                        ; implicit-def: $vgpr6_vgpr7
                                        ; implicit-def: $vgpr10_vgpr11
                                        ; implicit-def: $vgpr14_vgpr15
                                        ; implicit-def: $vgpr18_vgpr19
	s_cbranch_execnz .LBB1993_223
.LBB1993_178:
	s_add_nc_u64 s[0:1], s[14:15], s[26:27]
	s_and_b32 vcc_lo, exec_lo, s31
	s_add_nc_u64 s[0:1], s[0:1], s[12:13]
	s_cbranch_vccz .LBB1993_273
.LBB1993_179:
	v_mov_b64_e32 v[24:25], 0
	v_mul_u32_u24_e32 v1, 10, v0
	s_add_co_i32 s19, s19, s18
	s_mov_b32 s2, exec_lo
	s_delay_alu instid0(VALU_DEP_2)
	v_mov_b64_e32 v[22:23], v[24:25]
	v_mov_b64_e32 v[28:29], v[24:25]
	;; [unrolled: 1-line block ×9, first 2 shown]
	v_cmpx_gt_u32_e64 s19, v1
	s_cbranch_execz .LBB1993_197
; %bb.180:
	v_mov_b64_e32 v[40:41], 0
	v_mov_b64_e32 v[34:35], 0
	;; [unrolled: 1-line block ×9, first 2 shown]
	v_or_b32_e32 v38, 1, v1
	s_mov_b32 s3, exec_lo
	s_delay_alu instid0(VALU_DEP_1)
	v_cmpx_gt_u32_e64 s19, v38
	s_cbranch_execz .LBB1993_196
; %bb.181:
	v_mov_b64_e32 v[34:35], 0
	v_mov_b64_e32 v[36:37], 0
	;; [unrolled: 1-line block ×8, first 2 shown]
	v_add_nc_u32_e32 v38, 2, v1
	s_mov_b32 s4, exec_lo
	s_delay_alu instid0(VALU_DEP_1)
	v_cmpx_gt_u32_e64 s19, v38
	s_cbranch_execz .LBB1993_195
; %bb.182:
	v_mov_b64_e32 v[36:37], 0
	v_mov_b64_e32 v[30:31], 0
	;; [unrolled: 1-line block ×7, first 2 shown]
	v_add_nc_u32_e32 v34, 3, v1
	s_mov_b32 s5, exec_lo
	s_delay_alu instid0(VALU_DEP_1)
	v_cmpx_gt_u32_e64 s19, v34
	s_cbranch_execz .LBB1993_194
; %bb.183:
	v_mov_b64_e32 v[30:31], 0
	v_mov_b64_e32 v[32:33], 0
	;; [unrolled: 1-line block ×6, first 2 shown]
	v_add_nc_u32_e32 v34, 4, v1
	s_mov_b32 s6, exec_lo
	s_delay_alu instid0(VALU_DEP_1)
	v_cmpx_gt_u32_e64 s19, v34
	s_cbranch_execz .LBB1993_193
; %bb.184:
	v_mov_b64_e32 v[32:33], 0
	v_mov_b64_e32 v[26:27], 0
	;; [unrolled: 1-line block ×5, first 2 shown]
	v_add_nc_u32_e32 v30, 5, v1
	s_mov_b32 s7, exec_lo
	s_delay_alu instid0(VALU_DEP_1)
	v_cmpx_gt_u32_e64 s19, v30
	s_cbranch_execz .LBB1993_192
; %bb.185:
	v_mov_b64_e32 v[26:27], 0
	v_mov_b64_e32 v[28:29], 0
	;; [unrolled: 1-line block ×4, first 2 shown]
	v_add_nc_u32_e32 v30, 6, v1
	s_mov_b32 s8, exec_lo
	s_delay_alu instid0(VALU_DEP_1)
	v_cmpx_gt_u32_e64 s19, v30
	s_cbranch_execz .LBB1993_191
; %bb.186:
	v_mov_b64_e32 v[28:29], 0
	v_mov_b64_e32 v[22:23], 0
	;; [unrolled: 1-line block ×3, first 2 shown]
	v_add_nc_u32_e32 v26, 7, v1
	s_mov_b32 s9, exec_lo
	s_delay_alu instid0(VALU_DEP_1)
	v_cmpx_gt_u32_e64 s19, v26
	s_cbranch_execz .LBB1993_190
; %bb.187:
	v_mov_b64_e32 v[22:23], 0
	v_mov_b64_e32 v[24:25], 0
	v_add_nc_u32_e32 v26, 8, v1
	s_mov_b32 s10, exec_lo
	s_delay_alu instid0(VALU_DEP_1)
	v_cmpx_gt_u32_e64 s19, v26
; %bb.188:
	v_add_nc_u32_e32 v22, 9, v1
	s_delay_alu instid0(VALU_DEP_1)
	v_cmp_gt_u32_e32 vcc_lo, s19, v22
	v_mov_b64_e32 v[22:23], v[18:19]
	v_dual_cndmask_b32 v25, 0, v21 :: v_dual_cndmask_b32 v24, 0, v20
; %bb.189:
	s_or_b32 exec_lo, exec_lo, s10
	v_mov_b64_e32 v[28:29], v[16:17]
.LBB1993_190:
	s_or_b32 exec_lo, exec_lo, s9
	v_mov_b64_e32 v[26:27], v[14:15]
.LBB1993_191:
	s_or_b32 exec_lo, exec_lo, s8
	v_mov_b64_e32 v[32:33], v[12:13]
.LBB1993_192:
	s_or_b32 exec_lo, exec_lo, s7
	v_mov_b64_e32 v[30:31], v[10:11]
.LBB1993_193:
	s_or_b32 exec_lo, exec_lo, s6
	v_mov_b64_e32 v[36:37], v[8:9]
.LBB1993_194:
	s_or_b32 exec_lo, exec_lo, s5
	v_mov_b64_e32 v[34:35], v[6:7]
.LBB1993_195:
	s_or_b32 exec_lo, exec_lo, s4
	v_mov_b64_e32 v[40:41], v[4:5]
.LBB1993_196:
	s_or_b32 exec_lo, exec_lo, s3
	v_mov_b64_e32 v[38:39], v[2:3]
.LBB1993_197:
	s_or_b32 exec_lo, exec_lo, s2
	v_lshlrev_b32_e32 v1, 3, v1
	s_barrier_signal -1
	s_barrier_wait -1
	ds_store_b128 v1, v[38:41]
	ds_store_b128 v1, v[34:37] offset:16
	ds_store_b128 v1, v[30:33] offset:32
	;; [unrolled: 1-line block ×4, first 2 shown]
	v_mov_b32_e32 v41, 0
	v_mad_i32_i24 v22, 0xffffffb8, v0, v1
	s_wait_dscnt 0x0
	s_barrier_signal -1
	s_barrier_wait -1
	ds_load_2addr_stride64_b64 v[36:39], v22 offset0:2 offset1:4
	ds_load_2addr_stride64_b64 v[32:35], v22 offset0:6 offset1:8
	ds_load_2addr_stride64_b64 v[28:31], v22 offset0:10 offset1:12
	ds_load_2addr_stride64_b64 v[24:27], v22 offset0:14 offset1:16
	ds_load_b64 v[22:23], v22 offset:9216
	v_lshlrev_b32_e32 v40, 3, v0
	s_mov_b32 s2, exec_lo
	s_delay_alu instid0(VALU_DEP_1)
	v_add_nc_u64_e32 v[40:41], s[0:1], v[40:41]
	v_cmpx_gt_u32_e64 s19, v0
	s_cbranch_execz .LBB1993_199
; %bb.198:
	v_mul_i32_i24_e32 v42, 0xffffffb8, v0
	s_delay_alu instid0(VALU_DEP_1)
	v_add_nc_u32_e32 v1, v1, v42
	ds_load_b64 v[42:43], v1
	s_wait_dscnt 0x0
	flat_store_b64 v[40:41], v[42:43]
.LBB1993_199:
	s_wait_xcnt 0x0
	s_or_b32 exec_lo, exec_lo, s2
	v_or_b32_e32 v1, 0x80, v0
	s_mov_b32 s2, exec_lo
	s_delay_alu instid0(VALU_DEP_1)
	v_cmpx_gt_u32_e64 s19, v1
	s_cbranch_execz .LBB1993_201
; %bb.200:
	s_wait_dscnt 0x4
	flat_store_b64 v[40:41], v[36:37] offset:1024
.LBB1993_201:
	s_wait_xcnt 0x0
	s_or_b32 exec_lo, exec_lo, s2
	v_or_b32_e32 v1, 0x100, v0
	s_mov_b32 s2, exec_lo
	s_delay_alu instid0(VALU_DEP_1)
	v_cmpx_gt_u32_e64 s19, v1
	s_cbranch_execz .LBB1993_203
; %bb.202:
	s_wait_dscnt 0x4
	flat_store_b64 v[40:41], v[38:39] offset:2048
.LBB1993_203:
	s_wait_xcnt 0x0
	s_or_b32 exec_lo, exec_lo, s2
	v_or_b32_e32 v1, 0x180, v0
	s_mov_b32 s2, exec_lo
	s_delay_alu instid0(VALU_DEP_1)
	v_cmpx_gt_u32_e64 s19, v1
	s_cbranch_execz .LBB1993_205
; %bb.204:
	s_wait_dscnt 0x3
	flat_store_b64 v[40:41], v[32:33] offset:3072
.LBB1993_205:
	s_wait_xcnt 0x0
	s_or_b32 exec_lo, exec_lo, s2
	v_or_b32_e32 v1, 0x200, v0
	s_mov_b32 s2, exec_lo
	s_delay_alu instid0(VALU_DEP_1)
	v_cmpx_gt_u32_e64 s19, v1
	s_cbranch_execz .LBB1993_207
; %bb.206:
	s_wait_dscnt 0x3
	flat_store_b64 v[40:41], v[34:35] offset:4096
.LBB1993_207:
	s_wait_xcnt 0x0
	s_or_b32 exec_lo, exec_lo, s2
	v_or_b32_e32 v1, 0x280, v0
	s_mov_b32 s2, exec_lo
	s_delay_alu instid0(VALU_DEP_1)
	v_cmpx_gt_u32_e64 s19, v1
	s_cbranch_execz .LBB1993_209
; %bb.208:
	s_wait_dscnt 0x2
	flat_store_b64 v[40:41], v[28:29] offset:5120
.LBB1993_209:
	s_wait_xcnt 0x0
	s_or_b32 exec_lo, exec_lo, s2
	v_or_b32_e32 v1, 0x300, v0
	s_mov_b32 s2, exec_lo
	s_delay_alu instid0(VALU_DEP_1)
	v_cmpx_gt_u32_e64 s19, v1
	s_cbranch_execz .LBB1993_211
; %bb.210:
	s_wait_dscnt 0x2
	flat_store_b64 v[40:41], v[30:31] offset:6144
.LBB1993_211:
	s_wait_xcnt 0x0
	s_or_b32 exec_lo, exec_lo, s2
	v_or_b32_e32 v1, 0x380, v0
	s_mov_b32 s2, exec_lo
	s_delay_alu instid0(VALU_DEP_1)
	v_cmpx_gt_u32_e64 s19, v1
	s_cbranch_execz .LBB1993_213
; %bb.212:
	s_wait_dscnt 0x1
	flat_store_b64 v[40:41], v[24:25] offset:7168
.LBB1993_213:
	s_wait_xcnt 0x0
	s_or_b32 exec_lo, exec_lo, s2
	v_or_b32_e32 v1, 0x400, v0
	s_mov_b32 s2, exec_lo
	s_delay_alu instid0(VALU_DEP_1)
	v_cmpx_gt_u32_e64 s19, v1
	s_cbranch_execz .LBB1993_215
; %bb.214:
	s_wait_dscnt 0x1
	flat_store_b64 v[40:41], v[26:27] offset:8192
.LBB1993_215:
	s_wait_xcnt 0x0
	s_or_b32 exec_lo, exec_lo, s2
	v_or_b32_e32 v1, 0x480, v0
	s_delay_alu instid0(VALU_DEP_1)
	v_cmp_gt_u32_e64 s2, s19, v1
	s_branch .LBB1993_275
.LBB1993_216:
	s_and_saveexec_b32 s10, s8
	s_cbranch_execz .LBB1993_218
; %bb.217:
	s_and_b64 s[34:35], s[20:21], 0xff00000000
	v_dual_add_nc_u32 v1, v67, v2 :: v_dual_bitop2_b32 v3, 1, v68 bitop3:0x40
	s_cmp_eq_u64 s[34:35], 0
	v_dual_mov_b32 v5, 2 :: v_dual_add_nc_u32 v4, s20, v69
	s_cselect_b32 vcc_lo, -1, 0
	s_bitcmp1_b32 s21, 0
	v_cmp_eq_u32_e64 s9, 1, v3
	s_cselect_b32 s33, -1, 0
	s_add_co_i32 s34, s30, 32
	s_mov_b32 s35, 0
	v_cndmask_b32_e32 v3, s20, v4, vcc_lo
	s_lshl_b64 s[34:35], s[34:35], 4
	s_or_b32 s9, s33, s9
	s_add_nc_u64 s[20:21], s[16:17], s[34:35]
	v_cndmask_b32_e32 v2, v2, v1, vcc_lo
	v_cndmask_b32_e64 v4, 0, 1, s9
	v_mov_b64_e32 v[6:7], s[20:21]
	;;#ASMSTART
	global_store_b128 v[6:7], v[2:5] off scope:SCOPE_DEV	
s_wait_storecnt 0x0
	;;#ASMEND
.LBB1993_218:
	s_or_b32 exec_lo, exec_lo, s10
	v_cmp_eq_u32_e32 vcc_lo, 0, v0
	s_and_b32 exec_lo, exec_lo, vcc_lo
	s_cbranch_execz .LBB1993_220
; %bb.219:
	v_mov_b32_e32 v1, 0
	ds_store_2addr_b32 v1, v67, v69 offset0:9 offset1:10
	ds_store_b8 v1, v68 offset:44
.LBB1993_220:
	s_or_b32 exec_lo, exec_lo, s11
	v_mov_b32_e32 v1, 0
	s_wait_dscnt 0x0
	s_barrier_signal -1
	s_barrier_wait -1
	ds_load_2addr_b32 v[2:3], v1 offset0:9 offset1:10
	s_mov_b32 s9, 0
	s_mov_b32 s10, exec_lo
	v_cmpx_ne_u32_e32 0, v0
	s_cbranch_execz .LBB1993_222
; %bb.221:
	v_dual_cndmask_b32 v1, v17, v14, s8 :: v_dual_cndmask_b32 v4, v15, v8, s8
	v_cndmask_b32_e64 v5, v16, v9, s8
	s_delay_alu instid0(VALU_DEP_2) | instskip(SKIP_1) | instid1(VALU_DEP_2)
	v_and_b32_e32 v1, 0xff, v1
	s_wait_dscnt 0x0
	v_dual_add_nc_u32 v2, v4, v2 :: v_dual_add_nc_u32 v3, v5, v3
	s_delay_alu instid0(VALU_DEP_2) | instskip(NEXT) | instid1(VALU_DEP_2)
	v_cmp_eq_u32_e32 vcc_lo, 0, v1
	v_dual_cndmask_b32 v2, v4, v2 :: v_dual_cndmask_b32 v3, v5, v3
.LBB1993_222:
	s_or_b32 exec_lo, exec_lo, s10
	v_and_b32_e32 v1, 0xff, v50
	s_wait_dscnt 0x0
	s_delay_alu instid0(VALU_DEP_2) | instskip(NEXT) | instid1(VALU_DEP_2)
	v_dual_add_nc_u32 v4, v26, v2 :: v_dual_add_nc_u32 v5, v27, v3
	v_cmp_eq_u32_e32 vcc_lo, 0, v1
	s_delay_alu instid0(VALU_DEP_2) | instskip(NEXT) | instid1(VALU_DEP_1)
	v_dual_cndmask_b32 v5, v27, v5 :: v_dual_cndmask_b32 v4, v26, v4
	v_dual_add_nc_u32 v1, v43, v5 :: v_dual_add_nc_u32 v6, v42, v4
	s_delay_alu instid0(VALU_DEP_1) | instskip(NEXT) | instid1(VALU_DEP_1)
	v_dual_cndmask_b32 v7, v43, v1, s7 :: v_dual_cndmask_b32 v6, v42, v6, s7
	v_dual_add_nc_u32 v1, v41, v7 :: v_dual_add_nc_u32 v8, v40, v6
	s_delay_alu instid0(VALU_DEP_1) | instskip(NEXT) | instid1(VALU_DEP_1)
	v_dual_cndmask_b32 v9, v41, v1, s6 :: v_dual_cndmask_b32 v8, v40, v8, s6
	;; [unrolled: 3-line block ×7, first 2 shown]
	v_dual_add_nc_u32 v1, v29, v19 :: v_dual_add_nc_u32 v20, v28, v18
	s_delay_alu instid0(VALU_DEP_1)
	v_dual_cndmask_b32 v21, v29, v1, s3 :: v_dual_cndmask_b32 v20, v28, v20, s3
	s_and_b32 vcc_lo, exec_lo, s9
	s_cbranch_vccz .LBB1993_178
.LBB1993_223:
	s_cmp_eq_u64 s[24:25], 0
	v_mov_b64_e32 v[2:3], s[28:29]
	s_cselect_b32 s0, -1, 0
	s_cmp_eq_u64 s[22:23], 0
	s_cselect_b32 s1, -1, 0
	s_delay_alu instid0(SALU_CYCLE_1) | instskip(NEXT) | instid1(SALU_CYCLE_1)
	s_or_b32 s0, s0, s1
	s_and_b32 vcc_lo, exec_lo, s0
	s_cbranch_vccnz .LBB1993_225
; %bb.224:
	v_mov_b32_e32 v1, 0
	global_load_b64 v[2:3], v1, s[22:23]
.LBB1993_225:
	v_cmp_eq_u16_e64 s0, 0, v59
	v_cmp_eq_u16_e64 s1, 0, v58
	;; [unrolled: 1-line block ×5, first 2 shown]
	s_wait_xcnt 0x0
	v_dual_cndmask_b32 v1, v42, v60, s0 :: v_dual_cndmask_b32 v4, v43, v61, s0
	v_cmp_eq_u16_e64 s5, 0, v47
	v_bitop3_b16 v5, v45, v53, v52 bitop3:0xfe
	v_cmp_eq_u16_e64 s6, 0, v46
	s_delay_alu instid0(VALU_DEP_4) | instskip(SKIP_1) | instid1(VALU_DEP_4)
	v_dual_add_nc_u32 v1, v40, v1 :: v_dual_add_nc_u32 v4, v41, v4
	v_cmp_eq_u16_e64 s7, 0, v44
	v_bitop3_b16 v5, v5, 0xff, v51 bitop3:0xc8
	s_mov_b32 s8, exec_lo
	v_dual_cndmask_b32 v1, v40, v1, s1 :: v_dual_cndmask_b32 v4, v41, v4, s1
	s_delay_alu instid0(VALU_DEP_2) | instskip(NEXT) | instid1(VALU_DEP_2)
	v_cmp_eq_u16_e32 vcc_lo, 0, v5
	v_dual_add_nc_u32 v1, v38, v1 :: v_dual_add_nc_u32 v4, v39, v4
	s_delay_alu instid0(VALU_DEP_1) | instskip(NEXT) | instid1(VALU_DEP_1)
	v_dual_cndmask_b32 v1, v38, v1, s2 :: v_dual_cndmask_b32 v4, v39, v4, s2
	v_dual_add_nc_u32 v1, v36, v1 :: v_dual_add_nc_u32 v4, v37, v4
	s_delay_alu instid0(VALU_DEP_1) | instskip(NEXT) | instid1(VALU_DEP_1)
	v_dual_cndmask_b32 v1, v36, v1, s3 :: v_dual_cndmask_b32 v4, v37, v4, s3
	;; [unrolled: 3-line block ×5, first 2 shown]
	v_dual_add_nc_u32 v1, v28, v1 :: v_dual_add_nc_u32 v4, v29, v4
	v_cndmask_b32_e32 v5, 1, v25, vcc_lo
	v_cmp_eq_u32_e32 vcc_lo, 1, v24
	s_delay_alu instid0(VALU_DEP_3) | instskip(NEXT) | instid1(VALU_DEP_3)
	v_cndmask_b32_e64 v4, v29, v4, s7
	v_cndmask_b32_e64 v7, v5, 1, vcc_lo
	v_cndmask_b32_e64 v1, v28, v1, s7
	v_cmp_eq_u16_e32 vcc_lo, 0, v55
	s_delay_alu instid0(VALU_DEP_3) | instskip(NEXT) | instid1(VALU_DEP_3)
	v_dual_add_nc_u32 v6, v56, v4 :: v_dual_bitop2_b32 v5, v7, v23 bitop3:0x54
	v_add_nc_u32_e32 v1, v54, v1
	s_delay_alu instid0(VALU_DEP_2) | instskip(NEXT) | instid1(VALU_DEP_2)
	v_mov_b32_dpp v8, v5 row_shr:1 row_mask:0xf bank_mask:0xf
	v_dual_cndmask_b32 v4, v54, v1 :: v_dual_cndmask_b32 v1, v56, v6
	v_and_b32_e32 v6, 15, v22
	s_delay_alu instid0(VALU_DEP_2) | instskip(NEXT) | instid1(VALU_DEP_3)
	v_mov_b32_dpp v9, v4 row_shr:1 row_mask:0xf bank_mask:0xf
	v_mov_b32_dpp v10, v1 row_shr:1 row_mask:0xf bank_mask:0xf
	s_delay_alu instid0(VALU_DEP_3)
	v_cmpx_ne_u32_e32 0, v6
	s_cbranch_execz .LBB1993_229
; %bb.226:
	s_mov_b32 s9, exec_lo
	v_cmpx_eq_u32_e32 0, v7
; %bb.227:
	v_dual_add_nc_u32 v4, v4, v9 :: v_dual_add_nc_u32 v1, v1, v10
; %bb.228:
	s_or_b32 exec_lo, exec_lo, s9
	v_and_b32_e32 v5, 1, v8
	s_delay_alu instid0(VALU_DEP_1)
	v_or3_b32 v5, v23, v5, v7
.LBB1993_229:
	s_or_b32 exec_lo, exec_lo, s8
	v_mov_b32_dpp v8, v4 row_shr:2 row_mask:0xf bank_mask:0xf
	v_mov_b32_dpp v9, v1 row_shr:2 row_mask:0xf bank_mask:0xf
	s_delay_alu instid0(VALU_DEP_3)
	v_mov_b32_dpp v7, v5 row_shr:2 row_mask:0xf bank_mask:0xf
	s_mov_b32 s8, exec_lo
	v_cmpx_lt_u32_e32 1, v6
	s_cbranch_execz .LBB1993_235
; %bb.230:
	v_and_b32_e32 v10, 0xff, v5
	s_mov_b32 s9, exec_lo
	s_delay_alu instid0(VALU_DEP_1)
	v_cmpx_ne_u32_e32 0, v10
	s_xor_b32 s9, exec_lo, s9
; %bb.231:
                                        ; implicit-def: $vgpr8
                                        ; implicit-def: $vgpr9
; %bb.232:
	s_delay_alu instid0(SALU_CYCLE_1)
	s_and_not1_saveexec_b32 s9, s9
; %bb.233:
	v_dual_add_nc_u32 v4, v4, v8 :: v_dual_add_nc_u32 v1, v1, v9
; %bb.234:
	s_or_b32 exec_lo, exec_lo, s9
	v_and_b32_e32 v7, 1, v7
	s_delay_alu instid0(VALU_DEP_1)
	v_and_or_b32 v5, 0xffffff01, v5, v7
.LBB1993_235:
	s_or_b32 exec_lo, exec_lo, s8
	v_mov_b32_dpp v8, v4 row_shr:4 row_mask:0xf bank_mask:0xf
	v_mov_b32_dpp v9, v1 row_shr:4 row_mask:0xf bank_mask:0xf
	s_delay_alu instid0(VALU_DEP_3)
	v_mov_b32_dpp v7, v5 row_shr:4 row_mask:0xf bank_mask:0xf
	s_mov_b32 s8, exec_lo
	v_cmpx_lt_u32_e32 3, v6
	s_cbranch_execz .LBB1993_241
; %bb.236:
	v_and_b32_e32 v10, 0xff, v5
	s_mov_b32 s9, exec_lo
	s_delay_alu instid0(VALU_DEP_1)
	v_cmpx_ne_u32_e32 0, v10
	s_xor_b32 s9, exec_lo, s9
; %bb.237:
                                        ; implicit-def: $vgpr8
                                        ; implicit-def: $vgpr9
; %bb.238:
	s_delay_alu instid0(SALU_CYCLE_1)
	s_and_not1_saveexec_b32 s9, s9
; %bb.239:
	v_dual_add_nc_u32 v4, v4, v8 :: v_dual_add_nc_u32 v1, v1, v9
; %bb.240:
	s_or_b32 exec_lo, exec_lo, s9
	v_and_b32_e32 v7, 1, v7
	s_delay_alu instid0(VALU_DEP_1)
	v_and_or_b32 v5, 0xffffff01, v5, v7
.LBB1993_241:
	;; [unrolled: 28-line block ×3, first 2 shown]
	s_or_b32 exec_lo, exec_lo, s8
	ds_swizzle_b32 v7, v4 offset:swizzle(BROADCAST,32,15)
	ds_swizzle_b32 v8, v1 offset:swizzle(BROADCAST,32,15)
	;; [unrolled: 1-line block ×3, first 2 shown]
	v_and_b32_e32 v9, 16, v22
	s_delay_alu instid0(VALU_DEP_1)
	v_cmp_ne_u32_e32 vcc_lo, 0, v9
	v_mov_b32_e32 v9, v5
	s_and_saveexec_b32 s8, vcc_lo
	s_cbranch_execz .LBB1993_253
; %bb.248:
	v_and_b32_e32 v9, 0xff, v5
	s_mov_b32 s9, exec_lo
	s_delay_alu instid0(VALU_DEP_1)
	v_cmpx_ne_u32_e32 0, v9
	s_xor_b32 s9, exec_lo, s9
; %bb.249:
                                        ; implicit-def: $vgpr7
                                        ; implicit-def: $vgpr8
; %bb.250:
	s_delay_alu instid0(SALU_CYCLE_1)
	s_and_not1_saveexec_b32 s9, s9
	s_cbranch_execz .LBB1993_252
; %bb.251:
	s_wait_dscnt 0x1
	v_dual_add_nc_u32 v4, v4, v7 :: v_dual_add_nc_u32 v1, v1, v8
.LBB1993_252:
	s_or_b32 exec_lo, exec_lo, s9
	s_wait_dscnt 0x0
	v_or_b32_e32 v7, v6, v5
	v_and_b32_e32 v6, 1, v6
	s_delay_alu instid0(VALU_DEP_2) | instskip(NEXT) | instid1(VALU_DEP_2)
	v_and_b32_e32 v9, 1, v7
	v_and_or_b32 v5, 0xffffff01, v5, v6
.LBB1993_253:
	s_or_b32 exec_lo, exec_lo, s8
	s_wait_dscnt 0x0
	v_dual_lshrrev_b32 v8, 5, v0 :: v_dual_bitop2_b32 v6, 31, v0 bitop3:0x54
	s_mov_b32 s8, exec_lo
	s_delay_alu instid0(VALU_DEP_1)
	v_cmpx_eq_u32_e64 v0, v6
	s_cbranch_execz .LBB1993_255
; %bb.254:
	s_delay_alu instid0(VALU_DEP_2)
	v_mul_u32_u24_e32 v6, 12, v8
	ds_store_2addr_b32 v6, v4, v1 offset1:1
	ds_store_b8 v6, v9 offset:8
.LBB1993_255:
	s_or_b32 exec_lo, exec_lo, s8
	s_delay_alu instid0(SALU_CYCLE_1)
	s_mov_b32 s8, exec_lo
	s_wait_loadcnt_dscnt 0x0
	s_barrier_signal -1
	s_barrier_wait -1
	v_cmpx_gt_u32_e32 4, v0
	s_cbranch_execz .LBB1993_261
; %bb.256:
	v_mul_u32_u24_e32 v9, 12, v0
	v_and_b32_e32 v11, 3, v22
	s_mov_b32 s9, exec_lo
	ds_load_2addr_b32 v[6:7], v9 offset1:1
	ds_load_b32 v10, v9 offset:8
	s_wait_dscnt 0x1
	v_mov_b32_dpp v13, v6 row_shr:1 row_mask:0xf bank_mask:0xf
	v_mov_b32_dpp v14, v7 row_shr:1 row_mask:0xf bank_mask:0xf
	s_wait_dscnt 0x0
	v_mov_b32_dpp v12, v10 row_shr:1 row_mask:0xf bank_mask:0xf
	v_cmpx_ne_u32_e32 0, v11
; %bb.257:
	v_and_b32_e32 v15, 0xff, v10
	v_dual_add_nc_u32 v13, v6, v13 :: v_dual_add_nc_u32 v14, v7, v14
	s_delay_alu instid0(VALU_DEP_2) | instskip(NEXT) | instid1(VALU_DEP_2)
	v_cmp_eq_u32_e32 vcc_lo, 0, v15
	v_dual_cndmask_b32 v7, v7, v14, vcc_lo :: v_dual_bitop2_b32 v12, 1, v12 bitop3:0x40
	s_delay_alu instid0(VALU_DEP_3) | instskip(NEXT) | instid1(VALU_DEP_2)
	v_cndmask_b32_e32 v6, v6, v13, vcc_lo
	v_and_or_b32 v10, 0xffffff01, v10, v12
; %bb.258:
	s_or_b32 exec_lo, exec_lo, s9
	s_delay_alu instid0(VALU_DEP_2) | instskip(SKIP_1) | instid1(VALU_DEP_3)
	v_mov_b32_dpp v13, v6 row_shr:2 row_mask:0xf bank_mask:0xf
	v_mov_b32_dpp v14, v7 row_shr:2 row_mask:0xf bank_mask:0xf
	;; [unrolled: 1-line block ×3, first 2 shown]
	s_mov_b32 s9, exec_lo
	v_cmpx_lt_u32_e32 1, v11
; %bb.259:
	v_and_b32_e32 v11, 0xff, v10
	v_dual_add_nc_u32 v13, v6, v13 :: v_dual_add_nc_u32 v14, v7, v14
	v_bitop3_b32 v10, v12, 1, v10 bitop3:0xc8
	s_delay_alu instid0(VALU_DEP_3) | instskip(NEXT) | instid1(VALU_DEP_3)
	v_cmp_eq_u32_e32 vcc_lo, 0, v11
	v_dual_cndmask_b32 v7, v7, v14 :: v_dual_cndmask_b32 v6, v6, v13
; %bb.260:
	s_or_b32 exec_lo, exec_lo, s9
	ds_store_2addr_b32 v9, v6, v7 offset1:1
	ds_store_b8 v9, v10 offset:8
.LBB1993_261:
	s_or_b32 exec_lo, exec_lo, s8
	v_dual_mov_b32 v7, v3 :: v_dual_mov_b32 v6, v2
	s_mov_b32 s8, exec_lo
	s_wait_dscnt 0x0
	s_barrier_signal -1
	s_barrier_wait -1
	v_cmpx_lt_u32_e32 31, v0
	s_cbranch_execz .LBB1993_267
; %bb.262:
	v_mad_u32_u24 v6, v8, 12, -4
	v_mad_u32_u24 v8, v8, 12, -12
	ds_load_u8 v6, v6
	s_wait_dscnt 0x0
	v_cmp_ne_u16_e32 vcc_lo, 0, v6
                                        ; implicit-def: $vgpr6
	s_and_saveexec_b32 s9, vcc_lo
	s_delay_alu instid0(SALU_CYCLE_1)
	s_xor_b32 s9, exec_lo, s9
; %bb.263:
	ds_load_2addr_b32 v[6:7], v8 offset1:1
                                        ; implicit-def: $vgpr8
; %bb.264:
	s_and_not1_saveexec_b32 s9, s9
	s_cbranch_execz .LBB1993_266
; %bb.265:
	s_wait_dscnt 0x0
	ds_load_2addr_b32 v[6:7], v8 offset1:1
	s_wait_dscnt 0x0
	v_dual_add_nc_u32 v6, v6, v2 :: v_dual_add_nc_u32 v7, v7, v3
.LBB1993_266:
	s_or_b32 exec_lo, exec_lo, s9
.LBB1993_267:
	s_delay_alu instid0(SALU_CYCLE_1) | instskip(SKIP_4) | instid1(VALU_DEP_3)
	s_or_b32 exec_lo, exec_lo, s8
	v_sub_co_u32 v9, s8, v22, 1
	s_wait_dscnt 0x0
	v_dual_mov_b32 v8, 0 :: v_dual_add_nc_u32 v10, v4, v6
	v_and_b32_e32 v5, 0xff, v5
	v_cmp_gt_i32_e32 vcc_lo, 0, v9
	s_mov_b32 s9, 0
	ds_load_u8 v12, v8 offset:44
	v_cndmask_b32_e32 v9, v9, v22, vcc_lo
	v_cmp_eq_u32_e32 vcc_lo, 0, v5
	v_dual_cndmask_b32 v4, v4, v10 :: v_dual_add_nc_u32 v11, v1, v7
	s_delay_alu instid0(VALU_DEP_1) | instskip(SKIP_4) | instid1(VALU_DEP_1)
	v_dual_lshlrev_b32 v5, 2, v9 :: v_dual_cndmask_b32 v9, v1, v11, vcc_lo
	ds_bpermute_b32 v1, v5, v4
	ds_bpermute_b32 v4, v5, v9
	s_wait_dscnt 0x2
	v_and_b32_e32 v24, 0xffff, v12
	v_cmp_ne_u32_e32 vcc_lo, 0, v24
	s_cbranch_vccz .LBB1993_278
; %bb.268:
	ds_load_2addr_b32 v[22:23], v8 offset0:9 offset1:10
	s_and_not1_b32 vcc_lo, exec_lo, s9
	s_cbranch_vccnz .LBB1993_270
.LBB1993_269:
	v_mov_b32_e32 v5, 0
	ds_load_2addr_b32 v[8:9], v5 offset0:9 offset1:10
	s_wait_dscnt 0x0
	v_dual_add_nc_u32 v22, v8, v2 :: v_dual_add_nc_u32 v23, v9, v3
.LBB1993_270:
	s_wait_dscnt 0x0
	v_dual_cndmask_b32 v4, v4, v7, s8 :: v_dual_cndmask_b32 v1, v1, v6, s8
	v_cmp_eq_u32_e32 vcc_lo, 0, v0
	s_delay_alu instid0(VALU_DEP_2) | instskip(SKIP_1) | instid1(VALU_DEP_2)
	v_dual_cndmask_b32 v2, v1, v2 :: v_dual_cndmask_b32 v3, v4, v3
	v_and_b32_e32 v1, 0xff, v50
	v_dual_add_nc_u32 v4, v26, v2 :: v_dual_add_nc_u32 v5, v27, v3
	s_delay_alu instid0(VALU_DEP_2) | instskip(NEXT) | instid1(VALU_DEP_1)
	v_cmp_eq_u32_e64 s8, 0, v1
	v_dual_cndmask_b32 v5, v27, v5, s8 :: v_dual_cndmask_b32 v4, v26, v4, s8
	s_delay_alu instid0(VALU_DEP_1) | instskip(NEXT) | instid1(VALU_DEP_1)
	v_dual_add_nc_u32 v1, v43, v5 :: v_dual_add_nc_u32 v6, v42, v4
	v_dual_cndmask_b32 v7, v43, v1, s0 :: v_dual_cndmask_b32 v6, v42, v6, s0
	s_delay_alu instid0(VALU_DEP_1) | instskip(NEXT) | instid1(VALU_DEP_1)
	v_dual_add_nc_u32 v1, v41, v7 :: v_dual_add_nc_u32 v8, v40, v6
	v_dual_cndmask_b32 v9, v41, v1, s1 :: v_dual_cndmask_b32 v8, v40, v8, s1
	s_delay_alu instid0(VALU_DEP_1) | instskip(NEXT) | instid1(VALU_DEP_1)
	v_dual_add_nc_u32 v1, v39, v9 :: v_dual_add_nc_u32 v10, v38, v8
	v_dual_cndmask_b32 v11, v39, v1, s2 :: v_dual_cndmask_b32 v10, v38, v10, s2
	s_delay_alu instid0(VALU_DEP_1) | instskip(NEXT) | instid1(VALU_DEP_1)
	v_dual_add_nc_u32 v1, v37, v11 :: v_dual_add_nc_u32 v12, v36, v10
	v_dual_cndmask_b32 v13, v37, v1, s3 :: v_dual_cndmask_b32 v12, v36, v12, s3
	s_delay_alu instid0(VALU_DEP_1) | instskip(NEXT) | instid1(VALU_DEP_1)
	v_dual_add_nc_u32 v1, v35, v13 :: v_dual_add_nc_u32 v14, v34, v12
	v_dual_cndmask_b32 v15, v35, v1, s4 :: v_dual_cndmask_b32 v14, v34, v14, s4
	s_delay_alu instid0(VALU_DEP_1) | instskip(NEXT) | instid1(VALU_DEP_1)
	v_dual_add_nc_u32 v1, v33, v15 :: v_dual_add_nc_u32 v16, v32, v14
	v_dual_cndmask_b32 v17, v33, v1, s5 :: v_dual_cndmask_b32 v16, v32, v16, s5
	s_delay_alu instid0(VALU_DEP_1) | instskip(NEXT) | instid1(VALU_DEP_1)
	v_dual_add_nc_u32 v1, v31, v17 :: v_dual_add_nc_u32 v18, v30, v16
	v_dual_cndmask_b32 v19, v31, v1, s6 :: v_dual_cndmask_b32 v18, v30, v18, s6
	s_delay_alu instid0(VALU_DEP_1) | instskip(NEXT) | instid1(VALU_DEP_1)
	v_dual_add_nc_u32 v1, v29, v19 :: v_dual_add_nc_u32 v20, v28, v18
	v_dual_cndmask_b32 v21, v29, v1, s7 :: v_dual_cndmask_b32 v20, v28, v20, s7
	s_and_saveexec_b32 s0, vcc_lo
	s_cbranch_execz .LBB1993_272
; %bb.271:
	s_add_nc_u64 s[2:3], s[16:17], 0x200
	v_mov_b32_e32 v25, 2
	v_mov_b64_e32 v[26:27], s[2:3]
	;;#ASMSTART
	global_store_b128 v[26:27], v[22:25] off scope:SCOPE_DEV	
s_wait_storecnt 0x0
	;;#ASMEND
.LBB1993_272:
	s_or_b32 exec_lo, exec_lo, s0
	s_add_nc_u64 s[0:1], s[14:15], s[26:27]
	s_and_b32 vcc_lo, exec_lo, s31
	s_add_nc_u64 s[0:1], s[0:1], s[12:13]
	s_cbranch_vccnz .LBB1993_179
.LBB1993_273:
	s_mov_b32 s2, 0
                                        ; implicit-def: $vgpr22_vgpr23
	s_cbranch_execz .LBB1993_275
; %bb.274:
	v_mul_u32_u24_e32 v1, 0x50, v0
	s_wait_dscnt 0x0
	v_mul_i32_i24_e32 v22, 0xffffffb8, v0
	s_wait_storecnt 0x0
	s_barrier_signal -1
	s_barrier_wait -1
	ds_store_b128 v1, v[2:5]
	ds_store_b128 v1, v[6:9] offset:16
	ds_store_b128 v1, v[10:13] offset:32
	;; [unrolled: 1-line block ×4, first 2 shown]
	v_mad_u32_u24 v1, 0x50, v0, v22
	s_wait_dscnt 0x0
	s_barrier_signal -1
	s_barrier_wait -1
	ds_load_2addr_stride64_b64 v[2:5], v1 offset1:2
	ds_load_2addr_stride64_b64 v[6:9], v1 offset0:4 offset1:6
	ds_load_2addr_stride64_b64 v[10:13], v1 offset0:8 offset1:10
	;; [unrolled: 1-line block ×4, first 2 shown]
	s_or_b32 s2, s2, exec_lo
	s_wait_dscnt 0x4
	s_clause 0x1
	flat_store_b64 v0, v[2:3], s[0:1] scale_offset
	flat_store_b64 v0, v[4:5], s[0:1] offset:1024 scale_offset
	s_wait_dscnt 0x5
	s_clause 0x1
	flat_store_b64 v0, v[6:7], s[0:1] offset:2048 scale_offset
	flat_store_b64 v0, v[8:9], s[0:1] offset:3072 scale_offset
	s_wait_dscnt 0x6
	s_clause 0x1
	flat_store_b64 v0, v[10:11], s[0:1] offset:4096 scale_offset
	flat_store_b64 v0, v[12:13], s[0:1] offset:5120 scale_offset
	s_wait_dscnt 0x7
	s_clause 0x1
	flat_store_b64 v0, v[14:15], s[0:1] offset:6144 scale_offset
	flat_store_b64 v0, v[16:17], s[0:1] offset:7168 scale_offset
	s_wait_dscnt 0x8
	flat_store_b64 v0, v[20:21], s[0:1] offset:8192 scale_offset
.LBB1993_275:
	s_wait_xcnt 0x0
	s_delay_alu instid0(VALU_DEP_1)
	s_and_saveexec_b32 s3, s2
	s_cbranch_execnz .LBB1993_277
; %bb.276:
	s_sendmsg sendmsg(MSG_DEALLOC_VGPRS)
	s_endpgm
.LBB1993_277:
	s_wait_dscnt 0x0
	flat_store_b64 v0, v[22:23], s[0:1] offset:9216 scale_offset
	s_sendmsg sendmsg(MSG_DEALLOC_VGPRS)
	s_endpgm
.LBB1993_278:
	s_branch .LBB1993_269
	.section	.rodata,"a",@progbits
	.p2align	6, 0x0
	.amdhsa_kernel _ZN7rocprim17ROCPRIM_400000_NS6detail17trampoline_kernelINS0_14default_configENS1_27scan_by_key_config_selectorIj11FixedVectorIiLj2EEEEZZNS1_16scan_by_key_implILNS1_25lookback_scan_determinismE0ELb1ES3_N6thrust23THRUST_200600_302600_NS6detail15normal_iteratorINSB_10device_ptrIjEEEENSD_INSE_IS6_EEEESI_S6_NSB_4plusIvEENSB_8equal_toIvEES6_EE10hipError_tPvRmT2_T3_T4_T5_mT6_T7_P12ihipStream_tbENKUlT_T0_E_clISt17integral_constantIbLb0EES13_EEDaSY_SZ_EUlSY_E_NS1_11comp_targetILNS1_3genE0ELNS1_11target_archE4294967295ELNS1_3gpuE0ELNS1_3repE0EEENS1_30default_config_static_selectorELNS0_4arch9wavefront6targetE0EEEvT1_
		.amdhsa_group_segment_fixed_size 10240
		.amdhsa_private_segment_fixed_size 0
		.amdhsa_kernarg_size 120
		.amdhsa_user_sgpr_count 2
		.amdhsa_user_sgpr_dispatch_ptr 0
		.amdhsa_user_sgpr_queue_ptr 0
		.amdhsa_user_sgpr_kernarg_segment_ptr 1
		.amdhsa_user_sgpr_dispatch_id 0
		.amdhsa_user_sgpr_kernarg_preload_length 0
		.amdhsa_user_sgpr_kernarg_preload_offset 0
		.amdhsa_user_sgpr_private_segment_size 0
		.amdhsa_wavefront_size32 1
		.amdhsa_uses_dynamic_stack 0
		.amdhsa_enable_private_segment 0
		.amdhsa_system_sgpr_workgroup_id_x 1
		.amdhsa_system_sgpr_workgroup_id_y 0
		.amdhsa_system_sgpr_workgroup_id_z 0
		.amdhsa_system_sgpr_workgroup_info 0
		.amdhsa_system_vgpr_workitem_id 0
		.amdhsa_next_free_vgpr 76
		.amdhsa_next_free_sgpr 44
		.amdhsa_named_barrier_count 0
		.amdhsa_reserve_vcc 1
		.amdhsa_float_round_mode_32 0
		.amdhsa_float_round_mode_16_64 0
		.amdhsa_float_denorm_mode_32 3
		.amdhsa_float_denorm_mode_16_64 3
		.amdhsa_fp16_overflow 0
		.amdhsa_memory_ordered 1
		.amdhsa_forward_progress 1
		.amdhsa_inst_pref_size 91
		.amdhsa_round_robin_scheduling 0
		.amdhsa_exception_fp_ieee_invalid_op 0
		.amdhsa_exception_fp_denorm_src 0
		.amdhsa_exception_fp_ieee_div_zero 0
		.amdhsa_exception_fp_ieee_overflow 0
		.amdhsa_exception_fp_ieee_underflow 0
		.amdhsa_exception_fp_ieee_inexact 0
		.amdhsa_exception_int_div_zero 0
	.end_amdhsa_kernel
	.section	.text._ZN7rocprim17ROCPRIM_400000_NS6detail17trampoline_kernelINS0_14default_configENS1_27scan_by_key_config_selectorIj11FixedVectorIiLj2EEEEZZNS1_16scan_by_key_implILNS1_25lookback_scan_determinismE0ELb1ES3_N6thrust23THRUST_200600_302600_NS6detail15normal_iteratorINSB_10device_ptrIjEEEENSD_INSE_IS6_EEEESI_S6_NSB_4plusIvEENSB_8equal_toIvEES6_EE10hipError_tPvRmT2_T3_T4_T5_mT6_T7_P12ihipStream_tbENKUlT_T0_E_clISt17integral_constantIbLb0EES13_EEDaSY_SZ_EUlSY_E_NS1_11comp_targetILNS1_3genE0ELNS1_11target_archE4294967295ELNS1_3gpuE0ELNS1_3repE0EEENS1_30default_config_static_selectorELNS0_4arch9wavefront6targetE0EEEvT1_,"axG",@progbits,_ZN7rocprim17ROCPRIM_400000_NS6detail17trampoline_kernelINS0_14default_configENS1_27scan_by_key_config_selectorIj11FixedVectorIiLj2EEEEZZNS1_16scan_by_key_implILNS1_25lookback_scan_determinismE0ELb1ES3_N6thrust23THRUST_200600_302600_NS6detail15normal_iteratorINSB_10device_ptrIjEEEENSD_INSE_IS6_EEEESI_S6_NSB_4plusIvEENSB_8equal_toIvEES6_EE10hipError_tPvRmT2_T3_T4_T5_mT6_T7_P12ihipStream_tbENKUlT_T0_E_clISt17integral_constantIbLb0EES13_EEDaSY_SZ_EUlSY_E_NS1_11comp_targetILNS1_3genE0ELNS1_11target_archE4294967295ELNS1_3gpuE0ELNS1_3repE0EEENS1_30default_config_static_selectorELNS0_4arch9wavefront6targetE0EEEvT1_,comdat
.Lfunc_end1993:
	.size	_ZN7rocprim17ROCPRIM_400000_NS6detail17trampoline_kernelINS0_14default_configENS1_27scan_by_key_config_selectorIj11FixedVectorIiLj2EEEEZZNS1_16scan_by_key_implILNS1_25lookback_scan_determinismE0ELb1ES3_N6thrust23THRUST_200600_302600_NS6detail15normal_iteratorINSB_10device_ptrIjEEEENSD_INSE_IS6_EEEESI_S6_NSB_4plusIvEENSB_8equal_toIvEES6_EE10hipError_tPvRmT2_T3_T4_T5_mT6_T7_P12ihipStream_tbENKUlT_T0_E_clISt17integral_constantIbLb0EES13_EEDaSY_SZ_EUlSY_E_NS1_11comp_targetILNS1_3genE0ELNS1_11target_archE4294967295ELNS1_3gpuE0ELNS1_3repE0EEENS1_30default_config_static_selectorELNS0_4arch9wavefront6targetE0EEEvT1_, .Lfunc_end1993-_ZN7rocprim17ROCPRIM_400000_NS6detail17trampoline_kernelINS0_14default_configENS1_27scan_by_key_config_selectorIj11FixedVectorIiLj2EEEEZZNS1_16scan_by_key_implILNS1_25lookback_scan_determinismE0ELb1ES3_N6thrust23THRUST_200600_302600_NS6detail15normal_iteratorINSB_10device_ptrIjEEEENSD_INSE_IS6_EEEESI_S6_NSB_4plusIvEENSB_8equal_toIvEES6_EE10hipError_tPvRmT2_T3_T4_T5_mT6_T7_P12ihipStream_tbENKUlT_T0_E_clISt17integral_constantIbLb0EES13_EEDaSY_SZ_EUlSY_E_NS1_11comp_targetILNS1_3genE0ELNS1_11target_archE4294967295ELNS1_3gpuE0ELNS1_3repE0EEENS1_30default_config_static_selectorELNS0_4arch9wavefront6targetE0EEEvT1_
                                        ; -- End function
	.set _ZN7rocprim17ROCPRIM_400000_NS6detail17trampoline_kernelINS0_14default_configENS1_27scan_by_key_config_selectorIj11FixedVectorIiLj2EEEEZZNS1_16scan_by_key_implILNS1_25lookback_scan_determinismE0ELb1ES3_N6thrust23THRUST_200600_302600_NS6detail15normal_iteratorINSB_10device_ptrIjEEEENSD_INSE_IS6_EEEESI_S6_NSB_4plusIvEENSB_8equal_toIvEES6_EE10hipError_tPvRmT2_T3_T4_T5_mT6_T7_P12ihipStream_tbENKUlT_T0_E_clISt17integral_constantIbLb0EES13_EEDaSY_SZ_EUlSY_E_NS1_11comp_targetILNS1_3genE0ELNS1_11target_archE4294967295ELNS1_3gpuE0ELNS1_3repE0EEENS1_30default_config_static_selectorELNS0_4arch9wavefront6targetE0EEEvT1_.num_vgpr, 76
	.set _ZN7rocprim17ROCPRIM_400000_NS6detail17trampoline_kernelINS0_14default_configENS1_27scan_by_key_config_selectorIj11FixedVectorIiLj2EEEEZZNS1_16scan_by_key_implILNS1_25lookback_scan_determinismE0ELb1ES3_N6thrust23THRUST_200600_302600_NS6detail15normal_iteratorINSB_10device_ptrIjEEEENSD_INSE_IS6_EEEESI_S6_NSB_4plusIvEENSB_8equal_toIvEES6_EE10hipError_tPvRmT2_T3_T4_T5_mT6_T7_P12ihipStream_tbENKUlT_T0_E_clISt17integral_constantIbLb0EES13_EEDaSY_SZ_EUlSY_E_NS1_11comp_targetILNS1_3genE0ELNS1_11target_archE4294967295ELNS1_3gpuE0ELNS1_3repE0EEENS1_30default_config_static_selectorELNS0_4arch9wavefront6targetE0EEEvT1_.num_agpr, 0
	.set _ZN7rocprim17ROCPRIM_400000_NS6detail17trampoline_kernelINS0_14default_configENS1_27scan_by_key_config_selectorIj11FixedVectorIiLj2EEEEZZNS1_16scan_by_key_implILNS1_25lookback_scan_determinismE0ELb1ES3_N6thrust23THRUST_200600_302600_NS6detail15normal_iteratorINSB_10device_ptrIjEEEENSD_INSE_IS6_EEEESI_S6_NSB_4plusIvEENSB_8equal_toIvEES6_EE10hipError_tPvRmT2_T3_T4_T5_mT6_T7_P12ihipStream_tbENKUlT_T0_E_clISt17integral_constantIbLb0EES13_EEDaSY_SZ_EUlSY_E_NS1_11comp_targetILNS1_3genE0ELNS1_11target_archE4294967295ELNS1_3gpuE0ELNS1_3repE0EEENS1_30default_config_static_selectorELNS0_4arch9wavefront6targetE0EEEvT1_.numbered_sgpr, 44
	.set _ZN7rocprim17ROCPRIM_400000_NS6detail17trampoline_kernelINS0_14default_configENS1_27scan_by_key_config_selectorIj11FixedVectorIiLj2EEEEZZNS1_16scan_by_key_implILNS1_25lookback_scan_determinismE0ELb1ES3_N6thrust23THRUST_200600_302600_NS6detail15normal_iteratorINSB_10device_ptrIjEEEENSD_INSE_IS6_EEEESI_S6_NSB_4plusIvEENSB_8equal_toIvEES6_EE10hipError_tPvRmT2_T3_T4_T5_mT6_T7_P12ihipStream_tbENKUlT_T0_E_clISt17integral_constantIbLb0EES13_EEDaSY_SZ_EUlSY_E_NS1_11comp_targetILNS1_3genE0ELNS1_11target_archE4294967295ELNS1_3gpuE0ELNS1_3repE0EEENS1_30default_config_static_selectorELNS0_4arch9wavefront6targetE0EEEvT1_.num_named_barrier, 0
	.set _ZN7rocprim17ROCPRIM_400000_NS6detail17trampoline_kernelINS0_14default_configENS1_27scan_by_key_config_selectorIj11FixedVectorIiLj2EEEEZZNS1_16scan_by_key_implILNS1_25lookback_scan_determinismE0ELb1ES3_N6thrust23THRUST_200600_302600_NS6detail15normal_iteratorINSB_10device_ptrIjEEEENSD_INSE_IS6_EEEESI_S6_NSB_4plusIvEENSB_8equal_toIvEES6_EE10hipError_tPvRmT2_T3_T4_T5_mT6_T7_P12ihipStream_tbENKUlT_T0_E_clISt17integral_constantIbLb0EES13_EEDaSY_SZ_EUlSY_E_NS1_11comp_targetILNS1_3genE0ELNS1_11target_archE4294967295ELNS1_3gpuE0ELNS1_3repE0EEENS1_30default_config_static_selectorELNS0_4arch9wavefront6targetE0EEEvT1_.private_seg_size, 0
	.set _ZN7rocprim17ROCPRIM_400000_NS6detail17trampoline_kernelINS0_14default_configENS1_27scan_by_key_config_selectorIj11FixedVectorIiLj2EEEEZZNS1_16scan_by_key_implILNS1_25lookback_scan_determinismE0ELb1ES3_N6thrust23THRUST_200600_302600_NS6detail15normal_iteratorINSB_10device_ptrIjEEEENSD_INSE_IS6_EEEESI_S6_NSB_4plusIvEENSB_8equal_toIvEES6_EE10hipError_tPvRmT2_T3_T4_T5_mT6_T7_P12ihipStream_tbENKUlT_T0_E_clISt17integral_constantIbLb0EES13_EEDaSY_SZ_EUlSY_E_NS1_11comp_targetILNS1_3genE0ELNS1_11target_archE4294967295ELNS1_3gpuE0ELNS1_3repE0EEENS1_30default_config_static_selectorELNS0_4arch9wavefront6targetE0EEEvT1_.uses_vcc, 1
	.set _ZN7rocprim17ROCPRIM_400000_NS6detail17trampoline_kernelINS0_14default_configENS1_27scan_by_key_config_selectorIj11FixedVectorIiLj2EEEEZZNS1_16scan_by_key_implILNS1_25lookback_scan_determinismE0ELb1ES3_N6thrust23THRUST_200600_302600_NS6detail15normal_iteratorINSB_10device_ptrIjEEEENSD_INSE_IS6_EEEESI_S6_NSB_4plusIvEENSB_8equal_toIvEES6_EE10hipError_tPvRmT2_T3_T4_T5_mT6_T7_P12ihipStream_tbENKUlT_T0_E_clISt17integral_constantIbLb0EES13_EEDaSY_SZ_EUlSY_E_NS1_11comp_targetILNS1_3genE0ELNS1_11target_archE4294967295ELNS1_3gpuE0ELNS1_3repE0EEENS1_30default_config_static_selectorELNS0_4arch9wavefront6targetE0EEEvT1_.uses_flat_scratch, 1
	.set _ZN7rocprim17ROCPRIM_400000_NS6detail17trampoline_kernelINS0_14default_configENS1_27scan_by_key_config_selectorIj11FixedVectorIiLj2EEEEZZNS1_16scan_by_key_implILNS1_25lookback_scan_determinismE0ELb1ES3_N6thrust23THRUST_200600_302600_NS6detail15normal_iteratorINSB_10device_ptrIjEEEENSD_INSE_IS6_EEEESI_S6_NSB_4plusIvEENSB_8equal_toIvEES6_EE10hipError_tPvRmT2_T3_T4_T5_mT6_T7_P12ihipStream_tbENKUlT_T0_E_clISt17integral_constantIbLb0EES13_EEDaSY_SZ_EUlSY_E_NS1_11comp_targetILNS1_3genE0ELNS1_11target_archE4294967295ELNS1_3gpuE0ELNS1_3repE0EEENS1_30default_config_static_selectorELNS0_4arch9wavefront6targetE0EEEvT1_.has_dyn_sized_stack, 0
	.set _ZN7rocprim17ROCPRIM_400000_NS6detail17trampoline_kernelINS0_14default_configENS1_27scan_by_key_config_selectorIj11FixedVectorIiLj2EEEEZZNS1_16scan_by_key_implILNS1_25lookback_scan_determinismE0ELb1ES3_N6thrust23THRUST_200600_302600_NS6detail15normal_iteratorINSB_10device_ptrIjEEEENSD_INSE_IS6_EEEESI_S6_NSB_4plusIvEENSB_8equal_toIvEES6_EE10hipError_tPvRmT2_T3_T4_T5_mT6_T7_P12ihipStream_tbENKUlT_T0_E_clISt17integral_constantIbLb0EES13_EEDaSY_SZ_EUlSY_E_NS1_11comp_targetILNS1_3genE0ELNS1_11target_archE4294967295ELNS1_3gpuE0ELNS1_3repE0EEENS1_30default_config_static_selectorELNS0_4arch9wavefront6targetE0EEEvT1_.has_recursion, 0
	.set _ZN7rocprim17ROCPRIM_400000_NS6detail17trampoline_kernelINS0_14default_configENS1_27scan_by_key_config_selectorIj11FixedVectorIiLj2EEEEZZNS1_16scan_by_key_implILNS1_25lookback_scan_determinismE0ELb1ES3_N6thrust23THRUST_200600_302600_NS6detail15normal_iteratorINSB_10device_ptrIjEEEENSD_INSE_IS6_EEEESI_S6_NSB_4plusIvEENSB_8equal_toIvEES6_EE10hipError_tPvRmT2_T3_T4_T5_mT6_T7_P12ihipStream_tbENKUlT_T0_E_clISt17integral_constantIbLb0EES13_EEDaSY_SZ_EUlSY_E_NS1_11comp_targetILNS1_3genE0ELNS1_11target_archE4294967295ELNS1_3gpuE0ELNS1_3repE0EEENS1_30default_config_static_selectorELNS0_4arch9wavefront6targetE0EEEvT1_.has_indirect_call, 0
	.section	.AMDGPU.csdata,"",@progbits
; Kernel info:
; codeLenInByte = 11596
; TotalNumSgprs: 46
; NumVgprs: 76
; ScratchSize: 0
; MemoryBound: 0
; FloatMode: 240
; IeeeMode: 1
; LDSByteSize: 10240 bytes/workgroup (compile time only)
; SGPRBlocks: 0
; VGPRBlocks: 4
; NumSGPRsForWavesPerEU: 46
; NumVGPRsForWavesPerEU: 76
; NamedBarCnt: 0
; Occupancy: 12
; WaveLimiterHint : 1
; COMPUTE_PGM_RSRC2:SCRATCH_EN: 0
; COMPUTE_PGM_RSRC2:USER_SGPR: 2
; COMPUTE_PGM_RSRC2:TRAP_HANDLER: 0
; COMPUTE_PGM_RSRC2:TGID_X_EN: 1
; COMPUTE_PGM_RSRC2:TGID_Y_EN: 0
; COMPUTE_PGM_RSRC2:TGID_Z_EN: 0
; COMPUTE_PGM_RSRC2:TIDIG_COMP_CNT: 0
	.section	.text._ZN7rocprim17ROCPRIM_400000_NS6detail17trampoline_kernelINS0_14default_configENS1_27scan_by_key_config_selectorIj11FixedVectorIiLj2EEEEZZNS1_16scan_by_key_implILNS1_25lookback_scan_determinismE0ELb1ES3_N6thrust23THRUST_200600_302600_NS6detail15normal_iteratorINSB_10device_ptrIjEEEENSD_INSE_IS6_EEEESI_S6_NSB_4plusIvEENSB_8equal_toIvEES6_EE10hipError_tPvRmT2_T3_T4_T5_mT6_T7_P12ihipStream_tbENKUlT_T0_E_clISt17integral_constantIbLb0EES13_EEDaSY_SZ_EUlSY_E_NS1_11comp_targetILNS1_3genE10ELNS1_11target_archE1201ELNS1_3gpuE5ELNS1_3repE0EEENS1_30default_config_static_selectorELNS0_4arch9wavefront6targetE0EEEvT1_,"axG",@progbits,_ZN7rocprim17ROCPRIM_400000_NS6detail17trampoline_kernelINS0_14default_configENS1_27scan_by_key_config_selectorIj11FixedVectorIiLj2EEEEZZNS1_16scan_by_key_implILNS1_25lookback_scan_determinismE0ELb1ES3_N6thrust23THRUST_200600_302600_NS6detail15normal_iteratorINSB_10device_ptrIjEEEENSD_INSE_IS6_EEEESI_S6_NSB_4plusIvEENSB_8equal_toIvEES6_EE10hipError_tPvRmT2_T3_T4_T5_mT6_T7_P12ihipStream_tbENKUlT_T0_E_clISt17integral_constantIbLb0EES13_EEDaSY_SZ_EUlSY_E_NS1_11comp_targetILNS1_3genE10ELNS1_11target_archE1201ELNS1_3gpuE5ELNS1_3repE0EEENS1_30default_config_static_selectorELNS0_4arch9wavefront6targetE0EEEvT1_,comdat
	.protected	_ZN7rocprim17ROCPRIM_400000_NS6detail17trampoline_kernelINS0_14default_configENS1_27scan_by_key_config_selectorIj11FixedVectorIiLj2EEEEZZNS1_16scan_by_key_implILNS1_25lookback_scan_determinismE0ELb1ES3_N6thrust23THRUST_200600_302600_NS6detail15normal_iteratorINSB_10device_ptrIjEEEENSD_INSE_IS6_EEEESI_S6_NSB_4plusIvEENSB_8equal_toIvEES6_EE10hipError_tPvRmT2_T3_T4_T5_mT6_T7_P12ihipStream_tbENKUlT_T0_E_clISt17integral_constantIbLb0EES13_EEDaSY_SZ_EUlSY_E_NS1_11comp_targetILNS1_3genE10ELNS1_11target_archE1201ELNS1_3gpuE5ELNS1_3repE0EEENS1_30default_config_static_selectorELNS0_4arch9wavefront6targetE0EEEvT1_ ; -- Begin function _ZN7rocprim17ROCPRIM_400000_NS6detail17trampoline_kernelINS0_14default_configENS1_27scan_by_key_config_selectorIj11FixedVectorIiLj2EEEEZZNS1_16scan_by_key_implILNS1_25lookback_scan_determinismE0ELb1ES3_N6thrust23THRUST_200600_302600_NS6detail15normal_iteratorINSB_10device_ptrIjEEEENSD_INSE_IS6_EEEESI_S6_NSB_4plusIvEENSB_8equal_toIvEES6_EE10hipError_tPvRmT2_T3_T4_T5_mT6_T7_P12ihipStream_tbENKUlT_T0_E_clISt17integral_constantIbLb0EES13_EEDaSY_SZ_EUlSY_E_NS1_11comp_targetILNS1_3genE10ELNS1_11target_archE1201ELNS1_3gpuE5ELNS1_3repE0EEENS1_30default_config_static_selectorELNS0_4arch9wavefront6targetE0EEEvT1_
	.globl	_ZN7rocprim17ROCPRIM_400000_NS6detail17trampoline_kernelINS0_14default_configENS1_27scan_by_key_config_selectorIj11FixedVectorIiLj2EEEEZZNS1_16scan_by_key_implILNS1_25lookback_scan_determinismE0ELb1ES3_N6thrust23THRUST_200600_302600_NS6detail15normal_iteratorINSB_10device_ptrIjEEEENSD_INSE_IS6_EEEESI_S6_NSB_4plusIvEENSB_8equal_toIvEES6_EE10hipError_tPvRmT2_T3_T4_T5_mT6_T7_P12ihipStream_tbENKUlT_T0_E_clISt17integral_constantIbLb0EES13_EEDaSY_SZ_EUlSY_E_NS1_11comp_targetILNS1_3genE10ELNS1_11target_archE1201ELNS1_3gpuE5ELNS1_3repE0EEENS1_30default_config_static_selectorELNS0_4arch9wavefront6targetE0EEEvT1_
	.p2align	8
	.type	_ZN7rocprim17ROCPRIM_400000_NS6detail17trampoline_kernelINS0_14default_configENS1_27scan_by_key_config_selectorIj11FixedVectorIiLj2EEEEZZNS1_16scan_by_key_implILNS1_25lookback_scan_determinismE0ELb1ES3_N6thrust23THRUST_200600_302600_NS6detail15normal_iteratorINSB_10device_ptrIjEEEENSD_INSE_IS6_EEEESI_S6_NSB_4plusIvEENSB_8equal_toIvEES6_EE10hipError_tPvRmT2_T3_T4_T5_mT6_T7_P12ihipStream_tbENKUlT_T0_E_clISt17integral_constantIbLb0EES13_EEDaSY_SZ_EUlSY_E_NS1_11comp_targetILNS1_3genE10ELNS1_11target_archE1201ELNS1_3gpuE5ELNS1_3repE0EEENS1_30default_config_static_selectorELNS0_4arch9wavefront6targetE0EEEvT1_,@function
_ZN7rocprim17ROCPRIM_400000_NS6detail17trampoline_kernelINS0_14default_configENS1_27scan_by_key_config_selectorIj11FixedVectorIiLj2EEEEZZNS1_16scan_by_key_implILNS1_25lookback_scan_determinismE0ELb1ES3_N6thrust23THRUST_200600_302600_NS6detail15normal_iteratorINSB_10device_ptrIjEEEENSD_INSE_IS6_EEEESI_S6_NSB_4plusIvEENSB_8equal_toIvEES6_EE10hipError_tPvRmT2_T3_T4_T5_mT6_T7_P12ihipStream_tbENKUlT_T0_E_clISt17integral_constantIbLb0EES13_EEDaSY_SZ_EUlSY_E_NS1_11comp_targetILNS1_3genE10ELNS1_11target_archE1201ELNS1_3gpuE5ELNS1_3repE0EEENS1_30default_config_static_selectorELNS0_4arch9wavefront6targetE0EEEvT1_: ; @_ZN7rocprim17ROCPRIM_400000_NS6detail17trampoline_kernelINS0_14default_configENS1_27scan_by_key_config_selectorIj11FixedVectorIiLj2EEEEZZNS1_16scan_by_key_implILNS1_25lookback_scan_determinismE0ELb1ES3_N6thrust23THRUST_200600_302600_NS6detail15normal_iteratorINSB_10device_ptrIjEEEENSD_INSE_IS6_EEEESI_S6_NSB_4plusIvEENSB_8equal_toIvEES6_EE10hipError_tPvRmT2_T3_T4_T5_mT6_T7_P12ihipStream_tbENKUlT_T0_E_clISt17integral_constantIbLb0EES13_EEDaSY_SZ_EUlSY_E_NS1_11comp_targetILNS1_3genE10ELNS1_11target_archE1201ELNS1_3gpuE5ELNS1_3repE0EEENS1_30default_config_static_selectorELNS0_4arch9wavefront6targetE0EEEvT1_
; %bb.0:
	.section	.rodata,"a",@progbits
	.p2align	6, 0x0
	.amdhsa_kernel _ZN7rocprim17ROCPRIM_400000_NS6detail17trampoline_kernelINS0_14default_configENS1_27scan_by_key_config_selectorIj11FixedVectorIiLj2EEEEZZNS1_16scan_by_key_implILNS1_25lookback_scan_determinismE0ELb1ES3_N6thrust23THRUST_200600_302600_NS6detail15normal_iteratorINSB_10device_ptrIjEEEENSD_INSE_IS6_EEEESI_S6_NSB_4plusIvEENSB_8equal_toIvEES6_EE10hipError_tPvRmT2_T3_T4_T5_mT6_T7_P12ihipStream_tbENKUlT_T0_E_clISt17integral_constantIbLb0EES13_EEDaSY_SZ_EUlSY_E_NS1_11comp_targetILNS1_3genE10ELNS1_11target_archE1201ELNS1_3gpuE5ELNS1_3repE0EEENS1_30default_config_static_selectorELNS0_4arch9wavefront6targetE0EEEvT1_
		.amdhsa_group_segment_fixed_size 0
		.amdhsa_private_segment_fixed_size 0
		.amdhsa_kernarg_size 120
		.amdhsa_user_sgpr_count 2
		.amdhsa_user_sgpr_dispatch_ptr 0
		.amdhsa_user_sgpr_queue_ptr 0
		.amdhsa_user_sgpr_kernarg_segment_ptr 1
		.amdhsa_user_sgpr_dispatch_id 0
		.amdhsa_user_sgpr_kernarg_preload_length 0
		.amdhsa_user_sgpr_kernarg_preload_offset 0
		.amdhsa_user_sgpr_private_segment_size 0
		.amdhsa_wavefront_size32 1
		.amdhsa_uses_dynamic_stack 0
		.amdhsa_enable_private_segment 0
		.amdhsa_system_sgpr_workgroup_id_x 1
		.amdhsa_system_sgpr_workgroup_id_y 0
		.amdhsa_system_sgpr_workgroup_id_z 0
		.amdhsa_system_sgpr_workgroup_info 0
		.amdhsa_system_vgpr_workitem_id 0
		.amdhsa_next_free_vgpr 1
		.amdhsa_next_free_sgpr 1
		.amdhsa_named_barrier_count 0
		.amdhsa_reserve_vcc 0
		.amdhsa_float_round_mode_32 0
		.amdhsa_float_round_mode_16_64 0
		.amdhsa_float_denorm_mode_32 3
		.amdhsa_float_denorm_mode_16_64 3
		.amdhsa_fp16_overflow 0
		.amdhsa_memory_ordered 1
		.amdhsa_forward_progress 1
		.amdhsa_inst_pref_size 0
		.amdhsa_round_robin_scheduling 0
		.amdhsa_exception_fp_ieee_invalid_op 0
		.amdhsa_exception_fp_denorm_src 0
		.amdhsa_exception_fp_ieee_div_zero 0
		.amdhsa_exception_fp_ieee_overflow 0
		.amdhsa_exception_fp_ieee_underflow 0
		.amdhsa_exception_fp_ieee_inexact 0
		.amdhsa_exception_int_div_zero 0
	.end_amdhsa_kernel
	.section	.text._ZN7rocprim17ROCPRIM_400000_NS6detail17trampoline_kernelINS0_14default_configENS1_27scan_by_key_config_selectorIj11FixedVectorIiLj2EEEEZZNS1_16scan_by_key_implILNS1_25lookback_scan_determinismE0ELb1ES3_N6thrust23THRUST_200600_302600_NS6detail15normal_iteratorINSB_10device_ptrIjEEEENSD_INSE_IS6_EEEESI_S6_NSB_4plusIvEENSB_8equal_toIvEES6_EE10hipError_tPvRmT2_T3_T4_T5_mT6_T7_P12ihipStream_tbENKUlT_T0_E_clISt17integral_constantIbLb0EES13_EEDaSY_SZ_EUlSY_E_NS1_11comp_targetILNS1_3genE10ELNS1_11target_archE1201ELNS1_3gpuE5ELNS1_3repE0EEENS1_30default_config_static_selectorELNS0_4arch9wavefront6targetE0EEEvT1_,"axG",@progbits,_ZN7rocprim17ROCPRIM_400000_NS6detail17trampoline_kernelINS0_14default_configENS1_27scan_by_key_config_selectorIj11FixedVectorIiLj2EEEEZZNS1_16scan_by_key_implILNS1_25lookback_scan_determinismE0ELb1ES3_N6thrust23THRUST_200600_302600_NS6detail15normal_iteratorINSB_10device_ptrIjEEEENSD_INSE_IS6_EEEESI_S6_NSB_4plusIvEENSB_8equal_toIvEES6_EE10hipError_tPvRmT2_T3_T4_T5_mT6_T7_P12ihipStream_tbENKUlT_T0_E_clISt17integral_constantIbLb0EES13_EEDaSY_SZ_EUlSY_E_NS1_11comp_targetILNS1_3genE10ELNS1_11target_archE1201ELNS1_3gpuE5ELNS1_3repE0EEENS1_30default_config_static_selectorELNS0_4arch9wavefront6targetE0EEEvT1_,comdat
.Lfunc_end1994:
	.size	_ZN7rocprim17ROCPRIM_400000_NS6detail17trampoline_kernelINS0_14default_configENS1_27scan_by_key_config_selectorIj11FixedVectorIiLj2EEEEZZNS1_16scan_by_key_implILNS1_25lookback_scan_determinismE0ELb1ES3_N6thrust23THRUST_200600_302600_NS6detail15normal_iteratorINSB_10device_ptrIjEEEENSD_INSE_IS6_EEEESI_S6_NSB_4plusIvEENSB_8equal_toIvEES6_EE10hipError_tPvRmT2_T3_T4_T5_mT6_T7_P12ihipStream_tbENKUlT_T0_E_clISt17integral_constantIbLb0EES13_EEDaSY_SZ_EUlSY_E_NS1_11comp_targetILNS1_3genE10ELNS1_11target_archE1201ELNS1_3gpuE5ELNS1_3repE0EEENS1_30default_config_static_selectorELNS0_4arch9wavefront6targetE0EEEvT1_, .Lfunc_end1994-_ZN7rocprim17ROCPRIM_400000_NS6detail17trampoline_kernelINS0_14default_configENS1_27scan_by_key_config_selectorIj11FixedVectorIiLj2EEEEZZNS1_16scan_by_key_implILNS1_25lookback_scan_determinismE0ELb1ES3_N6thrust23THRUST_200600_302600_NS6detail15normal_iteratorINSB_10device_ptrIjEEEENSD_INSE_IS6_EEEESI_S6_NSB_4plusIvEENSB_8equal_toIvEES6_EE10hipError_tPvRmT2_T3_T4_T5_mT6_T7_P12ihipStream_tbENKUlT_T0_E_clISt17integral_constantIbLb0EES13_EEDaSY_SZ_EUlSY_E_NS1_11comp_targetILNS1_3genE10ELNS1_11target_archE1201ELNS1_3gpuE5ELNS1_3repE0EEENS1_30default_config_static_selectorELNS0_4arch9wavefront6targetE0EEEvT1_
                                        ; -- End function
	.set _ZN7rocprim17ROCPRIM_400000_NS6detail17trampoline_kernelINS0_14default_configENS1_27scan_by_key_config_selectorIj11FixedVectorIiLj2EEEEZZNS1_16scan_by_key_implILNS1_25lookback_scan_determinismE0ELb1ES3_N6thrust23THRUST_200600_302600_NS6detail15normal_iteratorINSB_10device_ptrIjEEEENSD_INSE_IS6_EEEESI_S6_NSB_4plusIvEENSB_8equal_toIvEES6_EE10hipError_tPvRmT2_T3_T4_T5_mT6_T7_P12ihipStream_tbENKUlT_T0_E_clISt17integral_constantIbLb0EES13_EEDaSY_SZ_EUlSY_E_NS1_11comp_targetILNS1_3genE10ELNS1_11target_archE1201ELNS1_3gpuE5ELNS1_3repE0EEENS1_30default_config_static_selectorELNS0_4arch9wavefront6targetE0EEEvT1_.num_vgpr, 0
	.set _ZN7rocprim17ROCPRIM_400000_NS6detail17trampoline_kernelINS0_14default_configENS1_27scan_by_key_config_selectorIj11FixedVectorIiLj2EEEEZZNS1_16scan_by_key_implILNS1_25lookback_scan_determinismE0ELb1ES3_N6thrust23THRUST_200600_302600_NS6detail15normal_iteratorINSB_10device_ptrIjEEEENSD_INSE_IS6_EEEESI_S6_NSB_4plusIvEENSB_8equal_toIvEES6_EE10hipError_tPvRmT2_T3_T4_T5_mT6_T7_P12ihipStream_tbENKUlT_T0_E_clISt17integral_constantIbLb0EES13_EEDaSY_SZ_EUlSY_E_NS1_11comp_targetILNS1_3genE10ELNS1_11target_archE1201ELNS1_3gpuE5ELNS1_3repE0EEENS1_30default_config_static_selectorELNS0_4arch9wavefront6targetE0EEEvT1_.num_agpr, 0
	.set _ZN7rocprim17ROCPRIM_400000_NS6detail17trampoline_kernelINS0_14default_configENS1_27scan_by_key_config_selectorIj11FixedVectorIiLj2EEEEZZNS1_16scan_by_key_implILNS1_25lookback_scan_determinismE0ELb1ES3_N6thrust23THRUST_200600_302600_NS6detail15normal_iteratorINSB_10device_ptrIjEEEENSD_INSE_IS6_EEEESI_S6_NSB_4plusIvEENSB_8equal_toIvEES6_EE10hipError_tPvRmT2_T3_T4_T5_mT6_T7_P12ihipStream_tbENKUlT_T0_E_clISt17integral_constantIbLb0EES13_EEDaSY_SZ_EUlSY_E_NS1_11comp_targetILNS1_3genE10ELNS1_11target_archE1201ELNS1_3gpuE5ELNS1_3repE0EEENS1_30default_config_static_selectorELNS0_4arch9wavefront6targetE0EEEvT1_.numbered_sgpr, 0
	.set _ZN7rocprim17ROCPRIM_400000_NS6detail17trampoline_kernelINS0_14default_configENS1_27scan_by_key_config_selectorIj11FixedVectorIiLj2EEEEZZNS1_16scan_by_key_implILNS1_25lookback_scan_determinismE0ELb1ES3_N6thrust23THRUST_200600_302600_NS6detail15normal_iteratorINSB_10device_ptrIjEEEENSD_INSE_IS6_EEEESI_S6_NSB_4plusIvEENSB_8equal_toIvEES6_EE10hipError_tPvRmT2_T3_T4_T5_mT6_T7_P12ihipStream_tbENKUlT_T0_E_clISt17integral_constantIbLb0EES13_EEDaSY_SZ_EUlSY_E_NS1_11comp_targetILNS1_3genE10ELNS1_11target_archE1201ELNS1_3gpuE5ELNS1_3repE0EEENS1_30default_config_static_selectorELNS0_4arch9wavefront6targetE0EEEvT1_.num_named_barrier, 0
	.set _ZN7rocprim17ROCPRIM_400000_NS6detail17trampoline_kernelINS0_14default_configENS1_27scan_by_key_config_selectorIj11FixedVectorIiLj2EEEEZZNS1_16scan_by_key_implILNS1_25lookback_scan_determinismE0ELb1ES3_N6thrust23THRUST_200600_302600_NS6detail15normal_iteratorINSB_10device_ptrIjEEEENSD_INSE_IS6_EEEESI_S6_NSB_4plusIvEENSB_8equal_toIvEES6_EE10hipError_tPvRmT2_T3_T4_T5_mT6_T7_P12ihipStream_tbENKUlT_T0_E_clISt17integral_constantIbLb0EES13_EEDaSY_SZ_EUlSY_E_NS1_11comp_targetILNS1_3genE10ELNS1_11target_archE1201ELNS1_3gpuE5ELNS1_3repE0EEENS1_30default_config_static_selectorELNS0_4arch9wavefront6targetE0EEEvT1_.private_seg_size, 0
	.set _ZN7rocprim17ROCPRIM_400000_NS6detail17trampoline_kernelINS0_14default_configENS1_27scan_by_key_config_selectorIj11FixedVectorIiLj2EEEEZZNS1_16scan_by_key_implILNS1_25lookback_scan_determinismE0ELb1ES3_N6thrust23THRUST_200600_302600_NS6detail15normal_iteratorINSB_10device_ptrIjEEEENSD_INSE_IS6_EEEESI_S6_NSB_4plusIvEENSB_8equal_toIvEES6_EE10hipError_tPvRmT2_T3_T4_T5_mT6_T7_P12ihipStream_tbENKUlT_T0_E_clISt17integral_constantIbLb0EES13_EEDaSY_SZ_EUlSY_E_NS1_11comp_targetILNS1_3genE10ELNS1_11target_archE1201ELNS1_3gpuE5ELNS1_3repE0EEENS1_30default_config_static_selectorELNS0_4arch9wavefront6targetE0EEEvT1_.uses_vcc, 0
	.set _ZN7rocprim17ROCPRIM_400000_NS6detail17trampoline_kernelINS0_14default_configENS1_27scan_by_key_config_selectorIj11FixedVectorIiLj2EEEEZZNS1_16scan_by_key_implILNS1_25lookback_scan_determinismE0ELb1ES3_N6thrust23THRUST_200600_302600_NS6detail15normal_iteratorINSB_10device_ptrIjEEEENSD_INSE_IS6_EEEESI_S6_NSB_4plusIvEENSB_8equal_toIvEES6_EE10hipError_tPvRmT2_T3_T4_T5_mT6_T7_P12ihipStream_tbENKUlT_T0_E_clISt17integral_constantIbLb0EES13_EEDaSY_SZ_EUlSY_E_NS1_11comp_targetILNS1_3genE10ELNS1_11target_archE1201ELNS1_3gpuE5ELNS1_3repE0EEENS1_30default_config_static_selectorELNS0_4arch9wavefront6targetE0EEEvT1_.uses_flat_scratch, 0
	.set _ZN7rocprim17ROCPRIM_400000_NS6detail17trampoline_kernelINS0_14default_configENS1_27scan_by_key_config_selectorIj11FixedVectorIiLj2EEEEZZNS1_16scan_by_key_implILNS1_25lookback_scan_determinismE0ELb1ES3_N6thrust23THRUST_200600_302600_NS6detail15normal_iteratorINSB_10device_ptrIjEEEENSD_INSE_IS6_EEEESI_S6_NSB_4plusIvEENSB_8equal_toIvEES6_EE10hipError_tPvRmT2_T3_T4_T5_mT6_T7_P12ihipStream_tbENKUlT_T0_E_clISt17integral_constantIbLb0EES13_EEDaSY_SZ_EUlSY_E_NS1_11comp_targetILNS1_3genE10ELNS1_11target_archE1201ELNS1_3gpuE5ELNS1_3repE0EEENS1_30default_config_static_selectorELNS0_4arch9wavefront6targetE0EEEvT1_.has_dyn_sized_stack, 0
	.set _ZN7rocprim17ROCPRIM_400000_NS6detail17trampoline_kernelINS0_14default_configENS1_27scan_by_key_config_selectorIj11FixedVectorIiLj2EEEEZZNS1_16scan_by_key_implILNS1_25lookback_scan_determinismE0ELb1ES3_N6thrust23THRUST_200600_302600_NS6detail15normal_iteratorINSB_10device_ptrIjEEEENSD_INSE_IS6_EEEESI_S6_NSB_4plusIvEENSB_8equal_toIvEES6_EE10hipError_tPvRmT2_T3_T4_T5_mT6_T7_P12ihipStream_tbENKUlT_T0_E_clISt17integral_constantIbLb0EES13_EEDaSY_SZ_EUlSY_E_NS1_11comp_targetILNS1_3genE10ELNS1_11target_archE1201ELNS1_3gpuE5ELNS1_3repE0EEENS1_30default_config_static_selectorELNS0_4arch9wavefront6targetE0EEEvT1_.has_recursion, 0
	.set _ZN7rocprim17ROCPRIM_400000_NS6detail17trampoline_kernelINS0_14default_configENS1_27scan_by_key_config_selectorIj11FixedVectorIiLj2EEEEZZNS1_16scan_by_key_implILNS1_25lookback_scan_determinismE0ELb1ES3_N6thrust23THRUST_200600_302600_NS6detail15normal_iteratorINSB_10device_ptrIjEEEENSD_INSE_IS6_EEEESI_S6_NSB_4plusIvEENSB_8equal_toIvEES6_EE10hipError_tPvRmT2_T3_T4_T5_mT6_T7_P12ihipStream_tbENKUlT_T0_E_clISt17integral_constantIbLb0EES13_EEDaSY_SZ_EUlSY_E_NS1_11comp_targetILNS1_3genE10ELNS1_11target_archE1201ELNS1_3gpuE5ELNS1_3repE0EEENS1_30default_config_static_selectorELNS0_4arch9wavefront6targetE0EEEvT1_.has_indirect_call, 0
	.section	.AMDGPU.csdata,"",@progbits
; Kernel info:
; codeLenInByte = 0
; TotalNumSgprs: 0
; NumVgprs: 0
; ScratchSize: 0
; MemoryBound: 0
; FloatMode: 240
; IeeeMode: 1
; LDSByteSize: 0 bytes/workgroup (compile time only)
; SGPRBlocks: 0
; VGPRBlocks: 0
; NumSGPRsForWavesPerEU: 1
; NumVGPRsForWavesPerEU: 1
; NamedBarCnt: 0
; Occupancy: 16
; WaveLimiterHint : 0
; COMPUTE_PGM_RSRC2:SCRATCH_EN: 0
; COMPUTE_PGM_RSRC2:USER_SGPR: 2
; COMPUTE_PGM_RSRC2:TRAP_HANDLER: 0
; COMPUTE_PGM_RSRC2:TGID_X_EN: 1
; COMPUTE_PGM_RSRC2:TGID_Y_EN: 0
; COMPUTE_PGM_RSRC2:TGID_Z_EN: 0
; COMPUTE_PGM_RSRC2:TIDIG_COMP_CNT: 0
	.section	.text._ZN7rocprim17ROCPRIM_400000_NS6detail17trampoline_kernelINS0_14default_configENS1_27scan_by_key_config_selectorIj11FixedVectorIiLj2EEEEZZNS1_16scan_by_key_implILNS1_25lookback_scan_determinismE0ELb1ES3_N6thrust23THRUST_200600_302600_NS6detail15normal_iteratorINSB_10device_ptrIjEEEENSD_INSE_IS6_EEEESI_S6_NSB_4plusIvEENSB_8equal_toIvEES6_EE10hipError_tPvRmT2_T3_T4_T5_mT6_T7_P12ihipStream_tbENKUlT_T0_E_clISt17integral_constantIbLb0EES13_EEDaSY_SZ_EUlSY_E_NS1_11comp_targetILNS1_3genE5ELNS1_11target_archE942ELNS1_3gpuE9ELNS1_3repE0EEENS1_30default_config_static_selectorELNS0_4arch9wavefront6targetE0EEEvT1_,"axG",@progbits,_ZN7rocprim17ROCPRIM_400000_NS6detail17trampoline_kernelINS0_14default_configENS1_27scan_by_key_config_selectorIj11FixedVectorIiLj2EEEEZZNS1_16scan_by_key_implILNS1_25lookback_scan_determinismE0ELb1ES3_N6thrust23THRUST_200600_302600_NS6detail15normal_iteratorINSB_10device_ptrIjEEEENSD_INSE_IS6_EEEESI_S6_NSB_4plusIvEENSB_8equal_toIvEES6_EE10hipError_tPvRmT2_T3_T4_T5_mT6_T7_P12ihipStream_tbENKUlT_T0_E_clISt17integral_constantIbLb0EES13_EEDaSY_SZ_EUlSY_E_NS1_11comp_targetILNS1_3genE5ELNS1_11target_archE942ELNS1_3gpuE9ELNS1_3repE0EEENS1_30default_config_static_selectorELNS0_4arch9wavefront6targetE0EEEvT1_,comdat
	.protected	_ZN7rocprim17ROCPRIM_400000_NS6detail17trampoline_kernelINS0_14default_configENS1_27scan_by_key_config_selectorIj11FixedVectorIiLj2EEEEZZNS1_16scan_by_key_implILNS1_25lookback_scan_determinismE0ELb1ES3_N6thrust23THRUST_200600_302600_NS6detail15normal_iteratorINSB_10device_ptrIjEEEENSD_INSE_IS6_EEEESI_S6_NSB_4plusIvEENSB_8equal_toIvEES6_EE10hipError_tPvRmT2_T3_T4_T5_mT6_T7_P12ihipStream_tbENKUlT_T0_E_clISt17integral_constantIbLb0EES13_EEDaSY_SZ_EUlSY_E_NS1_11comp_targetILNS1_3genE5ELNS1_11target_archE942ELNS1_3gpuE9ELNS1_3repE0EEENS1_30default_config_static_selectorELNS0_4arch9wavefront6targetE0EEEvT1_ ; -- Begin function _ZN7rocprim17ROCPRIM_400000_NS6detail17trampoline_kernelINS0_14default_configENS1_27scan_by_key_config_selectorIj11FixedVectorIiLj2EEEEZZNS1_16scan_by_key_implILNS1_25lookback_scan_determinismE0ELb1ES3_N6thrust23THRUST_200600_302600_NS6detail15normal_iteratorINSB_10device_ptrIjEEEENSD_INSE_IS6_EEEESI_S6_NSB_4plusIvEENSB_8equal_toIvEES6_EE10hipError_tPvRmT2_T3_T4_T5_mT6_T7_P12ihipStream_tbENKUlT_T0_E_clISt17integral_constantIbLb0EES13_EEDaSY_SZ_EUlSY_E_NS1_11comp_targetILNS1_3genE5ELNS1_11target_archE942ELNS1_3gpuE9ELNS1_3repE0EEENS1_30default_config_static_selectorELNS0_4arch9wavefront6targetE0EEEvT1_
	.globl	_ZN7rocprim17ROCPRIM_400000_NS6detail17trampoline_kernelINS0_14default_configENS1_27scan_by_key_config_selectorIj11FixedVectorIiLj2EEEEZZNS1_16scan_by_key_implILNS1_25lookback_scan_determinismE0ELb1ES3_N6thrust23THRUST_200600_302600_NS6detail15normal_iteratorINSB_10device_ptrIjEEEENSD_INSE_IS6_EEEESI_S6_NSB_4plusIvEENSB_8equal_toIvEES6_EE10hipError_tPvRmT2_T3_T4_T5_mT6_T7_P12ihipStream_tbENKUlT_T0_E_clISt17integral_constantIbLb0EES13_EEDaSY_SZ_EUlSY_E_NS1_11comp_targetILNS1_3genE5ELNS1_11target_archE942ELNS1_3gpuE9ELNS1_3repE0EEENS1_30default_config_static_selectorELNS0_4arch9wavefront6targetE0EEEvT1_
	.p2align	8
	.type	_ZN7rocprim17ROCPRIM_400000_NS6detail17trampoline_kernelINS0_14default_configENS1_27scan_by_key_config_selectorIj11FixedVectorIiLj2EEEEZZNS1_16scan_by_key_implILNS1_25lookback_scan_determinismE0ELb1ES3_N6thrust23THRUST_200600_302600_NS6detail15normal_iteratorINSB_10device_ptrIjEEEENSD_INSE_IS6_EEEESI_S6_NSB_4plusIvEENSB_8equal_toIvEES6_EE10hipError_tPvRmT2_T3_T4_T5_mT6_T7_P12ihipStream_tbENKUlT_T0_E_clISt17integral_constantIbLb0EES13_EEDaSY_SZ_EUlSY_E_NS1_11comp_targetILNS1_3genE5ELNS1_11target_archE942ELNS1_3gpuE9ELNS1_3repE0EEENS1_30default_config_static_selectorELNS0_4arch9wavefront6targetE0EEEvT1_,@function
_ZN7rocprim17ROCPRIM_400000_NS6detail17trampoline_kernelINS0_14default_configENS1_27scan_by_key_config_selectorIj11FixedVectorIiLj2EEEEZZNS1_16scan_by_key_implILNS1_25lookback_scan_determinismE0ELb1ES3_N6thrust23THRUST_200600_302600_NS6detail15normal_iteratorINSB_10device_ptrIjEEEENSD_INSE_IS6_EEEESI_S6_NSB_4plusIvEENSB_8equal_toIvEES6_EE10hipError_tPvRmT2_T3_T4_T5_mT6_T7_P12ihipStream_tbENKUlT_T0_E_clISt17integral_constantIbLb0EES13_EEDaSY_SZ_EUlSY_E_NS1_11comp_targetILNS1_3genE5ELNS1_11target_archE942ELNS1_3gpuE9ELNS1_3repE0EEENS1_30default_config_static_selectorELNS0_4arch9wavefront6targetE0EEEvT1_: ; @_ZN7rocprim17ROCPRIM_400000_NS6detail17trampoline_kernelINS0_14default_configENS1_27scan_by_key_config_selectorIj11FixedVectorIiLj2EEEEZZNS1_16scan_by_key_implILNS1_25lookback_scan_determinismE0ELb1ES3_N6thrust23THRUST_200600_302600_NS6detail15normal_iteratorINSB_10device_ptrIjEEEENSD_INSE_IS6_EEEESI_S6_NSB_4plusIvEENSB_8equal_toIvEES6_EE10hipError_tPvRmT2_T3_T4_T5_mT6_T7_P12ihipStream_tbENKUlT_T0_E_clISt17integral_constantIbLb0EES13_EEDaSY_SZ_EUlSY_E_NS1_11comp_targetILNS1_3genE5ELNS1_11target_archE942ELNS1_3gpuE9ELNS1_3repE0EEENS1_30default_config_static_selectorELNS0_4arch9wavefront6targetE0EEEvT1_
; %bb.0:
	.section	.rodata,"a",@progbits
	.p2align	6, 0x0
	.amdhsa_kernel _ZN7rocprim17ROCPRIM_400000_NS6detail17trampoline_kernelINS0_14default_configENS1_27scan_by_key_config_selectorIj11FixedVectorIiLj2EEEEZZNS1_16scan_by_key_implILNS1_25lookback_scan_determinismE0ELb1ES3_N6thrust23THRUST_200600_302600_NS6detail15normal_iteratorINSB_10device_ptrIjEEEENSD_INSE_IS6_EEEESI_S6_NSB_4plusIvEENSB_8equal_toIvEES6_EE10hipError_tPvRmT2_T3_T4_T5_mT6_T7_P12ihipStream_tbENKUlT_T0_E_clISt17integral_constantIbLb0EES13_EEDaSY_SZ_EUlSY_E_NS1_11comp_targetILNS1_3genE5ELNS1_11target_archE942ELNS1_3gpuE9ELNS1_3repE0EEENS1_30default_config_static_selectorELNS0_4arch9wavefront6targetE0EEEvT1_
		.amdhsa_group_segment_fixed_size 0
		.amdhsa_private_segment_fixed_size 0
		.amdhsa_kernarg_size 120
		.amdhsa_user_sgpr_count 2
		.amdhsa_user_sgpr_dispatch_ptr 0
		.amdhsa_user_sgpr_queue_ptr 0
		.amdhsa_user_sgpr_kernarg_segment_ptr 1
		.amdhsa_user_sgpr_dispatch_id 0
		.amdhsa_user_sgpr_kernarg_preload_length 0
		.amdhsa_user_sgpr_kernarg_preload_offset 0
		.amdhsa_user_sgpr_private_segment_size 0
		.amdhsa_wavefront_size32 1
		.amdhsa_uses_dynamic_stack 0
		.amdhsa_enable_private_segment 0
		.amdhsa_system_sgpr_workgroup_id_x 1
		.amdhsa_system_sgpr_workgroup_id_y 0
		.amdhsa_system_sgpr_workgroup_id_z 0
		.amdhsa_system_sgpr_workgroup_info 0
		.amdhsa_system_vgpr_workitem_id 0
		.amdhsa_next_free_vgpr 1
		.amdhsa_next_free_sgpr 1
		.amdhsa_named_barrier_count 0
		.amdhsa_reserve_vcc 0
		.amdhsa_float_round_mode_32 0
		.amdhsa_float_round_mode_16_64 0
		.amdhsa_float_denorm_mode_32 3
		.amdhsa_float_denorm_mode_16_64 3
		.amdhsa_fp16_overflow 0
		.amdhsa_memory_ordered 1
		.amdhsa_forward_progress 1
		.amdhsa_inst_pref_size 0
		.amdhsa_round_robin_scheduling 0
		.amdhsa_exception_fp_ieee_invalid_op 0
		.amdhsa_exception_fp_denorm_src 0
		.amdhsa_exception_fp_ieee_div_zero 0
		.amdhsa_exception_fp_ieee_overflow 0
		.amdhsa_exception_fp_ieee_underflow 0
		.amdhsa_exception_fp_ieee_inexact 0
		.amdhsa_exception_int_div_zero 0
	.end_amdhsa_kernel
	.section	.text._ZN7rocprim17ROCPRIM_400000_NS6detail17trampoline_kernelINS0_14default_configENS1_27scan_by_key_config_selectorIj11FixedVectorIiLj2EEEEZZNS1_16scan_by_key_implILNS1_25lookback_scan_determinismE0ELb1ES3_N6thrust23THRUST_200600_302600_NS6detail15normal_iteratorINSB_10device_ptrIjEEEENSD_INSE_IS6_EEEESI_S6_NSB_4plusIvEENSB_8equal_toIvEES6_EE10hipError_tPvRmT2_T3_T4_T5_mT6_T7_P12ihipStream_tbENKUlT_T0_E_clISt17integral_constantIbLb0EES13_EEDaSY_SZ_EUlSY_E_NS1_11comp_targetILNS1_3genE5ELNS1_11target_archE942ELNS1_3gpuE9ELNS1_3repE0EEENS1_30default_config_static_selectorELNS0_4arch9wavefront6targetE0EEEvT1_,"axG",@progbits,_ZN7rocprim17ROCPRIM_400000_NS6detail17trampoline_kernelINS0_14default_configENS1_27scan_by_key_config_selectorIj11FixedVectorIiLj2EEEEZZNS1_16scan_by_key_implILNS1_25lookback_scan_determinismE0ELb1ES3_N6thrust23THRUST_200600_302600_NS6detail15normal_iteratorINSB_10device_ptrIjEEEENSD_INSE_IS6_EEEESI_S6_NSB_4plusIvEENSB_8equal_toIvEES6_EE10hipError_tPvRmT2_T3_T4_T5_mT6_T7_P12ihipStream_tbENKUlT_T0_E_clISt17integral_constantIbLb0EES13_EEDaSY_SZ_EUlSY_E_NS1_11comp_targetILNS1_3genE5ELNS1_11target_archE942ELNS1_3gpuE9ELNS1_3repE0EEENS1_30default_config_static_selectorELNS0_4arch9wavefront6targetE0EEEvT1_,comdat
.Lfunc_end1995:
	.size	_ZN7rocprim17ROCPRIM_400000_NS6detail17trampoline_kernelINS0_14default_configENS1_27scan_by_key_config_selectorIj11FixedVectorIiLj2EEEEZZNS1_16scan_by_key_implILNS1_25lookback_scan_determinismE0ELb1ES3_N6thrust23THRUST_200600_302600_NS6detail15normal_iteratorINSB_10device_ptrIjEEEENSD_INSE_IS6_EEEESI_S6_NSB_4plusIvEENSB_8equal_toIvEES6_EE10hipError_tPvRmT2_T3_T4_T5_mT6_T7_P12ihipStream_tbENKUlT_T0_E_clISt17integral_constantIbLb0EES13_EEDaSY_SZ_EUlSY_E_NS1_11comp_targetILNS1_3genE5ELNS1_11target_archE942ELNS1_3gpuE9ELNS1_3repE0EEENS1_30default_config_static_selectorELNS0_4arch9wavefront6targetE0EEEvT1_, .Lfunc_end1995-_ZN7rocprim17ROCPRIM_400000_NS6detail17trampoline_kernelINS0_14default_configENS1_27scan_by_key_config_selectorIj11FixedVectorIiLj2EEEEZZNS1_16scan_by_key_implILNS1_25lookback_scan_determinismE0ELb1ES3_N6thrust23THRUST_200600_302600_NS6detail15normal_iteratorINSB_10device_ptrIjEEEENSD_INSE_IS6_EEEESI_S6_NSB_4plusIvEENSB_8equal_toIvEES6_EE10hipError_tPvRmT2_T3_T4_T5_mT6_T7_P12ihipStream_tbENKUlT_T0_E_clISt17integral_constantIbLb0EES13_EEDaSY_SZ_EUlSY_E_NS1_11comp_targetILNS1_3genE5ELNS1_11target_archE942ELNS1_3gpuE9ELNS1_3repE0EEENS1_30default_config_static_selectorELNS0_4arch9wavefront6targetE0EEEvT1_
                                        ; -- End function
	.set _ZN7rocprim17ROCPRIM_400000_NS6detail17trampoline_kernelINS0_14default_configENS1_27scan_by_key_config_selectorIj11FixedVectorIiLj2EEEEZZNS1_16scan_by_key_implILNS1_25lookback_scan_determinismE0ELb1ES3_N6thrust23THRUST_200600_302600_NS6detail15normal_iteratorINSB_10device_ptrIjEEEENSD_INSE_IS6_EEEESI_S6_NSB_4plusIvEENSB_8equal_toIvEES6_EE10hipError_tPvRmT2_T3_T4_T5_mT6_T7_P12ihipStream_tbENKUlT_T0_E_clISt17integral_constantIbLb0EES13_EEDaSY_SZ_EUlSY_E_NS1_11comp_targetILNS1_3genE5ELNS1_11target_archE942ELNS1_3gpuE9ELNS1_3repE0EEENS1_30default_config_static_selectorELNS0_4arch9wavefront6targetE0EEEvT1_.num_vgpr, 0
	.set _ZN7rocprim17ROCPRIM_400000_NS6detail17trampoline_kernelINS0_14default_configENS1_27scan_by_key_config_selectorIj11FixedVectorIiLj2EEEEZZNS1_16scan_by_key_implILNS1_25lookback_scan_determinismE0ELb1ES3_N6thrust23THRUST_200600_302600_NS6detail15normal_iteratorINSB_10device_ptrIjEEEENSD_INSE_IS6_EEEESI_S6_NSB_4plusIvEENSB_8equal_toIvEES6_EE10hipError_tPvRmT2_T3_T4_T5_mT6_T7_P12ihipStream_tbENKUlT_T0_E_clISt17integral_constantIbLb0EES13_EEDaSY_SZ_EUlSY_E_NS1_11comp_targetILNS1_3genE5ELNS1_11target_archE942ELNS1_3gpuE9ELNS1_3repE0EEENS1_30default_config_static_selectorELNS0_4arch9wavefront6targetE0EEEvT1_.num_agpr, 0
	.set _ZN7rocprim17ROCPRIM_400000_NS6detail17trampoline_kernelINS0_14default_configENS1_27scan_by_key_config_selectorIj11FixedVectorIiLj2EEEEZZNS1_16scan_by_key_implILNS1_25lookback_scan_determinismE0ELb1ES3_N6thrust23THRUST_200600_302600_NS6detail15normal_iteratorINSB_10device_ptrIjEEEENSD_INSE_IS6_EEEESI_S6_NSB_4plusIvEENSB_8equal_toIvEES6_EE10hipError_tPvRmT2_T3_T4_T5_mT6_T7_P12ihipStream_tbENKUlT_T0_E_clISt17integral_constantIbLb0EES13_EEDaSY_SZ_EUlSY_E_NS1_11comp_targetILNS1_3genE5ELNS1_11target_archE942ELNS1_3gpuE9ELNS1_3repE0EEENS1_30default_config_static_selectorELNS0_4arch9wavefront6targetE0EEEvT1_.numbered_sgpr, 0
	.set _ZN7rocprim17ROCPRIM_400000_NS6detail17trampoline_kernelINS0_14default_configENS1_27scan_by_key_config_selectorIj11FixedVectorIiLj2EEEEZZNS1_16scan_by_key_implILNS1_25lookback_scan_determinismE0ELb1ES3_N6thrust23THRUST_200600_302600_NS6detail15normal_iteratorINSB_10device_ptrIjEEEENSD_INSE_IS6_EEEESI_S6_NSB_4plusIvEENSB_8equal_toIvEES6_EE10hipError_tPvRmT2_T3_T4_T5_mT6_T7_P12ihipStream_tbENKUlT_T0_E_clISt17integral_constantIbLb0EES13_EEDaSY_SZ_EUlSY_E_NS1_11comp_targetILNS1_3genE5ELNS1_11target_archE942ELNS1_3gpuE9ELNS1_3repE0EEENS1_30default_config_static_selectorELNS0_4arch9wavefront6targetE0EEEvT1_.num_named_barrier, 0
	.set _ZN7rocprim17ROCPRIM_400000_NS6detail17trampoline_kernelINS0_14default_configENS1_27scan_by_key_config_selectorIj11FixedVectorIiLj2EEEEZZNS1_16scan_by_key_implILNS1_25lookback_scan_determinismE0ELb1ES3_N6thrust23THRUST_200600_302600_NS6detail15normal_iteratorINSB_10device_ptrIjEEEENSD_INSE_IS6_EEEESI_S6_NSB_4plusIvEENSB_8equal_toIvEES6_EE10hipError_tPvRmT2_T3_T4_T5_mT6_T7_P12ihipStream_tbENKUlT_T0_E_clISt17integral_constantIbLb0EES13_EEDaSY_SZ_EUlSY_E_NS1_11comp_targetILNS1_3genE5ELNS1_11target_archE942ELNS1_3gpuE9ELNS1_3repE0EEENS1_30default_config_static_selectorELNS0_4arch9wavefront6targetE0EEEvT1_.private_seg_size, 0
	.set _ZN7rocprim17ROCPRIM_400000_NS6detail17trampoline_kernelINS0_14default_configENS1_27scan_by_key_config_selectorIj11FixedVectorIiLj2EEEEZZNS1_16scan_by_key_implILNS1_25lookback_scan_determinismE0ELb1ES3_N6thrust23THRUST_200600_302600_NS6detail15normal_iteratorINSB_10device_ptrIjEEEENSD_INSE_IS6_EEEESI_S6_NSB_4plusIvEENSB_8equal_toIvEES6_EE10hipError_tPvRmT2_T3_T4_T5_mT6_T7_P12ihipStream_tbENKUlT_T0_E_clISt17integral_constantIbLb0EES13_EEDaSY_SZ_EUlSY_E_NS1_11comp_targetILNS1_3genE5ELNS1_11target_archE942ELNS1_3gpuE9ELNS1_3repE0EEENS1_30default_config_static_selectorELNS0_4arch9wavefront6targetE0EEEvT1_.uses_vcc, 0
	.set _ZN7rocprim17ROCPRIM_400000_NS6detail17trampoline_kernelINS0_14default_configENS1_27scan_by_key_config_selectorIj11FixedVectorIiLj2EEEEZZNS1_16scan_by_key_implILNS1_25lookback_scan_determinismE0ELb1ES3_N6thrust23THRUST_200600_302600_NS6detail15normal_iteratorINSB_10device_ptrIjEEEENSD_INSE_IS6_EEEESI_S6_NSB_4plusIvEENSB_8equal_toIvEES6_EE10hipError_tPvRmT2_T3_T4_T5_mT6_T7_P12ihipStream_tbENKUlT_T0_E_clISt17integral_constantIbLb0EES13_EEDaSY_SZ_EUlSY_E_NS1_11comp_targetILNS1_3genE5ELNS1_11target_archE942ELNS1_3gpuE9ELNS1_3repE0EEENS1_30default_config_static_selectorELNS0_4arch9wavefront6targetE0EEEvT1_.uses_flat_scratch, 0
	.set _ZN7rocprim17ROCPRIM_400000_NS6detail17trampoline_kernelINS0_14default_configENS1_27scan_by_key_config_selectorIj11FixedVectorIiLj2EEEEZZNS1_16scan_by_key_implILNS1_25lookback_scan_determinismE0ELb1ES3_N6thrust23THRUST_200600_302600_NS6detail15normal_iteratorINSB_10device_ptrIjEEEENSD_INSE_IS6_EEEESI_S6_NSB_4plusIvEENSB_8equal_toIvEES6_EE10hipError_tPvRmT2_T3_T4_T5_mT6_T7_P12ihipStream_tbENKUlT_T0_E_clISt17integral_constantIbLb0EES13_EEDaSY_SZ_EUlSY_E_NS1_11comp_targetILNS1_3genE5ELNS1_11target_archE942ELNS1_3gpuE9ELNS1_3repE0EEENS1_30default_config_static_selectorELNS0_4arch9wavefront6targetE0EEEvT1_.has_dyn_sized_stack, 0
	.set _ZN7rocprim17ROCPRIM_400000_NS6detail17trampoline_kernelINS0_14default_configENS1_27scan_by_key_config_selectorIj11FixedVectorIiLj2EEEEZZNS1_16scan_by_key_implILNS1_25lookback_scan_determinismE0ELb1ES3_N6thrust23THRUST_200600_302600_NS6detail15normal_iteratorINSB_10device_ptrIjEEEENSD_INSE_IS6_EEEESI_S6_NSB_4plusIvEENSB_8equal_toIvEES6_EE10hipError_tPvRmT2_T3_T4_T5_mT6_T7_P12ihipStream_tbENKUlT_T0_E_clISt17integral_constantIbLb0EES13_EEDaSY_SZ_EUlSY_E_NS1_11comp_targetILNS1_3genE5ELNS1_11target_archE942ELNS1_3gpuE9ELNS1_3repE0EEENS1_30default_config_static_selectorELNS0_4arch9wavefront6targetE0EEEvT1_.has_recursion, 0
	.set _ZN7rocprim17ROCPRIM_400000_NS6detail17trampoline_kernelINS0_14default_configENS1_27scan_by_key_config_selectorIj11FixedVectorIiLj2EEEEZZNS1_16scan_by_key_implILNS1_25lookback_scan_determinismE0ELb1ES3_N6thrust23THRUST_200600_302600_NS6detail15normal_iteratorINSB_10device_ptrIjEEEENSD_INSE_IS6_EEEESI_S6_NSB_4plusIvEENSB_8equal_toIvEES6_EE10hipError_tPvRmT2_T3_T4_T5_mT6_T7_P12ihipStream_tbENKUlT_T0_E_clISt17integral_constantIbLb0EES13_EEDaSY_SZ_EUlSY_E_NS1_11comp_targetILNS1_3genE5ELNS1_11target_archE942ELNS1_3gpuE9ELNS1_3repE0EEENS1_30default_config_static_selectorELNS0_4arch9wavefront6targetE0EEEvT1_.has_indirect_call, 0
	.section	.AMDGPU.csdata,"",@progbits
; Kernel info:
; codeLenInByte = 0
; TotalNumSgprs: 0
; NumVgprs: 0
; ScratchSize: 0
; MemoryBound: 0
; FloatMode: 240
; IeeeMode: 1
; LDSByteSize: 0 bytes/workgroup (compile time only)
; SGPRBlocks: 0
; VGPRBlocks: 0
; NumSGPRsForWavesPerEU: 1
; NumVGPRsForWavesPerEU: 1
; NamedBarCnt: 0
; Occupancy: 16
; WaveLimiterHint : 0
; COMPUTE_PGM_RSRC2:SCRATCH_EN: 0
; COMPUTE_PGM_RSRC2:USER_SGPR: 2
; COMPUTE_PGM_RSRC2:TRAP_HANDLER: 0
; COMPUTE_PGM_RSRC2:TGID_X_EN: 1
; COMPUTE_PGM_RSRC2:TGID_Y_EN: 0
; COMPUTE_PGM_RSRC2:TGID_Z_EN: 0
; COMPUTE_PGM_RSRC2:TIDIG_COMP_CNT: 0
	.section	.text._ZN7rocprim17ROCPRIM_400000_NS6detail17trampoline_kernelINS0_14default_configENS1_27scan_by_key_config_selectorIj11FixedVectorIiLj2EEEEZZNS1_16scan_by_key_implILNS1_25lookback_scan_determinismE0ELb1ES3_N6thrust23THRUST_200600_302600_NS6detail15normal_iteratorINSB_10device_ptrIjEEEENSD_INSE_IS6_EEEESI_S6_NSB_4plusIvEENSB_8equal_toIvEES6_EE10hipError_tPvRmT2_T3_T4_T5_mT6_T7_P12ihipStream_tbENKUlT_T0_E_clISt17integral_constantIbLb0EES13_EEDaSY_SZ_EUlSY_E_NS1_11comp_targetILNS1_3genE4ELNS1_11target_archE910ELNS1_3gpuE8ELNS1_3repE0EEENS1_30default_config_static_selectorELNS0_4arch9wavefront6targetE0EEEvT1_,"axG",@progbits,_ZN7rocprim17ROCPRIM_400000_NS6detail17trampoline_kernelINS0_14default_configENS1_27scan_by_key_config_selectorIj11FixedVectorIiLj2EEEEZZNS1_16scan_by_key_implILNS1_25lookback_scan_determinismE0ELb1ES3_N6thrust23THRUST_200600_302600_NS6detail15normal_iteratorINSB_10device_ptrIjEEEENSD_INSE_IS6_EEEESI_S6_NSB_4plusIvEENSB_8equal_toIvEES6_EE10hipError_tPvRmT2_T3_T4_T5_mT6_T7_P12ihipStream_tbENKUlT_T0_E_clISt17integral_constantIbLb0EES13_EEDaSY_SZ_EUlSY_E_NS1_11comp_targetILNS1_3genE4ELNS1_11target_archE910ELNS1_3gpuE8ELNS1_3repE0EEENS1_30default_config_static_selectorELNS0_4arch9wavefront6targetE0EEEvT1_,comdat
	.protected	_ZN7rocprim17ROCPRIM_400000_NS6detail17trampoline_kernelINS0_14default_configENS1_27scan_by_key_config_selectorIj11FixedVectorIiLj2EEEEZZNS1_16scan_by_key_implILNS1_25lookback_scan_determinismE0ELb1ES3_N6thrust23THRUST_200600_302600_NS6detail15normal_iteratorINSB_10device_ptrIjEEEENSD_INSE_IS6_EEEESI_S6_NSB_4plusIvEENSB_8equal_toIvEES6_EE10hipError_tPvRmT2_T3_T4_T5_mT6_T7_P12ihipStream_tbENKUlT_T0_E_clISt17integral_constantIbLb0EES13_EEDaSY_SZ_EUlSY_E_NS1_11comp_targetILNS1_3genE4ELNS1_11target_archE910ELNS1_3gpuE8ELNS1_3repE0EEENS1_30default_config_static_selectorELNS0_4arch9wavefront6targetE0EEEvT1_ ; -- Begin function _ZN7rocprim17ROCPRIM_400000_NS6detail17trampoline_kernelINS0_14default_configENS1_27scan_by_key_config_selectorIj11FixedVectorIiLj2EEEEZZNS1_16scan_by_key_implILNS1_25lookback_scan_determinismE0ELb1ES3_N6thrust23THRUST_200600_302600_NS6detail15normal_iteratorINSB_10device_ptrIjEEEENSD_INSE_IS6_EEEESI_S6_NSB_4plusIvEENSB_8equal_toIvEES6_EE10hipError_tPvRmT2_T3_T4_T5_mT6_T7_P12ihipStream_tbENKUlT_T0_E_clISt17integral_constantIbLb0EES13_EEDaSY_SZ_EUlSY_E_NS1_11comp_targetILNS1_3genE4ELNS1_11target_archE910ELNS1_3gpuE8ELNS1_3repE0EEENS1_30default_config_static_selectorELNS0_4arch9wavefront6targetE0EEEvT1_
	.globl	_ZN7rocprim17ROCPRIM_400000_NS6detail17trampoline_kernelINS0_14default_configENS1_27scan_by_key_config_selectorIj11FixedVectorIiLj2EEEEZZNS1_16scan_by_key_implILNS1_25lookback_scan_determinismE0ELb1ES3_N6thrust23THRUST_200600_302600_NS6detail15normal_iteratorINSB_10device_ptrIjEEEENSD_INSE_IS6_EEEESI_S6_NSB_4plusIvEENSB_8equal_toIvEES6_EE10hipError_tPvRmT2_T3_T4_T5_mT6_T7_P12ihipStream_tbENKUlT_T0_E_clISt17integral_constantIbLb0EES13_EEDaSY_SZ_EUlSY_E_NS1_11comp_targetILNS1_3genE4ELNS1_11target_archE910ELNS1_3gpuE8ELNS1_3repE0EEENS1_30default_config_static_selectorELNS0_4arch9wavefront6targetE0EEEvT1_
	.p2align	8
	.type	_ZN7rocprim17ROCPRIM_400000_NS6detail17trampoline_kernelINS0_14default_configENS1_27scan_by_key_config_selectorIj11FixedVectorIiLj2EEEEZZNS1_16scan_by_key_implILNS1_25lookback_scan_determinismE0ELb1ES3_N6thrust23THRUST_200600_302600_NS6detail15normal_iteratorINSB_10device_ptrIjEEEENSD_INSE_IS6_EEEESI_S6_NSB_4plusIvEENSB_8equal_toIvEES6_EE10hipError_tPvRmT2_T3_T4_T5_mT6_T7_P12ihipStream_tbENKUlT_T0_E_clISt17integral_constantIbLb0EES13_EEDaSY_SZ_EUlSY_E_NS1_11comp_targetILNS1_3genE4ELNS1_11target_archE910ELNS1_3gpuE8ELNS1_3repE0EEENS1_30default_config_static_selectorELNS0_4arch9wavefront6targetE0EEEvT1_,@function
_ZN7rocprim17ROCPRIM_400000_NS6detail17trampoline_kernelINS0_14default_configENS1_27scan_by_key_config_selectorIj11FixedVectorIiLj2EEEEZZNS1_16scan_by_key_implILNS1_25lookback_scan_determinismE0ELb1ES3_N6thrust23THRUST_200600_302600_NS6detail15normal_iteratorINSB_10device_ptrIjEEEENSD_INSE_IS6_EEEESI_S6_NSB_4plusIvEENSB_8equal_toIvEES6_EE10hipError_tPvRmT2_T3_T4_T5_mT6_T7_P12ihipStream_tbENKUlT_T0_E_clISt17integral_constantIbLb0EES13_EEDaSY_SZ_EUlSY_E_NS1_11comp_targetILNS1_3genE4ELNS1_11target_archE910ELNS1_3gpuE8ELNS1_3repE0EEENS1_30default_config_static_selectorELNS0_4arch9wavefront6targetE0EEEvT1_: ; @_ZN7rocprim17ROCPRIM_400000_NS6detail17trampoline_kernelINS0_14default_configENS1_27scan_by_key_config_selectorIj11FixedVectorIiLj2EEEEZZNS1_16scan_by_key_implILNS1_25lookback_scan_determinismE0ELb1ES3_N6thrust23THRUST_200600_302600_NS6detail15normal_iteratorINSB_10device_ptrIjEEEENSD_INSE_IS6_EEEESI_S6_NSB_4plusIvEENSB_8equal_toIvEES6_EE10hipError_tPvRmT2_T3_T4_T5_mT6_T7_P12ihipStream_tbENKUlT_T0_E_clISt17integral_constantIbLb0EES13_EEDaSY_SZ_EUlSY_E_NS1_11comp_targetILNS1_3genE4ELNS1_11target_archE910ELNS1_3gpuE8ELNS1_3repE0EEENS1_30default_config_static_selectorELNS0_4arch9wavefront6targetE0EEEvT1_
; %bb.0:
	.section	.rodata,"a",@progbits
	.p2align	6, 0x0
	.amdhsa_kernel _ZN7rocprim17ROCPRIM_400000_NS6detail17trampoline_kernelINS0_14default_configENS1_27scan_by_key_config_selectorIj11FixedVectorIiLj2EEEEZZNS1_16scan_by_key_implILNS1_25lookback_scan_determinismE0ELb1ES3_N6thrust23THRUST_200600_302600_NS6detail15normal_iteratorINSB_10device_ptrIjEEEENSD_INSE_IS6_EEEESI_S6_NSB_4plusIvEENSB_8equal_toIvEES6_EE10hipError_tPvRmT2_T3_T4_T5_mT6_T7_P12ihipStream_tbENKUlT_T0_E_clISt17integral_constantIbLb0EES13_EEDaSY_SZ_EUlSY_E_NS1_11comp_targetILNS1_3genE4ELNS1_11target_archE910ELNS1_3gpuE8ELNS1_3repE0EEENS1_30default_config_static_selectorELNS0_4arch9wavefront6targetE0EEEvT1_
		.amdhsa_group_segment_fixed_size 0
		.amdhsa_private_segment_fixed_size 0
		.amdhsa_kernarg_size 120
		.amdhsa_user_sgpr_count 2
		.amdhsa_user_sgpr_dispatch_ptr 0
		.amdhsa_user_sgpr_queue_ptr 0
		.amdhsa_user_sgpr_kernarg_segment_ptr 1
		.amdhsa_user_sgpr_dispatch_id 0
		.amdhsa_user_sgpr_kernarg_preload_length 0
		.amdhsa_user_sgpr_kernarg_preload_offset 0
		.amdhsa_user_sgpr_private_segment_size 0
		.amdhsa_wavefront_size32 1
		.amdhsa_uses_dynamic_stack 0
		.amdhsa_enable_private_segment 0
		.amdhsa_system_sgpr_workgroup_id_x 1
		.amdhsa_system_sgpr_workgroup_id_y 0
		.amdhsa_system_sgpr_workgroup_id_z 0
		.amdhsa_system_sgpr_workgroup_info 0
		.amdhsa_system_vgpr_workitem_id 0
		.amdhsa_next_free_vgpr 1
		.amdhsa_next_free_sgpr 1
		.amdhsa_named_barrier_count 0
		.amdhsa_reserve_vcc 0
		.amdhsa_float_round_mode_32 0
		.amdhsa_float_round_mode_16_64 0
		.amdhsa_float_denorm_mode_32 3
		.amdhsa_float_denorm_mode_16_64 3
		.amdhsa_fp16_overflow 0
		.amdhsa_memory_ordered 1
		.amdhsa_forward_progress 1
		.amdhsa_inst_pref_size 0
		.amdhsa_round_robin_scheduling 0
		.amdhsa_exception_fp_ieee_invalid_op 0
		.amdhsa_exception_fp_denorm_src 0
		.amdhsa_exception_fp_ieee_div_zero 0
		.amdhsa_exception_fp_ieee_overflow 0
		.amdhsa_exception_fp_ieee_underflow 0
		.amdhsa_exception_fp_ieee_inexact 0
		.amdhsa_exception_int_div_zero 0
	.end_amdhsa_kernel
	.section	.text._ZN7rocprim17ROCPRIM_400000_NS6detail17trampoline_kernelINS0_14default_configENS1_27scan_by_key_config_selectorIj11FixedVectorIiLj2EEEEZZNS1_16scan_by_key_implILNS1_25lookback_scan_determinismE0ELb1ES3_N6thrust23THRUST_200600_302600_NS6detail15normal_iteratorINSB_10device_ptrIjEEEENSD_INSE_IS6_EEEESI_S6_NSB_4plusIvEENSB_8equal_toIvEES6_EE10hipError_tPvRmT2_T3_T4_T5_mT6_T7_P12ihipStream_tbENKUlT_T0_E_clISt17integral_constantIbLb0EES13_EEDaSY_SZ_EUlSY_E_NS1_11comp_targetILNS1_3genE4ELNS1_11target_archE910ELNS1_3gpuE8ELNS1_3repE0EEENS1_30default_config_static_selectorELNS0_4arch9wavefront6targetE0EEEvT1_,"axG",@progbits,_ZN7rocprim17ROCPRIM_400000_NS6detail17trampoline_kernelINS0_14default_configENS1_27scan_by_key_config_selectorIj11FixedVectorIiLj2EEEEZZNS1_16scan_by_key_implILNS1_25lookback_scan_determinismE0ELb1ES3_N6thrust23THRUST_200600_302600_NS6detail15normal_iteratorINSB_10device_ptrIjEEEENSD_INSE_IS6_EEEESI_S6_NSB_4plusIvEENSB_8equal_toIvEES6_EE10hipError_tPvRmT2_T3_T4_T5_mT6_T7_P12ihipStream_tbENKUlT_T0_E_clISt17integral_constantIbLb0EES13_EEDaSY_SZ_EUlSY_E_NS1_11comp_targetILNS1_3genE4ELNS1_11target_archE910ELNS1_3gpuE8ELNS1_3repE0EEENS1_30default_config_static_selectorELNS0_4arch9wavefront6targetE0EEEvT1_,comdat
.Lfunc_end1996:
	.size	_ZN7rocprim17ROCPRIM_400000_NS6detail17trampoline_kernelINS0_14default_configENS1_27scan_by_key_config_selectorIj11FixedVectorIiLj2EEEEZZNS1_16scan_by_key_implILNS1_25lookback_scan_determinismE0ELb1ES3_N6thrust23THRUST_200600_302600_NS6detail15normal_iteratorINSB_10device_ptrIjEEEENSD_INSE_IS6_EEEESI_S6_NSB_4plusIvEENSB_8equal_toIvEES6_EE10hipError_tPvRmT2_T3_T4_T5_mT6_T7_P12ihipStream_tbENKUlT_T0_E_clISt17integral_constantIbLb0EES13_EEDaSY_SZ_EUlSY_E_NS1_11comp_targetILNS1_3genE4ELNS1_11target_archE910ELNS1_3gpuE8ELNS1_3repE0EEENS1_30default_config_static_selectorELNS0_4arch9wavefront6targetE0EEEvT1_, .Lfunc_end1996-_ZN7rocprim17ROCPRIM_400000_NS6detail17trampoline_kernelINS0_14default_configENS1_27scan_by_key_config_selectorIj11FixedVectorIiLj2EEEEZZNS1_16scan_by_key_implILNS1_25lookback_scan_determinismE0ELb1ES3_N6thrust23THRUST_200600_302600_NS6detail15normal_iteratorINSB_10device_ptrIjEEEENSD_INSE_IS6_EEEESI_S6_NSB_4plusIvEENSB_8equal_toIvEES6_EE10hipError_tPvRmT2_T3_T4_T5_mT6_T7_P12ihipStream_tbENKUlT_T0_E_clISt17integral_constantIbLb0EES13_EEDaSY_SZ_EUlSY_E_NS1_11comp_targetILNS1_3genE4ELNS1_11target_archE910ELNS1_3gpuE8ELNS1_3repE0EEENS1_30default_config_static_selectorELNS0_4arch9wavefront6targetE0EEEvT1_
                                        ; -- End function
	.set _ZN7rocprim17ROCPRIM_400000_NS6detail17trampoline_kernelINS0_14default_configENS1_27scan_by_key_config_selectorIj11FixedVectorIiLj2EEEEZZNS1_16scan_by_key_implILNS1_25lookback_scan_determinismE0ELb1ES3_N6thrust23THRUST_200600_302600_NS6detail15normal_iteratorINSB_10device_ptrIjEEEENSD_INSE_IS6_EEEESI_S6_NSB_4plusIvEENSB_8equal_toIvEES6_EE10hipError_tPvRmT2_T3_T4_T5_mT6_T7_P12ihipStream_tbENKUlT_T0_E_clISt17integral_constantIbLb0EES13_EEDaSY_SZ_EUlSY_E_NS1_11comp_targetILNS1_3genE4ELNS1_11target_archE910ELNS1_3gpuE8ELNS1_3repE0EEENS1_30default_config_static_selectorELNS0_4arch9wavefront6targetE0EEEvT1_.num_vgpr, 0
	.set _ZN7rocprim17ROCPRIM_400000_NS6detail17trampoline_kernelINS0_14default_configENS1_27scan_by_key_config_selectorIj11FixedVectorIiLj2EEEEZZNS1_16scan_by_key_implILNS1_25lookback_scan_determinismE0ELb1ES3_N6thrust23THRUST_200600_302600_NS6detail15normal_iteratorINSB_10device_ptrIjEEEENSD_INSE_IS6_EEEESI_S6_NSB_4plusIvEENSB_8equal_toIvEES6_EE10hipError_tPvRmT2_T3_T4_T5_mT6_T7_P12ihipStream_tbENKUlT_T0_E_clISt17integral_constantIbLb0EES13_EEDaSY_SZ_EUlSY_E_NS1_11comp_targetILNS1_3genE4ELNS1_11target_archE910ELNS1_3gpuE8ELNS1_3repE0EEENS1_30default_config_static_selectorELNS0_4arch9wavefront6targetE0EEEvT1_.num_agpr, 0
	.set _ZN7rocprim17ROCPRIM_400000_NS6detail17trampoline_kernelINS0_14default_configENS1_27scan_by_key_config_selectorIj11FixedVectorIiLj2EEEEZZNS1_16scan_by_key_implILNS1_25lookback_scan_determinismE0ELb1ES3_N6thrust23THRUST_200600_302600_NS6detail15normal_iteratorINSB_10device_ptrIjEEEENSD_INSE_IS6_EEEESI_S6_NSB_4plusIvEENSB_8equal_toIvEES6_EE10hipError_tPvRmT2_T3_T4_T5_mT6_T7_P12ihipStream_tbENKUlT_T0_E_clISt17integral_constantIbLb0EES13_EEDaSY_SZ_EUlSY_E_NS1_11comp_targetILNS1_3genE4ELNS1_11target_archE910ELNS1_3gpuE8ELNS1_3repE0EEENS1_30default_config_static_selectorELNS0_4arch9wavefront6targetE0EEEvT1_.numbered_sgpr, 0
	.set _ZN7rocprim17ROCPRIM_400000_NS6detail17trampoline_kernelINS0_14default_configENS1_27scan_by_key_config_selectorIj11FixedVectorIiLj2EEEEZZNS1_16scan_by_key_implILNS1_25lookback_scan_determinismE0ELb1ES3_N6thrust23THRUST_200600_302600_NS6detail15normal_iteratorINSB_10device_ptrIjEEEENSD_INSE_IS6_EEEESI_S6_NSB_4plusIvEENSB_8equal_toIvEES6_EE10hipError_tPvRmT2_T3_T4_T5_mT6_T7_P12ihipStream_tbENKUlT_T0_E_clISt17integral_constantIbLb0EES13_EEDaSY_SZ_EUlSY_E_NS1_11comp_targetILNS1_3genE4ELNS1_11target_archE910ELNS1_3gpuE8ELNS1_3repE0EEENS1_30default_config_static_selectorELNS0_4arch9wavefront6targetE0EEEvT1_.num_named_barrier, 0
	.set _ZN7rocprim17ROCPRIM_400000_NS6detail17trampoline_kernelINS0_14default_configENS1_27scan_by_key_config_selectorIj11FixedVectorIiLj2EEEEZZNS1_16scan_by_key_implILNS1_25lookback_scan_determinismE0ELb1ES3_N6thrust23THRUST_200600_302600_NS6detail15normal_iteratorINSB_10device_ptrIjEEEENSD_INSE_IS6_EEEESI_S6_NSB_4plusIvEENSB_8equal_toIvEES6_EE10hipError_tPvRmT2_T3_T4_T5_mT6_T7_P12ihipStream_tbENKUlT_T0_E_clISt17integral_constantIbLb0EES13_EEDaSY_SZ_EUlSY_E_NS1_11comp_targetILNS1_3genE4ELNS1_11target_archE910ELNS1_3gpuE8ELNS1_3repE0EEENS1_30default_config_static_selectorELNS0_4arch9wavefront6targetE0EEEvT1_.private_seg_size, 0
	.set _ZN7rocprim17ROCPRIM_400000_NS6detail17trampoline_kernelINS0_14default_configENS1_27scan_by_key_config_selectorIj11FixedVectorIiLj2EEEEZZNS1_16scan_by_key_implILNS1_25lookback_scan_determinismE0ELb1ES3_N6thrust23THRUST_200600_302600_NS6detail15normal_iteratorINSB_10device_ptrIjEEEENSD_INSE_IS6_EEEESI_S6_NSB_4plusIvEENSB_8equal_toIvEES6_EE10hipError_tPvRmT2_T3_T4_T5_mT6_T7_P12ihipStream_tbENKUlT_T0_E_clISt17integral_constantIbLb0EES13_EEDaSY_SZ_EUlSY_E_NS1_11comp_targetILNS1_3genE4ELNS1_11target_archE910ELNS1_3gpuE8ELNS1_3repE0EEENS1_30default_config_static_selectorELNS0_4arch9wavefront6targetE0EEEvT1_.uses_vcc, 0
	.set _ZN7rocprim17ROCPRIM_400000_NS6detail17trampoline_kernelINS0_14default_configENS1_27scan_by_key_config_selectorIj11FixedVectorIiLj2EEEEZZNS1_16scan_by_key_implILNS1_25lookback_scan_determinismE0ELb1ES3_N6thrust23THRUST_200600_302600_NS6detail15normal_iteratorINSB_10device_ptrIjEEEENSD_INSE_IS6_EEEESI_S6_NSB_4plusIvEENSB_8equal_toIvEES6_EE10hipError_tPvRmT2_T3_T4_T5_mT6_T7_P12ihipStream_tbENKUlT_T0_E_clISt17integral_constantIbLb0EES13_EEDaSY_SZ_EUlSY_E_NS1_11comp_targetILNS1_3genE4ELNS1_11target_archE910ELNS1_3gpuE8ELNS1_3repE0EEENS1_30default_config_static_selectorELNS0_4arch9wavefront6targetE0EEEvT1_.uses_flat_scratch, 0
	.set _ZN7rocprim17ROCPRIM_400000_NS6detail17trampoline_kernelINS0_14default_configENS1_27scan_by_key_config_selectorIj11FixedVectorIiLj2EEEEZZNS1_16scan_by_key_implILNS1_25lookback_scan_determinismE0ELb1ES3_N6thrust23THRUST_200600_302600_NS6detail15normal_iteratorINSB_10device_ptrIjEEEENSD_INSE_IS6_EEEESI_S6_NSB_4plusIvEENSB_8equal_toIvEES6_EE10hipError_tPvRmT2_T3_T4_T5_mT6_T7_P12ihipStream_tbENKUlT_T0_E_clISt17integral_constantIbLb0EES13_EEDaSY_SZ_EUlSY_E_NS1_11comp_targetILNS1_3genE4ELNS1_11target_archE910ELNS1_3gpuE8ELNS1_3repE0EEENS1_30default_config_static_selectorELNS0_4arch9wavefront6targetE0EEEvT1_.has_dyn_sized_stack, 0
	.set _ZN7rocprim17ROCPRIM_400000_NS6detail17trampoline_kernelINS0_14default_configENS1_27scan_by_key_config_selectorIj11FixedVectorIiLj2EEEEZZNS1_16scan_by_key_implILNS1_25lookback_scan_determinismE0ELb1ES3_N6thrust23THRUST_200600_302600_NS6detail15normal_iteratorINSB_10device_ptrIjEEEENSD_INSE_IS6_EEEESI_S6_NSB_4plusIvEENSB_8equal_toIvEES6_EE10hipError_tPvRmT2_T3_T4_T5_mT6_T7_P12ihipStream_tbENKUlT_T0_E_clISt17integral_constantIbLb0EES13_EEDaSY_SZ_EUlSY_E_NS1_11comp_targetILNS1_3genE4ELNS1_11target_archE910ELNS1_3gpuE8ELNS1_3repE0EEENS1_30default_config_static_selectorELNS0_4arch9wavefront6targetE0EEEvT1_.has_recursion, 0
	.set _ZN7rocprim17ROCPRIM_400000_NS6detail17trampoline_kernelINS0_14default_configENS1_27scan_by_key_config_selectorIj11FixedVectorIiLj2EEEEZZNS1_16scan_by_key_implILNS1_25lookback_scan_determinismE0ELb1ES3_N6thrust23THRUST_200600_302600_NS6detail15normal_iteratorINSB_10device_ptrIjEEEENSD_INSE_IS6_EEEESI_S6_NSB_4plusIvEENSB_8equal_toIvEES6_EE10hipError_tPvRmT2_T3_T4_T5_mT6_T7_P12ihipStream_tbENKUlT_T0_E_clISt17integral_constantIbLb0EES13_EEDaSY_SZ_EUlSY_E_NS1_11comp_targetILNS1_3genE4ELNS1_11target_archE910ELNS1_3gpuE8ELNS1_3repE0EEENS1_30default_config_static_selectorELNS0_4arch9wavefront6targetE0EEEvT1_.has_indirect_call, 0
	.section	.AMDGPU.csdata,"",@progbits
; Kernel info:
; codeLenInByte = 0
; TotalNumSgprs: 0
; NumVgprs: 0
; ScratchSize: 0
; MemoryBound: 0
; FloatMode: 240
; IeeeMode: 1
; LDSByteSize: 0 bytes/workgroup (compile time only)
; SGPRBlocks: 0
; VGPRBlocks: 0
; NumSGPRsForWavesPerEU: 1
; NumVGPRsForWavesPerEU: 1
; NamedBarCnt: 0
; Occupancy: 16
; WaveLimiterHint : 0
; COMPUTE_PGM_RSRC2:SCRATCH_EN: 0
; COMPUTE_PGM_RSRC2:USER_SGPR: 2
; COMPUTE_PGM_RSRC2:TRAP_HANDLER: 0
; COMPUTE_PGM_RSRC2:TGID_X_EN: 1
; COMPUTE_PGM_RSRC2:TGID_Y_EN: 0
; COMPUTE_PGM_RSRC2:TGID_Z_EN: 0
; COMPUTE_PGM_RSRC2:TIDIG_COMP_CNT: 0
	.section	.text._ZN7rocprim17ROCPRIM_400000_NS6detail17trampoline_kernelINS0_14default_configENS1_27scan_by_key_config_selectorIj11FixedVectorIiLj2EEEEZZNS1_16scan_by_key_implILNS1_25lookback_scan_determinismE0ELb1ES3_N6thrust23THRUST_200600_302600_NS6detail15normal_iteratorINSB_10device_ptrIjEEEENSD_INSE_IS6_EEEESI_S6_NSB_4plusIvEENSB_8equal_toIvEES6_EE10hipError_tPvRmT2_T3_T4_T5_mT6_T7_P12ihipStream_tbENKUlT_T0_E_clISt17integral_constantIbLb0EES13_EEDaSY_SZ_EUlSY_E_NS1_11comp_targetILNS1_3genE3ELNS1_11target_archE908ELNS1_3gpuE7ELNS1_3repE0EEENS1_30default_config_static_selectorELNS0_4arch9wavefront6targetE0EEEvT1_,"axG",@progbits,_ZN7rocprim17ROCPRIM_400000_NS6detail17trampoline_kernelINS0_14default_configENS1_27scan_by_key_config_selectorIj11FixedVectorIiLj2EEEEZZNS1_16scan_by_key_implILNS1_25lookback_scan_determinismE0ELb1ES3_N6thrust23THRUST_200600_302600_NS6detail15normal_iteratorINSB_10device_ptrIjEEEENSD_INSE_IS6_EEEESI_S6_NSB_4plusIvEENSB_8equal_toIvEES6_EE10hipError_tPvRmT2_T3_T4_T5_mT6_T7_P12ihipStream_tbENKUlT_T0_E_clISt17integral_constantIbLb0EES13_EEDaSY_SZ_EUlSY_E_NS1_11comp_targetILNS1_3genE3ELNS1_11target_archE908ELNS1_3gpuE7ELNS1_3repE0EEENS1_30default_config_static_selectorELNS0_4arch9wavefront6targetE0EEEvT1_,comdat
	.protected	_ZN7rocprim17ROCPRIM_400000_NS6detail17trampoline_kernelINS0_14default_configENS1_27scan_by_key_config_selectorIj11FixedVectorIiLj2EEEEZZNS1_16scan_by_key_implILNS1_25lookback_scan_determinismE0ELb1ES3_N6thrust23THRUST_200600_302600_NS6detail15normal_iteratorINSB_10device_ptrIjEEEENSD_INSE_IS6_EEEESI_S6_NSB_4plusIvEENSB_8equal_toIvEES6_EE10hipError_tPvRmT2_T3_T4_T5_mT6_T7_P12ihipStream_tbENKUlT_T0_E_clISt17integral_constantIbLb0EES13_EEDaSY_SZ_EUlSY_E_NS1_11comp_targetILNS1_3genE3ELNS1_11target_archE908ELNS1_3gpuE7ELNS1_3repE0EEENS1_30default_config_static_selectorELNS0_4arch9wavefront6targetE0EEEvT1_ ; -- Begin function _ZN7rocprim17ROCPRIM_400000_NS6detail17trampoline_kernelINS0_14default_configENS1_27scan_by_key_config_selectorIj11FixedVectorIiLj2EEEEZZNS1_16scan_by_key_implILNS1_25lookback_scan_determinismE0ELb1ES3_N6thrust23THRUST_200600_302600_NS6detail15normal_iteratorINSB_10device_ptrIjEEEENSD_INSE_IS6_EEEESI_S6_NSB_4plusIvEENSB_8equal_toIvEES6_EE10hipError_tPvRmT2_T3_T4_T5_mT6_T7_P12ihipStream_tbENKUlT_T0_E_clISt17integral_constantIbLb0EES13_EEDaSY_SZ_EUlSY_E_NS1_11comp_targetILNS1_3genE3ELNS1_11target_archE908ELNS1_3gpuE7ELNS1_3repE0EEENS1_30default_config_static_selectorELNS0_4arch9wavefront6targetE0EEEvT1_
	.globl	_ZN7rocprim17ROCPRIM_400000_NS6detail17trampoline_kernelINS0_14default_configENS1_27scan_by_key_config_selectorIj11FixedVectorIiLj2EEEEZZNS1_16scan_by_key_implILNS1_25lookback_scan_determinismE0ELb1ES3_N6thrust23THRUST_200600_302600_NS6detail15normal_iteratorINSB_10device_ptrIjEEEENSD_INSE_IS6_EEEESI_S6_NSB_4plusIvEENSB_8equal_toIvEES6_EE10hipError_tPvRmT2_T3_T4_T5_mT6_T7_P12ihipStream_tbENKUlT_T0_E_clISt17integral_constantIbLb0EES13_EEDaSY_SZ_EUlSY_E_NS1_11comp_targetILNS1_3genE3ELNS1_11target_archE908ELNS1_3gpuE7ELNS1_3repE0EEENS1_30default_config_static_selectorELNS0_4arch9wavefront6targetE0EEEvT1_
	.p2align	8
	.type	_ZN7rocprim17ROCPRIM_400000_NS6detail17trampoline_kernelINS0_14default_configENS1_27scan_by_key_config_selectorIj11FixedVectorIiLj2EEEEZZNS1_16scan_by_key_implILNS1_25lookback_scan_determinismE0ELb1ES3_N6thrust23THRUST_200600_302600_NS6detail15normal_iteratorINSB_10device_ptrIjEEEENSD_INSE_IS6_EEEESI_S6_NSB_4plusIvEENSB_8equal_toIvEES6_EE10hipError_tPvRmT2_T3_T4_T5_mT6_T7_P12ihipStream_tbENKUlT_T0_E_clISt17integral_constantIbLb0EES13_EEDaSY_SZ_EUlSY_E_NS1_11comp_targetILNS1_3genE3ELNS1_11target_archE908ELNS1_3gpuE7ELNS1_3repE0EEENS1_30default_config_static_selectorELNS0_4arch9wavefront6targetE0EEEvT1_,@function
_ZN7rocprim17ROCPRIM_400000_NS6detail17trampoline_kernelINS0_14default_configENS1_27scan_by_key_config_selectorIj11FixedVectorIiLj2EEEEZZNS1_16scan_by_key_implILNS1_25lookback_scan_determinismE0ELb1ES3_N6thrust23THRUST_200600_302600_NS6detail15normal_iteratorINSB_10device_ptrIjEEEENSD_INSE_IS6_EEEESI_S6_NSB_4plusIvEENSB_8equal_toIvEES6_EE10hipError_tPvRmT2_T3_T4_T5_mT6_T7_P12ihipStream_tbENKUlT_T0_E_clISt17integral_constantIbLb0EES13_EEDaSY_SZ_EUlSY_E_NS1_11comp_targetILNS1_3genE3ELNS1_11target_archE908ELNS1_3gpuE7ELNS1_3repE0EEENS1_30default_config_static_selectorELNS0_4arch9wavefront6targetE0EEEvT1_: ; @_ZN7rocprim17ROCPRIM_400000_NS6detail17trampoline_kernelINS0_14default_configENS1_27scan_by_key_config_selectorIj11FixedVectorIiLj2EEEEZZNS1_16scan_by_key_implILNS1_25lookback_scan_determinismE0ELb1ES3_N6thrust23THRUST_200600_302600_NS6detail15normal_iteratorINSB_10device_ptrIjEEEENSD_INSE_IS6_EEEESI_S6_NSB_4plusIvEENSB_8equal_toIvEES6_EE10hipError_tPvRmT2_T3_T4_T5_mT6_T7_P12ihipStream_tbENKUlT_T0_E_clISt17integral_constantIbLb0EES13_EEDaSY_SZ_EUlSY_E_NS1_11comp_targetILNS1_3genE3ELNS1_11target_archE908ELNS1_3gpuE7ELNS1_3repE0EEENS1_30default_config_static_selectorELNS0_4arch9wavefront6targetE0EEEvT1_
; %bb.0:
	.section	.rodata,"a",@progbits
	.p2align	6, 0x0
	.amdhsa_kernel _ZN7rocprim17ROCPRIM_400000_NS6detail17trampoline_kernelINS0_14default_configENS1_27scan_by_key_config_selectorIj11FixedVectorIiLj2EEEEZZNS1_16scan_by_key_implILNS1_25lookback_scan_determinismE0ELb1ES3_N6thrust23THRUST_200600_302600_NS6detail15normal_iteratorINSB_10device_ptrIjEEEENSD_INSE_IS6_EEEESI_S6_NSB_4plusIvEENSB_8equal_toIvEES6_EE10hipError_tPvRmT2_T3_T4_T5_mT6_T7_P12ihipStream_tbENKUlT_T0_E_clISt17integral_constantIbLb0EES13_EEDaSY_SZ_EUlSY_E_NS1_11comp_targetILNS1_3genE3ELNS1_11target_archE908ELNS1_3gpuE7ELNS1_3repE0EEENS1_30default_config_static_selectorELNS0_4arch9wavefront6targetE0EEEvT1_
		.amdhsa_group_segment_fixed_size 0
		.amdhsa_private_segment_fixed_size 0
		.amdhsa_kernarg_size 120
		.amdhsa_user_sgpr_count 2
		.amdhsa_user_sgpr_dispatch_ptr 0
		.amdhsa_user_sgpr_queue_ptr 0
		.amdhsa_user_sgpr_kernarg_segment_ptr 1
		.amdhsa_user_sgpr_dispatch_id 0
		.amdhsa_user_sgpr_kernarg_preload_length 0
		.amdhsa_user_sgpr_kernarg_preload_offset 0
		.amdhsa_user_sgpr_private_segment_size 0
		.amdhsa_wavefront_size32 1
		.amdhsa_uses_dynamic_stack 0
		.amdhsa_enable_private_segment 0
		.amdhsa_system_sgpr_workgroup_id_x 1
		.amdhsa_system_sgpr_workgroup_id_y 0
		.amdhsa_system_sgpr_workgroup_id_z 0
		.amdhsa_system_sgpr_workgroup_info 0
		.amdhsa_system_vgpr_workitem_id 0
		.amdhsa_next_free_vgpr 1
		.amdhsa_next_free_sgpr 1
		.amdhsa_named_barrier_count 0
		.amdhsa_reserve_vcc 0
		.amdhsa_float_round_mode_32 0
		.amdhsa_float_round_mode_16_64 0
		.amdhsa_float_denorm_mode_32 3
		.amdhsa_float_denorm_mode_16_64 3
		.amdhsa_fp16_overflow 0
		.amdhsa_memory_ordered 1
		.amdhsa_forward_progress 1
		.amdhsa_inst_pref_size 0
		.amdhsa_round_robin_scheduling 0
		.amdhsa_exception_fp_ieee_invalid_op 0
		.amdhsa_exception_fp_denorm_src 0
		.amdhsa_exception_fp_ieee_div_zero 0
		.amdhsa_exception_fp_ieee_overflow 0
		.amdhsa_exception_fp_ieee_underflow 0
		.amdhsa_exception_fp_ieee_inexact 0
		.amdhsa_exception_int_div_zero 0
	.end_amdhsa_kernel
	.section	.text._ZN7rocprim17ROCPRIM_400000_NS6detail17trampoline_kernelINS0_14default_configENS1_27scan_by_key_config_selectorIj11FixedVectorIiLj2EEEEZZNS1_16scan_by_key_implILNS1_25lookback_scan_determinismE0ELb1ES3_N6thrust23THRUST_200600_302600_NS6detail15normal_iteratorINSB_10device_ptrIjEEEENSD_INSE_IS6_EEEESI_S6_NSB_4plusIvEENSB_8equal_toIvEES6_EE10hipError_tPvRmT2_T3_T4_T5_mT6_T7_P12ihipStream_tbENKUlT_T0_E_clISt17integral_constantIbLb0EES13_EEDaSY_SZ_EUlSY_E_NS1_11comp_targetILNS1_3genE3ELNS1_11target_archE908ELNS1_3gpuE7ELNS1_3repE0EEENS1_30default_config_static_selectorELNS0_4arch9wavefront6targetE0EEEvT1_,"axG",@progbits,_ZN7rocprim17ROCPRIM_400000_NS6detail17trampoline_kernelINS0_14default_configENS1_27scan_by_key_config_selectorIj11FixedVectorIiLj2EEEEZZNS1_16scan_by_key_implILNS1_25lookback_scan_determinismE0ELb1ES3_N6thrust23THRUST_200600_302600_NS6detail15normal_iteratorINSB_10device_ptrIjEEEENSD_INSE_IS6_EEEESI_S6_NSB_4plusIvEENSB_8equal_toIvEES6_EE10hipError_tPvRmT2_T3_T4_T5_mT6_T7_P12ihipStream_tbENKUlT_T0_E_clISt17integral_constantIbLb0EES13_EEDaSY_SZ_EUlSY_E_NS1_11comp_targetILNS1_3genE3ELNS1_11target_archE908ELNS1_3gpuE7ELNS1_3repE0EEENS1_30default_config_static_selectorELNS0_4arch9wavefront6targetE0EEEvT1_,comdat
.Lfunc_end1997:
	.size	_ZN7rocprim17ROCPRIM_400000_NS6detail17trampoline_kernelINS0_14default_configENS1_27scan_by_key_config_selectorIj11FixedVectorIiLj2EEEEZZNS1_16scan_by_key_implILNS1_25lookback_scan_determinismE0ELb1ES3_N6thrust23THRUST_200600_302600_NS6detail15normal_iteratorINSB_10device_ptrIjEEEENSD_INSE_IS6_EEEESI_S6_NSB_4plusIvEENSB_8equal_toIvEES6_EE10hipError_tPvRmT2_T3_T4_T5_mT6_T7_P12ihipStream_tbENKUlT_T0_E_clISt17integral_constantIbLb0EES13_EEDaSY_SZ_EUlSY_E_NS1_11comp_targetILNS1_3genE3ELNS1_11target_archE908ELNS1_3gpuE7ELNS1_3repE0EEENS1_30default_config_static_selectorELNS0_4arch9wavefront6targetE0EEEvT1_, .Lfunc_end1997-_ZN7rocprim17ROCPRIM_400000_NS6detail17trampoline_kernelINS0_14default_configENS1_27scan_by_key_config_selectorIj11FixedVectorIiLj2EEEEZZNS1_16scan_by_key_implILNS1_25lookback_scan_determinismE0ELb1ES3_N6thrust23THRUST_200600_302600_NS6detail15normal_iteratorINSB_10device_ptrIjEEEENSD_INSE_IS6_EEEESI_S6_NSB_4plusIvEENSB_8equal_toIvEES6_EE10hipError_tPvRmT2_T3_T4_T5_mT6_T7_P12ihipStream_tbENKUlT_T0_E_clISt17integral_constantIbLb0EES13_EEDaSY_SZ_EUlSY_E_NS1_11comp_targetILNS1_3genE3ELNS1_11target_archE908ELNS1_3gpuE7ELNS1_3repE0EEENS1_30default_config_static_selectorELNS0_4arch9wavefront6targetE0EEEvT1_
                                        ; -- End function
	.set _ZN7rocprim17ROCPRIM_400000_NS6detail17trampoline_kernelINS0_14default_configENS1_27scan_by_key_config_selectorIj11FixedVectorIiLj2EEEEZZNS1_16scan_by_key_implILNS1_25lookback_scan_determinismE0ELb1ES3_N6thrust23THRUST_200600_302600_NS6detail15normal_iteratorINSB_10device_ptrIjEEEENSD_INSE_IS6_EEEESI_S6_NSB_4plusIvEENSB_8equal_toIvEES6_EE10hipError_tPvRmT2_T3_T4_T5_mT6_T7_P12ihipStream_tbENKUlT_T0_E_clISt17integral_constantIbLb0EES13_EEDaSY_SZ_EUlSY_E_NS1_11comp_targetILNS1_3genE3ELNS1_11target_archE908ELNS1_3gpuE7ELNS1_3repE0EEENS1_30default_config_static_selectorELNS0_4arch9wavefront6targetE0EEEvT1_.num_vgpr, 0
	.set _ZN7rocprim17ROCPRIM_400000_NS6detail17trampoline_kernelINS0_14default_configENS1_27scan_by_key_config_selectorIj11FixedVectorIiLj2EEEEZZNS1_16scan_by_key_implILNS1_25lookback_scan_determinismE0ELb1ES3_N6thrust23THRUST_200600_302600_NS6detail15normal_iteratorINSB_10device_ptrIjEEEENSD_INSE_IS6_EEEESI_S6_NSB_4plusIvEENSB_8equal_toIvEES6_EE10hipError_tPvRmT2_T3_T4_T5_mT6_T7_P12ihipStream_tbENKUlT_T0_E_clISt17integral_constantIbLb0EES13_EEDaSY_SZ_EUlSY_E_NS1_11comp_targetILNS1_3genE3ELNS1_11target_archE908ELNS1_3gpuE7ELNS1_3repE0EEENS1_30default_config_static_selectorELNS0_4arch9wavefront6targetE0EEEvT1_.num_agpr, 0
	.set _ZN7rocprim17ROCPRIM_400000_NS6detail17trampoline_kernelINS0_14default_configENS1_27scan_by_key_config_selectorIj11FixedVectorIiLj2EEEEZZNS1_16scan_by_key_implILNS1_25lookback_scan_determinismE0ELb1ES3_N6thrust23THRUST_200600_302600_NS6detail15normal_iteratorINSB_10device_ptrIjEEEENSD_INSE_IS6_EEEESI_S6_NSB_4plusIvEENSB_8equal_toIvEES6_EE10hipError_tPvRmT2_T3_T4_T5_mT6_T7_P12ihipStream_tbENKUlT_T0_E_clISt17integral_constantIbLb0EES13_EEDaSY_SZ_EUlSY_E_NS1_11comp_targetILNS1_3genE3ELNS1_11target_archE908ELNS1_3gpuE7ELNS1_3repE0EEENS1_30default_config_static_selectorELNS0_4arch9wavefront6targetE0EEEvT1_.numbered_sgpr, 0
	.set _ZN7rocprim17ROCPRIM_400000_NS6detail17trampoline_kernelINS0_14default_configENS1_27scan_by_key_config_selectorIj11FixedVectorIiLj2EEEEZZNS1_16scan_by_key_implILNS1_25lookback_scan_determinismE0ELb1ES3_N6thrust23THRUST_200600_302600_NS6detail15normal_iteratorINSB_10device_ptrIjEEEENSD_INSE_IS6_EEEESI_S6_NSB_4plusIvEENSB_8equal_toIvEES6_EE10hipError_tPvRmT2_T3_T4_T5_mT6_T7_P12ihipStream_tbENKUlT_T0_E_clISt17integral_constantIbLb0EES13_EEDaSY_SZ_EUlSY_E_NS1_11comp_targetILNS1_3genE3ELNS1_11target_archE908ELNS1_3gpuE7ELNS1_3repE0EEENS1_30default_config_static_selectorELNS0_4arch9wavefront6targetE0EEEvT1_.num_named_barrier, 0
	.set _ZN7rocprim17ROCPRIM_400000_NS6detail17trampoline_kernelINS0_14default_configENS1_27scan_by_key_config_selectorIj11FixedVectorIiLj2EEEEZZNS1_16scan_by_key_implILNS1_25lookback_scan_determinismE0ELb1ES3_N6thrust23THRUST_200600_302600_NS6detail15normal_iteratorINSB_10device_ptrIjEEEENSD_INSE_IS6_EEEESI_S6_NSB_4plusIvEENSB_8equal_toIvEES6_EE10hipError_tPvRmT2_T3_T4_T5_mT6_T7_P12ihipStream_tbENKUlT_T0_E_clISt17integral_constantIbLb0EES13_EEDaSY_SZ_EUlSY_E_NS1_11comp_targetILNS1_3genE3ELNS1_11target_archE908ELNS1_3gpuE7ELNS1_3repE0EEENS1_30default_config_static_selectorELNS0_4arch9wavefront6targetE0EEEvT1_.private_seg_size, 0
	.set _ZN7rocprim17ROCPRIM_400000_NS6detail17trampoline_kernelINS0_14default_configENS1_27scan_by_key_config_selectorIj11FixedVectorIiLj2EEEEZZNS1_16scan_by_key_implILNS1_25lookback_scan_determinismE0ELb1ES3_N6thrust23THRUST_200600_302600_NS6detail15normal_iteratorINSB_10device_ptrIjEEEENSD_INSE_IS6_EEEESI_S6_NSB_4plusIvEENSB_8equal_toIvEES6_EE10hipError_tPvRmT2_T3_T4_T5_mT6_T7_P12ihipStream_tbENKUlT_T0_E_clISt17integral_constantIbLb0EES13_EEDaSY_SZ_EUlSY_E_NS1_11comp_targetILNS1_3genE3ELNS1_11target_archE908ELNS1_3gpuE7ELNS1_3repE0EEENS1_30default_config_static_selectorELNS0_4arch9wavefront6targetE0EEEvT1_.uses_vcc, 0
	.set _ZN7rocprim17ROCPRIM_400000_NS6detail17trampoline_kernelINS0_14default_configENS1_27scan_by_key_config_selectorIj11FixedVectorIiLj2EEEEZZNS1_16scan_by_key_implILNS1_25lookback_scan_determinismE0ELb1ES3_N6thrust23THRUST_200600_302600_NS6detail15normal_iteratorINSB_10device_ptrIjEEEENSD_INSE_IS6_EEEESI_S6_NSB_4plusIvEENSB_8equal_toIvEES6_EE10hipError_tPvRmT2_T3_T4_T5_mT6_T7_P12ihipStream_tbENKUlT_T0_E_clISt17integral_constantIbLb0EES13_EEDaSY_SZ_EUlSY_E_NS1_11comp_targetILNS1_3genE3ELNS1_11target_archE908ELNS1_3gpuE7ELNS1_3repE0EEENS1_30default_config_static_selectorELNS0_4arch9wavefront6targetE0EEEvT1_.uses_flat_scratch, 0
	.set _ZN7rocprim17ROCPRIM_400000_NS6detail17trampoline_kernelINS0_14default_configENS1_27scan_by_key_config_selectorIj11FixedVectorIiLj2EEEEZZNS1_16scan_by_key_implILNS1_25lookback_scan_determinismE0ELb1ES3_N6thrust23THRUST_200600_302600_NS6detail15normal_iteratorINSB_10device_ptrIjEEEENSD_INSE_IS6_EEEESI_S6_NSB_4plusIvEENSB_8equal_toIvEES6_EE10hipError_tPvRmT2_T3_T4_T5_mT6_T7_P12ihipStream_tbENKUlT_T0_E_clISt17integral_constantIbLb0EES13_EEDaSY_SZ_EUlSY_E_NS1_11comp_targetILNS1_3genE3ELNS1_11target_archE908ELNS1_3gpuE7ELNS1_3repE0EEENS1_30default_config_static_selectorELNS0_4arch9wavefront6targetE0EEEvT1_.has_dyn_sized_stack, 0
	.set _ZN7rocprim17ROCPRIM_400000_NS6detail17trampoline_kernelINS0_14default_configENS1_27scan_by_key_config_selectorIj11FixedVectorIiLj2EEEEZZNS1_16scan_by_key_implILNS1_25lookback_scan_determinismE0ELb1ES3_N6thrust23THRUST_200600_302600_NS6detail15normal_iteratorINSB_10device_ptrIjEEEENSD_INSE_IS6_EEEESI_S6_NSB_4plusIvEENSB_8equal_toIvEES6_EE10hipError_tPvRmT2_T3_T4_T5_mT6_T7_P12ihipStream_tbENKUlT_T0_E_clISt17integral_constantIbLb0EES13_EEDaSY_SZ_EUlSY_E_NS1_11comp_targetILNS1_3genE3ELNS1_11target_archE908ELNS1_3gpuE7ELNS1_3repE0EEENS1_30default_config_static_selectorELNS0_4arch9wavefront6targetE0EEEvT1_.has_recursion, 0
	.set _ZN7rocprim17ROCPRIM_400000_NS6detail17trampoline_kernelINS0_14default_configENS1_27scan_by_key_config_selectorIj11FixedVectorIiLj2EEEEZZNS1_16scan_by_key_implILNS1_25lookback_scan_determinismE0ELb1ES3_N6thrust23THRUST_200600_302600_NS6detail15normal_iteratorINSB_10device_ptrIjEEEENSD_INSE_IS6_EEEESI_S6_NSB_4plusIvEENSB_8equal_toIvEES6_EE10hipError_tPvRmT2_T3_T4_T5_mT6_T7_P12ihipStream_tbENKUlT_T0_E_clISt17integral_constantIbLb0EES13_EEDaSY_SZ_EUlSY_E_NS1_11comp_targetILNS1_3genE3ELNS1_11target_archE908ELNS1_3gpuE7ELNS1_3repE0EEENS1_30default_config_static_selectorELNS0_4arch9wavefront6targetE0EEEvT1_.has_indirect_call, 0
	.section	.AMDGPU.csdata,"",@progbits
; Kernel info:
; codeLenInByte = 0
; TotalNumSgprs: 0
; NumVgprs: 0
; ScratchSize: 0
; MemoryBound: 0
; FloatMode: 240
; IeeeMode: 1
; LDSByteSize: 0 bytes/workgroup (compile time only)
; SGPRBlocks: 0
; VGPRBlocks: 0
; NumSGPRsForWavesPerEU: 1
; NumVGPRsForWavesPerEU: 1
; NamedBarCnt: 0
; Occupancy: 16
; WaveLimiterHint : 0
; COMPUTE_PGM_RSRC2:SCRATCH_EN: 0
; COMPUTE_PGM_RSRC2:USER_SGPR: 2
; COMPUTE_PGM_RSRC2:TRAP_HANDLER: 0
; COMPUTE_PGM_RSRC2:TGID_X_EN: 1
; COMPUTE_PGM_RSRC2:TGID_Y_EN: 0
; COMPUTE_PGM_RSRC2:TGID_Z_EN: 0
; COMPUTE_PGM_RSRC2:TIDIG_COMP_CNT: 0
	.section	.text._ZN7rocprim17ROCPRIM_400000_NS6detail17trampoline_kernelINS0_14default_configENS1_27scan_by_key_config_selectorIj11FixedVectorIiLj2EEEEZZNS1_16scan_by_key_implILNS1_25lookback_scan_determinismE0ELb1ES3_N6thrust23THRUST_200600_302600_NS6detail15normal_iteratorINSB_10device_ptrIjEEEENSD_INSE_IS6_EEEESI_S6_NSB_4plusIvEENSB_8equal_toIvEES6_EE10hipError_tPvRmT2_T3_T4_T5_mT6_T7_P12ihipStream_tbENKUlT_T0_E_clISt17integral_constantIbLb0EES13_EEDaSY_SZ_EUlSY_E_NS1_11comp_targetILNS1_3genE2ELNS1_11target_archE906ELNS1_3gpuE6ELNS1_3repE0EEENS1_30default_config_static_selectorELNS0_4arch9wavefront6targetE0EEEvT1_,"axG",@progbits,_ZN7rocprim17ROCPRIM_400000_NS6detail17trampoline_kernelINS0_14default_configENS1_27scan_by_key_config_selectorIj11FixedVectorIiLj2EEEEZZNS1_16scan_by_key_implILNS1_25lookback_scan_determinismE0ELb1ES3_N6thrust23THRUST_200600_302600_NS6detail15normal_iteratorINSB_10device_ptrIjEEEENSD_INSE_IS6_EEEESI_S6_NSB_4plusIvEENSB_8equal_toIvEES6_EE10hipError_tPvRmT2_T3_T4_T5_mT6_T7_P12ihipStream_tbENKUlT_T0_E_clISt17integral_constantIbLb0EES13_EEDaSY_SZ_EUlSY_E_NS1_11comp_targetILNS1_3genE2ELNS1_11target_archE906ELNS1_3gpuE6ELNS1_3repE0EEENS1_30default_config_static_selectorELNS0_4arch9wavefront6targetE0EEEvT1_,comdat
	.protected	_ZN7rocprim17ROCPRIM_400000_NS6detail17trampoline_kernelINS0_14default_configENS1_27scan_by_key_config_selectorIj11FixedVectorIiLj2EEEEZZNS1_16scan_by_key_implILNS1_25lookback_scan_determinismE0ELb1ES3_N6thrust23THRUST_200600_302600_NS6detail15normal_iteratorINSB_10device_ptrIjEEEENSD_INSE_IS6_EEEESI_S6_NSB_4plusIvEENSB_8equal_toIvEES6_EE10hipError_tPvRmT2_T3_T4_T5_mT6_T7_P12ihipStream_tbENKUlT_T0_E_clISt17integral_constantIbLb0EES13_EEDaSY_SZ_EUlSY_E_NS1_11comp_targetILNS1_3genE2ELNS1_11target_archE906ELNS1_3gpuE6ELNS1_3repE0EEENS1_30default_config_static_selectorELNS0_4arch9wavefront6targetE0EEEvT1_ ; -- Begin function _ZN7rocprim17ROCPRIM_400000_NS6detail17trampoline_kernelINS0_14default_configENS1_27scan_by_key_config_selectorIj11FixedVectorIiLj2EEEEZZNS1_16scan_by_key_implILNS1_25lookback_scan_determinismE0ELb1ES3_N6thrust23THRUST_200600_302600_NS6detail15normal_iteratorINSB_10device_ptrIjEEEENSD_INSE_IS6_EEEESI_S6_NSB_4plusIvEENSB_8equal_toIvEES6_EE10hipError_tPvRmT2_T3_T4_T5_mT6_T7_P12ihipStream_tbENKUlT_T0_E_clISt17integral_constantIbLb0EES13_EEDaSY_SZ_EUlSY_E_NS1_11comp_targetILNS1_3genE2ELNS1_11target_archE906ELNS1_3gpuE6ELNS1_3repE0EEENS1_30default_config_static_selectorELNS0_4arch9wavefront6targetE0EEEvT1_
	.globl	_ZN7rocprim17ROCPRIM_400000_NS6detail17trampoline_kernelINS0_14default_configENS1_27scan_by_key_config_selectorIj11FixedVectorIiLj2EEEEZZNS1_16scan_by_key_implILNS1_25lookback_scan_determinismE0ELb1ES3_N6thrust23THRUST_200600_302600_NS6detail15normal_iteratorINSB_10device_ptrIjEEEENSD_INSE_IS6_EEEESI_S6_NSB_4plusIvEENSB_8equal_toIvEES6_EE10hipError_tPvRmT2_T3_T4_T5_mT6_T7_P12ihipStream_tbENKUlT_T0_E_clISt17integral_constantIbLb0EES13_EEDaSY_SZ_EUlSY_E_NS1_11comp_targetILNS1_3genE2ELNS1_11target_archE906ELNS1_3gpuE6ELNS1_3repE0EEENS1_30default_config_static_selectorELNS0_4arch9wavefront6targetE0EEEvT1_
	.p2align	8
	.type	_ZN7rocprim17ROCPRIM_400000_NS6detail17trampoline_kernelINS0_14default_configENS1_27scan_by_key_config_selectorIj11FixedVectorIiLj2EEEEZZNS1_16scan_by_key_implILNS1_25lookback_scan_determinismE0ELb1ES3_N6thrust23THRUST_200600_302600_NS6detail15normal_iteratorINSB_10device_ptrIjEEEENSD_INSE_IS6_EEEESI_S6_NSB_4plusIvEENSB_8equal_toIvEES6_EE10hipError_tPvRmT2_T3_T4_T5_mT6_T7_P12ihipStream_tbENKUlT_T0_E_clISt17integral_constantIbLb0EES13_EEDaSY_SZ_EUlSY_E_NS1_11comp_targetILNS1_3genE2ELNS1_11target_archE906ELNS1_3gpuE6ELNS1_3repE0EEENS1_30default_config_static_selectorELNS0_4arch9wavefront6targetE0EEEvT1_,@function
_ZN7rocprim17ROCPRIM_400000_NS6detail17trampoline_kernelINS0_14default_configENS1_27scan_by_key_config_selectorIj11FixedVectorIiLj2EEEEZZNS1_16scan_by_key_implILNS1_25lookback_scan_determinismE0ELb1ES3_N6thrust23THRUST_200600_302600_NS6detail15normal_iteratorINSB_10device_ptrIjEEEENSD_INSE_IS6_EEEESI_S6_NSB_4plusIvEENSB_8equal_toIvEES6_EE10hipError_tPvRmT2_T3_T4_T5_mT6_T7_P12ihipStream_tbENKUlT_T0_E_clISt17integral_constantIbLb0EES13_EEDaSY_SZ_EUlSY_E_NS1_11comp_targetILNS1_3genE2ELNS1_11target_archE906ELNS1_3gpuE6ELNS1_3repE0EEENS1_30default_config_static_selectorELNS0_4arch9wavefront6targetE0EEEvT1_: ; @_ZN7rocprim17ROCPRIM_400000_NS6detail17trampoline_kernelINS0_14default_configENS1_27scan_by_key_config_selectorIj11FixedVectorIiLj2EEEEZZNS1_16scan_by_key_implILNS1_25lookback_scan_determinismE0ELb1ES3_N6thrust23THRUST_200600_302600_NS6detail15normal_iteratorINSB_10device_ptrIjEEEENSD_INSE_IS6_EEEESI_S6_NSB_4plusIvEENSB_8equal_toIvEES6_EE10hipError_tPvRmT2_T3_T4_T5_mT6_T7_P12ihipStream_tbENKUlT_T0_E_clISt17integral_constantIbLb0EES13_EEDaSY_SZ_EUlSY_E_NS1_11comp_targetILNS1_3genE2ELNS1_11target_archE906ELNS1_3gpuE6ELNS1_3repE0EEENS1_30default_config_static_selectorELNS0_4arch9wavefront6targetE0EEEvT1_
; %bb.0:
	.section	.rodata,"a",@progbits
	.p2align	6, 0x0
	.amdhsa_kernel _ZN7rocprim17ROCPRIM_400000_NS6detail17trampoline_kernelINS0_14default_configENS1_27scan_by_key_config_selectorIj11FixedVectorIiLj2EEEEZZNS1_16scan_by_key_implILNS1_25lookback_scan_determinismE0ELb1ES3_N6thrust23THRUST_200600_302600_NS6detail15normal_iteratorINSB_10device_ptrIjEEEENSD_INSE_IS6_EEEESI_S6_NSB_4plusIvEENSB_8equal_toIvEES6_EE10hipError_tPvRmT2_T3_T4_T5_mT6_T7_P12ihipStream_tbENKUlT_T0_E_clISt17integral_constantIbLb0EES13_EEDaSY_SZ_EUlSY_E_NS1_11comp_targetILNS1_3genE2ELNS1_11target_archE906ELNS1_3gpuE6ELNS1_3repE0EEENS1_30default_config_static_selectorELNS0_4arch9wavefront6targetE0EEEvT1_
		.amdhsa_group_segment_fixed_size 0
		.amdhsa_private_segment_fixed_size 0
		.amdhsa_kernarg_size 120
		.amdhsa_user_sgpr_count 2
		.amdhsa_user_sgpr_dispatch_ptr 0
		.amdhsa_user_sgpr_queue_ptr 0
		.amdhsa_user_sgpr_kernarg_segment_ptr 1
		.amdhsa_user_sgpr_dispatch_id 0
		.amdhsa_user_sgpr_kernarg_preload_length 0
		.amdhsa_user_sgpr_kernarg_preload_offset 0
		.amdhsa_user_sgpr_private_segment_size 0
		.amdhsa_wavefront_size32 1
		.amdhsa_uses_dynamic_stack 0
		.amdhsa_enable_private_segment 0
		.amdhsa_system_sgpr_workgroup_id_x 1
		.amdhsa_system_sgpr_workgroup_id_y 0
		.amdhsa_system_sgpr_workgroup_id_z 0
		.amdhsa_system_sgpr_workgroup_info 0
		.amdhsa_system_vgpr_workitem_id 0
		.amdhsa_next_free_vgpr 1
		.amdhsa_next_free_sgpr 1
		.amdhsa_named_barrier_count 0
		.amdhsa_reserve_vcc 0
		.amdhsa_float_round_mode_32 0
		.amdhsa_float_round_mode_16_64 0
		.amdhsa_float_denorm_mode_32 3
		.amdhsa_float_denorm_mode_16_64 3
		.amdhsa_fp16_overflow 0
		.amdhsa_memory_ordered 1
		.amdhsa_forward_progress 1
		.amdhsa_inst_pref_size 0
		.amdhsa_round_robin_scheduling 0
		.amdhsa_exception_fp_ieee_invalid_op 0
		.amdhsa_exception_fp_denorm_src 0
		.amdhsa_exception_fp_ieee_div_zero 0
		.amdhsa_exception_fp_ieee_overflow 0
		.amdhsa_exception_fp_ieee_underflow 0
		.amdhsa_exception_fp_ieee_inexact 0
		.amdhsa_exception_int_div_zero 0
	.end_amdhsa_kernel
	.section	.text._ZN7rocprim17ROCPRIM_400000_NS6detail17trampoline_kernelINS0_14default_configENS1_27scan_by_key_config_selectorIj11FixedVectorIiLj2EEEEZZNS1_16scan_by_key_implILNS1_25lookback_scan_determinismE0ELb1ES3_N6thrust23THRUST_200600_302600_NS6detail15normal_iteratorINSB_10device_ptrIjEEEENSD_INSE_IS6_EEEESI_S6_NSB_4plusIvEENSB_8equal_toIvEES6_EE10hipError_tPvRmT2_T3_T4_T5_mT6_T7_P12ihipStream_tbENKUlT_T0_E_clISt17integral_constantIbLb0EES13_EEDaSY_SZ_EUlSY_E_NS1_11comp_targetILNS1_3genE2ELNS1_11target_archE906ELNS1_3gpuE6ELNS1_3repE0EEENS1_30default_config_static_selectorELNS0_4arch9wavefront6targetE0EEEvT1_,"axG",@progbits,_ZN7rocprim17ROCPRIM_400000_NS6detail17trampoline_kernelINS0_14default_configENS1_27scan_by_key_config_selectorIj11FixedVectorIiLj2EEEEZZNS1_16scan_by_key_implILNS1_25lookback_scan_determinismE0ELb1ES3_N6thrust23THRUST_200600_302600_NS6detail15normal_iteratorINSB_10device_ptrIjEEEENSD_INSE_IS6_EEEESI_S6_NSB_4plusIvEENSB_8equal_toIvEES6_EE10hipError_tPvRmT2_T3_T4_T5_mT6_T7_P12ihipStream_tbENKUlT_T0_E_clISt17integral_constantIbLb0EES13_EEDaSY_SZ_EUlSY_E_NS1_11comp_targetILNS1_3genE2ELNS1_11target_archE906ELNS1_3gpuE6ELNS1_3repE0EEENS1_30default_config_static_selectorELNS0_4arch9wavefront6targetE0EEEvT1_,comdat
.Lfunc_end1998:
	.size	_ZN7rocprim17ROCPRIM_400000_NS6detail17trampoline_kernelINS0_14default_configENS1_27scan_by_key_config_selectorIj11FixedVectorIiLj2EEEEZZNS1_16scan_by_key_implILNS1_25lookback_scan_determinismE0ELb1ES3_N6thrust23THRUST_200600_302600_NS6detail15normal_iteratorINSB_10device_ptrIjEEEENSD_INSE_IS6_EEEESI_S6_NSB_4plusIvEENSB_8equal_toIvEES6_EE10hipError_tPvRmT2_T3_T4_T5_mT6_T7_P12ihipStream_tbENKUlT_T0_E_clISt17integral_constantIbLb0EES13_EEDaSY_SZ_EUlSY_E_NS1_11comp_targetILNS1_3genE2ELNS1_11target_archE906ELNS1_3gpuE6ELNS1_3repE0EEENS1_30default_config_static_selectorELNS0_4arch9wavefront6targetE0EEEvT1_, .Lfunc_end1998-_ZN7rocprim17ROCPRIM_400000_NS6detail17trampoline_kernelINS0_14default_configENS1_27scan_by_key_config_selectorIj11FixedVectorIiLj2EEEEZZNS1_16scan_by_key_implILNS1_25lookback_scan_determinismE0ELb1ES3_N6thrust23THRUST_200600_302600_NS6detail15normal_iteratorINSB_10device_ptrIjEEEENSD_INSE_IS6_EEEESI_S6_NSB_4plusIvEENSB_8equal_toIvEES6_EE10hipError_tPvRmT2_T3_T4_T5_mT6_T7_P12ihipStream_tbENKUlT_T0_E_clISt17integral_constantIbLb0EES13_EEDaSY_SZ_EUlSY_E_NS1_11comp_targetILNS1_3genE2ELNS1_11target_archE906ELNS1_3gpuE6ELNS1_3repE0EEENS1_30default_config_static_selectorELNS0_4arch9wavefront6targetE0EEEvT1_
                                        ; -- End function
	.set _ZN7rocprim17ROCPRIM_400000_NS6detail17trampoline_kernelINS0_14default_configENS1_27scan_by_key_config_selectorIj11FixedVectorIiLj2EEEEZZNS1_16scan_by_key_implILNS1_25lookback_scan_determinismE0ELb1ES3_N6thrust23THRUST_200600_302600_NS6detail15normal_iteratorINSB_10device_ptrIjEEEENSD_INSE_IS6_EEEESI_S6_NSB_4plusIvEENSB_8equal_toIvEES6_EE10hipError_tPvRmT2_T3_T4_T5_mT6_T7_P12ihipStream_tbENKUlT_T0_E_clISt17integral_constantIbLb0EES13_EEDaSY_SZ_EUlSY_E_NS1_11comp_targetILNS1_3genE2ELNS1_11target_archE906ELNS1_3gpuE6ELNS1_3repE0EEENS1_30default_config_static_selectorELNS0_4arch9wavefront6targetE0EEEvT1_.num_vgpr, 0
	.set _ZN7rocprim17ROCPRIM_400000_NS6detail17trampoline_kernelINS0_14default_configENS1_27scan_by_key_config_selectorIj11FixedVectorIiLj2EEEEZZNS1_16scan_by_key_implILNS1_25lookback_scan_determinismE0ELb1ES3_N6thrust23THRUST_200600_302600_NS6detail15normal_iteratorINSB_10device_ptrIjEEEENSD_INSE_IS6_EEEESI_S6_NSB_4plusIvEENSB_8equal_toIvEES6_EE10hipError_tPvRmT2_T3_T4_T5_mT6_T7_P12ihipStream_tbENKUlT_T0_E_clISt17integral_constantIbLb0EES13_EEDaSY_SZ_EUlSY_E_NS1_11comp_targetILNS1_3genE2ELNS1_11target_archE906ELNS1_3gpuE6ELNS1_3repE0EEENS1_30default_config_static_selectorELNS0_4arch9wavefront6targetE0EEEvT1_.num_agpr, 0
	.set _ZN7rocprim17ROCPRIM_400000_NS6detail17trampoline_kernelINS0_14default_configENS1_27scan_by_key_config_selectorIj11FixedVectorIiLj2EEEEZZNS1_16scan_by_key_implILNS1_25lookback_scan_determinismE0ELb1ES3_N6thrust23THRUST_200600_302600_NS6detail15normal_iteratorINSB_10device_ptrIjEEEENSD_INSE_IS6_EEEESI_S6_NSB_4plusIvEENSB_8equal_toIvEES6_EE10hipError_tPvRmT2_T3_T4_T5_mT6_T7_P12ihipStream_tbENKUlT_T0_E_clISt17integral_constantIbLb0EES13_EEDaSY_SZ_EUlSY_E_NS1_11comp_targetILNS1_3genE2ELNS1_11target_archE906ELNS1_3gpuE6ELNS1_3repE0EEENS1_30default_config_static_selectorELNS0_4arch9wavefront6targetE0EEEvT1_.numbered_sgpr, 0
	.set _ZN7rocprim17ROCPRIM_400000_NS6detail17trampoline_kernelINS0_14default_configENS1_27scan_by_key_config_selectorIj11FixedVectorIiLj2EEEEZZNS1_16scan_by_key_implILNS1_25lookback_scan_determinismE0ELb1ES3_N6thrust23THRUST_200600_302600_NS6detail15normal_iteratorINSB_10device_ptrIjEEEENSD_INSE_IS6_EEEESI_S6_NSB_4plusIvEENSB_8equal_toIvEES6_EE10hipError_tPvRmT2_T3_T4_T5_mT6_T7_P12ihipStream_tbENKUlT_T0_E_clISt17integral_constantIbLb0EES13_EEDaSY_SZ_EUlSY_E_NS1_11comp_targetILNS1_3genE2ELNS1_11target_archE906ELNS1_3gpuE6ELNS1_3repE0EEENS1_30default_config_static_selectorELNS0_4arch9wavefront6targetE0EEEvT1_.num_named_barrier, 0
	.set _ZN7rocprim17ROCPRIM_400000_NS6detail17trampoline_kernelINS0_14default_configENS1_27scan_by_key_config_selectorIj11FixedVectorIiLj2EEEEZZNS1_16scan_by_key_implILNS1_25lookback_scan_determinismE0ELb1ES3_N6thrust23THRUST_200600_302600_NS6detail15normal_iteratorINSB_10device_ptrIjEEEENSD_INSE_IS6_EEEESI_S6_NSB_4plusIvEENSB_8equal_toIvEES6_EE10hipError_tPvRmT2_T3_T4_T5_mT6_T7_P12ihipStream_tbENKUlT_T0_E_clISt17integral_constantIbLb0EES13_EEDaSY_SZ_EUlSY_E_NS1_11comp_targetILNS1_3genE2ELNS1_11target_archE906ELNS1_3gpuE6ELNS1_3repE0EEENS1_30default_config_static_selectorELNS0_4arch9wavefront6targetE0EEEvT1_.private_seg_size, 0
	.set _ZN7rocprim17ROCPRIM_400000_NS6detail17trampoline_kernelINS0_14default_configENS1_27scan_by_key_config_selectorIj11FixedVectorIiLj2EEEEZZNS1_16scan_by_key_implILNS1_25lookback_scan_determinismE0ELb1ES3_N6thrust23THRUST_200600_302600_NS6detail15normal_iteratorINSB_10device_ptrIjEEEENSD_INSE_IS6_EEEESI_S6_NSB_4plusIvEENSB_8equal_toIvEES6_EE10hipError_tPvRmT2_T3_T4_T5_mT6_T7_P12ihipStream_tbENKUlT_T0_E_clISt17integral_constantIbLb0EES13_EEDaSY_SZ_EUlSY_E_NS1_11comp_targetILNS1_3genE2ELNS1_11target_archE906ELNS1_3gpuE6ELNS1_3repE0EEENS1_30default_config_static_selectorELNS0_4arch9wavefront6targetE0EEEvT1_.uses_vcc, 0
	.set _ZN7rocprim17ROCPRIM_400000_NS6detail17trampoline_kernelINS0_14default_configENS1_27scan_by_key_config_selectorIj11FixedVectorIiLj2EEEEZZNS1_16scan_by_key_implILNS1_25lookback_scan_determinismE0ELb1ES3_N6thrust23THRUST_200600_302600_NS6detail15normal_iteratorINSB_10device_ptrIjEEEENSD_INSE_IS6_EEEESI_S6_NSB_4plusIvEENSB_8equal_toIvEES6_EE10hipError_tPvRmT2_T3_T4_T5_mT6_T7_P12ihipStream_tbENKUlT_T0_E_clISt17integral_constantIbLb0EES13_EEDaSY_SZ_EUlSY_E_NS1_11comp_targetILNS1_3genE2ELNS1_11target_archE906ELNS1_3gpuE6ELNS1_3repE0EEENS1_30default_config_static_selectorELNS0_4arch9wavefront6targetE0EEEvT1_.uses_flat_scratch, 0
	.set _ZN7rocprim17ROCPRIM_400000_NS6detail17trampoline_kernelINS0_14default_configENS1_27scan_by_key_config_selectorIj11FixedVectorIiLj2EEEEZZNS1_16scan_by_key_implILNS1_25lookback_scan_determinismE0ELb1ES3_N6thrust23THRUST_200600_302600_NS6detail15normal_iteratorINSB_10device_ptrIjEEEENSD_INSE_IS6_EEEESI_S6_NSB_4plusIvEENSB_8equal_toIvEES6_EE10hipError_tPvRmT2_T3_T4_T5_mT6_T7_P12ihipStream_tbENKUlT_T0_E_clISt17integral_constantIbLb0EES13_EEDaSY_SZ_EUlSY_E_NS1_11comp_targetILNS1_3genE2ELNS1_11target_archE906ELNS1_3gpuE6ELNS1_3repE0EEENS1_30default_config_static_selectorELNS0_4arch9wavefront6targetE0EEEvT1_.has_dyn_sized_stack, 0
	.set _ZN7rocprim17ROCPRIM_400000_NS6detail17trampoline_kernelINS0_14default_configENS1_27scan_by_key_config_selectorIj11FixedVectorIiLj2EEEEZZNS1_16scan_by_key_implILNS1_25lookback_scan_determinismE0ELb1ES3_N6thrust23THRUST_200600_302600_NS6detail15normal_iteratorINSB_10device_ptrIjEEEENSD_INSE_IS6_EEEESI_S6_NSB_4plusIvEENSB_8equal_toIvEES6_EE10hipError_tPvRmT2_T3_T4_T5_mT6_T7_P12ihipStream_tbENKUlT_T0_E_clISt17integral_constantIbLb0EES13_EEDaSY_SZ_EUlSY_E_NS1_11comp_targetILNS1_3genE2ELNS1_11target_archE906ELNS1_3gpuE6ELNS1_3repE0EEENS1_30default_config_static_selectorELNS0_4arch9wavefront6targetE0EEEvT1_.has_recursion, 0
	.set _ZN7rocprim17ROCPRIM_400000_NS6detail17trampoline_kernelINS0_14default_configENS1_27scan_by_key_config_selectorIj11FixedVectorIiLj2EEEEZZNS1_16scan_by_key_implILNS1_25lookback_scan_determinismE0ELb1ES3_N6thrust23THRUST_200600_302600_NS6detail15normal_iteratorINSB_10device_ptrIjEEEENSD_INSE_IS6_EEEESI_S6_NSB_4plusIvEENSB_8equal_toIvEES6_EE10hipError_tPvRmT2_T3_T4_T5_mT6_T7_P12ihipStream_tbENKUlT_T0_E_clISt17integral_constantIbLb0EES13_EEDaSY_SZ_EUlSY_E_NS1_11comp_targetILNS1_3genE2ELNS1_11target_archE906ELNS1_3gpuE6ELNS1_3repE0EEENS1_30default_config_static_selectorELNS0_4arch9wavefront6targetE0EEEvT1_.has_indirect_call, 0
	.section	.AMDGPU.csdata,"",@progbits
; Kernel info:
; codeLenInByte = 0
; TotalNumSgprs: 0
; NumVgprs: 0
; ScratchSize: 0
; MemoryBound: 0
; FloatMode: 240
; IeeeMode: 1
; LDSByteSize: 0 bytes/workgroup (compile time only)
; SGPRBlocks: 0
; VGPRBlocks: 0
; NumSGPRsForWavesPerEU: 1
; NumVGPRsForWavesPerEU: 1
; NamedBarCnt: 0
; Occupancy: 16
; WaveLimiterHint : 0
; COMPUTE_PGM_RSRC2:SCRATCH_EN: 0
; COMPUTE_PGM_RSRC2:USER_SGPR: 2
; COMPUTE_PGM_RSRC2:TRAP_HANDLER: 0
; COMPUTE_PGM_RSRC2:TGID_X_EN: 1
; COMPUTE_PGM_RSRC2:TGID_Y_EN: 0
; COMPUTE_PGM_RSRC2:TGID_Z_EN: 0
; COMPUTE_PGM_RSRC2:TIDIG_COMP_CNT: 0
	.section	.text._ZN7rocprim17ROCPRIM_400000_NS6detail17trampoline_kernelINS0_14default_configENS1_27scan_by_key_config_selectorIj11FixedVectorIiLj2EEEEZZNS1_16scan_by_key_implILNS1_25lookback_scan_determinismE0ELb1ES3_N6thrust23THRUST_200600_302600_NS6detail15normal_iteratorINSB_10device_ptrIjEEEENSD_INSE_IS6_EEEESI_S6_NSB_4plusIvEENSB_8equal_toIvEES6_EE10hipError_tPvRmT2_T3_T4_T5_mT6_T7_P12ihipStream_tbENKUlT_T0_E_clISt17integral_constantIbLb0EES13_EEDaSY_SZ_EUlSY_E_NS1_11comp_targetILNS1_3genE10ELNS1_11target_archE1200ELNS1_3gpuE4ELNS1_3repE0EEENS1_30default_config_static_selectorELNS0_4arch9wavefront6targetE0EEEvT1_,"axG",@progbits,_ZN7rocprim17ROCPRIM_400000_NS6detail17trampoline_kernelINS0_14default_configENS1_27scan_by_key_config_selectorIj11FixedVectorIiLj2EEEEZZNS1_16scan_by_key_implILNS1_25lookback_scan_determinismE0ELb1ES3_N6thrust23THRUST_200600_302600_NS6detail15normal_iteratorINSB_10device_ptrIjEEEENSD_INSE_IS6_EEEESI_S6_NSB_4plusIvEENSB_8equal_toIvEES6_EE10hipError_tPvRmT2_T3_T4_T5_mT6_T7_P12ihipStream_tbENKUlT_T0_E_clISt17integral_constantIbLb0EES13_EEDaSY_SZ_EUlSY_E_NS1_11comp_targetILNS1_3genE10ELNS1_11target_archE1200ELNS1_3gpuE4ELNS1_3repE0EEENS1_30default_config_static_selectorELNS0_4arch9wavefront6targetE0EEEvT1_,comdat
	.protected	_ZN7rocprim17ROCPRIM_400000_NS6detail17trampoline_kernelINS0_14default_configENS1_27scan_by_key_config_selectorIj11FixedVectorIiLj2EEEEZZNS1_16scan_by_key_implILNS1_25lookback_scan_determinismE0ELb1ES3_N6thrust23THRUST_200600_302600_NS6detail15normal_iteratorINSB_10device_ptrIjEEEENSD_INSE_IS6_EEEESI_S6_NSB_4plusIvEENSB_8equal_toIvEES6_EE10hipError_tPvRmT2_T3_T4_T5_mT6_T7_P12ihipStream_tbENKUlT_T0_E_clISt17integral_constantIbLb0EES13_EEDaSY_SZ_EUlSY_E_NS1_11comp_targetILNS1_3genE10ELNS1_11target_archE1200ELNS1_3gpuE4ELNS1_3repE0EEENS1_30default_config_static_selectorELNS0_4arch9wavefront6targetE0EEEvT1_ ; -- Begin function _ZN7rocprim17ROCPRIM_400000_NS6detail17trampoline_kernelINS0_14default_configENS1_27scan_by_key_config_selectorIj11FixedVectorIiLj2EEEEZZNS1_16scan_by_key_implILNS1_25lookback_scan_determinismE0ELb1ES3_N6thrust23THRUST_200600_302600_NS6detail15normal_iteratorINSB_10device_ptrIjEEEENSD_INSE_IS6_EEEESI_S6_NSB_4plusIvEENSB_8equal_toIvEES6_EE10hipError_tPvRmT2_T3_T4_T5_mT6_T7_P12ihipStream_tbENKUlT_T0_E_clISt17integral_constantIbLb0EES13_EEDaSY_SZ_EUlSY_E_NS1_11comp_targetILNS1_3genE10ELNS1_11target_archE1200ELNS1_3gpuE4ELNS1_3repE0EEENS1_30default_config_static_selectorELNS0_4arch9wavefront6targetE0EEEvT1_
	.globl	_ZN7rocprim17ROCPRIM_400000_NS6detail17trampoline_kernelINS0_14default_configENS1_27scan_by_key_config_selectorIj11FixedVectorIiLj2EEEEZZNS1_16scan_by_key_implILNS1_25lookback_scan_determinismE0ELb1ES3_N6thrust23THRUST_200600_302600_NS6detail15normal_iteratorINSB_10device_ptrIjEEEENSD_INSE_IS6_EEEESI_S6_NSB_4plusIvEENSB_8equal_toIvEES6_EE10hipError_tPvRmT2_T3_T4_T5_mT6_T7_P12ihipStream_tbENKUlT_T0_E_clISt17integral_constantIbLb0EES13_EEDaSY_SZ_EUlSY_E_NS1_11comp_targetILNS1_3genE10ELNS1_11target_archE1200ELNS1_3gpuE4ELNS1_3repE0EEENS1_30default_config_static_selectorELNS0_4arch9wavefront6targetE0EEEvT1_
	.p2align	8
	.type	_ZN7rocprim17ROCPRIM_400000_NS6detail17trampoline_kernelINS0_14default_configENS1_27scan_by_key_config_selectorIj11FixedVectorIiLj2EEEEZZNS1_16scan_by_key_implILNS1_25lookback_scan_determinismE0ELb1ES3_N6thrust23THRUST_200600_302600_NS6detail15normal_iteratorINSB_10device_ptrIjEEEENSD_INSE_IS6_EEEESI_S6_NSB_4plusIvEENSB_8equal_toIvEES6_EE10hipError_tPvRmT2_T3_T4_T5_mT6_T7_P12ihipStream_tbENKUlT_T0_E_clISt17integral_constantIbLb0EES13_EEDaSY_SZ_EUlSY_E_NS1_11comp_targetILNS1_3genE10ELNS1_11target_archE1200ELNS1_3gpuE4ELNS1_3repE0EEENS1_30default_config_static_selectorELNS0_4arch9wavefront6targetE0EEEvT1_,@function
_ZN7rocprim17ROCPRIM_400000_NS6detail17trampoline_kernelINS0_14default_configENS1_27scan_by_key_config_selectorIj11FixedVectorIiLj2EEEEZZNS1_16scan_by_key_implILNS1_25lookback_scan_determinismE0ELb1ES3_N6thrust23THRUST_200600_302600_NS6detail15normal_iteratorINSB_10device_ptrIjEEEENSD_INSE_IS6_EEEESI_S6_NSB_4plusIvEENSB_8equal_toIvEES6_EE10hipError_tPvRmT2_T3_T4_T5_mT6_T7_P12ihipStream_tbENKUlT_T0_E_clISt17integral_constantIbLb0EES13_EEDaSY_SZ_EUlSY_E_NS1_11comp_targetILNS1_3genE10ELNS1_11target_archE1200ELNS1_3gpuE4ELNS1_3repE0EEENS1_30default_config_static_selectorELNS0_4arch9wavefront6targetE0EEEvT1_: ; @_ZN7rocprim17ROCPRIM_400000_NS6detail17trampoline_kernelINS0_14default_configENS1_27scan_by_key_config_selectorIj11FixedVectorIiLj2EEEEZZNS1_16scan_by_key_implILNS1_25lookback_scan_determinismE0ELb1ES3_N6thrust23THRUST_200600_302600_NS6detail15normal_iteratorINSB_10device_ptrIjEEEENSD_INSE_IS6_EEEESI_S6_NSB_4plusIvEENSB_8equal_toIvEES6_EE10hipError_tPvRmT2_T3_T4_T5_mT6_T7_P12ihipStream_tbENKUlT_T0_E_clISt17integral_constantIbLb0EES13_EEDaSY_SZ_EUlSY_E_NS1_11comp_targetILNS1_3genE10ELNS1_11target_archE1200ELNS1_3gpuE4ELNS1_3repE0EEENS1_30default_config_static_selectorELNS0_4arch9wavefront6targetE0EEEvT1_
; %bb.0:
	.section	.rodata,"a",@progbits
	.p2align	6, 0x0
	.amdhsa_kernel _ZN7rocprim17ROCPRIM_400000_NS6detail17trampoline_kernelINS0_14default_configENS1_27scan_by_key_config_selectorIj11FixedVectorIiLj2EEEEZZNS1_16scan_by_key_implILNS1_25lookback_scan_determinismE0ELb1ES3_N6thrust23THRUST_200600_302600_NS6detail15normal_iteratorINSB_10device_ptrIjEEEENSD_INSE_IS6_EEEESI_S6_NSB_4plusIvEENSB_8equal_toIvEES6_EE10hipError_tPvRmT2_T3_T4_T5_mT6_T7_P12ihipStream_tbENKUlT_T0_E_clISt17integral_constantIbLb0EES13_EEDaSY_SZ_EUlSY_E_NS1_11comp_targetILNS1_3genE10ELNS1_11target_archE1200ELNS1_3gpuE4ELNS1_3repE0EEENS1_30default_config_static_selectorELNS0_4arch9wavefront6targetE0EEEvT1_
		.amdhsa_group_segment_fixed_size 0
		.amdhsa_private_segment_fixed_size 0
		.amdhsa_kernarg_size 120
		.amdhsa_user_sgpr_count 2
		.amdhsa_user_sgpr_dispatch_ptr 0
		.amdhsa_user_sgpr_queue_ptr 0
		.amdhsa_user_sgpr_kernarg_segment_ptr 1
		.amdhsa_user_sgpr_dispatch_id 0
		.amdhsa_user_sgpr_kernarg_preload_length 0
		.amdhsa_user_sgpr_kernarg_preload_offset 0
		.amdhsa_user_sgpr_private_segment_size 0
		.amdhsa_wavefront_size32 1
		.amdhsa_uses_dynamic_stack 0
		.amdhsa_enable_private_segment 0
		.amdhsa_system_sgpr_workgroup_id_x 1
		.amdhsa_system_sgpr_workgroup_id_y 0
		.amdhsa_system_sgpr_workgroup_id_z 0
		.amdhsa_system_sgpr_workgroup_info 0
		.amdhsa_system_vgpr_workitem_id 0
		.amdhsa_next_free_vgpr 1
		.amdhsa_next_free_sgpr 1
		.amdhsa_named_barrier_count 0
		.amdhsa_reserve_vcc 0
		.amdhsa_float_round_mode_32 0
		.amdhsa_float_round_mode_16_64 0
		.amdhsa_float_denorm_mode_32 3
		.amdhsa_float_denorm_mode_16_64 3
		.amdhsa_fp16_overflow 0
		.amdhsa_memory_ordered 1
		.amdhsa_forward_progress 1
		.amdhsa_inst_pref_size 0
		.amdhsa_round_robin_scheduling 0
		.amdhsa_exception_fp_ieee_invalid_op 0
		.amdhsa_exception_fp_denorm_src 0
		.amdhsa_exception_fp_ieee_div_zero 0
		.amdhsa_exception_fp_ieee_overflow 0
		.amdhsa_exception_fp_ieee_underflow 0
		.amdhsa_exception_fp_ieee_inexact 0
		.amdhsa_exception_int_div_zero 0
	.end_amdhsa_kernel
	.section	.text._ZN7rocprim17ROCPRIM_400000_NS6detail17trampoline_kernelINS0_14default_configENS1_27scan_by_key_config_selectorIj11FixedVectorIiLj2EEEEZZNS1_16scan_by_key_implILNS1_25lookback_scan_determinismE0ELb1ES3_N6thrust23THRUST_200600_302600_NS6detail15normal_iteratorINSB_10device_ptrIjEEEENSD_INSE_IS6_EEEESI_S6_NSB_4plusIvEENSB_8equal_toIvEES6_EE10hipError_tPvRmT2_T3_T4_T5_mT6_T7_P12ihipStream_tbENKUlT_T0_E_clISt17integral_constantIbLb0EES13_EEDaSY_SZ_EUlSY_E_NS1_11comp_targetILNS1_3genE10ELNS1_11target_archE1200ELNS1_3gpuE4ELNS1_3repE0EEENS1_30default_config_static_selectorELNS0_4arch9wavefront6targetE0EEEvT1_,"axG",@progbits,_ZN7rocprim17ROCPRIM_400000_NS6detail17trampoline_kernelINS0_14default_configENS1_27scan_by_key_config_selectorIj11FixedVectorIiLj2EEEEZZNS1_16scan_by_key_implILNS1_25lookback_scan_determinismE0ELb1ES3_N6thrust23THRUST_200600_302600_NS6detail15normal_iteratorINSB_10device_ptrIjEEEENSD_INSE_IS6_EEEESI_S6_NSB_4plusIvEENSB_8equal_toIvEES6_EE10hipError_tPvRmT2_T3_T4_T5_mT6_T7_P12ihipStream_tbENKUlT_T0_E_clISt17integral_constantIbLb0EES13_EEDaSY_SZ_EUlSY_E_NS1_11comp_targetILNS1_3genE10ELNS1_11target_archE1200ELNS1_3gpuE4ELNS1_3repE0EEENS1_30default_config_static_selectorELNS0_4arch9wavefront6targetE0EEEvT1_,comdat
.Lfunc_end1999:
	.size	_ZN7rocprim17ROCPRIM_400000_NS6detail17trampoline_kernelINS0_14default_configENS1_27scan_by_key_config_selectorIj11FixedVectorIiLj2EEEEZZNS1_16scan_by_key_implILNS1_25lookback_scan_determinismE0ELb1ES3_N6thrust23THRUST_200600_302600_NS6detail15normal_iteratorINSB_10device_ptrIjEEEENSD_INSE_IS6_EEEESI_S6_NSB_4plusIvEENSB_8equal_toIvEES6_EE10hipError_tPvRmT2_T3_T4_T5_mT6_T7_P12ihipStream_tbENKUlT_T0_E_clISt17integral_constantIbLb0EES13_EEDaSY_SZ_EUlSY_E_NS1_11comp_targetILNS1_3genE10ELNS1_11target_archE1200ELNS1_3gpuE4ELNS1_3repE0EEENS1_30default_config_static_selectorELNS0_4arch9wavefront6targetE0EEEvT1_, .Lfunc_end1999-_ZN7rocprim17ROCPRIM_400000_NS6detail17trampoline_kernelINS0_14default_configENS1_27scan_by_key_config_selectorIj11FixedVectorIiLj2EEEEZZNS1_16scan_by_key_implILNS1_25lookback_scan_determinismE0ELb1ES3_N6thrust23THRUST_200600_302600_NS6detail15normal_iteratorINSB_10device_ptrIjEEEENSD_INSE_IS6_EEEESI_S6_NSB_4plusIvEENSB_8equal_toIvEES6_EE10hipError_tPvRmT2_T3_T4_T5_mT6_T7_P12ihipStream_tbENKUlT_T0_E_clISt17integral_constantIbLb0EES13_EEDaSY_SZ_EUlSY_E_NS1_11comp_targetILNS1_3genE10ELNS1_11target_archE1200ELNS1_3gpuE4ELNS1_3repE0EEENS1_30default_config_static_selectorELNS0_4arch9wavefront6targetE0EEEvT1_
                                        ; -- End function
	.set _ZN7rocprim17ROCPRIM_400000_NS6detail17trampoline_kernelINS0_14default_configENS1_27scan_by_key_config_selectorIj11FixedVectorIiLj2EEEEZZNS1_16scan_by_key_implILNS1_25lookback_scan_determinismE0ELb1ES3_N6thrust23THRUST_200600_302600_NS6detail15normal_iteratorINSB_10device_ptrIjEEEENSD_INSE_IS6_EEEESI_S6_NSB_4plusIvEENSB_8equal_toIvEES6_EE10hipError_tPvRmT2_T3_T4_T5_mT6_T7_P12ihipStream_tbENKUlT_T0_E_clISt17integral_constantIbLb0EES13_EEDaSY_SZ_EUlSY_E_NS1_11comp_targetILNS1_3genE10ELNS1_11target_archE1200ELNS1_3gpuE4ELNS1_3repE0EEENS1_30default_config_static_selectorELNS0_4arch9wavefront6targetE0EEEvT1_.num_vgpr, 0
	.set _ZN7rocprim17ROCPRIM_400000_NS6detail17trampoline_kernelINS0_14default_configENS1_27scan_by_key_config_selectorIj11FixedVectorIiLj2EEEEZZNS1_16scan_by_key_implILNS1_25lookback_scan_determinismE0ELb1ES3_N6thrust23THRUST_200600_302600_NS6detail15normal_iteratorINSB_10device_ptrIjEEEENSD_INSE_IS6_EEEESI_S6_NSB_4plusIvEENSB_8equal_toIvEES6_EE10hipError_tPvRmT2_T3_T4_T5_mT6_T7_P12ihipStream_tbENKUlT_T0_E_clISt17integral_constantIbLb0EES13_EEDaSY_SZ_EUlSY_E_NS1_11comp_targetILNS1_3genE10ELNS1_11target_archE1200ELNS1_3gpuE4ELNS1_3repE0EEENS1_30default_config_static_selectorELNS0_4arch9wavefront6targetE0EEEvT1_.num_agpr, 0
	.set _ZN7rocprim17ROCPRIM_400000_NS6detail17trampoline_kernelINS0_14default_configENS1_27scan_by_key_config_selectorIj11FixedVectorIiLj2EEEEZZNS1_16scan_by_key_implILNS1_25lookback_scan_determinismE0ELb1ES3_N6thrust23THRUST_200600_302600_NS6detail15normal_iteratorINSB_10device_ptrIjEEEENSD_INSE_IS6_EEEESI_S6_NSB_4plusIvEENSB_8equal_toIvEES6_EE10hipError_tPvRmT2_T3_T4_T5_mT6_T7_P12ihipStream_tbENKUlT_T0_E_clISt17integral_constantIbLb0EES13_EEDaSY_SZ_EUlSY_E_NS1_11comp_targetILNS1_3genE10ELNS1_11target_archE1200ELNS1_3gpuE4ELNS1_3repE0EEENS1_30default_config_static_selectorELNS0_4arch9wavefront6targetE0EEEvT1_.numbered_sgpr, 0
	.set _ZN7rocprim17ROCPRIM_400000_NS6detail17trampoline_kernelINS0_14default_configENS1_27scan_by_key_config_selectorIj11FixedVectorIiLj2EEEEZZNS1_16scan_by_key_implILNS1_25lookback_scan_determinismE0ELb1ES3_N6thrust23THRUST_200600_302600_NS6detail15normal_iteratorINSB_10device_ptrIjEEEENSD_INSE_IS6_EEEESI_S6_NSB_4plusIvEENSB_8equal_toIvEES6_EE10hipError_tPvRmT2_T3_T4_T5_mT6_T7_P12ihipStream_tbENKUlT_T0_E_clISt17integral_constantIbLb0EES13_EEDaSY_SZ_EUlSY_E_NS1_11comp_targetILNS1_3genE10ELNS1_11target_archE1200ELNS1_3gpuE4ELNS1_3repE0EEENS1_30default_config_static_selectorELNS0_4arch9wavefront6targetE0EEEvT1_.num_named_barrier, 0
	.set _ZN7rocprim17ROCPRIM_400000_NS6detail17trampoline_kernelINS0_14default_configENS1_27scan_by_key_config_selectorIj11FixedVectorIiLj2EEEEZZNS1_16scan_by_key_implILNS1_25lookback_scan_determinismE0ELb1ES3_N6thrust23THRUST_200600_302600_NS6detail15normal_iteratorINSB_10device_ptrIjEEEENSD_INSE_IS6_EEEESI_S6_NSB_4plusIvEENSB_8equal_toIvEES6_EE10hipError_tPvRmT2_T3_T4_T5_mT6_T7_P12ihipStream_tbENKUlT_T0_E_clISt17integral_constantIbLb0EES13_EEDaSY_SZ_EUlSY_E_NS1_11comp_targetILNS1_3genE10ELNS1_11target_archE1200ELNS1_3gpuE4ELNS1_3repE0EEENS1_30default_config_static_selectorELNS0_4arch9wavefront6targetE0EEEvT1_.private_seg_size, 0
	.set _ZN7rocprim17ROCPRIM_400000_NS6detail17trampoline_kernelINS0_14default_configENS1_27scan_by_key_config_selectorIj11FixedVectorIiLj2EEEEZZNS1_16scan_by_key_implILNS1_25lookback_scan_determinismE0ELb1ES3_N6thrust23THRUST_200600_302600_NS6detail15normal_iteratorINSB_10device_ptrIjEEEENSD_INSE_IS6_EEEESI_S6_NSB_4plusIvEENSB_8equal_toIvEES6_EE10hipError_tPvRmT2_T3_T4_T5_mT6_T7_P12ihipStream_tbENKUlT_T0_E_clISt17integral_constantIbLb0EES13_EEDaSY_SZ_EUlSY_E_NS1_11comp_targetILNS1_3genE10ELNS1_11target_archE1200ELNS1_3gpuE4ELNS1_3repE0EEENS1_30default_config_static_selectorELNS0_4arch9wavefront6targetE0EEEvT1_.uses_vcc, 0
	.set _ZN7rocprim17ROCPRIM_400000_NS6detail17trampoline_kernelINS0_14default_configENS1_27scan_by_key_config_selectorIj11FixedVectorIiLj2EEEEZZNS1_16scan_by_key_implILNS1_25lookback_scan_determinismE0ELb1ES3_N6thrust23THRUST_200600_302600_NS6detail15normal_iteratorINSB_10device_ptrIjEEEENSD_INSE_IS6_EEEESI_S6_NSB_4plusIvEENSB_8equal_toIvEES6_EE10hipError_tPvRmT2_T3_T4_T5_mT6_T7_P12ihipStream_tbENKUlT_T0_E_clISt17integral_constantIbLb0EES13_EEDaSY_SZ_EUlSY_E_NS1_11comp_targetILNS1_3genE10ELNS1_11target_archE1200ELNS1_3gpuE4ELNS1_3repE0EEENS1_30default_config_static_selectorELNS0_4arch9wavefront6targetE0EEEvT1_.uses_flat_scratch, 0
	.set _ZN7rocprim17ROCPRIM_400000_NS6detail17trampoline_kernelINS0_14default_configENS1_27scan_by_key_config_selectorIj11FixedVectorIiLj2EEEEZZNS1_16scan_by_key_implILNS1_25lookback_scan_determinismE0ELb1ES3_N6thrust23THRUST_200600_302600_NS6detail15normal_iteratorINSB_10device_ptrIjEEEENSD_INSE_IS6_EEEESI_S6_NSB_4plusIvEENSB_8equal_toIvEES6_EE10hipError_tPvRmT2_T3_T4_T5_mT6_T7_P12ihipStream_tbENKUlT_T0_E_clISt17integral_constantIbLb0EES13_EEDaSY_SZ_EUlSY_E_NS1_11comp_targetILNS1_3genE10ELNS1_11target_archE1200ELNS1_3gpuE4ELNS1_3repE0EEENS1_30default_config_static_selectorELNS0_4arch9wavefront6targetE0EEEvT1_.has_dyn_sized_stack, 0
	.set _ZN7rocprim17ROCPRIM_400000_NS6detail17trampoline_kernelINS0_14default_configENS1_27scan_by_key_config_selectorIj11FixedVectorIiLj2EEEEZZNS1_16scan_by_key_implILNS1_25lookback_scan_determinismE0ELb1ES3_N6thrust23THRUST_200600_302600_NS6detail15normal_iteratorINSB_10device_ptrIjEEEENSD_INSE_IS6_EEEESI_S6_NSB_4plusIvEENSB_8equal_toIvEES6_EE10hipError_tPvRmT2_T3_T4_T5_mT6_T7_P12ihipStream_tbENKUlT_T0_E_clISt17integral_constantIbLb0EES13_EEDaSY_SZ_EUlSY_E_NS1_11comp_targetILNS1_3genE10ELNS1_11target_archE1200ELNS1_3gpuE4ELNS1_3repE0EEENS1_30default_config_static_selectorELNS0_4arch9wavefront6targetE0EEEvT1_.has_recursion, 0
	.set _ZN7rocprim17ROCPRIM_400000_NS6detail17trampoline_kernelINS0_14default_configENS1_27scan_by_key_config_selectorIj11FixedVectorIiLj2EEEEZZNS1_16scan_by_key_implILNS1_25lookback_scan_determinismE0ELb1ES3_N6thrust23THRUST_200600_302600_NS6detail15normal_iteratorINSB_10device_ptrIjEEEENSD_INSE_IS6_EEEESI_S6_NSB_4plusIvEENSB_8equal_toIvEES6_EE10hipError_tPvRmT2_T3_T4_T5_mT6_T7_P12ihipStream_tbENKUlT_T0_E_clISt17integral_constantIbLb0EES13_EEDaSY_SZ_EUlSY_E_NS1_11comp_targetILNS1_3genE10ELNS1_11target_archE1200ELNS1_3gpuE4ELNS1_3repE0EEENS1_30default_config_static_selectorELNS0_4arch9wavefront6targetE0EEEvT1_.has_indirect_call, 0
	.section	.AMDGPU.csdata,"",@progbits
; Kernel info:
; codeLenInByte = 0
; TotalNumSgprs: 0
; NumVgprs: 0
; ScratchSize: 0
; MemoryBound: 0
; FloatMode: 240
; IeeeMode: 1
; LDSByteSize: 0 bytes/workgroup (compile time only)
; SGPRBlocks: 0
; VGPRBlocks: 0
; NumSGPRsForWavesPerEU: 1
; NumVGPRsForWavesPerEU: 1
; NamedBarCnt: 0
; Occupancy: 16
; WaveLimiterHint : 0
; COMPUTE_PGM_RSRC2:SCRATCH_EN: 0
; COMPUTE_PGM_RSRC2:USER_SGPR: 2
; COMPUTE_PGM_RSRC2:TRAP_HANDLER: 0
; COMPUTE_PGM_RSRC2:TGID_X_EN: 1
; COMPUTE_PGM_RSRC2:TGID_Y_EN: 0
; COMPUTE_PGM_RSRC2:TGID_Z_EN: 0
; COMPUTE_PGM_RSRC2:TIDIG_COMP_CNT: 0
	.section	.text._ZN7rocprim17ROCPRIM_400000_NS6detail17trampoline_kernelINS0_14default_configENS1_27scan_by_key_config_selectorIj11FixedVectorIiLj2EEEEZZNS1_16scan_by_key_implILNS1_25lookback_scan_determinismE0ELb1ES3_N6thrust23THRUST_200600_302600_NS6detail15normal_iteratorINSB_10device_ptrIjEEEENSD_INSE_IS6_EEEESI_S6_NSB_4plusIvEENSB_8equal_toIvEES6_EE10hipError_tPvRmT2_T3_T4_T5_mT6_T7_P12ihipStream_tbENKUlT_T0_E_clISt17integral_constantIbLb0EES13_EEDaSY_SZ_EUlSY_E_NS1_11comp_targetILNS1_3genE9ELNS1_11target_archE1100ELNS1_3gpuE3ELNS1_3repE0EEENS1_30default_config_static_selectorELNS0_4arch9wavefront6targetE0EEEvT1_,"axG",@progbits,_ZN7rocprim17ROCPRIM_400000_NS6detail17trampoline_kernelINS0_14default_configENS1_27scan_by_key_config_selectorIj11FixedVectorIiLj2EEEEZZNS1_16scan_by_key_implILNS1_25lookback_scan_determinismE0ELb1ES3_N6thrust23THRUST_200600_302600_NS6detail15normal_iteratorINSB_10device_ptrIjEEEENSD_INSE_IS6_EEEESI_S6_NSB_4plusIvEENSB_8equal_toIvEES6_EE10hipError_tPvRmT2_T3_T4_T5_mT6_T7_P12ihipStream_tbENKUlT_T0_E_clISt17integral_constantIbLb0EES13_EEDaSY_SZ_EUlSY_E_NS1_11comp_targetILNS1_3genE9ELNS1_11target_archE1100ELNS1_3gpuE3ELNS1_3repE0EEENS1_30default_config_static_selectorELNS0_4arch9wavefront6targetE0EEEvT1_,comdat
	.protected	_ZN7rocprim17ROCPRIM_400000_NS6detail17trampoline_kernelINS0_14default_configENS1_27scan_by_key_config_selectorIj11FixedVectorIiLj2EEEEZZNS1_16scan_by_key_implILNS1_25lookback_scan_determinismE0ELb1ES3_N6thrust23THRUST_200600_302600_NS6detail15normal_iteratorINSB_10device_ptrIjEEEENSD_INSE_IS6_EEEESI_S6_NSB_4plusIvEENSB_8equal_toIvEES6_EE10hipError_tPvRmT2_T3_T4_T5_mT6_T7_P12ihipStream_tbENKUlT_T0_E_clISt17integral_constantIbLb0EES13_EEDaSY_SZ_EUlSY_E_NS1_11comp_targetILNS1_3genE9ELNS1_11target_archE1100ELNS1_3gpuE3ELNS1_3repE0EEENS1_30default_config_static_selectorELNS0_4arch9wavefront6targetE0EEEvT1_ ; -- Begin function _ZN7rocprim17ROCPRIM_400000_NS6detail17trampoline_kernelINS0_14default_configENS1_27scan_by_key_config_selectorIj11FixedVectorIiLj2EEEEZZNS1_16scan_by_key_implILNS1_25lookback_scan_determinismE0ELb1ES3_N6thrust23THRUST_200600_302600_NS6detail15normal_iteratorINSB_10device_ptrIjEEEENSD_INSE_IS6_EEEESI_S6_NSB_4plusIvEENSB_8equal_toIvEES6_EE10hipError_tPvRmT2_T3_T4_T5_mT6_T7_P12ihipStream_tbENKUlT_T0_E_clISt17integral_constantIbLb0EES13_EEDaSY_SZ_EUlSY_E_NS1_11comp_targetILNS1_3genE9ELNS1_11target_archE1100ELNS1_3gpuE3ELNS1_3repE0EEENS1_30default_config_static_selectorELNS0_4arch9wavefront6targetE0EEEvT1_
	.globl	_ZN7rocprim17ROCPRIM_400000_NS6detail17trampoline_kernelINS0_14default_configENS1_27scan_by_key_config_selectorIj11FixedVectorIiLj2EEEEZZNS1_16scan_by_key_implILNS1_25lookback_scan_determinismE0ELb1ES3_N6thrust23THRUST_200600_302600_NS6detail15normal_iteratorINSB_10device_ptrIjEEEENSD_INSE_IS6_EEEESI_S6_NSB_4plusIvEENSB_8equal_toIvEES6_EE10hipError_tPvRmT2_T3_T4_T5_mT6_T7_P12ihipStream_tbENKUlT_T0_E_clISt17integral_constantIbLb0EES13_EEDaSY_SZ_EUlSY_E_NS1_11comp_targetILNS1_3genE9ELNS1_11target_archE1100ELNS1_3gpuE3ELNS1_3repE0EEENS1_30default_config_static_selectorELNS0_4arch9wavefront6targetE0EEEvT1_
	.p2align	8
	.type	_ZN7rocprim17ROCPRIM_400000_NS6detail17trampoline_kernelINS0_14default_configENS1_27scan_by_key_config_selectorIj11FixedVectorIiLj2EEEEZZNS1_16scan_by_key_implILNS1_25lookback_scan_determinismE0ELb1ES3_N6thrust23THRUST_200600_302600_NS6detail15normal_iteratorINSB_10device_ptrIjEEEENSD_INSE_IS6_EEEESI_S6_NSB_4plusIvEENSB_8equal_toIvEES6_EE10hipError_tPvRmT2_T3_T4_T5_mT6_T7_P12ihipStream_tbENKUlT_T0_E_clISt17integral_constantIbLb0EES13_EEDaSY_SZ_EUlSY_E_NS1_11comp_targetILNS1_3genE9ELNS1_11target_archE1100ELNS1_3gpuE3ELNS1_3repE0EEENS1_30default_config_static_selectorELNS0_4arch9wavefront6targetE0EEEvT1_,@function
_ZN7rocprim17ROCPRIM_400000_NS6detail17trampoline_kernelINS0_14default_configENS1_27scan_by_key_config_selectorIj11FixedVectorIiLj2EEEEZZNS1_16scan_by_key_implILNS1_25lookback_scan_determinismE0ELb1ES3_N6thrust23THRUST_200600_302600_NS6detail15normal_iteratorINSB_10device_ptrIjEEEENSD_INSE_IS6_EEEESI_S6_NSB_4plusIvEENSB_8equal_toIvEES6_EE10hipError_tPvRmT2_T3_T4_T5_mT6_T7_P12ihipStream_tbENKUlT_T0_E_clISt17integral_constantIbLb0EES13_EEDaSY_SZ_EUlSY_E_NS1_11comp_targetILNS1_3genE9ELNS1_11target_archE1100ELNS1_3gpuE3ELNS1_3repE0EEENS1_30default_config_static_selectorELNS0_4arch9wavefront6targetE0EEEvT1_: ; @_ZN7rocprim17ROCPRIM_400000_NS6detail17trampoline_kernelINS0_14default_configENS1_27scan_by_key_config_selectorIj11FixedVectorIiLj2EEEEZZNS1_16scan_by_key_implILNS1_25lookback_scan_determinismE0ELb1ES3_N6thrust23THRUST_200600_302600_NS6detail15normal_iteratorINSB_10device_ptrIjEEEENSD_INSE_IS6_EEEESI_S6_NSB_4plusIvEENSB_8equal_toIvEES6_EE10hipError_tPvRmT2_T3_T4_T5_mT6_T7_P12ihipStream_tbENKUlT_T0_E_clISt17integral_constantIbLb0EES13_EEDaSY_SZ_EUlSY_E_NS1_11comp_targetILNS1_3genE9ELNS1_11target_archE1100ELNS1_3gpuE3ELNS1_3repE0EEENS1_30default_config_static_selectorELNS0_4arch9wavefront6targetE0EEEvT1_
; %bb.0:
	.section	.rodata,"a",@progbits
	.p2align	6, 0x0
	.amdhsa_kernel _ZN7rocprim17ROCPRIM_400000_NS6detail17trampoline_kernelINS0_14default_configENS1_27scan_by_key_config_selectorIj11FixedVectorIiLj2EEEEZZNS1_16scan_by_key_implILNS1_25lookback_scan_determinismE0ELb1ES3_N6thrust23THRUST_200600_302600_NS6detail15normal_iteratorINSB_10device_ptrIjEEEENSD_INSE_IS6_EEEESI_S6_NSB_4plusIvEENSB_8equal_toIvEES6_EE10hipError_tPvRmT2_T3_T4_T5_mT6_T7_P12ihipStream_tbENKUlT_T0_E_clISt17integral_constantIbLb0EES13_EEDaSY_SZ_EUlSY_E_NS1_11comp_targetILNS1_3genE9ELNS1_11target_archE1100ELNS1_3gpuE3ELNS1_3repE0EEENS1_30default_config_static_selectorELNS0_4arch9wavefront6targetE0EEEvT1_
		.amdhsa_group_segment_fixed_size 0
		.amdhsa_private_segment_fixed_size 0
		.amdhsa_kernarg_size 120
		.amdhsa_user_sgpr_count 2
		.amdhsa_user_sgpr_dispatch_ptr 0
		.amdhsa_user_sgpr_queue_ptr 0
		.amdhsa_user_sgpr_kernarg_segment_ptr 1
		.amdhsa_user_sgpr_dispatch_id 0
		.amdhsa_user_sgpr_kernarg_preload_length 0
		.amdhsa_user_sgpr_kernarg_preload_offset 0
		.amdhsa_user_sgpr_private_segment_size 0
		.amdhsa_wavefront_size32 1
		.amdhsa_uses_dynamic_stack 0
		.amdhsa_enable_private_segment 0
		.amdhsa_system_sgpr_workgroup_id_x 1
		.amdhsa_system_sgpr_workgroup_id_y 0
		.amdhsa_system_sgpr_workgroup_id_z 0
		.amdhsa_system_sgpr_workgroup_info 0
		.amdhsa_system_vgpr_workitem_id 0
		.amdhsa_next_free_vgpr 1
		.amdhsa_next_free_sgpr 1
		.amdhsa_named_barrier_count 0
		.amdhsa_reserve_vcc 0
		.amdhsa_float_round_mode_32 0
		.amdhsa_float_round_mode_16_64 0
		.amdhsa_float_denorm_mode_32 3
		.amdhsa_float_denorm_mode_16_64 3
		.amdhsa_fp16_overflow 0
		.amdhsa_memory_ordered 1
		.amdhsa_forward_progress 1
		.amdhsa_inst_pref_size 0
		.amdhsa_round_robin_scheduling 0
		.amdhsa_exception_fp_ieee_invalid_op 0
		.amdhsa_exception_fp_denorm_src 0
		.amdhsa_exception_fp_ieee_div_zero 0
		.amdhsa_exception_fp_ieee_overflow 0
		.amdhsa_exception_fp_ieee_underflow 0
		.amdhsa_exception_fp_ieee_inexact 0
		.amdhsa_exception_int_div_zero 0
	.end_amdhsa_kernel
	.section	.text._ZN7rocprim17ROCPRIM_400000_NS6detail17trampoline_kernelINS0_14default_configENS1_27scan_by_key_config_selectorIj11FixedVectorIiLj2EEEEZZNS1_16scan_by_key_implILNS1_25lookback_scan_determinismE0ELb1ES3_N6thrust23THRUST_200600_302600_NS6detail15normal_iteratorINSB_10device_ptrIjEEEENSD_INSE_IS6_EEEESI_S6_NSB_4plusIvEENSB_8equal_toIvEES6_EE10hipError_tPvRmT2_T3_T4_T5_mT6_T7_P12ihipStream_tbENKUlT_T0_E_clISt17integral_constantIbLb0EES13_EEDaSY_SZ_EUlSY_E_NS1_11comp_targetILNS1_3genE9ELNS1_11target_archE1100ELNS1_3gpuE3ELNS1_3repE0EEENS1_30default_config_static_selectorELNS0_4arch9wavefront6targetE0EEEvT1_,"axG",@progbits,_ZN7rocprim17ROCPRIM_400000_NS6detail17trampoline_kernelINS0_14default_configENS1_27scan_by_key_config_selectorIj11FixedVectorIiLj2EEEEZZNS1_16scan_by_key_implILNS1_25lookback_scan_determinismE0ELb1ES3_N6thrust23THRUST_200600_302600_NS6detail15normal_iteratorINSB_10device_ptrIjEEEENSD_INSE_IS6_EEEESI_S6_NSB_4plusIvEENSB_8equal_toIvEES6_EE10hipError_tPvRmT2_T3_T4_T5_mT6_T7_P12ihipStream_tbENKUlT_T0_E_clISt17integral_constantIbLb0EES13_EEDaSY_SZ_EUlSY_E_NS1_11comp_targetILNS1_3genE9ELNS1_11target_archE1100ELNS1_3gpuE3ELNS1_3repE0EEENS1_30default_config_static_selectorELNS0_4arch9wavefront6targetE0EEEvT1_,comdat
.Lfunc_end2000:
	.size	_ZN7rocprim17ROCPRIM_400000_NS6detail17trampoline_kernelINS0_14default_configENS1_27scan_by_key_config_selectorIj11FixedVectorIiLj2EEEEZZNS1_16scan_by_key_implILNS1_25lookback_scan_determinismE0ELb1ES3_N6thrust23THRUST_200600_302600_NS6detail15normal_iteratorINSB_10device_ptrIjEEEENSD_INSE_IS6_EEEESI_S6_NSB_4plusIvEENSB_8equal_toIvEES6_EE10hipError_tPvRmT2_T3_T4_T5_mT6_T7_P12ihipStream_tbENKUlT_T0_E_clISt17integral_constantIbLb0EES13_EEDaSY_SZ_EUlSY_E_NS1_11comp_targetILNS1_3genE9ELNS1_11target_archE1100ELNS1_3gpuE3ELNS1_3repE0EEENS1_30default_config_static_selectorELNS0_4arch9wavefront6targetE0EEEvT1_, .Lfunc_end2000-_ZN7rocprim17ROCPRIM_400000_NS6detail17trampoline_kernelINS0_14default_configENS1_27scan_by_key_config_selectorIj11FixedVectorIiLj2EEEEZZNS1_16scan_by_key_implILNS1_25lookback_scan_determinismE0ELb1ES3_N6thrust23THRUST_200600_302600_NS6detail15normal_iteratorINSB_10device_ptrIjEEEENSD_INSE_IS6_EEEESI_S6_NSB_4plusIvEENSB_8equal_toIvEES6_EE10hipError_tPvRmT2_T3_T4_T5_mT6_T7_P12ihipStream_tbENKUlT_T0_E_clISt17integral_constantIbLb0EES13_EEDaSY_SZ_EUlSY_E_NS1_11comp_targetILNS1_3genE9ELNS1_11target_archE1100ELNS1_3gpuE3ELNS1_3repE0EEENS1_30default_config_static_selectorELNS0_4arch9wavefront6targetE0EEEvT1_
                                        ; -- End function
	.set _ZN7rocprim17ROCPRIM_400000_NS6detail17trampoline_kernelINS0_14default_configENS1_27scan_by_key_config_selectorIj11FixedVectorIiLj2EEEEZZNS1_16scan_by_key_implILNS1_25lookback_scan_determinismE0ELb1ES3_N6thrust23THRUST_200600_302600_NS6detail15normal_iteratorINSB_10device_ptrIjEEEENSD_INSE_IS6_EEEESI_S6_NSB_4plusIvEENSB_8equal_toIvEES6_EE10hipError_tPvRmT2_T3_T4_T5_mT6_T7_P12ihipStream_tbENKUlT_T0_E_clISt17integral_constantIbLb0EES13_EEDaSY_SZ_EUlSY_E_NS1_11comp_targetILNS1_3genE9ELNS1_11target_archE1100ELNS1_3gpuE3ELNS1_3repE0EEENS1_30default_config_static_selectorELNS0_4arch9wavefront6targetE0EEEvT1_.num_vgpr, 0
	.set _ZN7rocprim17ROCPRIM_400000_NS6detail17trampoline_kernelINS0_14default_configENS1_27scan_by_key_config_selectorIj11FixedVectorIiLj2EEEEZZNS1_16scan_by_key_implILNS1_25lookback_scan_determinismE0ELb1ES3_N6thrust23THRUST_200600_302600_NS6detail15normal_iteratorINSB_10device_ptrIjEEEENSD_INSE_IS6_EEEESI_S6_NSB_4plusIvEENSB_8equal_toIvEES6_EE10hipError_tPvRmT2_T3_T4_T5_mT6_T7_P12ihipStream_tbENKUlT_T0_E_clISt17integral_constantIbLb0EES13_EEDaSY_SZ_EUlSY_E_NS1_11comp_targetILNS1_3genE9ELNS1_11target_archE1100ELNS1_3gpuE3ELNS1_3repE0EEENS1_30default_config_static_selectorELNS0_4arch9wavefront6targetE0EEEvT1_.num_agpr, 0
	.set _ZN7rocprim17ROCPRIM_400000_NS6detail17trampoline_kernelINS0_14default_configENS1_27scan_by_key_config_selectorIj11FixedVectorIiLj2EEEEZZNS1_16scan_by_key_implILNS1_25lookback_scan_determinismE0ELb1ES3_N6thrust23THRUST_200600_302600_NS6detail15normal_iteratorINSB_10device_ptrIjEEEENSD_INSE_IS6_EEEESI_S6_NSB_4plusIvEENSB_8equal_toIvEES6_EE10hipError_tPvRmT2_T3_T4_T5_mT6_T7_P12ihipStream_tbENKUlT_T0_E_clISt17integral_constantIbLb0EES13_EEDaSY_SZ_EUlSY_E_NS1_11comp_targetILNS1_3genE9ELNS1_11target_archE1100ELNS1_3gpuE3ELNS1_3repE0EEENS1_30default_config_static_selectorELNS0_4arch9wavefront6targetE0EEEvT1_.numbered_sgpr, 0
	.set _ZN7rocprim17ROCPRIM_400000_NS6detail17trampoline_kernelINS0_14default_configENS1_27scan_by_key_config_selectorIj11FixedVectorIiLj2EEEEZZNS1_16scan_by_key_implILNS1_25lookback_scan_determinismE0ELb1ES3_N6thrust23THRUST_200600_302600_NS6detail15normal_iteratorINSB_10device_ptrIjEEEENSD_INSE_IS6_EEEESI_S6_NSB_4plusIvEENSB_8equal_toIvEES6_EE10hipError_tPvRmT2_T3_T4_T5_mT6_T7_P12ihipStream_tbENKUlT_T0_E_clISt17integral_constantIbLb0EES13_EEDaSY_SZ_EUlSY_E_NS1_11comp_targetILNS1_3genE9ELNS1_11target_archE1100ELNS1_3gpuE3ELNS1_3repE0EEENS1_30default_config_static_selectorELNS0_4arch9wavefront6targetE0EEEvT1_.num_named_barrier, 0
	.set _ZN7rocprim17ROCPRIM_400000_NS6detail17trampoline_kernelINS0_14default_configENS1_27scan_by_key_config_selectorIj11FixedVectorIiLj2EEEEZZNS1_16scan_by_key_implILNS1_25lookback_scan_determinismE0ELb1ES3_N6thrust23THRUST_200600_302600_NS6detail15normal_iteratorINSB_10device_ptrIjEEEENSD_INSE_IS6_EEEESI_S6_NSB_4plusIvEENSB_8equal_toIvEES6_EE10hipError_tPvRmT2_T3_T4_T5_mT6_T7_P12ihipStream_tbENKUlT_T0_E_clISt17integral_constantIbLb0EES13_EEDaSY_SZ_EUlSY_E_NS1_11comp_targetILNS1_3genE9ELNS1_11target_archE1100ELNS1_3gpuE3ELNS1_3repE0EEENS1_30default_config_static_selectorELNS0_4arch9wavefront6targetE0EEEvT1_.private_seg_size, 0
	.set _ZN7rocprim17ROCPRIM_400000_NS6detail17trampoline_kernelINS0_14default_configENS1_27scan_by_key_config_selectorIj11FixedVectorIiLj2EEEEZZNS1_16scan_by_key_implILNS1_25lookback_scan_determinismE0ELb1ES3_N6thrust23THRUST_200600_302600_NS6detail15normal_iteratorINSB_10device_ptrIjEEEENSD_INSE_IS6_EEEESI_S6_NSB_4plusIvEENSB_8equal_toIvEES6_EE10hipError_tPvRmT2_T3_T4_T5_mT6_T7_P12ihipStream_tbENKUlT_T0_E_clISt17integral_constantIbLb0EES13_EEDaSY_SZ_EUlSY_E_NS1_11comp_targetILNS1_3genE9ELNS1_11target_archE1100ELNS1_3gpuE3ELNS1_3repE0EEENS1_30default_config_static_selectorELNS0_4arch9wavefront6targetE0EEEvT1_.uses_vcc, 0
	.set _ZN7rocprim17ROCPRIM_400000_NS6detail17trampoline_kernelINS0_14default_configENS1_27scan_by_key_config_selectorIj11FixedVectorIiLj2EEEEZZNS1_16scan_by_key_implILNS1_25lookback_scan_determinismE0ELb1ES3_N6thrust23THRUST_200600_302600_NS6detail15normal_iteratorINSB_10device_ptrIjEEEENSD_INSE_IS6_EEEESI_S6_NSB_4plusIvEENSB_8equal_toIvEES6_EE10hipError_tPvRmT2_T3_T4_T5_mT6_T7_P12ihipStream_tbENKUlT_T0_E_clISt17integral_constantIbLb0EES13_EEDaSY_SZ_EUlSY_E_NS1_11comp_targetILNS1_3genE9ELNS1_11target_archE1100ELNS1_3gpuE3ELNS1_3repE0EEENS1_30default_config_static_selectorELNS0_4arch9wavefront6targetE0EEEvT1_.uses_flat_scratch, 0
	.set _ZN7rocprim17ROCPRIM_400000_NS6detail17trampoline_kernelINS0_14default_configENS1_27scan_by_key_config_selectorIj11FixedVectorIiLj2EEEEZZNS1_16scan_by_key_implILNS1_25lookback_scan_determinismE0ELb1ES3_N6thrust23THRUST_200600_302600_NS6detail15normal_iteratorINSB_10device_ptrIjEEEENSD_INSE_IS6_EEEESI_S6_NSB_4plusIvEENSB_8equal_toIvEES6_EE10hipError_tPvRmT2_T3_T4_T5_mT6_T7_P12ihipStream_tbENKUlT_T0_E_clISt17integral_constantIbLb0EES13_EEDaSY_SZ_EUlSY_E_NS1_11comp_targetILNS1_3genE9ELNS1_11target_archE1100ELNS1_3gpuE3ELNS1_3repE0EEENS1_30default_config_static_selectorELNS0_4arch9wavefront6targetE0EEEvT1_.has_dyn_sized_stack, 0
	.set _ZN7rocprim17ROCPRIM_400000_NS6detail17trampoline_kernelINS0_14default_configENS1_27scan_by_key_config_selectorIj11FixedVectorIiLj2EEEEZZNS1_16scan_by_key_implILNS1_25lookback_scan_determinismE0ELb1ES3_N6thrust23THRUST_200600_302600_NS6detail15normal_iteratorINSB_10device_ptrIjEEEENSD_INSE_IS6_EEEESI_S6_NSB_4plusIvEENSB_8equal_toIvEES6_EE10hipError_tPvRmT2_T3_T4_T5_mT6_T7_P12ihipStream_tbENKUlT_T0_E_clISt17integral_constantIbLb0EES13_EEDaSY_SZ_EUlSY_E_NS1_11comp_targetILNS1_3genE9ELNS1_11target_archE1100ELNS1_3gpuE3ELNS1_3repE0EEENS1_30default_config_static_selectorELNS0_4arch9wavefront6targetE0EEEvT1_.has_recursion, 0
	.set _ZN7rocprim17ROCPRIM_400000_NS6detail17trampoline_kernelINS0_14default_configENS1_27scan_by_key_config_selectorIj11FixedVectorIiLj2EEEEZZNS1_16scan_by_key_implILNS1_25lookback_scan_determinismE0ELb1ES3_N6thrust23THRUST_200600_302600_NS6detail15normal_iteratorINSB_10device_ptrIjEEEENSD_INSE_IS6_EEEESI_S6_NSB_4plusIvEENSB_8equal_toIvEES6_EE10hipError_tPvRmT2_T3_T4_T5_mT6_T7_P12ihipStream_tbENKUlT_T0_E_clISt17integral_constantIbLb0EES13_EEDaSY_SZ_EUlSY_E_NS1_11comp_targetILNS1_3genE9ELNS1_11target_archE1100ELNS1_3gpuE3ELNS1_3repE0EEENS1_30default_config_static_selectorELNS0_4arch9wavefront6targetE0EEEvT1_.has_indirect_call, 0
	.section	.AMDGPU.csdata,"",@progbits
; Kernel info:
; codeLenInByte = 0
; TotalNumSgprs: 0
; NumVgprs: 0
; ScratchSize: 0
; MemoryBound: 0
; FloatMode: 240
; IeeeMode: 1
; LDSByteSize: 0 bytes/workgroup (compile time only)
; SGPRBlocks: 0
; VGPRBlocks: 0
; NumSGPRsForWavesPerEU: 1
; NumVGPRsForWavesPerEU: 1
; NamedBarCnt: 0
; Occupancy: 16
; WaveLimiterHint : 0
; COMPUTE_PGM_RSRC2:SCRATCH_EN: 0
; COMPUTE_PGM_RSRC2:USER_SGPR: 2
; COMPUTE_PGM_RSRC2:TRAP_HANDLER: 0
; COMPUTE_PGM_RSRC2:TGID_X_EN: 1
; COMPUTE_PGM_RSRC2:TGID_Y_EN: 0
; COMPUTE_PGM_RSRC2:TGID_Z_EN: 0
; COMPUTE_PGM_RSRC2:TIDIG_COMP_CNT: 0
	.section	.text._ZN7rocprim17ROCPRIM_400000_NS6detail17trampoline_kernelINS0_14default_configENS1_27scan_by_key_config_selectorIj11FixedVectorIiLj2EEEEZZNS1_16scan_by_key_implILNS1_25lookback_scan_determinismE0ELb1ES3_N6thrust23THRUST_200600_302600_NS6detail15normal_iteratorINSB_10device_ptrIjEEEENSD_INSE_IS6_EEEESI_S6_NSB_4plusIvEENSB_8equal_toIvEES6_EE10hipError_tPvRmT2_T3_T4_T5_mT6_T7_P12ihipStream_tbENKUlT_T0_E_clISt17integral_constantIbLb0EES13_EEDaSY_SZ_EUlSY_E_NS1_11comp_targetILNS1_3genE8ELNS1_11target_archE1030ELNS1_3gpuE2ELNS1_3repE0EEENS1_30default_config_static_selectorELNS0_4arch9wavefront6targetE0EEEvT1_,"axG",@progbits,_ZN7rocprim17ROCPRIM_400000_NS6detail17trampoline_kernelINS0_14default_configENS1_27scan_by_key_config_selectorIj11FixedVectorIiLj2EEEEZZNS1_16scan_by_key_implILNS1_25lookback_scan_determinismE0ELb1ES3_N6thrust23THRUST_200600_302600_NS6detail15normal_iteratorINSB_10device_ptrIjEEEENSD_INSE_IS6_EEEESI_S6_NSB_4plusIvEENSB_8equal_toIvEES6_EE10hipError_tPvRmT2_T3_T4_T5_mT6_T7_P12ihipStream_tbENKUlT_T0_E_clISt17integral_constantIbLb0EES13_EEDaSY_SZ_EUlSY_E_NS1_11comp_targetILNS1_3genE8ELNS1_11target_archE1030ELNS1_3gpuE2ELNS1_3repE0EEENS1_30default_config_static_selectorELNS0_4arch9wavefront6targetE0EEEvT1_,comdat
	.protected	_ZN7rocprim17ROCPRIM_400000_NS6detail17trampoline_kernelINS0_14default_configENS1_27scan_by_key_config_selectorIj11FixedVectorIiLj2EEEEZZNS1_16scan_by_key_implILNS1_25lookback_scan_determinismE0ELb1ES3_N6thrust23THRUST_200600_302600_NS6detail15normal_iteratorINSB_10device_ptrIjEEEENSD_INSE_IS6_EEEESI_S6_NSB_4plusIvEENSB_8equal_toIvEES6_EE10hipError_tPvRmT2_T3_T4_T5_mT6_T7_P12ihipStream_tbENKUlT_T0_E_clISt17integral_constantIbLb0EES13_EEDaSY_SZ_EUlSY_E_NS1_11comp_targetILNS1_3genE8ELNS1_11target_archE1030ELNS1_3gpuE2ELNS1_3repE0EEENS1_30default_config_static_selectorELNS0_4arch9wavefront6targetE0EEEvT1_ ; -- Begin function _ZN7rocprim17ROCPRIM_400000_NS6detail17trampoline_kernelINS0_14default_configENS1_27scan_by_key_config_selectorIj11FixedVectorIiLj2EEEEZZNS1_16scan_by_key_implILNS1_25lookback_scan_determinismE0ELb1ES3_N6thrust23THRUST_200600_302600_NS6detail15normal_iteratorINSB_10device_ptrIjEEEENSD_INSE_IS6_EEEESI_S6_NSB_4plusIvEENSB_8equal_toIvEES6_EE10hipError_tPvRmT2_T3_T4_T5_mT6_T7_P12ihipStream_tbENKUlT_T0_E_clISt17integral_constantIbLb0EES13_EEDaSY_SZ_EUlSY_E_NS1_11comp_targetILNS1_3genE8ELNS1_11target_archE1030ELNS1_3gpuE2ELNS1_3repE0EEENS1_30default_config_static_selectorELNS0_4arch9wavefront6targetE0EEEvT1_
	.globl	_ZN7rocprim17ROCPRIM_400000_NS6detail17trampoline_kernelINS0_14default_configENS1_27scan_by_key_config_selectorIj11FixedVectorIiLj2EEEEZZNS1_16scan_by_key_implILNS1_25lookback_scan_determinismE0ELb1ES3_N6thrust23THRUST_200600_302600_NS6detail15normal_iteratorINSB_10device_ptrIjEEEENSD_INSE_IS6_EEEESI_S6_NSB_4plusIvEENSB_8equal_toIvEES6_EE10hipError_tPvRmT2_T3_T4_T5_mT6_T7_P12ihipStream_tbENKUlT_T0_E_clISt17integral_constantIbLb0EES13_EEDaSY_SZ_EUlSY_E_NS1_11comp_targetILNS1_3genE8ELNS1_11target_archE1030ELNS1_3gpuE2ELNS1_3repE0EEENS1_30default_config_static_selectorELNS0_4arch9wavefront6targetE0EEEvT1_
	.p2align	8
	.type	_ZN7rocprim17ROCPRIM_400000_NS6detail17trampoline_kernelINS0_14default_configENS1_27scan_by_key_config_selectorIj11FixedVectorIiLj2EEEEZZNS1_16scan_by_key_implILNS1_25lookback_scan_determinismE0ELb1ES3_N6thrust23THRUST_200600_302600_NS6detail15normal_iteratorINSB_10device_ptrIjEEEENSD_INSE_IS6_EEEESI_S6_NSB_4plusIvEENSB_8equal_toIvEES6_EE10hipError_tPvRmT2_T3_T4_T5_mT6_T7_P12ihipStream_tbENKUlT_T0_E_clISt17integral_constantIbLb0EES13_EEDaSY_SZ_EUlSY_E_NS1_11comp_targetILNS1_3genE8ELNS1_11target_archE1030ELNS1_3gpuE2ELNS1_3repE0EEENS1_30default_config_static_selectorELNS0_4arch9wavefront6targetE0EEEvT1_,@function
_ZN7rocprim17ROCPRIM_400000_NS6detail17trampoline_kernelINS0_14default_configENS1_27scan_by_key_config_selectorIj11FixedVectorIiLj2EEEEZZNS1_16scan_by_key_implILNS1_25lookback_scan_determinismE0ELb1ES3_N6thrust23THRUST_200600_302600_NS6detail15normal_iteratorINSB_10device_ptrIjEEEENSD_INSE_IS6_EEEESI_S6_NSB_4plusIvEENSB_8equal_toIvEES6_EE10hipError_tPvRmT2_T3_T4_T5_mT6_T7_P12ihipStream_tbENKUlT_T0_E_clISt17integral_constantIbLb0EES13_EEDaSY_SZ_EUlSY_E_NS1_11comp_targetILNS1_3genE8ELNS1_11target_archE1030ELNS1_3gpuE2ELNS1_3repE0EEENS1_30default_config_static_selectorELNS0_4arch9wavefront6targetE0EEEvT1_: ; @_ZN7rocprim17ROCPRIM_400000_NS6detail17trampoline_kernelINS0_14default_configENS1_27scan_by_key_config_selectorIj11FixedVectorIiLj2EEEEZZNS1_16scan_by_key_implILNS1_25lookback_scan_determinismE0ELb1ES3_N6thrust23THRUST_200600_302600_NS6detail15normal_iteratorINSB_10device_ptrIjEEEENSD_INSE_IS6_EEEESI_S6_NSB_4plusIvEENSB_8equal_toIvEES6_EE10hipError_tPvRmT2_T3_T4_T5_mT6_T7_P12ihipStream_tbENKUlT_T0_E_clISt17integral_constantIbLb0EES13_EEDaSY_SZ_EUlSY_E_NS1_11comp_targetILNS1_3genE8ELNS1_11target_archE1030ELNS1_3gpuE2ELNS1_3repE0EEENS1_30default_config_static_selectorELNS0_4arch9wavefront6targetE0EEEvT1_
; %bb.0:
	.section	.rodata,"a",@progbits
	.p2align	6, 0x0
	.amdhsa_kernel _ZN7rocprim17ROCPRIM_400000_NS6detail17trampoline_kernelINS0_14default_configENS1_27scan_by_key_config_selectorIj11FixedVectorIiLj2EEEEZZNS1_16scan_by_key_implILNS1_25lookback_scan_determinismE0ELb1ES3_N6thrust23THRUST_200600_302600_NS6detail15normal_iteratorINSB_10device_ptrIjEEEENSD_INSE_IS6_EEEESI_S6_NSB_4plusIvEENSB_8equal_toIvEES6_EE10hipError_tPvRmT2_T3_T4_T5_mT6_T7_P12ihipStream_tbENKUlT_T0_E_clISt17integral_constantIbLb0EES13_EEDaSY_SZ_EUlSY_E_NS1_11comp_targetILNS1_3genE8ELNS1_11target_archE1030ELNS1_3gpuE2ELNS1_3repE0EEENS1_30default_config_static_selectorELNS0_4arch9wavefront6targetE0EEEvT1_
		.amdhsa_group_segment_fixed_size 0
		.amdhsa_private_segment_fixed_size 0
		.amdhsa_kernarg_size 120
		.amdhsa_user_sgpr_count 2
		.amdhsa_user_sgpr_dispatch_ptr 0
		.amdhsa_user_sgpr_queue_ptr 0
		.amdhsa_user_sgpr_kernarg_segment_ptr 1
		.amdhsa_user_sgpr_dispatch_id 0
		.amdhsa_user_sgpr_kernarg_preload_length 0
		.amdhsa_user_sgpr_kernarg_preload_offset 0
		.amdhsa_user_sgpr_private_segment_size 0
		.amdhsa_wavefront_size32 1
		.amdhsa_uses_dynamic_stack 0
		.amdhsa_enable_private_segment 0
		.amdhsa_system_sgpr_workgroup_id_x 1
		.amdhsa_system_sgpr_workgroup_id_y 0
		.amdhsa_system_sgpr_workgroup_id_z 0
		.amdhsa_system_sgpr_workgroup_info 0
		.amdhsa_system_vgpr_workitem_id 0
		.amdhsa_next_free_vgpr 1
		.amdhsa_next_free_sgpr 1
		.amdhsa_named_barrier_count 0
		.amdhsa_reserve_vcc 0
		.amdhsa_float_round_mode_32 0
		.amdhsa_float_round_mode_16_64 0
		.amdhsa_float_denorm_mode_32 3
		.amdhsa_float_denorm_mode_16_64 3
		.amdhsa_fp16_overflow 0
		.amdhsa_memory_ordered 1
		.amdhsa_forward_progress 1
		.amdhsa_inst_pref_size 0
		.amdhsa_round_robin_scheduling 0
		.amdhsa_exception_fp_ieee_invalid_op 0
		.amdhsa_exception_fp_denorm_src 0
		.amdhsa_exception_fp_ieee_div_zero 0
		.amdhsa_exception_fp_ieee_overflow 0
		.amdhsa_exception_fp_ieee_underflow 0
		.amdhsa_exception_fp_ieee_inexact 0
		.amdhsa_exception_int_div_zero 0
	.end_amdhsa_kernel
	.section	.text._ZN7rocprim17ROCPRIM_400000_NS6detail17trampoline_kernelINS0_14default_configENS1_27scan_by_key_config_selectorIj11FixedVectorIiLj2EEEEZZNS1_16scan_by_key_implILNS1_25lookback_scan_determinismE0ELb1ES3_N6thrust23THRUST_200600_302600_NS6detail15normal_iteratorINSB_10device_ptrIjEEEENSD_INSE_IS6_EEEESI_S6_NSB_4plusIvEENSB_8equal_toIvEES6_EE10hipError_tPvRmT2_T3_T4_T5_mT6_T7_P12ihipStream_tbENKUlT_T0_E_clISt17integral_constantIbLb0EES13_EEDaSY_SZ_EUlSY_E_NS1_11comp_targetILNS1_3genE8ELNS1_11target_archE1030ELNS1_3gpuE2ELNS1_3repE0EEENS1_30default_config_static_selectorELNS0_4arch9wavefront6targetE0EEEvT1_,"axG",@progbits,_ZN7rocprim17ROCPRIM_400000_NS6detail17trampoline_kernelINS0_14default_configENS1_27scan_by_key_config_selectorIj11FixedVectorIiLj2EEEEZZNS1_16scan_by_key_implILNS1_25lookback_scan_determinismE0ELb1ES3_N6thrust23THRUST_200600_302600_NS6detail15normal_iteratorINSB_10device_ptrIjEEEENSD_INSE_IS6_EEEESI_S6_NSB_4plusIvEENSB_8equal_toIvEES6_EE10hipError_tPvRmT2_T3_T4_T5_mT6_T7_P12ihipStream_tbENKUlT_T0_E_clISt17integral_constantIbLb0EES13_EEDaSY_SZ_EUlSY_E_NS1_11comp_targetILNS1_3genE8ELNS1_11target_archE1030ELNS1_3gpuE2ELNS1_3repE0EEENS1_30default_config_static_selectorELNS0_4arch9wavefront6targetE0EEEvT1_,comdat
.Lfunc_end2001:
	.size	_ZN7rocprim17ROCPRIM_400000_NS6detail17trampoline_kernelINS0_14default_configENS1_27scan_by_key_config_selectorIj11FixedVectorIiLj2EEEEZZNS1_16scan_by_key_implILNS1_25lookback_scan_determinismE0ELb1ES3_N6thrust23THRUST_200600_302600_NS6detail15normal_iteratorINSB_10device_ptrIjEEEENSD_INSE_IS6_EEEESI_S6_NSB_4plusIvEENSB_8equal_toIvEES6_EE10hipError_tPvRmT2_T3_T4_T5_mT6_T7_P12ihipStream_tbENKUlT_T0_E_clISt17integral_constantIbLb0EES13_EEDaSY_SZ_EUlSY_E_NS1_11comp_targetILNS1_3genE8ELNS1_11target_archE1030ELNS1_3gpuE2ELNS1_3repE0EEENS1_30default_config_static_selectorELNS0_4arch9wavefront6targetE0EEEvT1_, .Lfunc_end2001-_ZN7rocprim17ROCPRIM_400000_NS6detail17trampoline_kernelINS0_14default_configENS1_27scan_by_key_config_selectorIj11FixedVectorIiLj2EEEEZZNS1_16scan_by_key_implILNS1_25lookback_scan_determinismE0ELb1ES3_N6thrust23THRUST_200600_302600_NS6detail15normal_iteratorINSB_10device_ptrIjEEEENSD_INSE_IS6_EEEESI_S6_NSB_4plusIvEENSB_8equal_toIvEES6_EE10hipError_tPvRmT2_T3_T4_T5_mT6_T7_P12ihipStream_tbENKUlT_T0_E_clISt17integral_constantIbLb0EES13_EEDaSY_SZ_EUlSY_E_NS1_11comp_targetILNS1_3genE8ELNS1_11target_archE1030ELNS1_3gpuE2ELNS1_3repE0EEENS1_30default_config_static_selectorELNS0_4arch9wavefront6targetE0EEEvT1_
                                        ; -- End function
	.set _ZN7rocprim17ROCPRIM_400000_NS6detail17trampoline_kernelINS0_14default_configENS1_27scan_by_key_config_selectorIj11FixedVectorIiLj2EEEEZZNS1_16scan_by_key_implILNS1_25lookback_scan_determinismE0ELb1ES3_N6thrust23THRUST_200600_302600_NS6detail15normal_iteratorINSB_10device_ptrIjEEEENSD_INSE_IS6_EEEESI_S6_NSB_4plusIvEENSB_8equal_toIvEES6_EE10hipError_tPvRmT2_T3_T4_T5_mT6_T7_P12ihipStream_tbENKUlT_T0_E_clISt17integral_constantIbLb0EES13_EEDaSY_SZ_EUlSY_E_NS1_11comp_targetILNS1_3genE8ELNS1_11target_archE1030ELNS1_3gpuE2ELNS1_3repE0EEENS1_30default_config_static_selectorELNS0_4arch9wavefront6targetE0EEEvT1_.num_vgpr, 0
	.set _ZN7rocprim17ROCPRIM_400000_NS6detail17trampoline_kernelINS0_14default_configENS1_27scan_by_key_config_selectorIj11FixedVectorIiLj2EEEEZZNS1_16scan_by_key_implILNS1_25lookback_scan_determinismE0ELb1ES3_N6thrust23THRUST_200600_302600_NS6detail15normal_iteratorINSB_10device_ptrIjEEEENSD_INSE_IS6_EEEESI_S6_NSB_4plusIvEENSB_8equal_toIvEES6_EE10hipError_tPvRmT2_T3_T4_T5_mT6_T7_P12ihipStream_tbENKUlT_T0_E_clISt17integral_constantIbLb0EES13_EEDaSY_SZ_EUlSY_E_NS1_11comp_targetILNS1_3genE8ELNS1_11target_archE1030ELNS1_3gpuE2ELNS1_3repE0EEENS1_30default_config_static_selectorELNS0_4arch9wavefront6targetE0EEEvT1_.num_agpr, 0
	.set _ZN7rocprim17ROCPRIM_400000_NS6detail17trampoline_kernelINS0_14default_configENS1_27scan_by_key_config_selectorIj11FixedVectorIiLj2EEEEZZNS1_16scan_by_key_implILNS1_25lookback_scan_determinismE0ELb1ES3_N6thrust23THRUST_200600_302600_NS6detail15normal_iteratorINSB_10device_ptrIjEEEENSD_INSE_IS6_EEEESI_S6_NSB_4plusIvEENSB_8equal_toIvEES6_EE10hipError_tPvRmT2_T3_T4_T5_mT6_T7_P12ihipStream_tbENKUlT_T0_E_clISt17integral_constantIbLb0EES13_EEDaSY_SZ_EUlSY_E_NS1_11comp_targetILNS1_3genE8ELNS1_11target_archE1030ELNS1_3gpuE2ELNS1_3repE0EEENS1_30default_config_static_selectorELNS0_4arch9wavefront6targetE0EEEvT1_.numbered_sgpr, 0
	.set _ZN7rocprim17ROCPRIM_400000_NS6detail17trampoline_kernelINS0_14default_configENS1_27scan_by_key_config_selectorIj11FixedVectorIiLj2EEEEZZNS1_16scan_by_key_implILNS1_25lookback_scan_determinismE0ELb1ES3_N6thrust23THRUST_200600_302600_NS6detail15normal_iteratorINSB_10device_ptrIjEEEENSD_INSE_IS6_EEEESI_S6_NSB_4plusIvEENSB_8equal_toIvEES6_EE10hipError_tPvRmT2_T3_T4_T5_mT6_T7_P12ihipStream_tbENKUlT_T0_E_clISt17integral_constantIbLb0EES13_EEDaSY_SZ_EUlSY_E_NS1_11comp_targetILNS1_3genE8ELNS1_11target_archE1030ELNS1_3gpuE2ELNS1_3repE0EEENS1_30default_config_static_selectorELNS0_4arch9wavefront6targetE0EEEvT1_.num_named_barrier, 0
	.set _ZN7rocprim17ROCPRIM_400000_NS6detail17trampoline_kernelINS0_14default_configENS1_27scan_by_key_config_selectorIj11FixedVectorIiLj2EEEEZZNS1_16scan_by_key_implILNS1_25lookback_scan_determinismE0ELb1ES3_N6thrust23THRUST_200600_302600_NS6detail15normal_iteratorINSB_10device_ptrIjEEEENSD_INSE_IS6_EEEESI_S6_NSB_4plusIvEENSB_8equal_toIvEES6_EE10hipError_tPvRmT2_T3_T4_T5_mT6_T7_P12ihipStream_tbENKUlT_T0_E_clISt17integral_constantIbLb0EES13_EEDaSY_SZ_EUlSY_E_NS1_11comp_targetILNS1_3genE8ELNS1_11target_archE1030ELNS1_3gpuE2ELNS1_3repE0EEENS1_30default_config_static_selectorELNS0_4arch9wavefront6targetE0EEEvT1_.private_seg_size, 0
	.set _ZN7rocprim17ROCPRIM_400000_NS6detail17trampoline_kernelINS0_14default_configENS1_27scan_by_key_config_selectorIj11FixedVectorIiLj2EEEEZZNS1_16scan_by_key_implILNS1_25lookback_scan_determinismE0ELb1ES3_N6thrust23THRUST_200600_302600_NS6detail15normal_iteratorINSB_10device_ptrIjEEEENSD_INSE_IS6_EEEESI_S6_NSB_4plusIvEENSB_8equal_toIvEES6_EE10hipError_tPvRmT2_T3_T4_T5_mT6_T7_P12ihipStream_tbENKUlT_T0_E_clISt17integral_constantIbLb0EES13_EEDaSY_SZ_EUlSY_E_NS1_11comp_targetILNS1_3genE8ELNS1_11target_archE1030ELNS1_3gpuE2ELNS1_3repE0EEENS1_30default_config_static_selectorELNS0_4arch9wavefront6targetE0EEEvT1_.uses_vcc, 0
	.set _ZN7rocprim17ROCPRIM_400000_NS6detail17trampoline_kernelINS0_14default_configENS1_27scan_by_key_config_selectorIj11FixedVectorIiLj2EEEEZZNS1_16scan_by_key_implILNS1_25lookback_scan_determinismE0ELb1ES3_N6thrust23THRUST_200600_302600_NS6detail15normal_iteratorINSB_10device_ptrIjEEEENSD_INSE_IS6_EEEESI_S6_NSB_4plusIvEENSB_8equal_toIvEES6_EE10hipError_tPvRmT2_T3_T4_T5_mT6_T7_P12ihipStream_tbENKUlT_T0_E_clISt17integral_constantIbLb0EES13_EEDaSY_SZ_EUlSY_E_NS1_11comp_targetILNS1_3genE8ELNS1_11target_archE1030ELNS1_3gpuE2ELNS1_3repE0EEENS1_30default_config_static_selectorELNS0_4arch9wavefront6targetE0EEEvT1_.uses_flat_scratch, 0
	.set _ZN7rocprim17ROCPRIM_400000_NS6detail17trampoline_kernelINS0_14default_configENS1_27scan_by_key_config_selectorIj11FixedVectorIiLj2EEEEZZNS1_16scan_by_key_implILNS1_25lookback_scan_determinismE0ELb1ES3_N6thrust23THRUST_200600_302600_NS6detail15normal_iteratorINSB_10device_ptrIjEEEENSD_INSE_IS6_EEEESI_S6_NSB_4plusIvEENSB_8equal_toIvEES6_EE10hipError_tPvRmT2_T3_T4_T5_mT6_T7_P12ihipStream_tbENKUlT_T0_E_clISt17integral_constantIbLb0EES13_EEDaSY_SZ_EUlSY_E_NS1_11comp_targetILNS1_3genE8ELNS1_11target_archE1030ELNS1_3gpuE2ELNS1_3repE0EEENS1_30default_config_static_selectorELNS0_4arch9wavefront6targetE0EEEvT1_.has_dyn_sized_stack, 0
	.set _ZN7rocprim17ROCPRIM_400000_NS6detail17trampoline_kernelINS0_14default_configENS1_27scan_by_key_config_selectorIj11FixedVectorIiLj2EEEEZZNS1_16scan_by_key_implILNS1_25lookback_scan_determinismE0ELb1ES3_N6thrust23THRUST_200600_302600_NS6detail15normal_iteratorINSB_10device_ptrIjEEEENSD_INSE_IS6_EEEESI_S6_NSB_4plusIvEENSB_8equal_toIvEES6_EE10hipError_tPvRmT2_T3_T4_T5_mT6_T7_P12ihipStream_tbENKUlT_T0_E_clISt17integral_constantIbLb0EES13_EEDaSY_SZ_EUlSY_E_NS1_11comp_targetILNS1_3genE8ELNS1_11target_archE1030ELNS1_3gpuE2ELNS1_3repE0EEENS1_30default_config_static_selectorELNS0_4arch9wavefront6targetE0EEEvT1_.has_recursion, 0
	.set _ZN7rocprim17ROCPRIM_400000_NS6detail17trampoline_kernelINS0_14default_configENS1_27scan_by_key_config_selectorIj11FixedVectorIiLj2EEEEZZNS1_16scan_by_key_implILNS1_25lookback_scan_determinismE0ELb1ES3_N6thrust23THRUST_200600_302600_NS6detail15normal_iteratorINSB_10device_ptrIjEEEENSD_INSE_IS6_EEEESI_S6_NSB_4plusIvEENSB_8equal_toIvEES6_EE10hipError_tPvRmT2_T3_T4_T5_mT6_T7_P12ihipStream_tbENKUlT_T0_E_clISt17integral_constantIbLb0EES13_EEDaSY_SZ_EUlSY_E_NS1_11comp_targetILNS1_3genE8ELNS1_11target_archE1030ELNS1_3gpuE2ELNS1_3repE0EEENS1_30default_config_static_selectorELNS0_4arch9wavefront6targetE0EEEvT1_.has_indirect_call, 0
	.section	.AMDGPU.csdata,"",@progbits
; Kernel info:
; codeLenInByte = 0
; TotalNumSgprs: 0
; NumVgprs: 0
; ScratchSize: 0
; MemoryBound: 0
; FloatMode: 240
; IeeeMode: 1
; LDSByteSize: 0 bytes/workgroup (compile time only)
; SGPRBlocks: 0
; VGPRBlocks: 0
; NumSGPRsForWavesPerEU: 1
; NumVGPRsForWavesPerEU: 1
; NamedBarCnt: 0
; Occupancy: 16
; WaveLimiterHint : 0
; COMPUTE_PGM_RSRC2:SCRATCH_EN: 0
; COMPUTE_PGM_RSRC2:USER_SGPR: 2
; COMPUTE_PGM_RSRC2:TRAP_HANDLER: 0
; COMPUTE_PGM_RSRC2:TGID_X_EN: 1
; COMPUTE_PGM_RSRC2:TGID_Y_EN: 0
; COMPUTE_PGM_RSRC2:TGID_Z_EN: 0
; COMPUTE_PGM_RSRC2:TIDIG_COMP_CNT: 0
	.section	.text._ZN7rocprim17ROCPRIM_400000_NS6detail17trampoline_kernelINS0_14default_configENS1_27scan_by_key_config_selectorIj11FixedVectorIiLj2EEEEZZNS1_16scan_by_key_implILNS1_25lookback_scan_determinismE0ELb1ES3_N6thrust23THRUST_200600_302600_NS6detail15normal_iteratorINSB_10device_ptrIjEEEENSD_INSE_IS6_EEEESI_S6_NSB_4plusIvEENSB_8equal_toIvEES6_EE10hipError_tPvRmT2_T3_T4_T5_mT6_T7_P12ihipStream_tbENKUlT_T0_E_clISt17integral_constantIbLb1EES13_EEDaSY_SZ_EUlSY_E_NS1_11comp_targetILNS1_3genE0ELNS1_11target_archE4294967295ELNS1_3gpuE0ELNS1_3repE0EEENS1_30default_config_static_selectorELNS0_4arch9wavefront6targetE0EEEvT1_,"axG",@progbits,_ZN7rocprim17ROCPRIM_400000_NS6detail17trampoline_kernelINS0_14default_configENS1_27scan_by_key_config_selectorIj11FixedVectorIiLj2EEEEZZNS1_16scan_by_key_implILNS1_25lookback_scan_determinismE0ELb1ES3_N6thrust23THRUST_200600_302600_NS6detail15normal_iteratorINSB_10device_ptrIjEEEENSD_INSE_IS6_EEEESI_S6_NSB_4plusIvEENSB_8equal_toIvEES6_EE10hipError_tPvRmT2_T3_T4_T5_mT6_T7_P12ihipStream_tbENKUlT_T0_E_clISt17integral_constantIbLb1EES13_EEDaSY_SZ_EUlSY_E_NS1_11comp_targetILNS1_3genE0ELNS1_11target_archE4294967295ELNS1_3gpuE0ELNS1_3repE0EEENS1_30default_config_static_selectorELNS0_4arch9wavefront6targetE0EEEvT1_,comdat
	.protected	_ZN7rocprim17ROCPRIM_400000_NS6detail17trampoline_kernelINS0_14default_configENS1_27scan_by_key_config_selectorIj11FixedVectorIiLj2EEEEZZNS1_16scan_by_key_implILNS1_25lookback_scan_determinismE0ELb1ES3_N6thrust23THRUST_200600_302600_NS6detail15normal_iteratorINSB_10device_ptrIjEEEENSD_INSE_IS6_EEEESI_S6_NSB_4plusIvEENSB_8equal_toIvEES6_EE10hipError_tPvRmT2_T3_T4_T5_mT6_T7_P12ihipStream_tbENKUlT_T0_E_clISt17integral_constantIbLb1EES13_EEDaSY_SZ_EUlSY_E_NS1_11comp_targetILNS1_3genE0ELNS1_11target_archE4294967295ELNS1_3gpuE0ELNS1_3repE0EEENS1_30default_config_static_selectorELNS0_4arch9wavefront6targetE0EEEvT1_ ; -- Begin function _ZN7rocprim17ROCPRIM_400000_NS6detail17trampoline_kernelINS0_14default_configENS1_27scan_by_key_config_selectorIj11FixedVectorIiLj2EEEEZZNS1_16scan_by_key_implILNS1_25lookback_scan_determinismE0ELb1ES3_N6thrust23THRUST_200600_302600_NS6detail15normal_iteratorINSB_10device_ptrIjEEEENSD_INSE_IS6_EEEESI_S6_NSB_4plusIvEENSB_8equal_toIvEES6_EE10hipError_tPvRmT2_T3_T4_T5_mT6_T7_P12ihipStream_tbENKUlT_T0_E_clISt17integral_constantIbLb1EES13_EEDaSY_SZ_EUlSY_E_NS1_11comp_targetILNS1_3genE0ELNS1_11target_archE4294967295ELNS1_3gpuE0ELNS1_3repE0EEENS1_30default_config_static_selectorELNS0_4arch9wavefront6targetE0EEEvT1_
	.globl	_ZN7rocprim17ROCPRIM_400000_NS6detail17trampoline_kernelINS0_14default_configENS1_27scan_by_key_config_selectorIj11FixedVectorIiLj2EEEEZZNS1_16scan_by_key_implILNS1_25lookback_scan_determinismE0ELb1ES3_N6thrust23THRUST_200600_302600_NS6detail15normal_iteratorINSB_10device_ptrIjEEEENSD_INSE_IS6_EEEESI_S6_NSB_4plusIvEENSB_8equal_toIvEES6_EE10hipError_tPvRmT2_T3_T4_T5_mT6_T7_P12ihipStream_tbENKUlT_T0_E_clISt17integral_constantIbLb1EES13_EEDaSY_SZ_EUlSY_E_NS1_11comp_targetILNS1_3genE0ELNS1_11target_archE4294967295ELNS1_3gpuE0ELNS1_3repE0EEENS1_30default_config_static_selectorELNS0_4arch9wavefront6targetE0EEEvT1_
	.p2align	8
	.type	_ZN7rocprim17ROCPRIM_400000_NS6detail17trampoline_kernelINS0_14default_configENS1_27scan_by_key_config_selectorIj11FixedVectorIiLj2EEEEZZNS1_16scan_by_key_implILNS1_25lookback_scan_determinismE0ELb1ES3_N6thrust23THRUST_200600_302600_NS6detail15normal_iteratorINSB_10device_ptrIjEEEENSD_INSE_IS6_EEEESI_S6_NSB_4plusIvEENSB_8equal_toIvEES6_EE10hipError_tPvRmT2_T3_T4_T5_mT6_T7_P12ihipStream_tbENKUlT_T0_E_clISt17integral_constantIbLb1EES13_EEDaSY_SZ_EUlSY_E_NS1_11comp_targetILNS1_3genE0ELNS1_11target_archE4294967295ELNS1_3gpuE0ELNS1_3repE0EEENS1_30default_config_static_selectorELNS0_4arch9wavefront6targetE0EEEvT1_,@function
_ZN7rocprim17ROCPRIM_400000_NS6detail17trampoline_kernelINS0_14default_configENS1_27scan_by_key_config_selectorIj11FixedVectorIiLj2EEEEZZNS1_16scan_by_key_implILNS1_25lookback_scan_determinismE0ELb1ES3_N6thrust23THRUST_200600_302600_NS6detail15normal_iteratorINSB_10device_ptrIjEEEENSD_INSE_IS6_EEEESI_S6_NSB_4plusIvEENSB_8equal_toIvEES6_EE10hipError_tPvRmT2_T3_T4_T5_mT6_T7_P12ihipStream_tbENKUlT_T0_E_clISt17integral_constantIbLb1EES13_EEDaSY_SZ_EUlSY_E_NS1_11comp_targetILNS1_3genE0ELNS1_11target_archE4294967295ELNS1_3gpuE0ELNS1_3repE0EEENS1_30default_config_static_selectorELNS0_4arch9wavefront6targetE0EEEvT1_: ; @_ZN7rocprim17ROCPRIM_400000_NS6detail17trampoline_kernelINS0_14default_configENS1_27scan_by_key_config_selectorIj11FixedVectorIiLj2EEEEZZNS1_16scan_by_key_implILNS1_25lookback_scan_determinismE0ELb1ES3_N6thrust23THRUST_200600_302600_NS6detail15normal_iteratorINSB_10device_ptrIjEEEENSD_INSE_IS6_EEEESI_S6_NSB_4plusIvEENSB_8equal_toIvEES6_EE10hipError_tPvRmT2_T3_T4_T5_mT6_T7_P12ihipStream_tbENKUlT_T0_E_clISt17integral_constantIbLb1EES13_EEDaSY_SZ_EUlSY_E_NS1_11comp_targetILNS1_3genE0ELNS1_11target_archE4294967295ELNS1_3gpuE0ELNS1_3repE0EEENS1_30default_config_static_selectorELNS0_4arch9wavefront6targetE0EEEvT1_
; %bb.0:
	s_endpgm
	.section	.rodata,"a",@progbits
	.p2align	6, 0x0
	.amdhsa_kernel _ZN7rocprim17ROCPRIM_400000_NS6detail17trampoline_kernelINS0_14default_configENS1_27scan_by_key_config_selectorIj11FixedVectorIiLj2EEEEZZNS1_16scan_by_key_implILNS1_25lookback_scan_determinismE0ELb1ES3_N6thrust23THRUST_200600_302600_NS6detail15normal_iteratorINSB_10device_ptrIjEEEENSD_INSE_IS6_EEEESI_S6_NSB_4plusIvEENSB_8equal_toIvEES6_EE10hipError_tPvRmT2_T3_T4_T5_mT6_T7_P12ihipStream_tbENKUlT_T0_E_clISt17integral_constantIbLb1EES13_EEDaSY_SZ_EUlSY_E_NS1_11comp_targetILNS1_3genE0ELNS1_11target_archE4294967295ELNS1_3gpuE0ELNS1_3repE0EEENS1_30default_config_static_selectorELNS0_4arch9wavefront6targetE0EEEvT1_
		.amdhsa_group_segment_fixed_size 0
		.amdhsa_private_segment_fixed_size 0
		.amdhsa_kernarg_size 120
		.amdhsa_user_sgpr_count 2
		.amdhsa_user_sgpr_dispatch_ptr 0
		.amdhsa_user_sgpr_queue_ptr 0
		.amdhsa_user_sgpr_kernarg_segment_ptr 1
		.amdhsa_user_sgpr_dispatch_id 0
		.amdhsa_user_sgpr_kernarg_preload_length 0
		.amdhsa_user_sgpr_kernarg_preload_offset 0
		.amdhsa_user_sgpr_private_segment_size 0
		.amdhsa_wavefront_size32 1
		.amdhsa_uses_dynamic_stack 0
		.amdhsa_enable_private_segment 0
		.amdhsa_system_sgpr_workgroup_id_x 1
		.amdhsa_system_sgpr_workgroup_id_y 0
		.amdhsa_system_sgpr_workgroup_id_z 0
		.amdhsa_system_sgpr_workgroup_info 0
		.amdhsa_system_vgpr_workitem_id 0
		.amdhsa_next_free_vgpr 1
		.amdhsa_next_free_sgpr 1
		.amdhsa_named_barrier_count 0
		.amdhsa_reserve_vcc 0
		.amdhsa_float_round_mode_32 0
		.amdhsa_float_round_mode_16_64 0
		.amdhsa_float_denorm_mode_32 3
		.amdhsa_float_denorm_mode_16_64 3
		.amdhsa_fp16_overflow 0
		.amdhsa_memory_ordered 1
		.amdhsa_forward_progress 1
		.amdhsa_inst_pref_size 1
		.amdhsa_round_robin_scheduling 0
		.amdhsa_exception_fp_ieee_invalid_op 0
		.amdhsa_exception_fp_denorm_src 0
		.amdhsa_exception_fp_ieee_div_zero 0
		.amdhsa_exception_fp_ieee_overflow 0
		.amdhsa_exception_fp_ieee_underflow 0
		.amdhsa_exception_fp_ieee_inexact 0
		.amdhsa_exception_int_div_zero 0
	.end_amdhsa_kernel
	.section	.text._ZN7rocprim17ROCPRIM_400000_NS6detail17trampoline_kernelINS0_14default_configENS1_27scan_by_key_config_selectorIj11FixedVectorIiLj2EEEEZZNS1_16scan_by_key_implILNS1_25lookback_scan_determinismE0ELb1ES3_N6thrust23THRUST_200600_302600_NS6detail15normal_iteratorINSB_10device_ptrIjEEEENSD_INSE_IS6_EEEESI_S6_NSB_4plusIvEENSB_8equal_toIvEES6_EE10hipError_tPvRmT2_T3_T4_T5_mT6_T7_P12ihipStream_tbENKUlT_T0_E_clISt17integral_constantIbLb1EES13_EEDaSY_SZ_EUlSY_E_NS1_11comp_targetILNS1_3genE0ELNS1_11target_archE4294967295ELNS1_3gpuE0ELNS1_3repE0EEENS1_30default_config_static_selectorELNS0_4arch9wavefront6targetE0EEEvT1_,"axG",@progbits,_ZN7rocprim17ROCPRIM_400000_NS6detail17trampoline_kernelINS0_14default_configENS1_27scan_by_key_config_selectorIj11FixedVectorIiLj2EEEEZZNS1_16scan_by_key_implILNS1_25lookback_scan_determinismE0ELb1ES3_N6thrust23THRUST_200600_302600_NS6detail15normal_iteratorINSB_10device_ptrIjEEEENSD_INSE_IS6_EEEESI_S6_NSB_4plusIvEENSB_8equal_toIvEES6_EE10hipError_tPvRmT2_T3_T4_T5_mT6_T7_P12ihipStream_tbENKUlT_T0_E_clISt17integral_constantIbLb1EES13_EEDaSY_SZ_EUlSY_E_NS1_11comp_targetILNS1_3genE0ELNS1_11target_archE4294967295ELNS1_3gpuE0ELNS1_3repE0EEENS1_30default_config_static_selectorELNS0_4arch9wavefront6targetE0EEEvT1_,comdat
.Lfunc_end2002:
	.size	_ZN7rocprim17ROCPRIM_400000_NS6detail17trampoline_kernelINS0_14default_configENS1_27scan_by_key_config_selectorIj11FixedVectorIiLj2EEEEZZNS1_16scan_by_key_implILNS1_25lookback_scan_determinismE0ELb1ES3_N6thrust23THRUST_200600_302600_NS6detail15normal_iteratorINSB_10device_ptrIjEEEENSD_INSE_IS6_EEEESI_S6_NSB_4plusIvEENSB_8equal_toIvEES6_EE10hipError_tPvRmT2_T3_T4_T5_mT6_T7_P12ihipStream_tbENKUlT_T0_E_clISt17integral_constantIbLb1EES13_EEDaSY_SZ_EUlSY_E_NS1_11comp_targetILNS1_3genE0ELNS1_11target_archE4294967295ELNS1_3gpuE0ELNS1_3repE0EEENS1_30default_config_static_selectorELNS0_4arch9wavefront6targetE0EEEvT1_, .Lfunc_end2002-_ZN7rocprim17ROCPRIM_400000_NS6detail17trampoline_kernelINS0_14default_configENS1_27scan_by_key_config_selectorIj11FixedVectorIiLj2EEEEZZNS1_16scan_by_key_implILNS1_25lookback_scan_determinismE0ELb1ES3_N6thrust23THRUST_200600_302600_NS6detail15normal_iteratorINSB_10device_ptrIjEEEENSD_INSE_IS6_EEEESI_S6_NSB_4plusIvEENSB_8equal_toIvEES6_EE10hipError_tPvRmT2_T3_T4_T5_mT6_T7_P12ihipStream_tbENKUlT_T0_E_clISt17integral_constantIbLb1EES13_EEDaSY_SZ_EUlSY_E_NS1_11comp_targetILNS1_3genE0ELNS1_11target_archE4294967295ELNS1_3gpuE0ELNS1_3repE0EEENS1_30default_config_static_selectorELNS0_4arch9wavefront6targetE0EEEvT1_
                                        ; -- End function
	.set _ZN7rocprim17ROCPRIM_400000_NS6detail17trampoline_kernelINS0_14default_configENS1_27scan_by_key_config_selectorIj11FixedVectorIiLj2EEEEZZNS1_16scan_by_key_implILNS1_25lookback_scan_determinismE0ELb1ES3_N6thrust23THRUST_200600_302600_NS6detail15normal_iteratorINSB_10device_ptrIjEEEENSD_INSE_IS6_EEEESI_S6_NSB_4plusIvEENSB_8equal_toIvEES6_EE10hipError_tPvRmT2_T3_T4_T5_mT6_T7_P12ihipStream_tbENKUlT_T0_E_clISt17integral_constantIbLb1EES13_EEDaSY_SZ_EUlSY_E_NS1_11comp_targetILNS1_3genE0ELNS1_11target_archE4294967295ELNS1_3gpuE0ELNS1_3repE0EEENS1_30default_config_static_selectorELNS0_4arch9wavefront6targetE0EEEvT1_.num_vgpr, 0
	.set _ZN7rocprim17ROCPRIM_400000_NS6detail17trampoline_kernelINS0_14default_configENS1_27scan_by_key_config_selectorIj11FixedVectorIiLj2EEEEZZNS1_16scan_by_key_implILNS1_25lookback_scan_determinismE0ELb1ES3_N6thrust23THRUST_200600_302600_NS6detail15normal_iteratorINSB_10device_ptrIjEEEENSD_INSE_IS6_EEEESI_S6_NSB_4plusIvEENSB_8equal_toIvEES6_EE10hipError_tPvRmT2_T3_T4_T5_mT6_T7_P12ihipStream_tbENKUlT_T0_E_clISt17integral_constantIbLb1EES13_EEDaSY_SZ_EUlSY_E_NS1_11comp_targetILNS1_3genE0ELNS1_11target_archE4294967295ELNS1_3gpuE0ELNS1_3repE0EEENS1_30default_config_static_selectorELNS0_4arch9wavefront6targetE0EEEvT1_.num_agpr, 0
	.set _ZN7rocprim17ROCPRIM_400000_NS6detail17trampoline_kernelINS0_14default_configENS1_27scan_by_key_config_selectorIj11FixedVectorIiLj2EEEEZZNS1_16scan_by_key_implILNS1_25lookback_scan_determinismE0ELb1ES3_N6thrust23THRUST_200600_302600_NS6detail15normal_iteratorINSB_10device_ptrIjEEEENSD_INSE_IS6_EEEESI_S6_NSB_4plusIvEENSB_8equal_toIvEES6_EE10hipError_tPvRmT2_T3_T4_T5_mT6_T7_P12ihipStream_tbENKUlT_T0_E_clISt17integral_constantIbLb1EES13_EEDaSY_SZ_EUlSY_E_NS1_11comp_targetILNS1_3genE0ELNS1_11target_archE4294967295ELNS1_3gpuE0ELNS1_3repE0EEENS1_30default_config_static_selectorELNS0_4arch9wavefront6targetE0EEEvT1_.numbered_sgpr, 0
	.set _ZN7rocprim17ROCPRIM_400000_NS6detail17trampoline_kernelINS0_14default_configENS1_27scan_by_key_config_selectorIj11FixedVectorIiLj2EEEEZZNS1_16scan_by_key_implILNS1_25lookback_scan_determinismE0ELb1ES3_N6thrust23THRUST_200600_302600_NS6detail15normal_iteratorINSB_10device_ptrIjEEEENSD_INSE_IS6_EEEESI_S6_NSB_4plusIvEENSB_8equal_toIvEES6_EE10hipError_tPvRmT2_T3_T4_T5_mT6_T7_P12ihipStream_tbENKUlT_T0_E_clISt17integral_constantIbLb1EES13_EEDaSY_SZ_EUlSY_E_NS1_11comp_targetILNS1_3genE0ELNS1_11target_archE4294967295ELNS1_3gpuE0ELNS1_3repE0EEENS1_30default_config_static_selectorELNS0_4arch9wavefront6targetE0EEEvT1_.num_named_barrier, 0
	.set _ZN7rocprim17ROCPRIM_400000_NS6detail17trampoline_kernelINS0_14default_configENS1_27scan_by_key_config_selectorIj11FixedVectorIiLj2EEEEZZNS1_16scan_by_key_implILNS1_25lookback_scan_determinismE0ELb1ES3_N6thrust23THRUST_200600_302600_NS6detail15normal_iteratorINSB_10device_ptrIjEEEENSD_INSE_IS6_EEEESI_S6_NSB_4plusIvEENSB_8equal_toIvEES6_EE10hipError_tPvRmT2_T3_T4_T5_mT6_T7_P12ihipStream_tbENKUlT_T0_E_clISt17integral_constantIbLb1EES13_EEDaSY_SZ_EUlSY_E_NS1_11comp_targetILNS1_3genE0ELNS1_11target_archE4294967295ELNS1_3gpuE0ELNS1_3repE0EEENS1_30default_config_static_selectorELNS0_4arch9wavefront6targetE0EEEvT1_.private_seg_size, 0
	.set _ZN7rocprim17ROCPRIM_400000_NS6detail17trampoline_kernelINS0_14default_configENS1_27scan_by_key_config_selectorIj11FixedVectorIiLj2EEEEZZNS1_16scan_by_key_implILNS1_25lookback_scan_determinismE0ELb1ES3_N6thrust23THRUST_200600_302600_NS6detail15normal_iteratorINSB_10device_ptrIjEEEENSD_INSE_IS6_EEEESI_S6_NSB_4plusIvEENSB_8equal_toIvEES6_EE10hipError_tPvRmT2_T3_T4_T5_mT6_T7_P12ihipStream_tbENKUlT_T0_E_clISt17integral_constantIbLb1EES13_EEDaSY_SZ_EUlSY_E_NS1_11comp_targetILNS1_3genE0ELNS1_11target_archE4294967295ELNS1_3gpuE0ELNS1_3repE0EEENS1_30default_config_static_selectorELNS0_4arch9wavefront6targetE0EEEvT1_.uses_vcc, 0
	.set _ZN7rocprim17ROCPRIM_400000_NS6detail17trampoline_kernelINS0_14default_configENS1_27scan_by_key_config_selectorIj11FixedVectorIiLj2EEEEZZNS1_16scan_by_key_implILNS1_25lookback_scan_determinismE0ELb1ES3_N6thrust23THRUST_200600_302600_NS6detail15normal_iteratorINSB_10device_ptrIjEEEENSD_INSE_IS6_EEEESI_S6_NSB_4plusIvEENSB_8equal_toIvEES6_EE10hipError_tPvRmT2_T3_T4_T5_mT6_T7_P12ihipStream_tbENKUlT_T0_E_clISt17integral_constantIbLb1EES13_EEDaSY_SZ_EUlSY_E_NS1_11comp_targetILNS1_3genE0ELNS1_11target_archE4294967295ELNS1_3gpuE0ELNS1_3repE0EEENS1_30default_config_static_selectorELNS0_4arch9wavefront6targetE0EEEvT1_.uses_flat_scratch, 0
	.set _ZN7rocprim17ROCPRIM_400000_NS6detail17trampoline_kernelINS0_14default_configENS1_27scan_by_key_config_selectorIj11FixedVectorIiLj2EEEEZZNS1_16scan_by_key_implILNS1_25lookback_scan_determinismE0ELb1ES3_N6thrust23THRUST_200600_302600_NS6detail15normal_iteratorINSB_10device_ptrIjEEEENSD_INSE_IS6_EEEESI_S6_NSB_4plusIvEENSB_8equal_toIvEES6_EE10hipError_tPvRmT2_T3_T4_T5_mT6_T7_P12ihipStream_tbENKUlT_T0_E_clISt17integral_constantIbLb1EES13_EEDaSY_SZ_EUlSY_E_NS1_11comp_targetILNS1_3genE0ELNS1_11target_archE4294967295ELNS1_3gpuE0ELNS1_3repE0EEENS1_30default_config_static_selectorELNS0_4arch9wavefront6targetE0EEEvT1_.has_dyn_sized_stack, 0
	.set _ZN7rocprim17ROCPRIM_400000_NS6detail17trampoline_kernelINS0_14default_configENS1_27scan_by_key_config_selectorIj11FixedVectorIiLj2EEEEZZNS1_16scan_by_key_implILNS1_25lookback_scan_determinismE0ELb1ES3_N6thrust23THRUST_200600_302600_NS6detail15normal_iteratorINSB_10device_ptrIjEEEENSD_INSE_IS6_EEEESI_S6_NSB_4plusIvEENSB_8equal_toIvEES6_EE10hipError_tPvRmT2_T3_T4_T5_mT6_T7_P12ihipStream_tbENKUlT_T0_E_clISt17integral_constantIbLb1EES13_EEDaSY_SZ_EUlSY_E_NS1_11comp_targetILNS1_3genE0ELNS1_11target_archE4294967295ELNS1_3gpuE0ELNS1_3repE0EEENS1_30default_config_static_selectorELNS0_4arch9wavefront6targetE0EEEvT1_.has_recursion, 0
	.set _ZN7rocprim17ROCPRIM_400000_NS6detail17trampoline_kernelINS0_14default_configENS1_27scan_by_key_config_selectorIj11FixedVectorIiLj2EEEEZZNS1_16scan_by_key_implILNS1_25lookback_scan_determinismE0ELb1ES3_N6thrust23THRUST_200600_302600_NS6detail15normal_iteratorINSB_10device_ptrIjEEEENSD_INSE_IS6_EEEESI_S6_NSB_4plusIvEENSB_8equal_toIvEES6_EE10hipError_tPvRmT2_T3_T4_T5_mT6_T7_P12ihipStream_tbENKUlT_T0_E_clISt17integral_constantIbLb1EES13_EEDaSY_SZ_EUlSY_E_NS1_11comp_targetILNS1_3genE0ELNS1_11target_archE4294967295ELNS1_3gpuE0ELNS1_3repE0EEENS1_30default_config_static_selectorELNS0_4arch9wavefront6targetE0EEEvT1_.has_indirect_call, 0
	.section	.AMDGPU.csdata,"",@progbits
; Kernel info:
; codeLenInByte = 4
; TotalNumSgprs: 0
; NumVgprs: 0
; ScratchSize: 0
; MemoryBound: 0
; FloatMode: 240
; IeeeMode: 1
; LDSByteSize: 0 bytes/workgroup (compile time only)
; SGPRBlocks: 0
; VGPRBlocks: 0
; NumSGPRsForWavesPerEU: 1
; NumVGPRsForWavesPerEU: 1
; NamedBarCnt: 0
; Occupancy: 16
; WaveLimiterHint : 0
; COMPUTE_PGM_RSRC2:SCRATCH_EN: 0
; COMPUTE_PGM_RSRC2:USER_SGPR: 2
; COMPUTE_PGM_RSRC2:TRAP_HANDLER: 0
; COMPUTE_PGM_RSRC2:TGID_X_EN: 1
; COMPUTE_PGM_RSRC2:TGID_Y_EN: 0
; COMPUTE_PGM_RSRC2:TGID_Z_EN: 0
; COMPUTE_PGM_RSRC2:TIDIG_COMP_CNT: 0
	.section	.text._ZN7rocprim17ROCPRIM_400000_NS6detail17trampoline_kernelINS0_14default_configENS1_27scan_by_key_config_selectorIj11FixedVectorIiLj2EEEEZZNS1_16scan_by_key_implILNS1_25lookback_scan_determinismE0ELb1ES3_N6thrust23THRUST_200600_302600_NS6detail15normal_iteratorINSB_10device_ptrIjEEEENSD_INSE_IS6_EEEESI_S6_NSB_4plusIvEENSB_8equal_toIvEES6_EE10hipError_tPvRmT2_T3_T4_T5_mT6_T7_P12ihipStream_tbENKUlT_T0_E_clISt17integral_constantIbLb1EES13_EEDaSY_SZ_EUlSY_E_NS1_11comp_targetILNS1_3genE10ELNS1_11target_archE1201ELNS1_3gpuE5ELNS1_3repE0EEENS1_30default_config_static_selectorELNS0_4arch9wavefront6targetE0EEEvT1_,"axG",@progbits,_ZN7rocprim17ROCPRIM_400000_NS6detail17trampoline_kernelINS0_14default_configENS1_27scan_by_key_config_selectorIj11FixedVectorIiLj2EEEEZZNS1_16scan_by_key_implILNS1_25lookback_scan_determinismE0ELb1ES3_N6thrust23THRUST_200600_302600_NS6detail15normal_iteratorINSB_10device_ptrIjEEEENSD_INSE_IS6_EEEESI_S6_NSB_4plusIvEENSB_8equal_toIvEES6_EE10hipError_tPvRmT2_T3_T4_T5_mT6_T7_P12ihipStream_tbENKUlT_T0_E_clISt17integral_constantIbLb1EES13_EEDaSY_SZ_EUlSY_E_NS1_11comp_targetILNS1_3genE10ELNS1_11target_archE1201ELNS1_3gpuE5ELNS1_3repE0EEENS1_30default_config_static_selectorELNS0_4arch9wavefront6targetE0EEEvT1_,comdat
	.protected	_ZN7rocprim17ROCPRIM_400000_NS6detail17trampoline_kernelINS0_14default_configENS1_27scan_by_key_config_selectorIj11FixedVectorIiLj2EEEEZZNS1_16scan_by_key_implILNS1_25lookback_scan_determinismE0ELb1ES3_N6thrust23THRUST_200600_302600_NS6detail15normal_iteratorINSB_10device_ptrIjEEEENSD_INSE_IS6_EEEESI_S6_NSB_4plusIvEENSB_8equal_toIvEES6_EE10hipError_tPvRmT2_T3_T4_T5_mT6_T7_P12ihipStream_tbENKUlT_T0_E_clISt17integral_constantIbLb1EES13_EEDaSY_SZ_EUlSY_E_NS1_11comp_targetILNS1_3genE10ELNS1_11target_archE1201ELNS1_3gpuE5ELNS1_3repE0EEENS1_30default_config_static_selectorELNS0_4arch9wavefront6targetE0EEEvT1_ ; -- Begin function _ZN7rocprim17ROCPRIM_400000_NS6detail17trampoline_kernelINS0_14default_configENS1_27scan_by_key_config_selectorIj11FixedVectorIiLj2EEEEZZNS1_16scan_by_key_implILNS1_25lookback_scan_determinismE0ELb1ES3_N6thrust23THRUST_200600_302600_NS6detail15normal_iteratorINSB_10device_ptrIjEEEENSD_INSE_IS6_EEEESI_S6_NSB_4plusIvEENSB_8equal_toIvEES6_EE10hipError_tPvRmT2_T3_T4_T5_mT6_T7_P12ihipStream_tbENKUlT_T0_E_clISt17integral_constantIbLb1EES13_EEDaSY_SZ_EUlSY_E_NS1_11comp_targetILNS1_3genE10ELNS1_11target_archE1201ELNS1_3gpuE5ELNS1_3repE0EEENS1_30default_config_static_selectorELNS0_4arch9wavefront6targetE0EEEvT1_
	.globl	_ZN7rocprim17ROCPRIM_400000_NS6detail17trampoline_kernelINS0_14default_configENS1_27scan_by_key_config_selectorIj11FixedVectorIiLj2EEEEZZNS1_16scan_by_key_implILNS1_25lookback_scan_determinismE0ELb1ES3_N6thrust23THRUST_200600_302600_NS6detail15normal_iteratorINSB_10device_ptrIjEEEENSD_INSE_IS6_EEEESI_S6_NSB_4plusIvEENSB_8equal_toIvEES6_EE10hipError_tPvRmT2_T3_T4_T5_mT6_T7_P12ihipStream_tbENKUlT_T0_E_clISt17integral_constantIbLb1EES13_EEDaSY_SZ_EUlSY_E_NS1_11comp_targetILNS1_3genE10ELNS1_11target_archE1201ELNS1_3gpuE5ELNS1_3repE0EEENS1_30default_config_static_selectorELNS0_4arch9wavefront6targetE0EEEvT1_
	.p2align	8
	.type	_ZN7rocprim17ROCPRIM_400000_NS6detail17trampoline_kernelINS0_14default_configENS1_27scan_by_key_config_selectorIj11FixedVectorIiLj2EEEEZZNS1_16scan_by_key_implILNS1_25lookback_scan_determinismE0ELb1ES3_N6thrust23THRUST_200600_302600_NS6detail15normal_iteratorINSB_10device_ptrIjEEEENSD_INSE_IS6_EEEESI_S6_NSB_4plusIvEENSB_8equal_toIvEES6_EE10hipError_tPvRmT2_T3_T4_T5_mT6_T7_P12ihipStream_tbENKUlT_T0_E_clISt17integral_constantIbLb1EES13_EEDaSY_SZ_EUlSY_E_NS1_11comp_targetILNS1_3genE10ELNS1_11target_archE1201ELNS1_3gpuE5ELNS1_3repE0EEENS1_30default_config_static_selectorELNS0_4arch9wavefront6targetE0EEEvT1_,@function
_ZN7rocprim17ROCPRIM_400000_NS6detail17trampoline_kernelINS0_14default_configENS1_27scan_by_key_config_selectorIj11FixedVectorIiLj2EEEEZZNS1_16scan_by_key_implILNS1_25lookback_scan_determinismE0ELb1ES3_N6thrust23THRUST_200600_302600_NS6detail15normal_iteratorINSB_10device_ptrIjEEEENSD_INSE_IS6_EEEESI_S6_NSB_4plusIvEENSB_8equal_toIvEES6_EE10hipError_tPvRmT2_T3_T4_T5_mT6_T7_P12ihipStream_tbENKUlT_T0_E_clISt17integral_constantIbLb1EES13_EEDaSY_SZ_EUlSY_E_NS1_11comp_targetILNS1_3genE10ELNS1_11target_archE1201ELNS1_3gpuE5ELNS1_3repE0EEENS1_30default_config_static_selectorELNS0_4arch9wavefront6targetE0EEEvT1_: ; @_ZN7rocprim17ROCPRIM_400000_NS6detail17trampoline_kernelINS0_14default_configENS1_27scan_by_key_config_selectorIj11FixedVectorIiLj2EEEEZZNS1_16scan_by_key_implILNS1_25lookback_scan_determinismE0ELb1ES3_N6thrust23THRUST_200600_302600_NS6detail15normal_iteratorINSB_10device_ptrIjEEEENSD_INSE_IS6_EEEESI_S6_NSB_4plusIvEENSB_8equal_toIvEES6_EE10hipError_tPvRmT2_T3_T4_T5_mT6_T7_P12ihipStream_tbENKUlT_T0_E_clISt17integral_constantIbLb1EES13_EEDaSY_SZ_EUlSY_E_NS1_11comp_targetILNS1_3genE10ELNS1_11target_archE1201ELNS1_3gpuE5ELNS1_3repE0EEENS1_30default_config_static_selectorELNS0_4arch9wavefront6targetE0EEEvT1_
; %bb.0:
	.section	.rodata,"a",@progbits
	.p2align	6, 0x0
	.amdhsa_kernel _ZN7rocprim17ROCPRIM_400000_NS6detail17trampoline_kernelINS0_14default_configENS1_27scan_by_key_config_selectorIj11FixedVectorIiLj2EEEEZZNS1_16scan_by_key_implILNS1_25lookback_scan_determinismE0ELb1ES3_N6thrust23THRUST_200600_302600_NS6detail15normal_iteratorINSB_10device_ptrIjEEEENSD_INSE_IS6_EEEESI_S6_NSB_4plusIvEENSB_8equal_toIvEES6_EE10hipError_tPvRmT2_T3_T4_T5_mT6_T7_P12ihipStream_tbENKUlT_T0_E_clISt17integral_constantIbLb1EES13_EEDaSY_SZ_EUlSY_E_NS1_11comp_targetILNS1_3genE10ELNS1_11target_archE1201ELNS1_3gpuE5ELNS1_3repE0EEENS1_30default_config_static_selectorELNS0_4arch9wavefront6targetE0EEEvT1_
		.amdhsa_group_segment_fixed_size 0
		.amdhsa_private_segment_fixed_size 0
		.amdhsa_kernarg_size 120
		.amdhsa_user_sgpr_count 2
		.amdhsa_user_sgpr_dispatch_ptr 0
		.amdhsa_user_sgpr_queue_ptr 0
		.amdhsa_user_sgpr_kernarg_segment_ptr 1
		.amdhsa_user_sgpr_dispatch_id 0
		.amdhsa_user_sgpr_kernarg_preload_length 0
		.amdhsa_user_sgpr_kernarg_preload_offset 0
		.amdhsa_user_sgpr_private_segment_size 0
		.amdhsa_wavefront_size32 1
		.amdhsa_uses_dynamic_stack 0
		.amdhsa_enable_private_segment 0
		.amdhsa_system_sgpr_workgroup_id_x 1
		.amdhsa_system_sgpr_workgroup_id_y 0
		.amdhsa_system_sgpr_workgroup_id_z 0
		.amdhsa_system_sgpr_workgroup_info 0
		.amdhsa_system_vgpr_workitem_id 0
		.amdhsa_next_free_vgpr 1
		.amdhsa_next_free_sgpr 1
		.amdhsa_named_barrier_count 0
		.amdhsa_reserve_vcc 0
		.amdhsa_float_round_mode_32 0
		.amdhsa_float_round_mode_16_64 0
		.amdhsa_float_denorm_mode_32 3
		.amdhsa_float_denorm_mode_16_64 3
		.amdhsa_fp16_overflow 0
		.amdhsa_memory_ordered 1
		.amdhsa_forward_progress 1
		.amdhsa_inst_pref_size 0
		.amdhsa_round_robin_scheduling 0
		.amdhsa_exception_fp_ieee_invalid_op 0
		.amdhsa_exception_fp_denorm_src 0
		.amdhsa_exception_fp_ieee_div_zero 0
		.amdhsa_exception_fp_ieee_overflow 0
		.amdhsa_exception_fp_ieee_underflow 0
		.amdhsa_exception_fp_ieee_inexact 0
		.amdhsa_exception_int_div_zero 0
	.end_amdhsa_kernel
	.section	.text._ZN7rocprim17ROCPRIM_400000_NS6detail17trampoline_kernelINS0_14default_configENS1_27scan_by_key_config_selectorIj11FixedVectorIiLj2EEEEZZNS1_16scan_by_key_implILNS1_25lookback_scan_determinismE0ELb1ES3_N6thrust23THRUST_200600_302600_NS6detail15normal_iteratorINSB_10device_ptrIjEEEENSD_INSE_IS6_EEEESI_S6_NSB_4plusIvEENSB_8equal_toIvEES6_EE10hipError_tPvRmT2_T3_T4_T5_mT6_T7_P12ihipStream_tbENKUlT_T0_E_clISt17integral_constantIbLb1EES13_EEDaSY_SZ_EUlSY_E_NS1_11comp_targetILNS1_3genE10ELNS1_11target_archE1201ELNS1_3gpuE5ELNS1_3repE0EEENS1_30default_config_static_selectorELNS0_4arch9wavefront6targetE0EEEvT1_,"axG",@progbits,_ZN7rocprim17ROCPRIM_400000_NS6detail17trampoline_kernelINS0_14default_configENS1_27scan_by_key_config_selectorIj11FixedVectorIiLj2EEEEZZNS1_16scan_by_key_implILNS1_25lookback_scan_determinismE0ELb1ES3_N6thrust23THRUST_200600_302600_NS6detail15normal_iteratorINSB_10device_ptrIjEEEENSD_INSE_IS6_EEEESI_S6_NSB_4plusIvEENSB_8equal_toIvEES6_EE10hipError_tPvRmT2_T3_T4_T5_mT6_T7_P12ihipStream_tbENKUlT_T0_E_clISt17integral_constantIbLb1EES13_EEDaSY_SZ_EUlSY_E_NS1_11comp_targetILNS1_3genE10ELNS1_11target_archE1201ELNS1_3gpuE5ELNS1_3repE0EEENS1_30default_config_static_selectorELNS0_4arch9wavefront6targetE0EEEvT1_,comdat
.Lfunc_end2003:
	.size	_ZN7rocprim17ROCPRIM_400000_NS6detail17trampoline_kernelINS0_14default_configENS1_27scan_by_key_config_selectorIj11FixedVectorIiLj2EEEEZZNS1_16scan_by_key_implILNS1_25lookback_scan_determinismE0ELb1ES3_N6thrust23THRUST_200600_302600_NS6detail15normal_iteratorINSB_10device_ptrIjEEEENSD_INSE_IS6_EEEESI_S6_NSB_4plusIvEENSB_8equal_toIvEES6_EE10hipError_tPvRmT2_T3_T4_T5_mT6_T7_P12ihipStream_tbENKUlT_T0_E_clISt17integral_constantIbLb1EES13_EEDaSY_SZ_EUlSY_E_NS1_11comp_targetILNS1_3genE10ELNS1_11target_archE1201ELNS1_3gpuE5ELNS1_3repE0EEENS1_30default_config_static_selectorELNS0_4arch9wavefront6targetE0EEEvT1_, .Lfunc_end2003-_ZN7rocprim17ROCPRIM_400000_NS6detail17trampoline_kernelINS0_14default_configENS1_27scan_by_key_config_selectorIj11FixedVectorIiLj2EEEEZZNS1_16scan_by_key_implILNS1_25lookback_scan_determinismE0ELb1ES3_N6thrust23THRUST_200600_302600_NS6detail15normal_iteratorINSB_10device_ptrIjEEEENSD_INSE_IS6_EEEESI_S6_NSB_4plusIvEENSB_8equal_toIvEES6_EE10hipError_tPvRmT2_T3_T4_T5_mT6_T7_P12ihipStream_tbENKUlT_T0_E_clISt17integral_constantIbLb1EES13_EEDaSY_SZ_EUlSY_E_NS1_11comp_targetILNS1_3genE10ELNS1_11target_archE1201ELNS1_3gpuE5ELNS1_3repE0EEENS1_30default_config_static_selectorELNS0_4arch9wavefront6targetE0EEEvT1_
                                        ; -- End function
	.set _ZN7rocprim17ROCPRIM_400000_NS6detail17trampoline_kernelINS0_14default_configENS1_27scan_by_key_config_selectorIj11FixedVectorIiLj2EEEEZZNS1_16scan_by_key_implILNS1_25lookback_scan_determinismE0ELb1ES3_N6thrust23THRUST_200600_302600_NS6detail15normal_iteratorINSB_10device_ptrIjEEEENSD_INSE_IS6_EEEESI_S6_NSB_4plusIvEENSB_8equal_toIvEES6_EE10hipError_tPvRmT2_T3_T4_T5_mT6_T7_P12ihipStream_tbENKUlT_T0_E_clISt17integral_constantIbLb1EES13_EEDaSY_SZ_EUlSY_E_NS1_11comp_targetILNS1_3genE10ELNS1_11target_archE1201ELNS1_3gpuE5ELNS1_3repE0EEENS1_30default_config_static_selectorELNS0_4arch9wavefront6targetE0EEEvT1_.num_vgpr, 0
	.set _ZN7rocprim17ROCPRIM_400000_NS6detail17trampoline_kernelINS0_14default_configENS1_27scan_by_key_config_selectorIj11FixedVectorIiLj2EEEEZZNS1_16scan_by_key_implILNS1_25lookback_scan_determinismE0ELb1ES3_N6thrust23THRUST_200600_302600_NS6detail15normal_iteratorINSB_10device_ptrIjEEEENSD_INSE_IS6_EEEESI_S6_NSB_4plusIvEENSB_8equal_toIvEES6_EE10hipError_tPvRmT2_T3_T4_T5_mT6_T7_P12ihipStream_tbENKUlT_T0_E_clISt17integral_constantIbLb1EES13_EEDaSY_SZ_EUlSY_E_NS1_11comp_targetILNS1_3genE10ELNS1_11target_archE1201ELNS1_3gpuE5ELNS1_3repE0EEENS1_30default_config_static_selectorELNS0_4arch9wavefront6targetE0EEEvT1_.num_agpr, 0
	.set _ZN7rocprim17ROCPRIM_400000_NS6detail17trampoline_kernelINS0_14default_configENS1_27scan_by_key_config_selectorIj11FixedVectorIiLj2EEEEZZNS1_16scan_by_key_implILNS1_25lookback_scan_determinismE0ELb1ES3_N6thrust23THRUST_200600_302600_NS6detail15normal_iteratorINSB_10device_ptrIjEEEENSD_INSE_IS6_EEEESI_S6_NSB_4plusIvEENSB_8equal_toIvEES6_EE10hipError_tPvRmT2_T3_T4_T5_mT6_T7_P12ihipStream_tbENKUlT_T0_E_clISt17integral_constantIbLb1EES13_EEDaSY_SZ_EUlSY_E_NS1_11comp_targetILNS1_3genE10ELNS1_11target_archE1201ELNS1_3gpuE5ELNS1_3repE0EEENS1_30default_config_static_selectorELNS0_4arch9wavefront6targetE0EEEvT1_.numbered_sgpr, 0
	.set _ZN7rocprim17ROCPRIM_400000_NS6detail17trampoline_kernelINS0_14default_configENS1_27scan_by_key_config_selectorIj11FixedVectorIiLj2EEEEZZNS1_16scan_by_key_implILNS1_25lookback_scan_determinismE0ELb1ES3_N6thrust23THRUST_200600_302600_NS6detail15normal_iteratorINSB_10device_ptrIjEEEENSD_INSE_IS6_EEEESI_S6_NSB_4plusIvEENSB_8equal_toIvEES6_EE10hipError_tPvRmT2_T3_T4_T5_mT6_T7_P12ihipStream_tbENKUlT_T0_E_clISt17integral_constantIbLb1EES13_EEDaSY_SZ_EUlSY_E_NS1_11comp_targetILNS1_3genE10ELNS1_11target_archE1201ELNS1_3gpuE5ELNS1_3repE0EEENS1_30default_config_static_selectorELNS0_4arch9wavefront6targetE0EEEvT1_.num_named_barrier, 0
	.set _ZN7rocprim17ROCPRIM_400000_NS6detail17trampoline_kernelINS0_14default_configENS1_27scan_by_key_config_selectorIj11FixedVectorIiLj2EEEEZZNS1_16scan_by_key_implILNS1_25lookback_scan_determinismE0ELb1ES3_N6thrust23THRUST_200600_302600_NS6detail15normal_iteratorINSB_10device_ptrIjEEEENSD_INSE_IS6_EEEESI_S6_NSB_4plusIvEENSB_8equal_toIvEES6_EE10hipError_tPvRmT2_T3_T4_T5_mT6_T7_P12ihipStream_tbENKUlT_T0_E_clISt17integral_constantIbLb1EES13_EEDaSY_SZ_EUlSY_E_NS1_11comp_targetILNS1_3genE10ELNS1_11target_archE1201ELNS1_3gpuE5ELNS1_3repE0EEENS1_30default_config_static_selectorELNS0_4arch9wavefront6targetE0EEEvT1_.private_seg_size, 0
	.set _ZN7rocprim17ROCPRIM_400000_NS6detail17trampoline_kernelINS0_14default_configENS1_27scan_by_key_config_selectorIj11FixedVectorIiLj2EEEEZZNS1_16scan_by_key_implILNS1_25lookback_scan_determinismE0ELb1ES3_N6thrust23THRUST_200600_302600_NS6detail15normal_iteratorINSB_10device_ptrIjEEEENSD_INSE_IS6_EEEESI_S6_NSB_4plusIvEENSB_8equal_toIvEES6_EE10hipError_tPvRmT2_T3_T4_T5_mT6_T7_P12ihipStream_tbENKUlT_T0_E_clISt17integral_constantIbLb1EES13_EEDaSY_SZ_EUlSY_E_NS1_11comp_targetILNS1_3genE10ELNS1_11target_archE1201ELNS1_3gpuE5ELNS1_3repE0EEENS1_30default_config_static_selectorELNS0_4arch9wavefront6targetE0EEEvT1_.uses_vcc, 0
	.set _ZN7rocprim17ROCPRIM_400000_NS6detail17trampoline_kernelINS0_14default_configENS1_27scan_by_key_config_selectorIj11FixedVectorIiLj2EEEEZZNS1_16scan_by_key_implILNS1_25lookback_scan_determinismE0ELb1ES3_N6thrust23THRUST_200600_302600_NS6detail15normal_iteratorINSB_10device_ptrIjEEEENSD_INSE_IS6_EEEESI_S6_NSB_4plusIvEENSB_8equal_toIvEES6_EE10hipError_tPvRmT2_T3_T4_T5_mT6_T7_P12ihipStream_tbENKUlT_T0_E_clISt17integral_constantIbLb1EES13_EEDaSY_SZ_EUlSY_E_NS1_11comp_targetILNS1_3genE10ELNS1_11target_archE1201ELNS1_3gpuE5ELNS1_3repE0EEENS1_30default_config_static_selectorELNS0_4arch9wavefront6targetE0EEEvT1_.uses_flat_scratch, 0
	.set _ZN7rocprim17ROCPRIM_400000_NS6detail17trampoline_kernelINS0_14default_configENS1_27scan_by_key_config_selectorIj11FixedVectorIiLj2EEEEZZNS1_16scan_by_key_implILNS1_25lookback_scan_determinismE0ELb1ES3_N6thrust23THRUST_200600_302600_NS6detail15normal_iteratorINSB_10device_ptrIjEEEENSD_INSE_IS6_EEEESI_S6_NSB_4plusIvEENSB_8equal_toIvEES6_EE10hipError_tPvRmT2_T3_T4_T5_mT6_T7_P12ihipStream_tbENKUlT_T0_E_clISt17integral_constantIbLb1EES13_EEDaSY_SZ_EUlSY_E_NS1_11comp_targetILNS1_3genE10ELNS1_11target_archE1201ELNS1_3gpuE5ELNS1_3repE0EEENS1_30default_config_static_selectorELNS0_4arch9wavefront6targetE0EEEvT1_.has_dyn_sized_stack, 0
	.set _ZN7rocprim17ROCPRIM_400000_NS6detail17trampoline_kernelINS0_14default_configENS1_27scan_by_key_config_selectorIj11FixedVectorIiLj2EEEEZZNS1_16scan_by_key_implILNS1_25lookback_scan_determinismE0ELb1ES3_N6thrust23THRUST_200600_302600_NS6detail15normal_iteratorINSB_10device_ptrIjEEEENSD_INSE_IS6_EEEESI_S6_NSB_4plusIvEENSB_8equal_toIvEES6_EE10hipError_tPvRmT2_T3_T4_T5_mT6_T7_P12ihipStream_tbENKUlT_T0_E_clISt17integral_constantIbLb1EES13_EEDaSY_SZ_EUlSY_E_NS1_11comp_targetILNS1_3genE10ELNS1_11target_archE1201ELNS1_3gpuE5ELNS1_3repE0EEENS1_30default_config_static_selectorELNS0_4arch9wavefront6targetE0EEEvT1_.has_recursion, 0
	.set _ZN7rocprim17ROCPRIM_400000_NS6detail17trampoline_kernelINS0_14default_configENS1_27scan_by_key_config_selectorIj11FixedVectorIiLj2EEEEZZNS1_16scan_by_key_implILNS1_25lookback_scan_determinismE0ELb1ES3_N6thrust23THRUST_200600_302600_NS6detail15normal_iteratorINSB_10device_ptrIjEEEENSD_INSE_IS6_EEEESI_S6_NSB_4plusIvEENSB_8equal_toIvEES6_EE10hipError_tPvRmT2_T3_T4_T5_mT6_T7_P12ihipStream_tbENKUlT_T0_E_clISt17integral_constantIbLb1EES13_EEDaSY_SZ_EUlSY_E_NS1_11comp_targetILNS1_3genE10ELNS1_11target_archE1201ELNS1_3gpuE5ELNS1_3repE0EEENS1_30default_config_static_selectorELNS0_4arch9wavefront6targetE0EEEvT1_.has_indirect_call, 0
	.section	.AMDGPU.csdata,"",@progbits
; Kernel info:
; codeLenInByte = 0
; TotalNumSgprs: 0
; NumVgprs: 0
; ScratchSize: 0
; MemoryBound: 0
; FloatMode: 240
; IeeeMode: 1
; LDSByteSize: 0 bytes/workgroup (compile time only)
; SGPRBlocks: 0
; VGPRBlocks: 0
; NumSGPRsForWavesPerEU: 1
; NumVGPRsForWavesPerEU: 1
; NamedBarCnt: 0
; Occupancy: 16
; WaveLimiterHint : 0
; COMPUTE_PGM_RSRC2:SCRATCH_EN: 0
; COMPUTE_PGM_RSRC2:USER_SGPR: 2
; COMPUTE_PGM_RSRC2:TRAP_HANDLER: 0
; COMPUTE_PGM_RSRC2:TGID_X_EN: 1
; COMPUTE_PGM_RSRC2:TGID_Y_EN: 0
; COMPUTE_PGM_RSRC2:TGID_Z_EN: 0
; COMPUTE_PGM_RSRC2:TIDIG_COMP_CNT: 0
	.section	.text._ZN7rocprim17ROCPRIM_400000_NS6detail17trampoline_kernelINS0_14default_configENS1_27scan_by_key_config_selectorIj11FixedVectorIiLj2EEEEZZNS1_16scan_by_key_implILNS1_25lookback_scan_determinismE0ELb1ES3_N6thrust23THRUST_200600_302600_NS6detail15normal_iteratorINSB_10device_ptrIjEEEENSD_INSE_IS6_EEEESI_S6_NSB_4plusIvEENSB_8equal_toIvEES6_EE10hipError_tPvRmT2_T3_T4_T5_mT6_T7_P12ihipStream_tbENKUlT_T0_E_clISt17integral_constantIbLb1EES13_EEDaSY_SZ_EUlSY_E_NS1_11comp_targetILNS1_3genE5ELNS1_11target_archE942ELNS1_3gpuE9ELNS1_3repE0EEENS1_30default_config_static_selectorELNS0_4arch9wavefront6targetE0EEEvT1_,"axG",@progbits,_ZN7rocprim17ROCPRIM_400000_NS6detail17trampoline_kernelINS0_14default_configENS1_27scan_by_key_config_selectorIj11FixedVectorIiLj2EEEEZZNS1_16scan_by_key_implILNS1_25lookback_scan_determinismE0ELb1ES3_N6thrust23THRUST_200600_302600_NS6detail15normal_iteratorINSB_10device_ptrIjEEEENSD_INSE_IS6_EEEESI_S6_NSB_4plusIvEENSB_8equal_toIvEES6_EE10hipError_tPvRmT2_T3_T4_T5_mT6_T7_P12ihipStream_tbENKUlT_T0_E_clISt17integral_constantIbLb1EES13_EEDaSY_SZ_EUlSY_E_NS1_11comp_targetILNS1_3genE5ELNS1_11target_archE942ELNS1_3gpuE9ELNS1_3repE0EEENS1_30default_config_static_selectorELNS0_4arch9wavefront6targetE0EEEvT1_,comdat
	.protected	_ZN7rocprim17ROCPRIM_400000_NS6detail17trampoline_kernelINS0_14default_configENS1_27scan_by_key_config_selectorIj11FixedVectorIiLj2EEEEZZNS1_16scan_by_key_implILNS1_25lookback_scan_determinismE0ELb1ES3_N6thrust23THRUST_200600_302600_NS6detail15normal_iteratorINSB_10device_ptrIjEEEENSD_INSE_IS6_EEEESI_S6_NSB_4plusIvEENSB_8equal_toIvEES6_EE10hipError_tPvRmT2_T3_T4_T5_mT6_T7_P12ihipStream_tbENKUlT_T0_E_clISt17integral_constantIbLb1EES13_EEDaSY_SZ_EUlSY_E_NS1_11comp_targetILNS1_3genE5ELNS1_11target_archE942ELNS1_3gpuE9ELNS1_3repE0EEENS1_30default_config_static_selectorELNS0_4arch9wavefront6targetE0EEEvT1_ ; -- Begin function _ZN7rocprim17ROCPRIM_400000_NS6detail17trampoline_kernelINS0_14default_configENS1_27scan_by_key_config_selectorIj11FixedVectorIiLj2EEEEZZNS1_16scan_by_key_implILNS1_25lookback_scan_determinismE0ELb1ES3_N6thrust23THRUST_200600_302600_NS6detail15normal_iteratorINSB_10device_ptrIjEEEENSD_INSE_IS6_EEEESI_S6_NSB_4plusIvEENSB_8equal_toIvEES6_EE10hipError_tPvRmT2_T3_T4_T5_mT6_T7_P12ihipStream_tbENKUlT_T0_E_clISt17integral_constantIbLb1EES13_EEDaSY_SZ_EUlSY_E_NS1_11comp_targetILNS1_3genE5ELNS1_11target_archE942ELNS1_3gpuE9ELNS1_3repE0EEENS1_30default_config_static_selectorELNS0_4arch9wavefront6targetE0EEEvT1_
	.globl	_ZN7rocprim17ROCPRIM_400000_NS6detail17trampoline_kernelINS0_14default_configENS1_27scan_by_key_config_selectorIj11FixedVectorIiLj2EEEEZZNS1_16scan_by_key_implILNS1_25lookback_scan_determinismE0ELb1ES3_N6thrust23THRUST_200600_302600_NS6detail15normal_iteratorINSB_10device_ptrIjEEEENSD_INSE_IS6_EEEESI_S6_NSB_4plusIvEENSB_8equal_toIvEES6_EE10hipError_tPvRmT2_T3_T4_T5_mT6_T7_P12ihipStream_tbENKUlT_T0_E_clISt17integral_constantIbLb1EES13_EEDaSY_SZ_EUlSY_E_NS1_11comp_targetILNS1_3genE5ELNS1_11target_archE942ELNS1_3gpuE9ELNS1_3repE0EEENS1_30default_config_static_selectorELNS0_4arch9wavefront6targetE0EEEvT1_
	.p2align	8
	.type	_ZN7rocprim17ROCPRIM_400000_NS6detail17trampoline_kernelINS0_14default_configENS1_27scan_by_key_config_selectorIj11FixedVectorIiLj2EEEEZZNS1_16scan_by_key_implILNS1_25lookback_scan_determinismE0ELb1ES3_N6thrust23THRUST_200600_302600_NS6detail15normal_iteratorINSB_10device_ptrIjEEEENSD_INSE_IS6_EEEESI_S6_NSB_4plusIvEENSB_8equal_toIvEES6_EE10hipError_tPvRmT2_T3_T4_T5_mT6_T7_P12ihipStream_tbENKUlT_T0_E_clISt17integral_constantIbLb1EES13_EEDaSY_SZ_EUlSY_E_NS1_11comp_targetILNS1_3genE5ELNS1_11target_archE942ELNS1_3gpuE9ELNS1_3repE0EEENS1_30default_config_static_selectorELNS0_4arch9wavefront6targetE0EEEvT1_,@function
_ZN7rocprim17ROCPRIM_400000_NS6detail17trampoline_kernelINS0_14default_configENS1_27scan_by_key_config_selectorIj11FixedVectorIiLj2EEEEZZNS1_16scan_by_key_implILNS1_25lookback_scan_determinismE0ELb1ES3_N6thrust23THRUST_200600_302600_NS6detail15normal_iteratorINSB_10device_ptrIjEEEENSD_INSE_IS6_EEEESI_S6_NSB_4plusIvEENSB_8equal_toIvEES6_EE10hipError_tPvRmT2_T3_T4_T5_mT6_T7_P12ihipStream_tbENKUlT_T0_E_clISt17integral_constantIbLb1EES13_EEDaSY_SZ_EUlSY_E_NS1_11comp_targetILNS1_3genE5ELNS1_11target_archE942ELNS1_3gpuE9ELNS1_3repE0EEENS1_30default_config_static_selectorELNS0_4arch9wavefront6targetE0EEEvT1_: ; @_ZN7rocprim17ROCPRIM_400000_NS6detail17trampoline_kernelINS0_14default_configENS1_27scan_by_key_config_selectorIj11FixedVectorIiLj2EEEEZZNS1_16scan_by_key_implILNS1_25lookback_scan_determinismE0ELb1ES3_N6thrust23THRUST_200600_302600_NS6detail15normal_iteratorINSB_10device_ptrIjEEEENSD_INSE_IS6_EEEESI_S6_NSB_4plusIvEENSB_8equal_toIvEES6_EE10hipError_tPvRmT2_T3_T4_T5_mT6_T7_P12ihipStream_tbENKUlT_T0_E_clISt17integral_constantIbLb1EES13_EEDaSY_SZ_EUlSY_E_NS1_11comp_targetILNS1_3genE5ELNS1_11target_archE942ELNS1_3gpuE9ELNS1_3repE0EEENS1_30default_config_static_selectorELNS0_4arch9wavefront6targetE0EEEvT1_
; %bb.0:
	.section	.rodata,"a",@progbits
	.p2align	6, 0x0
	.amdhsa_kernel _ZN7rocprim17ROCPRIM_400000_NS6detail17trampoline_kernelINS0_14default_configENS1_27scan_by_key_config_selectorIj11FixedVectorIiLj2EEEEZZNS1_16scan_by_key_implILNS1_25lookback_scan_determinismE0ELb1ES3_N6thrust23THRUST_200600_302600_NS6detail15normal_iteratorINSB_10device_ptrIjEEEENSD_INSE_IS6_EEEESI_S6_NSB_4plusIvEENSB_8equal_toIvEES6_EE10hipError_tPvRmT2_T3_T4_T5_mT6_T7_P12ihipStream_tbENKUlT_T0_E_clISt17integral_constantIbLb1EES13_EEDaSY_SZ_EUlSY_E_NS1_11comp_targetILNS1_3genE5ELNS1_11target_archE942ELNS1_3gpuE9ELNS1_3repE0EEENS1_30default_config_static_selectorELNS0_4arch9wavefront6targetE0EEEvT1_
		.amdhsa_group_segment_fixed_size 0
		.amdhsa_private_segment_fixed_size 0
		.amdhsa_kernarg_size 120
		.amdhsa_user_sgpr_count 2
		.amdhsa_user_sgpr_dispatch_ptr 0
		.amdhsa_user_sgpr_queue_ptr 0
		.amdhsa_user_sgpr_kernarg_segment_ptr 1
		.amdhsa_user_sgpr_dispatch_id 0
		.amdhsa_user_sgpr_kernarg_preload_length 0
		.amdhsa_user_sgpr_kernarg_preload_offset 0
		.amdhsa_user_sgpr_private_segment_size 0
		.amdhsa_wavefront_size32 1
		.amdhsa_uses_dynamic_stack 0
		.amdhsa_enable_private_segment 0
		.amdhsa_system_sgpr_workgroup_id_x 1
		.amdhsa_system_sgpr_workgroup_id_y 0
		.amdhsa_system_sgpr_workgroup_id_z 0
		.amdhsa_system_sgpr_workgroup_info 0
		.amdhsa_system_vgpr_workitem_id 0
		.amdhsa_next_free_vgpr 1
		.amdhsa_next_free_sgpr 1
		.amdhsa_named_barrier_count 0
		.amdhsa_reserve_vcc 0
		.amdhsa_float_round_mode_32 0
		.amdhsa_float_round_mode_16_64 0
		.amdhsa_float_denorm_mode_32 3
		.amdhsa_float_denorm_mode_16_64 3
		.amdhsa_fp16_overflow 0
		.amdhsa_memory_ordered 1
		.amdhsa_forward_progress 1
		.amdhsa_inst_pref_size 0
		.amdhsa_round_robin_scheduling 0
		.amdhsa_exception_fp_ieee_invalid_op 0
		.amdhsa_exception_fp_denorm_src 0
		.amdhsa_exception_fp_ieee_div_zero 0
		.amdhsa_exception_fp_ieee_overflow 0
		.amdhsa_exception_fp_ieee_underflow 0
		.amdhsa_exception_fp_ieee_inexact 0
		.amdhsa_exception_int_div_zero 0
	.end_amdhsa_kernel
	.section	.text._ZN7rocprim17ROCPRIM_400000_NS6detail17trampoline_kernelINS0_14default_configENS1_27scan_by_key_config_selectorIj11FixedVectorIiLj2EEEEZZNS1_16scan_by_key_implILNS1_25lookback_scan_determinismE0ELb1ES3_N6thrust23THRUST_200600_302600_NS6detail15normal_iteratorINSB_10device_ptrIjEEEENSD_INSE_IS6_EEEESI_S6_NSB_4plusIvEENSB_8equal_toIvEES6_EE10hipError_tPvRmT2_T3_T4_T5_mT6_T7_P12ihipStream_tbENKUlT_T0_E_clISt17integral_constantIbLb1EES13_EEDaSY_SZ_EUlSY_E_NS1_11comp_targetILNS1_3genE5ELNS1_11target_archE942ELNS1_3gpuE9ELNS1_3repE0EEENS1_30default_config_static_selectorELNS0_4arch9wavefront6targetE0EEEvT1_,"axG",@progbits,_ZN7rocprim17ROCPRIM_400000_NS6detail17trampoline_kernelINS0_14default_configENS1_27scan_by_key_config_selectorIj11FixedVectorIiLj2EEEEZZNS1_16scan_by_key_implILNS1_25lookback_scan_determinismE0ELb1ES3_N6thrust23THRUST_200600_302600_NS6detail15normal_iteratorINSB_10device_ptrIjEEEENSD_INSE_IS6_EEEESI_S6_NSB_4plusIvEENSB_8equal_toIvEES6_EE10hipError_tPvRmT2_T3_T4_T5_mT6_T7_P12ihipStream_tbENKUlT_T0_E_clISt17integral_constantIbLb1EES13_EEDaSY_SZ_EUlSY_E_NS1_11comp_targetILNS1_3genE5ELNS1_11target_archE942ELNS1_3gpuE9ELNS1_3repE0EEENS1_30default_config_static_selectorELNS0_4arch9wavefront6targetE0EEEvT1_,comdat
.Lfunc_end2004:
	.size	_ZN7rocprim17ROCPRIM_400000_NS6detail17trampoline_kernelINS0_14default_configENS1_27scan_by_key_config_selectorIj11FixedVectorIiLj2EEEEZZNS1_16scan_by_key_implILNS1_25lookback_scan_determinismE0ELb1ES3_N6thrust23THRUST_200600_302600_NS6detail15normal_iteratorINSB_10device_ptrIjEEEENSD_INSE_IS6_EEEESI_S6_NSB_4plusIvEENSB_8equal_toIvEES6_EE10hipError_tPvRmT2_T3_T4_T5_mT6_T7_P12ihipStream_tbENKUlT_T0_E_clISt17integral_constantIbLb1EES13_EEDaSY_SZ_EUlSY_E_NS1_11comp_targetILNS1_3genE5ELNS1_11target_archE942ELNS1_3gpuE9ELNS1_3repE0EEENS1_30default_config_static_selectorELNS0_4arch9wavefront6targetE0EEEvT1_, .Lfunc_end2004-_ZN7rocprim17ROCPRIM_400000_NS6detail17trampoline_kernelINS0_14default_configENS1_27scan_by_key_config_selectorIj11FixedVectorIiLj2EEEEZZNS1_16scan_by_key_implILNS1_25lookback_scan_determinismE0ELb1ES3_N6thrust23THRUST_200600_302600_NS6detail15normal_iteratorINSB_10device_ptrIjEEEENSD_INSE_IS6_EEEESI_S6_NSB_4plusIvEENSB_8equal_toIvEES6_EE10hipError_tPvRmT2_T3_T4_T5_mT6_T7_P12ihipStream_tbENKUlT_T0_E_clISt17integral_constantIbLb1EES13_EEDaSY_SZ_EUlSY_E_NS1_11comp_targetILNS1_3genE5ELNS1_11target_archE942ELNS1_3gpuE9ELNS1_3repE0EEENS1_30default_config_static_selectorELNS0_4arch9wavefront6targetE0EEEvT1_
                                        ; -- End function
	.set _ZN7rocprim17ROCPRIM_400000_NS6detail17trampoline_kernelINS0_14default_configENS1_27scan_by_key_config_selectorIj11FixedVectorIiLj2EEEEZZNS1_16scan_by_key_implILNS1_25lookback_scan_determinismE0ELb1ES3_N6thrust23THRUST_200600_302600_NS6detail15normal_iteratorINSB_10device_ptrIjEEEENSD_INSE_IS6_EEEESI_S6_NSB_4plusIvEENSB_8equal_toIvEES6_EE10hipError_tPvRmT2_T3_T4_T5_mT6_T7_P12ihipStream_tbENKUlT_T0_E_clISt17integral_constantIbLb1EES13_EEDaSY_SZ_EUlSY_E_NS1_11comp_targetILNS1_3genE5ELNS1_11target_archE942ELNS1_3gpuE9ELNS1_3repE0EEENS1_30default_config_static_selectorELNS0_4arch9wavefront6targetE0EEEvT1_.num_vgpr, 0
	.set _ZN7rocprim17ROCPRIM_400000_NS6detail17trampoline_kernelINS0_14default_configENS1_27scan_by_key_config_selectorIj11FixedVectorIiLj2EEEEZZNS1_16scan_by_key_implILNS1_25lookback_scan_determinismE0ELb1ES3_N6thrust23THRUST_200600_302600_NS6detail15normal_iteratorINSB_10device_ptrIjEEEENSD_INSE_IS6_EEEESI_S6_NSB_4plusIvEENSB_8equal_toIvEES6_EE10hipError_tPvRmT2_T3_T4_T5_mT6_T7_P12ihipStream_tbENKUlT_T0_E_clISt17integral_constantIbLb1EES13_EEDaSY_SZ_EUlSY_E_NS1_11comp_targetILNS1_3genE5ELNS1_11target_archE942ELNS1_3gpuE9ELNS1_3repE0EEENS1_30default_config_static_selectorELNS0_4arch9wavefront6targetE0EEEvT1_.num_agpr, 0
	.set _ZN7rocprim17ROCPRIM_400000_NS6detail17trampoline_kernelINS0_14default_configENS1_27scan_by_key_config_selectorIj11FixedVectorIiLj2EEEEZZNS1_16scan_by_key_implILNS1_25lookback_scan_determinismE0ELb1ES3_N6thrust23THRUST_200600_302600_NS6detail15normal_iteratorINSB_10device_ptrIjEEEENSD_INSE_IS6_EEEESI_S6_NSB_4plusIvEENSB_8equal_toIvEES6_EE10hipError_tPvRmT2_T3_T4_T5_mT6_T7_P12ihipStream_tbENKUlT_T0_E_clISt17integral_constantIbLb1EES13_EEDaSY_SZ_EUlSY_E_NS1_11comp_targetILNS1_3genE5ELNS1_11target_archE942ELNS1_3gpuE9ELNS1_3repE0EEENS1_30default_config_static_selectorELNS0_4arch9wavefront6targetE0EEEvT1_.numbered_sgpr, 0
	.set _ZN7rocprim17ROCPRIM_400000_NS6detail17trampoline_kernelINS0_14default_configENS1_27scan_by_key_config_selectorIj11FixedVectorIiLj2EEEEZZNS1_16scan_by_key_implILNS1_25lookback_scan_determinismE0ELb1ES3_N6thrust23THRUST_200600_302600_NS6detail15normal_iteratorINSB_10device_ptrIjEEEENSD_INSE_IS6_EEEESI_S6_NSB_4plusIvEENSB_8equal_toIvEES6_EE10hipError_tPvRmT2_T3_T4_T5_mT6_T7_P12ihipStream_tbENKUlT_T0_E_clISt17integral_constantIbLb1EES13_EEDaSY_SZ_EUlSY_E_NS1_11comp_targetILNS1_3genE5ELNS1_11target_archE942ELNS1_3gpuE9ELNS1_3repE0EEENS1_30default_config_static_selectorELNS0_4arch9wavefront6targetE0EEEvT1_.num_named_barrier, 0
	.set _ZN7rocprim17ROCPRIM_400000_NS6detail17trampoline_kernelINS0_14default_configENS1_27scan_by_key_config_selectorIj11FixedVectorIiLj2EEEEZZNS1_16scan_by_key_implILNS1_25lookback_scan_determinismE0ELb1ES3_N6thrust23THRUST_200600_302600_NS6detail15normal_iteratorINSB_10device_ptrIjEEEENSD_INSE_IS6_EEEESI_S6_NSB_4plusIvEENSB_8equal_toIvEES6_EE10hipError_tPvRmT2_T3_T4_T5_mT6_T7_P12ihipStream_tbENKUlT_T0_E_clISt17integral_constantIbLb1EES13_EEDaSY_SZ_EUlSY_E_NS1_11comp_targetILNS1_3genE5ELNS1_11target_archE942ELNS1_3gpuE9ELNS1_3repE0EEENS1_30default_config_static_selectorELNS0_4arch9wavefront6targetE0EEEvT1_.private_seg_size, 0
	.set _ZN7rocprim17ROCPRIM_400000_NS6detail17trampoline_kernelINS0_14default_configENS1_27scan_by_key_config_selectorIj11FixedVectorIiLj2EEEEZZNS1_16scan_by_key_implILNS1_25lookback_scan_determinismE0ELb1ES3_N6thrust23THRUST_200600_302600_NS6detail15normal_iteratorINSB_10device_ptrIjEEEENSD_INSE_IS6_EEEESI_S6_NSB_4plusIvEENSB_8equal_toIvEES6_EE10hipError_tPvRmT2_T3_T4_T5_mT6_T7_P12ihipStream_tbENKUlT_T0_E_clISt17integral_constantIbLb1EES13_EEDaSY_SZ_EUlSY_E_NS1_11comp_targetILNS1_3genE5ELNS1_11target_archE942ELNS1_3gpuE9ELNS1_3repE0EEENS1_30default_config_static_selectorELNS0_4arch9wavefront6targetE0EEEvT1_.uses_vcc, 0
	.set _ZN7rocprim17ROCPRIM_400000_NS6detail17trampoline_kernelINS0_14default_configENS1_27scan_by_key_config_selectorIj11FixedVectorIiLj2EEEEZZNS1_16scan_by_key_implILNS1_25lookback_scan_determinismE0ELb1ES3_N6thrust23THRUST_200600_302600_NS6detail15normal_iteratorINSB_10device_ptrIjEEEENSD_INSE_IS6_EEEESI_S6_NSB_4plusIvEENSB_8equal_toIvEES6_EE10hipError_tPvRmT2_T3_T4_T5_mT6_T7_P12ihipStream_tbENKUlT_T0_E_clISt17integral_constantIbLb1EES13_EEDaSY_SZ_EUlSY_E_NS1_11comp_targetILNS1_3genE5ELNS1_11target_archE942ELNS1_3gpuE9ELNS1_3repE0EEENS1_30default_config_static_selectorELNS0_4arch9wavefront6targetE0EEEvT1_.uses_flat_scratch, 0
	.set _ZN7rocprim17ROCPRIM_400000_NS6detail17trampoline_kernelINS0_14default_configENS1_27scan_by_key_config_selectorIj11FixedVectorIiLj2EEEEZZNS1_16scan_by_key_implILNS1_25lookback_scan_determinismE0ELb1ES3_N6thrust23THRUST_200600_302600_NS6detail15normal_iteratorINSB_10device_ptrIjEEEENSD_INSE_IS6_EEEESI_S6_NSB_4plusIvEENSB_8equal_toIvEES6_EE10hipError_tPvRmT2_T3_T4_T5_mT6_T7_P12ihipStream_tbENKUlT_T0_E_clISt17integral_constantIbLb1EES13_EEDaSY_SZ_EUlSY_E_NS1_11comp_targetILNS1_3genE5ELNS1_11target_archE942ELNS1_3gpuE9ELNS1_3repE0EEENS1_30default_config_static_selectorELNS0_4arch9wavefront6targetE0EEEvT1_.has_dyn_sized_stack, 0
	.set _ZN7rocprim17ROCPRIM_400000_NS6detail17trampoline_kernelINS0_14default_configENS1_27scan_by_key_config_selectorIj11FixedVectorIiLj2EEEEZZNS1_16scan_by_key_implILNS1_25lookback_scan_determinismE0ELb1ES3_N6thrust23THRUST_200600_302600_NS6detail15normal_iteratorINSB_10device_ptrIjEEEENSD_INSE_IS6_EEEESI_S6_NSB_4plusIvEENSB_8equal_toIvEES6_EE10hipError_tPvRmT2_T3_T4_T5_mT6_T7_P12ihipStream_tbENKUlT_T0_E_clISt17integral_constantIbLb1EES13_EEDaSY_SZ_EUlSY_E_NS1_11comp_targetILNS1_3genE5ELNS1_11target_archE942ELNS1_3gpuE9ELNS1_3repE0EEENS1_30default_config_static_selectorELNS0_4arch9wavefront6targetE0EEEvT1_.has_recursion, 0
	.set _ZN7rocprim17ROCPRIM_400000_NS6detail17trampoline_kernelINS0_14default_configENS1_27scan_by_key_config_selectorIj11FixedVectorIiLj2EEEEZZNS1_16scan_by_key_implILNS1_25lookback_scan_determinismE0ELb1ES3_N6thrust23THRUST_200600_302600_NS6detail15normal_iteratorINSB_10device_ptrIjEEEENSD_INSE_IS6_EEEESI_S6_NSB_4plusIvEENSB_8equal_toIvEES6_EE10hipError_tPvRmT2_T3_T4_T5_mT6_T7_P12ihipStream_tbENKUlT_T0_E_clISt17integral_constantIbLb1EES13_EEDaSY_SZ_EUlSY_E_NS1_11comp_targetILNS1_3genE5ELNS1_11target_archE942ELNS1_3gpuE9ELNS1_3repE0EEENS1_30default_config_static_selectorELNS0_4arch9wavefront6targetE0EEEvT1_.has_indirect_call, 0
	.section	.AMDGPU.csdata,"",@progbits
; Kernel info:
; codeLenInByte = 0
; TotalNumSgprs: 0
; NumVgprs: 0
; ScratchSize: 0
; MemoryBound: 0
; FloatMode: 240
; IeeeMode: 1
; LDSByteSize: 0 bytes/workgroup (compile time only)
; SGPRBlocks: 0
; VGPRBlocks: 0
; NumSGPRsForWavesPerEU: 1
; NumVGPRsForWavesPerEU: 1
; NamedBarCnt: 0
; Occupancy: 16
; WaveLimiterHint : 0
; COMPUTE_PGM_RSRC2:SCRATCH_EN: 0
; COMPUTE_PGM_RSRC2:USER_SGPR: 2
; COMPUTE_PGM_RSRC2:TRAP_HANDLER: 0
; COMPUTE_PGM_RSRC2:TGID_X_EN: 1
; COMPUTE_PGM_RSRC2:TGID_Y_EN: 0
; COMPUTE_PGM_RSRC2:TGID_Z_EN: 0
; COMPUTE_PGM_RSRC2:TIDIG_COMP_CNT: 0
	.section	.text._ZN7rocprim17ROCPRIM_400000_NS6detail17trampoline_kernelINS0_14default_configENS1_27scan_by_key_config_selectorIj11FixedVectorIiLj2EEEEZZNS1_16scan_by_key_implILNS1_25lookback_scan_determinismE0ELb1ES3_N6thrust23THRUST_200600_302600_NS6detail15normal_iteratorINSB_10device_ptrIjEEEENSD_INSE_IS6_EEEESI_S6_NSB_4plusIvEENSB_8equal_toIvEES6_EE10hipError_tPvRmT2_T3_T4_T5_mT6_T7_P12ihipStream_tbENKUlT_T0_E_clISt17integral_constantIbLb1EES13_EEDaSY_SZ_EUlSY_E_NS1_11comp_targetILNS1_3genE4ELNS1_11target_archE910ELNS1_3gpuE8ELNS1_3repE0EEENS1_30default_config_static_selectorELNS0_4arch9wavefront6targetE0EEEvT1_,"axG",@progbits,_ZN7rocprim17ROCPRIM_400000_NS6detail17trampoline_kernelINS0_14default_configENS1_27scan_by_key_config_selectorIj11FixedVectorIiLj2EEEEZZNS1_16scan_by_key_implILNS1_25lookback_scan_determinismE0ELb1ES3_N6thrust23THRUST_200600_302600_NS6detail15normal_iteratorINSB_10device_ptrIjEEEENSD_INSE_IS6_EEEESI_S6_NSB_4plusIvEENSB_8equal_toIvEES6_EE10hipError_tPvRmT2_T3_T4_T5_mT6_T7_P12ihipStream_tbENKUlT_T0_E_clISt17integral_constantIbLb1EES13_EEDaSY_SZ_EUlSY_E_NS1_11comp_targetILNS1_3genE4ELNS1_11target_archE910ELNS1_3gpuE8ELNS1_3repE0EEENS1_30default_config_static_selectorELNS0_4arch9wavefront6targetE0EEEvT1_,comdat
	.protected	_ZN7rocprim17ROCPRIM_400000_NS6detail17trampoline_kernelINS0_14default_configENS1_27scan_by_key_config_selectorIj11FixedVectorIiLj2EEEEZZNS1_16scan_by_key_implILNS1_25lookback_scan_determinismE0ELb1ES3_N6thrust23THRUST_200600_302600_NS6detail15normal_iteratorINSB_10device_ptrIjEEEENSD_INSE_IS6_EEEESI_S6_NSB_4plusIvEENSB_8equal_toIvEES6_EE10hipError_tPvRmT2_T3_T4_T5_mT6_T7_P12ihipStream_tbENKUlT_T0_E_clISt17integral_constantIbLb1EES13_EEDaSY_SZ_EUlSY_E_NS1_11comp_targetILNS1_3genE4ELNS1_11target_archE910ELNS1_3gpuE8ELNS1_3repE0EEENS1_30default_config_static_selectorELNS0_4arch9wavefront6targetE0EEEvT1_ ; -- Begin function _ZN7rocprim17ROCPRIM_400000_NS6detail17trampoline_kernelINS0_14default_configENS1_27scan_by_key_config_selectorIj11FixedVectorIiLj2EEEEZZNS1_16scan_by_key_implILNS1_25lookback_scan_determinismE0ELb1ES3_N6thrust23THRUST_200600_302600_NS6detail15normal_iteratorINSB_10device_ptrIjEEEENSD_INSE_IS6_EEEESI_S6_NSB_4plusIvEENSB_8equal_toIvEES6_EE10hipError_tPvRmT2_T3_T4_T5_mT6_T7_P12ihipStream_tbENKUlT_T0_E_clISt17integral_constantIbLb1EES13_EEDaSY_SZ_EUlSY_E_NS1_11comp_targetILNS1_3genE4ELNS1_11target_archE910ELNS1_3gpuE8ELNS1_3repE0EEENS1_30default_config_static_selectorELNS0_4arch9wavefront6targetE0EEEvT1_
	.globl	_ZN7rocprim17ROCPRIM_400000_NS6detail17trampoline_kernelINS0_14default_configENS1_27scan_by_key_config_selectorIj11FixedVectorIiLj2EEEEZZNS1_16scan_by_key_implILNS1_25lookback_scan_determinismE0ELb1ES3_N6thrust23THRUST_200600_302600_NS6detail15normal_iteratorINSB_10device_ptrIjEEEENSD_INSE_IS6_EEEESI_S6_NSB_4plusIvEENSB_8equal_toIvEES6_EE10hipError_tPvRmT2_T3_T4_T5_mT6_T7_P12ihipStream_tbENKUlT_T0_E_clISt17integral_constantIbLb1EES13_EEDaSY_SZ_EUlSY_E_NS1_11comp_targetILNS1_3genE4ELNS1_11target_archE910ELNS1_3gpuE8ELNS1_3repE0EEENS1_30default_config_static_selectorELNS0_4arch9wavefront6targetE0EEEvT1_
	.p2align	8
	.type	_ZN7rocprim17ROCPRIM_400000_NS6detail17trampoline_kernelINS0_14default_configENS1_27scan_by_key_config_selectorIj11FixedVectorIiLj2EEEEZZNS1_16scan_by_key_implILNS1_25lookback_scan_determinismE0ELb1ES3_N6thrust23THRUST_200600_302600_NS6detail15normal_iteratorINSB_10device_ptrIjEEEENSD_INSE_IS6_EEEESI_S6_NSB_4plusIvEENSB_8equal_toIvEES6_EE10hipError_tPvRmT2_T3_T4_T5_mT6_T7_P12ihipStream_tbENKUlT_T0_E_clISt17integral_constantIbLb1EES13_EEDaSY_SZ_EUlSY_E_NS1_11comp_targetILNS1_3genE4ELNS1_11target_archE910ELNS1_3gpuE8ELNS1_3repE0EEENS1_30default_config_static_selectorELNS0_4arch9wavefront6targetE0EEEvT1_,@function
_ZN7rocprim17ROCPRIM_400000_NS6detail17trampoline_kernelINS0_14default_configENS1_27scan_by_key_config_selectorIj11FixedVectorIiLj2EEEEZZNS1_16scan_by_key_implILNS1_25lookback_scan_determinismE0ELb1ES3_N6thrust23THRUST_200600_302600_NS6detail15normal_iteratorINSB_10device_ptrIjEEEENSD_INSE_IS6_EEEESI_S6_NSB_4plusIvEENSB_8equal_toIvEES6_EE10hipError_tPvRmT2_T3_T4_T5_mT6_T7_P12ihipStream_tbENKUlT_T0_E_clISt17integral_constantIbLb1EES13_EEDaSY_SZ_EUlSY_E_NS1_11comp_targetILNS1_3genE4ELNS1_11target_archE910ELNS1_3gpuE8ELNS1_3repE0EEENS1_30default_config_static_selectorELNS0_4arch9wavefront6targetE0EEEvT1_: ; @_ZN7rocprim17ROCPRIM_400000_NS6detail17trampoline_kernelINS0_14default_configENS1_27scan_by_key_config_selectorIj11FixedVectorIiLj2EEEEZZNS1_16scan_by_key_implILNS1_25lookback_scan_determinismE0ELb1ES3_N6thrust23THRUST_200600_302600_NS6detail15normal_iteratorINSB_10device_ptrIjEEEENSD_INSE_IS6_EEEESI_S6_NSB_4plusIvEENSB_8equal_toIvEES6_EE10hipError_tPvRmT2_T3_T4_T5_mT6_T7_P12ihipStream_tbENKUlT_T0_E_clISt17integral_constantIbLb1EES13_EEDaSY_SZ_EUlSY_E_NS1_11comp_targetILNS1_3genE4ELNS1_11target_archE910ELNS1_3gpuE8ELNS1_3repE0EEENS1_30default_config_static_selectorELNS0_4arch9wavefront6targetE0EEEvT1_
; %bb.0:
	.section	.rodata,"a",@progbits
	.p2align	6, 0x0
	.amdhsa_kernel _ZN7rocprim17ROCPRIM_400000_NS6detail17trampoline_kernelINS0_14default_configENS1_27scan_by_key_config_selectorIj11FixedVectorIiLj2EEEEZZNS1_16scan_by_key_implILNS1_25lookback_scan_determinismE0ELb1ES3_N6thrust23THRUST_200600_302600_NS6detail15normal_iteratorINSB_10device_ptrIjEEEENSD_INSE_IS6_EEEESI_S6_NSB_4plusIvEENSB_8equal_toIvEES6_EE10hipError_tPvRmT2_T3_T4_T5_mT6_T7_P12ihipStream_tbENKUlT_T0_E_clISt17integral_constantIbLb1EES13_EEDaSY_SZ_EUlSY_E_NS1_11comp_targetILNS1_3genE4ELNS1_11target_archE910ELNS1_3gpuE8ELNS1_3repE0EEENS1_30default_config_static_selectorELNS0_4arch9wavefront6targetE0EEEvT1_
		.amdhsa_group_segment_fixed_size 0
		.amdhsa_private_segment_fixed_size 0
		.amdhsa_kernarg_size 120
		.amdhsa_user_sgpr_count 2
		.amdhsa_user_sgpr_dispatch_ptr 0
		.amdhsa_user_sgpr_queue_ptr 0
		.amdhsa_user_sgpr_kernarg_segment_ptr 1
		.amdhsa_user_sgpr_dispatch_id 0
		.amdhsa_user_sgpr_kernarg_preload_length 0
		.amdhsa_user_sgpr_kernarg_preload_offset 0
		.amdhsa_user_sgpr_private_segment_size 0
		.amdhsa_wavefront_size32 1
		.amdhsa_uses_dynamic_stack 0
		.amdhsa_enable_private_segment 0
		.amdhsa_system_sgpr_workgroup_id_x 1
		.amdhsa_system_sgpr_workgroup_id_y 0
		.amdhsa_system_sgpr_workgroup_id_z 0
		.amdhsa_system_sgpr_workgroup_info 0
		.amdhsa_system_vgpr_workitem_id 0
		.amdhsa_next_free_vgpr 1
		.amdhsa_next_free_sgpr 1
		.amdhsa_named_barrier_count 0
		.amdhsa_reserve_vcc 0
		.amdhsa_float_round_mode_32 0
		.amdhsa_float_round_mode_16_64 0
		.amdhsa_float_denorm_mode_32 3
		.amdhsa_float_denorm_mode_16_64 3
		.amdhsa_fp16_overflow 0
		.amdhsa_memory_ordered 1
		.amdhsa_forward_progress 1
		.amdhsa_inst_pref_size 0
		.amdhsa_round_robin_scheduling 0
		.amdhsa_exception_fp_ieee_invalid_op 0
		.amdhsa_exception_fp_denorm_src 0
		.amdhsa_exception_fp_ieee_div_zero 0
		.amdhsa_exception_fp_ieee_overflow 0
		.amdhsa_exception_fp_ieee_underflow 0
		.amdhsa_exception_fp_ieee_inexact 0
		.amdhsa_exception_int_div_zero 0
	.end_amdhsa_kernel
	.section	.text._ZN7rocprim17ROCPRIM_400000_NS6detail17trampoline_kernelINS0_14default_configENS1_27scan_by_key_config_selectorIj11FixedVectorIiLj2EEEEZZNS1_16scan_by_key_implILNS1_25lookback_scan_determinismE0ELb1ES3_N6thrust23THRUST_200600_302600_NS6detail15normal_iteratorINSB_10device_ptrIjEEEENSD_INSE_IS6_EEEESI_S6_NSB_4plusIvEENSB_8equal_toIvEES6_EE10hipError_tPvRmT2_T3_T4_T5_mT6_T7_P12ihipStream_tbENKUlT_T0_E_clISt17integral_constantIbLb1EES13_EEDaSY_SZ_EUlSY_E_NS1_11comp_targetILNS1_3genE4ELNS1_11target_archE910ELNS1_3gpuE8ELNS1_3repE0EEENS1_30default_config_static_selectorELNS0_4arch9wavefront6targetE0EEEvT1_,"axG",@progbits,_ZN7rocprim17ROCPRIM_400000_NS6detail17trampoline_kernelINS0_14default_configENS1_27scan_by_key_config_selectorIj11FixedVectorIiLj2EEEEZZNS1_16scan_by_key_implILNS1_25lookback_scan_determinismE0ELb1ES3_N6thrust23THRUST_200600_302600_NS6detail15normal_iteratorINSB_10device_ptrIjEEEENSD_INSE_IS6_EEEESI_S6_NSB_4plusIvEENSB_8equal_toIvEES6_EE10hipError_tPvRmT2_T3_T4_T5_mT6_T7_P12ihipStream_tbENKUlT_T0_E_clISt17integral_constantIbLb1EES13_EEDaSY_SZ_EUlSY_E_NS1_11comp_targetILNS1_3genE4ELNS1_11target_archE910ELNS1_3gpuE8ELNS1_3repE0EEENS1_30default_config_static_selectorELNS0_4arch9wavefront6targetE0EEEvT1_,comdat
.Lfunc_end2005:
	.size	_ZN7rocprim17ROCPRIM_400000_NS6detail17trampoline_kernelINS0_14default_configENS1_27scan_by_key_config_selectorIj11FixedVectorIiLj2EEEEZZNS1_16scan_by_key_implILNS1_25lookback_scan_determinismE0ELb1ES3_N6thrust23THRUST_200600_302600_NS6detail15normal_iteratorINSB_10device_ptrIjEEEENSD_INSE_IS6_EEEESI_S6_NSB_4plusIvEENSB_8equal_toIvEES6_EE10hipError_tPvRmT2_T3_T4_T5_mT6_T7_P12ihipStream_tbENKUlT_T0_E_clISt17integral_constantIbLb1EES13_EEDaSY_SZ_EUlSY_E_NS1_11comp_targetILNS1_3genE4ELNS1_11target_archE910ELNS1_3gpuE8ELNS1_3repE0EEENS1_30default_config_static_selectorELNS0_4arch9wavefront6targetE0EEEvT1_, .Lfunc_end2005-_ZN7rocprim17ROCPRIM_400000_NS6detail17trampoline_kernelINS0_14default_configENS1_27scan_by_key_config_selectorIj11FixedVectorIiLj2EEEEZZNS1_16scan_by_key_implILNS1_25lookback_scan_determinismE0ELb1ES3_N6thrust23THRUST_200600_302600_NS6detail15normal_iteratorINSB_10device_ptrIjEEEENSD_INSE_IS6_EEEESI_S6_NSB_4plusIvEENSB_8equal_toIvEES6_EE10hipError_tPvRmT2_T3_T4_T5_mT6_T7_P12ihipStream_tbENKUlT_T0_E_clISt17integral_constantIbLb1EES13_EEDaSY_SZ_EUlSY_E_NS1_11comp_targetILNS1_3genE4ELNS1_11target_archE910ELNS1_3gpuE8ELNS1_3repE0EEENS1_30default_config_static_selectorELNS0_4arch9wavefront6targetE0EEEvT1_
                                        ; -- End function
	.set _ZN7rocprim17ROCPRIM_400000_NS6detail17trampoline_kernelINS0_14default_configENS1_27scan_by_key_config_selectorIj11FixedVectorIiLj2EEEEZZNS1_16scan_by_key_implILNS1_25lookback_scan_determinismE0ELb1ES3_N6thrust23THRUST_200600_302600_NS6detail15normal_iteratorINSB_10device_ptrIjEEEENSD_INSE_IS6_EEEESI_S6_NSB_4plusIvEENSB_8equal_toIvEES6_EE10hipError_tPvRmT2_T3_T4_T5_mT6_T7_P12ihipStream_tbENKUlT_T0_E_clISt17integral_constantIbLb1EES13_EEDaSY_SZ_EUlSY_E_NS1_11comp_targetILNS1_3genE4ELNS1_11target_archE910ELNS1_3gpuE8ELNS1_3repE0EEENS1_30default_config_static_selectorELNS0_4arch9wavefront6targetE0EEEvT1_.num_vgpr, 0
	.set _ZN7rocprim17ROCPRIM_400000_NS6detail17trampoline_kernelINS0_14default_configENS1_27scan_by_key_config_selectorIj11FixedVectorIiLj2EEEEZZNS1_16scan_by_key_implILNS1_25lookback_scan_determinismE0ELb1ES3_N6thrust23THRUST_200600_302600_NS6detail15normal_iteratorINSB_10device_ptrIjEEEENSD_INSE_IS6_EEEESI_S6_NSB_4plusIvEENSB_8equal_toIvEES6_EE10hipError_tPvRmT2_T3_T4_T5_mT6_T7_P12ihipStream_tbENKUlT_T0_E_clISt17integral_constantIbLb1EES13_EEDaSY_SZ_EUlSY_E_NS1_11comp_targetILNS1_3genE4ELNS1_11target_archE910ELNS1_3gpuE8ELNS1_3repE0EEENS1_30default_config_static_selectorELNS0_4arch9wavefront6targetE0EEEvT1_.num_agpr, 0
	.set _ZN7rocprim17ROCPRIM_400000_NS6detail17trampoline_kernelINS0_14default_configENS1_27scan_by_key_config_selectorIj11FixedVectorIiLj2EEEEZZNS1_16scan_by_key_implILNS1_25lookback_scan_determinismE0ELb1ES3_N6thrust23THRUST_200600_302600_NS6detail15normal_iteratorINSB_10device_ptrIjEEEENSD_INSE_IS6_EEEESI_S6_NSB_4plusIvEENSB_8equal_toIvEES6_EE10hipError_tPvRmT2_T3_T4_T5_mT6_T7_P12ihipStream_tbENKUlT_T0_E_clISt17integral_constantIbLb1EES13_EEDaSY_SZ_EUlSY_E_NS1_11comp_targetILNS1_3genE4ELNS1_11target_archE910ELNS1_3gpuE8ELNS1_3repE0EEENS1_30default_config_static_selectorELNS0_4arch9wavefront6targetE0EEEvT1_.numbered_sgpr, 0
	.set _ZN7rocprim17ROCPRIM_400000_NS6detail17trampoline_kernelINS0_14default_configENS1_27scan_by_key_config_selectorIj11FixedVectorIiLj2EEEEZZNS1_16scan_by_key_implILNS1_25lookback_scan_determinismE0ELb1ES3_N6thrust23THRUST_200600_302600_NS6detail15normal_iteratorINSB_10device_ptrIjEEEENSD_INSE_IS6_EEEESI_S6_NSB_4plusIvEENSB_8equal_toIvEES6_EE10hipError_tPvRmT2_T3_T4_T5_mT6_T7_P12ihipStream_tbENKUlT_T0_E_clISt17integral_constantIbLb1EES13_EEDaSY_SZ_EUlSY_E_NS1_11comp_targetILNS1_3genE4ELNS1_11target_archE910ELNS1_3gpuE8ELNS1_3repE0EEENS1_30default_config_static_selectorELNS0_4arch9wavefront6targetE0EEEvT1_.num_named_barrier, 0
	.set _ZN7rocprim17ROCPRIM_400000_NS6detail17trampoline_kernelINS0_14default_configENS1_27scan_by_key_config_selectorIj11FixedVectorIiLj2EEEEZZNS1_16scan_by_key_implILNS1_25lookback_scan_determinismE0ELb1ES3_N6thrust23THRUST_200600_302600_NS6detail15normal_iteratorINSB_10device_ptrIjEEEENSD_INSE_IS6_EEEESI_S6_NSB_4plusIvEENSB_8equal_toIvEES6_EE10hipError_tPvRmT2_T3_T4_T5_mT6_T7_P12ihipStream_tbENKUlT_T0_E_clISt17integral_constantIbLb1EES13_EEDaSY_SZ_EUlSY_E_NS1_11comp_targetILNS1_3genE4ELNS1_11target_archE910ELNS1_3gpuE8ELNS1_3repE0EEENS1_30default_config_static_selectorELNS0_4arch9wavefront6targetE0EEEvT1_.private_seg_size, 0
	.set _ZN7rocprim17ROCPRIM_400000_NS6detail17trampoline_kernelINS0_14default_configENS1_27scan_by_key_config_selectorIj11FixedVectorIiLj2EEEEZZNS1_16scan_by_key_implILNS1_25lookback_scan_determinismE0ELb1ES3_N6thrust23THRUST_200600_302600_NS6detail15normal_iteratorINSB_10device_ptrIjEEEENSD_INSE_IS6_EEEESI_S6_NSB_4plusIvEENSB_8equal_toIvEES6_EE10hipError_tPvRmT2_T3_T4_T5_mT6_T7_P12ihipStream_tbENKUlT_T0_E_clISt17integral_constantIbLb1EES13_EEDaSY_SZ_EUlSY_E_NS1_11comp_targetILNS1_3genE4ELNS1_11target_archE910ELNS1_3gpuE8ELNS1_3repE0EEENS1_30default_config_static_selectorELNS0_4arch9wavefront6targetE0EEEvT1_.uses_vcc, 0
	.set _ZN7rocprim17ROCPRIM_400000_NS6detail17trampoline_kernelINS0_14default_configENS1_27scan_by_key_config_selectorIj11FixedVectorIiLj2EEEEZZNS1_16scan_by_key_implILNS1_25lookback_scan_determinismE0ELb1ES3_N6thrust23THRUST_200600_302600_NS6detail15normal_iteratorINSB_10device_ptrIjEEEENSD_INSE_IS6_EEEESI_S6_NSB_4plusIvEENSB_8equal_toIvEES6_EE10hipError_tPvRmT2_T3_T4_T5_mT6_T7_P12ihipStream_tbENKUlT_T0_E_clISt17integral_constantIbLb1EES13_EEDaSY_SZ_EUlSY_E_NS1_11comp_targetILNS1_3genE4ELNS1_11target_archE910ELNS1_3gpuE8ELNS1_3repE0EEENS1_30default_config_static_selectorELNS0_4arch9wavefront6targetE0EEEvT1_.uses_flat_scratch, 0
	.set _ZN7rocprim17ROCPRIM_400000_NS6detail17trampoline_kernelINS0_14default_configENS1_27scan_by_key_config_selectorIj11FixedVectorIiLj2EEEEZZNS1_16scan_by_key_implILNS1_25lookback_scan_determinismE0ELb1ES3_N6thrust23THRUST_200600_302600_NS6detail15normal_iteratorINSB_10device_ptrIjEEEENSD_INSE_IS6_EEEESI_S6_NSB_4plusIvEENSB_8equal_toIvEES6_EE10hipError_tPvRmT2_T3_T4_T5_mT6_T7_P12ihipStream_tbENKUlT_T0_E_clISt17integral_constantIbLb1EES13_EEDaSY_SZ_EUlSY_E_NS1_11comp_targetILNS1_3genE4ELNS1_11target_archE910ELNS1_3gpuE8ELNS1_3repE0EEENS1_30default_config_static_selectorELNS0_4arch9wavefront6targetE0EEEvT1_.has_dyn_sized_stack, 0
	.set _ZN7rocprim17ROCPRIM_400000_NS6detail17trampoline_kernelINS0_14default_configENS1_27scan_by_key_config_selectorIj11FixedVectorIiLj2EEEEZZNS1_16scan_by_key_implILNS1_25lookback_scan_determinismE0ELb1ES3_N6thrust23THRUST_200600_302600_NS6detail15normal_iteratorINSB_10device_ptrIjEEEENSD_INSE_IS6_EEEESI_S6_NSB_4plusIvEENSB_8equal_toIvEES6_EE10hipError_tPvRmT2_T3_T4_T5_mT6_T7_P12ihipStream_tbENKUlT_T0_E_clISt17integral_constantIbLb1EES13_EEDaSY_SZ_EUlSY_E_NS1_11comp_targetILNS1_3genE4ELNS1_11target_archE910ELNS1_3gpuE8ELNS1_3repE0EEENS1_30default_config_static_selectorELNS0_4arch9wavefront6targetE0EEEvT1_.has_recursion, 0
	.set _ZN7rocprim17ROCPRIM_400000_NS6detail17trampoline_kernelINS0_14default_configENS1_27scan_by_key_config_selectorIj11FixedVectorIiLj2EEEEZZNS1_16scan_by_key_implILNS1_25lookback_scan_determinismE0ELb1ES3_N6thrust23THRUST_200600_302600_NS6detail15normal_iteratorINSB_10device_ptrIjEEEENSD_INSE_IS6_EEEESI_S6_NSB_4plusIvEENSB_8equal_toIvEES6_EE10hipError_tPvRmT2_T3_T4_T5_mT6_T7_P12ihipStream_tbENKUlT_T0_E_clISt17integral_constantIbLb1EES13_EEDaSY_SZ_EUlSY_E_NS1_11comp_targetILNS1_3genE4ELNS1_11target_archE910ELNS1_3gpuE8ELNS1_3repE0EEENS1_30default_config_static_selectorELNS0_4arch9wavefront6targetE0EEEvT1_.has_indirect_call, 0
	.section	.AMDGPU.csdata,"",@progbits
; Kernel info:
; codeLenInByte = 0
; TotalNumSgprs: 0
; NumVgprs: 0
; ScratchSize: 0
; MemoryBound: 0
; FloatMode: 240
; IeeeMode: 1
; LDSByteSize: 0 bytes/workgroup (compile time only)
; SGPRBlocks: 0
; VGPRBlocks: 0
; NumSGPRsForWavesPerEU: 1
; NumVGPRsForWavesPerEU: 1
; NamedBarCnt: 0
; Occupancy: 16
; WaveLimiterHint : 0
; COMPUTE_PGM_RSRC2:SCRATCH_EN: 0
; COMPUTE_PGM_RSRC2:USER_SGPR: 2
; COMPUTE_PGM_RSRC2:TRAP_HANDLER: 0
; COMPUTE_PGM_RSRC2:TGID_X_EN: 1
; COMPUTE_PGM_RSRC2:TGID_Y_EN: 0
; COMPUTE_PGM_RSRC2:TGID_Z_EN: 0
; COMPUTE_PGM_RSRC2:TIDIG_COMP_CNT: 0
	.section	.text._ZN7rocprim17ROCPRIM_400000_NS6detail17trampoline_kernelINS0_14default_configENS1_27scan_by_key_config_selectorIj11FixedVectorIiLj2EEEEZZNS1_16scan_by_key_implILNS1_25lookback_scan_determinismE0ELb1ES3_N6thrust23THRUST_200600_302600_NS6detail15normal_iteratorINSB_10device_ptrIjEEEENSD_INSE_IS6_EEEESI_S6_NSB_4plusIvEENSB_8equal_toIvEES6_EE10hipError_tPvRmT2_T3_T4_T5_mT6_T7_P12ihipStream_tbENKUlT_T0_E_clISt17integral_constantIbLb1EES13_EEDaSY_SZ_EUlSY_E_NS1_11comp_targetILNS1_3genE3ELNS1_11target_archE908ELNS1_3gpuE7ELNS1_3repE0EEENS1_30default_config_static_selectorELNS0_4arch9wavefront6targetE0EEEvT1_,"axG",@progbits,_ZN7rocprim17ROCPRIM_400000_NS6detail17trampoline_kernelINS0_14default_configENS1_27scan_by_key_config_selectorIj11FixedVectorIiLj2EEEEZZNS1_16scan_by_key_implILNS1_25lookback_scan_determinismE0ELb1ES3_N6thrust23THRUST_200600_302600_NS6detail15normal_iteratorINSB_10device_ptrIjEEEENSD_INSE_IS6_EEEESI_S6_NSB_4plusIvEENSB_8equal_toIvEES6_EE10hipError_tPvRmT2_T3_T4_T5_mT6_T7_P12ihipStream_tbENKUlT_T0_E_clISt17integral_constantIbLb1EES13_EEDaSY_SZ_EUlSY_E_NS1_11comp_targetILNS1_3genE3ELNS1_11target_archE908ELNS1_3gpuE7ELNS1_3repE0EEENS1_30default_config_static_selectorELNS0_4arch9wavefront6targetE0EEEvT1_,comdat
	.protected	_ZN7rocprim17ROCPRIM_400000_NS6detail17trampoline_kernelINS0_14default_configENS1_27scan_by_key_config_selectorIj11FixedVectorIiLj2EEEEZZNS1_16scan_by_key_implILNS1_25lookback_scan_determinismE0ELb1ES3_N6thrust23THRUST_200600_302600_NS6detail15normal_iteratorINSB_10device_ptrIjEEEENSD_INSE_IS6_EEEESI_S6_NSB_4plusIvEENSB_8equal_toIvEES6_EE10hipError_tPvRmT2_T3_T4_T5_mT6_T7_P12ihipStream_tbENKUlT_T0_E_clISt17integral_constantIbLb1EES13_EEDaSY_SZ_EUlSY_E_NS1_11comp_targetILNS1_3genE3ELNS1_11target_archE908ELNS1_3gpuE7ELNS1_3repE0EEENS1_30default_config_static_selectorELNS0_4arch9wavefront6targetE0EEEvT1_ ; -- Begin function _ZN7rocprim17ROCPRIM_400000_NS6detail17trampoline_kernelINS0_14default_configENS1_27scan_by_key_config_selectorIj11FixedVectorIiLj2EEEEZZNS1_16scan_by_key_implILNS1_25lookback_scan_determinismE0ELb1ES3_N6thrust23THRUST_200600_302600_NS6detail15normal_iteratorINSB_10device_ptrIjEEEENSD_INSE_IS6_EEEESI_S6_NSB_4plusIvEENSB_8equal_toIvEES6_EE10hipError_tPvRmT2_T3_T4_T5_mT6_T7_P12ihipStream_tbENKUlT_T0_E_clISt17integral_constantIbLb1EES13_EEDaSY_SZ_EUlSY_E_NS1_11comp_targetILNS1_3genE3ELNS1_11target_archE908ELNS1_3gpuE7ELNS1_3repE0EEENS1_30default_config_static_selectorELNS0_4arch9wavefront6targetE0EEEvT1_
	.globl	_ZN7rocprim17ROCPRIM_400000_NS6detail17trampoline_kernelINS0_14default_configENS1_27scan_by_key_config_selectorIj11FixedVectorIiLj2EEEEZZNS1_16scan_by_key_implILNS1_25lookback_scan_determinismE0ELb1ES3_N6thrust23THRUST_200600_302600_NS6detail15normal_iteratorINSB_10device_ptrIjEEEENSD_INSE_IS6_EEEESI_S6_NSB_4plusIvEENSB_8equal_toIvEES6_EE10hipError_tPvRmT2_T3_T4_T5_mT6_T7_P12ihipStream_tbENKUlT_T0_E_clISt17integral_constantIbLb1EES13_EEDaSY_SZ_EUlSY_E_NS1_11comp_targetILNS1_3genE3ELNS1_11target_archE908ELNS1_3gpuE7ELNS1_3repE0EEENS1_30default_config_static_selectorELNS0_4arch9wavefront6targetE0EEEvT1_
	.p2align	8
	.type	_ZN7rocprim17ROCPRIM_400000_NS6detail17trampoline_kernelINS0_14default_configENS1_27scan_by_key_config_selectorIj11FixedVectorIiLj2EEEEZZNS1_16scan_by_key_implILNS1_25lookback_scan_determinismE0ELb1ES3_N6thrust23THRUST_200600_302600_NS6detail15normal_iteratorINSB_10device_ptrIjEEEENSD_INSE_IS6_EEEESI_S6_NSB_4plusIvEENSB_8equal_toIvEES6_EE10hipError_tPvRmT2_T3_T4_T5_mT6_T7_P12ihipStream_tbENKUlT_T0_E_clISt17integral_constantIbLb1EES13_EEDaSY_SZ_EUlSY_E_NS1_11comp_targetILNS1_3genE3ELNS1_11target_archE908ELNS1_3gpuE7ELNS1_3repE0EEENS1_30default_config_static_selectorELNS0_4arch9wavefront6targetE0EEEvT1_,@function
_ZN7rocprim17ROCPRIM_400000_NS6detail17trampoline_kernelINS0_14default_configENS1_27scan_by_key_config_selectorIj11FixedVectorIiLj2EEEEZZNS1_16scan_by_key_implILNS1_25lookback_scan_determinismE0ELb1ES3_N6thrust23THRUST_200600_302600_NS6detail15normal_iteratorINSB_10device_ptrIjEEEENSD_INSE_IS6_EEEESI_S6_NSB_4plusIvEENSB_8equal_toIvEES6_EE10hipError_tPvRmT2_T3_T4_T5_mT6_T7_P12ihipStream_tbENKUlT_T0_E_clISt17integral_constantIbLb1EES13_EEDaSY_SZ_EUlSY_E_NS1_11comp_targetILNS1_3genE3ELNS1_11target_archE908ELNS1_3gpuE7ELNS1_3repE0EEENS1_30default_config_static_selectorELNS0_4arch9wavefront6targetE0EEEvT1_: ; @_ZN7rocprim17ROCPRIM_400000_NS6detail17trampoline_kernelINS0_14default_configENS1_27scan_by_key_config_selectorIj11FixedVectorIiLj2EEEEZZNS1_16scan_by_key_implILNS1_25lookback_scan_determinismE0ELb1ES3_N6thrust23THRUST_200600_302600_NS6detail15normal_iteratorINSB_10device_ptrIjEEEENSD_INSE_IS6_EEEESI_S6_NSB_4plusIvEENSB_8equal_toIvEES6_EE10hipError_tPvRmT2_T3_T4_T5_mT6_T7_P12ihipStream_tbENKUlT_T0_E_clISt17integral_constantIbLb1EES13_EEDaSY_SZ_EUlSY_E_NS1_11comp_targetILNS1_3genE3ELNS1_11target_archE908ELNS1_3gpuE7ELNS1_3repE0EEENS1_30default_config_static_selectorELNS0_4arch9wavefront6targetE0EEEvT1_
; %bb.0:
	.section	.rodata,"a",@progbits
	.p2align	6, 0x0
	.amdhsa_kernel _ZN7rocprim17ROCPRIM_400000_NS6detail17trampoline_kernelINS0_14default_configENS1_27scan_by_key_config_selectorIj11FixedVectorIiLj2EEEEZZNS1_16scan_by_key_implILNS1_25lookback_scan_determinismE0ELb1ES3_N6thrust23THRUST_200600_302600_NS6detail15normal_iteratorINSB_10device_ptrIjEEEENSD_INSE_IS6_EEEESI_S6_NSB_4plusIvEENSB_8equal_toIvEES6_EE10hipError_tPvRmT2_T3_T4_T5_mT6_T7_P12ihipStream_tbENKUlT_T0_E_clISt17integral_constantIbLb1EES13_EEDaSY_SZ_EUlSY_E_NS1_11comp_targetILNS1_3genE3ELNS1_11target_archE908ELNS1_3gpuE7ELNS1_3repE0EEENS1_30default_config_static_selectorELNS0_4arch9wavefront6targetE0EEEvT1_
		.amdhsa_group_segment_fixed_size 0
		.amdhsa_private_segment_fixed_size 0
		.amdhsa_kernarg_size 120
		.amdhsa_user_sgpr_count 2
		.amdhsa_user_sgpr_dispatch_ptr 0
		.amdhsa_user_sgpr_queue_ptr 0
		.amdhsa_user_sgpr_kernarg_segment_ptr 1
		.amdhsa_user_sgpr_dispatch_id 0
		.amdhsa_user_sgpr_kernarg_preload_length 0
		.amdhsa_user_sgpr_kernarg_preload_offset 0
		.amdhsa_user_sgpr_private_segment_size 0
		.amdhsa_wavefront_size32 1
		.amdhsa_uses_dynamic_stack 0
		.amdhsa_enable_private_segment 0
		.amdhsa_system_sgpr_workgroup_id_x 1
		.amdhsa_system_sgpr_workgroup_id_y 0
		.amdhsa_system_sgpr_workgroup_id_z 0
		.amdhsa_system_sgpr_workgroup_info 0
		.amdhsa_system_vgpr_workitem_id 0
		.amdhsa_next_free_vgpr 1
		.amdhsa_next_free_sgpr 1
		.amdhsa_named_barrier_count 0
		.amdhsa_reserve_vcc 0
		.amdhsa_float_round_mode_32 0
		.amdhsa_float_round_mode_16_64 0
		.amdhsa_float_denorm_mode_32 3
		.amdhsa_float_denorm_mode_16_64 3
		.amdhsa_fp16_overflow 0
		.amdhsa_memory_ordered 1
		.amdhsa_forward_progress 1
		.amdhsa_inst_pref_size 0
		.amdhsa_round_robin_scheduling 0
		.amdhsa_exception_fp_ieee_invalid_op 0
		.amdhsa_exception_fp_denorm_src 0
		.amdhsa_exception_fp_ieee_div_zero 0
		.amdhsa_exception_fp_ieee_overflow 0
		.amdhsa_exception_fp_ieee_underflow 0
		.amdhsa_exception_fp_ieee_inexact 0
		.amdhsa_exception_int_div_zero 0
	.end_amdhsa_kernel
	.section	.text._ZN7rocprim17ROCPRIM_400000_NS6detail17trampoline_kernelINS0_14default_configENS1_27scan_by_key_config_selectorIj11FixedVectorIiLj2EEEEZZNS1_16scan_by_key_implILNS1_25lookback_scan_determinismE0ELb1ES3_N6thrust23THRUST_200600_302600_NS6detail15normal_iteratorINSB_10device_ptrIjEEEENSD_INSE_IS6_EEEESI_S6_NSB_4plusIvEENSB_8equal_toIvEES6_EE10hipError_tPvRmT2_T3_T4_T5_mT6_T7_P12ihipStream_tbENKUlT_T0_E_clISt17integral_constantIbLb1EES13_EEDaSY_SZ_EUlSY_E_NS1_11comp_targetILNS1_3genE3ELNS1_11target_archE908ELNS1_3gpuE7ELNS1_3repE0EEENS1_30default_config_static_selectorELNS0_4arch9wavefront6targetE0EEEvT1_,"axG",@progbits,_ZN7rocprim17ROCPRIM_400000_NS6detail17trampoline_kernelINS0_14default_configENS1_27scan_by_key_config_selectorIj11FixedVectorIiLj2EEEEZZNS1_16scan_by_key_implILNS1_25lookback_scan_determinismE0ELb1ES3_N6thrust23THRUST_200600_302600_NS6detail15normal_iteratorINSB_10device_ptrIjEEEENSD_INSE_IS6_EEEESI_S6_NSB_4plusIvEENSB_8equal_toIvEES6_EE10hipError_tPvRmT2_T3_T4_T5_mT6_T7_P12ihipStream_tbENKUlT_T0_E_clISt17integral_constantIbLb1EES13_EEDaSY_SZ_EUlSY_E_NS1_11comp_targetILNS1_3genE3ELNS1_11target_archE908ELNS1_3gpuE7ELNS1_3repE0EEENS1_30default_config_static_selectorELNS0_4arch9wavefront6targetE0EEEvT1_,comdat
.Lfunc_end2006:
	.size	_ZN7rocprim17ROCPRIM_400000_NS6detail17trampoline_kernelINS0_14default_configENS1_27scan_by_key_config_selectorIj11FixedVectorIiLj2EEEEZZNS1_16scan_by_key_implILNS1_25lookback_scan_determinismE0ELb1ES3_N6thrust23THRUST_200600_302600_NS6detail15normal_iteratorINSB_10device_ptrIjEEEENSD_INSE_IS6_EEEESI_S6_NSB_4plusIvEENSB_8equal_toIvEES6_EE10hipError_tPvRmT2_T3_T4_T5_mT6_T7_P12ihipStream_tbENKUlT_T0_E_clISt17integral_constantIbLb1EES13_EEDaSY_SZ_EUlSY_E_NS1_11comp_targetILNS1_3genE3ELNS1_11target_archE908ELNS1_3gpuE7ELNS1_3repE0EEENS1_30default_config_static_selectorELNS0_4arch9wavefront6targetE0EEEvT1_, .Lfunc_end2006-_ZN7rocprim17ROCPRIM_400000_NS6detail17trampoline_kernelINS0_14default_configENS1_27scan_by_key_config_selectorIj11FixedVectorIiLj2EEEEZZNS1_16scan_by_key_implILNS1_25lookback_scan_determinismE0ELb1ES3_N6thrust23THRUST_200600_302600_NS6detail15normal_iteratorINSB_10device_ptrIjEEEENSD_INSE_IS6_EEEESI_S6_NSB_4plusIvEENSB_8equal_toIvEES6_EE10hipError_tPvRmT2_T3_T4_T5_mT6_T7_P12ihipStream_tbENKUlT_T0_E_clISt17integral_constantIbLb1EES13_EEDaSY_SZ_EUlSY_E_NS1_11comp_targetILNS1_3genE3ELNS1_11target_archE908ELNS1_3gpuE7ELNS1_3repE0EEENS1_30default_config_static_selectorELNS0_4arch9wavefront6targetE0EEEvT1_
                                        ; -- End function
	.set _ZN7rocprim17ROCPRIM_400000_NS6detail17trampoline_kernelINS0_14default_configENS1_27scan_by_key_config_selectorIj11FixedVectorIiLj2EEEEZZNS1_16scan_by_key_implILNS1_25lookback_scan_determinismE0ELb1ES3_N6thrust23THRUST_200600_302600_NS6detail15normal_iteratorINSB_10device_ptrIjEEEENSD_INSE_IS6_EEEESI_S6_NSB_4plusIvEENSB_8equal_toIvEES6_EE10hipError_tPvRmT2_T3_T4_T5_mT6_T7_P12ihipStream_tbENKUlT_T0_E_clISt17integral_constantIbLb1EES13_EEDaSY_SZ_EUlSY_E_NS1_11comp_targetILNS1_3genE3ELNS1_11target_archE908ELNS1_3gpuE7ELNS1_3repE0EEENS1_30default_config_static_selectorELNS0_4arch9wavefront6targetE0EEEvT1_.num_vgpr, 0
	.set _ZN7rocprim17ROCPRIM_400000_NS6detail17trampoline_kernelINS0_14default_configENS1_27scan_by_key_config_selectorIj11FixedVectorIiLj2EEEEZZNS1_16scan_by_key_implILNS1_25lookback_scan_determinismE0ELb1ES3_N6thrust23THRUST_200600_302600_NS6detail15normal_iteratorINSB_10device_ptrIjEEEENSD_INSE_IS6_EEEESI_S6_NSB_4plusIvEENSB_8equal_toIvEES6_EE10hipError_tPvRmT2_T3_T4_T5_mT6_T7_P12ihipStream_tbENKUlT_T0_E_clISt17integral_constantIbLb1EES13_EEDaSY_SZ_EUlSY_E_NS1_11comp_targetILNS1_3genE3ELNS1_11target_archE908ELNS1_3gpuE7ELNS1_3repE0EEENS1_30default_config_static_selectorELNS0_4arch9wavefront6targetE0EEEvT1_.num_agpr, 0
	.set _ZN7rocprim17ROCPRIM_400000_NS6detail17trampoline_kernelINS0_14default_configENS1_27scan_by_key_config_selectorIj11FixedVectorIiLj2EEEEZZNS1_16scan_by_key_implILNS1_25lookback_scan_determinismE0ELb1ES3_N6thrust23THRUST_200600_302600_NS6detail15normal_iteratorINSB_10device_ptrIjEEEENSD_INSE_IS6_EEEESI_S6_NSB_4plusIvEENSB_8equal_toIvEES6_EE10hipError_tPvRmT2_T3_T4_T5_mT6_T7_P12ihipStream_tbENKUlT_T0_E_clISt17integral_constantIbLb1EES13_EEDaSY_SZ_EUlSY_E_NS1_11comp_targetILNS1_3genE3ELNS1_11target_archE908ELNS1_3gpuE7ELNS1_3repE0EEENS1_30default_config_static_selectorELNS0_4arch9wavefront6targetE0EEEvT1_.numbered_sgpr, 0
	.set _ZN7rocprim17ROCPRIM_400000_NS6detail17trampoline_kernelINS0_14default_configENS1_27scan_by_key_config_selectorIj11FixedVectorIiLj2EEEEZZNS1_16scan_by_key_implILNS1_25lookback_scan_determinismE0ELb1ES3_N6thrust23THRUST_200600_302600_NS6detail15normal_iteratorINSB_10device_ptrIjEEEENSD_INSE_IS6_EEEESI_S6_NSB_4plusIvEENSB_8equal_toIvEES6_EE10hipError_tPvRmT2_T3_T4_T5_mT6_T7_P12ihipStream_tbENKUlT_T0_E_clISt17integral_constantIbLb1EES13_EEDaSY_SZ_EUlSY_E_NS1_11comp_targetILNS1_3genE3ELNS1_11target_archE908ELNS1_3gpuE7ELNS1_3repE0EEENS1_30default_config_static_selectorELNS0_4arch9wavefront6targetE0EEEvT1_.num_named_barrier, 0
	.set _ZN7rocprim17ROCPRIM_400000_NS6detail17trampoline_kernelINS0_14default_configENS1_27scan_by_key_config_selectorIj11FixedVectorIiLj2EEEEZZNS1_16scan_by_key_implILNS1_25lookback_scan_determinismE0ELb1ES3_N6thrust23THRUST_200600_302600_NS6detail15normal_iteratorINSB_10device_ptrIjEEEENSD_INSE_IS6_EEEESI_S6_NSB_4plusIvEENSB_8equal_toIvEES6_EE10hipError_tPvRmT2_T3_T4_T5_mT6_T7_P12ihipStream_tbENKUlT_T0_E_clISt17integral_constantIbLb1EES13_EEDaSY_SZ_EUlSY_E_NS1_11comp_targetILNS1_3genE3ELNS1_11target_archE908ELNS1_3gpuE7ELNS1_3repE0EEENS1_30default_config_static_selectorELNS0_4arch9wavefront6targetE0EEEvT1_.private_seg_size, 0
	.set _ZN7rocprim17ROCPRIM_400000_NS6detail17trampoline_kernelINS0_14default_configENS1_27scan_by_key_config_selectorIj11FixedVectorIiLj2EEEEZZNS1_16scan_by_key_implILNS1_25lookback_scan_determinismE0ELb1ES3_N6thrust23THRUST_200600_302600_NS6detail15normal_iteratorINSB_10device_ptrIjEEEENSD_INSE_IS6_EEEESI_S6_NSB_4plusIvEENSB_8equal_toIvEES6_EE10hipError_tPvRmT2_T3_T4_T5_mT6_T7_P12ihipStream_tbENKUlT_T0_E_clISt17integral_constantIbLb1EES13_EEDaSY_SZ_EUlSY_E_NS1_11comp_targetILNS1_3genE3ELNS1_11target_archE908ELNS1_3gpuE7ELNS1_3repE0EEENS1_30default_config_static_selectorELNS0_4arch9wavefront6targetE0EEEvT1_.uses_vcc, 0
	.set _ZN7rocprim17ROCPRIM_400000_NS6detail17trampoline_kernelINS0_14default_configENS1_27scan_by_key_config_selectorIj11FixedVectorIiLj2EEEEZZNS1_16scan_by_key_implILNS1_25lookback_scan_determinismE0ELb1ES3_N6thrust23THRUST_200600_302600_NS6detail15normal_iteratorINSB_10device_ptrIjEEEENSD_INSE_IS6_EEEESI_S6_NSB_4plusIvEENSB_8equal_toIvEES6_EE10hipError_tPvRmT2_T3_T4_T5_mT6_T7_P12ihipStream_tbENKUlT_T0_E_clISt17integral_constantIbLb1EES13_EEDaSY_SZ_EUlSY_E_NS1_11comp_targetILNS1_3genE3ELNS1_11target_archE908ELNS1_3gpuE7ELNS1_3repE0EEENS1_30default_config_static_selectorELNS0_4arch9wavefront6targetE0EEEvT1_.uses_flat_scratch, 0
	.set _ZN7rocprim17ROCPRIM_400000_NS6detail17trampoline_kernelINS0_14default_configENS1_27scan_by_key_config_selectorIj11FixedVectorIiLj2EEEEZZNS1_16scan_by_key_implILNS1_25lookback_scan_determinismE0ELb1ES3_N6thrust23THRUST_200600_302600_NS6detail15normal_iteratorINSB_10device_ptrIjEEEENSD_INSE_IS6_EEEESI_S6_NSB_4plusIvEENSB_8equal_toIvEES6_EE10hipError_tPvRmT2_T3_T4_T5_mT6_T7_P12ihipStream_tbENKUlT_T0_E_clISt17integral_constantIbLb1EES13_EEDaSY_SZ_EUlSY_E_NS1_11comp_targetILNS1_3genE3ELNS1_11target_archE908ELNS1_3gpuE7ELNS1_3repE0EEENS1_30default_config_static_selectorELNS0_4arch9wavefront6targetE0EEEvT1_.has_dyn_sized_stack, 0
	.set _ZN7rocprim17ROCPRIM_400000_NS6detail17trampoline_kernelINS0_14default_configENS1_27scan_by_key_config_selectorIj11FixedVectorIiLj2EEEEZZNS1_16scan_by_key_implILNS1_25lookback_scan_determinismE0ELb1ES3_N6thrust23THRUST_200600_302600_NS6detail15normal_iteratorINSB_10device_ptrIjEEEENSD_INSE_IS6_EEEESI_S6_NSB_4plusIvEENSB_8equal_toIvEES6_EE10hipError_tPvRmT2_T3_T4_T5_mT6_T7_P12ihipStream_tbENKUlT_T0_E_clISt17integral_constantIbLb1EES13_EEDaSY_SZ_EUlSY_E_NS1_11comp_targetILNS1_3genE3ELNS1_11target_archE908ELNS1_3gpuE7ELNS1_3repE0EEENS1_30default_config_static_selectorELNS0_4arch9wavefront6targetE0EEEvT1_.has_recursion, 0
	.set _ZN7rocprim17ROCPRIM_400000_NS6detail17trampoline_kernelINS0_14default_configENS1_27scan_by_key_config_selectorIj11FixedVectorIiLj2EEEEZZNS1_16scan_by_key_implILNS1_25lookback_scan_determinismE0ELb1ES3_N6thrust23THRUST_200600_302600_NS6detail15normal_iteratorINSB_10device_ptrIjEEEENSD_INSE_IS6_EEEESI_S6_NSB_4plusIvEENSB_8equal_toIvEES6_EE10hipError_tPvRmT2_T3_T4_T5_mT6_T7_P12ihipStream_tbENKUlT_T0_E_clISt17integral_constantIbLb1EES13_EEDaSY_SZ_EUlSY_E_NS1_11comp_targetILNS1_3genE3ELNS1_11target_archE908ELNS1_3gpuE7ELNS1_3repE0EEENS1_30default_config_static_selectorELNS0_4arch9wavefront6targetE0EEEvT1_.has_indirect_call, 0
	.section	.AMDGPU.csdata,"",@progbits
; Kernel info:
; codeLenInByte = 0
; TotalNumSgprs: 0
; NumVgprs: 0
; ScratchSize: 0
; MemoryBound: 0
; FloatMode: 240
; IeeeMode: 1
; LDSByteSize: 0 bytes/workgroup (compile time only)
; SGPRBlocks: 0
; VGPRBlocks: 0
; NumSGPRsForWavesPerEU: 1
; NumVGPRsForWavesPerEU: 1
; NamedBarCnt: 0
; Occupancy: 16
; WaveLimiterHint : 0
; COMPUTE_PGM_RSRC2:SCRATCH_EN: 0
; COMPUTE_PGM_RSRC2:USER_SGPR: 2
; COMPUTE_PGM_RSRC2:TRAP_HANDLER: 0
; COMPUTE_PGM_RSRC2:TGID_X_EN: 1
; COMPUTE_PGM_RSRC2:TGID_Y_EN: 0
; COMPUTE_PGM_RSRC2:TGID_Z_EN: 0
; COMPUTE_PGM_RSRC2:TIDIG_COMP_CNT: 0
	.section	.text._ZN7rocprim17ROCPRIM_400000_NS6detail17trampoline_kernelINS0_14default_configENS1_27scan_by_key_config_selectorIj11FixedVectorIiLj2EEEEZZNS1_16scan_by_key_implILNS1_25lookback_scan_determinismE0ELb1ES3_N6thrust23THRUST_200600_302600_NS6detail15normal_iteratorINSB_10device_ptrIjEEEENSD_INSE_IS6_EEEESI_S6_NSB_4plusIvEENSB_8equal_toIvEES6_EE10hipError_tPvRmT2_T3_T4_T5_mT6_T7_P12ihipStream_tbENKUlT_T0_E_clISt17integral_constantIbLb1EES13_EEDaSY_SZ_EUlSY_E_NS1_11comp_targetILNS1_3genE2ELNS1_11target_archE906ELNS1_3gpuE6ELNS1_3repE0EEENS1_30default_config_static_selectorELNS0_4arch9wavefront6targetE0EEEvT1_,"axG",@progbits,_ZN7rocprim17ROCPRIM_400000_NS6detail17trampoline_kernelINS0_14default_configENS1_27scan_by_key_config_selectorIj11FixedVectorIiLj2EEEEZZNS1_16scan_by_key_implILNS1_25lookback_scan_determinismE0ELb1ES3_N6thrust23THRUST_200600_302600_NS6detail15normal_iteratorINSB_10device_ptrIjEEEENSD_INSE_IS6_EEEESI_S6_NSB_4plusIvEENSB_8equal_toIvEES6_EE10hipError_tPvRmT2_T3_T4_T5_mT6_T7_P12ihipStream_tbENKUlT_T0_E_clISt17integral_constantIbLb1EES13_EEDaSY_SZ_EUlSY_E_NS1_11comp_targetILNS1_3genE2ELNS1_11target_archE906ELNS1_3gpuE6ELNS1_3repE0EEENS1_30default_config_static_selectorELNS0_4arch9wavefront6targetE0EEEvT1_,comdat
	.protected	_ZN7rocprim17ROCPRIM_400000_NS6detail17trampoline_kernelINS0_14default_configENS1_27scan_by_key_config_selectorIj11FixedVectorIiLj2EEEEZZNS1_16scan_by_key_implILNS1_25lookback_scan_determinismE0ELb1ES3_N6thrust23THRUST_200600_302600_NS6detail15normal_iteratorINSB_10device_ptrIjEEEENSD_INSE_IS6_EEEESI_S6_NSB_4plusIvEENSB_8equal_toIvEES6_EE10hipError_tPvRmT2_T3_T4_T5_mT6_T7_P12ihipStream_tbENKUlT_T0_E_clISt17integral_constantIbLb1EES13_EEDaSY_SZ_EUlSY_E_NS1_11comp_targetILNS1_3genE2ELNS1_11target_archE906ELNS1_3gpuE6ELNS1_3repE0EEENS1_30default_config_static_selectorELNS0_4arch9wavefront6targetE0EEEvT1_ ; -- Begin function _ZN7rocprim17ROCPRIM_400000_NS6detail17trampoline_kernelINS0_14default_configENS1_27scan_by_key_config_selectorIj11FixedVectorIiLj2EEEEZZNS1_16scan_by_key_implILNS1_25lookback_scan_determinismE0ELb1ES3_N6thrust23THRUST_200600_302600_NS6detail15normal_iteratorINSB_10device_ptrIjEEEENSD_INSE_IS6_EEEESI_S6_NSB_4plusIvEENSB_8equal_toIvEES6_EE10hipError_tPvRmT2_T3_T4_T5_mT6_T7_P12ihipStream_tbENKUlT_T0_E_clISt17integral_constantIbLb1EES13_EEDaSY_SZ_EUlSY_E_NS1_11comp_targetILNS1_3genE2ELNS1_11target_archE906ELNS1_3gpuE6ELNS1_3repE0EEENS1_30default_config_static_selectorELNS0_4arch9wavefront6targetE0EEEvT1_
	.globl	_ZN7rocprim17ROCPRIM_400000_NS6detail17trampoline_kernelINS0_14default_configENS1_27scan_by_key_config_selectorIj11FixedVectorIiLj2EEEEZZNS1_16scan_by_key_implILNS1_25lookback_scan_determinismE0ELb1ES3_N6thrust23THRUST_200600_302600_NS6detail15normal_iteratorINSB_10device_ptrIjEEEENSD_INSE_IS6_EEEESI_S6_NSB_4plusIvEENSB_8equal_toIvEES6_EE10hipError_tPvRmT2_T3_T4_T5_mT6_T7_P12ihipStream_tbENKUlT_T0_E_clISt17integral_constantIbLb1EES13_EEDaSY_SZ_EUlSY_E_NS1_11comp_targetILNS1_3genE2ELNS1_11target_archE906ELNS1_3gpuE6ELNS1_3repE0EEENS1_30default_config_static_selectorELNS0_4arch9wavefront6targetE0EEEvT1_
	.p2align	8
	.type	_ZN7rocprim17ROCPRIM_400000_NS6detail17trampoline_kernelINS0_14default_configENS1_27scan_by_key_config_selectorIj11FixedVectorIiLj2EEEEZZNS1_16scan_by_key_implILNS1_25lookback_scan_determinismE0ELb1ES3_N6thrust23THRUST_200600_302600_NS6detail15normal_iteratorINSB_10device_ptrIjEEEENSD_INSE_IS6_EEEESI_S6_NSB_4plusIvEENSB_8equal_toIvEES6_EE10hipError_tPvRmT2_T3_T4_T5_mT6_T7_P12ihipStream_tbENKUlT_T0_E_clISt17integral_constantIbLb1EES13_EEDaSY_SZ_EUlSY_E_NS1_11comp_targetILNS1_3genE2ELNS1_11target_archE906ELNS1_3gpuE6ELNS1_3repE0EEENS1_30default_config_static_selectorELNS0_4arch9wavefront6targetE0EEEvT1_,@function
_ZN7rocprim17ROCPRIM_400000_NS6detail17trampoline_kernelINS0_14default_configENS1_27scan_by_key_config_selectorIj11FixedVectorIiLj2EEEEZZNS1_16scan_by_key_implILNS1_25lookback_scan_determinismE0ELb1ES3_N6thrust23THRUST_200600_302600_NS6detail15normal_iteratorINSB_10device_ptrIjEEEENSD_INSE_IS6_EEEESI_S6_NSB_4plusIvEENSB_8equal_toIvEES6_EE10hipError_tPvRmT2_T3_T4_T5_mT6_T7_P12ihipStream_tbENKUlT_T0_E_clISt17integral_constantIbLb1EES13_EEDaSY_SZ_EUlSY_E_NS1_11comp_targetILNS1_3genE2ELNS1_11target_archE906ELNS1_3gpuE6ELNS1_3repE0EEENS1_30default_config_static_selectorELNS0_4arch9wavefront6targetE0EEEvT1_: ; @_ZN7rocprim17ROCPRIM_400000_NS6detail17trampoline_kernelINS0_14default_configENS1_27scan_by_key_config_selectorIj11FixedVectorIiLj2EEEEZZNS1_16scan_by_key_implILNS1_25lookback_scan_determinismE0ELb1ES3_N6thrust23THRUST_200600_302600_NS6detail15normal_iteratorINSB_10device_ptrIjEEEENSD_INSE_IS6_EEEESI_S6_NSB_4plusIvEENSB_8equal_toIvEES6_EE10hipError_tPvRmT2_T3_T4_T5_mT6_T7_P12ihipStream_tbENKUlT_T0_E_clISt17integral_constantIbLb1EES13_EEDaSY_SZ_EUlSY_E_NS1_11comp_targetILNS1_3genE2ELNS1_11target_archE906ELNS1_3gpuE6ELNS1_3repE0EEENS1_30default_config_static_selectorELNS0_4arch9wavefront6targetE0EEEvT1_
; %bb.0:
	.section	.rodata,"a",@progbits
	.p2align	6, 0x0
	.amdhsa_kernel _ZN7rocprim17ROCPRIM_400000_NS6detail17trampoline_kernelINS0_14default_configENS1_27scan_by_key_config_selectorIj11FixedVectorIiLj2EEEEZZNS1_16scan_by_key_implILNS1_25lookback_scan_determinismE0ELb1ES3_N6thrust23THRUST_200600_302600_NS6detail15normal_iteratorINSB_10device_ptrIjEEEENSD_INSE_IS6_EEEESI_S6_NSB_4plusIvEENSB_8equal_toIvEES6_EE10hipError_tPvRmT2_T3_T4_T5_mT6_T7_P12ihipStream_tbENKUlT_T0_E_clISt17integral_constantIbLb1EES13_EEDaSY_SZ_EUlSY_E_NS1_11comp_targetILNS1_3genE2ELNS1_11target_archE906ELNS1_3gpuE6ELNS1_3repE0EEENS1_30default_config_static_selectorELNS0_4arch9wavefront6targetE0EEEvT1_
		.amdhsa_group_segment_fixed_size 0
		.amdhsa_private_segment_fixed_size 0
		.amdhsa_kernarg_size 120
		.amdhsa_user_sgpr_count 2
		.amdhsa_user_sgpr_dispatch_ptr 0
		.amdhsa_user_sgpr_queue_ptr 0
		.amdhsa_user_sgpr_kernarg_segment_ptr 1
		.amdhsa_user_sgpr_dispatch_id 0
		.amdhsa_user_sgpr_kernarg_preload_length 0
		.amdhsa_user_sgpr_kernarg_preload_offset 0
		.amdhsa_user_sgpr_private_segment_size 0
		.amdhsa_wavefront_size32 1
		.amdhsa_uses_dynamic_stack 0
		.amdhsa_enable_private_segment 0
		.amdhsa_system_sgpr_workgroup_id_x 1
		.amdhsa_system_sgpr_workgroup_id_y 0
		.amdhsa_system_sgpr_workgroup_id_z 0
		.amdhsa_system_sgpr_workgroup_info 0
		.amdhsa_system_vgpr_workitem_id 0
		.amdhsa_next_free_vgpr 1
		.amdhsa_next_free_sgpr 1
		.amdhsa_named_barrier_count 0
		.amdhsa_reserve_vcc 0
		.amdhsa_float_round_mode_32 0
		.amdhsa_float_round_mode_16_64 0
		.amdhsa_float_denorm_mode_32 3
		.amdhsa_float_denorm_mode_16_64 3
		.amdhsa_fp16_overflow 0
		.amdhsa_memory_ordered 1
		.amdhsa_forward_progress 1
		.amdhsa_inst_pref_size 0
		.amdhsa_round_robin_scheduling 0
		.amdhsa_exception_fp_ieee_invalid_op 0
		.amdhsa_exception_fp_denorm_src 0
		.amdhsa_exception_fp_ieee_div_zero 0
		.amdhsa_exception_fp_ieee_overflow 0
		.amdhsa_exception_fp_ieee_underflow 0
		.amdhsa_exception_fp_ieee_inexact 0
		.amdhsa_exception_int_div_zero 0
	.end_amdhsa_kernel
	.section	.text._ZN7rocprim17ROCPRIM_400000_NS6detail17trampoline_kernelINS0_14default_configENS1_27scan_by_key_config_selectorIj11FixedVectorIiLj2EEEEZZNS1_16scan_by_key_implILNS1_25lookback_scan_determinismE0ELb1ES3_N6thrust23THRUST_200600_302600_NS6detail15normal_iteratorINSB_10device_ptrIjEEEENSD_INSE_IS6_EEEESI_S6_NSB_4plusIvEENSB_8equal_toIvEES6_EE10hipError_tPvRmT2_T3_T4_T5_mT6_T7_P12ihipStream_tbENKUlT_T0_E_clISt17integral_constantIbLb1EES13_EEDaSY_SZ_EUlSY_E_NS1_11comp_targetILNS1_3genE2ELNS1_11target_archE906ELNS1_3gpuE6ELNS1_3repE0EEENS1_30default_config_static_selectorELNS0_4arch9wavefront6targetE0EEEvT1_,"axG",@progbits,_ZN7rocprim17ROCPRIM_400000_NS6detail17trampoline_kernelINS0_14default_configENS1_27scan_by_key_config_selectorIj11FixedVectorIiLj2EEEEZZNS1_16scan_by_key_implILNS1_25lookback_scan_determinismE0ELb1ES3_N6thrust23THRUST_200600_302600_NS6detail15normal_iteratorINSB_10device_ptrIjEEEENSD_INSE_IS6_EEEESI_S6_NSB_4plusIvEENSB_8equal_toIvEES6_EE10hipError_tPvRmT2_T3_T4_T5_mT6_T7_P12ihipStream_tbENKUlT_T0_E_clISt17integral_constantIbLb1EES13_EEDaSY_SZ_EUlSY_E_NS1_11comp_targetILNS1_3genE2ELNS1_11target_archE906ELNS1_3gpuE6ELNS1_3repE0EEENS1_30default_config_static_selectorELNS0_4arch9wavefront6targetE0EEEvT1_,comdat
.Lfunc_end2007:
	.size	_ZN7rocprim17ROCPRIM_400000_NS6detail17trampoline_kernelINS0_14default_configENS1_27scan_by_key_config_selectorIj11FixedVectorIiLj2EEEEZZNS1_16scan_by_key_implILNS1_25lookback_scan_determinismE0ELb1ES3_N6thrust23THRUST_200600_302600_NS6detail15normal_iteratorINSB_10device_ptrIjEEEENSD_INSE_IS6_EEEESI_S6_NSB_4plusIvEENSB_8equal_toIvEES6_EE10hipError_tPvRmT2_T3_T4_T5_mT6_T7_P12ihipStream_tbENKUlT_T0_E_clISt17integral_constantIbLb1EES13_EEDaSY_SZ_EUlSY_E_NS1_11comp_targetILNS1_3genE2ELNS1_11target_archE906ELNS1_3gpuE6ELNS1_3repE0EEENS1_30default_config_static_selectorELNS0_4arch9wavefront6targetE0EEEvT1_, .Lfunc_end2007-_ZN7rocprim17ROCPRIM_400000_NS6detail17trampoline_kernelINS0_14default_configENS1_27scan_by_key_config_selectorIj11FixedVectorIiLj2EEEEZZNS1_16scan_by_key_implILNS1_25lookback_scan_determinismE0ELb1ES3_N6thrust23THRUST_200600_302600_NS6detail15normal_iteratorINSB_10device_ptrIjEEEENSD_INSE_IS6_EEEESI_S6_NSB_4plusIvEENSB_8equal_toIvEES6_EE10hipError_tPvRmT2_T3_T4_T5_mT6_T7_P12ihipStream_tbENKUlT_T0_E_clISt17integral_constantIbLb1EES13_EEDaSY_SZ_EUlSY_E_NS1_11comp_targetILNS1_3genE2ELNS1_11target_archE906ELNS1_3gpuE6ELNS1_3repE0EEENS1_30default_config_static_selectorELNS0_4arch9wavefront6targetE0EEEvT1_
                                        ; -- End function
	.set _ZN7rocprim17ROCPRIM_400000_NS6detail17trampoline_kernelINS0_14default_configENS1_27scan_by_key_config_selectorIj11FixedVectorIiLj2EEEEZZNS1_16scan_by_key_implILNS1_25lookback_scan_determinismE0ELb1ES3_N6thrust23THRUST_200600_302600_NS6detail15normal_iteratorINSB_10device_ptrIjEEEENSD_INSE_IS6_EEEESI_S6_NSB_4plusIvEENSB_8equal_toIvEES6_EE10hipError_tPvRmT2_T3_T4_T5_mT6_T7_P12ihipStream_tbENKUlT_T0_E_clISt17integral_constantIbLb1EES13_EEDaSY_SZ_EUlSY_E_NS1_11comp_targetILNS1_3genE2ELNS1_11target_archE906ELNS1_3gpuE6ELNS1_3repE0EEENS1_30default_config_static_selectorELNS0_4arch9wavefront6targetE0EEEvT1_.num_vgpr, 0
	.set _ZN7rocprim17ROCPRIM_400000_NS6detail17trampoline_kernelINS0_14default_configENS1_27scan_by_key_config_selectorIj11FixedVectorIiLj2EEEEZZNS1_16scan_by_key_implILNS1_25lookback_scan_determinismE0ELb1ES3_N6thrust23THRUST_200600_302600_NS6detail15normal_iteratorINSB_10device_ptrIjEEEENSD_INSE_IS6_EEEESI_S6_NSB_4plusIvEENSB_8equal_toIvEES6_EE10hipError_tPvRmT2_T3_T4_T5_mT6_T7_P12ihipStream_tbENKUlT_T0_E_clISt17integral_constantIbLb1EES13_EEDaSY_SZ_EUlSY_E_NS1_11comp_targetILNS1_3genE2ELNS1_11target_archE906ELNS1_3gpuE6ELNS1_3repE0EEENS1_30default_config_static_selectorELNS0_4arch9wavefront6targetE0EEEvT1_.num_agpr, 0
	.set _ZN7rocprim17ROCPRIM_400000_NS6detail17trampoline_kernelINS0_14default_configENS1_27scan_by_key_config_selectorIj11FixedVectorIiLj2EEEEZZNS1_16scan_by_key_implILNS1_25lookback_scan_determinismE0ELb1ES3_N6thrust23THRUST_200600_302600_NS6detail15normal_iteratorINSB_10device_ptrIjEEEENSD_INSE_IS6_EEEESI_S6_NSB_4plusIvEENSB_8equal_toIvEES6_EE10hipError_tPvRmT2_T3_T4_T5_mT6_T7_P12ihipStream_tbENKUlT_T0_E_clISt17integral_constantIbLb1EES13_EEDaSY_SZ_EUlSY_E_NS1_11comp_targetILNS1_3genE2ELNS1_11target_archE906ELNS1_3gpuE6ELNS1_3repE0EEENS1_30default_config_static_selectorELNS0_4arch9wavefront6targetE0EEEvT1_.numbered_sgpr, 0
	.set _ZN7rocprim17ROCPRIM_400000_NS6detail17trampoline_kernelINS0_14default_configENS1_27scan_by_key_config_selectorIj11FixedVectorIiLj2EEEEZZNS1_16scan_by_key_implILNS1_25lookback_scan_determinismE0ELb1ES3_N6thrust23THRUST_200600_302600_NS6detail15normal_iteratorINSB_10device_ptrIjEEEENSD_INSE_IS6_EEEESI_S6_NSB_4plusIvEENSB_8equal_toIvEES6_EE10hipError_tPvRmT2_T3_T4_T5_mT6_T7_P12ihipStream_tbENKUlT_T0_E_clISt17integral_constantIbLb1EES13_EEDaSY_SZ_EUlSY_E_NS1_11comp_targetILNS1_3genE2ELNS1_11target_archE906ELNS1_3gpuE6ELNS1_3repE0EEENS1_30default_config_static_selectorELNS0_4arch9wavefront6targetE0EEEvT1_.num_named_barrier, 0
	.set _ZN7rocprim17ROCPRIM_400000_NS6detail17trampoline_kernelINS0_14default_configENS1_27scan_by_key_config_selectorIj11FixedVectorIiLj2EEEEZZNS1_16scan_by_key_implILNS1_25lookback_scan_determinismE0ELb1ES3_N6thrust23THRUST_200600_302600_NS6detail15normal_iteratorINSB_10device_ptrIjEEEENSD_INSE_IS6_EEEESI_S6_NSB_4plusIvEENSB_8equal_toIvEES6_EE10hipError_tPvRmT2_T3_T4_T5_mT6_T7_P12ihipStream_tbENKUlT_T0_E_clISt17integral_constantIbLb1EES13_EEDaSY_SZ_EUlSY_E_NS1_11comp_targetILNS1_3genE2ELNS1_11target_archE906ELNS1_3gpuE6ELNS1_3repE0EEENS1_30default_config_static_selectorELNS0_4arch9wavefront6targetE0EEEvT1_.private_seg_size, 0
	.set _ZN7rocprim17ROCPRIM_400000_NS6detail17trampoline_kernelINS0_14default_configENS1_27scan_by_key_config_selectorIj11FixedVectorIiLj2EEEEZZNS1_16scan_by_key_implILNS1_25lookback_scan_determinismE0ELb1ES3_N6thrust23THRUST_200600_302600_NS6detail15normal_iteratorINSB_10device_ptrIjEEEENSD_INSE_IS6_EEEESI_S6_NSB_4plusIvEENSB_8equal_toIvEES6_EE10hipError_tPvRmT2_T3_T4_T5_mT6_T7_P12ihipStream_tbENKUlT_T0_E_clISt17integral_constantIbLb1EES13_EEDaSY_SZ_EUlSY_E_NS1_11comp_targetILNS1_3genE2ELNS1_11target_archE906ELNS1_3gpuE6ELNS1_3repE0EEENS1_30default_config_static_selectorELNS0_4arch9wavefront6targetE0EEEvT1_.uses_vcc, 0
	.set _ZN7rocprim17ROCPRIM_400000_NS6detail17trampoline_kernelINS0_14default_configENS1_27scan_by_key_config_selectorIj11FixedVectorIiLj2EEEEZZNS1_16scan_by_key_implILNS1_25lookback_scan_determinismE0ELb1ES3_N6thrust23THRUST_200600_302600_NS6detail15normal_iteratorINSB_10device_ptrIjEEEENSD_INSE_IS6_EEEESI_S6_NSB_4plusIvEENSB_8equal_toIvEES6_EE10hipError_tPvRmT2_T3_T4_T5_mT6_T7_P12ihipStream_tbENKUlT_T0_E_clISt17integral_constantIbLb1EES13_EEDaSY_SZ_EUlSY_E_NS1_11comp_targetILNS1_3genE2ELNS1_11target_archE906ELNS1_3gpuE6ELNS1_3repE0EEENS1_30default_config_static_selectorELNS0_4arch9wavefront6targetE0EEEvT1_.uses_flat_scratch, 0
	.set _ZN7rocprim17ROCPRIM_400000_NS6detail17trampoline_kernelINS0_14default_configENS1_27scan_by_key_config_selectorIj11FixedVectorIiLj2EEEEZZNS1_16scan_by_key_implILNS1_25lookback_scan_determinismE0ELb1ES3_N6thrust23THRUST_200600_302600_NS6detail15normal_iteratorINSB_10device_ptrIjEEEENSD_INSE_IS6_EEEESI_S6_NSB_4plusIvEENSB_8equal_toIvEES6_EE10hipError_tPvRmT2_T3_T4_T5_mT6_T7_P12ihipStream_tbENKUlT_T0_E_clISt17integral_constantIbLb1EES13_EEDaSY_SZ_EUlSY_E_NS1_11comp_targetILNS1_3genE2ELNS1_11target_archE906ELNS1_3gpuE6ELNS1_3repE0EEENS1_30default_config_static_selectorELNS0_4arch9wavefront6targetE0EEEvT1_.has_dyn_sized_stack, 0
	.set _ZN7rocprim17ROCPRIM_400000_NS6detail17trampoline_kernelINS0_14default_configENS1_27scan_by_key_config_selectorIj11FixedVectorIiLj2EEEEZZNS1_16scan_by_key_implILNS1_25lookback_scan_determinismE0ELb1ES3_N6thrust23THRUST_200600_302600_NS6detail15normal_iteratorINSB_10device_ptrIjEEEENSD_INSE_IS6_EEEESI_S6_NSB_4plusIvEENSB_8equal_toIvEES6_EE10hipError_tPvRmT2_T3_T4_T5_mT6_T7_P12ihipStream_tbENKUlT_T0_E_clISt17integral_constantIbLb1EES13_EEDaSY_SZ_EUlSY_E_NS1_11comp_targetILNS1_3genE2ELNS1_11target_archE906ELNS1_3gpuE6ELNS1_3repE0EEENS1_30default_config_static_selectorELNS0_4arch9wavefront6targetE0EEEvT1_.has_recursion, 0
	.set _ZN7rocprim17ROCPRIM_400000_NS6detail17trampoline_kernelINS0_14default_configENS1_27scan_by_key_config_selectorIj11FixedVectorIiLj2EEEEZZNS1_16scan_by_key_implILNS1_25lookback_scan_determinismE0ELb1ES3_N6thrust23THRUST_200600_302600_NS6detail15normal_iteratorINSB_10device_ptrIjEEEENSD_INSE_IS6_EEEESI_S6_NSB_4plusIvEENSB_8equal_toIvEES6_EE10hipError_tPvRmT2_T3_T4_T5_mT6_T7_P12ihipStream_tbENKUlT_T0_E_clISt17integral_constantIbLb1EES13_EEDaSY_SZ_EUlSY_E_NS1_11comp_targetILNS1_3genE2ELNS1_11target_archE906ELNS1_3gpuE6ELNS1_3repE0EEENS1_30default_config_static_selectorELNS0_4arch9wavefront6targetE0EEEvT1_.has_indirect_call, 0
	.section	.AMDGPU.csdata,"",@progbits
; Kernel info:
; codeLenInByte = 0
; TotalNumSgprs: 0
; NumVgprs: 0
; ScratchSize: 0
; MemoryBound: 0
; FloatMode: 240
; IeeeMode: 1
; LDSByteSize: 0 bytes/workgroup (compile time only)
; SGPRBlocks: 0
; VGPRBlocks: 0
; NumSGPRsForWavesPerEU: 1
; NumVGPRsForWavesPerEU: 1
; NamedBarCnt: 0
; Occupancy: 16
; WaveLimiterHint : 0
; COMPUTE_PGM_RSRC2:SCRATCH_EN: 0
; COMPUTE_PGM_RSRC2:USER_SGPR: 2
; COMPUTE_PGM_RSRC2:TRAP_HANDLER: 0
; COMPUTE_PGM_RSRC2:TGID_X_EN: 1
; COMPUTE_PGM_RSRC2:TGID_Y_EN: 0
; COMPUTE_PGM_RSRC2:TGID_Z_EN: 0
; COMPUTE_PGM_RSRC2:TIDIG_COMP_CNT: 0
	.section	.text._ZN7rocprim17ROCPRIM_400000_NS6detail17trampoline_kernelINS0_14default_configENS1_27scan_by_key_config_selectorIj11FixedVectorIiLj2EEEEZZNS1_16scan_by_key_implILNS1_25lookback_scan_determinismE0ELb1ES3_N6thrust23THRUST_200600_302600_NS6detail15normal_iteratorINSB_10device_ptrIjEEEENSD_INSE_IS6_EEEESI_S6_NSB_4plusIvEENSB_8equal_toIvEES6_EE10hipError_tPvRmT2_T3_T4_T5_mT6_T7_P12ihipStream_tbENKUlT_T0_E_clISt17integral_constantIbLb1EES13_EEDaSY_SZ_EUlSY_E_NS1_11comp_targetILNS1_3genE10ELNS1_11target_archE1200ELNS1_3gpuE4ELNS1_3repE0EEENS1_30default_config_static_selectorELNS0_4arch9wavefront6targetE0EEEvT1_,"axG",@progbits,_ZN7rocprim17ROCPRIM_400000_NS6detail17trampoline_kernelINS0_14default_configENS1_27scan_by_key_config_selectorIj11FixedVectorIiLj2EEEEZZNS1_16scan_by_key_implILNS1_25lookback_scan_determinismE0ELb1ES3_N6thrust23THRUST_200600_302600_NS6detail15normal_iteratorINSB_10device_ptrIjEEEENSD_INSE_IS6_EEEESI_S6_NSB_4plusIvEENSB_8equal_toIvEES6_EE10hipError_tPvRmT2_T3_T4_T5_mT6_T7_P12ihipStream_tbENKUlT_T0_E_clISt17integral_constantIbLb1EES13_EEDaSY_SZ_EUlSY_E_NS1_11comp_targetILNS1_3genE10ELNS1_11target_archE1200ELNS1_3gpuE4ELNS1_3repE0EEENS1_30default_config_static_selectorELNS0_4arch9wavefront6targetE0EEEvT1_,comdat
	.protected	_ZN7rocprim17ROCPRIM_400000_NS6detail17trampoline_kernelINS0_14default_configENS1_27scan_by_key_config_selectorIj11FixedVectorIiLj2EEEEZZNS1_16scan_by_key_implILNS1_25lookback_scan_determinismE0ELb1ES3_N6thrust23THRUST_200600_302600_NS6detail15normal_iteratorINSB_10device_ptrIjEEEENSD_INSE_IS6_EEEESI_S6_NSB_4plusIvEENSB_8equal_toIvEES6_EE10hipError_tPvRmT2_T3_T4_T5_mT6_T7_P12ihipStream_tbENKUlT_T0_E_clISt17integral_constantIbLb1EES13_EEDaSY_SZ_EUlSY_E_NS1_11comp_targetILNS1_3genE10ELNS1_11target_archE1200ELNS1_3gpuE4ELNS1_3repE0EEENS1_30default_config_static_selectorELNS0_4arch9wavefront6targetE0EEEvT1_ ; -- Begin function _ZN7rocprim17ROCPRIM_400000_NS6detail17trampoline_kernelINS0_14default_configENS1_27scan_by_key_config_selectorIj11FixedVectorIiLj2EEEEZZNS1_16scan_by_key_implILNS1_25lookback_scan_determinismE0ELb1ES3_N6thrust23THRUST_200600_302600_NS6detail15normal_iteratorINSB_10device_ptrIjEEEENSD_INSE_IS6_EEEESI_S6_NSB_4plusIvEENSB_8equal_toIvEES6_EE10hipError_tPvRmT2_T3_T4_T5_mT6_T7_P12ihipStream_tbENKUlT_T0_E_clISt17integral_constantIbLb1EES13_EEDaSY_SZ_EUlSY_E_NS1_11comp_targetILNS1_3genE10ELNS1_11target_archE1200ELNS1_3gpuE4ELNS1_3repE0EEENS1_30default_config_static_selectorELNS0_4arch9wavefront6targetE0EEEvT1_
	.globl	_ZN7rocprim17ROCPRIM_400000_NS6detail17trampoline_kernelINS0_14default_configENS1_27scan_by_key_config_selectorIj11FixedVectorIiLj2EEEEZZNS1_16scan_by_key_implILNS1_25lookback_scan_determinismE0ELb1ES3_N6thrust23THRUST_200600_302600_NS6detail15normal_iteratorINSB_10device_ptrIjEEEENSD_INSE_IS6_EEEESI_S6_NSB_4plusIvEENSB_8equal_toIvEES6_EE10hipError_tPvRmT2_T3_T4_T5_mT6_T7_P12ihipStream_tbENKUlT_T0_E_clISt17integral_constantIbLb1EES13_EEDaSY_SZ_EUlSY_E_NS1_11comp_targetILNS1_3genE10ELNS1_11target_archE1200ELNS1_3gpuE4ELNS1_3repE0EEENS1_30default_config_static_selectorELNS0_4arch9wavefront6targetE0EEEvT1_
	.p2align	8
	.type	_ZN7rocprim17ROCPRIM_400000_NS6detail17trampoline_kernelINS0_14default_configENS1_27scan_by_key_config_selectorIj11FixedVectorIiLj2EEEEZZNS1_16scan_by_key_implILNS1_25lookback_scan_determinismE0ELb1ES3_N6thrust23THRUST_200600_302600_NS6detail15normal_iteratorINSB_10device_ptrIjEEEENSD_INSE_IS6_EEEESI_S6_NSB_4plusIvEENSB_8equal_toIvEES6_EE10hipError_tPvRmT2_T3_T4_T5_mT6_T7_P12ihipStream_tbENKUlT_T0_E_clISt17integral_constantIbLb1EES13_EEDaSY_SZ_EUlSY_E_NS1_11comp_targetILNS1_3genE10ELNS1_11target_archE1200ELNS1_3gpuE4ELNS1_3repE0EEENS1_30default_config_static_selectorELNS0_4arch9wavefront6targetE0EEEvT1_,@function
_ZN7rocprim17ROCPRIM_400000_NS6detail17trampoline_kernelINS0_14default_configENS1_27scan_by_key_config_selectorIj11FixedVectorIiLj2EEEEZZNS1_16scan_by_key_implILNS1_25lookback_scan_determinismE0ELb1ES3_N6thrust23THRUST_200600_302600_NS6detail15normal_iteratorINSB_10device_ptrIjEEEENSD_INSE_IS6_EEEESI_S6_NSB_4plusIvEENSB_8equal_toIvEES6_EE10hipError_tPvRmT2_T3_T4_T5_mT6_T7_P12ihipStream_tbENKUlT_T0_E_clISt17integral_constantIbLb1EES13_EEDaSY_SZ_EUlSY_E_NS1_11comp_targetILNS1_3genE10ELNS1_11target_archE1200ELNS1_3gpuE4ELNS1_3repE0EEENS1_30default_config_static_selectorELNS0_4arch9wavefront6targetE0EEEvT1_: ; @_ZN7rocprim17ROCPRIM_400000_NS6detail17trampoline_kernelINS0_14default_configENS1_27scan_by_key_config_selectorIj11FixedVectorIiLj2EEEEZZNS1_16scan_by_key_implILNS1_25lookback_scan_determinismE0ELb1ES3_N6thrust23THRUST_200600_302600_NS6detail15normal_iteratorINSB_10device_ptrIjEEEENSD_INSE_IS6_EEEESI_S6_NSB_4plusIvEENSB_8equal_toIvEES6_EE10hipError_tPvRmT2_T3_T4_T5_mT6_T7_P12ihipStream_tbENKUlT_T0_E_clISt17integral_constantIbLb1EES13_EEDaSY_SZ_EUlSY_E_NS1_11comp_targetILNS1_3genE10ELNS1_11target_archE1200ELNS1_3gpuE4ELNS1_3repE0EEENS1_30default_config_static_selectorELNS0_4arch9wavefront6targetE0EEEvT1_
; %bb.0:
	.section	.rodata,"a",@progbits
	.p2align	6, 0x0
	.amdhsa_kernel _ZN7rocprim17ROCPRIM_400000_NS6detail17trampoline_kernelINS0_14default_configENS1_27scan_by_key_config_selectorIj11FixedVectorIiLj2EEEEZZNS1_16scan_by_key_implILNS1_25lookback_scan_determinismE0ELb1ES3_N6thrust23THRUST_200600_302600_NS6detail15normal_iteratorINSB_10device_ptrIjEEEENSD_INSE_IS6_EEEESI_S6_NSB_4plusIvEENSB_8equal_toIvEES6_EE10hipError_tPvRmT2_T3_T4_T5_mT6_T7_P12ihipStream_tbENKUlT_T0_E_clISt17integral_constantIbLb1EES13_EEDaSY_SZ_EUlSY_E_NS1_11comp_targetILNS1_3genE10ELNS1_11target_archE1200ELNS1_3gpuE4ELNS1_3repE0EEENS1_30default_config_static_selectorELNS0_4arch9wavefront6targetE0EEEvT1_
		.amdhsa_group_segment_fixed_size 0
		.amdhsa_private_segment_fixed_size 0
		.amdhsa_kernarg_size 120
		.amdhsa_user_sgpr_count 2
		.amdhsa_user_sgpr_dispatch_ptr 0
		.amdhsa_user_sgpr_queue_ptr 0
		.amdhsa_user_sgpr_kernarg_segment_ptr 1
		.amdhsa_user_sgpr_dispatch_id 0
		.amdhsa_user_sgpr_kernarg_preload_length 0
		.amdhsa_user_sgpr_kernarg_preload_offset 0
		.amdhsa_user_sgpr_private_segment_size 0
		.amdhsa_wavefront_size32 1
		.amdhsa_uses_dynamic_stack 0
		.amdhsa_enable_private_segment 0
		.amdhsa_system_sgpr_workgroup_id_x 1
		.amdhsa_system_sgpr_workgroup_id_y 0
		.amdhsa_system_sgpr_workgroup_id_z 0
		.amdhsa_system_sgpr_workgroup_info 0
		.amdhsa_system_vgpr_workitem_id 0
		.amdhsa_next_free_vgpr 1
		.amdhsa_next_free_sgpr 1
		.amdhsa_named_barrier_count 0
		.amdhsa_reserve_vcc 0
		.amdhsa_float_round_mode_32 0
		.amdhsa_float_round_mode_16_64 0
		.amdhsa_float_denorm_mode_32 3
		.amdhsa_float_denorm_mode_16_64 3
		.amdhsa_fp16_overflow 0
		.amdhsa_memory_ordered 1
		.amdhsa_forward_progress 1
		.amdhsa_inst_pref_size 0
		.amdhsa_round_robin_scheduling 0
		.amdhsa_exception_fp_ieee_invalid_op 0
		.amdhsa_exception_fp_denorm_src 0
		.amdhsa_exception_fp_ieee_div_zero 0
		.amdhsa_exception_fp_ieee_overflow 0
		.amdhsa_exception_fp_ieee_underflow 0
		.amdhsa_exception_fp_ieee_inexact 0
		.amdhsa_exception_int_div_zero 0
	.end_amdhsa_kernel
	.section	.text._ZN7rocprim17ROCPRIM_400000_NS6detail17trampoline_kernelINS0_14default_configENS1_27scan_by_key_config_selectorIj11FixedVectorIiLj2EEEEZZNS1_16scan_by_key_implILNS1_25lookback_scan_determinismE0ELb1ES3_N6thrust23THRUST_200600_302600_NS6detail15normal_iteratorINSB_10device_ptrIjEEEENSD_INSE_IS6_EEEESI_S6_NSB_4plusIvEENSB_8equal_toIvEES6_EE10hipError_tPvRmT2_T3_T4_T5_mT6_T7_P12ihipStream_tbENKUlT_T0_E_clISt17integral_constantIbLb1EES13_EEDaSY_SZ_EUlSY_E_NS1_11comp_targetILNS1_3genE10ELNS1_11target_archE1200ELNS1_3gpuE4ELNS1_3repE0EEENS1_30default_config_static_selectorELNS0_4arch9wavefront6targetE0EEEvT1_,"axG",@progbits,_ZN7rocprim17ROCPRIM_400000_NS6detail17trampoline_kernelINS0_14default_configENS1_27scan_by_key_config_selectorIj11FixedVectorIiLj2EEEEZZNS1_16scan_by_key_implILNS1_25lookback_scan_determinismE0ELb1ES3_N6thrust23THRUST_200600_302600_NS6detail15normal_iteratorINSB_10device_ptrIjEEEENSD_INSE_IS6_EEEESI_S6_NSB_4plusIvEENSB_8equal_toIvEES6_EE10hipError_tPvRmT2_T3_T4_T5_mT6_T7_P12ihipStream_tbENKUlT_T0_E_clISt17integral_constantIbLb1EES13_EEDaSY_SZ_EUlSY_E_NS1_11comp_targetILNS1_3genE10ELNS1_11target_archE1200ELNS1_3gpuE4ELNS1_3repE0EEENS1_30default_config_static_selectorELNS0_4arch9wavefront6targetE0EEEvT1_,comdat
.Lfunc_end2008:
	.size	_ZN7rocprim17ROCPRIM_400000_NS6detail17trampoline_kernelINS0_14default_configENS1_27scan_by_key_config_selectorIj11FixedVectorIiLj2EEEEZZNS1_16scan_by_key_implILNS1_25lookback_scan_determinismE0ELb1ES3_N6thrust23THRUST_200600_302600_NS6detail15normal_iteratorINSB_10device_ptrIjEEEENSD_INSE_IS6_EEEESI_S6_NSB_4plusIvEENSB_8equal_toIvEES6_EE10hipError_tPvRmT2_T3_T4_T5_mT6_T7_P12ihipStream_tbENKUlT_T0_E_clISt17integral_constantIbLb1EES13_EEDaSY_SZ_EUlSY_E_NS1_11comp_targetILNS1_3genE10ELNS1_11target_archE1200ELNS1_3gpuE4ELNS1_3repE0EEENS1_30default_config_static_selectorELNS0_4arch9wavefront6targetE0EEEvT1_, .Lfunc_end2008-_ZN7rocprim17ROCPRIM_400000_NS6detail17trampoline_kernelINS0_14default_configENS1_27scan_by_key_config_selectorIj11FixedVectorIiLj2EEEEZZNS1_16scan_by_key_implILNS1_25lookback_scan_determinismE0ELb1ES3_N6thrust23THRUST_200600_302600_NS6detail15normal_iteratorINSB_10device_ptrIjEEEENSD_INSE_IS6_EEEESI_S6_NSB_4plusIvEENSB_8equal_toIvEES6_EE10hipError_tPvRmT2_T3_T4_T5_mT6_T7_P12ihipStream_tbENKUlT_T0_E_clISt17integral_constantIbLb1EES13_EEDaSY_SZ_EUlSY_E_NS1_11comp_targetILNS1_3genE10ELNS1_11target_archE1200ELNS1_3gpuE4ELNS1_3repE0EEENS1_30default_config_static_selectorELNS0_4arch9wavefront6targetE0EEEvT1_
                                        ; -- End function
	.set _ZN7rocprim17ROCPRIM_400000_NS6detail17trampoline_kernelINS0_14default_configENS1_27scan_by_key_config_selectorIj11FixedVectorIiLj2EEEEZZNS1_16scan_by_key_implILNS1_25lookback_scan_determinismE0ELb1ES3_N6thrust23THRUST_200600_302600_NS6detail15normal_iteratorINSB_10device_ptrIjEEEENSD_INSE_IS6_EEEESI_S6_NSB_4plusIvEENSB_8equal_toIvEES6_EE10hipError_tPvRmT2_T3_T4_T5_mT6_T7_P12ihipStream_tbENKUlT_T0_E_clISt17integral_constantIbLb1EES13_EEDaSY_SZ_EUlSY_E_NS1_11comp_targetILNS1_3genE10ELNS1_11target_archE1200ELNS1_3gpuE4ELNS1_3repE0EEENS1_30default_config_static_selectorELNS0_4arch9wavefront6targetE0EEEvT1_.num_vgpr, 0
	.set _ZN7rocprim17ROCPRIM_400000_NS6detail17trampoline_kernelINS0_14default_configENS1_27scan_by_key_config_selectorIj11FixedVectorIiLj2EEEEZZNS1_16scan_by_key_implILNS1_25lookback_scan_determinismE0ELb1ES3_N6thrust23THRUST_200600_302600_NS6detail15normal_iteratorINSB_10device_ptrIjEEEENSD_INSE_IS6_EEEESI_S6_NSB_4plusIvEENSB_8equal_toIvEES6_EE10hipError_tPvRmT2_T3_T4_T5_mT6_T7_P12ihipStream_tbENKUlT_T0_E_clISt17integral_constantIbLb1EES13_EEDaSY_SZ_EUlSY_E_NS1_11comp_targetILNS1_3genE10ELNS1_11target_archE1200ELNS1_3gpuE4ELNS1_3repE0EEENS1_30default_config_static_selectorELNS0_4arch9wavefront6targetE0EEEvT1_.num_agpr, 0
	.set _ZN7rocprim17ROCPRIM_400000_NS6detail17trampoline_kernelINS0_14default_configENS1_27scan_by_key_config_selectorIj11FixedVectorIiLj2EEEEZZNS1_16scan_by_key_implILNS1_25lookback_scan_determinismE0ELb1ES3_N6thrust23THRUST_200600_302600_NS6detail15normal_iteratorINSB_10device_ptrIjEEEENSD_INSE_IS6_EEEESI_S6_NSB_4plusIvEENSB_8equal_toIvEES6_EE10hipError_tPvRmT2_T3_T4_T5_mT6_T7_P12ihipStream_tbENKUlT_T0_E_clISt17integral_constantIbLb1EES13_EEDaSY_SZ_EUlSY_E_NS1_11comp_targetILNS1_3genE10ELNS1_11target_archE1200ELNS1_3gpuE4ELNS1_3repE0EEENS1_30default_config_static_selectorELNS0_4arch9wavefront6targetE0EEEvT1_.numbered_sgpr, 0
	.set _ZN7rocprim17ROCPRIM_400000_NS6detail17trampoline_kernelINS0_14default_configENS1_27scan_by_key_config_selectorIj11FixedVectorIiLj2EEEEZZNS1_16scan_by_key_implILNS1_25lookback_scan_determinismE0ELb1ES3_N6thrust23THRUST_200600_302600_NS6detail15normal_iteratorINSB_10device_ptrIjEEEENSD_INSE_IS6_EEEESI_S6_NSB_4plusIvEENSB_8equal_toIvEES6_EE10hipError_tPvRmT2_T3_T4_T5_mT6_T7_P12ihipStream_tbENKUlT_T0_E_clISt17integral_constantIbLb1EES13_EEDaSY_SZ_EUlSY_E_NS1_11comp_targetILNS1_3genE10ELNS1_11target_archE1200ELNS1_3gpuE4ELNS1_3repE0EEENS1_30default_config_static_selectorELNS0_4arch9wavefront6targetE0EEEvT1_.num_named_barrier, 0
	.set _ZN7rocprim17ROCPRIM_400000_NS6detail17trampoline_kernelINS0_14default_configENS1_27scan_by_key_config_selectorIj11FixedVectorIiLj2EEEEZZNS1_16scan_by_key_implILNS1_25lookback_scan_determinismE0ELb1ES3_N6thrust23THRUST_200600_302600_NS6detail15normal_iteratorINSB_10device_ptrIjEEEENSD_INSE_IS6_EEEESI_S6_NSB_4plusIvEENSB_8equal_toIvEES6_EE10hipError_tPvRmT2_T3_T4_T5_mT6_T7_P12ihipStream_tbENKUlT_T0_E_clISt17integral_constantIbLb1EES13_EEDaSY_SZ_EUlSY_E_NS1_11comp_targetILNS1_3genE10ELNS1_11target_archE1200ELNS1_3gpuE4ELNS1_3repE0EEENS1_30default_config_static_selectorELNS0_4arch9wavefront6targetE0EEEvT1_.private_seg_size, 0
	.set _ZN7rocprim17ROCPRIM_400000_NS6detail17trampoline_kernelINS0_14default_configENS1_27scan_by_key_config_selectorIj11FixedVectorIiLj2EEEEZZNS1_16scan_by_key_implILNS1_25lookback_scan_determinismE0ELb1ES3_N6thrust23THRUST_200600_302600_NS6detail15normal_iteratorINSB_10device_ptrIjEEEENSD_INSE_IS6_EEEESI_S6_NSB_4plusIvEENSB_8equal_toIvEES6_EE10hipError_tPvRmT2_T3_T4_T5_mT6_T7_P12ihipStream_tbENKUlT_T0_E_clISt17integral_constantIbLb1EES13_EEDaSY_SZ_EUlSY_E_NS1_11comp_targetILNS1_3genE10ELNS1_11target_archE1200ELNS1_3gpuE4ELNS1_3repE0EEENS1_30default_config_static_selectorELNS0_4arch9wavefront6targetE0EEEvT1_.uses_vcc, 0
	.set _ZN7rocprim17ROCPRIM_400000_NS6detail17trampoline_kernelINS0_14default_configENS1_27scan_by_key_config_selectorIj11FixedVectorIiLj2EEEEZZNS1_16scan_by_key_implILNS1_25lookback_scan_determinismE0ELb1ES3_N6thrust23THRUST_200600_302600_NS6detail15normal_iteratorINSB_10device_ptrIjEEEENSD_INSE_IS6_EEEESI_S6_NSB_4plusIvEENSB_8equal_toIvEES6_EE10hipError_tPvRmT2_T3_T4_T5_mT6_T7_P12ihipStream_tbENKUlT_T0_E_clISt17integral_constantIbLb1EES13_EEDaSY_SZ_EUlSY_E_NS1_11comp_targetILNS1_3genE10ELNS1_11target_archE1200ELNS1_3gpuE4ELNS1_3repE0EEENS1_30default_config_static_selectorELNS0_4arch9wavefront6targetE0EEEvT1_.uses_flat_scratch, 0
	.set _ZN7rocprim17ROCPRIM_400000_NS6detail17trampoline_kernelINS0_14default_configENS1_27scan_by_key_config_selectorIj11FixedVectorIiLj2EEEEZZNS1_16scan_by_key_implILNS1_25lookback_scan_determinismE0ELb1ES3_N6thrust23THRUST_200600_302600_NS6detail15normal_iteratorINSB_10device_ptrIjEEEENSD_INSE_IS6_EEEESI_S6_NSB_4plusIvEENSB_8equal_toIvEES6_EE10hipError_tPvRmT2_T3_T4_T5_mT6_T7_P12ihipStream_tbENKUlT_T0_E_clISt17integral_constantIbLb1EES13_EEDaSY_SZ_EUlSY_E_NS1_11comp_targetILNS1_3genE10ELNS1_11target_archE1200ELNS1_3gpuE4ELNS1_3repE0EEENS1_30default_config_static_selectorELNS0_4arch9wavefront6targetE0EEEvT1_.has_dyn_sized_stack, 0
	.set _ZN7rocprim17ROCPRIM_400000_NS6detail17trampoline_kernelINS0_14default_configENS1_27scan_by_key_config_selectorIj11FixedVectorIiLj2EEEEZZNS1_16scan_by_key_implILNS1_25lookback_scan_determinismE0ELb1ES3_N6thrust23THRUST_200600_302600_NS6detail15normal_iteratorINSB_10device_ptrIjEEEENSD_INSE_IS6_EEEESI_S6_NSB_4plusIvEENSB_8equal_toIvEES6_EE10hipError_tPvRmT2_T3_T4_T5_mT6_T7_P12ihipStream_tbENKUlT_T0_E_clISt17integral_constantIbLb1EES13_EEDaSY_SZ_EUlSY_E_NS1_11comp_targetILNS1_3genE10ELNS1_11target_archE1200ELNS1_3gpuE4ELNS1_3repE0EEENS1_30default_config_static_selectorELNS0_4arch9wavefront6targetE0EEEvT1_.has_recursion, 0
	.set _ZN7rocprim17ROCPRIM_400000_NS6detail17trampoline_kernelINS0_14default_configENS1_27scan_by_key_config_selectorIj11FixedVectorIiLj2EEEEZZNS1_16scan_by_key_implILNS1_25lookback_scan_determinismE0ELb1ES3_N6thrust23THRUST_200600_302600_NS6detail15normal_iteratorINSB_10device_ptrIjEEEENSD_INSE_IS6_EEEESI_S6_NSB_4plusIvEENSB_8equal_toIvEES6_EE10hipError_tPvRmT2_T3_T4_T5_mT6_T7_P12ihipStream_tbENKUlT_T0_E_clISt17integral_constantIbLb1EES13_EEDaSY_SZ_EUlSY_E_NS1_11comp_targetILNS1_3genE10ELNS1_11target_archE1200ELNS1_3gpuE4ELNS1_3repE0EEENS1_30default_config_static_selectorELNS0_4arch9wavefront6targetE0EEEvT1_.has_indirect_call, 0
	.section	.AMDGPU.csdata,"",@progbits
; Kernel info:
; codeLenInByte = 0
; TotalNumSgprs: 0
; NumVgprs: 0
; ScratchSize: 0
; MemoryBound: 0
; FloatMode: 240
; IeeeMode: 1
; LDSByteSize: 0 bytes/workgroup (compile time only)
; SGPRBlocks: 0
; VGPRBlocks: 0
; NumSGPRsForWavesPerEU: 1
; NumVGPRsForWavesPerEU: 1
; NamedBarCnt: 0
; Occupancy: 16
; WaveLimiterHint : 0
; COMPUTE_PGM_RSRC2:SCRATCH_EN: 0
; COMPUTE_PGM_RSRC2:USER_SGPR: 2
; COMPUTE_PGM_RSRC2:TRAP_HANDLER: 0
; COMPUTE_PGM_RSRC2:TGID_X_EN: 1
; COMPUTE_PGM_RSRC2:TGID_Y_EN: 0
; COMPUTE_PGM_RSRC2:TGID_Z_EN: 0
; COMPUTE_PGM_RSRC2:TIDIG_COMP_CNT: 0
	.section	.text._ZN7rocprim17ROCPRIM_400000_NS6detail17trampoline_kernelINS0_14default_configENS1_27scan_by_key_config_selectorIj11FixedVectorIiLj2EEEEZZNS1_16scan_by_key_implILNS1_25lookback_scan_determinismE0ELb1ES3_N6thrust23THRUST_200600_302600_NS6detail15normal_iteratorINSB_10device_ptrIjEEEENSD_INSE_IS6_EEEESI_S6_NSB_4plusIvEENSB_8equal_toIvEES6_EE10hipError_tPvRmT2_T3_T4_T5_mT6_T7_P12ihipStream_tbENKUlT_T0_E_clISt17integral_constantIbLb1EES13_EEDaSY_SZ_EUlSY_E_NS1_11comp_targetILNS1_3genE9ELNS1_11target_archE1100ELNS1_3gpuE3ELNS1_3repE0EEENS1_30default_config_static_selectorELNS0_4arch9wavefront6targetE0EEEvT1_,"axG",@progbits,_ZN7rocprim17ROCPRIM_400000_NS6detail17trampoline_kernelINS0_14default_configENS1_27scan_by_key_config_selectorIj11FixedVectorIiLj2EEEEZZNS1_16scan_by_key_implILNS1_25lookback_scan_determinismE0ELb1ES3_N6thrust23THRUST_200600_302600_NS6detail15normal_iteratorINSB_10device_ptrIjEEEENSD_INSE_IS6_EEEESI_S6_NSB_4plusIvEENSB_8equal_toIvEES6_EE10hipError_tPvRmT2_T3_T4_T5_mT6_T7_P12ihipStream_tbENKUlT_T0_E_clISt17integral_constantIbLb1EES13_EEDaSY_SZ_EUlSY_E_NS1_11comp_targetILNS1_3genE9ELNS1_11target_archE1100ELNS1_3gpuE3ELNS1_3repE0EEENS1_30default_config_static_selectorELNS0_4arch9wavefront6targetE0EEEvT1_,comdat
	.protected	_ZN7rocprim17ROCPRIM_400000_NS6detail17trampoline_kernelINS0_14default_configENS1_27scan_by_key_config_selectorIj11FixedVectorIiLj2EEEEZZNS1_16scan_by_key_implILNS1_25lookback_scan_determinismE0ELb1ES3_N6thrust23THRUST_200600_302600_NS6detail15normal_iteratorINSB_10device_ptrIjEEEENSD_INSE_IS6_EEEESI_S6_NSB_4plusIvEENSB_8equal_toIvEES6_EE10hipError_tPvRmT2_T3_T4_T5_mT6_T7_P12ihipStream_tbENKUlT_T0_E_clISt17integral_constantIbLb1EES13_EEDaSY_SZ_EUlSY_E_NS1_11comp_targetILNS1_3genE9ELNS1_11target_archE1100ELNS1_3gpuE3ELNS1_3repE0EEENS1_30default_config_static_selectorELNS0_4arch9wavefront6targetE0EEEvT1_ ; -- Begin function _ZN7rocprim17ROCPRIM_400000_NS6detail17trampoline_kernelINS0_14default_configENS1_27scan_by_key_config_selectorIj11FixedVectorIiLj2EEEEZZNS1_16scan_by_key_implILNS1_25lookback_scan_determinismE0ELb1ES3_N6thrust23THRUST_200600_302600_NS6detail15normal_iteratorINSB_10device_ptrIjEEEENSD_INSE_IS6_EEEESI_S6_NSB_4plusIvEENSB_8equal_toIvEES6_EE10hipError_tPvRmT2_T3_T4_T5_mT6_T7_P12ihipStream_tbENKUlT_T0_E_clISt17integral_constantIbLb1EES13_EEDaSY_SZ_EUlSY_E_NS1_11comp_targetILNS1_3genE9ELNS1_11target_archE1100ELNS1_3gpuE3ELNS1_3repE0EEENS1_30default_config_static_selectorELNS0_4arch9wavefront6targetE0EEEvT1_
	.globl	_ZN7rocprim17ROCPRIM_400000_NS6detail17trampoline_kernelINS0_14default_configENS1_27scan_by_key_config_selectorIj11FixedVectorIiLj2EEEEZZNS1_16scan_by_key_implILNS1_25lookback_scan_determinismE0ELb1ES3_N6thrust23THRUST_200600_302600_NS6detail15normal_iteratorINSB_10device_ptrIjEEEENSD_INSE_IS6_EEEESI_S6_NSB_4plusIvEENSB_8equal_toIvEES6_EE10hipError_tPvRmT2_T3_T4_T5_mT6_T7_P12ihipStream_tbENKUlT_T0_E_clISt17integral_constantIbLb1EES13_EEDaSY_SZ_EUlSY_E_NS1_11comp_targetILNS1_3genE9ELNS1_11target_archE1100ELNS1_3gpuE3ELNS1_3repE0EEENS1_30default_config_static_selectorELNS0_4arch9wavefront6targetE0EEEvT1_
	.p2align	8
	.type	_ZN7rocprim17ROCPRIM_400000_NS6detail17trampoline_kernelINS0_14default_configENS1_27scan_by_key_config_selectorIj11FixedVectorIiLj2EEEEZZNS1_16scan_by_key_implILNS1_25lookback_scan_determinismE0ELb1ES3_N6thrust23THRUST_200600_302600_NS6detail15normal_iteratorINSB_10device_ptrIjEEEENSD_INSE_IS6_EEEESI_S6_NSB_4plusIvEENSB_8equal_toIvEES6_EE10hipError_tPvRmT2_T3_T4_T5_mT6_T7_P12ihipStream_tbENKUlT_T0_E_clISt17integral_constantIbLb1EES13_EEDaSY_SZ_EUlSY_E_NS1_11comp_targetILNS1_3genE9ELNS1_11target_archE1100ELNS1_3gpuE3ELNS1_3repE0EEENS1_30default_config_static_selectorELNS0_4arch9wavefront6targetE0EEEvT1_,@function
_ZN7rocprim17ROCPRIM_400000_NS6detail17trampoline_kernelINS0_14default_configENS1_27scan_by_key_config_selectorIj11FixedVectorIiLj2EEEEZZNS1_16scan_by_key_implILNS1_25lookback_scan_determinismE0ELb1ES3_N6thrust23THRUST_200600_302600_NS6detail15normal_iteratorINSB_10device_ptrIjEEEENSD_INSE_IS6_EEEESI_S6_NSB_4plusIvEENSB_8equal_toIvEES6_EE10hipError_tPvRmT2_T3_T4_T5_mT6_T7_P12ihipStream_tbENKUlT_T0_E_clISt17integral_constantIbLb1EES13_EEDaSY_SZ_EUlSY_E_NS1_11comp_targetILNS1_3genE9ELNS1_11target_archE1100ELNS1_3gpuE3ELNS1_3repE0EEENS1_30default_config_static_selectorELNS0_4arch9wavefront6targetE0EEEvT1_: ; @_ZN7rocprim17ROCPRIM_400000_NS6detail17trampoline_kernelINS0_14default_configENS1_27scan_by_key_config_selectorIj11FixedVectorIiLj2EEEEZZNS1_16scan_by_key_implILNS1_25lookback_scan_determinismE0ELb1ES3_N6thrust23THRUST_200600_302600_NS6detail15normal_iteratorINSB_10device_ptrIjEEEENSD_INSE_IS6_EEEESI_S6_NSB_4plusIvEENSB_8equal_toIvEES6_EE10hipError_tPvRmT2_T3_T4_T5_mT6_T7_P12ihipStream_tbENKUlT_T0_E_clISt17integral_constantIbLb1EES13_EEDaSY_SZ_EUlSY_E_NS1_11comp_targetILNS1_3genE9ELNS1_11target_archE1100ELNS1_3gpuE3ELNS1_3repE0EEENS1_30default_config_static_selectorELNS0_4arch9wavefront6targetE0EEEvT1_
; %bb.0:
	.section	.rodata,"a",@progbits
	.p2align	6, 0x0
	.amdhsa_kernel _ZN7rocprim17ROCPRIM_400000_NS6detail17trampoline_kernelINS0_14default_configENS1_27scan_by_key_config_selectorIj11FixedVectorIiLj2EEEEZZNS1_16scan_by_key_implILNS1_25lookback_scan_determinismE0ELb1ES3_N6thrust23THRUST_200600_302600_NS6detail15normal_iteratorINSB_10device_ptrIjEEEENSD_INSE_IS6_EEEESI_S6_NSB_4plusIvEENSB_8equal_toIvEES6_EE10hipError_tPvRmT2_T3_T4_T5_mT6_T7_P12ihipStream_tbENKUlT_T0_E_clISt17integral_constantIbLb1EES13_EEDaSY_SZ_EUlSY_E_NS1_11comp_targetILNS1_3genE9ELNS1_11target_archE1100ELNS1_3gpuE3ELNS1_3repE0EEENS1_30default_config_static_selectorELNS0_4arch9wavefront6targetE0EEEvT1_
		.amdhsa_group_segment_fixed_size 0
		.amdhsa_private_segment_fixed_size 0
		.amdhsa_kernarg_size 120
		.amdhsa_user_sgpr_count 2
		.amdhsa_user_sgpr_dispatch_ptr 0
		.amdhsa_user_sgpr_queue_ptr 0
		.amdhsa_user_sgpr_kernarg_segment_ptr 1
		.amdhsa_user_sgpr_dispatch_id 0
		.amdhsa_user_sgpr_kernarg_preload_length 0
		.amdhsa_user_sgpr_kernarg_preload_offset 0
		.amdhsa_user_sgpr_private_segment_size 0
		.amdhsa_wavefront_size32 1
		.amdhsa_uses_dynamic_stack 0
		.amdhsa_enable_private_segment 0
		.amdhsa_system_sgpr_workgroup_id_x 1
		.amdhsa_system_sgpr_workgroup_id_y 0
		.amdhsa_system_sgpr_workgroup_id_z 0
		.amdhsa_system_sgpr_workgroup_info 0
		.amdhsa_system_vgpr_workitem_id 0
		.amdhsa_next_free_vgpr 1
		.amdhsa_next_free_sgpr 1
		.amdhsa_named_barrier_count 0
		.amdhsa_reserve_vcc 0
		.amdhsa_float_round_mode_32 0
		.amdhsa_float_round_mode_16_64 0
		.amdhsa_float_denorm_mode_32 3
		.amdhsa_float_denorm_mode_16_64 3
		.amdhsa_fp16_overflow 0
		.amdhsa_memory_ordered 1
		.amdhsa_forward_progress 1
		.amdhsa_inst_pref_size 0
		.amdhsa_round_robin_scheduling 0
		.amdhsa_exception_fp_ieee_invalid_op 0
		.amdhsa_exception_fp_denorm_src 0
		.amdhsa_exception_fp_ieee_div_zero 0
		.amdhsa_exception_fp_ieee_overflow 0
		.amdhsa_exception_fp_ieee_underflow 0
		.amdhsa_exception_fp_ieee_inexact 0
		.amdhsa_exception_int_div_zero 0
	.end_amdhsa_kernel
	.section	.text._ZN7rocprim17ROCPRIM_400000_NS6detail17trampoline_kernelINS0_14default_configENS1_27scan_by_key_config_selectorIj11FixedVectorIiLj2EEEEZZNS1_16scan_by_key_implILNS1_25lookback_scan_determinismE0ELb1ES3_N6thrust23THRUST_200600_302600_NS6detail15normal_iteratorINSB_10device_ptrIjEEEENSD_INSE_IS6_EEEESI_S6_NSB_4plusIvEENSB_8equal_toIvEES6_EE10hipError_tPvRmT2_T3_T4_T5_mT6_T7_P12ihipStream_tbENKUlT_T0_E_clISt17integral_constantIbLb1EES13_EEDaSY_SZ_EUlSY_E_NS1_11comp_targetILNS1_3genE9ELNS1_11target_archE1100ELNS1_3gpuE3ELNS1_3repE0EEENS1_30default_config_static_selectorELNS0_4arch9wavefront6targetE0EEEvT1_,"axG",@progbits,_ZN7rocprim17ROCPRIM_400000_NS6detail17trampoline_kernelINS0_14default_configENS1_27scan_by_key_config_selectorIj11FixedVectorIiLj2EEEEZZNS1_16scan_by_key_implILNS1_25lookback_scan_determinismE0ELb1ES3_N6thrust23THRUST_200600_302600_NS6detail15normal_iteratorINSB_10device_ptrIjEEEENSD_INSE_IS6_EEEESI_S6_NSB_4plusIvEENSB_8equal_toIvEES6_EE10hipError_tPvRmT2_T3_T4_T5_mT6_T7_P12ihipStream_tbENKUlT_T0_E_clISt17integral_constantIbLb1EES13_EEDaSY_SZ_EUlSY_E_NS1_11comp_targetILNS1_3genE9ELNS1_11target_archE1100ELNS1_3gpuE3ELNS1_3repE0EEENS1_30default_config_static_selectorELNS0_4arch9wavefront6targetE0EEEvT1_,comdat
.Lfunc_end2009:
	.size	_ZN7rocprim17ROCPRIM_400000_NS6detail17trampoline_kernelINS0_14default_configENS1_27scan_by_key_config_selectorIj11FixedVectorIiLj2EEEEZZNS1_16scan_by_key_implILNS1_25lookback_scan_determinismE0ELb1ES3_N6thrust23THRUST_200600_302600_NS6detail15normal_iteratorINSB_10device_ptrIjEEEENSD_INSE_IS6_EEEESI_S6_NSB_4plusIvEENSB_8equal_toIvEES6_EE10hipError_tPvRmT2_T3_T4_T5_mT6_T7_P12ihipStream_tbENKUlT_T0_E_clISt17integral_constantIbLb1EES13_EEDaSY_SZ_EUlSY_E_NS1_11comp_targetILNS1_3genE9ELNS1_11target_archE1100ELNS1_3gpuE3ELNS1_3repE0EEENS1_30default_config_static_selectorELNS0_4arch9wavefront6targetE0EEEvT1_, .Lfunc_end2009-_ZN7rocprim17ROCPRIM_400000_NS6detail17trampoline_kernelINS0_14default_configENS1_27scan_by_key_config_selectorIj11FixedVectorIiLj2EEEEZZNS1_16scan_by_key_implILNS1_25lookback_scan_determinismE0ELb1ES3_N6thrust23THRUST_200600_302600_NS6detail15normal_iteratorINSB_10device_ptrIjEEEENSD_INSE_IS6_EEEESI_S6_NSB_4plusIvEENSB_8equal_toIvEES6_EE10hipError_tPvRmT2_T3_T4_T5_mT6_T7_P12ihipStream_tbENKUlT_T0_E_clISt17integral_constantIbLb1EES13_EEDaSY_SZ_EUlSY_E_NS1_11comp_targetILNS1_3genE9ELNS1_11target_archE1100ELNS1_3gpuE3ELNS1_3repE0EEENS1_30default_config_static_selectorELNS0_4arch9wavefront6targetE0EEEvT1_
                                        ; -- End function
	.set _ZN7rocprim17ROCPRIM_400000_NS6detail17trampoline_kernelINS0_14default_configENS1_27scan_by_key_config_selectorIj11FixedVectorIiLj2EEEEZZNS1_16scan_by_key_implILNS1_25lookback_scan_determinismE0ELb1ES3_N6thrust23THRUST_200600_302600_NS6detail15normal_iteratorINSB_10device_ptrIjEEEENSD_INSE_IS6_EEEESI_S6_NSB_4plusIvEENSB_8equal_toIvEES6_EE10hipError_tPvRmT2_T3_T4_T5_mT6_T7_P12ihipStream_tbENKUlT_T0_E_clISt17integral_constantIbLb1EES13_EEDaSY_SZ_EUlSY_E_NS1_11comp_targetILNS1_3genE9ELNS1_11target_archE1100ELNS1_3gpuE3ELNS1_3repE0EEENS1_30default_config_static_selectorELNS0_4arch9wavefront6targetE0EEEvT1_.num_vgpr, 0
	.set _ZN7rocprim17ROCPRIM_400000_NS6detail17trampoline_kernelINS0_14default_configENS1_27scan_by_key_config_selectorIj11FixedVectorIiLj2EEEEZZNS1_16scan_by_key_implILNS1_25lookback_scan_determinismE0ELb1ES3_N6thrust23THRUST_200600_302600_NS6detail15normal_iteratorINSB_10device_ptrIjEEEENSD_INSE_IS6_EEEESI_S6_NSB_4plusIvEENSB_8equal_toIvEES6_EE10hipError_tPvRmT2_T3_T4_T5_mT6_T7_P12ihipStream_tbENKUlT_T0_E_clISt17integral_constantIbLb1EES13_EEDaSY_SZ_EUlSY_E_NS1_11comp_targetILNS1_3genE9ELNS1_11target_archE1100ELNS1_3gpuE3ELNS1_3repE0EEENS1_30default_config_static_selectorELNS0_4arch9wavefront6targetE0EEEvT1_.num_agpr, 0
	.set _ZN7rocprim17ROCPRIM_400000_NS6detail17trampoline_kernelINS0_14default_configENS1_27scan_by_key_config_selectorIj11FixedVectorIiLj2EEEEZZNS1_16scan_by_key_implILNS1_25lookback_scan_determinismE0ELb1ES3_N6thrust23THRUST_200600_302600_NS6detail15normal_iteratorINSB_10device_ptrIjEEEENSD_INSE_IS6_EEEESI_S6_NSB_4plusIvEENSB_8equal_toIvEES6_EE10hipError_tPvRmT2_T3_T4_T5_mT6_T7_P12ihipStream_tbENKUlT_T0_E_clISt17integral_constantIbLb1EES13_EEDaSY_SZ_EUlSY_E_NS1_11comp_targetILNS1_3genE9ELNS1_11target_archE1100ELNS1_3gpuE3ELNS1_3repE0EEENS1_30default_config_static_selectorELNS0_4arch9wavefront6targetE0EEEvT1_.numbered_sgpr, 0
	.set _ZN7rocprim17ROCPRIM_400000_NS6detail17trampoline_kernelINS0_14default_configENS1_27scan_by_key_config_selectorIj11FixedVectorIiLj2EEEEZZNS1_16scan_by_key_implILNS1_25lookback_scan_determinismE0ELb1ES3_N6thrust23THRUST_200600_302600_NS6detail15normal_iteratorINSB_10device_ptrIjEEEENSD_INSE_IS6_EEEESI_S6_NSB_4plusIvEENSB_8equal_toIvEES6_EE10hipError_tPvRmT2_T3_T4_T5_mT6_T7_P12ihipStream_tbENKUlT_T0_E_clISt17integral_constantIbLb1EES13_EEDaSY_SZ_EUlSY_E_NS1_11comp_targetILNS1_3genE9ELNS1_11target_archE1100ELNS1_3gpuE3ELNS1_3repE0EEENS1_30default_config_static_selectorELNS0_4arch9wavefront6targetE0EEEvT1_.num_named_barrier, 0
	.set _ZN7rocprim17ROCPRIM_400000_NS6detail17trampoline_kernelINS0_14default_configENS1_27scan_by_key_config_selectorIj11FixedVectorIiLj2EEEEZZNS1_16scan_by_key_implILNS1_25lookback_scan_determinismE0ELb1ES3_N6thrust23THRUST_200600_302600_NS6detail15normal_iteratorINSB_10device_ptrIjEEEENSD_INSE_IS6_EEEESI_S6_NSB_4plusIvEENSB_8equal_toIvEES6_EE10hipError_tPvRmT2_T3_T4_T5_mT6_T7_P12ihipStream_tbENKUlT_T0_E_clISt17integral_constantIbLb1EES13_EEDaSY_SZ_EUlSY_E_NS1_11comp_targetILNS1_3genE9ELNS1_11target_archE1100ELNS1_3gpuE3ELNS1_3repE0EEENS1_30default_config_static_selectorELNS0_4arch9wavefront6targetE0EEEvT1_.private_seg_size, 0
	.set _ZN7rocprim17ROCPRIM_400000_NS6detail17trampoline_kernelINS0_14default_configENS1_27scan_by_key_config_selectorIj11FixedVectorIiLj2EEEEZZNS1_16scan_by_key_implILNS1_25lookback_scan_determinismE0ELb1ES3_N6thrust23THRUST_200600_302600_NS6detail15normal_iteratorINSB_10device_ptrIjEEEENSD_INSE_IS6_EEEESI_S6_NSB_4plusIvEENSB_8equal_toIvEES6_EE10hipError_tPvRmT2_T3_T4_T5_mT6_T7_P12ihipStream_tbENKUlT_T0_E_clISt17integral_constantIbLb1EES13_EEDaSY_SZ_EUlSY_E_NS1_11comp_targetILNS1_3genE9ELNS1_11target_archE1100ELNS1_3gpuE3ELNS1_3repE0EEENS1_30default_config_static_selectorELNS0_4arch9wavefront6targetE0EEEvT1_.uses_vcc, 0
	.set _ZN7rocprim17ROCPRIM_400000_NS6detail17trampoline_kernelINS0_14default_configENS1_27scan_by_key_config_selectorIj11FixedVectorIiLj2EEEEZZNS1_16scan_by_key_implILNS1_25lookback_scan_determinismE0ELb1ES3_N6thrust23THRUST_200600_302600_NS6detail15normal_iteratorINSB_10device_ptrIjEEEENSD_INSE_IS6_EEEESI_S6_NSB_4plusIvEENSB_8equal_toIvEES6_EE10hipError_tPvRmT2_T3_T4_T5_mT6_T7_P12ihipStream_tbENKUlT_T0_E_clISt17integral_constantIbLb1EES13_EEDaSY_SZ_EUlSY_E_NS1_11comp_targetILNS1_3genE9ELNS1_11target_archE1100ELNS1_3gpuE3ELNS1_3repE0EEENS1_30default_config_static_selectorELNS0_4arch9wavefront6targetE0EEEvT1_.uses_flat_scratch, 0
	.set _ZN7rocprim17ROCPRIM_400000_NS6detail17trampoline_kernelINS0_14default_configENS1_27scan_by_key_config_selectorIj11FixedVectorIiLj2EEEEZZNS1_16scan_by_key_implILNS1_25lookback_scan_determinismE0ELb1ES3_N6thrust23THRUST_200600_302600_NS6detail15normal_iteratorINSB_10device_ptrIjEEEENSD_INSE_IS6_EEEESI_S6_NSB_4plusIvEENSB_8equal_toIvEES6_EE10hipError_tPvRmT2_T3_T4_T5_mT6_T7_P12ihipStream_tbENKUlT_T0_E_clISt17integral_constantIbLb1EES13_EEDaSY_SZ_EUlSY_E_NS1_11comp_targetILNS1_3genE9ELNS1_11target_archE1100ELNS1_3gpuE3ELNS1_3repE0EEENS1_30default_config_static_selectorELNS0_4arch9wavefront6targetE0EEEvT1_.has_dyn_sized_stack, 0
	.set _ZN7rocprim17ROCPRIM_400000_NS6detail17trampoline_kernelINS0_14default_configENS1_27scan_by_key_config_selectorIj11FixedVectorIiLj2EEEEZZNS1_16scan_by_key_implILNS1_25lookback_scan_determinismE0ELb1ES3_N6thrust23THRUST_200600_302600_NS6detail15normal_iteratorINSB_10device_ptrIjEEEENSD_INSE_IS6_EEEESI_S6_NSB_4plusIvEENSB_8equal_toIvEES6_EE10hipError_tPvRmT2_T3_T4_T5_mT6_T7_P12ihipStream_tbENKUlT_T0_E_clISt17integral_constantIbLb1EES13_EEDaSY_SZ_EUlSY_E_NS1_11comp_targetILNS1_3genE9ELNS1_11target_archE1100ELNS1_3gpuE3ELNS1_3repE0EEENS1_30default_config_static_selectorELNS0_4arch9wavefront6targetE0EEEvT1_.has_recursion, 0
	.set _ZN7rocprim17ROCPRIM_400000_NS6detail17trampoline_kernelINS0_14default_configENS1_27scan_by_key_config_selectorIj11FixedVectorIiLj2EEEEZZNS1_16scan_by_key_implILNS1_25lookback_scan_determinismE0ELb1ES3_N6thrust23THRUST_200600_302600_NS6detail15normal_iteratorINSB_10device_ptrIjEEEENSD_INSE_IS6_EEEESI_S6_NSB_4plusIvEENSB_8equal_toIvEES6_EE10hipError_tPvRmT2_T3_T4_T5_mT6_T7_P12ihipStream_tbENKUlT_T0_E_clISt17integral_constantIbLb1EES13_EEDaSY_SZ_EUlSY_E_NS1_11comp_targetILNS1_3genE9ELNS1_11target_archE1100ELNS1_3gpuE3ELNS1_3repE0EEENS1_30default_config_static_selectorELNS0_4arch9wavefront6targetE0EEEvT1_.has_indirect_call, 0
	.section	.AMDGPU.csdata,"",@progbits
; Kernel info:
; codeLenInByte = 0
; TotalNumSgprs: 0
; NumVgprs: 0
; ScratchSize: 0
; MemoryBound: 0
; FloatMode: 240
; IeeeMode: 1
; LDSByteSize: 0 bytes/workgroup (compile time only)
; SGPRBlocks: 0
; VGPRBlocks: 0
; NumSGPRsForWavesPerEU: 1
; NumVGPRsForWavesPerEU: 1
; NamedBarCnt: 0
; Occupancy: 16
; WaveLimiterHint : 0
; COMPUTE_PGM_RSRC2:SCRATCH_EN: 0
; COMPUTE_PGM_RSRC2:USER_SGPR: 2
; COMPUTE_PGM_RSRC2:TRAP_HANDLER: 0
; COMPUTE_PGM_RSRC2:TGID_X_EN: 1
; COMPUTE_PGM_RSRC2:TGID_Y_EN: 0
; COMPUTE_PGM_RSRC2:TGID_Z_EN: 0
; COMPUTE_PGM_RSRC2:TIDIG_COMP_CNT: 0
	.section	.text._ZN7rocprim17ROCPRIM_400000_NS6detail17trampoline_kernelINS0_14default_configENS1_27scan_by_key_config_selectorIj11FixedVectorIiLj2EEEEZZNS1_16scan_by_key_implILNS1_25lookback_scan_determinismE0ELb1ES3_N6thrust23THRUST_200600_302600_NS6detail15normal_iteratorINSB_10device_ptrIjEEEENSD_INSE_IS6_EEEESI_S6_NSB_4plusIvEENSB_8equal_toIvEES6_EE10hipError_tPvRmT2_T3_T4_T5_mT6_T7_P12ihipStream_tbENKUlT_T0_E_clISt17integral_constantIbLb1EES13_EEDaSY_SZ_EUlSY_E_NS1_11comp_targetILNS1_3genE8ELNS1_11target_archE1030ELNS1_3gpuE2ELNS1_3repE0EEENS1_30default_config_static_selectorELNS0_4arch9wavefront6targetE0EEEvT1_,"axG",@progbits,_ZN7rocprim17ROCPRIM_400000_NS6detail17trampoline_kernelINS0_14default_configENS1_27scan_by_key_config_selectorIj11FixedVectorIiLj2EEEEZZNS1_16scan_by_key_implILNS1_25lookback_scan_determinismE0ELb1ES3_N6thrust23THRUST_200600_302600_NS6detail15normal_iteratorINSB_10device_ptrIjEEEENSD_INSE_IS6_EEEESI_S6_NSB_4plusIvEENSB_8equal_toIvEES6_EE10hipError_tPvRmT2_T3_T4_T5_mT6_T7_P12ihipStream_tbENKUlT_T0_E_clISt17integral_constantIbLb1EES13_EEDaSY_SZ_EUlSY_E_NS1_11comp_targetILNS1_3genE8ELNS1_11target_archE1030ELNS1_3gpuE2ELNS1_3repE0EEENS1_30default_config_static_selectorELNS0_4arch9wavefront6targetE0EEEvT1_,comdat
	.protected	_ZN7rocprim17ROCPRIM_400000_NS6detail17trampoline_kernelINS0_14default_configENS1_27scan_by_key_config_selectorIj11FixedVectorIiLj2EEEEZZNS1_16scan_by_key_implILNS1_25lookback_scan_determinismE0ELb1ES3_N6thrust23THRUST_200600_302600_NS6detail15normal_iteratorINSB_10device_ptrIjEEEENSD_INSE_IS6_EEEESI_S6_NSB_4plusIvEENSB_8equal_toIvEES6_EE10hipError_tPvRmT2_T3_T4_T5_mT6_T7_P12ihipStream_tbENKUlT_T0_E_clISt17integral_constantIbLb1EES13_EEDaSY_SZ_EUlSY_E_NS1_11comp_targetILNS1_3genE8ELNS1_11target_archE1030ELNS1_3gpuE2ELNS1_3repE0EEENS1_30default_config_static_selectorELNS0_4arch9wavefront6targetE0EEEvT1_ ; -- Begin function _ZN7rocprim17ROCPRIM_400000_NS6detail17trampoline_kernelINS0_14default_configENS1_27scan_by_key_config_selectorIj11FixedVectorIiLj2EEEEZZNS1_16scan_by_key_implILNS1_25lookback_scan_determinismE0ELb1ES3_N6thrust23THRUST_200600_302600_NS6detail15normal_iteratorINSB_10device_ptrIjEEEENSD_INSE_IS6_EEEESI_S6_NSB_4plusIvEENSB_8equal_toIvEES6_EE10hipError_tPvRmT2_T3_T4_T5_mT6_T7_P12ihipStream_tbENKUlT_T0_E_clISt17integral_constantIbLb1EES13_EEDaSY_SZ_EUlSY_E_NS1_11comp_targetILNS1_3genE8ELNS1_11target_archE1030ELNS1_3gpuE2ELNS1_3repE0EEENS1_30default_config_static_selectorELNS0_4arch9wavefront6targetE0EEEvT1_
	.globl	_ZN7rocprim17ROCPRIM_400000_NS6detail17trampoline_kernelINS0_14default_configENS1_27scan_by_key_config_selectorIj11FixedVectorIiLj2EEEEZZNS1_16scan_by_key_implILNS1_25lookback_scan_determinismE0ELb1ES3_N6thrust23THRUST_200600_302600_NS6detail15normal_iteratorINSB_10device_ptrIjEEEENSD_INSE_IS6_EEEESI_S6_NSB_4plusIvEENSB_8equal_toIvEES6_EE10hipError_tPvRmT2_T3_T4_T5_mT6_T7_P12ihipStream_tbENKUlT_T0_E_clISt17integral_constantIbLb1EES13_EEDaSY_SZ_EUlSY_E_NS1_11comp_targetILNS1_3genE8ELNS1_11target_archE1030ELNS1_3gpuE2ELNS1_3repE0EEENS1_30default_config_static_selectorELNS0_4arch9wavefront6targetE0EEEvT1_
	.p2align	8
	.type	_ZN7rocprim17ROCPRIM_400000_NS6detail17trampoline_kernelINS0_14default_configENS1_27scan_by_key_config_selectorIj11FixedVectorIiLj2EEEEZZNS1_16scan_by_key_implILNS1_25lookback_scan_determinismE0ELb1ES3_N6thrust23THRUST_200600_302600_NS6detail15normal_iteratorINSB_10device_ptrIjEEEENSD_INSE_IS6_EEEESI_S6_NSB_4plusIvEENSB_8equal_toIvEES6_EE10hipError_tPvRmT2_T3_T4_T5_mT6_T7_P12ihipStream_tbENKUlT_T0_E_clISt17integral_constantIbLb1EES13_EEDaSY_SZ_EUlSY_E_NS1_11comp_targetILNS1_3genE8ELNS1_11target_archE1030ELNS1_3gpuE2ELNS1_3repE0EEENS1_30default_config_static_selectorELNS0_4arch9wavefront6targetE0EEEvT1_,@function
_ZN7rocprim17ROCPRIM_400000_NS6detail17trampoline_kernelINS0_14default_configENS1_27scan_by_key_config_selectorIj11FixedVectorIiLj2EEEEZZNS1_16scan_by_key_implILNS1_25lookback_scan_determinismE0ELb1ES3_N6thrust23THRUST_200600_302600_NS6detail15normal_iteratorINSB_10device_ptrIjEEEENSD_INSE_IS6_EEEESI_S6_NSB_4plusIvEENSB_8equal_toIvEES6_EE10hipError_tPvRmT2_T3_T4_T5_mT6_T7_P12ihipStream_tbENKUlT_T0_E_clISt17integral_constantIbLb1EES13_EEDaSY_SZ_EUlSY_E_NS1_11comp_targetILNS1_3genE8ELNS1_11target_archE1030ELNS1_3gpuE2ELNS1_3repE0EEENS1_30default_config_static_selectorELNS0_4arch9wavefront6targetE0EEEvT1_: ; @_ZN7rocprim17ROCPRIM_400000_NS6detail17trampoline_kernelINS0_14default_configENS1_27scan_by_key_config_selectorIj11FixedVectorIiLj2EEEEZZNS1_16scan_by_key_implILNS1_25lookback_scan_determinismE0ELb1ES3_N6thrust23THRUST_200600_302600_NS6detail15normal_iteratorINSB_10device_ptrIjEEEENSD_INSE_IS6_EEEESI_S6_NSB_4plusIvEENSB_8equal_toIvEES6_EE10hipError_tPvRmT2_T3_T4_T5_mT6_T7_P12ihipStream_tbENKUlT_T0_E_clISt17integral_constantIbLb1EES13_EEDaSY_SZ_EUlSY_E_NS1_11comp_targetILNS1_3genE8ELNS1_11target_archE1030ELNS1_3gpuE2ELNS1_3repE0EEENS1_30default_config_static_selectorELNS0_4arch9wavefront6targetE0EEEvT1_
; %bb.0:
	.section	.rodata,"a",@progbits
	.p2align	6, 0x0
	.amdhsa_kernel _ZN7rocprim17ROCPRIM_400000_NS6detail17trampoline_kernelINS0_14default_configENS1_27scan_by_key_config_selectorIj11FixedVectorIiLj2EEEEZZNS1_16scan_by_key_implILNS1_25lookback_scan_determinismE0ELb1ES3_N6thrust23THRUST_200600_302600_NS6detail15normal_iteratorINSB_10device_ptrIjEEEENSD_INSE_IS6_EEEESI_S6_NSB_4plusIvEENSB_8equal_toIvEES6_EE10hipError_tPvRmT2_T3_T4_T5_mT6_T7_P12ihipStream_tbENKUlT_T0_E_clISt17integral_constantIbLb1EES13_EEDaSY_SZ_EUlSY_E_NS1_11comp_targetILNS1_3genE8ELNS1_11target_archE1030ELNS1_3gpuE2ELNS1_3repE0EEENS1_30default_config_static_selectorELNS0_4arch9wavefront6targetE0EEEvT1_
		.amdhsa_group_segment_fixed_size 0
		.amdhsa_private_segment_fixed_size 0
		.amdhsa_kernarg_size 120
		.amdhsa_user_sgpr_count 2
		.amdhsa_user_sgpr_dispatch_ptr 0
		.amdhsa_user_sgpr_queue_ptr 0
		.amdhsa_user_sgpr_kernarg_segment_ptr 1
		.amdhsa_user_sgpr_dispatch_id 0
		.amdhsa_user_sgpr_kernarg_preload_length 0
		.amdhsa_user_sgpr_kernarg_preload_offset 0
		.amdhsa_user_sgpr_private_segment_size 0
		.amdhsa_wavefront_size32 1
		.amdhsa_uses_dynamic_stack 0
		.amdhsa_enable_private_segment 0
		.amdhsa_system_sgpr_workgroup_id_x 1
		.amdhsa_system_sgpr_workgroup_id_y 0
		.amdhsa_system_sgpr_workgroup_id_z 0
		.amdhsa_system_sgpr_workgroup_info 0
		.amdhsa_system_vgpr_workitem_id 0
		.amdhsa_next_free_vgpr 1
		.amdhsa_next_free_sgpr 1
		.amdhsa_named_barrier_count 0
		.amdhsa_reserve_vcc 0
		.amdhsa_float_round_mode_32 0
		.amdhsa_float_round_mode_16_64 0
		.amdhsa_float_denorm_mode_32 3
		.amdhsa_float_denorm_mode_16_64 3
		.amdhsa_fp16_overflow 0
		.amdhsa_memory_ordered 1
		.amdhsa_forward_progress 1
		.amdhsa_inst_pref_size 0
		.amdhsa_round_robin_scheduling 0
		.amdhsa_exception_fp_ieee_invalid_op 0
		.amdhsa_exception_fp_denorm_src 0
		.amdhsa_exception_fp_ieee_div_zero 0
		.amdhsa_exception_fp_ieee_overflow 0
		.amdhsa_exception_fp_ieee_underflow 0
		.amdhsa_exception_fp_ieee_inexact 0
		.amdhsa_exception_int_div_zero 0
	.end_amdhsa_kernel
	.section	.text._ZN7rocprim17ROCPRIM_400000_NS6detail17trampoline_kernelINS0_14default_configENS1_27scan_by_key_config_selectorIj11FixedVectorIiLj2EEEEZZNS1_16scan_by_key_implILNS1_25lookback_scan_determinismE0ELb1ES3_N6thrust23THRUST_200600_302600_NS6detail15normal_iteratorINSB_10device_ptrIjEEEENSD_INSE_IS6_EEEESI_S6_NSB_4plusIvEENSB_8equal_toIvEES6_EE10hipError_tPvRmT2_T3_T4_T5_mT6_T7_P12ihipStream_tbENKUlT_T0_E_clISt17integral_constantIbLb1EES13_EEDaSY_SZ_EUlSY_E_NS1_11comp_targetILNS1_3genE8ELNS1_11target_archE1030ELNS1_3gpuE2ELNS1_3repE0EEENS1_30default_config_static_selectorELNS0_4arch9wavefront6targetE0EEEvT1_,"axG",@progbits,_ZN7rocprim17ROCPRIM_400000_NS6detail17trampoline_kernelINS0_14default_configENS1_27scan_by_key_config_selectorIj11FixedVectorIiLj2EEEEZZNS1_16scan_by_key_implILNS1_25lookback_scan_determinismE0ELb1ES3_N6thrust23THRUST_200600_302600_NS6detail15normal_iteratorINSB_10device_ptrIjEEEENSD_INSE_IS6_EEEESI_S6_NSB_4plusIvEENSB_8equal_toIvEES6_EE10hipError_tPvRmT2_T3_T4_T5_mT6_T7_P12ihipStream_tbENKUlT_T0_E_clISt17integral_constantIbLb1EES13_EEDaSY_SZ_EUlSY_E_NS1_11comp_targetILNS1_3genE8ELNS1_11target_archE1030ELNS1_3gpuE2ELNS1_3repE0EEENS1_30default_config_static_selectorELNS0_4arch9wavefront6targetE0EEEvT1_,comdat
.Lfunc_end2010:
	.size	_ZN7rocprim17ROCPRIM_400000_NS6detail17trampoline_kernelINS0_14default_configENS1_27scan_by_key_config_selectorIj11FixedVectorIiLj2EEEEZZNS1_16scan_by_key_implILNS1_25lookback_scan_determinismE0ELb1ES3_N6thrust23THRUST_200600_302600_NS6detail15normal_iteratorINSB_10device_ptrIjEEEENSD_INSE_IS6_EEEESI_S6_NSB_4plusIvEENSB_8equal_toIvEES6_EE10hipError_tPvRmT2_T3_T4_T5_mT6_T7_P12ihipStream_tbENKUlT_T0_E_clISt17integral_constantIbLb1EES13_EEDaSY_SZ_EUlSY_E_NS1_11comp_targetILNS1_3genE8ELNS1_11target_archE1030ELNS1_3gpuE2ELNS1_3repE0EEENS1_30default_config_static_selectorELNS0_4arch9wavefront6targetE0EEEvT1_, .Lfunc_end2010-_ZN7rocprim17ROCPRIM_400000_NS6detail17trampoline_kernelINS0_14default_configENS1_27scan_by_key_config_selectorIj11FixedVectorIiLj2EEEEZZNS1_16scan_by_key_implILNS1_25lookback_scan_determinismE0ELb1ES3_N6thrust23THRUST_200600_302600_NS6detail15normal_iteratorINSB_10device_ptrIjEEEENSD_INSE_IS6_EEEESI_S6_NSB_4plusIvEENSB_8equal_toIvEES6_EE10hipError_tPvRmT2_T3_T4_T5_mT6_T7_P12ihipStream_tbENKUlT_T0_E_clISt17integral_constantIbLb1EES13_EEDaSY_SZ_EUlSY_E_NS1_11comp_targetILNS1_3genE8ELNS1_11target_archE1030ELNS1_3gpuE2ELNS1_3repE0EEENS1_30default_config_static_selectorELNS0_4arch9wavefront6targetE0EEEvT1_
                                        ; -- End function
	.set _ZN7rocprim17ROCPRIM_400000_NS6detail17trampoline_kernelINS0_14default_configENS1_27scan_by_key_config_selectorIj11FixedVectorIiLj2EEEEZZNS1_16scan_by_key_implILNS1_25lookback_scan_determinismE0ELb1ES3_N6thrust23THRUST_200600_302600_NS6detail15normal_iteratorINSB_10device_ptrIjEEEENSD_INSE_IS6_EEEESI_S6_NSB_4plusIvEENSB_8equal_toIvEES6_EE10hipError_tPvRmT2_T3_T4_T5_mT6_T7_P12ihipStream_tbENKUlT_T0_E_clISt17integral_constantIbLb1EES13_EEDaSY_SZ_EUlSY_E_NS1_11comp_targetILNS1_3genE8ELNS1_11target_archE1030ELNS1_3gpuE2ELNS1_3repE0EEENS1_30default_config_static_selectorELNS0_4arch9wavefront6targetE0EEEvT1_.num_vgpr, 0
	.set _ZN7rocprim17ROCPRIM_400000_NS6detail17trampoline_kernelINS0_14default_configENS1_27scan_by_key_config_selectorIj11FixedVectorIiLj2EEEEZZNS1_16scan_by_key_implILNS1_25lookback_scan_determinismE0ELb1ES3_N6thrust23THRUST_200600_302600_NS6detail15normal_iteratorINSB_10device_ptrIjEEEENSD_INSE_IS6_EEEESI_S6_NSB_4plusIvEENSB_8equal_toIvEES6_EE10hipError_tPvRmT2_T3_T4_T5_mT6_T7_P12ihipStream_tbENKUlT_T0_E_clISt17integral_constantIbLb1EES13_EEDaSY_SZ_EUlSY_E_NS1_11comp_targetILNS1_3genE8ELNS1_11target_archE1030ELNS1_3gpuE2ELNS1_3repE0EEENS1_30default_config_static_selectorELNS0_4arch9wavefront6targetE0EEEvT1_.num_agpr, 0
	.set _ZN7rocprim17ROCPRIM_400000_NS6detail17trampoline_kernelINS0_14default_configENS1_27scan_by_key_config_selectorIj11FixedVectorIiLj2EEEEZZNS1_16scan_by_key_implILNS1_25lookback_scan_determinismE0ELb1ES3_N6thrust23THRUST_200600_302600_NS6detail15normal_iteratorINSB_10device_ptrIjEEEENSD_INSE_IS6_EEEESI_S6_NSB_4plusIvEENSB_8equal_toIvEES6_EE10hipError_tPvRmT2_T3_T4_T5_mT6_T7_P12ihipStream_tbENKUlT_T0_E_clISt17integral_constantIbLb1EES13_EEDaSY_SZ_EUlSY_E_NS1_11comp_targetILNS1_3genE8ELNS1_11target_archE1030ELNS1_3gpuE2ELNS1_3repE0EEENS1_30default_config_static_selectorELNS0_4arch9wavefront6targetE0EEEvT1_.numbered_sgpr, 0
	.set _ZN7rocprim17ROCPRIM_400000_NS6detail17trampoline_kernelINS0_14default_configENS1_27scan_by_key_config_selectorIj11FixedVectorIiLj2EEEEZZNS1_16scan_by_key_implILNS1_25lookback_scan_determinismE0ELb1ES3_N6thrust23THRUST_200600_302600_NS6detail15normal_iteratorINSB_10device_ptrIjEEEENSD_INSE_IS6_EEEESI_S6_NSB_4plusIvEENSB_8equal_toIvEES6_EE10hipError_tPvRmT2_T3_T4_T5_mT6_T7_P12ihipStream_tbENKUlT_T0_E_clISt17integral_constantIbLb1EES13_EEDaSY_SZ_EUlSY_E_NS1_11comp_targetILNS1_3genE8ELNS1_11target_archE1030ELNS1_3gpuE2ELNS1_3repE0EEENS1_30default_config_static_selectorELNS0_4arch9wavefront6targetE0EEEvT1_.num_named_barrier, 0
	.set _ZN7rocprim17ROCPRIM_400000_NS6detail17trampoline_kernelINS0_14default_configENS1_27scan_by_key_config_selectorIj11FixedVectorIiLj2EEEEZZNS1_16scan_by_key_implILNS1_25lookback_scan_determinismE0ELb1ES3_N6thrust23THRUST_200600_302600_NS6detail15normal_iteratorINSB_10device_ptrIjEEEENSD_INSE_IS6_EEEESI_S6_NSB_4plusIvEENSB_8equal_toIvEES6_EE10hipError_tPvRmT2_T3_T4_T5_mT6_T7_P12ihipStream_tbENKUlT_T0_E_clISt17integral_constantIbLb1EES13_EEDaSY_SZ_EUlSY_E_NS1_11comp_targetILNS1_3genE8ELNS1_11target_archE1030ELNS1_3gpuE2ELNS1_3repE0EEENS1_30default_config_static_selectorELNS0_4arch9wavefront6targetE0EEEvT1_.private_seg_size, 0
	.set _ZN7rocprim17ROCPRIM_400000_NS6detail17trampoline_kernelINS0_14default_configENS1_27scan_by_key_config_selectorIj11FixedVectorIiLj2EEEEZZNS1_16scan_by_key_implILNS1_25lookback_scan_determinismE0ELb1ES3_N6thrust23THRUST_200600_302600_NS6detail15normal_iteratorINSB_10device_ptrIjEEEENSD_INSE_IS6_EEEESI_S6_NSB_4plusIvEENSB_8equal_toIvEES6_EE10hipError_tPvRmT2_T3_T4_T5_mT6_T7_P12ihipStream_tbENKUlT_T0_E_clISt17integral_constantIbLb1EES13_EEDaSY_SZ_EUlSY_E_NS1_11comp_targetILNS1_3genE8ELNS1_11target_archE1030ELNS1_3gpuE2ELNS1_3repE0EEENS1_30default_config_static_selectorELNS0_4arch9wavefront6targetE0EEEvT1_.uses_vcc, 0
	.set _ZN7rocprim17ROCPRIM_400000_NS6detail17trampoline_kernelINS0_14default_configENS1_27scan_by_key_config_selectorIj11FixedVectorIiLj2EEEEZZNS1_16scan_by_key_implILNS1_25lookback_scan_determinismE0ELb1ES3_N6thrust23THRUST_200600_302600_NS6detail15normal_iteratorINSB_10device_ptrIjEEEENSD_INSE_IS6_EEEESI_S6_NSB_4plusIvEENSB_8equal_toIvEES6_EE10hipError_tPvRmT2_T3_T4_T5_mT6_T7_P12ihipStream_tbENKUlT_T0_E_clISt17integral_constantIbLb1EES13_EEDaSY_SZ_EUlSY_E_NS1_11comp_targetILNS1_3genE8ELNS1_11target_archE1030ELNS1_3gpuE2ELNS1_3repE0EEENS1_30default_config_static_selectorELNS0_4arch9wavefront6targetE0EEEvT1_.uses_flat_scratch, 0
	.set _ZN7rocprim17ROCPRIM_400000_NS6detail17trampoline_kernelINS0_14default_configENS1_27scan_by_key_config_selectorIj11FixedVectorIiLj2EEEEZZNS1_16scan_by_key_implILNS1_25lookback_scan_determinismE0ELb1ES3_N6thrust23THRUST_200600_302600_NS6detail15normal_iteratorINSB_10device_ptrIjEEEENSD_INSE_IS6_EEEESI_S6_NSB_4plusIvEENSB_8equal_toIvEES6_EE10hipError_tPvRmT2_T3_T4_T5_mT6_T7_P12ihipStream_tbENKUlT_T0_E_clISt17integral_constantIbLb1EES13_EEDaSY_SZ_EUlSY_E_NS1_11comp_targetILNS1_3genE8ELNS1_11target_archE1030ELNS1_3gpuE2ELNS1_3repE0EEENS1_30default_config_static_selectorELNS0_4arch9wavefront6targetE0EEEvT1_.has_dyn_sized_stack, 0
	.set _ZN7rocprim17ROCPRIM_400000_NS6detail17trampoline_kernelINS0_14default_configENS1_27scan_by_key_config_selectorIj11FixedVectorIiLj2EEEEZZNS1_16scan_by_key_implILNS1_25lookback_scan_determinismE0ELb1ES3_N6thrust23THRUST_200600_302600_NS6detail15normal_iteratorINSB_10device_ptrIjEEEENSD_INSE_IS6_EEEESI_S6_NSB_4plusIvEENSB_8equal_toIvEES6_EE10hipError_tPvRmT2_T3_T4_T5_mT6_T7_P12ihipStream_tbENKUlT_T0_E_clISt17integral_constantIbLb1EES13_EEDaSY_SZ_EUlSY_E_NS1_11comp_targetILNS1_3genE8ELNS1_11target_archE1030ELNS1_3gpuE2ELNS1_3repE0EEENS1_30default_config_static_selectorELNS0_4arch9wavefront6targetE0EEEvT1_.has_recursion, 0
	.set _ZN7rocprim17ROCPRIM_400000_NS6detail17trampoline_kernelINS0_14default_configENS1_27scan_by_key_config_selectorIj11FixedVectorIiLj2EEEEZZNS1_16scan_by_key_implILNS1_25lookback_scan_determinismE0ELb1ES3_N6thrust23THRUST_200600_302600_NS6detail15normal_iteratorINSB_10device_ptrIjEEEENSD_INSE_IS6_EEEESI_S6_NSB_4plusIvEENSB_8equal_toIvEES6_EE10hipError_tPvRmT2_T3_T4_T5_mT6_T7_P12ihipStream_tbENKUlT_T0_E_clISt17integral_constantIbLb1EES13_EEDaSY_SZ_EUlSY_E_NS1_11comp_targetILNS1_3genE8ELNS1_11target_archE1030ELNS1_3gpuE2ELNS1_3repE0EEENS1_30default_config_static_selectorELNS0_4arch9wavefront6targetE0EEEvT1_.has_indirect_call, 0
	.section	.AMDGPU.csdata,"",@progbits
; Kernel info:
; codeLenInByte = 0
; TotalNumSgprs: 0
; NumVgprs: 0
; ScratchSize: 0
; MemoryBound: 0
; FloatMode: 240
; IeeeMode: 1
; LDSByteSize: 0 bytes/workgroup (compile time only)
; SGPRBlocks: 0
; VGPRBlocks: 0
; NumSGPRsForWavesPerEU: 1
; NumVGPRsForWavesPerEU: 1
; NamedBarCnt: 0
; Occupancy: 16
; WaveLimiterHint : 0
; COMPUTE_PGM_RSRC2:SCRATCH_EN: 0
; COMPUTE_PGM_RSRC2:USER_SGPR: 2
; COMPUTE_PGM_RSRC2:TRAP_HANDLER: 0
; COMPUTE_PGM_RSRC2:TGID_X_EN: 1
; COMPUTE_PGM_RSRC2:TGID_Y_EN: 0
; COMPUTE_PGM_RSRC2:TGID_Z_EN: 0
; COMPUTE_PGM_RSRC2:TIDIG_COMP_CNT: 0
	.section	.text._ZN7rocprim17ROCPRIM_400000_NS6detail17trampoline_kernelINS0_14default_configENS1_27scan_by_key_config_selectorIj11FixedVectorIiLj2EEEEZZNS1_16scan_by_key_implILNS1_25lookback_scan_determinismE0ELb1ES3_N6thrust23THRUST_200600_302600_NS6detail15normal_iteratorINSB_10device_ptrIjEEEENSD_INSE_IS6_EEEESI_S6_NSB_4plusIvEENSB_8equal_toIvEES6_EE10hipError_tPvRmT2_T3_T4_T5_mT6_T7_P12ihipStream_tbENKUlT_T0_E_clISt17integral_constantIbLb1EES12_IbLb0EEEEDaSY_SZ_EUlSY_E_NS1_11comp_targetILNS1_3genE0ELNS1_11target_archE4294967295ELNS1_3gpuE0ELNS1_3repE0EEENS1_30default_config_static_selectorELNS0_4arch9wavefront6targetE0EEEvT1_,"axG",@progbits,_ZN7rocprim17ROCPRIM_400000_NS6detail17trampoline_kernelINS0_14default_configENS1_27scan_by_key_config_selectorIj11FixedVectorIiLj2EEEEZZNS1_16scan_by_key_implILNS1_25lookback_scan_determinismE0ELb1ES3_N6thrust23THRUST_200600_302600_NS6detail15normal_iteratorINSB_10device_ptrIjEEEENSD_INSE_IS6_EEEESI_S6_NSB_4plusIvEENSB_8equal_toIvEES6_EE10hipError_tPvRmT2_T3_T4_T5_mT6_T7_P12ihipStream_tbENKUlT_T0_E_clISt17integral_constantIbLb1EES12_IbLb0EEEEDaSY_SZ_EUlSY_E_NS1_11comp_targetILNS1_3genE0ELNS1_11target_archE4294967295ELNS1_3gpuE0ELNS1_3repE0EEENS1_30default_config_static_selectorELNS0_4arch9wavefront6targetE0EEEvT1_,comdat
	.protected	_ZN7rocprim17ROCPRIM_400000_NS6detail17trampoline_kernelINS0_14default_configENS1_27scan_by_key_config_selectorIj11FixedVectorIiLj2EEEEZZNS1_16scan_by_key_implILNS1_25lookback_scan_determinismE0ELb1ES3_N6thrust23THRUST_200600_302600_NS6detail15normal_iteratorINSB_10device_ptrIjEEEENSD_INSE_IS6_EEEESI_S6_NSB_4plusIvEENSB_8equal_toIvEES6_EE10hipError_tPvRmT2_T3_T4_T5_mT6_T7_P12ihipStream_tbENKUlT_T0_E_clISt17integral_constantIbLb1EES12_IbLb0EEEEDaSY_SZ_EUlSY_E_NS1_11comp_targetILNS1_3genE0ELNS1_11target_archE4294967295ELNS1_3gpuE0ELNS1_3repE0EEENS1_30default_config_static_selectorELNS0_4arch9wavefront6targetE0EEEvT1_ ; -- Begin function _ZN7rocprim17ROCPRIM_400000_NS6detail17trampoline_kernelINS0_14default_configENS1_27scan_by_key_config_selectorIj11FixedVectorIiLj2EEEEZZNS1_16scan_by_key_implILNS1_25lookback_scan_determinismE0ELb1ES3_N6thrust23THRUST_200600_302600_NS6detail15normal_iteratorINSB_10device_ptrIjEEEENSD_INSE_IS6_EEEESI_S6_NSB_4plusIvEENSB_8equal_toIvEES6_EE10hipError_tPvRmT2_T3_T4_T5_mT6_T7_P12ihipStream_tbENKUlT_T0_E_clISt17integral_constantIbLb1EES12_IbLb0EEEEDaSY_SZ_EUlSY_E_NS1_11comp_targetILNS1_3genE0ELNS1_11target_archE4294967295ELNS1_3gpuE0ELNS1_3repE0EEENS1_30default_config_static_selectorELNS0_4arch9wavefront6targetE0EEEvT1_
	.globl	_ZN7rocprim17ROCPRIM_400000_NS6detail17trampoline_kernelINS0_14default_configENS1_27scan_by_key_config_selectorIj11FixedVectorIiLj2EEEEZZNS1_16scan_by_key_implILNS1_25lookback_scan_determinismE0ELb1ES3_N6thrust23THRUST_200600_302600_NS6detail15normal_iteratorINSB_10device_ptrIjEEEENSD_INSE_IS6_EEEESI_S6_NSB_4plusIvEENSB_8equal_toIvEES6_EE10hipError_tPvRmT2_T3_T4_T5_mT6_T7_P12ihipStream_tbENKUlT_T0_E_clISt17integral_constantIbLb1EES12_IbLb0EEEEDaSY_SZ_EUlSY_E_NS1_11comp_targetILNS1_3genE0ELNS1_11target_archE4294967295ELNS1_3gpuE0ELNS1_3repE0EEENS1_30default_config_static_selectorELNS0_4arch9wavefront6targetE0EEEvT1_
	.p2align	8
	.type	_ZN7rocprim17ROCPRIM_400000_NS6detail17trampoline_kernelINS0_14default_configENS1_27scan_by_key_config_selectorIj11FixedVectorIiLj2EEEEZZNS1_16scan_by_key_implILNS1_25lookback_scan_determinismE0ELb1ES3_N6thrust23THRUST_200600_302600_NS6detail15normal_iteratorINSB_10device_ptrIjEEEENSD_INSE_IS6_EEEESI_S6_NSB_4plusIvEENSB_8equal_toIvEES6_EE10hipError_tPvRmT2_T3_T4_T5_mT6_T7_P12ihipStream_tbENKUlT_T0_E_clISt17integral_constantIbLb1EES12_IbLb0EEEEDaSY_SZ_EUlSY_E_NS1_11comp_targetILNS1_3genE0ELNS1_11target_archE4294967295ELNS1_3gpuE0ELNS1_3repE0EEENS1_30default_config_static_selectorELNS0_4arch9wavefront6targetE0EEEvT1_,@function
_ZN7rocprim17ROCPRIM_400000_NS6detail17trampoline_kernelINS0_14default_configENS1_27scan_by_key_config_selectorIj11FixedVectorIiLj2EEEEZZNS1_16scan_by_key_implILNS1_25lookback_scan_determinismE0ELb1ES3_N6thrust23THRUST_200600_302600_NS6detail15normal_iteratorINSB_10device_ptrIjEEEENSD_INSE_IS6_EEEESI_S6_NSB_4plusIvEENSB_8equal_toIvEES6_EE10hipError_tPvRmT2_T3_T4_T5_mT6_T7_P12ihipStream_tbENKUlT_T0_E_clISt17integral_constantIbLb1EES12_IbLb0EEEEDaSY_SZ_EUlSY_E_NS1_11comp_targetILNS1_3genE0ELNS1_11target_archE4294967295ELNS1_3gpuE0ELNS1_3repE0EEENS1_30default_config_static_selectorELNS0_4arch9wavefront6targetE0EEEvT1_: ; @_ZN7rocprim17ROCPRIM_400000_NS6detail17trampoline_kernelINS0_14default_configENS1_27scan_by_key_config_selectorIj11FixedVectorIiLj2EEEEZZNS1_16scan_by_key_implILNS1_25lookback_scan_determinismE0ELb1ES3_N6thrust23THRUST_200600_302600_NS6detail15normal_iteratorINSB_10device_ptrIjEEEENSD_INSE_IS6_EEEESI_S6_NSB_4plusIvEENSB_8equal_toIvEES6_EE10hipError_tPvRmT2_T3_T4_T5_mT6_T7_P12ihipStream_tbENKUlT_T0_E_clISt17integral_constantIbLb1EES12_IbLb0EEEEDaSY_SZ_EUlSY_E_NS1_11comp_targetILNS1_3genE0ELNS1_11target_archE4294967295ELNS1_3gpuE0ELNS1_3repE0EEENS1_30default_config_static_selectorELNS0_4arch9wavefront6targetE0EEEvT1_
; %bb.0:
	s_endpgm
	.section	.rodata,"a",@progbits
	.p2align	6, 0x0
	.amdhsa_kernel _ZN7rocprim17ROCPRIM_400000_NS6detail17trampoline_kernelINS0_14default_configENS1_27scan_by_key_config_selectorIj11FixedVectorIiLj2EEEEZZNS1_16scan_by_key_implILNS1_25lookback_scan_determinismE0ELb1ES3_N6thrust23THRUST_200600_302600_NS6detail15normal_iteratorINSB_10device_ptrIjEEEENSD_INSE_IS6_EEEESI_S6_NSB_4plusIvEENSB_8equal_toIvEES6_EE10hipError_tPvRmT2_T3_T4_T5_mT6_T7_P12ihipStream_tbENKUlT_T0_E_clISt17integral_constantIbLb1EES12_IbLb0EEEEDaSY_SZ_EUlSY_E_NS1_11comp_targetILNS1_3genE0ELNS1_11target_archE4294967295ELNS1_3gpuE0ELNS1_3repE0EEENS1_30default_config_static_selectorELNS0_4arch9wavefront6targetE0EEEvT1_
		.amdhsa_group_segment_fixed_size 0
		.amdhsa_private_segment_fixed_size 0
		.amdhsa_kernarg_size 120
		.amdhsa_user_sgpr_count 2
		.amdhsa_user_sgpr_dispatch_ptr 0
		.amdhsa_user_sgpr_queue_ptr 0
		.amdhsa_user_sgpr_kernarg_segment_ptr 1
		.amdhsa_user_sgpr_dispatch_id 0
		.amdhsa_user_sgpr_kernarg_preload_length 0
		.amdhsa_user_sgpr_kernarg_preload_offset 0
		.amdhsa_user_sgpr_private_segment_size 0
		.amdhsa_wavefront_size32 1
		.amdhsa_uses_dynamic_stack 0
		.amdhsa_enable_private_segment 0
		.amdhsa_system_sgpr_workgroup_id_x 1
		.amdhsa_system_sgpr_workgroup_id_y 0
		.amdhsa_system_sgpr_workgroup_id_z 0
		.amdhsa_system_sgpr_workgroup_info 0
		.amdhsa_system_vgpr_workitem_id 0
		.amdhsa_next_free_vgpr 1
		.amdhsa_next_free_sgpr 1
		.amdhsa_named_barrier_count 0
		.amdhsa_reserve_vcc 0
		.amdhsa_float_round_mode_32 0
		.amdhsa_float_round_mode_16_64 0
		.amdhsa_float_denorm_mode_32 3
		.amdhsa_float_denorm_mode_16_64 3
		.amdhsa_fp16_overflow 0
		.amdhsa_memory_ordered 1
		.amdhsa_forward_progress 1
		.amdhsa_inst_pref_size 1
		.amdhsa_round_robin_scheduling 0
		.amdhsa_exception_fp_ieee_invalid_op 0
		.amdhsa_exception_fp_denorm_src 0
		.amdhsa_exception_fp_ieee_div_zero 0
		.amdhsa_exception_fp_ieee_overflow 0
		.amdhsa_exception_fp_ieee_underflow 0
		.amdhsa_exception_fp_ieee_inexact 0
		.amdhsa_exception_int_div_zero 0
	.end_amdhsa_kernel
	.section	.text._ZN7rocprim17ROCPRIM_400000_NS6detail17trampoline_kernelINS0_14default_configENS1_27scan_by_key_config_selectorIj11FixedVectorIiLj2EEEEZZNS1_16scan_by_key_implILNS1_25lookback_scan_determinismE0ELb1ES3_N6thrust23THRUST_200600_302600_NS6detail15normal_iteratorINSB_10device_ptrIjEEEENSD_INSE_IS6_EEEESI_S6_NSB_4plusIvEENSB_8equal_toIvEES6_EE10hipError_tPvRmT2_T3_T4_T5_mT6_T7_P12ihipStream_tbENKUlT_T0_E_clISt17integral_constantIbLb1EES12_IbLb0EEEEDaSY_SZ_EUlSY_E_NS1_11comp_targetILNS1_3genE0ELNS1_11target_archE4294967295ELNS1_3gpuE0ELNS1_3repE0EEENS1_30default_config_static_selectorELNS0_4arch9wavefront6targetE0EEEvT1_,"axG",@progbits,_ZN7rocprim17ROCPRIM_400000_NS6detail17trampoline_kernelINS0_14default_configENS1_27scan_by_key_config_selectorIj11FixedVectorIiLj2EEEEZZNS1_16scan_by_key_implILNS1_25lookback_scan_determinismE0ELb1ES3_N6thrust23THRUST_200600_302600_NS6detail15normal_iteratorINSB_10device_ptrIjEEEENSD_INSE_IS6_EEEESI_S6_NSB_4plusIvEENSB_8equal_toIvEES6_EE10hipError_tPvRmT2_T3_T4_T5_mT6_T7_P12ihipStream_tbENKUlT_T0_E_clISt17integral_constantIbLb1EES12_IbLb0EEEEDaSY_SZ_EUlSY_E_NS1_11comp_targetILNS1_3genE0ELNS1_11target_archE4294967295ELNS1_3gpuE0ELNS1_3repE0EEENS1_30default_config_static_selectorELNS0_4arch9wavefront6targetE0EEEvT1_,comdat
.Lfunc_end2011:
	.size	_ZN7rocprim17ROCPRIM_400000_NS6detail17trampoline_kernelINS0_14default_configENS1_27scan_by_key_config_selectorIj11FixedVectorIiLj2EEEEZZNS1_16scan_by_key_implILNS1_25lookback_scan_determinismE0ELb1ES3_N6thrust23THRUST_200600_302600_NS6detail15normal_iteratorINSB_10device_ptrIjEEEENSD_INSE_IS6_EEEESI_S6_NSB_4plusIvEENSB_8equal_toIvEES6_EE10hipError_tPvRmT2_T3_T4_T5_mT6_T7_P12ihipStream_tbENKUlT_T0_E_clISt17integral_constantIbLb1EES12_IbLb0EEEEDaSY_SZ_EUlSY_E_NS1_11comp_targetILNS1_3genE0ELNS1_11target_archE4294967295ELNS1_3gpuE0ELNS1_3repE0EEENS1_30default_config_static_selectorELNS0_4arch9wavefront6targetE0EEEvT1_, .Lfunc_end2011-_ZN7rocprim17ROCPRIM_400000_NS6detail17trampoline_kernelINS0_14default_configENS1_27scan_by_key_config_selectorIj11FixedVectorIiLj2EEEEZZNS1_16scan_by_key_implILNS1_25lookback_scan_determinismE0ELb1ES3_N6thrust23THRUST_200600_302600_NS6detail15normal_iteratorINSB_10device_ptrIjEEEENSD_INSE_IS6_EEEESI_S6_NSB_4plusIvEENSB_8equal_toIvEES6_EE10hipError_tPvRmT2_T3_T4_T5_mT6_T7_P12ihipStream_tbENKUlT_T0_E_clISt17integral_constantIbLb1EES12_IbLb0EEEEDaSY_SZ_EUlSY_E_NS1_11comp_targetILNS1_3genE0ELNS1_11target_archE4294967295ELNS1_3gpuE0ELNS1_3repE0EEENS1_30default_config_static_selectorELNS0_4arch9wavefront6targetE0EEEvT1_
                                        ; -- End function
	.set _ZN7rocprim17ROCPRIM_400000_NS6detail17trampoline_kernelINS0_14default_configENS1_27scan_by_key_config_selectorIj11FixedVectorIiLj2EEEEZZNS1_16scan_by_key_implILNS1_25lookback_scan_determinismE0ELb1ES3_N6thrust23THRUST_200600_302600_NS6detail15normal_iteratorINSB_10device_ptrIjEEEENSD_INSE_IS6_EEEESI_S6_NSB_4plusIvEENSB_8equal_toIvEES6_EE10hipError_tPvRmT2_T3_T4_T5_mT6_T7_P12ihipStream_tbENKUlT_T0_E_clISt17integral_constantIbLb1EES12_IbLb0EEEEDaSY_SZ_EUlSY_E_NS1_11comp_targetILNS1_3genE0ELNS1_11target_archE4294967295ELNS1_3gpuE0ELNS1_3repE0EEENS1_30default_config_static_selectorELNS0_4arch9wavefront6targetE0EEEvT1_.num_vgpr, 0
	.set _ZN7rocprim17ROCPRIM_400000_NS6detail17trampoline_kernelINS0_14default_configENS1_27scan_by_key_config_selectorIj11FixedVectorIiLj2EEEEZZNS1_16scan_by_key_implILNS1_25lookback_scan_determinismE0ELb1ES3_N6thrust23THRUST_200600_302600_NS6detail15normal_iteratorINSB_10device_ptrIjEEEENSD_INSE_IS6_EEEESI_S6_NSB_4plusIvEENSB_8equal_toIvEES6_EE10hipError_tPvRmT2_T3_T4_T5_mT6_T7_P12ihipStream_tbENKUlT_T0_E_clISt17integral_constantIbLb1EES12_IbLb0EEEEDaSY_SZ_EUlSY_E_NS1_11comp_targetILNS1_3genE0ELNS1_11target_archE4294967295ELNS1_3gpuE0ELNS1_3repE0EEENS1_30default_config_static_selectorELNS0_4arch9wavefront6targetE0EEEvT1_.num_agpr, 0
	.set _ZN7rocprim17ROCPRIM_400000_NS6detail17trampoline_kernelINS0_14default_configENS1_27scan_by_key_config_selectorIj11FixedVectorIiLj2EEEEZZNS1_16scan_by_key_implILNS1_25lookback_scan_determinismE0ELb1ES3_N6thrust23THRUST_200600_302600_NS6detail15normal_iteratorINSB_10device_ptrIjEEEENSD_INSE_IS6_EEEESI_S6_NSB_4plusIvEENSB_8equal_toIvEES6_EE10hipError_tPvRmT2_T3_T4_T5_mT6_T7_P12ihipStream_tbENKUlT_T0_E_clISt17integral_constantIbLb1EES12_IbLb0EEEEDaSY_SZ_EUlSY_E_NS1_11comp_targetILNS1_3genE0ELNS1_11target_archE4294967295ELNS1_3gpuE0ELNS1_3repE0EEENS1_30default_config_static_selectorELNS0_4arch9wavefront6targetE0EEEvT1_.numbered_sgpr, 0
	.set _ZN7rocprim17ROCPRIM_400000_NS6detail17trampoline_kernelINS0_14default_configENS1_27scan_by_key_config_selectorIj11FixedVectorIiLj2EEEEZZNS1_16scan_by_key_implILNS1_25lookback_scan_determinismE0ELb1ES3_N6thrust23THRUST_200600_302600_NS6detail15normal_iteratorINSB_10device_ptrIjEEEENSD_INSE_IS6_EEEESI_S6_NSB_4plusIvEENSB_8equal_toIvEES6_EE10hipError_tPvRmT2_T3_T4_T5_mT6_T7_P12ihipStream_tbENKUlT_T0_E_clISt17integral_constantIbLb1EES12_IbLb0EEEEDaSY_SZ_EUlSY_E_NS1_11comp_targetILNS1_3genE0ELNS1_11target_archE4294967295ELNS1_3gpuE0ELNS1_3repE0EEENS1_30default_config_static_selectorELNS0_4arch9wavefront6targetE0EEEvT1_.num_named_barrier, 0
	.set _ZN7rocprim17ROCPRIM_400000_NS6detail17trampoline_kernelINS0_14default_configENS1_27scan_by_key_config_selectorIj11FixedVectorIiLj2EEEEZZNS1_16scan_by_key_implILNS1_25lookback_scan_determinismE0ELb1ES3_N6thrust23THRUST_200600_302600_NS6detail15normal_iteratorINSB_10device_ptrIjEEEENSD_INSE_IS6_EEEESI_S6_NSB_4plusIvEENSB_8equal_toIvEES6_EE10hipError_tPvRmT2_T3_T4_T5_mT6_T7_P12ihipStream_tbENKUlT_T0_E_clISt17integral_constantIbLb1EES12_IbLb0EEEEDaSY_SZ_EUlSY_E_NS1_11comp_targetILNS1_3genE0ELNS1_11target_archE4294967295ELNS1_3gpuE0ELNS1_3repE0EEENS1_30default_config_static_selectorELNS0_4arch9wavefront6targetE0EEEvT1_.private_seg_size, 0
	.set _ZN7rocprim17ROCPRIM_400000_NS6detail17trampoline_kernelINS0_14default_configENS1_27scan_by_key_config_selectorIj11FixedVectorIiLj2EEEEZZNS1_16scan_by_key_implILNS1_25lookback_scan_determinismE0ELb1ES3_N6thrust23THRUST_200600_302600_NS6detail15normal_iteratorINSB_10device_ptrIjEEEENSD_INSE_IS6_EEEESI_S6_NSB_4plusIvEENSB_8equal_toIvEES6_EE10hipError_tPvRmT2_T3_T4_T5_mT6_T7_P12ihipStream_tbENKUlT_T0_E_clISt17integral_constantIbLb1EES12_IbLb0EEEEDaSY_SZ_EUlSY_E_NS1_11comp_targetILNS1_3genE0ELNS1_11target_archE4294967295ELNS1_3gpuE0ELNS1_3repE0EEENS1_30default_config_static_selectorELNS0_4arch9wavefront6targetE0EEEvT1_.uses_vcc, 0
	.set _ZN7rocprim17ROCPRIM_400000_NS6detail17trampoline_kernelINS0_14default_configENS1_27scan_by_key_config_selectorIj11FixedVectorIiLj2EEEEZZNS1_16scan_by_key_implILNS1_25lookback_scan_determinismE0ELb1ES3_N6thrust23THRUST_200600_302600_NS6detail15normal_iteratorINSB_10device_ptrIjEEEENSD_INSE_IS6_EEEESI_S6_NSB_4plusIvEENSB_8equal_toIvEES6_EE10hipError_tPvRmT2_T3_T4_T5_mT6_T7_P12ihipStream_tbENKUlT_T0_E_clISt17integral_constantIbLb1EES12_IbLb0EEEEDaSY_SZ_EUlSY_E_NS1_11comp_targetILNS1_3genE0ELNS1_11target_archE4294967295ELNS1_3gpuE0ELNS1_3repE0EEENS1_30default_config_static_selectorELNS0_4arch9wavefront6targetE0EEEvT1_.uses_flat_scratch, 0
	.set _ZN7rocprim17ROCPRIM_400000_NS6detail17trampoline_kernelINS0_14default_configENS1_27scan_by_key_config_selectorIj11FixedVectorIiLj2EEEEZZNS1_16scan_by_key_implILNS1_25lookback_scan_determinismE0ELb1ES3_N6thrust23THRUST_200600_302600_NS6detail15normal_iteratorINSB_10device_ptrIjEEEENSD_INSE_IS6_EEEESI_S6_NSB_4plusIvEENSB_8equal_toIvEES6_EE10hipError_tPvRmT2_T3_T4_T5_mT6_T7_P12ihipStream_tbENKUlT_T0_E_clISt17integral_constantIbLb1EES12_IbLb0EEEEDaSY_SZ_EUlSY_E_NS1_11comp_targetILNS1_3genE0ELNS1_11target_archE4294967295ELNS1_3gpuE0ELNS1_3repE0EEENS1_30default_config_static_selectorELNS0_4arch9wavefront6targetE0EEEvT1_.has_dyn_sized_stack, 0
	.set _ZN7rocprim17ROCPRIM_400000_NS6detail17trampoline_kernelINS0_14default_configENS1_27scan_by_key_config_selectorIj11FixedVectorIiLj2EEEEZZNS1_16scan_by_key_implILNS1_25lookback_scan_determinismE0ELb1ES3_N6thrust23THRUST_200600_302600_NS6detail15normal_iteratorINSB_10device_ptrIjEEEENSD_INSE_IS6_EEEESI_S6_NSB_4plusIvEENSB_8equal_toIvEES6_EE10hipError_tPvRmT2_T3_T4_T5_mT6_T7_P12ihipStream_tbENKUlT_T0_E_clISt17integral_constantIbLb1EES12_IbLb0EEEEDaSY_SZ_EUlSY_E_NS1_11comp_targetILNS1_3genE0ELNS1_11target_archE4294967295ELNS1_3gpuE0ELNS1_3repE0EEENS1_30default_config_static_selectorELNS0_4arch9wavefront6targetE0EEEvT1_.has_recursion, 0
	.set _ZN7rocprim17ROCPRIM_400000_NS6detail17trampoline_kernelINS0_14default_configENS1_27scan_by_key_config_selectorIj11FixedVectorIiLj2EEEEZZNS1_16scan_by_key_implILNS1_25lookback_scan_determinismE0ELb1ES3_N6thrust23THRUST_200600_302600_NS6detail15normal_iteratorINSB_10device_ptrIjEEEENSD_INSE_IS6_EEEESI_S6_NSB_4plusIvEENSB_8equal_toIvEES6_EE10hipError_tPvRmT2_T3_T4_T5_mT6_T7_P12ihipStream_tbENKUlT_T0_E_clISt17integral_constantIbLb1EES12_IbLb0EEEEDaSY_SZ_EUlSY_E_NS1_11comp_targetILNS1_3genE0ELNS1_11target_archE4294967295ELNS1_3gpuE0ELNS1_3repE0EEENS1_30default_config_static_selectorELNS0_4arch9wavefront6targetE0EEEvT1_.has_indirect_call, 0
	.section	.AMDGPU.csdata,"",@progbits
; Kernel info:
; codeLenInByte = 4
; TotalNumSgprs: 0
; NumVgprs: 0
; ScratchSize: 0
; MemoryBound: 0
; FloatMode: 240
; IeeeMode: 1
; LDSByteSize: 0 bytes/workgroup (compile time only)
; SGPRBlocks: 0
; VGPRBlocks: 0
; NumSGPRsForWavesPerEU: 1
; NumVGPRsForWavesPerEU: 1
; NamedBarCnt: 0
; Occupancy: 16
; WaveLimiterHint : 0
; COMPUTE_PGM_RSRC2:SCRATCH_EN: 0
; COMPUTE_PGM_RSRC2:USER_SGPR: 2
; COMPUTE_PGM_RSRC2:TRAP_HANDLER: 0
; COMPUTE_PGM_RSRC2:TGID_X_EN: 1
; COMPUTE_PGM_RSRC2:TGID_Y_EN: 0
; COMPUTE_PGM_RSRC2:TGID_Z_EN: 0
; COMPUTE_PGM_RSRC2:TIDIG_COMP_CNT: 0
	.section	.text._ZN7rocprim17ROCPRIM_400000_NS6detail17trampoline_kernelINS0_14default_configENS1_27scan_by_key_config_selectorIj11FixedVectorIiLj2EEEEZZNS1_16scan_by_key_implILNS1_25lookback_scan_determinismE0ELb1ES3_N6thrust23THRUST_200600_302600_NS6detail15normal_iteratorINSB_10device_ptrIjEEEENSD_INSE_IS6_EEEESI_S6_NSB_4plusIvEENSB_8equal_toIvEES6_EE10hipError_tPvRmT2_T3_T4_T5_mT6_T7_P12ihipStream_tbENKUlT_T0_E_clISt17integral_constantIbLb1EES12_IbLb0EEEEDaSY_SZ_EUlSY_E_NS1_11comp_targetILNS1_3genE10ELNS1_11target_archE1201ELNS1_3gpuE5ELNS1_3repE0EEENS1_30default_config_static_selectorELNS0_4arch9wavefront6targetE0EEEvT1_,"axG",@progbits,_ZN7rocprim17ROCPRIM_400000_NS6detail17trampoline_kernelINS0_14default_configENS1_27scan_by_key_config_selectorIj11FixedVectorIiLj2EEEEZZNS1_16scan_by_key_implILNS1_25lookback_scan_determinismE0ELb1ES3_N6thrust23THRUST_200600_302600_NS6detail15normal_iteratorINSB_10device_ptrIjEEEENSD_INSE_IS6_EEEESI_S6_NSB_4plusIvEENSB_8equal_toIvEES6_EE10hipError_tPvRmT2_T3_T4_T5_mT6_T7_P12ihipStream_tbENKUlT_T0_E_clISt17integral_constantIbLb1EES12_IbLb0EEEEDaSY_SZ_EUlSY_E_NS1_11comp_targetILNS1_3genE10ELNS1_11target_archE1201ELNS1_3gpuE5ELNS1_3repE0EEENS1_30default_config_static_selectorELNS0_4arch9wavefront6targetE0EEEvT1_,comdat
	.protected	_ZN7rocprim17ROCPRIM_400000_NS6detail17trampoline_kernelINS0_14default_configENS1_27scan_by_key_config_selectorIj11FixedVectorIiLj2EEEEZZNS1_16scan_by_key_implILNS1_25lookback_scan_determinismE0ELb1ES3_N6thrust23THRUST_200600_302600_NS6detail15normal_iteratorINSB_10device_ptrIjEEEENSD_INSE_IS6_EEEESI_S6_NSB_4plusIvEENSB_8equal_toIvEES6_EE10hipError_tPvRmT2_T3_T4_T5_mT6_T7_P12ihipStream_tbENKUlT_T0_E_clISt17integral_constantIbLb1EES12_IbLb0EEEEDaSY_SZ_EUlSY_E_NS1_11comp_targetILNS1_3genE10ELNS1_11target_archE1201ELNS1_3gpuE5ELNS1_3repE0EEENS1_30default_config_static_selectorELNS0_4arch9wavefront6targetE0EEEvT1_ ; -- Begin function _ZN7rocprim17ROCPRIM_400000_NS6detail17trampoline_kernelINS0_14default_configENS1_27scan_by_key_config_selectorIj11FixedVectorIiLj2EEEEZZNS1_16scan_by_key_implILNS1_25lookback_scan_determinismE0ELb1ES3_N6thrust23THRUST_200600_302600_NS6detail15normal_iteratorINSB_10device_ptrIjEEEENSD_INSE_IS6_EEEESI_S6_NSB_4plusIvEENSB_8equal_toIvEES6_EE10hipError_tPvRmT2_T3_T4_T5_mT6_T7_P12ihipStream_tbENKUlT_T0_E_clISt17integral_constantIbLb1EES12_IbLb0EEEEDaSY_SZ_EUlSY_E_NS1_11comp_targetILNS1_3genE10ELNS1_11target_archE1201ELNS1_3gpuE5ELNS1_3repE0EEENS1_30default_config_static_selectorELNS0_4arch9wavefront6targetE0EEEvT1_
	.globl	_ZN7rocprim17ROCPRIM_400000_NS6detail17trampoline_kernelINS0_14default_configENS1_27scan_by_key_config_selectorIj11FixedVectorIiLj2EEEEZZNS1_16scan_by_key_implILNS1_25lookback_scan_determinismE0ELb1ES3_N6thrust23THRUST_200600_302600_NS6detail15normal_iteratorINSB_10device_ptrIjEEEENSD_INSE_IS6_EEEESI_S6_NSB_4plusIvEENSB_8equal_toIvEES6_EE10hipError_tPvRmT2_T3_T4_T5_mT6_T7_P12ihipStream_tbENKUlT_T0_E_clISt17integral_constantIbLb1EES12_IbLb0EEEEDaSY_SZ_EUlSY_E_NS1_11comp_targetILNS1_3genE10ELNS1_11target_archE1201ELNS1_3gpuE5ELNS1_3repE0EEENS1_30default_config_static_selectorELNS0_4arch9wavefront6targetE0EEEvT1_
	.p2align	8
	.type	_ZN7rocprim17ROCPRIM_400000_NS6detail17trampoline_kernelINS0_14default_configENS1_27scan_by_key_config_selectorIj11FixedVectorIiLj2EEEEZZNS1_16scan_by_key_implILNS1_25lookback_scan_determinismE0ELb1ES3_N6thrust23THRUST_200600_302600_NS6detail15normal_iteratorINSB_10device_ptrIjEEEENSD_INSE_IS6_EEEESI_S6_NSB_4plusIvEENSB_8equal_toIvEES6_EE10hipError_tPvRmT2_T3_T4_T5_mT6_T7_P12ihipStream_tbENKUlT_T0_E_clISt17integral_constantIbLb1EES12_IbLb0EEEEDaSY_SZ_EUlSY_E_NS1_11comp_targetILNS1_3genE10ELNS1_11target_archE1201ELNS1_3gpuE5ELNS1_3repE0EEENS1_30default_config_static_selectorELNS0_4arch9wavefront6targetE0EEEvT1_,@function
_ZN7rocprim17ROCPRIM_400000_NS6detail17trampoline_kernelINS0_14default_configENS1_27scan_by_key_config_selectorIj11FixedVectorIiLj2EEEEZZNS1_16scan_by_key_implILNS1_25lookback_scan_determinismE0ELb1ES3_N6thrust23THRUST_200600_302600_NS6detail15normal_iteratorINSB_10device_ptrIjEEEENSD_INSE_IS6_EEEESI_S6_NSB_4plusIvEENSB_8equal_toIvEES6_EE10hipError_tPvRmT2_T3_T4_T5_mT6_T7_P12ihipStream_tbENKUlT_T0_E_clISt17integral_constantIbLb1EES12_IbLb0EEEEDaSY_SZ_EUlSY_E_NS1_11comp_targetILNS1_3genE10ELNS1_11target_archE1201ELNS1_3gpuE5ELNS1_3repE0EEENS1_30default_config_static_selectorELNS0_4arch9wavefront6targetE0EEEvT1_: ; @_ZN7rocprim17ROCPRIM_400000_NS6detail17trampoline_kernelINS0_14default_configENS1_27scan_by_key_config_selectorIj11FixedVectorIiLj2EEEEZZNS1_16scan_by_key_implILNS1_25lookback_scan_determinismE0ELb1ES3_N6thrust23THRUST_200600_302600_NS6detail15normal_iteratorINSB_10device_ptrIjEEEENSD_INSE_IS6_EEEESI_S6_NSB_4plusIvEENSB_8equal_toIvEES6_EE10hipError_tPvRmT2_T3_T4_T5_mT6_T7_P12ihipStream_tbENKUlT_T0_E_clISt17integral_constantIbLb1EES12_IbLb0EEEEDaSY_SZ_EUlSY_E_NS1_11comp_targetILNS1_3genE10ELNS1_11target_archE1201ELNS1_3gpuE5ELNS1_3repE0EEENS1_30default_config_static_selectorELNS0_4arch9wavefront6targetE0EEEvT1_
; %bb.0:
	.section	.rodata,"a",@progbits
	.p2align	6, 0x0
	.amdhsa_kernel _ZN7rocprim17ROCPRIM_400000_NS6detail17trampoline_kernelINS0_14default_configENS1_27scan_by_key_config_selectorIj11FixedVectorIiLj2EEEEZZNS1_16scan_by_key_implILNS1_25lookback_scan_determinismE0ELb1ES3_N6thrust23THRUST_200600_302600_NS6detail15normal_iteratorINSB_10device_ptrIjEEEENSD_INSE_IS6_EEEESI_S6_NSB_4plusIvEENSB_8equal_toIvEES6_EE10hipError_tPvRmT2_T3_T4_T5_mT6_T7_P12ihipStream_tbENKUlT_T0_E_clISt17integral_constantIbLb1EES12_IbLb0EEEEDaSY_SZ_EUlSY_E_NS1_11comp_targetILNS1_3genE10ELNS1_11target_archE1201ELNS1_3gpuE5ELNS1_3repE0EEENS1_30default_config_static_selectorELNS0_4arch9wavefront6targetE0EEEvT1_
		.amdhsa_group_segment_fixed_size 0
		.amdhsa_private_segment_fixed_size 0
		.amdhsa_kernarg_size 120
		.amdhsa_user_sgpr_count 2
		.amdhsa_user_sgpr_dispatch_ptr 0
		.amdhsa_user_sgpr_queue_ptr 0
		.amdhsa_user_sgpr_kernarg_segment_ptr 1
		.amdhsa_user_sgpr_dispatch_id 0
		.amdhsa_user_sgpr_kernarg_preload_length 0
		.amdhsa_user_sgpr_kernarg_preload_offset 0
		.amdhsa_user_sgpr_private_segment_size 0
		.amdhsa_wavefront_size32 1
		.amdhsa_uses_dynamic_stack 0
		.amdhsa_enable_private_segment 0
		.amdhsa_system_sgpr_workgroup_id_x 1
		.amdhsa_system_sgpr_workgroup_id_y 0
		.amdhsa_system_sgpr_workgroup_id_z 0
		.amdhsa_system_sgpr_workgroup_info 0
		.amdhsa_system_vgpr_workitem_id 0
		.amdhsa_next_free_vgpr 1
		.amdhsa_next_free_sgpr 1
		.amdhsa_named_barrier_count 0
		.amdhsa_reserve_vcc 0
		.amdhsa_float_round_mode_32 0
		.amdhsa_float_round_mode_16_64 0
		.amdhsa_float_denorm_mode_32 3
		.amdhsa_float_denorm_mode_16_64 3
		.amdhsa_fp16_overflow 0
		.amdhsa_memory_ordered 1
		.amdhsa_forward_progress 1
		.amdhsa_inst_pref_size 0
		.amdhsa_round_robin_scheduling 0
		.amdhsa_exception_fp_ieee_invalid_op 0
		.amdhsa_exception_fp_denorm_src 0
		.amdhsa_exception_fp_ieee_div_zero 0
		.amdhsa_exception_fp_ieee_overflow 0
		.amdhsa_exception_fp_ieee_underflow 0
		.amdhsa_exception_fp_ieee_inexact 0
		.amdhsa_exception_int_div_zero 0
	.end_amdhsa_kernel
	.section	.text._ZN7rocprim17ROCPRIM_400000_NS6detail17trampoline_kernelINS0_14default_configENS1_27scan_by_key_config_selectorIj11FixedVectorIiLj2EEEEZZNS1_16scan_by_key_implILNS1_25lookback_scan_determinismE0ELb1ES3_N6thrust23THRUST_200600_302600_NS6detail15normal_iteratorINSB_10device_ptrIjEEEENSD_INSE_IS6_EEEESI_S6_NSB_4plusIvEENSB_8equal_toIvEES6_EE10hipError_tPvRmT2_T3_T4_T5_mT6_T7_P12ihipStream_tbENKUlT_T0_E_clISt17integral_constantIbLb1EES12_IbLb0EEEEDaSY_SZ_EUlSY_E_NS1_11comp_targetILNS1_3genE10ELNS1_11target_archE1201ELNS1_3gpuE5ELNS1_3repE0EEENS1_30default_config_static_selectorELNS0_4arch9wavefront6targetE0EEEvT1_,"axG",@progbits,_ZN7rocprim17ROCPRIM_400000_NS6detail17trampoline_kernelINS0_14default_configENS1_27scan_by_key_config_selectorIj11FixedVectorIiLj2EEEEZZNS1_16scan_by_key_implILNS1_25lookback_scan_determinismE0ELb1ES3_N6thrust23THRUST_200600_302600_NS6detail15normal_iteratorINSB_10device_ptrIjEEEENSD_INSE_IS6_EEEESI_S6_NSB_4plusIvEENSB_8equal_toIvEES6_EE10hipError_tPvRmT2_T3_T4_T5_mT6_T7_P12ihipStream_tbENKUlT_T0_E_clISt17integral_constantIbLb1EES12_IbLb0EEEEDaSY_SZ_EUlSY_E_NS1_11comp_targetILNS1_3genE10ELNS1_11target_archE1201ELNS1_3gpuE5ELNS1_3repE0EEENS1_30default_config_static_selectorELNS0_4arch9wavefront6targetE0EEEvT1_,comdat
.Lfunc_end2012:
	.size	_ZN7rocprim17ROCPRIM_400000_NS6detail17trampoline_kernelINS0_14default_configENS1_27scan_by_key_config_selectorIj11FixedVectorIiLj2EEEEZZNS1_16scan_by_key_implILNS1_25lookback_scan_determinismE0ELb1ES3_N6thrust23THRUST_200600_302600_NS6detail15normal_iteratorINSB_10device_ptrIjEEEENSD_INSE_IS6_EEEESI_S6_NSB_4plusIvEENSB_8equal_toIvEES6_EE10hipError_tPvRmT2_T3_T4_T5_mT6_T7_P12ihipStream_tbENKUlT_T0_E_clISt17integral_constantIbLb1EES12_IbLb0EEEEDaSY_SZ_EUlSY_E_NS1_11comp_targetILNS1_3genE10ELNS1_11target_archE1201ELNS1_3gpuE5ELNS1_3repE0EEENS1_30default_config_static_selectorELNS0_4arch9wavefront6targetE0EEEvT1_, .Lfunc_end2012-_ZN7rocprim17ROCPRIM_400000_NS6detail17trampoline_kernelINS0_14default_configENS1_27scan_by_key_config_selectorIj11FixedVectorIiLj2EEEEZZNS1_16scan_by_key_implILNS1_25lookback_scan_determinismE0ELb1ES3_N6thrust23THRUST_200600_302600_NS6detail15normal_iteratorINSB_10device_ptrIjEEEENSD_INSE_IS6_EEEESI_S6_NSB_4plusIvEENSB_8equal_toIvEES6_EE10hipError_tPvRmT2_T3_T4_T5_mT6_T7_P12ihipStream_tbENKUlT_T0_E_clISt17integral_constantIbLb1EES12_IbLb0EEEEDaSY_SZ_EUlSY_E_NS1_11comp_targetILNS1_3genE10ELNS1_11target_archE1201ELNS1_3gpuE5ELNS1_3repE0EEENS1_30default_config_static_selectorELNS0_4arch9wavefront6targetE0EEEvT1_
                                        ; -- End function
	.set _ZN7rocprim17ROCPRIM_400000_NS6detail17trampoline_kernelINS0_14default_configENS1_27scan_by_key_config_selectorIj11FixedVectorIiLj2EEEEZZNS1_16scan_by_key_implILNS1_25lookback_scan_determinismE0ELb1ES3_N6thrust23THRUST_200600_302600_NS6detail15normal_iteratorINSB_10device_ptrIjEEEENSD_INSE_IS6_EEEESI_S6_NSB_4plusIvEENSB_8equal_toIvEES6_EE10hipError_tPvRmT2_T3_T4_T5_mT6_T7_P12ihipStream_tbENKUlT_T0_E_clISt17integral_constantIbLb1EES12_IbLb0EEEEDaSY_SZ_EUlSY_E_NS1_11comp_targetILNS1_3genE10ELNS1_11target_archE1201ELNS1_3gpuE5ELNS1_3repE0EEENS1_30default_config_static_selectorELNS0_4arch9wavefront6targetE0EEEvT1_.num_vgpr, 0
	.set _ZN7rocprim17ROCPRIM_400000_NS6detail17trampoline_kernelINS0_14default_configENS1_27scan_by_key_config_selectorIj11FixedVectorIiLj2EEEEZZNS1_16scan_by_key_implILNS1_25lookback_scan_determinismE0ELb1ES3_N6thrust23THRUST_200600_302600_NS6detail15normal_iteratorINSB_10device_ptrIjEEEENSD_INSE_IS6_EEEESI_S6_NSB_4plusIvEENSB_8equal_toIvEES6_EE10hipError_tPvRmT2_T3_T4_T5_mT6_T7_P12ihipStream_tbENKUlT_T0_E_clISt17integral_constantIbLb1EES12_IbLb0EEEEDaSY_SZ_EUlSY_E_NS1_11comp_targetILNS1_3genE10ELNS1_11target_archE1201ELNS1_3gpuE5ELNS1_3repE0EEENS1_30default_config_static_selectorELNS0_4arch9wavefront6targetE0EEEvT1_.num_agpr, 0
	.set _ZN7rocprim17ROCPRIM_400000_NS6detail17trampoline_kernelINS0_14default_configENS1_27scan_by_key_config_selectorIj11FixedVectorIiLj2EEEEZZNS1_16scan_by_key_implILNS1_25lookback_scan_determinismE0ELb1ES3_N6thrust23THRUST_200600_302600_NS6detail15normal_iteratorINSB_10device_ptrIjEEEENSD_INSE_IS6_EEEESI_S6_NSB_4plusIvEENSB_8equal_toIvEES6_EE10hipError_tPvRmT2_T3_T4_T5_mT6_T7_P12ihipStream_tbENKUlT_T0_E_clISt17integral_constantIbLb1EES12_IbLb0EEEEDaSY_SZ_EUlSY_E_NS1_11comp_targetILNS1_3genE10ELNS1_11target_archE1201ELNS1_3gpuE5ELNS1_3repE0EEENS1_30default_config_static_selectorELNS0_4arch9wavefront6targetE0EEEvT1_.numbered_sgpr, 0
	.set _ZN7rocprim17ROCPRIM_400000_NS6detail17trampoline_kernelINS0_14default_configENS1_27scan_by_key_config_selectorIj11FixedVectorIiLj2EEEEZZNS1_16scan_by_key_implILNS1_25lookback_scan_determinismE0ELb1ES3_N6thrust23THRUST_200600_302600_NS6detail15normal_iteratorINSB_10device_ptrIjEEEENSD_INSE_IS6_EEEESI_S6_NSB_4plusIvEENSB_8equal_toIvEES6_EE10hipError_tPvRmT2_T3_T4_T5_mT6_T7_P12ihipStream_tbENKUlT_T0_E_clISt17integral_constantIbLb1EES12_IbLb0EEEEDaSY_SZ_EUlSY_E_NS1_11comp_targetILNS1_3genE10ELNS1_11target_archE1201ELNS1_3gpuE5ELNS1_3repE0EEENS1_30default_config_static_selectorELNS0_4arch9wavefront6targetE0EEEvT1_.num_named_barrier, 0
	.set _ZN7rocprim17ROCPRIM_400000_NS6detail17trampoline_kernelINS0_14default_configENS1_27scan_by_key_config_selectorIj11FixedVectorIiLj2EEEEZZNS1_16scan_by_key_implILNS1_25lookback_scan_determinismE0ELb1ES3_N6thrust23THRUST_200600_302600_NS6detail15normal_iteratorINSB_10device_ptrIjEEEENSD_INSE_IS6_EEEESI_S6_NSB_4plusIvEENSB_8equal_toIvEES6_EE10hipError_tPvRmT2_T3_T4_T5_mT6_T7_P12ihipStream_tbENKUlT_T0_E_clISt17integral_constantIbLb1EES12_IbLb0EEEEDaSY_SZ_EUlSY_E_NS1_11comp_targetILNS1_3genE10ELNS1_11target_archE1201ELNS1_3gpuE5ELNS1_3repE0EEENS1_30default_config_static_selectorELNS0_4arch9wavefront6targetE0EEEvT1_.private_seg_size, 0
	.set _ZN7rocprim17ROCPRIM_400000_NS6detail17trampoline_kernelINS0_14default_configENS1_27scan_by_key_config_selectorIj11FixedVectorIiLj2EEEEZZNS1_16scan_by_key_implILNS1_25lookback_scan_determinismE0ELb1ES3_N6thrust23THRUST_200600_302600_NS6detail15normal_iteratorINSB_10device_ptrIjEEEENSD_INSE_IS6_EEEESI_S6_NSB_4plusIvEENSB_8equal_toIvEES6_EE10hipError_tPvRmT2_T3_T4_T5_mT6_T7_P12ihipStream_tbENKUlT_T0_E_clISt17integral_constantIbLb1EES12_IbLb0EEEEDaSY_SZ_EUlSY_E_NS1_11comp_targetILNS1_3genE10ELNS1_11target_archE1201ELNS1_3gpuE5ELNS1_3repE0EEENS1_30default_config_static_selectorELNS0_4arch9wavefront6targetE0EEEvT1_.uses_vcc, 0
	.set _ZN7rocprim17ROCPRIM_400000_NS6detail17trampoline_kernelINS0_14default_configENS1_27scan_by_key_config_selectorIj11FixedVectorIiLj2EEEEZZNS1_16scan_by_key_implILNS1_25lookback_scan_determinismE0ELb1ES3_N6thrust23THRUST_200600_302600_NS6detail15normal_iteratorINSB_10device_ptrIjEEEENSD_INSE_IS6_EEEESI_S6_NSB_4plusIvEENSB_8equal_toIvEES6_EE10hipError_tPvRmT2_T3_T4_T5_mT6_T7_P12ihipStream_tbENKUlT_T0_E_clISt17integral_constantIbLb1EES12_IbLb0EEEEDaSY_SZ_EUlSY_E_NS1_11comp_targetILNS1_3genE10ELNS1_11target_archE1201ELNS1_3gpuE5ELNS1_3repE0EEENS1_30default_config_static_selectorELNS0_4arch9wavefront6targetE0EEEvT1_.uses_flat_scratch, 0
	.set _ZN7rocprim17ROCPRIM_400000_NS6detail17trampoline_kernelINS0_14default_configENS1_27scan_by_key_config_selectorIj11FixedVectorIiLj2EEEEZZNS1_16scan_by_key_implILNS1_25lookback_scan_determinismE0ELb1ES3_N6thrust23THRUST_200600_302600_NS6detail15normal_iteratorINSB_10device_ptrIjEEEENSD_INSE_IS6_EEEESI_S6_NSB_4plusIvEENSB_8equal_toIvEES6_EE10hipError_tPvRmT2_T3_T4_T5_mT6_T7_P12ihipStream_tbENKUlT_T0_E_clISt17integral_constantIbLb1EES12_IbLb0EEEEDaSY_SZ_EUlSY_E_NS1_11comp_targetILNS1_3genE10ELNS1_11target_archE1201ELNS1_3gpuE5ELNS1_3repE0EEENS1_30default_config_static_selectorELNS0_4arch9wavefront6targetE0EEEvT1_.has_dyn_sized_stack, 0
	.set _ZN7rocprim17ROCPRIM_400000_NS6detail17trampoline_kernelINS0_14default_configENS1_27scan_by_key_config_selectorIj11FixedVectorIiLj2EEEEZZNS1_16scan_by_key_implILNS1_25lookback_scan_determinismE0ELb1ES3_N6thrust23THRUST_200600_302600_NS6detail15normal_iteratorINSB_10device_ptrIjEEEENSD_INSE_IS6_EEEESI_S6_NSB_4plusIvEENSB_8equal_toIvEES6_EE10hipError_tPvRmT2_T3_T4_T5_mT6_T7_P12ihipStream_tbENKUlT_T0_E_clISt17integral_constantIbLb1EES12_IbLb0EEEEDaSY_SZ_EUlSY_E_NS1_11comp_targetILNS1_3genE10ELNS1_11target_archE1201ELNS1_3gpuE5ELNS1_3repE0EEENS1_30default_config_static_selectorELNS0_4arch9wavefront6targetE0EEEvT1_.has_recursion, 0
	.set _ZN7rocprim17ROCPRIM_400000_NS6detail17trampoline_kernelINS0_14default_configENS1_27scan_by_key_config_selectorIj11FixedVectorIiLj2EEEEZZNS1_16scan_by_key_implILNS1_25lookback_scan_determinismE0ELb1ES3_N6thrust23THRUST_200600_302600_NS6detail15normal_iteratorINSB_10device_ptrIjEEEENSD_INSE_IS6_EEEESI_S6_NSB_4plusIvEENSB_8equal_toIvEES6_EE10hipError_tPvRmT2_T3_T4_T5_mT6_T7_P12ihipStream_tbENKUlT_T0_E_clISt17integral_constantIbLb1EES12_IbLb0EEEEDaSY_SZ_EUlSY_E_NS1_11comp_targetILNS1_3genE10ELNS1_11target_archE1201ELNS1_3gpuE5ELNS1_3repE0EEENS1_30default_config_static_selectorELNS0_4arch9wavefront6targetE0EEEvT1_.has_indirect_call, 0
	.section	.AMDGPU.csdata,"",@progbits
; Kernel info:
; codeLenInByte = 0
; TotalNumSgprs: 0
; NumVgprs: 0
; ScratchSize: 0
; MemoryBound: 0
; FloatMode: 240
; IeeeMode: 1
; LDSByteSize: 0 bytes/workgroup (compile time only)
; SGPRBlocks: 0
; VGPRBlocks: 0
; NumSGPRsForWavesPerEU: 1
; NumVGPRsForWavesPerEU: 1
; NamedBarCnt: 0
; Occupancy: 16
; WaveLimiterHint : 0
; COMPUTE_PGM_RSRC2:SCRATCH_EN: 0
; COMPUTE_PGM_RSRC2:USER_SGPR: 2
; COMPUTE_PGM_RSRC2:TRAP_HANDLER: 0
; COMPUTE_PGM_RSRC2:TGID_X_EN: 1
; COMPUTE_PGM_RSRC2:TGID_Y_EN: 0
; COMPUTE_PGM_RSRC2:TGID_Z_EN: 0
; COMPUTE_PGM_RSRC2:TIDIG_COMP_CNT: 0
	.section	.text._ZN7rocprim17ROCPRIM_400000_NS6detail17trampoline_kernelINS0_14default_configENS1_27scan_by_key_config_selectorIj11FixedVectorIiLj2EEEEZZNS1_16scan_by_key_implILNS1_25lookback_scan_determinismE0ELb1ES3_N6thrust23THRUST_200600_302600_NS6detail15normal_iteratorINSB_10device_ptrIjEEEENSD_INSE_IS6_EEEESI_S6_NSB_4plusIvEENSB_8equal_toIvEES6_EE10hipError_tPvRmT2_T3_T4_T5_mT6_T7_P12ihipStream_tbENKUlT_T0_E_clISt17integral_constantIbLb1EES12_IbLb0EEEEDaSY_SZ_EUlSY_E_NS1_11comp_targetILNS1_3genE5ELNS1_11target_archE942ELNS1_3gpuE9ELNS1_3repE0EEENS1_30default_config_static_selectorELNS0_4arch9wavefront6targetE0EEEvT1_,"axG",@progbits,_ZN7rocprim17ROCPRIM_400000_NS6detail17trampoline_kernelINS0_14default_configENS1_27scan_by_key_config_selectorIj11FixedVectorIiLj2EEEEZZNS1_16scan_by_key_implILNS1_25lookback_scan_determinismE0ELb1ES3_N6thrust23THRUST_200600_302600_NS6detail15normal_iteratorINSB_10device_ptrIjEEEENSD_INSE_IS6_EEEESI_S6_NSB_4plusIvEENSB_8equal_toIvEES6_EE10hipError_tPvRmT2_T3_T4_T5_mT6_T7_P12ihipStream_tbENKUlT_T0_E_clISt17integral_constantIbLb1EES12_IbLb0EEEEDaSY_SZ_EUlSY_E_NS1_11comp_targetILNS1_3genE5ELNS1_11target_archE942ELNS1_3gpuE9ELNS1_3repE0EEENS1_30default_config_static_selectorELNS0_4arch9wavefront6targetE0EEEvT1_,comdat
	.protected	_ZN7rocprim17ROCPRIM_400000_NS6detail17trampoline_kernelINS0_14default_configENS1_27scan_by_key_config_selectorIj11FixedVectorIiLj2EEEEZZNS1_16scan_by_key_implILNS1_25lookback_scan_determinismE0ELb1ES3_N6thrust23THRUST_200600_302600_NS6detail15normal_iteratorINSB_10device_ptrIjEEEENSD_INSE_IS6_EEEESI_S6_NSB_4plusIvEENSB_8equal_toIvEES6_EE10hipError_tPvRmT2_T3_T4_T5_mT6_T7_P12ihipStream_tbENKUlT_T0_E_clISt17integral_constantIbLb1EES12_IbLb0EEEEDaSY_SZ_EUlSY_E_NS1_11comp_targetILNS1_3genE5ELNS1_11target_archE942ELNS1_3gpuE9ELNS1_3repE0EEENS1_30default_config_static_selectorELNS0_4arch9wavefront6targetE0EEEvT1_ ; -- Begin function _ZN7rocprim17ROCPRIM_400000_NS6detail17trampoline_kernelINS0_14default_configENS1_27scan_by_key_config_selectorIj11FixedVectorIiLj2EEEEZZNS1_16scan_by_key_implILNS1_25lookback_scan_determinismE0ELb1ES3_N6thrust23THRUST_200600_302600_NS6detail15normal_iteratorINSB_10device_ptrIjEEEENSD_INSE_IS6_EEEESI_S6_NSB_4plusIvEENSB_8equal_toIvEES6_EE10hipError_tPvRmT2_T3_T4_T5_mT6_T7_P12ihipStream_tbENKUlT_T0_E_clISt17integral_constantIbLb1EES12_IbLb0EEEEDaSY_SZ_EUlSY_E_NS1_11comp_targetILNS1_3genE5ELNS1_11target_archE942ELNS1_3gpuE9ELNS1_3repE0EEENS1_30default_config_static_selectorELNS0_4arch9wavefront6targetE0EEEvT1_
	.globl	_ZN7rocprim17ROCPRIM_400000_NS6detail17trampoline_kernelINS0_14default_configENS1_27scan_by_key_config_selectorIj11FixedVectorIiLj2EEEEZZNS1_16scan_by_key_implILNS1_25lookback_scan_determinismE0ELb1ES3_N6thrust23THRUST_200600_302600_NS6detail15normal_iteratorINSB_10device_ptrIjEEEENSD_INSE_IS6_EEEESI_S6_NSB_4plusIvEENSB_8equal_toIvEES6_EE10hipError_tPvRmT2_T3_T4_T5_mT6_T7_P12ihipStream_tbENKUlT_T0_E_clISt17integral_constantIbLb1EES12_IbLb0EEEEDaSY_SZ_EUlSY_E_NS1_11comp_targetILNS1_3genE5ELNS1_11target_archE942ELNS1_3gpuE9ELNS1_3repE0EEENS1_30default_config_static_selectorELNS0_4arch9wavefront6targetE0EEEvT1_
	.p2align	8
	.type	_ZN7rocprim17ROCPRIM_400000_NS6detail17trampoline_kernelINS0_14default_configENS1_27scan_by_key_config_selectorIj11FixedVectorIiLj2EEEEZZNS1_16scan_by_key_implILNS1_25lookback_scan_determinismE0ELb1ES3_N6thrust23THRUST_200600_302600_NS6detail15normal_iteratorINSB_10device_ptrIjEEEENSD_INSE_IS6_EEEESI_S6_NSB_4plusIvEENSB_8equal_toIvEES6_EE10hipError_tPvRmT2_T3_T4_T5_mT6_T7_P12ihipStream_tbENKUlT_T0_E_clISt17integral_constantIbLb1EES12_IbLb0EEEEDaSY_SZ_EUlSY_E_NS1_11comp_targetILNS1_3genE5ELNS1_11target_archE942ELNS1_3gpuE9ELNS1_3repE0EEENS1_30default_config_static_selectorELNS0_4arch9wavefront6targetE0EEEvT1_,@function
_ZN7rocprim17ROCPRIM_400000_NS6detail17trampoline_kernelINS0_14default_configENS1_27scan_by_key_config_selectorIj11FixedVectorIiLj2EEEEZZNS1_16scan_by_key_implILNS1_25lookback_scan_determinismE0ELb1ES3_N6thrust23THRUST_200600_302600_NS6detail15normal_iteratorINSB_10device_ptrIjEEEENSD_INSE_IS6_EEEESI_S6_NSB_4plusIvEENSB_8equal_toIvEES6_EE10hipError_tPvRmT2_T3_T4_T5_mT6_T7_P12ihipStream_tbENKUlT_T0_E_clISt17integral_constantIbLb1EES12_IbLb0EEEEDaSY_SZ_EUlSY_E_NS1_11comp_targetILNS1_3genE5ELNS1_11target_archE942ELNS1_3gpuE9ELNS1_3repE0EEENS1_30default_config_static_selectorELNS0_4arch9wavefront6targetE0EEEvT1_: ; @_ZN7rocprim17ROCPRIM_400000_NS6detail17trampoline_kernelINS0_14default_configENS1_27scan_by_key_config_selectorIj11FixedVectorIiLj2EEEEZZNS1_16scan_by_key_implILNS1_25lookback_scan_determinismE0ELb1ES3_N6thrust23THRUST_200600_302600_NS6detail15normal_iteratorINSB_10device_ptrIjEEEENSD_INSE_IS6_EEEESI_S6_NSB_4plusIvEENSB_8equal_toIvEES6_EE10hipError_tPvRmT2_T3_T4_T5_mT6_T7_P12ihipStream_tbENKUlT_T0_E_clISt17integral_constantIbLb1EES12_IbLb0EEEEDaSY_SZ_EUlSY_E_NS1_11comp_targetILNS1_3genE5ELNS1_11target_archE942ELNS1_3gpuE9ELNS1_3repE0EEENS1_30default_config_static_selectorELNS0_4arch9wavefront6targetE0EEEvT1_
; %bb.0:
	.section	.rodata,"a",@progbits
	.p2align	6, 0x0
	.amdhsa_kernel _ZN7rocprim17ROCPRIM_400000_NS6detail17trampoline_kernelINS0_14default_configENS1_27scan_by_key_config_selectorIj11FixedVectorIiLj2EEEEZZNS1_16scan_by_key_implILNS1_25lookback_scan_determinismE0ELb1ES3_N6thrust23THRUST_200600_302600_NS6detail15normal_iteratorINSB_10device_ptrIjEEEENSD_INSE_IS6_EEEESI_S6_NSB_4plusIvEENSB_8equal_toIvEES6_EE10hipError_tPvRmT2_T3_T4_T5_mT6_T7_P12ihipStream_tbENKUlT_T0_E_clISt17integral_constantIbLb1EES12_IbLb0EEEEDaSY_SZ_EUlSY_E_NS1_11comp_targetILNS1_3genE5ELNS1_11target_archE942ELNS1_3gpuE9ELNS1_3repE0EEENS1_30default_config_static_selectorELNS0_4arch9wavefront6targetE0EEEvT1_
		.amdhsa_group_segment_fixed_size 0
		.amdhsa_private_segment_fixed_size 0
		.amdhsa_kernarg_size 120
		.amdhsa_user_sgpr_count 2
		.amdhsa_user_sgpr_dispatch_ptr 0
		.amdhsa_user_sgpr_queue_ptr 0
		.amdhsa_user_sgpr_kernarg_segment_ptr 1
		.amdhsa_user_sgpr_dispatch_id 0
		.amdhsa_user_sgpr_kernarg_preload_length 0
		.amdhsa_user_sgpr_kernarg_preload_offset 0
		.amdhsa_user_sgpr_private_segment_size 0
		.amdhsa_wavefront_size32 1
		.amdhsa_uses_dynamic_stack 0
		.amdhsa_enable_private_segment 0
		.amdhsa_system_sgpr_workgroup_id_x 1
		.amdhsa_system_sgpr_workgroup_id_y 0
		.amdhsa_system_sgpr_workgroup_id_z 0
		.amdhsa_system_sgpr_workgroup_info 0
		.amdhsa_system_vgpr_workitem_id 0
		.amdhsa_next_free_vgpr 1
		.amdhsa_next_free_sgpr 1
		.amdhsa_named_barrier_count 0
		.amdhsa_reserve_vcc 0
		.amdhsa_float_round_mode_32 0
		.amdhsa_float_round_mode_16_64 0
		.amdhsa_float_denorm_mode_32 3
		.amdhsa_float_denorm_mode_16_64 3
		.amdhsa_fp16_overflow 0
		.amdhsa_memory_ordered 1
		.amdhsa_forward_progress 1
		.amdhsa_inst_pref_size 0
		.amdhsa_round_robin_scheduling 0
		.amdhsa_exception_fp_ieee_invalid_op 0
		.amdhsa_exception_fp_denorm_src 0
		.amdhsa_exception_fp_ieee_div_zero 0
		.amdhsa_exception_fp_ieee_overflow 0
		.amdhsa_exception_fp_ieee_underflow 0
		.amdhsa_exception_fp_ieee_inexact 0
		.amdhsa_exception_int_div_zero 0
	.end_amdhsa_kernel
	.section	.text._ZN7rocprim17ROCPRIM_400000_NS6detail17trampoline_kernelINS0_14default_configENS1_27scan_by_key_config_selectorIj11FixedVectorIiLj2EEEEZZNS1_16scan_by_key_implILNS1_25lookback_scan_determinismE0ELb1ES3_N6thrust23THRUST_200600_302600_NS6detail15normal_iteratorINSB_10device_ptrIjEEEENSD_INSE_IS6_EEEESI_S6_NSB_4plusIvEENSB_8equal_toIvEES6_EE10hipError_tPvRmT2_T3_T4_T5_mT6_T7_P12ihipStream_tbENKUlT_T0_E_clISt17integral_constantIbLb1EES12_IbLb0EEEEDaSY_SZ_EUlSY_E_NS1_11comp_targetILNS1_3genE5ELNS1_11target_archE942ELNS1_3gpuE9ELNS1_3repE0EEENS1_30default_config_static_selectorELNS0_4arch9wavefront6targetE0EEEvT1_,"axG",@progbits,_ZN7rocprim17ROCPRIM_400000_NS6detail17trampoline_kernelINS0_14default_configENS1_27scan_by_key_config_selectorIj11FixedVectorIiLj2EEEEZZNS1_16scan_by_key_implILNS1_25lookback_scan_determinismE0ELb1ES3_N6thrust23THRUST_200600_302600_NS6detail15normal_iteratorINSB_10device_ptrIjEEEENSD_INSE_IS6_EEEESI_S6_NSB_4plusIvEENSB_8equal_toIvEES6_EE10hipError_tPvRmT2_T3_T4_T5_mT6_T7_P12ihipStream_tbENKUlT_T0_E_clISt17integral_constantIbLb1EES12_IbLb0EEEEDaSY_SZ_EUlSY_E_NS1_11comp_targetILNS1_3genE5ELNS1_11target_archE942ELNS1_3gpuE9ELNS1_3repE0EEENS1_30default_config_static_selectorELNS0_4arch9wavefront6targetE0EEEvT1_,comdat
.Lfunc_end2013:
	.size	_ZN7rocprim17ROCPRIM_400000_NS6detail17trampoline_kernelINS0_14default_configENS1_27scan_by_key_config_selectorIj11FixedVectorIiLj2EEEEZZNS1_16scan_by_key_implILNS1_25lookback_scan_determinismE0ELb1ES3_N6thrust23THRUST_200600_302600_NS6detail15normal_iteratorINSB_10device_ptrIjEEEENSD_INSE_IS6_EEEESI_S6_NSB_4plusIvEENSB_8equal_toIvEES6_EE10hipError_tPvRmT2_T3_T4_T5_mT6_T7_P12ihipStream_tbENKUlT_T0_E_clISt17integral_constantIbLb1EES12_IbLb0EEEEDaSY_SZ_EUlSY_E_NS1_11comp_targetILNS1_3genE5ELNS1_11target_archE942ELNS1_3gpuE9ELNS1_3repE0EEENS1_30default_config_static_selectorELNS0_4arch9wavefront6targetE0EEEvT1_, .Lfunc_end2013-_ZN7rocprim17ROCPRIM_400000_NS6detail17trampoline_kernelINS0_14default_configENS1_27scan_by_key_config_selectorIj11FixedVectorIiLj2EEEEZZNS1_16scan_by_key_implILNS1_25lookback_scan_determinismE0ELb1ES3_N6thrust23THRUST_200600_302600_NS6detail15normal_iteratorINSB_10device_ptrIjEEEENSD_INSE_IS6_EEEESI_S6_NSB_4plusIvEENSB_8equal_toIvEES6_EE10hipError_tPvRmT2_T3_T4_T5_mT6_T7_P12ihipStream_tbENKUlT_T0_E_clISt17integral_constantIbLb1EES12_IbLb0EEEEDaSY_SZ_EUlSY_E_NS1_11comp_targetILNS1_3genE5ELNS1_11target_archE942ELNS1_3gpuE9ELNS1_3repE0EEENS1_30default_config_static_selectorELNS0_4arch9wavefront6targetE0EEEvT1_
                                        ; -- End function
	.set _ZN7rocprim17ROCPRIM_400000_NS6detail17trampoline_kernelINS0_14default_configENS1_27scan_by_key_config_selectorIj11FixedVectorIiLj2EEEEZZNS1_16scan_by_key_implILNS1_25lookback_scan_determinismE0ELb1ES3_N6thrust23THRUST_200600_302600_NS6detail15normal_iteratorINSB_10device_ptrIjEEEENSD_INSE_IS6_EEEESI_S6_NSB_4plusIvEENSB_8equal_toIvEES6_EE10hipError_tPvRmT2_T3_T4_T5_mT6_T7_P12ihipStream_tbENKUlT_T0_E_clISt17integral_constantIbLb1EES12_IbLb0EEEEDaSY_SZ_EUlSY_E_NS1_11comp_targetILNS1_3genE5ELNS1_11target_archE942ELNS1_3gpuE9ELNS1_3repE0EEENS1_30default_config_static_selectorELNS0_4arch9wavefront6targetE0EEEvT1_.num_vgpr, 0
	.set _ZN7rocprim17ROCPRIM_400000_NS6detail17trampoline_kernelINS0_14default_configENS1_27scan_by_key_config_selectorIj11FixedVectorIiLj2EEEEZZNS1_16scan_by_key_implILNS1_25lookback_scan_determinismE0ELb1ES3_N6thrust23THRUST_200600_302600_NS6detail15normal_iteratorINSB_10device_ptrIjEEEENSD_INSE_IS6_EEEESI_S6_NSB_4plusIvEENSB_8equal_toIvEES6_EE10hipError_tPvRmT2_T3_T4_T5_mT6_T7_P12ihipStream_tbENKUlT_T0_E_clISt17integral_constantIbLb1EES12_IbLb0EEEEDaSY_SZ_EUlSY_E_NS1_11comp_targetILNS1_3genE5ELNS1_11target_archE942ELNS1_3gpuE9ELNS1_3repE0EEENS1_30default_config_static_selectorELNS0_4arch9wavefront6targetE0EEEvT1_.num_agpr, 0
	.set _ZN7rocprim17ROCPRIM_400000_NS6detail17trampoline_kernelINS0_14default_configENS1_27scan_by_key_config_selectorIj11FixedVectorIiLj2EEEEZZNS1_16scan_by_key_implILNS1_25lookback_scan_determinismE0ELb1ES3_N6thrust23THRUST_200600_302600_NS6detail15normal_iteratorINSB_10device_ptrIjEEEENSD_INSE_IS6_EEEESI_S6_NSB_4plusIvEENSB_8equal_toIvEES6_EE10hipError_tPvRmT2_T3_T4_T5_mT6_T7_P12ihipStream_tbENKUlT_T0_E_clISt17integral_constantIbLb1EES12_IbLb0EEEEDaSY_SZ_EUlSY_E_NS1_11comp_targetILNS1_3genE5ELNS1_11target_archE942ELNS1_3gpuE9ELNS1_3repE0EEENS1_30default_config_static_selectorELNS0_4arch9wavefront6targetE0EEEvT1_.numbered_sgpr, 0
	.set _ZN7rocprim17ROCPRIM_400000_NS6detail17trampoline_kernelINS0_14default_configENS1_27scan_by_key_config_selectorIj11FixedVectorIiLj2EEEEZZNS1_16scan_by_key_implILNS1_25lookback_scan_determinismE0ELb1ES3_N6thrust23THRUST_200600_302600_NS6detail15normal_iteratorINSB_10device_ptrIjEEEENSD_INSE_IS6_EEEESI_S6_NSB_4plusIvEENSB_8equal_toIvEES6_EE10hipError_tPvRmT2_T3_T4_T5_mT6_T7_P12ihipStream_tbENKUlT_T0_E_clISt17integral_constantIbLb1EES12_IbLb0EEEEDaSY_SZ_EUlSY_E_NS1_11comp_targetILNS1_3genE5ELNS1_11target_archE942ELNS1_3gpuE9ELNS1_3repE0EEENS1_30default_config_static_selectorELNS0_4arch9wavefront6targetE0EEEvT1_.num_named_barrier, 0
	.set _ZN7rocprim17ROCPRIM_400000_NS6detail17trampoline_kernelINS0_14default_configENS1_27scan_by_key_config_selectorIj11FixedVectorIiLj2EEEEZZNS1_16scan_by_key_implILNS1_25lookback_scan_determinismE0ELb1ES3_N6thrust23THRUST_200600_302600_NS6detail15normal_iteratorINSB_10device_ptrIjEEEENSD_INSE_IS6_EEEESI_S6_NSB_4plusIvEENSB_8equal_toIvEES6_EE10hipError_tPvRmT2_T3_T4_T5_mT6_T7_P12ihipStream_tbENKUlT_T0_E_clISt17integral_constantIbLb1EES12_IbLb0EEEEDaSY_SZ_EUlSY_E_NS1_11comp_targetILNS1_3genE5ELNS1_11target_archE942ELNS1_3gpuE9ELNS1_3repE0EEENS1_30default_config_static_selectorELNS0_4arch9wavefront6targetE0EEEvT1_.private_seg_size, 0
	.set _ZN7rocprim17ROCPRIM_400000_NS6detail17trampoline_kernelINS0_14default_configENS1_27scan_by_key_config_selectorIj11FixedVectorIiLj2EEEEZZNS1_16scan_by_key_implILNS1_25lookback_scan_determinismE0ELb1ES3_N6thrust23THRUST_200600_302600_NS6detail15normal_iteratorINSB_10device_ptrIjEEEENSD_INSE_IS6_EEEESI_S6_NSB_4plusIvEENSB_8equal_toIvEES6_EE10hipError_tPvRmT2_T3_T4_T5_mT6_T7_P12ihipStream_tbENKUlT_T0_E_clISt17integral_constantIbLb1EES12_IbLb0EEEEDaSY_SZ_EUlSY_E_NS1_11comp_targetILNS1_3genE5ELNS1_11target_archE942ELNS1_3gpuE9ELNS1_3repE0EEENS1_30default_config_static_selectorELNS0_4arch9wavefront6targetE0EEEvT1_.uses_vcc, 0
	.set _ZN7rocprim17ROCPRIM_400000_NS6detail17trampoline_kernelINS0_14default_configENS1_27scan_by_key_config_selectorIj11FixedVectorIiLj2EEEEZZNS1_16scan_by_key_implILNS1_25lookback_scan_determinismE0ELb1ES3_N6thrust23THRUST_200600_302600_NS6detail15normal_iteratorINSB_10device_ptrIjEEEENSD_INSE_IS6_EEEESI_S6_NSB_4plusIvEENSB_8equal_toIvEES6_EE10hipError_tPvRmT2_T3_T4_T5_mT6_T7_P12ihipStream_tbENKUlT_T0_E_clISt17integral_constantIbLb1EES12_IbLb0EEEEDaSY_SZ_EUlSY_E_NS1_11comp_targetILNS1_3genE5ELNS1_11target_archE942ELNS1_3gpuE9ELNS1_3repE0EEENS1_30default_config_static_selectorELNS0_4arch9wavefront6targetE0EEEvT1_.uses_flat_scratch, 0
	.set _ZN7rocprim17ROCPRIM_400000_NS6detail17trampoline_kernelINS0_14default_configENS1_27scan_by_key_config_selectorIj11FixedVectorIiLj2EEEEZZNS1_16scan_by_key_implILNS1_25lookback_scan_determinismE0ELb1ES3_N6thrust23THRUST_200600_302600_NS6detail15normal_iteratorINSB_10device_ptrIjEEEENSD_INSE_IS6_EEEESI_S6_NSB_4plusIvEENSB_8equal_toIvEES6_EE10hipError_tPvRmT2_T3_T4_T5_mT6_T7_P12ihipStream_tbENKUlT_T0_E_clISt17integral_constantIbLb1EES12_IbLb0EEEEDaSY_SZ_EUlSY_E_NS1_11comp_targetILNS1_3genE5ELNS1_11target_archE942ELNS1_3gpuE9ELNS1_3repE0EEENS1_30default_config_static_selectorELNS0_4arch9wavefront6targetE0EEEvT1_.has_dyn_sized_stack, 0
	.set _ZN7rocprim17ROCPRIM_400000_NS6detail17trampoline_kernelINS0_14default_configENS1_27scan_by_key_config_selectorIj11FixedVectorIiLj2EEEEZZNS1_16scan_by_key_implILNS1_25lookback_scan_determinismE0ELb1ES3_N6thrust23THRUST_200600_302600_NS6detail15normal_iteratorINSB_10device_ptrIjEEEENSD_INSE_IS6_EEEESI_S6_NSB_4plusIvEENSB_8equal_toIvEES6_EE10hipError_tPvRmT2_T3_T4_T5_mT6_T7_P12ihipStream_tbENKUlT_T0_E_clISt17integral_constantIbLb1EES12_IbLb0EEEEDaSY_SZ_EUlSY_E_NS1_11comp_targetILNS1_3genE5ELNS1_11target_archE942ELNS1_3gpuE9ELNS1_3repE0EEENS1_30default_config_static_selectorELNS0_4arch9wavefront6targetE0EEEvT1_.has_recursion, 0
	.set _ZN7rocprim17ROCPRIM_400000_NS6detail17trampoline_kernelINS0_14default_configENS1_27scan_by_key_config_selectorIj11FixedVectorIiLj2EEEEZZNS1_16scan_by_key_implILNS1_25lookback_scan_determinismE0ELb1ES3_N6thrust23THRUST_200600_302600_NS6detail15normal_iteratorINSB_10device_ptrIjEEEENSD_INSE_IS6_EEEESI_S6_NSB_4plusIvEENSB_8equal_toIvEES6_EE10hipError_tPvRmT2_T3_T4_T5_mT6_T7_P12ihipStream_tbENKUlT_T0_E_clISt17integral_constantIbLb1EES12_IbLb0EEEEDaSY_SZ_EUlSY_E_NS1_11comp_targetILNS1_3genE5ELNS1_11target_archE942ELNS1_3gpuE9ELNS1_3repE0EEENS1_30default_config_static_selectorELNS0_4arch9wavefront6targetE0EEEvT1_.has_indirect_call, 0
	.section	.AMDGPU.csdata,"",@progbits
; Kernel info:
; codeLenInByte = 0
; TotalNumSgprs: 0
; NumVgprs: 0
; ScratchSize: 0
; MemoryBound: 0
; FloatMode: 240
; IeeeMode: 1
; LDSByteSize: 0 bytes/workgroup (compile time only)
; SGPRBlocks: 0
; VGPRBlocks: 0
; NumSGPRsForWavesPerEU: 1
; NumVGPRsForWavesPerEU: 1
; NamedBarCnt: 0
; Occupancy: 16
; WaveLimiterHint : 0
; COMPUTE_PGM_RSRC2:SCRATCH_EN: 0
; COMPUTE_PGM_RSRC2:USER_SGPR: 2
; COMPUTE_PGM_RSRC2:TRAP_HANDLER: 0
; COMPUTE_PGM_RSRC2:TGID_X_EN: 1
; COMPUTE_PGM_RSRC2:TGID_Y_EN: 0
; COMPUTE_PGM_RSRC2:TGID_Z_EN: 0
; COMPUTE_PGM_RSRC2:TIDIG_COMP_CNT: 0
	.section	.text._ZN7rocprim17ROCPRIM_400000_NS6detail17trampoline_kernelINS0_14default_configENS1_27scan_by_key_config_selectorIj11FixedVectorIiLj2EEEEZZNS1_16scan_by_key_implILNS1_25lookback_scan_determinismE0ELb1ES3_N6thrust23THRUST_200600_302600_NS6detail15normal_iteratorINSB_10device_ptrIjEEEENSD_INSE_IS6_EEEESI_S6_NSB_4plusIvEENSB_8equal_toIvEES6_EE10hipError_tPvRmT2_T3_T4_T5_mT6_T7_P12ihipStream_tbENKUlT_T0_E_clISt17integral_constantIbLb1EES12_IbLb0EEEEDaSY_SZ_EUlSY_E_NS1_11comp_targetILNS1_3genE4ELNS1_11target_archE910ELNS1_3gpuE8ELNS1_3repE0EEENS1_30default_config_static_selectorELNS0_4arch9wavefront6targetE0EEEvT1_,"axG",@progbits,_ZN7rocprim17ROCPRIM_400000_NS6detail17trampoline_kernelINS0_14default_configENS1_27scan_by_key_config_selectorIj11FixedVectorIiLj2EEEEZZNS1_16scan_by_key_implILNS1_25lookback_scan_determinismE0ELb1ES3_N6thrust23THRUST_200600_302600_NS6detail15normal_iteratorINSB_10device_ptrIjEEEENSD_INSE_IS6_EEEESI_S6_NSB_4plusIvEENSB_8equal_toIvEES6_EE10hipError_tPvRmT2_T3_T4_T5_mT6_T7_P12ihipStream_tbENKUlT_T0_E_clISt17integral_constantIbLb1EES12_IbLb0EEEEDaSY_SZ_EUlSY_E_NS1_11comp_targetILNS1_3genE4ELNS1_11target_archE910ELNS1_3gpuE8ELNS1_3repE0EEENS1_30default_config_static_selectorELNS0_4arch9wavefront6targetE0EEEvT1_,comdat
	.protected	_ZN7rocprim17ROCPRIM_400000_NS6detail17trampoline_kernelINS0_14default_configENS1_27scan_by_key_config_selectorIj11FixedVectorIiLj2EEEEZZNS1_16scan_by_key_implILNS1_25lookback_scan_determinismE0ELb1ES3_N6thrust23THRUST_200600_302600_NS6detail15normal_iteratorINSB_10device_ptrIjEEEENSD_INSE_IS6_EEEESI_S6_NSB_4plusIvEENSB_8equal_toIvEES6_EE10hipError_tPvRmT2_T3_T4_T5_mT6_T7_P12ihipStream_tbENKUlT_T0_E_clISt17integral_constantIbLb1EES12_IbLb0EEEEDaSY_SZ_EUlSY_E_NS1_11comp_targetILNS1_3genE4ELNS1_11target_archE910ELNS1_3gpuE8ELNS1_3repE0EEENS1_30default_config_static_selectorELNS0_4arch9wavefront6targetE0EEEvT1_ ; -- Begin function _ZN7rocprim17ROCPRIM_400000_NS6detail17trampoline_kernelINS0_14default_configENS1_27scan_by_key_config_selectorIj11FixedVectorIiLj2EEEEZZNS1_16scan_by_key_implILNS1_25lookback_scan_determinismE0ELb1ES3_N6thrust23THRUST_200600_302600_NS6detail15normal_iteratorINSB_10device_ptrIjEEEENSD_INSE_IS6_EEEESI_S6_NSB_4plusIvEENSB_8equal_toIvEES6_EE10hipError_tPvRmT2_T3_T4_T5_mT6_T7_P12ihipStream_tbENKUlT_T0_E_clISt17integral_constantIbLb1EES12_IbLb0EEEEDaSY_SZ_EUlSY_E_NS1_11comp_targetILNS1_3genE4ELNS1_11target_archE910ELNS1_3gpuE8ELNS1_3repE0EEENS1_30default_config_static_selectorELNS0_4arch9wavefront6targetE0EEEvT1_
	.globl	_ZN7rocprim17ROCPRIM_400000_NS6detail17trampoline_kernelINS0_14default_configENS1_27scan_by_key_config_selectorIj11FixedVectorIiLj2EEEEZZNS1_16scan_by_key_implILNS1_25lookback_scan_determinismE0ELb1ES3_N6thrust23THRUST_200600_302600_NS6detail15normal_iteratorINSB_10device_ptrIjEEEENSD_INSE_IS6_EEEESI_S6_NSB_4plusIvEENSB_8equal_toIvEES6_EE10hipError_tPvRmT2_T3_T4_T5_mT6_T7_P12ihipStream_tbENKUlT_T0_E_clISt17integral_constantIbLb1EES12_IbLb0EEEEDaSY_SZ_EUlSY_E_NS1_11comp_targetILNS1_3genE4ELNS1_11target_archE910ELNS1_3gpuE8ELNS1_3repE0EEENS1_30default_config_static_selectorELNS0_4arch9wavefront6targetE0EEEvT1_
	.p2align	8
	.type	_ZN7rocprim17ROCPRIM_400000_NS6detail17trampoline_kernelINS0_14default_configENS1_27scan_by_key_config_selectorIj11FixedVectorIiLj2EEEEZZNS1_16scan_by_key_implILNS1_25lookback_scan_determinismE0ELb1ES3_N6thrust23THRUST_200600_302600_NS6detail15normal_iteratorINSB_10device_ptrIjEEEENSD_INSE_IS6_EEEESI_S6_NSB_4plusIvEENSB_8equal_toIvEES6_EE10hipError_tPvRmT2_T3_T4_T5_mT6_T7_P12ihipStream_tbENKUlT_T0_E_clISt17integral_constantIbLb1EES12_IbLb0EEEEDaSY_SZ_EUlSY_E_NS1_11comp_targetILNS1_3genE4ELNS1_11target_archE910ELNS1_3gpuE8ELNS1_3repE0EEENS1_30default_config_static_selectorELNS0_4arch9wavefront6targetE0EEEvT1_,@function
_ZN7rocprim17ROCPRIM_400000_NS6detail17trampoline_kernelINS0_14default_configENS1_27scan_by_key_config_selectorIj11FixedVectorIiLj2EEEEZZNS1_16scan_by_key_implILNS1_25lookback_scan_determinismE0ELb1ES3_N6thrust23THRUST_200600_302600_NS6detail15normal_iteratorINSB_10device_ptrIjEEEENSD_INSE_IS6_EEEESI_S6_NSB_4plusIvEENSB_8equal_toIvEES6_EE10hipError_tPvRmT2_T3_T4_T5_mT6_T7_P12ihipStream_tbENKUlT_T0_E_clISt17integral_constantIbLb1EES12_IbLb0EEEEDaSY_SZ_EUlSY_E_NS1_11comp_targetILNS1_3genE4ELNS1_11target_archE910ELNS1_3gpuE8ELNS1_3repE0EEENS1_30default_config_static_selectorELNS0_4arch9wavefront6targetE0EEEvT1_: ; @_ZN7rocprim17ROCPRIM_400000_NS6detail17trampoline_kernelINS0_14default_configENS1_27scan_by_key_config_selectorIj11FixedVectorIiLj2EEEEZZNS1_16scan_by_key_implILNS1_25lookback_scan_determinismE0ELb1ES3_N6thrust23THRUST_200600_302600_NS6detail15normal_iteratorINSB_10device_ptrIjEEEENSD_INSE_IS6_EEEESI_S6_NSB_4plusIvEENSB_8equal_toIvEES6_EE10hipError_tPvRmT2_T3_T4_T5_mT6_T7_P12ihipStream_tbENKUlT_T0_E_clISt17integral_constantIbLb1EES12_IbLb0EEEEDaSY_SZ_EUlSY_E_NS1_11comp_targetILNS1_3genE4ELNS1_11target_archE910ELNS1_3gpuE8ELNS1_3repE0EEENS1_30default_config_static_selectorELNS0_4arch9wavefront6targetE0EEEvT1_
; %bb.0:
	.section	.rodata,"a",@progbits
	.p2align	6, 0x0
	.amdhsa_kernel _ZN7rocprim17ROCPRIM_400000_NS6detail17trampoline_kernelINS0_14default_configENS1_27scan_by_key_config_selectorIj11FixedVectorIiLj2EEEEZZNS1_16scan_by_key_implILNS1_25lookback_scan_determinismE0ELb1ES3_N6thrust23THRUST_200600_302600_NS6detail15normal_iteratorINSB_10device_ptrIjEEEENSD_INSE_IS6_EEEESI_S6_NSB_4plusIvEENSB_8equal_toIvEES6_EE10hipError_tPvRmT2_T3_T4_T5_mT6_T7_P12ihipStream_tbENKUlT_T0_E_clISt17integral_constantIbLb1EES12_IbLb0EEEEDaSY_SZ_EUlSY_E_NS1_11comp_targetILNS1_3genE4ELNS1_11target_archE910ELNS1_3gpuE8ELNS1_3repE0EEENS1_30default_config_static_selectorELNS0_4arch9wavefront6targetE0EEEvT1_
		.amdhsa_group_segment_fixed_size 0
		.amdhsa_private_segment_fixed_size 0
		.amdhsa_kernarg_size 120
		.amdhsa_user_sgpr_count 2
		.amdhsa_user_sgpr_dispatch_ptr 0
		.amdhsa_user_sgpr_queue_ptr 0
		.amdhsa_user_sgpr_kernarg_segment_ptr 1
		.amdhsa_user_sgpr_dispatch_id 0
		.amdhsa_user_sgpr_kernarg_preload_length 0
		.amdhsa_user_sgpr_kernarg_preload_offset 0
		.amdhsa_user_sgpr_private_segment_size 0
		.amdhsa_wavefront_size32 1
		.amdhsa_uses_dynamic_stack 0
		.amdhsa_enable_private_segment 0
		.amdhsa_system_sgpr_workgroup_id_x 1
		.amdhsa_system_sgpr_workgroup_id_y 0
		.amdhsa_system_sgpr_workgroup_id_z 0
		.amdhsa_system_sgpr_workgroup_info 0
		.amdhsa_system_vgpr_workitem_id 0
		.amdhsa_next_free_vgpr 1
		.amdhsa_next_free_sgpr 1
		.amdhsa_named_barrier_count 0
		.amdhsa_reserve_vcc 0
		.amdhsa_float_round_mode_32 0
		.amdhsa_float_round_mode_16_64 0
		.amdhsa_float_denorm_mode_32 3
		.amdhsa_float_denorm_mode_16_64 3
		.amdhsa_fp16_overflow 0
		.amdhsa_memory_ordered 1
		.amdhsa_forward_progress 1
		.amdhsa_inst_pref_size 0
		.amdhsa_round_robin_scheduling 0
		.amdhsa_exception_fp_ieee_invalid_op 0
		.amdhsa_exception_fp_denorm_src 0
		.amdhsa_exception_fp_ieee_div_zero 0
		.amdhsa_exception_fp_ieee_overflow 0
		.amdhsa_exception_fp_ieee_underflow 0
		.amdhsa_exception_fp_ieee_inexact 0
		.amdhsa_exception_int_div_zero 0
	.end_amdhsa_kernel
	.section	.text._ZN7rocprim17ROCPRIM_400000_NS6detail17trampoline_kernelINS0_14default_configENS1_27scan_by_key_config_selectorIj11FixedVectorIiLj2EEEEZZNS1_16scan_by_key_implILNS1_25lookback_scan_determinismE0ELb1ES3_N6thrust23THRUST_200600_302600_NS6detail15normal_iteratorINSB_10device_ptrIjEEEENSD_INSE_IS6_EEEESI_S6_NSB_4plusIvEENSB_8equal_toIvEES6_EE10hipError_tPvRmT2_T3_T4_T5_mT6_T7_P12ihipStream_tbENKUlT_T0_E_clISt17integral_constantIbLb1EES12_IbLb0EEEEDaSY_SZ_EUlSY_E_NS1_11comp_targetILNS1_3genE4ELNS1_11target_archE910ELNS1_3gpuE8ELNS1_3repE0EEENS1_30default_config_static_selectorELNS0_4arch9wavefront6targetE0EEEvT1_,"axG",@progbits,_ZN7rocprim17ROCPRIM_400000_NS6detail17trampoline_kernelINS0_14default_configENS1_27scan_by_key_config_selectorIj11FixedVectorIiLj2EEEEZZNS1_16scan_by_key_implILNS1_25lookback_scan_determinismE0ELb1ES3_N6thrust23THRUST_200600_302600_NS6detail15normal_iteratorINSB_10device_ptrIjEEEENSD_INSE_IS6_EEEESI_S6_NSB_4plusIvEENSB_8equal_toIvEES6_EE10hipError_tPvRmT2_T3_T4_T5_mT6_T7_P12ihipStream_tbENKUlT_T0_E_clISt17integral_constantIbLb1EES12_IbLb0EEEEDaSY_SZ_EUlSY_E_NS1_11comp_targetILNS1_3genE4ELNS1_11target_archE910ELNS1_3gpuE8ELNS1_3repE0EEENS1_30default_config_static_selectorELNS0_4arch9wavefront6targetE0EEEvT1_,comdat
.Lfunc_end2014:
	.size	_ZN7rocprim17ROCPRIM_400000_NS6detail17trampoline_kernelINS0_14default_configENS1_27scan_by_key_config_selectorIj11FixedVectorIiLj2EEEEZZNS1_16scan_by_key_implILNS1_25lookback_scan_determinismE0ELb1ES3_N6thrust23THRUST_200600_302600_NS6detail15normal_iteratorINSB_10device_ptrIjEEEENSD_INSE_IS6_EEEESI_S6_NSB_4plusIvEENSB_8equal_toIvEES6_EE10hipError_tPvRmT2_T3_T4_T5_mT6_T7_P12ihipStream_tbENKUlT_T0_E_clISt17integral_constantIbLb1EES12_IbLb0EEEEDaSY_SZ_EUlSY_E_NS1_11comp_targetILNS1_3genE4ELNS1_11target_archE910ELNS1_3gpuE8ELNS1_3repE0EEENS1_30default_config_static_selectorELNS0_4arch9wavefront6targetE0EEEvT1_, .Lfunc_end2014-_ZN7rocprim17ROCPRIM_400000_NS6detail17trampoline_kernelINS0_14default_configENS1_27scan_by_key_config_selectorIj11FixedVectorIiLj2EEEEZZNS1_16scan_by_key_implILNS1_25lookback_scan_determinismE0ELb1ES3_N6thrust23THRUST_200600_302600_NS6detail15normal_iteratorINSB_10device_ptrIjEEEENSD_INSE_IS6_EEEESI_S6_NSB_4plusIvEENSB_8equal_toIvEES6_EE10hipError_tPvRmT2_T3_T4_T5_mT6_T7_P12ihipStream_tbENKUlT_T0_E_clISt17integral_constantIbLb1EES12_IbLb0EEEEDaSY_SZ_EUlSY_E_NS1_11comp_targetILNS1_3genE4ELNS1_11target_archE910ELNS1_3gpuE8ELNS1_3repE0EEENS1_30default_config_static_selectorELNS0_4arch9wavefront6targetE0EEEvT1_
                                        ; -- End function
	.set _ZN7rocprim17ROCPRIM_400000_NS6detail17trampoline_kernelINS0_14default_configENS1_27scan_by_key_config_selectorIj11FixedVectorIiLj2EEEEZZNS1_16scan_by_key_implILNS1_25lookback_scan_determinismE0ELb1ES3_N6thrust23THRUST_200600_302600_NS6detail15normal_iteratorINSB_10device_ptrIjEEEENSD_INSE_IS6_EEEESI_S6_NSB_4plusIvEENSB_8equal_toIvEES6_EE10hipError_tPvRmT2_T3_T4_T5_mT6_T7_P12ihipStream_tbENKUlT_T0_E_clISt17integral_constantIbLb1EES12_IbLb0EEEEDaSY_SZ_EUlSY_E_NS1_11comp_targetILNS1_3genE4ELNS1_11target_archE910ELNS1_3gpuE8ELNS1_3repE0EEENS1_30default_config_static_selectorELNS0_4arch9wavefront6targetE0EEEvT1_.num_vgpr, 0
	.set _ZN7rocprim17ROCPRIM_400000_NS6detail17trampoline_kernelINS0_14default_configENS1_27scan_by_key_config_selectorIj11FixedVectorIiLj2EEEEZZNS1_16scan_by_key_implILNS1_25lookback_scan_determinismE0ELb1ES3_N6thrust23THRUST_200600_302600_NS6detail15normal_iteratorINSB_10device_ptrIjEEEENSD_INSE_IS6_EEEESI_S6_NSB_4plusIvEENSB_8equal_toIvEES6_EE10hipError_tPvRmT2_T3_T4_T5_mT6_T7_P12ihipStream_tbENKUlT_T0_E_clISt17integral_constantIbLb1EES12_IbLb0EEEEDaSY_SZ_EUlSY_E_NS1_11comp_targetILNS1_3genE4ELNS1_11target_archE910ELNS1_3gpuE8ELNS1_3repE0EEENS1_30default_config_static_selectorELNS0_4arch9wavefront6targetE0EEEvT1_.num_agpr, 0
	.set _ZN7rocprim17ROCPRIM_400000_NS6detail17trampoline_kernelINS0_14default_configENS1_27scan_by_key_config_selectorIj11FixedVectorIiLj2EEEEZZNS1_16scan_by_key_implILNS1_25lookback_scan_determinismE0ELb1ES3_N6thrust23THRUST_200600_302600_NS6detail15normal_iteratorINSB_10device_ptrIjEEEENSD_INSE_IS6_EEEESI_S6_NSB_4plusIvEENSB_8equal_toIvEES6_EE10hipError_tPvRmT2_T3_T4_T5_mT6_T7_P12ihipStream_tbENKUlT_T0_E_clISt17integral_constantIbLb1EES12_IbLb0EEEEDaSY_SZ_EUlSY_E_NS1_11comp_targetILNS1_3genE4ELNS1_11target_archE910ELNS1_3gpuE8ELNS1_3repE0EEENS1_30default_config_static_selectorELNS0_4arch9wavefront6targetE0EEEvT1_.numbered_sgpr, 0
	.set _ZN7rocprim17ROCPRIM_400000_NS6detail17trampoline_kernelINS0_14default_configENS1_27scan_by_key_config_selectorIj11FixedVectorIiLj2EEEEZZNS1_16scan_by_key_implILNS1_25lookback_scan_determinismE0ELb1ES3_N6thrust23THRUST_200600_302600_NS6detail15normal_iteratorINSB_10device_ptrIjEEEENSD_INSE_IS6_EEEESI_S6_NSB_4plusIvEENSB_8equal_toIvEES6_EE10hipError_tPvRmT2_T3_T4_T5_mT6_T7_P12ihipStream_tbENKUlT_T0_E_clISt17integral_constantIbLb1EES12_IbLb0EEEEDaSY_SZ_EUlSY_E_NS1_11comp_targetILNS1_3genE4ELNS1_11target_archE910ELNS1_3gpuE8ELNS1_3repE0EEENS1_30default_config_static_selectorELNS0_4arch9wavefront6targetE0EEEvT1_.num_named_barrier, 0
	.set _ZN7rocprim17ROCPRIM_400000_NS6detail17trampoline_kernelINS0_14default_configENS1_27scan_by_key_config_selectorIj11FixedVectorIiLj2EEEEZZNS1_16scan_by_key_implILNS1_25lookback_scan_determinismE0ELb1ES3_N6thrust23THRUST_200600_302600_NS6detail15normal_iteratorINSB_10device_ptrIjEEEENSD_INSE_IS6_EEEESI_S6_NSB_4plusIvEENSB_8equal_toIvEES6_EE10hipError_tPvRmT2_T3_T4_T5_mT6_T7_P12ihipStream_tbENKUlT_T0_E_clISt17integral_constantIbLb1EES12_IbLb0EEEEDaSY_SZ_EUlSY_E_NS1_11comp_targetILNS1_3genE4ELNS1_11target_archE910ELNS1_3gpuE8ELNS1_3repE0EEENS1_30default_config_static_selectorELNS0_4arch9wavefront6targetE0EEEvT1_.private_seg_size, 0
	.set _ZN7rocprim17ROCPRIM_400000_NS6detail17trampoline_kernelINS0_14default_configENS1_27scan_by_key_config_selectorIj11FixedVectorIiLj2EEEEZZNS1_16scan_by_key_implILNS1_25lookback_scan_determinismE0ELb1ES3_N6thrust23THRUST_200600_302600_NS6detail15normal_iteratorINSB_10device_ptrIjEEEENSD_INSE_IS6_EEEESI_S6_NSB_4plusIvEENSB_8equal_toIvEES6_EE10hipError_tPvRmT2_T3_T4_T5_mT6_T7_P12ihipStream_tbENKUlT_T0_E_clISt17integral_constantIbLb1EES12_IbLb0EEEEDaSY_SZ_EUlSY_E_NS1_11comp_targetILNS1_3genE4ELNS1_11target_archE910ELNS1_3gpuE8ELNS1_3repE0EEENS1_30default_config_static_selectorELNS0_4arch9wavefront6targetE0EEEvT1_.uses_vcc, 0
	.set _ZN7rocprim17ROCPRIM_400000_NS6detail17trampoline_kernelINS0_14default_configENS1_27scan_by_key_config_selectorIj11FixedVectorIiLj2EEEEZZNS1_16scan_by_key_implILNS1_25lookback_scan_determinismE0ELb1ES3_N6thrust23THRUST_200600_302600_NS6detail15normal_iteratorINSB_10device_ptrIjEEEENSD_INSE_IS6_EEEESI_S6_NSB_4plusIvEENSB_8equal_toIvEES6_EE10hipError_tPvRmT2_T3_T4_T5_mT6_T7_P12ihipStream_tbENKUlT_T0_E_clISt17integral_constantIbLb1EES12_IbLb0EEEEDaSY_SZ_EUlSY_E_NS1_11comp_targetILNS1_3genE4ELNS1_11target_archE910ELNS1_3gpuE8ELNS1_3repE0EEENS1_30default_config_static_selectorELNS0_4arch9wavefront6targetE0EEEvT1_.uses_flat_scratch, 0
	.set _ZN7rocprim17ROCPRIM_400000_NS6detail17trampoline_kernelINS0_14default_configENS1_27scan_by_key_config_selectorIj11FixedVectorIiLj2EEEEZZNS1_16scan_by_key_implILNS1_25lookback_scan_determinismE0ELb1ES3_N6thrust23THRUST_200600_302600_NS6detail15normal_iteratorINSB_10device_ptrIjEEEENSD_INSE_IS6_EEEESI_S6_NSB_4plusIvEENSB_8equal_toIvEES6_EE10hipError_tPvRmT2_T3_T4_T5_mT6_T7_P12ihipStream_tbENKUlT_T0_E_clISt17integral_constantIbLb1EES12_IbLb0EEEEDaSY_SZ_EUlSY_E_NS1_11comp_targetILNS1_3genE4ELNS1_11target_archE910ELNS1_3gpuE8ELNS1_3repE0EEENS1_30default_config_static_selectorELNS0_4arch9wavefront6targetE0EEEvT1_.has_dyn_sized_stack, 0
	.set _ZN7rocprim17ROCPRIM_400000_NS6detail17trampoline_kernelINS0_14default_configENS1_27scan_by_key_config_selectorIj11FixedVectorIiLj2EEEEZZNS1_16scan_by_key_implILNS1_25lookback_scan_determinismE0ELb1ES3_N6thrust23THRUST_200600_302600_NS6detail15normal_iteratorINSB_10device_ptrIjEEEENSD_INSE_IS6_EEEESI_S6_NSB_4plusIvEENSB_8equal_toIvEES6_EE10hipError_tPvRmT2_T3_T4_T5_mT6_T7_P12ihipStream_tbENKUlT_T0_E_clISt17integral_constantIbLb1EES12_IbLb0EEEEDaSY_SZ_EUlSY_E_NS1_11comp_targetILNS1_3genE4ELNS1_11target_archE910ELNS1_3gpuE8ELNS1_3repE0EEENS1_30default_config_static_selectorELNS0_4arch9wavefront6targetE0EEEvT1_.has_recursion, 0
	.set _ZN7rocprim17ROCPRIM_400000_NS6detail17trampoline_kernelINS0_14default_configENS1_27scan_by_key_config_selectorIj11FixedVectorIiLj2EEEEZZNS1_16scan_by_key_implILNS1_25lookback_scan_determinismE0ELb1ES3_N6thrust23THRUST_200600_302600_NS6detail15normal_iteratorINSB_10device_ptrIjEEEENSD_INSE_IS6_EEEESI_S6_NSB_4plusIvEENSB_8equal_toIvEES6_EE10hipError_tPvRmT2_T3_T4_T5_mT6_T7_P12ihipStream_tbENKUlT_T0_E_clISt17integral_constantIbLb1EES12_IbLb0EEEEDaSY_SZ_EUlSY_E_NS1_11comp_targetILNS1_3genE4ELNS1_11target_archE910ELNS1_3gpuE8ELNS1_3repE0EEENS1_30default_config_static_selectorELNS0_4arch9wavefront6targetE0EEEvT1_.has_indirect_call, 0
	.section	.AMDGPU.csdata,"",@progbits
; Kernel info:
; codeLenInByte = 0
; TotalNumSgprs: 0
; NumVgprs: 0
; ScratchSize: 0
; MemoryBound: 0
; FloatMode: 240
; IeeeMode: 1
; LDSByteSize: 0 bytes/workgroup (compile time only)
; SGPRBlocks: 0
; VGPRBlocks: 0
; NumSGPRsForWavesPerEU: 1
; NumVGPRsForWavesPerEU: 1
; NamedBarCnt: 0
; Occupancy: 16
; WaveLimiterHint : 0
; COMPUTE_PGM_RSRC2:SCRATCH_EN: 0
; COMPUTE_PGM_RSRC2:USER_SGPR: 2
; COMPUTE_PGM_RSRC2:TRAP_HANDLER: 0
; COMPUTE_PGM_RSRC2:TGID_X_EN: 1
; COMPUTE_PGM_RSRC2:TGID_Y_EN: 0
; COMPUTE_PGM_RSRC2:TGID_Z_EN: 0
; COMPUTE_PGM_RSRC2:TIDIG_COMP_CNT: 0
	.section	.text._ZN7rocprim17ROCPRIM_400000_NS6detail17trampoline_kernelINS0_14default_configENS1_27scan_by_key_config_selectorIj11FixedVectorIiLj2EEEEZZNS1_16scan_by_key_implILNS1_25lookback_scan_determinismE0ELb1ES3_N6thrust23THRUST_200600_302600_NS6detail15normal_iteratorINSB_10device_ptrIjEEEENSD_INSE_IS6_EEEESI_S6_NSB_4plusIvEENSB_8equal_toIvEES6_EE10hipError_tPvRmT2_T3_T4_T5_mT6_T7_P12ihipStream_tbENKUlT_T0_E_clISt17integral_constantIbLb1EES12_IbLb0EEEEDaSY_SZ_EUlSY_E_NS1_11comp_targetILNS1_3genE3ELNS1_11target_archE908ELNS1_3gpuE7ELNS1_3repE0EEENS1_30default_config_static_selectorELNS0_4arch9wavefront6targetE0EEEvT1_,"axG",@progbits,_ZN7rocprim17ROCPRIM_400000_NS6detail17trampoline_kernelINS0_14default_configENS1_27scan_by_key_config_selectorIj11FixedVectorIiLj2EEEEZZNS1_16scan_by_key_implILNS1_25lookback_scan_determinismE0ELb1ES3_N6thrust23THRUST_200600_302600_NS6detail15normal_iteratorINSB_10device_ptrIjEEEENSD_INSE_IS6_EEEESI_S6_NSB_4plusIvEENSB_8equal_toIvEES6_EE10hipError_tPvRmT2_T3_T4_T5_mT6_T7_P12ihipStream_tbENKUlT_T0_E_clISt17integral_constantIbLb1EES12_IbLb0EEEEDaSY_SZ_EUlSY_E_NS1_11comp_targetILNS1_3genE3ELNS1_11target_archE908ELNS1_3gpuE7ELNS1_3repE0EEENS1_30default_config_static_selectorELNS0_4arch9wavefront6targetE0EEEvT1_,comdat
	.protected	_ZN7rocprim17ROCPRIM_400000_NS6detail17trampoline_kernelINS0_14default_configENS1_27scan_by_key_config_selectorIj11FixedVectorIiLj2EEEEZZNS1_16scan_by_key_implILNS1_25lookback_scan_determinismE0ELb1ES3_N6thrust23THRUST_200600_302600_NS6detail15normal_iteratorINSB_10device_ptrIjEEEENSD_INSE_IS6_EEEESI_S6_NSB_4plusIvEENSB_8equal_toIvEES6_EE10hipError_tPvRmT2_T3_T4_T5_mT6_T7_P12ihipStream_tbENKUlT_T0_E_clISt17integral_constantIbLb1EES12_IbLb0EEEEDaSY_SZ_EUlSY_E_NS1_11comp_targetILNS1_3genE3ELNS1_11target_archE908ELNS1_3gpuE7ELNS1_3repE0EEENS1_30default_config_static_selectorELNS0_4arch9wavefront6targetE0EEEvT1_ ; -- Begin function _ZN7rocprim17ROCPRIM_400000_NS6detail17trampoline_kernelINS0_14default_configENS1_27scan_by_key_config_selectorIj11FixedVectorIiLj2EEEEZZNS1_16scan_by_key_implILNS1_25lookback_scan_determinismE0ELb1ES3_N6thrust23THRUST_200600_302600_NS6detail15normal_iteratorINSB_10device_ptrIjEEEENSD_INSE_IS6_EEEESI_S6_NSB_4plusIvEENSB_8equal_toIvEES6_EE10hipError_tPvRmT2_T3_T4_T5_mT6_T7_P12ihipStream_tbENKUlT_T0_E_clISt17integral_constantIbLb1EES12_IbLb0EEEEDaSY_SZ_EUlSY_E_NS1_11comp_targetILNS1_3genE3ELNS1_11target_archE908ELNS1_3gpuE7ELNS1_3repE0EEENS1_30default_config_static_selectorELNS0_4arch9wavefront6targetE0EEEvT1_
	.globl	_ZN7rocprim17ROCPRIM_400000_NS6detail17trampoline_kernelINS0_14default_configENS1_27scan_by_key_config_selectorIj11FixedVectorIiLj2EEEEZZNS1_16scan_by_key_implILNS1_25lookback_scan_determinismE0ELb1ES3_N6thrust23THRUST_200600_302600_NS6detail15normal_iteratorINSB_10device_ptrIjEEEENSD_INSE_IS6_EEEESI_S6_NSB_4plusIvEENSB_8equal_toIvEES6_EE10hipError_tPvRmT2_T3_T4_T5_mT6_T7_P12ihipStream_tbENKUlT_T0_E_clISt17integral_constantIbLb1EES12_IbLb0EEEEDaSY_SZ_EUlSY_E_NS1_11comp_targetILNS1_3genE3ELNS1_11target_archE908ELNS1_3gpuE7ELNS1_3repE0EEENS1_30default_config_static_selectorELNS0_4arch9wavefront6targetE0EEEvT1_
	.p2align	8
	.type	_ZN7rocprim17ROCPRIM_400000_NS6detail17trampoline_kernelINS0_14default_configENS1_27scan_by_key_config_selectorIj11FixedVectorIiLj2EEEEZZNS1_16scan_by_key_implILNS1_25lookback_scan_determinismE0ELb1ES3_N6thrust23THRUST_200600_302600_NS6detail15normal_iteratorINSB_10device_ptrIjEEEENSD_INSE_IS6_EEEESI_S6_NSB_4plusIvEENSB_8equal_toIvEES6_EE10hipError_tPvRmT2_T3_T4_T5_mT6_T7_P12ihipStream_tbENKUlT_T0_E_clISt17integral_constantIbLb1EES12_IbLb0EEEEDaSY_SZ_EUlSY_E_NS1_11comp_targetILNS1_3genE3ELNS1_11target_archE908ELNS1_3gpuE7ELNS1_3repE0EEENS1_30default_config_static_selectorELNS0_4arch9wavefront6targetE0EEEvT1_,@function
_ZN7rocprim17ROCPRIM_400000_NS6detail17trampoline_kernelINS0_14default_configENS1_27scan_by_key_config_selectorIj11FixedVectorIiLj2EEEEZZNS1_16scan_by_key_implILNS1_25lookback_scan_determinismE0ELb1ES3_N6thrust23THRUST_200600_302600_NS6detail15normal_iteratorINSB_10device_ptrIjEEEENSD_INSE_IS6_EEEESI_S6_NSB_4plusIvEENSB_8equal_toIvEES6_EE10hipError_tPvRmT2_T3_T4_T5_mT6_T7_P12ihipStream_tbENKUlT_T0_E_clISt17integral_constantIbLb1EES12_IbLb0EEEEDaSY_SZ_EUlSY_E_NS1_11comp_targetILNS1_3genE3ELNS1_11target_archE908ELNS1_3gpuE7ELNS1_3repE0EEENS1_30default_config_static_selectorELNS0_4arch9wavefront6targetE0EEEvT1_: ; @_ZN7rocprim17ROCPRIM_400000_NS6detail17trampoline_kernelINS0_14default_configENS1_27scan_by_key_config_selectorIj11FixedVectorIiLj2EEEEZZNS1_16scan_by_key_implILNS1_25lookback_scan_determinismE0ELb1ES3_N6thrust23THRUST_200600_302600_NS6detail15normal_iteratorINSB_10device_ptrIjEEEENSD_INSE_IS6_EEEESI_S6_NSB_4plusIvEENSB_8equal_toIvEES6_EE10hipError_tPvRmT2_T3_T4_T5_mT6_T7_P12ihipStream_tbENKUlT_T0_E_clISt17integral_constantIbLb1EES12_IbLb0EEEEDaSY_SZ_EUlSY_E_NS1_11comp_targetILNS1_3genE3ELNS1_11target_archE908ELNS1_3gpuE7ELNS1_3repE0EEENS1_30default_config_static_selectorELNS0_4arch9wavefront6targetE0EEEvT1_
; %bb.0:
	.section	.rodata,"a",@progbits
	.p2align	6, 0x0
	.amdhsa_kernel _ZN7rocprim17ROCPRIM_400000_NS6detail17trampoline_kernelINS0_14default_configENS1_27scan_by_key_config_selectorIj11FixedVectorIiLj2EEEEZZNS1_16scan_by_key_implILNS1_25lookback_scan_determinismE0ELb1ES3_N6thrust23THRUST_200600_302600_NS6detail15normal_iteratorINSB_10device_ptrIjEEEENSD_INSE_IS6_EEEESI_S6_NSB_4plusIvEENSB_8equal_toIvEES6_EE10hipError_tPvRmT2_T3_T4_T5_mT6_T7_P12ihipStream_tbENKUlT_T0_E_clISt17integral_constantIbLb1EES12_IbLb0EEEEDaSY_SZ_EUlSY_E_NS1_11comp_targetILNS1_3genE3ELNS1_11target_archE908ELNS1_3gpuE7ELNS1_3repE0EEENS1_30default_config_static_selectorELNS0_4arch9wavefront6targetE0EEEvT1_
		.amdhsa_group_segment_fixed_size 0
		.amdhsa_private_segment_fixed_size 0
		.amdhsa_kernarg_size 120
		.amdhsa_user_sgpr_count 2
		.amdhsa_user_sgpr_dispatch_ptr 0
		.amdhsa_user_sgpr_queue_ptr 0
		.amdhsa_user_sgpr_kernarg_segment_ptr 1
		.amdhsa_user_sgpr_dispatch_id 0
		.amdhsa_user_sgpr_kernarg_preload_length 0
		.amdhsa_user_sgpr_kernarg_preload_offset 0
		.amdhsa_user_sgpr_private_segment_size 0
		.amdhsa_wavefront_size32 1
		.amdhsa_uses_dynamic_stack 0
		.amdhsa_enable_private_segment 0
		.amdhsa_system_sgpr_workgroup_id_x 1
		.amdhsa_system_sgpr_workgroup_id_y 0
		.amdhsa_system_sgpr_workgroup_id_z 0
		.amdhsa_system_sgpr_workgroup_info 0
		.amdhsa_system_vgpr_workitem_id 0
		.amdhsa_next_free_vgpr 1
		.amdhsa_next_free_sgpr 1
		.amdhsa_named_barrier_count 0
		.amdhsa_reserve_vcc 0
		.amdhsa_float_round_mode_32 0
		.amdhsa_float_round_mode_16_64 0
		.amdhsa_float_denorm_mode_32 3
		.amdhsa_float_denorm_mode_16_64 3
		.amdhsa_fp16_overflow 0
		.amdhsa_memory_ordered 1
		.amdhsa_forward_progress 1
		.amdhsa_inst_pref_size 0
		.amdhsa_round_robin_scheduling 0
		.amdhsa_exception_fp_ieee_invalid_op 0
		.amdhsa_exception_fp_denorm_src 0
		.amdhsa_exception_fp_ieee_div_zero 0
		.amdhsa_exception_fp_ieee_overflow 0
		.amdhsa_exception_fp_ieee_underflow 0
		.amdhsa_exception_fp_ieee_inexact 0
		.amdhsa_exception_int_div_zero 0
	.end_amdhsa_kernel
	.section	.text._ZN7rocprim17ROCPRIM_400000_NS6detail17trampoline_kernelINS0_14default_configENS1_27scan_by_key_config_selectorIj11FixedVectorIiLj2EEEEZZNS1_16scan_by_key_implILNS1_25lookback_scan_determinismE0ELb1ES3_N6thrust23THRUST_200600_302600_NS6detail15normal_iteratorINSB_10device_ptrIjEEEENSD_INSE_IS6_EEEESI_S6_NSB_4plusIvEENSB_8equal_toIvEES6_EE10hipError_tPvRmT2_T3_T4_T5_mT6_T7_P12ihipStream_tbENKUlT_T0_E_clISt17integral_constantIbLb1EES12_IbLb0EEEEDaSY_SZ_EUlSY_E_NS1_11comp_targetILNS1_3genE3ELNS1_11target_archE908ELNS1_3gpuE7ELNS1_3repE0EEENS1_30default_config_static_selectorELNS0_4arch9wavefront6targetE0EEEvT1_,"axG",@progbits,_ZN7rocprim17ROCPRIM_400000_NS6detail17trampoline_kernelINS0_14default_configENS1_27scan_by_key_config_selectorIj11FixedVectorIiLj2EEEEZZNS1_16scan_by_key_implILNS1_25lookback_scan_determinismE0ELb1ES3_N6thrust23THRUST_200600_302600_NS6detail15normal_iteratorINSB_10device_ptrIjEEEENSD_INSE_IS6_EEEESI_S6_NSB_4plusIvEENSB_8equal_toIvEES6_EE10hipError_tPvRmT2_T3_T4_T5_mT6_T7_P12ihipStream_tbENKUlT_T0_E_clISt17integral_constantIbLb1EES12_IbLb0EEEEDaSY_SZ_EUlSY_E_NS1_11comp_targetILNS1_3genE3ELNS1_11target_archE908ELNS1_3gpuE7ELNS1_3repE0EEENS1_30default_config_static_selectorELNS0_4arch9wavefront6targetE0EEEvT1_,comdat
.Lfunc_end2015:
	.size	_ZN7rocprim17ROCPRIM_400000_NS6detail17trampoline_kernelINS0_14default_configENS1_27scan_by_key_config_selectorIj11FixedVectorIiLj2EEEEZZNS1_16scan_by_key_implILNS1_25lookback_scan_determinismE0ELb1ES3_N6thrust23THRUST_200600_302600_NS6detail15normal_iteratorINSB_10device_ptrIjEEEENSD_INSE_IS6_EEEESI_S6_NSB_4plusIvEENSB_8equal_toIvEES6_EE10hipError_tPvRmT2_T3_T4_T5_mT6_T7_P12ihipStream_tbENKUlT_T0_E_clISt17integral_constantIbLb1EES12_IbLb0EEEEDaSY_SZ_EUlSY_E_NS1_11comp_targetILNS1_3genE3ELNS1_11target_archE908ELNS1_3gpuE7ELNS1_3repE0EEENS1_30default_config_static_selectorELNS0_4arch9wavefront6targetE0EEEvT1_, .Lfunc_end2015-_ZN7rocprim17ROCPRIM_400000_NS6detail17trampoline_kernelINS0_14default_configENS1_27scan_by_key_config_selectorIj11FixedVectorIiLj2EEEEZZNS1_16scan_by_key_implILNS1_25lookback_scan_determinismE0ELb1ES3_N6thrust23THRUST_200600_302600_NS6detail15normal_iteratorINSB_10device_ptrIjEEEENSD_INSE_IS6_EEEESI_S6_NSB_4plusIvEENSB_8equal_toIvEES6_EE10hipError_tPvRmT2_T3_T4_T5_mT6_T7_P12ihipStream_tbENKUlT_T0_E_clISt17integral_constantIbLb1EES12_IbLb0EEEEDaSY_SZ_EUlSY_E_NS1_11comp_targetILNS1_3genE3ELNS1_11target_archE908ELNS1_3gpuE7ELNS1_3repE0EEENS1_30default_config_static_selectorELNS0_4arch9wavefront6targetE0EEEvT1_
                                        ; -- End function
	.set _ZN7rocprim17ROCPRIM_400000_NS6detail17trampoline_kernelINS0_14default_configENS1_27scan_by_key_config_selectorIj11FixedVectorIiLj2EEEEZZNS1_16scan_by_key_implILNS1_25lookback_scan_determinismE0ELb1ES3_N6thrust23THRUST_200600_302600_NS6detail15normal_iteratorINSB_10device_ptrIjEEEENSD_INSE_IS6_EEEESI_S6_NSB_4plusIvEENSB_8equal_toIvEES6_EE10hipError_tPvRmT2_T3_T4_T5_mT6_T7_P12ihipStream_tbENKUlT_T0_E_clISt17integral_constantIbLb1EES12_IbLb0EEEEDaSY_SZ_EUlSY_E_NS1_11comp_targetILNS1_3genE3ELNS1_11target_archE908ELNS1_3gpuE7ELNS1_3repE0EEENS1_30default_config_static_selectorELNS0_4arch9wavefront6targetE0EEEvT1_.num_vgpr, 0
	.set _ZN7rocprim17ROCPRIM_400000_NS6detail17trampoline_kernelINS0_14default_configENS1_27scan_by_key_config_selectorIj11FixedVectorIiLj2EEEEZZNS1_16scan_by_key_implILNS1_25lookback_scan_determinismE0ELb1ES3_N6thrust23THRUST_200600_302600_NS6detail15normal_iteratorINSB_10device_ptrIjEEEENSD_INSE_IS6_EEEESI_S6_NSB_4plusIvEENSB_8equal_toIvEES6_EE10hipError_tPvRmT2_T3_T4_T5_mT6_T7_P12ihipStream_tbENKUlT_T0_E_clISt17integral_constantIbLb1EES12_IbLb0EEEEDaSY_SZ_EUlSY_E_NS1_11comp_targetILNS1_3genE3ELNS1_11target_archE908ELNS1_3gpuE7ELNS1_3repE0EEENS1_30default_config_static_selectorELNS0_4arch9wavefront6targetE0EEEvT1_.num_agpr, 0
	.set _ZN7rocprim17ROCPRIM_400000_NS6detail17trampoline_kernelINS0_14default_configENS1_27scan_by_key_config_selectorIj11FixedVectorIiLj2EEEEZZNS1_16scan_by_key_implILNS1_25lookback_scan_determinismE0ELb1ES3_N6thrust23THRUST_200600_302600_NS6detail15normal_iteratorINSB_10device_ptrIjEEEENSD_INSE_IS6_EEEESI_S6_NSB_4plusIvEENSB_8equal_toIvEES6_EE10hipError_tPvRmT2_T3_T4_T5_mT6_T7_P12ihipStream_tbENKUlT_T0_E_clISt17integral_constantIbLb1EES12_IbLb0EEEEDaSY_SZ_EUlSY_E_NS1_11comp_targetILNS1_3genE3ELNS1_11target_archE908ELNS1_3gpuE7ELNS1_3repE0EEENS1_30default_config_static_selectorELNS0_4arch9wavefront6targetE0EEEvT1_.numbered_sgpr, 0
	.set _ZN7rocprim17ROCPRIM_400000_NS6detail17trampoline_kernelINS0_14default_configENS1_27scan_by_key_config_selectorIj11FixedVectorIiLj2EEEEZZNS1_16scan_by_key_implILNS1_25lookback_scan_determinismE0ELb1ES3_N6thrust23THRUST_200600_302600_NS6detail15normal_iteratorINSB_10device_ptrIjEEEENSD_INSE_IS6_EEEESI_S6_NSB_4plusIvEENSB_8equal_toIvEES6_EE10hipError_tPvRmT2_T3_T4_T5_mT6_T7_P12ihipStream_tbENKUlT_T0_E_clISt17integral_constantIbLb1EES12_IbLb0EEEEDaSY_SZ_EUlSY_E_NS1_11comp_targetILNS1_3genE3ELNS1_11target_archE908ELNS1_3gpuE7ELNS1_3repE0EEENS1_30default_config_static_selectorELNS0_4arch9wavefront6targetE0EEEvT1_.num_named_barrier, 0
	.set _ZN7rocprim17ROCPRIM_400000_NS6detail17trampoline_kernelINS0_14default_configENS1_27scan_by_key_config_selectorIj11FixedVectorIiLj2EEEEZZNS1_16scan_by_key_implILNS1_25lookback_scan_determinismE0ELb1ES3_N6thrust23THRUST_200600_302600_NS6detail15normal_iteratorINSB_10device_ptrIjEEEENSD_INSE_IS6_EEEESI_S6_NSB_4plusIvEENSB_8equal_toIvEES6_EE10hipError_tPvRmT2_T3_T4_T5_mT6_T7_P12ihipStream_tbENKUlT_T0_E_clISt17integral_constantIbLb1EES12_IbLb0EEEEDaSY_SZ_EUlSY_E_NS1_11comp_targetILNS1_3genE3ELNS1_11target_archE908ELNS1_3gpuE7ELNS1_3repE0EEENS1_30default_config_static_selectorELNS0_4arch9wavefront6targetE0EEEvT1_.private_seg_size, 0
	.set _ZN7rocprim17ROCPRIM_400000_NS6detail17trampoline_kernelINS0_14default_configENS1_27scan_by_key_config_selectorIj11FixedVectorIiLj2EEEEZZNS1_16scan_by_key_implILNS1_25lookback_scan_determinismE0ELb1ES3_N6thrust23THRUST_200600_302600_NS6detail15normal_iteratorINSB_10device_ptrIjEEEENSD_INSE_IS6_EEEESI_S6_NSB_4plusIvEENSB_8equal_toIvEES6_EE10hipError_tPvRmT2_T3_T4_T5_mT6_T7_P12ihipStream_tbENKUlT_T0_E_clISt17integral_constantIbLb1EES12_IbLb0EEEEDaSY_SZ_EUlSY_E_NS1_11comp_targetILNS1_3genE3ELNS1_11target_archE908ELNS1_3gpuE7ELNS1_3repE0EEENS1_30default_config_static_selectorELNS0_4arch9wavefront6targetE0EEEvT1_.uses_vcc, 0
	.set _ZN7rocprim17ROCPRIM_400000_NS6detail17trampoline_kernelINS0_14default_configENS1_27scan_by_key_config_selectorIj11FixedVectorIiLj2EEEEZZNS1_16scan_by_key_implILNS1_25lookback_scan_determinismE0ELb1ES3_N6thrust23THRUST_200600_302600_NS6detail15normal_iteratorINSB_10device_ptrIjEEEENSD_INSE_IS6_EEEESI_S6_NSB_4plusIvEENSB_8equal_toIvEES6_EE10hipError_tPvRmT2_T3_T4_T5_mT6_T7_P12ihipStream_tbENKUlT_T0_E_clISt17integral_constantIbLb1EES12_IbLb0EEEEDaSY_SZ_EUlSY_E_NS1_11comp_targetILNS1_3genE3ELNS1_11target_archE908ELNS1_3gpuE7ELNS1_3repE0EEENS1_30default_config_static_selectorELNS0_4arch9wavefront6targetE0EEEvT1_.uses_flat_scratch, 0
	.set _ZN7rocprim17ROCPRIM_400000_NS6detail17trampoline_kernelINS0_14default_configENS1_27scan_by_key_config_selectorIj11FixedVectorIiLj2EEEEZZNS1_16scan_by_key_implILNS1_25lookback_scan_determinismE0ELb1ES3_N6thrust23THRUST_200600_302600_NS6detail15normal_iteratorINSB_10device_ptrIjEEEENSD_INSE_IS6_EEEESI_S6_NSB_4plusIvEENSB_8equal_toIvEES6_EE10hipError_tPvRmT2_T3_T4_T5_mT6_T7_P12ihipStream_tbENKUlT_T0_E_clISt17integral_constantIbLb1EES12_IbLb0EEEEDaSY_SZ_EUlSY_E_NS1_11comp_targetILNS1_3genE3ELNS1_11target_archE908ELNS1_3gpuE7ELNS1_3repE0EEENS1_30default_config_static_selectorELNS0_4arch9wavefront6targetE0EEEvT1_.has_dyn_sized_stack, 0
	.set _ZN7rocprim17ROCPRIM_400000_NS6detail17trampoline_kernelINS0_14default_configENS1_27scan_by_key_config_selectorIj11FixedVectorIiLj2EEEEZZNS1_16scan_by_key_implILNS1_25lookback_scan_determinismE0ELb1ES3_N6thrust23THRUST_200600_302600_NS6detail15normal_iteratorINSB_10device_ptrIjEEEENSD_INSE_IS6_EEEESI_S6_NSB_4plusIvEENSB_8equal_toIvEES6_EE10hipError_tPvRmT2_T3_T4_T5_mT6_T7_P12ihipStream_tbENKUlT_T0_E_clISt17integral_constantIbLb1EES12_IbLb0EEEEDaSY_SZ_EUlSY_E_NS1_11comp_targetILNS1_3genE3ELNS1_11target_archE908ELNS1_3gpuE7ELNS1_3repE0EEENS1_30default_config_static_selectorELNS0_4arch9wavefront6targetE0EEEvT1_.has_recursion, 0
	.set _ZN7rocprim17ROCPRIM_400000_NS6detail17trampoline_kernelINS0_14default_configENS1_27scan_by_key_config_selectorIj11FixedVectorIiLj2EEEEZZNS1_16scan_by_key_implILNS1_25lookback_scan_determinismE0ELb1ES3_N6thrust23THRUST_200600_302600_NS6detail15normal_iteratorINSB_10device_ptrIjEEEENSD_INSE_IS6_EEEESI_S6_NSB_4plusIvEENSB_8equal_toIvEES6_EE10hipError_tPvRmT2_T3_T4_T5_mT6_T7_P12ihipStream_tbENKUlT_T0_E_clISt17integral_constantIbLb1EES12_IbLb0EEEEDaSY_SZ_EUlSY_E_NS1_11comp_targetILNS1_3genE3ELNS1_11target_archE908ELNS1_3gpuE7ELNS1_3repE0EEENS1_30default_config_static_selectorELNS0_4arch9wavefront6targetE0EEEvT1_.has_indirect_call, 0
	.section	.AMDGPU.csdata,"",@progbits
; Kernel info:
; codeLenInByte = 0
; TotalNumSgprs: 0
; NumVgprs: 0
; ScratchSize: 0
; MemoryBound: 0
; FloatMode: 240
; IeeeMode: 1
; LDSByteSize: 0 bytes/workgroup (compile time only)
; SGPRBlocks: 0
; VGPRBlocks: 0
; NumSGPRsForWavesPerEU: 1
; NumVGPRsForWavesPerEU: 1
; NamedBarCnt: 0
; Occupancy: 16
; WaveLimiterHint : 0
; COMPUTE_PGM_RSRC2:SCRATCH_EN: 0
; COMPUTE_PGM_RSRC2:USER_SGPR: 2
; COMPUTE_PGM_RSRC2:TRAP_HANDLER: 0
; COMPUTE_PGM_RSRC2:TGID_X_EN: 1
; COMPUTE_PGM_RSRC2:TGID_Y_EN: 0
; COMPUTE_PGM_RSRC2:TGID_Z_EN: 0
; COMPUTE_PGM_RSRC2:TIDIG_COMP_CNT: 0
	.section	.text._ZN7rocprim17ROCPRIM_400000_NS6detail17trampoline_kernelINS0_14default_configENS1_27scan_by_key_config_selectorIj11FixedVectorIiLj2EEEEZZNS1_16scan_by_key_implILNS1_25lookback_scan_determinismE0ELb1ES3_N6thrust23THRUST_200600_302600_NS6detail15normal_iteratorINSB_10device_ptrIjEEEENSD_INSE_IS6_EEEESI_S6_NSB_4plusIvEENSB_8equal_toIvEES6_EE10hipError_tPvRmT2_T3_T4_T5_mT6_T7_P12ihipStream_tbENKUlT_T0_E_clISt17integral_constantIbLb1EES12_IbLb0EEEEDaSY_SZ_EUlSY_E_NS1_11comp_targetILNS1_3genE2ELNS1_11target_archE906ELNS1_3gpuE6ELNS1_3repE0EEENS1_30default_config_static_selectorELNS0_4arch9wavefront6targetE0EEEvT1_,"axG",@progbits,_ZN7rocprim17ROCPRIM_400000_NS6detail17trampoline_kernelINS0_14default_configENS1_27scan_by_key_config_selectorIj11FixedVectorIiLj2EEEEZZNS1_16scan_by_key_implILNS1_25lookback_scan_determinismE0ELb1ES3_N6thrust23THRUST_200600_302600_NS6detail15normal_iteratorINSB_10device_ptrIjEEEENSD_INSE_IS6_EEEESI_S6_NSB_4plusIvEENSB_8equal_toIvEES6_EE10hipError_tPvRmT2_T3_T4_T5_mT6_T7_P12ihipStream_tbENKUlT_T0_E_clISt17integral_constantIbLb1EES12_IbLb0EEEEDaSY_SZ_EUlSY_E_NS1_11comp_targetILNS1_3genE2ELNS1_11target_archE906ELNS1_3gpuE6ELNS1_3repE0EEENS1_30default_config_static_selectorELNS0_4arch9wavefront6targetE0EEEvT1_,comdat
	.protected	_ZN7rocprim17ROCPRIM_400000_NS6detail17trampoline_kernelINS0_14default_configENS1_27scan_by_key_config_selectorIj11FixedVectorIiLj2EEEEZZNS1_16scan_by_key_implILNS1_25lookback_scan_determinismE0ELb1ES3_N6thrust23THRUST_200600_302600_NS6detail15normal_iteratorINSB_10device_ptrIjEEEENSD_INSE_IS6_EEEESI_S6_NSB_4plusIvEENSB_8equal_toIvEES6_EE10hipError_tPvRmT2_T3_T4_T5_mT6_T7_P12ihipStream_tbENKUlT_T0_E_clISt17integral_constantIbLb1EES12_IbLb0EEEEDaSY_SZ_EUlSY_E_NS1_11comp_targetILNS1_3genE2ELNS1_11target_archE906ELNS1_3gpuE6ELNS1_3repE0EEENS1_30default_config_static_selectorELNS0_4arch9wavefront6targetE0EEEvT1_ ; -- Begin function _ZN7rocprim17ROCPRIM_400000_NS6detail17trampoline_kernelINS0_14default_configENS1_27scan_by_key_config_selectorIj11FixedVectorIiLj2EEEEZZNS1_16scan_by_key_implILNS1_25lookback_scan_determinismE0ELb1ES3_N6thrust23THRUST_200600_302600_NS6detail15normal_iteratorINSB_10device_ptrIjEEEENSD_INSE_IS6_EEEESI_S6_NSB_4plusIvEENSB_8equal_toIvEES6_EE10hipError_tPvRmT2_T3_T4_T5_mT6_T7_P12ihipStream_tbENKUlT_T0_E_clISt17integral_constantIbLb1EES12_IbLb0EEEEDaSY_SZ_EUlSY_E_NS1_11comp_targetILNS1_3genE2ELNS1_11target_archE906ELNS1_3gpuE6ELNS1_3repE0EEENS1_30default_config_static_selectorELNS0_4arch9wavefront6targetE0EEEvT1_
	.globl	_ZN7rocprim17ROCPRIM_400000_NS6detail17trampoline_kernelINS0_14default_configENS1_27scan_by_key_config_selectorIj11FixedVectorIiLj2EEEEZZNS1_16scan_by_key_implILNS1_25lookback_scan_determinismE0ELb1ES3_N6thrust23THRUST_200600_302600_NS6detail15normal_iteratorINSB_10device_ptrIjEEEENSD_INSE_IS6_EEEESI_S6_NSB_4plusIvEENSB_8equal_toIvEES6_EE10hipError_tPvRmT2_T3_T4_T5_mT6_T7_P12ihipStream_tbENKUlT_T0_E_clISt17integral_constantIbLb1EES12_IbLb0EEEEDaSY_SZ_EUlSY_E_NS1_11comp_targetILNS1_3genE2ELNS1_11target_archE906ELNS1_3gpuE6ELNS1_3repE0EEENS1_30default_config_static_selectorELNS0_4arch9wavefront6targetE0EEEvT1_
	.p2align	8
	.type	_ZN7rocprim17ROCPRIM_400000_NS6detail17trampoline_kernelINS0_14default_configENS1_27scan_by_key_config_selectorIj11FixedVectorIiLj2EEEEZZNS1_16scan_by_key_implILNS1_25lookback_scan_determinismE0ELb1ES3_N6thrust23THRUST_200600_302600_NS6detail15normal_iteratorINSB_10device_ptrIjEEEENSD_INSE_IS6_EEEESI_S6_NSB_4plusIvEENSB_8equal_toIvEES6_EE10hipError_tPvRmT2_T3_T4_T5_mT6_T7_P12ihipStream_tbENKUlT_T0_E_clISt17integral_constantIbLb1EES12_IbLb0EEEEDaSY_SZ_EUlSY_E_NS1_11comp_targetILNS1_3genE2ELNS1_11target_archE906ELNS1_3gpuE6ELNS1_3repE0EEENS1_30default_config_static_selectorELNS0_4arch9wavefront6targetE0EEEvT1_,@function
_ZN7rocprim17ROCPRIM_400000_NS6detail17trampoline_kernelINS0_14default_configENS1_27scan_by_key_config_selectorIj11FixedVectorIiLj2EEEEZZNS1_16scan_by_key_implILNS1_25lookback_scan_determinismE0ELb1ES3_N6thrust23THRUST_200600_302600_NS6detail15normal_iteratorINSB_10device_ptrIjEEEENSD_INSE_IS6_EEEESI_S6_NSB_4plusIvEENSB_8equal_toIvEES6_EE10hipError_tPvRmT2_T3_T4_T5_mT6_T7_P12ihipStream_tbENKUlT_T0_E_clISt17integral_constantIbLb1EES12_IbLb0EEEEDaSY_SZ_EUlSY_E_NS1_11comp_targetILNS1_3genE2ELNS1_11target_archE906ELNS1_3gpuE6ELNS1_3repE0EEENS1_30default_config_static_selectorELNS0_4arch9wavefront6targetE0EEEvT1_: ; @_ZN7rocprim17ROCPRIM_400000_NS6detail17trampoline_kernelINS0_14default_configENS1_27scan_by_key_config_selectorIj11FixedVectorIiLj2EEEEZZNS1_16scan_by_key_implILNS1_25lookback_scan_determinismE0ELb1ES3_N6thrust23THRUST_200600_302600_NS6detail15normal_iteratorINSB_10device_ptrIjEEEENSD_INSE_IS6_EEEESI_S6_NSB_4plusIvEENSB_8equal_toIvEES6_EE10hipError_tPvRmT2_T3_T4_T5_mT6_T7_P12ihipStream_tbENKUlT_T0_E_clISt17integral_constantIbLb1EES12_IbLb0EEEEDaSY_SZ_EUlSY_E_NS1_11comp_targetILNS1_3genE2ELNS1_11target_archE906ELNS1_3gpuE6ELNS1_3repE0EEENS1_30default_config_static_selectorELNS0_4arch9wavefront6targetE0EEEvT1_
; %bb.0:
	.section	.rodata,"a",@progbits
	.p2align	6, 0x0
	.amdhsa_kernel _ZN7rocprim17ROCPRIM_400000_NS6detail17trampoline_kernelINS0_14default_configENS1_27scan_by_key_config_selectorIj11FixedVectorIiLj2EEEEZZNS1_16scan_by_key_implILNS1_25lookback_scan_determinismE0ELb1ES3_N6thrust23THRUST_200600_302600_NS6detail15normal_iteratorINSB_10device_ptrIjEEEENSD_INSE_IS6_EEEESI_S6_NSB_4plusIvEENSB_8equal_toIvEES6_EE10hipError_tPvRmT2_T3_T4_T5_mT6_T7_P12ihipStream_tbENKUlT_T0_E_clISt17integral_constantIbLb1EES12_IbLb0EEEEDaSY_SZ_EUlSY_E_NS1_11comp_targetILNS1_3genE2ELNS1_11target_archE906ELNS1_3gpuE6ELNS1_3repE0EEENS1_30default_config_static_selectorELNS0_4arch9wavefront6targetE0EEEvT1_
		.amdhsa_group_segment_fixed_size 0
		.amdhsa_private_segment_fixed_size 0
		.amdhsa_kernarg_size 120
		.amdhsa_user_sgpr_count 2
		.amdhsa_user_sgpr_dispatch_ptr 0
		.amdhsa_user_sgpr_queue_ptr 0
		.amdhsa_user_sgpr_kernarg_segment_ptr 1
		.amdhsa_user_sgpr_dispatch_id 0
		.amdhsa_user_sgpr_kernarg_preload_length 0
		.amdhsa_user_sgpr_kernarg_preload_offset 0
		.amdhsa_user_sgpr_private_segment_size 0
		.amdhsa_wavefront_size32 1
		.amdhsa_uses_dynamic_stack 0
		.amdhsa_enable_private_segment 0
		.amdhsa_system_sgpr_workgroup_id_x 1
		.amdhsa_system_sgpr_workgroup_id_y 0
		.amdhsa_system_sgpr_workgroup_id_z 0
		.amdhsa_system_sgpr_workgroup_info 0
		.amdhsa_system_vgpr_workitem_id 0
		.amdhsa_next_free_vgpr 1
		.amdhsa_next_free_sgpr 1
		.amdhsa_named_barrier_count 0
		.amdhsa_reserve_vcc 0
		.amdhsa_float_round_mode_32 0
		.amdhsa_float_round_mode_16_64 0
		.amdhsa_float_denorm_mode_32 3
		.amdhsa_float_denorm_mode_16_64 3
		.amdhsa_fp16_overflow 0
		.amdhsa_memory_ordered 1
		.amdhsa_forward_progress 1
		.amdhsa_inst_pref_size 0
		.amdhsa_round_robin_scheduling 0
		.amdhsa_exception_fp_ieee_invalid_op 0
		.amdhsa_exception_fp_denorm_src 0
		.amdhsa_exception_fp_ieee_div_zero 0
		.amdhsa_exception_fp_ieee_overflow 0
		.amdhsa_exception_fp_ieee_underflow 0
		.amdhsa_exception_fp_ieee_inexact 0
		.amdhsa_exception_int_div_zero 0
	.end_amdhsa_kernel
	.section	.text._ZN7rocprim17ROCPRIM_400000_NS6detail17trampoline_kernelINS0_14default_configENS1_27scan_by_key_config_selectorIj11FixedVectorIiLj2EEEEZZNS1_16scan_by_key_implILNS1_25lookback_scan_determinismE0ELb1ES3_N6thrust23THRUST_200600_302600_NS6detail15normal_iteratorINSB_10device_ptrIjEEEENSD_INSE_IS6_EEEESI_S6_NSB_4plusIvEENSB_8equal_toIvEES6_EE10hipError_tPvRmT2_T3_T4_T5_mT6_T7_P12ihipStream_tbENKUlT_T0_E_clISt17integral_constantIbLb1EES12_IbLb0EEEEDaSY_SZ_EUlSY_E_NS1_11comp_targetILNS1_3genE2ELNS1_11target_archE906ELNS1_3gpuE6ELNS1_3repE0EEENS1_30default_config_static_selectorELNS0_4arch9wavefront6targetE0EEEvT1_,"axG",@progbits,_ZN7rocprim17ROCPRIM_400000_NS6detail17trampoline_kernelINS0_14default_configENS1_27scan_by_key_config_selectorIj11FixedVectorIiLj2EEEEZZNS1_16scan_by_key_implILNS1_25lookback_scan_determinismE0ELb1ES3_N6thrust23THRUST_200600_302600_NS6detail15normal_iteratorINSB_10device_ptrIjEEEENSD_INSE_IS6_EEEESI_S6_NSB_4plusIvEENSB_8equal_toIvEES6_EE10hipError_tPvRmT2_T3_T4_T5_mT6_T7_P12ihipStream_tbENKUlT_T0_E_clISt17integral_constantIbLb1EES12_IbLb0EEEEDaSY_SZ_EUlSY_E_NS1_11comp_targetILNS1_3genE2ELNS1_11target_archE906ELNS1_3gpuE6ELNS1_3repE0EEENS1_30default_config_static_selectorELNS0_4arch9wavefront6targetE0EEEvT1_,comdat
.Lfunc_end2016:
	.size	_ZN7rocprim17ROCPRIM_400000_NS6detail17trampoline_kernelINS0_14default_configENS1_27scan_by_key_config_selectorIj11FixedVectorIiLj2EEEEZZNS1_16scan_by_key_implILNS1_25lookback_scan_determinismE0ELb1ES3_N6thrust23THRUST_200600_302600_NS6detail15normal_iteratorINSB_10device_ptrIjEEEENSD_INSE_IS6_EEEESI_S6_NSB_4plusIvEENSB_8equal_toIvEES6_EE10hipError_tPvRmT2_T3_T4_T5_mT6_T7_P12ihipStream_tbENKUlT_T0_E_clISt17integral_constantIbLb1EES12_IbLb0EEEEDaSY_SZ_EUlSY_E_NS1_11comp_targetILNS1_3genE2ELNS1_11target_archE906ELNS1_3gpuE6ELNS1_3repE0EEENS1_30default_config_static_selectorELNS0_4arch9wavefront6targetE0EEEvT1_, .Lfunc_end2016-_ZN7rocprim17ROCPRIM_400000_NS6detail17trampoline_kernelINS0_14default_configENS1_27scan_by_key_config_selectorIj11FixedVectorIiLj2EEEEZZNS1_16scan_by_key_implILNS1_25lookback_scan_determinismE0ELb1ES3_N6thrust23THRUST_200600_302600_NS6detail15normal_iteratorINSB_10device_ptrIjEEEENSD_INSE_IS6_EEEESI_S6_NSB_4plusIvEENSB_8equal_toIvEES6_EE10hipError_tPvRmT2_T3_T4_T5_mT6_T7_P12ihipStream_tbENKUlT_T0_E_clISt17integral_constantIbLb1EES12_IbLb0EEEEDaSY_SZ_EUlSY_E_NS1_11comp_targetILNS1_3genE2ELNS1_11target_archE906ELNS1_3gpuE6ELNS1_3repE0EEENS1_30default_config_static_selectorELNS0_4arch9wavefront6targetE0EEEvT1_
                                        ; -- End function
	.set _ZN7rocprim17ROCPRIM_400000_NS6detail17trampoline_kernelINS0_14default_configENS1_27scan_by_key_config_selectorIj11FixedVectorIiLj2EEEEZZNS1_16scan_by_key_implILNS1_25lookback_scan_determinismE0ELb1ES3_N6thrust23THRUST_200600_302600_NS6detail15normal_iteratorINSB_10device_ptrIjEEEENSD_INSE_IS6_EEEESI_S6_NSB_4plusIvEENSB_8equal_toIvEES6_EE10hipError_tPvRmT2_T3_T4_T5_mT6_T7_P12ihipStream_tbENKUlT_T0_E_clISt17integral_constantIbLb1EES12_IbLb0EEEEDaSY_SZ_EUlSY_E_NS1_11comp_targetILNS1_3genE2ELNS1_11target_archE906ELNS1_3gpuE6ELNS1_3repE0EEENS1_30default_config_static_selectorELNS0_4arch9wavefront6targetE0EEEvT1_.num_vgpr, 0
	.set _ZN7rocprim17ROCPRIM_400000_NS6detail17trampoline_kernelINS0_14default_configENS1_27scan_by_key_config_selectorIj11FixedVectorIiLj2EEEEZZNS1_16scan_by_key_implILNS1_25lookback_scan_determinismE0ELb1ES3_N6thrust23THRUST_200600_302600_NS6detail15normal_iteratorINSB_10device_ptrIjEEEENSD_INSE_IS6_EEEESI_S6_NSB_4plusIvEENSB_8equal_toIvEES6_EE10hipError_tPvRmT2_T3_T4_T5_mT6_T7_P12ihipStream_tbENKUlT_T0_E_clISt17integral_constantIbLb1EES12_IbLb0EEEEDaSY_SZ_EUlSY_E_NS1_11comp_targetILNS1_3genE2ELNS1_11target_archE906ELNS1_3gpuE6ELNS1_3repE0EEENS1_30default_config_static_selectorELNS0_4arch9wavefront6targetE0EEEvT1_.num_agpr, 0
	.set _ZN7rocprim17ROCPRIM_400000_NS6detail17trampoline_kernelINS0_14default_configENS1_27scan_by_key_config_selectorIj11FixedVectorIiLj2EEEEZZNS1_16scan_by_key_implILNS1_25lookback_scan_determinismE0ELb1ES3_N6thrust23THRUST_200600_302600_NS6detail15normal_iteratorINSB_10device_ptrIjEEEENSD_INSE_IS6_EEEESI_S6_NSB_4plusIvEENSB_8equal_toIvEES6_EE10hipError_tPvRmT2_T3_T4_T5_mT6_T7_P12ihipStream_tbENKUlT_T0_E_clISt17integral_constantIbLb1EES12_IbLb0EEEEDaSY_SZ_EUlSY_E_NS1_11comp_targetILNS1_3genE2ELNS1_11target_archE906ELNS1_3gpuE6ELNS1_3repE0EEENS1_30default_config_static_selectorELNS0_4arch9wavefront6targetE0EEEvT1_.numbered_sgpr, 0
	.set _ZN7rocprim17ROCPRIM_400000_NS6detail17trampoline_kernelINS0_14default_configENS1_27scan_by_key_config_selectorIj11FixedVectorIiLj2EEEEZZNS1_16scan_by_key_implILNS1_25lookback_scan_determinismE0ELb1ES3_N6thrust23THRUST_200600_302600_NS6detail15normal_iteratorINSB_10device_ptrIjEEEENSD_INSE_IS6_EEEESI_S6_NSB_4plusIvEENSB_8equal_toIvEES6_EE10hipError_tPvRmT2_T3_T4_T5_mT6_T7_P12ihipStream_tbENKUlT_T0_E_clISt17integral_constantIbLb1EES12_IbLb0EEEEDaSY_SZ_EUlSY_E_NS1_11comp_targetILNS1_3genE2ELNS1_11target_archE906ELNS1_3gpuE6ELNS1_3repE0EEENS1_30default_config_static_selectorELNS0_4arch9wavefront6targetE0EEEvT1_.num_named_barrier, 0
	.set _ZN7rocprim17ROCPRIM_400000_NS6detail17trampoline_kernelINS0_14default_configENS1_27scan_by_key_config_selectorIj11FixedVectorIiLj2EEEEZZNS1_16scan_by_key_implILNS1_25lookback_scan_determinismE0ELb1ES3_N6thrust23THRUST_200600_302600_NS6detail15normal_iteratorINSB_10device_ptrIjEEEENSD_INSE_IS6_EEEESI_S6_NSB_4plusIvEENSB_8equal_toIvEES6_EE10hipError_tPvRmT2_T3_T4_T5_mT6_T7_P12ihipStream_tbENKUlT_T0_E_clISt17integral_constantIbLb1EES12_IbLb0EEEEDaSY_SZ_EUlSY_E_NS1_11comp_targetILNS1_3genE2ELNS1_11target_archE906ELNS1_3gpuE6ELNS1_3repE0EEENS1_30default_config_static_selectorELNS0_4arch9wavefront6targetE0EEEvT1_.private_seg_size, 0
	.set _ZN7rocprim17ROCPRIM_400000_NS6detail17trampoline_kernelINS0_14default_configENS1_27scan_by_key_config_selectorIj11FixedVectorIiLj2EEEEZZNS1_16scan_by_key_implILNS1_25lookback_scan_determinismE0ELb1ES3_N6thrust23THRUST_200600_302600_NS6detail15normal_iteratorINSB_10device_ptrIjEEEENSD_INSE_IS6_EEEESI_S6_NSB_4plusIvEENSB_8equal_toIvEES6_EE10hipError_tPvRmT2_T3_T4_T5_mT6_T7_P12ihipStream_tbENKUlT_T0_E_clISt17integral_constantIbLb1EES12_IbLb0EEEEDaSY_SZ_EUlSY_E_NS1_11comp_targetILNS1_3genE2ELNS1_11target_archE906ELNS1_3gpuE6ELNS1_3repE0EEENS1_30default_config_static_selectorELNS0_4arch9wavefront6targetE0EEEvT1_.uses_vcc, 0
	.set _ZN7rocprim17ROCPRIM_400000_NS6detail17trampoline_kernelINS0_14default_configENS1_27scan_by_key_config_selectorIj11FixedVectorIiLj2EEEEZZNS1_16scan_by_key_implILNS1_25lookback_scan_determinismE0ELb1ES3_N6thrust23THRUST_200600_302600_NS6detail15normal_iteratorINSB_10device_ptrIjEEEENSD_INSE_IS6_EEEESI_S6_NSB_4plusIvEENSB_8equal_toIvEES6_EE10hipError_tPvRmT2_T3_T4_T5_mT6_T7_P12ihipStream_tbENKUlT_T0_E_clISt17integral_constantIbLb1EES12_IbLb0EEEEDaSY_SZ_EUlSY_E_NS1_11comp_targetILNS1_3genE2ELNS1_11target_archE906ELNS1_3gpuE6ELNS1_3repE0EEENS1_30default_config_static_selectorELNS0_4arch9wavefront6targetE0EEEvT1_.uses_flat_scratch, 0
	.set _ZN7rocprim17ROCPRIM_400000_NS6detail17trampoline_kernelINS0_14default_configENS1_27scan_by_key_config_selectorIj11FixedVectorIiLj2EEEEZZNS1_16scan_by_key_implILNS1_25lookback_scan_determinismE0ELb1ES3_N6thrust23THRUST_200600_302600_NS6detail15normal_iteratorINSB_10device_ptrIjEEEENSD_INSE_IS6_EEEESI_S6_NSB_4plusIvEENSB_8equal_toIvEES6_EE10hipError_tPvRmT2_T3_T4_T5_mT6_T7_P12ihipStream_tbENKUlT_T0_E_clISt17integral_constantIbLb1EES12_IbLb0EEEEDaSY_SZ_EUlSY_E_NS1_11comp_targetILNS1_3genE2ELNS1_11target_archE906ELNS1_3gpuE6ELNS1_3repE0EEENS1_30default_config_static_selectorELNS0_4arch9wavefront6targetE0EEEvT1_.has_dyn_sized_stack, 0
	.set _ZN7rocprim17ROCPRIM_400000_NS6detail17trampoline_kernelINS0_14default_configENS1_27scan_by_key_config_selectorIj11FixedVectorIiLj2EEEEZZNS1_16scan_by_key_implILNS1_25lookback_scan_determinismE0ELb1ES3_N6thrust23THRUST_200600_302600_NS6detail15normal_iteratorINSB_10device_ptrIjEEEENSD_INSE_IS6_EEEESI_S6_NSB_4plusIvEENSB_8equal_toIvEES6_EE10hipError_tPvRmT2_T3_T4_T5_mT6_T7_P12ihipStream_tbENKUlT_T0_E_clISt17integral_constantIbLb1EES12_IbLb0EEEEDaSY_SZ_EUlSY_E_NS1_11comp_targetILNS1_3genE2ELNS1_11target_archE906ELNS1_3gpuE6ELNS1_3repE0EEENS1_30default_config_static_selectorELNS0_4arch9wavefront6targetE0EEEvT1_.has_recursion, 0
	.set _ZN7rocprim17ROCPRIM_400000_NS6detail17trampoline_kernelINS0_14default_configENS1_27scan_by_key_config_selectorIj11FixedVectorIiLj2EEEEZZNS1_16scan_by_key_implILNS1_25lookback_scan_determinismE0ELb1ES3_N6thrust23THRUST_200600_302600_NS6detail15normal_iteratorINSB_10device_ptrIjEEEENSD_INSE_IS6_EEEESI_S6_NSB_4plusIvEENSB_8equal_toIvEES6_EE10hipError_tPvRmT2_T3_T4_T5_mT6_T7_P12ihipStream_tbENKUlT_T0_E_clISt17integral_constantIbLb1EES12_IbLb0EEEEDaSY_SZ_EUlSY_E_NS1_11comp_targetILNS1_3genE2ELNS1_11target_archE906ELNS1_3gpuE6ELNS1_3repE0EEENS1_30default_config_static_selectorELNS0_4arch9wavefront6targetE0EEEvT1_.has_indirect_call, 0
	.section	.AMDGPU.csdata,"",@progbits
; Kernel info:
; codeLenInByte = 0
; TotalNumSgprs: 0
; NumVgprs: 0
; ScratchSize: 0
; MemoryBound: 0
; FloatMode: 240
; IeeeMode: 1
; LDSByteSize: 0 bytes/workgroup (compile time only)
; SGPRBlocks: 0
; VGPRBlocks: 0
; NumSGPRsForWavesPerEU: 1
; NumVGPRsForWavesPerEU: 1
; NamedBarCnt: 0
; Occupancy: 16
; WaveLimiterHint : 0
; COMPUTE_PGM_RSRC2:SCRATCH_EN: 0
; COMPUTE_PGM_RSRC2:USER_SGPR: 2
; COMPUTE_PGM_RSRC2:TRAP_HANDLER: 0
; COMPUTE_PGM_RSRC2:TGID_X_EN: 1
; COMPUTE_PGM_RSRC2:TGID_Y_EN: 0
; COMPUTE_PGM_RSRC2:TGID_Z_EN: 0
; COMPUTE_PGM_RSRC2:TIDIG_COMP_CNT: 0
	.section	.text._ZN7rocprim17ROCPRIM_400000_NS6detail17trampoline_kernelINS0_14default_configENS1_27scan_by_key_config_selectorIj11FixedVectorIiLj2EEEEZZNS1_16scan_by_key_implILNS1_25lookback_scan_determinismE0ELb1ES3_N6thrust23THRUST_200600_302600_NS6detail15normal_iteratorINSB_10device_ptrIjEEEENSD_INSE_IS6_EEEESI_S6_NSB_4plusIvEENSB_8equal_toIvEES6_EE10hipError_tPvRmT2_T3_T4_T5_mT6_T7_P12ihipStream_tbENKUlT_T0_E_clISt17integral_constantIbLb1EES12_IbLb0EEEEDaSY_SZ_EUlSY_E_NS1_11comp_targetILNS1_3genE10ELNS1_11target_archE1200ELNS1_3gpuE4ELNS1_3repE0EEENS1_30default_config_static_selectorELNS0_4arch9wavefront6targetE0EEEvT1_,"axG",@progbits,_ZN7rocprim17ROCPRIM_400000_NS6detail17trampoline_kernelINS0_14default_configENS1_27scan_by_key_config_selectorIj11FixedVectorIiLj2EEEEZZNS1_16scan_by_key_implILNS1_25lookback_scan_determinismE0ELb1ES3_N6thrust23THRUST_200600_302600_NS6detail15normal_iteratorINSB_10device_ptrIjEEEENSD_INSE_IS6_EEEESI_S6_NSB_4plusIvEENSB_8equal_toIvEES6_EE10hipError_tPvRmT2_T3_T4_T5_mT6_T7_P12ihipStream_tbENKUlT_T0_E_clISt17integral_constantIbLb1EES12_IbLb0EEEEDaSY_SZ_EUlSY_E_NS1_11comp_targetILNS1_3genE10ELNS1_11target_archE1200ELNS1_3gpuE4ELNS1_3repE0EEENS1_30default_config_static_selectorELNS0_4arch9wavefront6targetE0EEEvT1_,comdat
	.protected	_ZN7rocprim17ROCPRIM_400000_NS6detail17trampoline_kernelINS0_14default_configENS1_27scan_by_key_config_selectorIj11FixedVectorIiLj2EEEEZZNS1_16scan_by_key_implILNS1_25lookback_scan_determinismE0ELb1ES3_N6thrust23THRUST_200600_302600_NS6detail15normal_iteratorINSB_10device_ptrIjEEEENSD_INSE_IS6_EEEESI_S6_NSB_4plusIvEENSB_8equal_toIvEES6_EE10hipError_tPvRmT2_T3_T4_T5_mT6_T7_P12ihipStream_tbENKUlT_T0_E_clISt17integral_constantIbLb1EES12_IbLb0EEEEDaSY_SZ_EUlSY_E_NS1_11comp_targetILNS1_3genE10ELNS1_11target_archE1200ELNS1_3gpuE4ELNS1_3repE0EEENS1_30default_config_static_selectorELNS0_4arch9wavefront6targetE0EEEvT1_ ; -- Begin function _ZN7rocprim17ROCPRIM_400000_NS6detail17trampoline_kernelINS0_14default_configENS1_27scan_by_key_config_selectorIj11FixedVectorIiLj2EEEEZZNS1_16scan_by_key_implILNS1_25lookback_scan_determinismE0ELb1ES3_N6thrust23THRUST_200600_302600_NS6detail15normal_iteratorINSB_10device_ptrIjEEEENSD_INSE_IS6_EEEESI_S6_NSB_4plusIvEENSB_8equal_toIvEES6_EE10hipError_tPvRmT2_T3_T4_T5_mT6_T7_P12ihipStream_tbENKUlT_T0_E_clISt17integral_constantIbLb1EES12_IbLb0EEEEDaSY_SZ_EUlSY_E_NS1_11comp_targetILNS1_3genE10ELNS1_11target_archE1200ELNS1_3gpuE4ELNS1_3repE0EEENS1_30default_config_static_selectorELNS0_4arch9wavefront6targetE0EEEvT1_
	.globl	_ZN7rocprim17ROCPRIM_400000_NS6detail17trampoline_kernelINS0_14default_configENS1_27scan_by_key_config_selectorIj11FixedVectorIiLj2EEEEZZNS1_16scan_by_key_implILNS1_25lookback_scan_determinismE0ELb1ES3_N6thrust23THRUST_200600_302600_NS6detail15normal_iteratorINSB_10device_ptrIjEEEENSD_INSE_IS6_EEEESI_S6_NSB_4plusIvEENSB_8equal_toIvEES6_EE10hipError_tPvRmT2_T3_T4_T5_mT6_T7_P12ihipStream_tbENKUlT_T0_E_clISt17integral_constantIbLb1EES12_IbLb0EEEEDaSY_SZ_EUlSY_E_NS1_11comp_targetILNS1_3genE10ELNS1_11target_archE1200ELNS1_3gpuE4ELNS1_3repE0EEENS1_30default_config_static_selectorELNS0_4arch9wavefront6targetE0EEEvT1_
	.p2align	8
	.type	_ZN7rocprim17ROCPRIM_400000_NS6detail17trampoline_kernelINS0_14default_configENS1_27scan_by_key_config_selectorIj11FixedVectorIiLj2EEEEZZNS1_16scan_by_key_implILNS1_25lookback_scan_determinismE0ELb1ES3_N6thrust23THRUST_200600_302600_NS6detail15normal_iteratorINSB_10device_ptrIjEEEENSD_INSE_IS6_EEEESI_S6_NSB_4plusIvEENSB_8equal_toIvEES6_EE10hipError_tPvRmT2_T3_T4_T5_mT6_T7_P12ihipStream_tbENKUlT_T0_E_clISt17integral_constantIbLb1EES12_IbLb0EEEEDaSY_SZ_EUlSY_E_NS1_11comp_targetILNS1_3genE10ELNS1_11target_archE1200ELNS1_3gpuE4ELNS1_3repE0EEENS1_30default_config_static_selectorELNS0_4arch9wavefront6targetE0EEEvT1_,@function
_ZN7rocprim17ROCPRIM_400000_NS6detail17trampoline_kernelINS0_14default_configENS1_27scan_by_key_config_selectorIj11FixedVectorIiLj2EEEEZZNS1_16scan_by_key_implILNS1_25lookback_scan_determinismE0ELb1ES3_N6thrust23THRUST_200600_302600_NS6detail15normal_iteratorINSB_10device_ptrIjEEEENSD_INSE_IS6_EEEESI_S6_NSB_4plusIvEENSB_8equal_toIvEES6_EE10hipError_tPvRmT2_T3_T4_T5_mT6_T7_P12ihipStream_tbENKUlT_T0_E_clISt17integral_constantIbLb1EES12_IbLb0EEEEDaSY_SZ_EUlSY_E_NS1_11comp_targetILNS1_3genE10ELNS1_11target_archE1200ELNS1_3gpuE4ELNS1_3repE0EEENS1_30default_config_static_selectorELNS0_4arch9wavefront6targetE0EEEvT1_: ; @_ZN7rocprim17ROCPRIM_400000_NS6detail17trampoline_kernelINS0_14default_configENS1_27scan_by_key_config_selectorIj11FixedVectorIiLj2EEEEZZNS1_16scan_by_key_implILNS1_25lookback_scan_determinismE0ELb1ES3_N6thrust23THRUST_200600_302600_NS6detail15normal_iteratorINSB_10device_ptrIjEEEENSD_INSE_IS6_EEEESI_S6_NSB_4plusIvEENSB_8equal_toIvEES6_EE10hipError_tPvRmT2_T3_T4_T5_mT6_T7_P12ihipStream_tbENKUlT_T0_E_clISt17integral_constantIbLb1EES12_IbLb0EEEEDaSY_SZ_EUlSY_E_NS1_11comp_targetILNS1_3genE10ELNS1_11target_archE1200ELNS1_3gpuE4ELNS1_3repE0EEENS1_30default_config_static_selectorELNS0_4arch9wavefront6targetE0EEEvT1_
; %bb.0:
	.section	.rodata,"a",@progbits
	.p2align	6, 0x0
	.amdhsa_kernel _ZN7rocprim17ROCPRIM_400000_NS6detail17trampoline_kernelINS0_14default_configENS1_27scan_by_key_config_selectorIj11FixedVectorIiLj2EEEEZZNS1_16scan_by_key_implILNS1_25lookback_scan_determinismE0ELb1ES3_N6thrust23THRUST_200600_302600_NS6detail15normal_iteratorINSB_10device_ptrIjEEEENSD_INSE_IS6_EEEESI_S6_NSB_4plusIvEENSB_8equal_toIvEES6_EE10hipError_tPvRmT2_T3_T4_T5_mT6_T7_P12ihipStream_tbENKUlT_T0_E_clISt17integral_constantIbLb1EES12_IbLb0EEEEDaSY_SZ_EUlSY_E_NS1_11comp_targetILNS1_3genE10ELNS1_11target_archE1200ELNS1_3gpuE4ELNS1_3repE0EEENS1_30default_config_static_selectorELNS0_4arch9wavefront6targetE0EEEvT1_
		.amdhsa_group_segment_fixed_size 0
		.amdhsa_private_segment_fixed_size 0
		.amdhsa_kernarg_size 120
		.amdhsa_user_sgpr_count 2
		.amdhsa_user_sgpr_dispatch_ptr 0
		.amdhsa_user_sgpr_queue_ptr 0
		.amdhsa_user_sgpr_kernarg_segment_ptr 1
		.amdhsa_user_sgpr_dispatch_id 0
		.amdhsa_user_sgpr_kernarg_preload_length 0
		.amdhsa_user_sgpr_kernarg_preload_offset 0
		.amdhsa_user_sgpr_private_segment_size 0
		.amdhsa_wavefront_size32 1
		.amdhsa_uses_dynamic_stack 0
		.amdhsa_enable_private_segment 0
		.amdhsa_system_sgpr_workgroup_id_x 1
		.amdhsa_system_sgpr_workgroup_id_y 0
		.amdhsa_system_sgpr_workgroup_id_z 0
		.amdhsa_system_sgpr_workgroup_info 0
		.amdhsa_system_vgpr_workitem_id 0
		.amdhsa_next_free_vgpr 1
		.amdhsa_next_free_sgpr 1
		.amdhsa_named_barrier_count 0
		.amdhsa_reserve_vcc 0
		.amdhsa_float_round_mode_32 0
		.amdhsa_float_round_mode_16_64 0
		.amdhsa_float_denorm_mode_32 3
		.amdhsa_float_denorm_mode_16_64 3
		.amdhsa_fp16_overflow 0
		.amdhsa_memory_ordered 1
		.amdhsa_forward_progress 1
		.amdhsa_inst_pref_size 0
		.amdhsa_round_robin_scheduling 0
		.amdhsa_exception_fp_ieee_invalid_op 0
		.amdhsa_exception_fp_denorm_src 0
		.amdhsa_exception_fp_ieee_div_zero 0
		.amdhsa_exception_fp_ieee_overflow 0
		.amdhsa_exception_fp_ieee_underflow 0
		.amdhsa_exception_fp_ieee_inexact 0
		.amdhsa_exception_int_div_zero 0
	.end_amdhsa_kernel
	.section	.text._ZN7rocprim17ROCPRIM_400000_NS6detail17trampoline_kernelINS0_14default_configENS1_27scan_by_key_config_selectorIj11FixedVectorIiLj2EEEEZZNS1_16scan_by_key_implILNS1_25lookback_scan_determinismE0ELb1ES3_N6thrust23THRUST_200600_302600_NS6detail15normal_iteratorINSB_10device_ptrIjEEEENSD_INSE_IS6_EEEESI_S6_NSB_4plusIvEENSB_8equal_toIvEES6_EE10hipError_tPvRmT2_T3_T4_T5_mT6_T7_P12ihipStream_tbENKUlT_T0_E_clISt17integral_constantIbLb1EES12_IbLb0EEEEDaSY_SZ_EUlSY_E_NS1_11comp_targetILNS1_3genE10ELNS1_11target_archE1200ELNS1_3gpuE4ELNS1_3repE0EEENS1_30default_config_static_selectorELNS0_4arch9wavefront6targetE0EEEvT1_,"axG",@progbits,_ZN7rocprim17ROCPRIM_400000_NS6detail17trampoline_kernelINS0_14default_configENS1_27scan_by_key_config_selectorIj11FixedVectorIiLj2EEEEZZNS1_16scan_by_key_implILNS1_25lookback_scan_determinismE0ELb1ES3_N6thrust23THRUST_200600_302600_NS6detail15normal_iteratorINSB_10device_ptrIjEEEENSD_INSE_IS6_EEEESI_S6_NSB_4plusIvEENSB_8equal_toIvEES6_EE10hipError_tPvRmT2_T3_T4_T5_mT6_T7_P12ihipStream_tbENKUlT_T0_E_clISt17integral_constantIbLb1EES12_IbLb0EEEEDaSY_SZ_EUlSY_E_NS1_11comp_targetILNS1_3genE10ELNS1_11target_archE1200ELNS1_3gpuE4ELNS1_3repE0EEENS1_30default_config_static_selectorELNS0_4arch9wavefront6targetE0EEEvT1_,comdat
.Lfunc_end2017:
	.size	_ZN7rocprim17ROCPRIM_400000_NS6detail17trampoline_kernelINS0_14default_configENS1_27scan_by_key_config_selectorIj11FixedVectorIiLj2EEEEZZNS1_16scan_by_key_implILNS1_25lookback_scan_determinismE0ELb1ES3_N6thrust23THRUST_200600_302600_NS6detail15normal_iteratorINSB_10device_ptrIjEEEENSD_INSE_IS6_EEEESI_S6_NSB_4plusIvEENSB_8equal_toIvEES6_EE10hipError_tPvRmT2_T3_T4_T5_mT6_T7_P12ihipStream_tbENKUlT_T0_E_clISt17integral_constantIbLb1EES12_IbLb0EEEEDaSY_SZ_EUlSY_E_NS1_11comp_targetILNS1_3genE10ELNS1_11target_archE1200ELNS1_3gpuE4ELNS1_3repE0EEENS1_30default_config_static_selectorELNS0_4arch9wavefront6targetE0EEEvT1_, .Lfunc_end2017-_ZN7rocprim17ROCPRIM_400000_NS6detail17trampoline_kernelINS0_14default_configENS1_27scan_by_key_config_selectorIj11FixedVectorIiLj2EEEEZZNS1_16scan_by_key_implILNS1_25lookback_scan_determinismE0ELb1ES3_N6thrust23THRUST_200600_302600_NS6detail15normal_iteratorINSB_10device_ptrIjEEEENSD_INSE_IS6_EEEESI_S6_NSB_4plusIvEENSB_8equal_toIvEES6_EE10hipError_tPvRmT2_T3_T4_T5_mT6_T7_P12ihipStream_tbENKUlT_T0_E_clISt17integral_constantIbLb1EES12_IbLb0EEEEDaSY_SZ_EUlSY_E_NS1_11comp_targetILNS1_3genE10ELNS1_11target_archE1200ELNS1_3gpuE4ELNS1_3repE0EEENS1_30default_config_static_selectorELNS0_4arch9wavefront6targetE0EEEvT1_
                                        ; -- End function
	.set _ZN7rocprim17ROCPRIM_400000_NS6detail17trampoline_kernelINS0_14default_configENS1_27scan_by_key_config_selectorIj11FixedVectorIiLj2EEEEZZNS1_16scan_by_key_implILNS1_25lookback_scan_determinismE0ELb1ES3_N6thrust23THRUST_200600_302600_NS6detail15normal_iteratorINSB_10device_ptrIjEEEENSD_INSE_IS6_EEEESI_S6_NSB_4plusIvEENSB_8equal_toIvEES6_EE10hipError_tPvRmT2_T3_T4_T5_mT6_T7_P12ihipStream_tbENKUlT_T0_E_clISt17integral_constantIbLb1EES12_IbLb0EEEEDaSY_SZ_EUlSY_E_NS1_11comp_targetILNS1_3genE10ELNS1_11target_archE1200ELNS1_3gpuE4ELNS1_3repE0EEENS1_30default_config_static_selectorELNS0_4arch9wavefront6targetE0EEEvT1_.num_vgpr, 0
	.set _ZN7rocprim17ROCPRIM_400000_NS6detail17trampoline_kernelINS0_14default_configENS1_27scan_by_key_config_selectorIj11FixedVectorIiLj2EEEEZZNS1_16scan_by_key_implILNS1_25lookback_scan_determinismE0ELb1ES3_N6thrust23THRUST_200600_302600_NS6detail15normal_iteratorINSB_10device_ptrIjEEEENSD_INSE_IS6_EEEESI_S6_NSB_4plusIvEENSB_8equal_toIvEES6_EE10hipError_tPvRmT2_T3_T4_T5_mT6_T7_P12ihipStream_tbENKUlT_T0_E_clISt17integral_constantIbLb1EES12_IbLb0EEEEDaSY_SZ_EUlSY_E_NS1_11comp_targetILNS1_3genE10ELNS1_11target_archE1200ELNS1_3gpuE4ELNS1_3repE0EEENS1_30default_config_static_selectorELNS0_4arch9wavefront6targetE0EEEvT1_.num_agpr, 0
	.set _ZN7rocprim17ROCPRIM_400000_NS6detail17trampoline_kernelINS0_14default_configENS1_27scan_by_key_config_selectorIj11FixedVectorIiLj2EEEEZZNS1_16scan_by_key_implILNS1_25lookback_scan_determinismE0ELb1ES3_N6thrust23THRUST_200600_302600_NS6detail15normal_iteratorINSB_10device_ptrIjEEEENSD_INSE_IS6_EEEESI_S6_NSB_4plusIvEENSB_8equal_toIvEES6_EE10hipError_tPvRmT2_T3_T4_T5_mT6_T7_P12ihipStream_tbENKUlT_T0_E_clISt17integral_constantIbLb1EES12_IbLb0EEEEDaSY_SZ_EUlSY_E_NS1_11comp_targetILNS1_3genE10ELNS1_11target_archE1200ELNS1_3gpuE4ELNS1_3repE0EEENS1_30default_config_static_selectorELNS0_4arch9wavefront6targetE0EEEvT1_.numbered_sgpr, 0
	.set _ZN7rocprim17ROCPRIM_400000_NS6detail17trampoline_kernelINS0_14default_configENS1_27scan_by_key_config_selectorIj11FixedVectorIiLj2EEEEZZNS1_16scan_by_key_implILNS1_25lookback_scan_determinismE0ELb1ES3_N6thrust23THRUST_200600_302600_NS6detail15normal_iteratorINSB_10device_ptrIjEEEENSD_INSE_IS6_EEEESI_S6_NSB_4plusIvEENSB_8equal_toIvEES6_EE10hipError_tPvRmT2_T3_T4_T5_mT6_T7_P12ihipStream_tbENKUlT_T0_E_clISt17integral_constantIbLb1EES12_IbLb0EEEEDaSY_SZ_EUlSY_E_NS1_11comp_targetILNS1_3genE10ELNS1_11target_archE1200ELNS1_3gpuE4ELNS1_3repE0EEENS1_30default_config_static_selectorELNS0_4arch9wavefront6targetE0EEEvT1_.num_named_barrier, 0
	.set _ZN7rocprim17ROCPRIM_400000_NS6detail17trampoline_kernelINS0_14default_configENS1_27scan_by_key_config_selectorIj11FixedVectorIiLj2EEEEZZNS1_16scan_by_key_implILNS1_25lookback_scan_determinismE0ELb1ES3_N6thrust23THRUST_200600_302600_NS6detail15normal_iteratorINSB_10device_ptrIjEEEENSD_INSE_IS6_EEEESI_S6_NSB_4plusIvEENSB_8equal_toIvEES6_EE10hipError_tPvRmT2_T3_T4_T5_mT6_T7_P12ihipStream_tbENKUlT_T0_E_clISt17integral_constantIbLb1EES12_IbLb0EEEEDaSY_SZ_EUlSY_E_NS1_11comp_targetILNS1_3genE10ELNS1_11target_archE1200ELNS1_3gpuE4ELNS1_3repE0EEENS1_30default_config_static_selectorELNS0_4arch9wavefront6targetE0EEEvT1_.private_seg_size, 0
	.set _ZN7rocprim17ROCPRIM_400000_NS6detail17trampoline_kernelINS0_14default_configENS1_27scan_by_key_config_selectorIj11FixedVectorIiLj2EEEEZZNS1_16scan_by_key_implILNS1_25lookback_scan_determinismE0ELb1ES3_N6thrust23THRUST_200600_302600_NS6detail15normal_iteratorINSB_10device_ptrIjEEEENSD_INSE_IS6_EEEESI_S6_NSB_4plusIvEENSB_8equal_toIvEES6_EE10hipError_tPvRmT2_T3_T4_T5_mT6_T7_P12ihipStream_tbENKUlT_T0_E_clISt17integral_constantIbLb1EES12_IbLb0EEEEDaSY_SZ_EUlSY_E_NS1_11comp_targetILNS1_3genE10ELNS1_11target_archE1200ELNS1_3gpuE4ELNS1_3repE0EEENS1_30default_config_static_selectorELNS0_4arch9wavefront6targetE0EEEvT1_.uses_vcc, 0
	.set _ZN7rocprim17ROCPRIM_400000_NS6detail17trampoline_kernelINS0_14default_configENS1_27scan_by_key_config_selectorIj11FixedVectorIiLj2EEEEZZNS1_16scan_by_key_implILNS1_25lookback_scan_determinismE0ELb1ES3_N6thrust23THRUST_200600_302600_NS6detail15normal_iteratorINSB_10device_ptrIjEEEENSD_INSE_IS6_EEEESI_S6_NSB_4plusIvEENSB_8equal_toIvEES6_EE10hipError_tPvRmT2_T3_T4_T5_mT6_T7_P12ihipStream_tbENKUlT_T0_E_clISt17integral_constantIbLb1EES12_IbLb0EEEEDaSY_SZ_EUlSY_E_NS1_11comp_targetILNS1_3genE10ELNS1_11target_archE1200ELNS1_3gpuE4ELNS1_3repE0EEENS1_30default_config_static_selectorELNS0_4arch9wavefront6targetE0EEEvT1_.uses_flat_scratch, 0
	.set _ZN7rocprim17ROCPRIM_400000_NS6detail17trampoline_kernelINS0_14default_configENS1_27scan_by_key_config_selectorIj11FixedVectorIiLj2EEEEZZNS1_16scan_by_key_implILNS1_25lookback_scan_determinismE0ELb1ES3_N6thrust23THRUST_200600_302600_NS6detail15normal_iteratorINSB_10device_ptrIjEEEENSD_INSE_IS6_EEEESI_S6_NSB_4plusIvEENSB_8equal_toIvEES6_EE10hipError_tPvRmT2_T3_T4_T5_mT6_T7_P12ihipStream_tbENKUlT_T0_E_clISt17integral_constantIbLb1EES12_IbLb0EEEEDaSY_SZ_EUlSY_E_NS1_11comp_targetILNS1_3genE10ELNS1_11target_archE1200ELNS1_3gpuE4ELNS1_3repE0EEENS1_30default_config_static_selectorELNS0_4arch9wavefront6targetE0EEEvT1_.has_dyn_sized_stack, 0
	.set _ZN7rocprim17ROCPRIM_400000_NS6detail17trampoline_kernelINS0_14default_configENS1_27scan_by_key_config_selectorIj11FixedVectorIiLj2EEEEZZNS1_16scan_by_key_implILNS1_25lookback_scan_determinismE0ELb1ES3_N6thrust23THRUST_200600_302600_NS6detail15normal_iteratorINSB_10device_ptrIjEEEENSD_INSE_IS6_EEEESI_S6_NSB_4plusIvEENSB_8equal_toIvEES6_EE10hipError_tPvRmT2_T3_T4_T5_mT6_T7_P12ihipStream_tbENKUlT_T0_E_clISt17integral_constantIbLb1EES12_IbLb0EEEEDaSY_SZ_EUlSY_E_NS1_11comp_targetILNS1_3genE10ELNS1_11target_archE1200ELNS1_3gpuE4ELNS1_3repE0EEENS1_30default_config_static_selectorELNS0_4arch9wavefront6targetE0EEEvT1_.has_recursion, 0
	.set _ZN7rocprim17ROCPRIM_400000_NS6detail17trampoline_kernelINS0_14default_configENS1_27scan_by_key_config_selectorIj11FixedVectorIiLj2EEEEZZNS1_16scan_by_key_implILNS1_25lookback_scan_determinismE0ELb1ES3_N6thrust23THRUST_200600_302600_NS6detail15normal_iteratorINSB_10device_ptrIjEEEENSD_INSE_IS6_EEEESI_S6_NSB_4plusIvEENSB_8equal_toIvEES6_EE10hipError_tPvRmT2_T3_T4_T5_mT6_T7_P12ihipStream_tbENKUlT_T0_E_clISt17integral_constantIbLb1EES12_IbLb0EEEEDaSY_SZ_EUlSY_E_NS1_11comp_targetILNS1_3genE10ELNS1_11target_archE1200ELNS1_3gpuE4ELNS1_3repE0EEENS1_30default_config_static_selectorELNS0_4arch9wavefront6targetE0EEEvT1_.has_indirect_call, 0
	.section	.AMDGPU.csdata,"",@progbits
; Kernel info:
; codeLenInByte = 0
; TotalNumSgprs: 0
; NumVgprs: 0
; ScratchSize: 0
; MemoryBound: 0
; FloatMode: 240
; IeeeMode: 1
; LDSByteSize: 0 bytes/workgroup (compile time only)
; SGPRBlocks: 0
; VGPRBlocks: 0
; NumSGPRsForWavesPerEU: 1
; NumVGPRsForWavesPerEU: 1
; NamedBarCnt: 0
; Occupancy: 16
; WaveLimiterHint : 0
; COMPUTE_PGM_RSRC2:SCRATCH_EN: 0
; COMPUTE_PGM_RSRC2:USER_SGPR: 2
; COMPUTE_PGM_RSRC2:TRAP_HANDLER: 0
; COMPUTE_PGM_RSRC2:TGID_X_EN: 1
; COMPUTE_PGM_RSRC2:TGID_Y_EN: 0
; COMPUTE_PGM_RSRC2:TGID_Z_EN: 0
; COMPUTE_PGM_RSRC2:TIDIG_COMP_CNT: 0
	.section	.text._ZN7rocprim17ROCPRIM_400000_NS6detail17trampoline_kernelINS0_14default_configENS1_27scan_by_key_config_selectorIj11FixedVectorIiLj2EEEEZZNS1_16scan_by_key_implILNS1_25lookback_scan_determinismE0ELb1ES3_N6thrust23THRUST_200600_302600_NS6detail15normal_iteratorINSB_10device_ptrIjEEEENSD_INSE_IS6_EEEESI_S6_NSB_4plusIvEENSB_8equal_toIvEES6_EE10hipError_tPvRmT2_T3_T4_T5_mT6_T7_P12ihipStream_tbENKUlT_T0_E_clISt17integral_constantIbLb1EES12_IbLb0EEEEDaSY_SZ_EUlSY_E_NS1_11comp_targetILNS1_3genE9ELNS1_11target_archE1100ELNS1_3gpuE3ELNS1_3repE0EEENS1_30default_config_static_selectorELNS0_4arch9wavefront6targetE0EEEvT1_,"axG",@progbits,_ZN7rocprim17ROCPRIM_400000_NS6detail17trampoline_kernelINS0_14default_configENS1_27scan_by_key_config_selectorIj11FixedVectorIiLj2EEEEZZNS1_16scan_by_key_implILNS1_25lookback_scan_determinismE0ELb1ES3_N6thrust23THRUST_200600_302600_NS6detail15normal_iteratorINSB_10device_ptrIjEEEENSD_INSE_IS6_EEEESI_S6_NSB_4plusIvEENSB_8equal_toIvEES6_EE10hipError_tPvRmT2_T3_T4_T5_mT6_T7_P12ihipStream_tbENKUlT_T0_E_clISt17integral_constantIbLb1EES12_IbLb0EEEEDaSY_SZ_EUlSY_E_NS1_11comp_targetILNS1_3genE9ELNS1_11target_archE1100ELNS1_3gpuE3ELNS1_3repE0EEENS1_30default_config_static_selectorELNS0_4arch9wavefront6targetE0EEEvT1_,comdat
	.protected	_ZN7rocprim17ROCPRIM_400000_NS6detail17trampoline_kernelINS0_14default_configENS1_27scan_by_key_config_selectorIj11FixedVectorIiLj2EEEEZZNS1_16scan_by_key_implILNS1_25lookback_scan_determinismE0ELb1ES3_N6thrust23THRUST_200600_302600_NS6detail15normal_iteratorINSB_10device_ptrIjEEEENSD_INSE_IS6_EEEESI_S6_NSB_4plusIvEENSB_8equal_toIvEES6_EE10hipError_tPvRmT2_T3_T4_T5_mT6_T7_P12ihipStream_tbENKUlT_T0_E_clISt17integral_constantIbLb1EES12_IbLb0EEEEDaSY_SZ_EUlSY_E_NS1_11comp_targetILNS1_3genE9ELNS1_11target_archE1100ELNS1_3gpuE3ELNS1_3repE0EEENS1_30default_config_static_selectorELNS0_4arch9wavefront6targetE0EEEvT1_ ; -- Begin function _ZN7rocprim17ROCPRIM_400000_NS6detail17trampoline_kernelINS0_14default_configENS1_27scan_by_key_config_selectorIj11FixedVectorIiLj2EEEEZZNS1_16scan_by_key_implILNS1_25lookback_scan_determinismE0ELb1ES3_N6thrust23THRUST_200600_302600_NS6detail15normal_iteratorINSB_10device_ptrIjEEEENSD_INSE_IS6_EEEESI_S6_NSB_4plusIvEENSB_8equal_toIvEES6_EE10hipError_tPvRmT2_T3_T4_T5_mT6_T7_P12ihipStream_tbENKUlT_T0_E_clISt17integral_constantIbLb1EES12_IbLb0EEEEDaSY_SZ_EUlSY_E_NS1_11comp_targetILNS1_3genE9ELNS1_11target_archE1100ELNS1_3gpuE3ELNS1_3repE0EEENS1_30default_config_static_selectorELNS0_4arch9wavefront6targetE0EEEvT1_
	.globl	_ZN7rocprim17ROCPRIM_400000_NS6detail17trampoline_kernelINS0_14default_configENS1_27scan_by_key_config_selectorIj11FixedVectorIiLj2EEEEZZNS1_16scan_by_key_implILNS1_25lookback_scan_determinismE0ELb1ES3_N6thrust23THRUST_200600_302600_NS6detail15normal_iteratorINSB_10device_ptrIjEEEENSD_INSE_IS6_EEEESI_S6_NSB_4plusIvEENSB_8equal_toIvEES6_EE10hipError_tPvRmT2_T3_T4_T5_mT6_T7_P12ihipStream_tbENKUlT_T0_E_clISt17integral_constantIbLb1EES12_IbLb0EEEEDaSY_SZ_EUlSY_E_NS1_11comp_targetILNS1_3genE9ELNS1_11target_archE1100ELNS1_3gpuE3ELNS1_3repE0EEENS1_30default_config_static_selectorELNS0_4arch9wavefront6targetE0EEEvT1_
	.p2align	8
	.type	_ZN7rocprim17ROCPRIM_400000_NS6detail17trampoline_kernelINS0_14default_configENS1_27scan_by_key_config_selectorIj11FixedVectorIiLj2EEEEZZNS1_16scan_by_key_implILNS1_25lookback_scan_determinismE0ELb1ES3_N6thrust23THRUST_200600_302600_NS6detail15normal_iteratorINSB_10device_ptrIjEEEENSD_INSE_IS6_EEEESI_S6_NSB_4plusIvEENSB_8equal_toIvEES6_EE10hipError_tPvRmT2_T3_T4_T5_mT6_T7_P12ihipStream_tbENKUlT_T0_E_clISt17integral_constantIbLb1EES12_IbLb0EEEEDaSY_SZ_EUlSY_E_NS1_11comp_targetILNS1_3genE9ELNS1_11target_archE1100ELNS1_3gpuE3ELNS1_3repE0EEENS1_30default_config_static_selectorELNS0_4arch9wavefront6targetE0EEEvT1_,@function
_ZN7rocprim17ROCPRIM_400000_NS6detail17trampoline_kernelINS0_14default_configENS1_27scan_by_key_config_selectorIj11FixedVectorIiLj2EEEEZZNS1_16scan_by_key_implILNS1_25lookback_scan_determinismE0ELb1ES3_N6thrust23THRUST_200600_302600_NS6detail15normal_iteratorINSB_10device_ptrIjEEEENSD_INSE_IS6_EEEESI_S6_NSB_4plusIvEENSB_8equal_toIvEES6_EE10hipError_tPvRmT2_T3_T4_T5_mT6_T7_P12ihipStream_tbENKUlT_T0_E_clISt17integral_constantIbLb1EES12_IbLb0EEEEDaSY_SZ_EUlSY_E_NS1_11comp_targetILNS1_3genE9ELNS1_11target_archE1100ELNS1_3gpuE3ELNS1_3repE0EEENS1_30default_config_static_selectorELNS0_4arch9wavefront6targetE0EEEvT1_: ; @_ZN7rocprim17ROCPRIM_400000_NS6detail17trampoline_kernelINS0_14default_configENS1_27scan_by_key_config_selectorIj11FixedVectorIiLj2EEEEZZNS1_16scan_by_key_implILNS1_25lookback_scan_determinismE0ELb1ES3_N6thrust23THRUST_200600_302600_NS6detail15normal_iteratorINSB_10device_ptrIjEEEENSD_INSE_IS6_EEEESI_S6_NSB_4plusIvEENSB_8equal_toIvEES6_EE10hipError_tPvRmT2_T3_T4_T5_mT6_T7_P12ihipStream_tbENKUlT_T0_E_clISt17integral_constantIbLb1EES12_IbLb0EEEEDaSY_SZ_EUlSY_E_NS1_11comp_targetILNS1_3genE9ELNS1_11target_archE1100ELNS1_3gpuE3ELNS1_3repE0EEENS1_30default_config_static_selectorELNS0_4arch9wavefront6targetE0EEEvT1_
; %bb.0:
	.section	.rodata,"a",@progbits
	.p2align	6, 0x0
	.amdhsa_kernel _ZN7rocprim17ROCPRIM_400000_NS6detail17trampoline_kernelINS0_14default_configENS1_27scan_by_key_config_selectorIj11FixedVectorIiLj2EEEEZZNS1_16scan_by_key_implILNS1_25lookback_scan_determinismE0ELb1ES3_N6thrust23THRUST_200600_302600_NS6detail15normal_iteratorINSB_10device_ptrIjEEEENSD_INSE_IS6_EEEESI_S6_NSB_4plusIvEENSB_8equal_toIvEES6_EE10hipError_tPvRmT2_T3_T4_T5_mT6_T7_P12ihipStream_tbENKUlT_T0_E_clISt17integral_constantIbLb1EES12_IbLb0EEEEDaSY_SZ_EUlSY_E_NS1_11comp_targetILNS1_3genE9ELNS1_11target_archE1100ELNS1_3gpuE3ELNS1_3repE0EEENS1_30default_config_static_selectorELNS0_4arch9wavefront6targetE0EEEvT1_
		.amdhsa_group_segment_fixed_size 0
		.amdhsa_private_segment_fixed_size 0
		.amdhsa_kernarg_size 120
		.amdhsa_user_sgpr_count 2
		.amdhsa_user_sgpr_dispatch_ptr 0
		.amdhsa_user_sgpr_queue_ptr 0
		.amdhsa_user_sgpr_kernarg_segment_ptr 1
		.amdhsa_user_sgpr_dispatch_id 0
		.amdhsa_user_sgpr_kernarg_preload_length 0
		.amdhsa_user_sgpr_kernarg_preload_offset 0
		.amdhsa_user_sgpr_private_segment_size 0
		.amdhsa_wavefront_size32 1
		.amdhsa_uses_dynamic_stack 0
		.amdhsa_enable_private_segment 0
		.amdhsa_system_sgpr_workgroup_id_x 1
		.amdhsa_system_sgpr_workgroup_id_y 0
		.amdhsa_system_sgpr_workgroup_id_z 0
		.amdhsa_system_sgpr_workgroup_info 0
		.amdhsa_system_vgpr_workitem_id 0
		.amdhsa_next_free_vgpr 1
		.amdhsa_next_free_sgpr 1
		.amdhsa_named_barrier_count 0
		.amdhsa_reserve_vcc 0
		.amdhsa_float_round_mode_32 0
		.amdhsa_float_round_mode_16_64 0
		.amdhsa_float_denorm_mode_32 3
		.amdhsa_float_denorm_mode_16_64 3
		.amdhsa_fp16_overflow 0
		.amdhsa_memory_ordered 1
		.amdhsa_forward_progress 1
		.amdhsa_inst_pref_size 0
		.amdhsa_round_robin_scheduling 0
		.amdhsa_exception_fp_ieee_invalid_op 0
		.amdhsa_exception_fp_denorm_src 0
		.amdhsa_exception_fp_ieee_div_zero 0
		.amdhsa_exception_fp_ieee_overflow 0
		.amdhsa_exception_fp_ieee_underflow 0
		.amdhsa_exception_fp_ieee_inexact 0
		.amdhsa_exception_int_div_zero 0
	.end_amdhsa_kernel
	.section	.text._ZN7rocprim17ROCPRIM_400000_NS6detail17trampoline_kernelINS0_14default_configENS1_27scan_by_key_config_selectorIj11FixedVectorIiLj2EEEEZZNS1_16scan_by_key_implILNS1_25lookback_scan_determinismE0ELb1ES3_N6thrust23THRUST_200600_302600_NS6detail15normal_iteratorINSB_10device_ptrIjEEEENSD_INSE_IS6_EEEESI_S6_NSB_4plusIvEENSB_8equal_toIvEES6_EE10hipError_tPvRmT2_T3_T4_T5_mT6_T7_P12ihipStream_tbENKUlT_T0_E_clISt17integral_constantIbLb1EES12_IbLb0EEEEDaSY_SZ_EUlSY_E_NS1_11comp_targetILNS1_3genE9ELNS1_11target_archE1100ELNS1_3gpuE3ELNS1_3repE0EEENS1_30default_config_static_selectorELNS0_4arch9wavefront6targetE0EEEvT1_,"axG",@progbits,_ZN7rocprim17ROCPRIM_400000_NS6detail17trampoline_kernelINS0_14default_configENS1_27scan_by_key_config_selectorIj11FixedVectorIiLj2EEEEZZNS1_16scan_by_key_implILNS1_25lookback_scan_determinismE0ELb1ES3_N6thrust23THRUST_200600_302600_NS6detail15normal_iteratorINSB_10device_ptrIjEEEENSD_INSE_IS6_EEEESI_S6_NSB_4plusIvEENSB_8equal_toIvEES6_EE10hipError_tPvRmT2_T3_T4_T5_mT6_T7_P12ihipStream_tbENKUlT_T0_E_clISt17integral_constantIbLb1EES12_IbLb0EEEEDaSY_SZ_EUlSY_E_NS1_11comp_targetILNS1_3genE9ELNS1_11target_archE1100ELNS1_3gpuE3ELNS1_3repE0EEENS1_30default_config_static_selectorELNS0_4arch9wavefront6targetE0EEEvT1_,comdat
.Lfunc_end2018:
	.size	_ZN7rocprim17ROCPRIM_400000_NS6detail17trampoline_kernelINS0_14default_configENS1_27scan_by_key_config_selectorIj11FixedVectorIiLj2EEEEZZNS1_16scan_by_key_implILNS1_25lookback_scan_determinismE0ELb1ES3_N6thrust23THRUST_200600_302600_NS6detail15normal_iteratorINSB_10device_ptrIjEEEENSD_INSE_IS6_EEEESI_S6_NSB_4plusIvEENSB_8equal_toIvEES6_EE10hipError_tPvRmT2_T3_T4_T5_mT6_T7_P12ihipStream_tbENKUlT_T0_E_clISt17integral_constantIbLb1EES12_IbLb0EEEEDaSY_SZ_EUlSY_E_NS1_11comp_targetILNS1_3genE9ELNS1_11target_archE1100ELNS1_3gpuE3ELNS1_3repE0EEENS1_30default_config_static_selectorELNS0_4arch9wavefront6targetE0EEEvT1_, .Lfunc_end2018-_ZN7rocprim17ROCPRIM_400000_NS6detail17trampoline_kernelINS0_14default_configENS1_27scan_by_key_config_selectorIj11FixedVectorIiLj2EEEEZZNS1_16scan_by_key_implILNS1_25lookback_scan_determinismE0ELb1ES3_N6thrust23THRUST_200600_302600_NS6detail15normal_iteratorINSB_10device_ptrIjEEEENSD_INSE_IS6_EEEESI_S6_NSB_4plusIvEENSB_8equal_toIvEES6_EE10hipError_tPvRmT2_T3_T4_T5_mT6_T7_P12ihipStream_tbENKUlT_T0_E_clISt17integral_constantIbLb1EES12_IbLb0EEEEDaSY_SZ_EUlSY_E_NS1_11comp_targetILNS1_3genE9ELNS1_11target_archE1100ELNS1_3gpuE3ELNS1_3repE0EEENS1_30default_config_static_selectorELNS0_4arch9wavefront6targetE0EEEvT1_
                                        ; -- End function
	.set _ZN7rocprim17ROCPRIM_400000_NS6detail17trampoline_kernelINS0_14default_configENS1_27scan_by_key_config_selectorIj11FixedVectorIiLj2EEEEZZNS1_16scan_by_key_implILNS1_25lookback_scan_determinismE0ELb1ES3_N6thrust23THRUST_200600_302600_NS6detail15normal_iteratorINSB_10device_ptrIjEEEENSD_INSE_IS6_EEEESI_S6_NSB_4plusIvEENSB_8equal_toIvEES6_EE10hipError_tPvRmT2_T3_T4_T5_mT6_T7_P12ihipStream_tbENKUlT_T0_E_clISt17integral_constantIbLb1EES12_IbLb0EEEEDaSY_SZ_EUlSY_E_NS1_11comp_targetILNS1_3genE9ELNS1_11target_archE1100ELNS1_3gpuE3ELNS1_3repE0EEENS1_30default_config_static_selectorELNS0_4arch9wavefront6targetE0EEEvT1_.num_vgpr, 0
	.set _ZN7rocprim17ROCPRIM_400000_NS6detail17trampoline_kernelINS0_14default_configENS1_27scan_by_key_config_selectorIj11FixedVectorIiLj2EEEEZZNS1_16scan_by_key_implILNS1_25lookback_scan_determinismE0ELb1ES3_N6thrust23THRUST_200600_302600_NS6detail15normal_iteratorINSB_10device_ptrIjEEEENSD_INSE_IS6_EEEESI_S6_NSB_4plusIvEENSB_8equal_toIvEES6_EE10hipError_tPvRmT2_T3_T4_T5_mT6_T7_P12ihipStream_tbENKUlT_T0_E_clISt17integral_constantIbLb1EES12_IbLb0EEEEDaSY_SZ_EUlSY_E_NS1_11comp_targetILNS1_3genE9ELNS1_11target_archE1100ELNS1_3gpuE3ELNS1_3repE0EEENS1_30default_config_static_selectorELNS0_4arch9wavefront6targetE0EEEvT1_.num_agpr, 0
	.set _ZN7rocprim17ROCPRIM_400000_NS6detail17trampoline_kernelINS0_14default_configENS1_27scan_by_key_config_selectorIj11FixedVectorIiLj2EEEEZZNS1_16scan_by_key_implILNS1_25lookback_scan_determinismE0ELb1ES3_N6thrust23THRUST_200600_302600_NS6detail15normal_iteratorINSB_10device_ptrIjEEEENSD_INSE_IS6_EEEESI_S6_NSB_4plusIvEENSB_8equal_toIvEES6_EE10hipError_tPvRmT2_T3_T4_T5_mT6_T7_P12ihipStream_tbENKUlT_T0_E_clISt17integral_constantIbLb1EES12_IbLb0EEEEDaSY_SZ_EUlSY_E_NS1_11comp_targetILNS1_3genE9ELNS1_11target_archE1100ELNS1_3gpuE3ELNS1_3repE0EEENS1_30default_config_static_selectorELNS0_4arch9wavefront6targetE0EEEvT1_.numbered_sgpr, 0
	.set _ZN7rocprim17ROCPRIM_400000_NS6detail17trampoline_kernelINS0_14default_configENS1_27scan_by_key_config_selectorIj11FixedVectorIiLj2EEEEZZNS1_16scan_by_key_implILNS1_25lookback_scan_determinismE0ELb1ES3_N6thrust23THRUST_200600_302600_NS6detail15normal_iteratorINSB_10device_ptrIjEEEENSD_INSE_IS6_EEEESI_S6_NSB_4plusIvEENSB_8equal_toIvEES6_EE10hipError_tPvRmT2_T3_T4_T5_mT6_T7_P12ihipStream_tbENKUlT_T0_E_clISt17integral_constantIbLb1EES12_IbLb0EEEEDaSY_SZ_EUlSY_E_NS1_11comp_targetILNS1_3genE9ELNS1_11target_archE1100ELNS1_3gpuE3ELNS1_3repE0EEENS1_30default_config_static_selectorELNS0_4arch9wavefront6targetE0EEEvT1_.num_named_barrier, 0
	.set _ZN7rocprim17ROCPRIM_400000_NS6detail17trampoline_kernelINS0_14default_configENS1_27scan_by_key_config_selectorIj11FixedVectorIiLj2EEEEZZNS1_16scan_by_key_implILNS1_25lookback_scan_determinismE0ELb1ES3_N6thrust23THRUST_200600_302600_NS6detail15normal_iteratorINSB_10device_ptrIjEEEENSD_INSE_IS6_EEEESI_S6_NSB_4plusIvEENSB_8equal_toIvEES6_EE10hipError_tPvRmT2_T3_T4_T5_mT6_T7_P12ihipStream_tbENKUlT_T0_E_clISt17integral_constantIbLb1EES12_IbLb0EEEEDaSY_SZ_EUlSY_E_NS1_11comp_targetILNS1_3genE9ELNS1_11target_archE1100ELNS1_3gpuE3ELNS1_3repE0EEENS1_30default_config_static_selectorELNS0_4arch9wavefront6targetE0EEEvT1_.private_seg_size, 0
	.set _ZN7rocprim17ROCPRIM_400000_NS6detail17trampoline_kernelINS0_14default_configENS1_27scan_by_key_config_selectorIj11FixedVectorIiLj2EEEEZZNS1_16scan_by_key_implILNS1_25lookback_scan_determinismE0ELb1ES3_N6thrust23THRUST_200600_302600_NS6detail15normal_iteratorINSB_10device_ptrIjEEEENSD_INSE_IS6_EEEESI_S6_NSB_4plusIvEENSB_8equal_toIvEES6_EE10hipError_tPvRmT2_T3_T4_T5_mT6_T7_P12ihipStream_tbENKUlT_T0_E_clISt17integral_constantIbLb1EES12_IbLb0EEEEDaSY_SZ_EUlSY_E_NS1_11comp_targetILNS1_3genE9ELNS1_11target_archE1100ELNS1_3gpuE3ELNS1_3repE0EEENS1_30default_config_static_selectorELNS0_4arch9wavefront6targetE0EEEvT1_.uses_vcc, 0
	.set _ZN7rocprim17ROCPRIM_400000_NS6detail17trampoline_kernelINS0_14default_configENS1_27scan_by_key_config_selectorIj11FixedVectorIiLj2EEEEZZNS1_16scan_by_key_implILNS1_25lookback_scan_determinismE0ELb1ES3_N6thrust23THRUST_200600_302600_NS6detail15normal_iteratorINSB_10device_ptrIjEEEENSD_INSE_IS6_EEEESI_S6_NSB_4plusIvEENSB_8equal_toIvEES6_EE10hipError_tPvRmT2_T3_T4_T5_mT6_T7_P12ihipStream_tbENKUlT_T0_E_clISt17integral_constantIbLb1EES12_IbLb0EEEEDaSY_SZ_EUlSY_E_NS1_11comp_targetILNS1_3genE9ELNS1_11target_archE1100ELNS1_3gpuE3ELNS1_3repE0EEENS1_30default_config_static_selectorELNS0_4arch9wavefront6targetE0EEEvT1_.uses_flat_scratch, 0
	.set _ZN7rocprim17ROCPRIM_400000_NS6detail17trampoline_kernelINS0_14default_configENS1_27scan_by_key_config_selectorIj11FixedVectorIiLj2EEEEZZNS1_16scan_by_key_implILNS1_25lookback_scan_determinismE0ELb1ES3_N6thrust23THRUST_200600_302600_NS6detail15normal_iteratorINSB_10device_ptrIjEEEENSD_INSE_IS6_EEEESI_S6_NSB_4plusIvEENSB_8equal_toIvEES6_EE10hipError_tPvRmT2_T3_T4_T5_mT6_T7_P12ihipStream_tbENKUlT_T0_E_clISt17integral_constantIbLb1EES12_IbLb0EEEEDaSY_SZ_EUlSY_E_NS1_11comp_targetILNS1_3genE9ELNS1_11target_archE1100ELNS1_3gpuE3ELNS1_3repE0EEENS1_30default_config_static_selectorELNS0_4arch9wavefront6targetE0EEEvT1_.has_dyn_sized_stack, 0
	.set _ZN7rocprim17ROCPRIM_400000_NS6detail17trampoline_kernelINS0_14default_configENS1_27scan_by_key_config_selectorIj11FixedVectorIiLj2EEEEZZNS1_16scan_by_key_implILNS1_25lookback_scan_determinismE0ELb1ES3_N6thrust23THRUST_200600_302600_NS6detail15normal_iteratorINSB_10device_ptrIjEEEENSD_INSE_IS6_EEEESI_S6_NSB_4plusIvEENSB_8equal_toIvEES6_EE10hipError_tPvRmT2_T3_T4_T5_mT6_T7_P12ihipStream_tbENKUlT_T0_E_clISt17integral_constantIbLb1EES12_IbLb0EEEEDaSY_SZ_EUlSY_E_NS1_11comp_targetILNS1_3genE9ELNS1_11target_archE1100ELNS1_3gpuE3ELNS1_3repE0EEENS1_30default_config_static_selectorELNS0_4arch9wavefront6targetE0EEEvT1_.has_recursion, 0
	.set _ZN7rocprim17ROCPRIM_400000_NS6detail17trampoline_kernelINS0_14default_configENS1_27scan_by_key_config_selectorIj11FixedVectorIiLj2EEEEZZNS1_16scan_by_key_implILNS1_25lookback_scan_determinismE0ELb1ES3_N6thrust23THRUST_200600_302600_NS6detail15normal_iteratorINSB_10device_ptrIjEEEENSD_INSE_IS6_EEEESI_S6_NSB_4plusIvEENSB_8equal_toIvEES6_EE10hipError_tPvRmT2_T3_T4_T5_mT6_T7_P12ihipStream_tbENKUlT_T0_E_clISt17integral_constantIbLb1EES12_IbLb0EEEEDaSY_SZ_EUlSY_E_NS1_11comp_targetILNS1_3genE9ELNS1_11target_archE1100ELNS1_3gpuE3ELNS1_3repE0EEENS1_30default_config_static_selectorELNS0_4arch9wavefront6targetE0EEEvT1_.has_indirect_call, 0
	.section	.AMDGPU.csdata,"",@progbits
; Kernel info:
; codeLenInByte = 0
; TotalNumSgprs: 0
; NumVgprs: 0
; ScratchSize: 0
; MemoryBound: 0
; FloatMode: 240
; IeeeMode: 1
; LDSByteSize: 0 bytes/workgroup (compile time only)
; SGPRBlocks: 0
; VGPRBlocks: 0
; NumSGPRsForWavesPerEU: 1
; NumVGPRsForWavesPerEU: 1
; NamedBarCnt: 0
; Occupancy: 16
; WaveLimiterHint : 0
; COMPUTE_PGM_RSRC2:SCRATCH_EN: 0
; COMPUTE_PGM_RSRC2:USER_SGPR: 2
; COMPUTE_PGM_RSRC2:TRAP_HANDLER: 0
; COMPUTE_PGM_RSRC2:TGID_X_EN: 1
; COMPUTE_PGM_RSRC2:TGID_Y_EN: 0
; COMPUTE_PGM_RSRC2:TGID_Z_EN: 0
; COMPUTE_PGM_RSRC2:TIDIG_COMP_CNT: 0
	.section	.text._ZN7rocprim17ROCPRIM_400000_NS6detail17trampoline_kernelINS0_14default_configENS1_27scan_by_key_config_selectorIj11FixedVectorIiLj2EEEEZZNS1_16scan_by_key_implILNS1_25lookback_scan_determinismE0ELb1ES3_N6thrust23THRUST_200600_302600_NS6detail15normal_iteratorINSB_10device_ptrIjEEEENSD_INSE_IS6_EEEESI_S6_NSB_4plusIvEENSB_8equal_toIvEES6_EE10hipError_tPvRmT2_T3_T4_T5_mT6_T7_P12ihipStream_tbENKUlT_T0_E_clISt17integral_constantIbLb1EES12_IbLb0EEEEDaSY_SZ_EUlSY_E_NS1_11comp_targetILNS1_3genE8ELNS1_11target_archE1030ELNS1_3gpuE2ELNS1_3repE0EEENS1_30default_config_static_selectorELNS0_4arch9wavefront6targetE0EEEvT1_,"axG",@progbits,_ZN7rocprim17ROCPRIM_400000_NS6detail17trampoline_kernelINS0_14default_configENS1_27scan_by_key_config_selectorIj11FixedVectorIiLj2EEEEZZNS1_16scan_by_key_implILNS1_25lookback_scan_determinismE0ELb1ES3_N6thrust23THRUST_200600_302600_NS6detail15normal_iteratorINSB_10device_ptrIjEEEENSD_INSE_IS6_EEEESI_S6_NSB_4plusIvEENSB_8equal_toIvEES6_EE10hipError_tPvRmT2_T3_T4_T5_mT6_T7_P12ihipStream_tbENKUlT_T0_E_clISt17integral_constantIbLb1EES12_IbLb0EEEEDaSY_SZ_EUlSY_E_NS1_11comp_targetILNS1_3genE8ELNS1_11target_archE1030ELNS1_3gpuE2ELNS1_3repE0EEENS1_30default_config_static_selectorELNS0_4arch9wavefront6targetE0EEEvT1_,comdat
	.protected	_ZN7rocprim17ROCPRIM_400000_NS6detail17trampoline_kernelINS0_14default_configENS1_27scan_by_key_config_selectorIj11FixedVectorIiLj2EEEEZZNS1_16scan_by_key_implILNS1_25lookback_scan_determinismE0ELb1ES3_N6thrust23THRUST_200600_302600_NS6detail15normal_iteratorINSB_10device_ptrIjEEEENSD_INSE_IS6_EEEESI_S6_NSB_4plusIvEENSB_8equal_toIvEES6_EE10hipError_tPvRmT2_T3_T4_T5_mT6_T7_P12ihipStream_tbENKUlT_T0_E_clISt17integral_constantIbLb1EES12_IbLb0EEEEDaSY_SZ_EUlSY_E_NS1_11comp_targetILNS1_3genE8ELNS1_11target_archE1030ELNS1_3gpuE2ELNS1_3repE0EEENS1_30default_config_static_selectorELNS0_4arch9wavefront6targetE0EEEvT1_ ; -- Begin function _ZN7rocprim17ROCPRIM_400000_NS6detail17trampoline_kernelINS0_14default_configENS1_27scan_by_key_config_selectorIj11FixedVectorIiLj2EEEEZZNS1_16scan_by_key_implILNS1_25lookback_scan_determinismE0ELb1ES3_N6thrust23THRUST_200600_302600_NS6detail15normal_iteratorINSB_10device_ptrIjEEEENSD_INSE_IS6_EEEESI_S6_NSB_4plusIvEENSB_8equal_toIvEES6_EE10hipError_tPvRmT2_T3_T4_T5_mT6_T7_P12ihipStream_tbENKUlT_T0_E_clISt17integral_constantIbLb1EES12_IbLb0EEEEDaSY_SZ_EUlSY_E_NS1_11comp_targetILNS1_3genE8ELNS1_11target_archE1030ELNS1_3gpuE2ELNS1_3repE0EEENS1_30default_config_static_selectorELNS0_4arch9wavefront6targetE0EEEvT1_
	.globl	_ZN7rocprim17ROCPRIM_400000_NS6detail17trampoline_kernelINS0_14default_configENS1_27scan_by_key_config_selectorIj11FixedVectorIiLj2EEEEZZNS1_16scan_by_key_implILNS1_25lookback_scan_determinismE0ELb1ES3_N6thrust23THRUST_200600_302600_NS6detail15normal_iteratorINSB_10device_ptrIjEEEENSD_INSE_IS6_EEEESI_S6_NSB_4plusIvEENSB_8equal_toIvEES6_EE10hipError_tPvRmT2_T3_T4_T5_mT6_T7_P12ihipStream_tbENKUlT_T0_E_clISt17integral_constantIbLb1EES12_IbLb0EEEEDaSY_SZ_EUlSY_E_NS1_11comp_targetILNS1_3genE8ELNS1_11target_archE1030ELNS1_3gpuE2ELNS1_3repE0EEENS1_30default_config_static_selectorELNS0_4arch9wavefront6targetE0EEEvT1_
	.p2align	8
	.type	_ZN7rocprim17ROCPRIM_400000_NS6detail17trampoline_kernelINS0_14default_configENS1_27scan_by_key_config_selectorIj11FixedVectorIiLj2EEEEZZNS1_16scan_by_key_implILNS1_25lookback_scan_determinismE0ELb1ES3_N6thrust23THRUST_200600_302600_NS6detail15normal_iteratorINSB_10device_ptrIjEEEENSD_INSE_IS6_EEEESI_S6_NSB_4plusIvEENSB_8equal_toIvEES6_EE10hipError_tPvRmT2_T3_T4_T5_mT6_T7_P12ihipStream_tbENKUlT_T0_E_clISt17integral_constantIbLb1EES12_IbLb0EEEEDaSY_SZ_EUlSY_E_NS1_11comp_targetILNS1_3genE8ELNS1_11target_archE1030ELNS1_3gpuE2ELNS1_3repE0EEENS1_30default_config_static_selectorELNS0_4arch9wavefront6targetE0EEEvT1_,@function
_ZN7rocprim17ROCPRIM_400000_NS6detail17trampoline_kernelINS0_14default_configENS1_27scan_by_key_config_selectorIj11FixedVectorIiLj2EEEEZZNS1_16scan_by_key_implILNS1_25lookback_scan_determinismE0ELb1ES3_N6thrust23THRUST_200600_302600_NS6detail15normal_iteratorINSB_10device_ptrIjEEEENSD_INSE_IS6_EEEESI_S6_NSB_4plusIvEENSB_8equal_toIvEES6_EE10hipError_tPvRmT2_T3_T4_T5_mT6_T7_P12ihipStream_tbENKUlT_T0_E_clISt17integral_constantIbLb1EES12_IbLb0EEEEDaSY_SZ_EUlSY_E_NS1_11comp_targetILNS1_3genE8ELNS1_11target_archE1030ELNS1_3gpuE2ELNS1_3repE0EEENS1_30default_config_static_selectorELNS0_4arch9wavefront6targetE0EEEvT1_: ; @_ZN7rocprim17ROCPRIM_400000_NS6detail17trampoline_kernelINS0_14default_configENS1_27scan_by_key_config_selectorIj11FixedVectorIiLj2EEEEZZNS1_16scan_by_key_implILNS1_25lookback_scan_determinismE0ELb1ES3_N6thrust23THRUST_200600_302600_NS6detail15normal_iteratorINSB_10device_ptrIjEEEENSD_INSE_IS6_EEEESI_S6_NSB_4plusIvEENSB_8equal_toIvEES6_EE10hipError_tPvRmT2_T3_T4_T5_mT6_T7_P12ihipStream_tbENKUlT_T0_E_clISt17integral_constantIbLb1EES12_IbLb0EEEEDaSY_SZ_EUlSY_E_NS1_11comp_targetILNS1_3genE8ELNS1_11target_archE1030ELNS1_3gpuE2ELNS1_3repE0EEENS1_30default_config_static_selectorELNS0_4arch9wavefront6targetE0EEEvT1_
; %bb.0:
	.section	.rodata,"a",@progbits
	.p2align	6, 0x0
	.amdhsa_kernel _ZN7rocprim17ROCPRIM_400000_NS6detail17trampoline_kernelINS0_14default_configENS1_27scan_by_key_config_selectorIj11FixedVectorIiLj2EEEEZZNS1_16scan_by_key_implILNS1_25lookback_scan_determinismE0ELb1ES3_N6thrust23THRUST_200600_302600_NS6detail15normal_iteratorINSB_10device_ptrIjEEEENSD_INSE_IS6_EEEESI_S6_NSB_4plusIvEENSB_8equal_toIvEES6_EE10hipError_tPvRmT2_T3_T4_T5_mT6_T7_P12ihipStream_tbENKUlT_T0_E_clISt17integral_constantIbLb1EES12_IbLb0EEEEDaSY_SZ_EUlSY_E_NS1_11comp_targetILNS1_3genE8ELNS1_11target_archE1030ELNS1_3gpuE2ELNS1_3repE0EEENS1_30default_config_static_selectorELNS0_4arch9wavefront6targetE0EEEvT1_
		.amdhsa_group_segment_fixed_size 0
		.amdhsa_private_segment_fixed_size 0
		.amdhsa_kernarg_size 120
		.amdhsa_user_sgpr_count 2
		.amdhsa_user_sgpr_dispatch_ptr 0
		.amdhsa_user_sgpr_queue_ptr 0
		.amdhsa_user_sgpr_kernarg_segment_ptr 1
		.amdhsa_user_sgpr_dispatch_id 0
		.amdhsa_user_sgpr_kernarg_preload_length 0
		.amdhsa_user_sgpr_kernarg_preload_offset 0
		.amdhsa_user_sgpr_private_segment_size 0
		.amdhsa_wavefront_size32 1
		.amdhsa_uses_dynamic_stack 0
		.amdhsa_enable_private_segment 0
		.amdhsa_system_sgpr_workgroup_id_x 1
		.amdhsa_system_sgpr_workgroup_id_y 0
		.amdhsa_system_sgpr_workgroup_id_z 0
		.amdhsa_system_sgpr_workgroup_info 0
		.amdhsa_system_vgpr_workitem_id 0
		.amdhsa_next_free_vgpr 1
		.amdhsa_next_free_sgpr 1
		.amdhsa_named_barrier_count 0
		.amdhsa_reserve_vcc 0
		.amdhsa_float_round_mode_32 0
		.amdhsa_float_round_mode_16_64 0
		.amdhsa_float_denorm_mode_32 3
		.amdhsa_float_denorm_mode_16_64 3
		.amdhsa_fp16_overflow 0
		.amdhsa_memory_ordered 1
		.amdhsa_forward_progress 1
		.amdhsa_inst_pref_size 0
		.amdhsa_round_robin_scheduling 0
		.amdhsa_exception_fp_ieee_invalid_op 0
		.amdhsa_exception_fp_denorm_src 0
		.amdhsa_exception_fp_ieee_div_zero 0
		.amdhsa_exception_fp_ieee_overflow 0
		.amdhsa_exception_fp_ieee_underflow 0
		.amdhsa_exception_fp_ieee_inexact 0
		.amdhsa_exception_int_div_zero 0
	.end_amdhsa_kernel
	.section	.text._ZN7rocprim17ROCPRIM_400000_NS6detail17trampoline_kernelINS0_14default_configENS1_27scan_by_key_config_selectorIj11FixedVectorIiLj2EEEEZZNS1_16scan_by_key_implILNS1_25lookback_scan_determinismE0ELb1ES3_N6thrust23THRUST_200600_302600_NS6detail15normal_iteratorINSB_10device_ptrIjEEEENSD_INSE_IS6_EEEESI_S6_NSB_4plusIvEENSB_8equal_toIvEES6_EE10hipError_tPvRmT2_T3_T4_T5_mT6_T7_P12ihipStream_tbENKUlT_T0_E_clISt17integral_constantIbLb1EES12_IbLb0EEEEDaSY_SZ_EUlSY_E_NS1_11comp_targetILNS1_3genE8ELNS1_11target_archE1030ELNS1_3gpuE2ELNS1_3repE0EEENS1_30default_config_static_selectorELNS0_4arch9wavefront6targetE0EEEvT1_,"axG",@progbits,_ZN7rocprim17ROCPRIM_400000_NS6detail17trampoline_kernelINS0_14default_configENS1_27scan_by_key_config_selectorIj11FixedVectorIiLj2EEEEZZNS1_16scan_by_key_implILNS1_25lookback_scan_determinismE0ELb1ES3_N6thrust23THRUST_200600_302600_NS6detail15normal_iteratorINSB_10device_ptrIjEEEENSD_INSE_IS6_EEEESI_S6_NSB_4plusIvEENSB_8equal_toIvEES6_EE10hipError_tPvRmT2_T3_T4_T5_mT6_T7_P12ihipStream_tbENKUlT_T0_E_clISt17integral_constantIbLb1EES12_IbLb0EEEEDaSY_SZ_EUlSY_E_NS1_11comp_targetILNS1_3genE8ELNS1_11target_archE1030ELNS1_3gpuE2ELNS1_3repE0EEENS1_30default_config_static_selectorELNS0_4arch9wavefront6targetE0EEEvT1_,comdat
.Lfunc_end2019:
	.size	_ZN7rocprim17ROCPRIM_400000_NS6detail17trampoline_kernelINS0_14default_configENS1_27scan_by_key_config_selectorIj11FixedVectorIiLj2EEEEZZNS1_16scan_by_key_implILNS1_25lookback_scan_determinismE0ELb1ES3_N6thrust23THRUST_200600_302600_NS6detail15normal_iteratorINSB_10device_ptrIjEEEENSD_INSE_IS6_EEEESI_S6_NSB_4plusIvEENSB_8equal_toIvEES6_EE10hipError_tPvRmT2_T3_T4_T5_mT6_T7_P12ihipStream_tbENKUlT_T0_E_clISt17integral_constantIbLb1EES12_IbLb0EEEEDaSY_SZ_EUlSY_E_NS1_11comp_targetILNS1_3genE8ELNS1_11target_archE1030ELNS1_3gpuE2ELNS1_3repE0EEENS1_30default_config_static_selectorELNS0_4arch9wavefront6targetE0EEEvT1_, .Lfunc_end2019-_ZN7rocprim17ROCPRIM_400000_NS6detail17trampoline_kernelINS0_14default_configENS1_27scan_by_key_config_selectorIj11FixedVectorIiLj2EEEEZZNS1_16scan_by_key_implILNS1_25lookback_scan_determinismE0ELb1ES3_N6thrust23THRUST_200600_302600_NS6detail15normal_iteratorINSB_10device_ptrIjEEEENSD_INSE_IS6_EEEESI_S6_NSB_4plusIvEENSB_8equal_toIvEES6_EE10hipError_tPvRmT2_T3_T4_T5_mT6_T7_P12ihipStream_tbENKUlT_T0_E_clISt17integral_constantIbLb1EES12_IbLb0EEEEDaSY_SZ_EUlSY_E_NS1_11comp_targetILNS1_3genE8ELNS1_11target_archE1030ELNS1_3gpuE2ELNS1_3repE0EEENS1_30default_config_static_selectorELNS0_4arch9wavefront6targetE0EEEvT1_
                                        ; -- End function
	.set _ZN7rocprim17ROCPRIM_400000_NS6detail17trampoline_kernelINS0_14default_configENS1_27scan_by_key_config_selectorIj11FixedVectorIiLj2EEEEZZNS1_16scan_by_key_implILNS1_25lookback_scan_determinismE0ELb1ES3_N6thrust23THRUST_200600_302600_NS6detail15normal_iteratorINSB_10device_ptrIjEEEENSD_INSE_IS6_EEEESI_S6_NSB_4plusIvEENSB_8equal_toIvEES6_EE10hipError_tPvRmT2_T3_T4_T5_mT6_T7_P12ihipStream_tbENKUlT_T0_E_clISt17integral_constantIbLb1EES12_IbLb0EEEEDaSY_SZ_EUlSY_E_NS1_11comp_targetILNS1_3genE8ELNS1_11target_archE1030ELNS1_3gpuE2ELNS1_3repE0EEENS1_30default_config_static_selectorELNS0_4arch9wavefront6targetE0EEEvT1_.num_vgpr, 0
	.set _ZN7rocprim17ROCPRIM_400000_NS6detail17trampoline_kernelINS0_14default_configENS1_27scan_by_key_config_selectorIj11FixedVectorIiLj2EEEEZZNS1_16scan_by_key_implILNS1_25lookback_scan_determinismE0ELb1ES3_N6thrust23THRUST_200600_302600_NS6detail15normal_iteratorINSB_10device_ptrIjEEEENSD_INSE_IS6_EEEESI_S6_NSB_4plusIvEENSB_8equal_toIvEES6_EE10hipError_tPvRmT2_T3_T4_T5_mT6_T7_P12ihipStream_tbENKUlT_T0_E_clISt17integral_constantIbLb1EES12_IbLb0EEEEDaSY_SZ_EUlSY_E_NS1_11comp_targetILNS1_3genE8ELNS1_11target_archE1030ELNS1_3gpuE2ELNS1_3repE0EEENS1_30default_config_static_selectorELNS0_4arch9wavefront6targetE0EEEvT1_.num_agpr, 0
	.set _ZN7rocprim17ROCPRIM_400000_NS6detail17trampoline_kernelINS0_14default_configENS1_27scan_by_key_config_selectorIj11FixedVectorIiLj2EEEEZZNS1_16scan_by_key_implILNS1_25lookback_scan_determinismE0ELb1ES3_N6thrust23THRUST_200600_302600_NS6detail15normal_iteratorINSB_10device_ptrIjEEEENSD_INSE_IS6_EEEESI_S6_NSB_4plusIvEENSB_8equal_toIvEES6_EE10hipError_tPvRmT2_T3_T4_T5_mT6_T7_P12ihipStream_tbENKUlT_T0_E_clISt17integral_constantIbLb1EES12_IbLb0EEEEDaSY_SZ_EUlSY_E_NS1_11comp_targetILNS1_3genE8ELNS1_11target_archE1030ELNS1_3gpuE2ELNS1_3repE0EEENS1_30default_config_static_selectorELNS0_4arch9wavefront6targetE0EEEvT1_.numbered_sgpr, 0
	.set _ZN7rocprim17ROCPRIM_400000_NS6detail17trampoline_kernelINS0_14default_configENS1_27scan_by_key_config_selectorIj11FixedVectorIiLj2EEEEZZNS1_16scan_by_key_implILNS1_25lookback_scan_determinismE0ELb1ES3_N6thrust23THRUST_200600_302600_NS6detail15normal_iteratorINSB_10device_ptrIjEEEENSD_INSE_IS6_EEEESI_S6_NSB_4plusIvEENSB_8equal_toIvEES6_EE10hipError_tPvRmT2_T3_T4_T5_mT6_T7_P12ihipStream_tbENKUlT_T0_E_clISt17integral_constantIbLb1EES12_IbLb0EEEEDaSY_SZ_EUlSY_E_NS1_11comp_targetILNS1_3genE8ELNS1_11target_archE1030ELNS1_3gpuE2ELNS1_3repE0EEENS1_30default_config_static_selectorELNS0_4arch9wavefront6targetE0EEEvT1_.num_named_barrier, 0
	.set _ZN7rocprim17ROCPRIM_400000_NS6detail17trampoline_kernelINS0_14default_configENS1_27scan_by_key_config_selectorIj11FixedVectorIiLj2EEEEZZNS1_16scan_by_key_implILNS1_25lookback_scan_determinismE0ELb1ES3_N6thrust23THRUST_200600_302600_NS6detail15normal_iteratorINSB_10device_ptrIjEEEENSD_INSE_IS6_EEEESI_S6_NSB_4plusIvEENSB_8equal_toIvEES6_EE10hipError_tPvRmT2_T3_T4_T5_mT6_T7_P12ihipStream_tbENKUlT_T0_E_clISt17integral_constantIbLb1EES12_IbLb0EEEEDaSY_SZ_EUlSY_E_NS1_11comp_targetILNS1_3genE8ELNS1_11target_archE1030ELNS1_3gpuE2ELNS1_3repE0EEENS1_30default_config_static_selectorELNS0_4arch9wavefront6targetE0EEEvT1_.private_seg_size, 0
	.set _ZN7rocprim17ROCPRIM_400000_NS6detail17trampoline_kernelINS0_14default_configENS1_27scan_by_key_config_selectorIj11FixedVectorIiLj2EEEEZZNS1_16scan_by_key_implILNS1_25lookback_scan_determinismE0ELb1ES3_N6thrust23THRUST_200600_302600_NS6detail15normal_iteratorINSB_10device_ptrIjEEEENSD_INSE_IS6_EEEESI_S6_NSB_4plusIvEENSB_8equal_toIvEES6_EE10hipError_tPvRmT2_T3_T4_T5_mT6_T7_P12ihipStream_tbENKUlT_T0_E_clISt17integral_constantIbLb1EES12_IbLb0EEEEDaSY_SZ_EUlSY_E_NS1_11comp_targetILNS1_3genE8ELNS1_11target_archE1030ELNS1_3gpuE2ELNS1_3repE0EEENS1_30default_config_static_selectorELNS0_4arch9wavefront6targetE0EEEvT1_.uses_vcc, 0
	.set _ZN7rocprim17ROCPRIM_400000_NS6detail17trampoline_kernelINS0_14default_configENS1_27scan_by_key_config_selectorIj11FixedVectorIiLj2EEEEZZNS1_16scan_by_key_implILNS1_25lookback_scan_determinismE0ELb1ES3_N6thrust23THRUST_200600_302600_NS6detail15normal_iteratorINSB_10device_ptrIjEEEENSD_INSE_IS6_EEEESI_S6_NSB_4plusIvEENSB_8equal_toIvEES6_EE10hipError_tPvRmT2_T3_T4_T5_mT6_T7_P12ihipStream_tbENKUlT_T0_E_clISt17integral_constantIbLb1EES12_IbLb0EEEEDaSY_SZ_EUlSY_E_NS1_11comp_targetILNS1_3genE8ELNS1_11target_archE1030ELNS1_3gpuE2ELNS1_3repE0EEENS1_30default_config_static_selectorELNS0_4arch9wavefront6targetE0EEEvT1_.uses_flat_scratch, 0
	.set _ZN7rocprim17ROCPRIM_400000_NS6detail17trampoline_kernelINS0_14default_configENS1_27scan_by_key_config_selectorIj11FixedVectorIiLj2EEEEZZNS1_16scan_by_key_implILNS1_25lookback_scan_determinismE0ELb1ES3_N6thrust23THRUST_200600_302600_NS6detail15normal_iteratorINSB_10device_ptrIjEEEENSD_INSE_IS6_EEEESI_S6_NSB_4plusIvEENSB_8equal_toIvEES6_EE10hipError_tPvRmT2_T3_T4_T5_mT6_T7_P12ihipStream_tbENKUlT_T0_E_clISt17integral_constantIbLb1EES12_IbLb0EEEEDaSY_SZ_EUlSY_E_NS1_11comp_targetILNS1_3genE8ELNS1_11target_archE1030ELNS1_3gpuE2ELNS1_3repE0EEENS1_30default_config_static_selectorELNS0_4arch9wavefront6targetE0EEEvT1_.has_dyn_sized_stack, 0
	.set _ZN7rocprim17ROCPRIM_400000_NS6detail17trampoline_kernelINS0_14default_configENS1_27scan_by_key_config_selectorIj11FixedVectorIiLj2EEEEZZNS1_16scan_by_key_implILNS1_25lookback_scan_determinismE0ELb1ES3_N6thrust23THRUST_200600_302600_NS6detail15normal_iteratorINSB_10device_ptrIjEEEENSD_INSE_IS6_EEEESI_S6_NSB_4plusIvEENSB_8equal_toIvEES6_EE10hipError_tPvRmT2_T3_T4_T5_mT6_T7_P12ihipStream_tbENKUlT_T0_E_clISt17integral_constantIbLb1EES12_IbLb0EEEEDaSY_SZ_EUlSY_E_NS1_11comp_targetILNS1_3genE8ELNS1_11target_archE1030ELNS1_3gpuE2ELNS1_3repE0EEENS1_30default_config_static_selectorELNS0_4arch9wavefront6targetE0EEEvT1_.has_recursion, 0
	.set _ZN7rocprim17ROCPRIM_400000_NS6detail17trampoline_kernelINS0_14default_configENS1_27scan_by_key_config_selectorIj11FixedVectorIiLj2EEEEZZNS1_16scan_by_key_implILNS1_25lookback_scan_determinismE0ELb1ES3_N6thrust23THRUST_200600_302600_NS6detail15normal_iteratorINSB_10device_ptrIjEEEENSD_INSE_IS6_EEEESI_S6_NSB_4plusIvEENSB_8equal_toIvEES6_EE10hipError_tPvRmT2_T3_T4_T5_mT6_T7_P12ihipStream_tbENKUlT_T0_E_clISt17integral_constantIbLb1EES12_IbLb0EEEEDaSY_SZ_EUlSY_E_NS1_11comp_targetILNS1_3genE8ELNS1_11target_archE1030ELNS1_3gpuE2ELNS1_3repE0EEENS1_30default_config_static_selectorELNS0_4arch9wavefront6targetE0EEEvT1_.has_indirect_call, 0
	.section	.AMDGPU.csdata,"",@progbits
; Kernel info:
; codeLenInByte = 0
; TotalNumSgprs: 0
; NumVgprs: 0
; ScratchSize: 0
; MemoryBound: 0
; FloatMode: 240
; IeeeMode: 1
; LDSByteSize: 0 bytes/workgroup (compile time only)
; SGPRBlocks: 0
; VGPRBlocks: 0
; NumSGPRsForWavesPerEU: 1
; NumVGPRsForWavesPerEU: 1
; NamedBarCnt: 0
; Occupancy: 16
; WaveLimiterHint : 0
; COMPUTE_PGM_RSRC2:SCRATCH_EN: 0
; COMPUTE_PGM_RSRC2:USER_SGPR: 2
; COMPUTE_PGM_RSRC2:TRAP_HANDLER: 0
; COMPUTE_PGM_RSRC2:TGID_X_EN: 1
; COMPUTE_PGM_RSRC2:TGID_Y_EN: 0
; COMPUTE_PGM_RSRC2:TGID_Z_EN: 0
; COMPUTE_PGM_RSRC2:TIDIG_COMP_CNT: 0
	.section	.text._ZN7rocprim17ROCPRIM_400000_NS6detail17trampoline_kernelINS0_14default_configENS1_27scan_by_key_config_selectorIj11FixedVectorIiLj2EEEEZZNS1_16scan_by_key_implILNS1_25lookback_scan_determinismE0ELb1ES3_N6thrust23THRUST_200600_302600_NS6detail15normal_iteratorINSB_10device_ptrIjEEEENSD_INSE_IS6_EEEESI_S6_NSB_4plusIvEENSB_8equal_toIvEES6_EE10hipError_tPvRmT2_T3_T4_T5_mT6_T7_P12ihipStream_tbENKUlT_T0_E_clISt17integral_constantIbLb0EES12_IbLb1EEEEDaSY_SZ_EUlSY_E_NS1_11comp_targetILNS1_3genE0ELNS1_11target_archE4294967295ELNS1_3gpuE0ELNS1_3repE0EEENS1_30default_config_static_selectorELNS0_4arch9wavefront6targetE0EEEvT1_,"axG",@progbits,_ZN7rocprim17ROCPRIM_400000_NS6detail17trampoline_kernelINS0_14default_configENS1_27scan_by_key_config_selectorIj11FixedVectorIiLj2EEEEZZNS1_16scan_by_key_implILNS1_25lookback_scan_determinismE0ELb1ES3_N6thrust23THRUST_200600_302600_NS6detail15normal_iteratorINSB_10device_ptrIjEEEENSD_INSE_IS6_EEEESI_S6_NSB_4plusIvEENSB_8equal_toIvEES6_EE10hipError_tPvRmT2_T3_T4_T5_mT6_T7_P12ihipStream_tbENKUlT_T0_E_clISt17integral_constantIbLb0EES12_IbLb1EEEEDaSY_SZ_EUlSY_E_NS1_11comp_targetILNS1_3genE0ELNS1_11target_archE4294967295ELNS1_3gpuE0ELNS1_3repE0EEENS1_30default_config_static_selectorELNS0_4arch9wavefront6targetE0EEEvT1_,comdat
	.protected	_ZN7rocprim17ROCPRIM_400000_NS6detail17trampoline_kernelINS0_14default_configENS1_27scan_by_key_config_selectorIj11FixedVectorIiLj2EEEEZZNS1_16scan_by_key_implILNS1_25lookback_scan_determinismE0ELb1ES3_N6thrust23THRUST_200600_302600_NS6detail15normal_iteratorINSB_10device_ptrIjEEEENSD_INSE_IS6_EEEESI_S6_NSB_4plusIvEENSB_8equal_toIvEES6_EE10hipError_tPvRmT2_T3_T4_T5_mT6_T7_P12ihipStream_tbENKUlT_T0_E_clISt17integral_constantIbLb0EES12_IbLb1EEEEDaSY_SZ_EUlSY_E_NS1_11comp_targetILNS1_3genE0ELNS1_11target_archE4294967295ELNS1_3gpuE0ELNS1_3repE0EEENS1_30default_config_static_selectorELNS0_4arch9wavefront6targetE0EEEvT1_ ; -- Begin function _ZN7rocprim17ROCPRIM_400000_NS6detail17trampoline_kernelINS0_14default_configENS1_27scan_by_key_config_selectorIj11FixedVectorIiLj2EEEEZZNS1_16scan_by_key_implILNS1_25lookback_scan_determinismE0ELb1ES3_N6thrust23THRUST_200600_302600_NS6detail15normal_iteratorINSB_10device_ptrIjEEEENSD_INSE_IS6_EEEESI_S6_NSB_4plusIvEENSB_8equal_toIvEES6_EE10hipError_tPvRmT2_T3_T4_T5_mT6_T7_P12ihipStream_tbENKUlT_T0_E_clISt17integral_constantIbLb0EES12_IbLb1EEEEDaSY_SZ_EUlSY_E_NS1_11comp_targetILNS1_3genE0ELNS1_11target_archE4294967295ELNS1_3gpuE0ELNS1_3repE0EEENS1_30default_config_static_selectorELNS0_4arch9wavefront6targetE0EEEvT1_
	.globl	_ZN7rocprim17ROCPRIM_400000_NS6detail17trampoline_kernelINS0_14default_configENS1_27scan_by_key_config_selectorIj11FixedVectorIiLj2EEEEZZNS1_16scan_by_key_implILNS1_25lookback_scan_determinismE0ELb1ES3_N6thrust23THRUST_200600_302600_NS6detail15normal_iteratorINSB_10device_ptrIjEEEENSD_INSE_IS6_EEEESI_S6_NSB_4plusIvEENSB_8equal_toIvEES6_EE10hipError_tPvRmT2_T3_T4_T5_mT6_T7_P12ihipStream_tbENKUlT_T0_E_clISt17integral_constantIbLb0EES12_IbLb1EEEEDaSY_SZ_EUlSY_E_NS1_11comp_targetILNS1_3genE0ELNS1_11target_archE4294967295ELNS1_3gpuE0ELNS1_3repE0EEENS1_30default_config_static_selectorELNS0_4arch9wavefront6targetE0EEEvT1_
	.p2align	8
	.type	_ZN7rocprim17ROCPRIM_400000_NS6detail17trampoline_kernelINS0_14default_configENS1_27scan_by_key_config_selectorIj11FixedVectorIiLj2EEEEZZNS1_16scan_by_key_implILNS1_25lookback_scan_determinismE0ELb1ES3_N6thrust23THRUST_200600_302600_NS6detail15normal_iteratorINSB_10device_ptrIjEEEENSD_INSE_IS6_EEEESI_S6_NSB_4plusIvEENSB_8equal_toIvEES6_EE10hipError_tPvRmT2_T3_T4_T5_mT6_T7_P12ihipStream_tbENKUlT_T0_E_clISt17integral_constantIbLb0EES12_IbLb1EEEEDaSY_SZ_EUlSY_E_NS1_11comp_targetILNS1_3genE0ELNS1_11target_archE4294967295ELNS1_3gpuE0ELNS1_3repE0EEENS1_30default_config_static_selectorELNS0_4arch9wavefront6targetE0EEEvT1_,@function
_ZN7rocprim17ROCPRIM_400000_NS6detail17trampoline_kernelINS0_14default_configENS1_27scan_by_key_config_selectorIj11FixedVectorIiLj2EEEEZZNS1_16scan_by_key_implILNS1_25lookback_scan_determinismE0ELb1ES3_N6thrust23THRUST_200600_302600_NS6detail15normal_iteratorINSB_10device_ptrIjEEEENSD_INSE_IS6_EEEESI_S6_NSB_4plusIvEENSB_8equal_toIvEES6_EE10hipError_tPvRmT2_T3_T4_T5_mT6_T7_P12ihipStream_tbENKUlT_T0_E_clISt17integral_constantIbLb0EES12_IbLb1EEEEDaSY_SZ_EUlSY_E_NS1_11comp_targetILNS1_3genE0ELNS1_11target_archE4294967295ELNS1_3gpuE0ELNS1_3repE0EEENS1_30default_config_static_selectorELNS0_4arch9wavefront6targetE0EEEvT1_: ; @_ZN7rocprim17ROCPRIM_400000_NS6detail17trampoline_kernelINS0_14default_configENS1_27scan_by_key_config_selectorIj11FixedVectorIiLj2EEEEZZNS1_16scan_by_key_implILNS1_25lookback_scan_determinismE0ELb1ES3_N6thrust23THRUST_200600_302600_NS6detail15normal_iteratorINSB_10device_ptrIjEEEENSD_INSE_IS6_EEEESI_S6_NSB_4plusIvEENSB_8equal_toIvEES6_EE10hipError_tPvRmT2_T3_T4_T5_mT6_T7_P12ihipStream_tbENKUlT_T0_E_clISt17integral_constantIbLb0EES12_IbLb1EEEEDaSY_SZ_EUlSY_E_NS1_11comp_targetILNS1_3genE0ELNS1_11target_archE4294967295ELNS1_3gpuE0ELNS1_3repE0EEENS1_30default_config_static_selectorELNS0_4arch9wavefront6targetE0EEEvT1_
; %bb.0:
	s_clause 0x3
	s_load_b256 s[8:15], s[0:1], 0x0
	s_load_b64 s[26:27], s[0:1], 0x20
	s_load_b128 s[16:19], s[0:1], 0x30
	s_load_b64 s[28:29], s[0:1], 0x40
	v_cmp_ne_u32_e64 s3, 0, v0
	v_cmp_eq_u32_e64 s2, 0, v0
	s_and_saveexec_b32 s4, s2
	s_cbranch_execz .LBB2020_4
; %bb.1:
	s_mov_b32 s6, exec_lo
	s_mov_b32 s5, exec_lo
	v_mbcnt_lo_u32_b32 v1, s6, 0
                                        ; implicit-def: $vgpr2
	s_delay_alu instid0(VALU_DEP_1)
	v_cmpx_eq_u32_e32 0, v1
	s_cbranch_execz .LBB2020_3
; %bb.2:
	s_load_b64 s[20:21], s[0:1], 0x70
	s_bcnt1_i32_b32 s6, s6
	s_delay_alu instid0(SALU_CYCLE_1)
	v_dual_mov_b32 v2, 0 :: v_dual_mov_b32 v3, s6
	s_wait_xcnt 0x0
	s_wait_kmcnt 0x0
	global_atomic_add_u32 v2, v2, v3, s[20:21] th:TH_ATOMIC_RETURN scope:SCOPE_DEV
.LBB2020_3:
	s_wait_xcnt 0x0
	s_or_b32 exec_lo, exec_lo, s5
	s_wait_loadcnt 0x0
	v_readfirstlane_b32 s5, v2
	s_delay_alu instid0(VALU_DEP_1)
	v_dual_mov_b32 v2, 0 :: v_dual_add_nc_u32 v1, s5, v1
	ds_store_b32 v2, v1
.LBB2020_4:
	s_or_b32 exec_lo, exec_lo, s4
	v_mov_b32_e32 v3, 0
	s_clause 0x1
	s_load_b32 s4, s[0:1], 0x48
	s_load_b128 s[20:23], s[0:1], 0x50
	s_wait_dscnt 0x0
	s_barrier_signal -1
	s_barrier_wait -1
	ds_load_b32 v2, v3
	s_wait_kmcnt 0x0
	s_lshl_b64 s[0:1], s[10:11], 2
	s_mov_b32 s5, 0
	s_add_nc_u64 s[6:7], s[8:9], s[0:1]
	s_lshl_b64 s[24:25], s[10:11], 3
	s_wait_dscnt 0x0
	s_add_nc_u64 s[8:9], s[12:13], s[24:25]
	s_barrier_signal -1
	s_barrier_wait -1
	s_barrier_signal -1
	s_barrier_wait -1
	s_mul_u64 s[0:1], s[28:29], s[4:5]
	s_add_nc_u64 s[10:11], s[20:21], -1
	s_delay_alu instid0(SALU_CYCLE_1)
	s_mul_i32 s19, s10, 0xfffffb00
	v_add_nc_u64_e32 v[4:5], s[0:1], v[2:3]
	v_readfirstlane_b32 s33, v2
	s_mul_i32 s4, s33, 0x500
	v_cmp_le_u64_e64 s0, s[10:11], v[4:5]
	s_lshl_b64 s[12:13], s[4:5], 2
	s_lshl_b64 s[20:21], s[4:5], 3
	s_add_nc_u64 s[34:35], s[6:7], s[12:13]
	s_add_nc_u64 s[30:31], s[8:9], s[20:21]
	s_and_b32 vcc_lo, exec_lo, s0
	s_cbranch_vccz .LBB2020_66
; %bb.5:
	flat_load_b32 v1, v3, s[34:35]
	s_add_co_i32 s37, s19, s18
	s_delay_alu instid0(SALU_CYCLE_1)
	v_cmp_gt_u32_e32 vcc_lo, s37, v0
	s_wait_loadcnt_dscnt 0x0
	v_mov_b32_e32 v2, v1
	s_and_saveexec_b32 s1, vcc_lo
	s_cbranch_execz .LBB2020_7
; %bb.6:
	flat_load_b32 v2, v0, s[34:35] scale_offset
.LBB2020_7:
	s_wait_xcnt 0x0
	s_or_b32 exec_lo, exec_lo, s1
	v_or_b32_e32 v3, 0x80, v0
	s_delay_alu instid0(VALU_DEP_1)
	v_cmp_gt_u32_e64 s1, s37, v3
	v_mov_b32_e32 v3, v1
	s_and_saveexec_b32 s4, s1
	s_cbranch_execz .LBB2020_9
; %bb.8:
	flat_load_b32 v3, v0, s[34:35] offset:512 scale_offset
.LBB2020_9:
	s_wait_xcnt 0x0
	s_or_b32 exec_lo, exec_lo, s4
	v_or_b32_e32 v4, 0x100, v0
	s_delay_alu instid0(VALU_DEP_1)
	v_cmp_gt_u32_e64 s4, s37, v4
	v_mov_b32_e32 v4, v1
	s_and_saveexec_b32 s5, s4
	s_cbranch_execz .LBB2020_11
; %bb.10:
	flat_load_b32 v4, v0, s[34:35] offset:1024 scale_offset
.LBB2020_11:
	;; [unrolled: 11-line block ×8, first 2 shown]
	s_wait_xcnt 0x0
	s_or_b32 exec_lo, exec_lo, s11
	v_or_b32_e32 v11, 0x480, v0
	s_delay_alu instid0(VALU_DEP_1) | instskip(SKIP_2) | instid1(SALU_CYCLE_1)
	v_cmp_gt_u32_e64 s11, s37, v11
	v_cmp_le_u32_e64 s12, s37, v11
	s_and_saveexec_b32 s13, s12
	s_xor_b32 s12, exec_lo, s13
	s_delay_alu instid0(SALU_CYCLE_1)
	s_and_not1_saveexec_b32 s12, s12
	s_cbranch_execz .LBB2020_25
; %bb.24:
	flat_load_b32 v1, v0, s[34:35] offset:4608 scale_offset
.LBB2020_25:
	s_wait_xcnt 0x0
	s_or_b32 exec_lo, exec_lo, s12
	v_lshlrev_b32_e32 v11, 2, v0
	s_mov_b32 s13, exec_lo
	s_wait_loadcnt_dscnt 0x0
	ds_store_2addr_stride64_b32 v11, v2, v3 offset1:2
	ds_store_2addr_stride64_b32 v11, v4, v5 offset0:4 offset1:6
	ds_store_2addr_stride64_b32 v11, v6, v7 offset0:8 offset1:10
	;; [unrolled: 1-line block ×4, first 2 shown]
	v_mov_b32_e32 v1, 0
	s_wait_dscnt 0x0
	s_barrier_signal -1
	s_barrier_wait -1
	flat_load_b32 v54, v1, s[34:35]
	s_wait_xcnt 0x0
	v_mad_u32_u24 v1, v0, 36, v11
	ds_load_2addr_b64 v[10:13], v1 offset1:1
	ds_load_2addr_b64 v[6:9], v1 offset0:2 offset1:3
	ds_load_b64 v[2:3], v1 offset:32
	v_mad_i32_i24 v1, 0xffffffdc, v0, v1
	s_wait_dscnt 0x2
	ds_store_b32 v1, v10 offset:5632
	s_wait_loadcnt_dscnt 0x0
	s_barrier_signal -1
	s_barrier_wait -1
	v_cmpx_ne_u32_e32 0x7f, v0
; %bb.26:
	ds_load_b32 v54, v1 offset:5636
; %bb.27:
	s_or_b32 exec_lo, exec_lo, s13
	v_mov_b64_e32 v[4:5], 0
	v_mov_b64_e32 v[14:15], 0
	s_wait_dscnt 0x0
	s_barrier_signal -1
	s_barrier_wait -1
	s_and_saveexec_b32 s12, vcc_lo
	s_cbranch_execz .LBB2020_29
; %bb.28:
	flat_load_b64 v[14:15], v0, s[30:31] scale_offset
.LBB2020_29:
	s_wait_xcnt 0x0
	s_or_b32 exec_lo, exec_lo, s12
	s_and_saveexec_b32 s12, s1
	s_cbranch_execz .LBB2020_31
; %bb.30:
	flat_load_b64 v[4:5], v0, s[30:31] offset:1024 scale_offset
.LBB2020_31:
	s_wait_xcnt 0x0
	s_or_b32 exec_lo, exec_lo, s12
	v_mov_b64_e32 v[16:17], 0
	v_mov_b64_e32 v[18:19], 0
	s_and_saveexec_b32 s1, s4
	s_cbranch_execz .LBB2020_33
; %bb.32:
	flat_load_b64 v[18:19], v0, s[30:31] offset:2048 scale_offset
.LBB2020_33:
	s_wait_xcnt 0x0
	s_or_b32 exec_lo, exec_lo, s1
	s_and_saveexec_b32 s1, s5
	s_cbranch_execz .LBB2020_35
; %bb.34:
	flat_load_b64 v[16:17], v0, s[30:31] offset:3072 scale_offset
.LBB2020_35:
	s_wait_xcnt 0x0
	s_or_b32 exec_lo, exec_lo, s1
	v_mov_b64_e32 v[20:21], 0
	v_mov_b64_e32 v[22:23], 0
	s_and_saveexec_b32 s1, s6
	s_cbranch_execz .LBB2020_37
; %bb.36:
	flat_load_b64 v[22:23], v0, s[30:31] offset:4096 scale_offset
.LBB2020_37:
	;; [unrolled: 16-line block ×4, first 2 shown]
	s_wait_xcnt 0x0
	s_or_b32 exec_lo, exec_lo, s1
	v_mul_u32_u24_e32 v55, 10, v0
	s_and_saveexec_b32 s1, s11
	s_cbranch_execz .LBB2020_47
; %bb.46:
	flat_load_b64 v[28:29], v0, s[30:31] offset:9216 scale_offset
.LBB2020_47:
	s_wait_xcnt 0x0
	s_or_b32 exec_lo, exec_lo, s1
	v_lshl_add_u32 v56, v0, 2, v1
	v_mov_b64_e32 v[44:45], 0
	v_mov_b64_e32 v[46:47], 0
	v_mov_b64_e32 v[48:49], 0
	v_mov_b64_e32 v[42:43], 0
	s_wait_loadcnt_dscnt 0x0
	ds_store_2addr_stride64_b64 v56, v[14:15], v[4:5] offset1:2
	ds_store_2addr_stride64_b64 v56, v[18:19], v[16:17] offset0:4 offset1:6
	ds_store_2addr_stride64_b64 v56, v[22:23], v[20:21] offset0:8 offset1:10
	;; [unrolled: 1-line block ×4, first 2 shown]
	v_mov_b64_e32 v[26:27], 0
	v_mov_b64_e32 v[20:21], 0
	;; [unrolled: 1-line block ×12, first 2 shown]
	v_cmp_gt_u32_e32 vcc_lo, s37, v55
	v_dual_mov_b32 v1, 0 :: v_dual_mov_b32 v50, 0
	v_dual_mov_b32 v57, 0 :: v_dual_mov_b32 v58, 0
	;; [unrolled: 1-line block ×8, first 2 shown]
	s_mov_b32 s12, 0
	s_mov_b32 s5, 0
	s_wait_dscnt 0x0
	s_barrier_signal -1
	s_barrier_wait -1
                                        ; implicit-def: $sgpr13
                                        ; implicit-def: $vgpr4_vgpr5
	s_and_saveexec_b32 s36, vcc_lo
	s_cbranch_execz .LBB2020_65
; %bb.48:
	v_mad_u32_u24 v4, 0x48, v0, v56
	v_dual_mov_b32 v1, 0 :: v_dual_bitop2_b32 v15, 1, v55 bitop3:0x54
	v_cmp_ne_u32_e32 vcc_lo, v10, v11
	v_mov_b64_e32 v[20:21], 0
	ds_load_b64 v[4:5], v4
	v_mov_b64_e32 v[18:19], 0
	v_mov_b64_e32 v[24:25], 0
	;; [unrolled: 1-line block ×13, first 2 shown]
	v_dual_mov_b32 v57, 0 :: v_dual_mov_b32 v58, 0
	v_dual_mov_b32 v59, 0 :: v_dual_mov_b32 v60, 0
	;; [unrolled: 1-line block ×3, first 2 shown]
	v_cmp_gt_u32_e64 s1, s37, v15
	s_wait_dscnt 0x0
	v_cndmask_b32_e64 v27, v5, s27, vcc_lo
	v_cndmask_b32_e64 v26, v4, s26, vcc_lo
	v_dual_mov_b32 v51, 0 :: v_dual_mov_b32 v53, 0
	v_dual_mov_b32 v52, 0 :: v_dual_mov_b32 v62, 0
	v_dual_mov_b32 v63, 0 :: v_dual_mov_b32 v15, 0
	v_dual_mov_b32 v64, 0 :: v_dual_mov_b32 v16, 0
	s_mov_b32 s4, 0
                                        ; implicit-def: $sgpr13
                                        ; implicit-def: $vgpr4_vgpr5
	s_and_saveexec_b32 s38, s1
	s_cbranch_execz .LBB2020_64
; %bb.49:
	v_mul_u32_u24_e32 v4, 0x48, v0
	v_dual_add_nc_u32 v5, 2, v55 :: v_dual_mov_b32 v1, 0
	v_cmp_ne_u32_e64 s1, v11, v12
	v_mov_b64_e32 v[18:19], 0
	s_delay_alu instid0(VALU_DEP_4)
	v_dual_mov_b32 v57, 0 :: v_dual_add_nc_u32 v40, v56, v4
	v_mov_b64_e32 v[24:25], 0
	v_mov_b64_e32 v[22:23], 0
	;; [unrolled: 1-line block ×3, first 2 shown]
	ds_load_2addr_b64 v[14:17], v40 offset0:1 offset1:2
	v_mov_b64_e32 v[46:47], 0
	v_mov_b64_e32 v[48:49], 0
	;; [unrolled: 1-line block ×8, first 2 shown]
	v_dual_mov_b32 v58, 0 :: v_dual_mov_b32 v59, 0
	v_dual_mov_b32 v60, 0 :: v_dual_mov_b32 v61, 0
	;; [unrolled: 1-line block ×4, first 2 shown]
	v_mov_b32_e32 v63, 0
	v_cmp_gt_u32_e64 s4, s37, v5
	v_mov_b32_e32 v64, 0
	s_wait_dscnt 0x0
	v_cndmask_b32_e64 v21, v15, s27, s1
	v_cndmask_b32_e64 v20, v14, s26, s1
	v_mov_b32_e32 v15, 0
                                        ; implicit-def: $sgpr13
                                        ; implicit-def: $vgpr4_vgpr5
	s_and_saveexec_b32 s39, s4
	s_cbranch_execz .LBB2020_63
; %bb.50:
	v_cmp_ne_u32_e64 s4, v12, v13
	v_dual_mov_b32 v1, 0 :: v_dual_add_nc_u32 v4, 3, v55
	v_mov_b64_e32 v[24:25], 0
	v_mov_b64_e32 v[22:23], 0
	;; [unrolled: 1-line block ×10, first 2 shown]
	v_cndmask_b32_e64 v19, v17, s27, s4
	v_cndmask_b32_e64 v18, v16, s26, s4
	v_cmp_gt_u32_e64 s5, s37, v4
	v_dual_mov_b32 v57, 0 :: v_dual_mov_b32 v58, 0
	v_dual_mov_b32 v59, 0 :: v_dual_mov_b32 v60, 0
	;; [unrolled: 1-line block ×5, first 2 shown]
	s_mov_b32 s6, 0
                                        ; implicit-def: $sgpr13
                                        ; implicit-def: $vgpr4_vgpr5
	s_and_saveexec_b32 s40, s5
	s_cbranch_execz .LBB2020_62
; %bb.51:
	ds_load_2addr_b64 v[14:17], v40 offset0:3 offset1:4
	v_cmp_ne_u32_e64 s5, v13, v6
	v_dual_mov_b32 v1, 0 :: v_dual_add_nc_u32 v4, 4, v55
	v_mov_b64_e32 v[22:23], 0
	v_mov_b64_e32 v[44:45], 0
	;; [unrolled: 1-line block ×8, first 2 shown]
	v_dual_mov_b32 v57, 0 :: v_dual_mov_b32 v58, 0
	v_dual_mov_b32 v59, 0 :: v_dual_mov_b32 v51, 0
	;; [unrolled: 1-line block ×3, first 2 shown]
	v_cmp_gt_u32_e64 s6, s37, v4
	v_dual_mov_b32 v62, 0 :: v_dual_mov_b32 v63, 0
	s_wait_dscnt 0x0
	v_cndmask_b32_e64 v25, v15, s27, s5
	v_cndmask_b32_e64 v24, v14, s26, s5
	s_mov_b32 s7, 0
                                        ; implicit-def: $sgpr13
                                        ; implicit-def: $vgpr4_vgpr5
	s_and_saveexec_b32 s41, s6
	s_cbranch_execz .LBB2020_61
; %bb.52:
	v_cmp_ne_u32_e64 s6, v6, v7
	v_dual_mov_b32 v1, 0 :: v_dual_add_nc_u32 v4, 5, v55
	v_mov_b64_e32 v[44:45], 0
	v_mov_b64_e32 v[46:47], 0
	;; [unrolled: 1-line block ×6, first 2 shown]
	v_cndmask_b32_e64 v23, v17, s27, s6
	v_cndmask_b32_e64 v22, v16, s26, s6
	v_cmp_gt_u32_e64 s7, s37, v4
	v_dual_mov_b32 v57, 0 :: v_dual_mov_b32 v58, 0
	v_dual_mov_b32 v51, 0 :: v_dual_mov_b32 v53, 0
	;; [unrolled: 1-line block ×3, first 2 shown]
	s_mov_b32 s8, 0
                                        ; implicit-def: $sgpr13
                                        ; implicit-def: $vgpr4_vgpr5
	s_and_saveexec_b32 s42, s7
	s_cbranch_execz .LBB2020_60
; %bb.53:
	ds_load_2addr_b64 v[10:13], v40 offset0:5 offset1:6
	v_cmp_ne_u32_e64 s7, v7, v8
	v_dual_mov_b32 v1, 0 :: v_dual_add_nc_u32 v4, 6, v55
	v_mov_b64_e32 v[46:47], 0
	v_mov_b64_e32 v[48:49], 0
	;; [unrolled: 1-line block ×4, first 2 shown]
	v_dual_mov_b32 v57, 0 :: v_dual_mov_b32 v51, 0
	v_cmp_gt_u32_e64 s8, s37, v4
	v_mov_b32_e32 v52, 0
	s_mov_b32 s9, 0
                                        ; implicit-def: $sgpr13
                                        ; implicit-def: $vgpr4_vgpr5
	s_wait_dscnt 0x0
	v_cndmask_b32_e64 v45, v11, s27, s7
	v_cndmask_b32_e64 v44, v10, s26, s7
	s_and_saveexec_b32 s43, s8
	s_cbranch_execz .LBB2020_59
; %bb.54:
	v_cmp_ne_u32_e64 s8, v8, v9
	v_dual_add_nc_u32 v1, 7, v55 :: v_dual_mov_b32 v51, 0
	v_mov_b64_e32 v[48:49], 0
	v_mov_b64_e32 v[28:29], 0
	s_delay_alu instid0(VALU_DEP_4)
	v_cndmask_b32_e64 v47, v13, s27, s8
	v_cndmask_b32_e64 v46, v12, s26, s8
	v_cmp_gt_u32_e64 s9, s37, v1
	v_mov_b32_e32 v1, 0
	s_mov_b32 s10, 0
                                        ; implicit-def: $sgpr13
                                        ; implicit-def: $vgpr4_vgpr5
	s_and_saveexec_b32 s44, s9
	s_cbranch_execz .LBB2020_58
; %bb.55:
	ds_load_2addr_b64 v[4:7], v40 offset0:7 offset1:8
	v_cmp_ne_u32_e64 s9, v9, v2
	v_mov_b64_e32 v[28:29], 0
	v_dual_add_nc_u32 v1, 8, v55 :: v_dual_mov_b32 v51, 0
	s_mov_b32 s11, 0
	s_mov_b32 s45, exec_lo
                                        ; implicit-def: $sgpr13
	s_wait_dscnt 0x0
	v_cndmask_b32_e64 v49, v5, s27, s9
	v_cndmask_b32_e64 v48, v4, s26, s9
                                        ; implicit-def: $vgpr4_vgpr5
	v_cmpx_gt_u32_e64 s37, v1
	s_xor_b32 s45, exec_lo, s45
	s_cbranch_execz .LBB2020_57
; %bb.56:
	ds_load_b64 v[4:5], v40 offset:72
	v_add_nc_u32_e32 v1, 9, v55
	v_cmp_ne_u32_e64 s10, v2, v3
	v_cmp_ne_u32_e64 s13, v3, v54
	s_delay_alu instid0(VALU_DEP_3) | instskip(NEXT) | instid1(VALU_DEP_3)
	v_cmp_gt_u32_e64 s11, s37, v1
	v_cndmask_b32_e64 v51, 0, 1, s10
	v_cndmask_b32_e64 v29, v7, s27, s10
	;; [unrolled: 1-line block ×3, first 2 shown]
	s_and_b32 s11, s11, exec_lo
.LBB2020_57:
	s_or_b32 exec_lo, exec_lo, s45
	v_cndmask_b32_e64 v1, 0, 1, s9
	s_and_b32 s10, s11, exec_lo
.LBB2020_58:
	s_or_b32 exec_lo, exec_lo, s44
	v_cndmask_b32_e64 v57, 0, 1, s8
	v_mov_b64_e32 v[30:31], v[48:49]
	s_and_b32 s9, s10, exec_lo
	s_delay_alu instid0(VALU_DEP_2)
	v_mov_b32_e32 v52, v57
.LBB2020_59:
	s_or_b32 exec_lo, exec_lo, s43
	v_cndmask_b32_e64 v58, 0, 1, s7
	v_mov_b64_e32 v[32:33], v[46:47]
	v_mov_b32_e32 v53, v1
	s_and_b32 s8, s9, exec_lo
	s_delay_alu instid0(VALU_DEP_3)
	v_mov_b32_e32 v62, v58
.LBB2020_60:
	s_or_b32 exec_lo, exec_lo, s42
	v_cndmask_b32_e64 v59, 0, 1, s6
	v_mov_b64_e32 v[34:35], v[44:45]
	s_and_b32 s7, s8, exec_lo
	s_delay_alu instid0(VALU_DEP_2)
	v_mov_b32_e32 v63, v59
.LBB2020_61:
	s_or_b32 exec_lo, exec_lo, s41
	v_cndmask_b32_e64 v60, 0, 1, s5
	v_mov_b64_e32 v[36:37], v[22:23]
	s_and_b32 s6, s7, exec_lo
	s_delay_alu instid0(VALU_DEP_2)
	v_mov_b32_e32 v15, v60
.LBB2020_62:
	s_or_b32 exec_lo, exec_lo, s40
	v_cndmask_b32_e64 v61, 0, 1, s4
	v_mov_b64_e32 v[38:39], v[24:25]
	s_and_b32 s5, s6, exec_lo
	s_delay_alu instid0(VALU_DEP_2)
	v_mov_b32_e32 v64, v61
.LBB2020_63:
	s_or_b32 exec_lo, exec_lo, s39
	v_cndmask_b32_e64 v14, 0, 1, s1
	v_mov_b64_e32 v[40:41], v[18:19]
	s_and_b32 s4, s5, exec_lo
	s_delay_alu instid0(VALU_DEP_2)
	v_mov_b32_e32 v16, v14
.LBB2020_64:
	s_or_b32 exec_lo, exec_lo, s38
	v_mov_b64_e32 v[42:43], v[20:21]
	v_cndmask_b32_e64 v50, 0, 1, vcc_lo
	s_and_b32 s5, s4, exec_lo
.LBB2020_65:
	s_or_b32 exec_lo, exec_lo, s36
	s_delay_alu instid0(SALU_CYCLE_1)
	s_and_b32 vcc_lo, exec_lo, s12
	s_cbranch_vccnz .LBB2020_67
	s_branch .LBB2020_70
.LBB2020_66:
                                        ; implicit-def: $sgpr13
                                        ; implicit-def: $vgpr4_vgpr5
                                        ; implicit-def: $vgpr26_vgpr27
                                        ; implicit-def: $vgpr50
                                        ; implicit-def: $vgpr20_vgpr21
                                        ; implicit-def: $vgpr18_vgpr19
                                        ; implicit-def: $vgpr24_vgpr25
                                        ; implicit-def: $vgpr22_vgpr23
                                        ; implicit-def: $vgpr44_vgpr45
                                        ; implicit-def: $vgpr46_vgpr47
                                        ; implicit-def: $vgpr48_vgpr49
                                        ; implicit-def: $vgpr1
                                        ; implicit-def: $vgpr57
                                        ; implicit-def: $vgpr58
                                        ; implicit-def: $vgpr59
                                        ; implicit-def: $vgpr60
                                        ; implicit-def: $vgpr61
                                        ; implicit-def: $vgpr14
                                        ; implicit-def: $vgpr42_vgpr43
                                        ; implicit-def: $vgpr40_vgpr41
                                        ; implicit-def: $vgpr38_vgpr39
                                        ; implicit-def: $vgpr36_vgpr37
                                        ; implicit-def: $vgpr34_vgpr35
                                        ; implicit-def: $vgpr32_vgpr33
                                        ; implicit-def: $vgpr30_vgpr31
                                        ; implicit-def: $vgpr28_vgpr29
                                        ; implicit-def: $vgpr51
                                        ; implicit-def: $vgpr53
                                        ; implicit-def: $vgpr52
                                        ; implicit-def: $vgpr62
                                        ; implicit-def: $vgpr63
                                        ; implicit-def: $vgpr15
                                        ; implicit-def: $vgpr64
                                        ; implicit-def: $vgpr16
	s_cbranch_execz .LBB2020_70
.LBB2020_67:
	s_clause 0x2
	flat_load_b32 v1, v0, s[34:35] scale_offset
	flat_load_b32 v2, v0, s[34:35] offset:512 scale_offset
	flat_load_b32 v3, v0, s[34:35] offset:1024 scale_offset
	s_wait_dscnt 0x3
	s_clause 0x6
	flat_load_b32 v4, v0, s[34:35] offset:1536 scale_offset
	flat_load_b32 v5, v0, s[34:35] offset:2048 scale_offset
	;; [unrolled: 1-line block ×7, first 2 shown]
	v_dual_mov_b32 v12, 0 :: v_dual_lshlrev_b32 v11, 2, v0
	s_mov_b32 s1, exec_lo
	s_wait_loadcnt_dscnt 0x808
	ds_store_2addr_stride64_b32 v11, v1, v2 offset1:2
	s_wait_loadcnt_dscnt 0x607
	ds_store_2addr_stride64_b32 v11, v3, v4 offset0:4 offset1:6
	s_wait_loadcnt_dscnt 0x406
	ds_store_2addr_stride64_b32 v11, v5, v6 offset0:8 offset1:10
	;; [unrolled: 2-line block ×4, first 2 shown]
	s_wait_dscnt 0x0
	s_barrier_signal -1
	s_barrier_wait -1
	flat_load_b32 v12, v12, s[34:35] offset:5120
	v_mad_u32_u24 v1, v0, 36, v11
	ds_load_2addr_b64 v[2:5], v1 offset1:1
	ds_load_2addr_b64 v[6:9], v1 offset0:2 offset1:3
	ds_load_b64 v[10:11], v1 offset:32
	v_mad_i32_i24 v1, 0xffffffdc, v0, v1
	s_wait_dscnt 0x2
	ds_store_b32 v1, v2 offset:5632
	s_wait_loadcnt_dscnt 0x0
	s_barrier_signal -1
	s_barrier_wait -1
	v_cmpx_ne_u32_e32 0x7f, v0
; %bb.68:
	ds_load_b32 v12, v1 offset:5636
; %bb.69:
	s_or_b32 exec_lo, exec_lo, s1
	s_wait_dscnt 0x0
	s_barrier_signal -1
	s_barrier_wait -1
	s_clause 0x9
	flat_load_b64 v[16:17], v0, s[30:31] scale_offset
	flat_load_b64 v[18:19], v0, s[30:31] offset:1024 scale_offset
	flat_load_b64 v[20:21], v0, s[30:31] offset:2048 scale_offset
	;; [unrolled: 1-line block ×9, first 2 shown]
	v_lshl_add_u32 v1, v0, 2, v1
	v_cmp_ne_u32_e32 vcc_lo, v3, v4
	v_cmp_ne_u32_e64 s1, v4, v5
	v_cmp_ne_u32_e64 s4, v5, v6
	;; [unrolled: 1-line block ×3, first 2 shown]
	v_mad_u32_u24 v4, 0x48, v0, v1
	v_cmp_ne_u32_e64 s6, v7, v8
	v_cmp_ne_u32_e64 s7, v8, v9
	;; [unrolled: 1-line block ×6, first 2 shown]
	v_cndmask_b32_e64 v14, 0, 1, vcc_lo
	v_cndmask_b32_e64 v61, 0, 1, s1
	v_cndmask_b32_e64 v60, 0, 1, s4
	;; [unrolled: 1-line block ×6, first 2 shown]
	v_dual_mov_b32 v15, v60 :: v_dual_mov_b32 v64, v61
	s_delay_alu instid0(VALU_DEP_4)
	v_dual_mov_b32 v62, v58 :: v_dual_mov_b32 v63, v59
	v_cndmask_b32_e64 v50, 0, 1, s10
	s_wait_loadcnt_dscnt 0x808
	ds_store_2addr_stride64_b64 v1, v[16:17], v[18:19] offset1:2
	s_wait_loadcnt_dscnt 0x607
	ds_store_2addr_stride64_b64 v1, v[20:21], v[22:23] offset0:4 offset1:6
	s_wait_loadcnt_dscnt 0x406
	ds_store_2addr_stride64_b64 v1, v[24:25], v[26:27] offset0:8 offset1:10
	;; [unrolled: 2-line block ×4, first 2 shown]
	s_wait_dscnt 0x0
	s_barrier_signal -1
	s_barrier_wait -1
	ds_load_b128 v[16:19], v4
	ds_load_b128 v[22:25], v4 offset:16
	ds_load_b128 v[6:9], v4 offset:32
	;; [unrolled: 1-line block ×4, first 2 shown]
	v_cndmask_b32_e64 v1, 0, 1, s8
	s_delay_alu instid0(VALU_DEP_1)
	v_dual_mov_b32 v52, v57 :: v_dual_mov_b32 v53, v1
	s_wait_dscnt 0x4
	v_cndmask_b32_e64 v21, v19, s27, vcc_lo
	v_cndmask_b32_e64 v20, v18, s26, vcc_lo
	s_wait_dscnt 0x3
	v_cndmask_b32_e64 v19, v23, s27, s1
	v_cndmask_b32_e64 v18, v22, s26, s1
	v_cndmask_b32_e64 v25, v25, s27, s4
	v_cndmask_b32_e64 v24, v24, s26, s4
	s_wait_dscnt 0x2
	v_cndmask_b32_e64 v23, v7, s27, s5
	v_cndmask_b32_e64 v22, v6, s26, s5
	v_cndmask_b32_e64 v45, v9, s27, s6
	v_cndmask_b32_e64 v44, v8, s26, s6
	;; [unrolled: 5-line block ×3, first 2 shown]
	v_mov_b64_e32 v[42:43], v[20:21]
	v_mov_b64_e32 v[40:41], v[18:19]
	;; [unrolled: 1-line block ×7, first 2 shown]
	v_cndmask_b32_e64 v27, v17, s27, s10
	v_cndmask_b32_e64 v26, v16, s26, s10
	s_wait_dscnt 0x0
	v_cndmask_b32_e64 v29, v3, s27, s9
	v_cndmask_b32_e64 v28, v2, s26, s9
	v_mov_b32_e32 v16, v14
	s_mov_b32 s5, -1
.LBB2020_70:
	v_dual_mov_b32 v54, 0 :: v_dual_mov_b32 v55, 0
	v_mov_b32_e32 v56, 0
	s_and_saveexec_b32 s1, s5
	s_cbranch_execz .LBB2020_72
; %bb.71:
	v_mov_b64_e32 v[30:31], v[48:49]
	v_mov_b64_e32 v[32:33], v[46:47]
	;; [unrolled: 1-line block ×7, first 2 shown]
	v_cndmask_b32_e64 v55, 0, 1, s13
	s_wait_dscnt 0x0
	v_cndmask_b32_e64 v54, v4, s26, s13
	v_cndmask_b32_e64 v56, v5, s27, s13
	v_dual_mov_b32 v16, v14 :: v_dual_mov_b32 v64, v61
	v_dual_mov_b32 v15, v60 :: v_dual_mov_b32 v63, v59
	;; [unrolled: 1-line block ×3, first 2 shown]
	v_mov_b32_e32 v53, v1
.LBB2020_72:
	s_or_b32 exec_lo, exec_lo, s1
	s_delay_alu instid0(VALU_DEP_3)
	v_bitop3_b16 v1, v64, v15, v16 bitop3:0xfe
	v_dual_add_nc_u32 v60, v42, v26 :: v_dual_bitop2_b32 v24, 1, v55 bitop3:0x40
	v_and_b32_e32 v59, 0xff, v16
	v_dual_add_nc_u32 v61, v43, v27 :: v_dual_bitop2_b32 v25, 1, v50 bitop3:0x40
	v_and_b32_e32 v23, 0xffffff00, v50
	v_and_b32_e32 v58, 0xff, v64
	;; [unrolled: 1-line block ×6, first 2 shown]
	v_bitop3_b16 v45, v1, v62, v63 bitop3:0xfe
	v_and_b32_e32 v46, 0xff, v53
	v_and_b32_e32 v44, 0xff, v51
	v_cmp_eq_u32_e64 s11, 1, v24
	v_mbcnt_lo_u32_b32 v22, -1, 0
	s_cmp_lg_u32 s33, 0
	s_wait_dscnt 0x0
	v_cmp_eq_u16_e32 vcc_lo, 0, v55
	s_barrier_signal -1
	s_barrier_wait -1
	s_cbranch_scc0 .LBB2020_181
; %bb.73:
	v_cmp_eq_u16_e64 s10, 0, v59
	v_cmp_eq_u16_e64 s9, 0, v58
	;; [unrolled: 1-line block ×5, first 2 shown]
	v_dual_cndmask_b32 v1, v42, v60, s10 :: v_dual_cndmask_b32 v2, v43, v61, s10
	v_cmp_eq_u16_e64 s4, 0, v47
	v_bitop3_b16 v3, v45, v53, v52 bitop3:0xfe
	v_cmp_eq_u16_e64 s1, 0, v46
	s_delay_alu instid0(VALU_DEP_4) | instskip(SKIP_1) | instid1(VALU_DEP_4)
	v_dual_add_nc_u32 v1, v40, v1 :: v_dual_add_nc_u32 v2, v41, v2
	v_cmp_eq_u16_e64 s6, 0, v44
	v_bitop3_b16 v3, v3, 0xff, v51 bitop3:0xc8
	s_delay_alu instid0(VALU_DEP_3) | instskip(NEXT) | instid1(VALU_DEP_2)
	v_dual_cndmask_b32 v1, v40, v1, s9 :: v_dual_cndmask_b32 v2, v41, v2, s9
	v_cmp_eq_u16_e64 s12, 0, v3
	s_delay_alu instid0(VALU_DEP_2) | instskip(NEXT) | instid1(VALU_DEP_1)
	v_dual_add_nc_u32 v1, v38, v1 :: v_dual_add_nc_u32 v2, v39, v2
	v_dual_cndmask_b32 v1, v38, v1, s8 :: v_dual_cndmask_b32 v2, v39, v2, s8
	s_delay_alu instid0(VALU_DEP_1) | instskip(NEXT) | instid1(VALU_DEP_1)
	v_dual_add_nc_u32 v1, v36, v1 :: v_dual_add_nc_u32 v2, v37, v2
	v_dual_cndmask_b32 v1, v36, v1, s7 :: v_dual_cndmask_b32 v2, v37, v2, s7
	s_delay_alu instid0(VALU_DEP_1) | instskip(NEXT) | instid1(VALU_DEP_1)
	;; [unrolled: 3-line block ×5, first 2 shown]
	v_dual_add_nc_u32 v1, v28, v1 :: v_dual_add_nc_u32 v2, v29, v2
	v_dual_cndmask_b32 v3, 1, v25, s12 :: v_dual_cndmask_b32 v2, v29, v2, s6
	s_delay_alu instid0(VALU_DEP_1) | instskip(NEXT) | instid1(VALU_DEP_3)
	v_cndmask_b32_e64 v5, v3, 1, s11
	v_cndmask_b32_e64 v1, v28, v1, s6
	s_mov_b32 s11, exec_lo
	s_delay_alu instid0(VALU_DEP_2) | instskip(NEXT) | instid1(VALU_DEP_2)
	v_dual_add_nc_u32 v4, v56, v2 :: v_dual_bitop2_b32 v3, v5, v23 bitop3:0x54
	v_add_nc_u32_e32 v1, v54, v1
	s_delay_alu instid0(VALU_DEP_2) | instskip(NEXT) | instid1(VALU_DEP_2)
	v_mov_b32_dpp v6, v3 row_shr:1 row_mask:0xf bank_mask:0xf
	v_dual_cndmask_b32 v2, v54, v1 :: v_dual_cndmask_b32 v1, v56, v4
	v_and_b32_e32 v4, 15, v22
	s_delay_alu instid0(VALU_DEP_2) | instskip(NEXT) | instid1(VALU_DEP_3)
	v_mov_b32_dpp v7, v2 row_shr:1 row_mask:0xf bank_mask:0xf
	v_mov_b32_dpp v8, v1 row_shr:1 row_mask:0xf bank_mask:0xf
	s_delay_alu instid0(VALU_DEP_3)
	v_cmpx_ne_u32_e32 0, v4
	s_cbranch_execz .LBB2020_77
; %bb.74:
	s_mov_b32 s12, exec_lo
	v_cmpx_eq_u32_e32 0, v5
; %bb.75:
	v_dual_add_nc_u32 v2, v2, v7 :: v_dual_add_nc_u32 v1, v1, v8
; %bb.76:
	s_or_b32 exec_lo, exec_lo, s12
	v_and_b32_e32 v3, 1, v6
	s_delay_alu instid0(VALU_DEP_1)
	v_or3_b32 v3, v23, v3, v5
.LBB2020_77:
	s_or_b32 exec_lo, exec_lo, s11
	v_mov_b32_dpp v6, v2 row_shr:2 row_mask:0xf bank_mask:0xf
	v_mov_b32_dpp v7, v1 row_shr:2 row_mask:0xf bank_mask:0xf
	s_delay_alu instid0(VALU_DEP_3)
	v_mov_b32_dpp v5, v3 row_shr:2 row_mask:0xf bank_mask:0xf
	s_mov_b32 s11, exec_lo
	v_cmpx_lt_u32_e32 1, v4
	s_cbranch_execz .LBB2020_83
; %bb.78:
	v_and_b32_e32 v8, 0xff, v3
	s_mov_b32 s12, exec_lo
	s_delay_alu instid0(VALU_DEP_1)
	v_cmpx_ne_u32_e32 0, v8
	s_xor_b32 s12, exec_lo, s12
; %bb.79:
                                        ; implicit-def: $vgpr6
                                        ; implicit-def: $vgpr7
; %bb.80:
	s_delay_alu instid0(SALU_CYCLE_1)
	s_and_not1_saveexec_b32 s12, s12
; %bb.81:
	v_dual_add_nc_u32 v2, v2, v6 :: v_dual_add_nc_u32 v1, v1, v7
; %bb.82:
	s_or_b32 exec_lo, exec_lo, s12
	v_and_b32_e32 v5, 1, v5
	s_delay_alu instid0(VALU_DEP_1)
	v_and_or_b32 v3, 0xffffff01, v3, v5
.LBB2020_83:
	s_or_b32 exec_lo, exec_lo, s11
	v_mov_b32_dpp v6, v2 row_shr:4 row_mask:0xf bank_mask:0xf
	v_mov_b32_dpp v7, v1 row_shr:4 row_mask:0xf bank_mask:0xf
	s_delay_alu instid0(VALU_DEP_3)
	v_mov_b32_dpp v5, v3 row_shr:4 row_mask:0xf bank_mask:0xf
	s_mov_b32 s11, exec_lo
	v_cmpx_lt_u32_e32 3, v4
	s_cbranch_execz .LBB2020_89
; %bb.84:
	v_and_b32_e32 v8, 0xff, v3
	s_mov_b32 s12, exec_lo
	s_delay_alu instid0(VALU_DEP_1)
	v_cmpx_ne_u32_e32 0, v8
	s_xor_b32 s12, exec_lo, s12
; %bb.85:
                                        ; implicit-def: $vgpr6
                                        ; implicit-def: $vgpr7
; %bb.86:
	s_delay_alu instid0(SALU_CYCLE_1)
	s_and_not1_saveexec_b32 s12, s12
; %bb.87:
	v_dual_add_nc_u32 v2, v2, v6 :: v_dual_add_nc_u32 v1, v1, v7
; %bb.88:
	s_or_b32 exec_lo, exec_lo, s12
	v_and_b32_e32 v5, 1, v5
	s_delay_alu instid0(VALU_DEP_1)
	v_and_or_b32 v3, 0xffffff01, v3, v5
.LBB2020_89:
	;; [unrolled: 28-line block ×3, first 2 shown]
	s_or_b32 exec_lo, exec_lo, s11
	ds_swizzle_b32 v5, v2 offset:swizzle(BROADCAST,32,15)
	ds_swizzle_b32 v6, v1 offset:swizzle(BROADCAST,32,15)
	;; [unrolled: 1-line block ×3, first 2 shown]
	v_and_b32_e32 v7, 16, v22
	s_delay_alu instid0(VALU_DEP_1)
	v_cmp_ne_u32_e32 vcc_lo, 0, v7
	v_mov_b32_e32 v7, v3
	s_and_saveexec_b32 s11, vcc_lo
	s_cbranch_execz .LBB2020_101
; %bb.96:
	v_and_b32_e32 v7, 0xff, v3
	s_mov_b32 s12, exec_lo
	s_delay_alu instid0(VALU_DEP_1)
	v_cmpx_ne_u32_e32 0, v7
	s_xor_b32 s12, exec_lo, s12
; %bb.97:
                                        ; implicit-def: $vgpr5
                                        ; implicit-def: $vgpr6
; %bb.98:
	s_delay_alu instid0(SALU_CYCLE_1)
	s_and_not1_saveexec_b32 s12, s12
	s_cbranch_execz .LBB2020_100
; %bb.99:
	s_wait_dscnt 0x1
	v_dual_add_nc_u32 v2, v2, v5 :: v_dual_add_nc_u32 v1, v1, v6
.LBB2020_100:
	s_or_b32 exec_lo, exec_lo, s12
	s_wait_dscnt 0x0
	v_or_b32_e32 v5, v4, v3
	v_and_b32_e32 v4, 1, v4
	s_delay_alu instid0(VALU_DEP_2) | instskip(NEXT) | instid1(VALU_DEP_2)
	v_and_b32_e32 v7, 1, v5
	v_and_or_b32 v3, 0xffffff01, v3, v4
.LBB2020_101:
	s_or_b32 exec_lo, exec_lo, s11
	s_wait_dscnt 0x0
	v_dual_lshrrev_b32 v6, 5, v0 :: v_dual_bitop2_b32 v4, 31, v0 bitop3:0x54
	s_mov_b32 s11, exec_lo
	s_delay_alu instid0(VALU_DEP_1)
	v_cmpx_eq_u32_e64 v0, v4
	s_cbranch_execz .LBB2020_103
; %bb.102:
	s_delay_alu instid0(VALU_DEP_2)
	v_mul_u32_u24_e32 v4, 12, v6
	ds_store_2addr_b32 v4, v2, v1 offset1:1
	ds_store_b8 v4, v7 offset:8
.LBB2020_103:
	s_or_b32 exec_lo, exec_lo, s11
	s_delay_alu instid0(SALU_CYCLE_1)
	s_mov_b32 s11, exec_lo
	s_wait_dscnt 0x0
	s_barrier_signal -1
	s_barrier_wait -1
	v_cmpx_gt_u32_e32 4, v0
	s_cbranch_execz .LBB2020_109
; %bb.104:
	v_mul_u32_u24_e32 v7, 12, v0
	v_and_b32_e32 v9, 3, v22
	s_mov_b32 s12, exec_lo
	ds_load_2addr_b32 v[4:5], v7 offset1:1
	ds_load_b32 v8, v7 offset:8
	s_wait_dscnt 0x1
	v_mov_b32_dpp v11, v4 row_shr:1 row_mask:0xf bank_mask:0xf
	v_mov_b32_dpp v12, v5 row_shr:1 row_mask:0xf bank_mask:0xf
	s_wait_dscnt 0x0
	v_mov_b32_dpp v10, v8 row_shr:1 row_mask:0xf bank_mask:0xf
	v_cmpx_ne_u32_e32 0, v9
; %bb.105:
	v_and_b32_e32 v13, 0xff, v8
	v_dual_add_nc_u32 v11, v4, v11 :: v_dual_add_nc_u32 v12, v5, v12
	s_delay_alu instid0(VALU_DEP_2) | instskip(NEXT) | instid1(VALU_DEP_2)
	v_cmp_eq_u32_e32 vcc_lo, 0, v13
	v_dual_cndmask_b32 v5, v5, v12, vcc_lo :: v_dual_bitop2_b32 v10, 1, v10 bitop3:0x40
	s_delay_alu instid0(VALU_DEP_3) | instskip(NEXT) | instid1(VALU_DEP_2)
	v_cndmask_b32_e32 v4, v4, v11, vcc_lo
	v_and_or_b32 v8, 0xffffff01, v8, v10
; %bb.106:
	s_or_b32 exec_lo, exec_lo, s12
	s_delay_alu instid0(VALU_DEP_2) | instskip(SKIP_1) | instid1(VALU_DEP_3)
	v_mov_b32_dpp v11, v4 row_shr:2 row_mask:0xf bank_mask:0xf
	v_mov_b32_dpp v12, v5 row_shr:2 row_mask:0xf bank_mask:0xf
	;; [unrolled: 1-line block ×3, first 2 shown]
	s_mov_b32 s12, exec_lo
	v_cmpx_lt_u32_e32 1, v9
; %bb.107:
	v_and_b32_e32 v9, 0xff, v8
	v_dual_add_nc_u32 v11, v4, v11 :: v_dual_add_nc_u32 v12, v5, v12
	v_bitop3_b32 v8, v10, 1, v8 bitop3:0xc8
	s_delay_alu instid0(VALU_DEP_3) | instskip(NEXT) | instid1(VALU_DEP_3)
	v_cmp_eq_u32_e32 vcc_lo, 0, v9
	v_dual_cndmask_b32 v5, v5, v12 :: v_dual_cndmask_b32 v4, v4, v11
; %bb.108:
	s_or_b32 exec_lo, exec_lo, s12
	ds_store_2addr_b32 v7, v4, v5 offset1:1
	ds_store_b8 v7, v8 offset:8
.LBB2020_109:
	s_or_b32 exec_lo, exec_lo, s11
	v_dual_mov_b32 v8, 0 :: v_dual_mov_b32 v9, 0
	v_mov_b32_e32 v14, 0
	s_mov_b32 s12, exec_lo
	v_cmp_gt_u32_e32 vcc_lo, 32, v0
	s_wait_dscnt 0x0
	s_barrier_signal -1
	s_barrier_wait -1
	v_cmpx_lt_u32_e32 31, v0
	s_cbranch_execz .LBB2020_111
; %bb.110:
	v_mad_u32_u24 v4, v6, 12, -12
	v_mad_u32_u24 v5, v6, 12, -4
	ds_load_2addr_b32 v[8:9], v4 offset1:1
	ds_load_u8 v4, v5
	v_and_b32_e32 v5, 0xff, v3
	s_delay_alu instid0(VALU_DEP_1) | instskip(SKIP_4) | instid1(VALU_DEP_2)
	v_cmp_eq_u16_e64 s11, 0, v5
	s_wait_dscnt 0x1
	v_dual_add_nc_u32 v6, v8, v2 :: v_dual_add_nc_u32 v5, v9, v1
	s_wait_dscnt 0x0
	v_or_b32_e32 v7, v4, v3
	v_dual_cndmask_b32 v2, v2, v6, s11 :: v_dual_bitop2_b32 v14, 1, v4 bitop3:0x40
	s_delay_alu instid0(VALU_DEP_3) | instskip(NEXT) | instid1(VALU_DEP_3)
	v_cndmask_b32_e64 v1, v1, v5, s11
	v_perm_b32 v3, v3, v7, 0x7060500
.LBB2020_111:
	s_or_b32 exec_lo, exec_lo, s12
	v_sub_co_u32 v4, s11, v22, 1
	s_delay_alu instid0(VALU_DEP_1) | instskip(NEXT) | instid1(VALU_DEP_1)
	v_cmp_gt_i32_e64 s12, 0, v4
	v_cndmask_b32_e64 v4, v4, v22, s12
	s_delay_alu instid0(VALU_DEP_1)
	v_lshlrev_b32_e32 v4, 2, v4
	ds_bpermute_b32 v15, v4, v2
	ds_bpermute_b32 v16, v4, v1
	;; [unrolled: 1-line block ×3, first 2 shown]
	s_and_saveexec_b32 s34, vcc_lo
	s_cbranch_execz .LBB2020_224
; %bb.112:
	v_mov_b32_e32 v7, 0
	ds_load_b64 v[4:5], v7 offset:40
	ds_load_b32 v2, v7 offset:36
	s_wait_dscnt 0x1
	v_readfirstlane_b32 s30, v4
	v_readfirstlane_b32 s31, v5
	s_and_saveexec_b32 s12, s11
	s_cbranch_execz .LBB2020_114
; %bb.113:
	s_mov_b32 s37, 0
	s_add_co_i32 s38, s33, 32
	s_mov_b32 s39, s37
	s_mov_b32 s36, s31
	s_lshl_b64 s[38:39], s[38:39], 4
	s_or_b64 s[36:37], s[36:37], 0x100000000
	s_add_nc_u64 s[38:39], s[16:17], s[38:39]
	v_dual_mov_b32 v3, s30 :: v_dual_mov_b32 v4, s36
	v_mov_b32_e32 v5, s37
	v_mov_b64_e32 v[10:11], s[38:39]
	s_wait_dscnt 0x0
	;;#ASMSTART
	global_store_b128 v[10:11], v[2:5] off scope:SCOPE_DEV	
s_wait_storecnt 0x0
	;;#ASMEND
.LBB2020_114:
	s_or_b32 exec_lo, exec_lo, s12
	v_xad_u32 v10, v22, -1, s33
	s_mov_b32 s13, 0
	s_mov_b32 s12, exec_lo
	s_delay_alu instid0(VALU_DEP_1) | instskip(NEXT) | instid1(VALU_DEP_1)
	v_add_nc_u32_e32 v6, 32, v10
	v_lshl_add_u64 v[12:13], v[6:7], 4, s[16:17]
	;;#ASMSTART
	global_load_b128 v[4:7], v[12:13] off scope:SCOPE_DEV	
s_wait_loadcnt 0x0
	;;#ASMEND
	v_alignbit_b32 v18, v5, v4, 8
	v_alignbit_b32 v20, v5, v4, 16
	v_and_b32_e32 v21, 0xff, v7
	v_alignbit_b32 v11, v5, v4, 24
	v_perm_b32 v3, v5, v6, 0x70605
	v_perm_b32 v19, v5, v6, 0x1000706
	;; [unrolled: 1-line block ×3, first 2 shown]
	v_cmpx_eq_u16_e32 0, v21
	s_cbranch_execz .LBB2020_117
.LBB2020_115:                           ; =>This Inner Loop Header: Depth=1
	;;#ASMSTART
	global_load_b128 v[4:7], v[12:13] off scope:SCOPE_DEV	
s_wait_loadcnt 0x0
	;;#ASMEND
	v_and_b32_e32 v1, 0xff, v7
	s_delay_alu instid0(VALU_DEP_1) | instskip(SKIP_1) | instid1(SALU_CYCLE_1)
	v_cmp_ne_u16_e32 vcc_lo, 0, v1
	s_or_b32 s13, vcc_lo, s13
	s_and_not1_b32 exec_lo, exec_lo, s13
	s_cbranch_execnz .LBB2020_115
; %bb.116:
	s_or_b32 exec_lo, exec_lo, s13
	v_perm_b32 v1, v5, v6, 0x2010007
	v_perm_b32 v19, v5, v6, 0x1000706
	;; [unrolled: 1-line block ×3, first 2 shown]
	v_alignbit_b32 v11, v5, v4, 24
	v_alignbit_b32 v20, v5, v4, 16
	;; [unrolled: 1-line block ×3, first 2 shown]
.LBB2020_117:
	s_or_b32 exec_lo, exec_lo, s12
	s_delay_alu instid0(VALU_DEP_1) | instskip(SKIP_3) | instid1(VALU_DEP_4)
	v_dual_lshlrev_b32 v12, 16, v20 :: v_dual_lshlrev_b32 v13, 8, v18
	v_lshlrev_b32_e32 v18, 16, v19
	v_lshlrev_b32_e32 v3, 8, v3
	v_cmp_ne_u32_e32 vcc_lo, 31, v22
	v_perm_b32 v11, v11, v12, 0x4020c0c
	v_and_b32_e32 v12, 0xff00, v13
	v_and_b32_e32 v4, 0xff, v4
	v_perm_b32 v1, v1, v18, 0x4020c0c
	v_and_b32_e32 v13, 0xff00, v3
	v_add_co_ci_u32_e64 v3, null, 0, v22, vcc_lo
	v_and_b32_e32 v5, 0xff, v5
	v_or3_b32 v4, v11, v12, v4
	v_and_b32_e32 v18, 0xff, v7
	s_delay_alu instid0(VALU_DEP_4)
	v_lshlrev_b32_e32 v3, 2, v3
	s_mov_b32 s12, exec_lo
	v_or3_b32 v1, v1, v13, v5
	v_and_b32_e32 v5, 0xff, v6
	v_cmp_eq_u16_e32 vcc_lo, 2, v18
	ds_bpermute_b32 v13, v3, v4
	v_lshlrev_b32_e64 v18, v22, -1
	ds_bpermute_b32 v19, v3, v1
	ds_bpermute_b32 v12, v3, v5
	v_and_or_b32 v11, vcc_lo, v18, 0x80000000
	s_delay_alu instid0(VALU_DEP_1) | instskip(NEXT) | instid1(VALU_DEP_1)
	v_ctz_i32_b32_e32 v11, v11
	v_cmpx_lt_u32_e64 v22, v11
	s_cbranch_execz .LBB2020_121
; %bb.118:
	s_mov_b32 s13, exec_lo
	v_cmpx_eq_u32_e32 0, v5
	s_cbranch_execz .LBB2020_120
; %bb.119:
	s_wait_dscnt 0x1
	v_dual_add_nc_u32 v4, v4, v13 :: v_dual_add_nc_u32 v1, v1, v19
.LBB2020_120:
	s_or_b32 exec_lo, exec_lo, s13
	s_wait_dscnt 0x0
	v_bitop3_b32 v5, v12, 1, v6 bitop3:0xc8
.LBB2020_121:
	s_or_b32 exec_lo, exec_lo, s12
	v_cmp_gt_u32_e32 vcc_lo, 30, v22
	v_add_nc_u32_e32 v20, 2, v22
	s_mov_b32 s12, exec_lo
	v_cndmask_b32_e64 v6, 0, 2, vcc_lo
	s_wait_dscnt 0x1
	s_delay_alu instid0(VALU_DEP_1)
	v_add_lshl_u32 v19, v6, v22, 2
	s_wait_dscnt 0x0
	ds_bpermute_b32 v12, v19, v4
	ds_bpermute_b32 v13, v19, v1
	;; [unrolled: 1-line block ×3, first 2 shown]
	v_cmpx_le_u32_e64 v20, v11
	s_cbranch_execz .LBB2020_127
; %bb.122:
	s_mov_b32 s13, exec_lo
	v_cmpx_ne_u32_e32 0, v5
	s_xor_b32 s13, exec_lo, s13
; %bb.123:
                                        ; implicit-def: $vgpr12
                                        ; implicit-def: $vgpr13
; %bb.124:
	s_delay_alu instid0(SALU_CYCLE_1)
	s_and_not1_saveexec_b32 s13, s13
	s_cbranch_execz .LBB2020_126
; %bb.125:
	s_wait_dscnt 0x1
	v_dual_add_nc_u32 v4, v4, v12 :: v_dual_add_nc_u32 v1, v1, v13
.LBB2020_126:
	s_or_b32 exec_lo, exec_lo, s13
	s_wait_dscnt 0x0
	v_bitop3_b32 v5, v6, 1, v5 bitop3:0xc8
.LBB2020_127:
	s_or_b32 exec_lo, exec_lo, s12
	v_cmp_gt_u32_e32 vcc_lo, 28, v22
	v_add_nc_u32_e32 v62, 4, v22
	s_mov_b32 s12, exec_lo
	s_wait_dscnt 0x0
	v_cndmask_b32_e64 v6, 0, 4, vcc_lo
	s_delay_alu instid0(VALU_DEP_1)
	v_add_lshl_u32 v21, v6, v22, 2
	ds_bpermute_b32 v12, v21, v4
	ds_bpermute_b32 v13, v21, v1
	;; [unrolled: 1-line block ×3, first 2 shown]
	v_cmpx_le_u32_e64 v62, v11
	s_cbranch_execz .LBB2020_133
; %bb.128:
	s_mov_b32 s13, exec_lo
	v_cmpx_ne_u32_e32 0, v5
	s_xor_b32 s13, exec_lo, s13
; %bb.129:
                                        ; implicit-def: $vgpr12
                                        ; implicit-def: $vgpr13
; %bb.130:
	s_delay_alu instid0(SALU_CYCLE_1)
	s_and_not1_saveexec_b32 s13, s13
	s_cbranch_execz .LBB2020_132
; %bb.131:
	s_wait_dscnt 0x1
	v_dual_add_nc_u32 v4, v4, v12 :: v_dual_add_nc_u32 v1, v1, v13
.LBB2020_132:
	s_or_b32 exec_lo, exec_lo, s13
	s_wait_dscnt 0x0
	v_bitop3_b32 v5, v6, 1, v5 bitop3:0xc8
.LBB2020_133:
	s_or_b32 exec_lo, exec_lo, s12
	v_cmp_gt_u32_e32 vcc_lo, 24, v22
	v_add_nc_u32_e32 v64, 8, v22
	s_mov_b32 s12, exec_lo
	s_wait_dscnt 0x0
	v_cndmask_b32_e64 v6, 0, 8, vcc_lo
	s_delay_alu instid0(VALU_DEP_1)
	v_add_lshl_u32 v63, v6, v22, 2
	ds_bpermute_b32 v12, v63, v4
	ds_bpermute_b32 v13, v63, v1
	;; [unrolled: 1-line block ×3, first 2 shown]
	v_cmpx_le_u32_e64 v64, v11
	s_cbranch_execz .LBB2020_139
; %bb.134:
	s_mov_b32 s13, exec_lo
	v_cmpx_ne_u32_e32 0, v5
	s_xor_b32 s13, exec_lo, s13
; %bb.135:
                                        ; implicit-def: $vgpr12
                                        ; implicit-def: $vgpr13
; %bb.136:
	s_delay_alu instid0(SALU_CYCLE_1)
	s_and_not1_saveexec_b32 s13, s13
	s_cbranch_execz .LBB2020_138
; %bb.137:
	s_wait_dscnt 0x1
	v_dual_add_nc_u32 v4, v4, v12 :: v_dual_add_nc_u32 v1, v1, v13
.LBB2020_138:
	s_or_b32 exec_lo, exec_lo, s13
	s_wait_dscnt 0x0
	v_bitop3_b32 v5, v6, 1, v5 bitop3:0xc8
.LBB2020_139:
	s_or_b32 exec_lo, exec_lo, s12
	v_lshl_or_b32 v65, v22, 2, 64
	v_add_nc_u32_e32 v66, 16, v22
	s_mov_b32 s12, exec_lo
	s_wait_dscnt 0x2
	ds_bpermute_b32 v12, v65, v4
	s_wait_dscnt 0x2
	ds_bpermute_b32 v13, v65, v1
	;; [unrolled: 2-line block ×3, first 2 shown]
	v_cmpx_le_u32_e64 v66, v11
	s_cbranch_execz .LBB2020_145
; %bb.140:
	s_mov_b32 s13, exec_lo
	v_cmpx_ne_u32_e32 0, v5
	s_xor_b32 s13, exec_lo, s13
; %bb.141:
                                        ; implicit-def: $vgpr12
                                        ; implicit-def: $vgpr13
; %bb.142:
	s_delay_alu instid0(SALU_CYCLE_1)
	s_and_not1_saveexec_b32 s13, s13
	s_cbranch_execz .LBB2020_144
; %bb.143:
	s_wait_dscnt 0x1
	v_dual_add_nc_u32 v4, v4, v12 :: v_dual_add_nc_u32 v1, v1, v13
.LBB2020_144:
	s_or_b32 exec_lo, exec_lo, s13
	s_wait_dscnt 0x0
	v_bitop3_b32 v5, v6, 1, v5 bitop3:0xc8
.LBB2020_145:
	s_or_b32 exec_lo, exec_lo, s12
	v_mov_b32_e32 v11, 0
	s_branch .LBB2020_149
.LBB2020_146:                           ;   in Loop: Header=BB2020_149 Depth=1
	s_or_b32 exec_lo, exec_lo, s13
	s_wait_dscnt 0x0
	v_or_b32_e32 v5, v6, v5
.LBB2020_147:                           ;   in Loop: Header=BB2020_149 Depth=1
	s_or_b32 exec_lo, exec_lo, s12
	s_wait_dscnt 0x0
	v_and_b32_e32 v6, 0xff, v68
	v_dual_add_nc_u32 v4, v4, v67 :: v_dual_bitop2_b32 v12, 1, v68 bitop3:0x40
	v_add_nc_u32_e32 v1, v1, v69
	v_subrev_nc_u32_e32 v10, 32, v10
	s_delay_alu instid0(VALU_DEP_4) | instskip(SKIP_3) | instid1(VALU_DEP_3)
	v_cmp_eq_u16_e32 vcc_lo, 0, v6
	v_and_b32_e32 v5, 1, v5
	v_cmp_eq_u32_e64 s12, 1, v12
	v_cndmask_b32_e32 v4, v67, v4, vcc_lo
	v_cmp_eq_u32_e64 s13, 1, v5
	v_cndmask_b32_e32 v1, v69, v1, vcc_lo
	s_or_b32 s12, s12, s13
	s_delay_alu instid0(SALU_CYCLE_1)
	v_cndmask_b32_e64 v5, 0, 1, s12
	s_mov_b32 s12, 0
.LBB2020_148:                           ;   in Loop: Header=BB2020_149 Depth=1
	s_delay_alu instid0(SALU_CYCLE_1)
	s_and_b32 vcc_lo, exec_lo, s12
	s_cbranch_vccnz .LBB2020_220
.LBB2020_149:                           ; =>This Loop Header: Depth=1
                                        ;     Child Loop BB2020_152 Depth 2
	s_wait_dscnt 0x0
	v_and_b32_e32 v6, 0xff, v7
	v_dual_mov_b32 v67, v4 :: v_dual_mov_b32 v69, v1
	v_mov_b32_e32 v68, v5
	s_mov_b32 s12, -1
	s_delay_alu instid0(VALU_DEP_3)
	v_cmp_ne_u16_e32 vcc_lo, 2, v6
                                        ; implicit-def: $vgpr4
                                        ; implicit-def: $vgpr7
                                        ; implicit-def: $vgpr5
                                        ; implicit-def: $vgpr1
	s_cmp_lg_u32 vcc_lo, exec_lo
	s_cbranch_scc1 .LBB2020_148
; %bb.150:                              ;   in Loop: Header=BB2020_149 Depth=1
	v_lshl_add_u64 v[12:13], v[10:11], 4, s[16:17]
	;;#ASMSTART
	global_load_b128 v[4:7], v[12:13] off scope:SCOPE_DEV	
s_wait_loadcnt 0x0
	;;#ASMEND
	v_alignbit_b32 v72, v5, v4, 8
	v_alignbit_b32 v74, v5, v4, 16
	v_and_b32_e32 v75, 0xff, v7
	v_alignbit_b32 v71, v5, v4, 24
	v_perm_b32 v70, v5, v6, 0x70605
	v_perm_b32 v73, v5, v6, 0x1000706
	;; [unrolled: 1-line block ×3, first 2 shown]
	s_mov_b32 s12, exec_lo
	v_cmpx_eq_u16_e32 0, v75
	s_cbranch_execz .LBB2020_154
; %bb.151:                              ;   in Loop: Header=BB2020_149 Depth=1
	s_mov_b32 s13, 0
.LBB2020_152:                           ;   Parent Loop BB2020_149 Depth=1
                                        ; =>  This Inner Loop Header: Depth=2
	;;#ASMSTART
	global_load_b128 v[4:7], v[12:13] off scope:SCOPE_DEV	
s_wait_loadcnt 0x0
	;;#ASMEND
	v_and_b32_e32 v1, 0xff, v7
	s_delay_alu instid0(VALU_DEP_1) | instskip(SKIP_1) | instid1(SALU_CYCLE_1)
	v_cmp_ne_u16_e32 vcc_lo, 0, v1
	s_or_b32 s13, vcc_lo, s13
	s_and_not1_b32 exec_lo, exec_lo, s13
	s_cbranch_execnz .LBB2020_152
; %bb.153:                              ;   in Loop: Header=BB2020_149 Depth=1
	s_or_b32 exec_lo, exec_lo, s13
	v_perm_b32 v1, v5, v6, 0x2010007
	v_perm_b32 v73, v5, v6, 0x1000706
	;; [unrolled: 1-line block ×3, first 2 shown]
	v_alignbit_b32 v71, v5, v4, 24
	v_alignbit_b32 v74, v5, v4, 16
	;; [unrolled: 1-line block ×3, first 2 shown]
.LBB2020_154:                           ;   in Loop: Header=BB2020_149 Depth=1
	s_or_b32 exec_lo, exec_lo, s12
	s_delay_alu instid0(VALU_DEP_1) | instskip(SKIP_2) | instid1(VALU_DEP_3)
	v_dual_lshlrev_b32 v12, 16, v74 :: v_dual_lshlrev_b32 v13, 8, v72
	v_dual_lshlrev_b32 v72, 16, v73 :: v_dual_lshlrev_b32 v70, 8, v70
	v_and_b32_e32 v4, 0xff, v4
	v_perm_b32 v12, v71, v12, 0x4020c0c
	s_delay_alu instid0(VALU_DEP_4) | instskip(NEXT) | instid1(VALU_DEP_4)
	v_and_b32_e32 v13, 0xff00, v13
	v_perm_b32 v1, v1, v72, 0x4020c0c
	v_and_b32_e32 v70, 0xff00, v70
	v_and_b32_e32 v5, 0xff, v5
	;; [unrolled: 1-line block ×3, first 2 shown]
	v_or3_b32 v4, v12, v13, v4
	s_mov_b32 s12, exec_lo
	s_delay_alu instid0(VALU_DEP_3)
	v_or3_b32 v1, v1, v70, v5
	v_and_b32_e32 v5, 0xff, v6
	v_cmp_eq_u16_e32 vcc_lo, 2, v71
	ds_bpermute_b32 v70, v3, v4
	ds_bpermute_b32 v71, v3, v1
	ds_bpermute_b32 v13, v3, v5
	v_and_or_b32 v12, vcc_lo, v18, 0x80000000
	s_delay_alu instid0(VALU_DEP_1) | instskip(NEXT) | instid1(VALU_DEP_1)
	v_ctz_i32_b32_e32 v12, v12
	v_cmpx_lt_u32_e64 v22, v12
	s_cbranch_execz .LBB2020_158
; %bb.155:                              ;   in Loop: Header=BB2020_149 Depth=1
	s_mov_b32 s13, exec_lo
	v_cmpx_eq_u32_e32 0, v5
	s_cbranch_execz .LBB2020_157
; %bb.156:                              ;   in Loop: Header=BB2020_149 Depth=1
	s_wait_dscnt 0x1
	v_dual_add_nc_u32 v4, v4, v70 :: v_dual_add_nc_u32 v1, v1, v71
.LBB2020_157:                           ;   in Loop: Header=BB2020_149 Depth=1
	s_or_b32 exec_lo, exec_lo, s13
	s_wait_dscnt 0x0
	v_bitop3_b32 v5, v13, 1, v6 bitop3:0xc8
.LBB2020_158:                           ;   in Loop: Header=BB2020_149 Depth=1
	s_or_b32 exec_lo, exec_lo, s12
	s_wait_dscnt 0x0
	ds_bpermute_b32 v13, v19, v4
	ds_bpermute_b32 v70, v19, v1
	;; [unrolled: 1-line block ×3, first 2 shown]
	s_mov_b32 s12, exec_lo
	v_cmpx_le_u32_e64 v20, v12
	s_cbranch_execz .LBB2020_164
; %bb.159:                              ;   in Loop: Header=BB2020_149 Depth=1
	s_mov_b32 s13, exec_lo
	v_cmpx_ne_u32_e32 0, v5
	s_xor_b32 s13, exec_lo, s13
; %bb.160:                              ;   in Loop: Header=BB2020_149 Depth=1
                                        ; implicit-def: $vgpr13
                                        ; implicit-def: $vgpr70
; %bb.161:                              ;   in Loop: Header=BB2020_149 Depth=1
	s_delay_alu instid0(SALU_CYCLE_1)
	s_and_not1_saveexec_b32 s13, s13
	s_cbranch_execz .LBB2020_163
; %bb.162:                              ;   in Loop: Header=BB2020_149 Depth=1
	s_wait_dscnt 0x1
	v_dual_add_nc_u32 v4, v4, v13 :: v_dual_add_nc_u32 v1, v1, v70
.LBB2020_163:                           ;   in Loop: Header=BB2020_149 Depth=1
	s_or_b32 exec_lo, exec_lo, s13
	s_wait_dscnt 0x0
	v_bitop3_b32 v5, v6, 1, v5 bitop3:0xc8
.LBB2020_164:                           ;   in Loop: Header=BB2020_149 Depth=1
	s_or_b32 exec_lo, exec_lo, s12
	s_wait_dscnt 0x2
	ds_bpermute_b32 v13, v21, v4
	s_wait_dscnt 0x2
	ds_bpermute_b32 v70, v21, v1
	s_wait_dscnt 0x2
	ds_bpermute_b32 v6, v21, v5
	s_mov_b32 s12, exec_lo
	v_cmpx_le_u32_e64 v62, v12
	s_cbranch_execz .LBB2020_170
; %bb.165:                              ;   in Loop: Header=BB2020_149 Depth=1
	s_mov_b32 s13, exec_lo
	v_cmpx_ne_u32_e32 0, v5
	s_xor_b32 s13, exec_lo, s13
; %bb.166:                              ;   in Loop: Header=BB2020_149 Depth=1
                                        ; implicit-def: $vgpr13
                                        ; implicit-def: $vgpr70
; %bb.167:                              ;   in Loop: Header=BB2020_149 Depth=1
	s_delay_alu instid0(SALU_CYCLE_1)
	s_and_not1_saveexec_b32 s13, s13
	s_cbranch_execz .LBB2020_169
; %bb.168:                              ;   in Loop: Header=BB2020_149 Depth=1
	s_wait_dscnt 0x1
	v_dual_add_nc_u32 v4, v4, v13 :: v_dual_add_nc_u32 v1, v1, v70
.LBB2020_169:                           ;   in Loop: Header=BB2020_149 Depth=1
	s_or_b32 exec_lo, exec_lo, s13
	s_wait_dscnt 0x0
	v_bitop3_b32 v5, v6, 1, v5 bitop3:0xc8
.LBB2020_170:                           ;   in Loop: Header=BB2020_149 Depth=1
	s_or_b32 exec_lo, exec_lo, s12
	s_wait_dscnt 0x2
	ds_bpermute_b32 v13, v63, v4
	s_wait_dscnt 0x2
	ds_bpermute_b32 v70, v63, v1
	s_wait_dscnt 0x2
	ds_bpermute_b32 v6, v63, v5
	;; [unrolled: 29-line block ×3, first 2 shown]
	s_mov_b32 s12, exec_lo
	v_cmpx_le_u32_e64 v66, v12
	s_cbranch_execz .LBB2020_147
; %bb.177:                              ;   in Loop: Header=BB2020_149 Depth=1
	s_mov_b32 s13, exec_lo
	v_cmpx_ne_u32_e32 0, v5
	s_xor_b32 s13, exec_lo, s13
; %bb.178:                              ;   in Loop: Header=BB2020_149 Depth=1
                                        ; implicit-def: $vgpr13
                                        ; implicit-def: $vgpr70
; %bb.179:                              ;   in Loop: Header=BB2020_149 Depth=1
	s_delay_alu instid0(SALU_CYCLE_1)
	s_and_not1_saveexec_b32 s13, s13
	s_cbranch_execz .LBB2020_146
; %bb.180:                              ;   in Loop: Header=BB2020_149 Depth=1
	s_wait_dscnt 0x1
	v_dual_add_nc_u32 v4, v4, v13 :: v_dual_add_nc_u32 v1, v1, v70
	s_branch .LBB2020_146
.LBB2020_181:
                                        ; implicit-def: $vgpr4_vgpr5
                                        ; implicit-def: $vgpr6_vgpr7
                                        ; implicit-def: $vgpr10_vgpr11
                                        ; implicit-def: $vgpr14_vgpr15
                                        ; implicit-def: $vgpr18_vgpr19
	s_cbranch_execnz .LBB2020_227
.LBB2020_182:
	s_add_nc_u64 s[2:3], s[14:15], s[24:25]
	s_and_b32 vcc_lo, exec_lo, s0
	s_add_nc_u64 s[0:1], s[2:3], s[20:21]
	s_cbranch_vccz .LBB2020_277
.LBB2020_183:
	v_mov_b64_e32 v[24:25], 0
	v_mul_u32_u24_e32 v1, 10, v0
	s_add_co_i32 s19, s19, s18
	s_mov_b32 s2, exec_lo
	s_delay_alu instid0(VALU_DEP_2)
	v_mov_b64_e32 v[22:23], v[24:25]
	v_mov_b64_e32 v[28:29], v[24:25]
	;; [unrolled: 1-line block ×9, first 2 shown]
	v_cmpx_gt_u32_e64 s19, v1
	s_cbranch_execz .LBB2020_201
; %bb.184:
	v_mov_b64_e32 v[40:41], 0
	v_mov_b64_e32 v[34:35], 0
	;; [unrolled: 1-line block ×9, first 2 shown]
	v_or_b32_e32 v38, 1, v1
	s_mov_b32 s3, exec_lo
	s_delay_alu instid0(VALU_DEP_1)
	v_cmpx_gt_u32_e64 s19, v38
	s_cbranch_execz .LBB2020_200
; %bb.185:
	v_mov_b64_e32 v[34:35], 0
	v_mov_b64_e32 v[36:37], 0
	;; [unrolled: 1-line block ×8, first 2 shown]
	v_add_nc_u32_e32 v38, 2, v1
	s_mov_b32 s4, exec_lo
	s_delay_alu instid0(VALU_DEP_1)
	v_cmpx_gt_u32_e64 s19, v38
	s_cbranch_execz .LBB2020_199
; %bb.186:
	v_mov_b64_e32 v[36:37], 0
	v_mov_b64_e32 v[30:31], 0
	;; [unrolled: 1-line block ×7, first 2 shown]
	v_add_nc_u32_e32 v34, 3, v1
	s_mov_b32 s5, exec_lo
	s_delay_alu instid0(VALU_DEP_1)
	v_cmpx_gt_u32_e64 s19, v34
	s_cbranch_execz .LBB2020_198
; %bb.187:
	v_mov_b64_e32 v[30:31], 0
	v_mov_b64_e32 v[32:33], 0
	;; [unrolled: 1-line block ×6, first 2 shown]
	v_add_nc_u32_e32 v34, 4, v1
	s_mov_b32 s6, exec_lo
	s_delay_alu instid0(VALU_DEP_1)
	v_cmpx_gt_u32_e64 s19, v34
	s_cbranch_execz .LBB2020_197
; %bb.188:
	v_mov_b64_e32 v[32:33], 0
	v_mov_b64_e32 v[26:27], 0
	;; [unrolled: 1-line block ×5, first 2 shown]
	v_add_nc_u32_e32 v30, 5, v1
	s_mov_b32 s7, exec_lo
	s_delay_alu instid0(VALU_DEP_1)
	v_cmpx_gt_u32_e64 s19, v30
	s_cbranch_execz .LBB2020_196
; %bb.189:
	v_mov_b64_e32 v[26:27], 0
	v_mov_b64_e32 v[28:29], 0
	v_mov_b64_e32 v[22:23], 0
	v_mov_b64_e32 v[24:25], 0
	v_add_nc_u32_e32 v30, 6, v1
	s_mov_b32 s8, exec_lo
	s_delay_alu instid0(VALU_DEP_1)
	v_cmpx_gt_u32_e64 s19, v30
	s_cbranch_execz .LBB2020_195
; %bb.190:
	v_mov_b64_e32 v[28:29], 0
	v_mov_b64_e32 v[22:23], 0
	;; [unrolled: 1-line block ×3, first 2 shown]
	v_add_nc_u32_e32 v26, 7, v1
	s_mov_b32 s9, exec_lo
	s_delay_alu instid0(VALU_DEP_1)
	v_cmpx_gt_u32_e64 s19, v26
	s_cbranch_execz .LBB2020_194
; %bb.191:
	v_mov_b64_e32 v[22:23], 0
	v_mov_b64_e32 v[24:25], 0
	v_add_nc_u32_e32 v26, 8, v1
	s_mov_b32 s10, exec_lo
	s_delay_alu instid0(VALU_DEP_1)
	v_cmpx_gt_u32_e64 s19, v26
; %bb.192:
	v_add_nc_u32_e32 v22, 9, v1
	s_delay_alu instid0(VALU_DEP_1)
	v_cmp_gt_u32_e32 vcc_lo, s19, v22
	v_mov_b64_e32 v[22:23], v[18:19]
	v_dual_cndmask_b32 v25, 0, v21 :: v_dual_cndmask_b32 v24, 0, v20
; %bb.193:
	s_or_b32 exec_lo, exec_lo, s10
	v_mov_b64_e32 v[28:29], v[16:17]
.LBB2020_194:
	s_or_b32 exec_lo, exec_lo, s9
	v_mov_b64_e32 v[26:27], v[14:15]
.LBB2020_195:
	s_or_b32 exec_lo, exec_lo, s8
	v_mov_b64_e32 v[32:33], v[12:13]
.LBB2020_196:
	s_or_b32 exec_lo, exec_lo, s7
	v_mov_b64_e32 v[30:31], v[10:11]
.LBB2020_197:
	s_or_b32 exec_lo, exec_lo, s6
	v_mov_b64_e32 v[36:37], v[8:9]
.LBB2020_198:
	s_or_b32 exec_lo, exec_lo, s5
	v_mov_b64_e32 v[34:35], v[6:7]
.LBB2020_199:
	s_or_b32 exec_lo, exec_lo, s4
	v_mov_b64_e32 v[40:41], v[4:5]
.LBB2020_200:
	s_or_b32 exec_lo, exec_lo, s3
	v_mov_b64_e32 v[38:39], v[2:3]
.LBB2020_201:
	s_or_b32 exec_lo, exec_lo, s2
	v_lshlrev_b32_e32 v1, 3, v1
	s_barrier_signal -1
	s_barrier_wait -1
	ds_store_b128 v1, v[38:41]
	ds_store_b128 v1, v[34:37] offset:16
	ds_store_b128 v1, v[30:33] offset:32
	ds_store_b128 v1, v[26:29] offset:48
	ds_store_b128 v1, v[22:25] offset:64
	v_mov_b32_e32 v41, 0
	v_mad_i32_i24 v22, 0xffffffb8, v0, v1
	s_wait_dscnt 0x0
	s_barrier_signal -1
	s_barrier_wait -1
	ds_load_2addr_stride64_b64 v[36:39], v22 offset0:2 offset1:4
	ds_load_2addr_stride64_b64 v[32:35], v22 offset0:6 offset1:8
	;; [unrolled: 1-line block ×4, first 2 shown]
	ds_load_b64 v[22:23], v22 offset:9216
	v_lshlrev_b32_e32 v40, 3, v0
	s_mov_b32 s2, exec_lo
	s_delay_alu instid0(VALU_DEP_1)
	v_add_nc_u64_e32 v[40:41], s[0:1], v[40:41]
	v_cmpx_gt_u32_e64 s19, v0
	s_cbranch_execz .LBB2020_203
; %bb.202:
	v_mul_i32_i24_e32 v42, 0xffffffb8, v0
	s_delay_alu instid0(VALU_DEP_1)
	v_add_nc_u32_e32 v1, v1, v42
	ds_load_b64 v[42:43], v1
	s_wait_dscnt 0x0
	flat_store_b64 v[40:41], v[42:43]
.LBB2020_203:
	s_wait_xcnt 0x0
	s_or_b32 exec_lo, exec_lo, s2
	v_or_b32_e32 v1, 0x80, v0
	s_mov_b32 s2, exec_lo
	s_delay_alu instid0(VALU_DEP_1)
	v_cmpx_gt_u32_e64 s19, v1
	s_cbranch_execz .LBB2020_205
; %bb.204:
	s_wait_dscnt 0x4
	flat_store_b64 v[40:41], v[36:37] offset:1024
.LBB2020_205:
	s_wait_xcnt 0x0
	s_or_b32 exec_lo, exec_lo, s2
	v_or_b32_e32 v1, 0x100, v0
	s_mov_b32 s2, exec_lo
	s_delay_alu instid0(VALU_DEP_1)
	v_cmpx_gt_u32_e64 s19, v1
	s_cbranch_execz .LBB2020_207
; %bb.206:
	s_wait_dscnt 0x4
	flat_store_b64 v[40:41], v[38:39] offset:2048
.LBB2020_207:
	;; [unrolled: 11-line block ×8, first 2 shown]
	s_wait_xcnt 0x0
	s_or_b32 exec_lo, exec_lo, s2
	v_or_b32_e32 v1, 0x480, v0
	s_delay_alu instid0(VALU_DEP_1)
	v_cmp_gt_u32_e64 s2, s19, v1
	s_branch .LBB2020_279
.LBB2020_220:
	s_and_saveexec_b32 s13, s11
	s_cbranch_execz .LBB2020_222
; %bb.221:
	s_and_b64 s[36:37], s[30:31], 0xff00000000
	v_dual_add_nc_u32 v1, v67, v2 :: v_dual_bitop2_b32 v3, 1, v68 bitop3:0x40
	s_cmp_eq_u64 s[36:37], 0
	v_dual_mov_b32 v5, 2 :: v_dual_add_nc_u32 v4, s30, v69
	s_cselect_b32 vcc_lo, -1, 0
	s_bitcmp1_b32 s31, 0
	v_cmp_eq_u32_e64 s12, 1, v3
	s_cselect_b32 s35, -1, 0
	s_add_co_i32 s36, s33, 32
	s_mov_b32 s37, 0
	v_cndmask_b32_e32 v3, s30, v4, vcc_lo
	s_lshl_b64 s[36:37], s[36:37], 4
	s_or_b32 s12, s35, s12
	s_add_nc_u64 s[30:31], s[16:17], s[36:37]
	v_cndmask_b32_e32 v2, v2, v1, vcc_lo
	v_cndmask_b32_e64 v4, 0, 1, s12
	v_mov_b64_e32 v[6:7], s[30:31]
	;;#ASMSTART
	global_store_b128 v[6:7], v[2:5] off scope:SCOPE_DEV	
s_wait_storecnt 0x0
	;;#ASMEND
.LBB2020_222:
	s_or_b32 exec_lo, exec_lo, s13
	s_delay_alu instid0(SALU_CYCLE_1)
	s_and_b32 exec_lo, exec_lo, s2
	s_cbranch_execz .LBB2020_224
; %bb.223:
	v_mov_b32_e32 v1, 0
	ds_store_2addr_b32 v1, v67, v69 offset0:9 offset1:10
	ds_store_b8 v1, v68 offset:44
.LBB2020_224:
	s_or_b32 exec_lo, exec_lo, s34
	v_mov_b32_e32 v1, 0
	s_wait_dscnt 0x0
	s_barrier_signal -1
	s_barrier_wait -1
	ds_load_2addr_b32 v[2:3], v1 offset0:9 offset1:10
	s_and_saveexec_b32 s12, s3
	s_cbranch_execz .LBB2020_226
; %bb.225:
	v_dual_cndmask_b32 v1, v17, v14, s11 :: v_dual_cndmask_b32 v4, v15, v8, s11
	v_cndmask_b32_e64 v5, v16, v9, s11
	s_delay_alu instid0(VALU_DEP_2) | instskip(SKIP_1) | instid1(VALU_DEP_2)
	v_and_b32_e32 v1, 0xff, v1
	s_wait_dscnt 0x0
	v_dual_add_nc_u32 v2, v4, v2 :: v_dual_add_nc_u32 v3, v5, v3
	s_delay_alu instid0(VALU_DEP_2) | instskip(NEXT) | instid1(VALU_DEP_2)
	v_cmp_eq_u32_e32 vcc_lo, 0, v1
	v_dual_cndmask_b32 v2, v4, v2 :: v_dual_cndmask_b32 v3, v5, v3
.LBB2020_226:
	s_or_b32 exec_lo, exec_lo, s12
	v_and_b32_e32 v1, 0xff, v50
	s_wait_dscnt 0x0
	s_delay_alu instid0(VALU_DEP_2) | instskip(NEXT) | instid1(VALU_DEP_2)
	v_dual_add_nc_u32 v4, v26, v2 :: v_dual_add_nc_u32 v5, v27, v3
	v_cmp_eq_u32_e32 vcc_lo, 0, v1
	s_delay_alu instid0(VALU_DEP_2) | instskip(NEXT) | instid1(VALU_DEP_1)
	v_dual_cndmask_b32 v5, v27, v5 :: v_dual_cndmask_b32 v4, v26, v4
	v_dual_add_nc_u32 v1, v43, v5 :: v_dual_add_nc_u32 v6, v42, v4
	s_delay_alu instid0(VALU_DEP_1) | instskip(NEXT) | instid1(VALU_DEP_1)
	v_dual_cndmask_b32 v7, v43, v1, s10 :: v_dual_cndmask_b32 v6, v42, v6, s10
	v_dual_add_nc_u32 v1, v41, v7 :: v_dual_add_nc_u32 v8, v40, v6
	s_delay_alu instid0(VALU_DEP_1) | instskip(NEXT) | instid1(VALU_DEP_1)
	v_dual_cndmask_b32 v9, v41, v1, s9 :: v_dual_cndmask_b32 v8, v40, v8, s9
	;; [unrolled: 3-line block ×7, first 2 shown]
	v_dual_add_nc_u32 v1, v29, v19 :: v_dual_add_nc_u32 v20, v28, v18
	s_delay_alu instid0(VALU_DEP_1)
	v_dual_cndmask_b32 v21, v29, v1, s6 :: v_dual_cndmask_b32 v20, v28, v20, s6
	s_branch .LBB2020_182
.LBB2020_227:
	s_cmp_eq_u64 s[28:29], 0
	v_mov_b64_e32 v[2:3], s[26:27]
	s_cselect_b32 s1, -1, 0
	s_cmp_eq_u64 s[22:23], 0
	s_cselect_b32 s3, -1, 0
	s_delay_alu instid0(SALU_CYCLE_1) | instskip(NEXT) | instid1(SALU_CYCLE_1)
	s_or_b32 s1, s1, s3
	s_and_b32 vcc_lo, exec_lo, s1
	s_cbranch_vccnz .LBB2020_229
; %bb.228:
	v_mov_b32_e32 v1, 0
	global_load_b64 v[2:3], v1, s[22:23]
.LBB2020_229:
	v_cmp_eq_u16_e64 s1, 0, v59
	v_cmp_eq_u16_e64 s3, 0, v58
	;; [unrolled: 1-line block ×5, first 2 shown]
	s_wait_xcnt 0x0
	v_dual_cndmask_b32 v1, v42, v60, s1 :: v_dual_cndmask_b32 v4, v43, v61, s1
	v_cmp_eq_u16_e64 s7, 0, v47
	v_bitop3_b16 v5, v45, v53, v52 bitop3:0xfe
	v_cmp_eq_u16_e64 s8, 0, v46
	s_delay_alu instid0(VALU_DEP_4) | instskip(SKIP_1) | instid1(VALU_DEP_4)
	v_dual_add_nc_u32 v1, v40, v1 :: v_dual_add_nc_u32 v4, v41, v4
	v_cmp_eq_u16_e64 s9, 0, v44
	v_bitop3_b16 v5, v5, 0xff, v51 bitop3:0xc8
	s_mov_b32 s10, exec_lo
	v_dual_cndmask_b32 v1, v40, v1, s3 :: v_dual_cndmask_b32 v4, v41, v4, s3
	s_delay_alu instid0(VALU_DEP_2) | instskip(NEXT) | instid1(VALU_DEP_2)
	v_cmp_eq_u16_e32 vcc_lo, 0, v5
	v_dual_add_nc_u32 v1, v38, v1 :: v_dual_add_nc_u32 v4, v39, v4
	s_delay_alu instid0(VALU_DEP_1) | instskip(NEXT) | instid1(VALU_DEP_1)
	v_dual_cndmask_b32 v1, v38, v1, s4 :: v_dual_cndmask_b32 v4, v39, v4, s4
	v_dual_add_nc_u32 v1, v36, v1 :: v_dual_add_nc_u32 v4, v37, v4
	s_delay_alu instid0(VALU_DEP_1) | instskip(NEXT) | instid1(VALU_DEP_1)
	v_dual_cndmask_b32 v1, v36, v1, s5 :: v_dual_cndmask_b32 v4, v37, v4, s5
	;; [unrolled: 3-line block ×5, first 2 shown]
	v_dual_add_nc_u32 v1, v28, v1 :: v_dual_add_nc_u32 v4, v29, v4
	v_cndmask_b32_e32 v5, 1, v25, vcc_lo
	v_cmp_eq_u32_e32 vcc_lo, 1, v24
	s_delay_alu instid0(VALU_DEP_3) | instskip(NEXT) | instid1(VALU_DEP_3)
	v_cndmask_b32_e64 v4, v29, v4, s9
	v_cndmask_b32_e64 v7, v5, 1, vcc_lo
	v_cndmask_b32_e64 v1, v28, v1, s9
	v_cmp_eq_u16_e32 vcc_lo, 0, v55
	s_delay_alu instid0(VALU_DEP_3) | instskip(NEXT) | instid1(VALU_DEP_3)
	v_dual_add_nc_u32 v6, v56, v4 :: v_dual_bitop2_b32 v5, v7, v23 bitop3:0x54
	v_add_nc_u32_e32 v1, v54, v1
	s_delay_alu instid0(VALU_DEP_2) | instskip(NEXT) | instid1(VALU_DEP_2)
	v_mov_b32_dpp v8, v5 row_shr:1 row_mask:0xf bank_mask:0xf
	v_dual_cndmask_b32 v4, v54, v1 :: v_dual_cndmask_b32 v1, v56, v6
	v_and_b32_e32 v6, 15, v22
	s_delay_alu instid0(VALU_DEP_2) | instskip(NEXT) | instid1(VALU_DEP_3)
	v_mov_b32_dpp v9, v4 row_shr:1 row_mask:0xf bank_mask:0xf
	v_mov_b32_dpp v10, v1 row_shr:1 row_mask:0xf bank_mask:0xf
	s_delay_alu instid0(VALU_DEP_3)
	v_cmpx_ne_u32_e32 0, v6
	s_cbranch_execz .LBB2020_233
; %bb.230:
	s_mov_b32 s11, exec_lo
	v_cmpx_eq_u32_e32 0, v7
; %bb.231:
	v_dual_add_nc_u32 v4, v4, v9 :: v_dual_add_nc_u32 v1, v1, v10
; %bb.232:
	s_or_b32 exec_lo, exec_lo, s11
	v_and_b32_e32 v5, 1, v8
	s_delay_alu instid0(VALU_DEP_1)
	v_or3_b32 v5, v23, v5, v7
.LBB2020_233:
	s_or_b32 exec_lo, exec_lo, s10
	v_mov_b32_dpp v8, v4 row_shr:2 row_mask:0xf bank_mask:0xf
	v_mov_b32_dpp v9, v1 row_shr:2 row_mask:0xf bank_mask:0xf
	s_delay_alu instid0(VALU_DEP_3)
	v_mov_b32_dpp v7, v5 row_shr:2 row_mask:0xf bank_mask:0xf
	s_mov_b32 s10, exec_lo
	v_cmpx_lt_u32_e32 1, v6
	s_cbranch_execz .LBB2020_239
; %bb.234:
	v_and_b32_e32 v10, 0xff, v5
	s_mov_b32 s11, exec_lo
	s_delay_alu instid0(VALU_DEP_1)
	v_cmpx_ne_u32_e32 0, v10
	s_xor_b32 s11, exec_lo, s11
; %bb.235:
                                        ; implicit-def: $vgpr8
                                        ; implicit-def: $vgpr9
; %bb.236:
	s_delay_alu instid0(SALU_CYCLE_1)
	s_and_not1_saveexec_b32 s11, s11
; %bb.237:
	v_dual_add_nc_u32 v4, v4, v8 :: v_dual_add_nc_u32 v1, v1, v9
; %bb.238:
	s_or_b32 exec_lo, exec_lo, s11
	v_and_b32_e32 v7, 1, v7
	s_delay_alu instid0(VALU_DEP_1)
	v_and_or_b32 v5, 0xffffff01, v5, v7
.LBB2020_239:
	s_or_b32 exec_lo, exec_lo, s10
	v_mov_b32_dpp v8, v4 row_shr:4 row_mask:0xf bank_mask:0xf
	v_mov_b32_dpp v9, v1 row_shr:4 row_mask:0xf bank_mask:0xf
	s_delay_alu instid0(VALU_DEP_3)
	v_mov_b32_dpp v7, v5 row_shr:4 row_mask:0xf bank_mask:0xf
	s_mov_b32 s10, exec_lo
	v_cmpx_lt_u32_e32 3, v6
	s_cbranch_execz .LBB2020_245
; %bb.240:
	v_and_b32_e32 v10, 0xff, v5
	s_mov_b32 s11, exec_lo
	s_delay_alu instid0(VALU_DEP_1)
	v_cmpx_ne_u32_e32 0, v10
	s_xor_b32 s11, exec_lo, s11
; %bb.241:
                                        ; implicit-def: $vgpr8
                                        ; implicit-def: $vgpr9
; %bb.242:
	s_delay_alu instid0(SALU_CYCLE_1)
	s_and_not1_saveexec_b32 s11, s11
; %bb.243:
	v_dual_add_nc_u32 v4, v4, v8 :: v_dual_add_nc_u32 v1, v1, v9
; %bb.244:
	s_or_b32 exec_lo, exec_lo, s11
	v_and_b32_e32 v7, 1, v7
	s_delay_alu instid0(VALU_DEP_1)
	v_and_or_b32 v5, 0xffffff01, v5, v7
.LBB2020_245:
	;; [unrolled: 28-line block ×3, first 2 shown]
	s_or_b32 exec_lo, exec_lo, s10
	ds_swizzle_b32 v7, v4 offset:swizzle(BROADCAST,32,15)
	ds_swizzle_b32 v8, v1 offset:swizzle(BROADCAST,32,15)
	;; [unrolled: 1-line block ×3, first 2 shown]
	v_and_b32_e32 v9, 16, v22
	s_delay_alu instid0(VALU_DEP_1)
	v_cmp_ne_u32_e32 vcc_lo, 0, v9
	v_mov_b32_e32 v9, v5
	s_and_saveexec_b32 s10, vcc_lo
	s_cbranch_execz .LBB2020_257
; %bb.252:
	v_and_b32_e32 v9, 0xff, v5
	s_mov_b32 s11, exec_lo
	s_delay_alu instid0(VALU_DEP_1)
	v_cmpx_ne_u32_e32 0, v9
	s_xor_b32 s11, exec_lo, s11
; %bb.253:
                                        ; implicit-def: $vgpr7
                                        ; implicit-def: $vgpr8
; %bb.254:
	s_delay_alu instid0(SALU_CYCLE_1)
	s_and_not1_saveexec_b32 s11, s11
	s_cbranch_execz .LBB2020_256
; %bb.255:
	s_wait_dscnt 0x1
	v_dual_add_nc_u32 v4, v4, v7 :: v_dual_add_nc_u32 v1, v1, v8
.LBB2020_256:
	s_or_b32 exec_lo, exec_lo, s11
	s_wait_dscnt 0x0
	v_or_b32_e32 v7, v6, v5
	v_and_b32_e32 v6, 1, v6
	s_delay_alu instid0(VALU_DEP_2) | instskip(NEXT) | instid1(VALU_DEP_2)
	v_and_b32_e32 v9, 1, v7
	v_and_or_b32 v5, 0xffffff01, v5, v6
.LBB2020_257:
	s_or_b32 exec_lo, exec_lo, s10
	s_wait_dscnt 0x0
	v_dual_lshrrev_b32 v8, 5, v0 :: v_dual_bitop2_b32 v6, 31, v0 bitop3:0x54
	s_mov_b32 s10, exec_lo
	s_delay_alu instid0(VALU_DEP_1)
	v_cmpx_eq_u32_e64 v0, v6
	s_cbranch_execz .LBB2020_259
; %bb.258:
	s_delay_alu instid0(VALU_DEP_2)
	v_mul_u32_u24_e32 v6, 12, v8
	ds_store_2addr_b32 v6, v4, v1 offset1:1
	ds_store_b8 v6, v9 offset:8
.LBB2020_259:
	s_or_b32 exec_lo, exec_lo, s10
	s_delay_alu instid0(SALU_CYCLE_1)
	s_mov_b32 s10, exec_lo
	s_wait_loadcnt_dscnt 0x0
	s_barrier_signal -1
	s_barrier_wait -1
	v_cmpx_gt_u32_e32 4, v0
	s_cbranch_execz .LBB2020_265
; %bb.260:
	v_mul_u32_u24_e32 v9, 12, v0
	v_and_b32_e32 v11, 3, v22
	s_mov_b32 s11, exec_lo
	ds_load_2addr_b32 v[6:7], v9 offset1:1
	ds_load_b32 v10, v9 offset:8
	s_wait_dscnt 0x1
	v_mov_b32_dpp v13, v6 row_shr:1 row_mask:0xf bank_mask:0xf
	v_mov_b32_dpp v14, v7 row_shr:1 row_mask:0xf bank_mask:0xf
	s_wait_dscnt 0x0
	v_mov_b32_dpp v12, v10 row_shr:1 row_mask:0xf bank_mask:0xf
	v_cmpx_ne_u32_e32 0, v11
; %bb.261:
	v_and_b32_e32 v15, 0xff, v10
	v_dual_add_nc_u32 v13, v6, v13 :: v_dual_add_nc_u32 v14, v7, v14
	s_delay_alu instid0(VALU_DEP_2) | instskip(NEXT) | instid1(VALU_DEP_2)
	v_cmp_eq_u32_e32 vcc_lo, 0, v15
	v_dual_cndmask_b32 v7, v7, v14, vcc_lo :: v_dual_bitop2_b32 v12, 1, v12 bitop3:0x40
	s_delay_alu instid0(VALU_DEP_3) | instskip(NEXT) | instid1(VALU_DEP_2)
	v_cndmask_b32_e32 v6, v6, v13, vcc_lo
	v_and_or_b32 v10, 0xffffff01, v10, v12
; %bb.262:
	s_or_b32 exec_lo, exec_lo, s11
	s_delay_alu instid0(VALU_DEP_2) | instskip(SKIP_1) | instid1(VALU_DEP_3)
	v_mov_b32_dpp v13, v6 row_shr:2 row_mask:0xf bank_mask:0xf
	v_mov_b32_dpp v14, v7 row_shr:2 row_mask:0xf bank_mask:0xf
	;; [unrolled: 1-line block ×3, first 2 shown]
	s_mov_b32 s11, exec_lo
	v_cmpx_lt_u32_e32 1, v11
; %bb.263:
	v_and_b32_e32 v11, 0xff, v10
	v_dual_add_nc_u32 v13, v6, v13 :: v_dual_add_nc_u32 v14, v7, v14
	v_bitop3_b32 v10, v12, 1, v10 bitop3:0xc8
	s_delay_alu instid0(VALU_DEP_3) | instskip(NEXT) | instid1(VALU_DEP_3)
	v_cmp_eq_u32_e32 vcc_lo, 0, v11
	v_dual_cndmask_b32 v7, v7, v14 :: v_dual_cndmask_b32 v6, v6, v13
; %bb.264:
	s_or_b32 exec_lo, exec_lo, s11
	ds_store_2addr_b32 v9, v6, v7 offset1:1
	ds_store_b8 v9, v10 offset:8
.LBB2020_265:
	s_or_b32 exec_lo, exec_lo, s10
	v_dual_mov_b32 v7, v3 :: v_dual_mov_b32 v6, v2
	s_mov_b32 s10, exec_lo
	s_wait_dscnt 0x0
	s_barrier_signal -1
	s_barrier_wait -1
	v_cmpx_lt_u32_e32 31, v0
	s_cbranch_execz .LBB2020_271
; %bb.266:
	v_mad_u32_u24 v6, v8, 12, -4
	v_mad_u32_u24 v8, v8, 12, -12
	ds_load_u8 v6, v6
	s_wait_dscnt 0x0
	v_cmp_ne_u16_e32 vcc_lo, 0, v6
                                        ; implicit-def: $vgpr6
	s_and_saveexec_b32 s11, vcc_lo
	s_delay_alu instid0(SALU_CYCLE_1)
	s_xor_b32 s11, exec_lo, s11
; %bb.267:
	ds_load_2addr_b32 v[6:7], v8 offset1:1
                                        ; implicit-def: $vgpr8
; %bb.268:
	s_and_not1_saveexec_b32 s11, s11
	s_cbranch_execz .LBB2020_270
; %bb.269:
	s_wait_dscnt 0x0
	ds_load_2addr_b32 v[6:7], v8 offset1:1
	s_wait_dscnt 0x0
	v_dual_add_nc_u32 v6, v6, v2 :: v_dual_add_nc_u32 v7, v7, v3
.LBB2020_270:
	s_or_b32 exec_lo, exec_lo, s11
.LBB2020_271:
	s_delay_alu instid0(SALU_CYCLE_1) | instskip(SKIP_4) | instid1(VALU_DEP_3)
	s_or_b32 exec_lo, exec_lo, s10
	v_sub_co_u32 v9, s10, v22, 1
	s_wait_dscnt 0x0
	v_dual_mov_b32 v8, 0 :: v_dual_add_nc_u32 v10, v4, v6
	v_and_b32_e32 v5, 0xff, v5
	v_cmp_gt_i32_e32 vcc_lo, 0, v9
	s_mov_b32 s11, 0
	ds_load_u8 v12, v8 offset:44
	v_cndmask_b32_e32 v9, v9, v22, vcc_lo
	v_cmp_eq_u32_e32 vcc_lo, 0, v5
	v_dual_cndmask_b32 v4, v4, v10 :: v_dual_add_nc_u32 v11, v1, v7
	s_delay_alu instid0(VALU_DEP_1) | instskip(SKIP_4) | instid1(VALU_DEP_1)
	v_dual_lshlrev_b32 v5, 2, v9 :: v_dual_cndmask_b32 v9, v1, v11, vcc_lo
	ds_bpermute_b32 v1, v5, v4
	ds_bpermute_b32 v4, v5, v9
	s_wait_dscnt 0x2
	v_and_b32_e32 v24, 0xffff, v12
	v_cmp_ne_u32_e32 vcc_lo, 0, v24
	s_cbranch_vccz .LBB2020_282
; %bb.272:
	ds_load_2addr_b32 v[22:23], v8 offset0:9 offset1:10
	s_and_not1_b32 vcc_lo, exec_lo, s11
	s_cbranch_vccnz .LBB2020_274
.LBB2020_273:
	v_mov_b32_e32 v5, 0
	ds_load_2addr_b32 v[8:9], v5 offset0:9 offset1:10
	s_wait_dscnt 0x0
	v_dual_add_nc_u32 v22, v8, v2 :: v_dual_add_nc_u32 v23, v9, v3
.LBB2020_274:
	s_wait_dscnt 0x0
	v_dual_cndmask_b32 v1, v1, v6, s10 :: v_dual_cndmask_b32 v4, v4, v7, s10
	s_delay_alu instid0(VALU_DEP_1) | instskip(SKIP_1) | instid1(VALU_DEP_2)
	v_dual_cndmask_b32 v2, v1, v2, s2 :: v_dual_cndmask_b32 v3, v4, v3, s2
	v_and_b32_e32 v1, 0xff, v50
	v_dual_add_nc_u32 v4, v26, v2 :: v_dual_add_nc_u32 v5, v27, v3
	s_delay_alu instid0(VALU_DEP_2) | instskip(NEXT) | instid1(VALU_DEP_2)
	v_cmp_eq_u32_e32 vcc_lo, 0, v1
	v_dual_cndmask_b32 v5, v27, v5 :: v_dual_cndmask_b32 v4, v26, v4
	s_delay_alu instid0(VALU_DEP_1) | instskip(NEXT) | instid1(VALU_DEP_1)
	v_dual_add_nc_u32 v1, v43, v5 :: v_dual_add_nc_u32 v6, v42, v4
	v_dual_cndmask_b32 v7, v43, v1, s1 :: v_dual_cndmask_b32 v6, v42, v6, s1
	s_delay_alu instid0(VALU_DEP_1) | instskip(NEXT) | instid1(VALU_DEP_1)
	v_dual_add_nc_u32 v1, v41, v7 :: v_dual_add_nc_u32 v8, v40, v6
	v_dual_cndmask_b32 v9, v41, v1, s3 :: v_dual_cndmask_b32 v8, v40, v8, s3
	;; [unrolled: 3-line block ×8, first 2 shown]
	s_and_saveexec_b32 s1, s2
	s_cbranch_execz .LBB2020_276
; %bb.275:
	s_add_nc_u64 s[2:3], s[16:17], 0x200
	v_mov_b32_e32 v25, 2
	v_mov_b64_e32 v[26:27], s[2:3]
	;;#ASMSTART
	global_store_b128 v[26:27], v[22:25] off scope:SCOPE_DEV	
s_wait_storecnt 0x0
	;;#ASMEND
.LBB2020_276:
	s_or_b32 exec_lo, exec_lo, s1
	s_add_nc_u64 s[2:3], s[14:15], s[24:25]
	s_and_b32 vcc_lo, exec_lo, s0
	s_add_nc_u64 s[0:1], s[2:3], s[20:21]
	s_cbranch_vccnz .LBB2020_183
.LBB2020_277:
	s_mov_b32 s2, 0
                                        ; implicit-def: $vgpr22_vgpr23
	s_cbranch_execz .LBB2020_279
; %bb.278:
	v_mul_u32_u24_e32 v1, 0x50, v0
	s_wait_dscnt 0x0
	v_mul_i32_i24_e32 v22, 0xffffffb8, v0
	s_wait_storecnt 0x0
	s_barrier_signal -1
	s_barrier_wait -1
	ds_store_b128 v1, v[2:5]
	ds_store_b128 v1, v[6:9] offset:16
	ds_store_b128 v1, v[10:13] offset:32
	;; [unrolled: 1-line block ×4, first 2 shown]
	v_mad_u32_u24 v1, 0x50, v0, v22
	s_wait_dscnt 0x0
	s_barrier_signal -1
	s_barrier_wait -1
	ds_load_2addr_stride64_b64 v[2:5], v1 offset1:2
	ds_load_2addr_stride64_b64 v[6:9], v1 offset0:4 offset1:6
	ds_load_2addr_stride64_b64 v[10:13], v1 offset0:8 offset1:10
	;; [unrolled: 1-line block ×4, first 2 shown]
	s_or_b32 s2, s2, exec_lo
	s_wait_dscnt 0x4
	s_clause 0x1
	flat_store_b64 v0, v[2:3], s[0:1] scale_offset
	flat_store_b64 v0, v[4:5], s[0:1] offset:1024 scale_offset
	s_wait_dscnt 0x5
	s_clause 0x1
	flat_store_b64 v0, v[6:7], s[0:1] offset:2048 scale_offset
	flat_store_b64 v0, v[8:9], s[0:1] offset:3072 scale_offset
	s_wait_dscnt 0x6
	s_clause 0x1
	flat_store_b64 v0, v[10:11], s[0:1] offset:4096 scale_offset
	;; [unrolled: 4-line block ×3, first 2 shown]
	flat_store_b64 v0, v[16:17], s[0:1] offset:7168 scale_offset
	s_wait_dscnt 0x8
	flat_store_b64 v0, v[20:21], s[0:1] offset:8192 scale_offset
.LBB2020_279:
	s_wait_xcnt 0x0
	s_delay_alu instid0(VALU_DEP_1)
	s_and_saveexec_b32 s3, s2
	s_cbranch_execnz .LBB2020_281
; %bb.280:
	s_sendmsg sendmsg(MSG_DEALLOC_VGPRS)
	s_endpgm
.LBB2020_281:
	s_wait_dscnt 0x0
	flat_store_b64 v0, v[22:23], s[0:1] offset:9216 scale_offset
	s_sendmsg sendmsg(MSG_DEALLOC_VGPRS)
	s_endpgm
.LBB2020_282:
	s_branch .LBB2020_273
	.section	.rodata,"a",@progbits
	.p2align	6, 0x0
	.amdhsa_kernel _ZN7rocprim17ROCPRIM_400000_NS6detail17trampoline_kernelINS0_14default_configENS1_27scan_by_key_config_selectorIj11FixedVectorIiLj2EEEEZZNS1_16scan_by_key_implILNS1_25lookback_scan_determinismE0ELb1ES3_N6thrust23THRUST_200600_302600_NS6detail15normal_iteratorINSB_10device_ptrIjEEEENSD_INSE_IS6_EEEESI_S6_NSB_4plusIvEENSB_8equal_toIvEES6_EE10hipError_tPvRmT2_T3_T4_T5_mT6_T7_P12ihipStream_tbENKUlT_T0_E_clISt17integral_constantIbLb0EES12_IbLb1EEEEDaSY_SZ_EUlSY_E_NS1_11comp_targetILNS1_3genE0ELNS1_11target_archE4294967295ELNS1_3gpuE0ELNS1_3repE0EEENS1_30default_config_static_selectorELNS0_4arch9wavefront6targetE0EEEvT1_
		.amdhsa_group_segment_fixed_size 10240
		.amdhsa_private_segment_fixed_size 0
		.amdhsa_kernarg_size 120
		.amdhsa_user_sgpr_count 2
		.amdhsa_user_sgpr_dispatch_ptr 0
		.amdhsa_user_sgpr_queue_ptr 0
		.amdhsa_user_sgpr_kernarg_segment_ptr 1
		.amdhsa_user_sgpr_dispatch_id 0
		.amdhsa_user_sgpr_kernarg_preload_length 0
		.amdhsa_user_sgpr_kernarg_preload_offset 0
		.amdhsa_user_sgpr_private_segment_size 0
		.amdhsa_wavefront_size32 1
		.amdhsa_uses_dynamic_stack 0
		.amdhsa_enable_private_segment 0
		.amdhsa_system_sgpr_workgroup_id_x 1
		.amdhsa_system_sgpr_workgroup_id_y 0
		.amdhsa_system_sgpr_workgroup_id_z 0
		.amdhsa_system_sgpr_workgroup_info 0
		.amdhsa_system_vgpr_workitem_id 0
		.amdhsa_next_free_vgpr 76
		.amdhsa_next_free_sgpr 46
		.amdhsa_named_barrier_count 0
		.amdhsa_reserve_vcc 1
		.amdhsa_float_round_mode_32 0
		.amdhsa_float_round_mode_16_64 0
		.amdhsa_float_denorm_mode_32 3
		.amdhsa_float_denorm_mode_16_64 3
		.amdhsa_fp16_overflow 0
		.amdhsa_memory_ordered 1
		.amdhsa_forward_progress 1
		.amdhsa_inst_pref_size 92
		.amdhsa_round_robin_scheduling 0
		.amdhsa_exception_fp_ieee_invalid_op 0
		.amdhsa_exception_fp_denorm_src 0
		.amdhsa_exception_fp_ieee_div_zero 0
		.amdhsa_exception_fp_ieee_overflow 0
		.amdhsa_exception_fp_ieee_underflow 0
		.amdhsa_exception_fp_ieee_inexact 0
		.amdhsa_exception_int_div_zero 0
	.end_amdhsa_kernel
	.section	.text._ZN7rocprim17ROCPRIM_400000_NS6detail17trampoline_kernelINS0_14default_configENS1_27scan_by_key_config_selectorIj11FixedVectorIiLj2EEEEZZNS1_16scan_by_key_implILNS1_25lookback_scan_determinismE0ELb1ES3_N6thrust23THRUST_200600_302600_NS6detail15normal_iteratorINSB_10device_ptrIjEEEENSD_INSE_IS6_EEEESI_S6_NSB_4plusIvEENSB_8equal_toIvEES6_EE10hipError_tPvRmT2_T3_T4_T5_mT6_T7_P12ihipStream_tbENKUlT_T0_E_clISt17integral_constantIbLb0EES12_IbLb1EEEEDaSY_SZ_EUlSY_E_NS1_11comp_targetILNS1_3genE0ELNS1_11target_archE4294967295ELNS1_3gpuE0ELNS1_3repE0EEENS1_30default_config_static_selectorELNS0_4arch9wavefront6targetE0EEEvT1_,"axG",@progbits,_ZN7rocprim17ROCPRIM_400000_NS6detail17trampoline_kernelINS0_14default_configENS1_27scan_by_key_config_selectorIj11FixedVectorIiLj2EEEEZZNS1_16scan_by_key_implILNS1_25lookback_scan_determinismE0ELb1ES3_N6thrust23THRUST_200600_302600_NS6detail15normal_iteratorINSB_10device_ptrIjEEEENSD_INSE_IS6_EEEESI_S6_NSB_4plusIvEENSB_8equal_toIvEES6_EE10hipError_tPvRmT2_T3_T4_T5_mT6_T7_P12ihipStream_tbENKUlT_T0_E_clISt17integral_constantIbLb0EES12_IbLb1EEEEDaSY_SZ_EUlSY_E_NS1_11comp_targetILNS1_3genE0ELNS1_11target_archE4294967295ELNS1_3gpuE0ELNS1_3repE0EEENS1_30default_config_static_selectorELNS0_4arch9wavefront6targetE0EEEvT1_,comdat
.Lfunc_end2020:
	.size	_ZN7rocprim17ROCPRIM_400000_NS6detail17trampoline_kernelINS0_14default_configENS1_27scan_by_key_config_selectorIj11FixedVectorIiLj2EEEEZZNS1_16scan_by_key_implILNS1_25lookback_scan_determinismE0ELb1ES3_N6thrust23THRUST_200600_302600_NS6detail15normal_iteratorINSB_10device_ptrIjEEEENSD_INSE_IS6_EEEESI_S6_NSB_4plusIvEENSB_8equal_toIvEES6_EE10hipError_tPvRmT2_T3_T4_T5_mT6_T7_P12ihipStream_tbENKUlT_T0_E_clISt17integral_constantIbLb0EES12_IbLb1EEEEDaSY_SZ_EUlSY_E_NS1_11comp_targetILNS1_3genE0ELNS1_11target_archE4294967295ELNS1_3gpuE0ELNS1_3repE0EEENS1_30default_config_static_selectorELNS0_4arch9wavefront6targetE0EEEvT1_, .Lfunc_end2020-_ZN7rocprim17ROCPRIM_400000_NS6detail17trampoline_kernelINS0_14default_configENS1_27scan_by_key_config_selectorIj11FixedVectorIiLj2EEEEZZNS1_16scan_by_key_implILNS1_25lookback_scan_determinismE0ELb1ES3_N6thrust23THRUST_200600_302600_NS6detail15normal_iteratorINSB_10device_ptrIjEEEENSD_INSE_IS6_EEEESI_S6_NSB_4plusIvEENSB_8equal_toIvEES6_EE10hipError_tPvRmT2_T3_T4_T5_mT6_T7_P12ihipStream_tbENKUlT_T0_E_clISt17integral_constantIbLb0EES12_IbLb1EEEEDaSY_SZ_EUlSY_E_NS1_11comp_targetILNS1_3genE0ELNS1_11target_archE4294967295ELNS1_3gpuE0ELNS1_3repE0EEENS1_30default_config_static_selectorELNS0_4arch9wavefront6targetE0EEEvT1_
                                        ; -- End function
	.set _ZN7rocprim17ROCPRIM_400000_NS6detail17trampoline_kernelINS0_14default_configENS1_27scan_by_key_config_selectorIj11FixedVectorIiLj2EEEEZZNS1_16scan_by_key_implILNS1_25lookback_scan_determinismE0ELb1ES3_N6thrust23THRUST_200600_302600_NS6detail15normal_iteratorINSB_10device_ptrIjEEEENSD_INSE_IS6_EEEESI_S6_NSB_4plusIvEENSB_8equal_toIvEES6_EE10hipError_tPvRmT2_T3_T4_T5_mT6_T7_P12ihipStream_tbENKUlT_T0_E_clISt17integral_constantIbLb0EES12_IbLb1EEEEDaSY_SZ_EUlSY_E_NS1_11comp_targetILNS1_3genE0ELNS1_11target_archE4294967295ELNS1_3gpuE0ELNS1_3repE0EEENS1_30default_config_static_selectorELNS0_4arch9wavefront6targetE0EEEvT1_.num_vgpr, 76
	.set _ZN7rocprim17ROCPRIM_400000_NS6detail17trampoline_kernelINS0_14default_configENS1_27scan_by_key_config_selectorIj11FixedVectorIiLj2EEEEZZNS1_16scan_by_key_implILNS1_25lookback_scan_determinismE0ELb1ES3_N6thrust23THRUST_200600_302600_NS6detail15normal_iteratorINSB_10device_ptrIjEEEENSD_INSE_IS6_EEEESI_S6_NSB_4plusIvEENSB_8equal_toIvEES6_EE10hipError_tPvRmT2_T3_T4_T5_mT6_T7_P12ihipStream_tbENKUlT_T0_E_clISt17integral_constantIbLb0EES12_IbLb1EEEEDaSY_SZ_EUlSY_E_NS1_11comp_targetILNS1_3genE0ELNS1_11target_archE4294967295ELNS1_3gpuE0ELNS1_3repE0EEENS1_30default_config_static_selectorELNS0_4arch9wavefront6targetE0EEEvT1_.num_agpr, 0
	.set _ZN7rocprim17ROCPRIM_400000_NS6detail17trampoline_kernelINS0_14default_configENS1_27scan_by_key_config_selectorIj11FixedVectorIiLj2EEEEZZNS1_16scan_by_key_implILNS1_25lookback_scan_determinismE0ELb1ES3_N6thrust23THRUST_200600_302600_NS6detail15normal_iteratorINSB_10device_ptrIjEEEENSD_INSE_IS6_EEEESI_S6_NSB_4plusIvEENSB_8equal_toIvEES6_EE10hipError_tPvRmT2_T3_T4_T5_mT6_T7_P12ihipStream_tbENKUlT_T0_E_clISt17integral_constantIbLb0EES12_IbLb1EEEEDaSY_SZ_EUlSY_E_NS1_11comp_targetILNS1_3genE0ELNS1_11target_archE4294967295ELNS1_3gpuE0ELNS1_3repE0EEENS1_30default_config_static_selectorELNS0_4arch9wavefront6targetE0EEEvT1_.numbered_sgpr, 46
	.set _ZN7rocprim17ROCPRIM_400000_NS6detail17trampoline_kernelINS0_14default_configENS1_27scan_by_key_config_selectorIj11FixedVectorIiLj2EEEEZZNS1_16scan_by_key_implILNS1_25lookback_scan_determinismE0ELb1ES3_N6thrust23THRUST_200600_302600_NS6detail15normal_iteratorINSB_10device_ptrIjEEEENSD_INSE_IS6_EEEESI_S6_NSB_4plusIvEENSB_8equal_toIvEES6_EE10hipError_tPvRmT2_T3_T4_T5_mT6_T7_P12ihipStream_tbENKUlT_T0_E_clISt17integral_constantIbLb0EES12_IbLb1EEEEDaSY_SZ_EUlSY_E_NS1_11comp_targetILNS1_3genE0ELNS1_11target_archE4294967295ELNS1_3gpuE0ELNS1_3repE0EEENS1_30default_config_static_selectorELNS0_4arch9wavefront6targetE0EEEvT1_.num_named_barrier, 0
	.set _ZN7rocprim17ROCPRIM_400000_NS6detail17trampoline_kernelINS0_14default_configENS1_27scan_by_key_config_selectorIj11FixedVectorIiLj2EEEEZZNS1_16scan_by_key_implILNS1_25lookback_scan_determinismE0ELb1ES3_N6thrust23THRUST_200600_302600_NS6detail15normal_iteratorINSB_10device_ptrIjEEEENSD_INSE_IS6_EEEESI_S6_NSB_4plusIvEENSB_8equal_toIvEES6_EE10hipError_tPvRmT2_T3_T4_T5_mT6_T7_P12ihipStream_tbENKUlT_T0_E_clISt17integral_constantIbLb0EES12_IbLb1EEEEDaSY_SZ_EUlSY_E_NS1_11comp_targetILNS1_3genE0ELNS1_11target_archE4294967295ELNS1_3gpuE0ELNS1_3repE0EEENS1_30default_config_static_selectorELNS0_4arch9wavefront6targetE0EEEvT1_.private_seg_size, 0
	.set _ZN7rocprim17ROCPRIM_400000_NS6detail17trampoline_kernelINS0_14default_configENS1_27scan_by_key_config_selectorIj11FixedVectorIiLj2EEEEZZNS1_16scan_by_key_implILNS1_25lookback_scan_determinismE0ELb1ES3_N6thrust23THRUST_200600_302600_NS6detail15normal_iteratorINSB_10device_ptrIjEEEENSD_INSE_IS6_EEEESI_S6_NSB_4plusIvEENSB_8equal_toIvEES6_EE10hipError_tPvRmT2_T3_T4_T5_mT6_T7_P12ihipStream_tbENKUlT_T0_E_clISt17integral_constantIbLb0EES12_IbLb1EEEEDaSY_SZ_EUlSY_E_NS1_11comp_targetILNS1_3genE0ELNS1_11target_archE4294967295ELNS1_3gpuE0ELNS1_3repE0EEENS1_30default_config_static_selectorELNS0_4arch9wavefront6targetE0EEEvT1_.uses_vcc, 1
	.set _ZN7rocprim17ROCPRIM_400000_NS6detail17trampoline_kernelINS0_14default_configENS1_27scan_by_key_config_selectorIj11FixedVectorIiLj2EEEEZZNS1_16scan_by_key_implILNS1_25lookback_scan_determinismE0ELb1ES3_N6thrust23THRUST_200600_302600_NS6detail15normal_iteratorINSB_10device_ptrIjEEEENSD_INSE_IS6_EEEESI_S6_NSB_4plusIvEENSB_8equal_toIvEES6_EE10hipError_tPvRmT2_T3_T4_T5_mT6_T7_P12ihipStream_tbENKUlT_T0_E_clISt17integral_constantIbLb0EES12_IbLb1EEEEDaSY_SZ_EUlSY_E_NS1_11comp_targetILNS1_3genE0ELNS1_11target_archE4294967295ELNS1_3gpuE0ELNS1_3repE0EEENS1_30default_config_static_selectorELNS0_4arch9wavefront6targetE0EEEvT1_.uses_flat_scratch, 1
	.set _ZN7rocprim17ROCPRIM_400000_NS6detail17trampoline_kernelINS0_14default_configENS1_27scan_by_key_config_selectorIj11FixedVectorIiLj2EEEEZZNS1_16scan_by_key_implILNS1_25lookback_scan_determinismE0ELb1ES3_N6thrust23THRUST_200600_302600_NS6detail15normal_iteratorINSB_10device_ptrIjEEEENSD_INSE_IS6_EEEESI_S6_NSB_4plusIvEENSB_8equal_toIvEES6_EE10hipError_tPvRmT2_T3_T4_T5_mT6_T7_P12ihipStream_tbENKUlT_T0_E_clISt17integral_constantIbLb0EES12_IbLb1EEEEDaSY_SZ_EUlSY_E_NS1_11comp_targetILNS1_3genE0ELNS1_11target_archE4294967295ELNS1_3gpuE0ELNS1_3repE0EEENS1_30default_config_static_selectorELNS0_4arch9wavefront6targetE0EEEvT1_.has_dyn_sized_stack, 0
	.set _ZN7rocprim17ROCPRIM_400000_NS6detail17trampoline_kernelINS0_14default_configENS1_27scan_by_key_config_selectorIj11FixedVectorIiLj2EEEEZZNS1_16scan_by_key_implILNS1_25lookback_scan_determinismE0ELb1ES3_N6thrust23THRUST_200600_302600_NS6detail15normal_iteratorINSB_10device_ptrIjEEEENSD_INSE_IS6_EEEESI_S6_NSB_4plusIvEENSB_8equal_toIvEES6_EE10hipError_tPvRmT2_T3_T4_T5_mT6_T7_P12ihipStream_tbENKUlT_T0_E_clISt17integral_constantIbLb0EES12_IbLb1EEEEDaSY_SZ_EUlSY_E_NS1_11comp_targetILNS1_3genE0ELNS1_11target_archE4294967295ELNS1_3gpuE0ELNS1_3repE0EEENS1_30default_config_static_selectorELNS0_4arch9wavefront6targetE0EEEvT1_.has_recursion, 0
	.set _ZN7rocprim17ROCPRIM_400000_NS6detail17trampoline_kernelINS0_14default_configENS1_27scan_by_key_config_selectorIj11FixedVectorIiLj2EEEEZZNS1_16scan_by_key_implILNS1_25lookback_scan_determinismE0ELb1ES3_N6thrust23THRUST_200600_302600_NS6detail15normal_iteratorINSB_10device_ptrIjEEEENSD_INSE_IS6_EEEESI_S6_NSB_4plusIvEENSB_8equal_toIvEES6_EE10hipError_tPvRmT2_T3_T4_T5_mT6_T7_P12ihipStream_tbENKUlT_T0_E_clISt17integral_constantIbLb0EES12_IbLb1EEEEDaSY_SZ_EUlSY_E_NS1_11comp_targetILNS1_3genE0ELNS1_11target_archE4294967295ELNS1_3gpuE0ELNS1_3repE0EEENS1_30default_config_static_selectorELNS0_4arch9wavefront6targetE0EEEvT1_.has_indirect_call, 0
	.section	.AMDGPU.csdata,"",@progbits
; Kernel info:
; codeLenInByte = 11708
; TotalNumSgprs: 48
; NumVgprs: 76
; ScratchSize: 0
; MemoryBound: 0
; FloatMode: 240
; IeeeMode: 1
; LDSByteSize: 10240 bytes/workgroup (compile time only)
; SGPRBlocks: 0
; VGPRBlocks: 4
; NumSGPRsForWavesPerEU: 48
; NumVGPRsForWavesPerEU: 76
; NamedBarCnt: 0
; Occupancy: 12
; WaveLimiterHint : 1
; COMPUTE_PGM_RSRC2:SCRATCH_EN: 0
; COMPUTE_PGM_RSRC2:USER_SGPR: 2
; COMPUTE_PGM_RSRC2:TRAP_HANDLER: 0
; COMPUTE_PGM_RSRC2:TGID_X_EN: 1
; COMPUTE_PGM_RSRC2:TGID_Y_EN: 0
; COMPUTE_PGM_RSRC2:TGID_Z_EN: 0
; COMPUTE_PGM_RSRC2:TIDIG_COMP_CNT: 0
	.section	.text._ZN7rocprim17ROCPRIM_400000_NS6detail17trampoline_kernelINS0_14default_configENS1_27scan_by_key_config_selectorIj11FixedVectorIiLj2EEEEZZNS1_16scan_by_key_implILNS1_25lookback_scan_determinismE0ELb1ES3_N6thrust23THRUST_200600_302600_NS6detail15normal_iteratorINSB_10device_ptrIjEEEENSD_INSE_IS6_EEEESI_S6_NSB_4plusIvEENSB_8equal_toIvEES6_EE10hipError_tPvRmT2_T3_T4_T5_mT6_T7_P12ihipStream_tbENKUlT_T0_E_clISt17integral_constantIbLb0EES12_IbLb1EEEEDaSY_SZ_EUlSY_E_NS1_11comp_targetILNS1_3genE10ELNS1_11target_archE1201ELNS1_3gpuE5ELNS1_3repE0EEENS1_30default_config_static_selectorELNS0_4arch9wavefront6targetE0EEEvT1_,"axG",@progbits,_ZN7rocprim17ROCPRIM_400000_NS6detail17trampoline_kernelINS0_14default_configENS1_27scan_by_key_config_selectorIj11FixedVectorIiLj2EEEEZZNS1_16scan_by_key_implILNS1_25lookback_scan_determinismE0ELb1ES3_N6thrust23THRUST_200600_302600_NS6detail15normal_iteratorINSB_10device_ptrIjEEEENSD_INSE_IS6_EEEESI_S6_NSB_4plusIvEENSB_8equal_toIvEES6_EE10hipError_tPvRmT2_T3_T4_T5_mT6_T7_P12ihipStream_tbENKUlT_T0_E_clISt17integral_constantIbLb0EES12_IbLb1EEEEDaSY_SZ_EUlSY_E_NS1_11comp_targetILNS1_3genE10ELNS1_11target_archE1201ELNS1_3gpuE5ELNS1_3repE0EEENS1_30default_config_static_selectorELNS0_4arch9wavefront6targetE0EEEvT1_,comdat
	.protected	_ZN7rocprim17ROCPRIM_400000_NS6detail17trampoline_kernelINS0_14default_configENS1_27scan_by_key_config_selectorIj11FixedVectorIiLj2EEEEZZNS1_16scan_by_key_implILNS1_25lookback_scan_determinismE0ELb1ES3_N6thrust23THRUST_200600_302600_NS6detail15normal_iteratorINSB_10device_ptrIjEEEENSD_INSE_IS6_EEEESI_S6_NSB_4plusIvEENSB_8equal_toIvEES6_EE10hipError_tPvRmT2_T3_T4_T5_mT6_T7_P12ihipStream_tbENKUlT_T0_E_clISt17integral_constantIbLb0EES12_IbLb1EEEEDaSY_SZ_EUlSY_E_NS1_11comp_targetILNS1_3genE10ELNS1_11target_archE1201ELNS1_3gpuE5ELNS1_3repE0EEENS1_30default_config_static_selectorELNS0_4arch9wavefront6targetE0EEEvT1_ ; -- Begin function _ZN7rocprim17ROCPRIM_400000_NS6detail17trampoline_kernelINS0_14default_configENS1_27scan_by_key_config_selectorIj11FixedVectorIiLj2EEEEZZNS1_16scan_by_key_implILNS1_25lookback_scan_determinismE0ELb1ES3_N6thrust23THRUST_200600_302600_NS6detail15normal_iteratorINSB_10device_ptrIjEEEENSD_INSE_IS6_EEEESI_S6_NSB_4plusIvEENSB_8equal_toIvEES6_EE10hipError_tPvRmT2_T3_T4_T5_mT6_T7_P12ihipStream_tbENKUlT_T0_E_clISt17integral_constantIbLb0EES12_IbLb1EEEEDaSY_SZ_EUlSY_E_NS1_11comp_targetILNS1_3genE10ELNS1_11target_archE1201ELNS1_3gpuE5ELNS1_3repE0EEENS1_30default_config_static_selectorELNS0_4arch9wavefront6targetE0EEEvT1_
	.globl	_ZN7rocprim17ROCPRIM_400000_NS6detail17trampoline_kernelINS0_14default_configENS1_27scan_by_key_config_selectorIj11FixedVectorIiLj2EEEEZZNS1_16scan_by_key_implILNS1_25lookback_scan_determinismE0ELb1ES3_N6thrust23THRUST_200600_302600_NS6detail15normal_iteratorINSB_10device_ptrIjEEEENSD_INSE_IS6_EEEESI_S6_NSB_4plusIvEENSB_8equal_toIvEES6_EE10hipError_tPvRmT2_T3_T4_T5_mT6_T7_P12ihipStream_tbENKUlT_T0_E_clISt17integral_constantIbLb0EES12_IbLb1EEEEDaSY_SZ_EUlSY_E_NS1_11comp_targetILNS1_3genE10ELNS1_11target_archE1201ELNS1_3gpuE5ELNS1_3repE0EEENS1_30default_config_static_selectorELNS0_4arch9wavefront6targetE0EEEvT1_
	.p2align	8
	.type	_ZN7rocprim17ROCPRIM_400000_NS6detail17trampoline_kernelINS0_14default_configENS1_27scan_by_key_config_selectorIj11FixedVectorIiLj2EEEEZZNS1_16scan_by_key_implILNS1_25lookback_scan_determinismE0ELb1ES3_N6thrust23THRUST_200600_302600_NS6detail15normal_iteratorINSB_10device_ptrIjEEEENSD_INSE_IS6_EEEESI_S6_NSB_4plusIvEENSB_8equal_toIvEES6_EE10hipError_tPvRmT2_T3_T4_T5_mT6_T7_P12ihipStream_tbENKUlT_T0_E_clISt17integral_constantIbLb0EES12_IbLb1EEEEDaSY_SZ_EUlSY_E_NS1_11comp_targetILNS1_3genE10ELNS1_11target_archE1201ELNS1_3gpuE5ELNS1_3repE0EEENS1_30default_config_static_selectorELNS0_4arch9wavefront6targetE0EEEvT1_,@function
_ZN7rocprim17ROCPRIM_400000_NS6detail17trampoline_kernelINS0_14default_configENS1_27scan_by_key_config_selectorIj11FixedVectorIiLj2EEEEZZNS1_16scan_by_key_implILNS1_25lookback_scan_determinismE0ELb1ES3_N6thrust23THRUST_200600_302600_NS6detail15normal_iteratorINSB_10device_ptrIjEEEENSD_INSE_IS6_EEEESI_S6_NSB_4plusIvEENSB_8equal_toIvEES6_EE10hipError_tPvRmT2_T3_T4_T5_mT6_T7_P12ihipStream_tbENKUlT_T0_E_clISt17integral_constantIbLb0EES12_IbLb1EEEEDaSY_SZ_EUlSY_E_NS1_11comp_targetILNS1_3genE10ELNS1_11target_archE1201ELNS1_3gpuE5ELNS1_3repE0EEENS1_30default_config_static_selectorELNS0_4arch9wavefront6targetE0EEEvT1_: ; @_ZN7rocprim17ROCPRIM_400000_NS6detail17trampoline_kernelINS0_14default_configENS1_27scan_by_key_config_selectorIj11FixedVectorIiLj2EEEEZZNS1_16scan_by_key_implILNS1_25lookback_scan_determinismE0ELb1ES3_N6thrust23THRUST_200600_302600_NS6detail15normal_iteratorINSB_10device_ptrIjEEEENSD_INSE_IS6_EEEESI_S6_NSB_4plusIvEENSB_8equal_toIvEES6_EE10hipError_tPvRmT2_T3_T4_T5_mT6_T7_P12ihipStream_tbENKUlT_T0_E_clISt17integral_constantIbLb0EES12_IbLb1EEEEDaSY_SZ_EUlSY_E_NS1_11comp_targetILNS1_3genE10ELNS1_11target_archE1201ELNS1_3gpuE5ELNS1_3repE0EEENS1_30default_config_static_selectorELNS0_4arch9wavefront6targetE0EEEvT1_
; %bb.0:
	.section	.rodata,"a",@progbits
	.p2align	6, 0x0
	.amdhsa_kernel _ZN7rocprim17ROCPRIM_400000_NS6detail17trampoline_kernelINS0_14default_configENS1_27scan_by_key_config_selectorIj11FixedVectorIiLj2EEEEZZNS1_16scan_by_key_implILNS1_25lookback_scan_determinismE0ELb1ES3_N6thrust23THRUST_200600_302600_NS6detail15normal_iteratorINSB_10device_ptrIjEEEENSD_INSE_IS6_EEEESI_S6_NSB_4plusIvEENSB_8equal_toIvEES6_EE10hipError_tPvRmT2_T3_T4_T5_mT6_T7_P12ihipStream_tbENKUlT_T0_E_clISt17integral_constantIbLb0EES12_IbLb1EEEEDaSY_SZ_EUlSY_E_NS1_11comp_targetILNS1_3genE10ELNS1_11target_archE1201ELNS1_3gpuE5ELNS1_3repE0EEENS1_30default_config_static_selectorELNS0_4arch9wavefront6targetE0EEEvT1_
		.amdhsa_group_segment_fixed_size 0
		.amdhsa_private_segment_fixed_size 0
		.amdhsa_kernarg_size 120
		.amdhsa_user_sgpr_count 2
		.amdhsa_user_sgpr_dispatch_ptr 0
		.amdhsa_user_sgpr_queue_ptr 0
		.amdhsa_user_sgpr_kernarg_segment_ptr 1
		.amdhsa_user_sgpr_dispatch_id 0
		.amdhsa_user_sgpr_kernarg_preload_length 0
		.amdhsa_user_sgpr_kernarg_preload_offset 0
		.amdhsa_user_sgpr_private_segment_size 0
		.amdhsa_wavefront_size32 1
		.amdhsa_uses_dynamic_stack 0
		.amdhsa_enable_private_segment 0
		.amdhsa_system_sgpr_workgroup_id_x 1
		.amdhsa_system_sgpr_workgroup_id_y 0
		.amdhsa_system_sgpr_workgroup_id_z 0
		.amdhsa_system_sgpr_workgroup_info 0
		.amdhsa_system_vgpr_workitem_id 0
		.amdhsa_next_free_vgpr 1
		.amdhsa_next_free_sgpr 1
		.amdhsa_named_barrier_count 0
		.amdhsa_reserve_vcc 0
		.amdhsa_float_round_mode_32 0
		.amdhsa_float_round_mode_16_64 0
		.amdhsa_float_denorm_mode_32 3
		.amdhsa_float_denorm_mode_16_64 3
		.amdhsa_fp16_overflow 0
		.amdhsa_memory_ordered 1
		.amdhsa_forward_progress 1
		.amdhsa_inst_pref_size 0
		.amdhsa_round_robin_scheduling 0
		.amdhsa_exception_fp_ieee_invalid_op 0
		.amdhsa_exception_fp_denorm_src 0
		.amdhsa_exception_fp_ieee_div_zero 0
		.amdhsa_exception_fp_ieee_overflow 0
		.amdhsa_exception_fp_ieee_underflow 0
		.amdhsa_exception_fp_ieee_inexact 0
		.amdhsa_exception_int_div_zero 0
	.end_amdhsa_kernel
	.section	.text._ZN7rocprim17ROCPRIM_400000_NS6detail17trampoline_kernelINS0_14default_configENS1_27scan_by_key_config_selectorIj11FixedVectorIiLj2EEEEZZNS1_16scan_by_key_implILNS1_25lookback_scan_determinismE0ELb1ES3_N6thrust23THRUST_200600_302600_NS6detail15normal_iteratorINSB_10device_ptrIjEEEENSD_INSE_IS6_EEEESI_S6_NSB_4plusIvEENSB_8equal_toIvEES6_EE10hipError_tPvRmT2_T3_T4_T5_mT6_T7_P12ihipStream_tbENKUlT_T0_E_clISt17integral_constantIbLb0EES12_IbLb1EEEEDaSY_SZ_EUlSY_E_NS1_11comp_targetILNS1_3genE10ELNS1_11target_archE1201ELNS1_3gpuE5ELNS1_3repE0EEENS1_30default_config_static_selectorELNS0_4arch9wavefront6targetE0EEEvT1_,"axG",@progbits,_ZN7rocprim17ROCPRIM_400000_NS6detail17trampoline_kernelINS0_14default_configENS1_27scan_by_key_config_selectorIj11FixedVectorIiLj2EEEEZZNS1_16scan_by_key_implILNS1_25lookback_scan_determinismE0ELb1ES3_N6thrust23THRUST_200600_302600_NS6detail15normal_iteratorINSB_10device_ptrIjEEEENSD_INSE_IS6_EEEESI_S6_NSB_4plusIvEENSB_8equal_toIvEES6_EE10hipError_tPvRmT2_T3_T4_T5_mT6_T7_P12ihipStream_tbENKUlT_T0_E_clISt17integral_constantIbLb0EES12_IbLb1EEEEDaSY_SZ_EUlSY_E_NS1_11comp_targetILNS1_3genE10ELNS1_11target_archE1201ELNS1_3gpuE5ELNS1_3repE0EEENS1_30default_config_static_selectorELNS0_4arch9wavefront6targetE0EEEvT1_,comdat
.Lfunc_end2021:
	.size	_ZN7rocprim17ROCPRIM_400000_NS6detail17trampoline_kernelINS0_14default_configENS1_27scan_by_key_config_selectorIj11FixedVectorIiLj2EEEEZZNS1_16scan_by_key_implILNS1_25lookback_scan_determinismE0ELb1ES3_N6thrust23THRUST_200600_302600_NS6detail15normal_iteratorINSB_10device_ptrIjEEEENSD_INSE_IS6_EEEESI_S6_NSB_4plusIvEENSB_8equal_toIvEES6_EE10hipError_tPvRmT2_T3_T4_T5_mT6_T7_P12ihipStream_tbENKUlT_T0_E_clISt17integral_constantIbLb0EES12_IbLb1EEEEDaSY_SZ_EUlSY_E_NS1_11comp_targetILNS1_3genE10ELNS1_11target_archE1201ELNS1_3gpuE5ELNS1_3repE0EEENS1_30default_config_static_selectorELNS0_4arch9wavefront6targetE0EEEvT1_, .Lfunc_end2021-_ZN7rocprim17ROCPRIM_400000_NS6detail17trampoline_kernelINS0_14default_configENS1_27scan_by_key_config_selectorIj11FixedVectorIiLj2EEEEZZNS1_16scan_by_key_implILNS1_25lookback_scan_determinismE0ELb1ES3_N6thrust23THRUST_200600_302600_NS6detail15normal_iteratorINSB_10device_ptrIjEEEENSD_INSE_IS6_EEEESI_S6_NSB_4plusIvEENSB_8equal_toIvEES6_EE10hipError_tPvRmT2_T3_T4_T5_mT6_T7_P12ihipStream_tbENKUlT_T0_E_clISt17integral_constantIbLb0EES12_IbLb1EEEEDaSY_SZ_EUlSY_E_NS1_11comp_targetILNS1_3genE10ELNS1_11target_archE1201ELNS1_3gpuE5ELNS1_3repE0EEENS1_30default_config_static_selectorELNS0_4arch9wavefront6targetE0EEEvT1_
                                        ; -- End function
	.set _ZN7rocprim17ROCPRIM_400000_NS6detail17trampoline_kernelINS0_14default_configENS1_27scan_by_key_config_selectorIj11FixedVectorIiLj2EEEEZZNS1_16scan_by_key_implILNS1_25lookback_scan_determinismE0ELb1ES3_N6thrust23THRUST_200600_302600_NS6detail15normal_iteratorINSB_10device_ptrIjEEEENSD_INSE_IS6_EEEESI_S6_NSB_4plusIvEENSB_8equal_toIvEES6_EE10hipError_tPvRmT2_T3_T4_T5_mT6_T7_P12ihipStream_tbENKUlT_T0_E_clISt17integral_constantIbLb0EES12_IbLb1EEEEDaSY_SZ_EUlSY_E_NS1_11comp_targetILNS1_3genE10ELNS1_11target_archE1201ELNS1_3gpuE5ELNS1_3repE0EEENS1_30default_config_static_selectorELNS0_4arch9wavefront6targetE0EEEvT1_.num_vgpr, 0
	.set _ZN7rocprim17ROCPRIM_400000_NS6detail17trampoline_kernelINS0_14default_configENS1_27scan_by_key_config_selectorIj11FixedVectorIiLj2EEEEZZNS1_16scan_by_key_implILNS1_25lookback_scan_determinismE0ELb1ES3_N6thrust23THRUST_200600_302600_NS6detail15normal_iteratorINSB_10device_ptrIjEEEENSD_INSE_IS6_EEEESI_S6_NSB_4plusIvEENSB_8equal_toIvEES6_EE10hipError_tPvRmT2_T3_T4_T5_mT6_T7_P12ihipStream_tbENKUlT_T0_E_clISt17integral_constantIbLb0EES12_IbLb1EEEEDaSY_SZ_EUlSY_E_NS1_11comp_targetILNS1_3genE10ELNS1_11target_archE1201ELNS1_3gpuE5ELNS1_3repE0EEENS1_30default_config_static_selectorELNS0_4arch9wavefront6targetE0EEEvT1_.num_agpr, 0
	.set _ZN7rocprim17ROCPRIM_400000_NS6detail17trampoline_kernelINS0_14default_configENS1_27scan_by_key_config_selectorIj11FixedVectorIiLj2EEEEZZNS1_16scan_by_key_implILNS1_25lookback_scan_determinismE0ELb1ES3_N6thrust23THRUST_200600_302600_NS6detail15normal_iteratorINSB_10device_ptrIjEEEENSD_INSE_IS6_EEEESI_S6_NSB_4plusIvEENSB_8equal_toIvEES6_EE10hipError_tPvRmT2_T3_T4_T5_mT6_T7_P12ihipStream_tbENKUlT_T0_E_clISt17integral_constantIbLb0EES12_IbLb1EEEEDaSY_SZ_EUlSY_E_NS1_11comp_targetILNS1_3genE10ELNS1_11target_archE1201ELNS1_3gpuE5ELNS1_3repE0EEENS1_30default_config_static_selectorELNS0_4arch9wavefront6targetE0EEEvT1_.numbered_sgpr, 0
	.set _ZN7rocprim17ROCPRIM_400000_NS6detail17trampoline_kernelINS0_14default_configENS1_27scan_by_key_config_selectorIj11FixedVectorIiLj2EEEEZZNS1_16scan_by_key_implILNS1_25lookback_scan_determinismE0ELb1ES3_N6thrust23THRUST_200600_302600_NS6detail15normal_iteratorINSB_10device_ptrIjEEEENSD_INSE_IS6_EEEESI_S6_NSB_4plusIvEENSB_8equal_toIvEES6_EE10hipError_tPvRmT2_T3_T4_T5_mT6_T7_P12ihipStream_tbENKUlT_T0_E_clISt17integral_constantIbLb0EES12_IbLb1EEEEDaSY_SZ_EUlSY_E_NS1_11comp_targetILNS1_3genE10ELNS1_11target_archE1201ELNS1_3gpuE5ELNS1_3repE0EEENS1_30default_config_static_selectorELNS0_4arch9wavefront6targetE0EEEvT1_.num_named_barrier, 0
	.set _ZN7rocprim17ROCPRIM_400000_NS6detail17trampoline_kernelINS0_14default_configENS1_27scan_by_key_config_selectorIj11FixedVectorIiLj2EEEEZZNS1_16scan_by_key_implILNS1_25lookback_scan_determinismE0ELb1ES3_N6thrust23THRUST_200600_302600_NS6detail15normal_iteratorINSB_10device_ptrIjEEEENSD_INSE_IS6_EEEESI_S6_NSB_4plusIvEENSB_8equal_toIvEES6_EE10hipError_tPvRmT2_T3_T4_T5_mT6_T7_P12ihipStream_tbENKUlT_T0_E_clISt17integral_constantIbLb0EES12_IbLb1EEEEDaSY_SZ_EUlSY_E_NS1_11comp_targetILNS1_3genE10ELNS1_11target_archE1201ELNS1_3gpuE5ELNS1_3repE0EEENS1_30default_config_static_selectorELNS0_4arch9wavefront6targetE0EEEvT1_.private_seg_size, 0
	.set _ZN7rocprim17ROCPRIM_400000_NS6detail17trampoline_kernelINS0_14default_configENS1_27scan_by_key_config_selectorIj11FixedVectorIiLj2EEEEZZNS1_16scan_by_key_implILNS1_25lookback_scan_determinismE0ELb1ES3_N6thrust23THRUST_200600_302600_NS6detail15normal_iteratorINSB_10device_ptrIjEEEENSD_INSE_IS6_EEEESI_S6_NSB_4plusIvEENSB_8equal_toIvEES6_EE10hipError_tPvRmT2_T3_T4_T5_mT6_T7_P12ihipStream_tbENKUlT_T0_E_clISt17integral_constantIbLb0EES12_IbLb1EEEEDaSY_SZ_EUlSY_E_NS1_11comp_targetILNS1_3genE10ELNS1_11target_archE1201ELNS1_3gpuE5ELNS1_3repE0EEENS1_30default_config_static_selectorELNS0_4arch9wavefront6targetE0EEEvT1_.uses_vcc, 0
	.set _ZN7rocprim17ROCPRIM_400000_NS6detail17trampoline_kernelINS0_14default_configENS1_27scan_by_key_config_selectorIj11FixedVectorIiLj2EEEEZZNS1_16scan_by_key_implILNS1_25lookback_scan_determinismE0ELb1ES3_N6thrust23THRUST_200600_302600_NS6detail15normal_iteratorINSB_10device_ptrIjEEEENSD_INSE_IS6_EEEESI_S6_NSB_4plusIvEENSB_8equal_toIvEES6_EE10hipError_tPvRmT2_T3_T4_T5_mT6_T7_P12ihipStream_tbENKUlT_T0_E_clISt17integral_constantIbLb0EES12_IbLb1EEEEDaSY_SZ_EUlSY_E_NS1_11comp_targetILNS1_3genE10ELNS1_11target_archE1201ELNS1_3gpuE5ELNS1_3repE0EEENS1_30default_config_static_selectorELNS0_4arch9wavefront6targetE0EEEvT1_.uses_flat_scratch, 0
	.set _ZN7rocprim17ROCPRIM_400000_NS6detail17trampoline_kernelINS0_14default_configENS1_27scan_by_key_config_selectorIj11FixedVectorIiLj2EEEEZZNS1_16scan_by_key_implILNS1_25lookback_scan_determinismE0ELb1ES3_N6thrust23THRUST_200600_302600_NS6detail15normal_iteratorINSB_10device_ptrIjEEEENSD_INSE_IS6_EEEESI_S6_NSB_4plusIvEENSB_8equal_toIvEES6_EE10hipError_tPvRmT2_T3_T4_T5_mT6_T7_P12ihipStream_tbENKUlT_T0_E_clISt17integral_constantIbLb0EES12_IbLb1EEEEDaSY_SZ_EUlSY_E_NS1_11comp_targetILNS1_3genE10ELNS1_11target_archE1201ELNS1_3gpuE5ELNS1_3repE0EEENS1_30default_config_static_selectorELNS0_4arch9wavefront6targetE0EEEvT1_.has_dyn_sized_stack, 0
	.set _ZN7rocprim17ROCPRIM_400000_NS6detail17trampoline_kernelINS0_14default_configENS1_27scan_by_key_config_selectorIj11FixedVectorIiLj2EEEEZZNS1_16scan_by_key_implILNS1_25lookback_scan_determinismE0ELb1ES3_N6thrust23THRUST_200600_302600_NS6detail15normal_iteratorINSB_10device_ptrIjEEEENSD_INSE_IS6_EEEESI_S6_NSB_4plusIvEENSB_8equal_toIvEES6_EE10hipError_tPvRmT2_T3_T4_T5_mT6_T7_P12ihipStream_tbENKUlT_T0_E_clISt17integral_constantIbLb0EES12_IbLb1EEEEDaSY_SZ_EUlSY_E_NS1_11comp_targetILNS1_3genE10ELNS1_11target_archE1201ELNS1_3gpuE5ELNS1_3repE0EEENS1_30default_config_static_selectorELNS0_4arch9wavefront6targetE0EEEvT1_.has_recursion, 0
	.set _ZN7rocprim17ROCPRIM_400000_NS6detail17trampoline_kernelINS0_14default_configENS1_27scan_by_key_config_selectorIj11FixedVectorIiLj2EEEEZZNS1_16scan_by_key_implILNS1_25lookback_scan_determinismE0ELb1ES3_N6thrust23THRUST_200600_302600_NS6detail15normal_iteratorINSB_10device_ptrIjEEEENSD_INSE_IS6_EEEESI_S6_NSB_4plusIvEENSB_8equal_toIvEES6_EE10hipError_tPvRmT2_T3_T4_T5_mT6_T7_P12ihipStream_tbENKUlT_T0_E_clISt17integral_constantIbLb0EES12_IbLb1EEEEDaSY_SZ_EUlSY_E_NS1_11comp_targetILNS1_3genE10ELNS1_11target_archE1201ELNS1_3gpuE5ELNS1_3repE0EEENS1_30default_config_static_selectorELNS0_4arch9wavefront6targetE0EEEvT1_.has_indirect_call, 0
	.section	.AMDGPU.csdata,"",@progbits
; Kernel info:
; codeLenInByte = 0
; TotalNumSgprs: 0
; NumVgprs: 0
; ScratchSize: 0
; MemoryBound: 0
; FloatMode: 240
; IeeeMode: 1
; LDSByteSize: 0 bytes/workgroup (compile time only)
; SGPRBlocks: 0
; VGPRBlocks: 0
; NumSGPRsForWavesPerEU: 1
; NumVGPRsForWavesPerEU: 1
; NamedBarCnt: 0
; Occupancy: 16
; WaveLimiterHint : 0
; COMPUTE_PGM_RSRC2:SCRATCH_EN: 0
; COMPUTE_PGM_RSRC2:USER_SGPR: 2
; COMPUTE_PGM_RSRC2:TRAP_HANDLER: 0
; COMPUTE_PGM_RSRC2:TGID_X_EN: 1
; COMPUTE_PGM_RSRC2:TGID_Y_EN: 0
; COMPUTE_PGM_RSRC2:TGID_Z_EN: 0
; COMPUTE_PGM_RSRC2:TIDIG_COMP_CNT: 0
	.section	.text._ZN7rocprim17ROCPRIM_400000_NS6detail17trampoline_kernelINS0_14default_configENS1_27scan_by_key_config_selectorIj11FixedVectorIiLj2EEEEZZNS1_16scan_by_key_implILNS1_25lookback_scan_determinismE0ELb1ES3_N6thrust23THRUST_200600_302600_NS6detail15normal_iteratorINSB_10device_ptrIjEEEENSD_INSE_IS6_EEEESI_S6_NSB_4plusIvEENSB_8equal_toIvEES6_EE10hipError_tPvRmT2_T3_T4_T5_mT6_T7_P12ihipStream_tbENKUlT_T0_E_clISt17integral_constantIbLb0EES12_IbLb1EEEEDaSY_SZ_EUlSY_E_NS1_11comp_targetILNS1_3genE5ELNS1_11target_archE942ELNS1_3gpuE9ELNS1_3repE0EEENS1_30default_config_static_selectorELNS0_4arch9wavefront6targetE0EEEvT1_,"axG",@progbits,_ZN7rocprim17ROCPRIM_400000_NS6detail17trampoline_kernelINS0_14default_configENS1_27scan_by_key_config_selectorIj11FixedVectorIiLj2EEEEZZNS1_16scan_by_key_implILNS1_25lookback_scan_determinismE0ELb1ES3_N6thrust23THRUST_200600_302600_NS6detail15normal_iteratorINSB_10device_ptrIjEEEENSD_INSE_IS6_EEEESI_S6_NSB_4plusIvEENSB_8equal_toIvEES6_EE10hipError_tPvRmT2_T3_T4_T5_mT6_T7_P12ihipStream_tbENKUlT_T0_E_clISt17integral_constantIbLb0EES12_IbLb1EEEEDaSY_SZ_EUlSY_E_NS1_11comp_targetILNS1_3genE5ELNS1_11target_archE942ELNS1_3gpuE9ELNS1_3repE0EEENS1_30default_config_static_selectorELNS0_4arch9wavefront6targetE0EEEvT1_,comdat
	.protected	_ZN7rocprim17ROCPRIM_400000_NS6detail17trampoline_kernelINS0_14default_configENS1_27scan_by_key_config_selectorIj11FixedVectorIiLj2EEEEZZNS1_16scan_by_key_implILNS1_25lookback_scan_determinismE0ELb1ES3_N6thrust23THRUST_200600_302600_NS6detail15normal_iteratorINSB_10device_ptrIjEEEENSD_INSE_IS6_EEEESI_S6_NSB_4plusIvEENSB_8equal_toIvEES6_EE10hipError_tPvRmT2_T3_T4_T5_mT6_T7_P12ihipStream_tbENKUlT_T0_E_clISt17integral_constantIbLb0EES12_IbLb1EEEEDaSY_SZ_EUlSY_E_NS1_11comp_targetILNS1_3genE5ELNS1_11target_archE942ELNS1_3gpuE9ELNS1_3repE0EEENS1_30default_config_static_selectorELNS0_4arch9wavefront6targetE0EEEvT1_ ; -- Begin function _ZN7rocprim17ROCPRIM_400000_NS6detail17trampoline_kernelINS0_14default_configENS1_27scan_by_key_config_selectorIj11FixedVectorIiLj2EEEEZZNS1_16scan_by_key_implILNS1_25lookback_scan_determinismE0ELb1ES3_N6thrust23THRUST_200600_302600_NS6detail15normal_iteratorINSB_10device_ptrIjEEEENSD_INSE_IS6_EEEESI_S6_NSB_4plusIvEENSB_8equal_toIvEES6_EE10hipError_tPvRmT2_T3_T4_T5_mT6_T7_P12ihipStream_tbENKUlT_T0_E_clISt17integral_constantIbLb0EES12_IbLb1EEEEDaSY_SZ_EUlSY_E_NS1_11comp_targetILNS1_3genE5ELNS1_11target_archE942ELNS1_3gpuE9ELNS1_3repE0EEENS1_30default_config_static_selectorELNS0_4arch9wavefront6targetE0EEEvT1_
	.globl	_ZN7rocprim17ROCPRIM_400000_NS6detail17trampoline_kernelINS0_14default_configENS1_27scan_by_key_config_selectorIj11FixedVectorIiLj2EEEEZZNS1_16scan_by_key_implILNS1_25lookback_scan_determinismE0ELb1ES3_N6thrust23THRUST_200600_302600_NS6detail15normal_iteratorINSB_10device_ptrIjEEEENSD_INSE_IS6_EEEESI_S6_NSB_4plusIvEENSB_8equal_toIvEES6_EE10hipError_tPvRmT2_T3_T4_T5_mT6_T7_P12ihipStream_tbENKUlT_T0_E_clISt17integral_constantIbLb0EES12_IbLb1EEEEDaSY_SZ_EUlSY_E_NS1_11comp_targetILNS1_3genE5ELNS1_11target_archE942ELNS1_3gpuE9ELNS1_3repE0EEENS1_30default_config_static_selectorELNS0_4arch9wavefront6targetE0EEEvT1_
	.p2align	8
	.type	_ZN7rocprim17ROCPRIM_400000_NS6detail17trampoline_kernelINS0_14default_configENS1_27scan_by_key_config_selectorIj11FixedVectorIiLj2EEEEZZNS1_16scan_by_key_implILNS1_25lookback_scan_determinismE0ELb1ES3_N6thrust23THRUST_200600_302600_NS6detail15normal_iteratorINSB_10device_ptrIjEEEENSD_INSE_IS6_EEEESI_S6_NSB_4plusIvEENSB_8equal_toIvEES6_EE10hipError_tPvRmT2_T3_T4_T5_mT6_T7_P12ihipStream_tbENKUlT_T0_E_clISt17integral_constantIbLb0EES12_IbLb1EEEEDaSY_SZ_EUlSY_E_NS1_11comp_targetILNS1_3genE5ELNS1_11target_archE942ELNS1_3gpuE9ELNS1_3repE0EEENS1_30default_config_static_selectorELNS0_4arch9wavefront6targetE0EEEvT1_,@function
_ZN7rocprim17ROCPRIM_400000_NS6detail17trampoline_kernelINS0_14default_configENS1_27scan_by_key_config_selectorIj11FixedVectorIiLj2EEEEZZNS1_16scan_by_key_implILNS1_25lookback_scan_determinismE0ELb1ES3_N6thrust23THRUST_200600_302600_NS6detail15normal_iteratorINSB_10device_ptrIjEEEENSD_INSE_IS6_EEEESI_S6_NSB_4plusIvEENSB_8equal_toIvEES6_EE10hipError_tPvRmT2_T3_T4_T5_mT6_T7_P12ihipStream_tbENKUlT_T0_E_clISt17integral_constantIbLb0EES12_IbLb1EEEEDaSY_SZ_EUlSY_E_NS1_11comp_targetILNS1_3genE5ELNS1_11target_archE942ELNS1_3gpuE9ELNS1_3repE0EEENS1_30default_config_static_selectorELNS0_4arch9wavefront6targetE0EEEvT1_: ; @_ZN7rocprim17ROCPRIM_400000_NS6detail17trampoline_kernelINS0_14default_configENS1_27scan_by_key_config_selectorIj11FixedVectorIiLj2EEEEZZNS1_16scan_by_key_implILNS1_25lookback_scan_determinismE0ELb1ES3_N6thrust23THRUST_200600_302600_NS6detail15normal_iteratorINSB_10device_ptrIjEEEENSD_INSE_IS6_EEEESI_S6_NSB_4plusIvEENSB_8equal_toIvEES6_EE10hipError_tPvRmT2_T3_T4_T5_mT6_T7_P12ihipStream_tbENKUlT_T0_E_clISt17integral_constantIbLb0EES12_IbLb1EEEEDaSY_SZ_EUlSY_E_NS1_11comp_targetILNS1_3genE5ELNS1_11target_archE942ELNS1_3gpuE9ELNS1_3repE0EEENS1_30default_config_static_selectorELNS0_4arch9wavefront6targetE0EEEvT1_
; %bb.0:
	.section	.rodata,"a",@progbits
	.p2align	6, 0x0
	.amdhsa_kernel _ZN7rocprim17ROCPRIM_400000_NS6detail17trampoline_kernelINS0_14default_configENS1_27scan_by_key_config_selectorIj11FixedVectorIiLj2EEEEZZNS1_16scan_by_key_implILNS1_25lookback_scan_determinismE0ELb1ES3_N6thrust23THRUST_200600_302600_NS6detail15normal_iteratorINSB_10device_ptrIjEEEENSD_INSE_IS6_EEEESI_S6_NSB_4plusIvEENSB_8equal_toIvEES6_EE10hipError_tPvRmT2_T3_T4_T5_mT6_T7_P12ihipStream_tbENKUlT_T0_E_clISt17integral_constantIbLb0EES12_IbLb1EEEEDaSY_SZ_EUlSY_E_NS1_11comp_targetILNS1_3genE5ELNS1_11target_archE942ELNS1_3gpuE9ELNS1_3repE0EEENS1_30default_config_static_selectorELNS0_4arch9wavefront6targetE0EEEvT1_
		.amdhsa_group_segment_fixed_size 0
		.amdhsa_private_segment_fixed_size 0
		.amdhsa_kernarg_size 120
		.amdhsa_user_sgpr_count 2
		.amdhsa_user_sgpr_dispatch_ptr 0
		.amdhsa_user_sgpr_queue_ptr 0
		.amdhsa_user_sgpr_kernarg_segment_ptr 1
		.amdhsa_user_sgpr_dispatch_id 0
		.amdhsa_user_sgpr_kernarg_preload_length 0
		.amdhsa_user_sgpr_kernarg_preload_offset 0
		.amdhsa_user_sgpr_private_segment_size 0
		.amdhsa_wavefront_size32 1
		.amdhsa_uses_dynamic_stack 0
		.amdhsa_enable_private_segment 0
		.amdhsa_system_sgpr_workgroup_id_x 1
		.amdhsa_system_sgpr_workgroup_id_y 0
		.amdhsa_system_sgpr_workgroup_id_z 0
		.amdhsa_system_sgpr_workgroup_info 0
		.amdhsa_system_vgpr_workitem_id 0
		.amdhsa_next_free_vgpr 1
		.amdhsa_next_free_sgpr 1
		.amdhsa_named_barrier_count 0
		.amdhsa_reserve_vcc 0
		.amdhsa_float_round_mode_32 0
		.amdhsa_float_round_mode_16_64 0
		.amdhsa_float_denorm_mode_32 3
		.amdhsa_float_denorm_mode_16_64 3
		.amdhsa_fp16_overflow 0
		.amdhsa_memory_ordered 1
		.amdhsa_forward_progress 1
		.amdhsa_inst_pref_size 0
		.amdhsa_round_robin_scheduling 0
		.amdhsa_exception_fp_ieee_invalid_op 0
		.amdhsa_exception_fp_denorm_src 0
		.amdhsa_exception_fp_ieee_div_zero 0
		.amdhsa_exception_fp_ieee_overflow 0
		.amdhsa_exception_fp_ieee_underflow 0
		.amdhsa_exception_fp_ieee_inexact 0
		.amdhsa_exception_int_div_zero 0
	.end_amdhsa_kernel
	.section	.text._ZN7rocprim17ROCPRIM_400000_NS6detail17trampoline_kernelINS0_14default_configENS1_27scan_by_key_config_selectorIj11FixedVectorIiLj2EEEEZZNS1_16scan_by_key_implILNS1_25lookback_scan_determinismE0ELb1ES3_N6thrust23THRUST_200600_302600_NS6detail15normal_iteratorINSB_10device_ptrIjEEEENSD_INSE_IS6_EEEESI_S6_NSB_4plusIvEENSB_8equal_toIvEES6_EE10hipError_tPvRmT2_T3_T4_T5_mT6_T7_P12ihipStream_tbENKUlT_T0_E_clISt17integral_constantIbLb0EES12_IbLb1EEEEDaSY_SZ_EUlSY_E_NS1_11comp_targetILNS1_3genE5ELNS1_11target_archE942ELNS1_3gpuE9ELNS1_3repE0EEENS1_30default_config_static_selectorELNS0_4arch9wavefront6targetE0EEEvT1_,"axG",@progbits,_ZN7rocprim17ROCPRIM_400000_NS6detail17trampoline_kernelINS0_14default_configENS1_27scan_by_key_config_selectorIj11FixedVectorIiLj2EEEEZZNS1_16scan_by_key_implILNS1_25lookback_scan_determinismE0ELb1ES3_N6thrust23THRUST_200600_302600_NS6detail15normal_iteratorINSB_10device_ptrIjEEEENSD_INSE_IS6_EEEESI_S6_NSB_4plusIvEENSB_8equal_toIvEES6_EE10hipError_tPvRmT2_T3_T4_T5_mT6_T7_P12ihipStream_tbENKUlT_T0_E_clISt17integral_constantIbLb0EES12_IbLb1EEEEDaSY_SZ_EUlSY_E_NS1_11comp_targetILNS1_3genE5ELNS1_11target_archE942ELNS1_3gpuE9ELNS1_3repE0EEENS1_30default_config_static_selectorELNS0_4arch9wavefront6targetE0EEEvT1_,comdat
.Lfunc_end2022:
	.size	_ZN7rocprim17ROCPRIM_400000_NS6detail17trampoline_kernelINS0_14default_configENS1_27scan_by_key_config_selectorIj11FixedVectorIiLj2EEEEZZNS1_16scan_by_key_implILNS1_25lookback_scan_determinismE0ELb1ES3_N6thrust23THRUST_200600_302600_NS6detail15normal_iteratorINSB_10device_ptrIjEEEENSD_INSE_IS6_EEEESI_S6_NSB_4plusIvEENSB_8equal_toIvEES6_EE10hipError_tPvRmT2_T3_T4_T5_mT6_T7_P12ihipStream_tbENKUlT_T0_E_clISt17integral_constantIbLb0EES12_IbLb1EEEEDaSY_SZ_EUlSY_E_NS1_11comp_targetILNS1_3genE5ELNS1_11target_archE942ELNS1_3gpuE9ELNS1_3repE0EEENS1_30default_config_static_selectorELNS0_4arch9wavefront6targetE0EEEvT1_, .Lfunc_end2022-_ZN7rocprim17ROCPRIM_400000_NS6detail17trampoline_kernelINS0_14default_configENS1_27scan_by_key_config_selectorIj11FixedVectorIiLj2EEEEZZNS1_16scan_by_key_implILNS1_25lookback_scan_determinismE0ELb1ES3_N6thrust23THRUST_200600_302600_NS6detail15normal_iteratorINSB_10device_ptrIjEEEENSD_INSE_IS6_EEEESI_S6_NSB_4plusIvEENSB_8equal_toIvEES6_EE10hipError_tPvRmT2_T3_T4_T5_mT6_T7_P12ihipStream_tbENKUlT_T0_E_clISt17integral_constantIbLb0EES12_IbLb1EEEEDaSY_SZ_EUlSY_E_NS1_11comp_targetILNS1_3genE5ELNS1_11target_archE942ELNS1_3gpuE9ELNS1_3repE0EEENS1_30default_config_static_selectorELNS0_4arch9wavefront6targetE0EEEvT1_
                                        ; -- End function
	.set _ZN7rocprim17ROCPRIM_400000_NS6detail17trampoline_kernelINS0_14default_configENS1_27scan_by_key_config_selectorIj11FixedVectorIiLj2EEEEZZNS1_16scan_by_key_implILNS1_25lookback_scan_determinismE0ELb1ES3_N6thrust23THRUST_200600_302600_NS6detail15normal_iteratorINSB_10device_ptrIjEEEENSD_INSE_IS6_EEEESI_S6_NSB_4plusIvEENSB_8equal_toIvEES6_EE10hipError_tPvRmT2_T3_T4_T5_mT6_T7_P12ihipStream_tbENKUlT_T0_E_clISt17integral_constantIbLb0EES12_IbLb1EEEEDaSY_SZ_EUlSY_E_NS1_11comp_targetILNS1_3genE5ELNS1_11target_archE942ELNS1_3gpuE9ELNS1_3repE0EEENS1_30default_config_static_selectorELNS0_4arch9wavefront6targetE0EEEvT1_.num_vgpr, 0
	.set _ZN7rocprim17ROCPRIM_400000_NS6detail17trampoline_kernelINS0_14default_configENS1_27scan_by_key_config_selectorIj11FixedVectorIiLj2EEEEZZNS1_16scan_by_key_implILNS1_25lookback_scan_determinismE0ELb1ES3_N6thrust23THRUST_200600_302600_NS6detail15normal_iteratorINSB_10device_ptrIjEEEENSD_INSE_IS6_EEEESI_S6_NSB_4plusIvEENSB_8equal_toIvEES6_EE10hipError_tPvRmT2_T3_T4_T5_mT6_T7_P12ihipStream_tbENKUlT_T0_E_clISt17integral_constantIbLb0EES12_IbLb1EEEEDaSY_SZ_EUlSY_E_NS1_11comp_targetILNS1_3genE5ELNS1_11target_archE942ELNS1_3gpuE9ELNS1_3repE0EEENS1_30default_config_static_selectorELNS0_4arch9wavefront6targetE0EEEvT1_.num_agpr, 0
	.set _ZN7rocprim17ROCPRIM_400000_NS6detail17trampoline_kernelINS0_14default_configENS1_27scan_by_key_config_selectorIj11FixedVectorIiLj2EEEEZZNS1_16scan_by_key_implILNS1_25lookback_scan_determinismE0ELb1ES3_N6thrust23THRUST_200600_302600_NS6detail15normal_iteratorINSB_10device_ptrIjEEEENSD_INSE_IS6_EEEESI_S6_NSB_4plusIvEENSB_8equal_toIvEES6_EE10hipError_tPvRmT2_T3_T4_T5_mT6_T7_P12ihipStream_tbENKUlT_T0_E_clISt17integral_constantIbLb0EES12_IbLb1EEEEDaSY_SZ_EUlSY_E_NS1_11comp_targetILNS1_3genE5ELNS1_11target_archE942ELNS1_3gpuE9ELNS1_3repE0EEENS1_30default_config_static_selectorELNS0_4arch9wavefront6targetE0EEEvT1_.numbered_sgpr, 0
	.set _ZN7rocprim17ROCPRIM_400000_NS6detail17trampoline_kernelINS0_14default_configENS1_27scan_by_key_config_selectorIj11FixedVectorIiLj2EEEEZZNS1_16scan_by_key_implILNS1_25lookback_scan_determinismE0ELb1ES3_N6thrust23THRUST_200600_302600_NS6detail15normal_iteratorINSB_10device_ptrIjEEEENSD_INSE_IS6_EEEESI_S6_NSB_4plusIvEENSB_8equal_toIvEES6_EE10hipError_tPvRmT2_T3_T4_T5_mT6_T7_P12ihipStream_tbENKUlT_T0_E_clISt17integral_constantIbLb0EES12_IbLb1EEEEDaSY_SZ_EUlSY_E_NS1_11comp_targetILNS1_3genE5ELNS1_11target_archE942ELNS1_3gpuE9ELNS1_3repE0EEENS1_30default_config_static_selectorELNS0_4arch9wavefront6targetE0EEEvT1_.num_named_barrier, 0
	.set _ZN7rocprim17ROCPRIM_400000_NS6detail17trampoline_kernelINS0_14default_configENS1_27scan_by_key_config_selectorIj11FixedVectorIiLj2EEEEZZNS1_16scan_by_key_implILNS1_25lookback_scan_determinismE0ELb1ES3_N6thrust23THRUST_200600_302600_NS6detail15normal_iteratorINSB_10device_ptrIjEEEENSD_INSE_IS6_EEEESI_S6_NSB_4plusIvEENSB_8equal_toIvEES6_EE10hipError_tPvRmT2_T3_T4_T5_mT6_T7_P12ihipStream_tbENKUlT_T0_E_clISt17integral_constantIbLb0EES12_IbLb1EEEEDaSY_SZ_EUlSY_E_NS1_11comp_targetILNS1_3genE5ELNS1_11target_archE942ELNS1_3gpuE9ELNS1_3repE0EEENS1_30default_config_static_selectorELNS0_4arch9wavefront6targetE0EEEvT1_.private_seg_size, 0
	.set _ZN7rocprim17ROCPRIM_400000_NS6detail17trampoline_kernelINS0_14default_configENS1_27scan_by_key_config_selectorIj11FixedVectorIiLj2EEEEZZNS1_16scan_by_key_implILNS1_25lookback_scan_determinismE0ELb1ES3_N6thrust23THRUST_200600_302600_NS6detail15normal_iteratorINSB_10device_ptrIjEEEENSD_INSE_IS6_EEEESI_S6_NSB_4plusIvEENSB_8equal_toIvEES6_EE10hipError_tPvRmT2_T3_T4_T5_mT6_T7_P12ihipStream_tbENKUlT_T0_E_clISt17integral_constantIbLb0EES12_IbLb1EEEEDaSY_SZ_EUlSY_E_NS1_11comp_targetILNS1_3genE5ELNS1_11target_archE942ELNS1_3gpuE9ELNS1_3repE0EEENS1_30default_config_static_selectorELNS0_4arch9wavefront6targetE0EEEvT1_.uses_vcc, 0
	.set _ZN7rocprim17ROCPRIM_400000_NS6detail17trampoline_kernelINS0_14default_configENS1_27scan_by_key_config_selectorIj11FixedVectorIiLj2EEEEZZNS1_16scan_by_key_implILNS1_25lookback_scan_determinismE0ELb1ES3_N6thrust23THRUST_200600_302600_NS6detail15normal_iteratorINSB_10device_ptrIjEEEENSD_INSE_IS6_EEEESI_S6_NSB_4plusIvEENSB_8equal_toIvEES6_EE10hipError_tPvRmT2_T3_T4_T5_mT6_T7_P12ihipStream_tbENKUlT_T0_E_clISt17integral_constantIbLb0EES12_IbLb1EEEEDaSY_SZ_EUlSY_E_NS1_11comp_targetILNS1_3genE5ELNS1_11target_archE942ELNS1_3gpuE9ELNS1_3repE0EEENS1_30default_config_static_selectorELNS0_4arch9wavefront6targetE0EEEvT1_.uses_flat_scratch, 0
	.set _ZN7rocprim17ROCPRIM_400000_NS6detail17trampoline_kernelINS0_14default_configENS1_27scan_by_key_config_selectorIj11FixedVectorIiLj2EEEEZZNS1_16scan_by_key_implILNS1_25lookback_scan_determinismE0ELb1ES3_N6thrust23THRUST_200600_302600_NS6detail15normal_iteratorINSB_10device_ptrIjEEEENSD_INSE_IS6_EEEESI_S6_NSB_4plusIvEENSB_8equal_toIvEES6_EE10hipError_tPvRmT2_T3_T4_T5_mT6_T7_P12ihipStream_tbENKUlT_T0_E_clISt17integral_constantIbLb0EES12_IbLb1EEEEDaSY_SZ_EUlSY_E_NS1_11comp_targetILNS1_3genE5ELNS1_11target_archE942ELNS1_3gpuE9ELNS1_3repE0EEENS1_30default_config_static_selectorELNS0_4arch9wavefront6targetE0EEEvT1_.has_dyn_sized_stack, 0
	.set _ZN7rocprim17ROCPRIM_400000_NS6detail17trampoline_kernelINS0_14default_configENS1_27scan_by_key_config_selectorIj11FixedVectorIiLj2EEEEZZNS1_16scan_by_key_implILNS1_25lookback_scan_determinismE0ELb1ES3_N6thrust23THRUST_200600_302600_NS6detail15normal_iteratorINSB_10device_ptrIjEEEENSD_INSE_IS6_EEEESI_S6_NSB_4plusIvEENSB_8equal_toIvEES6_EE10hipError_tPvRmT2_T3_T4_T5_mT6_T7_P12ihipStream_tbENKUlT_T0_E_clISt17integral_constantIbLb0EES12_IbLb1EEEEDaSY_SZ_EUlSY_E_NS1_11comp_targetILNS1_3genE5ELNS1_11target_archE942ELNS1_3gpuE9ELNS1_3repE0EEENS1_30default_config_static_selectorELNS0_4arch9wavefront6targetE0EEEvT1_.has_recursion, 0
	.set _ZN7rocprim17ROCPRIM_400000_NS6detail17trampoline_kernelINS0_14default_configENS1_27scan_by_key_config_selectorIj11FixedVectorIiLj2EEEEZZNS1_16scan_by_key_implILNS1_25lookback_scan_determinismE0ELb1ES3_N6thrust23THRUST_200600_302600_NS6detail15normal_iteratorINSB_10device_ptrIjEEEENSD_INSE_IS6_EEEESI_S6_NSB_4plusIvEENSB_8equal_toIvEES6_EE10hipError_tPvRmT2_T3_T4_T5_mT6_T7_P12ihipStream_tbENKUlT_T0_E_clISt17integral_constantIbLb0EES12_IbLb1EEEEDaSY_SZ_EUlSY_E_NS1_11comp_targetILNS1_3genE5ELNS1_11target_archE942ELNS1_3gpuE9ELNS1_3repE0EEENS1_30default_config_static_selectorELNS0_4arch9wavefront6targetE0EEEvT1_.has_indirect_call, 0
	.section	.AMDGPU.csdata,"",@progbits
; Kernel info:
; codeLenInByte = 0
; TotalNumSgprs: 0
; NumVgprs: 0
; ScratchSize: 0
; MemoryBound: 0
; FloatMode: 240
; IeeeMode: 1
; LDSByteSize: 0 bytes/workgroup (compile time only)
; SGPRBlocks: 0
; VGPRBlocks: 0
; NumSGPRsForWavesPerEU: 1
; NumVGPRsForWavesPerEU: 1
; NamedBarCnt: 0
; Occupancy: 16
; WaveLimiterHint : 0
; COMPUTE_PGM_RSRC2:SCRATCH_EN: 0
; COMPUTE_PGM_RSRC2:USER_SGPR: 2
; COMPUTE_PGM_RSRC2:TRAP_HANDLER: 0
; COMPUTE_PGM_RSRC2:TGID_X_EN: 1
; COMPUTE_PGM_RSRC2:TGID_Y_EN: 0
; COMPUTE_PGM_RSRC2:TGID_Z_EN: 0
; COMPUTE_PGM_RSRC2:TIDIG_COMP_CNT: 0
	.section	.text._ZN7rocprim17ROCPRIM_400000_NS6detail17trampoline_kernelINS0_14default_configENS1_27scan_by_key_config_selectorIj11FixedVectorIiLj2EEEEZZNS1_16scan_by_key_implILNS1_25lookback_scan_determinismE0ELb1ES3_N6thrust23THRUST_200600_302600_NS6detail15normal_iteratorINSB_10device_ptrIjEEEENSD_INSE_IS6_EEEESI_S6_NSB_4plusIvEENSB_8equal_toIvEES6_EE10hipError_tPvRmT2_T3_T4_T5_mT6_T7_P12ihipStream_tbENKUlT_T0_E_clISt17integral_constantIbLb0EES12_IbLb1EEEEDaSY_SZ_EUlSY_E_NS1_11comp_targetILNS1_3genE4ELNS1_11target_archE910ELNS1_3gpuE8ELNS1_3repE0EEENS1_30default_config_static_selectorELNS0_4arch9wavefront6targetE0EEEvT1_,"axG",@progbits,_ZN7rocprim17ROCPRIM_400000_NS6detail17trampoline_kernelINS0_14default_configENS1_27scan_by_key_config_selectorIj11FixedVectorIiLj2EEEEZZNS1_16scan_by_key_implILNS1_25lookback_scan_determinismE0ELb1ES3_N6thrust23THRUST_200600_302600_NS6detail15normal_iteratorINSB_10device_ptrIjEEEENSD_INSE_IS6_EEEESI_S6_NSB_4plusIvEENSB_8equal_toIvEES6_EE10hipError_tPvRmT2_T3_T4_T5_mT6_T7_P12ihipStream_tbENKUlT_T0_E_clISt17integral_constantIbLb0EES12_IbLb1EEEEDaSY_SZ_EUlSY_E_NS1_11comp_targetILNS1_3genE4ELNS1_11target_archE910ELNS1_3gpuE8ELNS1_3repE0EEENS1_30default_config_static_selectorELNS0_4arch9wavefront6targetE0EEEvT1_,comdat
	.protected	_ZN7rocprim17ROCPRIM_400000_NS6detail17trampoline_kernelINS0_14default_configENS1_27scan_by_key_config_selectorIj11FixedVectorIiLj2EEEEZZNS1_16scan_by_key_implILNS1_25lookback_scan_determinismE0ELb1ES3_N6thrust23THRUST_200600_302600_NS6detail15normal_iteratorINSB_10device_ptrIjEEEENSD_INSE_IS6_EEEESI_S6_NSB_4plusIvEENSB_8equal_toIvEES6_EE10hipError_tPvRmT2_T3_T4_T5_mT6_T7_P12ihipStream_tbENKUlT_T0_E_clISt17integral_constantIbLb0EES12_IbLb1EEEEDaSY_SZ_EUlSY_E_NS1_11comp_targetILNS1_3genE4ELNS1_11target_archE910ELNS1_3gpuE8ELNS1_3repE0EEENS1_30default_config_static_selectorELNS0_4arch9wavefront6targetE0EEEvT1_ ; -- Begin function _ZN7rocprim17ROCPRIM_400000_NS6detail17trampoline_kernelINS0_14default_configENS1_27scan_by_key_config_selectorIj11FixedVectorIiLj2EEEEZZNS1_16scan_by_key_implILNS1_25lookback_scan_determinismE0ELb1ES3_N6thrust23THRUST_200600_302600_NS6detail15normal_iteratorINSB_10device_ptrIjEEEENSD_INSE_IS6_EEEESI_S6_NSB_4plusIvEENSB_8equal_toIvEES6_EE10hipError_tPvRmT2_T3_T4_T5_mT6_T7_P12ihipStream_tbENKUlT_T0_E_clISt17integral_constantIbLb0EES12_IbLb1EEEEDaSY_SZ_EUlSY_E_NS1_11comp_targetILNS1_3genE4ELNS1_11target_archE910ELNS1_3gpuE8ELNS1_3repE0EEENS1_30default_config_static_selectorELNS0_4arch9wavefront6targetE0EEEvT1_
	.globl	_ZN7rocprim17ROCPRIM_400000_NS6detail17trampoline_kernelINS0_14default_configENS1_27scan_by_key_config_selectorIj11FixedVectorIiLj2EEEEZZNS1_16scan_by_key_implILNS1_25lookback_scan_determinismE0ELb1ES3_N6thrust23THRUST_200600_302600_NS6detail15normal_iteratorINSB_10device_ptrIjEEEENSD_INSE_IS6_EEEESI_S6_NSB_4plusIvEENSB_8equal_toIvEES6_EE10hipError_tPvRmT2_T3_T4_T5_mT6_T7_P12ihipStream_tbENKUlT_T0_E_clISt17integral_constantIbLb0EES12_IbLb1EEEEDaSY_SZ_EUlSY_E_NS1_11comp_targetILNS1_3genE4ELNS1_11target_archE910ELNS1_3gpuE8ELNS1_3repE0EEENS1_30default_config_static_selectorELNS0_4arch9wavefront6targetE0EEEvT1_
	.p2align	8
	.type	_ZN7rocprim17ROCPRIM_400000_NS6detail17trampoline_kernelINS0_14default_configENS1_27scan_by_key_config_selectorIj11FixedVectorIiLj2EEEEZZNS1_16scan_by_key_implILNS1_25lookback_scan_determinismE0ELb1ES3_N6thrust23THRUST_200600_302600_NS6detail15normal_iteratorINSB_10device_ptrIjEEEENSD_INSE_IS6_EEEESI_S6_NSB_4plusIvEENSB_8equal_toIvEES6_EE10hipError_tPvRmT2_T3_T4_T5_mT6_T7_P12ihipStream_tbENKUlT_T0_E_clISt17integral_constantIbLb0EES12_IbLb1EEEEDaSY_SZ_EUlSY_E_NS1_11comp_targetILNS1_3genE4ELNS1_11target_archE910ELNS1_3gpuE8ELNS1_3repE0EEENS1_30default_config_static_selectorELNS0_4arch9wavefront6targetE0EEEvT1_,@function
_ZN7rocprim17ROCPRIM_400000_NS6detail17trampoline_kernelINS0_14default_configENS1_27scan_by_key_config_selectorIj11FixedVectorIiLj2EEEEZZNS1_16scan_by_key_implILNS1_25lookback_scan_determinismE0ELb1ES3_N6thrust23THRUST_200600_302600_NS6detail15normal_iteratorINSB_10device_ptrIjEEEENSD_INSE_IS6_EEEESI_S6_NSB_4plusIvEENSB_8equal_toIvEES6_EE10hipError_tPvRmT2_T3_T4_T5_mT6_T7_P12ihipStream_tbENKUlT_T0_E_clISt17integral_constantIbLb0EES12_IbLb1EEEEDaSY_SZ_EUlSY_E_NS1_11comp_targetILNS1_3genE4ELNS1_11target_archE910ELNS1_3gpuE8ELNS1_3repE0EEENS1_30default_config_static_selectorELNS0_4arch9wavefront6targetE0EEEvT1_: ; @_ZN7rocprim17ROCPRIM_400000_NS6detail17trampoline_kernelINS0_14default_configENS1_27scan_by_key_config_selectorIj11FixedVectorIiLj2EEEEZZNS1_16scan_by_key_implILNS1_25lookback_scan_determinismE0ELb1ES3_N6thrust23THRUST_200600_302600_NS6detail15normal_iteratorINSB_10device_ptrIjEEEENSD_INSE_IS6_EEEESI_S6_NSB_4plusIvEENSB_8equal_toIvEES6_EE10hipError_tPvRmT2_T3_T4_T5_mT6_T7_P12ihipStream_tbENKUlT_T0_E_clISt17integral_constantIbLb0EES12_IbLb1EEEEDaSY_SZ_EUlSY_E_NS1_11comp_targetILNS1_3genE4ELNS1_11target_archE910ELNS1_3gpuE8ELNS1_3repE0EEENS1_30default_config_static_selectorELNS0_4arch9wavefront6targetE0EEEvT1_
; %bb.0:
	.section	.rodata,"a",@progbits
	.p2align	6, 0x0
	.amdhsa_kernel _ZN7rocprim17ROCPRIM_400000_NS6detail17trampoline_kernelINS0_14default_configENS1_27scan_by_key_config_selectorIj11FixedVectorIiLj2EEEEZZNS1_16scan_by_key_implILNS1_25lookback_scan_determinismE0ELb1ES3_N6thrust23THRUST_200600_302600_NS6detail15normal_iteratorINSB_10device_ptrIjEEEENSD_INSE_IS6_EEEESI_S6_NSB_4plusIvEENSB_8equal_toIvEES6_EE10hipError_tPvRmT2_T3_T4_T5_mT6_T7_P12ihipStream_tbENKUlT_T0_E_clISt17integral_constantIbLb0EES12_IbLb1EEEEDaSY_SZ_EUlSY_E_NS1_11comp_targetILNS1_3genE4ELNS1_11target_archE910ELNS1_3gpuE8ELNS1_3repE0EEENS1_30default_config_static_selectorELNS0_4arch9wavefront6targetE0EEEvT1_
		.amdhsa_group_segment_fixed_size 0
		.amdhsa_private_segment_fixed_size 0
		.amdhsa_kernarg_size 120
		.amdhsa_user_sgpr_count 2
		.amdhsa_user_sgpr_dispatch_ptr 0
		.amdhsa_user_sgpr_queue_ptr 0
		.amdhsa_user_sgpr_kernarg_segment_ptr 1
		.amdhsa_user_sgpr_dispatch_id 0
		.amdhsa_user_sgpr_kernarg_preload_length 0
		.amdhsa_user_sgpr_kernarg_preload_offset 0
		.amdhsa_user_sgpr_private_segment_size 0
		.amdhsa_wavefront_size32 1
		.amdhsa_uses_dynamic_stack 0
		.amdhsa_enable_private_segment 0
		.amdhsa_system_sgpr_workgroup_id_x 1
		.amdhsa_system_sgpr_workgroup_id_y 0
		.amdhsa_system_sgpr_workgroup_id_z 0
		.amdhsa_system_sgpr_workgroup_info 0
		.amdhsa_system_vgpr_workitem_id 0
		.amdhsa_next_free_vgpr 1
		.amdhsa_next_free_sgpr 1
		.amdhsa_named_barrier_count 0
		.amdhsa_reserve_vcc 0
		.amdhsa_float_round_mode_32 0
		.amdhsa_float_round_mode_16_64 0
		.amdhsa_float_denorm_mode_32 3
		.amdhsa_float_denorm_mode_16_64 3
		.amdhsa_fp16_overflow 0
		.amdhsa_memory_ordered 1
		.amdhsa_forward_progress 1
		.amdhsa_inst_pref_size 0
		.amdhsa_round_robin_scheduling 0
		.amdhsa_exception_fp_ieee_invalid_op 0
		.amdhsa_exception_fp_denorm_src 0
		.amdhsa_exception_fp_ieee_div_zero 0
		.amdhsa_exception_fp_ieee_overflow 0
		.amdhsa_exception_fp_ieee_underflow 0
		.amdhsa_exception_fp_ieee_inexact 0
		.amdhsa_exception_int_div_zero 0
	.end_amdhsa_kernel
	.section	.text._ZN7rocprim17ROCPRIM_400000_NS6detail17trampoline_kernelINS0_14default_configENS1_27scan_by_key_config_selectorIj11FixedVectorIiLj2EEEEZZNS1_16scan_by_key_implILNS1_25lookback_scan_determinismE0ELb1ES3_N6thrust23THRUST_200600_302600_NS6detail15normal_iteratorINSB_10device_ptrIjEEEENSD_INSE_IS6_EEEESI_S6_NSB_4plusIvEENSB_8equal_toIvEES6_EE10hipError_tPvRmT2_T3_T4_T5_mT6_T7_P12ihipStream_tbENKUlT_T0_E_clISt17integral_constantIbLb0EES12_IbLb1EEEEDaSY_SZ_EUlSY_E_NS1_11comp_targetILNS1_3genE4ELNS1_11target_archE910ELNS1_3gpuE8ELNS1_3repE0EEENS1_30default_config_static_selectorELNS0_4arch9wavefront6targetE0EEEvT1_,"axG",@progbits,_ZN7rocprim17ROCPRIM_400000_NS6detail17trampoline_kernelINS0_14default_configENS1_27scan_by_key_config_selectorIj11FixedVectorIiLj2EEEEZZNS1_16scan_by_key_implILNS1_25lookback_scan_determinismE0ELb1ES3_N6thrust23THRUST_200600_302600_NS6detail15normal_iteratorINSB_10device_ptrIjEEEENSD_INSE_IS6_EEEESI_S6_NSB_4plusIvEENSB_8equal_toIvEES6_EE10hipError_tPvRmT2_T3_T4_T5_mT6_T7_P12ihipStream_tbENKUlT_T0_E_clISt17integral_constantIbLb0EES12_IbLb1EEEEDaSY_SZ_EUlSY_E_NS1_11comp_targetILNS1_3genE4ELNS1_11target_archE910ELNS1_3gpuE8ELNS1_3repE0EEENS1_30default_config_static_selectorELNS0_4arch9wavefront6targetE0EEEvT1_,comdat
.Lfunc_end2023:
	.size	_ZN7rocprim17ROCPRIM_400000_NS6detail17trampoline_kernelINS0_14default_configENS1_27scan_by_key_config_selectorIj11FixedVectorIiLj2EEEEZZNS1_16scan_by_key_implILNS1_25lookback_scan_determinismE0ELb1ES3_N6thrust23THRUST_200600_302600_NS6detail15normal_iteratorINSB_10device_ptrIjEEEENSD_INSE_IS6_EEEESI_S6_NSB_4plusIvEENSB_8equal_toIvEES6_EE10hipError_tPvRmT2_T3_T4_T5_mT6_T7_P12ihipStream_tbENKUlT_T0_E_clISt17integral_constantIbLb0EES12_IbLb1EEEEDaSY_SZ_EUlSY_E_NS1_11comp_targetILNS1_3genE4ELNS1_11target_archE910ELNS1_3gpuE8ELNS1_3repE0EEENS1_30default_config_static_selectorELNS0_4arch9wavefront6targetE0EEEvT1_, .Lfunc_end2023-_ZN7rocprim17ROCPRIM_400000_NS6detail17trampoline_kernelINS0_14default_configENS1_27scan_by_key_config_selectorIj11FixedVectorIiLj2EEEEZZNS1_16scan_by_key_implILNS1_25lookback_scan_determinismE0ELb1ES3_N6thrust23THRUST_200600_302600_NS6detail15normal_iteratorINSB_10device_ptrIjEEEENSD_INSE_IS6_EEEESI_S6_NSB_4plusIvEENSB_8equal_toIvEES6_EE10hipError_tPvRmT2_T3_T4_T5_mT6_T7_P12ihipStream_tbENKUlT_T0_E_clISt17integral_constantIbLb0EES12_IbLb1EEEEDaSY_SZ_EUlSY_E_NS1_11comp_targetILNS1_3genE4ELNS1_11target_archE910ELNS1_3gpuE8ELNS1_3repE0EEENS1_30default_config_static_selectorELNS0_4arch9wavefront6targetE0EEEvT1_
                                        ; -- End function
	.set _ZN7rocprim17ROCPRIM_400000_NS6detail17trampoline_kernelINS0_14default_configENS1_27scan_by_key_config_selectorIj11FixedVectorIiLj2EEEEZZNS1_16scan_by_key_implILNS1_25lookback_scan_determinismE0ELb1ES3_N6thrust23THRUST_200600_302600_NS6detail15normal_iteratorINSB_10device_ptrIjEEEENSD_INSE_IS6_EEEESI_S6_NSB_4plusIvEENSB_8equal_toIvEES6_EE10hipError_tPvRmT2_T3_T4_T5_mT6_T7_P12ihipStream_tbENKUlT_T0_E_clISt17integral_constantIbLb0EES12_IbLb1EEEEDaSY_SZ_EUlSY_E_NS1_11comp_targetILNS1_3genE4ELNS1_11target_archE910ELNS1_3gpuE8ELNS1_3repE0EEENS1_30default_config_static_selectorELNS0_4arch9wavefront6targetE0EEEvT1_.num_vgpr, 0
	.set _ZN7rocprim17ROCPRIM_400000_NS6detail17trampoline_kernelINS0_14default_configENS1_27scan_by_key_config_selectorIj11FixedVectorIiLj2EEEEZZNS1_16scan_by_key_implILNS1_25lookback_scan_determinismE0ELb1ES3_N6thrust23THRUST_200600_302600_NS6detail15normal_iteratorINSB_10device_ptrIjEEEENSD_INSE_IS6_EEEESI_S6_NSB_4plusIvEENSB_8equal_toIvEES6_EE10hipError_tPvRmT2_T3_T4_T5_mT6_T7_P12ihipStream_tbENKUlT_T0_E_clISt17integral_constantIbLb0EES12_IbLb1EEEEDaSY_SZ_EUlSY_E_NS1_11comp_targetILNS1_3genE4ELNS1_11target_archE910ELNS1_3gpuE8ELNS1_3repE0EEENS1_30default_config_static_selectorELNS0_4arch9wavefront6targetE0EEEvT1_.num_agpr, 0
	.set _ZN7rocprim17ROCPRIM_400000_NS6detail17trampoline_kernelINS0_14default_configENS1_27scan_by_key_config_selectorIj11FixedVectorIiLj2EEEEZZNS1_16scan_by_key_implILNS1_25lookback_scan_determinismE0ELb1ES3_N6thrust23THRUST_200600_302600_NS6detail15normal_iteratorINSB_10device_ptrIjEEEENSD_INSE_IS6_EEEESI_S6_NSB_4plusIvEENSB_8equal_toIvEES6_EE10hipError_tPvRmT2_T3_T4_T5_mT6_T7_P12ihipStream_tbENKUlT_T0_E_clISt17integral_constantIbLb0EES12_IbLb1EEEEDaSY_SZ_EUlSY_E_NS1_11comp_targetILNS1_3genE4ELNS1_11target_archE910ELNS1_3gpuE8ELNS1_3repE0EEENS1_30default_config_static_selectorELNS0_4arch9wavefront6targetE0EEEvT1_.numbered_sgpr, 0
	.set _ZN7rocprim17ROCPRIM_400000_NS6detail17trampoline_kernelINS0_14default_configENS1_27scan_by_key_config_selectorIj11FixedVectorIiLj2EEEEZZNS1_16scan_by_key_implILNS1_25lookback_scan_determinismE0ELb1ES3_N6thrust23THRUST_200600_302600_NS6detail15normal_iteratorINSB_10device_ptrIjEEEENSD_INSE_IS6_EEEESI_S6_NSB_4plusIvEENSB_8equal_toIvEES6_EE10hipError_tPvRmT2_T3_T4_T5_mT6_T7_P12ihipStream_tbENKUlT_T0_E_clISt17integral_constantIbLb0EES12_IbLb1EEEEDaSY_SZ_EUlSY_E_NS1_11comp_targetILNS1_3genE4ELNS1_11target_archE910ELNS1_3gpuE8ELNS1_3repE0EEENS1_30default_config_static_selectorELNS0_4arch9wavefront6targetE0EEEvT1_.num_named_barrier, 0
	.set _ZN7rocprim17ROCPRIM_400000_NS6detail17trampoline_kernelINS0_14default_configENS1_27scan_by_key_config_selectorIj11FixedVectorIiLj2EEEEZZNS1_16scan_by_key_implILNS1_25lookback_scan_determinismE0ELb1ES3_N6thrust23THRUST_200600_302600_NS6detail15normal_iteratorINSB_10device_ptrIjEEEENSD_INSE_IS6_EEEESI_S6_NSB_4plusIvEENSB_8equal_toIvEES6_EE10hipError_tPvRmT2_T3_T4_T5_mT6_T7_P12ihipStream_tbENKUlT_T0_E_clISt17integral_constantIbLb0EES12_IbLb1EEEEDaSY_SZ_EUlSY_E_NS1_11comp_targetILNS1_3genE4ELNS1_11target_archE910ELNS1_3gpuE8ELNS1_3repE0EEENS1_30default_config_static_selectorELNS0_4arch9wavefront6targetE0EEEvT1_.private_seg_size, 0
	.set _ZN7rocprim17ROCPRIM_400000_NS6detail17trampoline_kernelINS0_14default_configENS1_27scan_by_key_config_selectorIj11FixedVectorIiLj2EEEEZZNS1_16scan_by_key_implILNS1_25lookback_scan_determinismE0ELb1ES3_N6thrust23THRUST_200600_302600_NS6detail15normal_iteratorINSB_10device_ptrIjEEEENSD_INSE_IS6_EEEESI_S6_NSB_4plusIvEENSB_8equal_toIvEES6_EE10hipError_tPvRmT2_T3_T4_T5_mT6_T7_P12ihipStream_tbENKUlT_T0_E_clISt17integral_constantIbLb0EES12_IbLb1EEEEDaSY_SZ_EUlSY_E_NS1_11comp_targetILNS1_3genE4ELNS1_11target_archE910ELNS1_3gpuE8ELNS1_3repE0EEENS1_30default_config_static_selectorELNS0_4arch9wavefront6targetE0EEEvT1_.uses_vcc, 0
	.set _ZN7rocprim17ROCPRIM_400000_NS6detail17trampoline_kernelINS0_14default_configENS1_27scan_by_key_config_selectorIj11FixedVectorIiLj2EEEEZZNS1_16scan_by_key_implILNS1_25lookback_scan_determinismE0ELb1ES3_N6thrust23THRUST_200600_302600_NS6detail15normal_iteratorINSB_10device_ptrIjEEEENSD_INSE_IS6_EEEESI_S6_NSB_4plusIvEENSB_8equal_toIvEES6_EE10hipError_tPvRmT2_T3_T4_T5_mT6_T7_P12ihipStream_tbENKUlT_T0_E_clISt17integral_constantIbLb0EES12_IbLb1EEEEDaSY_SZ_EUlSY_E_NS1_11comp_targetILNS1_3genE4ELNS1_11target_archE910ELNS1_3gpuE8ELNS1_3repE0EEENS1_30default_config_static_selectorELNS0_4arch9wavefront6targetE0EEEvT1_.uses_flat_scratch, 0
	.set _ZN7rocprim17ROCPRIM_400000_NS6detail17trampoline_kernelINS0_14default_configENS1_27scan_by_key_config_selectorIj11FixedVectorIiLj2EEEEZZNS1_16scan_by_key_implILNS1_25lookback_scan_determinismE0ELb1ES3_N6thrust23THRUST_200600_302600_NS6detail15normal_iteratorINSB_10device_ptrIjEEEENSD_INSE_IS6_EEEESI_S6_NSB_4plusIvEENSB_8equal_toIvEES6_EE10hipError_tPvRmT2_T3_T4_T5_mT6_T7_P12ihipStream_tbENKUlT_T0_E_clISt17integral_constantIbLb0EES12_IbLb1EEEEDaSY_SZ_EUlSY_E_NS1_11comp_targetILNS1_3genE4ELNS1_11target_archE910ELNS1_3gpuE8ELNS1_3repE0EEENS1_30default_config_static_selectorELNS0_4arch9wavefront6targetE0EEEvT1_.has_dyn_sized_stack, 0
	.set _ZN7rocprim17ROCPRIM_400000_NS6detail17trampoline_kernelINS0_14default_configENS1_27scan_by_key_config_selectorIj11FixedVectorIiLj2EEEEZZNS1_16scan_by_key_implILNS1_25lookback_scan_determinismE0ELb1ES3_N6thrust23THRUST_200600_302600_NS6detail15normal_iteratorINSB_10device_ptrIjEEEENSD_INSE_IS6_EEEESI_S6_NSB_4plusIvEENSB_8equal_toIvEES6_EE10hipError_tPvRmT2_T3_T4_T5_mT6_T7_P12ihipStream_tbENKUlT_T0_E_clISt17integral_constantIbLb0EES12_IbLb1EEEEDaSY_SZ_EUlSY_E_NS1_11comp_targetILNS1_3genE4ELNS1_11target_archE910ELNS1_3gpuE8ELNS1_3repE0EEENS1_30default_config_static_selectorELNS0_4arch9wavefront6targetE0EEEvT1_.has_recursion, 0
	.set _ZN7rocprim17ROCPRIM_400000_NS6detail17trampoline_kernelINS0_14default_configENS1_27scan_by_key_config_selectorIj11FixedVectorIiLj2EEEEZZNS1_16scan_by_key_implILNS1_25lookback_scan_determinismE0ELb1ES3_N6thrust23THRUST_200600_302600_NS6detail15normal_iteratorINSB_10device_ptrIjEEEENSD_INSE_IS6_EEEESI_S6_NSB_4plusIvEENSB_8equal_toIvEES6_EE10hipError_tPvRmT2_T3_T4_T5_mT6_T7_P12ihipStream_tbENKUlT_T0_E_clISt17integral_constantIbLb0EES12_IbLb1EEEEDaSY_SZ_EUlSY_E_NS1_11comp_targetILNS1_3genE4ELNS1_11target_archE910ELNS1_3gpuE8ELNS1_3repE0EEENS1_30default_config_static_selectorELNS0_4arch9wavefront6targetE0EEEvT1_.has_indirect_call, 0
	.section	.AMDGPU.csdata,"",@progbits
; Kernel info:
; codeLenInByte = 0
; TotalNumSgprs: 0
; NumVgprs: 0
; ScratchSize: 0
; MemoryBound: 0
; FloatMode: 240
; IeeeMode: 1
; LDSByteSize: 0 bytes/workgroup (compile time only)
; SGPRBlocks: 0
; VGPRBlocks: 0
; NumSGPRsForWavesPerEU: 1
; NumVGPRsForWavesPerEU: 1
; NamedBarCnt: 0
; Occupancy: 16
; WaveLimiterHint : 0
; COMPUTE_PGM_RSRC2:SCRATCH_EN: 0
; COMPUTE_PGM_RSRC2:USER_SGPR: 2
; COMPUTE_PGM_RSRC2:TRAP_HANDLER: 0
; COMPUTE_PGM_RSRC2:TGID_X_EN: 1
; COMPUTE_PGM_RSRC2:TGID_Y_EN: 0
; COMPUTE_PGM_RSRC2:TGID_Z_EN: 0
; COMPUTE_PGM_RSRC2:TIDIG_COMP_CNT: 0
	.section	.text._ZN7rocprim17ROCPRIM_400000_NS6detail17trampoline_kernelINS0_14default_configENS1_27scan_by_key_config_selectorIj11FixedVectorIiLj2EEEEZZNS1_16scan_by_key_implILNS1_25lookback_scan_determinismE0ELb1ES3_N6thrust23THRUST_200600_302600_NS6detail15normal_iteratorINSB_10device_ptrIjEEEENSD_INSE_IS6_EEEESI_S6_NSB_4plusIvEENSB_8equal_toIvEES6_EE10hipError_tPvRmT2_T3_T4_T5_mT6_T7_P12ihipStream_tbENKUlT_T0_E_clISt17integral_constantIbLb0EES12_IbLb1EEEEDaSY_SZ_EUlSY_E_NS1_11comp_targetILNS1_3genE3ELNS1_11target_archE908ELNS1_3gpuE7ELNS1_3repE0EEENS1_30default_config_static_selectorELNS0_4arch9wavefront6targetE0EEEvT1_,"axG",@progbits,_ZN7rocprim17ROCPRIM_400000_NS6detail17trampoline_kernelINS0_14default_configENS1_27scan_by_key_config_selectorIj11FixedVectorIiLj2EEEEZZNS1_16scan_by_key_implILNS1_25lookback_scan_determinismE0ELb1ES3_N6thrust23THRUST_200600_302600_NS6detail15normal_iteratorINSB_10device_ptrIjEEEENSD_INSE_IS6_EEEESI_S6_NSB_4plusIvEENSB_8equal_toIvEES6_EE10hipError_tPvRmT2_T3_T4_T5_mT6_T7_P12ihipStream_tbENKUlT_T0_E_clISt17integral_constantIbLb0EES12_IbLb1EEEEDaSY_SZ_EUlSY_E_NS1_11comp_targetILNS1_3genE3ELNS1_11target_archE908ELNS1_3gpuE7ELNS1_3repE0EEENS1_30default_config_static_selectorELNS0_4arch9wavefront6targetE0EEEvT1_,comdat
	.protected	_ZN7rocprim17ROCPRIM_400000_NS6detail17trampoline_kernelINS0_14default_configENS1_27scan_by_key_config_selectorIj11FixedVectorIiLj2EEEEZZNS1_16scan_by_key_implILNS1_25lookback_scan_determinismE0ELb1ES3_N6thrust23THRUST_200600_302600_NS6detail15normal_iteratorINSB_10device_ptrIjEEEENSD_INSE_IS6_EEEESI_S6_NSB_4plusIvEENSB_8equal_toIvEES6_EE10hipError_tPvRmT2_T3_T4_T5_mT6_T7_P12ihipStream_tbENKUlT_T0_E_clISt17integral_constantIbLb0EES12_IbLb1EEEEDaSY_SZ_EUlSY_E_NS1_11comp_targetILNS1_3genE3ELNS1_11target_archE908ELNS1_3gpuE7ELNS1_3repE0EEENS1_30default_config_static_selectorELNS0_4arch9wavefront6targetE0EEEvT1_ ; -- Begin function _ZN7rocprim17ROCPRIM_400000_NS6detail17trampoline_kernelINS0_14default_configENS1_27scan_by_key_config_selectorIj11FixedVectorIiLj2EEEEZZNS1_16scan_by_key_implILNS1_25lookback_scan_determinismE0ELb1ES3_N6thrust23THRUST_200600_302600_NS6detail15normal_iteratorINSB_10device_ptrIjEEEENSD_INSE_IS6_EEEESI_S6_NSB_4plusIvEENSB_8equal_toIvEES6_EE10hipError_tPvRmT2_T3_T4_T5_mT6_T7_P12ihipStream_tbENKUlT_T0_E_clISt17integral_constantIbLb0EES12_IbLb1EEEEDaSY_SZ_EUlSY_E_NS1_11comp_targetILNS1_3genE3ELNS1_11target_archE908ELNS1_3gpuE7ELNS1_3repE0EEENS1_30default_config_static_selectorELNS0_4arch9wavefront6targetE0EEEvT1_
	.globl	_ZN7rocprim17ROCPRIM_400000_NS6detail17trampoline_kernelINS0_14default_configENS1_27scan_by_key_config_selectorIj11FixedVectorIiLj2EEEEZZNS1_16scan_by_key_implILNS1_25lookback_scan_determinismE0ELb1ES3_N6thrust23THRUST_200600_302600_NS6detail15normal_iteratorINSB_10device_ptrIjEEEENSD_INSE_IS6_EEEESI_S6_NSB_4plusIvEENSB_8equal_toIvEES6_EE10hipError_tPvRmT2_T3_T4_T5_mT6_T7_P12ihipStream_tbENKUlT_T0_E_clISt17integral_constantIbLb0EES12_IbLb1EEEEDaSY_SZ_EUlSY_E_NS1_11comp_targetILNS1_3genE3ELNS1_11target_archE908ELNS1_3gpuE7ELNS1_3repE0EEENS1_30default_config_static_selectorELNS0_4arch9wavefront6targetE0EEEvT1_
	.p2align	8
	.type	_ZN7rocprim17ROCPRIM_400000_NS6detail17trampoline_kernelINS0_14default_configENS1_27scan_by_key_config_selectorIj11FixedVectorIiLj2EEEEZZNS1_16scan_by_key_implILNS1_25lookback_scan_determinismE0ELb1ES3_N6thrust23THRUST_200600_302600_NS6detail15normal_iteratorINSB_10device_ptrIjEEEENSD_INSE_IS6_EEEESI_S6_NSB_4plusIvEENSB_8equal_toIvEES6_EE10hipError_tPvRmT2_T3_T4_T5_mT6_T7_P12ihipStream_tbENKUlT_T0_E_clISt17integral_constantIbLb0EES12_IbLb1EEEEDaSY_SZ_EUlSY_E_NS1_11comp_targetILNS1_3genE3ELNS1_11target_archE908ELNS1_3gpuE7ELNS1_3repE0EEENS1_30default_config_static_selectorELNS0_4arch9wavefront6targetE0EEEvT1_,@function
_ZN7rocprim17ROCPRIM_400000_NS6detail17trampoline_kernelINS0_14default_configENS1_27scan_by_key_config_selectorIj11FixedVectorIiLj2EEEEZZNS1_16scan_by_key_implILNS1_25lookback_scan_determinismE0ELb1ES3_N6thrust23THRUST_200600_302600_NS6detail15normal_iteratorINSB_10device_ptrIjEEEENSD_INSE_IS6_EEEESI_S6_NSB_4plusIvEENSB_8equal_toIvEES6_EE10hipError_tPvRmT2_T3_T4_T5_mT6_T7_P12ihipStream_tbENKUlT_T0_E_clISt17integral_constantIbLb0EES12_IbLb1EEEEDaSY_SZ_EUlSY_E_NS1_11comp_targetILNS1_3genE3ELNS1_11target_archE908ELNS1_3gpuE7ELNS1_3repE0EEENS1_30default_config_static_selectorELNS0_4arch9wavefront6targetE0EEEvT1_: ; @_ZN7rocprim17ROCPRIM_400000_NS6detail17trampoline_kernelINS0_14default_configENS1_27scan_by_key_config_selectorIj11FixedVectorIiLj2EEEEZZNS1_16scan_by_key_implILNS1_25lookback_scan_determinismE0ELb1ES3_N6thrust23THRUST_200600_302600_NS6detail15normal_iteratorINSB_10device_ptrIjEEEENSD_INSE_IS6_EEEESI_S6_NSB_4plusIvEENSB_8equal_toIvEES6_EE10hipError_tPvRmT2_T3_T4_T5_mT6_T7_P12ihipStream_tbENKUlT_T0_E_clISt17integral_constantIbLb0EES12_IbLb1EEEEDaSY_SZ_EUlSY_E_NS1_11comp_targetILNS1_3genE3ELNS1_11target_archE908ELNS1_3gpuE7ELNS1_3repE0EEENS1_30default_config_static_selectorELNS0_4arch9wavefront6targetE0EEEvT1_
; %bb.0:
	.section	.rodata,"a",@progbits
	.p2align	6, 0x0
	.amdhsa_kernel _ZN7rocprim17ROCPRIM_400000_NS6detail17trampoline_kernelINS0_14default_configENS1_27scan_by_key_config_selectorIj11FixedVectorIiLj2EEEEZZNS1_16scan_by_key_implILNS1_25lookback_scan_determinismE0ELb1ES3_N6thrust23THRUST_200600_302600_NS6detail15normal_iteratorINSB_10device_ptrIjEEEENSD_INSE_IS6_EEEESI_S6_NSB_4plusIvEENSB_8equal_toIvEES6_EE10hipError_tPvRmT2_T3_T4_T5_mT6_T7_P12ihipStream_tbENKUlT_T0_E_clISt17integral_constantIbLb0EES12_IbLb1EEEEDaSY_SZ_EUlSY_E_NS1_11comp_targetILNS1_3genE3ELNS1_11target_archE908ELNS1_3gpuE7ELNS1_3repE0EEENS1_30default_config_static_selectorELNS0_4arch9wavefront6targetE0EEEvT1_
		.amdhsa_group_segment_fixed_size 0
		.amdhsa_private_segment_fixed_size 0
		.amdhsa_kernarg_size 120
		.amdhsa_user_sgpr_count 2
		.amdhsa_user_sgpr_dispatch_ptr 0
		.amdhsa_user_sgpr_queue_ptr 0
		.amdhsa_user_sgpr_kernarg_segment_ptr 1
		.amdhsa_user_sgpr_dispatch_id 0
		.amdhsa_user_sgpr_kernarg_preload_length 0
		.amdhsa_user_sgpr_kernarg_preload_offset 0
		.amdhsa_user_sgpr_private_segment_size 0
		.amdhsa_wavefront_size32 1
		.amdhsa_uses_dynamic_stack 0
		.amdhsa_enable_private_segment 0
		.amdhsa_system_sgpr_workgroup_id_x 1
		.amdhsa_system_sgpr_workgroup_id_y 0
		.amdhsa_system_sgpr_workgroup_id_z 0
		.amdhsa_system_sgpr_workgroup_info 0
		.amdhsa_system_vgpr_workitem_id 0
		.amdhsa_next_free_vgpr 1
		.amdhsa_next_free_sgpr 1
		.amdhsa_named_barrier_count 0
		.amdhsa_reserve_vcc 0
		.amdhsa_float_round_mode_32 0
		.amdhsa_float_round_mode_16_64 0
		.amdhsa_float_denorm_mode_32 3
		.amdhsa_float_denorm_mode_16_64 3
		.amdhsa_fp16_overflow 0
		.amdhsa_memory_ordered 1
		.amdhsa_forward_progress 1
		.amdhsa_inst_pref_size 0
		.amdhsa_round_robin_scheduling 0
		.amdhsa_exception_fp_ieee_invalid_op 0
		.amdhsa_exception_fp_denorm_src 0
		.amdhsa_exception_fp_ieee_div_zero 0
		.amdhsa_exception_fp_ieee_overflow 0
		.amdhsa_exception_fp_ieee_underflow 0
		.amdhsa_exception_fp_ieee_inexact 0
		.amdhsa_exception_int_div_zero 0
	.end_amdhsa_kernel
	.section	.text._ZN7rocprim17ROCPRIM_400000_NS6detail17trampoline_kernelINS0_14default_configENS1_27scan_by_key_config_selectorIj11FixedVectorIiLj2EEEEZZNS1_16scan_by_key_implILNS1_25lookback_scan_determinismE0ELb1ES3_N6thrust23THRUST_200600_302600_NS6detail15normal_iteratorINSB_10device_ptrIjEEEENSD_INSE_IS6_EEEESI_S6_NSB_4plusIvEENSB_8equal_toIvEES6_EE10hipError_tPvRmT2_T3_T4_T5_mT6_T7_P12ihipStream_tbENKUlT_T0_E_clISt17integral_constantIbLb0EES12_IbLb1EEEEDaSY_SZ_EUlSY_E_NS1_11comp_targetILNS1_3genE3ELNS1_11target_archE908ELNS1_3gpuE7ELNS1_3repE0EEENS1_30default_config_static_selectorELNS0_4arch9wavefront6targetE0EEEvT1_,"axG",@progbits,_ZN7rocprim17ROCPRIM_400000_NS6detail17trampoline_kernelINS0_14default_configENS1_27scan_by_key_config_selectorIj11FixedVectorIiLj2EEEEZZNS1_16scan_by_key_implILNS1_25lookback_scan_determinismE0ELb1ES3_N6thrust23THRUST_200600_302600_NS6detail15normal_iteratorINSB_10device_ptrIjEEEENSD_INSE_IS6_EEEESI_S6_NSB_4plusIvEENSB_8equal_toIvEES6_EE10hipError_tPvRmT2_T3_T4_T5_mT6_T7_P12ihipStream_tbENKUlT_T0_E_clISt17integral_constantIbLb0EES12_IbLb1EEEEDaSY_SZ_EUlSY_E_NS1_11comp_targetILNS1_3genE3ELNS1_11target_archE908ELNS1_3gpuE7ELNS1_3repE0EEENS1_30default_config_static_selectorELNS0_4arch9wavefront6targetE0EEEvT1_,comdat
.Lfunc_end2024:
	.size	_ZN7rocprim17ROCPRIM_400000_NS6detail17trampoline_kernelINS0_14default_configENS1_27scan_by_key_config_selectorIj11FixedVectorIiLj2EEEEZZNS1_16scan_by_key_implILNS1_25lookback_scan_determinismE0ELb1ES3_N6thrust23THRUST_200600_302600_NS6detail15normal_iteratorINSB_10device_ptrIjEEEENSD_INSE_IS6_EEEESI_S6_NSB_4plusIvEENSB_8equal_toIvEES6_EE10hipError_tPvRmT2_T3_T4_T5_mT6_T7_P12ihipStream_tbENKUlT_T0_E_clISt17integral_constantIbLb0EES12_IbLb1EEEEDaSY_SZ_EUlSY_E_NS1_11comp_targetILNS1_3genE3ELNS1_11target_archE908ELNS1_3gpuE7ELNS1_3repE0EEENS1_30default_config_static_selectorELNS0_4arch9wavefront6targetE0EEEvT1_, .Lfunc_end2024-_ZN7rocprim17ROCPRIM_400000_NS6detail17trampoline_kernelINS0_14default_configENS1_27scan_by_key_config_selectorIj11FixedVectorIiLj2EEEEZZNS1_16scan_by_key_implILNS1_25lookback_scan_determinismE0ELb1ES3_N6thrust23THRUST_200600_302600_NS6detail15normal_iteratorINSB_10device_ptrIjEEEENSD_INSE_IS6_EEEESI_S6_NSB_4plusIvEENSB_8equal_toIvEES6_EE10hipError_tPvRmT2_T3_T4_T5_mT6_T7_P12ihipStream_tbENKUlT_T0_E_clISt17integral_constantIbLb0EES12_IbLb1EEEEDaSY_SZ_EUlSY_E_NS1_11comp_targetILNS1_3genE3ELNS1_11target_archE908ELNS1_3gpuE7ELNS1_3repE0EEENS1_30default_config_static_selectorELNS0_4arch9wavefront6targetE0EEEvT1_
                                        ; -- End function
	.set _ZN7rocprim17ROCPRIM_400000_NS6detail17trampoline_kernelINS0_14default_configENS1_27scan_by_key_config_selectorIj11FixedVectorIiLj2EEEEZZNS1_16scan_by_key_implILNS1_25lookback_scan_determinismE0ELb1ES3_N6thrust23THRUST_200600_302600_NS6detail15normal_iteratorINSB_10device_ptrIjEEEENSD_INSE_IS6_EEEESI_S6_NSB_4plusIvEENSB_8equal_toIvEES6_EE10hipError_tPvRmT2_T3_T4_T5_mT6_T7_P12ihipStream_tbENKUlT_T0_E_clISt17integral_constantIbLb0EES12_IbLb1EEEEDaSY_SZ_EUlSY_E_NS1_11comp_targetILNS1_3genE3ELNS1_11target_archE908ELNS1_3gpuE7ELNS1_3repE0EEENS1_30default_config_static_selectorELNS0_4arch9wavefront6targetE0EEEvT1_.num_vgpr, 0
	.set _ZN7rocprim17ROCPRIM_400000_NS6detail17trampoline_kernelINS0_14default_configENS1_27scan_by_key_config_selectorIj11FixedVectorIiLj2EEEEZZNS1_16scan_by_key_implILNS1_25lookback_scan_determinismE0ELb1ES3_N6thrust23THRUST_200600_302600_NS6detail15normal_iteratorINSB_10device_ptrIjEEEENSD_INSE_IS6_EEEESI_S6_NSB_4plusIvEENSB_8equal_toIvEES6_EE10hipError_tPvRmT2_T3_T4_T5_mT6_T7_P12ihipStream_tbENKUlT_T0_E_clISt17integral_constantIbLb0EES12_IbLb1EEEEDaSY_SZ_EUlSY_E_NS1_11comp_targetILNS1_3genE3ELNS1_11target_archE908ELNS1_3gpuE7ELNS1_3repE0EEENS1_30default_config_static_selectorELNS0_4arch9wavefront6targetE0EEEvT1_.num_agpr, 0
	.set _ZN7rocprim17ROCPRIM_400000_NS6detail17trampoline_kernelINS0_14default_configENS1_27scan_by_key_config_selectorIj11FixedVectorIiLj2EEEEZZNS1_16scan_by_key_implILNS1_25lookback_scan_determinismE0ELb1ES3_N6thrust23THRUST_200600_302600_NS6detail15normal_iteratorINSB_10device_ptrIjEEEENSD_INSE_IS6_EEEESI_S6_NSB_4plusIvEENSB_8equal_toIvEES6_EE10hipError_tPvRmT2_T3_T4_T5_mT6_T7_P12ihipStream_tbENKUlT_T0_E_clISt17integral_constantIbLb0EES12_IbLb1EEEEDaSY_SZ_EUlSY_E_NS1_11comp_targetILNS1_3genE3ELNS1_11target_archE908ELNS1_3gpuE7ELNS1_3repE0EEENS1_30default_config_static_selectorELNS0_4arch9wavefront6targetE0EEEvT1_.numbered_sgpr, 0
	.set _ZN7rocprim17ROCPRIM_400000_NS6detail17trampoline_kernelINS0_14default_configENS1_27scan_by_key_config_selectorIj11FixedVectorIiLj2EEEEZZNS1_16scan_by_key_implILNS1_25lookback_scan_determinismE0ELb1ES3_N6thrust23THRUST_200600_302600_NS6detail15normal_iteratorINSB_10device_ptrIjEEEENSD_INSE_IS6_EEEESI_S6_NSB_4plusIvEENSB_8equal_toIvEES6_EE10hipError_tPvRmT2_T3_T4_T5_mT6_T7_P12ihipStream_tbENKUlT_T0_E_clISt17integral_constantIbLb0EES12_IbLb1EEEEDaSY_SZ_EUlSY_E_NS1_11comp_targetILNS1_3genE3ELNS1_11target_archE908ELNS1_3gpuE7ELNS1_3repE0EEENS1_30default_config_static_selectorELNS0_4arch9wavefront6targetE0EEEvT1_.num_named_barrier, 0
	.set _ZN7rocprim17ROCPRIM_400000_NS6detail17trampoline_kernelINS0_14default_configENS1_27scan_by_key_config_selectorIj11FixedVectorIiLj2EEEEZZNS1_16scan_by_key_implILNS1_25lookback_scan_determinismE0ELb1ES3_N6thrust23THRUST_200600_302600_NS6detail15normal_iteratorINSB_10device_ptrIjEEEENSD_INSE_IS6_EEEESI_S6_NSB_4plusIvEENSB_8equal_toIvEES6_EE10hipError_tPvRmT2_T3_T4_T5_mT6_T7_P12ihipStream_tbENKUlT_T0_E_clISt17integral_constantIbLb0EES12_IbLb1EEEEDaSY_SZ_EUlSY_E_NS1_11comp_targetILNS1_3genE3ELNS1_11target_archE908ELNS1_3gpuE7ELNS1_3repE0EEENS1_30default_config_static_selectorELNS0_4arch9wavefront6targetE0EEEvT1_.private_seg_size, 0
	.set _ZN7rocprim17ROCPRIM_400000_NS6detail17trampoline_kernelINS0_14default_configENS1_27scan_by_key_config_selectorIj11FixedVectorIiLj2EEEEZZNS1_16scan_by_key_implILNS1_25lookback_scan_determinismE0ELb1ES3_N6thrust23THRUST_200600_302600_NS6detail15normal_iteratorINSB_10device_ptrIjEEEENSD_INSE_IS6_EEEESI_S6_NSB_4plusIvEENSB_8equal_toIvEES6_EE10hipError_tPvRmT2_T3_T4_T5_mT6_T7_P12ihipStream_tbENKUlT_T0_E_clISt17integral_constantIbLb0EES12_IbLb1EEEEDaSY_SZ_EUlSY_E_NS1_11comp_targetILNS1_3genE3ELNS1_11target_archE908ELNS1_3gpuE7ELNS1_3repE0EEENS1_30default_config_static_selectorELNS0_4arch9wavefront6targetE0EEEvT1_.uses_vcc, 0
	.set _ZN7rocprim17ROCPRIM_400000_NS6detail17trampoline_kernelINS0_14default_configENS1_27scan_by_key_config_selectorIj11FixedVectorIiLj2EEEEZZNS1_16scan_by_key_implILNS1_25lookback_scan_determinismE0ELb1ES3_N6thrust23THRUST_200600_302600_NS6detail15normal_iteratorINSB_10device_ptrIjEEEENSD_INSE_IS6_EEEESI_S6_NSB_4plusIvEENSB_8equal_toIvEES6_EE10hipError_tPvRmT2_T3_T4_T5_mT6_T7_P12ihipStream_tbENKUlT_T0_E_clISt17integral_constantIbLb0EES12_IbLb1EEEEDaSY_SZ_EUlSY_E_NS1_11comp_targetILNS1_3genE3ELNS1_11target_archE908ELNS1_3gpuE7ELNS1_3repE0EEENS1_30default_config_static_selectorELNS0_4arch9wavefront6targetE0EEEvT1_.uses_flat_scratch, 0
	.set _ZN7rocprim17ROCPRIM_400000_NS6detail17trampoline_kernelINS0_14default_configENS1_27scan_by_key_config_selectorIj11FixedVectorIiLj2EEEEZZNS1_16scan_by_key_implILNS1_25lookback_scan_determinismE0ELb1ES3_N6thrust23THRUST_200600_302600_NS6detail15normal_iteratorINSB_10device_ptrIjEEEENSD_INSE_IS6_EEEESI_S6_NSB_4plusIvEENSB_8equal_toIvEES6_EE10hipError_tPvRmT2_T3_T4_T5_mT6_T7_P12ihipStream_tbENKUlT_T0_E_clISt17integral_constantIbLb0EES12_IbLb1EEEEDaSY_SZ_EUlSY_E_NS1_11comp_targetILNS1_3genE3ELNS1_11target_archE908ELNS1_3gpuE7ELNS1_3repE0EEENS1_30default_config_static_selectorELNS0_4arch9wavefront6targetE0EEEvT1_.has_dyn_sized_stack, 0
	.set _ZN7rocprim17ROCPRIM_400000_NS6detail17trampoline_kernelINS0_14default_configENS1_27scan_by_key_config_selectorIj11FixedVectorIiLj2EEEEZZNS1_16scan_by_key_implILNS1_25lookback_scan_determinismE0ELb1ES3_N6thrust23THRUST_200600_302600_NS6detail15normal_iteratorINSB_10device_ptrIjEEEENSD_INSE_IS6_EEEESI_S6_NSB_4plusIvEENSB_8equal_toIvEES6_EE10hipError_tPvRmT2_T3_T4_T5_mT6_T7_P12ihipStream_tbENKUlT_T0_E_clISt17integral_constantIbLb0EES12_IbLb1EEEEDaSY_SZ_EUlSY_E_NS1_11comp_targetILNS1_3genE3ELNS1_11target_archE908ELNS1_3gpuE7ELNS1_3repE0EEENS1_30default_config_static_selectorELNS0_4arch9wavefront6targetE0EEEvT1_.has_recursion, 0
	.set _ZN7rocprim17ROCPRIM_400000_NS6detail17trampoline_kernelINS0_14default_configENS1_27scan_by_key_config_selectorIj11FixedVectorIiLj2EEEEZZNS1_16scan_by_key_implILNS1_25lookback_scan_determinismE0ELb1ES3_N6thrust23THRUST_200600_302600_NS6detail15normal_iteratorINSB_10device_ptrIjEEEENSD_INSE_IS6_EEEESI_S6_NSB_4plusIvEENSB_8equal_toIvEES6_EE10hipError_tPvRmT2_T3_T4_T5_mT6_T7_P12ihipStream_tbENKUlT_T0_E_clISt17integral_constantIbLb0EES12_IbLb1EEEEDaSY_SZ_EUlSY_E_NS1_11comp_targetILNS1_3genE3ELNS1_11target_archE908ELNS1_3gpuE7ELNS1_3repE0EEENS1_30default_config_static_selectorELNS0_4arch9wavefront6targetE0EEEvT1_.has_indirect_call, 0
	.section	.AMDGPU.csdata,"",@progbits
; Kernel info:
; codeLenInByte = 0
; TotalNumSgprs: 0
; NumVgprs: 0
; ScratchSize: 0
; MemoryBound: 0
; FloatMode: 240
; IeeeMode: 1
; LDSByteSize: 0 bytes/workgroup (compile time only)
; SGPRBlocks: 0
; VGPRBlocks: 0
; NumSGPRsForWavesPerEU: 1
; NumVGPRsForWavesPerEU: 1
; NamedBarCnt: 0
; Occupancy: 16
; WaveLimiterHint : 0
; COMPUTE_PGM_RSRC2:SCRATCH_EN: 0
; COMPUTE_PGM_RSRC2:USER_SGPR: 2
; COMPUTE_PGM_RSRC2:TRAP_HANDLER: 0
; COMPUTE_PGM_RSRC2:TGID_X_EN: 1
; COMPUTE_PGM_RSRC2:TGID_Y_EN: 0
; COMPUTE_PGM_RSRC2:TGID_Z_EN: 0
; COMPUTE_PGM_RSRC2:TIDIG_COMP_CNT: 0
	.section	.text._ZN7rocprim17ROCPRIM_400000_NS6detail17trampoline_kernelINS0_14default_configENS1_27scan_by_key_config_selectorIj11FixedVectorIiLj2EEEEZZNS1_16scan_by_key_implILNS1_25lookback_scan_determinismE0ELb1ES3_N6thrust23THRUST_200600_302600_NS6detail15normal_iteratorINSB_10device_ptrIjEEEENSD_INSE_IS6_EEEESI_S6_NSB_4plusIvEENSB_8equal_toIvEES6_EE10hipError_tPvRmT2_T3_T4_T5_mT6_T7_P12ihipStream_tbENKUlT_T0_E_clISt17integral_constantIbLb0EES12_IbLb1EEEEDaSY_SZ_EUlSY_E_NS1_11comp_targetILNS1_3genE2ELNS1_11target_archE906ELNS1_3gpuE6ELNS1_3repE0EEENS1_30default_config_static_selectorELNS0_4arch9wavefront6targetE0EEEvT1_,"axG",@progbits,_ZN7rocprim17ROCPRIM_400000_NS6detail17trampoline_kernelINS0_14default_configENS1_27scan_by_key_config_selectorIj11FixedVectorIiLj2EEEEZZNS1_16scan_by_key_implILNS1_25lookback_scan_determinismE0ELb1ES3_N6thrust23THRUST_200600_302600_NS6detail15normal_iteratorINSB_10device_ptrIjEEEENSD_INSE_IS6_EEEESI_S6_NSB_4plusIvEENSB_8equal_toIvEES6_EE10hipError_tPvRmT2_T3_T4_T5_mT6_T7_P12ihipStream_tbENKUlT_T0_E_clISt17integral_constantIbLb0EES12_IbLb1EEEEDaSY_SZ_EUlSY_E_NS1_11comp_targetILNS1_3genE2ELNS1_11target_archE906ELNS1_3gpuE6ELNS1_3repE0EEENS1_30default_config_static_selectorELNS0_4arch9wavefront6targetE0EEEvT1_,comdat
	.protected	_ZN7rocprim17ROCPRIM_400000_NS6detail17trampoline_kernelINS0_14default_configENS1_27scan_by_key_config_selectorIj11FixedVectorIiLj2EEEEZZNS1_16scan_by_key_implILNS1_25lookback_scan_determinismE0ELb1ES3_N6thrust23THRUST_200600_302600_NS6detail15normal_iteratorINSB_10device_ptrIjEEEENSD_INSE_IS6_EEEESI_S6_NSB_4plusIvEENSB_8equal_toIvEES6_EE10hipError_tPvRmT2_T3_T4_T5_mT6_T7_P12ihipStream_tbENKUlT_T0_E_clISt17integral_constantIbLb0EES12_IbLb1EEEEDaSY_SZ_EUlSY_E_NS1_11comp_targetILNS1_3genE2ELNS1_11target_archE906ELNS1_3gpuE6ELNS1_3repE0EEENS1_30default_config_static_selectorELNS0_4arch9wavefront6targetE0EEEvT1_ ; -- Begin function _ZN7rocprim17ROCPRIM_400000_NS6detail17trampoline_kernelINS0_14default_configENS1_27scan_by_key_config_selectorIj11FixedVectorIiLj2EEEEZZNS1_16scan_by_key_implILNS1_25lookback_scan_determinismE0ELb1ES3_N6thrust23THRUST_200600_302600_NS6detail15normal_iteratorINSB_10device_ptrIjEEEENSD_INSE_IS6_EEEESI_S6_NSB_4plusIvEENSB_8equal_toIvEES6_EE10hipError_tPvRmT2_T3_T4_T5_mT6_T7_P12ihipStream_tbENKUlT_T0_E_clISt17integral_constantIbLb0EES12_IbLb1EEEEDaSY_SZ_EUlSY_E_NS1_11comp_targetILNS1_3genE2ELNS1_11target_archE906ELNS1_3gpuE6ELNS1_3repE0EEENS1_30default_config_static_selectorELNS0_4arch9wavefront6targetE0EEEvT1_
	.globl	_ZN7rocprim17ROCPRIM_400000_NS6detail17trampoline_kernelINS0_14default_configENS1_27scan_by_key_config_selectorIj11FixedVectorIiLj2EEEEZZNS1_16scan_by_key_implILNS1_25lookback_scan_determinismE0ELb1ES3_N6thrust23THRUST_200600_302600_NS6detail15normal_iteratorINSB_10device_ptrIjEEEENSD_INSE_IS6_EEEESI_S6_NSB_4plusIvEENSB_8equal_toIvEES6_EE10hipError_tPvRmT2_T3_T4_T5_mT6_T7_P12ihipStream_tbENKUlT_T0_E_clISt17integral_constantIbLb0EES12_IbLb1EEEEDaSY_SZ_EUlSY_E_NS1_11comp_targetILNS1_3genE2ELNS1_11target_archE906ELNS1_3gpuE6ELNS1_3repE0EEENS1_30default_config_static_selectorELNS0_4arch9wavefront6targetE0EEEvT1_
	.p2align	8
	.type	_ZN7rocprim17ROCPRIM_400000_NS6detail17trampoline_kernelINS0_14default_configENS1_27scan_by_key_config_selectorIj11FixedVectorIiLj2EEEEZZNS1_16scan_by_key_implILNS1_25lookback_scan_determinismE0ELb1ES3_N6thrust23THRUST_200600_302600_NS6detail15normal_iteratorINSB_10device_ptrIjEEEENSD_INSE_IS6_EEEESI_S6_NSB_4plusIvEENSB_8equal_toIvEES6_EE10hipError_tPvRmT2_T3_T4_T5_mT6_T7_P12ihipStream_tbENKUlT_T0_E_clISt17integral_constantIbLb0EES12_IbLb1EEEEDaSY_SZ_EUlSY_E_NS1_11comp_targetILNS1_3genE2ELNS1_11target_archE906ELNS1_3gpuE6ELNS1_3repE0EEENS1_30default_config_static_selectorELNS0_4arch9wavefront6targetE0EEEvT1_,@function
_ZN7rocprim17ROCPRIM_400000_NS6detail17trampoline_kernelINS0_14default_configENS1_27scan_by_key_config_selectorIj11FixedVectorIiLj2EEEEZZNS1_16scan_by_key_implILNS1_25lookback_scan_determinismE0ELb1ES3_N6thrust23THRUST_200600_302600_NS6detail15normal_iteratorINSB_10device_ptrIjEEEENSD_INSE_IS6_EEEESI_S6_NSB_4plusIvEENSB_8equal_toIvEES6_EE10hipError_tPvRmT2_T3_T4_T5_mT6_T7_P12ihipStream_tbENKUlT_T0_E_clISt17integral_constantIbLb0EES12_IbLb1EEEEDaSY_SZ_EUlSY_E_NS1_11comp_targetILNS1_3genE2ELNS1_11target_archE906ELNS1_3gpuE6ELNS1_3repE0EEENS1_30default_config_static_selectorELNS0_4arch9wavefront6targetE0EEEvT1_: ; @_ZN7rocprim17ROCPRIM_400000_NS6detail17trampoline_kernelINS0_14default_configENS1_27scan_by_key_config_selectorIj11FixedVectorIiLj2EEEEZZNS1_16scan_by_key_implILNS1_25lookback_scan_determinismE0ELb1ES3_N6thrust23THRUST_200600_302600_NS6detail15normal_iteratorINSB_10device_ptrIjEEEENSD_INSE_IS6_EEEESI_S6_NSB_4plusIvEENSB_8equal_toIvEES6_EE10hipError_tPvRmT2_T3_T4_T5_mT6_T7_P12ihipStream_tbENKUlT_T0_E_clISt17integral_constantIbLb0EES12_IbLb1EEEEDaSY_SZ_EUlSY_E_NS1_11comp_targetILNS1_3genE2ELNS1_11target_archE906ELNS1_3gpuE6ELNS1_3repE0EEENS1_30default_config_static_selectorELNS0_4arch9wavefront6targetE0EEEvT1_
; %bb.0:
	.section	.rodata,"a",@progbits
	.p2align	6, 0x0
	.amdhsa_kernel _ZN7rocprim17ROCPRIM_400000_NS6detail17trampoline_kernelINS0_14default_configENS1_27scan_by_key_config_selectorIj11FixedVectorIiLj2EEEEZZNS1_16scan_by_key_implILNS1_25lookback_scan_determinismE0ELb1ES3_N6thrust23THRUST_200600_302600_NS6detail15normal_iteratorINSB_10device_ptrIjEEEENSD_INSE_IS6_EEEESI_S6_NSB_4plusIvEENSB_8equal_toIvEES6_EE10hipError_tPvRmT2_T3_T4_T5_mT6_T7_P12ihipStream_tbENKUlT_T0_E_clISt17integral_constantIbLb0EES12_IbLb1EEEEDaSY_SZ_EUlSY_E_NS1_11comp_targetILNS1_3genE2ELNS1_11target_archE906ELNS1_3gpuE6ELNS1_3repE0EEENS1_30default_config_static_selectorELNS0_4arch9wavefront6targetE0EEEvT1_
		.amdhsa_group_segment_fixed_size 0
		.amdhsa_private_segment_fixed_size 0
		.amdhsa_kernarg_size 120
		.amdhsa_user_sgpr_count 2
		.amdhsa_user_sgpr_dispatch_ptr 0
		.amdhsa_user_sgpr_queue_ptr 0
		.amdhsa_user_sgpr_kernarg_segment_ptr 1
		.amdhsa_user_sgpr_dispatch_id 0
		.amdhsa_user_sgpr_kernarg_preload_length 0
		.amdhsa_user_sgpr_kernarg_preload_offset 0
		.amdhsa_user_sgpr_private_segment_size 0
		.amdhsa_wavefront_size32 1
		.amdhsa_uses_dynamic_stack 0
		.amdhsa_enable_private_segment 0
		.amdhsa_system_sgpr_workgroup_id_x 1
		.amdhsa_system_sgpr_workgroup_id_y 0
		.amdhsa_system_sgpr_workgroup_id_z 0
		.amdhsa_system_sgpr_workgroup_info 0
		.amdhsa_system_vgpr_workitem_id 0
		.amdhsa_next_free_vgpr 1
		.amdhsa_next_free_sgpr 1
		.amdhsa_named_barrier_count 0
		.amdhsa_reserve_vcc 0
		.amdhsa_float_round_mode_32 0
		.amdhsa_float_round_mode_16_64 0
		.amdhsa_float_denorm_mode_32 3
		.amdhsa_float_denorm_mode_16_64 3
		.amdhsa_fp16_overflow 0
		.amdhsa_memory_ordered 1
		.amdhsa_forward_progress 1
		.amdhsa_inst_pref_size 0
		.amdhsa_round_robin_scheduling 0
		.amdhsa_exception_fp_ieee_invalid_op 0
		.amdhsa_exception_fp_denorm_src 0
		.amdhsa_exception_fp_ieee_div_zero 0
		.amdhsa_exception_fp_ieee_overflow 0
		.amdhsa_exception_fp_ieee_underflow 0
		.amdhsa_exception_fp_ieee_inexact 0
		.amdhsa_exception_int_div_zero 0
	.end_amdhsa_kernel
	.section	.text._ZN7rocprim17ROCPRIM_400000_NS6detail17trampoline_kernelINS0_14default_configENS1_27scan_by_key_config_selectorIj11FixedVectorIiLj2EEEEZZNS1_16scan_by_key_implILNS1_25lookback_scan_determinismE0ELb1ES3_N6thrust23THRUST_200600_302600_NS6detail15normal_iteratorINSB_10device_ptrIjEEEENSD_INSE_IS6_EEEESI_S6_NSB_4plusIvEENSB_8equal_toIvEES6_EE10hipError_tPvRmT2_T3_T4_T5_mT6_T7_P12ihipStream_tbENKUlT_T0_E_clISt17integral_constantIbLb0EES12_IbLb1EEEEDaSY_SZ_EUlSY_E_NS1_11comp_targetILNS1_3genE2ELNS1_11target_archE906ELNS1_3gpuE6ELNS1_3repE0EEENS1_30default_config_static_selectorELNS0_4arch9wavefront6targetE0EEEvT1_,"axG",@progbits,_ZN7rocprim17ROCPRIM_400000_NS6detail17trampoline_kernelINS0_14default_configENS1_27scan_by_key_config_selectorIj11FixedVectorIiLj2EEEEZZNS1_16scan_by_key_implILNS1_25lookback_scan_determinismE0ELb1ES3_N6thrust23THRUST_200600_302600_NS6detail15normal_iteratorINSB_10device_ptrIjEEEENSD_INSE_IS6_EEEESI_S6_NSB_4plusIvEENSB_8equal_toIvEES6_EE10hipError_tPvRmT2_T3_T4_T5_mT6_T7_P12ihipStream_tbENKUlT_T0_E_clISt17integral_constantIbLb0EES12_IbLb1EEEEDaSY_SZ_EUlSY_E_NS1_11comp_targetILNS1_3genE2ELNS1_11target_archE906ELNS1_3gpuE6ELNS1_3repE0EEENS1_30default_config_static_selectorELNS0_4arch9wavefront6targetE0EEEvT1_,comdat
.Lfunc_end2025:
	.size	_ZN7rocprim17ROCPRIM_400000_NS6detail17trampoline_kernelINS0_14default_configENS1_27scan_by_key_config_selectorIj11FixedVectorIiLj2EEEEZZNS1_16scan_by_key_implILNS1_25lookback_scan_determinismE0ELb1ES3_N6thrust23THRUST_200600_302600_NS6detail15normal_iteratorINSB_10device_ptrIjEEEENSD_INSE_IS6_EEEESI_S6_NSB_4plusIvEENSB_8equal_toIvEES6_EE10hipError_tPvRmT2_T3_T4_T5_mT6_T7_P12ihipStream_tbENKUlT_T0_E_clISt17integral_constantIbLb0EES12_IbLb1EEEEDaSY_SZ_EUlSY_E_NS1_11comp_targetILNS1_3genE2ELNS1_11target_archE906ELNS1_3gpuE6ELNS1_3repE0EEENS1_30default_config_static_selectorELNS0_4arch9wavefront6targetE0EEEvT1_, .Lfunc_end2025-_ZN7rocprim17ROCPRIM_400000_NS6detail17trampoline_kernelINS0_14default_configENS1_27scan_by_key_config_selectorIj11FixedVectorIiLj2EEEEZZNS1_16scan_by_key_implILNS1_25lookback_scan_determinismE0ELb1ES3_N6thrust23THRUST_200600_302600_NS6detail15normal_iteratorINSB_10device_ptrIjEEEENSD_INSE_IS6_EEEESI_S6_NSB_4plusIvEENSB_8equal_toIvEES6_EE10hipError_tPvRmT2_T3_T4_T5_mT6_T7_P12ihipStream_tbENKUlT_T0_E_clISt17integral_constantIbLb0EES12_IbLb1EEEEDaSY_SZ_EUlSY_E_NS1_11comp_targetILNS1_3genE2ELNS1_11target_archE906ELNS1_3gpuE6ELNS1_3repE0EEENS1_30default_config_static_selectorELNS0_4arch9wavefront6targetE0EEEvT1_
                                        ; -- End function
	.set _ZN7rocprim17ROCPRIM_400000_NS6detail17trampoline_kernelINS0_14default_configENS1_27scan_by_key_config_selectorIj11FixedVectorIiLj2EEEEZZNS1_16scan_by_key_implILNS1_25lookback_scan_determinismE0ELb1ES3_N6thrust23THRUST_200600_302600_NS6detail15normal_iteratorINSB_10device_ptrIjEEEENSD_INSE_IS6_EEEESI_S6_NSB_4plusIvEENSB_8equal_toIvEES6_EE10hipError_tPvRmT2_T3_T4_T5_mT6_T7_P12ihipStream_tbENKUlT_T0_E_clISt17integral_constantIbLb0EES12_IbLb1EEEEDaSY_SZ_EUlSY_E_NS1_11comp_targetILNS1_3genE2ELNS1_11target_archE906ELNS1_3gpuE6ELNS1_3repE0EEENS1_30default_config_static_selectorELNS0_4arch9wavefront6targetE0EEEvT1_.num_vgpr, 0
	.set _ZN7rocprim17ROCPRIM_400000_NS6detail17trampoline_kernelINS0_14default_configENS1_27scan_by_key_config_selectorIj11FixedVectorIiLj2EEEEZZNS1_16scan_by_key_implILNS1_25lookback_scan_determinismE0ELb1ES3_N6thrust23THRUST_200600_302600_NS6detail15normal_iteratorINSB_10device_ptrIjEEEENSD_INSE_IS6_EEEESI_S6_NSB_4plusIvEENSB_8equal_toIvEES6_EE10hipError_tPvRmT2_T3_T4_T5_mT6_T7_P12ihipStream_tbENKUlT_T0_E_clISt17integral_constantIbLb0EES12_IbLb1EEEEDaSY_SZ_EUlSY_E_NS1_11comp_targetILNS1_3genE2ELNS1_11target_archE906ELNS1_3gpuE6ELNS1_3repE0EEENS1_30default_config_static_selectorELNS0_4arch9wavefront6targetE0EEEvT1_.num_agpr, 0
	.set _ZN7rocprim17ROCPRIM_400000_NS6detail17trampoline_kernelINS0_14default_configENS1_27scan_by_key_config_selectorIj11FixedVectorIiLj2EEEEZZNS1_16scan_by_key_implILNS1_25lookback_scan_determinismE0ELb1ES3_N6thrust23THRUST_200600_302600_NS6detail15normal_iteratorINSB_10device_ptrIjEEEENSD_INSE_IS6_EEEESI_S6_NSB_4plusIvEENSB_8equal_toIvEES6_EE10hipError_tPvRmT2_T3_T4_T5_mT6_T7_P12ihipStream_tbENKUlT_T0_E_clISt17integral_constantIbLb0EES12_IbLb1EEEEDaSY_SZ_EUlSY_E_NS1_11comp_targetILNS1_3genE2ELNS1_11target_archE906ELNS1_3gpuE6ELNS1_3repE0EEENS1_30default_config_static_selectorELNS0_4arch9wavefront6targetE0EEEvT1_.numbered_sgpr, 0
	.set _ZN7rocprim17ROCPRIM_400000_NS6detail17trampoline_kernelINS0_14default_configENS1_27scan_by_key_config_selectorIj11FixedVectorIiLj2EEEEZZNS1_16scan_by_key_implILNS1_25lookback_scan_determinismE0ELb1ES3_N6thrust23THRUST_200600_302600_NS6detail15normal_iteratorINSB_10device_ptrIjEEEENSD_INSE_IS6_EEEESI_S6_NSB_4plusIvEENSB_8equal_toIvEES6_EE10hipError_tPvRmT2_T3_T4_T5_mT6_T7_P12ihipStream_tbENKUlT_T0_E_clISt17integral_constantIbLb0EES12_IbLb1EEEEDaSY_SZ_EUlSY_E_NS1_11comp_targetILNS1_3genE2ELNS1_11target_archE906ELNS1_3gpuE6ELNS1_3repE0EEENS1_30default_config_static_selectorELNS0_4arch9wavefront6targetE0EEEvT1_.num_named_barrier, 0
	.set _ZN7rocprim17ROCPRIM_400000_NS6detail17trampoline_kernelINS0_14default_configENS1_27scan_by_key_config_selectorIj11FixedVectorIiLj2EEEEZZNS1_16scan_by_key_implILNS1_25lookback_scan_determinismE0ELb1ES3_N6thrust23THRUST_200600_302600_NS6detail15normal_iteratorINSB_10device_ptrIjEEEENSD_INSE_IS6_EEEESI_S6_NSB_4plusIvEENSB_8equal_toIvEES6_EE10hipError_tPvRmT2_T3_T4_T5_mT6_T7_P12ihipStream_tbENKUlT_T0_E_clISt17integral_constantIbLb0EES12_IbLb1EEEEDaSY_SZ_EUlSY_E_NS1_11comp_targetILNS1_3genE2ELNS1_11target_archE906ELNS1_3gpuE6ELNS1_3repE0EEENS1_30default_config_static_selectorELNS0_4arch9wavefront6targetE0EEEvT1_.private_seg_size, 0
	.set _ZN7rocprim17ROCPRIM_400000_NS6detail17trampoline_kernelINS0_14default_configENS1_27scan_by_key_config_selectorIj11FixedVectorIiLj2EEEEZZNS1_16scan_by_key_implILNS1_25lookback_scan_determinismE0ELb1ES3_N6thrust23THRUST_200600_302600_NS6detail15normal_iteratorINSB_10device_ptrIjEEEENSD_INSE_IS6_EEEESI_S6_NSB_4plusIvEENSB_8equal_toIvEES6_EE10hipError_tPvRmT2_T3_T4_T5_mT6_T7_P12ihipStream_tbENKUlT_T0_E_clISt17integral_constantIbLb0EES12_IbLb1EEEEDaSY_SZ_EUlSY_E_NS1_11comp_targetILNS1_3genE2ELNS1_11target_archE906ELNS1_3gpuE6ELNS1_3repE0EEENS1_30default_config_static_selectorELNS0_4arch9wavefront6targetE0EEEvT1_.uses_vcc, 0
	.set _ZN7rocprim17ROCPRIM_400000_NS6detail17trampoline_kernelINS0_14default_configENS1_27scan_by_key_config_selectorIj11FixedVectorIiLj2EEEEZZNS1_16scan_by_key_implILNS1_25lookback_scan_determinismE0ELb1ES3_N6thrust23THRUST_200600_302600_NS6detail15normal_iteratorINSB_10device_ptrIjEEEENSD_INSE_IS6_EEEESI_S6_NSB_4plusIvEENSB_8equal_toIvEES6_EE10hipError_tPvRmT2_T3_T4_T5_mT6_T7_P12ihipStream_tbENKUlT_T0_E_clISt17integral_constantIbLb0EES12_IbLb1EEEEDaSY_SZ_EUlSY_E_NS1_11comp_targetILNS1_3genE2ELNS1_11target_archE906ELNS1_3gpuE6ELNS1_3repE0EEENS1_30default_config_static_selectorELNS0_4arch9wavefront6targetE0EEEvT1_.uses_flat_scratch, 0
	.set _ZN7rocprim17ROCPRIM_400000_NS6detail17trampoline_kernelINS0_14default_configENS1_27scan_by_key_config_selectorIj11FixedVectorIiLj2EEEEZZNS1_16scan_by_key_implILNS1_25lookback_scan_determinismE0ELb1ES3_N6thrust23THRUST_200600_302600_NS6detail15normal_iteratorINSB_10device_ptrIjEEEENSD_INSE_IS6_EEEESI_S6_NSB_4plusIvEENSB_8equal_toIvEES6_EE10hipError_tPvRmT2_T3_T4_T5_mT6_T7_P12ihipStream_tbENKUlT_T0_E_clISt17integral_constantIbLb0EES12_IbLb1EEEEDaSY_SZ_EUlSY_E_NS1_11comp_targetILNS1_3genE2ELNS1_11target_archE906ELNS1_3gpuE6ELNS1_3repE0EEENS1_30default_config_static_selectorELNS0_4arch9wavefront6targetE0EEEvT1_.has_dyn_sized_stack, 0
	.set _ZN7rocprim17ROCPRIM_400000_NS6detail17trampoline_kernelINS0_14default_configENS1_27scan_by_key_config_selectorIj11FixedVectorIiLj2EEEEZZNS1_16scan_by_key_implILNS1_25lookback_scan_determinismE0ELb1ES3_N6thrust23THRUST_200600_302600_NS6detail15normal_iteratorINSB_10device_ptrIjEEEENSD_INSE_IS6_EEEESI_S6_NSB_4plusIvEENSB_8equal_toIvEES6_EE10hipError_tPvRmT2_T3_T4_T5_mT6_T7_P12ihipStream_tbENKUlT_T0_E_clISt17integral_constantIbLb0EES12_IbLb1EEEEDaSY_SZ_EUlSY_E_NS1_11comp_targetILNS1_3genE2ELNS1_11target_archE906ELNS1_3gpuE6ELNS1_3repE0EEENS1_30default_config_static_selectorELNS0_4arch9wavefront6targetE0EEEvT1_.has_recursion, 0
	.set _ZN7rocprim17ROCPRIM_400000_NS6detail17trampoline_kernelINS0_14default_configENS1_27scan_by_key_config_selectorIj11FixedVectorIiLj2EEEEZZNS1_16scan_by_key_implILNS1_25lookback_scan_determinismE0ELb1ES3_N6thrust23THRUST_200600_302600_NS6detail15normal_iteratorINSB_10device_ptrIjEEEENSD_INSE_IS6_EEEESI_S6_NSB_4plusIvEENSB_8equal_toIvEES6_EE10hipError_tPvRmT2_T3_T4_T5_mT6_T7_P12ihipStream_tbENKUlT_T0_E_clISt17integral_constantIbLb0EES12_IbLb1EEEEDaSY_SZ_EUlSY_E_NS1_11comp_targetILNS1_3genE2ELNS1_11target_archE906ELNS1_3gpuE6ELNS1_3repE0EEENS1_30default_config_static_selectorELNS0_4arch9wavefront6targetE0EEEvT1_.has_indirect_call, 0
	.section	.AMDGPU.csdata,"",@progbits
; Kernel info:
; codeLenInByte = 0
; TotalNumSgprs: 0
; NumVgprs: 0
; ScratchSize: 0
; MemoryBound: 0
; FloatMode: 240
; IeeeMode: 1
; LDSByteSize: 0 bytes/workgroup (compile time only)
; SGPRBlocks: 0
; VGPRBlocks: 0
; NumSGPRsForWavesPerEU: 1
; NumVGPRsForWavesPerEU: 1
; NamedBarCnt: 0
; Occupancy: 16
; WaveLimiterHint : 0
; COMPUTE_PGM_RSRC2:SCRATCH_EN: 0
; COMPUTE_PGM_RSRC2:USER_SGPR: 2
; COMPUTE_PGM_RSRC2:TRAP_HANDLER: 0
; COMPUTE_PGM_RSRC2:TGID_X_EN: 1
; COMPUTE_PGM_RSRC2:TGID_Y_EN: 0
; COMPUTE_PGM_RSRC2:TGID_Z_EN: 0
; COMPUTE_PGM_RSRC2:TIDIG_COMP_CNT: 0
	.section	.text._ZN7rocprim17ROCPRIM_400000_NS6detail17trampoline_kernelINS0_14default_configENS1_27scan_by_key_config_selectorIj11FixedVectorIiLj2EEEEZZNS1_16scan_by_key_implILNS1_25lookback_scan_determinismE0ELb1ES3_N6thrust23THRUST_200600_302600_NS6detail15normal_iteratorINSB_10device_ptrIjEEEENSD_INSE_IS6_EEEESI_S6_NSB_4plusIvEENSB_8equal_toIvEES6_EE10hipError_tPvRmT2_T3_T4_T5_mT6_T7_P12ihipStream_tbENKUlT_T0_E_clISt17integral_constantIbLb0EES12_IbLb1EEEEDaSY_SZ_EUlSY_E_NS1_11comp_targetILNS1_3genE10ELNS1_11target_archE1200ELNS1_3gpuE4ELNS1_3repE0EEENS1_30default_config_static_selectorELNS0_4arch9wavefront6targetE0EEEvT1_,"axG",@progbits,_ZN7rocprim17ROCPRIM_400000_NS6detail17trampoline_kernelINS0_14default_configENS1_27scan_by_key_config_selectorIj11FixedVectorIiLj2EEEEZZNS1_16scan_by_key_implILNS1_25lookback_scan_determinismE0ELb1ES3_N6thrust23THRUST_200600_302600_NS6detail15normal_iteratorINSB_10device_ptrIjEEEENSD_INSE_IS6_EEEESI_S6_NSB_4plusIvEENSB_8equal_toIvEES6_EE10hipError_tPvRmT2_T3_T4_T5_mT6_T7_P12ihipStream_tbENKUlT_T0_E_clISt17integral_constantIbLb0EES12_IbLb1EEEEDaSY_SZ_EUlSY_E_NS1_11comp_targetILNS1_3genE10ELNS1_11target_archE1200ELNS1_3gpuE4ELNS1_3repE0EEENS1_30default_config_static_selectorELNS0_4arch9wavefront6targetE0EEEvT1_,comdat
	.protected	_ZN7rocprim17ROCPRIM_400000_NS6detail17trampoline_kernelINS0_14default_configENS1_27scan_by_key_config_selectorIj11FixedVectorIiLj2EEEEZZNS1_16scan_by_key_implILNS1_25lookback_scan_determinismE0ELb1ES3_N6thrust23THRUST_200600_302600_NS6detail15normal_iteratorINSB_10device_ptrIjEEEENSD_INSE_IS6_EEEESI_S6_NSB_4plusIvEENSB_8equal_toIvEES6_EE10hipError_tPvRmT2_T3_T4_T5_mT6_T7_P12ihipStream_tbENKUlT_T0_E_clISt17integral_constantIbLb0EES12_IbLb1EEEEDaSY_SZ_EUlSY_E_NS1_11comp_targetILNS1_3genE10ELNS1_11target_archE1200ELNS1_3gpuE4ELNS1_3repE0EEENS1_30default_config_static_selectorELNS0_4arch9wavefront6targetE0EEEvT1_ ; -- Begin function _ZN7rocprim17ROCPRIM_400000_NS6detail17trampoline_kernelINS0_14default_configENS1_27scan_by_key_config_selectorIj11FixedVectorIiLj2EEEEZZNS1_16scan_by_key_implILNS1_25lookback_scan_determinismE0ELb1ES3_N6thrust23THRUST_200600_302600_NS6detail15normal_iteratorINSB_10device_ptrIjEEEENSD_INSE_IS6_EEEESI_S6_NSB_4plusIvEENSB_8equal_toIvEES6_EE10hipError_tPvRmT2_T3_T4_T5_mT6_T7_P12ihipStream_tbENKUlT_T0_E_clISt17integral_constantIbLb0EES12_IbLb1EEEEDaSY_SZ_EUlSY_E_NS1_11comp_targetILNS1_3genE10ELNS1_11target_archE1200ELNS1_3gpuE4ELNS1_3repE0EEENS1_30default_config_static_selectorELNS0_4arch9wavefront6targetE0EEEvT1_
	.globl	_ZN7rocprim17ROCPRIM_400000_NS6detail17trampoline_kernelINS0_14default_configENS1_27scan_by_key_config_selectorIj11FixedVectorIiLj2EEEEZZNS1_16scan_by_key_implILNS1_25lookback_scan_determinismE0ELb1ES3_N6thrust23THRUST_200600_302600_NS6detail15normal_iteratorINSB_10device_ptrIjEEEENSD_INSE_IS6_EEEESI_S6_NSB_4plusIvEENSB_8equal_toIvEES6_EE10hipError_tPvRmT2_T3_T4_T5_mT6_T7_P12ihipStream_tbENKUlT_T0_E_clISt17integral_constantIbLb0EES12_IbLb1EEEEDaSY_SZ_EUlSY_E_NS1_11comp_targetILNS1_3genE10ELNS1_11target_archE1200ELNS1_3gpuE4ELNS1_3repE0EEENS1_30default_config_static_selectorELNS0_4arch9wavefront6targetE0EEEvT1_
	.p2align	8
	.type	_ZN7rocprim17ROCPRIM_400000_NS6detail17trampoline_kernelINS0_14default_configENS1_27scan_by_key_config_selectorIj11FixedVectorIiLj2EEEEZZNS1_16scan_by_key_implILNS1_25lookback_scan_determinismE0ELb1ES3_N6thrust23THRUST_200600_302600_NS6detail15normal_iteratorINSB_10device_ptrIjEEEENSD_INSE_IS6_EEEESI_S6_NSB_4plusIvEENSB_8equal_toIvEES6_EE10hipError_tPvRmT2_T3_T4_T5_mT6_T7_P12ihipStream_tbENKUlT_T0_E_clISt17integral_constantIbLb0EES12_IbLb1EEEEDaSY_SZ_EUlSY_E_NS1_11comp_targetILNS1_3genE10ELNS1_11target_archE1200ELNS1_3gpuE4ELNS1_3repE0EEENS1_30default_config_static_selectorELNS0_4arch9wavefront6targetE0EEEvT1_,@function
_ZN7rocprim17ROCPRIM_400000_NS6detail17trampoline_kernelINS0_14default_configENS1_27scan_by_key_config_selectorIj11FixedVectorIiLj2EEEEZZNS1_16scan_by_key_implILNS1_25lookback_scan_determinismE0ELb1ES3_N6thrust23THRUST_200600_302600_NS6detail15normal_iteratorINSB_10device_ptrIjEEEENSD_INSE_IS6_EEEESI_S6_NSB_4plusIvEENSB_8equal_toIvEES6_EE10hipError_tPvRmT2_T3_T4_T5_mT6_T7_P12ihipStream_tbENKUlT_T0_E_clISt17integral_constantIbLb0EES12_IbLb1EEEEDaSY_SZ_EUlSY_E_NS1_11comp_targetILNS1_3genE10ELNS1_11target_archE1200ELNS1_3gpuE4ELNS1_3repE0EEENS1_30default_config_static_selectorELNS0_4arch9wavefront6targetE0EEEvT1_: ; @_ZN7rocprim17ROCPRIM_400000_NS6detail17trampoline_kernelINS0_14default_configENS1_27scan_by_key_config_selectorIj11FixedVectorIiLj2EEEEZZNS1_16scan_by_key_implILNS1_25lookback_scan_determinismE0ELb1ES3_N6thrust23THRUST_200600_302600_NS6detail15normal_iteratorINSB_10device_ptrIjEEEENSD_INSE_IS6_EEEESI_S6_NSB_4plusIvEENSB_8equal_toIvEES6_EE10hipError_tPvRmT2_T3_T4_T5_mT6_T7_P12ihipStream_tbENKUlT_T0_E_clISt17integral_constantIbLb0EES12_IbLb1EEEEDaSY_SZ_EUlSY_E_NS1_11comp_targetILNS1_3genE10ELNS1_11target_archE1200ELNS1_3gpuE4ELNS1_3repE0EEENS1_30default_config_static_selectorELNS0_4arch9wavefront6targetE0EEEvT1_
; %bb.0:
	.section	.rodata,"a",@progbits
	.p2align	6, 0x0
	.amdhsa_kernel _ZN7rocprim17ROCPRIM_400000_NS6detail17trampoline_kernelINS0_14default_configENS1_27scan_by_key_config_selectorIj11FixedVectorIiLj2EEEEZZNS1_16scan_by_key_implILNS1_25lookback_scan_determinismE0ELb1ES3_N6thrust23THRUST_200600_302600_NS6detail15normal_iteratorINSB_10device_ptrIjEEEENSD_INSE_IS6_EEEESI_S6_NSB_4plusIvEENSB_8equal_toIvEES6_EE10hipError_tPvRmT2_T3_T4_T5_mT6_T7_P12ihipStream_tbENKUlT_T0_E_clISt17integral_constantIbLb0EES12_IbLb1EEEEDaSY_SZ_EUlSY_E_NS1_11comp_targetILNS1_3genE10ELNS1_11target_archE1200ELNS1_3gpuE4ELNS1_3repE0EEENS1_30default_config_static_selectorELNS0_4arch9wavefront6targetE0EEEvT1_
		.amdhsa_group_segment_fixed_size 0
		.amdhsa_private_segment_fixed_size 0
		.amdhsa_kernarg_size 120
		.amdhsa_user_sgpr_count 2
		.amdhsa_user_sgpr_dispatch_ptr 0
		.amdhsa_user_sgpr_queue_ptr 0
		.amdhsa_user_sgpr_kernarg_segment_ptr 1
		.amdhsa_user_sgpr_dispatch_id 0
		.amdhsa_user_sgpr_kernarg_preload_length 0
		.amdhsa_user_sgpr_kernarg_preload_offset 0
		.amdhsa_user_sgpr_private_segment_size 0
		.amdhsa_wavefront_size32 1
		.amdhsa_uses_dynamic_stack 0
		.amdhsa_enable_private_segment 0
		.amdhsa_system_sgpr_workgroup_id_x 1
		.amdhsa_system_sgpr_workgroup_id_y 0
		.amdhsa_system_sgpr_workgroup_id_z 0
		.amdhsa_system_sgpr_workgroup_info 0
		.amdhsa_system_vgpr_workitem_id 0
		.amdhsa_next_free_vgpr 1
		.amdhsa_next_free_sgpr 1
		.amdhsa_named_barrier_count 0
		.amdhsa_reserve_vcc 0
		.amdhsa_float_round_mode_32 0
		.amdhsa_float_round_mode_16_64 0
		.amdhsa_float_denorm_mode_32 3
		.amdhsa_float_denorm_mode_16_64 3
		.amdhsa_fp16_overflow 0
		.amdhsa_memory_ordered 1
		.amdhsa_forward_progress 1
		.amdhsa_inst_pref_size 0
		.amdhsa_round_robin_scheduling 0
		.amdhsa_exception_fp_ieee_invalid_op 0
		.amdhsa_exception_fp_denorm_src 0
		.amdhsa_exception_fp_ieee_div_zero 0
		.amdhsa_exception_fp_ieee_overflow 0
		.amdhsa_exception_fp_ieee_underflow 0
		.amdhsa_exception_fp_ieee_inexact 0
		.amdhsa_exception_int_div_zero 0
	.end_amdhsa_kernel
	.section	.text._ZN7rocprim17ROCPRIM_400000_NS6detail17trampoline_kernelINS0_14default_configENS1_27scan_by_key_config_selectorIj11FixedVectorIiLj2EEEEZZNS1_16scan_by_key_implILNS1_25lookback_scan_determinismE0ELb1ES3_N6thrust23THRUST_200600_302600_NS6detail15normal_iteratorINSB_10device_ptrIjEEEENSD_INSE_IS6_EEEESI_S6_NSB_4plusIvEENSB_8equal_toIvEES6_EE10hipError_tPvRmT2_T3_T4_T5_mT6_T7_P12ihipStream_tbENKUlT_T0_E_clISt17integral_constantIbLb0EES12_IbLb1EEEEDaSY_SZ_EUlSY_E_NS1_11comp_targetILNS1_3genE10ELNS1_11target_archE1200ELNS1_3gpuE4ELNS1_3repE0EEENS1_30default_config_static_selectorELNS0_4arch9wavefront6targetE0EEEvT1_,"axG",@progbits,_ZN7rocprim17ROCPRIM_400000_NS6detail17trampoline_kernelINS0_14default_configENS1_27scan_by_key_config_selectorIj11FixedVectorIiLj2EEEEZZNS1_16scan_by_key_implILNS1_25lookback_scan_determinismE0ELb1ES3_N6thrust23THRUST_200600_302600_NS6detail15normal_iteratorINSB_10device_ptrIjEEEENSD_INSE_IS6_EEEESI_S6_NSB_4plusIvEENSB_8equal_toIvEES6_EE10hipError_tPvRmT2_T3_T4_T5_mT6_T7_P12ihipStream_tbENKUlT_T0_E_clISt17integral_constantIbLb0EES12_IbLb1EEEEDaSY_SZ_EUlSY_E_NS1_11comp_targetILNS1_3genE10ELNS1_11target_archE1200ELNS1_3gpuE4ELNS1_3repE0EEENS1_30default_config_static_selectorELNS0_4arch9wavefront6targetE0EEEvT1_,comdat
.Lfunc_end2026:
	.size	_ZN7rocprim17ROCPRIM_400000_NS6detail17trampoline_kernelINS0_14default_configENS1_27scan_by_key_config_selectorIj11FixedVectorIiLj2EEEEZZNS1_16scan_by_key_implILNS1_25lookback_scan_determinismE0ELb1ES3_N6thrust23THRUST_200600_302600_NS6detail15normal_iteratorINSB_10device_ptrIjEEEENSD_INSE_IS6_EEEESI_S6_NSB_4plusIvEENSB_8equal_toIvEES6_EE10hipError_tPvRmT2_T3_T4_T5_mT6_T7_P12ihipStream_tbENKUlT_T0_E_clISt17integral_constantIbLb0EES12_IbLb1EEEEDaSY_SZ_EUlSY_E_NS1_11comp_targetILNS1_3genE10ELNS1_11target_archE1200ELNS1_3gpuE4ELNS1_3repE0EEENS1_30default_config_static_selectorELNS0_4arch9wavefront6targetE0EEEvT1_, .Lfunc_end2026-_ZN7rocprim17ROCPRIM_400000_NS6detail17trampoline_kernelINS0_14default_configENS1_27scan_by_key_config_selectorIj11FixedVectorIiLj2EEEEZZNS1_16scan_by_key_implILNS1_25lookback_scan_determinismE0ELb1ES3_N6thrust23THRUST_200600_302600_NS6detail15normal_iteratorINSB_10device_ptrIjEEEENSD_INSE_IS6_EEEESI_S6_NSB_4plusIvEENSB_8equal_toIvEES6_EE10hipError_tPvRmT2_T3_T4_T5_mT6_T7_P12ihipStream_tbENKUlT_T0_E_clISt17integral_constantIbLb0EES12_IbLb1EEEEDaSY_SZ_EUlSY_E_NS1_11comp_targetILNS1_3genE10ELNS1_11target_archE1200ELNS1_3gpuE4ELNS1_3repE0EEENS1_30default_config_static_selectorELNS0_4arch9wavefront6targetE0EEEvT1_
                                        ; -- End function
	.set _ZN7rocprim17ROCPRIM_400000_NS6detail17trampoline_kernelINS0_14default_configENS1_27scan_by_key_config_selectorIj11FixedVectorIiLj2EEEEZZNS1_16scan_by_key_implILNS1_25lookback_scan_determinismE0ELb1ES3_N6thrust23THRUST_200600_302600_NS6detail15normal_iteratorINSB_10device_ptrIjEEEENSD_INSE_IS6_EEEESI_S6_NSB_4plusIvEENSB_8equal_toIvEES6_EE10hipError_tPvRmT2_T3_T4_T5_mT6_T7_P12ihipStream_tbENKUlT_T0_E_clISt17integral_constantIbLb0EES12_IbLb1EEEEDaSY_SZ_EUlSY_E_NS1_11comp_targetILNS1_3genE10ELNS1_11target_archE1200ELNS1_3gpuE4ELNS1_3repE0EEENS1_30default_config_static_selectorELNS0_4arch9wavefront6targetE0EEEvT1_.num_vgpr, 0
	.set _ZN7rocprim17ROCPRIM_400000_NS6detail17trampoline_kernelINS0_14default_configENS1_27scan_by_key_config_selectorIj11FixedVectorIiLj2EEEEZZNS1_16scan_by_key_implILNS1_25lookback_scan_determinismE0ELb1ES3_N6thrust23THRUST_200600_302600_NS6detail15normal_iteratorINSB_10device_ptrIjEEEENSD_INSE_IS6_EEEESI_S6_NSB_4plusIvEENSB_8equal_toIvEES6_EE10hipError_tPvRmT2_T3_T4_T5_mT6_T7_P12ihipStream_tbENKUlT_T0_E_clISt17integral_constantIbLb0EES12_IbLb1EEEEDaSY_SZ_EUlSY_E_NS1_11comp_targetILNS1_3genE10ELNS1_11target_archE1200ELNS1_3gpuE4ELNS1_3repE0EEENS1_30default_config_static_selectorELNS0_4arch9wavefront6targetE0EEEvT1_.num_agpr, 0
	.set _ZN7rocprim17ROCPRIM_400000_NS6detail17trampoline_kernelINS0_14default_configENS1_27scan_by_key_config_selectorIj11FixedVectorIiLj2EEEEZZNS1_16scan_by_key_implILNS1_25lookback_scan_determinismE0ELb1ES3_N6thrust23THRUST_200600_302600_NS6detail15normal_iteratorINSB_10device_ptrIjEEEENSD_INSE_IS6_EEEESI_S6_NSB_4plusIvEENSB_8equal_toIvEES6_EE10hipError_tPvRmT2_T3_T4_T5_mT6_T7_P12ihipStream_tbENKUlT_T0_E_clISt17integral_constantIbLb0EES12_IbLb1EEEEDaSY_SZ_EUlSY_E_NS1_11comp_targetILNS1_3genE10ELNS1_11target_archE1200ELNS1_3gpuE4ELNS1_3repE0EEENS1_30default_config_static_selectorELNS0_4arch9wavefront6targetE0EEEvT1_.numbered_sgpr, 0
	.set _ZN7rocprim17ROCPRIM_400000_NS6detail17trampoline_kernelINS0_14default_configENS1_27scan_by_key_config_selectorIj11FixedVectorIiLj2EEEEZZNS1_16scan_by_key_implILNS1_25lookback_scan_determinismE0ELb1ES3_N6thrust23THRUST_200600_302600_NS6detail15normal_iteratorINSB_10device_ptrIjEEEENSD_INSE_IS6_EEEESI_S6_NSB_4plusIvEENSB_8equal_toIvEES6_EE10hipError_tPvRmT2_T3_T4_T5_mT6_T7_P12ihipStream_tbENKUlT_T0_E_clISt17integral_constantIbLb0EES12_IbLb1EEEEDaSY_SZ_EUlSY_E_NS1_11comp_targetILNS1_3genE10ELNS1_11target_archE1200ELNS1_3gpuE4ELNS1_3repE0EEENS1_30default_config_static_selectorELNS0_4arch9wavefront6targetE0EEEvT1_.num_named_barrier, 0
	.set _ZN7rocprim17ROCPRIM_400000_NS6detail17trampoline_kernelINS0_14default_configENS1_27scan_by_key_config_selectorIj11FixedVectorIiLj2EEEEZZNS1_16scan_by_key_implILNS1_25lookback_scan_determinismE0ELb1ES3_N6thrust23THRUST_200600_302600_NS6detail15normal_iteratorINSB_10device_ptrIjEEEENSD_INSE_IS6_EEEESI_S6_NSB_4plusIvEENSB_8equal_toIvEES6_EE10hipError_tPvRmT2_T3_T4_T5_mT6_T7_P12ihipStream_tbENKUlT_T0_E_clISt17integral_constantIbLb0EES12_IbLb1EEEEDaSY_SZ_EUlSY_E_NS1_11comp_targetILNS1_3genE10ELNS1_11target_archE1200ELNS1_3gpuE4ELNS1_3repE0EEENS1_30default_config_static_selectorELNS0_4arch9wavefront6targetE0EEEvT1_.private_seg_size, 0
	.set _ZN7rocprim17ROCPRIM_400000_NS6detail17trampoline_kernelINS0_14default_configENS1_27scan_by_key_config_selectorIj11FixedVectorIiLj2EEEEZZNS1_16scan_by_key_implILNS1_25lookback_scan_determinismE0ELb1ES3_N6thrust23THRUST_200600_302600_NS6detail15normal_iteratorINSB_10device_ptrIjEEEENSD_INSE_IS6_EEEESI_S6_NSB_4plusIvEENSB_8equal_toIvEES6_EE10hipError_tPvRmT2_T3_T4_T5_mT6_T7_P12ihipStream_tbENKUlT_T0_E_clISt17integral_constantIbLb0EES12_IbLb1EEEEDaSY_SZ_EUlSY_E_NS1_11comp_targetILNS1_3genE10ELNS1_11target_archE1200ELNS1_3gpuE4ELNS1_3repE0EEENS1_30default_config_static_selectorELNS0_4arch9wavefront6targetE0EEEvT1_.uses_vcc, 0
	.set _ZN7rocprim17ROCPRIM_400000_NS6detail17trampoline_kernelINS0_14default_configENS1_27scan_by_key_config_selectorIj11FixedVectorIiLj2EEEEZZNS1_16scan_by_key_implILNS1_25lookback_scan_determinismE0ELb1ES3_N6thrust23THRUST_200600_302600_NS6detail15normal_iteratorINSB_10device_ptrIjEEEENSD_INSE_IS6_EEEESI_S6_NSB_4plusIvEENSB_8equal_toIvEES6_EE10hipError_tPvRmT2_T3_T4_T5_mT6_T7_P12ihipStream_tbENKUlT_T0_E_clISt17integral_constantIbLb0EES12_IbLb1EEEEDaSY_SZ_EUlSY_E_NS1_11comp_targetILNS1_3genE10ELNS1_11target_archE1200ELNS1_3gpuE4ELNS1_3repE0EEENS1_30default_config_static_selectorELNS0_4arch9wavefront6targetE0EEEvT1_.uses_flat_scratch, 0
	.set _ZN7rocprim17ROCPRIM_400000_NS6detail17trampoline_kernelINS0_14default_configENS1_27scan_by_key_config_selectorIj11FixedVectorIiLj2EEEEZZNS1_16scan_by_key_implILNS1_25lookback_scan_determinismE0ELb1ES3_N6thrust23THRUST_200600_302600_NS6detail15normal_iteratorINSB_10device_ptrIjEEEENSD_INSE_IS6_EEEESI_S6_NSB_4plusIvEENSB_8equal_toIvEES6_EE10hipError_tPvRmT2_T3_T4_T5_mT6_T7_P12ihipStream_tbENKUlT_T0_E_clISt17integral_constantIbLb0EES12_IbLb1EEEEDaSY_SZ_EUlSY_E_NS1_11comp_targetILNS1_3genE10ELNS1_11target_archE1200ELNS1_3gpuE4ELNS1_3repE0EEENS1_30default_config_static_selectorELNS0_4arch9wavefront6targetE0EEEvT1_.has_dyn_sized_stack, 0
	.set _ZN7rocprim17ROCPRIM_400000_NS6detail17trampoline_kernelINS0_14default_configENS1_27scan_by_key_config_selectorIj11FixedVectorIiLj2EEEEZZNS1_16scan_by_key_implILNS1_25lookback_scan_determinismE0ELb1ES3_N6thrust23THRUST_200600_302600_NS6detail15normal_iteratorINSB_10device_ptrIjEEEENSD_INSE_IS6_EEEESI_S6_NSB_4plusIvEENSB_8equal_toIvEES6_EE10hipError_tPvRmT2_T3_T4_T5_mT6_T7_P12ihipStream_tbENKUlT_T0_E_clISt17integral_constantIbLb0EES12_IbLb1EEEEDaSY_SZ_EUlSY_E_NS1_11comp_targetILNS1_3genE10ELNS1_11target_archE1200ELNS1_3gpuE4ELNS1_3repE0EEENS1_30default_config_static_selectorELNS0_4arch9wavefront6targetE0EEEvT1_.has_recursion, 0
	.set _ZN7rocprim17ROCPRIM_400000_NS6detail17trampoline_kernelINS0_14default_configENS1_27scan_by_key_config_selectorIj11FixedVectorIiLj2EEEEZZNS1_16scan_by_key_implILNS1_25lookback_scan_determinismE0ELb1ES3_N6thrust23THRUST_200600_302600_NS6detail15normal_iteratorINSB_10device_ptrIjEEEENSD_INSE_IS6_EEEESI_S6_NSB_4plusIvEENSB_8equal_toIvEES6_EE10hipError_tPvRmT2_T3_T4_T5_mT6_T7_P12ihipStream_tbENKUlT_T0_E_clISt17integral_constantIbLb0EES12_IbLb1EEEEDaSY_SZ_EUlSY_E_NS1_11comp_targetILNS1_3genE10ELNS1_11target_archE1200ELNS1_3gpuE4ELNS1_3repE0EEENS1_30default_config_static_selectorELNS0_4arch9wavefront6targetE0EEEvT1_.has_indirect_call, 0
	.section	.AMDGPU.csdata,"",@progbits
; Kernel info:
; codeLenInByte = 0
; TotalNumSgprs: 0
; NumVgprs: 0
; ScratchSize: 0
; MemoryBound: 0
; FloatMode: 240
; IeeeMode: 1
; LDSByteSize: 0 bytes/workgroup (compile time only)
; SGPRBlocks: 0
; VGPRBlocks: 0
; NumSGPRsForWavesPerEU: 1
; NumVGPRsForWavesPerEU: 1
; NamedBarCnt: 0
; Occupancy: 16
; WaveLimiterHint : 0
; COMPUTE_PGM_RSRC2:SCRATCH_EN: 0
; COMPUTE_PGM_RSRC2:USER_SGPR: 2
; COMPUTE_PGM_RSRC2:TRAP_HANDLER: 0
; COMPUTE_PGM_RSRC2:TGID_X_EN: 1
; COMPUTE_PGM_RSRC2:TGID_Y_EN: 0
; COMPUTE_PGM_RSRC2:TGID_Z_EN: 0
; COMPUTE_PGM_RSRC2:TIDIG_COMP_CNT: 0
	.section	.text._ZN7rocprim17ROCPRIM_400000_NS6detail17trampoline_kernelINS0_14default_configENS1_27scan_by_key_config_selectorIj11FixedVectorIiLj2EEEEZZNS1_16scan_by_key_implILNS1_25lookback_scan_determinismE0ELb1ES3_N6thrust23THRUST_200600_302600_NS6detail15normal_iteratorINSB_10device_ptrIjEEEENSD_INSE_IS6_EEEESI_S6_NSB_4plusIvEENSB_8equal_toIvEES6_EE10hipError_tPvRmT2_T3_T4_T5_mT6_T7_P12ihipStream_tbENKUlT_T0_E_clISt17integral_constantIbLb0EES12_IbLb1EEEEDaSY_SZ_EUlSY_E_NS1_11comp_targetILNS1_3genE9ELNS1_11target_archE1100ELNS1_3gpuE3ELNS1_3repE0EEENS1_30default_config_static_selectorELNS0_4arch9wavefront6targetE0EEEvT1_,"axG",@progbits,_ZN7rocprim17ROCPRIM_400000_NS6detail17trampoline_kernelINS0_14default_configENS1_27scan_by_key_config_selectorIj11FixedVectorIiLj2EEEEZZNS1_16scan_by_key_implILNS1_25lookback_scan_determinismE0ELb1ES3_N6thrust23THRUST_200600_302600_NS6detail15normal_iteratorINSB_10device_ptrIjEEEENSD_INSE_IS6_EEEESI_S6_NSB_4plusIvEENSB_8equal_toIvEES6_EE10hipError_tPvRmT2_T3_T4_T5_mT6_T7_P12ihipStream_tbENKUlT_T0_E_clISt17integral_constantIbLb0EES12_IbLb1EEEEDaSY_SZ_EUlSY_E_NS1_11comp_targetILNS1_3genE9ELNS1_11target_archE1100ELNS1_3gpuE3ELNS1_3repE0EEENS1_30default_config_static_selectorELNS0_4arch9wavefront6targetE0EEEvT1_,comdat
	.protected	_ZN7rocprim17ROCPRIM_400000_NS6detail17trampoline_kernelINS0_14default_configENS1_27scan_by_key_config_selectorIj11FixedVectorIiLj2EEEEZZNS1_16scan_by_key_implILNS1_25lookback_scan_determinismE0ELb1ES3_N6thrust23THRUST_200600_302600_NS6detail15normal_iteratorINSB_10device_ptrIjEEEENSD_INSE_IS6_EEEESI_S6_NSB_4plusIvEENSB_8equal_toIvEES6_EE10hipError_tPvRmT2_T3_T4_T5_mT6_T7_P12ihipStream_tbENKUlT_T0_E_clISt17integral_constantIbLb0EES12_IbLb1EEEEDaSY_SZ_EUlSY_E_NS1_11comp_targetILNS1_3genE9ELNS1_11target_archE1100ELNS1_3gpuE3ELNS1_3repE0EEENS1_30default_config_static_selectorELNS0_4arch9wavefront6targetE0EEEvT1_ ; -- Begin function _ZN7rocprim17ROCPRIM_400000_NS6detail17trampoline_kernelINS0_14default_configENS1_27scan_by_key_config_selectorIj11FixedVectorIiLj2EEEEZZNS1_16scan_by_key_implILNS1_25lookback_scan_determinismE0ELb1ES3_N6thrust23THRUST_200600_302600_NS6detail15normal_iteratorINSB_10device_ptrIjEEEENSD_INSE_IS6_EEEESI_S6_NSB_4plusIvEENSB_8equal_toIvEES6_EE10hipError_tPvRmT2_T3_T4_T5_mT6_T7_P12ihipStream_tbENKUlT_T0_E_clISt17integral_constantIbLb0EES12_IbLb1EEEEDaSY_SZ_EUlSY_E_NS1_11comp_targetILNS1_3genE9ELNS1_11target_archE1100ELNS1_3gpuE3ELNS1_3repE0EEENS1_30default_config_static_selectorELNS0_4arch9wavefront6targetE0EEEvT1_
	.globl	_ZN7rocprim17ROCPRIM_400000_NS6detail17trampoline_kernelINS0_14default_configENS1_27scan_by_key_config_selectorIj11FixedVectorIiLj2EEEEZZNS1_16scan_by_key_implILNS1_25lookback_scan_determinismE0ELb1ES3_N6thrust23THRUST_200600_302600_NS6detail15normal_iteratorINSB_10device_ptrIjEEEENSD_INSE_IS6_EEEESI_S6_NSB_4plusIvEENSB_8equal_toIvEES6_EE10hipError_tPvRmT2_T3_T4_T5_mT6_T7_P12ihipStream_tbENKUlT_T0_E_clISt17integral_constantIbLb0EES12_IbLb1EEEEDaSY_SZ_EUlSY_E_NS1_11comp_targetILNS1_3genE9ELNS1_11target_archE1100ELNS1_3gpuE3ELNS1_3repE0EEENS1_30default_config_static_selectorELNS0_4arch9wavefront6targetE0EEEvT1_
	.p2align	8
	.type	_ZN7rocprim17ROCPRIM_400000_NS6detail17trampoline_kernelINS0_14default_configENS1_27scan_by_key_config_selectorIj11FixedVectorIiLj2EEEEZZNS1_16scan_by_key_implILNS1_25lookback_scan_determinismE0ELb1ES3_N6thrust23THRUST_200600_302600_NS6detail15normal_iteratorINSB_10device_ptrIjEEEENSD_INSE_IS6_EEEESI_S6_NSB_4plusIvEENSB_8equal_toIvEES6_EE10hipError_tPvRmT2_T3_T4_T5_mT6_T7_P12ihipStream_tbENKUlT_T0_E_clISt17integral_constantIbLb0EES12_IbLb1EEEEDaSY_SZ_EUlSY_E_NS1_11comp_targetILNS1_3genE9ELNS1_11target_archE1100ELNS1_3gpuE3ELNS1_3repE0EEENS1_30default_config_static_selectorELNS0_4arch9wavefront6targetE0EEEvT1_,@function
_ZN7rocprim17ROCPRIM_400000_NS6detail17trampoline_kernelINS0_14default_configENS1_27scan_by_key_config_selectorIj11FixedVectorIiLj2EEEEZZNS1_16scan_by_key_implILNS1_25lookback_scan_determinismE0ELb1ES3_N6thrust23THRUST_200600_302600_NS6detail15normal_iteratorINSB_10device_ptrIjEEEENSD_INSE_IS6_EEEESI_S6_NSB_4plusIvEENSB_8equal_toIvEES6_EE10hipError_tPvRmT2_T3_T4_T5_mT6_T7_P12ihipStream_tbENKUlT_T0_E_clISt17integral_constantIbLb0EES12_IbLb1EEEEDaSY_SZ_EUlSY_E_NS1_11comp_targetILNS1_3genE9ELNS1_11target_archE1100ELNS1_3gpuE3ELNS1_3repE0EEENS1_30default_config_static_selectorELNS0_4arch9wavefront6targetE0EEEvT1_: ; @_ZN7rocprim17ROCPRIM_400000_NS6detail17trampoline_kernelINS0_14default_configENS1_27scan_by_key_config_selectorIj11FixedVectorIiLj2EEEEZZNS1_16scan_by_key_implILNS1_25lookback_scan_determinismE0ELb1ES3_N6thrust23THRUST_200600_302600_NS6detail15normal_iteratorINSB_10device_ptrIjEEEENSD_INSE_IS6_EEEESI_S6_NSB_4plusIvEENSB_8equal_toIvEES6_EE10hipError_tPvRmT2_T3_T4_T5_mT6_T7_P12ihipStream_tbENKUlT_T0_E_clISt17integral_constantIbLb0EES12_IbLb1EEEEDaSY_SZ_EUlSY_E_NS1_11comp_targetILNS1_3genE9ELNS1_11target_archE1100ELNS1_3gpuE3ELNS1_3repE0EEENS1_30default_config_static_selectorELNS0_4arch9wavefront6targetE0EEEvT1_
; %bb.0:
	.section	.rodata,"a",@progbits
	.p2align	6, 0x0
	.amdhsa_kernel _ZN7rocprim17ROCPRIM_400000_NS6detail17trampoline_kernelINS0_14default_configENS1_27scan_by_key_config_selectorIj11FixedVectorIiLj2EEEEZZNS1_16scan_by_key_implILNS1_25lookback_scan_determinismE0ELb1ES3_N6thrust23THRUST_200600_302600_NS6detail15normal_iteratorINSB_10device_ptrIjEEEENSD_INSE_IS6_EEEESI_S6_NSB_4plusIvEENSB_8equal_toIvEES6_EE10hipError_tPvRmT2_T3_T4_T5_mT6_T7_P12ihipStream_tbENKUlT_T0_E_clISt17integral_constantIbLb0EES12_IbLb1EEEEDaSY_SZ_EUlSY_E_NS1_11comp_targetILNS1_3genE9ELNS1_11target_archE1100ELNS1_3gpuE3ELNS1_3repE0EEENS1_30default_config_static_selectorELNS0_4arch9wavefront6targetE0EEEvT1_
		.amdhsa_group_segment_fixed_size 0
		.amdhsa_private_segment_fixed_size 0
		.amdhsa_kernarg_size 120
		.amdhsa_user_sgpr_count 2
		.amdhsa_user_sgpr_dispatch_ptr 0
		.amdhsa_user_sgpr_queue_ptr 0
		.amdhsa_user_sgpr_kernarg_segment_ptr 1
		.amdhsa_user_sgpr_dispatch_id 0
		.amdhsa_user_sgpr_kernarg_preload_length 0
		.amdhsa_user_sgpr_kernarg_preload_offset 0
		.amdhsa_user_sgpr_private_segment_size 0
		.amdhsa_wavefront_size32 1
		.amdhsa_uses_dynamic_stack 0
		.amdhsa_enable_private_segment 0
		.amdhsa_system_sgpr_workgroup_id_x 1
		.amdhsa_system_sgpr_workgroup_id_y 0
		.amdhsa_system_sgpr_workgroup_id_z 0
		.amdhsa_system_sgpr_workgroup_info 0
		.amdhsa_system_vgpr_workitem_id 0
		.amdhsa_next_free_vgpr 1
		.amdhsa_next_free_sgpr 1
		.amdhsa_named_barrier_count 0
		.amdhsa_reserve_vcc 0
		.amdhsa_float_round_mode_32 0
		.amdhsa_float_round_mode_16_64 0
		.amdhsa_float_denorm_mode_32 3
		.amdhsa_float_denorm_mode_16_64 3
		.amdhsa_fp16_overflow 0
		.amdhsa_memory_ordered 1
		.amdhsa_forward_progress 1
		.amdhsa_inst_pref_size 0
		.amdhsa_round_robin_scheduling 0
		.amdhsa_exception_fp_ieee_invalid_op 0
		.amdhsa_exception_fp_denorm_src 0
		.amdhsa_exception_fp_ieee_div_zero 0
		.amdhsa_exception_fp_ieee_overflow 0
		.amdhsa_exception_fp_ieee_underflow 0
		.amdhsa_exception_fp_ieee_inexact 0
		.amdhsa_exception_int_div_zero 0
	.end_amdhsa_kernel
	.section	.text._ZN7rocprim17ROCPRIM_400000_NS6detail17trampoline_kernelINS0_14default_configENS1_27scan_by_key_config_selectorIj11FixedVectorIiLj2EEEEZZNS1_16scan_by_key_implILNS1_25lookback_scan_determinismE0ELb1ES3_N6thrust23THRUST_200600_302600_NS6detail15normal_iteratorINSB_10device_ptrIjEEEENSD_INSE_IS6_EEEESI_S6_NSB_4plusIvEENSB_8equal_toIvEES6_EE10hipError_tPvRmT2_T3_T4_T5_mT6_T7_P12ihipStream_tbENKUlT_T0_E_clISt17integral_constantIbLb0EES12_IbLb1EEEEDaSY_SZ_EUlSY_E_NS1_11comp_targetILNS1_3genE9ELNS1_11target_archE1100ELNS1_3gpuE3ELNS1_3repE0EEENS1_30default_config_static_selectorELNS0_4arch9wavefront6targetE0EEEvT1_,"axG",@progbits,_ZN7rocprim17ROCPRIM_400000_NS6detail17trampoline_kernelINS0_14default_configENS1_27scan_by_key_config_selectorIj11FixedVectorIiLj2EEEEZZNS1_16scan_by_key_implILNS1_25lookback_scan_determinismE0ELb1ES3_N6thrust23THRUST_200600_302600_NS6detail15normal_iteratorINSB_10device_ptrIjEEEENSD_INSE_IS6_EEEESI_S6_NSB_4plusIvEENSB_8equal_toIvEES6_EE10hipError_tPvRmT2_T3_T4_T5_mT6_T7_P12ihipStream_tbENKUlT_T0_E_clISt17integral_constantIbLb0EES12_IbLb1EEEEDaSY_SZ_EUlSY_E_NS1_11comp_targetILNS1_3genE9ELNS1_11target_archE1100ELNS1_3gpuE3ELNS1_3repE0EEENS1_30default_config_static_selectorELNS0_4arch9wavefront6targetE0EEEvT1_,comdat
.Lfunc_end2027:
	.size	_ZN7rocprim17ROCPRIM_400000_NS6detail17trampoline_kernelINS0_14default_configENS1_27scan_by_key_config_selectorIj11FixedVectorIiLj2EEEEZZNS1_16scan_by_key_implILNS1_25lookback_scan_determinismE0ELb1ES3_N6thrust23THRUST_200600_302600_NS6detail15normal_iteratorINSB_10device_ptrIjEEEENSD_INSE_IS6_EEEESI_S6_NSB_4plusIvEENSB_8equal_toIvEES6_EE10hipError_tPvRmT2_T3_T4_T5_mT6_T7_P12ihipStream_tbENKUlT_T0_E_clISt17integral_constantIbLb0EES12_IbLb1EEEEDaSY_SZ_EUlSY_E_NS1_11comp_targetILNS1_3genE9ELNS1_11target_archE1100ELNS1_3gpuE3ELNS1_3repE0EEENS1_30default_config_static_selectorELNS0_4arch9wavefront6targetE0EEEvT1_, .Lfunc_end2027-_ZN7rocprim17ROCPRIM_400000_NS6detail17trampoline_kernelINS0_14default_configENS1_27scan_by_key_config_selectorIj11FixedVectorIiLj2EEEEZZNS1_16scan_by_key_implILNS1_25lookback_scan_determinismE0ELb1ES3_N6thrust23THRUST_200600_302600_NS6detail15normal_iteratorINSB_10device_ptrIjEEEENSD_INSE_IS6_EEEESI_S6_NSB_4plusIvEENSB_8equal_toIvEES6_EE10hipError_tPvRmT2_T3_T4_T5_mT6_T7_P12ihipStream_tbENKUlT_T0_E_clISt17integral_constantIbLb0EES12_IbLb1EEEEDaSY_SZ_EUlSY_E_NS1_11comp_targetILNS1_3genE9ELNS1_11target_archE1100ELNS1_3gpuE3ELNS1_3repE0EEENS1_30default_config_static_selectorELNS0_4arch9wavefront6targetE0EEEvT1_
                                        ; -- End function
	.set _ZN7rocprim17ROCPRIM_400000_NS6detail17trampoline_kernelINS0_14default_configENS1_27scan_by_key_config_selectorIj11FixedVectorIiLj2EEEEZZNS1_16scan_by_key_implILNS1_25lookback_scan_determinismE0ELb1ES3_N6thrust23THRUST_200600_302600_NS6detail15normal_iteratorINSB_10device_ptrIjEEEENSD_INSE_IS6_EEEESI_S6_NSB_4plusIvEENSB_8equal_toIvEES6_EE10hipError_tPvRmT2_T3_T4_T5_mT6_T7_P12ihipStream_tbENKUlT_T0_E_clISt17integral_constantIbLb0EES12_IbLb1EEEEDaSY_SZ_EUlSY_E_NS1_11comp_targetILNS1_3genE9ELNS1_11target_archE1100ELNS1_3gpuE3ELNS1_3repE0EEENS1_30default_config_static_selectorELNS0_4arch9wavefront6targetE0EEEvT1_.num_vgpr, 0
	.set _ZN7rocprim17ROCPRIM_400000_NS6detail17trampoline_kernelINS0_14default_configENS1_27scan_by_key_config_selectorIj11FixedVectorIiLj2EEEEZZNS1_16scan_by_key_implILNS1_25lookback_scan_determinismE0ELb1ES3_N6thrust23THRUST_200600_302600_NS6detail15normal_iteratorINSB_10device_ptrIjEEEENSD_INSE_IS6_EEEESI_S6_NSB_4plusIvEENSB_8equal_toIvEES6_EE10hipError_tPvRmT2_T3_T4_T5_mT6_T7_P12ihipStream_tbENKUlT_T0_E_clISt17integral_constantIbLb0EES12_IbLb1EEEEDaSY_SZ_EUlSY_E_NS1_11comp_targetILNS1_3genE9ELNS1_11target_archE1100ELNS1_3gpuE3ELNS1_3repE0EEENS1_30default_config_static_selectorELNS0_4arch9wavefront6targetE0EEEvT1_.num_agpr, 0
	.set _ZN7rocprim17ROCPRIM_400000_NS6detail17trampoline_kernelINS0_14default_configENS1_27scan_by_key_config_selectorIj11FixedVectorIiLj2EEEEZZNS1_16scan_by_key_implILNS1_25lookback_scan_determinismE0ELb1ES3_N6thrust23THRUST_200600_302600_NS6detail15normal_iteratorINSB_10device_ptrIjEEEENSD_INSE_IS6_EEEESI_S6_NSB_4plusIvEENSB_8equal_toIvEES6_EE10hipError_tPvRmT2_T3_T4_T5_mT6_T7_P12ihipStream_tbENKUlT_T0_E_clISt17integral_constantIbLb0EES12_IbLb1EEEEDaSY_SZ_EUlSY_E_NS1_11comp_targetILNS1_3genE9ELNS1_11target_archE1100ELNS1_3gpuE3ELNS1_3repE0EEENS1_30default_config_static_selectorELNS0_4arch9wavefront6targetE0EEEvT1_.numbered_sgpr, 0
	.set _ZN7rocprim17ROCPRIM_400000_NS6detail17trampoline_kernelINS0_14default_configENS1_27scan_by_key_config_selectorIj11FixedVectorIiLj2EEEEZZNS1_16scan_by_key_implILNS1_25lookback_scan_determinismE0ELb1ES3_N6thrust23THRUST_200600_302600_NS6detail15normal_iteratorINSB_10device_ptrIjEEEENSD_INSE_IS6_EEEESI_S6_NSB_4plusIvEENSB_8equal_toIvEES6_EE10hipError_tPvRmT2_T3_T4_T5_mT6_T7_P12ihipStream_tbENKUlT_T0_E_clISt17integral_constantIbLb0EES12_IbLb1EEEEDaSY_SZ_EUlSY_E_NS1_11comp_targetILNS1_3genE9ELNS1_11target_archE1100ELNS1_3gpuE3ELNS1_3repE0EEENS1_30default_config_static_selectorELNS0_4arch9wavefront6targetE0EEEvT1_.num_named_barrier, 0
	.set _ZN7rocprim17ROCPRIM_400000_NS6detail17trampoline_kernelINS0_14default_configENS1_27scan_by_key_config_selectorIj11FixedVectorIiLj2EEEEZZNS1_16scan_by_key_implILNS1_25lookback_scan_determinismE0ELb1ES3_N6thrust23THRUST_200600_302600_NS6detail15normal_iteratorINSB_10device_ptrIjEEEENSD_INSE_IS6_EEEESI_S6_NSB_4plusIvEENSB_8equal_toIvEES6_EE10hipError_tPvRmT2_T3_T4_T5_mT6_T7_P12ihipStream_tbENKUlT_T0_E_clISt17integral_constantIbLb0EES12_IbLb1EEEEDaSY_SZ_EUlSY_E_NS1_11comp_targetILNS1_3genE9ELNS1_11target_archE1100ELNS1_3gpuE3ELNS1_3repE0EEENS1_30default_config_static_selectorELNS0_4arch9wavefront6targetE0EEEvT1_.private_seg_size, 0
	.set _ZN7rocprim17ROCPRIM_400000_NS6detail17trampoline_kernelINS0_14default_configENS1_27scan_by_key_config_selectorIj11FixedVectorIiLj2EEEEZZNS1_16scan_by_key_implILNS1_25lookback_scan_determinismE0ELb1ES3_N6thrust23THRUST_200600_302600_NS6detail15normal_iteratorINSB_10device_ptrIjEEEENSD_INSE_IS6_EEEESI_S6_NSB_4plusIvEENSB_8equal_toIvEES6_EE10hipError_tPvRmT2_T3_T4_T5_mT6_T7_P12ihipStream_tbENKUlT_T0_E_clISt17integral_constantIbLb0EES12_IbLb1EEEEDaSY_SZ_EUlSY_E_NS1_11comp_targetILNS1_3genE9ELNS1_11target_archE1100ELNS1_3gpuE3ELNS1_3repE0EEENS1_30default_config_static_selectorELNS0_4arch9wavefront6targetE0EEEvT1_.uses_vcc, 0
	.set _ZN7rocprim17ROCPRIM_400000_NS6detail17trampoline_kernelINS0_14default_configENS1_27scan_by_key_config_selectorIj11FixedVectorIiLj2EEEEZZNS1_16scan_by_key_implILNS1_25lookback_scan_determinismE0ELb1ES3_N6thrust23THRUST_200600_302600_NS6detail15normal_iteratorINSB_10device_ptrIjEEEENSD_INSE_IS6_EEEESI_S6_NSB_4plusIvEENSB_8equal_toIvEES6_EE10hipError_tPvRmT2_T3_T4_T5_mT6_T7_P12ihipStream_tbENKUlT_T0_E_clISt17integral_constantIbLb0EES12_IbLb1EEEEDaSY_SZ_EUlSY_E_NS1_11comp_targetILNS1_3genE9ELNS1_11target_archE1100ELNS1_3gpuE3ELNS1_3repE0EEENS1_30default_config_static_selectorELNS0_4arch9wavefront6targetE0EEEvT1_.uses_flat_scratch, 0
	.set _ZN7rocprim17ROCPRIM_400000_NS6detail17trampoline_kernelINS0_14default_configENS1_27scan_by_key_config_selectorIj11FixedVectorIiLj2EEEEZZNS1_16scan_by_key_implILNS1_25lookback_scan_determinismE0ELb1ES3_N6thrust23THRUST_200600_302600_NS6detail15normal_iteratorINSB_10device_ptrIjEEEENSD_INSE_IS6_EEEESI_S6_NSB_4plusIvEENSB_8equal_toIvEES6_EE10hipError_tPvRmT2_T3_T4_T5_mT6_T7_P12ihipStream_tbENKUlT_T0_E_clISt17integral_constantIbLb0EES12_IbLb1EEEEDaSY_SZ_EUlSY_E_NS1_11comp_targetILNS1_3genE9ELNS1_11target_archE1100ELNS1_3gpuE3ELNS1_3repE0EEENS1_30default_config_static_selectorELNS0_4arch9wavefront6targetE0EEEvT1_.has_dyn_sized_stack, 0
	.set _ZN7rocprim17ROCPRIM_400000_NS6detail17trampoline_kernelINS0_14default_configENS1_27scan_by_key_config_selectorIj11FixedVectorIiLj2EEEEZZNS1_16scan_by_key_implILNS1_25lookback_scan_determinismE0ELb1ES3_N6thrust23THRUST_200600_302600_NS6detail15normal_iteratorINSB_10device_ptrIjEEEENSD_INSE_IS6_EEEESI_S6_NSB_4plusIvEENSB_8equal_toIvEES6_EE10hipError_tPvRmT2_T3_T4_T5_mT6_T7_P12ihipStream_tbENKUlT_T0_E_clISt17integral_constantIbLb0EES12_IbLb1EEEEDaSY_SZ_EUlSY_E_NS1_11comp_targetILNS1_3genE9ELNS1_11target_archE1100ELNS1_3gpuE3ELNS1_3repE0EEENS1_30default_config_static_selectorELNS0_4arch9wavefront6targetE0EEEvT1_.has_recursion, 0
	.set _ZN7rocprim17ROCPRIM_400000_NS6detail17trampoline_kernelINS0_14default_configENS1_27scan_by_key_config_selectorIj11FixedVectorIiLj2EEEEZZNS1_16scan_by_key_implILNS1_25lookback_scan_determinismE0ELb1ES3_N6thrust23THRUST_200600_302600_NS6detail15normal_iteratorINSB_10device_ptrIjEEEENSD_INSE_IS6_EEEESI_S6_NSB_4plusIvEENSB_8equal_toIvEES6_EE10hipError_tPvRmT2_T3_T4_T5_mT6_T7_P12ihipStream_tbENKUlT_T0_E_clISt17integral_constantIbLb0EES12_IbLb1EEEEDaSY_SZ_EUlSY_E_NS1_11comp_targetILNS1_3genE9ELNS1_11target_archE1100ELNS1_3gpuE3ELNS1_3repE0EEENS1_30default_config_static_selectorELNS0_4arch9wavefront6targetE0EEEvT1_.has_indirect_call, 0
	.section	.AMDGPU.csdata,"",@progbits
; Kernel info:
; codeLenInByte = 0
; TotalNumSgprs: 0
; NumVgprs: 0
; ScratchSize: 0
; MemoryBound: 0
; FloatMode: 240
; IeeeMode: 1
; LDSByteSize: 0 bytes/workgroup (compile time only)
; SGPRBlocks: 0
; VGPRBlocks: 0
; NumSGPRsForWavesPerEU: 1
; NumVGPRsForWavesPerEU: 1
; NamedBarCnt: 0
; Occupancy: 16
; WaveLimiterHint : 0
; COMPUTE_PGM_RSRC2:SCRATCH_EN: 0
; COMPUTE_PGM_RSRC2:USER_SGPR: 2
; COMPUTE_PGM_RSRC2:TRAP_HANDLER: 0
; COMPUTE_PGM_RSRC2:TGID_X_EN: 1
; COMPUTE_PGM_RSRC2:TGID_Y_EN: 0
; COMPUTE_PGM_RSRC2:TGID_Z_EN: 0
; COMPUTE_PGM_RSRC2:TIDIG_COMP_CNT: 0
	.section	.text._ZN7rocprim17ROCPRIM_400000_NS6detail17trampoline_kernelINS0_14default_configENS1_27scan_by_key_config_selectorIj11FixedVectorIiLj2EEEEZZNS1_16scan_by_key_implILNS1_25lookback_scan_determinismE0ELb1ES3_N6thrust23THRUST_200600_302600_NS6detail15normal_iteratorINSB_10device_ptrIjEEEENSD_INSE_IS6_EEEESI_S6_NSB_4plusIvEENSB_8equal_toIvEES6_EE10hipError_tPvRmT2_T3_T4_T5_mT6_T7_P12ihipStream_tbENKUlT_T0_E_clISt17integral_constantIbLb0EES12_IbLb1EEEEDaSY_SZ_EUlSY_E_NS1_11comp_targetILNS1_3genE8ELNS1_11target_archE1030ELNS1_3gpuE2ELNS1_3repE0EEENS1_30default_config_static_selectorELNS0_4arch9wavefront6targetE0EEEvT1_,"axG",@progbits,_ZN7rocprim17ROCPRIM_400000_NS6detail17trampoline_kernelINS0_14default_configENS1_27scan_by_key_config_selectorIj11FixedVectorIiLj2EEEEZZNS1_16scan_by_key_implILNS1_25lookback_scan_determinismE0ELb1ES3_N6thrust23THRUST_200600_302600_NS6detail15normal_iteratorINSB_10device_ptrIjEEEENSD_INSE_IS6_EEEESI_S6_NSB_4plusIvEENSB_8equal_toIvEES6_EE10hipError_tPvRmT2_T3_T4_T5_mT6_T7_P12ihipStream_tbENKUlT_T0_E_clISt17integral_constantIbLb0EES12_IbLb1EEEEDaSY_SZ_EUlSY_E_NS1_11comp_targetILNS1_3genE8ELNS1_11target_archE1030ELNS1_3gpuE2ELNS1_3repE0EEENS1_30default_config_static_selectorELNS0_4arch9wavefront6targetE0EEEvT1_,comdat
	.protected	_ZN7rocprim17ROCPRIM_400000_NS6detail17trampoline_kernelINS0_14default_configENS1_27scan_by_key_config_selectorIj11FixedVectorIiLj2EEEEZZNS1_16scan_by_key_implILNS1_25lookback_scan_determinismE0ELb1ES3_N6thrust23THRUST_200600_302600_NS6detail15normal_iteratorINSB_10device_ptrIjEEEENSD_INSE_IS6_EEEESI_S6_NSB_4plusIvEENSB_8equal_toIvEES6_EE10hipError_tPvRmT2_T3_T4_T5_mT6_T7_P12ihipStream_tbENKUlT_T0_E_clISt17integral_constantIbLb0EES12_IbLb1EEEEDaSY_SZ_EUlSY_E_NS1_11comp_targetILNS1_3genE8ELNS1_11target_archE1030ELNS1_3gpuE2ELNS1_3repE0EEENS1_30default_config_static_selectorELNS0_4arch9wavefront6targetE0EEEvT1_ ; -- Begin function _ZN7rocprim17ROCPRIM_400000_NS6detail17trampoline_kernelINS0_14default_configENS1_27scan_by_key_config_selectorIj11FixedVectorIiLj2EEEEZZNS1_16scan_by_key_implILNS1_25lookback_scan_determinismE0ELb1ES3_N6thrust23THRUST_200600_302600_NS6detail15normal_iteratorINSB_10device_ptrIjEEEENSD_INSE_IS6_EEEESI_S6_NSB_4plusIvEENSB_8equal_toIvEES6_EE10hipError_tPvRmT2_T3_T4_T5_mT6_T7_P12ihipStream_tbENKUlT_T0_E_clISt17integral_constantIbLb0EES12_IbLb1EEEEDaSY_SZ_EUlSY_E_NS1_11comp_targetILNS1_3genE8ELNS1_11target_archE1030ELNS1_3gpuE2ELNS1_3repE0EEENS1_30default_config_static_selectorELNS0_4arch9wavefront6targetE0EEEvT1_
	.globl	_ZN7rocprim17ROCPRIM_400000_NS6detail17trampoline_kernelINS0_14default_configENS1_27scan_by_key_config_selectorIj11FixedVectorIiLj2EEEEZZNS1_16scan_by_key_implILNS1_25lookback_scan_determinismE0ELb1ES3_N6thrust23THRUST_200600_302600_NS6detail15normal_iteratorINSB_10device_ptrIjEEEENSD_INSE_IS6_EEEESI_S6_NSB_4plusIvEENSB_8equal_toIvEES6_EE10hipError_tPvRmT2_T3_T4_T5_mT6_T7_P12ihipStream_tbENKUlT_T0_E_clISt17integral_constantIbLb0EES12_IbLb1EEEEDaSY_SZ_EUlSY_E_NS1_11comp_targetILNS1_3genE8ELNS1_11target_archE1030ELNS1_3gpuE2ELNS1_3repE0EEENS1_30default_config_static_selectorELNS0_4arch9wavefront6targetE0EEEvT1_
	.p2align	8
	.type	_ZN7rocprim17ROCPRIM_400000_NS6detail17trampoline_kernelINS0_14default_configENS1_27scan_by_key_config_selectorIj11FixedVectorIiLj2EEEEZZNS1_16scan_by_key_implILNS1_25lookback_scan_determinismE0ELb1ES3_N6thrust23THRUST_200600_302600_NS6detail15normal_iteratorINSB_10device_ptrIjEEEENSD_INSE_IS6_EEEESI_S6_NSB_4plusIvEENSB_8equal_toIvEES6_EE10hipError_tPvRmT2_T3_T4_T5_mT6_T7_P12ihipStream_tbENKUlT_T0_E_clISt17integral_constantIbLb0EES12_IbLb1EEEEDaSY_SZ_EUlSY_E_NS1_11comp_targetILNS1_3genE8ELNS1_11target_archE1030ELNS1_3gpuE2ELNS1_3repE0EEENS1_30default_config_static_selectorELNS0_4arch9wavefront6targetE0EEEvT1_,@function
_ZN7rocprim17ROCPRIM_400000_NS6detail17trampoline_kernelINS0_14default_configENS1_27scan_by_key_config_selectorIj11FixedVectorIiLj2EEEEZZNS1_16scan_by_key_implILNS1_25lookback_scan_determinismE0ELb1ES3_N6thrust23THRUST_200600_302600_NS6detail15normal_iteratorINSB_10device_ptrIjEEEENSD_INSE_IS6_EEEESI_S6_NSB_4plusIvEENSB_8equal_toIvEES6_EE10hipError_tPvRmT2_T3_T4_T5_mT6_T7_P12ihipStream_tbENKUlT_T0_E_clISt17integral_constantIbLb0EES12_IbLb1EEEEDaSY_SZ_EUlSY_E_NS1_11comp_targetILNS1_3genE8ELNS1_11target_archE1030ELNS1_3gpuE2ELNS1_3repE0EEENS1_30default_config_static_selectorELNS0_4arch9wavefront6targetE0EEEvT1_: ; @_ZN7rocprim17ROCPRIM_400000_NS6detail17trampoline_kernelINS0_14default_configENS1_27scan_by_key_config_selectorIj11FixedVectorIiLj2EEEEZZNS1_16scan_by_key_implILNS1_25lookback_scan_determinismE0ELb1ES3_N6thrust23THRUST_200600_302600_NS6detail15normal_iteratorINSB_10device_ptrIjEEEENSD_INSE_IS6_EEEESI_S6_NSB_4plusIvEENSB_8equal_toIvEES6_EE10hipError_tPvRmT2_T3_T4_T5_mT6_T7_P12ihipStream_tbENKUlT_T0_E_clISt17integral_constantIbLb0EES12_IbLb1EEEEDaSY_SZ_EUlSY_E_NS1_11comp_targetILNS1_3genE8ELNS1_11target_archE1030ELNS1_3gpuE2ELNS1_3repE0EEENS1_30default_config_static_selectorELNS0_4arch9wavefront6targetE0EEEvT1_
; %bb.0:
	.section	.rodata,"a",@progbits
	.p2align	6, 0x0
	.amdhsa_kernel _ZN7rocprim17ROCPRIM_400000_NS6detail17trampoline_kernelINS0_14default_configENS1_27scan_by_key_config_selectorIj11FixedVectorIiLj2EEEEZZNS1_16scan_by_key_implILNS1_25lookback_scan_determinismE0ELb1ES3_N6thrust23THRUST_200600_302600_NS6detail15normal_iteratorINSB_10device_ptrIjEEEENSD_INSE_IS6_EEEESI_S6_NSB_4plusIvEENSB_8equal_toIvEES6_EE10hipError_tPvRmT2_T3_T4_T5_mT6_T7_P12ihipStream_tbENKUlT_T0_E_clISt17integral_constantIbLb0EES12_IbLb1EEEEDaSY_SZ_EUlSY_E_NS1_11comp_targetILNS1_3genE8ELNS1_11target_archE1030ELNS1_3gpuE2ELNS1_3repE0EEENS1_30default_config_static_selectorELNS0_4arch9wavefront6targetE0EEEvT1_
		.amdhsa_group_segment_fixed_size 0
		.amdhsa_private_segment_fixed_size 0
		.amdhsa_kernarg_size 120
		.amdhsa_user_sgpr_count 2
		.amdhsa_user_sgpr_dispatch_ptr 0
		.amdhsa_user_sgpr_queue_ptr 0
		.amdhsa_user_sgpr_kernarg_segment_ptr 1
		.amdhsa_user_sgpr_dispatch_id 0
		.amdhsa_user_sgpr_kernarg_preload_length 0
		.amdhsa_user_sgpr_kernarg_preload_offset 0
		.amdhsa_user_sgpr_private_segment_size 0
		.amdhsa_wavefront_size32 1
		.amdhsa_uses_dynamic_stack 0
		.amdhsa_enable_private_segment 0
		.amdhsa_system_sgpr_workgroup_id_x 1
		.amdhsa_system_sgpr_workgroup_id_y 0
		.amdhsa_system_sgpr_workgroup_id_z 0
		.amdhsa_system_sgpr_workgroup_info 0
		.amdhsa_system_vgpr_workitem_id 0
		.amdhsa_next_free_vgpr 1
		.amdhsa_next_free_sgpr 1
		.amdhsa_named_barrier_count 0
		.amdhsa_reserve_vcc 0
		.amdhsa_float_round_mode_32 0
		.amdhsa_float_round_mode_16_64 0
		.amdhsa_float_denorm_mode_32 3
		.amdhsa_float_denorm_mode_16_64 3
		.amdhsa_fp16_overflow 0
		.amdhsa_memory_ordered 1
		.amdhsa_forward_progress 1
		.amdhsa_inst_pref_size 0
		.amdhsa_round_robin_scheduling 0
		.amdhsa_exception_fp_ieee_invalid_op 0
		.amdhsa_exception_fp_denorm_src 0
		.amdhsa_exception_fp_ieee_div_zero 0
		.amdhsa_exception_fp_ieee_overflow 0
		.amdhsa_exception_fp_ieee_underflow 0
		.amdhsa_exception_fp_ieee_inexact 0
		.amdhsa_exception_int_div_zero 0
	.end_amdhsa_kernel
	.section	.text._ZN7rocprim17ROCPRIM_400000_NS6detail17trampoline_kernelINS0_14default_configENS1_27scan_by_key_config_selectorIj11FixedVectorIiLj2EEEEZZNS1_16scan_by_key_implILNS1_25lookback_scan_determinismE0ELb1ES3_N6thrust23THRUST_200600_302600_NS6detail15normal_iteratorINSB_10device_ptrIjEEEENSD_INSE_IS6_EEEESI_S6_NSB_4plusIvEENSB_8equal_toIvEES6_EE10hipError_tPvRmT2_T3_T4_T5_mT6_T7_P12ihipStream_tbENKUlT_T0_E_clISt17integral_constantIbLb0EES12_IbLb1EEEEDaSY_SZ_EUlSY_E_NS1_11comp_targetILNS1_3genE8ELNS1_11target_archE1030ELNS1_3gpuE2ELNS1_3repE0EEENS1_30default_config_static_selectorELNS0_4arch9wavefront6targetE0EEEvT1_,"axG",@progbits,_ZN7rocprim17ROCPRIM_400000_NS6detail17trampoline_kernelINS0_14default_configENS1_27scan_by_key_config_selectorIj11FixedVectorIiLj2EEEEZZNS1_16scan_by_key_implILNS1_25lookback_scan_determinismE0ELb1ES3_N6thrust23THRUST_200600_302600_NS6detail15normal_iteratorINSB_10device_ptrIjEEEENSD_INSE_IS6_EEEESI_S6_NSB_4plusIvEENSB_8equal_toIvEES6_EE10hipError_tPvRmT2_T3_T4_T5_mT6_T7_P12ihipStream_tbENKUlT_T0_E_clISt17integral_constantIbLb0EES12_IbLb1EEEEDaSY_SZ_EUlSY_E_NS1_11comp_targetILNS1_3genE8ELNS1_11target_archE1030ELNS1_3gpuE2ELNS1_3repE0EEENS1_30default_config_static_selectorELNS0_4arch9wavefront6targetE0EEEvT1_,comdat
.Lfunc_end2028:
	.size	_ZN7rocprim17ROCPRIM_400000_NS6detail17trampoline_kernelINS0_14default_configENS1_27scan_by_key_config_selectorIj11FixedVectorIiLj2EEEEZZNS1_16scan_by_key_implILNS1_25lookback_scan_determinismE0ELb1ES3_N6thrust23THRUST_200600_302600_NS6detail15normal_iteratorINSB_10device_ptrIjEEEENSD_INSE_IS6_EEEESI_S6_NSB_4plusIvEENSB_8equal_toIvEES6_EE10hipError_tPvRmT2_T3_T4_T5_mT6_T7_P12ihipStream_tbENKUlT_T0_E_clISt17integral_constantIbLb0EES12_IbLb1EEEEDaSY_SZ_EUlSY_E_NS1_11comp_targetILNS1_3genE8ELNS1_11target_archE1030ELNS1_3gpuE2ELNS1_3repE0EEENS1_30default_config_static_selectorELNS0_4arch9wavefront6targetE0EEEvT1_, .Lfunc_end2028-_ZN7rocprim17ROCPRIM_400000_NS6detail17trampoline_kernelINS0_14default_configENS1_27scan_by_key_config_selectorIj11FixedVectorIiLj2EEEEZZNS1_16scan_by_key_implILNS1_25lookback_scan_determinismE0ELb1ES3_N6thrust23THRUST_200600_302600_NS6detail15normal_iteratorINSB_10device_ptrIjEEEENSD_INSE_IS6_EEEESI_S6_NSB_4plusIvEENSB_8equal_toIvEES6_EE10hipError_tPvRmT2_T3_T4_T5_mT6_T7_P12ihipStream_tbENKUlT_T0_E_clISt17integral_constantIbLb0EES12_IbLb1EEEEDaSY_SZ_EUlSY_E_NS1_11comp_targetILNS1_3genE8ELNS1_11target_archE1030ELNS1_3gpuE2ELNS1_3repE0EEENS1_30default_config_static_selectorELNS0_4arch9wavefront6targetE0EEEvT1_
                                        ; -- End function
	.set _ZN7rocprim17ROCPRIM_400000_NS6detail17trampoline_kernelINS0_14default_configENS1_27scan_by_key_config_selectorIj11FixedVectorIiLj2EEEEZZNS1_16scan_by_key_implILNS1_25lookback_scan_determinismE0ELb1ES3_N6thrust23THRUST_200600_302600_NS6detail15normal_iteratorINSB_10device_ptrIjEEEENSD_INSE_IS6_EEEESI_S6_NSB_4plusIvEENSB_8equal_toIvEES6_EE10hipError_tPvRmT2_T3_T4_T5_mT6_T7_P12ihipStream_tbENKUlT_T0_E_clISt17integral_constantIbLb0EES12_IbLb1EEEEDaSY_SZ_EUlSY_E_NS1_11comp_targetILNS1_3genE8ELNS1_11target_archE1030ELNS1_3gpuE2ELNS1_3repE0EEENS1_30default_config_static_selectorELNS0_4arch9wavefront6targetE0EEEvT1_.num_vgpr, 0
	.set _ZN7rocprim17ROCPRIM_400000_NS6detail17trampoline_kernelINS0_14default_configENS1_27scan_by_key_config_selectorIj11FixedVectorIiLj2EEEEZZNS1_16scan_by_key_implILNS1_25lookback_scan_determinismE0ELb1ES3_N6thrust23THRUST_200600_302600_NS6detail15normal_iteratorINSB_10device_ptrIjEEEENSD_INSE_IS6_EEEESI_S6_NSB_4plusIvEENSB_8equal_toIvEES6_EE10hipError_tPvRmT2_T3_T4_T5_mT6_T7_P12ihipStream_tbENKUlT_T0_E_clISt17integral_constantIbLb0EES12_IbLb1EEEEDaSY_SZ_EUlSY_E_NS1_11comp_targetILNS1_3genE8ELNS1_11target_archE1030ELNS1_3gpuE2ELNS1_3repE0EEENS1_30default_config_static_selectorELNS0_4arch9wavefront6targetE0EEEvT1_.num_agpr, 0
	.set _ZN7rocprim17ROCPRIM_400000_NS6detail17trampoline_kernelINS0_14default_configENS1_27scan_by_key_config_selectorIj11FixedVectorIiLj2EEEEZZNS1_16scan_by_key_implILNS1_25lookback_scan_determinismE0ELb1ES3_N6thrust23THRUST_200600_302600_NS6detail15normal_iteratorINSB_10device_ptrIjEEEENSD_INSE_IS6_EEEESI_S6_NSB_4plusIvEENSB_8equal_toIvEES6_EE10hipError_tPvRmT2_T3_T4_T5_mT6_T7_P12ihipStream_tbENKUlT_T0_E_clISt17integral_constantIbLb0EES12_IbLb1EEEEDaSY_SZ_EUlSY_E_NS1_11comp_targetILNS1_3genE8ELNS1_11target_archE1030ELNS1_3gpuE2ELNS1_3repE0EEENS1_30default_config_static_selectorELNS0_4arch9wavefront6targetE0EEEvT1_.numbered_sgpr, 0
	.set _ZN7rocprim17ROCPRIM_400000_NS6detail17trampoline_kernelINS0_14default_configENS1_27scan_by_key_config_selectorIj11FixedVectorIiLj2EEEEZZNS1_16scan_by_key_implILNS1_25lookback_scan_determinismE0ELb1ES3_N6thrust23THRUST_200600_302600_NS6detail15normal_iteratorINSB_10device_ptrIjEEEENSD_INSE_IS6_EEEESI_S6_NSB_4plusIvEENSB_8equal_toIvEES6_EE10hipError_tPvRmT2_T3_T4_T5_mT6_T7_P12ihipStream_tbENKUlT_T0_E_clISt17integral_constantIbLb0EES12_IbLb1EEEEDaSY_SZ_EUlSY_E_NS1_11comp_targetILNS1_3genE8ELNS1_11target_archE1030ELNS1_3gpuE2ELNS1_3repE0EEENS1_30default_config_static_selectorELNS0_4arch9wavefront6targetE0EEEvT1_.num_named_barrier, 0
	.set _ZN7rocprim17ROCPRIM_400000_NS6detail17trampoline_kernelINS0_14default_configENS1_27scan_by_key_config_selectorIj11FixedVectorIiLj2EEEEZZNS1_16scan_by_key_implILNS1_25lookback_scan_determinismE0ELb1ES3_N6thrust23THRUST_200600_302600_NS6detail15normal_iteratorINSB_10device_ptrIjEEEENSD_INSE_IS6_EEEESI_S6_NSB_4plusIvEENSB_8equal_toIvEES6_EE10hipError_tPvRmT2_T3_T4_T5_mT6_T7_P12ihipStream_tbENKUlT_T0_E_clISt17integral_constantIbLb0EES12_IbLb1EEEEDaSY_SZ_EUlSY_E_NS1_11comp_targetILNS1_3genE8ELNS1_11target_archE1030ELNS1_3gpuE2ELNS1_3repE0EEENS1_30default_config_static_selectorELNS0_4arch9wavefront6targetE0EEEvT1_.private_seg_size, 0
	.set _ZN7rocprim17ROCPRIM_400000_NS6detail17trampoline_kernelINS0_14default_configENS1_27scan_by_key_config_selectorIj11FixedVectorIiLj2EEEEZZNS1_16scan_by_key_implILNS1_25lookback_scan_determinismE0ELb1ES3_N6thrust23THRUST_200600_302600_NS6detail15normal_iteratorINSB_10device_ptrIjEEEENSD_INSE_IS6_EEEESI_S6_NSB_4plusIvEENSB_8equal_toIvEES6_EE10hipError_tPvRmT2_T3_T4_T5_mT6_T7_P12ihipStream_tbENKUlT_T0_E_clISt17integral_constantIbLb0EES12_IbLb1EEEEDaSY_SZ_EUlSY_E_NS1_11comp_targetILNS1_3genE8ELNS1_11target_archE1030ELNS1_3gpuE2ELNS1_3repE0EEENS1_30default_config_static_selectorELNS0_4arch9wavefront6targetE0EEEvT1_.uses_vcc, 0
	.set _ZN7rocprim17ROCPRIM_400000_NS6detail17trampoline_kernelINS0_14default_configENS1_27scan_by_key_config_selectorIj11FixedVectorIiLj2EEEEZZNS1_16scan_by_key_implILNS1_25lookback_scan_determinismE0ELb1ES3_N6thrust23THRUST_200600_302600_NS6detail15normal_iteratorINSB_10device_ptrIjEEEENSD_INSE_IS6_EEEESI_S6_NSB_4plusIvEENSB_8equal_toIvEES6_EE10hipError_tPvRmT2_T3_T4_T5_mT6_T7_P12ihipStream_tbENKUlT_T0_E_clISt17integral_constantIbLb0EES12_IbLb1EEEEDaSY_SZ_EUlSY_E_NS1_11comp_targetILNS1_3genE8ELNS1_11target_archE1030ELNS1_3gpuE2ELNS1_3repE0EEENS1_30default_config_static_selectorELNS0_4arch9wavefront6targetE0EEEvT1_.uses_flat_scratch, 0
	.set _ZN7rocprim17ROCPRIM_400000_NS6detail17trampoline_kernelINS0_14default_configENS1_27scan_by_key_config_selectorIj11FixedVectorIiLj2EEEEZZNS1_16scan_by_key_implILNS1_25lookback_scan_determinismE0ELb1ES3_N6thrust23THRUST_200600_302600_NS6detail15normal_iteratorINSB_10device_ptrIjEEEENSD_INSE_IS6_EEEESI_S6_NSB_4plusIvEENSB_8equal_toIvEES6_EE10hipError_tPvRmT2_T3_T4_T5_mT6_T7_P12ihipStream_tbENKUlT_T0_E_clISt17integral_constantIbLb0EES12_IbLb1EEEEDaSY_SZ_EUlSY_E_NS1_11comp_targetILNS1_3genE8ELNS1_11target_archE1030ELNS1_3gpuE2ELNS1_3repE0EEENS1_30default_config_static_selectorELNS0_4arch9wavefront6targetE0EEEvT1_.has_dyn_sized_stack, 0
	.set _ZN7rocprim17ROCPRIM_400000_NS6detail17trampoline_kernelINS0_14default_configENS1_27scan_by_key_config_selectorIj11FixedVectorIiLj2EEEEZZNS1_16scan_by_key_implILNS1_25lookback_scan_determinismE0ELb1ES3_N6thrust23THRUST_200600_302600_NS6detail15normal_iteratorINSB_10device_ptrIjEEEENSD_INSE_IS6_EEEESI_S6_NSB_4plusIvEENSB_8equal_toIvEES6_EE10hipError_tPvRmT2_T3_T4_T5_mT6_T7_P12ihipStream_tbENKUlT_T0_E_clISt17integral_constantIbLb0EES12_IbLb1EEEEDaSY_SZ_EUlSY_E_NS1_11comp_targetILNS1_3genE8ELNS1_11target_archE1030ELNS1_3gpuE2ELNS1_3repE0EEENS1_30default_config_static_selectorELNS0_4arch9wavefront6targetE0EEEvT1_.has_recursion, 0
	.set _ZN7rocprim17ROCPRIM_400000_NS6detail17trampoline_kernelINS0_14default_configENS1_27scan_by_key_config_selectorIj11FixedVectorIiLj2EEEEZZNS1_16scan_by_key_implILNS1_25lookback_scan_determinismE0ELb1ES3_N6thrust23THRUST_200600_302600_NS6detail15normal_iteratorINSB_10device_ptrIjEEEENSD_INSE_IS6_EEEESI_S6_NSB_4plusIvEENSB_8equal_toIvEES6_EE10hipError_tPvRmT2_T3_T4_T5_mT6_T7_P12ihipStream_tbENKUlT_T0_E_clISt17integral_constantIbLb0EES12_IbLb1EEEEDaSY_SZ_EUlSY_E_NS1_11comp_targetILNS1_3genE8ELNS1_11target_archE1030ELNS1_3gpuE2ELNS1_3repE0EEENS1_30default_config_static_selectorELNS0_4arch9wavefront6targetE0EEEvT1_.has_indirect_call, 0
	.section	.AMDGPU.csdata,"",@progbits
; Kernel info:
; codeLenInByte = 0
; TotalNumSgprs: 0
; NumVgprs: 0
; ScratchSize: 0
; MemoryBound: 0
; FloatMode: 240
; IeeeMode: 1
; LDSByteSize: 0 bytes/workgroup (compile time only)
; SGPRBlocks: 0
; VGPRBlocks: 0
; NumSGPRsForWavesPerEU: 1
; NumVGPRsForWavesPerEU: 1
; NamedBarCnt: 0
; Occupancy: 16
; WaveLimiterHint : 0
; COMPUTE_PGM_RSRC2:SCRATCH_EN: 0
; COMPUTE_PGM_RSRC2:USER_SGPR: 2
; COMPUTE_PGM_RSRC2:TRAP_HANDLER: 0
; COMPUTE_PGM_RSRC2:TGID_X_EN: 1
; COMPUTE_PGM_RSRC2:TGID_Y_EN: 0
; COMPUTE_PGM_RSRC2:TGID_Z_EN: 0
; COMPUTE_PGM_RSRC2:TIDIG_COMP_CNT: 0
	.section	.text._ZN6thrust23THRUST_200600_302600_NS11hip_rocprim14__parallel_for6kernelILj256ENS1_10for_each_fINS0_10device_ptrI11FixedVectorIiLj4EEEENS0_6detail16wrapped_functionINS9_23allocator_traits_detail5gozerEvEEEElLj1EEEvT0_T1_SG_,"axG",@progbits,_ZN6thrust23THRUST_200600_302600_NS11hip_rocprim14__parallel_for6kernelILj256ENS1_10for_each_fINS0_10device_ptrI11FixedVectorIiLj4EEEENS0_6detail16wrapped_functionINS9_23allocator_traits_detail5gozerEvEEEElLj1EEEvT0_T1_SG_,comdat
	.protected	_ZN6thrust23THRUST_200600_302600_NS11hip_rocprim14__parallel_for6kernelILj256ENS1_10for_each_fINS0_10device_ptrI11FixedVectorIiLj4EEEENS0_6detail16wrapped_functionINS9_23allocator_traits_detail5gozerEvEEEElLj1EEEvT0_T1_SG_ ; -- Begin function _ZN6thrust23THRUST_200600_302600_NS11hip_rocprim14__parallel_for6kernelILj256ENS1_10for_each_fINS0_10device_ptrI11FixedVectorIiLj4EEEENS0_6detail16wrapped_functionINS9_23allocator_traits_detail5gozerEvEEEElLj1EEEvT0_T1_SG_
	.globl	_ZN6thrust23THRUST_200600_302600_NS11hip_rocprim14__parallel_for6kernelILj256ENS1_10for_each_fINS0_10device_ptrI11FixedVectorIiLj4EEEENS0_6detail16wrapped_functionINS9_23allocator_traits_detail5gozerEvEEEElLj1EEEvT0_T1_SG_
	.p2align	8
	.type	_ZN6thrust23THRUST_200600_302600_NS11hip_rocprim14__parallel_for6kernelILj256ENS1_10for_each_fINS0_10device_ptrI11FixedVectorIiLj4EEEENS0_6detail16wrapped_functionINS9_23allocator_traits_detail5gozerEvEEEElLj1EEEvT0_T1_SG_,@function
_ZN6thrust23THRUST_200600_302600_NS11hip_rocprim14__parallel_for6kernelILj256ENS1_10for_each_fINS0_10device_ptrI11FixedVectorIiLj4EEEENS0_6detail16wrapped_functionINS9_23allocator_traits_detail5gozerEvEEEElLj1EEEvT0_T1_SG_: ; @_ZN6thrust23THRUST_200600_302600_NS11hip_rocprim14__parallel_for6kernelILj256ENS1_10for_each_fINS0_10device_ptrI11FixedVectorIiLj4EEEENS0_6detail16wrapped_functionINS9_23allocator_traits_detail5gozerEvEEEElLj1EEEvT0_T1_SG_
; %bb.0:
	s_endpgm
	.section	.rodata,"a",@progbits
	.p2align	6, 0x0
	.amdhsa_kernel _ZN6thrust23THRUST_200600_302600_NS11hip_rocprim14__parallel_for6kernelILj256ENS1_10for_each_fINS0_10device_ptrI11FixedVectorIiLj4EEEENS0_6detail16wrapped_functionINS9_23allocator_traits_detail5gozerEvEEEElLj1EEEvT0_T1_SG_
		.amdhsa_group_segment_fixed_size 0
		.amdhsa_private_segment_fixed_size 0
		.amdhsa_kernarg_size 32
		.amdhsa_user_sgpr_count 2
		.amdhsa_user_sgpr_dispatch_ptr 0
		.amdhsa_user_sgpr_queue_ptr 0
		.amdhsa_user_sgpr_kernarg_segment_ptr 1
		.amdhsa_user_sgpr_dispatch_id 0
		.amdhsa_user_sgpr_kernarg_preload_length 0
		.amdhsa_user_sgpr_kernarg_preload_offset 0
		.amdhsa_user_sgpr_private_segment_size 0
		.amdhsa_wavefront_size32 1
		.amdhsa_uses_dynamic_stack 0
		.amdhsa_enable_private_segment 0
		.amdhsa_system_sgpr_workgroup_id_x 1
		.amdhsa_system_sgpr_workgroup_id_y 0
		.amdhsa_system_sgpr_workgroup_id_z 0
		.amdhsa_system_sgpr_workgroup_info 0
		.amdhsa_system_vgpr_workitem_id 0
		.amdhsa_next_free_vgpr 1
		.amdhsa_next_free_sgpr 1
		.amdhsa_named_barrier_count 0
		.amdhsa_reserve_vcc 0
		.amdhsa_float_round_mode_32 0
		.amdhsa_float_round_mode_16_64 0
		.amdhsa_float_denorm_mode_32 3
		.amdhsa_float_denorm_mode_16_64 3
		.amdhsa_fp16_overflow 0
		.amdhsa_memory_ordered 1
		.amdhsa_forward_progress 1
		.amdhsa_inst_pref_size 1
		.amdhsa_round_robin_scheduling 0
		.amdhsa_exception_fp_ieee_invalid_op 0
		.amdhsa_exception_fp_denorm_src 0
		.amdhsa_exception_fp_ieee_div_zero 0
		.amdhsa_exception_fp_ieee_overflow 0
		.amdhsa_exception_fp_ieee_underflow 0
		.amdhsa_exception_fp_ieee_inexact 0
		.amdhsa_exception_int_div_zero 0
	.end_amdhsa_kernel
	.section	.text._ZN6thrust23THRUST_200600_302600_NS11hip_rocprim14__parallel_for6kernelILj256ENS1_10for_each_fINS0_10device_ptrI11FixedVectorIiLj4EEEENS0_6detail16wrapped_functionINS9_23allocator_traits_detail5gozerEvEEEElLj1EEEvT0_T1_SG_,"axG",@progbits,_ZN6thrust23THRUST_200600_302600_NS11hip_rocprim14__parallel_for6kernelILj256ENS1_10for_each_fINS0_10device_ptrI11FixedVectorIiLj4EEEENS0_6detail16wrapped_functionINS9_23allocator_traits_detail5gozerEvEEEElLj1EEEvT0_T1_SG_,comdat
.Lfunc_end2029:
	.size	_ZN6thrust23THRUST_200600_302600_NS11hip_rocprim14__parallel_for6kernelILj256ENS1_10for_each_fINS0_10device_ptrI11FixedVectorIiLj4EEEENS0_6detail16wrapped_functionINS9_23allocator_traits_detail5gozerEvEEEElLj1EEEvT0_T1_SG_, .Lfunc_end2029-_ZN6thrust23THRUST_200600_302600_NS11hip_rocprim14__parallel_for6kernelILj256ENS1_10for_each_fINS0_10device_ptrI11FixedVectorIiLj4EEEENS0_6detail16wrapped_functionINS9_23allocator_traits_detail5gozerEvEEEElLj1EEEvT0_T1_SG_
                                        ; -- End function
	.set _ZN6thrust23THRUST_200600_302600_NS11hip_rocprim14__parallel_for6kernelILj256ENS1_10for_each_fINS0_10device_ptrI11FixedVectorIiLj4EEEENS0_6detail16wrapped_functionINS9_23allocator_traits_detail5gozerEvEEEElLj1EEEvT0_T1_SG_.num_vgpr, 0
	.set _ZN6thrust23THRUST_200600_302600_NS11hip_rocprim14__parallel_for6kernelILj256ENS1_10for_each_fINS0_10device_ptrI11FixedVectorIiLj4EEEENS0_6detail16wrapped_functionINS9_23allocator_traits_detail5gozerEvEEEElLj1EEEvT0_T1_SG_.num_agpr, 0
	.set _ZN6thrust23THRUST_200600_302600_NS11hip_rocprim14__parallel_for6kernelILj256ENS1_10for_each_fINS0_10device_ptrI11FixedVectorIiLj4EEEENS0_6detail16wrapped_functionINS9_23allocator_traits_detail5gozerEvEEEElLj1EEEvT0_T1_SG_.numbered_sgpr, 0
	.set _ZN6thrust23THRUST_200600_302600_NS11hip_rocprim14__parallel_for6kernelILj256ENS1_10for_each_fINS0_10device_ptrI11FixedVectorIiLj4EEEENS0_6detail16wrapped_functionINS9_23allocator_traits_detail5gozerEvEEEElLj1EEEvT0_T1_SG_.num_named_barrier, 0
	.set _ZN6thrust23THRUST_200600_302600_NS11hip_rocprim14__parallel_for6kernelILj256ENS1_10for_each_fINS0_10device_ptrI11FixedVectorIiLj4EEEENS0_6detail16wrapped_functionINS9_23allocator_traits_detail5gozerEvEEEElLj1EEEvT0_T1_SG_.private_seg_size, 0
	.set _ZN6thrust23THRUST_200600_302600_NS11hip_rocprim14__parallel_for6kernelILj256ENS1_10for_each_fINS0_10device_ptrI11FixedVectorIiLj4EEEENS0_6detail16wrapped_functionINS9_23allocator_traits_detail5gozerEvEEEElLj1EEEvT0_T1_SG_.uses_vcc, 0
	.set _ZN6thrust23THRUST_200600_302600_NS11hip_rocprim14__parallel_for6kernelILj256ENS1_10for_each_fINS0_10device_ptrI11FixedVectorIiLj4EEEENS0_6detail16wrapped_functionINS9_23allocator_traits_detail5gozerEvEEEElLj1EEEvT0_T1_SG_.uses_flat_scratch, 0
	.set _ZN6thrust23THRUST_200600_302600_NS11hip_rocprim14__parallel_for6kernelILj256ENS1_10for_each_fINS0_10device_ptrI11FixedVectorIiLj4EEEENS0_6detail16wrapped_functionINS9_23allocator_traits_detail5gozerEvEEEElLj1EEEvT0_T1_SG_.has_dyn_sized_stack, 0
	.set _ZN6thrust23THRUST_200600_302600_NS11hip_rocprim14__parallel_for6kernelILj256ENS1_10for_each_fINS0_10device_ptrI11FixedVectorIiLj4EEEENS0_6detail16wrapped_functionINS9_23allocator_traits_detail5gozerEvEEEElLj1EEEvT0_T1_SG_.has_recursion, 0
	.set _ZN6thrust23THRUST_200600_302600_NS11hip_rocprim14__parallel_for6kernelILj256ENS1_10for_each_fINS0_10device_ptrI11FixedVectorIiLj4EEEENS0_6detail16wrapped_functionINS9_23allocator_traits_detail5gozerEvEEEElLj1EEEvT0_T1_SG_.has_indirect_call, 0
	.section	.AMDGPU.csdata,"",@progbits
; Kernel info:
; codeLenInByte = 4
; TotalNumSgprs: 0
; NumVgprs: 0
; ScratchSize: 0
; MemoryBound: 0
; FloatMode: 240
; IeeeMode: 1
; LDSByteSize: 0 bytes/workgroup (compile time only)
; SGPRBlocks: 0
; VGPRBlocks: 0
; NumSGPRsForWavesPerEU: 1
; NumVGPRsForWavesPerEU: 1
; NamedBarCnt: 0
; Occupancy: 16
; WaveLimiterHint : 0
; COMPUTE_PGM_RSRC2:SCRATCH_EN: 0
; COMPUTE_PGM_RSRC2:USER_SGPR: 2
; COMPUTE_PGM_RSRC2:TRAP_HANDLER: 0
; COMPUTE_PGM_RSRC2:TGID_X_EN: 1
; COMPUTE_PGM_RSRC2:TGID_Y_EN: 0
; COMPUTE_PGM_RSRC2:TGID_Z_EN: 0
; COMPUTE_PGM_RSRC2:TIDIG_COMP_CNT: 0
	.section	.text._ZN6thrust23THRUST_200600_302600_NS11hip_rocprim14__parallel_for6kernelILj256ENS1_10for_each_fINS0_10device_ptrI11FixedVectorIiLj4EEEENS0_6detail16wrapped_functionINS9_23allocator_traits_detail24construct1_via_allocatorINS0_16device_allocatorIS7_EEEEvEEEEmLj1EEEvT0_T1_SJ_,"axG",@progbits,_ZN6thrust23THRUST_200600_302600_NS11hip_rocprim14__parallel_for6kernelILj256ENS1_10for_each_fINS0_10device_ptrI11FixedVectorIiLj4EEEENS0_6detail16wrapped_functionINS9_23allocator_traits_detail24construct1_via_allocatorINS0_16device_allocatorIS7_EEEEvEEEEmLj1EEEvT0_T1_SJ_,comdat
	.protected	_ZN6thrust23THRUST_200600_302600_NS11hip_rocprim14__parallel_for6kernelILj256ENS1_10for_each_fINS0_10device_ptrI11FixedVectorIiLj4EEEENS0_6detail16wrapped_functionINS9_23allocator_traits_detail24construct1_via_allocatorINS0_16device_allocatorIS7_EEEEvEEEEmLj1EEEvT0_T1_SJ_ ; -- Begin function _ZN6thrust23THRUST_200600_302600_NS11hip_rocprim14__parallel_for6kernelILj256ENS1_10for_each_fINS0_10device_ptrI11FixedVectorIiLj4EEEENS0_6detail16wrapped_functionINS9_23allocator_traits_detail24construct1_via_allocatorINS0_16device_allocatorIS7_EEEEvEEEEmLj1EEEvT0_T1_SJ_
	.globl	_ZN6thrust23THRUST_200600_302600_NS11hip_rocprim14__parallel_for6kernelILj256ENS1_10for_each_fINS0_10device_ptrI11FixedVectorIiLj4EEEENS0_6detail16wrapped_functionINS9_23allocator_traits_detail24construct1_via_allocatorINS0_16device_allocatorIS7_EEEEvEEEEmLj1EEEvT0_T1_SJ_
	.p2align	8
	.type	_ZN6thrust23THRUST_200600_302600_NS11hip_rocprim14__parallel_for6kernelILj256ENS1_10for_each_fINS0_10device_ptrI11FixedVectorIiLj4EEEENS0_6detail16wrapped_functionINS9_23allocator_traits_detail24construct1_via_allocatorINS0_16device_allocatorIS7_EEEEvEEEEmLj1EEEvT0_T1_SJ_,@function
_ZN6thrust23THRUST_200600_302600_NS11hip_rocprim14__parallel_for6kernelILj256ENS1_10for_each_fINS0_10device_ptrI11FixedVectorIiLj4EEEENS0_6detail16wrapped_functionINS9_23allocator_traits_detail24construct1_via_allocatorINS0_16device_allocatorIS7_EEEEvEEEEmLj1EEEvT0_T1_SJ_: ; @_ZN6thrust23THRUST_200600_302600_NS11hip_rocprim14__parallel_for6kernelILj256ENS1_10for_each_fINS0_10device_ptrI11FixedVectorIiLj4EEEENS0_6detail16wrapped_functionINS9_23allocator_traits_detail24construct1_via_allocatorINS0_16device_allocatorIS7_EEEEvEEEEmLj1EEEvT0_T1_SJ_
; %bb.0:
	s_load_b128 s[4:7], s[0:1], 0x10
	s_bfe_u32 s2, ttmp6, 0x4000c
	s_and_b32 s3, ttmp6, 15
	s_add_co_i32 s2, s2, 1
	s_getreg_b32 s8, hwreg(HW_REG_IB_STS2, 6, 4)
	s_mul_i32 s2, ttmp9, s2
	s_wait_xcnt 0x0
	s_load_b64 s[0:1], s[0:1], 0x0
	s_add_co_i32 s3, s3, s2
	s_cmp_eq_u32 s8, 0
	s_cselect_b32 s2, ttmp9, s3
	s_mov_b32 s3, 0
	s_lshl_b32 s2, s2, 8
	s_wait_kmcnt 0x0
	s_add_nc_u64 s[2:3], s[6:7], s[2:3]
	s_delay_alu instid0(SALU_CYCLE_1) | instskip(NEXT) | instid1(SALU_CYCLE_1)
	s_sub_nc_u64 s[4:5], s[4:5], s[2:3]
	v_cmp_lt_u64_e64 s5, 0xff, s[4:5]
	s_and_b32 vcc_lo, exec_lo, s5
	s_mov_b32 s5, -1
	s_cbranch_vccnz .LBB2030_5
; %bb.1:
	s_mov_b32 s6, exec_lo
	v_cmpx_gt_u32_e64 s4, v0
	s_cbranch_execz .LBB2030_4
; %bb.2:
	v_dual_mov_b32 v3, 0 :: v_dual_lshlrev_b32 v2, 4, v0
	s_lshl_b64 s[4:5], s[2:3], 4
	v_mov_b64_e32 v[4:5], 0
	s_add_nc_u64 s[4:5], s[0:1], s[4:5]
	s_delay_alu instid0(VALU_DEP_2) | instid1(SALU_CYCLE_1)
	v_add_nc_u64_e32 v[2:3], s[4:5], v[2:3]
	s_mov_b64 s[4:5], 0
.LBB2030_3:                             ; =>This Inner Loop Header: Depth=1
	s_wait_xcnt 0x0
	s_delay_alu instid0(VALU_DEP_1) | instskip(SKIP_1) | instid1(SALU_CYCLE_1)
	v_add_nc_u64_e32 v[6:7], s[4:5], v[2:3]
	s_add_nc_u64 s[4:5], s[4:5], 8
	s_cmp_eq_u32 s4, 16
	flat_store_b64 v[6:7], v[4:5]
	s_cbranch_scc0 .LBB2030_3
.LBB2030_4:
	s_wait_xcnt 0x0
	s_or_b32 exec_lo, exec_lo, s6
	s_mov_b32 s5, 0
.LBB2030_5:
	s_delay_alu instid0(SALU_CYCLE_1)
	s_and_not1_b32 vcc_lo, exec_lo, s5
	s_cbranch_vccnz .LBB2030_8
; %bb.6:
	v_dual_mov_b32 v1, 0 :: v_dual_lshlrev_b32 v0, 4, v0
	s_lshl_b64 s[2:3], s[2:3], 4
	v_mov_b64_e32 v[2:3], 0
	s_add_nc_u64 s[0:1], s[0:1], s[2:3]
	s_delay_alu instid0(VALU_DEP_2) | instid1(SALU_CYCLE_1)
	v_add_nc_u64_e32 v[0:1], s[0:1], v[0:1]
	s_mov_b64 s[0:1], 0
.LBB2030_7:                             ; =>This Inner Loop Header: Depth=1
	s_wait_xcnt 0x0
	s_delay_alu instid0(VALU_DEP_1) | instskip(SKIP_1) | instid1(SALU_CYCLE_1)
	v_add_nc_u64_e32 v[4:5], s[0:1], v[0:1]
	s_add_nc_u64 s[0:1], s[0:1], 8
	s_cmp_eq_u32 s0, 16
	flat_store_b64 v[4:5], v[2:3]
	s_cbranch_scc0 .LBB2030_7
.LBB2030_8:
	s_endpgm
	.section	.rodata,"a",@progbits
	.p2align	6, 0x0
	.amdhsa_kernel _ZN6thrust23THRUST_200600_302600_NS11hip_rocprim14__parallel_for6kernelILj256ENS1_10for_each_fINS0_10device_ptrI11FixedVectorIiLj4EEEENS0_6detail16wrapped_functionINS9_23allocator_traits_detail24construct1_via_allocatorINS0_16device_allocatorIS7_EEEEvEEEEmLj1EEEvT0_T1_SJ_
		.amdhsa_group_segment_fixed_size 0
		.amdhsa_private_segment_fixed_size 0
		.amdhsa_kernarg_size 32
		.amdhsa_user_sgpr_count 2
		.amdhsa_user_sgpr_dispatch_ptr 0
		.amdhsa_user_sgpr_queue_ptr 0
		.amdhsa_user_sgpr_kernarg_segment_ptr 1
		.amdhsa_user_sgpr_dispatch_id 0
		.amdhsa_user_sgpr_kernarg_preload_length 0
		.amdhsa_user_sgpr_kernarg_preload_offset 0
		.amdhsa_user_sgpr_private_segment_size 0
		.amdhsa_wavefront_size32 1
		.amdhsa_uses_dynamic_stack 0
		.amdhsa_enable_private_segment 0
		.amdhsa_system_sgpr_workgroup_id_x 1
		.amdhsa_system_sgpr_workgroup_id_y 0
		.amdhsa_system_sgpr_workgroup_id_z 0
		.amdhsa_system_sgpr_workgroup_info 0
		.amdhsa_system_vgpr_workitem_id 0
		.amdhsa_next_free_vgpr 8
		.amdhsa_next_free_sgpr 9
		.amdhsa_named_barrier_count 0
		.amdhsa_reserve_vcc 1
		.amdhsa_float_round_mode_32 0
		.amdhsa_float_round_mode_16_64 0
		.amdhsa_float_denorm_mode_32 3
		.amdhsa_float_denorm_mode_16_64 3
		.amdhsa_fp16_overflow 0
		.amdhsa_memory_ordered 1
		.amdhsa_forward_progress 1
		.amdhsa_inst_pref_size 3
		.amdhsa_round_robin_scheduling 0
		.amdhsa_exception_fp_ieee_invalid_op 0
		.amdhsa_exception_fp_denorm_src 0
		.amdhsa_exception_fp_ieee_div_zero 0
		.amdhsa_exception_fp_ieee_overflow 0
		.amdhsa_exception_fp_ieee_underflow 0
		.amdhsa_exception_fp_ieee_inexact 0
		.amdhsa_exception_int_div_zero 0
	.end_amdhsa_kernel
	.section	.text._ZN6thrust23THRUST_200600_302600_NS11hip_rocprim14__parallel_for6kernelILj256ENS1_10for_each_fINS0_10device_ptrI11FixedVectorIiLj4EEEENS0_6detail16wrapped_functionINS9_23allocator_traits_detail24construct1_via_allocatorINS0_16device_allocatorIS7_EEEEvEEEEmLj1EEEvT0_T1_SJ_,"axG",@progbits,_ZN6thrust23THRUST_200600_302600_NS11hip_rocprim14__parallel_for6kernelILj256ENS1_10for_each_fINS0_10device_ptrI11FixedVectorIiLj4EEEENS0_6detail16wrapped_functionINS9_23allocator_traits_detail24construct1_via_allocatorINS0_16device_allocatorIS7_EEEEvEEEEmLj1EEEvT0_T1_SJ_,comdat
.Lfunc_end2030:
	.size	_ZN6thrust23THRUST_200600_302600_NS11hip_rocprim14__parallel_for6kernelILj256ENS1_10for_each_fINS0_10device_ptrI11FixedVectorIiLj4EEEENS0_6detail16wrapped_functionINS9_23allocator_traits_detail24construct1_via_allocatorINS0_16device_allocatorIS7_EEEEvEEEEmLj1EEEvT0_T1_SJ_, .Lfunc_end2030-_ZN6thrust23THRUST_200600_302600_NS11hip_rocprim14__parallel_for6kernelILj256ENS1_10for_each_fINS0_10device_ptrI11FixedVectorIiLj4EEEENS0_6detail16wrapped_functionINS9_23allocator_traits_detail24construct1_via_allocatorINS0_16device_allocatorIS7_EEEEvEEEEmLj1EEEvT0_T1_SJ_
                                        ; -- End function
	.set _ZN6thrust23THRUST_200600_302600_NS11hip_rocprim14__parallel_for6kernelILj256ENS1_10for_each_fINS0_10device_ptrI11FixedVectorIiLj4EEEENS0_6detail16wrapped_functionINS9_23allocator_traits_detail24construct1_via_allocatorINS0_16device_allocatorIS7_EEEEvEEEEmLj1EEEvT0_T1_SJ_.num_vgpr, 8
	.set _ZN6thrust23THRUST_200600_302600_NS11hip_rocprim14__parallel_for6kernelILj256ENS1_10for_each_fINS0_10device_ptrI11FixedVectorIiLj4EEEENS0_6detail16wrapped_functionINS9_23allocator_traits_detail24construct1_via_allocatorINS0_16device_allocatorIS7_EEEEvEEEEmLj1EEEvT0_T1_SJ_.num_agpr, 0
	.set _ZN6thrust23THRUST_200600_302600_NS11hip_rocprim14__parallel_for6kernelILj256ENS1_10for_each_fINS0_10device_ptrI11FixedVectorIiLj4EEEENS0_6detail16wrapped_functionINS9_23allocator_traits_detail24construct1_via_allocatorINS0_16device_allocatorIS7_EEEEvEEEEmLj1EEEvT0_T1_SJ_.numbered_sgpr, 9
	.set _ZN6thrust23THRUST_200600_302600_NS11hip_rocprim14__parallel_for6kernelILj256ENS1_10for_each_fINS0_10device_ptrI11FixedVectorIiLj4EEEENS0_6detail16wrapped_functionINS9_23allocator_traits_detail24construct1_via_allocatorINS0_16device_allocatorIS7_EEEEvEEEEmLj1EEEvT0_T1_SJ_.num_named_barrier, 0
	.set _ZN6thrust23THRUST_200600_302600_NS11hip_rocprim14__parallel_for6kernelILj256ENS1_10for_each_fINS0_10device_ptrI11FixedVectorIiLj4EEEENS0_6detail16wrapped_functionINS9_23allocator_traits_detail24construct1_via_allocatorINS0_16device_allocatorIS7_EEEEvEEEEmLj1EEEvT0_T1_SJ_.private_seg_size, 0
	.set _ZN6thrust23THRUST_200600_302600_NS11hip_rocprim14__parallel_for6kernelILj256ENS1_10for_each_fINS0_10device_ptrI11FixedVectorIiLj4EEEENS0_6detail16wrapped_functionINS9_23allocator_traits_detail24construct1_via_allocatorINS0_16device_allocatorIS7_EEEEvEEEEmLj1EEEvT0_T1_SJ_.uses_vcc, 1
	.set _ZN6thrust23THRUST_200600_302600_NS11hip_rocprim14__parallel_for6kernelILj256ENS1_10for_each_fINS0_10device_ptrI11FixedVectorIiLj4EEEENS0_6detail16wrapped_functionINS9_23allocator_traits_detail24construct1_via_allocatorINS0_16device_allocatorIS7_EEEEvEEEEmLj1EEEvT0_T1_SJ_.uses_flat_scratch, 0
	.set _ZN6thrust23THRUST_200600_302600_NS11hip_rocprim14__parallel_for6kernelILj256ENS1_10for_each_fINS0_10device_ptrI11FixedVectorIiLj4EEEENS0_6detail16wrapped_functionINS9_23allocator_traits_detail24construct1_via_allocatorINS0_16device_allocatorIS7_EEEEvEEEEmLj1EEEvT0_T1_SJ_.has_dyn_sized_stack, 0
	.set _ZN6thrust23THRUST_200600_302600_NS11hip_rocprim14__parallel_for6kernelILj256ENS1_10for_each_fINS0_10device_ptrI11FixedVectorIiLj4EEEENS0_6detail16wrapped_functionINS9_23allocator_traits_detail24construct1_via_allocatorINS0_16device_allocatorIS7_EEEEvEEEEmLj1EEEvT0_T1_SJ_.has_recursion, 0
	.set _ZN6thrust23THRUST_200600_302600_NS11hip_rocprim14__parallel_for6kernelILj256ENS1_10for_each_fINS0_10device_ptrI11FixedVectorIiLj4EEEENS0_6detail16wrapped_functionINS9_23allocator_traits_detail24construct1_via_allocatorINS0_16device_allocatorIS7_EEEEvEEEEmLj1EEEvT0_T1_SJ_.has_indirect_call, 0
	.section	.AMDGPU.csdata,"",@progbits
; Kernel info:
; codeLenInByte = 284
; TotalNumSgprs: 11
; NumVgprs: 8
; ScratchSize: 0
; MemoryBound: 0
; FloatMode: 240
; IeeeMode: 1
; LDSByteSize: 0 bytes/workgroup (compile time only)
; SGPRBlocks: 0
; VGPRBlocks: 0
; NumSGPRsForWavesPerEU: 11
; NumVGPRsForWavesPerEU: 8
; NamedBarCnt: 0
; Occupancy: 16
; WaveLimiterHint : 0
; COMPUTE_PGM_RSRC2:SCRATCH_EN: 0
; COMPUTE_PGM_RSRC2:USER_SGPR: 2
; COMPUTE_PGM_RSRC2:TRAP_HANDLER: 0
; COMPUTE_PGM_RSRC2:TGID_X_EN: 1
; COMPUTE_PGM_RSRC2:TGID_Y_EN: 0
; COMPUTE_PGM_RSRC2:TGID_Z_EN: 0
; COMPUTE_PGM_RSRC2:TIDIG_COMP_CNT: 0
	.section	.text._ZN7rocprim17ROCPRIM_400000_NS6detail30init_device_scan_by_key_kernelINS1_19lookback_scan_stateINS0_5tupleIJ11FixedVectorIiLj4EEbEEELb0ELb0EEEN6thrust23THRUST_200600_302600_NS6detail15normal_iteratorINSA_10device_ptrIjEEEEjNS1_16block_id_wrapperIjLb0EEEEEvT_jjPNSI_10value_typeET0_PNSt15iterator_traitsISL_E10value_typeEmT1_T2_,"axG",@progbits,_ZN7rocprim17ROCPRIM_400000_NS6detail30init_device_scan_by_key_kernelINS1_19lookback_scan_stateINS0_5tupleIJ11FixedVectorIiLj4EEbEEELb0ELb0EEEN6thrust23THRUST_200600_302600_NS6detail15normal_iteratorINSA_10device_ptrIjEEEEjNS1_16block_id_wrapperIjLb0EEEEEvT_jjPNSI_10value_typeET0_PNSt15iterator_traitsISL_E10value_typeEmT1_T2_,comdat
	.protected	_ZN7rocprim17ROCPRIM_400000_NS6detail30init_device_scan_by_key_kernelINS1_19lookback_scan_stateINS0_5tupleIJ11FixedVectorIiLj4EEbEEELb0ELb0EEEN6thrust23THRUST_200600_302600_NS6detail15normal_iteratorINSA_10device_ptrIjEEEEjNS1_16block_id_wrapperIjLb0EEEEEvT_jjPNSI_10value_typeET0_PNSt15iterator_traitsISL_E10value_typeEmT1_T2_ ; -- Begin function _ZN7rocprim17ROCPRIM_400000_NS6detail30init_device_scan_by_key_kernelINS1_19lookback_scan_stateINS0_5tupleIJ11FixedVectorIiLj4EEbEEELb0ELb0EEEN6thrust23THRUST_200600_302600_NS6detail15normal_iteratorINSA_10device_ptrIjEEEEjNS1_16block_id_wrapperIjLb0EEEEEvT_jjPNSI_10value_typeET0_PNSt15iterator_traitsISL_E10value_typeEmT1_T2_
	.globl	_ZN7rocprim17ROCPRIM_400000_NS6detail30init_device_scan_by_key_kernelINS1_19lookback_scan_stateINS0_5tupleIJ11FixedVectorIiLj4EEbEEELb0ELb0EEEN6thrust23THRUST_200600_302600_NS6detail15normal_iteratorINSA_10device_ptrIjEEEEjNS1_16block_id_wrapperIjLb0EEEEEvT_jjPNSI_10value_typeET0_PNSt15iterator_traitsISL_E10value_typeEmT1_T2_
	.p2align	8
	.type	_ZN7rocprim17ROCPRIM_400000_NS6detail30init_device_scan_by_key_kernelINS1_19lookback_scan_stateINS0_5tupleIJ11FixedVectorIiLj4EEbEEELb0ELb0EEEN6thrust23THRUST_200600_302600_NS6detail15normal_iteratorINSA_10device_ptrIjEEEEjNS1_16block_id_wrapperIjLb0EEEEEvT_jjPNSI_10value_typeET0_PNSt15iterator_traitsISL_E10value_typeEmT1_T2_,@function
_ZN7rocprim17ROCPRIM_400000_NS6detail30init_device_scan_by_key_kernelINS1_19lookback_scan_stateINS0_5tupleIJ11FixedVectorIiLj4EEbEEELb0ELb0EEEN6thrust23THRUST_200600_302600_NS6detail15normal_iteratorINSA_10device_ptrIjEEEEjNS1_16block_id_wrapperIjLb0EEEEEvT_jjPNSI_10value_typeET0_PNSt15iterator_traitsISL_E10value_typeEmT1_T2_: ; @_ZN7rocprim17ROCPRIM_400000_NS6detail30init_device_scan_by_key_kernelINS1_19lookback_scan_stateINS0_5tupleIJ11FixedVectorIiLj4EEbEEELb0ELb0EEEN6thrust23THRUST_200600_302600_NS6detail15normal_iteratorINSA_10device_ptrIjEEEEjNS1_16block_id_wrapperIjLb0EEEEEvT_jjPNSI_10value_typeET0_PNSt15iterator_traitsISL_E10value_typeEmT1_T2_
; %bb.0:
	s_clause 0x1
	s_load_b32 s12, s[2:3], 0x54
	s_load_b32 s18, s[2:3], 0x48
	s_bfe_u32 s13, ttmp6, 0x4000c
	s_load_b256 s[4:11], s[2:3], 0x10
	s_add_co_i32 s13, s13, 1
	s_and_b32 s14, ttmp6, 15
	s_mul_i32 s13, ttmp9, s13
	s_getreg_b32 s15, hwreg(HW_REG_IB_STS2, 6, 4)
	v_and_b32_e32 v1, 0x3ff, v0
	s_add_co_i32 s14, s14, s13
	s_wait_kmcnt 0x0
	s_and_b32 s19, s12, 0xffff
	s_cmp_eq_u32 s15, 0
	s_cselect_b32 s12, ttmp9, s14
	s_cmp_eq_u64 s[8:9], 0
	v_mad_u32 v2, s12, s19, v1
	s_cbranch_scc1 .LBB2031_9
; %bb.1:
	s_cmp_lt_u32 s7, s6
	s_mov_b32 s20, exec_lo
	s_cselect_b32 s12, s7, 0
	s_delay_alu instid0(VALU_DEP_1) | instid1(SALU_CYCLE_1)
	v_cmpx_eq_u32_e64 s12, v2
	s_cbranch_execz .LBB2031_8
; %bb.2:
	s_load_b64 s[12:13], s[0:1], 0x4
	v_bfe_u32 v3, v0, 10, 10
	v_bfe_u32 v0, v0, 20, 10
	s_wait_kmcnt 0x0
	s_lshr_b32 s0, s12, 16
	s_delay_alu instid0(VALU_DEP_2) | instskip(SKIP_4) | instid1(VALU_DEP_1)
	v_mul_u32_u24_e32 v3, s13, v3
	s_mul_i32 s0, s0, s13
	s_load_b128 s[12:15], s[2:3], 0x0
	v_mul_lo_u32 v1, s0, v1
	s_mov_b32 s0, 0
	v_add3_u32 v0, v1, v3, v0
	v_mov_b32_e32 v1, 0
	s_delay_alu instid0(VALU_DEP_2)
	v_mul_lo_u32 v0, v0, 20
	ds_store_2addr_b32 v0, v1, v1 offset0:2 offset1:3
	ds_store_2addr_b32 v0, v1, v1 offset1:1
	ds_store_b32 v0, v1 offset:16
.LBB2031_3:                             ; =>This Inner Loop Header: Depth=1
	v_add_nc_u32_e32 v3, s0, v0
	s_add_co_i32 s0, s0, 8
	s_delay_alu instid0(SALU_CYCLE_1)
	s_cmp_lg_u32 s0, 16
	ds_store_2addr_b32 v3, v1, v1 offset1:1
	s_cbranch_scc1 .LBB2031_3
; %bb.4:
	s_add_co_i32 s0, s7, 32
	s_delay_alu instid0(SALU_CYCLE_1)
	v_dual_mov_b32 v1, 0 :: v_dual_mov_b32 v3, s0
	s_mov_b32 s1, 0
	ds_store_b8 v0, v1 offset:16
	global_load_u8 v3, v3, s[4:5] scope:SCOPE_DEV
	s_wait_loadcnt 0x0
	v_and_b32_e32 v4, 0xffff, v3
	v_readfirstlane_b32 s7, v3
	s_delay_alu instid0(VALU_DEP_2)
	v_cmp_ne_u32_e32 vcc_lo, 0, v4
	s_cbranch_vccnz .LBB2031_7
; %bb.5:
	s_add_nc_u64 s[16:17], s[4:5], s[0:1]
.LBB2031_6:                             ; =>This Inner Loop Header: Depth=1
	global_load_u8 v3, v1, s[16:17] scope:SCOPE_DEV
	s_wait_loadcnt 0x0
	v_and_b32_e32 v4, 0xffff, v3
	v_readfirstlane_b32 s7, v3
	s_delay_alu instid0(VALU_DEP_2)
	v_cmp_eq_u32_e32 vcc_lo, 0, v4
	s_cbranch_vccnz .LBB2031_6
.LBB2031_7:
	s_and_b32 s7, 0xffff, s7
	v_mov_b32_e32 v1, 0
	s_cmp_eq_u32 s7, 1
	s_mul_u64 s[0:1], s[0:1], 20
	s_wait_kmcnt 0x0
	s_cselect_b32 s13, s13, s15
	s_cselect_b32 s12, s12, s14
	global_wb scope:SCOPE_DEV
	s_wait_storecnt_dscnt 0x0
	global_inv scope:SCOPE_DEV
	s_add_nc_u64 s[0:1], s[12:13], s[0:1]
	s_clause 0x1
	global_load_b128 v[4:7], v1, s[0:1]
	global_load_u8 v3, v1, s[0:1] offset:16
	s_wait_loadcnt 0x1
	ds_store_2addr_b32 v0, v4, v5 offset1:1
	ds_store_2addr_b32 v0, v6, v7 offset0:2 offset1:3
	global_store_b128 v1, v[4:7], s[8:9]
	s_wait_loadcnt 0x0
	global_store_b8 v1, v3, s[8:9] offset:16
.LBB2031_8:
	s_wait_xcnt 0x0
	s_or_b32 exec_lo, exec_lo, s20
.LBB2031_9:
	s_delay_alu instid0(SALU_CYCLE_1) | instskip(NEXT) | instid1(VALU_DEP_1)
	s_mov_b32 s0, exec_lo
	v_cmpx_gt_u32_e64 s6, v2
	s_cbranch_execz .LBB2031_11
; %bb.10:
	v_dual_mov_b32 v1, 0 :: v_dual_add_nc_u32 v0, 32, v2
	global_store_b8 v0, v1, s[4:5]
.LBB2031_11:
	s_wait_xcnt 0x0
	s_or_b32 exec_lo, exec_lo, s0
	v_mov_b32_e32 v3, 0
	s_mov_b32 s0, exec_lo
	v_cmpx_gt_u32_e32 32, v2
	s_cbranch_execz .LBB2031_13
; %bb.12:
	s_delay_alu instid0(VALU_DEP_2)
	v_add_nc_u64_e32 v[0:1], s[4:5], v[2:3]
	v_mov_b32_e32 v4, 0xff
	global_store_b8 v[0:1], v4, off
.LBB2031_13:
	s_wait_xcnt 0x0
	s_or_b32 exec_lo, exec_lo, s0
	s_load_b64 s[0:1], s[2:3], 0x38
	s_mov_b32 s4, exec_lo
	s_wait_kmcnt 0x0
	v_cmpx_gt_u64_e64 s[0:1], v[2:3]
	s_cbranch_execz .LBB2031_16
; %bb.14:
	s_clause 0x1
	s_load_b32 s4, s[2:3], 0x40
	s_load_b64 s[6:7], s[2:3], 0x30
	s_mov_b32 s5, 0
	s_wait_xcnt 0x0
	s_mul_i32 s2, s18, s19
	s_mov_b32 s9, s5
	s_mov_b32 s3, s5
	s_wait_kmcnt 0x0
	v_mul_u64_e32 v[0:1], s[4:5], v[2:3]
	s_add_co_i32 s8, s4, -1
	v_lshl_add_u64 v[4:5], v[2:3], 2, s[6:7]
	s_lshl_b64 s[8:9], s[8:9], 2
	s_delay_alu instid0(SALU_CYCLE_1) | instskip(SKIP_1) | instid1(SALU_CYCLE_1)
	s_add_nc_u64 s[8:9], s[10:11], s[8:9]
	s_mul_u64 s[10:11], s[4:5], s[2:3]
	s_lshl_b64 s[6:7], s[10:11], 2
	s_delay_alu instid0(VALU_DEP_2)
	v_lshl_add_u64 v[0:1], v[0:1], 2, s[8:9]
	s_lshl_b64 s[8:9], s[2:3], 2
.LBB2031_15:                            ; =>This Inner Loop Header: Depth=1
	global_load_b32 v6, v[0:1], off
	v_add_nc_u64_e32 v[2:3], s[2:3], v[2:3]
	s_wait_xcnt 0x0
	v_add_nc_u64_e32 v[0:1], s[6:7], v[0:1]
	s_delay_alu instid0(VALU_DEP_2)
	v_cmp_le_u64_e32 vcc_lo, s[0:1], v[2:3]
	s_or_b32 s5, vcc_lo, s5
	s_wait_loadcnt 0x0
	global_store_b32 v[4:5], v6, off
	s_wait_xcnt 0x0
	v_add_nc_u64_e32 v[4:5], s[8:9], v[4:5]
	s_and_not1_b32 exec_lo, exec_lo, s5
	s_cbranch_execnz .LBB2031_15
.LBB2031_16:
	s_endpgm
	.section	.rodata,"a",@progbits
	.p2align	6, 0x0
	.amdhsa_kernel _ZN7rocprim17ROCPRIM_400000_NS6detail30init_device_scan_by_key_kernelINS1_19lookback_scan_stateINS0_5tupleIJ11FixedVectorIiLj4EEbEEELb0ELb0EEEN6thrust23THRUST_200600_302600_NS6detail15normal_iteratorINSA_10device_ptrIjEEEEjNS1_16block_id_wrapperIjLb0EEEEEvT_jjPNSI_10value_typeET0_PNSt15iterator_traitsISL_E10value_typeEmT1_T2_
		.amdhsa_group_segment_fixed_size 5120
		.amdhsa_private_segment_fixed_size 0
		.amdhsa_kernarg_size 328
		.amdhsa_user_sgpr_count 4
		.amdhsa_user_sgpr_dispatch_ptr 1
		.amdhsa_user_sgpr_queue_ptr 0
		.amdhsa_user_sgpr_kernarg_segment_ptr 1
		.amdhsa_user_sgpr_dispatch_id 0
		.amdhsa_user_sgpr_kernarg_preload_length 0
		.amdhsa_user_sgpr_kernarg_preload_offset 0
		.amdhsa_user_sgpr_private_segment_size 0
		.amdhsa_wavefront_size32 1
		.amdhsa_uses_dynamic_stack 0
		.amdhsa_enable_private_segment 0
		.amdhsa_system_sgpr_workgroup_id_x 1
		.amdhsa_system_sgpr_workgroup_id_y 0
		.amdhsa_system_sgpr_workgroup_id_z 0
		.amdhsa_system_sgpr_workgroup_info 0
		.amdhsa_system_vgpr_workitem_id 2
		.amdhsa_next_free_vgpr 8
		.amdhsa_next_free_sgpr 21
		.amdhsa_named_barrier_count 0
		.amdhsa_reserve_vcc 1
		.amdhsa_float_round_mode_32 0
		.amdhsa_float_round_mode_16_64 0
		.amdhsa_float_denorm_mode_32 3
		.amdhsa_float_denorm_mode_16_64 3
		.amdhsa_fp16_overflow 0
		.amdhsa_memory_ordered 1
		.amdhsa_forward_progress 1
		.amdhsa_inst_pref_size 7
		.amdhsa_round_robin_scheduling 0
		.amdhsa_exception_fp_ieee_invalid_op 0
		.amdhsa_exception_fp_denorm_src 0
		.amdhsa_exception_fp_ieee_div_zero 0
		.amdhsa_exception_fp_ieee_overflow 0
		.amdhsa_exception_fp_ieee_underflow 0
		.amdhsa_exception_fp_ieee_inexact 0
		.amdhsa_exception_int_div_zero 0
	.end_amdhsa_kernel
	.section	.text._ZN7rocprim17ROCPRIM_400000_NS6detail30init_device_scan_by_key_kernelINS1_19lookback_scan_stateINS0_5tupleIJ11FixedVectorIiLj4EEbEEELb0ELb0EEEN6thrust23THRUST_200600_302600_NS6detail15normal_iteratorINSA_10device_ptrIjEEEEjNS1_16block_id_wrapperIjLb0EEEEEvT_jjPNSI_10value_typeET0_PNSt15iterator_traitsISL_E10value_typeEmT1_T2_,"axG",@progbits,_ZN7rocprim17ROCPRIM_400000_NS6detail30init_device_scan_by_key_kernelINS1_19lookback_scan_stateINS0_5tupleIJ11FixedVectorIiLj4EEbEEELb0ELb0EEEN6thrust23THRUST_200600_302600_NS6detail15normal_iteratorINSA_10device_ptrIjEEEEjNS1_16block_id_wrapperIjLb0EEEEEvT_jjPNSI_10value_typeET0_PNSt15iterator_traitsISL_E10value_typeEmT1_T2_,comdat
.Lfunc_end2031:
	.size	_ZN7rocprim17ROCPRIM_400000_NS6detail30init_device_scan_by_key_kernelINS1_19lookback_scan_stateINS0_5tupleIJ11FixedVectorIiLj4EEbEEELb0ELb0EEEN6thrust23THRUST_200600_302600_NS6detail15normal_iteratorINSA_10device_ptrIjEEEEjNS1_16block_id_wrapperIjLb0EEEEEvT_jjPNSI_10value_typeET0_PNSt15iterator_traitsISL_E10value_typeEmT1_T2_, .Lfunc_end2031-_ZN7rocprim17ROCPRIM_400000_NS6detail30init_device_scan_by_key_kernelINS1_19lookback_scan_stateINS0_5tupleIJ11FixedVectorIiLj4EEbEEELb0ELb0EEEN6thrust23THRUST_200600_302600_NS6detail15normal_iteratorINSA_10device_ptrIjEEEEjNS1_16block_id_wrapperIjLb0EEEEEvT_jjPNSI_10value_typeET0_PNSt15iterator_traitsISL_E10value_typeEmT1_T2_
                                        ; -- End function
	.set _ZN7rocprim17ROCPRIM_400000_NS6detail30init_device_scan_by_key_kernelINS1_19lookback_scan_stateINS0_5tupleIJ11FixedVectorIiLj4EEbEEELb0ELb0EEEN6thrust23THRUST_200600_302600_NS6detail15normal_iteratorINSA_10device_ptrIjEEEEjNS1_16block_id_wrapperIjLb0EEEEEvT_jjPNSI_10value_typeET0_PNSt15iterator_traitsISL_E10value_typeEmT1_T2_.num_vgpr, 8
	.set _ZN7rocprim17ROCPRIM_400000_NS6detail30init_device_scan_by_key_kernelINS1_19lookback_scan_stateINS0_5tupleIJ11FixedVectorIiLj4EEbEEELb0ELb0EEEN6thrust23THRUST_200600_302600_NS6detail15normal_iteratorINSA_10device_ptrIjEEEEjNS1_16block_id_wrapperIjLb0EEEEEvT_jjPNSI_10value_typeET0_PNSt15iterator_traitsISL_E10value_typeEmT1_T2_.num_agpr, 0
	.set _ZN7rocprim17ROCPRIM_400000_NS6detail30init_device_scan_by_key_kernelINS1_19lookback_scan_stateINS0_5tupleIJ11FixedVectorIiLj4EEbEEELb0ELb0EEEN6thrust23THRUST_200600_302600_NS6detail15normal_iteratorINSA_10device_ptrIjEEEEjNS1_16block_id_wrapperIjLb0EEEEEvT_jjPNSI_10value_typeET0_PNSt15iterator_traitsISL_E10value_typeEmT1_T2_.numbered_sgpr, 21
	.set _ZN7rocprim17ROCPRIM_400000_NS6detail30init_device_scan_by_key_kernelINS1_19lookback_scan_stateINS0_5tupleIJ11FixedVectorIiLj4EEbEEELb0ELb0EEEN6thrust23THRUST_200600_302600_NS6detail15normal_iteratorINSA_10device_ptrIjEEEEjNS1_16block_id_wrapperIjLb0EEEEEvT_jjPNSI_10value_typeET0_PNSt15iterator_traitsISL_E10value_typeEmT1_T2_.num_named_barrier, 0
	.set _ZN7rocprim17ROCPRIM_400000_NS6detail30init_device_scan_by_key_kernelINS1_19lookback_scan_stateINS0_5tupleIJ11FixedVectorIiLj4EEbEEELb0ELb0EEEN6thrust23THRUST_200600_302600_NS6detail15normal_iteratorINSA_10device_ptrIjEEEEjNS1_16block_id_wrapperIjLb0EEEEEvT_jjPNSI_10value_typeET0_PNSt15iterator_traitsISL_E10value_typeEmT1_T2_.private_seg_size, 0
	.set _ZN7rocprim17ROCPRIM_400000_NS6detail30init_device_scan_by_key_kernelINS1_19lookback_scan_stateINS0_5tupleIJ11FixedVectorIiLj4EEbEEELb0ELb0EEEN6thrust23THRUST_200600_302600_NS6detail15normal_iteratorINSA_10device_ptrIjEEEEjNS1_16block_id_wrapperIjLb0EEEEEvT_jjPNSI_10value_typeET0_PNSt15iterator_traitsISL_E10value_typeEmT1_T2_.uses_vcc, 1
	.set _ZN7rocprim17ROCPRIM_400000_NS6detail30init_device_scan_by_key_kernelINS1_19lookback_scan_stateINS0_5tupleIJ11FixedVectorIiLj4EEbEEELb0ELb0EEEN6thrust23THRUST_200600_302600_NS6detail15normal_iteratorINSA_10device_ptrIjEEEEjNS1_16block_id_wrapperIjLb0EEEEEvT_jjPNSI_10value_typeET0_PNSt15iterator_traitsISL_E10value_typeEmT1_T2_.uses_flat_scratch, 0
	.set _ZN7rocprim17ROCPRIM_400000_NS6detail30init_device_scan_by_key_kernelINS1_19lookback_scan_stateINS0_5tupleIJ11FixedVectorIiLj4EEbEEELb0ELb0EEEN6thrust23THRUST_200600_302600_NS6detail15normal_iteratorINSA_10device_ptrIjEEEEjNS1_16block_id_wrapperIjLb0EEEEEvT_jjPNSI_10value_typeET0_PNSt15iterator_traitsISL_E10value_typeEmT1_T2_.has_dyn_sized_stack, 0
	.set _ZN7rocprim17ROCPRIM_400000_NS6detail30init_device_scan_by_key_kernelINS1_19lookback_scan_stateINS0_5tupleIJ11FixedVectorIiLj4EEbEEELb0ELb0EEEN6thrust23THRUST_200600_302600_NS6detail15normal_iteratorINSA_10device_ptrIjEEEEjNS1_16block_id_wrapperIjLb0EEEEEvT_jjPNSI_10value_typeET0_PNSt15iterator_traitsISL_E10value_typeEmT1_T2_.has_recursion, 0
	.set _ZN7rocprim17ROCPRIM_400000_NS6detail30init_device_scan_by_key_kernelINS1_19lookback_scan_stateINS0_5tupleIJ11FixedVectorIiLj4EEbEEELb0ELb0EEEN6thrust23THRUST_200600_302600_NS6detail15normal_iteratorINSA_10device_ptrIjEEEEjNS1_16block_id_wrapperIjLb0EEEEEvT_jjPNSI_10value_typeET0_PNSt15iterator_traitsISL_E10value_typeEmT1_T2_.has_indirect_call, 0
	.section	.AMDGPU.csdata,"",@progbits
; Kernel info:
; codeLenInByte = 828
; TotalNumSgprs: 23
; NumVgprs: 8
; ScratchSize: 0
; MemoryBound: 0
; FloatMode: 240
; IeeeMode: 1
; LDSByteSize: 5120 bytes/workgroup (compile time only)
; SGPRBlocks: 0
; VGPRBlocks: 0
; NumSGPRsForWavesPerEU: 23
; NumVGPRsForWavesPerEU: 8
; NamedBarCnt: 0
; Occupancy: 16
; WaveLimiterHint : 0
; COMPUTE_PGM_RSRC2:SCRATCH_EN: 0
; COMPUTE_PGM_RSRC2:USER_SGPR: 4
; COMPUTE_PGM_RSRC2:TRAP_HANDLER: 0
; COMPUTE_PGM_RSRC2:TGID_X_EN: 1
; COMPUTE_PGM_RSRC2:TGID_Y_EN: 0
; COMPUTE_PGM_RSRC2:TGID_Z_EN: 0
; COMPUTE_PGM_RSRC2:TIDIG_COMP_CNT: 2
	.section	.text._ZN7rocprim17ROCPRIM_400000_NS6detail30init_device_scan_by_key_kernelINS1_19lookback_scan_stateINS0_5tupleIJ11FixedVectorIiLj4EEbEEELb0ELb0EEENS1_16block_id_wrapperIjLb0EEEEEvT_jjPNSB_10value_typeET0_,"axG",@progbits,_ZN7rocprim17ROCPRIM_400000_NS6detail30init_device_scan_by_key_kernelINS1_19lookback_scan_stateINS0_5tupleIJ11FixedVectorIiLj4EEbEEELb0ELb0EEENS1_16block_id_wrapperIjLb0EEEEEvT_jjPNSB_10value_typeET0_,comdat
	.protected	_ZN7rocprim17ROCPRIM_400000_NS6detail30init_device_scan_by_key_kernelINS1_19lookback_scan_stateINS0_5tupleIJ11FixedVectorIiLj4EEbEEELb0ELb0EEENS1_16block_id_wrapperIjLb0EEEEEvT_jjPNSB_10value_typeET0_ ; -- Begin function _ZN7rocprim17ROCPRIM_400000_NS6detail30init_device_scan_by_key_kernelINS1_19lookback_scan_stateINS0_5tupleIJ11FixedVectorIiLj4EEbEEELb0ELb0EEENS1_16block_id_wrapperIjLb0EEEEEvT_jjPNSB_10value_typeET0_
	.globl	_ZN7rocprim17ROCPRIM_400000_NS6detail30init_device_scan_by_key_kernelINS1_19lookback_scan_stateINS0_5tupleIJ11FixedVectorIiLj4EEbEEELb0ELb0EEENS1_16block_id_wrapperIjLb0EEEEEvT_jjPNSB_10value_typeET0_
	.p2align	8
	.type	_ZN7rocprim17ROCPRIM_400000_NS6detail30init_device_scan_by_key_kernelINS1_19lookback_scan_stateINS0_5tupleIJ11FixedVectorIiLj4EEbEEELb0ELb0EEENS1_16block_id_wrapperIjLb0EEEEEvT_jjPNSB_10value_typeET0_,@function
_ZN7rocprim17ROCPRIM_400000_NS6detail30init_device_scan_by_key_kernelINS1_19lookback_scan_stateINS0_5tupleIJ11FixedVectorIiLj4EEbEEELb0ELb0EEENS1_16block_id_wrapperIjLb0EEEEEvT_jjPNSB_10value_typeET0_: ; @_ZN7rocprim17ROCPRIM_400000_NS6detail30init_device_scan_by_key_kernelINS1_19lookback_scan_stateINS0_5tupleIJ11FixedVectorIiLj4EEbEEELb0ELb0EEENS1_16block_id_wrapperIjLb0EEEEEvT_jjPNSB_10value_typeET0_
; %bb.0:
	s_load_b32 s8, s[2:3], 0x3c
	s_bfe_u32 s9, ttmp6, 0x4000c
	s_clause 0x1
	s_load_b128 s[4:7], s[2:3], 0x10
	s_load_b64 s[12:13], s[2:3], 0x20
	s_add_co_i32 s9, s9, 1
	s_and_b32 s10, ttmp6, 15
	s_mul_i32 s9, ttmp9, s9
	s_getreg_b32 s11, hwreg(HW_REG_IB_STS2, 6, 4)
	v_and_b32_e32 v2, 0x3ff, v0
	s_add_co_i32 s10, s10, s9
	s_wait_kmcnt 0x0
	s_and_b32 s8, s8, 0xffff
	s_cmp_eq_u32 s11, 0
	s_cselect_b32 s9, ttmp9, s10
	s_cmp_eq_u64 s[12:13], 0
	v_mad_u32 v1, s9, s8, v2
	s_cbranch_scc1 .LBB2032_9
; %bb.1:
	s_cmp_lt_u32 s7, s6
	s_mov_b32 s14, exec_lo
	s_cselect_b32 s8, s7, 0
	s_delay_alu instid0(VALU_DEP_1) | instid1(SALU_CYCLE_1)
	v_cmpx_eq_u32_e64 s8, v1
	s_cbranch_execz .LBB2032_8
; %bb.2:
	s_load_b64 s[8:9], s[0:1], 0x4
	v_bfe_u32 v3, v0, 10, 10
	v_bfe_u32 v0, v0, 20, 10
	s_wait_kmcnt 0x0
	s_lshr_b32 s0, s8, 16
	s_delay_alu instid0(VALU_DEP_2) | instskip(SKIP_4) | instid1(VALU_DEP_1)
	v_mul_u32_u24_e32 v3, s9, v3
	s_mul_i32 s0, s0, s9
	s_load_b128 s[8:11], s[2:3], 0x0
	v_mul_lo_u32 v2, s0, v2
	s_mov_b32 s0, 0
	v_add3_u32 v0, v2, v3, v0
	v_mov_b32_e32 v2, 0
	s_delay_alu instid0(VALU_DEP_2)
	v_mul_lo_u32 v0, v0, 20
	ds_store_2addr_b32 v0, v2, v2 offset0:2 offset1:3
	ds_store_2addr_b32 v0, v2, v2 offset1:1
	ds_store_b32 v0, v2 offset:16
.LBB2032_3:                             ; =>This Inner Loop Header: Depth=1
	v_add_nc_u32_e32 v3, s0, v0
	s_add_co_i32 s0, s0, 8
	s_delay_alu instid0(SALU_CYCLE_1)
	s_cmp_lg_u32 s0, 16
	ds_store_2addr_b32 v3, v2, v2 offset1:1
	s_cbranch_scc1 .LBB2032_3
; %bb.4:
	s_add_co_i32 s0, s7, 32
	s_delay_alu instid0(SALU_CYCLE_1)
	v_dual_mov_b32 v2, 0 :: v_dual_mov_b32 v3, s0
	s_mov_b32 s1, 0
	ds_store_b8 v0, v2 offset:16
	global_load_u8 v3, v3, s[4:5] scope:SCOPE_DEV
	s_wait_loadcnt 0x0
	v_and_b32_e32 v4, 0xffff, v3
	v_readfirstlane_b32 s7, v3
	s_delay_alu instid0(VALU_DEP_2)
	v_cmp_ne_u32_e32 vcc_lo, 0, v4
	s_cbranch_vccnz .LBB2032_7
; %bb.5:
	s_add_nc_u64 s[2:3], s[4:5], s[0:1]
.LBB2032_6:                             ; =>This Inner Loop Header: Depth=1
	global_load_u8 v3, v2, s[2:3] scope:SCOPE_DEV
	s_wait_loadcnt 0x0
	v_and_b32_e32 v4, 0xffff, v3
	v_readfirstlane_b32 s7, v3
	s_delay_alu instid0(VALU_DEP_2)
	v_cmp_eq_u32_e32 vcc_lo, 0, v4
	s_cbranch_vccnz .LBB2032_6
.LBB2032_7:
	s_and_b32 s2, 0xffff, s7
	v_mov_b32_e32 v6, 0
	s_cmp_eq_u32 s2, 1
	s_mul_u64 s[0:1], s[0:1], 20
	s_wait_kmcnt 0x0
	s_cselect_b32 s3, s9, s11
	s_cselect_b32 s2, s8, s10
	global_wb scope:SCOPE_DEV
	s_wait_storecnt_dscnt 0x0
	global_inv scope:SCOPE_DEV
	s_add_nc_u64 s[0:1], s[2:3], s[0:1]
	s_clause 0x1
	global_load_b128 v[2:5], v6, s[0:1]
	global_load_u8 v7, v6, s[0:1] offset:16
	s_wait_loadcnt 0x1
	ds_store_2addr_b32 v0, v2, v3 offset1:1
	ds_store_2addr_b32 v0, v4, v5 offset0:2 offset1:3
	global_store_b128 v6, v[2:5], s[12:13]
	s_wait_loadcnt 0x0
	global_store_b8 v6, v7, s[12:13] offset:16
.LBB2032_8:
	s_wait_xcnt 0x0
	s_or_b32 exec_lo, exec_lo, s14
.LBB2032_9:
	s_delay_alu instid0(SALU_CYCLE_1) | instskip(NEXT) | instid1(VALU_DEP_1)
	s_mov_b32 s0, exec_lo
	v_cmpx_gt_u32_e64 s6, v1
	s_cbranch_execz .LBB2032_11
; %bb.10:
	v_dual_add_nc_u32 v0, 32, v1 :: v_dual_mov_b32 v2, 0
	global_store_b8 v0, v2, s[4:5]
.LBB2032_11:
	s_wait_xcnt 0x0
	s_or_b32 exec_lo, exec_lo, s0
	s_delay_alu instid0(SALU_CYCLE_1)
	s_mov_b32 s0, exec_lo
	v_cmpx_gt_u32_e32 32, v1
	s_cbranch_execz .LBB2032_13
; %bb.12:
	v_mov_b32_e32 v0, 0xff
	global_store_b8 v1, v0, s[4:5]
.LBB2032_13:
	s_endpgm
	.section	.rodata,"a",@progbits
	.p2align	6, 0x0
	.amdhsa_kernel _ZN7rocprim17ROCPRIM_400000_NS6detail30init_device_scan_by_key_kernelINS1_19lookback_scan_stateINS0_5tupleIJ11FixedVectorIiLj4EEbEEELb0ELb0EEENS1_16block_id_wrapperIjLb0EEEEEvT_jjPNSB_10value_typeET0_
		.amdhsa_group_segment_fixed_size 5120
		.amdhsa_private_segment_fixed_size 0
		.amdhsa_kernarg_size 304
		.amdhsa_user_sgpr_count 4
		.amdhsa_user_sgpr_dispatch_ptr 1
		.amdhsa_user_sgpr_queue_ptr 0
		.amdhsa_user_sgpr_kernarg_segment_ptr 1
		.amdhsa_user_sgpr_dispatch_id 0
		.amdhsa_user_sgpr_kernarg_preload_length 0
		.amdhsa_user_sgpr_kernarg_preload_offset 0
		.amdhsa_user_sgpr_private_segment_size 0
		.amdhsa_wavefront_size32 1
		.amdhsa_uses_dynamic_stack 0
		.amdhsa_enable_private_segment 0
		.amdhsa_system_sgpr_workgroup_id_x 1
		.amdhsa_system_sgpr_workgroup_id_y 0
		.amdhsa_system_sgpr_workgroup_id_z 0
		.amdhsa_system_sgpr_workgroup_info 0
		.amdhsa_system_vgpr_workitem_id 2
		.amdhsa_next_free_vgpr 8
		.amdhsa_next_free_sgpr 15
		.amdhsa_named_barrier_count 0
		.amdhsa_reserve_vcc 1
		.amdhsa_float_round_mode_32 0
		.amdhsa_float_round_mode_16_64 0
		.amdhsa_float_denorm_mode_32 3
		.amdhsa_float_denorm_mode_16_64 3
		.amdhsa_fp16_overflow 0
		.amdhsa_memory_ordered 1
		.amdhsa_forward_progress 1
		.amdhsa_inst_pref_size 5
		.amdhsa_round_robin_scheduling 0
		.amdhsa_exception_fp_ieee_invalid_op 0
		.amdhsa_exception_fp_denorm_src 0
		.amdhsa_exception_fp_ieee_div_zero 0
		.amdhsa_exception_fp_ieee_overflow 0
		.amdhsa_exception_fp_ieee_underflow 0
		.amdhsa_exception_fp_ieee_inexact 0
		.amdhsa_exception_int_div_zero 0
	.end_amdhsa_kernel
	.section	.text._ZN7rocprim17ROCPRIM_400000_NS6detail30init_device_scan_by_key_kernelINS1_19lookback_scan_stateINS0_5tupleIJ11FixedVectorIiLj4EEbEEELb0ELb0EEENS1_16block_id_wrapperIjLb0EEEEEvT_jjPNSB_10value_typeET0_,"axG",@progbits,_ZN7rocprim17ROCPRIM_400000_NS6detail30init_device_scan_by_key_kernelINS1_19lookback_scan_stateINS0_5tupleIJ11FixedVectorIiLj4EEbEEELb0ELb0EEENS1_16block_id_wrapperIjLb0EEEEEvT_jjPNSB_10value_typeET0_,comdat
.Lfunc_end2032:
	.size	_ZN7rocprim17ROCPRIM_400000_NS6detail30init_device_scan_by_key_kernelINS1_19lookback_scan_stateINS0_5tupleIJ11FixedVectorIiLj4EEbEEELb0ELb0EEENS1_16block_id_wrapperIjLb0EEEEEvT_jjPNSB_10value_typeET0_, .Lfunc_end2032-_ZN7rocprim17ROCPRIM_400000_NS6detail30init_device_scan_by_key_kernelINS1_19lookback_scan_stateINS0_5tupleIJ11FixedVectorIiLj4EEbEEELb0ELb0EEENS1_16block_id_wrapperIjLb0EEEEEvT_jjPNSB_10value_typeET0_
                                        ; -- End function
	.set _ZN7rocprim17ROCPRIM_400000_NS6detail30init_device_scan_by_key_kernelINS1_19lookback_scan_stateINS0_5tupleIJ11FixedVectorIiLj4EEbEEELb0ELb0EEENS1_16block_id_wrapperIjLb0EEEEEvT_jjPNSB_10value_typeET0_.num_vgpr, 8
	.set _ZN7rocprim17ROCPRIM_400000_NS6detail30init_device_scan_by_key_kernelINS1_19lookback_scan_stateINS0_5tupleIJ11FixedVectorIiLj4EEbEEELb0ELb0EEENS1_16block_id_wrapperIjLb0EEEEEvT_jjPNSB_10value_typeET0_.num_agpr, 0
	.set _ZN7rocprim17ROCPRIM_400000_NS6detail30init_device_scan_by_key_kernelINS1_19lookback_scan_stateINS0_5tupleIJ11FixedVectorIiLj4EEbEEELb0ELb0EEENS1_16block_id_wrapperIjLb0EEEEEvT_jjPNSB_10value_typeET0_.numbered_sgpr, 15
	.set _ZN7rocprim17ROCPRIM_400000_NS6detail30init_device_scan_by_key_kernelINS1_19lookback_scan_stateINS0_5tupleIJ11FixedVectorIiLj4EEbEEELb0ELb0EEENS1_16block_id_wrapperIjLb0EEEEEvT_jjPNSB_10value_typeET0_.num_named_barrier, 0
	.set _ZN7rocprim17ROCPRIM_400000_NS6detail30init_device_scan_by_key_kernelINS1_19lookback_scan_stateINS0_5tupleIJ11FixedVectorIiLj4EEbEEELb0ELb0EEENS1_16block_id_wrapperIjLb0EEEEEvT_jjPNSB_10value_typeET0_.private_seg_size, 0
	.set _ZN7rocprim17ROCPRIM_400000_NS6detail30init_device_scan_by_key_kernelINS1_19lookback_scan_stateINS0_5tupleIJ11FixedVectorIiLj4EEbEEELb0ELb0EEENS1_16block_id_wrapperIjLb0EEEEEvT_jjPNSB_10value_typeET0_.uses_vcc, 1
	.set _ZN7rocprim17ROCPRIM_400000_NS6detail30init_device_scan_by_key_kernelINS1_19lookback_scan_stateINS0_5tupleIJ11FixedVectorIiLj4EEbEEELb0ELb0EEENS1_16block_id_wrapperIjLb0EEEEEvT_jjPNSB_10value_typeET0_.uses_flat_scratch, 0
	.set _ZN7rocprim17ROCPRIM_400000_NS6detail30init_device_scan_by_key_kernelINS1_19lookback_scan_stateINS0_5tupleIJ11FixedVectorIiLj4EEbEEELb0ELb0EEENS1_16block_id_wrapperIjLb0EEEEEvT_jjPNSB_10value_typeET0_.has_dyn_sized_stack, 0
	.set _ZN7rocprim17ROCPRIM_400000_NS6detail30init_device_scan_by_key_kernelINS1_19lookback_scan_stateINS0_5tupleIJ11FixedVectorIiLj4EEbEEELb0ELb0EEENS1_16block_id_wrapperIjLb0EEEEEvT_jjPNSB_10value_typeET0_.has_recursion, 0
	.set _ZN7rocprim17ROCPRIM_400000_NS6detail30init_device_scan_by_key_kernelINS1_19lookback_scan_stateINS0_5tupleIJ11FixedVectorIiLj4EEbEEELb0ELb0EEENS1_16block_id_wrapperIjLb0EEEEEvT_jjPNSB_10value_typeET0_.has_indirect_call, 0
	.section	.AMDGPU.csdata,"",@progbits
; Kernel info:
; codeLenInByte = 620
; TotalNumSgprs: 17
; NumVgprs: 8
; ScratchSize: 0
; MemoryBound: 0
; FloatMode: 240
; IeeeMode: 1
; LDSByteSize: 5120 bytes/workgroup (compile time only)
; SGPRBlocks: 0
; VGPRBlocks: 0
; NumSGPRsForWavesPerEU: 17
; NumVGPRsForWavesPerEU: 8
; NamedBarCnt: 0
; Occupancy: 16
; WaveLimiterHint : 0
; COMPUTE_PGM_RSRC2:SCRATCH_EN: 0
; COMPUTE_PGM_RSRC2:USER_SGPR: 4
; COMPUTE_PGM_RSRC2:TRAP_HANDLER: 0
; COMPUTE_PGM_RSRC2:TGID_X_EN: 1
; COMPUTE_PGM_RSRC2:TGID_Y_EN: 0
; COMPUTE_PGM_RSRC2:TGID_Z_EN: 0
; COMPUTE_PGM_RSRC2:TIDIG_COMP_CNT: 2
	.section	.text._ZN7rocprim17ROCPRIM_400000_NS6detail17trampoline_kernelINS0_14default_configENS1_27scan_by_key_config_selectorIj11FixedVectorIiLj4EEEEZZNS1_16scan_by_key_implILNS1_25lookback_scan_determinismE0ELb0ES3_N6thrust23THRUST_200600_302600_NS6detail15normal_iteratorINSB_10device_ptrIjEEEENSD_INSE_IS6_EEEESI_S6_NSB_4plusIvEENSB_8equal_toIvEES6_EE10hipError_tPvRmT2_T3_T4_T5_mT6_T7_P12ihipStream_tbENKUlT_T0_E_clISt17integral_constantIbLb0EES13_EEDaSY_SZ_EUlSY_E_NS1_11comp_targetILNS1_3genE0ELNS1_11target_archE4294967295ELNS1_3gpuE0ELNS1_3repE0EEENS1_30default_config_static_selectorELNS0_4arch9wavefront6targetE0EEEvT1_,"axG",@progbits,_ZN7rocprim17ROCPRIM_400000_NS6detail17trampoline_kernelINS0_14default_configENS1_27scan_by_key_config_selectorIj11FixedVectorIiLj4EEEEZZNS1_16scan_by_key_implILNS1_25lookback_scan_determinismE0ELb0ES3_N6thrust23THRUST_200600_302600_NS6detail15normal_iteratorINSB_10device_ptrIjEEEENSD_INSE_IS6_EEEESI_S6_NSB_4plusIvEENSB_8equal_toIvEES6_EE10hipError_tPvRmT2_T3_T4_T5_mT6_T7_P12ihipStream_tbENKUlT_T0_E_clISt17integral_constantIbLb0EES13_EEDaSY_SZ_EUlSY_E_NS1_11comp_targetILNS1_3genE0ELNS1_11target_archE4294967295ELNS1_3gpuE0ELNS1_3repE0EEENS1_30default_config_static_selectorELNS0_4arch9wavefront6targetE0EEEvT1_,comdat
	.protected	_ZN7rocprim17ROCPRIM_400000_NS6detail17trampoline_kernelINS0_14default_configENS1_27scan_by_key_config_selectorIj11FixedVectorIiLj4EEEEZZNS1_16scan_by_key_implILNS1_25lookback_scan_determinismE0ELb0ES3_N6thrust23THRUST_200600_302600_NS6detail15normal_iteratorINSB_10device_ptrIjEEEENSD_INSE_IS6_EEEESI_S6_NSB_4plusIvEENSB_8equal_toIvEES6_EE10hipError_tPvRmT2_T3_T4_T5_mT6_T7_P12ihipStream_tbENKUlT_T0_E_clISt17integral_constantIbLb0EES13_EEDaSY_SZ_EUlSY_E_NS1_11comp_targetILNS1_3genE0ELNS1_11target_archE4294967295ELNS1_3gpuE0ELNS1_3repE0EEENS1_30default_config_static_selectorELNS0_4arch9wavefront6targetE0EEEvT1_ ; -- Begin function _ZN7rocprim17ROCPRIM_400000_NS6detail17trampoline_kernelINS0_14default_configENS1_27scan_by_key_config_selectorIj11FixedVectorIiLj4EEEEZZNS1_16scan_by_key_implILNS1_25lookback_scan_determinismE0ELb0ES3_N6thrust23THRUST_200600_302600_NS6detail15normal_iteratorINSB_10device_ptrIjEEEENSD_INSE_IS6_EEEESI_S6_NSB_4plusIvEENSB_8equal_toIvEES6_EE10hipError_tPvRmT2_T3_T4_T5_mT6_T7_P12ihipStream_tbENKUlT_T0_E_clISt17integral_constantIbLb0EES13_EEDaSY_SZ_EUlSY_E_NS1_11comp_targetILNS1_3genE0ELNS1_11target_archE4294967295ELNS1_3gpuE0ELNS1_3repE0EEENS1_30default_config_static_selectorELNS0_4arch9wavefront6targetE0EEEvT1_
	.globl	_ZN7rocprim17ROCPRIM_400000_NS6detail17trampoline_kernelINS0_14default_configENS1_27scan_by_key_config_selectorIj11FixedVectorIiLj4EEEEZZNS1_16scan_by_key_implILNS1_25lookback_scan_determinismE0ELb0ES3_N6thrust23THRUST_200600_302600_NS6detail15normal_iteratorINSB_10device_ptrIjEEEENSD_INSE_IS6_EEEESI_S6_NSB_4plusIvEENSB_8equal_toIvEES6_EE10hipError_tPvRmT2_T3_T4_T5_mT6_T7_P12ihipStream_tbENKUlT_T0_E_clISt17integral_constantIbLb0EES13_EEDaSY_SZ_EUlSY_E_NS1_11comp_targetILNS1_3genE0ELNS1_11target_archE4294967295ELNS1_3gpuE0ELNS1_3repE0EEENS1_30default_config_static_selectorELNS0_4arch9wavefront6targetE0EEEvT1_
	.p2align	8
	.type	_ZN7rocprim17ROCPRIM_400000_NS6detail17trampoline_kernelINS0_14default_configENS1_27scan_by_key_config_selectorIj11FixedVectorIiLj4EEEEZZNS1_16scan_by_key_implILNS1_25lookback_scan_determinismE0ELb0ES3_N6thrust23THRUST_200600_302600_NS6detail15normal_iteratorINSB_10device_ptrIjEEEENSD_INSE_IS6_EEEESI_S6_NSB_4plusIvEENSB_8equal_toIvEES6_EE10hipError_tPvRmT2_T3_T4_T5_mT6_T7_P12ihipStream_tbENKUlT_T0_E_clISt17integral_constantIbLb0EES13_EEDaSY_SZ_EUlSY_E_NS1_11comp_targetILNS1_3genE0ELNS1_11target_archE4294967295ELNS1_3gpuE0ELNS1_3repE0EEENS1_30default_config_static_selectorELNS0_4arch9wavefront6targetE0EEEvT1_,@function
_ZN7rocprim17ROCPRIM_400000_NS6detail17trampoline_kernelINS0_14default_configENS1_27scan_by_key_config_selectorIj11FixedVectorIiLj4EEEEZZNS1_16scan_by_key_implILNS1_25lookback_scan_determinismE0ELb0ES3_N6thrust23THRUST_200600_302600_NS6detail15normal_iteratorINSB_10device_ptrIjEEEENSD_INSE_IS6_EEEESI_S6_NSB_4plusIvEENSB_8equal_toIvEES6_EE10hipError_tPvRmT2_T3_T4_T5_mT6_T7_P12ihipStream_tbENKUlT_T0_E_clISt17integral_constantIbLb0EES13_EEDaSY_SZ_EUlSY_E_NS1_11comp_targetILNS1_3genE0ELNS1_11target_archE4294967295ELNS1_3gpuE0ELNS1_3repE0EEENS1_30default_config_static_selectorELNS0_4arch9wavefront6targetE0EEEvT1_: ; @_ZN7rocprim17ROCPRIM_400000_NS6detail17trampoline_kernelINS0_14default_configENS1_27scan_by_key_config_selectorIj11FixedVectorIiLj4EEEEZZNS1_16scan_by_key_implILNS1_25lookback_scan_determinismE0ELb0ES3_N6thrust23THRUST_200600_302600_NS6detail15normal_iteratorINSB_10device_ptrIjEEEENSD_INSE_IS6_EEEESI_S6_NSB_4plusIvEENSB_8equal_toIvEES6_EE10hipError_tPvRmT2_T3_T4_T5_mT6_T7_P12ihipStream_tbENKUlT_T0_E_clISt17integral_constantIbLb0EES13_EEDaSY_SZ_EUlSY_E_NS1_11comp_targetILNS1_3genE0ELNS1_11target_archE4294967295ELNS1_3gpuE0ELNS1_3repE0EEENS1_30default_config_static_selectorELNS0_4arch9wavefront6targetE0EEEvT1_
; %bb.0:
	s_load_b64 s[34:35], s[0:1], 0x4
	s_clause 0x3
	s_load_b96 s[28:30], s[2:3], 0x58
	s_load_b256 s[4:11], s[2:3], 0x0
	s_load_b256 s[12:19], s[2:3], 0x38
	;; [unrolled: 1-line block ×3, first 2 shown]
	v_mov_b32_e32 v4, 0
	v_and_b32_e32 v8, 0x3ff, v0
	v_bfe_u32 v9, v0, 20, 10
	v_bfe_u32 v0, v0, 10, 10
	v_mov_b64_e32 v[2:3], 0
	v_dual_mov_b32 v5, v4 :: v_dual_mov_b32 v6, v4
	v_mov_b32_e32 v7, v4
	s_barrier_signal -1
	s_barrier_wait -1
	s_clause 0x1
	scratch_store_b32 off, v4, off offset:256
	scratch_store_b128 off, v[4:7], off offset:240
	s_wait_kmcnt 0x0
	s_lshr_b32 s0, s34, 16
	v_mul_u32_u24_e32 v12, s35, v0
	s_mul_i32 s1, s0, s35
	s_mov_b32 s0, s30
	v_mul_u32_u24_e32 v13, s1, v8
	s_mov_b32 s1, 0
.LBB2033_1:                             ; =>This Inner Loop Header: Depth=1
	s_wait_xcnt 0x0
	s_add_co_i32 s2, s1, 0xf0
	s_add_co_i32 s1, s1, 8
	scratch_store_b64 off, v[2:3], s2
	s_cmp_lg_u32 s1, 16
	s_cbranch_scc1 .LBB2033_1
; %bb.2:
	s_wait_xcnt 0x0
	v_mov_b32_e32 v2, 0
	v_mov_b64_e32 v[0:1], 0
	s_mov_b32 s1, 20
	s_movk_i32 s19, 0x104
	s_delay_alu instid0(VALU_DEP_2)
	v_dual_mov_b32 v3, v2 :: v_dual_mov_b32 v4, v2
	v_mov_b32_e32 v5, v2
	s_clause 0x2
	scratch_store_b8 off, v2, off offset:256
	scratch_store_b32 off, v2, off offset:276
	scratch_store_b128 off, v[2:5], off offset:260
.LBB2033_3:                             ; =>This Inner Loop Header: Depth=1
	s_wait_xcnt 0x0
	s_add_co_i32 s2, s1, 0xf0
	s_add_co_i32 s1, s1, 8
	scratch_store_b64 off, v[0:1], s2
	s_cmp_lg_u32 s1, 36
	s_cbranch_scc1 .LBB2033_3
; %bb.4:
	s_wait_xcnt 0x1
	v_mov_b32_e32 v2, 0
	s_wait_xcnt 0x0
	v_mov_b64_e32 v[0:1], 0
	s_mov_b32 s1, 40
	s_movk_i32 s33, 0x118
	v_dual_mov_b32 v3, v2 :: v_dual_mov_b32 v4, v2
	v_mov_b32_e32 v5, v2
	s_clause 0x2
	scratch_store_b8 off, v2, off offset:276
	scratch_store_b32 off, v2, off offset:296
	scratch_store_b128 off, v[2:5], off offset:280
.LBB2033_5:                             ; =>This Inner Loop Header: Depth=1
	s_wait_xcnt 0x0
	s_add_co_i32 s2, s1, 0xf0
	s_add_co_i32 s1, s1, 8
	scratch_store_b64 off, v[0:1], s2
	s_cmp_lg_u32 s1, 56
	s_cbranch_scc1 .LBB2033_5
; %bb.6:
	s_wait_xcnt 0x1
	v_mov_b32_e32 v2, 0
	s_wait_xcnt 0x0
	v_mov_b64_e32 v[0:1], 0
	s_mov_b32 s1, 60
	s_movk_i32 s42, 0x12c
	v_dual_mov_b32 v3, v2 :: v_dual_mov_b32 v4, v2
	v_mov_b32_e32 v5, v2
	s_clause 0x2
	scratch_store_b8 off, v2, off offset:296
	scratch_store_b32 off, v2, off offset:316
	scratch_store_b128 off, v[2:5], off offset:300
.LBB2033_7:                             ; =>This Inner Loop Header: Depth=1
	s_wait_xcnt 0x0
	s_add_co_i32 s2, s1, 0xf0
	s_add_co_i32 s1, s1, 8
	scratch_store_b64 off, v[0:1], s2
	s_cmp_lg_u32 s1, 0x4c
	s_cbranch_scc1 .LBB2033_7
; %bb.8:
	s_wait_xcnt 0x1
	v_mov_b32_e32 v2, 0
	s_wait_xcnt 0x0
	v_mov_b64_e32 v[0:1], 0
	s_movk_i32 s1, 0x50
	s_movk_i32 s43, 0x140
	v_dual_mov_b32 v3, v2 :: v_dual_mov_b32 v4, v2
	v_mov_b32_e32 v5, v2
	s_clause 0x2
	scratch_store_b8 off, v2, off offset:316
	scratch_store_b32 off, v2, off offset:336
	scratch_store_b128 off, v[2:5], off offset:320
.LBB2033_9:                             ; =>This Inner Loop Header: Depth=1
	s_wait_xcnt 0x0
	s_add_co_i32 s2, s1, 0xf0
	s_add_co_i32 s1, s1, 8
	scratch_store_b64 off, v[0:1], s2
	s_cmp_lg_u32 s1, 0x60
	s_cbranch_scc1 .LBB2033_9
; %bb.10:
	s_wait_xcnt 0x1
	v_mov_b32_e32 v2, 0
	s_wait_xcnt 0x0
	v_mov_b64_e32 v[0:1], 0
	s_movk_i32 s1, 0x64
	s_movk_i32 s44, 0x154
	v_dual_mov_b32 v3, v2 :: v_dual_mov_b32 v4, v2
	v_mov_b32_e32 v5, v2
	s_clause 0x2
	scratch_store_b8 off, v2, off offset:336
	scratch_store_b32 off, v2, off offset:356
	scratch_store_b128 off, v[2:5], off offset:340
.LBB2033_11:                            ; =>This Inner Loop Header: Depth=1
	s_wait_xcnt 0x0
	s_add_co_i32 s2, s1, 0xf0
	s_add_co_i32 s1, s1, 8
	scratch_store_b64 off, v[0:1], s2
	s_cmp_lg_u32 s1, 0x74
	s_cbranch_scc1 .LBB2033_11
; %bb.12:
	s_wait_xcnt 0x1
	v_mov_b32_e32 v2, 0
	s_wait_xcnt 0x0
	v_mov_b64_e32 v[0:1], 0
	s_movk_i32 s1, 0x78
	s_movk_i32 s45, 0x168
	v_dual_mov_b32 v3, v2 :: v_dual_mov_b32 v4, v2
	v_mov_b32_e32 v5, v2
	s_clause 0x2
	scratch_store_b8 off, v2, off offset:356
	scratch_store_b32 off, v2, off offset:376
	scratch_store_b128 off, v[2:5], off offset:360
.LBB2033_13:                            ; =>This Inner Loop Header: Depth=1
	s_wait_xcnt 0x0
	s_add_co_i32 s2, s1, 0xf0
	s_add_co_i32 s1, s1, 8
	scratch_store_b64 off, v[0:1], s2
	s_cmp_lg_u32 s1, 0x88
	s_cbranch_scc1 .LBB2033_13
; %bb.14:
	s_wait_xcnt 0x1
	v_mov_b32_e32 v2, 0
	s_wait_xcnt 0x0
	v_mov_b64_e32 v[0:1], 0
	s_movk_i32 s1, 0x8c
	s_movk_i32 s46, 0x17c
	v_dual_mov_b32 v3, v2 :: v_dual_mov_b32 v4, v2
	v_mov_b32_e32 v5, v2
	s_clause 0x2
	scratch_store_b8 off, v2, off offset:376
	scratch_store_b32 off, v2, off offset:396
	scratch_store_b128 off, v[2:5], off offset:380
.LBB2033_15:                            ; =>This Inner Loop Header: Depth=1
	s_wait_xcnt 0x0
	s_add_co_i32 s2, s1, 0xf0
	s_add_co_i32 s1, s1, 8
	scratch_store_b64 off, v[0:1], s2
	s_cmp_lg_u32 s1, 0x9c
	s_cbranch_scc1 .LBB2033_15
; %bb.16:
	s_wait_xcnt 0x1
	v_mov_b32_e32 v2, 0
	s_wait_xcnt 0x0
	v_mov_b64_e32 v[0:1], 0
	s_movk_i32 s1, 0xa0
	s_movk_i32 s47, 0x190
	v_dual_mov_b32 v3, v2 :: v_dual_mov_b32 v4, v2
	v_mov_b32_e32 v5, v2
	s_clause 0x2
	scratch_store_b8 off, v2, off offset:396
	scratch_store_b32 off, v2, off offset:416
	scratch_store_b128 off, v[2:5], off offset:400
.LBB2033_17:                            ; =>This Inner Loop Header: Depth=1
	s_wait_xcnt 0x0
	s_add_co_i32 s2, s1, 0xf0
	s_add_co_i32 s1, s1, 8
	scratch_store_b64 off, v[0:1], s2
	s_cmp_lg_u32 s1, 0xb0
	s_cbranch_scc1 .LBB2033_17
; %bb.18:
	s_wait_xcnt 0x1
	v_mov_b32_e32 v2, 0
	s_wait_xcnt 0x0
	v_mov_b64_e32 v[0:1], 0
	s_movk_i32 s1, 0xb4
	s_movk_i32 s48, 0x1a4
	v_dual_mov_b32 v3, v2 :: v_dual_mov_b32 v4, v2
	v_mov_b32_e32 v5, v2
	s_clause 0x2
	scratch_store_b8 off, v2, off offset:416
	scratch_store_b32 off, v2, off offset:436
	scratch_store_b128 off, v[2:5], off offset:420
.LBB2033_19:                            ; =>This Inner Loop Header: Depth=1
	s_wait_xcnt 0x0
	s_add_co_i32 s2, s1, 0xf0
	s_add_co_i32 s1, s1, 8
	scratch_store_b64 off, v[0:1], s2
	s_cmp_lg_u32 s1, 0xc4
	s_cbranch_scc1 .LBB2033_19
; %bb.20:
	s_wait_xcnt 0x0
	v_mov_b64_e32 v[0:1], 0
	v_mov_b32_e32 v2, 0
	s_mov_b32 s1, 0
	scratch_store_b8 off, v2, off offset:436
.LBB2033_21:                            ; =>This Inner Loop Header: Depth=1
	s_wait_xcnt 0x0
	s_mov_b32 s2, s1
	s_add_co_i32 s1, s1, 8
	scratch_store_b64 off, v[0:1], s2
	s_cmp_lg_u32 s1, 16
	s_cbranch_scc1 .LBB2033_21
; %bb.22:
	s_wait_xcnt 0x0
	v_mov_b64_e32 v[0:1], 0
	s_mov_b32 s1, 16
.LBB2033_23:                            ; =>This Inner Loop Header: Depth=1
	s_wait_xcnt 0x0
	s_mov_b32 s2, s1
	s_add_co_i32 s1, s1, 8
	scratch_store_b64 off, v[0:1], s2
	s_cmp_lg_u32 s1, 32
	s_cbranch_scc1 .LBB2033_23
; %bb.24:
	s_wait_xcnt 0x0
	v_mov_b64_e32 v[0:1], 0
	s_mov_b32 s1, 32
	;; [unrolled: 11-line block ×4, first 2 shown]
.LBB2033_29:                            ; =>This Inner Loop Header: Depth=1
	s_wait_xcnt 0x0
	s_mov_b32 s2, s1
	s_add_co_i32 s1, s1, 8
	scratch_store_b64 off, v[0:1], s2
	s_cmp_lg_u32 s1, 0x50
	s_cbranch_scc1 .LBB2033_29
; %bb.30:
	s_wait_xcnt 0x0
	v_mov_b64_e32 v[0:1], 0
	s_movk_i32 s1, 0x50
.LBB2033_31:                            ; =>This Inner Loop Header: Depth=1
	s_wait_xcnt 0x0
	s_mov_b32 s2, s1
	s_add_co_i32 s1, s1, 8
	scratch_store_b64 off, v[0:1], s2
	s_cmp_lg_u32 s1, 0x60
	s_cbranch_scc1 .LBB2033_31
; %bb.32:
	s_wait_xcnt 0x0
	v_mov_b64_e32 v[0:1], 0
	s_movk_i32 s1, 0x60
	;; [unrolled: 11-line block ×5, first 2 shown]
.LBB2033_39:                            ; =>This Inner Loop Header: Depth=1
	s_wait_xcnt 0x0
	s_mov_b32 s2, s1
	s_add_co_i32 s1, s1, 8
	scratch_store_b64 off, v[0:1], s2
	s_cmp_lg_u32 s1, 0xa0
	s_cbranch_scc1 .LBB2033_39
; %bb.40:
	s_bfe_u32 s1, ttmp6, 0x4000c
	s_wait_xcnt 0x0
	s_and_b32 s2, ttmp6, 15
	s_add_co_i32 s1, s1, 1
	s_getreg_b32 s3, hwreg(HW_REG_IB_STS2, 6, 4)
	s_mul_i32 s1, ttmp9, s1
	s_add_nc_u64 s[40:41], s[20:21], -1
	s_add_co_i32 s2, s2, s1
	s_cmp_eq_u32 s3, 0
	s_mov_b32 s1, 0
	s_cselect_b32 s30, ttmp9, s2
	s_mul_u64 s[34:35], s[28:29], s[0:1]
	s_mov_b32 s31, s1
	s_cmp_lg_u64 s[24:25], 0
	s_add_nc_u64 s[38:39], s[34:35], s[30:31]
	s_mul_i32 s2, s30, 0x280
	v_cmp_ge_u64_e64 s31, s[38:39], s[40:41]
	s_cselect_b32 s59, -1, 0
	s_lshl_b64 s[24:25], s[6:7], 4
	s_lshl_b64 s[6:7], s[6:7], 2
	s_mov_b32 s3, s1
	s_add_nc_u64 s[8:9], s[8:9], s[24:25]
	s_add_nc_u64 s[4:5], s[4:5], s[6:7]
	s_lshl_b64 s[6:7], s[2:3], 2
	s_lshl_b64 s[20:21], s[2:3], 4
	s_movk_i32 s54, 0x90
	s_movk_i32 s55, 0x80
	s_movk_i32 s56, 0x70
	s_movk_i32 s57, 0x60
	s_movk_i32 s58, 0x50
	s_mov_b32 s49, 64
	s_mov_b32 s50, 48
	;; [unrolled: 1-line block ×4, first 2 shown]
	s_add_nc_u64 s[36:37], s[4:5], s[6:7]
	s_add_nc_u64 s[34:35], s[8:9], s[20:21]
	s_and_b32 vcc_lo, exec_lo, s31
	s_mul_i32 s53, s40, 0xfffffd80
	s_cbranch_vccz .LBB2033_64
; %bb.41:
	v_mov_b32_e32 v0, 0
	s_add_co_i32 s60, s53, s18
	s_delay_alu instid0(SALU_CYCLE_1)
	v_cmp_gt_u32_e64 s0, s60, v8
	flat_load_b32 v0, v0, s[36:37]
	s_wait_loadcnt_dscnt 0x0
	v_mov_b32_e32 v1, v0
	s_wait_xcnt 0x0
	s_and_saveexec_b32 s1, s0
	s_cbranch_execz .LBB2033_43
; %bb.42:
	flat_load_b32 v1, v8, s[36:37] scale_offset
.LBB2033_43:
	s_wait_xcnt 0x0
	s_or_b32 exec_lo, exec_lo, s1
	v_add_nc_u32_e32 v2, 64, v8
	s_delay_alu instid0(VALU_DEP_1)
	v_cmp_gt_u32_e64 s1, s60, v2
	v_mov_b32_e32 v2, v0
	s_and_saveexec_b32 s2, s1
	s_cbranch_execz .LBB2033_45
; %bb.44:
	flat_load_b32 v2, v8, s[36:37] offset:256 scale_offset
.LBB2033_45:
	s_wait_xcnt 0x0
	s_or_b32 exec_lo, exec_lo, s2
	v_add_nc_u32_e32 v3, 0x80, v8
	s_delay_alu instid0(VALU_DEP_1)
	v_cmp_gt_u32_e64 s2, s60, v3
	v_mov_b32_e32 v3, v0
	s_and_saveexec_b32 s3, s2
	s_cbranch_execz .LBB2033_47
; %bb.46:
	flat_load_b32 v3, v8, s[36:37] offset:512 scale_offset
.LBB2033_47:
	;; [unrolled: 11-line block ×8, first 2 shown]
	s_wait_xcnt 0x0
	s_or_b32 exec_lo, exec_lo, s9
	v_add_nc_u32_e32 v14, 0x240, v8
	s_mov_b32 s40, exec_lo
	s_delay_alu instid0(VALU_DEP_1) | instskip(SKIP_2) | instid1(SALU_CYCLE_1)
	v_cmp_gt_u32_e64 s9, s60, v14
	v_cmpx_le_u32_e64 s60, v14
	s_xor_b32 s40, exec_lo, s40
	s_and_not1_saveexec_b32 s40, s40
	s_cbranch_execz .LBB2033_61
; %bb.60:
	flat_load_b32 v0, v8, s[36:37] offset:2304 scale_offset
.LBB2033_61:
	s_wait_xcnt 0x0
	s_or_b32 exec_lo, exec_lo, s40
	v_lshlrev_b32_e32 v14, 2, v8
	s_cmp_eq_u64 s[38:39], 0
	s_mov_b64 s[40:41], s[36:37]
	s_wait_loadcnt_dscnt 0x0
	ds_store_2addr_stride64_b32 v14, v1, v2 offset1:1
	ds_store_2addr_stride64_b32 v14, v3, v4 offset0:2 offset1:3
	ds_store_2addr_stride64_b32 v14, v5, v6 offset0:4 offset1:5
	;; [unrolled: 1-line block ×4, first 2 shown]
	v_mad_u32_u24 v14, v8, 36, v14
	s_wait_storecnt_dscnt 0x0
	s_barrier_signal -1
	s_barrier_wait -1
	ds_load_2addr_b64 v[4:7], v14 offset1:1
	ds_load_2addr_b64 v[0:3], v14 offset0:2 offset1:3
	ds_load_b64 v[10:11], v14 offset:32
	s_cbranch_scc1 .LBB2033_67
; %bb.62:
	s_and_not1_b32 vcc_lo, exec_lo, s59
	s_cbranch_vccnz .LBB2033_65
; %bb.63:
	s_lshl_b64 s[40:41], s[38:39], 2
	s_mov_b32 s61, 0
	s_add_nc_u64 s[40:41], s[26:27], s[40:41]
	s_delay_alu instid0(SALU_CYCLE_1)
	s_add_nc_u64 s[40:41], s[40:41], -4
	s_branch .LBB2033_66
.LBB2033_64:
                                        ; implicit-def: $sgpr0
	s_cbranch_execnz .LBB2033_99
	s_branch .LBB2033_116
.LBB2033_65:
	s_add_nc_u64 s[40:41], s[36:37], -4
	s_mov_b32 s61, -1
.LBB2033_66:
	s_delay_alu instid0(SALU_CYCLE_1)
	s_and_not1_b32 vcc_lo, exec_lo, s61
.LBB2033_67:
	v_mov_b32_e32 v15, 0
	v_mad_i32_i24 v14, 0xffffffdc, v8, v14
	flat_load_b32 v16, v15, s[40:41]
	s_wait_xcnt 0x0
	s_mov_b32 s40, exec_lo
	s_wait_dscnt 0x1
	ds_store_b32 v14, v11 offset:2560
	s_wait_loadcnt_dscnt 0x0
	s_barrier_signal -1
	s_barrier_wait -1
	v_cmpx_ne_u32_e32 0, v8
; %bb.68:
	ds_load_b32 v16, v14 offset:2556
; %bb.69:
	s_or_b32 exec_lo, exec_lo, s40
	s_wait_dscnt 0x0
	s_barrier_signal -1
	s_barrier_wait -1
	s_and_saveexec_b32 s40, s0
	s_cbranch_execnz .LBB2033_102
; %bb.70:
	s_or_b32 exec_lo, exec_lo, s40
	s_and_saveexec_b32 s0, s1
	s_cbranch_execnz .LBB2033_103
.LBB2033_71:
	s_or_b32 exec_lo, exec_lo, s0
	s_and_saveexec_b32 s0, s2
	s_cbranch_execnz .LBB2033_104
.LBB2033_72:
	s_or_b32 exec_lo, exec_lo, s0
	s_and_saveexec_b32 s0, s3
	s_cbranch_execnz .LBB2033_105
.LBB2033_73:
	s_or_b32 exec_lo, exec_lo, s0
	s_and_saveexec_b32 s0, s4
	s_cbranch_execnz .LBB2033_106
.LBB2033_74:
	s_or_b32 exec_lo, exec_lo, s0
	s_and_saveexec_b32 s0, s5
	s_cbranch_execnz .LBB2033_107
.LBB2033_75:
	s_or_b32 exec_lo, exec_lo, s0
	s_and_saveexec_b32 s0, s6
	s_cbranch_execnz .LBB2033_108
.LBB2033_76:
	s_or_b32 exec_lo, exec_lo, s0
	s_and_saveexec_b32 s0, s7
	s_cbranch_execnz .LBB2033_109
.LBB2033_77:
	s_or_b32 exec_lo, exec_lo, s0
	s_and_saveexec_b32 s0, s8
	s_cbranch_execnz .LBB2033_110
.LBB2033_78:
	s_or_b32 exec_lo, exec_lo, s0
	s_and_saveexec_b32 s0, s9
	s_cbranch_execz .LBB2033_80
.LBB2033_79:
	flat_load_b128 v[18:21], v8, s[34:35] offset:9216 scale_offset
	s_wait_loadcnt_dscnt 0x0
	scratch_store_b128 off, v[18:21], off offset:144
.LBB2033_80:
	s_wait_xcnt 0x0
	s_or_b32 exec_lo, exec_lo, s0
	scratch_load_b128 v[18:21], off, off
	s_clause 0x8
	scratch_load_b128 v[22:25], off, s52
	scratch_load_b128 v[26:29], off, s51
	;; [unrolled: 1-line block ×9, first 2 shown]
	v_mad_u32_u24 v15, v8, 12, v14
	s_mov_b32 s2, 0
	s_mov_b32 s1, 0
	s_mov_b32 s3, exec_lo
                                        ; implicit-def: $sgpr0
	s_wait_loadcnt 0x9
	ds_store_b128 v15, v[18:21]
	s_wait_loadcnt 0x8
	ds_store_b128 v15, v[22:25] offset:1024
	s_wait_loadcnt 0x7
	ds_store_b128 v15, v[26:29] offset:2048
	;; [unrolled: 2-line block ×9, first 2 shown]
	v_mad_u32_u24 v14, 0x90, v8, v15
	s_wait_storecnt_dscnt 0x0
	s_barrier_signal -1
	s_barrier_wait -1
	ds_load_b128 v[18:21], v14 offset:16
	ds_load_b128 v[22:25], v14 offset:32
	;; [unrolled: 1-line block ×9, first 2 shown]
	v_mul_u32_u24_e32 v15, 10, v8
	s_wait_dscnt 0x8
	scratch_store_b128 off, v[18:21], s52
	s_wait_dscnt 0x7
	scratch_store_b128 off, v[22:25], s51
	;; [unrolled: 2-line block ×9, first 2 shown]
	s_wait_xcnt 0x0
	v_cmpx_gt_u32_e64 s60, v15
	s_cbranch_execz .LBB2033_98
; %bb.81:
	ds_load_b128 v[18:21], v14
	v_cmp_ne_u32_e32 vcc_lo, v16, v4
	v_or_b32_e32 v17, 1, v15
	s_mov_b32 s4, 0
	s_mov_b32 s1, exec_lo
                                        ; implicit-def: $sgpr0
	v_cndmask_b32_e64 v16, 0, 1, vcc_lo
	s_wait_dscnt 0x0
	s_clause 0x1
	scratch_store_b128 off, v[18:21], off offset:240
	scratch_store_b8 off, v16, off offset:256
	s_wait_xcnt 0x0
	v_cmpx_gt_u32_e64 s60, v17
	s_cbranch_execz .LBB2033_97
; %bb.82:
	v_dual_add_nc_u32 v16, 16, v14 :: v_dual_add_nc_u32 v20, 2, v15
	v_cmp_ne_u32_e32 vcc_lo, v4, v5
	s_mov_b32 s5, 0
	s_mov_b32 s4, exec_lo
	ds_load_2addr_b32 v[18:19], v16 offset0:2 offset1:3
	ds_load_2addr_b32 v[16:17], v16 offset1:1
                                        ; implicit-def: $sgpr0
	v_cndmask_b32_e64 v4, 0, 1, vcc_lo
	s_wait_dscnt 0x0
	scratch_store_b128 off, v[16:19], s19
	scratch_store_b8 off, v4, off offset:276
	s_wait_xcnt 0x0
	v_cmpx_gt_u32_e64 s60, v20
	s_cbranch_execz .LBB2033_96
; %bb.83:
	v_add_nc_u32_e32 v4, 32, v14
	v_cmp_ne_u32_e32 vcc_lo, v5, v6
	s_mov_b32 s6, 0
	s_mov_b32 s5, exec_lo
                                        ; implicit-def: $sgpr0
	ds_load_2addr_b64 v[16:19], v4 offset1:1
	v_add_nc_u32_e32 v4, 3, v15
	v_cndmask_b32_e64 v5, 0, 1, vcc_lo
	s_wait_dscnt 0x0
	scratch_store_b128 off, v[16:19], s33
	scratch_store_b8 off, v5, off offset:296
	s_wait_xcnt 0x0
	v_cmpx_gt_u32_e64 s60, v4
	s_cbranch_execz .LBB2033_95
; %bb.84:
	v_add_nc_u32_e32 v4, 48, v14
	v_cmp_ne_u32_e32 vcc_lo, v6, v7
	s_mov_b32 s7, 0
	s_mov_b32 s6, exec_lo
                                        ; implicit-def: $sgpr0
	ds_load_2addr_b32 v[18:19], v4 offset0:2 offset1:3
	ds_load_2addr_b32 v[16:17], v4 offset1:1
	v_add_nc_u32_e32 v4, 4, v15
	v_cndmask_b32_e64 v5, 0, 1, vcc_lo
	s_wait_dscnt 0x0
	scratch_store_b128 off, v[16:19], s42
	scratch_store_b8 off, v5, off offset:316
	s_wait_xcnt 0x0
	v_cmpx_gt_u32_e64 s60, v4
	s_cbranch_execz .LBB2033_94
; %bb.85:
	v_add_nc_u32_e32 v4, 64, v14
	v_cmp_ne_u32_e32 vcc_lo, v7, v0
	s_mov_b32 s8, 0
	s_mov_b32 s7, exec_lo
                                        ; implicit-def: $sgpr0
	ds_load_b128 v[16:19], v4
	v_add_nc_u32_e32 v4, 5, v15
	v_cndmask_b32_e64 v5, 0, 1, vcc_lo
	s_wait_dscnt 0x0
	scratch_store_b128 off, v[16:19], s43
	scratch_store_b8 off, v5, off offset:336
	s_wait_xcnt 0x0
	v_cmpx_gt_u32_e64 s60, v4
	s_cbranch_execz .LBB2033_93
; %bb.86:
	v_add_nc_u32_e32 v4, 0x50, v14
	v_cmp_ne_u32_e32 vcc_lo, v0, v1
	v_add_nc_u32_e32 v16, 6, v15
	s_mov_b32 s9, 0
	s_mov_b32 s8, exec_lo
	ds_load_2addr_b32 v[6:7], v4 offset0:2 offset1:3
	ds_load_2addr_b32 v[4:5], v4 offset1:1
	v_cndmask_b32_e64 v0, 0, 1, vcc_lo
                                        ; implicit-def: $sgpr0
	s_wait_dscnt 0x0
	scratch_store_b128 off, v[4:7], s44
	scratch_store_b8 off, v0, off offset:356
	s_wait_xcnt 0x0
	v_cmpx_gt_u32_e64 s60, v16
	s_cbranch_execz .LBB2033_92
; %bb.87:
	v_add_nc_u32_e32 v0, 0x60, v14
	v_cmp_ne_u32_e32 vcc_lo, v1, v2
	s_mov_b32 s40, 0
	s_mov_b32 s9, exec_lo
                                        ; implicit-def: $sgpr0
	ds_load_2addr_b64 v[4:7], v0 offset1:1
	v_add_nc_u32_e32 v0, 7, v15
	v_cndmask_b32_e64 v1, 0, 1, vcc_lo
	s_wait_dscnt 0x0
	scratch_store_b128 off, v[4:7], s45
	scratch_store_b8 off, v1, off offset:376
	s_wait_xcnt 0x0
	v_cmpx_gt_u32_e64 s60, v0
	s_cbranch_execz .LBB2033_91
; %bb.88:
	v_add_nc_u32_e32 v0, 0x70, v14
	v_cmp_ne_u32_e32 vcc_lo, v2, v3
	s_mov_b32 s41, 0
	s_mov_b32 s40, exec_lo
                                        ; implicit-def: $sgpr0
	ds_load_2addr_b32 v[6:7], v0 offset0:2 offset1:3
	ds_load_2addr_b32 v[4:5], v0 offset1:1
	v_add_nc_u32_e32 v0, 8, v15
	v_cndmask_b32_e64 v1, 0, 1, vcc_lo
	s_wait_dscnt 0x0
	scratch_store_b128 off, v[4:7], s46
	scratch_store_b8 off, v1, off offset:396
	s_wait_xcnt 0x0
	v_cmpx_gt_u32_e64 s60, v0
	s_xor_b32 s40, exec_lo, s40
	s_cbranch_execz .LBB2033_90
; %bb.89:
	v_add_nc_u32_e32 v0, 0x80, v14
	v_cmp_ne_u32_e64 s0, v3, v10
	ds_load_b128 v[4:7], v0
	v_add_nc_u32_e32 v0, 9, v15
	s_delay_alu instid0(VALU_DEP_1)
	v_cmp_gt_u32_e32 vcc_lo, s60, v0
	v_cndmask_b32_e64 v0, 0, 1, s0
	v_cmp_ne_u32_e64 s0, v10, v11
	s_wait_dscnt 0x0
	scratch_store_b128 off, v[4:7], s47
	scratch_store_b8 off, v0, off offset:416
	s_and_b32 s41, vcc_lo, exec_lo
.LBB2033_90:
	s_wait_xcnt 0x0
	s_or_b32 exec_lo, exec_lo, s40
	s_delay_alu instid0(SALU_CYCLE_1)
	s_and_b32 s40, s41, exec_lo
.LBB2033_91:
	s_or_b32 exec_lo, exec_lo, s9
	s_delay_alu instid0(SALU_CYCLE_1)
	s_and_b32 s9, s40, exec_lo
.LBB2033_92:
	s_or_b32 exec_lo, exec_lo, s8
	s_delay_alu instid0(SALU_CYCLE_1)
	s_and_b32 s8, s9, exec_lo
.LBB2033_93:
	s_or_b32 exec_lo, exec_lo, s7
	s_delay_alu instid0(SALU_CYCLE_1)
	s_and_b32 s7, s8, exec_lo
.LBB2033_94:
	s_or_b32 exec_lo, exec_lo, s6
	s_delay_alu instid0(SALU_CYCLE_1)
	s_and_b32 s6, s7, exec_lo
.LBB2033_95:
	s_or_b32 exec_lo, exec_lo, s5
	s_delay_alu instid0(SALU_CYCLE_1)
	s_and_b32 s5, s6, exec_lo
.LBB2033_96:
	s_or_b32 exec_lo, exec_lo, s4
	s_delay_alu instid0(SALU_CYCLE_1)
	s_and_b32 s4, s5, exec_lo
.LBB2033_97:
	s_or_b32 exec_lo, exec_lo, s1
	s_delay_alu instid0(SALU_CYCLE_1)
	s_and_b32 s1, s4, exec_lo
.LBB2033_98:
	s_or_b32 exec_lo, exec_lo, s3
	s_delay_alu instid0(SALU_CYCLE_1)
	s_and_b32 vcc_lo, exec_lo, s2
	s_cbranch_vccz .LBB2033_116
.LBB2033_99:
	s_clause 0x9
	flat_load_b32 v0, v8, s[36:37] scale_offset
	flat_load_b32 v1, v8, s[36:37] offset:256 scale_offset
	flat_load_b32 v2, v8, s[36:37] offset:512 scale_offset
	;; [unrolled: 1-line block ×9, first 2 shown]
	v_lshlrev_b32_e32 v14, 2, v8
	s_cmp_eq_u64 s[38:39], 0
	s_wait_loadcnt_dscnt 0x808
	ds_store_2addr_stride64_b32 v14, v0, v1 offset1:1
	s_wait_loadcnt_dscnt 0x607
	ds_store_2addr_stride64_b32 v14, v2, v3 offset0:2 offset1:3
	s_wait_loadcnt_dscnt 0x406
	ds_store_2addr_stride64_b32 v14, v4, v5 offset0:4 offset1:5
	;; [unrolled: 2-line block ×4, first 2 shown]
	v_mad_u32_u24 v15, v8, 36, v14
	s_wait_storecnt_dscnt 0x0
	s_barrier_signal -1
	s_barrier_wait -1
	ds_load_2addr_b64 v[0:3], v15 offset1:1
	ds_load_2addr_b64 v[4:7], v15 offset0:2 offset1:3
	ds_load_b64 v[10:11], v15 offset:32
	v_mov_b32_e32 v14, 0
	s_cbranch_scc1 .LBB2033_113
; %bb.100:
	s_and_not1_b32 vcc_lo, exec_lo, s59
	s_cbranch_vccnz .LBB2033_111
; %bb.101:
	s_lshl_b64 s[0:1], s[38:39], 2
	s_delay_alu instid0(SALU_CYCLE_1)
	s_add_nc_u64 s[0:1], s[26:27], s[0:1]
	s_wait_xcnt 0x0
	s_add_nc_u64 s[36:37], s[0:1], -4
	s_mov_b32 s0, 0
	s_branch .LBB2033_112
.LBB2033_102:
	flat_load_b128 v[18:21], v8, s[34:35] scale_offset
	s_wait_loadcnt_dscnt 0x0
	scratch_store_b128 off, v[18:21], off
	s_wait_xcnt 0x0
	s_or_b32 exec_lo, exec_lo, s40
	s_and_saveexec_b32 s0, s1
	s_cbranch_execz .LBB2033_71
.LBB2033_103:
	flat_load_b128 v[18:21], v8, s[34:35] offset:1024 scale_offset
	s_wait_loadcnt_dscnt 0x0
	scratch_store_b128 off, v[18:21], off offset:16
	s_wait_xcnt 0x0
	s_or_b32 exec_lo, exec_lo, s0
	s_and_saveexec_b32 s0, s2
	s_cbranch_execz .LBB2033_72
.LBB2033_104:
	flat_load_b128 v[18:21], v8, s[34:35] offset:2048 scale_offset
	s_wait_loadcnt_dscnt 0x0
	scratch_store_b128 off, v[18:21], off offset:32
	s_wait_xcnt 0x0
	s_or_b32 exec_lo, exec_lo, s0
	s_and_saveexec_b32 s0, s3
	s_cbranch_execz .LBB2033_73
.LBB2033_105:
	flat_load_b128 v[18:21], v8, s[34:35] offset:3072 scale_offset
	s_wait_loadcnt_dscnt 0x0
	scratch_store_b128 off, v[18:21], off offset:48
	s_wait_xcnt 0x0
	s_or_b32 exec_lo, exec_lo, s0
	s_and_saveexec_b32 s0, s4
	s_cbranch_execz .LBB2033_74
.LBB2033_106:
	flat_load_b128 v[18:21], v8, s[34:35] offset:4096 scale_offset
	s_wait_loadcnt_dscnt 0x0
	scratch_store_b128 off, v[18:21], off offset:64
	s_wait_xcnt 0x0
	s_or_b32 exec_lo, exec_lo, s0
	s_and_saveexec_b32 s0, s5
	s_cbranch_execz .LBB2033_75
.LBB2033_107:
	flat_load_b128 v[18:21], v8, s[34:35] offset:5120 scale_offset
	s_wait_loadcnt_dscnt 0x0
	scratch_store_b128 off, v[18:21], off offset:80
	s_wait_xcnt 0x0
	s_or_b32 exec_lo, exec_lo, s0
	s_and_saveexec_b32 s0, s6
	s_cbranch_execz .LBB2033_76
.LBB2033_108:
	flat_load_b128 v[18:21], v8, s[34:35] offset:6144 scale_offset
	s_wait_loadcnt_dscnt 0x0
	scratch_store_b128 off, v[18:21], off offset:96
	s_wait_xcnt 0x0
	s_or_b32 exec_lo, exec_lo, s0
	s_and_saveexec_b32 s0, s7
	s_cbranch_execz .LBB2033_77
.LBB2033_109:
	flat_load_b128 v[18:21], v8, s[34:35] offset:7168 scale_offset
	s_wait_loadcnt_dscnt 0x0
	scratch_store_b128 off, v[18:21], off offset:112
	s_wait_xcnt 0x0
	s_or_b32 exec_lo, exec_lo, s0
	s_and_saveexec_b32 s0, s8
	s_cbranch_execz .LBB2033_78
.LBB2033_110:
	flat_load_b128 v[18:21], v8, s[34:35] offset:8192 scale_offset
	s_wait_loadcnt_dscnt 0x0
	scratch_store_b128 off, v[18:21], off offset:128
	s_wait_xcnt 0x0
	s_or_b32 exec_lo, exec_lo, s0
	s_and_saveexec_b32 s0, s9
	s_cbranch_execnz .LBB2033_79
	s_branch .LBB2033_80
.LBB2033_111:
	s_wait_xcnt 0x0
	s_add_nc_u64 s[36:37], s[36:37], -4
	s_mov_b32 s0, -1
.LBB2033_112:
	s_delay_alu instid0(SALU_CYCLE_1)
	s_and_not1_b32 vcc_lo, exec_lo, s0
.LBB2033_113:
	flat_load_b32 v14, v14, s[36:37]
	v_mad_i32_i24 v15, 0xffffffdc, v8, v15
	s_mov_b32 s0, exec_lo
	s_wait_dscnt 0x1
	ds_store_b32 v15, v11 offset:2560
	s_wait_loadcnt_dscnt 0x0
	s_barrier_signal -1
	s_barrier_wait -1
	v_cmpx_ne_u32_e32 0, v8
; %bb.114:
	ds_load_b32 v14, v15 offset:2556
; %bb.115:
	s_or_b32 exec_lo, exec_lo, s0
	s_wait_dscnt 0x0
	s_barrier_signal -1
	s_barrier_wait -1
	flat_load_b128 v[16:19], v8, s[34:35] scale_offset
	v_cmp_ne_u32_e32 vcc_lo, v7, v10
	v_cmp_ne_u32_e64 s0, v10, v11
	s_mov_b32 s1, -1
	v_cndmask_b32_e64 v10, 0, 1, vcc_lo
	v_cmp_ne_u32_e32 vcc_lo, v6, v7
	v_cndmask_b32_e64 v11, 0, 1, vcc_lo
	v_cmp_ne_u32_e32 vcc_lo, v5, v6
	;; [unrolled: 2-line block ×6, first 2 shown]
	v_mad_u32_u24 v2, v8, 12, v15
	v_cndmask_b32_e64 v82, 0, 1, vcc_lo
	v_cmp_ne_u32_e32 vcc_lo, v0, v1
	s_delay_alu instid0(VALU_DEP_3)
	v_mad_u32_u24 v74, 0x90, v8, v2
	v_cndmask_b32_e64 v83, 0, 1, vcc_lo
	v_cmp_ne_u32_e32 vcc_lo, v14, v0
	v_cndmask_b32_e64 v84, 0, 1, vcc_lo
	s_wait_loadcnt_dscnt 0x0
	scratch_store_b128 off, v[16:19], off
	flat_load_b128 v[16:19], v8, s[34:35] offset:1024 scale_offset
	s_wait_loadcnt_dscnt 0x0
	scratch_store_b128 off, v[16:19], off offset:16
	flat_load_b128 v[16:19], v8, s[34:35] offset:2048 scale_offset
	s_wait_loadcnt_dscnt 0x0
	scratch_store_b128 off, v[16:19], off offset:32
	;; [unrolled: 3-line block ×8, first 2 shown]
	flat_load_b128 v[16:19], v8, s[34:35] offset:9216 scale_offset
	scratch_load_b128 v[20:23], off, off
	s_clause 0x6
	scratch_load_b128 v[24:27], off, s52
	scratch_load_b128 v[28:31], off, s51
	;; [unrolled: 1-line block ×7, first 2 shown]
	s_wait_loadcnt_dscnt 0x800
	scratch_store_b128 off, v[16:19], off offset:144
	s_clause 0x1
	scratch_load_b128 v[16:19], off, s55
	scratch_load_b128 v[52:55], off, s54
	s_wait_loadcnt 0x9
	ds_store_b128 v2, v[20:23]
	s_wait_loadcnt 0x8
	ds_store_b128 v2, v[24:27] offset:1024
	s_wait_loadcnt 0x7
	ds_store_b128 v2, v[28:31] offset:2048
	;; [unrolled: 2-line block ×9, first 2 shown]
	s_wait_storecnt_dscnt 0x0
	s_barrier_signal -1
	s_barrier_wait -1
	ds_load_b128 v[0:3], v74 offset:16
	ds_load_b128 v[4:7], v74 offset:32
	;; [unrolled: 1-line block ×9, first 2 shown]
	ds_load_b128 v[42:45], v74
	ds_load_2addr_b32 v[48:49], v74 offset0:6 offset1:7
	ds_load_2addr_b32 v[46:47], v74 offset0:4 offset1:5
	ds_load_2addr_b64 v[50:53], v74 offset0:4 offset1:5
	ds_load_2addr_b32 v[56:57], v74 offset0:14 offset1:15
	ds_load_2addr_b32 v[54:55], v74 offset0:12 offset1:13
	ds_load_b128 v[58:61], v74 offset:64
	ds_load_2addr_b32 v[64:65], v74 offset0:22 offset1:23
	ds_load_2addr_b32 v[62:63], v74 offset0:20 offset1:21
	ds_load_2addr_b64 v[66:69], v74 offset0:12 offset1:13
	ds_load_2addr_b32 v[72:73], v74 offset0:30 offset1:31
	ds_load_2addr_b32 v[70:71], v74 offset0:28 offset1:29
	ds_load_b128 v[74:77], v74 offset:128
	s_wait_dscnt 0x15
	scratch_store_b128 off, v[0:3], s52
	s_wait_dscnt 0x14
	scratch_store_b128 off, v[4:7], s51
	;; [unrolled: 2-line block ×11, first 2 shown]
	s_clause 0x3
	scratch_store_b128 off, v[42:45], off offset:240
	scratch_store_b8 off, v84, off offset:256
	scratch_store_b8 off, v83, off offset:276
	;; [unrolled: 1-line block ×3, first 2 shown]
	s_wait_dscnt 0x7
	scratch_store_b128 off, v[54:57], s42
	s_wait_dscnt 0x6
	scratch_store_b128 off, v[58:61], s43
	s_wait_dscnt 0x4
	scratch_store_b128 off, v[62:65], s44
	s_wait_dscnt 0x3
	scratch_store_b128 off, v[66:69], s45
	s_wait_dscnt 0x1
	scratch_store_b128 off, v[70:73], s46
	s_wait_dscnt 0x0
	scratch_store_b128 off, v[74:77], s47
	s_clause 0x5
	scratch_store_b8 off, v81, off offset:316
	scratch_store_b8 off, v80, off offset:336
	;; [unrolled: 1-line block ×6, first 2 shown]
.LBB2033_116:
	s_wait_xcnt 0x0
	s_and_saveexec_b32 s2, s1
	s_cbranch_execz .LBB2033_118
; %bb.117:
	scratch_load_b128 v[0:3], off, s54
	v_cndmask_b32_e64 v4, 0, 1, s0
	s_wait_loadcnt 0x0
	scratch_store_b128 off, v[0:3], s48
	scratch_store_b8 off, v4, off offset:436
.LBB2033_118:
	s_wait_xcnt 0x0
	s_or_b32 exec_lo, exec_lo, s2
	v_add3_u32 v9, v13, v12, v9
	s_cmp_lg_u32 s30, 0
	s_mov_b32 s0, 0
	s_wait_storecnt 0x0
	s_barrier_signal -1
	s_barrier_wait -1
	s_cbranch_scc0 .LBB2033_376
; %bb.119:
	v_mov_b64_e32 v[0:1], 0
	v_mov_b32_e32 v2, 0
	scratch_store_b32 off, v2, off offset:16
.LBB2033_120:                           ; =>This Inner Loop Header: Depth=1
	s_wait_xcnt 0x0
	s_mov_b32 s1, s0
	s_add_co_i32 s0, s0, 8
	scratch_store_b64 off, v[0:1], s1
	s_cmp_lg_u32 s0, 16
	s_cbranch_scc1 .LBB2033_120
; %bb.121:
	s_clause 0x2
	scratch_load_u8 v4, off, off offset:276
	scratch_load_b128 v[0:3], off, off offset:240
	scratch_load_u8 v5, off, off offset:256
	s_mov_b32 s0, exec_lo
	s_wait_loadcnt 0x1
	scratch_store_b128 off, v[0:3], off
	s_wait_loadcnt 0x0
	scratch_store_b8 off, v5, off offset:16
                                        ; implicit-def: $vgpr2_vgpr3
	s_wait_xcnt 0x0
	v_cmpx_ne_u16_e32 0, v4
	s_xor_b32 s0, exec_lo, s0
	s_cbranch_execz .LBB2033_123
; %bb.122:
	scratch_load_b128 v[0:3], off, off offset:260
.LBB2033_123:
	s_wait_xcnt 0x0
	s_or_saveexec_b32 s0, s0
	v_lshl_add_u32 v6, v9, 4, 0x2800
	s_xor_b32 exec_lo, exec_lo, s0
	s_cbranch_execz .LBB2033_129
; %bb.124:
	s_wait_loadcnt 0x0
	v_mov_b32_e32 v0, 0
	s_mov_b32 s1, 0
.LBB2033_125:                           ; =>This Inner Loop Header: Depth=1
	s_delay_alu instid0(SALU_CYCLE_1) | instskip(SKIP_1) | instid1(SALU_CYCLE_1)
	v_add_nc_u32_e32 v1, s1, v6
	s_add_co_i32 s1, s1, 8
	s_cmp_lg_u32 s1, 16
	ds_store_2addr_b32 v1, v0, v0 offset1:1
	s_cbranch_scc1 .LBB2033_125
; %bb.126:
	s_mov_b32 s1, 0
.LBB2033_127:                           ; =>This Inner Loop Header: Depth=1
	s_wait_xcnt 0x0
	s_add_co_i32 s3, s19, s1
	scratch_load_b64 v[0:1], off, s1
	scratch_load_b64 v[2:3], off, s3
	v_add_nc_u32_e32 v7, s1, v6
	s_mov_b32 s2, s1
	s_wait_xcnt 0x1
	s_add_co_i32 s1, s1, 8
                                        ; kill: killed $sgpr2
	s_delay_alu instid0(SALU_CYCLE_1)
	s_cmp_lg_u32 s1, 16
	s_wait_loadcnt 0x0
	v_dual_add_nc_u32 v1, v3, v1 :: v_dual_add_nc_u32 v0, v2, v0
	ds_store_2addr_b32 v7, v0, v1 offset1:1
	s_cbranch_scc1 .LBB2033_127
; %bb.128:
	ds_load_2addr_b32 v[0:1], v6 offset1:1
	ds_load_2addr_b32 v[2:3], v6 offset0:2 offset1:3
.LBB2033_129:
	s_wait_xcnt 0x0
	s_or_b32 exec_lo, exec_lo, s0
	scratch_load_u8 v7, off, off offset:296
	s_mov_b32 s0, exec_lo
	s_wait_loadcnt_dscnt 0x100
	scratch_store_b128 off, v[0:3], off
                                        ; implicit-def: $vgpr2_vgpr3
	s_wait_loadcnt 0x0
	v_cmpx_ne_u16_e32 0, v7
	s_xor_b32 s0, exec_lo, s0
	s_cbranch_execz .LBB2033_131
; %bb.130:
	scratch_load_b128 v[0:3], off, off offset:280
.LBB2033_131:
	s_wait_xcnt 0x0
	s_and_not1_saveexec_b32 s0, s0
	s_cbranch_execz .LBB2033_137
; %bb.132:
	s_wait_loadcnt 0x0
	v_mov_b32_e32 v0, 0
	s_mov_b32 s1, 0
.LBB2033_133:                           ; =>This Inner Loop Header: Depth=1
	s_delay_alu instid0(SALU_CYCLE_1) | instskip(SKIP_1) | instid1(SALU_CYCLE_1)
	v_add_nc_u32_e32 v1, s1, v6
	s_add_co_i32 s1, s1, 8
	s_cmp_lg_u32 s1, 16
	ds_store_2addr_b32 v1, v0, v0 offset1:1
	s_cbranch_scc1 .LBB2033_133
; %bb.134:
	s_mov_b32 s1, 0
.LBB2033_135:                           ; =>This Inner Loop Header: Depth=1
	s_wait_xcnt 0x0
	s_add_co_i32 s3, s33, s1
	scratch_load_b64 v[0:1], off, s1
	scratch_load_b64 v[2:3], off, s3
	v_add_nc_u32_e32 v10, s1, v6
	s_mov_b32 s2, s1
	s_wait_xcnt 0x1
	s_add_co_i32 s1, s1, 8
                                        ; kill: killed $sgpr3
                                        ; kill: killed $sgpr2
	s_delay_alu instid0(SALU_CYCLE_1)
	s_cmp_lg_u32 s1, 16
	s_wait_loadcnt 0x0
	v_dual_add_nc_u32 v1, v3, v1 :: v_dual_add_nc_u32 v0, v2, v0
	ds_store_2addr_b32 v10, v0, v1 offset1:1
	s_cbranch_scc1 .LBB2033_135
; %bb.136:
	ds_load_2addr_b32 v[0:1], v6 offset1:1
	ds_load_2addr_b32 v[2:3], v6 offset0:2 offset1:3
.LBB2033_137:
	s_wait_xcnt 0x0
	s_or_b32 exec_lo, exec_lo, s0
	scratch_load_u8 v10, off, off offset:316
	s_mov_b32 s0, exec_lo
	s_wait_loadcnt_dscnt 0x100
	scratch_store_b128 off, v[0:3], off
                                        ; implicit-def: $vgpr2_vgpr3
	s_wait_loadcnt 0x0
	v_cmpx_ne_u16_e32 0, v10
	s_xor_b32 s0, exec_lo, s0
	s_cbranch_execz .LBB2033_139
; %bb.138:
	scratch_load_b128 v[0:3], off, off offset:300
.LBB2033_139:
	s_wait_xcnt 0x0
	s_and_not1_saveexec_b32 s0, s0
	s_cbranch_execz .LBB2033_145
; %bb.140:
	s_wait_loadcnt 0x0
	v_mov_b32_e32 v0, 0
	s_mov_b32 s1, 0
.LBB2033_141:                           ; =>This Inner Loop Header: Depth=1
	s_delay_alu instid0(SALU_CYCLE_1) | instskip(SKIP_1) | instid1(SALU_CYCLE_1)
	v_add_nc_u32_e32 v1, s1, v6
	s_add_co_i32 s1, s1, 8
	s_cmp_lg_u32 s1, 16
	ds_store_2addr_b32 v1, v0, v0 offset1:1
	s_cbranch_scc1 .LBB2033_141
; %bb.142:
	s_mov_b32 s1, 0
.LBB2033_143:                           ; =>This Inner Loop Header: Depth=1
	s_wait_xcnt 0x0
	s_add_co_i32 s3, s42, s1
	scratch_load_b64 v[0:1], off, s1
	scratch_load_b64 v[2:3], off, s3
	v_add_nc_u32_e32 v11, s1, v6
	s_mov_b32 s2, s1
	s_wait_xcnt 0x1
	s_add_co_i32 s1, s1, 8
                                        ; kill: killed $sgpr3
                                        ; kill: killed $sgpr2
	s_delay_alu instid0(SALU_CYCLE_1)
	s_cmp_lg_u32 s1, 16
	s_wait_loadcnt 0x0
	v_dual_add_nc_u32 v1, v3, v1 :: v_dual_add_nc_u32 v0, v2, v0
	ds_store_2addr_b32 v11, v0, v1 offset1:1
	s_cbranch_scc1 .LBB2033_143
; %bb.144:
	ds_load_2addr_b32 v[0:1], v6 offset1:1
	ds_load_2addr_b32 v[2:3], v6 offset0:2 offset1:3
.LBB2033_145:
	;; [unrolled: 51-line block ×4, first 2 shown]
	s_wait_xcnt 0x0
	s_or_b32 exec_lo, exec_lo, s0
	scratch_load_u8 v13, off, off offset:376
	s_mov_b32 s0, exec_lo
	s_wait_loadcnt_dscnt 0x100
	scratch_store_b128 off, v[0:3], off
                                        ; implicit-def: $vgpr2_vgpr3
	s_wait_loadcnt 0x0
	v_cmpx_ne_u16_e32 0, v13
	s_xor_b32 s0, exec_lo, s0
	s_cbranch_execz .LBB2033_163
; %bb.162:
	scratch_load_b128 v[0:3], off, off offset:360
.LBB2033_163:
	s_wait_xcnt 0x0
	s_and_not1_saveexec_b32 s0, s0
	s_cbranch_execz .LBB2033_169
; %bb.164:
	s_wait_loadcnt 0x0
	v_mov_b32_e32 v0, 0
	s_mov_b32 s1, 0
.LBB2033_165:                           ; =>This Inner Loop Header: Depth=1
	s_delay_alu instid0(SALU_CYCLE_1) | instskip(SKIP_1) | instid1(SALU_CYCLE_1)
	v_add_nc_u32_e32 v1, s1, v6
	s_add_co_i32 s1, s1, 8
	s_cmp_lg_u32 s1, 16
	ds_store_2addr_b32 v1, v0, v0 offset1:1
	s_cbranch_scc1 .LBB2033_165
; %bb.166:
	s_mov_b32 s1, 0
.LBB2033_167:                           ; =>This Inner Loop Header: Depth=1
	s_wait_xcnt 0x0
	s_add_co_i32 s3, s45, s1
	scratch_load_b64 v[0:1], off, s1
	scratch_load_b64 v[2:3], off, s3
	v_add_nc_u32_e32 v14, s1, v6
	s_mov_b32 s2, s1
	s_wait_xcnt 0x1
	s_add_co_i32 s1, s1, 8
                                        ; kill: killed $sgpr2
                                        ; kill: killed $sgpr3
	s_delay_alu instid0(SALU_CYCLE_1)
	s_cmp_lg_u32 s1, 16
	s_wait_loadcnt 0x0
	v_dual_add_nc_u32 v1, v3, v1 :: v_dual_add_nc_u32 v0, v2, v0
	ds_store_2addr_b32 v14, v0, v1 offset1:1
	s_cbranch_scc1 .LBB2033_167
; %bb.168:
	ds_load_2addr_b32 v[0:1], v6 offset1:1
	ds_load_2addr_b32 v[2:3], v6 offset0:2 offset1:3
.LBB2033_169:
	s_wait_xcnt 0x0
	s_or_b32 exec_lo, exec_lo, s0
	scratch_load_u8 v14, off, off offset:396
	s_mov_b32 s0, exec_lo
	s_wait_loadcnt_dscnt 0x100
	scratch_store_b128 off, v[0:3], off
                                        ; implicit-def: $vgpr2_vgpr3
	s_wait_loadcnt 0x0
	v_cmpx_ne_u16_e32 0, v14
	s_xor_b32 s0, exec_lo, s0
	s_cbranch_execz .LBB2033_171
; %bb.170:
	scratch_load_b128 v[0:3], off, off offset:380
.LBB2033_171:
	s_wait_xcnt 0x0
	s_and_not1_saveexec_b32 s0, s0
	s_cbranch_execz .LBB2033_177
; %bb.172:
	s_wait_loadcnt 0x0
	v_mov_b32_e32 v0, 0
	s_mov_b32 s1, 0
.LBB2033_173:                           ; =>This Inner Loop Header: Depth=1
	s_delay_alu instid0(SALU_CYCLE_1) | instskip(SKIP_1) | instid1(SALU_CYCLE_1)
	v_add_nc_u32_e32 v1, s1, v6
	s_add_co_i32 s1, s1, 8
	s_cmp_lg_u32 s1, 16
	ds_store_2addr_b32 v1, v0, v0 offset1:1
	s_cbranch_scc1 .LBB2033_173
; %bb.174:
	s_mov_b32 s1, 0
.LBB2033_175:                           ; =>This Inner Loop Header: Depth=1
	s_wait_xcnt 0x0
	s_add_co_i32 s3, s46, s1
	scratch_load_b64 v[0:1], off, s1
	scratch_load_b64 v[2:3], off, s3
	v_add_nc_u32_e32 v15, s1, v6
	s_mov_b32 s2, s1
	s_wait_xcnt 0x1
	s_add_co_i32 s1, s1, 8
                                        ; kill: killed $sgpr3
                                        ; kill: killed $sgpr2
	s_delay_alu instid0(SALU_CYCLE_1)
	s_cmp_lg_u32 s1, 16
	s_wait_loadcnt 0x0
	v_dual_add_nc_u32 v1, v3, v1 :: v_dual_add_nc_u32 v0, v2, v0
	ds_store_2addr_b32 v15, v0, v1 offset1:1
	s_cbranch_scc1 .LBB2033_175
; %bb.176:
	ds_load_2addr_b32 v[0:1], v6 offset1:1
	ds_load_2addr_b32 v[2:3], v6 offset0:2 offset1:3
.LBB2033_177:
	s_wait_xcnt 0x0
	s_or_b32 exec_lo, exec_lo, s0
	scratch_load_u8 v15, off, off offset:416
	s_mov_b32 s0, exec_lo
	s_wait_loadcnt_dscnt 0x100
	scratch_store_b128 off, v[0:3], off
                                        ; implicit-def: $vgpr2_vgpr3
	s_wait_loadcnt 0x0
	v_cmpx_ne_u16_e32 0, v15
	s_xor_b32 s0, exec_lo, s0
	s_cbranch_execz .LBB2033_179
; %bb.178:
	scratch_load_b128 v[0:3], off, off offset:400
.LBB2033_179:
	s_wait_xcnt 0x0
	s_and_not1_saveexec_b32 s0, s0
	s_cbranch_execz .LBB2033_185
; %bb.180:
	s_wait_loadcnt 0x0
	v_mov_b32_e32 v0, 0
	s_mov_b32 s1, 0
.LBB2033_181:                           ; =>This Inner Loop Header: Depth=1
	s_delay_alu instid0(SALU_CYCLE_1) | instskip(SKIP_1) | instid1(SALU_CYCLE_1)
	v_add_nc_u32_e32 v1, s1, v6
	s_add_co_i32 s1, s1, 8
	s_cmp_lg_u32 s1, 16
	ds_store_2addr_b32 v1, v0, v0 offset1:1
	s_cbranch_scc1 .LBB2033_181
; %bb.182:
	s_mov_b32 s1, 0
.LBB2033_183:                           ; =>This Inner Loop Header: Depth=1
	s_wait_xcnt 0x0
	s_add_co_i32 s3, s47, s1
	scratch_load_b64 v[0:1], off, s1
	scratch_load_b64 v[2:3], off, s3
	v_add_nc_u32_e32 v16, s1, v6
	s_mov_b32 s2, s1
	s_wait_xcnt 0x1
	s_add_co_i32 s1, s1, 8
                                        ; kill: killed $sgpr3
                                        ; kill: killed $sgpr2
	s_delay_alu instid0(SALU_CYCLE_1)
	s_cmp_lg_u32 s1, 16
	s_wait_loadcnt 0x0
	v_dual_add_nc_u32 v1, v3, v1 :: v_dual_add_nc_u32 v0, v2, v0
	ds_store_2addr_b32 v16, v0, v1 offset1:1
	s_cbranch_scc1 .LBB2033_183
; %bb.184:
	ds_load_2addr_b32 v[0:1], v6 offset1:1
	ds_load_2addr_b32 v[2:3], v6 offset0:2 offset1:3
.LBB2033_185:
	s_wait_xcnt 0x0
	s_or_b32 exec_lo, exec_lo, s0
	scratch_load_u8 v16, off, off offset:436
	s_mov_b32 s0, exec_lo
	s_wait_loadcnt_dscnt 0x100
	scratch_store_b128 off, v[0:3], off
                                        ; implicit-def: $vgpr2_vgpr3
	s_wait_loadcnt 0x0
	v_cmpx_ne_u16_e32 0, v16
	s_xor_b32 s0, exec_lo, s0
	s_cbranch_execz .LBB2033_187
; %bb.186:
	scratch_load_b128 v[0:3], off, off offset:420
                                        ; implicit-def: $vgpr6
.LBB2033_187:
	s_wait_xcnt 0x0
	s_and_not1_saveexec_b32 s0, s0
	s_cbranch_execz .LBB2033_193
; %bb.188:
	s_wait_loadcnt 0x0
	v_mov_b32_e32 v0, 0
	s_mov_b32 s1, 0
.LBB2033_189:                           ; =>This Inner Loop Header: Depth=1
	s_delay_alu instid0(SALU_CYCLE_1) | instskip(SKIP_1) | instid1(SALU_CYCLE_1)
	v_add_nc_u32_e32 v1, s1, v6
	s_add_co_i32 s1, s1, 8
	s_cmp_lg_u32 s1, 16
	ds_store_2addr_b32 v1, v0, v0 offset1:1
	s_cbranch_scc1 .LBB2033_189
; %bb.190:
	s_mov_b32 s1, 0
.LBB2033_191:                           ; =>This Inner Loop Header: Depth=1
	s_wait_xcnt 0x0
	s_add_co_i32 s3, s48, s1
	scratch_load_b64 v[0:1], off, s1
	scratch_load_b64 v[2:3], off, s3
	v_add_nc_u32_e32 v17, s1, v6
	s_mov_b32 s2, s1
	s_wait_xcnt 0x1
	s_add_co_i32 s1, s1, 8
                                        ; kill: killed $sgpr3
                                        ; kill: killed $sgpr2
	s_delay_alu instid0(SALU_CYCLE_1)
	s_cmp_lg_u32 s1, 16
	s_wait_loadcnt 0x0
	v_dual_add_nc_u32 v1, v3, v1 :: v_dual_add_nc_u32 v0, v2, v0
	ds_store_2addr_b32 v17, v0, v1 offset1:1
	s_cbranch_scc1 .LBB2033_191
; %bb.192:
	ds_load_2addr_b32 v[0:1], v6 offset1:1
	ds_load_2addr_b32 v[2:3], v6 offset0:2 offset1:3
.LBB2033_193:
	s_wait_xcnt 0x0
	s_or_b32 exec_lo, exec_lo, s0
	s_clause 0x1
	scratch_load_u16 v6, off, off offset:17
	scratch_load_i8 v17, off, off offset:19
	v_and_b32_e32 v15, 1, v15
	v_bitop3_b16 v4, v4, 0xff, v5 bitop3:0xc8
	v_and_b32_e32 v5, 1, v7
	v_or_b32_e32 v7, v11, v10
	v_or_b32_e32 v11, v14, v13
	v_and_b32_e32 v10, 1, v12
	v_and_b32_e32 v12, 1, v16
	v_cmp_eq_u32_e64 s5, 1, v5
	v_lshrrev_b32_e32 v5, 5, v8
	v_cmp_eq_u32_e32 vcc_lo, 1, v15
	v_cmp_ne_u16_e64 s2, 0, v11
	v_cmp_ne_u16_e64 s1, 0, v7
	v_cmp_eq_u32_e64 s3, 1, v10
	v_cmp_eq_u32_e64 s4, 1, v12
	v_cmp_ne_u16_e64 s0, 0, v4
	s_or_b32 s2, s2, vcc_lo
	v_mul_u32_u24_e32 v7, 20, v8
	s_or_b32 s1, s1, s3
	s_or_b32 s2, s4, s2
	;; [unrolled: 1-line block ×4, first 2 shown]
	v_mad_u32_u24 v5, v5, 20, v7
	s_or_b32 s4, s1, s0
	v_cmp_gt_u32_e32 vcc_lo, 32, v8
	v_cndmask_b32_e64 v14, 0, 1, s4
	s_wait_loadcnt_dscnt 0x201
	ds_store_2addr_b32 v5, v0, v1 offset1:1
	s_wait_dscnt 0x1
	ds_store_2addr_b32 v5, v2, v3 offset0:2 offset1:3
	ds_store_b8 v5, v14 offset:16
	s_wait_loadcnt 0x1
	v_lshlrev_b16 v4, 8, v6
	s_wait_loadcnt 0x0
	v_perm_b32 v6, v6, v17, 0xc0c0005
	s_delay_alu instid0(VALU_DEP_2) | instskip(NEXT) | instid1(VALU_DEP_1)
	v_or_b32_e32 v4, v14, v4
	v_and_b32_e32 v4, 0xffff, v4
	s_delay_alu instid0(VALU_DEP_1)
	v_lshl_or_b32 v4, v6, 16, v4
	s_clause 0x1
	scratch_store_b128 off, v[0:3], off offset:216
	scratch_store_b32 off, v4, off offset:232
	s_wait_storecnt_dscnt 0x0
	s_barrier_signal -1
	s_barrier_wait -1
	s_wait_xcnt 0x0
	s_and_saveexec_b32 s2, vcc_lo
	s_cbranch_execz .LBB2033_261
; %bb.194:
	v_lshrrev_b32_e32 v12, 4, v8
	v_mul_u32_u24_e32 v13, 40, v8
	v_mul_lo_u32 v17, v9, 20
	s_delay_alu instid0(VALU_DEP_2)
	v_mad_u32_u24 v10, v12, 20, v13
	ds_load_u8 v15, v10 offset:36
	ds_load_b32 v16, v10 offset:16
	ds_load_2addr_b32 v[4:5], v10 offset1:1
	ds_load_2addr_b32 v[6:7], v10 offset0:2 offset1:3
	v_add_nc_u32_e32 v11, 0x2c00, v17
	v_add_nc_u32_e32 v18, 0x2c08, v17
	s_wait_dscnt 0x1
	ds_store_2addr_b32 v11, v4, v5 offset1:1
	s_wait_dscnt 0x1
	ds_store_2addr_b32 v18, v6, v7 offset1:1
	ds_store_b32 v17, v16 offset:11280
	v_cmp_ne_u16_e64 s0, 0, v15
                                        ; implicit-def: $vgpr4_vgpr5
	s_and_saveexec_b32 s1, s0
	s_delay_alu instid0(SALU_CYCLE_1)
	s_xor_b32 s0, exec_lo, s1
	s_cbranch_execz .LBB2033_196
; %bb.195:
	ds_load_2addr_b32 v[4:5], v10 offset0:5 offset1:6
	ds_load_2addr_b32 v[6:7], v10 offset0:7 offset1:8
.LBB2033_196:
	s_and_not1_saveexec_b32 s0, s0
	s_cbranch_execz .LBB2033_202
; %bb.197:
	s_wait_dscnt 0x1
	v_mov_b64_e32 v[4:5], 0
	s_mov_b32 s1, 0
.LBB2033_198:                           ; =>This Inner Loop Header: Depth=1
	s_wait_xcnt 0x0
	s_mov_b32 s3, s1
	s_add_co_i32 s1, s1, 8
	scratch_store_b64 off, v[4:5], s3
	s_cmp_lg_u32 s1, 16
	s_cbranch_scc1 .LBB2033_198
; %bb.199:
	s_wait_xcnt 0x0
	v_mul_u32_u24_e32 v4, 20, v12
	s_mov_b32 s1, 0
	s_delay_alu instid0(VALU_DEP_1)
	v_add3_u32 v4, v13, v4, 20
.LBB2033_200:                           ; =>This Inner Loop Header: Depth=1
	s_delay_alu instid0(VALU_DEP_1)
	v_dual_add_nc_u32 v5, s1, v11 :: v_dual_add_nc_u32 v17, s1, v4
	s_wait_xcnt 0x0
	s_mov_b32 s3, s1
	s_add_co_i32 s1, s1, 8
	s_wait_dscnt 0x0
	ds_load_2addr_b32 v[6:7], v5 offset1:1
	ds_load_2addr_b32 v[18:19], v17 offset1:1
	s_cmp_lg_u32 s1, 16
	s_wait_dscnt 0x0
	v_dual_add_nc_u32 v7, v19, v7 :: v_dual_add_nc_u32 v6, v18, v6
	scratch_store_b64 off, v[6:7], s3
	s_cbranch_scc1 .LBB2033_200
; %bb.201:
	scratch_load_b128 v[4:7], off, off
.LBB2033_202:
	s_wait_xcnt 0x0
	s_or_b32 exec_lo, exec_lo, s0
	v_bitop3_b16 v15, v15, 1, v16 bitop3:0xc8
	s_wait_loadcnt_dscnt 0x1
	v_mov_b32_dpp v20, v4 row_shr:1 row_mask:0xf bank_mask:0xf
	v_mov_b32_dpp v21, v5 row_shr:1 row_mask:0xf bank_mask:0xf
	s_wait_dscnt 0x0
	v_mov_b32_dpp v22, v6 row_shr:1 row_mask:0xf bank_mask:0xf
	v_mov_b32_dpp v23, v7 row_shr:1 row_mask:0xf bank_mask:0xf
	ds_store_b8 v11, v15 offset:16
	ds_load_b32 v16, v11 offset:16
	v_mbcnt_lo_u32_b32 v15, -1, 0
	s_mov_b32 s1, exec_lo
	ds_store_2addr_b32 v11, v4, v5 offset1:1
	ds_store_2addr_b32 v11, v6, v7 offset0:2 offset1:3
	v_and_b32_e32 v17, 15, v15
	s_wait_dscnt 0x2
	v_mov_b32_dpp v18, v16 row_shr:1 row_mask:0xf bank_mask:0xf
	s_clause 0x1
	scratch_store_b128 off, v[20:23], off
	scratch_store_b32 off, v18, off offset:16
	s_wait_xcnt 0x0
	v_cmpx_ne_u32_e32 0, v17
	s_xor_b32 s1, exec_lo, s1
	s_cbranch_execz .LBB2033_210
; %bb.203:
	v_and_b32_e32 v19, 0xff, v16
	s_mov_b32 s3, exec_lo
	s_delay_alu instid0(VALU_DEP_1)
	v_cmpx_eq_u16_e32 0, v19
	s_cbranch_execz .LBB2033_209
; %bb.204:
	v_mov_b64_e32 v[4:5], 0
	s_mov_b32 s0, 0
.LBB2033_205:                           ; =>This Inner Loop Header: Depth=1
	s_wait_xcnt 0x0
	s_add_co_i32 s5, s0, 0xb0
	s_add_co_i32 s0, s0, 8
	scratch_store_b64 off, v[4:5], s5
	s_cmp_lg_u32 s0, 16
	s_cbranch_scc1 .LBB2033_205
; %bb.206:
	s_mov_b32 s0, 0
.LBB2033_207:                           ; =>This Inner Loop Header: Depth=1
	scratch_load_b64 v[4:5], off, s0
	v_add_nc_u32_e32 v6, s0, v11
	s_add_co_i32 s5, s0, 0xb0
	s_wait_xcnt 0x0
	s_add_co_i32 s0, s0, 8
	s_delay_alu instid0(SALU_CYCLE_1)
	s_cmp_lg_u32 s0, 16
	ds_load_2addr_b32 v[6:7], v6 offset1:1
	s_wait_loadcnt_dscnt 0x0
	v_dual_add_nc_u32 v5, v7, v5 :: v_dual_add_nc_u32 v4, v6, v4
	scratch_store_b64 off, v[4:5], s5
	s_cbranch_scc1 .LBB2033_207
; %bb.208:
	scratch_load_b128 v[4:7], off, off offset:176
.LBB2033_209:
	s_wait_xcnt 0x0
	s_or_b32 exec_lo, exec_lo, s3
	v_or_b32_e32 v16, v18, v16
	s_delay_alu instid0(VALU_DEP_1)
	v_and_b32_e32 v16, 1, v16
	ds_store_b8 v11, v16 offset:16
	ds_load_b32 v16, v11 offset:16
	s_wait_loadcnt 0x0
	ds_store_2addr_b32 v11, v4, v5 offset1:1
	ds_store_2addr_b32 v11, v6, v7 offset0:2 offset1:3
.LBB2033_210:
	s_or_b32 exec_lo, exec_lo, s1
	v_mov_b32_dpp v20, v4 row_shr:2 row_mask:0xf bank_mask:0xf
	v_mov_b32_dpp v21, v5 row_shr:2 row_mask:0xf bank_mask:0xf
	;; [unrolled: 1-line block ×4, first 2 shown]
	s_wait_dscnt 0x2
	v_mov_b32_dpp v18, v16 row_shr:2 row_mask:0xf bank_mask:0xf
	s_mov_b32 s3, exec_lo
	s_clause 0x1
	scratch_store_b128 off, v[20:23], off
	scratch_store_b32 off, v18, off offset:16
	s_wait_xcnt 0x0
	v_cmpx_lt_u32_e32 1, v17
	s_cbranch_execz .LBB2033_218
; %bb.211:
	v_and_b32_e32 v19, 0xff, v16
	s_mov_b32 s5, 0
	s_mov_b32 s1, exec_lo
	s_delay_alu instid0(VALU_DEP_1)
	v_cmpx_eq_u16_e32 0, v19
	s_cbranch_execz .LBB2033_217
; %bb.212:
	v_mov_b64_e32 v[4:5], 0
.LBB2033_213:                           ; =>This Inner Loop Header: Depth=1
	s_wait_xcnt 0x0
	s_add_co_i32 s0, s5, 0xb0
	s_add_co_i32 s5, s5, 8
	scratch_store_b64 off, v[4:5], s0
	s_cmp_lg_u32 s5, 16
	s_cbranch_scc1 .LBB2033_213
; %bb.214:
	s_wait_xcnt 0x0
	s_mov_b32 s0, 0
.LBB2033_215:                           ; =>This Inner Loop Header: Depth=1
	scratch_load_b64 v[4:5], off, s0
	v_add_nc_u32_e32 v6, s0, v11
	s_add_co_i32 s5, s0, 0xb0
	s_wait_xcnt 0x0
	s_add_co_i32 s0, s0, 8
	s_delay_alu instid0(SALU_CYCLE_1)
	s_cmp_lg_u32 s0, 16
	ds_load_2addr_b32 v[6:7], v6 offset1:1
	s_wait_loadcnt_dscnt 0x0
	v_dual_add_nc_u32 v5, v7, v5 :: v_dual_add_nc_u32 v4, v6, v4
	scratch_store_b64 off, v[4:5], s5
	s_cbranch_scc1 .LBB2033_215
; %bb.216:
	scratch_load_b128 v[4:7], off, off offset:176
.LBB2033_217:
	s_wait_xcnt 0x0
	s_or_b32 exec_lo, exec_lo, s1
	v_and_b32_e32 v16, 1, v16
	v_and_b32_e32 v18, 1, v18
	s_delay_alu instid0(VALU_DEP_2) | instskip(NEXT) | instid1(VALU_DEP_2)
	v_cmp_eq_u32_e64 s0, 1, v16
	v_cmp_eq_u32_e64 s1, 1, v18
	s_or_b32 s0, s0, s1
	s_delay_alu instid0(SALU_CYCLE_1)
	v_cndmask_b32_e64 v16, 0, 1, s0
	ds_store_b8 v11, v16 offset:16
	ds_load_b32 v16, v11 offset:16
	s_wait_loadcnt 0x0
	ds_store_2addr_b32 v11, v4, v5 offset1:1
	ds_store_2addr_b32 v11, v6, v7 offset0:2 offset1:3
.LBB2033_218:
	s_or_b32 exec_lo, exec_lo, s3
	v_mov_b32_dpp v20, v4 row_shr:4 row_mask:0xf bank_mask:0xf
	v_mov_b32_dpp v21, v5 row_shr:4 row_mask:0xf bank_mask:0xf
	;; [unrolled: 1-line block ×4, first 2 shown]
	s_wait_dscnt 0x2
	v_mov_b32_dpp v18, v16 row_shr:4 row_mask:0xf bank_mask:0xf
	s_mov_b32 s3, exec_lo
	s_clause 0x1
	scratch_store_b128 off, v[20:23], off
	scratch_store_b32 off, v18, off offset:16
	s_wait_xcnt 0x0
	v_cmpx_lt_u32_e32 3, v17
	s_cbranch_execz .LBB2033_226
; %bb.219:
	v_and_b32_e32 v19, 0xff, v16
	s_mov_b32 s5, 0
	s_mov_b32 s1, exec_lo
	s_delay_alu instid0(VALU_DEP_1)
	v_cmpx_eq_u16_e32 0, v19
	s_cbranch_execz .LBB2033_225
; %bb.220:
	v_mov_b64_e32 v[4:5], 0
.LBB2033_221:                           ; =>This Inner Loop Header: Depth=1
	s_wait_xcnt 0x0
	s_add_co_i32 s0, s5, 0xb0
	s_add_co_i32 s5, s5, 8
	scratch_store_b64 off, v[4:5], s0
	s_cmp_lg_u32 s5, 16
	s_cbranch_scc1 .LBB2033_221
; %bb.222:
	s_wait_xcnt 0x0
	s_mov_b32 s0, 0
.LBB2033_223:                           ; =>This Inner Loop Header: Depth=1
	scratch_load_b64 v[4:5], off, s0
	v_add_nc_u32_e32 v6, s0, v11
	s_add_co_i32 s5, s0, 0xb0
	s_wait_xcnt 0x0
	s_add_co_i32 s0, s0, 8
	s_delay_alu instid0(SALU_CYCLE_1)
	s_cmp_lg_u32 s0, 16
	ds_load_2addr_b32 v[6:7], v6 offset1:1
	s_wait_loadcnt_dscnt 0x0
	v_dual_add_nc_u32 v5, v7, v5 :: v_dual_add_nc_u32 v4, v6, v4
	scratch_store_b64 off, v[4:5], s5
	s_cbranch_scc1 .LBB2033_223
; %bb.224:
	scratch_load_b128 v[4:7], off, off offset:176
.LBB2033_225:
	s_wait_xcnt 0x0
	s_or_b32 exec_lo, exec_lo, s1
	v_and_b32_e32 v16, 1, v16
	v_and_b32_e32 v18, 1, v18
	s_delay_alu instid0(VALU_DEP_2) | instskip(NEXT) | instid1(VALU_DEP_2)
	v_cmp_eq_u32_e64 s0, 1, v16
	v_cmp_eq_u32_e64 s1, 1, v18
	s_or_b32 s0, s0, s1
	s_delay_alu instid0(SALU_CYCLE_1)
	v_cndmask_b32_e64 v16, 0, 1, s0
	ds_store_b8 v11, v16 offset:16
	ds_load_b32 v16, v11 offset:16
	s_wait_loadcnt 0x0
	ds_store_2addr_b32 v11, v4, v5 offset1:1
	ds_store_2addr_b32 v11, v6, v7 offset0:2 offset1:3
.LBB2033_226:
	s_or_b32 exec_lo, exec_lo, s3
	v_mov_b32_dpp v20, v4 row_shr:8 row_mask:0xf bank_mask:0xf
	v_mov_b32_dpp v21, v5 row_shr:8 row_mask:0xf bank_mask:0xf
	v_mov_b32_dpp v22, v6 row_shr:8 row_mask:0xf bank_mask:0xf
	v_mov_b32_dpp v23, v7 row_shr:8 row_mask:0xf bank_mask:0xf
	s_wait_dscnt 0x2
	v_mov_b32_dpp v18, v16 row_shr:8 row_mask:0xf bank_mask:0xf
	s_mov_b32 s3, exec_lo
	s_clause 0x1
	scratch_store_b128 off, v[20:23], off
	scratch_store_b32 off, v18, off offset:16
	s_wait_xcnt 0x0
	v_cmpx_lt_u32_e32 7, v17
	s_cbranch_execz .LBB2033_234
; %bb.227:
	v_and_b32_e32 v17, 0xff, v16
	s_mov_b32 s5, 0
	s_mov_b32 s1, exec_lo
	s_delay_alu instid0(VALU_DEP_1)
	v_cmpx_eq_u16_e32 0, v17
	s_cbranch_execz .LBB2033_233
; %bb.228:
	v_mov_b64_e32 v[4:5], 0
.LBB2033_229:                           ; =>This Inner Loop Header: Depth=1
	s_wait_xcnt 0x0
	s_add_co_i32 s0, s5, 0xb0
	s_add_co_i32 s5, s5, 8
	scratch_store_b64 off, v[4:5], s0
	s_cmp_lg_u32 s5, 16
	s_cbranch_scc1 .LBB2033_229
; %bb.230:
	s_wait_xcnt 0x0
	s_mov_b32 s0, 0
.LBB2033_231:                           ; =>This Inner Loop Header: Depth=1
	scratch_load_b64 v[4:5], off, s0
	v_add_nc_u32_e32 v6, s0, v11
	s_add_co_i32 s5, s0, 0xb0
	s_wait_xcnt 0x0
	s_add_co_i32 s0, s0, 8
	s_delay_alu instid0(SALU_CYCLE_1)
	s_cmp_lg_u32 s0, 16
	ds_load_2addr_b32 v[6:7], v6 offset1:1
	s_wait_loadcnt_dscnt 0x0
	v_dual_add_nc_u32 v5, v7, v5 :: v_dual_add_nc_u32 v4, v6, v4
	scratch_store_b64 off, v[4:5], s5
	s_cbranch_scc1 .LBB2033_231
; %bb.232:
	scratch_load_b128 v[4:7], off, off offset:176
.LBB2033_233:
	s_wait_xcnt 0x0
	s_or_b32 exec_lo, exec_lo, s1
	v_and_b32_e32 v16, 1, v16
	v_and_b32_e32 v17, 1, v18
	s_delay_alu instid0(VALU_DEP_2) | instskip(NEXT) | instid1(VALU_DEP_2)
	v_cmp_eq_u32_e64 s0, 1, v16
	v_cmp_eq_u32_e64 s1, 1, v17
	s_or_b32 s0, s0, s1
	s_delay_alu instid0(SALU_CYCLE_1)
	v_cndmask_b32_e64 v16, 0, 1, s0
	ds_store_b8 v11, v16 offset:16
	ds_load_b32 v16, v11 offset:16
	s_wait_loadcnt 0x0
	ds_store_2addr_b32 v11, v4, v5 offset1:1
	ds_store_2addr_b32 v11, v6, v7 offset0:2 offset1:3
.LBB2033_234:
	s_or_b32 exec_lo, exec_lo, s3
	ds_swizzle_b32 v18, v4 offset:swizzle(BROADCAST,32,15)
	ds_swizzle_b32 v19, v5 offset:swizzle(BROADCAST,32,15)
	;; [unrolled: 1-line block ×4, first 2 shown]
	s_wait_dscnt 0x6
	ds_swizzle_b32 v17, v16 offset:swizzle(BROADCAST,32,15)
	v_and_b32_e32 v22, 16, v15
	s_mov_b32 s3, exec_lo
	s_wait_dscnt 0x1
	scratch_store_b128 off, v[18:21], off
	s_wait_dscnt 0x0
	scratch_store_b32 off, v17, off offset:16
	s_wait_xcnt 0x0
	v_cmpx_ne_u32_e32 0, v22
	s_cbranch_execz .LBB2033_242
; %bb.235:
	v_and_b32_e32 v18, 0xff, v16
	s_mov_b32 s5, 0
	s_mov_b32 s1, exec_lo
	s_delay_alu instid0(VALU_DEP_1)
	v_cmpx_eq_u16_e32 0, v18
	s_cbranch_execz .LBB2033_241
; %bb.236:
	v_mov_b64_e32 v[4:5], 0
.LBB2033_237:                           ; =>This Inner Loop Header: Depth=1
	s_wait_xcnt 0x0
	s_add_co_i32 s0, s5, 0xb0
	s_add_co_i32 s5, s5, 8
	scratch_store_b64 off, v[4:5], s0
	s_cmp_lg_u32 s5, 16
	s_cbranch_scc1 .LBB2033_237
; %bb.238:
	s_wait_xcnt 0x0
	s_mov_b32 s0, 0
.LBB2033_239:                           ; =>This Inner Loop Header: Depth=1
	scratch_load_b64 v[4:5], off, s0
	v_add_nc_u32_e32 v6, s0, v11
	s_add_co_i32 s5, s0, 0xb0
	s_wait_xcnt 0x0
	s_add_co_i32 s0, s0, 8
	s_delay_alu instid0(SALU_CYCLE_1)
	s_cmp_lg_u32 s0, 16
	ds_load_2addr_b32 v[6:7], v6 offset1:1
	s_wait_loadcnt_dscnt 0x0
	v_dual_add_nc_u32 v5, v7, v5 :: v_dual_add_nc_u32 v4, v6, v4
	scratch_store_b64 off, v[4:5], s5
	s_cbranch_scc1 .LBB2033_239
; %bb.240:
	scratch_load_b128 v[4:7], off, off offset:176
.LBB2033_241:
	s_wait_xcnt 0x0
	s_or_b32 exec_lo, exec_lo, s1
	v_and_b32_e32 v16, 1, v16
	v_and_b32_e32 v17, 1, v17
	s_delay_alu instid0(VALU_DEP_2) | instskip(NEXT) | instid1(VALU_DEP_2)
	v_cmp_eq_u32_e64 s0, 1, v16
	v_cmp_eq_u32_e64 s1, 1, v17
	s_or_b32 s0, s0, s1
	s_delay_alu instid0(SALU_CYCLE_1)
	v_cndmask_b32_e64 v16, 0, 1, s0
	ds_store_b8 v11, v16 offset:16
	ds_load_b32 v16, v11 offset:16
.LBB2033_242:
	s_or_b32 exec_lo, exec_lo, s3
	v_add_nc_u32_e32 v17, -1, v15
	s_delay_alu instid0(VALU_DEP_1) | instskip(NEXT) | instid1(VALU_DEP_1)
	v_cmp_gt_i32_e64 s0, 0, v17
	v_cndmask_b32_e64 v15, v17, v15, s0
	s_delay_alu instid0(VALU_DEP_1)
	v_lshlrev_b32_e32 v17, 2, v15
	ds_load_u8 v15, v10 offset:16
	s_wait_loadcnt 0x0
	ds_bpermute_b32 v4, v17, v4
	ds_bpermute_b32 v5, v17, v5
	s_wait_dscnt 0x3
	ds_bpermute_b32 v16, v17, v16
	ds_bpermute_b32 v6, v17, v6
	;; [unrolled: 1-line block ×3, first 2 shown]
	s_wait_dscnt 0x3
	ds_store_2addr_b32 v11, v4, v5 offset1:1
	s_wait_dscnt 0x1
	ds_store_2addr_b32 v11, v6, v7 offset0:2 offset1:3
	v_cmp_ne_u16_e64 s0, 0, v15
                                        ; implicit-def: $vgpr6_vgpr7
	s_and_saveexec_b32 s1, s0
	s_delay_alu instid0(SALU_CYCLE_1)
	s_xor_b32 s0, exec_lo, s1
	s_cbranch_execz .LBB2033_244
; %bb.243:
	ds_load_2addr_b32 v[4:5], v10 offset1:1
	ds_load_2addr_b32 v[6:7], v10 offset0:2 offset1:3
.LBB2033_244:
	s_and_not1_saveexec_b32 s0, s0
	s_cbranch_execz .LBB2033_250
; %bb.245:
	s_wait_dscnt 0x1
	v_mov_b64_e32 v[4:5], 0
	s_mov_b32 s1, 0
.LBB2033_246:                           ; =>This Inner Loop Header: Depth=1
	s_wait_xcnt 0x0
	s_mov_b32 s3, s1
	s_add_co_i32 s1, s1, 8
	scratch_store_b64 off, v[4:5], s3
	s_cmp_lg_u32 s1, 16
	s_cbranch_scc1 .LBB2033_246
; %bb.247:
	s_mov_b32 s1, 0
.LBB2033_248:                           ; =>This Inner Loop Header: Depth=1
	s_wait_dscnt 0x0
	s_wait_xcnt 0x0
	v_dual_add_nc_u32 v4, s1, v11 :: v_dual_add_nc_u32 v6, s1, v10
	s_mov_b32 s3, s1
	s_add_co_i32 s1, s1, 8
	ds_load_2addr_b32 v[4:5], v4 offset1:1
	ds_load_2addr_b32 v[6:7], v6 offset1:1
	s_cmp_lg_u32 s1, 16
	s_wait_dscnt 0x0
	v_dual_add_nc_u32 v5, v7, v5 :: v_dual_add_nc_u32 v4, v6, v4
	scratch_store_b64 off, v[4:5], s3
	s_cbranch_scc1 .LBB2033_248
; %bb.249:
	scratch_load_b128 v[4:7], off, off
.LBB2033_250:
	s_wait_xcnt 0x0
	s_or_b32 exec_lo, exec_lo, s0
	v_and_b32_e32 v15, 1, v15
	v_and_b32_e32 v16, 1, v16
	s_delay_alu instid0(VALU_DEP_2) | instskip(NEXT) | instid1(VALU_DEP_2)
	v_cmp_eq_u32_e64 s0, 1, v15
	v_cmp_eq_u32_e64 s1, 1, v16
	s_or_b32 s0, s1, s0
	s_mov_b32 s1, exec_lo
	v_cndmask_b32_e64 v15, 0, 1, s0
	s_wait_loadcnt_dscnt 0x1
	ds_store_2addr_b32 v11, v4, v5 offset1:1
	s_wait_dscnt 0x1
	ds_store_2addr_b32 v11, v6, v7 offset0:2 offset1:3
	ds_store_b8 v11, v15 offset:16
	v_cmpx_eq_u32_e32 0, v8
	s_cbranch_execz .LBB2033_252
; %bb.251:
	ds_store_2addr_b32 v11, v0, v1 offset1:1
	ds_store_2addr_b32 v11, v2, v3 offset0:2 offset1:3
	ds_store_b8 v11, v14 offset:16
.LBB2033_252:
	s_or_b32 exec_lo, exec_lo, s1
	; wave barrier
	ds_load_2addr_b32 v[0:1], v11 offset0:2 offset1:3
	ds_load_u8 v4, v11 offset:16
	ds_load_2addr_b32 v[2:3], v11 offset1:1
	s_wait_dscnt 0x2
	ds_store_2addr_b32 v10, v0, v1 offset0:2 offset1:3
	s_wait_dscnt 0x1
	ds_store_2addr_b32 v10, v2, v3 offset1:1
	ds_store_b8 v10, v4 offset:16
	; wave barrier
	ds_load_u8 v4, v10 offset:36
	ds_load_u8 v5, v11 offset:16
                                        ; implicit-def: $vgpr2_vgpr3
	s_wait_dscnt 0x1
	v_cmp_ne_u16_e64 s0, 0, v4
	s_and_saveexec_b32 s1, s0
	s_delay_alu instid0(SALU_CYCLE_1)
	s_xor_b32 s0, exec_lo, s1
	s_cbranch_execz .LBB2033_254
; %bb.253:
	ds_load_2addr_b32 v[0:1], v10 offset0:5 offset1:6
	ds_load_2addr_b32 v[2:3], v10 offset0:7 offset1:8
                                        ; implicit-def: $vgpr12
                                        ; implicit-def: $vgpr13
.LBB2033_254:
	s_and_not1_saveexec_b32 s0, s0
	s_cbranch_execz .LBB2033_260
; %bb.255:
	s_wait_dscnt 0x1
	v_mov_b64_e32 v[0:1], 0
	s_mov_b32 s1, 0
.LBB2033_256:                           ; =>This Inner Loop Header: Depth=1
	s_wait_xcnt 0x0
	s_mov_b32 s3, s1
	s_add_co_i32 s1, s1, 8
	scratch_store_b64 off, v[0:1], s3
	s_cmp_lg_u32 s1, 16
	s_cbranch_scc1 .LBB2033_256
; %bb.257:
	s_wait_xcnt 0x0
	v_mul_u32_u24_e32 v0, 20, v12
	s_mov_b32 s1, 0
	s_delay_alu instid0(VALU_DEP_1)
	v_add3_u32 v0, v13, v0, 20
.LBB2033_258:                           ; =>This Inner Loop Header: Depth=1
	s_delay_alu instid0(VALU_DEP_1)
	v_dual_add_nc_u32 v1, s1, v11 :: v_dual_add_nc_u32 v6, s1, v0
	s_wait_xcnt 0x0
	s_mov_b32 s3, s1
	s_add_co_i32 s1, s1, 8
	s_wait_dscnt 0x0
	ds_load_2addr_b32 v[2:3], v1 offset1:1
	ds_load_2addr_b32 v[6:7], v6 offset1:1
	s_cmp_lg_u32 s1, 16
	s_wait_dscnt 0x0
	v_dual_add_nc_u32 v3, v7, v3 :: v_dual_add_nc_u32 v2, v6, v2
	scratch_store_b64 off, v[2:3], s3
	s_cbranch_scc1 .LBB2033_258
; %bb.259:
	scratch_load_b128 v[0:3], off, off
.LBB2033_260:
	s_wait_xcnt 0x0
	s_or_b32 exec_lo, exec_lo, s0
	s_wait_dscnt 0x0
	v_bitop3_b16 v4, v4, 1, v5 bitop3:0xc8
	s_wait_loadcnt 0x0
	ds_store_2addr_b32 v11, v0, v1 offset1:1
	ds_store_2addr_b32 v11, v2, v3 offset0:2 offset1:3
	ds_store_2addr_b32 v10, v2, v3 offset0:7 offset1:8
	;; [unrolled: 1-line block ×3, first 2 shown]
	ds_store_b8 v10, v4 offset:36
.LBB2033_261:
	s_or_b32 exec_lo, exec_lo, s2
	v_cmp_eq_u32_e64 s1, 0, v8
	v_cmp_ne_u32_e64 s0, 0, v8
	s_wait_storecnt_dscnt 0x0
	s_barrier_signal -1
	s_barrier_wait -1
	s_and_saveexec_b32 s3, s0
	s_cbranch_execz .LBB2033_263
; %bb.262:
	v_add_nc_u32_e32 v0, -1, v8
	s_and_not1_b32 s4, s4, exec_lo
	s_delay_alu instid0(VALU_DEP_1) | instskip(SKIP_1) | instid1(VALU_DEP_1)
	v_lshrrev_b32_e32 v1, 5, v0
	v_mul_i32_i24_e32 v0, 20, v0
	v_mad_u32 v0, v1, 20, v0
	ds_load_u8 v4, v0 offset:16
	ds_load_2addr_b32 v[2:3], v0 offset0:2 offset1:3
	ds_load_2addr_b32 v[0:1], v0 offset1:1
	s_wait_dscnt 0x0
	s_clause 0x1
	scratch_store_b128 off, v[0:3], off offset:216
	scratch_store_b8 off, v4, off offset:232
	v_and_b32_e32 v5, 1, v4
	s_delay_alu instid0(VALU_DEP_1) | instskip(SKIP_1) | instid1(SALU_CYCLE_1)
	v_cmp_eq_u32_e64 s2, 1, v5
	s_and_b32 s2, s2, exec_lo
	s_or_b32 s4, s4, s2
.LBB2033_263:
	s_wait_xcnt 0x0
	s_or_b32 exec_lo, exec_lo, s3
	s_and_saveexec_b32 s5, vcc_lo
	s_cbranch_execz .LBB2033_387
; %bb.264:
	v_mov_b32_e32 v4, 0
	v_mbcnt_lo_u32_b32 v15, -1, 0
	s_mov_b32 s3, 0
	ds_load_b128 v[0:3], v4 offset:1280
	ds_load_b32 v14, v4 offset:1296
	v_cmp_eq_u32_e64 s2, 0, v15
	s_wait_dscnt 0x1
	scratch_store_b128 off, v[0:3], off offset:196
	s_wait_dscnt 0x0
	scratch_store_b32 off, v14, off offset:212
	s_wait_xcnt 0x0
	s_and_saveexec_b32 s6, s2
	s_cbranch_execz .LBB2033_266
; %bb.265:
	s_add_co_i32 s8, s30, 32
	s_mov_b32 s9, 0
	v_dual_mov_b32 v5, 1 :: v_dual_mov_b32 v6, s8
	s_mul_u64 s[26:27], s[8:9], 20
	s_delay_alu instid0(SALU_CYCLE_1)
	s_add_nc_u64 s[8:9], s[12:13], s[26:27]
	s_clause 0x1
	global_store_b128 v4, v[0:3], s[8:9]
	global_store_b8 v4, v14, s[8:9] offset:16
	global_wb scope:SCOPE_DEV
	s_wait_storecnt 0x0
	global_inv scope:SCOPE_DEV
	s_wait_xcnt 0x0
	global_store_b8 v6, v5, s[16:17] scope:SCOPE_DEV
.LBB2033_266:
	s_wait_xcnt 0x0
	s_or_b32 exec_lo, exec_lo, s6
	v_mul_lo_u32 v5, v9, 20
	s_delay_alu instid0(VALU_DEP_1)
	v_add_nc_u32_e32 v16, 0x3100, v5
	v_add_nc_u32_e32 v6, 0x3108, v5
	ds_store_2addr_b32 v16, v4, v4 offset1:1
	ds_store_2addr_b32 v6, v4, v4 offset1:1
	ds_store_b32 v5, v4 offset:12560
.LBB2033_267:                           ; =>This Inner Loop Header: Depth=1
	v_add_nc_u32_e32 v5, s3, v16
	s_add_co_i32 s3, s3, 8
	s_delay_alu instid0(SALU_CYCLE_1)
	s_cmp_lg_u32 s3, 16
	ds_store_2addr_b32 v5, v4, v4 offset1:1
	s_cbranch_scc1 .LBB2033_267
; %bb.268:
	v_mov_b32_e32 v10, 0
	v_mov_b64_e32 v[4:5], 0
	s_mov_b32 s3, 0
	s_delay_alu instid0(VALU_DEP_2)
	v_dual_mov_b32 v11, v10 :: v_dual_mov_b32 v12, v10
	v_mov_b32_e32 v13, v10
	ds_store_b8 v16, v10 offset:16
	s_clause 0x1
	scratch_store_b32 off, v10, off offset:192
	scratch_store_b128 off, v[10:13], off offset:176
.LBB2033_269:                           ; =>This Inner Loop Header: Depth=1
	s_wait_xcnt 0x0
	s_add_co_i32 s6, s3, 0xb0
	s_add_co_i32 s3, s3, 8
	scratch_store_b64 off, v[4:5], s6
	s_cmp_lg_u32 s3, 16
	s_cbranch_scc1 .LBB2033_269
; %bb.270:
	s_wait_xcnt 0x1
	v_xad_u32 v10, v15, -1, s30
	s_wait_xcnt 0x0
	v_mov_b32_e32 v5, 0
	s_mov_b32 s3, exec_lo
	s_delay_alu instid0(VALU_DEP_2)
	v_add_nc_u32_e32 v4, 32, v10
	scratch_store_b8 off, v5, off offset:192
	global_load_u8 v17, v4, s[16:17] scope:SCOPE_DEV
	s_wait_loadcnt 0x0
	v_cmpx_eq_u16_e32 0, v17
	s_cbranch_execz .LBB2033_274
; %bb.271:
	v_add_nc_u64_e32 v[6:7], s[16:17], v[4:5]
	s_mov_b32 s6, 0
.LBB2033_272:                           ; =>This Inner Loop Header: Depth=1
	global_load_u8 v17, v[6:7], off scope:SCOPE_DEV
	s_wait_loadcnt 0x0
	v_cmp_ne_u16_e32 vcc_lo, 0, v17
	s_or_b32 s6, vcc_lo, s6
	s_wait_xcnt 0x0
	s_and_not1_b32 exec_lo, exec_lo, s6
	s_cbranch_execnz .LBB2033_272
; %bb.273:
	s_or_b32 exec_lo, exec_lo, s6
.LBB2033_274:
	s_delay_alu instid0(SALU_CYCLE_1)
	s_or_b32 exec_lo, exec_lo, s3
	v_dual_mov_b32 v5, s13 :: v_dual_mov_b32 v6, s12
	v_cmp_eq_u16_e32 vcc_lo, 1, v17
	global_wb scope:SCOPE_DEV
	s_wait_storecnt_dscnt 0x0
	global_inv scope:SCOPE_DEV
	s_mov_b32 s3, 0
	v_dual_mov_b32 v18, 0 :: v_dual_cndmask_b32 v7, s15, v5
	v_cndmask_b32_e32 v6, s14, v6, vcc_lo
	s_delay_alu instid0(VALU_DEP_1)
	v_mad_nc_u64_u32 v[12:13], v4, 20, v[6:7]
                                        ; kill: killed $vgpr12_vgpr13
	s_clause 0x1
	global_load_b128 v[4:7], v[12:13], off
	global_load_u8 v11, v[12:13], off offset:16
	s_wait_xcnt 0x0
	v_mov_b64_e32 v[12:13], 0
	s_wait_loadcnt 0x1
	scratch_store_b128 off, v[4:7], off offset:176
	ds_store_2addr_b32 v16, v4, v5 offset1:1
	ds_store_2addr_b32 v16, v6, v7 offset0:2 offset1:3
	s_wait_loadcnt 0x0
	ds_store_b8 v16, v11 offset:16
	scratch_store_b32 off, v18, off offset:16
.LBB2033_275:                           ; =>This Inner Loop Header: Depth=1
	s_wait_xcnt 0x0
	s_mov_b32 s6, s3
	s_add_co_i32 s3, s3, 8
	scratch_store_b64 off, v[12:13], s6
	s_cmp_lg_u32 s3, 16
	s_cbranch_scc1 .LBB2033_275
; %bb.276:
	ds_load_b32 v11, v16 offset:16
	v_cmp_ne_u32_e32 vcc_lo, 31, v15
	v_lshlrev_b32_e64 v19, v15, -1
	s_mov_b32 s3, exec_lo
	s_wait_xcnt 0x0
	v_add_co_ci_u32_e64 v12, null, 0, v15, vcc_lo
	v_cmp_eq_u16_e32 vcc_lo, 2, v17
	s_delay_alu instid0(VALU_DEP_2)
	v_lshlrev_b32_e32 v18, 2, v12
	v_and_or_b32 v12, vcc_lo, v19, 0x80000000
	ds_bpermute_b32 v20, v18, v4
	ds_bpermute_b32 v21, v18, v5
	;; [unrolled: 1-line block ×4, first 2 shown]
	s_wait_dscnt 0x4
	ds_bpermute_b32 v13, v18, v11
	v_ctz_i32_b32_e32 v12, v12
	s_wait_dscnt 0x1
	scratch_store_b128 off, v[20:23], off
	s_wait_xcnt 0x0
	v_cmpx_lt_u32_e64 v15, v12
	s_cbranch_execz .LBB2033_284
; %bb.277:
	v_and_b32_e32 v20, 0xff, v11
	s_mov_b32 s6, exec_lo
	s_delay_alu instid0(VALU_DEP_1)
	v_cmpx_eq_u16_e32 0, v20
	s_cbranch_execz .LBB2033_283
; %bb.278:
	v_mov_b64_e32 v[4:5], 0
	s_mov_b32 s7, 0
.LBB2033_279:                           ; =>This Inner Loop Header: Depth=1
	s_wait_xcnt 0x0
	s_add_co_i32 s8, s7, 0xa0
	s_add_co_i32 s7, s7, 8
	scratch_store_b64 off, v[4:5], s8
	s_cmp_lg_u32 s7, 16
	s_cbranch_scc1 .LBB2033_279
; %bb.280:
	s_mov_b32 s7, 0
.LBB2033_281:                           ; =>This Inner Loop Header: Depth=1
	scratch_load_b64 v[4:5], off, s7
	v_add_nc_u32_e32 v6, s7, v16
	s_add_co_i32 s8, s7, 0xa0
	s_wait_xcnt 0x0
	s_add_co_i32 s7, s7, 8
	s_delay_alu instid0(SALU_CYCLE_1)
	s_cmp_lg_u32 s7, 16
	ds_load_2addr_b32 v[6:7], v6 offset1:1
	s_wait_loadcnt_dscnt 0x0
	v_dual_add_nc_u32 v5, v7, v5 :: v_dual_add_nc_u32 v4, v6, v4
	scratch_store_b64 off, v[4:5], s8
	s_cbranch_scc1 .LBB2033_281
; %bb.282:
	scratch_load_b128 v[4:7], off, off offset:160
.LBB2033_283:
	s_wait_xcnt 0x0
	s_or_b32 exec_lo, exec_lo, s6
	s_wait_dscnt 0x0
	v_or_b32_e32 v11, v13, v11
	s_delay_alu instid0(VALU_DEP_1)
	v_and_b32_e32 v11, 1, v11
	ds_store_b8 v16, v11 offset:16
	ds_load_b32 v11, v16 offset:16
	s_wait_loadcnt 0x0
	ds_store_2addr_b32 v16, v4, v5 offset1:1
	ds_store_2addr_b32 v16, v6, v7 offset0:2 offset1:3
.LBB2033_284:
	s_or_b32 exec_lo, exec_lo, s3
	v_cmp_gt_u32_e32 vcc_lo, 30, v15
	v_add_nc_u32_e32 v21, 2, v15
	s_mov_b32 s6, exec_lo
	s_wait_dscnt 0x0
	v_cndmask_b32_e64 v13, 0, 2, vcc_lo
	s_delay_alu instid0(VALU_DEP_1)
	v_add_lshl_u32 v20, v13, v15, 2
	ds_bpermute_b32 v22, v20, v4
	ds_bpermute_b32 v23, v20, v5
	ds_bpermute_b32 v24, v20, v6
	ds_bpermute_b32 v25, v20, v7
	ds_bpermute_b32 v13, v20, v11
	s_wait_dscnt 0x1
	scratch_store_b128 off, v[22:25], off
	s_wait_xcnt 0x0
	v_cmpx_le_u32_e64 v21, v12
	s_cbranch_execz .LBB2033_292
; %bb.285:
	v_and_b32_e32 v22, 0xff, v11
	s_mov_b32 s3, exec_lo
	s_delay_alu instid0(VALU_DEP_1)
	v_cmpx_eq_u16_e32 0, v22
	s_cbranch_execz .LBB2033_291
; %bb.286:
	v_mov_b64_e32 v[4:5], 0
	s_mov_b32 s7, 0
.LBB2033_287:                           ; =>This Inner Loop Header: Depth=1
	s_wait_xcnt 0x0
	s_add_co_i32 s8, s7, 0xa0
	s_add_co_i32 s7, s7, 8
	scratch_store_b64 off, v[4:5], s8
	s_cmp_lg_u32 s7, 16
	s_cbranch_scc1 .LBB2033_287
; %bb.288:
	s_mov_b32 s7, 0
.LBB2033_289:                           ; =>This Inner Loop Header: Depth=1
	scratch_load_b64 v[4:5], off, s7
	v_add_nc_u32_e32 v6, s7, v16
	s_add_co_i32 s8, s7, 0xa0
	s_wait_xcnt 0x0
	s_add_co_i32 s7, s7, 8
	s_delay_alu instid0(SALU_CYCLE_1)
	s_cmp_lg_u32 s7, 16
	ds_load_2addr_b32 v[6:7], v6 offset1:1
	s_wait_loadcnt_dscnt 0x0
	v_dual_add_nc_u32 v5, v7, v5 :: v_dual_add_nc_u32 v4, v6, v4
	scratch_store_b64 off, v[4:5], s8
	s_cbranch_scc1 .LBB2033_289
; %bb.290:
	scratch_load_b128 v[4:7], off, off offset:160
.LBB2033_291:
	s_wait_xcnt 0x0
	s_or_b32 exec_lo, exec_lo, s3
	v_and_b32_e32 v11, 1, v11
	s_wait_dscnt 0x0
	v_and_b32_e32 v13, 1, v13
	s_delay_alu instid0(VALU_DEP_2) | instskip(NEXT) | instid1(VALU_DEP_2)
	v_cmp_eq_u32_e32 vcc_lo, 1, v11
	v_cmp_eq_u32_e64 s3, 1, v13
	s_or_b32 s3, vcc_lo, s3
	s_delay_alu instid0(SALU_CYCLE_1)
	v_cndmask_b32_e64 v11, 0, 1, s3
	ds_store_b8 v16, v11 offset:16
	ds_load_b32 v11, v16 offset:16
	s_wait_loadcnt 0x0
	ds_store_2addr_b32 v16, v4, v5 offset1:1
	ds_store_2addr_b32 v16, v6, v7 offset0:2 offset1:3
.LBB2033_292:
	s_or_b32 exec_lo, exec_lo, s6
	v_cmp_gt_u32_e32 vcc_lo, 28, v15
	v_add_nc_u32_e32 v23, 4, v15
	s_mov_b32 s6, exec_lo
	s_wait_dscnt 0x0
	v_cndmask_b32_e64 v13, 0, 4, vcc_lo
	s_delay_alu instid0(VALU_DEP_1)
	v_add_lshl_u32 v22, v13, v15, 2
	ds_bpermute_b32 v24, v22, v4
	ds_bpermute_b32 v25, v22, v5
	;; [unrolled: 1-line block ×5, first 2 shown]
	s_wait_dscnt 0x1
	scratch_store_b128 off, v[24:27], off
	s_wait_xcnt 0x0
	v_cmpx_le_u32_e64 v23, v12
	s_cbranch_execz .LBB2033_300
; %bb.293:
	v_and_b32_e32 v24, 0xff, v11
	s_mov_b32 s3, exec_lo
	s_delay_alu instid0(VALU_DEP_1)
	v_cmpx_eq_u16_e32 0, v24
	s_cbranch_execz .LBB2033_299
; %bb.294:
	v_mov_b64_e32 v[4:5], 0
	s_mov_b32 s7, 0
.LBB2033_295:                           ; =>This Inner Loop Header: Depth=1
	s_wait_xcnt 0x0
	s_add_co_i32 s8, s7, 0xa0
	s_add_co_i32 s7, s7, 8
	scratch_store_b64 off, v[4:5], s8
	s_cmp_lg_u32 s7, 16
	s_cbranch_scc1 .LBB2033_295
; %bb.296:
	s_mov_b32 s7, 0
.LBB2033_297:                           ; =>This Inner Loop Header: Depth=1
	scratch_load_b64 v[4:5], off, s7
	v_add_nc_u32_e32 v6, s7, v16
	s_add_co_i32 s8, s7, 0xa0
	s_wait_xcnt 0x0
	s_add_co_i32 s7, s7, 8
	s_delay_alu instid0(SALU_CYCLE_1)
	s_cmp_lg_u32 s7, 16
	ds_load_2addr_b32 v[6:7], v6 offset1:1
	s_wait_loadcnt_dscnt 0x0
	v_dual_add_nc_u32 v5, v7, v5 :: v_dual_add_nc_u32 v4, v6, v4
	scratch_store_b64 off, v[4:5], s8
	s_cbranch_scc1 .LBB2033_297
; %bb.298:
	scratch_load_b128 v[4:7], off, off offset:160
.LBB2033_299:
	s_wait_xcnt 0x0
	s_or_b32 exec_lo, exec_lo, s3
	v_and_b32_e32 v11, 1, v11
	s_wait_dscnt 0x0
	v_and_b32_e32 v13, 1, v13
	s_delay_alu instid0(VALU_DEP_2) | instskip(NEXT) | instid1(VALU_DEP_2)
	v_cmp_eq_u32_e32 vcc_lo, 1, v11
	v_cmp_eq_u32_e64 s3, 1, v13
	s_or_b32 s3, vcc_lo, s3
	s_delay_alu instid0(SALU_CYCLE_1)
	v_cndmask_b32_e64 v11, 0, 1, s3
	ds_store_b8 v16, v11 offset:16
	ds_load_b32 v11, v16 offset:16
	s_wait_loadcnt 0x0
	ds_store_2addr_b32 v16, v4, v5 offset1:1
	ds_store_2addr_b32 v16, v6, v7 offset0:2 offset1:3
.LBB2033_300:
	s_or_b32 exec_lo, exec_lo, s6
	v_cmp_gt_u32_e32 vcc_lo, 24, v15
	v_add_nc_u32_e32 v25, 8, v15
	s_mov_b32 s6, exec_lo
	s_wait_dscnt 0x0
	v_cndmask_b32_e64 v13, 0, 8, vcc_lo
	s_delay_alu instid0(VALU_DEP_1)
	v_add_lshl_u32 v24, v13, v15, 2
	ds_bpermute_b32 v26, v24, v4
	ds_bpermute_b32 v27, v24, v5
	;; [unrolled: 1-line block ×5, first 2 shown]
	s_wait_dscnt 0x1
	scratch_store_b128 off, v[26:29], off
	s_wait_xcnt 0x0
	v_cmpx_le_u32_e64 v25, v12
	s_cbranch_execz .LBB2033_308
; %bb.301:
	v_and_b32_e32 v26, 0xff, v11
	s_mov_b32 s3, exec_lo
	s_delay_alu instid0(VALU_DEP_1)
	v_cmpx_eq_u16_e32 0, v26
	s_cbranch_execz .LBB2033_307
; %bb.302:
	v_mov_b64_e32 v[4:5], 0
	s_mov_b32 s7, 0
.LBB2033_303:                           ; =>This Inner Loop Header: Depth=1
	s_wait_xcnt 0x0
	s_add_co_i32 s8, s7, 0xa0
	s_add_co_i32 s7, s7, 8
	scratch_store_b64 off, v[4:5], s8
	s_cmp_lg_u32 s7, 16
	s_cbranch_scc1 .LBB2033_303
; %bb.304:
	s_mov_b32 s7, 0
.LBB2033_305:                           ; =>This Inner Loop Header: Depth=1
	scratch_load_b64 v[4:5], off, s7
	v_add_nc_u32_e32 v6, s7, v16
	s_add_co_i32 s8, s7, 0xa0
	s_wait_xcnt 0x0
	s_add_co_i32 s7, s7, 8
	s_delay_alu instid0(SALU_CYCLE_1)
	s_cmp_lg_u32 s7, 16
	ds_load_2addr_b32 v[6:7], v6 offset1:1
	s_wait_loadcnt_dscnt 0x0
	v_dual_add_nc_u32 v5, v7, v5 :: v_dual_add_nc_u32 v4, v6, v4
	scratch_store_b64 off, v[4:5], s8
	s_cbranch_scc1 .LBB2033_305
; %bb.306:
	scratch_load_b128 v[4:7], off, off offset:160
.LBB2033_307:
	s_wait_xcnt 0x0
	s_or_b32 exec_lo, exec_lo, s3
	v_and_b32_e32 v11, 1, v11
	s_wait_dscnt 0x0
	v_and_b32_e32 v13, 1, v13
	s_delay_alu instid0(VALU_DEP_2) | instskip(NEXT) | instid1(VALU_DEP_2)
	v_cmp_eq_u32_e32 vcc_lo, 1, v11
	v_cmp_eq_u32_e64 s3, 1, v13
	s_or_b32 s3, vcc_lo, s3
	s_delay_alu instid0(SALU_CYCLE_1)
	v_cndmask_b32_e64 v11, 0, 1, s3
	ds_store_b8 v16, v11 offset:16
	ds_load_b32 v11, v16 offset:16
	s_wait_loadcnt 0x0
	ds_store_2addr_b32 v16, v4, v5 offset1:1
	ds_store_2addr_b32 v16, v6, v7 offset0:2 offset1:3
.LBB2033_308:
	s_or_b32 exec_lo, exec_lo, s6
	v_lshl_or_b32 v26, v15, 2, 64
	v_add_nc_u32_e32 v27, 16, v15
	s_mov_b32 s6, exec_lo
	ds_bpermute_b32 v28, v26, v4
	ds_bpermute_b32 v29, v26, v5
	;; [unrolled: 1-line block ×4, first 2 shown]
	s_wait_dscnt 0x4
	ds_bpermute_b32 v13, v26, v11
	s_wait_dscnt 0x1
	scratch_store_b128 off, v[28:31], off
	s_wait_xcnt 0x0
	v_cmpx_le_u32_e64 v27, v12
	s_cbranch_execz .LBB2033_316
; %bb.309:
	v_and_b32_e32 v12, 0xff, v11
	s_mov_b32 s7, 0
	s_mov_b32 s3, exec_lo
	s_delay_alu instid0(VALU_DEP_1)
	v_cmpx_eq_u16_e32 0, v12
	s_cbranch_execz .LBB2033_315
; %bb.310:
	v_mov_b64_e32 v[4:5], 0
.LBB2033_311:                           ; =>This Inner Loop Header: Depth=1
	s_wait_xcnt 0x0
	s_add_co_i32 s8, s7, 0xa0
	s_add_co_i32 s7, s7, 8
	scratch_store_b64 off, v[4:5], s8
	s_cmp_lg_u32 s7, 16
	s_cbranch_scc1 .LBB2033_311
; %bb.312:
	s_mov_b32 s7, 0
.LBB2033_313:                           ; =>This Inner Loop Header: Depth=1
	scratch_load_b64 v[4:5], off, s7
	v_add_nc_u32_e32 v6, s7, v16
	s_add_co_i32 s8, s7, 0xa0
	s_wait_xcnt 0x0
	s_add_co_i32 s7, s7, 8
	s_delay_alu instid0(SALU_CYCLE_1)
	s_cmp_lg_u32 s7, 16
	ds_load_2addr_b32 v[6:7], v6 offset1:1
	s_wait_loadcnt_dscnt 0x0
	v_dual_add_nc_u32 v5, v7, v5 :: v_dual_add_nc_u32 v4, v6, v4
	scratch_store_b64 off, v[4:5], s8
	s_cbranch_scc1 .LBB2033_313
; %bb.314:
	scratch_load_b128 v[4:7], off, off offset:160
.LBB2033_315:
	s_wait_xcnt 0x0
	s_or_b32 exec_lo, exec_lo, s3
	v_and_b32_e32 v11, 1, v11
	s_wait_dscnt 0x0
	v_and_b32_e32 v12, 1, v13
	s_delay_alu instid0(VALU_DEP_2) | instskip(NEXT) | instid1(VALU_DEP_2)
	v_cmp_eq_u32_e32 vcc_lo, 1, v11
	v_cmp_eq_u32_e64 s3, 1, v12
	s_or_b32 s3, vcc_lo, s3
	s_delay_alu instid0(SALU_CYCLE_1)
	v_cndmask_b32_e64 v11, 0, 1, s3
	s_wait_loadcnt 0x0
	ds_store_2addr_b32 v16, v4, v5 offset1:1
	ds_store_2addr_b32 v16, v6, v7 offset0:2 offset1:3
	ds_store_b8 v16, v11 offset:16
.LBB2033_316:
	s_or_b32 exec_lo, exec_lo, s6
	ds_load_b32 v30, v16 offset:16
	ds_load_2addr_b32 v[6:7], v16 offset0:2 offset1:3
	ds_load_2addr_b32 v[4:5], v16 offset1:1
	v_mad_u32 v28, v9, 20, 0x3600
	s_wait_dscnt 0x3
	v_mov_b64_e32 v[12:13], 0
	v_lshl_add_u32 v29, v9, 4, 0x3b00
	v_mov_b32_e32 v11, 0
	s_wait_dscnt 0x2
	scratch_store_b32 off, v30, off offset:192
	s_wait_dscnt 0x0
	scratch_store_b128 off, v[4:7], off offset:176
	s_branch .LBB2033_320
.LBB2033_317:                           ;   in Loop: Header=BB2033_320 Depth=1
	scratch_load_b128 v[4:7], off, off
.LBB2033_318:                           ;   in Loop: Header=BB2033_320 Depth=1
	s_wait_xcnt 0x0
	s_or_b32 exec_lo, exec_lo, s6
	v_and_b32_e32 v30, 1, v30
	v_subrev_nc_u32_e32 v10, 32, v10
	s_delay_alu instid0(VALU_DEP_2) | instskip(SKIP_1) | instid1(SALU_CYCLE_1)
	v_cmp_eq_u32_e32 vcc_lo, 1, v30
	s_or_b32 s3, vcc_lo, s3
	v_cndmask_b32_e64 v30, 0, 1, s3
	s_mov_b32 s3, 0
	s_wait_loadcnt 0x0
	s_clause 0x1
	scratch_store_b128 off, v[4:7], off offset:176
	scratch_store_b8 off, v30, off offset:192
.LBB2033_319:                           ;   in Loop: Header=BB2033_320 Depth=1
	s_and_b32 vcc_lo, exec_lo, s3
	s_cbranch_vccnz .LBB2033_377
.LBB2033_320:                           ; =>This Loop Header: Depth=1
                                        ;     Child Loop BB2033_322 Depth 2
                                        ;     Child Loop BB2033_325 Depth 2
	;; [unrolled: 1-line block ×15, first 2 shown]
	s_wait_xcnt 0x0
	v_and_b32_e32 v4, 0xff, v17
	s_mov_b32 s3, -1
                                        ; implicit-def: $vgpr17
	s_delay_alu instid0(VALU_DEP_1)
	v_cmp_ne_u16_e32 vcc_lo, 2, v4
	s_cmp_lg_u32 vcc_lo, exec_lo
	s_cbranch_scc1 .LBB2033_319
; %bb.321:                              ;   in Loop: Header=BB2033_320 Depth=1
	v_dual_mov_b32 v4, v11 :: v_dual_mov_b32 v5, v11
	v_dual_mov_b32 v6, v11 :: v_dual_mov_b32 v7, v11
	s_mov_b32 s3, 0
	s_clause 0x1
	scratch_store_b32 off, v11, off offset:16
	scratch_store_b128 off, v[4:7], off
.LBB2033_322:                           ;   Parent Loop BB2033_320 Depth=1
                                        ; =>  This Inner Loop Header: Depth=2
	s_wait_xcnt 0x0
	s_mov_b32 s6, s3
	s_add_co_i32 s3, s3, 8
	scratch_store_b64 off, v[12:13], s6
	s_cmp_lg_u32 s3, 16
	s_cbranch_scc1 .LBB2033_322
; %bb.323:                              ;   in Loop: Header=BB2033_320 Depth=1
	scratch_store_b8 off, v11, off offset:16
	global_load_u8 v17, v10, s[16:17] scope:SCOPE_DEV
	s_mov_b32 s3, exec_lo
	s_wait_loadcnt 0x0
	s_wait_xcnt 0x0
	v_cmpx_eq_u16_e32 0, v17
	s_cbranch_execz .LBB2033_327
; %bb.324:                              ;   in Loop: Header=BB2033_320 Depth=1
	v_add_nc_u64_e32 v[4:5], s[16:17], v[10:11]
	s_mov_b32 s6, 0
.LBB2033_325:                           ;   Parent Loop BB2033_320 Depth=1
                                        ; =>  This Inner Loop Header: Depth=2
	global_load_u8 v17, v[4:5], off scope:SCOPE_DEV
	s_wait_loadcnt 0x0
	v_cmp_ne_u16_e32 vcc_lo, 0, v17
	s_or_b32 s6, vcc_lo, s6
	s_wait_xcnt 0x0
	s_and_not1_b32 exec_lo, exec_lo, s6
	s_cbranch_execnz .LBB2033_325
; %bb.326:                              ;   in Loop: Header=BB2033_320 Depth=1
	s_or_b32 exec_lo, exec_lo, s6
.LBB2033_327:                           ;   in Loop: Header=BB2033_320 Depth=1
	s_delay_alu instid0(SALU_CYCLE_1)
	s_or_b32 exec_lo, exec_lo, s3
	v_dual_mov_b32 v4, s13 :: v_dual_mov_b32 v6, s12
	v_cmp_eq_u16_e32 vcc_lo, 1, v17
	global_wb scope:SCOPE_DEV
	s_wait_storecnt 0x0
	global_inv scope:SCOPE_DEV
	s_mov_b32 s3, 0
	v_cndmask_b32_e32 v5, s15, v4, vcc_lo
	v_cndmask_b32_e32 v4, s14, v6, vcc_lo
	s_delay_alu instid0(VALU_DEP_1)
	v_mad_nc_u64_u32 v[30:31], v10, 20, v[4:5]
                                        ; kill: killed $vgpr30_vgpr31
	s_clause 0x1
	global_load_b128 v[4:7], v[30:31], off
	global_load_u8 v32, v[30:31], off offset:16
	s_wait_loadcnt 0x1
	scratch_store_b128 off, v[4:7], off
	ds_store_2addr_b32 v16, v4, v5 offset1:1
	ds_store_2addr_b32 v16, v6, v7 offset0:2 offset1:3
	s_wait_loadcnt 0x0
	ds_store_b8 v16, v32 offset:16
	ds_store_b32 v28, v11 offset:16
.LBB2033_328:                           ;   Parent Loop BB2033_320 Depth=1
                                        ; =>  This Inner Loop Header: Depth=2
	s_wait_xcnt 0x1
	v_add_nc_u32_e32 v30, s3, v28
	s_add_co_i32 s3, s3, 8
	s_delay_alu instid0(SALU_CYCLE_1)
	s_cmp_lg_u32 s3, 16
	ds_store_2addr_b32 v30, v11, v11 offset1:1
	s_cbranch_scc1 .LBB2033_328
; %bb.329:                              ;   in Loop: Header=BB2033_320 Depth=1
	ds_load_b32 v31, v16 offset:16
	ds_bpermute_b32 v33, v18, v4
	ds_bpermute_b32 v34, v18, v5
	;; [unrolled: 1-line block ×4, first 2 shown]
	v_cmp_eq_u16_e32 vcc_lo, 2, v17
	s_mov_b32 s3, exec_lo
	s_wait_dscnt 0x2
	ds_store_2addr_b32 v28, v33, v34 offset1:1
	s_wait_dscnt 0x1
	ds_store_2addr_b32 v28, v35, v36 offset0:2 offset1:3
	ds_bpermute_b32 v32, v18, v31
	v_and_or_b32 v30, vcc_lo, v19, 0x80000000
	s_delay_alu instid0(VALU_DEP_1) | instskip(SKIP_1) | instid1(VALU_DEP_1)
	v_ctz_i32_b32_e32 v30, v30
	s_wait_xcnt 0x0
	v_cmpx_lt_u32_e64 v15, v30
	s_cbranch_execz .LBB2033_337
; %bb.330:                              ;   in Loop: Header=BB2033_320 Depth=1
	v_and_b32_e32 v33, 0xff, v31
	s_mov_b32 s6, exec_lo
	s_delay_alu instid0(VALU_DEP_1)
	v_cmpx_eq_u16_e32 0, v33
	s_cbranch_execz .LBB2033_336
; %bb.331:                              ;   in Loop: Header=BB2033_320 Depth=1
	s_mov_b32 s7, 0
.LBB2033_332:                           ;   Parent Loop BB2033_320 Depth=1
                                        ; =>  This Inner Loop Header: Depth=2
	s_delay_alu instid0(SALU_CYCLE_1) | instskip(SKIP_1) | instid1(SALU_CYCLE_1)
	v_add_nc_u32_e32 v4, s7, v29
	s_add_co_i32 s7, s7, 8
	s_cmp_lg_u32 s7, 16
	ds_store_2addr_b32 v4, v11, v11 offset1:1
	s_cbranch_scc1 .LBB2033_332
; %bb.333:                              ;   in Loop: Header=BB2033_320 Depth=1
	s_mov_b32 s7, 0
.LBB2033_334:                           ;   Parent Loop BB2033_320 Depth=1
                                        ; =>  This Inner Loop Header: Depth=2
	s_delay_alu instid0(SALU_CYCLE_1)
	v_dual_add_nc_u32 v4, s7, v28 :: v_dual_add_nc_u32 v33, s7, v29
	v_add_nc_u32_e32 v6, s7, v16
	s_add_co_i32 s7, s7, 8
	ds_load_2addr_b32 v[4:5], v4 offset1:1
	ds_load_2addr_b32 v[6:7], v6 offset1:1
	s_cmp_lg_u32 s7, 16
	s_wait_dscnt 0x0
	v_dual_add_nc_u32 v5, v7, v5 :: v_dual_add_nc_u32 v4, v6, v4
	ds_store_2addr_b32 v33, v4, v5 offset1:1
	s_cbranch_scc1 .LBB2033_334
; %bb.335:                              ;   in Loop: Header=BB2033_320 Depth=1
	ds_load_2addr_b32 v[4:5], v29 offset1:1
	ds_load_2addr_b32 v[6:7], v29 offset0:2 offset1:3
.LBB2033_336:                           ;   in Loop: Header=BB2033_320 Depth=1
	s_or_b32 exec_lo, exec_lo, s6
	s_wait_dscnt 0x0
	v_or_b32_e32 v31, v32, v31
	s_delay_alu instid0(VALU_DEP_1)
	v_and_b32_e32 v31, 1, v31
	ds_store_b8 v16, v31 offset:16
	ds_load_b32 v31, v16 offset:16
	ds_store_2addr_b32 v16, v4, v5 offset1:1
	ds_store_2addr_b32 v16, v6, v7 offset0:2 offset1:3
.LBB2033_337:                           ;   in Loop: Header=BB2033_320 Depth=1
	s_or_b32 exec_lo, exec_lo, s3
	ds_bpermute_b32 v33, v20, v4
	ds_bpermute_b32 v34, v20, v5
	s_wait_dscnt 0x2
	ds_bpermute_b32 v32, v20, v31
	ds_bpermute_b32 v35, v20, v6
	;; [unrolled: 1-line block ×3, first 2 shown]
	s_mov_b32 s6, exec_lo
	s_wait_dscnt 0x3
	ds_store_2addr_b32 v28, v33, v34 offset1:1
	s_wait_dscnt 0x1
	ds_store_2addr_b32 v28, v35, v36 offset0:2 offset1:3
	v_cmpx_le_u32_e64 v21, v30
	s_cbranch_execz .LBB2033_345
; %bb.338:                              ;   in Loop: Header=BB2033_320 Depth=1
	v_and_b32_e32 v33, 0xff, v31
	s_mov_b32 s3, exec_lo
	s_delay_alu instid0(VALU_DEP_1)
	v_cmpx_eq_u16_e32 0, v33
	s_cbranch_execz .LBB2033_344
; %bb.339:                              ;   in Loop: Header=BB2033_320 Depth=1
	s_mov_b32 s7, 0
.LBB2033_340:                           ;   Parent Loop BB2033_320 Depth=1
                                        ; =>  This Inner Loop Header: Depth=2
	s_delay_alu instid0(SALU_CYCLE_1) | instskip(SKIP_1) | instid1(SALU_CYCLE_1)
	v_add_nc_u32_e32 v4, s7, v29
	s_add_co_i32 s7, s7, 8
	s_cmp_lg_u32 s7, 16
	ds_store_2addr_b32 v4, v11, v11 offset1:1
	s_cbranch_scc1 .LBB2033_340
; %bb.341:                              ;   in Loop: Header=BB2033_320 Depth=1
	s_mov_b32 s7, 0
.LBB2033_342:                           ;   Parent Loop BB2033_320 Depth=1
                                        ; =>  This Inner Loop Header: Depth=2
	s_delay_alu instid0(SALU_CYCLE_1)
	v_dual_add_nc_u32 v4, s7, v28 :: v_dual_add_nc_u32 v33, s7, v29
	v_add_nc_u32_e32 v6, s7, v16
	s_add_co_i32 s7, s7, 8
	ds_load_2addr_b32 v[4:5], v4 offset1:1
	ds_load_2addr_b32 v[6:7], v6 offset1:1
	s_cmp_lg_u32 s7, 16
	s_wait_dscnt 0x0
	v_dual_add_nc_u32 v5, v7, v5 :: v_dual_add_nc_u32 v4, v6, v4
	ds_store_2addr_b32 v33, v4, v5 offset1:1
	s_cbranch_scc1 .LBB2033_342
; %bb.343:                              ;   in Loop: Header=BB2033_320 Depth=1
	ds_load_2addr_b32 v[4:5], v29 offset1:1
	ds_load_2addr_b32 v[6:7], v29 offset0:2 offset1:3
.LBB2033_344:                           ;   in Loop: Header=BB2033_320 Depth=1
	s_or_b32 exec_lo, exec_lo, s3
	v_and_b32_e32 v31, 1, v31
	v_and_b32_e32 v32, 1, v32
	s_delay_alu instid0(VALU_DEP_2) | instskip(NEXT) | instid1(VALU_DEP_2)
	v_cmp_eq_u32_e32 vcc_lo, 1, v31
	v_cmp_eq_u32_e64 s3, 1, v32
	s_or_b32 s3, vcc_lo, s3
	s_delay_alu instid0(SALU_CYCLE_1)
	v_cndmask_b32_e64 v31, 0, 1, s3
	ds_store_b8 v16, v31 offset:16
	ds_load_b32 v31, v16 offset:16
	s_wait_dscnt 0x3
	ds_store_2addr_b32 v16, v4, v5 offset1:1
	s_wait_dscnt 0x3
	ds_store_2addr_b32 v16, v6, v7 offset0:2 offset1:3
.LBB2033_345:                           ;   in Loop: Header=BB2033_320 Depth=1
	s_or_b32 exec_lo, exec_lo, s6
	ds_bpermute_b32 v33, v22, v4
	ds_bpermute_b32 v34, v22, v5
	s_wait_dscnt 0x4
	ds_bpermute_b32 v32, v22, v31
	ds_bpermute_b32 v35, v22, v6
	;; [unrolled: 1-line block ×3, first 2 shown]
	s_mov_b32 s6, exec_lo
	s_wait_dscnt 0x3
	ds_store_2addr_b32 v28, v33, v34 offset1:1
	s_wait_dscnt 0x1
	ds_store_2addr_b32 v28, v35, v36 offset0:2 offset1:3
	v_cmpx_le_u32_e64 v23, v30
	s_cbranch_execz .LBB2033_353
; %bb.346:                              ;   in Loop: Header=BB2033_320 Depth=1
	v_and_b32_e32 v33, 0xff, v31
	s_mov_b32 s3, exec_lo
	s_delay_alu instid0(VALU_DEP_1)
	v_cmpx_eq_u16_e32 0, v33
	s_cbranch_execz .LBB2033_352
; %bb.347:                              ;   in Loop: Header=BB2033_320 Depth=1
	s_mov_b32 s7, 0
.LBB2033_348:                           ;   Parent Loop BB2033_320 Depth=1
                                        ; =>  This Inner Loop Header: Depth=2
	s_delay_alu instid0(SALU_CYCLE_1) | instskip(SKIP_1) | instid1(SALU_CYCLE_1)
	v_add_nc_u32_e32 v4, s7, v29
	s_add_co_i32 s7, s7, 8
	s_cmp_lg_u32 s7, 16
	ds_store_2addr_b32 v4, v11, v11 offset1:1
	s_cbranch_scc1 .LBB2033_348
; %bb.349:                              ;   in Loop: Header=BB2033_320 Depth=1
	s_mov_b32 s7, 0
.LBB2033_350:                           ;   Parent Loop BB2033_320 Depth=1
                                        ; =>  This Inner Loop Header: Depth=2
	s_delay_alu instid0(SALU_CYCLE_1)
	v_dual_add_nc_u32 v4, s7, v28 :: v_dual_add_nc_u32 v33, s7, v29
	v_add_nc_u32_e32 v6, s7, v16
	s_add_co_i32 s7, s7, 8
	ds_load_2addr_b32 v[4:5], v4 offset1:1
	ds_load_2addr_b32 v[6:7], v6 offset1:1
	s_cmp_lg_u32 s7, 16
	s_wait_dscnt 0x0
	v_dual_add_nc_u32 v5, v7, v5 :: v_dual_add_nc_u32 v4, v6, v4
	ds_store_2addr_b32 v33, v4, v5 offset1:1
	s_cbranch_scc1 .LBB2033_350
; %bb.351:                              ;   in Loop: Header=BB2033_320 Depth=1
	ds_load_2addr_b32 v[4:5], v29 offset1:1
	ds_load_2addr_b32 v[6:7], v29 offset0:2 offset1:3
.LBB2033_352:                           ;   in Loop: Header=BB2033_320 Depth=1
	s_or_b32 exec_lo, exec_lo, s3
	v_and_b32_e32 v31, 1, v31
	v_and_b32_e32 v32, 1, v32
	s_delay_alu instid0(VALU_DEP_2) | instskip(NEXT) | instid1(VALU_DEP_2)
	v_cmp_eq_u32_e32 vcc_lo, 1, v31
	v_cmp_eq_u32_e64 s3, 1, v32
	s_or_b32 s3, vcc_lo, s3
	s_delay_alu instid0(SALU_CYCLE_1)
	v_cndmask_b32_e64 v31, 0, 1, s3
	ds_store_b8 v16, v31 offset:16
	ds_load_b32 v31, v16 offset:16
	s_wait_dscnt 0x3
	ds_store_2addr_b32 v16, v4, v5 offset1:1
	s_wait_dscnt 0x3
	ds_store_2addr_b32 v16, v6, v7 offset0:2 offset1:3
.LBB2033_353:                           ;   in Loop: Header=BB2033_320 Depth=1
	s_or_b32 exec_lo, exec_lo, s6
	ds_bpermute_b32 v33, v24, v4
	ds_bpermute_b32 v34, v24, v5
	s_wait_dscnt 0x4
	ds_bpermute_b32 v32, v24, v31
	ds_bpermute_b32 v35, v24, v6
	;; [unrolled: 1-line block ×3, first 2 shown]
	s_mov_b32 s6, exec_lo
	s_wait_dscnt 0x3
	ds_store_2addr_b32 v28, v33, v34 offset1:1
	s_wait_dscnt 0x1
	ds_store_2addr_b32 v28, v35, v36 offset0:2 offset1:3
	v_cmpx_le_u32_e64 v25, v30
	s_cbranch_execz .LBB2033_361
; %bb.354:                              ;   in Loop: Header=BB2033_320 Depth=1
	v_and_b32_e32 v33, 0xff, v31
	s_mov_b32 s3, exec_lo
	s_delay_alu instid0(VALU_DEP_1)
	v_cmpx_eq_u16_e32 0, v33
	s_cbranch_execz .LBB2033_360
; %bb.355:                              ;   in Loop: Header=BB2033_320 Depth=1
	s_mov_b32 s7, 0
.LBB2033_356:                           ;   Parent Loop BB2033_320 Depth=1
                                        ; =>  This Inner Loop Header: Depth=2
	s_delay_alu instid0(SALU_CYCLE_1) | instskip(SKIP_1) | instid1(SALU_CYCLE_1)
	v_add_nc_u32_e32 v4, s7, v29
	s_add_co_i32 s7, s7, 8
	s_cmp_lg_u32 s7, 16
	ds_store_2addr_b32 v4, v11, v11 offset1:1
	s_cbranch_scc1 .LBB2033_356
; %bb.357:                              ;   in Loop: Header=BB2033_320 Depth=1
	s_mov_b32 s7, 0
.LBB2033_358:                           ;   Parent Loop BB2033_320 Depth=1
                                        ; =>  This Inner Loop Header: Depth=2
	s_delay_alu instid0(SALU_CYCLE_1)
	v_dual_add_nc_u32 v4, s7, v28 :: v_dual_add_nc_u32 v33, s7, v29
	v_add_nc_u32_e32 v6, s7, v16
	s_add_co_i32 s7, s7, 8
	ds_load_2addr_b32 v[4:5], v4 offset1:1
	ds_load_2addr_b32 v[6:7], v6 offset1:1
	s_cmp_lg_u32 s7, 16
	s_wait_dscnt 0x0
	v_dual_add_nc_u32 v5, v7, v5 :: v_dual_add_nc_u32 v4, v6, v4
	ds_store_2addr_b32 v33, v4, v5 offset1:1
	s_cbranch_scc1 .LBB2033_358
; %bb.359:                              ;   in Loop: Header=BB2033_320 Depth=1
	ds_load_2addr_b32 v[4:5], v29 offset1:1
	ds_load_2addr_b32 v[6:7], v29 offset0:2 offset1:3
.LBB2033_360:                           ;   in Loop: Header=BB2033_320 Depth=1
	s_or_b32 exec_lo, exec_lo, s3
	v_and_b32_e32 v31, 1, v31
	v_and_b32_e32 v32, 1, v32
	s_delay_alu instid0(VALU_DEP_2) | instskip(NEXT) | instid1(VALU_DEP_2)
	v_cmp_eq_u32_e32 vcc_lo, 1, v31
	v_cmp_eq_u32_e64 s3, 1, v32
	s_or_b32 s3, vcc_lo, s3
	s_delay_alu instid0(SALU_CYCLE_1)
	v_cndmask_b32_e64 v31, 0, 1, s3
	ds_store_b8 v16, v31 offset:16
	ds_load_b32 v31, v16 offset:16
	s_wait_dscnt 0x3
	ds_store_2addr_b32 v16, v4, v5 offset1:1
	s_wait_dscnt 0x3
	ds_store_2addr_b32 v16, v6, v7 offset0:2 offset1:3
.LBB2033_361:                           ;   in Loop: Header=BB2033_320 Depth=1
	s_or_b32 exec_lo, exec_lo, s6
	ds_bpermute_b32 v33, v26, v4
	ds_bpermute_b32 v34, v26, v5
	s_wait_dscnt 0x4
	ds_bpermute_b32 v32, v26, v31
	ds_bpermute_b32 v35, v26, v6
	ds_bpermute_b32 v36, v26, v7
	v_and_b32_e32 v37, 1, v31
	s_mov_b32 s6, exec_lo
	s_wait_dscnt 0x3
	ds_store_2addr_b32 v28, v33, v34 offset1:1
	s_wait_dscnt 0x1
	ds_store_2addr_b32 v28, v35, v36 offset0:2 offset1:3
	v_cmp_eq_u32_e64 s3, 1, v37
	v_cmpx_le_u32_e64 v27, v30
	s_cbranch_execz .LBB2033_369
; %bb.362:                              ;   in Loop: Header=BB2033_320 Depth=1
	v_and_b32_e32 v30, 0xff, v31
	s_mov_b32 s7, exec_lo
	s_delay_alu instid0(VALU_DEP_1)
	v_cmpx_eq_u16_e32 0, v30
	s_cbranch_execz .LBB2033_368
; %bb.363:                              ;   in Loop: Header=BB2033_320 Depth=1
	s_mov_b32 s8, 0
.LBB2033_364:                           ;   Parent Loop BB2033_320 Depth=1
                                        ; =>  This Inner Loop Header: Depth=2
	s_delay_alu instid0(SALU_CYCLE_1) | instskip(SKIP_1) | instid1(SALU_CYCLE_1)
	v_add_nc_u32_e32 v4, s8, v29
	s_add_co_i32 s8, s8, 8
	s_cmp_lg_u32 s8, 16
	ds_store_2addr_b32 v4, v11, v11 offset1:1
	s_cbranch_scc1 .LBB2033_364
; %bb.365:                              ;   in Loop: Header=BB2033_320 Depth=1
	s_mov_b32 s8, 0
.LBB2033_366:                           ;   Parent Loop BB2033_320 Depth=1
                                        ; =>  This Inner Loop Header: Depth=2
	s_delay_alu instid0(SALU_CYCLE_1)
	v_dual_add_nc_u32 v4, s8, v28 :: v_dual_add_nc_u32 v30, s8, v29
	v_add_nc_u32_e32 v6, s8, v16
	s_add_co_i32 s8, s8, 8
	ds_load_2addr_b32 v[4:5], v4 offset1:1
	ds_load_2addr_b32 v[6:7], v6 offset1:1
	s_cmp_lg_u32 s8, 16
	s_wait_dscnt 0x0
	v_dual_add_nc_u32 v5, v7, v5 :: v_dual_add_nc_u32 v4, v6, v4
	ds_store_2addr_b32 v30, v4, v5 offset1:1
	s_cbranch_scc1 .LBB2033_366
; %bb.367:                              ;   in Loop: Header=BB2033_320 Depth=1
	ds_load_2addr_b32 v[4:5], v29 offset1:1
	ds_load_2addr_b32 v[6:7], v29 offset0:2 offset1:3
.LBB2033_368:                           ;   in Loop: Header=BB2033_320 Depth=1
	s_or_b32 exec_lo, exec_lo, s7
	v_and_b32_e32 v30, 1, v32
	s_and_not1_b32 s7, s3, exec_lo
	s_delay_alu instid0(VALU_DEP_1) | instskip(SKIP_1) | instid1(SALU_CYCLE_1)
	v_cmp_eq_u32_e32 vcc_lo, 1, v30
	s_or_b32 s3, s3, vcc_lo
	v_cndmask_b32_e64 v30, 0, 1, s3
	s_and_b32 s3, s3, exec_lo
	s_wait_dscnt 0x1
	ds_store_2addr_b32 v16, v4, v5 offset1:1
	s_wait_dscnt 0x1
	ds_store_2addr_b32 v16, v6, v7 offset0:2 offset1:3
	ds_store_b8 v16, v30 offset:16
	s_or_b32 s3, s7, s3
.LBB2033_369:                           ;   in Loop: Header=BB2033_320 Depth=1
	s_or_b32 exec_lo, exec_lo, s6
	scratch_load_u8 v30, off, off offset:192
	s_mov_b32 s6, exec_lo
                                        ; implicit-def: $vgpr6_vgpr7
	s_wait_loadcnt 0x0
	v_cmpx_ne_u16_e32 0, v30
	s_xor_b32 s6, exec_lo, s6
	s_cbranch_execz .LBB2033_371
; %bb.370:                              ;   in Loop: Header=BB2033_320 Depth=1
	scratch_load_b128 v[4:7], off, off offset:176
.LBB2033_371:                           ;   in Loop: Header=BB2033_320 Depth=1
	s_wait_xcnt 0x0
	s_and_not1_saveexec_b32 s6, s6
	s_cbranch_execz .LBB2033_318
; %bb.372:                              ;   in Loop: Header=BB2033_320 Depth=1
	s_mov_b32 s7, 0
.LBB2033_373:                           ;   Parent Loop BB2033_320 Depth=1
                                        ; =>  This Inner Loop Header: Depth=2
	s_wait_xcnt 0x0
	s_mov_b32 s8, s7
	s_add_co_i32 s7, s7, 8
	scratch_store_b64 off, v[12:13], s8
	s_cmp_lg_u32 s7, 16
	s_cbranch_scc1 .LBB2033_373
; %bb.374:                              ;   in Loop: Header=BB2033_320 Depth=1
	s_mov_b32 s7, 0
.LBB2033_375:                           ;   Parent Loop BB2033_320 Depth=1
                                        ; =>  This Inner Loop Header: Depth=2
	s_wait_xcnt 0x0
	s_add_co_i32 s8, s7, 0xb0
	s_wait_loadcnt 0x0
	scratch_load_b64 v[4:5], off, s8
	v_add_nc_u32_e32 v6, s7, v16
	s_wait_xcnt 0x0
	s_mov_b32 s8, s7
	s_add_co_i32 s7, s7, 8
	s_delay_alu instid0(SALU_CYCLE_1)
	s_cmp_lg_u32 s7, 16
	ds_load_2addr_b32 v[6:7], v6 offset1:1
	s_wait_loadcnt_dscnt 0x0
	v_dual_add_nc_u32 v5, v5, v7 :: v_dual_add_nc_u32 v4, v4, v6
	scratch_store_b64 off, v[4:5], s8
	s_cbranch_scc1 .LBB2033_375
	s_branch .LBB2033_317
.LBB2033_376:
	s_cbranch_execnz .LBB2033_478
	s_branch .LBB2033_721
.LBB2033_377:
	s_clause 0x1
	scratch_load_b128 v[4:7], off, off offset:176
	scratch_load_b32 v10, off, off offset:192
	s_wait_loadcnt 0x1
	scratch_store_b128 off, v[4:7], off
	s_wait_loadcnt 0x0
	scratch_store_b32 off, v10, off offset:16
	s_wait_xcnt 0x0
	s_and_saveexec_b32 s3, s2
	s_cbranch_execz .LBB2033_385
; %bb.378:
	v_and_b32_e32 v11, 0xff, v14
	s_mov_b32 s2, 0
	s_delay_alu instid0(VALU_DEP_1)
	v_cmp_ne_u32_e32 vcc_lo, 0, v11
	s_cbranch_vccnz .LBB2033_384
; %bb.379:
	v_mov_b64_e32 v[0:1], 0
.LBB2033_380:                           ; =>This Inner Loop Header: Depth=1
	s_wait_xcnt 0x0
	s_add_co_i32 s6, s2, 0xb0
	s_add_co_i32 s2, s2, 8
	scratch_store_b64 off, v[0:1], s6
	s_cmp_lg_u32 s2, 16
	s_cbranch_scc1 .LBB2033_380
; %bb.381:
	s_mov_b32 s2, 0
.LBB2033_382:                           ; =>This Inner Loop Header: Depth=1
	s_wait_xcnt 0x1
	s_add_co_i32 s7, s2, 0xc4
	scratch_load_b64 v[0:1], off, s2
	scratch_load_b64 v[2:3], off, s7
	s_mov_b32 s6, s2
                                        ; kill: killed $sgpr6
	s_add_co_i32 s6, s2, 0xb0
	s_wait_xcnt 0x1
	s_add_co_i32 s2, s2, 8
                                        ; kill: killed $sgpr7
	s_delay_alu instid0(SALU_CYCLE_1)
	s_cmp_lg_u32 s2, 16
	s_wait_loadcnt 0x0
	v_dual_add_nc_u32 v1, v3, v1 :: v_dual_add_nc_u32 v0, v2, v0
	scratch_store_b64 off, v[0:1], s6
	s_cbranch_scc1 .LBB2033_382
; %bb.383:
	scratch_load_b128 v[0:3], off, off offset:176
.LBB2033_384:
	s_add_co_i32 s6, s30, 32
	s_mov_b32 s7, 0
	v_bitop3_b16 v11, v14, 1, v10 bitop3:0xc8
	v_dual_mov_b32 v12, 0 :: v_dual_mov_b32 v13, 2
	v_mov_b32_e32 v14, s6
	s_mul_u64 s[8:9], s[6:7], 20
	s_delay_alu instid0(SALU_CYCLE_1)
	s_add_nc_u64 s[8:9], s[14:15], s[8:9]
	s_wait_loadcnt 0x0
	s_clause 0x1
	global_store_b128 v12, v[0:3], s[8:9]
	global_store_b8 v12, v11, s[8:9] offset:16
	global_wb scope:SCOPE_DEV
	s_wait_storecnt_dscnt 0x0
	global_inv scope:SCOPE_DEV
	s_wait_xcnt 0x0
	global_store_b8 v14, v13, s[16:17] scope:SCOPE_DEV
.LBB2033_385:
	s_wait_xcnt 0x0
	s_or_b32 exec_lo, exec_lo, s3
	s_delay_alu instid0(SALU_CYCLE_1)
	s_and_b32 exec_lo, exec_lo, s1
	s_cbranch_execz .LBB2033_387
; %bb.386:
	v_mov_b32_e32 v0, 0
	ds_store_b128 v0, v[4:7]
	ds_store_b8 v0, v10 offset:16
.LBB2033_387:
	s_or_b32 exec_lo, exec_lo, s5
	s_wait_storecnt 0x0
	s_wait_loadcnt_dscnt 0x0
	s_barrier_signal -1
	s_barrier_wait -1
	scratch_load_u8 v5, off, off offset:256
	v_mov_b32_e32 v4, 0
	ds_load_b128 v[0:3], v4
	ds_load_b32 v4, v4 offset:16
	s_wait_dscnt 0x1
	scratch_store_b128 off, v[0:3], off
	s_wait_dscnt 0x0
	scratch_store_b32 off, v4, off offset:16
	s_wait_xcnt 0x0
	s_and_saveexec_b32 s1, s0
	s_cbranch_execz .LBB2033_397
; %bb.388:
	s_wait_loadcnt 0x0
	v_and_b32_e32 v0, 0xff, v5
	s_delay_alu instid0(VALU_DEP_1) | instskip(SKIP_1) | instid1(SALU_CYCLE_1)
	v_cmp_ne_u16_e32 vcc_lo, 0, v0
                                        ; implicit-def: $vgpr2_vgpr3
	s_and_saveexec_b32 s0, vcc_lo
	s_xor_b32 s0, exec_lo, s0
	s_cbranch_execz .LBB2033_390
; %bb.389:
	scratch_load_b128 v[0:3], off, off offset:240
.LBB2033_390:
	s_wait_xcnt 0x0
	s_and_not1_saveexec_b32 s0, s0
	s_cbranch_execz .LBB2033_396
; %bb.391:
	s_wait_loadcnt 0x0
	v_mov_b64_e32 v[0:1], 0
	s_mov_b32 s2, 0
.LBB2033_392:                           ; =>This Inner Loop Header: Depth=1
	s_wait_xcnt 0x0
	s_add_co_i32 s3, s2, 0xb0
	s_add_co_i32 s2, s2, 8
	scratch_store_b64 off, v[0:1], s3
	s_cmp_lg_u32 s2, 16
	s_cbranch_scc1 .LBB2033_392
; %bb.393:
	s_mov_b32 s2, 0
.LBB2033_394:                           ; =>This Inner Loop Header: Depth=1
	s_wait_xcnt 0x0
	s_add_co_i32 s3, s2, 0xd8
	s_add_co_i32 s5, s2, 0xf0
	scratch_load_b64 v[0:1], off, s3
	scratch_load_b64 v[2:3], off, s5
                                        ; kill: killed $sgpr3
	s_wait_xcnt 0x1
	s_add_co_i32 s3, s2, 0xb0
	s_add_co_i32 s2, s2, 8
                                        ; kill: killed $sgpr5
	s_delay_alu instid0(SALU_CYCLE_1)
	s_cmp_lg_u32 s2, 16
	s_wait_loadcnt 0x0
	v_dual_add_nc_u32 v1, v3, v1 :: v_dual_add_nc_u32 v0, v2, v0
	scratch_store_b64 off, v[0:1], s3
	s_cbranch_scc1 .LBB2033_394
; %bb.395:
	scratch_load_b128 v[0:3], off, off offset:176
.LBB2033_396:
	s_wait_xcnt 0x0
	s_or_b32 exec_lo, exec_lo, s0
	v_and_b32_e32 v5, 1, v5
	s_wait_loadcnt 0x0
	scratch_store_b128 off, v[0:3], off offset:240
	v_cmp_eq_u32_e32 vcc_lo, 1, v5
	s_or_b32 s0, vcc_lo, s4
	s_delay_alu instid0(SALU_CYCLE_1)
	v_cndmask_b32_e64 v5, 0, 1, s0
.LBB2033_397:
	s_wait_xcnt 0x0
	s_or_b32 exec_lo, exec_lo, s1
	s_wait_loadcnt 0x0
	s_delay_alu instid0(VALU_DEP_1) | instskip(NEXT) | instid1(VALU_DEP_1)
	v_and_b32_e32 v0, 0xff, v5
	v_cmp_ne_u16_e32 vcc_lo, 0, v0
                                        ; implicit-def: $vgpr2_vgpr3
	s_and_saveexec_b32 s0, vcc_lo
	s_delay_alu instid0(SALU_CYCLE_1)
	s_xor_b32 s0, exec_lo, s0
	s_cbranch_execz .LBB2033_399
; %bb.398:
	scratch_load_b128 v[0:3], off, off offset:240
.LBB2033_399:
	s_wait_xcnt 0x0
	s_and_not1_saveexec_b32 s0, s0
	s_cbranch_execz .LBB2033_405
; %bb.400:
	s_wait_loadcnt 0x0
	v_mov_b64_e32 v[0:1], 0
	s_mov_b32 s1, 0
.LBB2033_401:                           ; =>This Inner Loop Header: Depth=1
	s_wait_xcnt 0x0
	s_add_co_i32 s2, s1, 0xb0
	s_add_co_i32 s1, s1, 8
	scratch_store_b64 off, v[0:1], s2
	s_cmp_lg_u32 s1, 16
	s_cbranch_scc1 .LBB2033_401
; %bb.402:
	s_mov_b32 s1, 0
.LBB2033_403:                           ; =>This Inner Loop Header: Depth=1
	s_wait_xcnt 0x1
	s_add_co_i32 s3, s1, 0xf0
	scratch_load_b64 v[0:1], off, s1
	scratch_load_b64 v[2:3], off, s3
	s_mov_b32 s2, s1
                                        ; kill: killed $sgpr2
	s_add_co_i32 s2, s1, 0xb0
	s_wait_xcnt 0x1
	s_add_co_i32 s1, s1, 8
                                        ; kill: killed $sgpr3
	s_delay_alu instid0(SALU_CYCLE_1)
	s_cmp_lg_u32 s1, 16
	s_wait_loadcnt 0x0
	v_dual_add_nc_u32 v1, v3, v1 :: v_dual_add_nc_u32 v0, v2, v0
	scratch_store_b64 off, v[0:1], s2
	s_cbranch_scc1 .LBB2033_403
; %bb.404:
	scratch_load_b128 v[0:3], off, off offset:176
.LBB2033_405:
	s_wait_xcnt 0x0
	s_or_b32 exec_lo, exec_lo, s0
	scratch_load_u8 v6, off, off offset:276
	v_or_b32_e32 v7, v5, v4
	v_bitop3_b16 v4, v5, 1, v4 bitop3:0xc8
	s_wait_loadcnt 0x1
	s_clause 0x1
	scratch_store_b128 off, v[0:3], off offset:240
	scratch_store_b8 off, v4, off offset:256
	v_and_b32_e32 v7, 1, v7
                                        ; implicit-def: $vgpr2_vgpr3
	s_delay_alu instid0(VALU_DEP_1) | instskip(SKIP_4) | instid1(SALU_CYCLE_1)
	v_cmp_eq_u32_e32 vcc_lo, 1, v7
	s_wait_loadcnt 0x0
	v_cmp_ne_u16_e64 s0, 0, v6
	s_wait_xcnt 0x0
	s_and_saveexec_b32 s1, s0
	s_xor_b32 s0, exec_lo, s1
	s_cbranch_execz .LBB2033_407
; %bb.406:
	scratch_load_b128 v[0:3], off, off offset:260
.LBB2033_407:
	s_wait_xcnt 0x0
	s_or_saveexec_b32 s0, s0
	v_lshl_add_u32 v4, v9, 4, 0x3f00
	s_xor_b32 exec_lo, exec_lo, s0
	s_cbranch_execz .LBB2033_413
; %bb.408:
	s_wait_loadcnt 0x0
	v_mov_b32_e32 v0, 0
	s_mov_b32 s1, 0
.LBB2033_409:                           ; =>This Inner Loop Header: Depth=1
	s_delay_alu instid0(SALU_CYCLE_1) | instskip(SKIP_1) | instid1(SALU_CYCLE_1)
	v_add_nc_u32_e32 v1, s1, v4
	s_add_co_i32 s1, s1, 8
	s_cmp_lg_u32 s1, 16
	ds_store_2addr_b32 v1, v0, v0 offset1:1
	s_cbranch_scc1 .LBB2033_409
; %bb.410:
	s_mov_b32 s1, 0
.LBB2033_411:                           ; =>This Inner Loop Header: Depth=1
	s_wait_xcnt 0x0
	s_add_co_i32 s2, s1, 0xf0
                                        ; kill: killed $sgpr2
	s_clause 0x1
	scratch_load_b64 v[0:1], off, s2
	scratch_load_b64 v[2:3], off, s2 offset:20
	v_add_nc_u32_e32 v5, s1, v4
	s_add_co_i32 s1, s1, 8
	s_delay_alu instid0(SALU_CYCLE_1)
	s_cmp_lg_u32 s1, 16
	s_wait_loadcnt 0x0
	v_dual_add_nc_u32 v1, v3, v1 :: v_dual_add_nc_u32 v0, v2, v0
	ds_store_2addr_b32 v5, v0, v1 offset1:1
	s_cbranch_scc1 .LBB2033_411
; %bb.412:
	ds_load_2addr_b32 v[0:1], v4 offset1:1
	ds_load_2addr_b32 v[2:3], v4 offset0:2 offset1:3
.LBB2033_413:
	s_wait_xcnt 0x0
	s_or_b32 exec_lo, exec_lo, s0
	scratch_load_u8 v5, off, off offset:296
	v_and_b32_e32 v6, 1, v6
	s_mov_b32 s1, exec_lo
	s_delay_alu instid0(VALU_DEP_1) | instskip(SKIP_1) | instid1(SALU_CYCLE_1)
	v_cmp_eq_u32_e64 s0, 1, v6
	s_or_b32 s0, s0, vcc_lo
	v_cndmask_b32_e64 v6, 0, 1, s0
	s_wait_loadcnt_dscnt 0x100
	s_clause 0x1
	scratch_store_b128 off, v[0:3], off offset:260
	scratch_store_b8 off, v6, off offset:276
                                        ; implicit-def: $vgpr2_vgpr3
	s_wait_loadcnt 0x0
	v_cmpx_ne_u16_e32 0, v5
	s_xor_b32 s1, exec_lo, s1
	s_cbranch_execz .LBB2033_415
; %bb.414:
	scratch_load_b128 v[0:3], off, off offset:280
.LBB2033_415:
	s_wait_xcnt 0x0
	s_and_not1_saveexec_b32 s1, s1
	s_cbranch_execz .LBB2033_421
; %bb.416:
	s_wait_loadcnt 0x0
	v_mov_b32_e32 v0, 0
	s_mov_b32 s2, 0
.LBB2033_417:                           ; =>This Inner Loop Header: Depth=1
	s_delay_alu instid0(SALU_CYCLE_1) | instskip(SKIP_1) | instid1(SALU_CYCLE_1)
	v_add_nc_u32_e32 v1, s2, v4
	s_add_co_i32 s2, s2, 8
	s_cmp_lg_u32 s2, 16
	ds_store_2addr_b32 v1, v0, v0 offset1:1
	s_cbranch_scc1 .LBB2033_417
; %bb.418:
	s_mov_b32 s2, 0
.LBB2033_419:                           ; =>This Inner Loop Header: Depth=1
	s_wait_xcnt 0x0
	s_add_co_i32 s3, s2, 0xf0
                                        ; kill: killed $sgpr3
	s_clause 0x1
	scratch_load_b64 v[0:1], off, s3 offset:20
	scratch_load_b64 v[2:3], off, s3 offset:40
	v_add_nc_u32_e32 v6, s2, v4
	s_add_co_i32 s2, s2, 8
	s_delay_alu instid0(SALU_CYCLE_1)
	s_cmp_lg_u32 s2, 16
	s_wait_loadcnt 0x0
	v_dual_add_nc_u32 v1, v3, v1 :: v_dual_add_nc_u32 v0, v2, v0
	ds_store_2addr_b32 v6, v0, v1 offset1:1
	s_cbranch_scc1 .LBB2033_419
; %bb.420:
	ds_load_2addr_b32 v[0:1], v4 offset1:1
	ds_load_2addr_b32 v[2:3], v4 offset0:2 offset1:3
.LBB2033_421:
	s_wait_xcnt 0x0
	s_or_b32 exec_lo, exec_lo, s1
	scratch_load_u8 v6, off, off offset:316
	v_and_b32_e32 v5, 1, v5
	s_mov_b32 s1, exec_lo
	s_delay_alu instid0(VALU_DEP_1) | instskip(SKIP_1) | instid1(SALU_CYCLE_1)
	v_cmp_eq_u32_e32 vcc_lo, 1, v5
	s_or_b32 s0, vcc_lo, s0
	v_cndmask_b32_e64 v5, 0, 1, s0
	s_wait_loadcnt_dscnt 0x100
	s_clause 0x1
	scratch_store_b128 off, v[0:3], off offset:280
	scratch_store_b8 off, v5, off offset:296
                                        ; implicit-def: $vgpr2_vgpr3
	s_wait_loadcnt 0x0
	v_cmpx_ne_u16_e32 0, v6
	s_xor_b32 s1, exec_lo, s1
	s_cbranch_execz .LBB2033_423
; %bb.422:
	scratch_load_b128 v[0:3], off, off offset:300
.LBB2033_423:
	s_wait_xcnt 0x0
	s_and_not1_saveexec_b32 s1, s1
	s_cbranch_execz .LBB2033_429
; %bb.424:
	s_wait_loadcnt 0x0
	v_mov_b32_e32 v0, 0
	s_mov_b32 s2, 0
.LBB2033_425:                           ; =>This Inner Loop Header: Depth=1
	s_delay_alu instid0(SALU_CYCLE_1) | instskip(SKIP_1) | instid1(SALU_CYCLE_1)
	v_add_nc_u32_e32 v1, s2, v4
	s_add_co_i32 s2, s2, 8
	s_cmp_lg_u32 s2, 16
	ds_store_2addr_b32 v1, v0, v0 offset1:1
	s_cbranch_scc1 .LBB2033_425
; %bb.426:
	s_mov_b32 s2, 0
.LBB2033_427:                           ; =>This Inner Loop Header: Depth=1
	s_wait_xcnt 0x0
	s_add_co_i32 s3, s2, 0xf0
                                        ; kill: killed $sgpr3
	s_clause 0x1
	scratch_load_b64 v[0:1], off, s3 offset:40
	scratch_load_b64 v[2:3], off, s3 offset:60
	v_add_nc_u32_e32 v5, s2, v4
	s_add_co_i32 s2, s2, 8
	s_delay_alu instid0(SALU_CYCLE_1)
	s_cmp_lg_u32 s2, 16
	s_wait_loadcnt 0x0
	v_dual_add_nc_u32 v1, v3, v1 :: v_dual_add_nc_u32 v0, v2, v0
	ds_store_2addr_b32 v5, v0, v1 offset1:1
	s_cbranch_scc1 .LBB2033_427
; %bb.428:
	ds_load_2addr_b32 v[0:1], v4 offset1:1
	ds_load_2addr_b32 v[2:3], v4 offset0:2 offset1:3
.LBB2033_429:
	s_wait_xcnt 0x0
	s_or_b32 exec_lo, exec_lo, s1
	scratch_load_u8 v5, off, off offset:336
	v_and_b32_e32 v6, 1, v6
	s_mov_b32 s1, exec_lo
	s_delay_alu instid0(VALU_DEP_1) | instskip(SKIP_1) | instid1(SALU_CYCLE_1)
	v_cmp_eq_u32_e32 vcc_lo, 1, v6
	s_or_b32 s0, vcc_lo, s0
	;; [unrolled: 56-line block ×7, first 2 shown]
	v_cndmask_b32_e64 v5, 0, 1, s0
	s_wait_loadcnt_dscnt 0x100
	s_clause 0x1
	scratch_store_b128 off, v[0:3], off offset:400
	scratch_store_b8 off, v5, off offset:416
                                        ; implicit-def: $vgpr2_vgpr3
	s_wait_loadcnt 0x0
	v_cmpx_ne_u16_e32 0, v6
	s_xor_b32 s1, exec_lo, s1
	s_cbranch_execz .LBB2033_471
; %bb.470:
	scratch_load_b128 v[0:3], off, off offset:420
                                        ; implicit-def: $vgpr4
.LBB2033_471:
	s_wait_xcnt 0x0
	s_and_not1_saveexec_b32 s1, s1
	s_cbranch_execz .LBB2033_477
; %bb.472:
	s_wait_loadcnt 0x0
	v_mov_b32_e32 v0, 0
	s_mov_b32 s2, 0
.LBB2033_473:                           ; =>This Inner Loop Header: Depth=1
	s_delay_alu instid0(SALU_CYCLE_1) | instskip(SKIP_1) | instid1(SALU_CYCLE_1)
	v_add_nc_u32_e32 v1, s2, v4
	s_add_co_i32 s2, s2, 8
	s_cmp_lg_u32 s2, 16
	ds_store_2addr_b32 v1, v0, v0 offset1:1
	s_cbranch_scc1 .LBB2033_473
; %bb.474:
	s_mov_b32 s2, 0
.LBB2033_475:                           ; =>This Inner Loop Header: Depth=1
	s_wait_xcnt 0x0
	s_add_co_i32 s3, s2, 0xf0
                                        ; kill: killed $sgpr3
	s_clause 0x1
	scratch_load_b64 v[0:1], off, s3 offset:160
	scratch_load_b64 v[2:3], off, s3 offset:180
	v_add_nc_u32_e32 v5, s2, v4
	s_add_co_i32 s2, s2, 8
	s_delay_alu instid0(SALU_CYCLE_1)
	s_cmp_lg_u32 s2, 16
	s_wait_loadcnt 0x0
	v_dual_add_nc_u32 v1, v3, v1 :: v_dual_add_nc_u32 v0, v2, v0
	ds_store_2addr_b32 v5, v0, v1 offset1:1
	s_cbranch_scc1 .LBB2033_475
; %bb.476:
	ds_load_2addr_b32 v[0:1], v4 offset1:1
	ds_load_2addr_b32 v[2:3], v4 offset0:2 offset1:3
.LBB2033_477:
	s_wait_xcnt 0x0
	s_or_b32 exec_lo, exec_lo, s1
	v_and_b32_e32 v4, 1, v6
	s_delay_alu instid0(VALU_DEP_1) | instskip(SKIP_1) | instid1(SALU_CYCLE_1)
	v_cmp_eq_u32_e32 vcc_lo, 1, v4
	s_or_b32 s0, vcc_lo, s0
	v_cndmask_b32_e64 v4, 0, 1, s0
	s_wait_loadcnt_dscnt 0x0
	s_clause 0x1
	scratch_store_b128 off, v[0:3], off offset:420
	scratch_store_b8 off, v4, off offset:436
	s_branch .LBB2033_721
.LBB2033_478:
	s_cmp_lg_u64 s[28:29], 0
	v_cmp_eq_u32_e32 vcc_lo, 0, v8
	s_cselect_b32 s1, -1, 0
	s_cmp_lg_u64 s[22:23], 0
	v_cmp_ne_u32_e64 s0, 0, v8
	s_cselect_b32 s2, -1, 0
	s_delay_alu instid0(SALU_CYCLE_1) | instskip(NEXT) | instid1(SALU_CYCLE_1)
	s_and_b32 s1, s1, s2
	s_and_b32 s1, vcc_lo, s1
	s_wait_xcnt 0x0
	s_and_saveexec_b32 s4, s1
	s_cbranch_execz .LBB2033_488
; %bb.479:
	scratch_load_u8 v4, off, off offset:256
                                        ; implicit-def: $vgpr2_vgpr3
	s_wait_loadcnt 0x0
	v_cmp_ne_u16_e64 s1, 0, v4
	s_wait_xcnt 0x0
	s_and_saveexec_b32 s2, s1
	s_delay_alu instid0(SALU_CYCLE_1)
	s_xor_b32 s1, exec_lo, s2
	s_cbranch_execz .LBB2033_481
; %bb.480:
	scratch_load_b128 v[0:3], off, off offset:240
.LBB2033_481:
	s_wait_xcnt 0x0
	s_and_not1_saveexec_b32 s1, s1
	s_cbranch_execz .LBB2033_487
; %bb.482:
	s_wait_loadcnt 0x0
	v_mov_b64_e32 v[0:1], 0
	s_mov_b32 s2, 0
.LBB2033_483:                           ; =>This Inner Loop Header: Depth=1
	s_wait_xcnt 0x0
	s_mov_b32 s3, s2
	s_add_co_i32 s2, s2, 8
	scratch_store_b64 off, v[0:1], s3
	s_cmp_lg_u32 s2, 16
	s_cbranch_scc1 .LBB2033_483
; %bb.484:
	s_wait_xcnt 0x0
	v_mov_b32_e32 v0, 0
	s_mov_b32 s5, 0
	s_mov_b64 s[2:3], s[22:23]
.LBB2033_485:                           ; =>This Inner Loop Header: Depth=1
	s_wait_xcnt 0x0
	s_add_co_i32 s6, s5, 0xf0
	global_load_b64 v[2:3], v0, s[2:3]
	scratch_load_b64 v[6:7], off, s6
	s_wait_xcnt 0x0
	s_mov_b32 s6, s5
	s_add_co_i32 s5, s5, 8
	s_add_nc_u64 s[2:3], s[2:3], 8
	s_cmp_lg_u32 s5, 16
	s_wait_loadcnt 0x0
	v_dual_add_nc_u32 v3, v7, v3 :: v_dual_add_nc_u32 v2, v6, v2
	scratch_store_b64 off, v[2:3], s6
	s_cbranch_scc1 .LBB2033_485
; %bb.486:
	scratch_load_b128 v[0:3], off, off
.LBB2033_487:
	s_wait_xcnt 0x0
	s_or_b32 exec_lo, exec_lo, s1
	v_mov_b32_e32 v5, 0
	global_load_u8 v5, v5, s[22:23] offset:16
	s_wait_loadcnt 0x0
	v_bitop3_b16 v4, v4, 1, v5 bitop3:0xc8
	s_clause 0x1
	scratch_store_b128 off, v[0:3], off offset:240
	scratch_store_b8 off, v4, off offset:256
.LBB2033_488:
	s_wait_xcnt 0x0
	s_or_b32 exec_lo, exec_lo, s4
	v_mov_b32_e32 v2, 0
	v_mov_b64_e32 v[0:1], 0
	s_mov_b32 s1, 0
	s_delay_alu instid0(VALU_DEP_2)
	v_dual_mov_b32 v3, v2 :: v_dual_mov_b32 v4, v2
	v_mov_b32_e32 v5, v2
	s_clause 0x1
	scratch_store_b32 off, v2, off offset:232
	scratch_store_b128 off, v[2:5], off offset:216
.LBB2033_489:                           ; =>This Inner Loop Header: Depth=1
	s_wait_xcnt 0x0
	s_add_co_i32 s2, s1, 0xd8
	s_add_co_i32 s1, s1, 8
	scratch_store_b64 off, v[0:1], s2
	s_cmp_lg_u32 s1, 16
	s_cbranch_scc1 .LBB2033_489
; %bb.490:
	s_wait_xcnt 0x0
	v_mov_b64_e32 v[0:1], 0
	v_mov_b32_e32 v2, 0
	s_mov_b32 s1, 0
	s_clause 0x1
	scratch_store_b8 off, v2, off offset:232
	scratch_store_b32 off, v2, off offset:16
.LBB2033_491:                           ; =>This Inner Loop Header: Depth=1
	s_wait_xcnt 0x0
	s_mov_b32 s2, s1
	s_add_co_i32 s1, s1, 8
	scratch_store_b64 off, v[0:1], s2
	s_cmp_lg_u32 s1, 16
	s_cbranch_scc1 .LBB2033_491
; %bb.492:
	s_clause 0x2
	scratch_load_u8 v4, off, off offset:276
	scratch_load_b128 v[0:3], off, off offset:240
	scratch_load_u8 v5, off, off offset:256
	s_wait_loadcnt 0x1
	scratch_store_b128 off, v[0:3], off
	s_wait_loadcnt 0x0
	scratch_store_b8 off, v5, off offset:16
	v_cmp_ne_u16_e64 s1, 0, v4
                                        ; implicit-def: $vgpr2_vgpr3
	s_wait_xcnt 0x0
	s_and_saveexec_b32 s2, s1
	s_delay_alu instid0(SALU_CYCLE_1)
	s_xor_b32 s1, exec_lo, s2
	s_cbranch_execz .LBB2033_494
; %bb.493:
	scratch_load_b128 v[0:3], off, off offset:260
.LBB2033_494:
	s_wait_xcnt 0x0
	s_or_saveexec_b32 s1, s1
	v_lshl_add_u32 v6, v9, 4, 0x4300
	s_xor_b32 exec_lo, exec_lo, s1
	s_cbranch_execz .LBB2033_500
; %bb.495:
	s_wait_loadcnt 0x0
	v_mov_b32_e32 v0, 0
	s_mov_b32 s2, 0
.LBB2033_496:                           ; =>This Inner Loop Header: Depth=1
	s_delay_alu instid0(SALU_CYCLE_1) | instskip(SKIP_1) | instid1(SALU_CYCLE_1)
	v_add_nc_u32_e32 v1, s2, v6
	s_add_co_i32 s2, s2, 8
	s_cmp_lg_u32 s2, 16
	ds_store_2addr_b32 v1, v0, v0 offset1:1
	s_cbranch_scc1 .LBB2033_496
; %bb.497:
	s_mov_b32 s2, 0
.LBB2033_498:                           ; =>This Inner Loop Header: Depth=1
	s_wait_xcnt 0x0
	s_add_co_i32 s4, s19, s2
	scratch_load_b64 v[0:1], off, s2
	scratch_load_b64 v[2:3], off, s4
	v_add_nc_u32_e32 v7, s2, v6
	s_mov_b32 s3, s2
	s_wait_xcnt 0x1
	s_add_co_i32 s2, s2, 8
                                        ; kill: killed $sgpr3
	s_delay_alu instid0(SALU_CYCLE_1)
	s_cmp_lg_u32 s2, 16
	s_wait_loadcnt 0x0
	v_dual_add_nc_u32 v1, v3, v1 :: v_dual_add_nc_u32 v0, v2, v0
	ds_store_2addr_b32 v7, v0, v1 offset1:1
	s_cbranch_scc1 .LBB2033_498
; %bb.499:
	ds_load_2addr_b32 v[0:1], v6 offset1:1
	ds_load_2addr_b32 v[2:3], v6 offset0:2 offset1:3
.LBB2033_500:
	s_wait_xcnt 0x0
	s_or_b32 exec_lo, exec_lo, s1
	scratch_load_u8 v7, off, off offset:296
	s_wait_loadcnt_dscnt 0x100
	scratch_store_b128 off, v[0:3], off
                                        ; implicit-def: $vgpr2_vgpr3
	s_wait_loadcnt 0x0
	v_cmp_ne_u16_e64 s1, 0, v7
	s_wait_xcnt 0x0
	s_and_saveexec_b32 s2, s1
	s_delay_alu instid0(SALU_CYCLE_1)
	s_xor_b32 s1, exec_lo, s2
	s_cbranch_execz .LBB2033_502
; %bb.501:
	scratch_load_b128 v[0:3], off, off offset:280
.LBB2033_502:
	s_wait_xcnt 0x0
	s_and_not1_saveexec_b32 s1, s1
	s_cbranch_execz .LBB2033_508
; %bb.503:
	s_wait_loadcnt 0x0
	v_mov_b32_e32 v0, 0
	s_mov_b32 s2, 0
.LBB2033_504:                           ; =>This Inner Loop Header: Depth=1
	s_delay_alu instid0(SALU_CYCLE_1) | instskip(SKIP_1) | instid1(SALU_CYCLE_1)
	v_add_nc_u32_e32 v1, s2, v6
	s_add_co_i32 s2, s2, 8
	s_cmp_lg_u32 s2, 16
	ds_store_2addr_b32 v1, v0, v0 offset1:1
	s_cbranch_scc1 .LBB2033_504
; %bb.505:
	s_mov_b32 s2, 0
.LBB2033_506:                           ; =>This Inner Loop Header: Depth=1
	s_wait_xcnt 0x0
	s_add_co_i32 s4, s33, s2
	scratch_load_b64 v[0:1], off, s2
	scratch_load_b64 v[2:3], off, s4
	v_add_nc_u32_e32 v10, s2, v6
	s_mov_b32 s3, s2
	s_wait_xcnt 0x1
	s_add_co_i32 s2, s2, 8
                                        ; kill: killed $sgpr4
                                        ; kill: killed $sgpr3
	s_delay_alu instid0(SALU_CYCLE_1)
	s_cmp_lg_u32 s2, 16
	s_wait_loadcnt 0x0
	v_dual_add_nc_u32 v1, v3, v1 :: v_dual_add_nc_u32 v0, v2, v0
	ds_store_2addr_b32 v10, v0, v1 offset1:1
	s_cbranch_scc1 .LBB2033_506
; %bb.507:
	ds_load_2addr_b32 v[0:1], v6 offset1:1
	ds_load_2addr_b32 v[2:3], v6 offset0:2 offset1:3
.LBB2033_508:
	s_wait_xcnt 0x0
	s_or_b32 exec_lo, exec_lo, s1
	scratch_load_u8 v10, off, off offset:316
	s_wait_loadcnt_dscnt 0x100
	scratch_store_b128 off, v[0:3], off
                                        ; implicit-def: $vgpr2_vgpr3
	s_wait_loadcnt 0x0
	v_cmp_ne_u16_e64 s1, 0, v10
	s_wait_xcnt 0x0
	s_and_saveexec_b32 s2, s1
	s_delay_alu instid0(SALU_CYCLE_1)
	s_xor_b32 s1, exec_lo, s2
	s_cbranch_execz .LBB2033_510
; %bb.509:
	scratch_load_b128 v[0:3], off, off offset:300
.LBB2033_510:
	s_wait_xcnt 0x0
	s_and_not1_saveexec_b32 s1, s1
	s_cbranch_execz .LBB2033_516
; %bb.511:
	s_wait_loadcnt 0x0
	v_mov_b32_e32 v0, 0
	s_mov_b32 s2, 0
.LBB2033_512:                           ; =>This Inner Loop Header: Depth=1
	s_delay_alu instid0(SALU_CYCLE_1) | instskip(SKIP_1) | instid1(SALU_CYCLE_1)
	v_add_nc_u32_e32 v1, s2, v6
	s_add_co_i32 s2, s2, 8
	s_cmp_lg_u32 s2, 16
	ds_store_2addr_b32 v1, v0, v0 offset1:1
	s_cbranch_scc1 .LBB2033_512
; %bb.513:
	s_mov_b32 s2, 0
.LBB2033_514:                           ; =>This Inner Loop Header: Depth=1
	s_wait_xcnt 0x0
	s_add_co_i32 s4, s42, s2
	scratch_load_b64 v[0:1], off, s2
	scratch_load_b64 v[2:3], off, s4
	v_add_nc_u32_e32 v11, s2, v6
	s_mov_b32 s3, s2
	s_wait_xcnt 0x1
	s_add_co_i32 s2, s2, 8
                                        ; kill: killed $sgpr4
                                        ; kill: killed $sgpr3
	s_delay_alu instid0(SALU_CYCLE_1)
	s_cmp_lg_u32 s2, 16
	s_wait_loadcnt 0x0
	v_dual_add_nc_u32 v1, v3, v1 :: v_dual_add_nc_u32 v0, v2, v0
	ds_store_2addr_b32 v11, v0, v1 offset1:1
	s_cbranch_scc1 .LBB2033_514
; %bb.515:
	ds_load_2addr_b32 v[0:1], v6 offset1:1
	ds_load_2addr_b32 v[2:3], v6 offset0:2 offset1:3
.LBB2033_516:
	;; [unrolled: 53-line block ×4, first 2 shown]
	s_wait_xcnt 0x0
	s_or_b32 exec_lo, exec_lo, s1
	scratch_load_u8 v14, off, off offset:376
	s_wait_loadcnt_dscnt 0x100
	scratch_store_b128 off, v[0:3], off
                                        ; implicit-def: $vgpr2_vgpr3
	s_wait_loadcnt 0x0
	v_cmp_ne_u16_e64 s1, 0, v14
	s_wait_xcnt 0x0
	s_and_saveexec_b32 s2, s1
	s_delay_alu instid0(SALU_CYCLE_1)
	s_xor_b32 s1, exec_lo, s2
	s_cbranch_execz .LBB2033_534
; %bb.533:
	scratch_load_b128 v[0:3], off, off offset:360
.LBB2033_534:
	s_wait_xcnt 0x0
	s_and_not1_saveexec_b32 s1, s1
	s_cbranch_execz .LBB2033_540
; %bb.535:
	s_wait_loadcnt 0x0
	v_mov_b32_e32 v0, 0
	s_mov_b32 s2, 0
.LBB2033_536:                           ; =>This Inner Loop Header: Depth=1
	s_delay_alu instid0(SALU_CYCLE_1) | instskip(SKIP_1) | instid1(SALU_CYCLE_1)
	v_add_nc_u32_e32 v1, s2, v6
	s_add_co_i32 s2, s2, 8
	s_cmp_lg_u32 s2, 16
	ds_store_2addr_b32 v1, v0, v0 offset1:1
	s_cbranch_scc1 .LBB2033_536
; %bb.537:
	s_mov_b32 s2, 0
.LBB2033_538:                           ; =>This Inner Loop Header: Depth=1
	s_wait_xcnt 0x0
	s_add_co_i32 s4, s45, s2
	scratch_load_b64 v[0:1], off, s2
	scratch_load_b64 v[2:3], off, s4
	v_add_nc_u32_e32 v11, s2, v6
	s_mov_b32 s3, s2
	s_wait_xcnt 0x1
	s_add_co_i32 s2, s2, 8
                                        ; kill: killed $sgpr3
                                        ; kill: killed $sgpr4
	s_delay_alu instid0(SALU_CYCLE_1)
	s_cmp_lg_u32 s2, 16
	s_wait_loadcnt 0x0
	v_dual_add_nc_u32 v1, v3, v1 :: v_dual_add_nc_u32 v0, v2, v0
	ds_store_2addr_b32 v11, v0, v1 offset1:1
	s_cbranch_scc1 .LBB2033_538
; %bb.539:
	ds_load_2addr_b32 v[0:1], v6 offset1:1
	ds_load_2addr_b32 v[2:3], v6 offset0:2 offset1:3
.LBB2033_540:
	s_wait_xcnt 0x0
	s_or_b32 exec_lo, exec_lo, s1
	scratch_load_u8 v15, off, off offset:396
	s_wait_loadcnt_dscnt 0x100
	scratch_store_b128 off, v[0:3], off
                                        ; implicit-def: $vgpr2_vgpr3
	s_wait_loadcnt 0x0
	v_cmp_ne_u16_e64 s1, 0, v15
	s_wait_xcnt 0x0
	s_and_saveexec_b32 s2, s1
	s_delay_alu instid0(SALU_CYCLE_1)
	s_xor_b32 s1, exec_lo, s2
	s_cbranch_execz .LBB2033_542
; %bb.541:
	scratch_load_b128 v[0:3], off, off offset:380
.LBB2033_542:
	s_wait_xcnt 0x0
	s_and_not1_saveexec_b32 s1, s1
	s_cbranch_execz .LBB2033_548
; %bb.543:
	s_wait_loadcnt 0x0
	v_mov_b32_e32 v0, 0
	s_mov_b32 s2, 0
.LBB2033_544:                           ; =>This Inner Loop Header: Depth=1
	s_delay_alu instid0(SALU_CYCLE_1) | instskip(SKIP_1) | instid1(SALU_CYCLE_1)
	v_add_nc_u32_e32 v1, s2, v6
	s_add_co_i32 s2, s2, 8
	s_cmp_lg_u32 s2, 16
	ds_store_2addr_b32 v1, v0, v0 offset1:1
	s_cbranch_scc1 .LBB2033_544
; %bb.545:
	s_mov_b32 s2, 0
.LBB2033_546:                           ; =>This Inner Loop Header: Depth=1
	s_wait_xcnt 0x0
	s_add_co_i32 s4, s46, s2
	scratch_load_b64 v[0:1], off, s2
	scratch_load_b64 v[2:3], off, s4
	v_add_nc_u32_e32 v11, s2, v6
	s_mov_b32 s3, s2
	s_wait_xcnt 0x1
	s_add_co_i32 s2, s2, 8
                                        ; kill: killed $sgpr4
                                        ; kill: killed $sgpr3
	s_delay_alu instid0(SALU_CYCLE_1)
	s_cmp_lg_u32 s2, 16
	s_wait_loadcnt 0x0
	v_dual_add_nc_u32 v1, v3, v1 :: v_dual_add_nc_u32 v0, v2, v0
	ds_store_2addr_b32 v11, v0, v1 offset1:1
	s_cbranch_scc1 .LBB2033_546
; %bb.547:
	ds_load_2addr_b32 v[0:1], v6 offset1:1
	ds_load_2addr_b32 v[2:3], v6 offset0:2 offset1:3
.LBB2033_548:
	s_wait_xcnt 0x0
	s_or_b32 exec_lo, exec_lo, s1
	scratch_load_u8 v16, off, off offset:416
	s_wait_loadcnt_dscnt 0x100
	scratch_store_b128 off, v[0:3], off
                                        ; implicit-def: $vgpr2_vgpr3
	s_wait_loadcnt 0x0
	v_cmp_ne_u16_e64 s1, 0, v16
	s_wait_xcnt 0x0
	s_and_saveexec_b32 s2, s1
	s_delay_alu instid0(SALU_CYCLE_1)
	s_xor_b32 s1, exec_lo, s2
	s_cbranch_execz .LBB2033_550
; %bb.549:
	scratch_load_b128 v[0:3], off, off offset:400
.LBB2033_550:
	s_wait_xcnt 0x0
	s_and_not1_saveexec_b32 s1, s1
	s_cbranch_execz .LBB2033_556
; %bb.551:
	s_wait_loadcnt 0x0
	v_mov_b32_e32 v0, 0
	s_mov_b32 s2, 0
.LBB2033_552:                           ; =>This Inner Loop Header: Depth=1
	s_delay_alu instid0(SALU_CYCLE_1) | instskip(SKIP_1) | instid1(SALU_CYCLE_1)
	v_add_nc_u32_e32 v1, s2, v6
	s_add_co_i32 s2, s2, 8
	s_cmp_lg_u32 s2, 16
	ds_store_2addr_b32 v1, v0, v0 offset1:1
	s_cbranch_scc1 .LBB2033_552
; %bb.553:
	s_mov_b32 s2, 0
.LBB2033_554:                           ; =>This Inner Loop Header: Depth=1
	s_wait_xcnt 0x0
	s_add_co_i32 s4, s47, s2
	scratch_load_b64 v[0:1], off, s2
	scratch_load_b64 v[2:3], off, s4
	v_add_nc_u32_e32 v11, s2, v6
	s_mov_b32 s3, s2
	s_wait_xcnt 0x1
	s_add_co_i32 s2, s2, 8
                                        ; kill: killed $sgpr4
                                        ; kill: killed $sgpr3
	s_delay_alu instid0(SALU_CYCLE_1)
	s_cmp_lg_u32 s2, 16
	s_wait_loadcnt 0x0
	v_dual_add_nc_u32 v1, v3, v1 :: v_dual_add_nc_u32 v0, v2, v0
	ds_store_2addr_b32 v11, v0, v1 offset1:1
	s_cbranch_scc1 .LBB2033_554
; %bb.555:
	ds_load_2addr_b32 v[0:1], v6 offset1:1
	ds_load_2addr_b32 v[2:3], v6 offset0:2 offset1:3
.LBB2033_556:
	s_wait_xcnt 0x0
	s_or_b32 exec_lo, exec_lo, s1
	scratch_load_u8 v17, off, off offset:436
	s_wait_loadcnt_dscnt 0x100
	scratch_store_b128 off, v[0:3], off
                                        ; implicit-def: $vgpr2_vgpr3
	s_wait_loadcnt 0x0
	v_cmp_ne_u16_e64 s1, 0, v17
	s_wait_xcnt 0x0
	s_and_saveexec_b32 s2, s1
	s_delay_alu instid0(SALU_CYCLE_1)
	s_xor_b32 s1, exec_lo, s2
	s_cbranch_execz .LBB2033_558
; %bb.557:
	scratch_load_b128 v[0:3], off, off offset:420
                                        ; implicit-def: $vgpr6
.LBB2033_558:
	s_wait_xcnt 0x0
	s_and_not1_saveexec_b32 s1, s1
	s_cbranch_execz .LBB2033_564
; %bb.559:
	s_wait_loadcnt 0x0
	v_mov_b32_e32 v0, 0
	s_mov_b32 s2, 0
.LBB2033_560:                           ; =>This Inner Loop Header: Depth=1
	s_delay_alu instid0(SALU_CYCLE_1) | instskip(SKIP_1) | instid1(SALU_CYCLE_1)
	v_add_nc_u32_e32 v1, s2, v6
	s_add_co_i32 s2, s2, 8
	s_cmp_lg_u32 s2, 16
	ds_store_2addr_b32 v1, v0, v0 offset1:1
	s_cbranch_scc1 .LBB2033_560
; %bb.561:
	s_mov_b32 s2, 0
.LBB2033_562:                           ; =>This Inner Loop Header: Depth=1
	s_wait_xcnt 0x0
	s_add_co_i32 s4, s48, s2
	scratch_load_b64 v[0:1], off, s2
	scratch_load_b64 v[2:3], off, s4
	v_add_nc_u32_e32 v11, s2, v6
	s_mov_b32 s3, s2
	s_wait_xcnt 0x1
	s_add_co_i32 s2, s2, 8
                                        ; kill: killed $sgpr4
                                        ; kill: killed $sgpr3
	s_delay_alu instid0(SALU_CYCLE_1)
	s_cmp_lg_u32 s2, 16
	s_wait_loadcnt 0x0
	v_dual_add_nc_u32 v1, v3, v1 :: v_dual_add_nc_u32 v0, v2, v0
	ds_store_2addr_b32 v11, v0, v1 offset1:1
	s_cbranch_scc1 .LBB2033_562
; %bb.563:
	ds_load_2addr_b32 v[0:1], v6 offset1:1
	ds_load_2addr_b32 v[2:3], v6 offset0:2 offset1:3
.LBB2033_564:
	s_wait_xcnt 0x0
	s_or_b32 exec_lo, exec_lo, s1
	s_clause 0x1
	scratch_load_u16 v6, off, off offset:17
	scratch_load_u8 v11, off, off offset:19
	v_bitop3_b16 v4, v4, 0xff, v5 bitop3:0xc8
	v_and_b32_e32 v16, 1, v16
	v_and_b32_e32 v5, 1, v7
	v_or_b32_e32 v7, v12, v10
	v_or_b32_e32 v12, v15, v14
	v_and_b32_e32 v10, 1, v13
	v_and_b32_e32 v13, 1, v17
	v_cmp_ne_u16_e64 s2, 0, v4
	v_lshrrev_b32_e32 v14, 5, v8
	v_cmp_ne_u16_e64 s5, 0, v12
	v_cmp_eq_u32_e64 s3, 1, v5
	v_cmp_ne_u16_e64 s4, 0, v7
	v_cmp_eq_u32_e64 s6, 1, v10
	v_cmp_eq_u32_e64 s7, 1, v13
	v_mul_u32_u24_e32 v15, 20, v8
	s_or_b32 s2, s2, s3
	s_or_b32 s3, s4, s6
	s_delay_alu instid0(VALU_DEP_1) | instskip(SKIP_3) | instid1(VALU_DEP_2)
	v_mad_u32_u24 v5, v14, 20, v15
	s_wait_loadcnt 0x1
	v_lshrrev_b32_e32 v4, 8, v6
	v_cmp_eq_u32_e64 s1, 1, v16
	v_lshlrev_b16 v4, 8, v4
	s_or_b32 s1, s5, s1
	s_delay_alu instid0(SALU_CYCLE_1) | instskip(NEXT) | instid1(SALU_CYCLE_1)
	s_or_b32 s1, s7, s1
	s_or_b32 s1, s1, s3
	s_delay_alu instid0(VALU_DEP_1)
	v_bitop3_b16 v4, v6, v4, 0xff bitop3:0xec
	s_or_b32 s1, s1, s2
	s_mov_b32 s3, exec_lo
	v_cndmask_b32_e64 v10, 0, 1, s1
	s_wait_dscnt 0x1
	ds_store_2addr_b32 v5, v0, v1 offset1:1
	s_wait_dscnt 0x1
	ds_store_2addr_b32 v5, v2, v3 offset0:2 offset1:3
	ds_store_b8 v5, v10 offset:16
	v_and_b32_e32 v12, 0xffff, v4
	s_wait_storecnt 0x0
	s_wait_loadcnt_dscnt 0x0
	s_barrier_signal -1
	s_barrier_wait -1
	v_cmpx_gt_u32_e32 32, v8
	s_cbranch_execz .LBB2033_632
; %bb.565:
	v_lshrrev_b32_e32 v15, 4, v8
	v_mul_u32_u24_e32 v16, 40, v8
	v_mul_lo_u32 v19, v9, 20
	s_delay_alu instid0(VALU_DEP_2)
	v_mad_u32_u24 v13, v15, 20, v16
	ds_load_u8 v17, v13 offset:36
	ds_load_b32 v18, v13 offset:16
	ds_load_2addr_b32 v[4:5], v13 offset1:1
	ds_load_2addr_b32 v[6:7], v13 offset0:2 offset1:3
	v_add_nc_u32_e32 v14, 0x4700, v19
	v_add_nc_u32_e32 v20, 0x4708, v19
	s_wait_dscnt 0x1
	ds_store_2addr_b32 v14, v4, v5 offset1:1
	s_wait_dscnt 0x1
	ds_store_2addr_b32 v20, v6, v7 offset1:1
	ds_store_b32 v19, v18 offset:18192
	v_cmp_ne_u16_e64 s1, 0, v17
                                        ; implicit-def: $vgpr4_vgpr5
	s_and_saveexec_b32 s2, s1
	s_delay_alu instid0(SALU_CYCLE_1)
	s_xor_b32 s1, exec_lo, s2
	s_cbranch_execz .LBB2033_567
; %bb.566:
	ds_load_2addr_b32 v[4:5], v13 offset0:5 offset1:6
	ds_load_2addr_b32 v[6:7], v13 offset0:7 offset1:8
.LBB2033_567:
	s_and_not1_saveexec_b32 s1, s1
	s_cbranch_execz .LBB2033_573
; %bb.568:
	s_wait_dscnt 0x1
	v_mov_b64_e32 v[4:5], 0
	s_mov_b32 s2, 0
.LBB2033_569:                           ; =>This Inner Loop Header: Depth=1
	s_wait_xcnt 0x0
	s_mov_b32 s4, s2
	s_add_co_i32 s2, s2, 8
	scratch_store_b64 off, v[4:5], s4
	s_cmp_lg_u32 s2, 16
	s_cbranch_scc1 .LBB2033_569
; %bb.570:
	s_wait_xcnt 0x0
	v_mul_u32_u24_e32 v4, 20, v15
	s_mov_b32 s2, 0
	s_delay_alu instid0(VALU_DEP_1)
	v_add3_u32 v4, v16, v4, 20
.LBB2033_571:                           ; =>This Inner Loop Header: Depth=1
	s_delay_alu instid0(VALU_DEP_1)
	v_dual_add_nc_u32 v5, s2, v14 :: v_dual_add_nc_u32 v19, s2, v4
	s_wait_xcnt 0x0
	s_mov_b32 s4, s2
	s_add_co_i32 s2, s2, 8
	s_wait_dscnt 0x0
	ds_load_2addr_b32 v[6:7], v5 offset1:1
	ds_load_2addr_b32 v[20:21], v19 offset1:1
	s_cmp_lg_u32 s2, 16
	s_wait_dscnt 0x0
	v_dual_add_nc_u32 v7, v21, v7 :: v_dual_add_nc_u32 v6, v20, v6
	scratch_store_b64 off, v[6:7], s4
	s_cbranch_scc1 .LBB2033_571
; %bb.572:
	scratch_load_b128 v[4:7], off, off
.LBB2033_573:
	s_wait_xcnt 0x0
	s_or_b32 exec_lo, exec_lo, s1
	v_bitop3_b16 v17, v17, 1, v18 bitop3:0xc8
	s_wait_loadcnt_dscnt 0x1
	v_mov_b32_dpp v22, v4 row_shr:1 row_mask:0xf bank_mask:0xf
	v_mov_b32_dpp v23, v5 row_shr:1 row_mask:0xf bank_mask:0xf
	s_wait_dscnt 0x0
	v_mov_b32_dpp v24, v6 row_shr:1 row_mask:0xf bank_mask:0xf
	v_mov_b32_dpp v25, v7 row_shr:1 row_mask:0xf bank_mask:0xf
	ds_store_b8 v14, v17 offset:16
	ds_load_b32 v18, v14 offset:16
	v_mbcnt_lo_u32_b32 v17, -1, 0
	s_mov_b32 s2, exec_lo
	ds_store_2addr_b32 v14, v4, v5 offset1:1
	ds_store_2addr_b32 v14, v6, v7 offset0:2 offset1:3
	v_and_b32_e32 v19, 15, v17
	s_wait_dscnt 0x2
	v_mov_b32_dpp v20, v18 row_shr:1 row_mask:0xf bank_mask:0xf
	s_clause 0x1
	scratch_store_b128 off, v[22:25], off
	scratch_store_b32 off, v20, off offset:16
	s_wait_xcnt 0x0
	v_cmpx_ne_u32_e32 0, v19
	s_xor_b32 s2, exec_lo, s2
	s_cbranch_execz .LBB2033_581
; %bb.574:
	v_and_b32_e32 v21, 0xff, v18
	s_mov_b32 s4, exec_lo
	s_delay_alu instid0(VALU_DEP_1)
	v_cmpx_eq_u16_e32 0, v21
	s_cbranch_execz .LBB2033_580
; %bb.575:
	v_mov_b64_e32 v[4:5], 0
	s_mov_b32 s1, 0
.LBB2033_576:                           ; =>This Inner Loop Header: Depth=1
	s_wait_xcnt 0x0
	s_add_co_i32 s5, s1, 0xb0
	s_add_co_i32 s1, s1, 8
	scratch_store_b64 off, v[4:5], s5
	s_cmp_lg_u32 s1, 16
	s_cbranch_scc1 .LBB2033_576
; %bb.577:
	s_mov_b32 s1, 0
.LBB2033_578:                           ; =>This Inner Loop Header: Depth=1
	scratch_load_b64 v[4:5], off, s1
	v_add_nc_u32_e32 v6, s1, v14
	s_add_co_i32 s5, s1, 0xb0
	s_wait_xcnt 0x0
	s_add_co_i32 s1, s1, 8
	s_delay_alu instid0(SALU_CYCLE_1)
	s_cmp_lg_u32 s1, 16
	ds_load_2addr_b32 v[6:7], v6 offset1:1
	s_wait_loadcnt_dscnt 0x0
	v_dual_add_nc_u32 v5, v7, v5 :: v_dual_add_nc_u32 v4, v6, v4
	scratch_store_b64 off, v[4:5], s5
	s_cbranch_scc1 .LBB2033_578
; %bb.579:
	scratch_load_b128 v[4:7], off, off offset:176
.LBB2033_580:
	s_wait_xcnt 0x0
	s_or_b32 exec_lo, exec_lo, s4
	v_or_b32_e32 v18, v20, v18
	s_delay_alu instid0(VALU_DEP_1)
	v_and_b32_e32 v18, 1, v18
	ds_store_b8 v14, v18 offset:16
	ds_load_b32 v18, v14 offset:16
	s_wait_loadcnt 0x0
	ds_store_2addr_b32 v14, v4, v5 offset1:1
	ds_store_2addr_b32 v14, v6, v7 offset0:2 offset1:3
.LBB2033_581:
	s_or_b32 exec_lo, exec_lo, s2
	v_mov_b32_dpp v22, v4 row_shr:2 row_mask:0xf bank_mask:0xf
	v_mov_b32_dpp v23, v5 row_shr:2 row_mask:0xf bank_mask:0xf
	;; [unrolled: 1-line block ×4, first 2 shown]
	s_wait_dscnt 0x2
	v_mov_b32_dpp v20, v18 row_shr:2 row_mask:0xf bank_mask:0xf
	s_mov_b32 s4, exec_lo
	s_clause 0x1
	scratch_store_b128 off, v[22:25], off
	scratch_store_b32 off, v20, off offset:16
	s_wait_xcnt 0x0
	v_cmpx_lt_u32_e32 1, v19
	s_cbranch_execz .LBB2033_589
; %bb.582:
	v_and_b32_e32 v21, 0xff, v18
	s_mov_b32 s5, 0
	s_mov_b32 s2, exec_lo
	s_delay_alu instid0(VALU_DEP_1)
	v_cmpx_eq_u16_e32 0, v21
	s_cbranch_execz .LBB2033_588
; %bb.583:
	v_mov_b64_e32 v[4:5], 0
.LBB2033_584:                           ; =>This Inner Loop Header: Depth=1
	s_wait_xcnt 0x0
	s_add_co_i32 s1, s5, 0xb0
	s_add_co_i32 s5, s5, 8
	scratch_store_b64 off, v[4:5], s1
	s_cmp_lg_u32 s5, 16
	s_cbranch_scc1 .LBB2033_584
; %bb.585:
	s_wait_xcnt 0x0
	s_mov_b32 s1, 0
.LBB2033_586:                           ; =>This Inner Loop Header: Depth=1
	scratch_load_b64 v[4:5], off, s1
	v_add_nc_u32_e32 v6, s1, v14
	s_add_co_i32 s5, s1, 0xb0
	s_wait_xcnt 0x0
	s_add_co_i32 s1, s1, 8
	s_delay_alu instid0(SALU_CYCLE_1)
	s_cmp_lg_u32 s1, 16
	ds_load_2addr_b32 v[6:7], v6 offset1:1
	s_wait_loadcnt_dscnt 0x0
	v_dual_add_nc_u32 v5, v7, v5 :: v_dual_add_nc_u32 v4, v6, v4
	scratch_store_b64 off, v[4:5], s5
	s_cbranch_scc1 .LBB2033_586
; %bb.587:
	scratch_load_b128 v[4:7], off, off offset:176
.LBB2033_588:
	s_wait_xcnt 0x0
	s_or_b32 exec_lo, exec_lo, s2
	v_and_b32_e32 v18, 1, v18
	v_and_b32_e32 v20, 1, v20
	s_delay_alu instid0(VALU_DEP_2) | instskip(NEXT) | instid1(VALU_DEP_2)
	v_cmp_eq_u32_e64 s1, 1, v18
	v_cmp_eq_u32_e64 s2, 1, v20
	s_or_b32 s1, s1, s2
	s_delay_alu instid0(SALU_CYCLE_1)
	v_cndmask_b32_e64 v18, 0, 1, s1
	ds_store_b8 v14, v18 offset:16
	ds_load_b32 v18, v14 offset:16
	s_wait_loadcnt 0x0
	ds_store_2addr_b32 v14, v4, v5 offset1:1
	ds_store_2addr_b32 v14, v6, v7 offset0:2 offset1:3
.LBB2033_589:
	s_or_b32 exec_lo, exec_lo, s4
	v_mov_b32_dpp v22, v4 row_shr:4 row_mask:0xf bank_mask:0xf
	v_mov_b32_dpp v23, v5 row_shr:4 row_mask:0xf bank_mask:0xf
	;; [unrolled: 1-line block ×4, first 2 shown]
	s_wait_dscnt 0x2
	v_mov_b32_dpp v20, v18 row_shr:4 row_mask:0xf bank_mask:0xf
	s_mov_b32 s4, exec_lo
	s_clause 0x1
	scratch_store_b128 off, v[22:25], off
	scratch_store_b32 off, v20, off offset:16
	s_wait_xcnt 0x0
	v_cmpx_lt_u32_e32 3, v19
	s_cbranch_execz .LBB2033_597
; %bb.590:
	v_and_b32_e32 v21, 0xff, v18
	s_mov_b32 s5, 0
	s_mov_b32 s2, exec_lo
	s_delay_alu instid0(VALU_DEP_1)
	v_cmpx_eq_u16_e32 0, v21
	s_cbranch_execz .LBB2033_596
; %bb.591:
	v_mov_b64_e32 v[4:5], 0
.LBB2033_592:                           ; =>This Inner Loop Header: Depth=1
	s_wait_xcnt 0x0
	s_add_co_i32 s1, s5, 0xb0
	s_add_co_i32 s5, s5, 8
	scratch_store_b64 off, v[4:5], s1
	s_cmp_lg_u32 s5, 16
	s_cbranch_scc1 .LBB2033_592
; %bb.593:
	s_wait_xcnt 0x0
	s_mov_b32 s1, 0
.LBB2033_594:                           ; =>This Inner Loop Header: Depth=1
	scratch_load_b64 v[4:5], off, s1
	v_add_nc_u32_e32 v6, s1, v14
	s_add_co_i32 s5, s1, 0xb0
	s_wait_xcnt 0x0
	s_add_co_i32 s1, s1, 8
	s_delay_alu instid0(SALU_CYCLE_1)
	s_cmp_lg_u32 s1, 16
	ds_load_2addr_b32 v[6:7], v6 offset1:1
	s_wait_loadcnt_dscnt 0x0
	v_dual_add_nc_u32 v5, v7, v5 :: v_dual_add_nc_u32 v4, v6, v4
	scratch_store_b64 off, v[4:5], s5
	s_cbranch_scc1 .LBB2033_594
; %bb.595:
	scratch_load_b128 v[4:7], off, off offset:176
.LBB2033_596:
	s_wait_xcnt 0x0
	s_or_b32 exec_lo, exec_lo, s2
	v_and_b32_e32 v18, 1, v18
	v_and_b32_e32 v20, 1, v20
	s_delay_alu instid0(VALU_DEP_2) | instskip(NEXT) | instid1(VALU_DEP_2)
	v_cmp_eq_u32_e64 s1, 1, v18
	v_cmp_eq_u32_e64 s2, 1, v20
	s_or_b32 s1, s1, s2
	s_delay_alu instid0(SALU_CYCLE_1)
	v_cndmask_b32_e64 v18, 0, 1, s1
	ds_store_b8 v14, v18 offset:16
	ds_load_b32 v18, v14 offset:16
	s_wait_loadcnt 0x0
	ds_store_2addr_b32 v14, v4, v5 offset1:1
	ds_store_2addr_b32 v14, v6, v7 offset0:2 offset1:3
.LBB2033_597:
	s_or_b32 exec_lo, exec_lo, s4
	v_mov_b32_dpp v22, v4 row_shr:8 row_mask:0xf bank_mask:0xf
	v_mov_b32_dpp v23, v5 row_shr:8 row_mask:0xf bank_mask:0xf
	;; [unrolled: 1-line block ×4, first 2 shown]
	s_wait_dscnt 0x2
	v_mov_b32_dpp v20, v18 row_shr:8 row_mask:0xf bank_mask:0xf
	s_mov_b32 s4, exec_lo
	s_clause 0x1
	scratch_store_b128 off, v[22:25], off
	scratch_store_b32 off, v20, off offset:16
	s_wait_xcnt 0x0
	v_cmpx_lt_u32_e32 7, v19
	s_cbranch_execz .LBB2033_605
; %bb.598:
	v_and_b32_e32 v19, 0xff, v18
	s_mov_b32 s5, 0
	s_mov_b32 s2, exec_lo
	s_delay_alu instid0(VALU_DEP_1)
	v_cmpx_eq_u16_e32 0, v19
	s_cbranch_execz .LBB2033_604
; %bb.599:
	v_mov_b64_e32 v[4:5], 0
.LBB2033_600:                           ; =>This Inner Loop Header: Depth=1
	s_wait_xcnt 0x0
	s_add_co_i32 s1, s5, 0xb0
	s_add_co_i32 s5, s5, 8
	scratch_store_b64 off, v[4:5], s1
	s_cmp_lg_u32 s5, 16
	s_cbranch_scc1 .LBB2033_600
; %bb.601:
	s_wait_xcnt 0x0
	s_mov_b32 s1, 0
.LBB2033_602:                           ; =>This Inner Loop Header: Depth=1
	scratch_load_b64 v[4:5], off, s1
	v_add_nc_u32_e32 v6, s1, v14
	s_add_co_i32 s5, s1, 0xb0
	s_wait_xcnt 0x0
	s_add_co_i32 s1, s1, 8
	s_delay_alu instid0(SALU_CYCLE_1)
	s_cmp_lg_u32 s1, 16
	ds_load_2addr_b32 v[6:7], v6 offset1:1
	s_wait_loadcnt_dscnt 0x0
	v_dual_add_nc_u32 v5, v7, v5 :: v_dual_add_nc_u32 v4, v6, v4
	scratch_store_b64 off, v[4:5], s5
	s_cbranch_scc1 .LBB2033_602
; %bb.603:
	scratch_load_b128 v[4:7], off, off offset:176
.LBB2033_604:
	s_wait_xcnt 0x0
	s_or_b32 exec_lo, exec_lo, s2
	v_and_b32_e32 v18, 1, v18
	v_and_b32_e32 v19, 1, v20
	s_delay_alu instid0(VALU_DEP_2) | instskip(NEXT) | instid1(VALU_DEP_2)
	v_cmp_eq_u32_e64 s1, 1, v18
	v_cmp_eq_u32_e64 s2, 1, v19
	s_or_b32 s1, s1, s2
	s_delay_alu instid0(SALU_CYCLE_1)
	v_cndmask_b32_e64 v18, 0, 1, s1
	ds_store_b8 v14, v18 offset:16
	ds_load_b32 v18, v14 offset:16
	s_wait_loadcnt 0x0
	ds_store_2addr_b32 v14, v4, v5 offset1:1
	ds_store_2addr_b32 v14, v6, v7 offset0:2 offset1:3
.LBB2033_605:
	s_or_b32 exec_lo, exec_lo, s4
	ds_swizzle_b32 v20, v4 offset:swizzle(BROADCAST,32,15)
	ds_swizzle_b32 v21, v5 offset:swizzle(BROADCAST,32,15)
	;; [unrolled: 1-line block ×4, first 2 shown]
	s_wait_dscnt 0x6
	ds_swizzle_b32 v19, v18 offset:swizzle(BROADCAST,32,15)
	v_and_b32_e32 v24, 16, v17
	s_mov_b32 s4, exec_lo
	s_wait_dscnt 0x1
	scratch_store_b128 off, v[20:23], off
	s_wait_dscnt 0x0
	scratch_store_b32 off, v19, off offset:16
	s_wait_xcnt 0x0
	v_cmpx_ne_u32_e32 0, v24
	s_cbranch_execz .LBB2033_613
; %bb.606:
	v_and_b32_e32 v20, 0xff, v18
	s_mov_b32 s5, 0
	s_mov_b32 s2, exec_lo
	s_delay_alu instid0(VALU_DEP_1)
	v_cmpx_eq_u16_e32 0, v20
	s_cbranch_execz .LBB2033_612
; %bb.607:
	v_mov_b64_e32 v[4:5], 0
.LBB2033_608:                           ; =>This Inner Loop Header: Depth=1
	s_wait_xcnt 0x0
	s_add_co_i32 s1, s5, 0xb0
	s_add_co_i32 s5, s5, 8
	scratch_store_b64 off, v[4:5], s1
	s_cmp_lg_u32 s5, 16
	s_cbranch_scc1 .LBB2033_608
; %bb.609:
	s_wait_xcnt 0x0
	s_mov_b32 s1, 0
.LBB2033_610:                           ; =>This Inner Loop Header: Depth=1
	scratch_load_b64 v[4:5], off, s1
	v_add_nc_u32_e32 v6, s1, v14
	s_add_co_i32 s5, s1, 0xb0
	s_wait_xcnt 0x0
	s_add_co_i32 s1, s1, 8
	s_delay_alu instid0(SALU_CYCLE_1)
	s_cmp_lg_u32 s1, 16
	ds_load_2addr_b32 v[6:7], v6 offset1:1
	s_wait_loadcnt_dscnt 0x0
	v_dual_add_nc_u32 v5, v7, v5 :: v_dual_add_nc_u32 v4, v6, v4
	scratch_store_b64 off, v[4:5], s5
	s_cbranch_scc1 .LBB2033_610
; %bb.611:
	scratch_load_b128 v[4:7], off, off offset:176
.LBB2033_612:
	s_wait_xcnt 0x0
	s_or_b32 exec_lo, exec_lo, s2
	v_and_b32_e32 v18, 1, v18
	v_and_b32_e32 v19, 1, v19
	s_delay_alu instid0(VALU_DEP_2) | instskip(NEXT) | instid1(VALU_DEP_2)
	v_cmp_eq_u32_e64 s1, 1, v18
	v_cmp_eq_u32_e64 s2, 1, v19
	s_or_b32 s1, s1, s2
	s_delay_alu instid0(SALU_CYCLE_1)
	v_cndmask_b32_e64 v18, 0, 1, s1
	ds_store_b8 v14, v18 offset:16
	ds_load_b32 v18, v14 offset:16
.LBB2033_613:
	s_or_b32 exec_lo, exec_lo, s4
	v_add_nc_u32_e32 v19, -1, v17
	s_delay_alu instid0(VALU_DEP_1) | instskip(NEXT) | instid1(VALU_DEP_1)
	v_cmp_gt_i32_e64 s1, 0, v19
	v_cndmask_b32_e64 v17, v19, v17, s1
	s_delay_alu instid0(VALU_DEP_1)
	v_lshlrev_b32_e32 v19, 2, v17
	ds_load_u8 v17, v13 offset:16
	s_wait_loadcnt 0x0
	ds_bpermute_b32 v4, v19, v4
	ds_bpermute_b32 v5, v19, v5
	s_wait_dscnt 0x3
	ds_bpermute_b32 v18, v19, v18
	ds_bpermute_b32 v6, v19, v6
	;; [unrolled: 1-line block ×3, first 2 shown]
	s_wait_dscnt 0x3
	ds_store_2addr_b32 v14, v4, v5 offset1:1
	s_wait_dscnt 0x1
	ds_store_2addr_b32 v14, v6, v7 offset0:2 offset1:3
	v_cmp_ne_u16_e64 s1, 0, v17
                                        ; implicit-def: $vgpr6_vgpr7
	s_and_saveexec_b32 s2, s1
	s_delay_alu instid0(SALU_CYCLE_1)
	s_xor_b32 s1, exec_lo, s2
	s_cbranch_execz .LBB2033_615
; %bb.614:
	ds_load_2addr_b32 v[4:5], v13 offset1:1
	ds_load_2addr_b32 v[6:7], v13 offset0:2 offset1:3
.LBB2033_615:
	s_and_not1_saveexec_b32 s1, s1
	s_cbranch_execz .LBB2033_621
; %bb.616:
	s_wait_dscnt 0x1
	v_mov_b64_e32 v[4:5], 0
	s_mov_b32 s2, 0
.LBB2033_617:                           ; =>This Inner Loop Header: Depth=1
	s_wait_xcnt 0x0
	s_mov_b32 s4, s2
	s_add_co_i32 s2, s2, 8
	scratch_store_b64 off, v[4:5], s4
	s_cmp_lg_u32 s2, 16
	s_cbranch_scc1 .LBB2033_617
; %bb.618:
	s_mov_b32 s2, 0
.LBB2033_619:                           ; =>This Inner Loop Header: Depth=1
	s_wait_dscnt 0x0
	s_wait_xcnt 0x0
	v_dual_add_nc_u32 v4, s2, v14 :: v_dual_add_nc_u32 v6, s2, v13
	s_mov_b32 s4, s2
	s_add_co_i32 s2, s2, 8
	ds_load_2addr_b32 v[4:5], v4 offset1:1
	ds_load_2addr_b32 v[6:7], v6 offset1:1
	s_cmp_lg_u32 s2, 16
	s_wait_dscnt 0x0
	v_dual_add_nc_u32 v5, v7, v5 :: v_dual_add_nc_u32 v4, v6, v4
	scratch_store_b64 off, v[4:5], s4
	s_cbranch_scc1 .LBB2033_619
; %bb.620:
	scratch_load_b128 v[4:7], off, off
.LBB2033_621:
	s_wait_xcnt 0x0
	s_or_b32 exec_lo, exec_lo, s1
	v_and_b32_e32 v17, 1, v17
	v_and_b32_e32 v18, 1, v18
	s_delay_alu instid0(VALU_DEP_2) | instskip(NEXT) | instid1(VALU_DEP_2)
	v_cmp_eq_u32_e64 s1, 1, v17
	v_cmp_eq_u32_e64 s2, 1, v18
	s_or_b32 s1, s2, s1
	s_delay_alu instid0(SALU_CYCLE_1)
	v_cndmask_b32_e64 v17, 0, 1, s1
	s_wait_loadcnt_dscnt 0x1
	ds_store_2addr_b32 v14, v4, v5 offset1:1
	s_wait_dscnt 0x1
	ds_store_2addr_b32 v14, v6, v7 offset0:2 offset1:3
	ds_store_b8 v14, v17 offset:16
	s_and_saveexec_b32 s1, vcc_lo
	s_cbranch_execz .LBB2033_623
; %bb.622:
	ds_store_2addr_b32 v14, v0, v1 offset1:1
	ds_store_2addr_b32 v14, v2, v3 offset0:2 offset1:3
	ds_store_b8 v14, v10 offset:16
.LBB2033_623:
	s_or_b32 exec_lo, exec_lo, s1
	; wave barrier
	ds_load_2addr_b32 v[4:5], v14 offset0:2 offset1:3
	ds_load_u8 v17, v14 offset:16
	ds_load_2addr_b32 v[6:7], v14 offset1:1
	s_wait_dscnt 0x2
	ds_store_2addr_b32 v13, v4, v5 offset0:2 offset1:3
	s_wait_dscnt 0x1
	ds_store_2addr_b32 v13, v6, v7 offset1:1
	ds_store_b8 v13, v17 offset:16
	; wave barrier
	ds_load_u8 v17, v13 offset:36
	ds_load_u8 v18, v14 offset:16
                                        ; implicit-def: $vgpr6_vgpr7
	s_wait_dscnt 0x1
	v_cmp_ne_u16_e64 s1, 0, v17
	s_and_saveexec_b32 s2, s1
	s_delay_alu instid0(SALU_CYCLE_1)
	s_xor_b32 s1, exec_lo, s2
	s_cbranch_execz .LBB2033_625
; %bb.624:
	ds_load_2addr_b32 v[4:5], v13 offset0:5 offset1:6
	ds_load_2addr_b32 v[6:7], v13 offset0:7 offset1:8
                                        ; implicit-def: $vgpr15
                                        ; implicit-def: $vgpr16
.LBB2033_625:
	s_and_not1_saveexec_b32 s1, s1
	s_cbranch_execz .LBB2033_631
; %bb.626:
	s_wait_dscnt 0x1
	v_mov_b64_e32 v[4:5], 0
	s_mov_b32 s2, 0
.LBB2033_627:                           ; =>This Inner Loop Header: Depth=1
	s_wait_xcnt 0x0
	s_mov_b32 s4, s2
	s_add_co_i32 s2, s2, 8
	scratch_store_b64 off, v[4:5], s4
	s_cmp_lg_u32 s2, 16
	s_cbranch_scc1 .LBB2033_627
; %bb.628:
	s_wait_xcnt 0x0
	v_mul_u32_u24_e32 v4, 20, v15
	s_mov_b32 s2, 0
	s_delay_alu instid0(VALU_DEP_1)
	v_add3_u32 v4, v16, v4, 20
.LBB2033_629:                           ; =>This Inner Loop Header: Depth=1
	s_delay_alu instid0(VALU_DEP_1)
	v_dual_add_nc_u32 v5, s2, v14 :: v_dual_add_nc_u32 v15, s2, v4
	s_wait_xcnt 0x0
	s_mov_b32 s4, s2
	s_add_co_i32 s2, s2, 8
	s_wait_dscnt 0x0
	ds_load_2addr_b32 v[6:7], v5 offset1:1
	ds_load_2addr_b32 v[20:21], v15 offset1:1
	s_cmp_lg_u32 s2, 16
	s_wait_dscnt 0x0
	v_dual_add_nc_u32 v7, v21, v7 :: v_dual_add_nc_u32 v6, v20, v6
	scratch_store_b64 off, v[6:7], s4
	s_cbranch_scc1 .LBB2033_629
; %bb.630:
	scratch_load_b128 v[4:7], off, off
.LBB2033_631:
	s_wait_xcnt 0x0
	s_or_b32 exec_lo, exec_lo, s1
	s_wait_dscnt 0x0
	v_bitop3_b16 v15, v17, 1, v18 bitop3:0xc8
	s_wait_loadcnt 0x0
	ds_store_2addr_b32 v14, v4, v5 offset1:1
	ds_store_2addr_b32 v14, v6, v7 offset0:2 offset1:3
	ds_store_2addr_b32 v13, v6, v7 offset0:7 offset1:8
	;; [unrolled: 1-line block ×3, first 2 shown]
	ds_store_b8 v13, v15 offset:36
.LBB2033_632:
	s_or_b32 exec_lo, exec_lo, s3
	v_lshl_or_b32 v4, v11, 16, v12
	s_wait_storecnt_dscnt 0x0
	s_barrier_signal -1
	s_barrier_wait -1
	s_and_saveexec_b32 s1, s0
	s_cbranch_execz .LBB2033_634
; %bb.633:
	v_add_nc_u32_e32 v0, -1, v8
	s_delay_alu instid0(VALU_DEP_1) | instskip(SKIP_1) | instid1(VALU_DEP_1)
	v_lshrrev_b32_e32 v1, 5, v0
	v_mul_i32_i24_e32 v0, 20, v0
	v_mad_u32 v5, v1, 20, v0
	ds_load_2addr_b32 v[0:1], v5 offset1:1
	ds_load_2addr_b32 v[2:3], v5 offset0:2 offset1:3
	ds_load_u8 v10, v5 offset:16
.LBB2033_634:
	s_or_b32 exec_lo, exec_lo, s1
	s_clause 0x1
	scratch_load_b128 v[12:15], off, off offset:240
	scratch_load_b32 v5, off, off offset:256
	v_dual_lshrrev_b32 v6, 16, v4 :: v_dual_lshrrev_b32 v7, 8, v4
	s_wait_dscnt 0x0
	v_perm_b32 v4, v10, v4, 0xc0c0004
	s_delay_alu instid0(VALU_DEP_2) | instskip(NEXT) | instid1(VALU_DEP_1)
	v_lshlrev_b16 v6, 8, v6
	v_bitop3_b16 v6, v7, v6, 0xff bitop3:0xec
	s_delay_alu instid0(VALU_DEP_1) | instskip(NEXT) | instid1(VALU_DEP_1)
	v_lshlrev_b32_e32 v6, 16, v6
	v_or_b32_e32 v4, v4, v6
	s_clause 0x1
	scratch_store_b128 off, v[0:3], off offset:176
	scratch_store_b32 off, v4, off offset:192
	s_wait_loadcnt 0x1
	scratch_store_b128 off, v[12:15], off offset:196
	s_wait_loadcnt 0x0
	scratch_store_b32 off, v5, off offset:212
                                        ; implicit-def: $vgpr2_vgpr3
	s_wait_xcnt 0x0
	s_and_saveexec_b32 s1, s0
	s_delay_alu instid0(SALU_CYCLE_1)
	s_xor_b32 s1, exec_lo, s1
	s_cbranch_execz .LBB2033_644
; %bb.635:
	v_and_b32_e32 v0, 0xff, v5
	s_delay_alu instid0(VALU_DEP_1) | instskip(SKIP_1) | instid1(SALU_CYCLE_1)
	v_cmp_ne_u16_e64 s0, 0, v0
                                        ; implicit-def: $vgpr2_vgpr3
	s_and_saveexec_b32 s2, s0
	s_xor_b32 s0, exec_lo, s2
	s_cbranch_execz .LBB2033_637
; %bb.636:
	scratch_load_b128 v[0:3], off, off offset:196
.LBB2033_637:
	s_wait_xcnt 0x0
	s_and_not1_saveexec_b32 s0, s0
	s_cbranch_execz .LBB2033_643
; %bb.638:
	s_wait_loadcnt 0x0
	v_mov_b64_e32 v[0:1], 0
	s_mov_b32 s2, 0
.LBB2033_639:                           ; =>This Inner Loop Header: Depth=1
	s_wait_xcnt 0x0
	s_mov_b32 s3, s2
	s_add_co_i32 s2, s2, 8
	scratch_store_b64 off, v[0:1], s3
	s_cmp_lg_u32 s2, 16
	s_cbranch_scc1 .LBB2033_639
; %bb.640:
	s_mov_b32 s2, 0
.LBB2033_641:                           ; =>This Inner Loop Header: Depth=1
	s_wait_xcnt 0x0
	s_add_co_i32 s3, s2, 0xb0
	s_add_co_i32 s4, s2, 0xc4
	scratch_load_b64 v[0:1], off, s3
	scratch_load_b64 v[2:3], off, s4
	s_wait_xcnt 0x1
	s_mov_b32 s3, s2
	s_add_co_i32 s2, s2, 8
	s_delay_alu instid0(SALU_CYCLE_1)
	s_cmp_lg_u32 s2, 16
	s_wait_loadcnt 0x0
	v_dual_add_nc_u32 v1, v3, v1 :: v_dual_add_nc_u32 v0, v2, v0
	scratch_store_b64 off, v[0:1], s3
	s_cbranch_scc1 .LBB2033_641
; %bb.642:
	scratch_load_b128 v[0:3], off, off
.LBB2033_643:
	s_wait_xcnt 0x0
	s_or_b32 exec_lo, exec_lo, s0
	v_bitop3_b16 v5, v5, 1, v10 bitop3:0xc8
	s_wait_loadcnt 0x0
	s_clause 0x1
	scratch_store_b128 off, v[0:3], off offset:196
	scratch_store_b8 off, v5, off offset:212
	;;#ASMSTART
	;;#ASMEND
.LBB2033_644:
	s_wait_xcnt 0x0
	s_and_not1_saveexec_b32 s0, s1
	s_cbranch_execz .LBB2033_646
; %bb.645:
	scratch_load_b128 v[0:3], off, off offset:196
.LBB2033_646:
	s_wait_xcnt 0x0
	s_or_b32 exec_lo, exec_lo, s0
	s_clause 0x3
	scratch_load_u16 v4, off, off offset:213
	scratch_load_u8 v7, off, off offset:215
	scratch_load_u8 v6, off, off offset:276
	scratch_load_b128 v[10:13], off, off offset:196
	s_wait_loadcnt 0x3
	v_perm_b32 v14, v5, v4, 0xc0c0004
	s_wait_loadcnt 0x2
	v_perm_b32 v4, v4, v7, 0xc0c0005
	s_wait_loadcnt 0x1
	v_cmp_ne_u16_e64 s0, 0, v6
	s_delay_alu instid0(VALU_DEP_2)
	v_lshl_or_b32 v4, v4, 16, v14
	s_wait_loadcnt 0x0
	s_clause 0x3
	scratch_store_b128 off, v[10:13], off offset:240
	scratch_store_b8 off, v5, off offset:256
	scratch_store_b128 off, v[0:3], off
	scratch_store_b32 off, v4, off offset:16
                                        ; implicit-def: $vgpr2_vgpr3
	s_wait_xcnt 0x0
	s_and_saveexec_b32 s1, s0
	s_delay_alu instid0(SALU_CYCLE_1)
	s_xor_b32 s0, exec_lo, s1
	s_cbranch_execz .LBB2033_648
; %bb.647:
	scratch_load_b128 v[0:3], off, off offset:260
.LBB2033_648:
	s_wait_xcnt 0x0
	s_or_saveexec_b32 s0, s0
	v_lshl_add_u32 v4, v9, 4, 0x4c00
	s_xor_b32 exec_lo, exec_lo, s0
	s_cbranch_execz .LBB2033_654
; %bb.649:
	s_wait_loadcnt 0x0
	v_mov_b32_e32 v0, 0
	s_mov_b32 s1, 0
.LBB2033_650:                           ; =>This Inner Loop Header: Depth=1
	s_delay_alu instid0(SALU_CYCLE_1) | instskip(SKIP_1) | instid1(SALU_CYCLE_1)
	v_add_nc_u32_e32 v1, s1, v4
	s_add_co_i32 s1, s1, 8
	s_cmp_lg_u32 s1, 16
	ds_store_2addr_b32 v1, v0, v0 offset1:1
	s_cbranch_scc1 .LBB2033_650
; %bb.651:
	s_mov_b32 s1, 0
.LBB2033_652:                           ; =>This Inner Loop Header: Depth=1
	s_wait_xcnt 0x0
	s_add_co_i32 s3, s19, s1
	scratch_load_b64 v[0:1], off, s1
	scratch_load_b64 v[2:3], off, s3
	v_add_nc_u32_e32 v7, s1, v4
	s_mov_b32 s2, s1
	s_wait_xcnt 0x1
	s_add_co_i32 s1, s1, 8
                                        ; kill: killed $sgpr2
	s_delay_alu instid0(SALU_CYCLE_1)
	s_cmp_lg_u32 s1, 16
	s_wait_loadcnt 0x0
	v_dual_add_nc_u32 v1, v3, v1 :: v_dual_add_nc_u32 v0, v2, v0
	ds_store_2addr_b32 v7, v0, v1 offset1:1
	s_cbranch_scc1 .LBB2033_652
; %bb.653:
	ds_load_2addr_b32 v[0:1], v4 offset1:1
	ds_load_2addr_b32 v[2:3], v4 offset0:2 offset1:3
.LBB2033_654:
	s_wait_xcnt 0x0
	s_or_b32 exec_lo, exec_lo, s0
	scratch_load_u8 v7, off, off offset:296
	v_or_b32_e32 v6, v6, v5
	s_wait_loadcnt_dscnt 0x100
	scratch_store_b128 off, v[0:3], off
	scratch_store_b128 off, v[0:3], s19
	scratch_store_b8 off, v6, off offset:276
                                        ; implicit-def: $vgpr2_vgpr3
	s_wait_loadcnt 0x0
	v_cmp_ne_u16_e64 s0, 0, v7
	s_wait_xcnt 0x0
	s_and_saveexec_b32 s1, s0
	s_delay_alu instid0(SALU_CYCLE_1)
	s_xor_b32 s0, exec_lo, s1
	s_cbranch_execz .LBB2033_656
; %bb.655:
	scratch_load_b128 v[0:3], off, off offset:280
.LBB2033_656:
	s_wait_xcnt 0x0
	s_and_not1_saveexec_b32 s0, s0
	s_cbranch_execz .LBB2033_662
; %bb.657:
	s_wait_loadcnt 0x0
	v_mov_b32_e32 v0, 0
	s_mov_b32 s1, 0
.LBB2033_658:                           ; =>This Inner Loop Header: Depth=1
	s_delay_alu instid0(SALU_CYCLE_1) | instskip(SKIP_1) | instid1(SALU_CYCLE_1)
	v_add_nc_u32_e32 v1, s1, v4
	s_add_co_i32 s1, s1, 8
	s_cmp_lg_u32 s1, 16
	ds_store_2addr_b32 v1, v0, v0 offset1:1
	s_cbranch_scc1 .LBB2033_658
; %bb.659:
	s_mov_b32 s1, 0
.LBB2033_660:                           ; =>This Inner Loop Header: Depth=1
	s_wait_xcnt 0x0
	s_add_co_i32 s3, s33, s1
	scratch_load_b64 v[0:1], off, s1
	scratch_load_b64 v[2:3], off, s3
	v_add_nc_u32_e32 v5, s1, v4
	s_mov_b32 s2, s1
	s_wait_xcnt 0x1
	s_add_co_i32 s1, s1, 8
                                        ; kill: killed $sgpr3
                                        ; kill: killed $sgpr2
	s_delay_alu instid0(SALU_CYCLE_1)
	s_cmp_lg_u32 s1, 16
	s_wait_loadcnt 0x0
	v_dual_add_nc_u32 v1, v3, v1 :: v_dual_add_nc_u32 v0, v2, v0
	ds_store_2addr_b32 v5, v0, v1 offset1:1
	s_cbranch_scc1 .LBB2033_660
; %bb.661:
	ds_load_2addr_b32 v[0:1], v4 offset1:1
	ds_load_2addr_b32 v[2:3], v4 offset0:2 offset1:3
.LBB2033_662:
	s_wait_xcnt 0x0
	s_or_b32 exec_lo, exec_lo, s0
	scratch_load_u8 v5, off, off offset:316
	v_and_b32_e32 v6, 0xff, v6
	v_and_b32_e32 v7, 1, v7
	s_delay_alu instid0(VALU_DEP_2) | instskip(NEXT) | instid1(VALU_DEP_2)
	v_cmp_ne_u16_e64 s0, 0, v6
	v_cmp_eq_u32_e64 s1, 1, v7
	s_or_b32 s1, s0, s1
	s_delay_alu instid0(SALU_CYCLE_1)
	v_cndmask_b32_e64 v6, 0, 1, s1
	s_wait_loadcnt_dscnt 0x100
	scratch_store_b128 off, v[0:3], off
	scratch_store_b128 off, v[0:3], s33
	scratch_store_b8 off, v6, off offset:296
                                        ; implicit-def: $vgpr2_vgpr3
	s_wait_loadcnt 0x0
	v_cmp_ne_u16_e64 s0, 0, v5
	s_wait_xcnt 0x0
	s_and_saveexec_b32 s2, s0
	s_delay_alu instid0(SALU_CYCLE_1)
	s_xor_b32 s0, exec_lo, s2
	s_cbranch_execz .LBB2033_664
; %bb.663:
	scratch_load_b128 v[0:3], off, off offset:300
.LBB2033_664:
	s_wait_xcnt 0x0
	s_and_not1_saveexec_b32 s0, s0
	s_cbranch_execz .LBB2033_670
; %bb.665:
	s_wait_loadcnt 0x0
	v_mov_b32_e32 v0, 0
	s_mov_b32 s2, 0
.LBB2033_666:                           ; =>This Inner Loop Header: Depth=1
	s_delay_alu instid0(SALU_CYCLE_1) | instskip(SKIP_1) | instid1(SALU_CYCLE_1)
	v_add_nc_u32_e32 v1, s2, v4
	s_add_co_i32 s2, s2, 8
	s_cmp_lg_u32 s2, 16
	ds_store_2addr_b32 v1, v0, v0 offset1:1
	s_cbranch_scc1 .LBB2033_666
; %bb.667:
	s_mov_b32 s2, 0
.LBB2033_668:                           ; =>This Inner Loop Header: Depth=1
	s_wait_xcnt 0x0
	s_add_co_i32 s4, s42, s2
	scratch_load_b64 v[0:1], off, s2
	scratch_load_b64 v[2:3], off, s4
	v_add_nc_u32_e32 v6, s2, v4
	s_mov_b32 s3, s2
	s_wait_xcnt 0x1
	s_add_co_i32 s2, s2, 8
                                        ; kill: killed $sgpr3
                                        ; kill: killed $sgpr4
	s_delay_alu instid0(SALU_CYCLE_1)
	s_cmp_lg_u32 s2, 16
	s_wait_loadcnt 0x0
	v_dual_add_nc_u32 v1, v3, v1 :: v_dual_add_nc_u32 v0, v2, v0
	ds_store_2addr_b32 v6, v0, v1 offset1:1
	s_cbranch_scc1 .LBB2033_668
; %bb.669:
	ds_load_2addr_b32 v[0:1], v4 offset1:1
	ds_load_2addr_b32 v[2:3], v4 offset0:2 offset1:3
.LBB2033_670:
	s_wait_xcnt 0x0
	s_or_b32 exec_lo, exec_lo, s0
	scratch_load_u8 v6, off, off offset:336
	v_and_b32_e32 v5, 1, v5
	s_delay_alu instid0(VALU_DEP_1) | instskip(SKIP_1) | instid1(SALU_CYCLE_1)
	v_cmp_eq_u32_e64 s0, 1, v5
	s_or_b32 s1, s0, s1
	v_cndmask_b32_e64 v5, 0, 1, s1
	s_wait_loadcnt_dscnt 0x100
	scratch_store_b128 off, v[0:3], off
	scratch_store_b128 off, v[0:3], s42
	scratch_store_b8 off, v5, off offset:316
                                        ; implicit-def: $vgpr2_vgpr3
	s_wait_loadcnt 0x0
	v_cmp_ne_u16_e64 s0, 0, v6
	s_wait_xcnt 0x0
	s_and_saveexec_b32 s2, s0
	s_delay_alu instid0(SALU_CYCLE_1)
	s_xor_b32 s0, exec_lo, s2
	s_cbranch_execz .LBB2033_672
; %bb.671:
	scratch_load_b128 v[0:3], off, off offset:320
.LBB2033_672:
	s_wait_xcnt 0x0
	s_and_not1_saveexec_b32 s0, s0
	s_cbranch_execz .LBB2033_678
; %bb.673:
	s_wait_loadcnt 0x0
	v_mov_b32_e32 v0, 0
	s_mov_b32 s2, 0
.LBB2033_674:                           ; =>This Inner Loop Header: Depth=1
	s_delay_alu instid0(SALU_CYCLE_1) | instskip(SKIP_1) | instid1(SALU_CYCLE_1)
	v_add_nc_u32_e32 v1, s2, v4
	s_add_co_i32 s2, s2, 8
	s_cmp_lg_u32 s2, 16
	ds_store_2addr_b32 v1, v0, v0 offset1:1
	s_cbranch_scc1 .LBB2033_674
; %bb.675:
	s_mov_b32 s2, 0
.LBB2033_676:                           ; =>This Inner Loop Header: Depth=1
	s_wait_xcnt 0x0
	s_add_co_i32 s4, s43, s2
	scratch_load_b64 v[0:1], off, s2
	scratch_load_b64 v[2:3], off, s4
	v_add_nc_u32_e32 v5, s2, v4
	s_mov_b32 s3, s2
	s_wait_xcnt 0x1
	s_add_co_i32 s2, s2, 8
                                        ; kill: killed $sgpr4
                                        ; kill: killed $sgpr3
	s_delay_alu instid0(SALU_CYCLE_1)
	s_cmp_lg_u32 s2, 16
	s_wait_loadcnt 0x0
	v_dual_add_nc_u32 v1, v3, v1 :: v_dual_add_nc_u32 v0, v2, v0
	ds_store_2addr_b32 v5, v0, v1 offset1:1
	s_cbranch_scc1 .LBB2033_676
; %bb.677:
	ds_load_2addr_b32 v[0:1], v4 offset1:1
	ds_load_2addr_b32 v[2:3], v4 offset0:2 offset1:3
.LBB2033_678:
	s_wait_xcnt 0x0
	s_or_b32 exec_lo, exec_lo, s0
	scratch_load_u8 v5, off, off offset:356
	v_and_b32_e32 v6, 1, v6
	s_delay_alu instid0(VALU_DEP_1) | instskip(SKIP_1) | instid1(SALU_CYCLE_1)
	v_cmp_eq_u32_e64 s0, 1, v6
	s_or_b32 s1, s0, s1
	v_cndmask_b32_e64 v6, 0, 1, s1
	s_wait_loadcnt_dscnt 0x100
	scratch_store_b128 off, v[0:3], off
	scratch_store_b128 off, v[0:3], s43
	scratch_store_b8 off, v6, off offset:336
                                        ; implicit-def: $vgpr2_vgpr3
	s_wait_loadcnt 0x0
	v_cmp_ne_u16_e64 s0, 0, v5
	s_wait_xcnt 0x0
	s_and_saveexec_b32 s2, s0
	s_delay_alu instid0(SALU_CYCLE_1)
	s_xor_b32 s0, exec_lo, s2
	s_cbranch_execz .LBB2033_680
; %bb.679:
	scratch_load_b128 v[0:3], off, off offset:340
.LBB2033_680:
	s_wait_xcnt 0x0
	s_and_not1_saveexec_b32 s0, s0
	s_cbranch_execz .LBB2033_686
; %bb.681:
	s_wait_loadcnt 0x0
	v_mov_b32_e32 v0, 0
	s_mov_b32 s2, 0
.LBB2033_682:                           ; =>This Inner Loop Header: Depth=1
	s_delay_alu instid0(SALU_CYCLE_1) | instskip(SKIP_1) | instid1(SALU_CYCLE_1)
	v_add_nc_u32_e32 v1, s2, v4
	s_add_co_i32 s2, s2, 8
	s_cmp_lg_u32 s2, 16
	ds_store_2addr_b32 v1, v0, v0 offset1:1
	s_cbranch_scc1 .LBB2033_682
; %bb.683:
	s_mov_b32 s2, 0
.LBB2033_684:                           ; =>This Inner Loop Header: Depth=1
	s_wait_xcnt 0x0
	s_add_co_i32 s4, s44, s2
	scratch_load_b64 v[0:1], off, s2
	scratch_load_b64 v[2:3], off, s4
	v_add_nc_u32_e32 v6, s2, v4
	s_mov_b32 s3, s2
	s_wait_xcnt 0x1
	s_add_co_i32 s2, s2, 8
                                        ; kill: killed $sgpr4
                                        ; kill: killed $sgpr3
	s_delay_alu instid0(SALU_CYCLE_1)
	s_cmp_lg_u32 s2, 16
	s_wait_loadcnt 0x0
	v_dual_add_nc_u32 v1, v3, v1 :: v_dual_add_nc_u32 v0, v2, v0
	ds_store_2addr_b32 v6, v0, v1 offset1:1
	s_cbranch_scc1 .LBB2033_684
; %bb.685:
	ds_load_2addr_b32 v[0:1], v4 offset1:1
	ds_load_2addr_b32 v[2:3], v4 offset0:2 offset1:3
.LBB2033_686:
	s_wait_xcnt 0x0
	s_or_b32 exec_lo, exec_lo, s0
	scratch_load_u8 v6, off, off offset:376
	v_and_b32_e32 v5, 1, v5
	s_delay_alu instid0(VALU_DEP_1) | instskip(SKIP_1) | instid1(SALU_CYCLE_1)
	v_cmp_eq_u32_e64 s0, 1, v5
	s_or_b32 s1, s0, s1
	v_cndmask_b32_e64 v5, 0, 1, s1
	s_wait_loadcnt_dscnt 0x100
	scratch_store_b128 off, v[0:3], off
	scratch_store_b128 off, v[0:3], s44
	scratch_store_b8 off, v5, off offset:356
                                        ; implicit-def: $vgpr2_vgpr3
	s_wait_loadcnt 0x0
	v_cmp_ne_u16_e64 s0, 0, v6
	s_wait_xcnt 0x0
	s_and_saveexec_b32 s2, s0
	s_delay_alu instid0(SALU_CYCLE_1)
	s_xor_b32 s0, exec_lo, s2
	s_cbranch_execz .LBB2033_688
; %bb.687:
	scratch_load_b128 v[0:3], off, off offset:360
.LBB2033_688:
	s_wait_xcnt 0x0
	s_and_not1_saveexec_b32 s0, s0
	s_cbranch_execz .LBB2033_694
; %bb.689:
	s_wait_loadcnt 0x0
	v_mov_b32_e32 v0, 0
	s_mov_b32 s2, 0
.LBB2033_690:                           ; =>This Inner Loop Header: Depth=1
	s_delay_alu instid0(SALU_CYCLE_1) | instskip(SKIP_1) | instid1(SALU_CYCLE_1)
	v_add_nc_u32_e32 v1, s2, v4
	s_add_co_i32 s2, s2, 8
	s_cmp_lg_u32 s2, 16
	ds_store_2addr_b32 v1, v0, v0 offset1:1
	s_cbranch_scc1 .LBB2033_690
; %bb.691:
	s_mov_b32 s2, 0
.LBB2033_692:                           ; =>This Inner Loop Header: Depth=1
	s_wait_xcnt 0x0
	s_add_co_i32 s4, s45, s2
	scratch_load_b64 v[0:1], off, s2
	scratch_load_b64 v[2:3], off, s4
	v_add_nc_u32_e32 v5, s2, v4
	s_mov_b32 s3, s2
	s_wait_xcnt 0x1
	s_add_co_i32 s2, s2, 8
                                        ; kill: killed $sgpr3
                                        ; kill: killed $sgpr4
	s_delay_alu instid0(SALU_CYCLE_1)
	s_cmp_lg_u32 s2, 16
	s_wait_loadcnt 0x0
	v_dual_add_nc_u32 v1, v3, v1 :: v_dual_add_nc_u32 v0, v2, v0
	ds_store_2addr_b32 v5, v0, v1 offset1:1
	s_cbranch_scc1 .LBB2033_692
; %bb.693:
	ds_load_2addr_b32 v[0:1], v4 offset1:1
	ds_load_2addr_b32 v[2:3], v4 offset0:2 offset1:3
.LBB2033_694:
	s_wait_xcnt 0x0
	s_or_b32 exec_lo, exec_lo, s0
	scratch_load_u8 v5, off, off offset:396
	v_and_b32_e32 v6, 1, v6
	s_delay_alu instid0(VALU_DEP_1) | instskip(SKIP_1) | instid1(SALU_CYCLE_1)
	v_cmp_eq_u32_e64 s0, 1, v6
	s_or_b32 s1, s0, s1
	v_cndmask_b32_e64 v6, 0, 1, s1
	s_wait_loadcnt_dscnt 0x100
	scratch_store_b128 off, v[0:3], off
	scratch_store_b128 off, v[0:3], s45
	scratch_store_b8 off, v6, off offset:376
                                        ; implicit-def: $vgpr2_vgpr3
	s_wait_loadcnt 0x0
	v_cmp_ne_u16_e64 s0, 0, v5
	s_wait_xcnt 0x0
	s_and_saveexec_b32 s2, s0
	s_delay_alu instid0(SALU_CYCLE_1)
	s_xor_b32 s0, exec_lo, s2
	s_cbranch_execz .LBB2033_696
; %bb.695:
	scratch_load_b128 v[0:3], off, off offset:380
.LBB2033_696:
	s_wait_xcnt 0x0
	s_and_not1_saveexec_b32 s0, s0
	s_cbranch_execz .LBB2033_702
; %bb.697:
	s_wait_loadcnt 0x0
	v_mov_b32_e32 v0, 0
	s_mov_b32 s2, 0
.LBB2033_698:                           ; =>This Inner Loop Header: Depth=1
	s_delay_alu instid0(SALU_CYCLE_1) | instskip(SKIP_1) | instid1(SALU_CYCLE_1)
	v_add_nc_u32_e32 v1, s2, v4
	s_add_co_i32 s2, s2, 8
	s_cmp_lg_u32 s2, 16
	ds_store_2addr_b32 v1, v0, v0 offset1:1
	s_cbranch_scc1 .LBB2033_698
; %bb.699:
	s_mov_b32 s2, 0
.LBB2033_700:                           ; =>This Inner Loop Header: Depth=1
	s_wait_xcnt 0x0
	s_add_co_i32 s4, s46, s2
	scratch_load_b64 v[0:1], off, s2
	scratch_load_b64 v[2:3], off, s4
	v_add_nc_u32_e32 v6, s2, v4
	s_mov_b32 s3, s2
	s_wait_xcnt 0x1
	s_add_co_i32 s2, s2, 8
                                        ; kill: killed $sgpr4
                                        ; kill: killed $sgpr3
	s_delay_alu instid0(SALU_CYCLE_1)
	s_cmp_lg_u32 s2, 16
	s_wait_loadcnt 0x0
	v_dual_add_nc_u32 v1, v3, v1 :: v_dual_add_nc_u32 v0, v2, v0
	ds_store_2addr_b32 v6, v0, v1 offset1:1
	s_cbranch_scc1 .LBB2033_700
; %bb.701:
	ds_load_2addr_b32 v[0:1], v4 offset1:1
	ds_load_2addr_b32 v[2:3], v4 offset0:2 offset1:3
.LBB2033_702:
	s_wait_xcnt 0x0
	s_or_b32 exec_lo, exec_lo, s0
	scratch_load_u8 v6, off, off offset:416
	v_and_b32_e32 v5, 1, v5
	s_delay_alu instid0(VALU_DEP_1) | instskip(SKIP_1) | instid1(SALU_CYCLE_1)
	v_cmp_eq_u32_e64 s0, 1, v5
	s_or_b32 s1, s0, s1
	v_cndmask_b32_e64 v5, 0, 1, s1
	s_wait_loadcnt_dscnt 0x100
	scratch_store_b128 off, v[0:3], off
	scratch_store_b128 off, v[0:3], s46
	scratch_store_b8 off, v5, off offset:396
                                        ; implicit-def: $vgpr2_vgpr3
	s_wait_loadcnt 0x0
	v_cmp_ne_u16_e64 s0, 0, v6
	s_wait_xcnt 0x0
	s_and_saveexec_b32 s2, s0
	s_delay_alu instid0(SALU_CYCLE_1)
	s_xor_b32 s0, exec_lo, s2
	s_cbranch_execz .LBB2033_704
; %bb.703:
	scratch_load_b128 v[0:3], off, off offset:400
.LBB2033_704:
	s_wait_xcnt 0x0
	s_and_not1_saveexec_b32 s0, s0
	s_cbranch_execz .LBB2033_710
; %bb.705:
	s_wait_loadcnt 0x0
	v_mov_b32_e32 v0, 0
	s_mov_b32 s2, 0
.LBB2033_706:                           ; =>This Inner Loop Header: Depth=1
	s_delay_alu instid0(SALU_CYCLE_1) | instskip(SKIP_1) | instid1(SALU_CYCLE_1)
	v_add_nc_u32_e32 v1, s2, v4
	s_add_co_i32 s2, s2, 8
	s_cmp_lg_u32 s2, 16
	ds_store_2addr_b32 v1, v0, v0 offset1:1
	s_cbranch_scc1 .LBB2033_706
; %bb.707:
	s_mov_b32 s2, 0
.LBB2033_708:                           ; =>This Inner Loop Header: Depth=1
	s_wait_xcnt 0x0
	s_add_co_i32 s4, s47, s2
	scratch_load_b64 v[0:1], off, s2
	scratch_load_b64 v[2:3], off, s4
	v_add_nc_u32_e32 v5, s2, v4
	s_mov_b32 s3, s2
	s_wait_xcnt 0x1
	s_add_co_i32 s2, s2, 8
                                        ; kill: killed $sgpr4
                                        ; kill: killed $sgpr3
	s_delay_alu instid0(SALU_CYCLE_1)
	s_cmp_lg_u32 s2, 16
	s_wait_loadcnt 0x0
	v_dual_add_nc_u32 v1, v3, v1 :: v_dual_add_nc_u32 v0, v2, v0
	ds_store_2addr_b32 v5, v0, v1 offset1:1
	s_cbranch_scc1 .LBB2033_708
; %bb.709:
	ds_load_2addr_b32 v[0:1], v4 offset1:1
	ds_load_2addr_b32 v[2:3], v4 offset0:2 offset1:3
.LBB2033_710:
	s_wait_xcnt 0x0
	s_or_b32 exec_lo, exec_lo, s0
	scratch_load_u8 v5, off, off offset:436
	v_and_b32_e32 v6, 1, v6
	s_delay_alu instid0(VALU_DEP_1) | instskip(SKIP_1) | instid1(SALU_CYCLE_1)
	v_cmp_eq_u32_e64 s0, 1, v6
	s_or_b32 s1, s0, s1
	v_cndmask_b32_e64 v6, 0, 1, s1
	s_wait_loadcnt_dscnt 0x100
	scratch_store_b128 off, v[0:3], off
	scratch_store_b128 off, v[0:3], s47
	scratch_store_b8 off, v6, off offset:416
                                        ; implicit-def: $vgpr2_vgpr3
	s_wait_loadcnt 0x0
	v_cmp_ne_u16_e64 s0, 0, v5
	s_wait_xcnt 0x0
	s_and_saveexec_b32 s2, s0
	s_delay_alu instid0(SALU_CYCLE_1)
	s_xor_b32 s0, exec_lo, s2
	s_cbranch_execz .LBB2033_712
; %bb.711:
	scratch_load_b128 v[0:3], off, off offset:420
                                        ; implicit-def: $vgpr4
.LBB2033_712:
	s_wait_xcnt 0x0
	s_and_not1_saveexec_b32 s0, s0
	s_cbranch_execz .LBB2033_718
; %bb.713:
	s_wait_loadcnt 0x0
	v_mov_b32_e32 v0, 0
	s_mov_b32 s2, 0
.LBB2033_714:                           ; =>This Inner Loop Header: Depth=1
	s_delay_alu instid0(SALU_CYCLE_1) | instskip(SKIP_1) | instid1(SALU_CYCLE_1)
	v_add_nc_u32_e32 v1, s2, v4
	s_add_co_i32 s2, s2, 8
	s_cmp_lg_u32 s2, 16
	ds_store_2addr_b32 v1, v0, v0 offset1:1
	s_cbranch_scc1 .LBB2033_714
; %bb.715:
	s_mov_b32 s2, 0
.LBB2033_716:                           ; =>This Inner Loop Header: Depth=1
	s_wait_xcnt 0x0
	s_add_co_i32 s4, s48, s2
	scratch_load_b64 v[0:1], off, s2
	scratch_load_b64 v[2:3], off, s4
	v_add_nc_u32_e32 v6, s2, v4
	s_mov_b32 s3, s2
	s_wait_xcnt 0x1
	s_add_co_i32 s2, s2, 8
                                        ; kill: killed $sgpr3
                                        ; kill: killed $sgpr4
	s_delay_alu instid0(SALU_CYCLE_1)
	s_cmp_lg_u32 s2, 16
	s_wait_loadcnt 0x0
	v_dual_add_nc_u32 v1, v3, v1 :: v_dual_add_nc_u32 v0, v2, v0
	ds_store_2addr_b32 v6, v0, v1 offset1:1
	s_cbranch_scc1 .LBB2033_716
; %bb.717:
	ds_load_2addr_b32 v[0:1], v4 offset1:1
	ds_load_2addr_b32 v[2:3], v4 offset0:2 offset1:3
.LBB2033_718:
	s_wait_xcnt 0x0
	s_or_b32 exec_lo, exec_lo, s0
	v_dual_mov_b32 v4, 0 :: v_dual_bitop2_b32 v5, 1, v5 bitop3:0x40
	ds_load_b128 v[10:13], v4 offset:1280
	ds_load_u8 v6, v4 offset:1296
	v_cmp_eq_u32_e64 s0, 1, v5
	s_or_b32 s0, s0, s1
	s_delay_alu instid0(SALU_CYCLE_1)
	v_cndmask_b32_e64 v5, 0, 1, s0
	s_wait_loadcnt_dscnt 0x2
	scratch_store_b128 off, v[0:3], s48
	scratch_store_b8 off, v5, off offset:436
	s_wait_dscnt 0x1
	scratch_store_b128 off, v[10:13], off offset:216
	s_wait_dscnt 0x0
	scratch_store_b8 off, v6, off offset:232
	s_wait_xcnt 0x0
	s_and_saveexec_b32 s0, vcc_lo
	s_cbranch_execz .LBB2033_720
; %bb.719:
	scratch_load_b128 v[0:3], off, off offset:216
	v_mov_b32_e32 v5, 2
	s_wait_loadcnt 0x0
	s_clause 0x1
	global_store_b128 v4, v[0:3], s[14:15] offset:640
	global_store_b8 v4, v6, s[14:15] offset:656
	global_wb scope:SCOPE_DEV
	s_wait_storecnt 0x0
	global_inv scope:SCOPE_DEV
	s_wait_xcnt 0x0
	global_store_b8 v4, v5, s[16:17] offset:32 scope:SCOPE_DEV
.LBB2033_720:
	s_wait_xcnt 0x0
	s_or_b32 exec_lo, exec_lo, s0
.LBB2033_721:
	s_wait_xcnt 0x1
	v_mov_b64_e32 v[0:1], 0
	s_mov_b32 s0, 0
.LBB2033_722:                           ; =>This Inner Loop Header: Depth=1
	s_wait_xcnt 0x0
	s_mov_b32 s1, s0
	s_add_co_i32 s0, s0, 8
	scratch_store_b64 off, v[0:1], s1
	s_cmp_lg_u32 s0, 16
	s_cbranch_scc1 .LBB2033_722
; %bb.723:
	s_wait_xcnt 0x0
	v_mov_b64_e32 v[0:1], 0
	s_mov_b32 s0, 16
.LBB2033_724:                           ; =>This Inner Loop Header: Depth=1
	s_wait_xcnt 0x0
	s_mov_b32 s1, s0
	s_add_co_i32 s0, s0, 8
	scratch_store_b64 off, v[0:1], s1
	s_cmp_lg_u32 s0, 32
	s_cbranch_scc1 .LBB2033_724
; %bb.725:
	;; [unrolled: 11-line block ×5, first 2 shown]
	s_wait_xcnt 0x0
	v_mov_b64_e32 v[0:1], 0
	s_movk_i32 s0, 0x50
.LBB2033_732:                           ; =>This Inner Loop Header: Depth=1
	s_wait_xcnt 0x0
	s_mov_b32 s1, s0
	s_add_co_i32 s0, s0, 8
	scratch_store_b64 off, v[0:1], s1
	s_cmp_lg_u32 s0, 0x60
	s_cbranch_scc1 .LBB2033_732
; %bb.733:
	s_wait_xcnt 0x0
	v_mov_b64_e32 v[0:1], 0
	s_movk_i32 s0, 0x60
.LBB2033_734:                           ; =>This Inner Loop Header: Depth=1
	s_wait_xcnt 0x0
	s_mov_b32 s1, s0
	s_add_co_i32 s0, s0, 8
	scratch_store_b64 off, v[0:1], s1
	s_cmp_lg_u32 s0, 0x70
	s_cbranch_scc1 .LBB2033_734
; %bb.735:
	;; [unrolled: 11-line block ×5, first 2 shown]
	s_wait_xcnt 0x0
	s_add_nc_u64 s[0:1], s[10:11], s[24:25]
	s_movk_i32 s2, 0x90
	s_movk_i32 s3, 0x80
	;; [unrolled: 1-line block ×5, first 2 shown]
	s_and_b32 vcc_lo, exec_lo, s31
	s_add_nc_u64 s[0:1], s[0:1], s[20:21]
	s_cbranch_vccz .LBB2033_772
; %bb.742:
	v_mul_u32_u24_e32 v0, 10, v8
	s_add_co_i32 s53, s53, s18
	s_mov_b32 s7, exec_lo
	s_delay_alu instid0(VALU_DEP_1)
	v_cmpx_gt_u32_e64 s53, v0
	s_cbranch_execz .LBB2033_753
; %bb.743:
	scratch_load_b128 v[2:5], off, off offset:240
	v_or_b32_e32 v1, 1, v0
	s_delay_alu instid0(VALU_DEP_1)
	v_cmp_gt_u32_e32 vcc_lo, s53, v1
	s_wait_loadcnt 0x0
	scratch_store_b128 off, v[2:5], off
	s_wait_xcnt 0x0
	s_and_b32 exec_lo, exec_lo, vcc_lo
	s_cbranch_execz .LBB2033_753
; %bb.744:
	scratch_load_b128 v[2:5], off, s19
	v_add_nc_u32_e32 v1, 2, v0
	s_delay_alu instid0(VALU_DEP_1)
	v_cmp_gt_u32_e32 vcc_lo, s53, v1
	s_wait_loadcnt 0x0
	scratch_store_b128 off, v[2:5], s52
	s_wait_xcnt 0x0
	s_and_b32 exec_lo, exec_lo, vcc_lo
	s_cbranch_execz .LBB2033_753
; %bb.745:
	scratch_load_b128 v[2:5], off, s33
	v_add_nc_u32_e32 v1, 3, v0
	s_delay_alu instid0(VALU_DEP_1)
	v_cmp_gt_u32_e32 vcc_lo, s53, v1
	s_wait_loadcnt 0x0
	scratch_store_b128 off, v[2:5], s51
	;; [unrolled: 10-line block ×8, first 2 shown]
	s_wait_xcnt 0x0
	s_and_b32 exec_lo, exec_lo, vcc_lo
	s_cbranch_execz .LBB2033_753
; %bb.752:
	scratch_load_b128 v[2:5], off, s48
	s_wait_loadcnt 0x0
	scratch_store_b128 off, v[2:5], s2
.LBB2033_753:
	s_wait_xcnt 0x0
	s_or_b32 exec_lo, exec_lo, s7
	s_wait_loadcnt 0x0
	s_wait_storecnt 0x0
	s_barrier_signal -1
	s_barrier_wait -1
	scratch_load_b128 v[4:7], off, off
	s_clause 0x8
	scratch_load_b128 v[10:13], off, s52
	scratch_load_b128 v[14:17], off, s51
	scratch_load_b128 v[18:21], off, s50
	scratch_load_b128 v[22:25], off, s49
	scratch_load_b128 v[26:29], off, s6
	scratch_load_b128 v[30:33], off, s5
	scratch_load_b128 v[34:37], off, s4
	scratch_load_b128 v[38:41], off, s3
	scratch_load_b128 v[42:45], off, s2
	v_dual_mov_b32 v1, 0 :: v_dual_lshlrev_b32 v0, 4, v0
	s_mov_b32 s7, exec_lo
	s_wait_loadcnt 0x9
	ds_store_b128 v0, v[4:7]
	s_wait_loadcnt 0x8
	ds_store_b128 v0, v[10:13] offset:16
	s_wait_loadcnt 0x7
	ds_store_b128 v0, v[14:17] offset:32
	;; [unrolled: 2-line block ×9, first 2 shown]
	v_mad_i32_i24 v2, 0xffffff70, v8, v0
	s_wait_dscnt 0x0
	s_barrier_signal -1
	s_barrier_wait -1
	ds_load_b128 v[4:7], v2 offset:1024
	ds_load_b128 v[10:13], v2 offset:2048
	;; [unrolled: 1-line block ×9, first 2 shown]
	v_lshlrev_b32_e32 v0, 4, v8
	s_wait_dscnt 0x8
	scratch_store_b128 off, v[4:7], s52
	s_wait_dscnt 0x7
	scratch_store_b128 off, v[10:13], s51
	;; [unrolled: 2-line block ×9, first 2 shown]
	v_add_nc_u64_e32 v[0:1], s[0:1], v[0:1]
	s_wait_xcnt 0x0
	v_cmpx_gt_u32_e64 s53, v8
	s_cbranch_execz .LBB2033_755
; %bb.754:
	ds_load_2addr_b32 v[4:5], v2 offset0:2 offset1:3
	ds_load_2addr_b32 v[2:3], v2 offset1:1
	s_wait_dscnt 0x0
	flat_store_b128 v[0:1], v[2:5]
.LBB2033_755:
	s_wait_xcnt 0x0
	s_or_b32 exec_lo, exec_lo, s7
	v_add_nc_u32_e32 v2, 64, v8
	s_mov_b32 s7, exec_lo
	s_delay_alu instid0(VALU_DEP_1)
	v_cmpx_gt_u32_e64 s53, v2
	s_cbranch_execz .LBB2033_757
; %bb.756:
	scratch_load_b128 v[2:5], off, s52
	s_wait_loadcnt 0x0
	flat_store_b128 v[0:1], v[2:5] offset:1024
.LBB2033_757:
	s_wait_xcnt 0x0
	s_or_b32 exec_lo, exec_lo, s7
	v_add_nc_u32_e32 v2, 0x80, v8
	s_mov_b32 s7, exec_lo
	s_delay_alu instid0(VALU_DEP_1)
	v_cmpx_gt_u32_e64 s53, v2
	s_cbranch_execz .LBB2033_759
; %bb.758:
	scratch_load_b128 v[2:5], off, s51
	s_wait_loadcnt 0x0
	flat_store_b128 v[0:1], v[2:5] offset:2048
.LBB2033_759:
	;; [unrolled: 12-line block ×8, first 2 shown]
	s_wait_xcnt 0x0
	s_or_b32 exec_lo, exec_lo, s7
	v_add_nc_u32_e32 v0, 0x240, v8
	s_delay_alu instid0(VALU_DEP_1)
	v_cmp_gt_u32_e64 s7, s53, v0
	s_branch .LBB2033_774
.LBB2033_772:
	s_mov_b32 s7, 0
	s_cbranch_execz .LBB2033_774
; %bb.773:
	s_clause 0x3
	scratch_load_b128 v[0:3], off, s19
	scratch_load_b128 v[4:7], off, s33
	;; [unrolled: 1-line block ×4, first 2 shown]
                                        ; kill: killed $sgpr43
                                        ; kill: killed $sgpr19
                                        ; kill: killed $sgpr33
                                        ; kill: killed $sgpr42
	scratch_load_b128 v[18:21], off, off offset:240
	s_clause 0x4
	scratch_load_b128 v[22:25], off, s44
	scratch_load_b128 v[26:29], off, s45
	;; [unrolled: 1-line block ×5, first 2 shown]
	v_mul_i32_i24_e32 v9, 0xffffff70, v8
	v_mul_u32_u24_e32 v42, 0xa0, v8
	s_or_b32 s7, s7, exec_lo
                                        ; kill: killed $sgpr47
                                        ; kill: killed $sgpr44
                                        ; kill: killed $sgpr48
                                        ; kill: killed $sgpr45
                                        ; kill: killed $sgpr46
	s_wait_loadcnt 0x9
	scratch_store_b128 off, v[0:3], s52
	s_wait_loadcnt 0x8
	scratch_store_b128 off, v[4:7], s51
	;; [unrolled: 2-line block ×4, first 2 shown]
	s_wait_loadcnt 0x5
	scratch_store_b128 off, v[18:21], off
	s_wait_loadcnt 0x4
	scratch_store_b128 off, v[22:25], s6
	s_wait_loadcnt 0x3
	scratch_store_b128 off, v[26:29], s5
	;; [unrolled: 2-line block ×5, first 2 shown]
	s_wait_storecnt_dscnt 0x0
	s_barrier_signal -1
	s_barrier_wait -1
	scratch_load_b128 v[0:3], off, off
	s_clause 0x8
	scratch_load_b128 v[4:7], off, s52
	scratch_load_b128 v[10:13], off, s51
	;; [unrolled: 1-line block ×9, first 2 shown]
	v_mad_u32_u24 v9, 0xa0, v8, v9
	s_wait_loadcnt 0x9
	ds_store_b128 v42, v[0:3]
	s_wait_loadcnt 0x8
	ds_store_b128 v42, v[4:7] offset:16
	s_wait_loadcnt 0x7
	ds_store_b128 v42, v[10:13] offset:32
	;; [unrolled: 2-line block ×9, first 2 shown]
	s_wait_dscnt 0x0
	s_barrier_signal -1
	s_barrier_wait -1
	ds_load_b128 v[0:3], v9 offset:1024
	ds_load_b128 v[4:7], v9 offset:2048
	;; [unrolled: 1-line block ×9, first 2 shown]
	ds_load_2addr_b32 v[40:41], v9 offset0:2 offset1:3
	ds_load_2addr_b32 v[38:39], v9 offset1:1
	s_wait_dscnt 0xa
	scratch_store_b128 off, v[0:3], s52
	s_wait_dscnt 0x9
	scratch_store_b128 off, v[4:7], s51
	;; [unrolled: 2-line block ×9, first 2 shown]
	s_wait_dscnt 0x0
	flat_store_b128 v8, v[38:41], s[0:1] scale_offset
	scratch_load_b128 v[0:3], off, s52
	s_wait_loadcnt 0x0
	flat_store_b128 v8, v[0:3], s[0:1] offset:1024 scale_offset
	scratch_load_b128 v[0:3], off, s51
	s_wait_loadcnt 0x0
	flat_store_b128 v8, v[0:3], s[0:1] offset:2048 scale_offset
	;; [unrolled: 3-line block ×8, first 2 shown]
.LBB2033_774:
	s_wait_xcnt 0x0
	s_delay_alu instid0(VALU_DEP_1)
	s_and_saveexec_b32 s3, s7
	s_cbranch_execnz .LBB2033_776
; %bb.775:
	s_sendmsg sendmsg(MSG_DEALLOC_VGPRS)
	s_endpgm
.LBB2033_776:
	scratch_load_b128 v[0:3], off, s2
	s_wait_loadcnt 0x0
	flat_store_b128 v8, v[0:3], s[0:1] offset:9216 scale_offset
	s_sendmsg sendmsg(MSG_DEALLOC_VGPRS)
	s_endpgm
	.section	.rodata,"a",@progbits
	.p2align	6, 0x0
	.amdhsa_kernel _ZN7rocprim17ROCPRIM_400000_NS6detail17trampoline_kernelINS0_14default_configENS1_27scan_by_key_config_selectorIj11FixedVectorIiLj4EEEEZZNS1_16scan_by_key_implILNS1_25lookback_scan_determinismE0ELb0ES3_N6thrust23THRUST_200600_302600_NS6detail15normal_iteratorINSB_10device_ptrIjEEEENSD_INSE_IS6_EEEESI_S6_NSB_4plusIvEENSB_8equal_toIvEES6_EE10hipError_tPvRmT2_T3_T4_T5_mT6_T7_P12ihipStream_tbENKUlT_T0_E_clISt17integral_constantIbLb0EES13_EEDaSY_SZ_EUlSY_E_NS1_11comp_targetILNS1_3genE0ELNS1_11target_archE4294967295ELNS1_3gpuE0ELNS1_3repE0EEENS1_30default_config_static_selectorELNS0_4arch9wavefront6targetE0EEEvT1_
		.amdhsa_group_segment_fixed_size 20480
		.amdhsa_private_segment_fixed_size 448
		.amdhsa_kernarg_size 144
		.amdhsa_user_sgpr_count 4
		.amdhsa_user_sgpr_dispatch_ptr 1
		.amdhsa_user_sgpr_queue_ptr 0
		.amdhsa_user_sgpr_kernarg_segment_ptr 1
		.amdhsa_user_sgpr_dispatch_id 0
		.amdhsa_user_sgpr_kernarg_preload_length 0
		.amdhsa_user_sgpr_kernarg_preload_offset 0
		.amdhsa_user_sgpr_private_segment_size 0
		.amdhsa_wavefront_size32 1
		.amdhsa_uses_dynamic_stack 0
		.amdhsa_enable_private_segment 1
		.amdhsa_system_sgpr_workgroup_id_x 1
		.amdhsa_system_sgpr_workgroup_id_y 0
		.amdhsa_system_sgpr_workgroup_id_z 0
		.amdhsa_system_sgpr_workgroup_info 0
		.amdhsa_system_vgpr_workitem_id 2
		.amdhsa_next_free_vgpr 113
		.amdhsa_next_free_sgpr 62
		.amdhsa_named_barrier_count 0
		.amdhsa_reserve_vcc 1
		.amdhsa_float_round_mode_32 0
		.amdhsa_float_round_mode_16_64 0
		.amdhsa_float_denorm_mode_32 3
		.amdhsa_float_denorm_mode_16_64 3
		.amdhsa_fp16_overflow 0
		.amdhsa_memory_ordered 1
		.amdhsa_forward_progress 1
		.amdhsa_inst_pref_size 255
		.amdhsa_round_robin_scheduling 0
		.amdhsa_exception_fp_ieee_invalid_op 0
		.amdhsa_exception_fp_denorm_src 0
		.amdhsa_exception_fp_ieee_div_zero 0
		.amdhsa_exception_fp_ieee_overflow 0
		.amdhsa_exception_fp_ieee_underflow 0
		.amdhsa_exception_fp_ieee_inexact 0
		.amdhsa_exception_int_div_zero 0
	.end_amdhsa_kernel
	.section	.text._ZN7rocprim17ROCPRIM_400000_NS6detail17trampoline_kernelINS0_14default_configENS1_27scan_by_key_config_selectorIj11FixedVectorIiLj4EEEEZZNS1_16scan_by_key_implILNS1_25lookback_scan_determinismE0ELb0ES3_N6thrust23THRUST_200600_302600_NS6detail15normal_iteratorINSB_10device_ptrIjEEEENSD_INSE_IS6_EEEESI_S6_NSB_4plusIvEENSB_8equal_toIvEES6_EE10hipError_tPvRmT2_T3_T4_T5_mT6_T7_P12ihipStream_tbENKUlT_T0_E_clISt17integral_constantIbLb0EES13_EEDaSY_SZ_EUlSY_E_NS1_11comp_targetILNS1_3genE0ELNS1_11target_archE4294967295ELNS1_3gpuE0ELNS1_3repE0EEENS1_30default_config_static_selectorELNS0_4arch9wavefront6targetE0EEEvT1_,"axG",@progbits,_ZN7rocprim17ROCPRIM_400000_NS6detail17trampoline_kernelINS0_14default_configENS1_27scan_by_key_config_selectorIj11FixedVectorIiLj4EEEEZZNS1_16scan_by_key_implILNS1_25lookback_scan_determinismE0ELb0ES3_N6thrust23THRUST_200600_302600_NS6detail15normal_iteratorINSB_10device_ptrIjEEEENSD_INSE_IS6_EEEESI_S6_NSB_4plusIvEENSB_8equal_toIvEES6_EE10hipError_tPvRmT2_T3_T4_T5_mT6_T7_P12ihipStream_tbENKUlT_T0_E_clISt17integral_constantIbLb0EES13_EEDaSY_SZ_EUlSY_E_NS1_11comp_targetILNS1_3genE0ELNS1_11target_archE4294967295ELNS1_3gpuE0ELNS1_3repE0EEENS1_30default_config_static_selectorELNS0_4arch9wavefront6targetE0EEEvT1_,comdat
.Lfunc_end2033:
	.size	_ZN7rocprim17ROCPRIM_400000_NS6detail17trampoline_kernelINS0_14default_configENS1_27scan_by_key_config_selectorIj11FixedVectorIiLj4EEEEZZNS1_16scan_by_key_implILNS1_25lookback_scan_determinismE0ELb0ES3_N6thrust23THRUST_200600_302600_NS6detail15normal_iteratorINSB_10device_ptrIjEEEENSD_INSE_IS6_EEEESI_S6_NSB_4plusIvEENSB_8equal_toIvEES6_EE10hipError_tPvRmT2_T3_T4_T5_mT6_T7_P12ihipStream_tbENKUlT_T0_E_clISt17integral_constantIbLb0EES13_EEDaSY_SZ_EUlSY_E_NS1_11comp_targetILNS1_3genE0ELNS1_11target_archE4294967295ELNS1_3gpuE0ELNS1_3repE0EEENS1_30default_config_static_selectorELNS0_4arch9wavefront6targetE0EEEvT1_, .Lfunc_end2033-_ZN7rocprim17ROCPRIM_400000_NS6detail17trampoline_kernelINS0_14default_configENS1_27scan_by_key_config_selectorIj11FixedVectorIiLj4EEEEZZNS1_16scan_by_key_implILNS1_25lookback_scan_determinismE0ELb0ES3_N6thrust23THRUST_200600_302600_NS6detail15normal_iteratorINSB_10device_ptrIjEEEENSD_INSE_IS6_EEEESI_S6_NSB_4plusIvEENSB_8equal_toIvEES6_EE10hipError_tPvRmT2_T3_T4_T5_mT6_T7_P12ihipStream_tbENKUlT_T0_E_clISt17integral_constantIbLb0EES13_EEDaSY_SZ_EUlSY_E_NS1_11comp_targetILNS1_3genE0ELNS1_11target_archE4294967295ELNS1_3gpuE0ELNS1_3repE0EEENS1_30default_config_static_selectorELNS0_4arch9wavefront6targetE0EEEvT1_
                                        ; -- End function
	.set _ZN7rocprim17ROCPRIM_400000_NS6detail17trampoline_kernelINS0_14default_configENS1_27scan_by_key_config_selectorIj11FixedVectorIiLj4EEEEZZNS1_16scan_by_key_implILNS1_25lookback_scan_determinismE0ELb0ES3_N6thrust23THRUST_200600_302600_NS6detail15normal_iteratorINSB_10device_ptrIjEEEENSD_INSE_IS6_EEEESI_S6_NSB_4plusIvEENSB_8equal_toIvEES6_EE10hipError_tPvRmT2_T3_T4_T5_mT6_T7_P12ihipStream_tbENKUlT_T0_E_clISt17integral_constantIbLb0EES13_EEDaSY_SZ_EUlSY_E_NS1_11comp_targetILNS1_3genE0ELNS1_11target_archE4294967295ELNS1_3gpuE0ELNS1_3repE0EEENS1_30default_config_static_selectorELNS0_4arch9wavefront6targetE0EEEvT1_.num_vgpr, 85
	.set _ZN7rocprim17ROCPRIM_400000_NS6detail17trampoline_kernelINS0_14default_configENS1_27scan_by_key_config_selectorIj11FixedVectorIiLj4EEEEZZNS1_16scan_by_key_implILNS1_25lookback_scan_determinismE0ELb0ES3_N6thrust23THRUST_200600_302600_NS6detail15normal_iteratorINSB_10device_ptrIjEEEENSD_INSE_IS6_EEEESI_S6_NSB_4plusIvEENSB_8equal_toIvEES6_EE10hipError_tPvRmT2_T3_T4_T5_mT6_T7_P12ihipStream_tbENKUlT_T0_E_clISt17integral_constantIbLb0EES13_EEDaSY_SZ_EUlSY_E_NS1_11comp_targetILNS1_3genE0ELNS1_11target_archE4294967295ELNS1_3gpuE0ELNS1_3repE0EEENS1_30default_config_static_selectorELNS0_4arch9wavefront6targetE0EEEvT1_.num_agpr, 0
	.set _ZN7rocprim17ROCPRIM_400000_NS6detail17trampoline_kernelINS0_14default_configENS1_27scan_by_key_config_selectorIj11FixedVectorIiLj4EEEEZZNS1_16scan_by_key_implILNS1_25lookback_scan_determinismE0ELb0ES3_N6thrust23THRUST_200600_302600_NS6detail15normal_iteratorINSB_10device_ptrIjEEEENSD_INSE_IS6_EEEESI_S6_NSB_4plusIvEENSB_8equal_toIvEES6_EE10hipError_tPvRmT2_T3_T4_T5_mT6_T7_P12ihipStream_tbENKUlT_T0_E_clISt17integral_constantIbLb0EES13_EEDaSY_SZ_EUlSY_E_NS1_11comp_targetILNS1_3genE0ELNS1_11target_archE4294967295ELNS1_3gpuE0ELNS1_3repE0EEENS1_30default_config_static_selectorELNS0_4arch9wavefront6targetE0EEEvT1_.numbered_sgpr, 62
	.set _ZN7rocprim17ROCPRIM_400000_NS6detail17trampoline_kernelINS0_14default_configENS1_27scan_by_key_config_selectorIj11FixedVectorIiLj4EEEEZZNS1_16scan_by_key_implILNS1_25lookback_scan_determinismE0ELb0ES3_N6thrust23THRUST_200600_302600_NS6detail15normal_iteratorINSB_10device_ptrIjEEEENSD_INSE_IS6_EEEESI_S6_NSB_4plusIvEENSB_8equal_toIvEES6_EE10hipError_tPvRmT2_T3_T4_T5_mT6_T7_P12ihipStream_tbENKUlT_T0_E_clISt17integral_constantIbLb0EES13_EEDaSY_SZ_EUlSY_E_NS1_11comp_targetILNS1_3genE0ELNS1_11target_archE4294967295ELNS1_3gpuE0ELNS1_3repE0EEENS1_30default_config_static_selectorELNS0_4arch9wavefront6targetE0EEEvT1_.num_named_barrier, 0
	.set _ZN7rocprim17ROCPRIM_400000_NS6detail17trampoline_kernelINS0_14default_configENS1_27scan_by_key_config_selectorIj11FixedVectorIiLj4EEEEZZNS1_16scan_by_key_implILNS1_25lookback_scan_determinismE0ELb0ES3_N6thrust23THRUST_200600_302600_NS6detail15normal_iteratorINSB_10device_ptrIjEEEENSD_INSE_IS6_EEEESI_S6_NSB_4plusIvEENSB_8equal_toIvEES6_EE10hipError_tPvRmT2_T3_T4_T5_mT6_T7_P12ihipStream_tbENKUlT_T0_E_clISt17integral_constantIbLb0EES13_EEDaSY_SZ_EUlSY_E_NS1_11comp_targetILNS1_3genE0ELNS1_11target_archE4294967295ELNS1_3gpuE0ELNS1_3repE0EEENS1_30default_config_static_selectorELNS0_4arch9wavefront6targetE0EEEvT1_.private_seg_size, 448
	.set _ZN7rocprim17ROCPRIM_400000_NS6detail17trampoline_kernelINS0_14default_configENS1_27scan_by_key_config_selectorIj11FixedVectorIiLj4EEEEZZNS1_16scan_by_key_implILNS1_25lookback_scan_determinismE0ELb0ES3_N6thrust23THRUST_200600_302600_NS6detail15normal_iteratorINSB_10device_ptrIjEEEENSD_INSE_IS6_EEEESI_S6_NSB_4plusIvEENSB_8equal_toIvEES6_EE10hipError_tPvRmT2_T3_T4_T5_mT6_T7_P12ihipStream_tbENKUlT_T0_E_clISt17integral_constantIbLb0EES13_EEDaSY_SZ_EUlSY_E_NS1_11comp_targetILNS1_3genE0ELNS1_11target_archE4294967295ELNS1_3gpuE0ELNS1_3repE0EEENS1_30default_config_static_selectorELNS0_4arch9wavefront6targetE0EEEvT1_.uses_vcc, 1
	.set _ZN7rocprim17ROCPRIM_400000_NS6detail17trampoline_kernelINS0_14default_configENS1_27scan_by_key_config_selectorIj11FixedVectorIiLj4EEEEZZNS1_16scan_by_key_implILNS1_25lookback_scan_determinismE0ELb0ES3_N6thrust23THRUST_200600_302600_NS6detail15normal_iteratorINSB_10device_ptrIjEEEENSD_INSE_IS6_EEEESI_S6_NSB_4plusIvEENSB_8equal_toIvEES6_EE10hipError_tPvRmT2_T3_T4_T5_mT6_T7_P12ihipStream_tbENKUlT_T0_E_clISt17integral_constantIbLb0EES13_EEDaSY_SZ_EUlSY_E_NS1_11comp_targetILNS1_3genE0ELNS1_11target_archE4294967295ELNS1_3gpuE0ELNS1_3repE0EEENS1_30default_config_static_selectorELNS0_4arch9wavefront6targetE0EEEvT1_.uses_flat_scratch, 1
	.set _ZN7rocprim17ROCPRIM_400000_NS6detail17trampoline_kernelINS0_14default_configENS1_27scan_by_key_config_selectorIj11FixedVectorIiLj4EEEEZZNS1_16scan_by_key_implILNS1_25lookback_scan_determinismE0ELb0ES3_N6thrust23THRUST_200600_302600_NS6detail15normal_iteratorINSB_10device_ptrIjEEEENSD_INSE_IS6_EEEESI_S6_NSB_4plusIvEENSB_8equal_toIvEES6_EE10hipError_tPvRmT2_T3_T4_T5_mT6_T7_P12ihipStream_tbENKUlT_T0_E_clISt17integral_constantIbLb0EES13_EEDaSY_SZ_EUlSY_E_NS1_11comp_targetILNS1_3genE0ELNS1_11target_archE4294967295ELNS1_3gpuE0ELNS1_3repE0EEENS1_30default_config_static_selectorELNS0_4arch9wavefront6targetE0EEEvT1_.has_dyn_sized_stack, 0
	.set _ZN7rocprim17ROCPRIM_400000_NS6detail17trampoline_kernelINS0_14default_configENS1_27scan_by_key_config_selectorIj11FixedVectorIiLj4EEEEZZNS1_16scan_by_key_implILNS1_25lookback_scan_determinismE0ELb0ES3_N6thrust23THRUST_200600_302600_NS6detail15normal_iteratorINSB_10device_ptrIjEEEENSD_INSE_IS6_EEEESI_S6_NSB_4plusIvEENSB_8equal_toIvEES6_EE10hipError_tPvRmT2_T3_T4_T5_mT6_T7_P12ihipStream_tbENKUlT_T0_E_clISt17integral_constantIbLb0EES13_EEDaSY_SZ_EUlSY_E_NS1_11comp_targetILNS1_3genE0ELNS1_11target_archE4294967295ELNS1_3gpuE0ELNS1_3repE0EEENS1_30default_config_static_selectorELNS0_4arch9wavefront6targetE0EEEvT1_.has_recursion, 0
	.set _ZN7rocprim17ROCPRIM_400000_NS6detail17trampoline_kernelINS0_14default_configENS1_27scan_by_key_config_selectorIj11FixedVectorIiLj4EEEEZZNS1_16scan_by_key_implILNS1_25lookback_scan_determinismE0ELb0ES3_N6thrust23THRUST_200600_302600_NS6detail15normal_iteratorINSB_10device_ptrIjEEEENSD_INSE_IS6_EEEESI_S6_NSB_4plusIvEENSB_8equal_toIvEES6_EE10hipError_tPvRmT2_T3_T4_T5_mT6_T7_P12ihipStream_tbENKUlT_T0_E_clISt17integral_constantIbLb0EES13_EEDaSY_SZ_EUlSY_E_NS1_11comp_targetILNS1_3genE0ELNS1_11target_archE4294967295ELNS1_3gpuE0ELNS1_3repE0EEENS1_30default_config_static_selectorELNS0_4arch9wavefront6targetE0EEEvT1_.has_indirect_call, 0
	.section	.AMDGPU.csdata,"",@progbits
; Kernel info:
; codeLenInByte = 32724
; TotalNumSgprs: 64
; NumVgprs: 85
; ScratchSize: 448
; MemoryBound: 0
; FloatMode: 240
; IeeeMode: 1
; LDSByteSize: 20480 bytes/workgroup (compile time only)
; SGPRBlocks: 0
; VGPRBlocks: 7
; NumSGPRsForWavesPerEU: 64
; NumVGPRsForWavesPerEU: 113
; NamedBarCnt: 0
; Occupancy: 8
; WaveLimiterHint : 1
; COMPUTE_PGM_RSRC2:SCRATCH_EN: 1
; COMPUTE_PGM_RSRC2:USER_SGPR: 4
; COMPUTE_PGM_RSRC2:TRAP_HANDLER: 0
; COMPUTE_PGM_RSRC2:TGID_X_EN: 1
; COMPUTE_PGM_RSRC2:TGID_Y_EN: 0
; COMPUTE_PGM_RSRC2:TGID_Z_EN: 0
; COMPUTE_PGM_RSRC2:TIDIG_COMP_CNT: 2
	.section	.text._ZN7rocprim17ROCPRIM_400000_NS6detail17trampoline_kernelINS0_14default_configENS1_27scan_by_key_config_selectorIj11FixedVectorIiLj4EEEEZZNS1_16scan_by_key_implILNS1_25lookback_scan_determinismE0ELb0ES3_N6thrust23THRUST_200600_302600_NS6detail15normal_iteratorINSB_10device_ptrIjEEEENSD_INSE_IS6_EEEESI_S6_NSB_4plusIvEENSB_8equal_toIvEES6_EE10hipError_tPvRmT2_T3_T4_T5_mT6_T7_P12ihipStream_tbENKUlT_T0_E_clISt17integral_constantIbLb0EES13_EEDaSY_SZ_EUlSY_E_NS1_11comp_targetILNS1_3genE10ELNS1_11target_archE1201ELNS1_3gpuE5ELNS1_3repE0EEENS1_30default_config_static_selectorELNS0_4arch9wavefront6targetE0EEEvT1_,"axG",@progbits,_ZN7rocprim17ROCPRIM_400000_NS6detail17trampoline_kernelINS0_14default_configENS1_27scan_by_key_config_selectorIj11FixedVectorIiLj4EEEEZZNS1_16scan_by_key_implILNS1_25lookback_scan_determinismE0ELb0ES3_N6thrust23THRUST_200600_302600_NS6detail15normal_iteratorINSB_10device_ptrIjEEEENSD_INSE_IS6_EEEESI_S6_NSB_4plusIvEENSB_8equal_toIvEES6_EE10hipError_tPvRmT2_T3_T4_T5_mT6_T7_P12ihipStream_tbENKUlT_T0_E_clISt17integral_constantIbLb0EES13_EEDaSY_SZ_EUlSY_E_NS1_11comp_targetILNS1_3genE10ELNS1_11target_archE1201ELNS1_3gpuE5ELNS1_3repE0EEENS1_30default_config_static_selectorELNS0_4arch9wavefront6targetE0EEEvT1_,comdat
	.protected	_ZN7rocprim17ROCPRIM_400000_NS6detail17trampoline_kernelINS0_14default_configENS1_27scan_by_key_config_selectorIj11FixedVectorIiLj4EEEEZZNS1_16scan_by_key_implILNS1_25lookback_scan_determinismE0ELb0ES3_N6thrust23THRUST_200600_302600_NS6detail15normal_iteratorINSB_10device_ptrIjEEEENSD_INSE_IS6_EEEESI_S6_NSB_4plusIvEENSB_8equal_toIvEES6_EE10hipError_tPvRmT2_T3_T4_T5_mT6_T7_P12ihipStream_tbENKUlT_T0_E_clISt17integral_constantIbLb0EES13_EEDaSY_SZ_EUlSY_E_NS1_11comp_targetILNS1_3genE10ELNS1_11target_archE1201ELNS1_3gpuE5ELNS1_3repE0EEENS1_30default_config_static_selectorELNS0_4arch9wavefront6targetE0EEEvT1_ ; -- Begin function _ZN7rocprim17ROCPRIM_400000_NS6detail17trampoline_kernelINS0_14default_configENS1_27scan_by_key_config_selectorIj11FixedVectorIiLj4EEEEZZNS1_16scan_by_key_implILNS1_25lookback_scan_determinismE0ELb0ES3_N6thrust23THRUST_200600_302600_NS6detail15normal_iteratorINSB_10device_ptrIjEEEENSD_INSE_IS6_EEEESI_S6_NSB_4plusIvEENSB_8equal_toIvEES6_EE10hipError_tPvRmT2_T3_T4_T5_mT6_T7_P12ihipStream_tbENKUlT_T0_E_clISt17integral_constantIbLb0EES13_EEDaSY_SZ_EUlSY_E_NS1_11comp_targetILNS1_3genE10ELNS1_11target_archE1201ELNS1_3gpuE5ELNS1_3repE0EEENS1_30default_config_static_selectorELNS0_4arch9wavefront6targetE0EEEvT1_
	.globl	_ZN7rocprim17ROCPRIM_400000_NS6detail17trampoline_kernelINS0_14default_configENS1_27scan_by_key_config_selectorIj11FixedVectorIiLj4EEEEZZNS1_16scan_by_key_implILNS1_25lookback_scan_determinismE0ELb0ES3_N6thrust23THRUST_200600_302600_NS6detail15normal_iteratorINSB_10device_ptrIjEEEENSD_INSE_IS6_EEEESI_S6_NSB_4plusIvEENSB_8equal_toIvEES6_EE10hipError_tPvRmT2_T3_T4_T5_mT6_T7_P12ihipStream_tbENKUlT_T0_E_clISt17integral_constantIbLb0EES13_EEDaSY_SZ_EUlSY_E_NS1_11comp_targetILNS1_3genE10ELNS1_11target_archE1201ELNS1_3gpuE5ELNS1_3repE0EEENS1_30default_config_static_selectorELNS0_4arch9wavefront6targetE0EEEvT1_
	.p2align	8
	.type	_ZN7rocprim17ROCPRIM_400000_NS6detail17trampoline_kernelINS0_14default_configENS1_27scan_by_key_config_selectorIj11FixedVectorIiLj4EEEEZZNS1_16scan_by_key_implILNS1_25lookback_scan_determinismE0ELb0ES3_N6thrust23THRUST_200600_302600_NS6detail15normal_iteratorINSB_10device_ptrIjEEEENSD_INSE_IS6_EEEESI_S6_NSB_4plusIvEENSB_8equal_toIvEES6_EE10hipError_tPvRmT2_T3_T4_T5_mT6_T7_P12ihipStream_tbENKUlT_T0_E_clISt17integral_constantIbLb0EES13_EEDaSY_SZ_EUlSY_E_NS1_11comp_targetILNS1_3genE10ELNS1_11target_archE1201ELNS1_3gpuE5ELNS1_3repE0EEENS1_30default_config_static_selectorELNS0_4arch9wavefront6targetE0EEEvT1_,@function
_ZN7rocprim17ROCPRIM_400000_NS6detail17trampoline_kernelINS0_14default_configENS1_27scan_by_key_config_selectorIj11FixedVectorIiLj4EEEEZZNS1_16scan_by_key_implILNS1_25lookback_scan_determinismE0ELb0ES3_N6thrust23THRUST_200600_302600_NS6detail15normal_iteratorINSB_10device_ptrIjEEEENSD_INSE_IS6_EEEESI_S6_NSB_4plusIvEENSB_8equal_toIvEES6_EE10hipError_tPvRmT2_T3_T4_T5_mT6_T7_P12ihipStream_tbENKUlT_T0_E_clISt17integral_constantIbLb0EES13_EEDaSY_SZ_EUlSY_E_NS1_11comp_targetILNS1_3genE10ELNS1_11target_archE1201ELNS1_3gpuE5ELNS1_3repE0EEENS1_30default_config_static_selectorELNS0_4arch9wavefront6targetE0EEEvT1_: ; @_ZN7rocprim17ROCPRIM_400000_NS6detail17trampoline_kernelINS0_14default_configENS1_27scan_by_key_config_selectorIj11FixedVectorIiLj4EEEEZZNS1_16scan_by_key_implILNS1_25lookback_scan_determinismE0ELb0ES3_N6thrust23THRUST_200600_302600_NS6detail15normal_iteratorINSB_10device_ptrIjEEEENSD_INSE_IS6_EEEESI_S6_NSB_4plusIvEENSB_8equal_toIvEES6_EE10hipError_tPvRmT2_T3_T4_T5_mT6_T7_P12ihipStream_tbENKUlT_T0_E_clISt17integral_constantIbLb0EES13_EEDaSY_SZ_EUlSY_E_NS1_11comp_targetILNS1_3genE10ELNS1_11target_archE1201ELNS1_3gpuE5ELNS1_3repE0EEENS1_30default_config_static_selectorELNS0_4arch9wavefront6targetE0EEEvT1_
; %bb.0:
	.section	.rodata,"a",@progbits
	.p2align	6, 0x0
	.amdhsa_kernel _ZN7rocprim17ROCPRIM_400000_NS6detail17trampoline_kernelINS0_14default_configENS1_27scan_by_key_config_selectorIj11FixedVectorIiLj4EEEEZZNS1_16scan_by_key_implILNS1_25lookback_scan_determinismE0ELb0ES3_N6thrust23THRUST_200600_302600_NS6detail15normal_iteratorINSB_10device_ptrIjEEEENSD_INSE_IS6_EEEESI_S6_NSB_4plusIvEENSB_8equal_toIvEES6_EE10hipError_tPvRmT2_T3_T4_T5_mT6_T7_P12ihipStream_tbENKUlT_T0_E_clISt17integral_constantIbLb0EES13_EEDaSY_SZ_EUlSY_E_NS1_11comp_targetILNS1_3genE10ELNS1_11target_archE1201ELNS1_3gpuE5ELNS1_3repE0EEENS1_30default_config_static_selectorELNS0_4arch9wavefront6targetE0EEEvT1_
		.amdhsa_group_segment_fixed_size 0
		.amdhsa_private_segment_fixed_size 0
		.amdhsa_kernarg_size 144
		.amdhsa_user_sgpr_count 2
		.amdhsa_user_sgpr_dispatch_ptr 0
		.amdhsa_user_sgpr_queue_ptr 0
		.amdhsa_user_sgpr_kernarg_segment_ptr 1
		.amdhsa_user_sgpr_dispatch_id 0
		.amdhsa_user_sgpr_kernarg_preload_length 0
		.amdhsa_user_sgpr_kernarg_preload_offset 0
		.amdhsa_user_sgpr_private_segment_size 0
		.amdhsa_wavefront_size32 1
		.amdhsa_uses_dynamic_stack 0
		.amdhsa_enable_private_segment 0
		.amdhsa_system_sgpr_workgroup_id_x 1
		.amdhsa_system_sgpr_workgroup_id_y 0
		.amdhsa_system_sgpr_workgroup_id_z 0
		.amdhsa_system_sgpr_workgroup_info 0
		.amdhsa_system_vgpr_workitem_id 0
		.amdhsa_next_free_vgpr 1
		.amdhsa_next_free_sgpr 1
		.amdhsa_named_barrier_count 0
		.amdhsa_reserve_vcc 0
		.amdhsa_float_round_mode_32 0
		.amdhsa_float_round_mode_16_64 0
		.amdhsa_float_denorm_mode_32 3
		.amdhsa_float_denorm_mode_16_64 3
		.amdhsa_fp16_overflow 0
		.amdhsa_memory_ordered 1
		.amdhsa_forward_progress 1
		.amdhsa_inst_pref_size 0
		.amdhsa_round_robin_scheduling 0
		.amdhsa_exception_fp_ieee_invalid_op 0
		.amdhsa_exception_fp_denorm_src 0
		.amdhsa_exception_fp_ieee_div_zero 0
		.amdhsa_exception_fp_ieee_overflow 0
		.amdhsa_exception_fp_ieee_underflow 0
		.amdhsa_exception_fp_ieee_inexact 0
		.amdhsa_exception_int_div_zero 0
	.end_amdhsa_kernel
	.section	.text._ZN7rocprim17ROCPRIM_400000_NS6detail17trampoline_kernelINS0_14default_configENS1_27scan_by_key_config_selectorIj11FixedVectorIiLj4EEEEZZNS1_16scan_by_key_implILNS1_25lookback_scan_determinismE0ELb0ES3_N6thrust23THRUST_200600_302600_NS6detail15normal_iteratorINSB_10device_ptrIjEEEENSD_INSE_IS6_EEEESI_S6_NSB_4plusIvEENSB_8equal_toIvEES6_EE10hipError_tPvRmT2_T3_T4_T5_mT6_T7_P12ihipStream_tbENKUlT_T0_E_clISt17integral_constantIbLb0EES13_EEDaSY_SZ_EUlSY_E_NS1_11comp_targetILNS1_3genE10ELNS1_11target_archE1201ELNS1_3gpuE5ELNS1_3repE0EEENS1_30default_config_static_selectorELNS0_4arch9wavefront6targetE0EEEvT1_,"axG",@progbits,_ZN7rocprim17ROCPRIM_400000_NS6detail17trampoline_kernelINS0_14default_configENS1_27scan_by_key_config_selectorIj11FixedVectorIiLj4EEEEZZNS1_16scan_by_key_implILNS1_25lookback_scan_determinismE0ELb0ES3_N6thrust23THRUST_200600_302600_NS6detail15normal_iteratorINSB_10device_ptrIjEEEENSD_INSE_IS6_EEEESI_S6_NSB_4plusIvEENSB_8equal_toIvEES6_EE10hipError_tPvRmT2_T3_T4_T5_mT6_T7_P12ihipStream_tbENKUlT_T0_E_clISt17integral_constantIbLb0EES13_EEDaSY_SZ_EUlSY_E_NS1_11comp_targetILNS1_3genE10ELNS1_11target_archE1201ELNS1_3gpuE5ELNS1_3repE0EEENS1_30default_config_static_selectorELNS0_4arch9wavefront6targetE0EEEvT1_,comdat
.Lfunc_end2034:
	.size	_ZN7rocprim17ROCPRIM_400000_NS6detail17trampoline_kernelINS0_14default_configENS1_27scan_by_key_config_selectorIj11FixedVectorIiLj4EEEEZZNS1_16scan_by_key_implILNS1_25lookback_scan_determinismE0ELb0ES3_N6thrust23THRUST_200600_302600_NS6detail15normal_iteratorINSB_10device_ptrIjEEEENSD_INSE_IS6_EEEESI_S6_NSB_4plusIvEENSB_8equal_toIvEES6_EE10hipError_tPvRmT2_T3_T4_T5_mT6_T7_P12ihipStream_tbENKUlT_T0_E_clISt17integral_constantIbLb0EES13_EEDaSY_SZ_EUlSY_E_NS1_11comp_targetILNS1_3genE10ELNS1_11target_archE1201ELNS1_3gpuE5ELNS1_3repE0EEENS1_30default_config_static_selectorELNS0_4arch9wavefront6targetE0EEEvT1_, .Lfunc_end2034-_ZN7rocprim17ROCPRIM_400000_NS6detail17trampoline_kernelINS0_14default_configENS1_27scan_by_key_config_selectorIj11FixedVectorIiLj4EEEEZZNS1_16scan_by_key_implILNS1_25lookback_scan_determinismE0ELb0ES3_N6thrust23THRUST_200600_302600_NS6detail15normal_iteratorINSB_10device_ptrIjEEEENSD_INSE_IS6_EEEESI_S6_NSB_4plusIvEENSB_8equal_toIvEES6_EE10hipError_tPvRmT2_T3_T4_T5_mT6_T7_P12ihipStream_tbENKUlT_T0_E_clISt17integral_constantIbLb0EES13_EEDaSY_SZ_EUlSY_E_NS1_11comp_targetILNS1_3genE10ELNS1_11target_archE1201ELNS1_3gpuE5ELNS1_3repE0EEENS1_30default_config_static_selectorELNS0_4arch9wavefront6targetE0EEEvT1_
                                        ; -- End function
	.set _ZN7rocprim17ROCPRIM_400000_NS6detail17trampoline_kernelINS0_14default_configENS1_27scan_by_key_config_selectorIj11FixedVectorIiLj4EEEEZZNS1_16scan_by_key_implILNS1_25lookback_scan_determinismE0ELb0ES3_N6thrust23THRUST_200600_302600_NS6detail15normal_iteratorINSB_10device_ptrIjEEEENSD_INSE_IS6_EEEESI_S6_NSB_4plusIvEENSB_8equal_toIvEES6_EE10hipError_tPvRmT2_T3_T4_T5_mT6_T7_P12ihipStream_tbENKUlT_T0_E_clISt17integral_constantIbLb0EES13_EEDaSY_SZ_EUlSY_E_NS1_11comp_targetILNS1_3genE10ELNS1_11target_archE1201ELNS1_3gpuE5ELNS1_3repE0EEENS1_30default_config_static_selectorELNS0_4arch9wavefront6targetE0EEEvT1_.num_vgpr, 0
	.set _ZN7rocprim17ROCPRIM_400000_NS6detail17trampoline_kernelINS0_14default_configENS1_27scan_by_key_config_selectorIj11FixedVectorIiLj4EEEEZZNS1_16scan_by_key_implILNS1_25lookback_scan_determinismE0ELb0ES3_N6thrust23THRUST_200600_302600_NS6detail15normal_iteratorINSB_10device_ptrIjEEEENSD_INSE_IS6_EEEESI_S6_NSB_4plusIvEENSB_8equal_toIvEES6_EE10hipError_tPvRmT2_T3_T4_T5_mT6_T7_P12ihipStream_tbENKUlT_T0_E_clISt17integral_constantIbLb0EES13_EEDaSY_SZ_EUlSY_E_NS1_11comp_targetILNS1_3genE10ELNS1_11target_archE1201ELNS1_3gpuE5ELNS1_3repE0EEENS1_30default_config_static_selectorELNS0_4arch9wavefront6targetE0EEEvT1_.num_agpr, 0
	.set _ZN7rocprim17ROCPRIM_400000_NS6detail17trampoline_kernelINS0_14default_configENS1_27scan_by_key_config_selectorIj11FixedVectorIiLj4EEEEZZNS1_16scan_by_key_implILNS1_25lookback_scan_determinismE0ELb0ES3_N6thrust23THRUST_200600_302600_NS6detail15normal_iteratorINSB_10device_ptrIjEEEENSD_INSE_IS6_EEEESI_S6_NSB_4plusIvEENSB_8equal_toIvEES6_EE10hipError_tPvRmT2_T3_T4_T5_mT6_T7_P12ihipStream_tbENKUlT_T0_E_clISt17integral_constantIbLb0EES13_EEDaSY_SZ_EUlSY_E_NS1_11comp_targetILNS1_3genE10ELNS1_11target_archE1201ELNS1_3gpuE5ELNS1_3repE0EEENS1_30default_config_static_selectorELNS0_4arch9wavefront6targetE0EEEvT1_.numbered_sgpr, 0
	.set _ZN7rocprim17ROCPRIM_400000_NS6detail17trampoline_kernelINS0_14default_configENS1_27scan_by_key_config_selectorIj11FixedVectorIiLj4EEEEZZNS1_16scan_by_key_implILNS1_25lookback_scan_determinismE0ELb0ES3_N6thrust23THRUST_200600_302600_NS6detail15normal_iteratorINSB_10device_ptrIjEEEENSD_INSE_IS6_EEEESI_S6_NSB_4plusIvEENSB_8equal_toIvEES6_EE10hipError_tPvRmT2_T3_T4_T5_mT6_T7_P12ihipStream_tbENKUlT_T0_E_clISt17integral_constantIbLb0EES13_EEDaSY_SZ_EUlSY_E_NS1_11comp_targetILNS1_3genE10ELNS1_11target_archE1201ELNS1_3gpuE5ELNS1_3repE0EEENS1_30default_config_static_selectorELNS0_4arch9wavefront6targetE0EEEvT1_.num_named_barrier, 0
	.set _ZN7rocprim17ROCPRIM_400000_NS6detail17trampoline_kernelINS0_14default_configENS1_27scan_by_key_config_selectorIj11FixedVectorIiLj4EEEEZZNS1_16scan_by_key_implILNS1_25lookback_scan_determinismE0ELb0ES3_N6thrust23THRUST_200600_302600_NS6detail15normal_iteratorINSB_10device_ptrIjEEEENSD_INSE_IS6_EEEESI_S6_NSB_4plusIvEENSB_8equal_toIvEES6_EE10hipError_tPvRmT2_T3_T4_T5_mT6_T7_P12ihipStream_tbENKUlT_T0_E_clISt17integral_constantIbLb0EES13_EEDaSY_SZ_EUlSY_E_NS1_11comp_targetILNS1_3genE10ELNS1_11target_archE1201ELNS1_3gpuE5ELNS1_3repE0EEENS1_30default_config_static_selectorELNS0_4arch9wavefront6targetE0EEEvT1_.private_seg_size, 0
	.set _ZN7rocprim17ROCPRIM_400000_NS6detail17trampoline_kernelINS0_14default_configENS1_27scan_by_key_config_selectorIj11FixedVectorIiLj4EEEEZZNS1_16scan_by_key_implILNS1_25lookback_scan_determinismE0ELb0ES3_N6thrust23THRUST_200600_302600_NS6detail15normal_iteratorINSB_10device_ptrIjEEEENSD_INSE_IS6_EEEESI_S6_NSB_4plusIvEENSB_8equal_toIvEES6_EE10hipError_tPvRmT2_T3_T4_T5_mT6_T7_P12ihipStream_tbENKUlT_T0_E_clISt17integral_constantIbLb0EES13_EEDaSY_SZ_EUlSY_E_NS1_11comp_targetILNS1_3genE10ELNS1_11target_archE1201ELNS1_3gpuE5ELNS1_3repE0EEENS1_30default_config_static_selectorELNS0_4arch9wavefront6targetE0EEEvT1_.uses_vcc, 0
	.set _ZN7rocprim17ROCPRIM_400000_NS6detail17trampoline_kernelINS0_14default_configENS1_27scan_by_key_config_selectorIj11FixedVectorIiLj4EEEEZZNS1_16scan_by_key_implILNS1_25lookback_scan_determinismE0ELb0ES3_N6thrust23THRUST_200600_302600_NS6detail15normal_iteratorINSB_10device_ptrIjEEEENSD_INSE_IS6_EEEESI_S6_NSB_4plusIvEENSB_8equal_toIvEES6_EE10hipError_tPvRmT2_T3_T4_T5_mT6_T7_P12ihipStream_tbENKUlT_T0_E_clISt17integral_constantIbLb0EES13_EEDaSY_SZ_EUlSY_E_NS1_11comp_targetILNS1_3genE10ELNS1_11target_archE1201ELNS1_3gpuE5ELNS1_3repE0EEENS1_30default_config_static_selectorELNS0_4arch9wavefront6targetE0EEEvT1_.uses_flat_scratch, 0
	.set _ZN7rocprim17ROCPRIM_400000_NS6detail17trampoline_kernelINS0_14default_configENS1_27scan_by_key_config_selectorIj11FixedVectorIiLj4EEEEZZNS1_16scan_by_key_implILNS1_25lookback_scan_determinismE0ELb0ES3_N6thrust23THRUST_200600_302600_NS6detail15normal_iteratorINSB_10device_ptrIjEEEENSD_INSE_IS6_EEEESI_S6_NSB_4plusIvEENSB_8equal_toIvEES6_EE10hipError_tPvRmT2_T3_T4_T5_mT6_T7_P12ihipStream_tbENKUlT_T0_E_clISt17integral_constantIbLb0EES13_EEDaSY_SZ_EUlSY_E_NS1_11comp_targetILNS1_3genE10ELNS1_11target_archE1201ELNS1_3gpuE5ELNS1_3repE0EEENS1_30default_config_static_selectorELNS0_4arch9wavefront6targetE0EEEvT1_.has_dyn_sized_stack, 0
	.set _ZN7rocprim17ROCPRIM_400000_NS6detail17trampoline_kernelINS0_14default_configENS1_27scan_by_key_config_selectorIj11FixedVectorIiLj4EEEEZZNS1_16scan_by_key_implILNS1_25lookback_scan_determinismE0ELb0ES3_N6thrust23THRUST_200600_302600_NS6detail15normal_iteratorINSB_10device_ptrIjEEEENSD_INSE_IS6_EEEESI_S6_NSB_4plusIvEENSB_8equal_toIvEES6_EE10hipError_tPvRmT2_T3_T4_T5_mT6_T7_P12ihipStream_tbENKUlT_T0_E_clISt17integral_constantIbLb0EES13_EEDaSY_SZ_EUlSY_E_NS1_11comp_targetILNS1_3genE10ELNS1_11target_archE1201ELNS1_3gpuE5ELNS1_3repE0EEENS1_30default_config_static_selectorELNS0_4arch9wavefront6targetE0EEEvT1_.has_recursion, 0
	.set _ZN7rocprim17ROCPRIM_400000_NS6detail17trampoline_kernelINS0_14default_configENS1_27scan_by_key_config_selectorIj11FixedVectorIiLj4EEEEZZNS1_16scan_by_key_implILNS1_25lookback_scan_determinismE0ELb0ES3_N6thrust23THRUST_200600_302600_NS6detail15normal_iteratorINSB_10device_ptrIjEEEENSD_INSE_IS6_EEEESI_S6_NSB_4plusIvEENSB_8equal_toIvEES6_EE10hipError_tPvRmT2_T3_T4_T5_mT6_T7_P12ihipStream_tbENKUlT_T0_E_clISt17integral_constantIbLb0EES13_EEDaSY_SZ_EUlSY_E_NS1_11comp_targetILNS1_3genE10ELNS1_11target_archE1201ELNS1_3gpuE5ELNS1_3repE0EEENS1_30default_config_static_selectorELNS0_4arch9wavefront6targetE0EEEvT1_.has_indirect_call, 0
	.section	.AMDGPU.csdata,"",@progbits
; Kernel info:
; codeLenInByte = 0
; TotalNumSgprs: 0
; NumVgprs: 0
; ScratchSize: 0
; MemoryBound: 0
; FloatMode: 240
; IeeeMode: 1
; LDSByteSize: 0 bytes/workgroup (compile time only)
; SGPRBlocks: 0
; VGPRBlocks: 0
; NumSGPRsForWavesPerEU: 1
; NumVGPRsForWavesPerEU: 1
; NamedBarCnt: 0
; Occupancy: 16
; WaveLimiterHint : 0
; COMPUTE_PGM_RSRC2:SCRATCH_EN: 0
; COMPUTE_PGM_RSRC2:USER_SGPR: 2
; COMPUTE_PGM_RSRC2:TRAP_HANDLER: 0
; COMPUTE_PGM_RSRC2:TGID_X_EN: 1
; COMPUTE_PGM_RSRC2:TGID_Y_EN: 0
; COMPUTE_PGM_RSRC2:TGID_Z_EN: 0
; COMPUTE_PGM_RSRC2:TIDIG_COMP_CNT: 0
	.section	.text._ZN7rocprim17ROCPRIM_400000_NS6detail17trampoline_kernelINS0_14default_configENS1_27scan_by_key_config_selectorIj11FixedVectorIiLj4EEEEZZNS1_16scan_by_key_implILNS1_25lookback_scan_determinismE0ELb0ES3_N6thrust23THRUST_200600_302600_NS6detail15normal_iteratorINSB_10device_ptrIjEEEENSD_INSE_IS6_EEEESI_S6_NSB_4plusIvEENSB_8equal_toIvEES6_EE10hipError_tPvRmT2_T3_T4_T5_mT6_T7_P12ihipStream_tbENKUlT_T0_E_clISt17integral_constantIbLb0EES13_EEDaSY_SZ_EUlSY_E_NS1_11comp_targetILNS1_3genE5ELNS1_11target_archE942ELNS1_3gpuE9ELNS1_3repE0EEENS1_30default_config_static_selectorELNS0_4arch9wavefront6targetE0EEEvT1_,"axG",@progbits,_ZN7rocprim17ROCPRIM_400000_NS6detail17trampoline_kernelINS0_14default_configENS1_27scan_by_key_config_selectorIj11FixedVectorIiLj4EEEEZZNS1_16scan_by_key_implILNS1_25lookback_scan_determinismE0ELb0ES3_N6thrust23THRUST_200600_302600_NS6detail15normal_iteratorINSB_10device_ptrIjEEEENSD_INSE_IS6_EEEESI_S6_NSB_4plusIvEENSB_8equal_toIvEES6_EE10hipError_tPvRmT2_T3_T4_T5_mT6_T7_P12ihipStream_tbENKUlT_T0_E_clISt17integral_constantIbLb0EES13_EEDaSY_SZ_EUlSY_E_NS1_11comp_targetILNS1_3genE5ELNS1_11target_archE942ELNS1_3gpuE9ELNS1_3repE0EEENS1_30default_config_static_selectorELNS0_4arch9wavefront6targetE0EEEvT1_,comdat
	.protected	_ZN7rocprim17ROCPRIM_400000_NS6detail17trampoline_kernelINS0_14default_configENS1_27scan_by_key_config_selectorIj11FixedVectorIiLj4EEEEZZNS1_16scan_by_key_implILNS1_25lookback_scan_determinismE0ELb0ES3_N6thrust23THRUST_200600_302600_NS6detail15normal_iteratorINSB_10device_ptrIjEEEENSD_INSE_IS6_EEEESI_S6_NSB_4plusIvEENSB_8equal_toIvEES6_EE10hipError_tPvRmT2_T3_T4_T5_mT6_T7_P12ihipStream_tbENKUlT_T0_E_clISt17integral_constantIbLb0EES13_EEDaSY_SZ_EUlSY_E_NS1_11comp_targetILNS1_3genE5ELNS1_11target_archE942ELNS1_3gpuE9ELNS1_3repE0EEENS1_30default_config_static_selectorELNS0_4arch9wavefront6targetE0EEEvT1_ ; -- Begin function _ZN7rocprim17ROCPRIM_400000_NS6detail17trampoline_kernelINS0_14default_configENS1_27scan_by_key_config_selectorIj11FixedVectorIiLj4EEEEZZNS1_16scan_by_key_implILNS1_25lookback_scan_determinismE0ELb0ES3_N6thrust23THRUST_200600_302600_NS6detail15normal_iteratorINSB_10device_ptrIjEEEENSD_INSE_IS6_EEEESI_S6_NSB_4plusIvEENSB_8equal_toIvEES6_EE10hipError_tPvRmT2_T3_T4_T5_mT6_T7_P12ihipStream_tbENKUlT_T0_E_clISt17integral_constantIbLb0EES13_EEDaSY_SZ_EUlSY_E_NS1_11comp_targetILNS1_3genE5ELNS1_11target_archE942ELNS1_3gpuE9ELNS1_3repE0EEENS1_30default_config_static_selectorELNS0_4arch9wavefront6targetE0EEEvT1_
	.globl	_ZN7rocprim17ROCPRIM_400000_NS6detail17trampoline_kernelINS0_14default_configENS1_27scan_by_key_config_selectorIj11FixedVectorIiLj4EEEEZZNS1_16scan_by_key_implILNS1_25lookback_scan_determinismE0ELb0ES3_N6thrust23THRUST_200600_302600_NS6detail15normal_iteratorINSB_10device_ptrIjEEEENSD_INSE_IS6_EEEESI_S6_NSB_4plusIvEENSB_8equal_toIvEES6_EE10hipError_tPvRmT2_T3_T4_T5_mT6_T7_P12ihipStream_tbENKUlT_T0_E_clISt17integral_constantIbLb0EES13_EEDaSY_SZ_EUlSY_E_NS1_11comp_targetILNS1_3genE5ELNS1_11target_archE942ELNS1_3gpuE9ELNS1_3repE0EEENS1_30default_config_static_selectorELNS0_4arch9wavefront6targetE0EEEvT1_
	.p2align	8
	.type	_ZN7rocprim17ROCPRIM_400000_NS6detail17trampoline_kernelINS0_14default_configENS1_27scan_by_key_config_selectorIj11FixedVectorIiLj4EEEEZZNS1_16scan_by_key_implILNS1_25lookback_scan_determinismE0ELb0ES3_N6thrust23THRUST_200600_302600_NS6detail15normal_iteratorINSB_10device_ptrIjEEEENSD_INSE_IS6_EEEESI_S6_NSB_4plusIvEENSB_8equal_toIvEES6_EE10hipError_tPvRmT2_T3_T4_T5_mT6_T7_P12ihipStream_tbENKUlT_T0_E_clISt17integral_constantIbLb0EES13_EEDaSY_SZ_EUlSY_E_NS1_11comp_targetILNS1_3genE5ELNS1_11target_archE942ELNS1_3gpuE9ELNS1_3repE0EEENS1_30default_config_static_selectorELNS0_4arch9wavefront6targetE0EEEvT1_,@function
_ZN7rocprim17ROCPRIM_400000_NS6detail17trampoline_kernelINS0_14default_configENS1_27scan_by_key_config_selectorIj11FixedVectorIiLj4EEEEZZNS1_16scan_by_key_implILNS1_25lookback_scan_determinismE0ELb0ES3_N6thrust23THRUST_200600_302600_NS6detail15normal_iteratorINSB_10device_ptrIjEEEENSD_INSE_IS6_EEEESI_S6_NSB_4plusIvEENSB_8equal_toIvEES6_EE10hipError_tPvRmT2_T3_T4_T5_mT6_T7_P12ihipStream_tbENKUlT_T0_E_clISt17integral_constantIbLb0EES13_EEDaSY_SZ_EUlSY_E_NS1_11comp_targetILNS1_3genE5ELNS1_11target_archE942ELNS1_3gpuE9ELNS1_3repE0EEENS1_30default_config_static_selectorELNS0_4arch9wavefront6targetE0EEEvT1_: ; @_ZN7rocprim17ROCPRIM_400000_NS6detail17trampoline_kernelINS0_14default_configENS1_27scan_by_key_config_selectorIj11FixedVectorIiLj4EEEEZZNS1_16scan_by_key_implILNS1_25lookback_scan_determinismE0ELb0ES3_N6thrust23THRUST_200600_302600_NS6detail15normal_iteratorINSB_10device_ptrIjEEEENSD_INSE_IS6_EEEESI_S6_NSB_4plusIvEENSB_8equal_toIvEES6_EE10hipError_tPvRmT2_T3_T4_T5_mT6_T7_P12ihipStream_tbENKUlT_T0_E_clISt17integral_constantIbLb0EES13_EEDaSY_SZ_EUlSY_E_NS1_11comp_targetILNS1_3genE5ELNS1_11target_archE942ELNS1_3gpuE9ELNS1_3repE0EEENS1_30default_config_static_selectorELNS0_4arch9wavefront6targetE0EEEvT1_
; %bb.0:
	.section	.rodata,"a",@progbits
	.p2align	6, 0x0
	.amdhsa_kernel _ZN7rocprim17ROCPRIM_400000_NS6detail17trampoline_kernelINS0_14default_configENS1_27scan_by_key_config_selectorIj11FixedVectorIiLj4EEEEZZNS1_16scan_by_key_implILNS1_25lookback_scan_determinismE0ELb0ES3_N6thrust23THRUST_200600_302600_NS6detail15normal_iteratorINSB_10device_ptrIjEEEENSD_INSE_IS6_EEEESI_S6_NSB_4plusIvEENSB_8equal_toIvEES6_EE10hipError_tPvRmT2_T3_T4_T5_mT6_T7_P12ihipStream_tbENKUlT_T0_E_clISt17integral_constantIbLb0EES13_EEDaSY_SZ_EUlSY_E_NS1_11comp_targetILNS1_3genE5ELNS1_11target_archE942ELNS1_3gpuE9ELNS1_3repE0EEENS1_30default_config_static_selectorELNS0_4arch9wavefront6targetE0EEEvT1_
		.amdhsa_group_segment_fixed_size 0
		.amdhsa_private_segment_fixed_size 0
		.amdhsa_kernarg_size 144
		.amdhsa_user_sgpr_count 2
		.amdhsa_user_sgpr_dispatch_ptr 0
		.amdhsa_user_sgpr_queue_ptr 0
		.amdhsa_user_sgpr_kernarg_segment_ptr 1
		.amdhsa_user_sgpr_dispatch_id 0
		.amdhsa_user_sgpr_kernarg_preload_length 0
		.amdhsa_user_sgpr_kernarg_preload_offset 0
		.amdhsa_user_sgpr_private_segment_size 0
		.amdhsa_wavefront_size32 1
		.amdhsa_uses_dynamic_stack 0
		.amdhsa_enable_private_segment 0
		.amdhsa_system_sgpr_workgroup_id_x 1
		.amdhsa_system_sgpr_workgroup_id_y 0
		.amdhsa_system_sgpr_workgroup_id_z 0
		.amdhsa_system_sgpr_workgroup_info 0
		.amdhsa_system_vgpr_workitem_id 0
		.amdhsa_next_free_vgpr 1
		.amdhsa_next_free_sgpr 1
		.amdhsa_named_barrier_count 0
		.amdhsa_reserve_vcc 0
		.amdhsa_float_round_mode_32 0
		.amdhsa_float_round_mode_16_64 0
		.amdhsa_float_denorm_mode_32 3
		.amdhsa_float_denorm_mode_16_64 3
		.amdhsa_fp16_overflow 0
		.amdhsa_memory_ordered 1
		.amdhsa_forward_progress 1
		.amdhsa_inst_pref_size 0
		.amdhsa_round_robin_scheduling 0
		.amdhsa_exception_fp_ieee_invalid_op 0
		.amdhsa_exception_fp_denorm_src 0
		.amdhsa_exception_fp_ieee_div_zero 0
		.amdhsa_exception_fp_ieee_overflow 0
		.amdhsa_exception_fp_ieee_underflow 0
		.amdhsa_exception_fp_ieee_inexact 0
		.amdhsa_exception_int_div_zero 0
	.end_amdhsa_kernel
	.section	.text._ZN7rocprim17ROCPRIM_400000_NS6detail17trampoline_kernelINS0_14default_configENS1_27scan_by_key_config_selectorIj11FixedVectorIiLj4EEEEZZNS1_16scan_by_key_implILNS1_25lookback_scan_determinismE0ELb0ES3_N6thrust23THRUST_200600_302600_NS6detail15normal_iteratorINSB_10device_ptrIjEEEENSD_INSE_IS6_EEEESI_S6_NSB_4plusIvEENSB_8equal_toIvEES6_EE10hipError_tPvRmT2_T3_T4_T5_mT6_T7_P12ihipStream_tbENKUlT_T0_E_clISt17integral_constantIbLb0EES13_EEDaSY_SZ_EUlSY_E_NS1_11comp_targetILNS1_3genE5ELNS1_11target_archE942ELNS1_3gpuE9ELNS1_3repE0EEENS1_30default_config_static_selectorELNS0_4arch9wavefront6targetE0EEEvT1_,"axG",@progbits,_ZN7rocprim17ROCPRIM_400000_NS6detail17trampoline_kernelINS0_14default_configENS1_27scan_by_key_config_selectorIj11FixedVectorIiLj4EEEEZZNS1_16scan_by_key_implILNS1_25lookback_scan_determinismE0ELb0ES3_N6thrust23THRUST_200600_302600_NS6detail15normal_iteratorINSB_10device_ptrIjEEEENSD_INSE_IS6_EEEESI_S6_NSB_4plusIvEENSB_8equal_toIvEES6_EE10hipError_tPvRmT2_T3_T4_T5_mT6_T7_P12ihipStream_tbENKUlT_T0_E_clISt17integral_constantIbLb0EES13_EEDaSY_SZ_EUlSY_E_NS1_11comp_targetILNS1_3genE5ELNS1_11target_archE942ELNS1_3gpuE9ELNS1_3repE0EEENS1_30default_config_static_selectorELNS0_4arch9wavefront6targetE0EEEvT1_,comdat
.Lfunc_end2035:
	.size	_ZN7rocprim17ROCPRIM_400000_NS6detail17trampoline_kernelINS0_14default_configENS1_27scan_by_key_config_selectorIj11FixedVectorIiLj4EEEEZZNS1_16scan_by_key_implILNS1_25lookback_scan_determinismE0ELb0ES3_N6thrust23THRUST_200600_302600_NS6detail15normal_iteratorINSB_10device_ptrIjEEEENSD_INSE_IS6_EEEESI_S6_NSB_4plusIvEENSB_8equal_toIvEES6_EE10hipError_tPvRmT2_T3_T4_T5_mT6_T7_P12ihipStream_tbENKUlT_T0_E_clISt17integral_constantIbLb0EES13_EEDaSY_SZ_EUlSY_E_NS1_11comp_targetILNS1_3genE5ELNS1_11target_archE942ELNS1_3gpuE9ELNS1_3repE0EEENS1_30default_config_static_selectorELNS0_4arch9wavefront6targetE0EEEvT1_, .Lfunc_end2035-_ZN7rocprim17ROCPRIM_400000_NS6detail17trampoline_kernelINS0_14default_configENS1_27scan_by_key_config_selectorIj11FixedVectorIiLj4EEEEZZNS1_16scan_by_key_implILNS1_25lookback_scan_determinismE0ELb0ES3_N6thrust23THRUST_200600_302600_NS6detail15normal_iteratorINSB_10device_ptrIjEEEENSD_INSE_IS6_EEEESI_S6_NSB_4plusIvEENSB_8equal_toIvEES6_EE10hipError_tPvRmT2_T3_T4_T5_mT6_T7_P12ihipStream_tbENKUlT_T0_E_clISt17integral_constantIbLb0EES13_EEDaSY_SZ_EUlSY_E_NS1_11comp_targetILNS1_3genE5ELNS1_11target_archE942ELNS1_3gpuE9ELNS1_3repE0EEENS1_30default_config_static_selectorELNS0_4arch9wavefront6targetE0EEEvT1_
                                        ; -- End function
	.set _ZN7rocprim17ROCPRIM_400000_NS6detail17trampoline_kernelINS0_14default_configENS1_27scan_by_key_config_selectorIj11FixedVectorIiLj4EEEEZZNS1_16scan_by_key_implILNS1_25lookback_scan_determinismE0ELb0ES3_N6thrust23THRUST_200600_302600_NS6detail15normal_iteratorINSB_10device_ptrIjEEEENSD_INSE_IS6_EEEESI_S6_NSB_4plusIvEENSB_8equal_toIvEES6_EE10hipError_tPvRmT2_T3_T4_T5_mT6_T7_P12ihipStream_tbENKUlT_T0_E_clISt17integral_constantIbLb0EES13_EEDaSY_SZ_EUlSY_E_NS1_11comp_targetILNS1_3genE5ELNS1_11target_archE942ELNS1_3gpuE9ELNS1_3repE0EEENS1_30default_config_static_selectorELNS0_4arch9wavefront6targetE0EEEvT1_.num_vgpr, 0
	.set _ZN7rocprim17ROCPRIM_400000_NS6detail17trampoline_kernelINS0_14default_configENS1_27scan_by_key_config_selectorIj11FixedVectorIiLj4EEEEZZNS1_16scan_by_key_implILNS1_25lookback_scan_determinismE0ELb0ES3_N6thrust23THRUST_200600_302600_NS6detail15normal_iteratorINSB_10device_ptrIjEEEENSD_INSE_IS6_EEEESI_S6_NSB_4plusIvEENSB_8equal_toIvEES6_EE10hipError_tPvRmT2_T3_T4_T5_mT6_T7_P12ihipStream_tbENKUlT_T0_E_clISt17integral_constantIbLb0EES13_EEDaSY_SZ_EUlSY_E_NS1_11comp_targetILNS1_3genE5ELNS1_11target_archE942ELNS1_3gpuE9ELNS1_3repE0EEENS1_30default_config_static_selectorELNS0_4arch9wavefront6targetE0EEEvT1_.num_agpr, 0
	.set _ZN7rocprim17ROCPRIM_400000_NS6detail17trampoline_kernelINS0_14default_configENS1_27scan_by_key_config_selectorIj11FixedVectorIiLj4EEEEZZNS1_16scan_by_key_implILNS1_25lookback_scan_determinismE0ELb0ES3_N6thrust23THRUST_200600_302600_NS6detail15normal_iteratorINSB_10device_ptrIjEEEENSD_INSE_IS6_EEEESI_S6_NSB_4plusIvEENSB_8equal_toIvEES6_EE10hipError_tPvRmT2_T3_T4_T5_mT6_T7_P12ihipStream_tbENKUlT_T0_E_clISt17integral_constantIbLb0EES13_EEDaSY_SZ_EUlSY_E_NS1_11comp_targetILNS1_3genE5ELNS1_11target_archE942ELNS1_3gpuE9ELNS1_3repE0EEENS1_30default_config_static_selectorELNS0_4arch9wavefront6targetE0EEEvT1_.numbered_sgpr, 0
	.set _ZN7rocprim17ROCPRIM_400000_NS6detail17trampoline_kernelINS0_14default_configENS1_27scan_by_key_config_selectorIj11FixedVectorIiLj4EEEEZZNS1_16scan_by_key_implILNS1_25lookback_scan_determinismE0ELb0ES3_N6thrust23THRUST_200600_302600_NS6detail15normal_iteratorINSB_10device_ptrIjEEEENSD_INSE_IS6_EEEESI_S6_NSB_4plusIvEENSB_8equal_toIvEES6_EE10hipError_tPvRmT2_T3_T4_T5_mT6_T7_P12ihipStream_tbENKUlT_T0_E_clISt17integral_constantIbLb0EES13_EEDaSY_SZ_EUlSY_E_NS1_11comp_targetILNS1_3genE5ELNS1_11target_archE942ELNS1_3gpuE9ELNS1_3repE0EEENS1_30default_config_static_selectorELNS0_4arch9wavefront6targetE0EEEvT1_.num_named_barrier, 0
	.set _ZN7rocprim17ROCPRIM_400000_NS6detail17trampoline_kernelINS0_14default_configENS1_27scan_by_key_config_selectorIj11FixedVectorIiLj4EEEEZZNS1_16scan_by_key_implILNS1_25lookback_scan_determinismE0ELb0ES3_N6thrust23THRUST_200600_302600_NS6detail15normal_iteratorINSB_10device_ptrIjEEEENSD_INSE_IS6_EEEESI_S6_NSB_4plusIvEENSB_8equal_toIvEES6_EE10hipError_tPvRmT2_T3_T4_T5_mT6_T7_P12ihipStream_tbENKUlT_T0_E_clISt17integral_constantIbLb0EES13_EEDaSY_SZ_EUlSY_E_NS1_11comp_targetILNS1_3genE5ELNS1_11target_archE942ELNS1_3gpuE9ELNS1_3repE0EEENS1_30default_config_static_selectorELNS0_4arch9wavefront6targetE0EEEvT1_.private_seg_size, 0
	.set _ZN7rocprim17ROCPRIM_400000_NS6detail17trampoline_kernelINS0_14default_configENS1_27scan_by_key_config_selectorIj11FixedVectorIiLj4EEEEZZNS1_16scan_by_key_implILNS1_25lookback_scan_determinismE0ELb0ES3_N6thrust23THRUST_200600_302600_NS6detail15normal_iteratorINSB_10device_ptrIjEEEENSD_INSE_IS6_EEEESI_S6_NSB_4plusIvEENSB_8equal_toIvEES6_EE10hipError_tPvRmT2_T3_T4_T5_mT6_T7_P12ihipStream_tbENKUlT_T0_E_clISt17integral_constantIbLb0EES13_EEDaSY_SZ_EUlSY_E_NS1_11comp_targetILNS1_3genE5ELNS1_11target_archE942ELNS1_3gpuE9ELNS1_3repE0EEENS1_30default_config_static_selectorELNS0_4arch9wavefront6targetE0EEEvT1_.uses_vcc, 0
	.set _ZN7rocprim17ROCPRIM_400000_NS6detail17trampoline_kernelINS0_14default_configENS1_27scan_by_key_config_selectorIj11FixedVectorIiLj4EEEEZZNS1_16scan_by_key_implILNS1_25lookback_scan_determinismE0ELb0ES3_N6thrust23THRUST_200600_302600_NS6detail15normal_iteratorINSB_10device_ptrIjEEEENSD_INSE_IS6_EEEESI_S6_NSB_4plusIvEENSB_8equal_toIvEES6_EE10hipError_tPvRmT2_T3_T4_T5_mT6_T7_P12ihipStream_tbENKUlT_T0_E_clISt17integral_constantIbLb0EES13_EEDaSY_SZ_EUlSY_E_NS1_11comp_targetILNS1_3genE5ELNS1_11target_archE942ELNS1_3gpuE9ELNS1_3repE0EEENS1_30default_config_static_selectorELNS0_4arch9wavefront6targetE0EEEvT1_.uses_flat_scratch, 0
	.set _ZN7rocprim17ROCPRIM_400000_NS6detail17trampoline_kernelINS0_14default_configENS1_27scan_by_key_config_selectorIj11FixedVectorIiLj4EEEEZZNS1_16scan_by_key_implILNS1_25lookback_scan_determinismE0ELb0ES3_N6thrust23THRUST_200600_302600_NS6detail15normal_iteratorINSB_10device_ptrIjEEEENSD_INSE_IS6_EEEESI_S6_NSB_4plusIvEENSB_8equal_toIvEES6_EE10hipError_tPvRmT2_T3_T4_T5_mT6_T7_P12ihipStream_tbENKUlT_T0_E_clISt17integral_constantIbLb0EES13_EEDaSY_SZ_EUlSY_E_NS1_11comp_targetILNS1_3genE5ELNS1_11target_archE942ELNS1_3gpuE9ELNS1_3repE0EEENS1_30default_config_static_selectorELNS0_4arch9wavefront6targetE0EEEvT1_.has_dyn_sized_stack, 0
	.set _ZN7rocprim17ROCPRIM_400000_NS6detail17trampoline_kernelINS0_14default_configENS1_27scan_by_key_config_selectorIj11FixedVectorIiLj4EEEEZZNS1_16scan_by_key_implILNS1_25lookback_scan_determinismE0ELb0ES3_N6thrust23THRUST_200600_302600_NS6detail15normal_iteratorINSB_10device_ptrIjEEEENSD_INSE_IS6_EEEESI_S6_NSB_4plusIvEENSB_8equal_toIvEES6_EE10hipError_tPvRmT2_T3_T4_T5_mT6_T7_P12ihipStream_tbENKUlT_T0_E_clISt17integral_constantIbLb0EES13_EEDaSY_SZ_EUlSY_E_NS1_11comp_targetILNS1_3genE5ELNS1_11target_archE942ELNS1_3gpuE9ELNS1_3repE0EEENS1_30default_config_static_selectorELNS0_4arch9wavefront6targetE0EEEvT1_.has_recursion, 0
	.set _ZN7rocprim17ROCPRIM_400000_NS6detail17trampoline_kernelINS0_14default_configENS1_27scan_by_key_config_selectorIj11FixedVectorIiLj4EEEEZZNS1_16scan_by_key_implILNS1_25lookback_scan_determinismE0ELb0ES3_N6thrust23THRUST_200600_302600_NS6detail15normal_iteratorINSB_10device_ptrIjEEEENSD_INSE_IS6_EEEESI_S6_NSB_4plusIvEENSB_8equal_toIvEES6_EE10hipError_tPvRmT2_T3_T4_T5_mT6_T7_P12ihipStream_tbENKUlT_T0_E_clISt17integral_constantIbLb0EES13_EEDaSY_SZ_EUlSY_E_NS1_11comp_targetILNS1_3genE5ELNS1_11target_archE942ELNS1_3gpuE9ELNS1_3repE0EEENS1_30default_config_static_selectorELNS0_4arch9wavefront6targetE0EEEvT1_.has_indirect_call, 0
	.section	.AMDGPU.csdata,"",@progbits
; Kernel info:
; codeLenInByte = 0
; TotalNumSgprs: 0
; NumVgprs: 0
; ScratchSize: 0
; MemoryBound: 0
; FloatMode: 240
; IeeeMode: 1
; LDSByteSize: 0 bytes/workgroup (compile time only)
; SGPRBlocks: 0
; VGPRBlocks: 0
; NumSGPRsForWavesPerEU: 1
; NumVGPRsForWavesPerEU: 1
; NamedBarCnt: 0
; Occupancy: 16
; WaveLimiterHint : 0
; COMPUTE_PGM_RSRC2:SCRATCH_EN: 0
; COMPUTE_PGM_RSRC2:USER_SGPR: 2
; COMPUTE_PGM_RSRC2:TRAP_HANDLER: 0
; COMPUTE_PGM_RSRC2:TGID_X_EN: 1
; COMPUTE_PGM_RSRC2:TGID_Y_EN: 0
; COMPUTE_PGM_RSRC2:TGID_Z_EN: 0
; COMPUTE_PGM_RSRC2:TIDIG_COMP_CNT: 0
	.section	.text._ZN7rocprim17ROCPRIM_400000_NS6detail17trampoline_kernelINS0_14default_configENS1_27scan_by_key_config_selectorIj11FixedVectorIiLj4EEEEZZNS1_16scan_by_key_implILNS1_25lookback_scan_determinismE0ELb0ES3_N6thrust23THRUST_200600_302600_NS6detail15normal_iteratorINSB_10device_ptrIjEEEENSD_INSE_IS6_EEEESI_S6_NSB_4plusIvEENSB_8equal_toIvEES6_EE10hipError_tPvRmT2_T3_T4_T5_mT6_T7_P12ihipStream_tbENKUlT_T0_E_clISt17integral_constantIbLb0EES13_EEDaSY_SZ_EUlSY_E_NS1_11comp_targetILNS1_3genE4ELNS1_11target_archE910ELNS1_3gpuE8ELNS1_3repE0EEENS1_30default_config_static_selectorELNS0_4arch9wavefront6targetE0EEEvT1_,"axG",@progbits,_ZN7rocprim17ROCPRIM_400000_NS6detail17trampoline_kernelINS0_14default_configENS1_27scan_by_key_config_selectorIj11FixedVectorIiLj4EEEEZZNS1_16scan_by_key_implILNS1_25lookback_scan_determinismE0ELb0ES3_N6thrust23THRUST_200600_302600_NS6detail15normal_iteratorINSB_10device_ptrIjEEEENSD_INSE_IS6_EEEESI_S6_NSB_4plusIvEENSB_8equal_toIvEES6_EE10hipError_tPvRmT2_T3_T4_T5_mT6_T7_P12ihipStream_tbENKUlT_T0_E_clISt17integral_constantIbLb0EES13_EEDaSY_SZ_EUlSY_E_NS1_11comp_targetILNS1_3genE4ELNS1_11target_archE910ELNS1_3gpuE8ELNS1_3repE0EEENS1_30default_config_static_selectorELNS0_4arch9wavefront6targetE0EEEvT1_,comdat
	.protected	_ZN7rocprim17ROCPRIM_400000_NS6detail17trampoline_kernelINS0_14default_configENS1_27scan_by_key_config_selectorIj11FixedVectorIiLj4EEEEZZNS1_16scan_by_key_implILNS1_25lookback_scan_determinismE0ELb0ES3_N6thrust23THRUST_200600_302600_NS6detail15normal_iteratorINSB_10device_ptrIjEEEENSD_INSE_IS6_EEEESI_S6_NSB_4plusIvEENSB_8equal_toIvEES6_EE10hipError_tPvRmT2_T3_T4_T5_mT6_T7_P12ihipStream_tbENKUlT_T0_E_clISt17integral_constantIbLb0EES13_EEDaSY_SZ_EUlSY_E_NS1_11comp_targetILNS1_3genE4ELNS1_11target_archE910ELNS1_3gpuE8ELNS1_3repE0EEENS1_30default_config_static_selectorELNS0_4arch9wavefront6targetE0EEEvT1_ ; -- Begin function _ZN7rocprim17ROCPRIM_400000_NS6detail17trampoline_kernelINS0_14default_configENS1_27scan_by_key_config_selectorIj11FixedVectorIiLj4EEEEZZNS1_16scan_by_key_implILNS1_25lookback_scan_determinismE0ELb0ES3_N6thrust23THRUST_200600_302600_NS6detail15normal_iteratorINSB_10device_ptrIjEEEENSD_INSE_IS6_EEEESI_S6_NSB_4plusIvEENSB_8equal_toIvEES6_EE10hipError_tPvRmT2_T3_T4_T5_mT6_T7_P12ihipStream_tbENKUlT_T0_E_clISt17integral_constantIbLb0EES13_EEDaSY_SZ_EUlSY_E_NS1_11comp_targetILNS1_3genE4ELNS1_11target_archE910ELNS1_3gpuE8ELNS1_3repE0EEENS1_30default_config_static_selectorELNS0_4arch9wavefront6targetE0EEEvT1_
	.globl	_ZN7rocprim17ROCPRIM_400000_NS6detail17trampoline_kernelINS0_14default_configENS1_27scan_by_key_config_selectorIj11FixedVectorIiLj4EEEEZZNS1_16scan_by_key_implILNS1_25lookback_scan_determinismE0ELb0ES3_N6thrust23THRUST_200600_302600_NS6detail15normal_iteratorINSB_10device_ptrIjEEEENSD_INSE_IS6_EEEESI_S6_NSB_4plusIvEENSB_8equal_toIvEES6_EE10hipError_tPvRmT2_T3_T4_T5_mT6_T7_P12ihipStream_tbENKUlT_T0_E_clISt17integral_constantIbLb0EES13_EEDaSY_SZ_EUlSY_E_NS1_11comp_targetILNS1_3genE4ELNS1_11target_archE910ELNS1_3gpuE8ELNS1_3repE0EEENS1_30default_config_static_selectorELNS0_4arch9wavefront6targetE0EEEvT1_
	.p2align	8
	.type	_ZN7rocprim17ROCPRIM_400000_NS6detail17trampoline_kernelINS0_14default_configENS1_27scan_by_key_config_selectorIj11FixedVectorIiLj4EEEEZZNS1_16scan_by_key_implILNS1_25lookback_scan_determinismE0ELb0ES3_N6thrust23THRUST_200600_302600_NS6detail15normal_iteratorINSB_10device_ptrIjEEEENSD_INSE_IS6_EEEESI_S6_NSB_4plusIvEENSB_8equal_toIvEES6_EE10hipError_tPvRmT2_T3_T4_T5_mT6_T7_P12ihipStream_tbENKUlT_T0_E_clISt17integral_constantIbLb0EES13_EEDaSY_SZ_EUlSY_E_NS1_11comp_targetILNS1_3genE4ELNS1_11target_archE910ELNS1_3gpuE8ELNS1_3repE0EEENS1_30default_config_static_selectorELNS0_4arch9wavefront6targetE0EEEvT1_,@function
_ZN7rocprim17ROCPRIM_400000_NS6detail17trampoline_kernelINS0_14default_configENS1_27scan_by_key_config_selectorIj11FixedVectorIiLj4EEEEZZNS1_16scan_by_key_implILNS1_25lookback_scan_determinismE0ELb0ES3_N6thrust23THRUST_200600_302600_NS6detail15normal_iteratorINSB_10device_ptrIjEEEENSD_INSE_IS6_EEEESI_S6_NSB_4plusIvEENSB_8equal_toIvEES6_EE10hipError_tPvRmT2_T3_T4_T5_mT6_T7_P12ihipStream_tbENKUlT_T0_E_clISt17integral_constantIbLb0EES13_EEDaSY_SZ_EUlSY_E_NS1_11comp_targetILNS1_3genE4ELNS1_11target_archE910ELNS1_3gpuE8ELNS1_3repE0EEENS1_30default_config_static_selectorELNS0_4arch9wavefront6targetE0EEEvT1_: ; @_ZN7rocprim17ROCPRIM_400000_NS6detail17trampoline_kernelINS0_14default_configENS1_27scan_by_key_config_selectorIj11FixedVectorIiLj4EEEEZZNS1_16scan_by_key_implILNS1_25lookback_scan_determinismE0ELb0ES3_N6thrust23THRUST_200600_302600_NS6detail15normal_iteratorINSB_10device_ptrIjEEEENSD_INSE_IS6_EEEESI_S6_NSB_4plusIvEENSB_8equal_toIvEES6_EE10hipError_tPvRmT2_T3_T4_T5_mT6_T7_P12ihipStream_tbENKUlT_T0_E_clISt17integral_constantIbLb0EES13_EEDaSY_SZ_EUlSY_E_NS1_11comp_targetILNS1_3genE4ELNS1_11target_archE910ELNS1_3gpuE8ELNS1_3repE0EEENS1_30default_config_static_selectorELNS0_4arch9wavefront6targetE0EEEvT1_
; %bb.0:
	.section	.rodata,"a",@progbits
	.p2align	6, 0x0
	.amdhsa_kernel _ZN7rocprim17ROCPRIM_400000_NS6detail17trampoline_kernelINS0_14default_configENS1_27scan_by_key_config_selectorIj11FixedVectorIiLj4EEEEZZNS1_16scan_by_key_implILNS1_25lookback_scan_determinismE0ELb0ES3_N6thrust23THRUST_200600_302600_NS6detail15normal_iteratorINSB_10device_ptrIjEEEENSD_INSE_IS6_EEEESI_S6_NSB_4plusIvEENSB_8equal_toIvEES6_EE10hipError_tPvRmT2_T3_T4_T5_mT6_T7_P12ihipStream_tbENKUlT_T0_E_clISt17integral_constantIbLb0EES13_EEDaSY_SZ_EUlSY_E_NS1_11comp_targetILNS1_3genE4ELNS1_11target_archE910ELNS1_3gpuE8ELNS1_3repE0EEENS1_30default_config_static_selectorELNS0_4arch9wavefront6targetE0EEEvT1_
		.amdhsa_group_segment_fixed_size 0
		.amdhsa_private_segment_fixed_size 0
		.amdhsa_kernarg_size 144
		.amdhsa_user_sgpr_count 2
		.amdhsa_user_sgpr_dispatch_ptr 0
		.amdhsa_user_sgpr_queue_ptr 0
		.amdhsa_user_sgpr_kernarg_segment_ptr 1
		.amdhsa_user_sgpr_dispatch_id 0
		.amdhsa_user_sgpr_kernarg_preload_length 0
		.amdhsa_user_sgpr_kernarg_preload_offset 0
		.amdhsa_user_sgpr_private_segment_size 0
		.amdhsa_wavefront_size32 1
		.amdhsa_uses_dynamic_stack 0
		.amdhsa_enable_private_segment 0
		.amdhsa_system_sgpr_workgroup_id_x 1
		.amdhsa_system_sgpr_workgroup_id_y 0
		.amdhsa_system_sgpr_workgroup_id_z 0
		.amdhsa_system_sgpr_workgroup_info 0
		.amdhsa_system_vgpr_workitem_id 0
		.amdhsa_next_free_vgpr 1
		.amdhsa_next_free_sgpr 1
		.amdhsa_named_barrier_count 0
		.amdhsa_reserve_vcc 0
		.amdhsa_float_round_mode_32 0
		.amdhsa_float_round_mode_16_64 0
		.amdhsa_float_denorm_mode_32 3
		.amdhsa_float_denorm_mode_16_64 3
		.amdhsa_fp16_overflow 0
		.amdhsa_memory_ordered 1
		.amdhsa_forward_progress 1
		.amdhsa_inst_pref_size 0
		.amdhsa_round_robin_scheduling 0
		.amdhsa_exception_fp_ieee_invalid_op 0
		.amdhsa_exception_fp_denorm_src 0
		.amdhsa_exception_fp_ieee_div_zero 0
		.amdhsa_exception_fp_ieee_overflow 0
		.amdhsa_exception_fp_ieee_underflow 0
		.amdhsa_exception_fp_ieee_inexact 0
		.amdhsa_exception_int_div_zero 0
	.end_amdhsa_kernel
	.section	.text._ZN7rocprim17ROCPRIM_400000_NS6detail17trampoline_kernelINS0_14default_configENS1_27scan_by_key_config_selectorIj11FixedVectorIiLj4EEEEZZNS1_16scan_by_key_implILNS1_25lookback_scan_determinismE0ELb0ES3_N6thrust23THRUST_200600_302600_NS6detail15normal_iteratorINSB_10device_ptrIjEEEENSD_INSE_IS6_EEEESI_S6_NSB_4plusIvEENSB_8equal_toIvEES6_EE10hipError_tPvRmT2_T3_T4_T5_mT6_T7_P12ihipStream_tbENKUlT_T0_E_clISt17integral_constantIbLb0EES13_EEDaSY_SZ_EUlSY_E_NS1_11comp_targetILNS1_3genE4ELNS1_11target_archE910ELNS1_3gpuE8ELNS1_3repE0EEENS1_30default_config_static_selectorELNS0_4arch9wavefront6targetE0EEEvT1_,"axG",@progbits,_ZN7rocprim17ROCPRIM_400000_NS6detail17trampoline_kernelINS0_14default_configENS1_27scan_by_key_config_selectorIj11FixedVectorIiLj4EEEEZZNS1_16scan_by_key_implILNS1_25lookback_scan_determinismE0ELb0ES3_N6thrust23THRUST_200600_302600_NS6detail15normal_iteratorINSB_10device_ptrIjEEEENSD_INSE_IS6_EEEESI_S6_NSB_4plusIvEENSB_8equal_toIvEES6_EE10hipError_tPvRmT2_T3_T4_T5_mT6_T7_P12ihipStream_tbENKUlT_T0_E_clISt17integral_constantIbLb0EES13_EEDaSY_SZ_EUlSY_E_NS1_11comp_targetILNS1_3genE4ELNS1_11target_archE910ELNS1_3gpuE8ELNS1_3repE0EEENS1_30default_config_static_selectorELNS0_4arch9wavefront6targetE0EEEvT1_,comdat
.Lfunc_end2036:
	.size	_ZN7rocprim17ROCPRIM_400000_NS6detail17trampoline_kernelINS0_14default_configENS1_27scan_by_key_config_selectorIj11FixedVectorIiLj4EEEEZZNS1_16scan_by_key_implILNS1_25lookback_scan_determinismE0ELb0ES3_N6thrust23THRUST_200600_302600_NS6detail15normal_iteratorINSB_10device_ptrIjEEEENSD_INSE_IS6_EEEESI_S6_NSB_4plusIvEENSB_8equal_toIvEES6_EE10hipError_tPvRmT2_T3_T4_T5_mT6_T7_P12ihipStream_tbENKUlT_T0_E_clISt17integral_constantIbLb0EES13_EEDaSY_SZ_EUlSY_E_NS1_11comp_targetILNS1_3genE4ELNS1_11target_archE910ELNS1_3gpuE8ELNS1_3repE0EEENS1_30default_config_static_selectorELNS0_4arch9wavefront6targetE0EEEvT1_, .Lfunc_end2036-_ZN7rocprim17ROCPRIM_400000_NS6detail17trampoline_kernelINS0_14default_configENS1_27scan_by_key_config_selectorIj11FixedVectorIiLj4EEEEZZNS1_16scan_by_key_implILNS1_25lookback_scan_determinismE0ELb0ES3_N6thrust23THRUST_200600_302600_NS6detail15normal_iteratorINSB_10device_ptrIjEEEENSD_INSE_IS6_EEEESI_S6_NSB_4plusIvEENSB_8equal_toIvEES6_EE10hipError_tPvRmT2_T3_T4_T5_mT6_T7_P12ihipStream_tbENKUlT_T0_E_clISt17integral_constantIbLb0EES13_EEDaSY_SZ_EUlSY_E_NS1_11comp_targetILNS1_3genE4ELNS1_11target_archE910ELNS1_3gpuE8ELNS1_3repE0EEENS1_30default_config_static_selectorELNS0_4arch9wavefront6targetE0EEEvT1_
                                        ; -- End function
	.set _ZN7rocprim17ROCPRIM_400000_NS6detail17trampoline_kernelINS0_14default_configENS1_27scan_by_key_config_selectorIj11FixedVectorIiLj4EEEEZZNS1_16scan_by_key_implILNS1_25lookback_scan_determinismE0ELb0ES3_N6thrust23THRUST_200600_302600_NS6detail15normal_iteratorINSB_10device_ptrIjEEEENSD_INSE_IS6_EEEESI_S6_NSB_4plusIvEENSB_8equal_toIvEES6_EE10hipError_tPvRmT2_T3_T4_T5_mT6_T7_P12ihipStream_tbENKUlT_T0_E_clISt17integral_constantIbLb0EES13_EEDaSY_SZ_EUlSY_E_NS1_11comp_targetILNS1_3genE4ELNS1_11target_archE910ELNS1_3gpuE8ELNS1_3repE0EEENS1_30default_config_static_selectorELNS0_4arch9wavefront6targetE0EEEvT1_.num_vgpr, 0
	.set _ZN7rocprim17ROCPRIM_400000_NS6detail17trampoline_kernelINS0_14default_configENS1_27scan_by_key_config_selectorIj11FixedVectorIiLj4EEEEZZNS1_16scan_by_key_implILNS1_25lookback_scan_determinismE0ELb0ES3_N6thrust23THRUST_200600_302600_NS6detail15normal_iteratorINSB_10device_ptrIjEEEENSD_INSE_IS6_EEEESI_S6_NSB_4plusIvEENSB_8equal_toIvEES6_EE10hipError_tPvRmT2_T3_T4_T5_mT6_T7_P12ihipStream_tbENKUlT_T0_E_clISt17integral_constantIbLb0EES13_EEDaSY_SZ_EUlSY_E_NS1_11comp_targetILNS1_3genE4ELNS1_11target_archE910ELNS1_3gpuE8ELNS1_3repE0EEENS1_30default_config_static_selectorELNS0_4arch9wavefront6targetE0EEEvT1_.num_agpr, 0
	.set _ZN7rocprim17ROCPRIM_400000_NS6detail17trampoline_kernelINS0_14default_configENS1_27scan_by_key_config_selectorIj11FixedVectorIiLj4EEEEZZNS1_16scan_by_key_implILNS1_25lookback_scan_determinismE0ELb0ES3_N6thrust23THRUST_200600_302600_NS6detail15normal_iteratorINSB_10device_ptrIjEEEENSD_INSE_IS6_EEEESI_S6_NSB_4plusIvEENSB_8equal_toIvEES6_EE10hipError_tPvRmT2_T3_T4_T5_mT6_T7_P12ihipStream_tbENKUlT_T0_E_clISt17integral_constantIbLb0EES13_EEDaSY_SZ_EUlSY_E_NS1_11comp_targetILNS1_3genE4ELNS1_11target_archE910ELNS1_3gpuE8ELNS1_3repE0EEENS1_30default_config_static_selectorELNS0_4arch9wavefront6targetE0EEEvT1_.numbered_sgpr, 0
	.set _ZN7rocprim17ROCPRIM_400000_NS6detail17trampoline_kernelINS0_14default_configENS1_27scan_by_key_config_selectorIj11FixedVectorIiLj4EEEEZZNS1_16scan_by_key_implILNS1_25lookback_scan_determinismE0ELb0ES3_N6thrust23THRUST_200600_302600_NS6detail15normal_iteratorINSB_10device_ptrIjEEEENSD_INSE_IS6_EEEESI_S6_NSB_4plusIvEENSB_8equal_toIvEES6_EE10hipError_tPvRmT2_T3_T4_T5_mT6_T7_P12ihipStream_tbENKUlT_T0_E_clISt17integral_constantIbLb0EES13_EEDaSY_SZ_EUlSY_E_NS1_11comp_targetILNS1_3genE4ELNS1_11target_archE910ELNS1_3gpuE8ELNS1_3repE0EEENS1_30default_config_static_selectorELNS0_4arch9wavefront6targetE0EEEvT1_.num_named_barrier, 0
	.set _ZN7rocprim17ROCPRIM_400000_NS6detail17trampoline_kernelINS0_14default_configENS1_27scan_by_key_config_selectorIj11FixedVectorIiLj4EEEEZZNS1_16scan_by_key_implILNS1_25lookback_scan_determinismE0ELb0ES3_N6thrust23THRUST_200600_302600_NS6detail15normal_iteratorINSB_10device_ptrIjEEEENSD_INSE_IS6_EEEESI_S6_NSB_4plusIvEENSB_8equal_toIvEES6_EE10hipError_tPvRmT2_T3_T4_T5_mT6_T7_P12ihipStream_tbENKUlT_T0_E_clISt17integral_constantIbLb0EES13_EEDaSY_SZ_EUlSY_E_NS1_11comp_targetILNS1_3genE4ELNS1_11target_archE910ELNS1_3gpuE8ELNS1_3repE0EEENS1_30default_config_static_selectorELNS0_4arch9wavefront6targetE0EEEvT1_.private_seg_size, 0
	.set _ZN7rocprim17ROCPRIM_400000_NS6detail17trampoline_kernelINS0_14default_configENS1_27scan_by_key_config_selectorIj11FixedVectorIiLj4EEEEZZNS1_16scan_by_key_implILNS1_25lookback_scan_determinismE0ELb0ES3_N6thrust23THRUST_200600_302600_NS6detail15normal_iteratorINSB_10device_ptrIjEEEENSD_INSE_IS6_EEEESI_S6_NSB_4plusIvEENSB_8equal_toIvEES6_EE10hipError_tPvRmT2_T3_T4_T5_mT6_T7_P12ihipStream_tbENKUlT_T0_E_clISt17integral_constantIbLb0EES13_EEDaSY_SZ_EUlSY_E_NS1_11comp_targetILNS1_3genE4ELNS1_11target_archE910ELNS1_3gpuE8ELNS1_3repE0EEENS1_30default_config_static_selectorELNS0_4arch9wavefront6targetE0EEEvT1_.uses_vcc, 0
	.set _ZN7rocprim17ROCPRIM_400000_NS6detail17trampoline_kernelINS0_14default_configENS1_27scan_by_key_config_selectorIj11FixedVectorIiLj4EEEEZZNS1_16scan_by_key_implILNS1_25lookback_scan_determinismE0ELb0ES3_N6thrust23THRUST_200600_302600_NS6detail15normal_iteratorINSB_10device_ptrIjEEEENSD_INSE_IS6_EEEESI_S6_NSB_4plusIvEENSB_8equal_toIvEES6_EE10hipError_tPvRmT2_T3_T4_T5_mT6_T7_P12ihipStream_tbENKUlT_T0_E_clISt17integral_constantIbLb0EES13_EEDaSY_SZ_EUlSY_E_NS1_11comp_targetILNS1_3genE4ELNS1_11target_archE910ELNS1_3gpuE8ELNS1_3repE0EEENS1_30default_config_static_selectorELNS0_4arch9wavefront6targetE0EEEvT1_.uses_flat_scratch, 0
	.set _ZN7rocprim17ROCPRIM_400000_NS6detail17trampoline_kernelINS0_14default_configENS1_27scan_by_key_config_selectorIj11FixedVectorIiLj4EEEEZZNS1_16scan_by_key_implILNS1_25lookback_scan_determinismE0ELb0ES3_N6thrust23THRUST_200600_302600_NS6detail15normal_iteratorINSB_10device_ptrIjEEEENSD_INSE_IS6_EEEESI_S6_NSB_4plusIvEENSB_8equal_toIvEES6_EE10hipError_tPvRmT2_T3_T4_T5_mT6_T7_P12ihipStream_tbENKUlT_T0_E_clISt17integral_constantIbLb0EES13_EEDaSY_SZ_EUlSY_E_NS1_11comp_targetILNS1_3genE4ELNS1_11target_archE910ELNS1_3gpuE8ELNS1_3repE0EEENS1_30default_config_static_selectorELNS0_4arch9wavefront6targetE0EEEvT1_.has_dyn_sized_stack, 0
	.set _ZN7rocprim17ROCPRIM_400000_NS6detail17trampoline_kernelINS0_14default_configENS1_27scan_by_key_config_selectorIj11FixedVectorIiLj4EEEEZZNS1_16scan_by_key_implILNS1_25lookback_scan_determinismE0ELb0ES3_N6thrust23THRUST_200600_302600_NS6detail15normal_iteratorINSB_10device_ptrIjEEEENSD_INSE_IS6_EEEESI_S6_NSB_4plusIvEENSB_8equal_toIvEES6_EE10hipError_tPvRmT2_T3_T4_T5_mT6_T7_P12ihipStream_tbENKUlT_T0_E_clISt17integral_constantIbLb0EES13_EEDaSY_SZ_EUlSY_E_NS1_11comp_targetILNS1_3genE4ELNS1_11target_archE910ELNS1_3gpuE8ELNS1_3repE0EEENS1_30default_config_static_selectorELNS0_4arch9wavefront6targetE0EEEvT1_.has_recursion, 0
	.set _ZN7rocprim17ROCPRIM_400000_NS6detail17trampoline_kernelINS0_14default_configENS1_27scan_by_key_config_selectorIj11FixedVectorIiLj4EEEEZZNS1_16scan_by_key_implILNS1_25lookback_scan_determinismE0ELb0ES3_N6thrust23THRUST_200600_302600_NS6detail15normal_iteratorINSB_10device_ptrIjEEEENSD_INSE_IS6_EEEESI_S6_NSB_4plusIvEENSB_8equal_toIvEES6_EE10hipError_tPvRmT2_T3_T4_T5_mT6_T7_P12ihipStream_tbENKUlT_T0_E_clISt17integral_constantIbLb0EES13_EEDaSY_SZ_EUlSY_E_NS1_11comp_targetILNS1_3genE4ELNS1_11target_archE910ELNS1_3gpuE8ELNS1_3repE0EEENS1_30default_config_static_selectorELNS0_4arch9wavefront6targetE0EEEvT1_.has_indirect_call, 0
	.section	.AMDGPU.csdata,"",@progbits
; Kernel info:
; codeLenInByte = 0
; TotalNumSgprs: 0
; NumVgprs: 0
; ScratchSize: 0
; MemoryBound: 0
; FloatMode: 240
; IeeeMode: 1
; LDSByteSize: 0 bytes/workgroup (compile time only)
; SGPRBlocks: 0
; VGPRBlocks: 0
; NumSGPRsForWavesPerEU: 1
; NumVGPRsForWavesPerEU: 1
; NamedBarCnt: 0
; Occupancy: 16
; WaveLimiterHint : 0
; COMPUTE_PGM_RSRC2:SCRATCH_EN: 0
; COMPUTE_PGM_RSRC2:USER_SGPR: 2
; COMPUTE_PGM_RSRC2:TRAP_HANDLER: 0
; COMPUTE_PGM_RSRC2:TGID_X_EN: 1
; COMPUTE_PGM_RSRC2:TGID_Y_EN: 0
; COMPUTE_PGM_RSRC2:TGID_Z_EN: 0
; COMPUTE_PGM_RSRC2:TIDIG_COMP_CNT: 0
	.section	.text._ZN7rocprim17ROCPRIM_400000_NS6detail17trampoline_kernelINS0_14default_configENS1_27scan_by_key_config_selectorIj11FixedVectorIiLj4EEEEZZNS1_16scan_by_key_implILNS1_25lookback_scan_determinismE0ELb0ES3_N6thrust23THRUST_200600_302600_NS6detail15normal_iteratorINSB_10device_ptrIjEEEENSD_INSE_IS6_EEEESI_S6_NSB_4plusIvEENSB_8equal_toIvEES6_EE10hipError_tPvRmT2_T3_T4_T5_mT6_T7_P12ihipStream_tbENKUlT_T0_E_clISt17integral_constantIbLb0EES13_EEDaSY_SZ_EUlSY_E_NS1_11comp_targetILNS1_3genE3ELNS1_11target_archE908ELNS1_3gpuE7ELNS1_3repE0EEENS1_30default_config_static_selectorELNS0_4arch9wavefront6targetE0EEEvT1_,"axG",@progbits,_ZN7rocprim17ROCPRIM_400000_NS6detail17trampoline_kernelINS0_14default_configENS1_27scan_by_key_config_selectorIj11FixedVectorIiLj4EEEEZZNS1_16scan_by_key_implILNS1_25lookback_scan_determinismE0ELb0ES3_N6thrust23THRUST_200600_302600_NS6detail15normal_iteratorINSB_10device_ptrIjEEEENSD_INSE_IS6_EEEESI_S6_NSB_4plusIvEENSB_8equal_toIvEES6_EE10hipError_tPvRmT2_T3_T4_T5_mT6_T7_P12ihipStream_tbENKUlT_T0_E_clISt17integral_constantIbLb0EES13_EEDaSY_SZ_EUlSY_E_NS1_11comp_targetILNS1_3genE3ELNS1_11target_archE908ELNS1_3gpuE7ELNS1_3repE0EEENS1_30default_config_static_selectorELNS0_4arch9wavefront6targetE0EEEvT1_,comdat
	.protected	_ZN7rocprim17ROCPRIM_400000_NS6detail17trampoline_kernelINS0_14default_configENS1_27scan_by_key_config_selectorIj11FixedVectorIiLj4EEEEZZNS1_16scan_by_key_implILNS1_25lookback_scan_determinismE0ELb0ES3_N6thrust23THRUST_200600_302600_NS6detail15normal_iteratorINSB_10device_ptrIjEEEENSD_INSE_IS6_EEEESI_S6_NSB_4plusIvEENSB_8equal_toIvEES6_EE10hipError_tPvRmT2_T3_T4_T5_mT6_T7_P12ihipStream_tbENKUlT_T0_E_clISt17integral_constantIbLb0EES13_EEDaSY_SZ_EUlSY_E_NS1_11comp_targetILNS1_3genE3ELNS1_11target_archE908ELNS1_3gpuE7ELNS1_3repE0EEENS1_30default_config_static_selectorELNS0_4arch9wavefront6targetE0EEEvT1_ ; -- Begin function _ZN7rocprim17ROCPRIM_400000_NS6detail17trampoline_kernelINS0_14default_configENS1_27scan_by_key_config_selectorIj11FixedVectorIiLj4EEEEZZNS1_16scan_by_key_implILNS1_25lookback_scan_determinismE0ELb0ES3_N6thrust23THRUST_200600_302600_NS6detail15normal_iteratorINSB_10device_ptrIjEEEENSD_INSE_IS6_EEEESI_S6_NSB_4plusIvEENSB_8equal_toIvEES6_EE10hipError_tPvRmT2_T3_T4_T5_mT6_T7_P12ihipStream_tbENKUlT_T0_E_clISt17integral_constantIbLb0EES13_EEDaSY_SZ_EUlSY_E_NS1_11comp_targetILNS1_3genE3ELNS1_11target_archE908ELNS1_3gpuE7ELNS1_3repE0EEENS1_30default_config_static_selectorELNS0_4arch9wavefront6targetE0EEEvT1_
	.globl	_ZN7rocprim17ROCPRIM_400000_NS6detail17trampoline_kernelINS0_14default_configENS1_27scan_by_key_config_selectorIj11FixedVectorIiLj4EEEEZZNS1_16scan_by_key_implILNS1_25lookback_scan_determinismE0ELb0ES3_N6thrust23THRUST_200600_302600_NS6detail15normal_iteratorINSB_10device_ptrIjEEEENSD_INSE_IS6_EEEESI_S6_NSB_4plusIvEENSB_8equal_toIvEES6_EE10hipError_tPvRmT2_T3_T4_T5_mT6_T7_P12ihipStream_tbENKUlT_T0_E_clISt17integral_constantIbLb0EES13_EEDaSY_SZ_EUlSY_E_NS1_11comp_targetILNS1_3genE3ELNS1_11target_archE908ELNS1_3gpuE7ELNS1_3repE0EEENS1_30default_config_static_selectorELNS0_4arch9wavefront6targetE0EEEvT1_
	.p2align	8
	.type	_ZN7rocprim17ROCPRIM_400000_NS6detail17trampoline_kernelINS0_14default_configENS1_27scan_by_key_config_selectorIj11FixedVectorIiLj4EEEEZZNS1_16scan_by_key_implILNS1_25lookback_scan_determinismE0ELb0ES3_N6thrust23THRUST_200600_302600_NS6detail15normal_iteratorINSB_10device_ptrIjEEEENSD_INSE_IS6_EEEESI_S6_NSB_4plusIvEENSB_8equal_toIvEES6_EE10hipError_tPvRmT2_T3_T4_T5_mT6_T7_P12ihipStream_tbENKUlT_T0_E_clISt17integral_constantIbLb0EES13_EEDaSY_SZ_EUlSY_E_NS1_11comp_targetILNS1_3genE3ELNS1_11target_archE908ELNS1_3gpuE7ELNS1_3repE0EEENS1_30default_config_static_selectorELNS0_4arch9wavefront6targetE0EEEvT1_,@function
_ZN7rocprim17ROCPRIM_400000_NS6detail17trampoline_kernelINS0_14default_configENS1_27scan_by_key_config_selectorIj11FixedVectorIiLj4EEEEZZNS1_16scan_by_key_implILNS1_25lookback_scan_determinismE0ELb0ES3_N6thrust23THRUST_200600_302600_NS6detail15normal_iteratorINSB_10device_ptrIjEEEENSD_INSE_IS6_EEEESI_S6_NSB_4plusIvEENSB_8equal_toIvEES6_EE10hipError_tPvRmT2_T3_T4_T5_mT6_T7_P12ihipStream_tbENKUlT_T0_E_clISt17integral_constantIbLb0EES13_EEDaSY_SZ_EUlSY_E_NS1_11comp_targetILNS1_3genE3ELNS1_11target_archE908ELNS1_3gpuE7ELNS1_3repE0EEENS1_30default_config_static_selectorELNS0_4arch9wavefront6targetE0EEEvT1_: ; @_ZN7rocprim17ROCPRIM_400000_NS6detail17trampoline_kernelINS0_14default_configENS1_27scan_by_key_config_selectorIj11FixedVectorIiLj4EEEEZZNS1_16scan_by_key_implILNS1_25lookback_scan_determinismE0ELb0ES3_N6thrust23THRUST_200600_302600_NS6detail15normal_iteratorINSB_10device_ptrIjEEEENSD_INSE_IS6_EEEESI_S6_NSB_4plusIvEENSB_8equal_toIvEES6_EE10hipError_tPvRmT2_T3_T4_T5_mT6_T7_P12ihipStream_tbENKUlT_T0_E_clISt17integral_constantIbLb0EES13_EEDaSY_SZ_EUlSY_E_NS1_11comp_targetILNS1_3genE3ELNS1_11target_archE908ELNS1_3gpuE7ELNS1_3repE0EEENS1_30default_config_static_selectorELNS0_4arch9wavefront6targetE0EEEvT1_
; %bb.0:
	.section	.rodata,"a",@progbits
	.p2align	6, 0x0
	.amdhsa_kernel _ZN7rocprim17ROCPRIM_400000_NS6detail17trampoline_kernelINS0_14default_configENS1_27scan_by_key_config_selectorIj11FixedVectorIiLj4EEEEZZNS1_16scan_by_key_implILNS1_25lookback_scan_determinismE0ELb0ES3_N6thrust23THRUST_200600_302600_NS6detail15normal_iteratorINSB_10device_ptrIjEEEENSD_INSE_IS6_EEEESI_S6_NSB_4plusIvEENSB_8equal_toIvEES6_EE10hipError_tPvRmT2_T3_T4_T5_mT6_T7_P12ihipStream_tbENKUlT_T0_E_clISt17integral_constantIbLb0EES13_EEDaSY_SZ_EUlSY_E_NS1_11comp_targetILNS1_3genE3ELNS1_11target_archE908ELNS1_3gpuE7ELNS1_3repE0EEENS1_30default_config_static_selectorELNS0_4arch9wavefront6targetE0EEEvT1_
		.amdhsa_group_segment_fixed_size 0
		.amdhsa_private_segment_fixed_size 0
		.amdhsa_kernarg_size 144
		.amdhsa_user_sgpr_count 2
		.amdhsa_user_sgpr_dispatch_ptr 0
		.amdhsa_user_sgpr_queue_ptr 0
		.amdhsa_user_sgpr_kernarg_segment_ptr 1
		.amdhsa_user_sgpr_dispatch_id 0
		.amdhsa_user_sgpr_kernarg_preload_length 0
		.amdhsa_user_sgpr_kernarg_preload_offset 0
		.amdhsa_user_sgpr_private_segment_size 0
		.amdhsa_wavefront_size32 1
		.amdhsa_uses_dynamic_stack 0
		.amdhsa_enable_private_segment 0
		.amdhsa_system_sgpr_workgroup_id_x 1
		.amdhsa_system_sgpr_workgroup_id_y 0
		.amdhsa_system_sgpr_workgroup_id_z 0
		.amdhsa_system_sgpr_workgroup_info 0
		.amdhsa_system_vgpr_workitem_id 0
		.amdhsa_next_free_vgpr 1
		.amdhsa_next_free_sgpr 1
		.amdhsa_named_barrier_count 0
		.amdhsa_reserve_vcc 0
		.amdhsa_float_round_mode_32 0
		.amdhsa_float_round_mode_16_64 0
		.amdhsa_float_denorm_mode_32 3
		.amdhsa_float_denorm_mode_16_64 3
		.amdhsa_fp16_overflow 0
		.amdhsa_memory_ordered 1
		.amdhsa_forward_progress 1
		.amdhsa_inst_pref_size 0
		.amdhsa_round_robin_scheduling 0
		.amdhsa_exception_fp_ieee_invalid_op 0
		.amdhsa_exception_fp_denorm_src 0
		.amdhsa_exception_fp_ieee_div_zero 0
		.amdhsa_exception_fp_ieee_overflow 0
		.amdhsa_exception_fp_ieee_underflow 0
		.amdhsa_exception_fp_ieee_inexact 0
		.amdhsa_exception_int_div_zero 0
	.end_amdhsa_kernel
	.section	.text._ZN7rocprim17ROCPRIM_400000_NS6detail17trampoline_kernelINS0_14default_configENS1_27scan_by_key_config_selectorIj11FixedVectorIiLj4EEEEZZNS1_16scan_by_key_implILNS1_25lookback_scan_determinismE0ELb0ES3_N6thrust23THRUST_200600_302600_NS6detail15normal_iteratorINSB_10device_ptrIjEEEENSD_INSE_IS6_EEEESI_S6_NSB_4plusIvEENSB_8equal_toIvEES6_EE10hipError_tPvRmT2_T3_T4_T5_mT6_T7_P12ihipStream_tbENKUlT_T0_E_clISt17integral_constantIbLb0EES13_EEDaSY_SZ_EUlSY_E_NS1_11comp_targetILNS1_3genE3ELNS1_11target_archE908ELNS1_3gpuE7ELNS1_3repE0EEENS1_30default_config_static_selectorELNS0_4arch9wavefront6targetE0EEEvT1_,"axG",@progbits,_ZN7rocprim17ROCPRIM_400000_NS6detail17trampoline_kernelINS0_14default_configENS1_27scan_by_key_config_selectorIj11FixedVectorIiLj4EEEEZZNS1_16scan_by_key_implILNS1_25lookback_scan_determinismE0ELb0ES3_N6thrust23THRUST_200600_302600_NS6detail15normal_iteratorINSB_10device_ptrIjEEEENSD_INSE_IS6_EEEESI_S6_NSB_4plusIvEENSB_8equal_toIvEES6_EE10hipError_tPvRmT2_T3_T4_T5_mT6_T7_P12ihipStream_tbENKUlT_T0_E_clISt17integral_constantIbLb0EES13_EEDaSY_SZ_EUlSY_E_NS1_11comp_targetILNS1_3genE3ELNS1_11target_archE908ELNS1_3gpuE7ELNS1_3repE0EEENS1_30default_config_static_selectorELNS0_4arch9wavefront6targetE0EEEvT1_,comdat
.Lfunc_end2037:
	.size	_ZN7rocprim17ROCPRIM_400000_NS6detail17trampoline_kernelINS0_14default_configENS1_27scan_by_key_config_selectorIj11FixedVectorIiLj4EEEEZZNS1_16scan_by_key_implILNS1_25lookback_scan_determinismE0ELb0ES3_N6thrust23THRUST_200600_302600_NS6detail15normal_iteratorINSB_10device_ptrIjEEEENSD_INSE_IS6_EEEESI_S6_NSB_4plusIvEENSB_8equal_toIvEES6_EE10hipError_tPvRmT2_T3_T4_T5_mT6_T7_P12ihipStream_tbENKUlT_T0_E_clISt17integral_constantIbLb0EES13_EEDaSY_SZ_EUlSY_E_NS1_11comp_targetILNS1_3genE3ELNS1_11target_archE908ELNS1_3gpuE7ELNS1_3repE0EEENS1_30default_config_static_selectorELNS0_4arch9wavefront6targetE0EEEvT1_, .Lfunc_end2037-_ZN7rocprim17ROCPRIM_400000_NS6detail17trampoline_kernelINS0_14default_configENS1_27scan_by_key_config_selectorIj11FixedVectorIiLj4EEEEZZNS1_16scan_by_key_implILNS1_25lookback_scan_determinismE0ELb0ES3_N6thrust23THRUST_200600_302600_NS6detail15normal_iteratorINSB_10device_ptrIjEEEENSD_INSE_IS6_EEEESI_S6_NSB_4plusIvEENSB_8equal_toIvEES6_EE10hipError_tPvRmT2_T3_T4_T5_mT6_T7_P12ihipStream_tbENKUlT_T0_E_clISt17integral_constantIbLb0EES13_EEDaSY_SZ_EUlSY_E_NS1_11comp_targetILNS1_3genE3ELNS1_11target_archE908ELNS1_3gpuE7ELNS1_3repE0EEENS1_30default_config_static_selectorELNS0_4arch9wavefront6targetE0EEEvT1_
                                        ; -- End function
	.set _ZN7rocprim17ROCPRIM_400000_NS6detail17trampoline_kernelINS0_14default_configENS1_27scan_by_key_config_selectorIj11FixedVectorIiLj4EEEEZZNS1_16scan_by_key_implILNS1_25lookback_scan_determinismE0ELb0ES3_N6thrust23THRUST_200600_302600_NS6detail15normal_iteratorINSB_10device_ptrIjEEEENSD_INSE_IS6_EEEESI_S6_NSB_4plusIvEENSB_8equal_toIvEES6_EE10hipError_tPvRmT2_T3_T4_T5_mT6_T7_P12ihipStream_tbENKUlT_T0_E_clISt17integral_constantIbLb0EES13_EEDaSY_SZ_EUlSY_E_NS1_11comp_targetILNS1_3genE3ELNS1_11target_archE908ELNS1_3gpuE7ELNS1_3repE0EEENS1_30default_config_static_selectorELNS0_4arch9wavefront6targetE0EEEvT1_.num_vgpr, 0
	.set _ZN7rocprim17ROCPRIM_400000_NS6detail17trampoline_kernelINS0_14default_configENS1_27scan_by_key_config_selectorIj11FixedVectorIiLj4EEEEZZNS1_16scan_by_key_implILNS1_25lookback_scan_determinismE0ELb0ES3_N6thrust23THRUST_200600_302600_NS6detail15normal_iteratorINSB_10device_ptrIjEEEENSD_INSE_IS6_EEEESI_S6_NSB_4plusIvEENSB_8equal_toIvEES6_EE10hipError_tPvRmT2_T3_T4_T5_mT6_T7_P12ihipStream_tbENKUlT_T0_E_clISt17integral_constantIbLb0EES13_EEDaSY_SZ_EUlSY_E_NS1_11comp_targetILNS1_3genE3ELNS1_11target_archE908ELNS1_3gpuE7ELNS1_3repE0EEENS1_30default_config_static_selectorELNS0_4arch9wavefront6targetE0EEEvT1_.num_agpr, 0
	.set _ZN7rocprim17ROCPRIM_400000_NS6detail17trampoline_kernelINS0_14default_configENS1_27scan_by_key_config_selectorIj11FixedVectorIiLj4EEEEZZNS1_16scan_by_key_implILNS1_25lookback_scan_determinismE0ELb0ES3_N6thrust23THRUST_200600_302600_NS6detail15normal_iteratorINSB_10device_ptrIjEEEENSD_INSE_IS6_EEEESI_S6_NSB_4plusIvEENSB_8equal_toIvEES6_EE10hipError_tPvRmT2_T3_T4_T5_mT6_T7_P12ihipStream_tbENKUlT_T0_E_clISt17integral_constantIbLb0EES13_EEDaSY_SZ_EUlSY_E_NS1_11comp_targetILNS1_3genE3ELNS1_11target_archE908ELNS1_3gpuE7ELNS1_3repE0EEENS1_30default_config_static_selectorELNS0_4arch9wavefront6targetE0EEEvT1_.numbered_sgpr, 0
	.set _ZN7rocprim17ROCPRIM_400000_NS6detail17trampoline_kernelINS0_14default_configENS1_27scan_by_key_config_selectorIj11FixedVectorIiLj4EEEEZZNS1_16scan_by_key_implILNS1_25lookback_scan_determinismE0ELb0ES3_N6thrust23THRUST_200600_302600_NS6detail15normal_iteratorINSB_10device_ptrIjEEEENSD_INSE_IS6_EEEESI_S6_NSB_4plusIvEENSB_8equal_toIvEES6_EE10hipError_tPvRmT2_T3_T4_T5_mT6_T7_P12ihipStream_tbENKUlT_T0_E_clISt17integral_constantIbLb0EES13_EEDaSY_SZ_EUlSY_E_NS1_11comp_targetILNS1_3genE3ELNS1_11target_archE908ELNS1_3gpuE7ELNS1_3repE0EEENS1_30default_config_static_selectorELNS0_4arch9wavefront6targetE0EEEvT1_.num_named_barrier, 0
	.set _ZN7rocprim17ROCPRIM_400000_NS6detail17trampoline_kernelINS0_14default_configENS1_27scan_by_key_config_selectorIj11FixedVectorIiLj4EEEEZZNS1_16scan_by_key_implILNS1_25lookback_scan_determinismE0ELb0ES3_N6thrust23THRUST_200600_302600_NS6detail15normal_iteratorINSB_10device_ptrIjEEEENSD_INSE_IS6_EEEESI_S6_NSB_4plusIvEENSB_8equal_toIvEES6_EE10hipError_tPvRmT2_T3_T4_T5_mT6_T7_P12ihipStream_tbENKUlT_T0_E_clISt17integral_constantIbLb0EES13_EEDaSY_SZ_EUlSY_E_NS1_11comp_targetILNS1_3genE3ELNS1_11target_archE908ELNS1_3gpuE7ELNS1_3repE0EEENS1_30default_config_static_selectorELNS0_4arch9wavefront6targetE0EEEvT1_.private_seg_size, 0
	.set _ZN7rocprim17ROCPRIM_400000_NS6detail17trampoline_kernelINS0_14default_configENS1_27scan_by_key_config_selectorIj11FixedVectorIiLj4EEEEZZNS1_16scan_by_key_implILNS1_25lookback_scan_determinismE0ELb0ES3_N6thrust23THRUST_200600_302600_NS6detail15normal_iteratorINSB_10device_ptrIjEEEENSD_INSE_IS6_EEEESI_S6_NSB_4plusIvEENSB_8equal_toIvEES6_EE10hipError_tPvRmT2_T3_T4_T5_mT6_T7_P12ihipStream_tbENKUlT_T0_E_clISt17integral_constantIbLb0EES13_EEDaSY_SZ_EUlSY_E_NS1_11comp_targetILNS1_3genE3ELNS1_11target_archE908ELNS1_3gpuE7ELNS1_3repE0EEENS1_30default_config_static_selectorELNS0_4arch9wavefront6targetE0EEEvT1_.uses_vcc, 0
	.set _ZN7rocprim17ROCPRIM_400000_NS6detail17trampoline_kernelINS0_14default_configENS1_27scan_by_key_config_selectorIj11FixedVectorIiLj4EEEEZZNS1_16scan_by_key_implILNS1_25lookback_scan_determinismE0ELb0ES3_N6thrust23THRUST_200600_302600_NS6detail15normal_iteratorINSB_10device_ptrIjEEEENSD_INSE_IS6_EEEESI_S6_NSB_4plusIvEENSB_8equal_toIvEES6_EE10hipError_tPvRmT2_T3_T4_T5_mT6_T7_P12ihipStream_tbENKUlT_T0_E_clISt17integral_constantIbLb0EES13_EEDaSY_SZ_EUlSY_E_NS1_11comp_targetILNS1_3genE3ELNS1_11target_archE908ELNS1_3gpuE7ELNS1_3repE0EEENS1_30default_config_static_selectorELNS0_4arch9wavefront6targetE0EEEvT1_.uses_flat_scratch, 0
	.set _ZN7rocprim17ROCPRIM_400000_NS6detail17trampoline_kernelINS0_14default_configENS1_27scan_by_key_config_selectorIj11FixedVectorIiLj4EEEEZZNS1_16scan_by_key_implILNS1_25lookback_scan_determinismE0ELb0ES3_N6thrust23THRUST_200600_302600_NS6detail15normal_iteratorINSB_10device_ptrIjEEEENSD_INSE_IS6_EEEESI_S6_NSB_4plusIvEENSB_8equal_toIvEES6_EE10hipError_tPvRmT2_T3_T4_T5_mT6_T7_P12ihipStream_tbENKUlT_T0_E_clISt17integral_constantIbLb0EES13_EEDaSY_SZ_EUlSY_E_NS1_11comp_targetILNS1_3genE3ELNS1_11target_archE908ELNS1_3gpuE7ELNS1_3repE0EEENS1_30default_config_static_selectorELNS0_4arch9wavefront6targetE0EEEvT1_.has_dyn_sized_stack, 0
	.set _ZN7rocprim17ROCPRIM_400000_NS6detail17trampoline_kernelINS0_14default_configENS1_27scan_by_key_config_selectorIj11FixedVectorIiLj4EEEEZZNS1_16scan_by_key_implILNS1_25lookback_scan_determinismE0ELb0ES3_N6thrust23THRUST_200600_302600_NS6detail15normal_iteratorINSB_10device_ptrIjEEEENSD_INSE_IS6_EEEESI_S6_NSB_4plusIvEENSB_8equal_toIvEES6_EE10hipError_tPvRmT2_T3_T4_T5_mT6_T7_P12ihipStream_tbENKUlT_T0_E_clISt17integral_constantIbLb0EES13_EEDaSY_SZ_EUlSY_E_NS1_11comp_targetILNS1_3genE3ELNS1_11target_archE908ELNS1_3gpuE7ELNS1_3repE0EEENS1_30default_config_static_selectorELNS0_4arch9wavefront6targetE0EEEvT1_.has_recursion, 0
	.set _ZN7rocprim17ROCPRIM_400000_NS6detail17trampoline_kernelINS0_14default_configENS1_27scan_by_key_config_selectorIj11FixedVectorIiLj4EEEEZZNS1_16scan_by_key_implILNS1_25lookback_scan_determinismE0ELb0ES3_N6thrust23THRUST_200600_302600_NS6detail15normal_iteratorINSB_10device_ptrIjEEEENSD_INSE_IS6_EEEESI_S6_NSB_4plusIvEENSB_8equal_toIvEES6_EE10hipError_tPvRmT2_T3_T4_T5_mT6_T7_P12ihipStream_tbENKUlT_T0_E_clISt17integral_constantIbLb0EES13_EEDaSY_SZ_EUlSY_E_NS1_11comp_targetILNS1_3genE3ELNS1_11target_archE908ELNS1_3gpuE7ELNS1_3repE0EEENS1_30default_config_static_selectorELNS0_4arch9wavefront6targetE0EEEvT1_.has_indirect_call, 0
	.section	.AMDGPU.csdata,"",@progbits
; Kernel info:
; codeLenInByte = 0
; TotalNumSgprs: 0
; NumVgprs: 0
; ScratchSize: 0
; MemoryBound: 0
; FloatMode: 240
; IeeeMode: 1
; LDSByteSize: 0 bytes/workgroup (compile time only)
; SGPRBlocks: 0
; VGPRBlocks: 0
; NumSGPRsForWavesPerEU: 1
; NumVGPRsForWavesPerEU: 1
; NamedBarCnt: 0
; Occupancy: 16
; WaveLimiterHint : 0
; COMPUTE_PGM_RSRC2:SCRATCH_EN: 0
; COMPUTE_PGM_RSRC2:USER_SGPR: 2
; COMPUTE_PGM_RSRC2:TRAP_HANDLER: 0
; COMPUTE_PGM_RSRC2:TGID_X_EN: 1
; COMPUTE_PGM_RSRC2:TGID_Y_EN: 0
; COMPUTE_PGM_RSRC2:TGID_Z_EN: 0
; COMPUTE_PGM_RSRC2:TIDIG_COMP_CNT: 0
	.section	.text._ZN7rocprim17ROCPRIM_400000_NS6detail17trampoline_kernelINS0_14default_configENS1_27scan_by_key_config_selectorIj11FixedVectorIiLj4EEEEZZNS1_16scan_by_key_implILNS1_25lookback_scan_determinismE0ELb0ES3_N6thrust23THRUST_200600_302600_NS6detail15normal_iteratorINSB_10device_ptrIjEEEENSD_INSE_IS6_EEEESI_S6_NSB_4plusIvEENSB_8equal_toIvEES6_EE10hipError_tPvRmT2_T3_T4_T5_mT6_T7_P12ihipStream_tbENKUlT_T0_E_clISt17integral_constantIbLb0EES13_EEDaSY_SZ_EUlSY_E_NS1_11comp_targetILNS1_3genE2ELNS1_11target_archE906ELNS1_3gpuE6ELNS1_3repE0EEENS1_30default_config_static_selectorELNS0_4arch9wavefront6targetE0EEEvT1_,"axG",@progbits,_ZN7rocprim17ROCPRIM_400000_NS6detail17trampoline_kernelINS0_14default_configENS1_27scan_by_key_config_selectorIj11FixedVectorIiLj4EEEEZZNS1_16scan_by_key_implILNS1_25lookback_scan_determinismE0ELb0ES3_N6thrust23THRUST_200600_302600_NS6detail15normal_iteratorINSB_10device_ptrIjEEEENSD_INSE_IS6_EEEESI_S6_NSB_4plusIvEENSB_8equal_toIvEES6_EE10hipError_tPvRmT2_T3_T4_T5_mT6_T7_P12ihipStream_tbENKUlT_T0_E_clISt17integral_constantIbLb0EES13_EEDaSY_SZ_EUlSY_E_NS1_11comp_targetILNS1_3genE2ELNS1_11target_archE906ELNS1_3gpuE6ELNS1_3repE0EEENS1_30default_config_static_selectorELNS0_4arch9wavefront6targetE0EEEvT1_,comdat
	.protected	_ZN7rocprim17ROCPRIM_400000_NS6detail17trampoline_kernelINS0_14default_configENS1_27scan_by_key_config_selectorIj11FixedVectorIiLj4EEEEZZNS1_16scan_by_key_implILNS1_25lookback_scan_determinismE0ELb0ES3_N6thrust23THRUST_200600_302600_NS6detail15normal_iteratorINSB_10device_ptrIjEEEENSD_INSE_IS6_EEEESI_S6_NSB_4plusIvEENSB_8equal_toIvEES6_EE10hipError_tPvRmT2_T3_T4_T5_mT6_T7_P12ihipStream_tbENKUlT_T0_E_clISt17integral_constantIbLb0EES13_EEDaSY_SZ_EUlSY_E_NS1_11comp_targetILNS1_3genE2ELNS1_11target_archE906ELNS1_3gpuE6ELNS1_3repE0EEENS1_30default_config_static_selectorELNS0_4arch9wavefront6targetE0EEEvT1_ ; -- Begin function _ZN7rocprim17ROCPRIM_400000_NS6detail17trampoline_kernelINS0_14default_configENS1_27scan_by_key_config_selectorIj11FixedVectorIiLj4EEEEZZNS1_16scan_by_key_implILNS1_25lookback_scan_determinismE0ELb0ES3_N6thrust23THRUST_200600_302600_NS6detail15normal_iteratorINSB_10device_ptrIjEEEENSD_INSE_IS6_EEEESI_S6_NSB_4plusIvEENSB_8equal_toIvEES6_EE10hipError_tPvRmT2_T3_T4_T5_mT6_T7_P12ihipStream_tbENKUlT_T0_E_clISt17integral_constantIbLb0EES13_EEDaSY_SZ_EUlSY_E_NS1_11comp_targetILNS1_3genE2ELNS1_11target_archE906ELNS1_3gpuE6ELNS1_3repE0EEENS1_30default_config_static_selectorELNS0_4arch9wavefront6targetE0EEEvT1_
	.globl	_ZN7rocprim17ROCPRIM_400000_NS6detail17trampoline_kernelINS0_14default_configENS1_27scan_by_key_config_selectorIj11FixedVectorIiLj4EEEEZZNS1_16scan_by_key_implILNS1_25lookback_scan_determinismE0ELb0ES3_N6thrust23THRUST_200600_302600_NS6detail15normal_iteratorINSB_10device_ptrIjEEEENSD_INSE_IS6_EEEESI_S6_NSB_4plusIvEENSB_8equal_toIvEES6_EE10hipError_tPvRmT2_T3_T4_T5_mT6_T7_P12ihipStream_tbENKUlT_T0_E_clISt17integral_constantIbLb0EES13_EEDaSY_SZ_EUlSY_E_NS1_11comp_targetILNS1_3genE2ELNS1_11target_archE906ELNS1_3gpuE6ELNS1_3repE0EEENS1_30default_config_static_selectorELNS0_4arch9wavefront6targetE0EEEvT1_
	.p2align	8
	.type	_ZN7rocprim17ROCPRIM_400000_NS6detail17trampoline_kernelINS0_14default_configENS1_27scan_by_key_config_selectorIj11FixedVectorIiLj4EEEEZZNS1_16scan_by_key_implILNS1_25lookback_scan_determinismE0ELb0ES3_N6thrust23THRUST_200600_302600_NS6detail15normal_iteratorINSB_10device_ptrIjEEEENSD_INSE_IS6_EEEESI_S6_NSB_4plusIvEENSB_8equal_toIvEES6_EE10hipError_tPvRmT2_T3_T4_T5_mT6_T7_P12ihipStream_tbENKUlT_T0_E_clISt17integral_constantIbLb0EES13_EEDaSY_SZ_EUlSY_E_NS1_11comp_targetILNS1_3genE2ELNS1_11target_archE906ELNS1_3gpuE6ELNS1_3repE0EEENS1_30default_config_static_selectorELNS0_4arch9wavefront6targetE0EEEvT1_,@function
_ZN7rocprim17ROCPRIM_400000_NS6detail17trampoline_kernelINS0_14default_configENS1_27scan_by_key_config_selectorIj11FixedVectorIiLj4EEEEZZNS1_16scan_by_key_implILNS1_25lookback_scan_determinismE0ELb0ES3_N6thrust23THRUST_200600_302600_NS6detail15normal_iteratorINSB_10device_ptrIjEEEENSD_INSE_IS6_EEEESI_S6_NSB_4plusIvEENSB_8equal_toIvEES6_EE10hipError_tPvRmT2_T3_T4_T5_mT6_T7_P12ihipStream_tbENKUlT_T0_E_clISt17integral_constantIbLb0EES13_EEDaSY_SZ_EUlSY_E_NS1_11comp_targetILNS1_3genE2ELNS1_11target_archE906ELNS1_3gpuE6ELNS1_3repE0EEENS1_30default_config_static_selectorELNS0_4arch9wavefront6targetE0EEEvT1_: ; @_ZN7rocprim17ROCPRIM_400000_NS6detail17trampoline_kernelINS0_14default_configENS1_27scan_by_key_config_selectorIj11FixedVectorIiLj4EEEEZZNS1_16scan_by_key_implILNS1_25lookback_scan_determinismE0ELb0ES3_N6thrust23THRUST_200600_302600_NS6detail15normal_iteratorINSB_10device_ptrIjEEEENSD_INSE_IS6_EEEESI_S6_NSB_4plusIvEENSB_8equal_toIvEES6_EE10hipError_tPvRmT2_T3_T4_T5_mT6_T7_P12ihipStream_tbENKUlT_T0_E_clISt17integral_constantIbLb0EES13_EEDaSY_SZ_EUlSY_E_NS1_11comp_targetILNS1_3genE2ELNS1_11target_archE906ELNS1_3gpuE6ELNS1_3repE0EEENS1_30default_config_static_selectorELNS0_4arch9wavefront6targetE0EEEvT1_
; %bb.0:
	.section	.rodata,"a",@progbits
	.p2align	6, 0x0
	.amdhsa_kernel _ZN7rocprim17ROCPRIM_400000_NS6detail17trampoline_kernelINS0_14default_configENS1_27scan_by_key_config_selectorIj11FixedVectorIiLj4EEEEZZNS1_16scan_by_key_implILNS1_25lookback_scan_determinismE0ELb0ES3_N6thrust23THRUST_200600_302600_NS6detail15normal_iteratorINSB_10device_ptrIjEEEENSD_INSE_IS6_EEEESI_S6_NSB_4plusIvEENSB_8equal_toIvEES6_EE10hipError_tPvRmT2_T3_T4_T5_mT6_T7_P12ihipStream_tbENKUlT_T0_E_clISt17integral_constantIbLb0EES13_EEDaSY_SZ_EUlSY_E_NS1_11comp_targetILNS1_3genE2ELNS1_11target_archE906ELNS1_3gpuE6ELNS1_3repE0EEENS1_30default_config_static_selectorELNS0_4arch9wavefront6targetE0EEEvT1_
		.amdhsa_group_segment_fixed_size 0
		.amdhsa_private_segment_fixed_size 0
		.amdhsa_kernarg_size 144
		.amdhsa_user_sgpr_count 2
		.amdhsa_user_sgpr_dispatch_ptr 0
		.amdhsa_user_sgpr_queue_ptr 0
		.amdhsa_user_sgpr_kernarg_segment_ptr 1
		.amdhsa_user_sgpr_dispatch_id 0
		.amdhsa_user_sgpr_kernarg_preload_length 0
		.amdhsa_user_sgpr_kernarg_preload_offset 0
		.amdhsa_user_sgpr_private_segment_size 0
		.amdhsa_wavefront_size32 1
		.amdhsa_uses_dynamic_stack 0
		.amdhsa_enable_private_segment 0
		.amdhsa_system_sgpr_workgroup_id_x 1
		.amdhsa_system_sgpr_workgroup_id_y 0
		.amdhsa_system_sgpr_workgroup_id_z 0
		.amdhsa_system_sgpr_workgroup_info 0
		.amdhsa_system_vgpr_workitem_id 0
		.amdhsa_next_free_vgpr 1
		.amdhsa_next_free_sgpr 1
		.amdhsa_named_barrier_count 0
		.amdhsa_reserve_vcc 0
		.amdhsa_float_round_mode_32 0
		.amdhsa_float_round_mode_16_64 0
		.amdhsa_float_denorm_mode_32 3
		.amdhsa_float_denorm_mode_16_64 3
		.amdhsa_fp16_overflow 0
		.amdhsa_memory_ordered 1
		.amdhsa_forward_progress 1
		.amdhsa_inst_pref_size 0
		.amdhsa_round_robin_scheduling 0
		.amdhsa_exception_fp_ieee_invalid_op 0
		.amdhsa_exception_fp_denorm_src 0
		.amdhsa_exception_fp_ieee_div_zero 0
		.amdhsa_exception_fp_ieee_overflow 0
		.amdhsa_exception_fp_ieee_underflow 0
		.amdhsa_exception_fp_ieee_inexact 0
		.amdhsa_exception_int_div_zero 0
	.end_amdhsa_kernel
	.section	.text._ZN7rocprim17ROCPRIM_400000_NS6detail17trampoline_kernelINS0_14default_configENS1_27scan_by_key_config_selectorIj11FixedVectorIiLj4EEEEZZNS1_16scan_by_key_implILNS1_25lookback_scan_determinismE0ELb0ES3_N6thrust23THRUST_200600_302600_NS6detail15normal_iteratorINSB_10device_ptrIjEEEENSD_INSE_IS6_EEEESI_S6_NSB_4plusIvEENSB_8equal_toIvEES6_EE10hipError_tPvRmT2_T3_T4_T5_mT6_T7_P12ihipStream_tbENKUlT_T0_E_clISt17integral_constantIbLb0EES13_EEDaSY_SZ_EUlSY_E_NS1_11comp_targetILNS1_3genE2ELNS1_11target_archE906ELNS1_3gpuE6ELNS1_3repE0EEENS1_30default_config_static_selectorELNS0_4arch9wavefront6targetE0EEEvT1_,"axG",@progbits,_ZN7rocprim17ROCPRIM_400000_NS6detail17trampoline_kernelINS0_14default_configENS1_27scan_by_key_config_selectorIj11FixedVectorIiLj4EEEEZZNS1_16scan_by_key_implILNS1_25lookback_scan_determinismE0ELb0ES3_N6thrust23THRUST_200600_302600_NS6detail15normal_iteratorINSB_10device_ptrIjEEEENSD_INSE_IS6_EEEESI_S6_NSB_4plusIvEENSB_8equal_toIvEES6_EE10hipError_tPvRmT2_T3_T4_T5_mT6_T7_P12ihipStream_tbENKUlT_T0_E_clISt17integral_constantIbLb0EES13_EEDaSY_SZ_EUlSY_E_NS1_11comp_targetILNS1_3genE2ELNS1_11target_archE906ELNS1_3gpuE6ELNS1_3repE0EEENS1_30default_config_static_selectorELNS0_4arch9wavefront6targetE0EEEvT1_,comdat
.Lfunc_end2038:
	.size	_ZN7rocprim17ROCPRIM_400000_NS6detail17trampoline_kernelINS0_14default_configENS1_27scan_by_key_config_selectorIj11FixedVectorIiLj4EEEEZZNS1_16scan_by_key_implILNS1_25lookback_scan_determinismE0ELb0ES3_N6thrust23THRUST_200600_302600_NS6detail15normal_iteratorINSB_10device_ptrIjEEEENSD_INSE_IS6_EEEESI_S6_NSB_4plusIvEENSB_8equal_toIvEES6_EE10hipError_tPvRmT2_T3_T4_T5_mT6_T7_P12ihipStream_tbENKUlT_T0_E_clISt17integral_constantIbLb0EES13_EEDaSY_SZ_EUlSY_E_NS1_11comp_targetILNS1_3genE2ELNS1_11target_archE906ELNS1_3gpuE6ELNS1_3repE0EEENS1_30default_config_static_selectorELNS0_4arch9wavefront6targetE0EEEvT1_, .Lfunc_end2038-_ZN7rocprim17ROCPRIM_400000_NS6detail17trampoline_kernelINS0_14default_configENS1_27scan_by_key_config_selectorIj11FixedVectorIiLj4EEEEZZNS1_16scan_by_key_implILNS1_25lookback_scan_determinismE0ELb0ES3_N6thrust23THRUST_200600_302600_NS6detail15normal_iteratorINSB_10device_ptrIjEEEENSD_INSE_IS6_EEEESI_S6_NSB_4plusIvEENSB_8equal_toIvEES6_EE10hipError_tPvRmT2_T3_T4_T5_mT6_T7_P12ihipStream_tbENKUlT_T0_E_clISt17integral_constantIbLb0EES13_EEDaSY_SZ_EUlSY_E_NS1_11comp_targetILNS1_3genE2ELNS1_11target_archE906ELNS1_3gpuE6ELNS1_3repE0EEENS1_30default_config_static_selectorELNS0_4arch9wavefront6targetE0EEEvT1_
                                        ; -- End function
	.set _ZN7rocprim17ROCPRIM_400000_NS6detail17trampoline_kernelINS0_14default_configENS1_27scan_by_key_config_selectorIj11FixedVectorIiLj4EEEEZZNS1_16scan_by_key_implILNS1_25lookback_scan_determinismE0ELb0ES3_N6thrust23THRUST_200600_302600_NS6detail15normal_iteratorINSB_10device_ptrIjEEEENSD_INSE_IS6_EEEESI_S6_NSB_4plusIvEENSB_8equal_toIvEES6_EE10hipError_tPvRmT2_T3_T4_T5_mT6_T7_P12ihipStream_tbENKUlT_T0_E_clISt17integral_constantIbLb0EES13_EEDaSY_SZ_EUlSY_E_NS1_11comp_targetILNS1_3genE2ELNS1_11target_archE906ELNS1_3gpuE6ELNS1_3repE0EEENS1_30default_config_static_selectorELNS0_4arch9wavefront6targetE0EEEvT1_.num_vgpr, 0
	.set _ZN7rocprim17ROCPRIM_400000_NS6detail17trampoline_kernelINS0_14default_configENS1_27scan_by_key_config_selectorIj11FixedVectorIiLj4EEEEZZNS1_16scan_by_key_implILNS1_25lookback_scan_determinismE0ELb0ES3_N6thrust23THRUST_200600_302600_NS6detail15normal_iteratorINSB_10device_ptrIjEEEENSD_INSE_IS6_EEEESI_S6_NSB_4plusIvEENSB_8equal_toIvEES6_EE10hipError_tPvRmT2_T3_T4_T5_mT6_T7_P12ihipStream_tbENKUlT_T0_E_clISt17integral_constantIbLb0EES13_EEDaSY_SZ_EUlSY_E_NS1_11comp_targetILNS1_3genE2ELNS1_11target_archE906ELNS1_3gpuE6ELNS1_3repE0EEENS1_30default_config_static_selectorELNS0_4arch9wavefront6targetE0EEEvT1_.num_agpr, 0
	.set _ZN7rocprim17ROCPRIM_400000_NS6detail17trampoline_kernelINS0_14default_configENS1_27scan_by_key_config_selectorIj11FixedVectorIiLj4EEEEZZNS1_16scan_by_key_implILNS1_25lookback_scan_determinismE0ELb0ES3_N6thrust23THRUST_200600_302600_NS6detail15normal_iteratorINSB_10device_ptrIjEEEENSD_INSE_IS6_EEEESI_S6_NSB_4plusIvEENSB_8equal_toIvEES6_EE10hipError_tPvRmT2_T3_T4_T5_mT6_T7_P12ihipStream_tbENKUlT_T0_E_clISt17integral_constantIbLb0EES13_EEDaSY_SZ_EUlSY_E_NS1_11comp_targetILNS1_3genE2ELNS1_11target_archE906ELNS1_3gpuE6ELNS1_3repE0EEENS1_30default_config_static_selectorELNS0_4arch9wavefront6targetE0EEEvT1_.numbered_sgpr, 0
	.set _ZN7rocprim17ROCPRIM_400000_NS6detail17trampoline_kernelINS0_14default_configENS1_27scan_by_key_config_selectorIj11FixedVectorIiLj4EEEEZZNS1_16scan_by_key_implILNS1_25lookback_scan_determinismE0ELb0ES3_N6thrust23THRUST_200600_302600_NS6detail15normal_iteratorINSB_10device_ptrIjEEEENSD_INSE_IS6_EEEESI_S6_NSB_4plusIvEENSB_8equal_toIvEES6_EE10hipError_tPvRmT2_T3_T4_T5_mT6_T7_P12ihipStream_tbENKUlT_T0_E_clISt17integral_constantIbLb0EES13_EEDaSY_SZ_EUlSY_E_NS1_11comp_targetILNS1_3genE2ELNS1_11target_archE906ELNS1_3gpuE6ELNS1_3repE0EEENS1_30default_config_static_selectorELNS0_4arch9wavefront6targetE0EEEvT1_.num_named_barrier, 0
	.set _ZN7rocprim17ROCPRIM_400000_NS6detail17trampoline_kernelINS0_14default_configENS1_27scan_by_key_config_selectorIj11FixedVectorIiLj4EEEEZZNS1_16scan_by_key_implILNS1_25lookback_scan_determinismE0ELb0ES3_N6thrust23THRUST_200600_302600_NS6detail15normal_iteratorINSB_10device_ptrIjEEEENSD_INSE_IS6_EEEESI_S6_NSB_4plusIvEENSB_8equal_toIvEES6_EE10hipError_tPvRmT2_T3_T4_T5_mT6_T7_P12ihipStream_tbENKUlT_T0_E_clISt17integral_constantIbLb0EES13_EEDaSY_SZ_EUlSY_E_NS1_11comp_targetILNS1_3genE2ELNS1_11target_archE906ELNS1_3gpuE6ELNS1_3repE0EEENS1_30default_config_static_selectorELNS0_4arch9wavefront6targetE0EEEvT1_.private_seg_size, 0
	.set _ZN7rocprim17ROCPRIM_400000_NS6detail17trampoline_kernelINS0_14default_configENS1_27scan_by_key_config_selectorIj11FixedVectorIiLj4EEEEZZNS1_16scan_by_key_implILNS1_25lookback_scan_determinismE0ELb0ES3_N6thrust23THRUST_200600_302600_NS6detail15normal_iteratorINSB_10device_ptrIjEEEENSD_INSE_IS6_EEEESI_S6_NSB_4plusIvEENSB_8equal_toIvEES6_EE10hipError_tPvRmT2_T3_T4_T5_mT6_T7_P12ihipStream_tbENKUlT_T0_E_clISt17integral_constantIbLb0EES13_EEDaSY_SZ_EUlSY_E_NS1_11comp_targetILNS1_3genE2ELNS1_11target_archE906ELNS1_3gpuE6ELNS1_3repE0EEENS1_30default_config_static_selectorELNS0_4arch9wavefront6targetE0EEEvT1_.uses_vcc, 0
	.set _ZN7rocprim17ROCPRIM_400000_NS6detail17trampoline_kernelINS0_14default_configENS1_27scan_by_key_config_selectorIj11FixedVectorIiLj4EEEEZZNS1_16scan_by_key_implILNS1_25lookback_scan_determinismE0ELb0ES3_N6thrust23THRUST_200600_302600_NS6detail15normal_iteratorINSB_10device_ptrIjEEEENSD_INSE_IS6_EEEESI_S6_NSB_4plusIvEENSB_8equal_toIvEES6_EE10hipError_tPvRmT2_T3_T4_T5_mT6_T7_P12ihipStream_tbENKUlT_T0_E_clISt17integral_constantIbLb0EES13_EEDaSY_SZ_EUlSY_E_NS1_11comp_targetILNS1_3genE2ELNS1_11target_archE906ELNS1_3gpuE6ELNS1_3repE0EEENS1_30default_config_static_selectorELNS0_4arch9wavefront6targetE0EEEvT1_.uses_flat_scratch, 0
	.set _ZN7rocprim17ROCPRIM_400000_NS6detail17trampoline_kernelINS0_14default_configENS1_27scan_by_key_config_selectorIj11FixedVectorIiLj4EEEEZZNS1_16scan_by_key_implILNS1_25lookback_scan_determinismE0ELb0ES3_N6thrust23THRUST_200600_302600_NS6detail15normal_iteratorINSB_10device_ptrIjEEEENSD_INSE_IS6_EEEESI_S6_NSB_4plusIvEENSB_8equal_toIvEES6_EE10hipError_tPvRmT2_T3_T4_T5_mT6_T7_P12ihipStream_tbENKUlT_T0_E_clISt17integral_constantIbLb0EES13_EEDaSY_SZ_EUlSY_E_NS1_11comp_targetILNS1_3genE2ELNS1_11target_archE906ELNS1_3gpuE6ELNS1_3repE0EEENS1_30default_config_static_selectorELNS0_4arch9wavefront6targetE0EEEvT1_.has_dyn_sized_stack, 0
	.set _ZN7rocprim17ROCPRIM_400000_NS6detail17trampoline_kernelINS0_14default_configENS1_27scan_by_key_config_selectorIj11FixedVectorIiLj4EEEEZZNS1_16scan_by_key_implILNS1_25lookback_scan_determinismE0ELb0ES3_N6thrust23THRUST_200600_302600_NS6detail15normal_iteratorINSB_10device_ptrIjEEEENSD_INSE_IS6_EEEESI_S6_NSB_4plusIvEENSB_8equal_toIvEES6_EE10hipError_tPvRmT2_T3_T4_T5_mT6_T7_P12ihipStream_tbENKUlT_T0_E_clISt17integral_constantIbLb0EES13_EEDaSY_SZ_EUlSY_E_NS1_11comp_targetILNS1_3genE2ELNS1_11target_archE906ELNS1_3gpuE6ELNS1_3repE0EEENS1_30default_config_static_selectorELNS0_4arch9wavefront6targetE0EEEvT1_.has_recursion, 0
	.set _ZN7rocprim17ROCPRIM_400000_NS6detail17trampoline_kernelINS0_14default_configENS1_27scan_by_key_config_selectorIj11FixedVectorIiLj4EEEEZZNS1_16scan_by_key_implILNS1_25lookback_scan_determinismE0ELb0ES3_N6thrust23THRUST_200600_302600_NS6detail15normal_iteratorINSB_10device_ptrIjEEEENSD_INSE_IS6_EEEESI_S6_NSB_4plusIvEENSB_8equal_toIvEES6_EE10hipError_tPvRmT2_T3_T4_T5_mT6_T7_P12ihipStream_tbENKUlT_T0_E_clISt17integral_constantIbLb0EES13_EEDaSY_SZ_EUlSY_E_NS1_11comp_targetILNS1_3genE2ELNS1_11target_archE906ELNS1_3gpuE6ELNS1_3repE0EEENS1_30default_config_static_selectorELNS0_4arch9wavefront6targetE0EEEvT1_.has_indirect_call, 0
	.section	.AMDGPU.csdata,"",@progbits
; Kernel info:
; codeLenInByte = 0
; TotalNumSgprs: 0
; NumVgprs: 0
; ScratchSize: 0
; MemoryBound: 0
; FloatMode: 240
; IeeeMode: 1
; LDSByteSize: 0 bytes/workgroup (compile time only)
; SGPRBlocks: 0
; VGPRBlocks: 0
; NumSGPRsForWavesPerEU: 1
; NumVGPRsForWavesPerEU: 1
; NamedBarCnt: 0
; Occupancy: 16
; WaveLimiterHint : 0
; COMPUTE_PGM_RSRC2:SCRATCH_EN: 0
; COMPUTE_PGM_RSRC2:USER_SGPR: 2
; COMPUTE_PGM_RSRC2:TRAP_HANDLER: 0
; COMPUTE_PGM_RSRC2:TGID_X_EN: 1
; COMPUTE_PGM_RSRC2:TGID_Y_EN: 0
; COMPUTE_PGM_RSRC2:TGID_Z_EN: 0
; COMPUTE_PGM_RSRC2:TIDIG_COMP_CNT: 0
	.section	.text._ZN7rocprim17ROCPRIM_400000_NS6detail17trampoline_kernelINS0_14default_configENS1_27scan_by_key_config_selectorIj11FixedVectorIiLj4EEEEZZNS1_16scan_by_key_implILNS1_25lookback_scan_determinismE0ELb0ES3_N6thrust23THRUST_200600_302600_NS6detail15normal_iteratorINSB_10device_ptrIjEEEENSD_INSE_IS6_EEEESI_S6_NSB_4plusIvEENSB_8equal_toIvEES6_EE10hipError_tPvRmT2_T3_T4_T5_mT6_T7_P12ihipStream_tbENKUlT_T0_E_clISt17integral_constantIbLb0EES13_EEDaSY_SZ_EUlSY_E_NS1_11comp_targetILNS1_3genE10ELNS1_11target_archE1200ELNS1_3gpuE4ELNS1_3repE0EEENS1_30default_config_static_selectorELNS0_4arch9wavefront6targetE0EEEvT1_,"axG",@progbits,_ZN7rocprim17ROCPRIM_400000_NS6detail17trampoline_kernelINS0_14default_configENS1_27scan_by_key_config_selectorIj11FixedVectorIiLj4EEEEZZNS1_16scan_by_key_implILNS1_25lookback_scan_determinismE0ELb0ES3_N6thrust23THRUST_200600_302600_NS6detail15normal_iteratorINSB_10device_ptrIjEEEENSD_INSE_IS6_EEEESI_S6_NSB_4plusIvEENSB_8equal_toIvEES6_EE10hipError_tPvRmT2_T3_T4_T5_mT6_T7_P12ihipStream_tbENKUlT_T0_E_clISt17integral_constantIbLb0EES13_EEDaSY_SZ_EUlSY_E_NS1_11comp_targetILNS1_3genE10ELNS1_11target_archE1200ELNS1_3gpuE4ELNS1_3repE0EEENS1_30default_config_static_selectorELNS0_4arch9wavefront6targetE0EEEvT1_,comdat
	.protected	_ZN7rocprim17ROCPRIM_400000_NS6detail17trampoline_kernelINS0_14default_configENS1_27scan_by_key_config_selectorIj11FixedVectorIiLj4EEEEZZNS1_16scan_by_key_implILNS1_25lookback_scan_determinismE0ELb0ES3_N6thrust23THRUST_200600_302600_NS6detail15normal_iteratorINSB_10device_ptrIjEEEENSD_INSE_IS6_EEEESI_S6_NSB_4plusIvEENSB_8equal_toIvEES6_EE10hipError_tPvRmT2_T3_T4_T5_mT6_T7_P12ihipStream_tbENKUlT_T0_E_clISt17integral_constantIbLb0EES13_EEDaSY_SZ_EUlSY_E_NS1_11comp_targetILNS1_3genE10ELNS1_11target_archE1200ELNS1_3gpuE4ELNS1_3repE0EEENS1_30default_config_static_selectorELNS0_4arch9wavefront6targetE0EEEvT1_ ; -- Begin function _ZN7rocprim17ROCPRIM_400000_NS6detail17trampoline_kernelINS0_14default_configENS1_27scan_by_key_config_selectorIj11FixedVectorIiLj4EEEEZZNS1_16scan_by_key_implILNS1_25lookback_scan_determinismE0ELb0ES3_N6thrust23THRUST_200600_302600_NS6detail15normal_iteratorINSB_10device_ptrIjEEEENSD_INSE_IS6_EEEESI_S6_NSB_4plusIvEENSB_8equal_toIvEES6_EE10hipError_tPvRmT2_T3_T4_T5_mT6_T7_P12ihipStream_tbENKUlT_T0_E_clISt17integral_constantIbLb0EES13_EEDaSY_SZ_EUlSY_E_NS1_11comp_targetILNS1_3genE10ELNS1_11target_archE1200ELNS1_3gpuE4ELNS1_3repE0EEENS1_30default_config_static_selectorELNS0_4arch9wavefront6targetE0EEEvT1_
	.globl	_ZN7rocprim17ROCPRIM_400000_NS6detail17trampoline_kernelINS0_14default_configENS1_27scan_by_key_config_selectorIj11FixedVectorIiLj4EEEEZZNS1_16scan_by_key_implILNS1_25lookback_scan_determinismE0ELb0ES3_N6thrust23THRUST_200600_302600_NS6detail15normal_iteratorINSB_10device_ptrIjEEEENSD_INSE_IS6_EEEESI_S6_NSB_4plusIvEENSB_8equal_toIvEES6_EE10hipError_tPvRmT2_T3_T4_T5_mT6_T7_P12ihipStream_tbENKUlT_T0_E_clISt17integral_constantIbLb0EES13_EEDaSY_SZ_EUlSY_E_NS1_11comp_targetILNS1_3genE10ELNS1_11target_archE1200ELNS1_3gpuE4ELNS1_3repE0EEENS1_30default_config_static_selectorELNS0_4arch9wavefront6targetE0EEEvT1_
	.p2align	8
	.type	_ZN7rocprim17ROCPRIM_400000_NS6detail17trampoline_kernelINS0_14default_configENS1_27scan_by_key_config_selectorIj11FixedVectorIiLj4EEEEZZNS1_16scan_by_key_implILNS1_25lookback_scan_determinismE0ELb0ES3_N6thrust23THRUST_200600_302600_NS6detail15normal_iteratorINSB_10device_ptrIjEEEENSD_INSE_IS6_EEEESI_S6_NSB_4plusIvEENSB_8equal_toIvEES6_EE10hipError_tPvRmT2_T3_T4_T5_mT6_T7_P12ihipStream_tbENKUlT_T0_E_clISt17integral_constantIbLb0EES13_EEDaSY_SZ_EUlSY_E_NS1_11comp_targetILNS1_3genE10ELNS1_11target_archE1200ELNS1_3gpuE4ELNS1_3repE0EEENS1_30default_config_static_selectorELNS0_4arch9wavefront6targetE0EEEvT1_,@function
_ZN7rocprim17ROCPRIM_400000_NS6detail17trampoline_kernelINS0_14default_configENS1_27scan_by_key_config_selectorIj11FixedVectorIiLj4EEEEZZNS1_16scan_by_key_implILNS1_25lookback_scan_determinismE0ELb0ES3_N6thrust23THRUST_200600_302600_NS6detail15normal_iteratorINSB_10device_ptrIjEEEENSD_INSE_IS6_EEEESI_S6_NSB_4plusIvEENSB_8equal_toIvEES6_EE10hipError_tPvRmT2_T3_T4_T5_mT6_T7_P12ihipStream_tbENKUlT_T0_E_clISt17integral_constantIbLb0EES13_EEDaSY_SZ_EUlSY_E_NS1_11comp_targetILNS1_3genE10ELNS1_11target_archE1200ELNS1_3gpuE4ELNS1_3repE0EEENS1_30default_config_static_selectorELNS0_4arch9wavefront6targetE0EEEvT1_: ; @_ZN7rocprim17ROCPRIM_400000_NS6detail17trampoline_kernelINS0_14default_configENS1_27scan_by_key_config_selectorIj11FixedVectorIiLj4EEEEZZNS1_16scan_by_key_implILNS1_25lookback_scan_determinismE0ELb0ES3_N6thrust23THRUST_200600_302600_NS6detail15normal_iteratorINSB_10device_ptrIjEEEENSD_INSE_IS6_EEEESI_S6_NSB_4plusIvEENSB_8equal_toIvEES6_EE10hipError_tPvRmT2_T3_T4_T5_mT6_T7_P12ihipStream_tbENKUlT_T0_E_clISt17integral_constantIbLb0EES13_EEDaSY_SZ_EUlSY_E_NS1_11comp_targetILNS1_3genE10ELNS1_11target_archE1200ELNS1_3gpuE4ELNS1_3repE0EEENS1_30default_config_static_selectorELNS0_4arch9wavefront6targetE0EEEvT1_
; %bb.0:
	.section	.rodata,"a",@progbits
	.p2align	6, 0x0
	.amdhsa_kernel _ZN7rocprim17ROCPRIM_400000_NS6detail17trampoline_kernelINS0_14default_configENS1_27scan_by_key_config_selectorIj11FixedVectorIiLj4EEEEZZNS1_16scan_by_key_implILNS1_25lookback_scan_determinismE0ELb0ES3_N6thrust23THRUST_200600_302600_NS6detail15normal_iteratorINSB_10device_ptrIjEEEENSD_INSE_IS6_EEEESI_S6_NSB_4plusIvEENSB_8equal_toIvEES6_EE10hipError_tPvRmT2_T3_T4_T5_mT6_T7_P12ihipStream_tbENKUlT_T0_E_clISt17integral_constantIbLb0EES13_EEDaSY_SZ_EUlSY_E_NS1_11comp_targetILNS1_3genE10ELNS1_11target_archE1200ELNS1_3gpuE4ELNS1_3repE0EEENS1_30default_config_static_selectorELNS0_4arch9wavefront6targetE0EEEvT1_
		.amdhsa_group_segment_fixed_size 0
		.amdhsa_private_segment_fixed_size 0
		.amdhsa_kernarg_size 144
		.amdhsa_user_sgpr_count 2
		.amdhsa_user_sgpr_dispatch_ptr 0
		.amdhsa_user_sgpr_queue_ptr 0
		.amdhsa_user_sgpr_kernarg_segment_ptr 1
		.amdhsa_user_sgpr_dispatch_id 0
		.amdhsa_user_sgpr_kernarg_preload_length 0
		.amdhsa_user_sgpr_kernarg_preload_offset 0
		.amdhsa_user_sgpr_private_segment_size 0
		.amdhsa_wavefront_size32 1
		.amdhsa_uses_dynamic_stack 0
		.amdhsa_enable_private_segment 0
		.amdhsa_system_sgpr_workgroup_id_x 1
		.amdhsa_system_sgpr_workgroup_id_y 0
		.amdhsa_system_sgpr_workgroup_id_z 0
		.amdhsa_system_sgpr_workgroup_info 0
		.amdhsa_system_vgpr_workitem_id 0
		.amdhsa_next_free_vgpr 1
		.amdhsa_next_free_sgpr 1
		.amdhsa_named_barrier_count 0
		.amdhsa_reserve_vcc 0
		.amdhsa_float_round_mode_32 0
		.amdhsa_float_round_mode_16_64 0
		.amdhsa_float_denorm_mode_32 3
		.amdhsa_float_denorm_mode_16_64 3
		.amdhsa_fp16_overflow 0
		.amdhsa_memory_ordered 1
		.amdhsa_forward_progress 1
		.amdhsa_inst_pref_size 0
		.amdhsa_round_robin_scheduling 0
		.amdhsa_exception_fp_ieee_invalid_op 0
		.amdhsa_exception_fp_denorm_src 0
		.amdhsa_exception_fp_ieee_div_zero 0
		.amdhsa_exception_fp_ieee_overflow 0
		.amdhsa_exception_fp_ieee_underflow 0
		.amdhsa_exception_fp_ieee_inexact 0
		.amdhsa_exception_int_div_zero 0
	.end_amdhsa_kernel
	.section	.text._ZN7rocprim17ROCPRIM_400000_NS6detail17trampoline_kernelINS0_14default_configENS1_27scan_by_key_config_selectorIj11FixedVectorIiLj4EEEEZZNS1_16scan_by_key_implILNS1_25lookback_scan_determinismE0ELb0ES3_N6thrust23THRUST_200600_302600_NS6detail15normal_iteratorINSB_10device_ptrIjEEEENSD_INSE_IS6_EEEESI_S6_NSB_4plusIvEENSB_8equal_toIvEES6_EE10hipError_tPvRmT2_T3_T4_T5_mT6_T7_P12ihipStream_tbENKUlT_T0_E_clISt17integral_constantIbLb0EES13_EEDaSY_SZ_EUlSY_E_NS1_11comp_targetILNS1_3genE10ELNS1_11target_archE1200ELNS1_3gpuE4ELNS1_3repE0EEENS1_30default_config_static_selectorELNS0_4arch9wavefront6targetE0EEEvT1_,"axG",@progbits,_ZN7rocprim17ROCPRIM_400000_NS6detail17trampoline_kernelINS0_14default_configENS1_27scan_by_key_config_selectorIj11FixedVectorIiLj4EEEEZZNS1_16scan_by_key_implILNS1_25lookback_scan_determinismE0ELb0ES3_N6thrust23THRUST_200600_302600_NS6detail15normal_iteratorINSB_10device_ptrIjEEEENSD_INSE_IS6_EEEESI_S6_NSB_4plusIvEENSB_8equal_toIvEES6_EE10hipError_tPvRmT2_T3_T4_T5_mT6_T7_P12ihipStream_tbENKUlT_T0_E_clISt17integral_constantIbLb0EES13_EEDaSY_SZ_EUlSY_E_NS1_11comp_targetILNS1_3genE10ELNS1_11target_archE1200ELNS1_3gpuE4ELNS1_3repE0EEENS1_30default_config_static_selectorELNS0_4arch9wavefront6targetE0EEEvT1_,comdat
.Lfunc_end2039:
	.size	_ZN7rocprim17ROCPRIM_400000_NS6detail17trampoline_kernelINS0_14default_configENS1_27scan_by_key_config_selectorIj11FixedVectorIiLj4EEEEZZNS1_16scan_by_key_implILNS1_25lookback_scan_determinismE0ELb0ES3_N6thrust23THRUST_200600_302600_NS6detail15normal_iteratorINSB_10device_ptrIjEEEENSD_INSE_IS6_EEEESI_S6_NSB_4plusIvEENSB_8equal_toIvEES6_EE10hipError_tPvRmT2_T3_T4_T5_mT6_T7_P12ihipStream_tbENKUlT_T0_E_clISt17integral_constantIbLb0EES13_EEDaSY_SZ_EUlSY_E_NS1_11comp_targetILNS1_3genE10ELNS1_11target_archE1200ELNS1_3gpuE4ELNS1_3repE0EEENS1_30default_config_static_selectorELNS0_4arch9wavefront6targetE0EEEvT1_, .Lfunc_end2039-_ZN7rocprim17ROCPRIM_400000_NS6detail17trampoline_kernelINS0_14default_configENS1_27scan_by_key_config_selectorIj11FixedVectorIiLj4EEEEZZNS1_16scan_by_key_implILNS1_25lookback_scan_determinismE0ELb0ES3_N6thrust23THRUST_200600_302600_NS6detail15normal_iteratorINSB_10device_ptrIjEEEENSD_INSE_IS6_EEEESI_S6_NSB_4plusIvEENSB_8equal_toIvEES6_EE10hipError_tPvRmT2_T3_T4_T5_mT6_T7_P12ihipStream_tbENKUlT_T0_E_clISt17integral_constantIbLb0EES13_EEDaSY_SZ_EUlSY_E_NS1_11comp_targetILNS1_3genE10ELNS1_11target_archE1200ELNS1_3gpuE4ELNS1_3repE0EEENS1_30default_config_static_selectorELNS0_4arch9wavefront6targetE0EEEvT1_
                                        ; -- End function
	.set _ZN7rocprim17ROCPRIM_400000_NS6detail17trampoline_kernelINS0_14default_configENS1_27scan_by_key_config_selectorIj11FixedVectorIiLj4EEEEZZNS1_16scan_by_key_implILNS1_25lookback_scan_determinismE0ELb0ES3_N6thrust23THRUST_200600_302600_NS6detail15normal_iteratorINSB_10device_ptrIjEEEENSD_INSE_IS6_EEEESI_S6_NSB_4plusIvEENSB_8equal_toIvEES6_EE10hipError_tPvRmT2_T3_T4_T5_mT6_T7_P12ihipStream_tbENKUlT_T0_E_clISt17integral_constantIbLb0EES13_EEDaSY_SZ_EUlSY_E_NS1_11comp_targetILNS1_3genE10ELNS1_11target_archE1200ELNS1_3gpuE4ELNS1_3repE0EEENS1_30default_config_static_selectorELNS0_4arch9wavefront6targetE0EEEvT1_.num_vgpr, 0
	.set _ZN7rocprim17ROCPRIM_400000_NS6detail17trampoline_kernelINS0_14default_configENS1_27scan_by_key_config_selectorIj11FixedVectorIiLj4EEEEZZNS1_16scan_by_key_implILNS1_25lookback_scan_determinismE0ELb0ES3_N6thrust23THRUST_200600_302600_NS6detail15normal_iteratorINSB_10device_ptrIjEEEENSD_INSE_IS6_EEEESI_S6_NSB_4plusIvEENSB_8equal_toIvEES6_EE10hipError_tPvRmT2_T3_T4_T5_mT6_T7_P12ihipStream_tbENKUlT_T0_E_clISt17integral_constantIbLb0EES13_EEDaSY_SZ_EUlSY_E_NS1_11comp_targetILNS1_3genE10ELNS1_11target_archE1200ELNS1_3gpuE4ELNS1_3repE0EEENS1_30default_config_static_selectorELNS0_4arch9wavefront6targetE0EEEvT1_.num_agpr, 0
	.set _ZN7rocprim17ROCPRIM_400000_NS6detail17trampoline_kernelINS0_14default_configENS1_27scan_by_key_config_selectorIj11FixedVectorIiLj4EEEEZZNS1_16scan_by_key_implILNS1_25lookback_scan_determinismE0ELb0ES3_N6thrust23THRUST_200600_302600_NS6detail15normal_iteratorINSB_10device_ptrIjEEEENSD_INSE_IS6_EEEESI_S6_NSB_4plusIvEENSB_8equal_toIvEES6_EE10hipError_tPvRmT2_T3_T4_T5_mT6_T7_P12ihipStream_tbENKUlT_T0_E_clISt17integral_constantIbLb0EES13_EEDaSY_SZ_EUlSY_E_NS1_11comp_targetILNS1_3genE10ELNS1_11target_archE1200ELNS1_3gpuE4ELNS1_3repE0EEENS1_30default_config_static_selectorELNS0_4arch9wavefront6targetE0EEEvT1_.numbered_sgpr, 0
	.set _ZN7rocprim17ROCPRIM_400000_NS6detail17trampoline_kernelINS0_14default_configENS1_27scan_by_key_config_selectorIj11FixedVectorIiLj4EEEEZZNS1_16scan_by_key_implILNS1_25lookback_scan_determinismE0ELb0ES3_N6thrust23THRUST_200600_302600_NS6detail15normal_iteratorINSB_10device_ptrIjEEEENSD_INSE_IS6_EEEESI_S6_NSB_4plusIvEENSB_8equal_toIvEES6_EE10hipError_tPvRmT2_T3_T4_T5_mT6_T7_P12ihipStream_tbENKUlT_T0_E_clISt17integral_constantIbLb0EES13_EEDaSY_SZ_EUlSY_E_NS1_11comp_targetILNS1_3genE10ELNS1_11target_archE1200ELNS1_3gpuE4ELNS1_3repE0EEENS1_30default_config_static_selectorELNS0_4arch9wavefront6targetE0EEEvT1_.num_named_barrier, 0
	.set _ZN7rocprim17ROCPRIM_400000_NS6detail17trampoline_kernelINS0_14default_configENS1_27scan_by_key_config_selectorIj11FixedVectorIiLj4EEEEZZNS1_16scan_by_key_implILNS1_25lookback_scan_determinismE0ELb0ES3_N6thrust23THRUST_200600_302600_NS6detail15normal_iteratorINSB_10device_ptrIjEEEENSD_INSE_IS6_EEEESI_S6_NSB_4plusIvEENSB_8equal_toIvEES6_EE10hipError_tPvRmT2_T3_T4_T5_mT6_T7_P12ihipStream_tbENKUlT_T0_E_clISt17integral_constantIbLb0EES13_EEDaSY_SZ_EUlSY_E_NS1_11comp_targetILNS1_3genE10ELNS1_11target_archE1200ELNS1_3gpuE4ELNS1_3repE0EEENS1_30default_config_static_selectorELNS0_4arch9wavefront6targetE0EEEvT1_.private_seg_size, 0
	.set _ZN7rocprim17ROCPRIM_400000_NS6detail17trampoline_kernelINS0_14default_configENS1_27scan_by_key_config_selectorIj11FixedVectorIiLj4EEEEZZNS1_16scan_by_key_implILNS1_25lookback_scan_determinismE0ELb0ES3_N6thrust23THRUST_200600_302600_NS6detail15normal_iteratorINSB_10device_ptrIjEEEENSD_INSE_IS6_EEEESI_S6_NSB_4plusIvEENSB_8equal_toIvEES6_EE10hipError_tPvRmT2_T3_T4_T5_mT6_T7_P12ihipStream_tbENKUlT_T0_E_clISt17integral_constantIbLb0EES13_EEDaSY_SZ_EUlSY_E_NS1_11comp_targetILNS1_3genE10ELNS1_11target_archE1200ELNS1_3gpuE4ELNS1_3repE0EEENS1_30default_config_static_selectorELNS0_4arch9wavefront6targetE0EEEvT1_.uses_vcc, 0
	.set _ZN7rocprim17ROCPRIM_400000_NS6detail17trampoline_kernelINS0_14default_configENS1_27scan_by_key_config_selectorIj11FixedVectorIiLj4EEEEZZNS1_16scan_by_key_implILNS1_25lookback_scan_determinismE0ELb0ES3_N6thrust23THRUST_200600_302600_NS6detail15normal_iteratorINSB_10device_ptrIjEEEENSD_INSE_IS6_EEEESI_S6_NSB_4plusIvEENSB_8equal_toIvEES6_EE10hipError_tPvRmT2_T3_T4_T5_mT6_T7_P12ihipStream_tbENKUlT_T0_E_clISt17integral_constantIbLb0EES13_EEDaSY_SZ_EUlSY_E_NS1_11comp_targetILNS1_3genE10ELNS1_11target_archE1200ELNS1_3gpuE4ELNS1_3repE0EEENS1_30default_config_static_selectorELNS0_4arch9wavefront6targetE0EEEvT1_.uses_flat_scratch, 0
	.set _ZN7rocprim17ROCPRIM_400000_NS6detail17trampoline_kernelINS0_14default_configENS1_27scan_by_key_config_selectorIj11FixedVectorIiLj4EEEEZZNS1_16scan_by_key_implILNS1_25lookback_scan_determinismE0ELb0ES3_N6thrust23THRUST_200600_302600_NS6detail15normal_iteratorINSB_10device_ptrIjEEEENSD_INSE_IS6_EEEESI_S6_NSB_4plusIvEENSB_8equal_toIvEES6_EE10hipError_tPvRmT2_T3_T4_T5_mT6_T7_P12ihipStream_tbENKUlT_T0_E_clISt17integral_constantIbLb0EES13_EEDaSY_SZ_EUlSY_E_NS1_11comp_targetILNS1_3genE10ELNS1_11target_archE1200ELNS1_3gpuE4ELNS1_3repE0EEENS1_30default_config_static_selectorELNS0_4arch9wavefront6targetE0EEEvT1_.has_dyn_sized_stack, 0
	.set _ZN7rocprim17ROCPRIM_400000_NS6detail17trampoline_kernelINS0_14default_configENS1_27scan_by_key_config_selectorIj11FixedVectorIiLj4EEEEZZNS1_16scan_by_key_implILNS1_25lookback_scan_determinismE0ELb0ES3_N6thrust23THRUST_200600_302600_NS6detail15normal_iteratorINSB_10device_ptrIjEEEENSD_INSE_IS6_EEEESI_S6_NSB_4plusIvEENSB_8equal_toIvEES6_EE10hipError_tPvRmT2_T3_T4_T5_mT6_T7_P12ihipStream_tbENKUlT_T0_E_clISt17integral_constantIbLb0EES13_EEDaSY_SZ_EUlSY_E_NS1_11comp_targetILNS1_3genE10ELNS1_11target_archE1200ELNS1_3gpuE4ELNS1_3repE0EEENS1_30default_config_static_selectorELNS0_4arch9wavefront6targetE0EEEvT1_.has_recursion, 0
	.set _ZN7rocprim17ROCPRIM_400000_NS6detail17trampoline_kernelINS0_14default_configENS1_27scan_by_key_config_selectorIj11FixedVectorIiLj4EEEEZZNS1_16scan_by_key_implILNS1_25lookback_scan_determinismE0ELb0ES3_N6thrust23THRUST_200600_302600_NS6detail15normal_iteratorINSB_10device_ptrIjEEEENSD_INSE_IS6_EEEESI_S6_NSB_4plusIvEENSB_8equal_toIvEES6_EE10hipError_tPvRmT2_T3_T4_T5_mT6_T7_P12ihipStream_tbENKUlT_T0_E_clISt17integral_constantIbLb0EES13_EEDaSY_SZ_EUlSY_E_NS1_11comp_targetILNS1_3genE10ELNS1_11target_archE1200ELNS1_3gpuE4ELNS1_3repE0EEENS1_30default_config_static_selectorELNS0_4arch9wavefront6targetE0EEEvT1_.has_indirect_call, 0
	.section	.AMDGPU.csdata,"",@progbits
; Kernel info:
; codeLenInByte = 0
; TotalNumSgprs: 0
; NumVgprs: 0
; ScratchSize: 0
; MemoryBound: 0
; FloatMode: 240
; IeeeMode: 1
; LDSByteSize: 0 bytes/workgroup (compile time only)
; SGPRBlocks: 0
; VGPRBlocks: 0
; NumSGPRsForWavesPerEU: 1
; NumVGPRsForWavesPerEU: 1
; NamedBarCnt: 0
; Occupancy: 16
; WaveLimiterHint : 0
; COMPUTE_PGM_RSRC2:SCRATCH_EN: 0
; COMPUTE_PGM_RSRC2:USER_SGPR: 2
; COMPUTE_PGM_RSRC2:TRAP_HANDLER: 0
; COMPUTE_PGM_RSRC2:TGID_X_EN: 1
; COMPUTE_PGM_RSRC2:TGID_Y_EN: 0
; COMPUTE_PGM_RSRC2:TGID_Z_EN: 0
; COMPUTE_PGM_RSRC2:TIDIG_COMP_CNT: 0
	.section	.text._ZN7rocprim17ROCPRIM_400000_NS6detail17trampoline_kernelINS0_14default_configENS1_27scan_by_key_config_selectorIj11FixedVectorIiLj4EEEEZZNS1_16scan_by_key_implILNS1_25lookback_scan_determinismE0ELb0ES3_N6thrust23THRUST_200600_302600_NS6detail15normal_iteratorINSB_10device_ptrIjEEEENSD_INSE_IS6_EEEESI_S6_NSB_4plusIvEENSB_8equal_toIvEES6_EE10hipError_tPvRmT2_T3_T4_T5_mT6_T7_P12ihipStream_tbENKUlT_T0_E_clISt17integral_constantIbLb0EES13_EEDaSY_SZ_EUlSY_E_NS1_11comp_targetILNS1_3genE9ELNS1_11target_archE1100ELNS1_3gpuE3ELNS1_3repE0EEENS1_30default_config_static_selectorELNS0_4arch9wavefront6targetE0EEEvT1_,"axG",@progbits,_ZN7rocprim17ROCPRIM_400000_NS6detail17trampoline_kernelINS0_14default_configENS1_27scan_by_key_config_selectorIj11FixedVectorIiLj4EEEEZZNS1_16scan_by_key_implILNS1_25lookback_scan_determinismE0ELb0ES3_N6thrust23THRUST_200600_302600_NS6detail15normal_iteratorINSB_10device_ptrIjEEEENSD_INSE_IS6_EEEESI_S6_NSB_4plusIvEENSB_8equal_toIvEES6_EE10hipError_tPvRmT2_T3_T4_T5_mT6_T7_P12ihipStream_tbENKUlT_T0_E_clISt17integral_constantIbLb0EES13_EEDaSY_SZ_EUlSY_E_NS1_11comp_targetILNS1_3genE9ELNS1_11target_archE1100ELNS1_3gpuE3ELNS1_3repE0EEENS1_30default_config_static_selectorELNS0_4arch9wavefront6targetE0EEEvT1_,comdat
	.protected	_ZN7rocprim17ROCPRIM_400000_NS6detail17trampoline_kernelINS0_14default_configENS1_27scan_by_key_config_selectorIj11FixedVectorIiLj4EEEEZZNS1_16scan_by_key_implILNS1_25lookback_scan_determinismE0ELb0ES3_N6thrust23THRUST_200600_302600_NS6detail15normal_iteratorINSB_10device_ptrIjEEEENSD_INSE_IS6_EEEESI_S6_NSB_4plusIvEENSB_8equal_toIvEES6_EE10hipError_tPvRmT2_T3_T4_T5_mT6_T7_P12ihipStream_tbENKUlT_T0_E_clISt17integral_constantIbLb0EES13_EEDaSY_SZ_EUlSY_E_NS1_11comp_targetILNS1_3genE9ELNS1_11target_archE1100ELNS1_3gpuE3ELNS1_3repE0EEENS1_30default_config_static_selectorELNS0_4arch9wavefront6targetE0EEEvT1_ ; -- Begin function _ZN7rocprim17ROCPRIM_400000_NS6detail17trampoline_kernelINS0_14default_configENS1_27scan_by_key_config_selectorIj11FixedVectorIiLj4EEEEZZNS1_16scan_by_key_implILNS1_25lookback_scan_determinismE0ELb0ES3_N6thrust23THRUST_200600_302600_NS6detail15normal_iteratorINSB_10device_ptrIjEEEENSD_INSE_IS6_EEEESI_S6_NSB_4plusIvEENSB_8equal_toIvEES6_EE10hipError_tPvRmT2_T3_T4_T5_mT6_T7_P12ihipStream_tbENKUlT_T0_E_clISt17integral_constantIbLb0EES13_EEDaSY_SZ_EUlSY_E_NS1_11comp_targetILNS1_3genE9ELNS1_11target_archE1100ELNS1_3gpuE3ELNS1_3repE0EEENS1_30default_config_static_selectorELNS0_4arch9wavefront6targetE0EEEvT1_
	.globl	_ZN7rocprim17ROCPRIM_400000_NS6detail17trampoline_kernelINS0_14default_configENS1_27scan_by_key_config_selectorIj11FixedVectorIiLj4EEEEZZNS1_16scan_by_key_implILNS1_25lookback_scan_determinismE0ELb0ES3_N6thrust23THRUST_200600_302600_NS6detail15normal_iteratorINSB_10device_ptrIjEEEENSD_INSE_IS6_EEEESI_S6_NSB_4plusIvEENSB_8equal_toIvEES6_EE10hipError_tPvRmT2_T3_T4_T5_mT6_T7_P12ihipStream_tbENKUlT_T0_E_clISt17integral_constantIbLb0EES13_EEDaSY_SZ_EUlSY_E_NS1_11comp_targetILNS1_3genE9ELNS1_11target_archE1100ELNS1_3gpuE3ELNS1_3repE0EEENS1_30default_config_static_selectorELNS0_4arch9wavefront6targetE0EEEvT1_
	.p2align	8
	.type	_ZN7rocprim17ROCPRIM_400000_NS6detail17trampoline_kernelINS0_14default_configENS1_27scan_by_key_config_selectorIj11FixedVectorIiLj4EEEEZZNS1_16scan_by_key_implILNS1_25lookback_scan_determinismE0ELb0ES3_N6thrust23THRUST_200600_302600_NS6detail15normal_iteratorINSB_10device_ptrIjEEEENSD_INSE_IS6_EEEESI_S6_NSB_4plusIvEENSB_8equal_toIvEES6_EE10hipError_tPvRmT2_T3_T4_T5_mT6_T7_P12ihipStream_tbENKUlT_T0_E_clISt17integral_constantIbLb0EES13_EEDaSY_SZ_EUlSY_E_NS1_11comp_targetILNS1_3genE9ELNS1_11target_archE1100ELNS1_3gpuE3ELNS1_3repE0EEENS1_30default_config_static_selectorELNS0_4arch9wavefront6targetE0EEEvT1_,@function
_ZN7rocprim17ROCPRIM_400000_NS6detail17trampoline_kernelINS0_14default_configENS1_27scan_by_key_config_selectorIj11FixedVectorIiLj4EEEEZZNS1_16scan_by_key_implILNS1_25lookback_scan_determinismE0ELb0ES3_N6thrust23THRUST_200600_302600_NS6detail15normal_iteratorINSB_10device_ptrIjEEEENSD_INSE_IS6_EEEESI_S6_NSB_4plusIvEENSB_8equal_toIvEES6_EE10hipError_tPvRmT2_T3_T4_T5_mT6_T7_P12ihipStream_tbENKUlT_T0_E_clISt17integral_constantIbLb0EES13_EEDaSY_SZ_EUlSY_E_NS1_11comp_targetILNS1_3genE9ELNS1_11target_archE1100ELNS1_3gpuE3ELNS1_3repE0EEENS1_30default_config_static_selectorELNS0_4arch9wavefront6targetE0EEEvT1_: ; @_ZN7rocprim17ROCPRIM_400000_NS6detail17trampoline_kernelINS0_14default_configENS1_27scan_by_key_config_selectorIj11FixedVectorIiLj4EEEEZZNS1_16scan_by_key_implILNS1_25lookback_scan_determinismE0ELb0ES3_N6thrust23THRUST_200600_302600_NS6detail15normal_iteratorINSB_10device_ptrIjEEEENSD_INSE_IS6_EEEESI_S6_NSB_4plusIvEENSB_8equal_toIvEES6_EE10hipError_tPvRmT2_T3_T4_T5_mT6_T7_P12ihipStream_tbENKUlT_T0_E_clISt17integral_constantIbLb0EES13_EEDaSY_SZ_EUlSY_E_NS1_11comp_targetILNS1_3genE9ELNS1_11target_archE1100ELNS1_3gpuE3ELNS1_3repE0EEENS1_30default_config_static_selectorELNS0_4arch9wavefront6targetE0EEEvT1_
; %bb.0:
	.section	.rodata,"a",@progbits
	.p2align	6, 0x0
	.amdhsa_kernel _ZN7rocprim17ROCPRIM_400000_NS6detail17trampoline_kernelINS0_14default_configENS1_27scan_by_key_config_selectorIj11FixedVectorIiLj4EEEEZZNS1_16scan_by_key_implILNS1_25lookback_scan_determinismE0ELb0ES3_N6thrust23THRUST_200600_302600_NS6detail15normal_iteratorINSB_10device_ptrIjEEEENSD_INSE_IS6_EEEESI_S6_NSB_4plusIvEENSB_8equal_toIvEES6_EE10hipError_tPvRmT2_T3_T4_T5_mT6_T7_P12ihipStream_tbENKUlT_T0_E_clISt17integral_constantIbLb0EES13_EEDaSY_SZ_EUlSY_E_NS1_11comp_targetILNS1_3genE9ELNS1_11target_archE1100ELNS1_3gpuE3ELNS1_3repE0EEENS1_30default_config_static_selectorELNS0_4arch9wavefront6targetE0EEEvT1_
		.amdhsa_group_segment_fixed_size 0
		.amdhsa_private_segment_fixed_size 0
		.amdhsa_kernarg_size 144
		.amdhsa_user_sgpr_count 2
		.amdhsa_user_sgpr_dispatch_ptr 0
		.amdhsa_user_sgpr_queue_ptr 0
		.amdhsa_user_sgpr_kernarg_segment_ptr 1
		.amdhsa_user_sgpr_dispatch_id 0
		.amdhsa_user_sgpr_kernarg_preload_length 0
		.amdhsa_user_sgpr_kernarg_preload_offset 0
		.amdhsa_user_sgpr_private_segment_size 0
		.amdhsa_wavefront_size32 1
		.amdhsa_uses_dynamic_stack 0
		.amdhsa_enable_private_segment 0
		.amdhsa_system_sgpr_workgroup_id_x 1
		.amdhsa_system_sgpr_workgroup_id_y 0
		.amdhsa_system_sgpr_workgroup_id_z 0
		.amdhsa_system_sgpr_workgroup_info 0
		.amdhsa_system_vgpr_workitem_id 0
		.amdhsa_next_free_vgpr 1
		.amdhsa_next_free_sgpr 1
		.amdhsa_named_barrier_count 0
		.amdhsa_reserve_vcc 0
		.amdhsa_float_round_mode_32 0
		.amdhsa_float_round_mode_16_64 0
		.amdhsa_float_denorm_mode_32 3
		.amdhsa_float_denorm_mode_16_64 3
		.amdhsa_fp16_overflow 0
		.amdhsa_memory_ordered 1
		.amdhsa_forward_progress 1
		.amdhsa_inst_pref_size 0
		.amdhsa_round_robin_scheduling 0
		.amdhsa_exception_fp_ieee_invalid_op 0
		.amdhsa_exception_fp_denorm_src 0
		.amdhsa_exception_fp_ieee_div_zero 0
		.amdhsa_exception_fp_ieee_overflow 0
		.amdhsa_exception_fp_ieee_underflow 0
		.amdhsa_exception_fp_ieee_inexact 0
		.amdhsa_exception_int_div_zero 0
	.end_amdhsa_kernel
	.section	.text._ZN7rocprim17ROCPRIM_400000_NS6detail17trampoline_kernelINS0_14default_configENS1_27scan_by_key_config_selectorIj11FixedVectorIiLj4EEEEZZNS1_16scan_by_key_implILNS1_25lookback_scan_determinismE0ELb0ES3_N6thrust23THRUST_200600_302600_NS6detail15normal_iteratorINSB_10device_ptrIjEEEENSD_INSE_IS6_EEEESI_S6_NSB_4plusIvEENSB_8equal_toIvEES6_EE10hipError_tPvRmT2_T3_T4_T5_mT6_T7_P12ihipStream_tbENKUlT_T0_E_clISt17integral_constantIbLb0EES13_EEDaSY_SZ_EUlSY_E_NS1_11comp_targetILNS1_3genE9ELNS1_11target_archE1100ELNS1_3gpuE3ELNS1_3repE0EEENS1_30default_config_static_selectorELNS0_4arch9wavefront6targetE0EEEvT1_,"axG",@progbits,_ZN7rocprim17ROCPRIM_400000_NS6detail17trampoline_kernelINS0_14default_configENS1_27scan_by_key_config_selectorIj11FixedVectorIiLj4EEEEZZNS1_16scan_by_key_implILNS1_25lookback_scan_determinismE0ELb0ES3_N6thrust23THRUST_200600_302600_NS6detail15normal_iteratorINSB_10device_ptrIjEEEENSD_INSE_IS6_EEEESI_S6_NSB_4plusIvEENSB_8equal_toIvEES6_EE10hipError_tPvRmT2_T3_T4_T5_mT6_T7_P12ihipStream_tbENKUlT_T0_E_clISt17integral_constantIbLb0EES13_EEDaSY_SZ_EUlSY_E_NS1_11comp_targetILNS1_3genE9ELNS1_11target_archE1100ELNS1_3gpuE3ELNS1_3repE0EEENS1_30default_config_static_selectorELNS0_4arch9wavefront6targetE0EEEvT1_,comdat
.Lfunc_end2040:
	.size	_ZN7rocprim17ROCPRIM_400000_NS6detail17trampoline_kernelINS0_14default_configENS1_27scan_by_key_config_selectorIj11FixedVectorIiLj4EEEEZZNS1_16scan_by_key_implILNS1_25lookback_scan_determinismE0ELb0ES3_N6thrust23THRUST_200600_302600_NS6detail15normal_iteratorINSB_10device_ptrIjEEEENSD_INSE_IS6_EEEESI_S6_NSB_4plusIvEENSB_8equal_toIvEES6_EE10hipError_tPvRmT2_T3_T4_T5_mT6_T7_P12ihipStream_tbENKUlT_T0_E_clISt17integral_constantIbLb0EES13_EEDaSY_SZ_EUlSY_E_NS1_11comp_targetILNS1_3genE9ELNS1_11target_archE1100ELNS1_3gpuE3ELNS1_3repE0EEENS1_30default_config_static_selectorELNS0_4arch9wavefront6targetE0EEEvT1_, .Lfunc_end2040-_ZN7rocprim17ROCPRIM_400000_NS6detail17trampoline_kernelINS0_14default_configENS1_27scan_by_key_config_selectorIj11FixedVectorIiLj4EEEEZZNS1_16scan_by_key_implILNS1_25lookback_scan_determinismE0ELb0ES3_N6thrust23THRUST_200600_302600_NS6detail15normal_iteratorINSB_10device_ptrIjEEEENSD_INSE_IS6_EEEESI_S6_NSB_4plusIvEENSB_8equal_toIvEES6_EE10hipError_tPvRmT2_T3_T4_T5_mT6_T7_P12ihipStream_tbENKUlT_T0_E_clISt17integral_constantIbLb0EES13_EEDaSY_SZ_EUlSY_E_NS1_11comp_targetILNS1_3genE9ELNS1_11target_archE1100ELNS1_3gpuE3ELNS1_3repE0EEENS1_30default_config_static_selectorELNS0_4arch9wavefront6targetE0EEEvT1_
                                        ; -- End function
	.set _ZN7rocprim17ROCPRIM_400000_NS6detail17trampoline_kernelINS0_14default_configENS1_27scan_by_key_config_selectorIj11FixedVectorIiLj4EEEEZZNS1_16scan_by_key_implILNS1_25lookback_scan_determinismE0ELb0ES3_N6thrust23THRUST_200600_302600_NS6detail15normal_iteratorINSB_10device_ptrIjEEEENSD_INSE_IS6_EEEESI_S6_NSB_4plusIvEENSB_8equal_toIvEES6_EE10hipError_tPvRmT2_T3_T4_T5_mT6_T7_P12ihipStream_tbENKUlT_T0_E_clISt17integral_constantIbLb0EES13_EEDaSY_SZ_EUlSY_E_NS1_11comp_targetILNS1_3genE9ELNS1_11target_archE1100ELNS1_3gpuE3ELNS1_3repE0EEENS1_30default_config_static_selectorELNS0_4arch9wavefront6targetE0EEEvT1_.num_vgpr, 0
	.set _ZN7rocprim17ROCPRIM_400000_NS6detail17trampoline_kernelINS0_14default_configENS1_27scan_by_key_config_selectorIj11FixedVectorIiLj4EEEEZZNS1_16scan_by_key_implILNS1_25lookback_scan_determinismE0ELb0ES3_N6thrust23THRUST_200600_302600_NS6detail15normal_iteratorINSB_10device_ptrIjEEEENSD_INSE_IS6_EEEESI_S6_NSB_4plusIvEENSB_8equal_toIvEES6_EE10hipError_tPvRmT2_T3_T4_T5_mT6_T7_P12ihipStream_tbENKUlT_T0_E_clISt17integral_constantIbLb0EES13_EEDaSY_SZ_EUlSY_E_NS1_11comp_targetILNS1_3genE9ELNS1_11target_archE1100ELNS1_3gpuE3ELNS1_3repE0EEENS1_30default_config_static_selectorELNS0_4arch9wavefront6targetE0EEEvT1_.num_agpr, 0
	.set _ZN7rocprim17ROCPRIM_400000_NS6detail17trampoline_kernelINS0_14default_configENS1_27scan_by_key_config_selectorIj11FixedVectorIiLj4EEEEZZNS1_16scan_by_key_implILNS1_25lookback_scan_determinismE0ELb0ES3_N6thrust23THRUST_200600_302600_NS6detail15normal_iteratorINSB_10device_ptrIjEEEENSD_INSE_IS6_EEEESI_S6_NSB_4plusIvEENSB_8equal_toIvEES6_EE10hipError_tPvRmT2_T3_T4_T5_mT6_T7_P12ihipStream_tbENKUlT_T0_E_clISt17integral_constantIbLb0EES13_EEDaSY_SZ_EUlSY_E_NS1_11comp_targetILNS1_3genE9ELNS1_11target_archE1100ELNS1_3gpuE3ELNS1_3repE0EEENS1_30default_config_static_selectorELNS0_4arch9wavefront6targetE0EEEvT1_.numbered_sgpr, 0
	.set _ZN7rocprim17ROCPRIM_400000_NS6detail17trampoline_kernelINS0_14default_configENS1_27scan_by_key_config_selectorIj11FixedVectorIiLj4EEEEZZNS1_16scan_by_key_implILNS1_25lookback_scan_determinismE0ELb0ES3_N6thrust23THRUST_200600_302600_NS6detail15normal_iteratorINSB_10device_ptrIjEEEENSD_INSE_IS6_EEEESI_S6_NSB_4plusIvEENSB_8equal_toIvEES6_EE10hipError_tPvRmT2_T3_T4_T5_mT6_T7_P12ihipStream_tbENKUlT_T0_E_clISt17integral_constantIbLb0EES13_EEDaSY_SZ_EUlSY_E_NS1_11comp_targetILNS1_3genE9ELNS1_11target_archE1100ELNS1_3gpuE3ELNS1_3repE0EEENS1_30default_config_static_selectorELNS0_4arch9wavefront6targetE0EEEvT1_.num_named_barrier, 0
	.set _ZN7rocprim17ROCPRIM_400000_NS6detail17trampoline_kernelINS0_14default_configENS1_27scan_by_key_config_selectorIj11FixedVectorIiLj4EEEEZZNS1_16scan_by_key_implILNS1_25lookback_scan_determinismE0ELb0ES3_N6thrust23THRUST_200600_302600_NS6detail15normal_iteratorINSB_10device_ptrIjEEEENSD_INSE_IS6_EEEESI_S6_NSB_4plusIvEENSB_8equal_toIvEES6_EE10hipError_tPvRmT2_T3_T4_T5_mT6_T7_P12ihipStream_tbENKUlT_T0_E_clISt17integral_constantIbLb0EES13_EEDaSY_SZ_EUlSY_E_NS1_11comp_targetILNS1_3genE9ELNS1_11target_archE1100ELNS1_3gpuE3ELNS1_3repE0EEENS1_30default_config_static_selectorELNS0_4arch9wavefront6targetE0EEEvT1_.private_seg_size, 0
	.set _ZN7rocprim17ROCPRIM_400000_NS6detail17trampoline_kernelINS0_14default_configENS1_27scan_by_key_config_selectorIj11FixedVectorIiLj4EEEEZZNS1_16scan_by_key_implILNS1_25lookback_scan_determinismE0ELb0ES3_N6thrust23THRUST_200600_302600_NS6detail15normal_iteratorINSB_10device_ptrIjEEEENSD_INSE_IS6_EEEESI_S6_NSB_4plusIvEENSB_8equal_toIvEES6_EE10hipError_tPvRmT2_T3_T4_T5_mT6_T7_P12ihipStream_tbENKUlT_T0_E_clISt17integral_constantIbLb0EES13_EEDaSY_SZ_EUlSY_E_NS1_11comp_targetILNS1_3genE9ELNS1_11target_archE1100ELNS1_3gpuE3ELNS1_3repE0EEENS1_30default_config_static_selectorELNS0_4arch9wavefront6targetE0EEEvT1_.uses_vcc, 0
	.set _ZN7rocprim17ROCPRIM_400000_NS6detail17trampoline_kernelINS0_14default_configENS1_27scan_by_key_config_selectorIj11FixedVectorIiLj4EEEEZZNS1_16scan_by_key_implILNS1_25lookback_scan_determinismE0ELb0ES3_N6thrust23THRUST_200600_302600_NS6detail15normal_iteratorINSB_10device_ptrIjEEEENSD_INSE_IS6_EEEESI_S6_NSB_4plusIvEENSB_8equal_toIvEES6_EE10hipError_tPvRmT2_T3_T4_T5_mT6_T7_P12ihipStream_tbENKUlT_T0_E_clISt17integral_constantIbLb0EES13_EEDaSY_SZ_EUlSY_E_NS1_11comp_targetILNS1_3genE9ELNS1_11target_archE1100ELNS1_3gpuE3ELNS1_3repE0EEENS1_30default_config_static_selectorELNS0_4arch9wavefront6targetE0EEEvT1_.uses_flat_scratch, 0
	.set _ZN7rocprim17ROCPRIM_400000_NS6detail17trampoline_kernelINS0_14default_configENS1_27scan_by_key_config_selectorIj11FixedVectorIiLj4EEEEZZNS1_16scan_by_key_implILNS1_25lookback_scan_determinismE0ELb0ES3_N6thrust23THRUST_200600_302600_NS6detail15normal_iteratorINSB_10device_ptrIjEEEENSD_INSE_IS6_EEEESI_S6_NSB_4plusIvEENSB_8equal_toIvEES6_EE10hipError_tPvRmT2_T3_T4_T5_mT6_T7_P12ihipStream_tbENKUlT_T0_E_clISt17integral_constantIbLb0EES13_EEDaSY_SZ_EUlSY_E_NS1_11comp_targetILNS1_3genE9ELNS1_11target_archE1100ELNS1_3gpuE3ELNS1_3repE0EEENS1_30default_config_static_selectorELNS0_4arch9wavefront6targetE0EEEvT1_.has_dyn_sized_stack, 0
	.set _ZN7rocprim17ROCPRIM_400000_NS6detail17trampoline_kernelINS0_14default_configENS1_27scan_by_key_config_selectorIj11FixedVectorIiLj4EEEEZZNS1_16scan_by_key_implILNS1_25lookback_scan_determinismE0ELb0ES3_N6thrust23THRUST_200600_302600_NS6detail15normal_iteratorINSB_10device_ptrIjEEEENSD_INSE_IS6_EEEESI_S6_NSB_4plusIvEENSB_8equal_toIvEES6_EE10hipError_tPvRmT2_T3_T4_T5_mT6_T7_P12ihipStream_tbENKUlT_T0_E_clISt17integral_constantIbLb0EES13_EEDaSY_SZ_EUlSY_E_NS1_11comp_targetILNS1_3genE9ELNS1_11target_archE1100ELNS1_3gpuE3ELNS1_3repE0EEENS1_30default_config_static_selectorELNS0_4arch9wavefront6targetE0EEEvT1_.has_recursion, 0
	.set _ZN7rocprim17ROCPRIM_400000_NS6detail17trampoline_kernelINS0_14default_configENS1_27scan_by_key_config_selectorIj11FixedVectorIiLj4EEEEZZNS1_16scan_by_key_implILNS1_25lookback_scan_determinismE0ELb0ES3_N6thrust23THRUST_200600_302600_NS6detail15normal_iteratorINSB_10device_ptrIjEEEENSD_INSE_IS6_EEEESI_S6_NSB_4plusIvEENSB_8equal_toIvEES6_EE10hipError_tPvRmT2_T3_T4_T5_mT6_T7_P12ihipStream_tbENKUlT_T0_E_clISt17integral_constantIbLb0EES13_EEDaSY_SZ_EUlSY_E_NS1_11comp_targetILNS1_3genE9ELNS1_11target_archE1100ELNS1_3gpuE3ELNS1_3repE0EEENS1_30default_config_static_selectorELNS0_4arch9wavefront6targetE0EEEvT1_.has_indirect_call, 0
	.section	.AMDGPU.csdata,"",@progbits
; Kernel info:
; codeLenInByte = 0
; TotalNumSgprs: 0
; NumVgprs: 0
; ScratchSize: 0
; MemoryBound: 0
; FloatMode: 240
; IeeeMode: 1
; LDSByteSize: 0 bytes/workgroup (compile time only)
; SGPRBlocks: 0
; VGPRBlocks: 0
; NumSGPRsForWavesPerEU: 1
; NumVGPRsForWavesPerEU: 1
; NamedBarCnt: 0
; Occupancy: 16
; WaveLimiterHint : 0
; COMPUTE_PGM_RSRC2:SCRATCH_EN: 0
; COMPUTE_PGM_RSRC2:USER_SGPR: 2
; COMPUTE_PGM_RSRC2:TRAP_HANDLER: 0
; COMPUTE_PGM_RSRC2:TGID_X_EN: 1
; COMPUTE_PGM_RSRC2:TGID_Y_EN: 0
; COMPUTE_PGM_RSRC2:TGID_Z_EN: 0
; COMPUTE_PGM_RSRC2:TIDIG_COMP_CNT: 0
	.section	.text._ZN7rocprim17ROCPRIM_400000_NS6detail17trampoline_kernelINS0_14default_configENS1_27scan_by_key_config_selectorIj11FixedVectorIiLj4EEEEZZNS1_16scan_by_key_implILNS1_25lookback_scan_determinismE0ELb0ES3_N6thrust23THRUST_200600_302600_NS6detail15normal_iteratorINSB_10device_ptrIjEEEENSD_INSE_IS6_EEEESI_S6_NSB_4plusIvEENSB_8equal_toIvEES6_EE10hipError_tPvRmT2_T3_T4_T5_mT6_T7_P12ihipStream_tbENKUlT_T0_E_clISt17integral_constantIbLb0EES13_EEDaSY_SZ_EUlSY_E_NS1_11comp_targetILNS1_3genE8ELNS1_11target_archE1030ELNS1_3gpuE2ELNS1_3repE0EEENS1_30default_config_static_selectorELNS0_4arch9wavefront6targetE0EEEvT1_,"axG",@progbits,_ZN7rocprim17ROCPRIM_400000_NS6detail17trampoline_kernelINS0_14default_configENS1_27scan_by_key_config_selectorIj11FixedVectorIiLj4EEEEZZNS1_16scan_by_key_implILNS1_25lookback_scan_determinismE0ELb0ES3_N6thrust23THRUST_200600_302600_NS6detail15normal_iteratorINSB_10device_ptrIjEEEENSD_INSE_IS6_EEEESI_S6_NSB_4plusIvEENSB_8equal_toIvEES6_EE10hipError_tPvRmT2_T3_T4_T5_mT6_T7_P12ihipStream_tbENKUlT_T0_E_clISt17integral_constantIbLb0EES13_EEDaSY_SZ_EUlSY_E_NS1_11comp_targetILNS1_3genE8ELNS1_11target_archE1030ELNS1_3gpuE2ELNS1_3repE0EEENS1_30default_config_static_selectorELNS0_4arch9wavefront6targetE0EEEvT1_,comdat
	.protected	_ZN7rocprim17ROCPRIM_400000_NS6detail17trampoline_kernelINS0_14default_configENS1_27scan_by_key_config_selectorIj11FixedVectorIiLj4EEEEZZNS1_16scan_by_key_implILNS1_25lookback_scan_determinismE0ELb0ES3_N6thrust23THRUST_200600_302600_NS6detail15normal_iteratorINSB_10device_ptrIjEEEENSD_INSE_IS6_EEEESI_S6_NSB_4plusIvEENSB_8equal_toIvEES6_EE10hipError_tPvRmT2_T3_T4_T5_mT6_T7_P12ihipStream_tbENKUlT_T0_E_clISt17integral_constantIbLb0EES13_EEDaSY_SZ_EUlSY_E_NS1_11comp_targetILNS1_3genE8ELNS1_11target_archE1030ELNS1_3gpuE2ELNS1_3repE0EEENS1_30default_config_static_selectorELNS0_4arch9wavefront6targetE0EEEvT1_ ; -- Begin function _ZN7rocprim17ROCPRIM_400000_NS6detail17trampoline_kernelINS0_14default_configENS1_27scan_by_key_config_selectorIj11FixedVectorIiLj4EEEEZZNS1_16scan_by_key_implILNS1_25lookback_scan_determinismE0ELb0ES3_N6thrust23THRUST_200600_302600_NS6detail15normal_iteratorINSB_10device_ptrIjEEEENSD_INSE_IS6_EEEESI_S6_NSB_4plusIvEENSB_8equal_toIvEES6_EE10hipError_tPvRmT2_T3_T4_T5_mT6_T7_P12ihipStream_tbENKUlT_T0_E_clISt17integral_constantIbLb0EES13_EEDaSY_SZ_EUlSY_E_NS1_11comp_targetILNS1_3genE8ELNS1_11target_archE1030ELNS1_3gpuE2ELNS1_3repE0EEENS1_30default_config_static_selectorELNS0_4arch9wavefront6targetE0EEEvT1_
	.globl	_ZN7rocprim17ROCPRIM_400000_NS6detail17trampoline_kernelINS0_14default_configENS1_27scan_by_key_config_selectorIj11FixedVectorIiLj4EEEEZZNS1_16scan_by_key_implILNS1_25lookback_scan_determinismE0ELb0ES3_N6thrust23THRUST_200600_302600_NS6detail15normal_iteratorINSB_10device_ptrIjEEEENSD_INSE_IS6_EEEESI_S6_NSB_4plusIvEENSB_8equal_toIvEES6_EE10hipError_tPvRmT2_T3_T4_T5_mT6_T7_P12ihipStream_tbENKUlT_T0_E_clISt17integral_constantIbLb0EES13_EEDaSY_SZ_EUlSY_E_NS1_11comp_targetILNS1_3genE8ELNS1_11target_archE1030ELNS1_3gpuE2ELNS1_3repE0EEENS1_30default_config_static_selectorELNS0_4arch9wavefront6targetE0EEEvT1_
	.p2align	8
	.type	_ZN7rocprim17ROCPRIM_400000_NS6detail17trampoline_kernelINS0_14default_configENS1_27scan_by_key_config_selectorIj11FixedVectorIiLj4EEEEZZNS1_16scan_by_key_implILNS1_25lookback_scan_determinismE0ELb0ES3_N6thrust23THRUST_200600_302600_NS6detail15normal_iteratorINSB_10device_ptrIjEEEENSD_INSE_IS6_EEEESI_S6_NSB_4plusIvEENSB_8equal_toIvEES6_EE10hipError_tPvRmT2_T3_T4_T5_mT6_T7_P12ihipStream_tbENKUlT_T0_E_clISt17integral_constantIbLb0EES13_EEDaSY_SZ_EUlSY_E_NS1_11comp_targetILNS1_3genE8ELNS1_11target_archE1030ELNS1_3gpuE2ELNS1_3repE0EEENS1_30default_config_static_selectorELNS0_4arch9wavefront6targetE0EEEvT1_,@function
_ZN7rocprim17ROCPRIM_400000_NS6detail17trampoline_kernelINS0_14default_configENS1_27scan_by_key_config_selectorIj11FixedVectorIiLj4EEEEZZNS1_16scan_by_key_implILNS1_25lookback_scan_determinismE0ELb0ES3_N6thrust23THRUST_200600_302600_NS6detail15normal_iteratorINSB_10device_ptrIjEEEENSD_INSE_IS6_EEEESI_S6_NSB_4plusIvEENSB_8equal_toIvEES6_EE10hipError_tPvRmT2_T3_T4_T5_mT6_T7_P12ihipStream_tbENKUlT_T0_E_clISt17integral_constantIbLb0EES13_EEDaSY_SZ_EUlSY_E_NS1_11comp_targetILNS1_3genE8ELNS1_11target_archE1030ELNS1_3gpuE2ELNS1_3repE0EEENS1_30default_config_static_selectorELNS0_4arch9wavefront6targetE0EEEvT1_: ; @_ZN7rocprim17ROCPRIM_400000_NS6detail17trampoline_kernelINS0_14default_configENS1_27scan_by_key_config_selectorIj11FixedVectorIiLj4EEEEZZNS1_16scan_by_key_implILNS1_25lookback_scan_determinismE0ELb0ES3_N6thrust23THRUST_200600_302600_NS6detail15normal_iteratorINSB_10device_ptrIjEEEENSD_INSE_IS6_EEEESI_S6_NSB_4plusIvEENSB_8equal_toIvEES6_EE10hipError_tPvRmT2_T3_T4_T5_mT6_T7_P12ihipStream_tbENKUlT_T0_E_clISt17integral_constantIbLb0EES13_EEDaSY_SZ_EUlSY_E_NS1_11comp_targetILNS1_3genE8ELNS1_11target_archE1030ELNS1_3gpuE2ELNS1_3repE0EEENS1_30default_config_static_selectorELNS0_4arch9wavefront6targetE0EEEvT1_
; %bb.0:
	.section	.rodata,"a",@progbits
	.p2align	6, 0x0
	.amdhsa_kernel _ZN7rocprim17ROCPRIM_400000_NS6detail17trampoline_kernelINS0_14default_configENS1_27scan_by_key_config_selectorIj11FixedVectorIiLj4EEEEZZNS1_16scan_by_key_implILNS1_25lookback_scan_determinismE0ELb0ES3_N6thrust23THRUST_200600_302600_NS6detail15normal_iteratorINSB_10device_ptrIjEEEENSD_INSE_IS6_EEEESI_S6_NSB_4plusIvEENSB_8equal_toIvEES6_EE10hipError_tPvRmT2_T3_T4_T5_mT6_T7_P12ihipStream_tbENKUlT_T0_E_clISt17integral_constantIbLb0EES13_EEDaSY_SZ_EUlSY_E_NS1_11comp_targetILNS1_3genE8ELNS1_11target_archE1030ELNS1_3gpuE2ELNS1_3repE0EEENS1_30default_config_static_selectorELNS0_4arch9wavefront6targetE0EEEvT1_
		.amdhsa_group_segment_fixed_size 0
		.amdhsa_private_segment_fixed_size 0
		.amdhsa_kernarg_size 144
		.amdhsa_user_sgpr_count 2
		.amdhsa_user_sgpr_dispatch_ptr 0
		.amdhsa_user_sgpr_queue_ptr 0
		.amdhsa_user_sgpr_kernarg_segment_ptr 1
		.amdhsa_user_sgpr_dispatch_id 0
		.amdhsa_user_sgpr_kernarg_preload_length 0
		.amdhsa_user_sgpr_kernarg_preload_offset 0
		.amdhsa_user_sgpr_private_segment_size 0
		.amdhsa_wavefront_size32 1
		.amdhsa_uses_dynamic_stack 0
		.amdhsa_enable_private_segment 0
		.amdhsa_system_sgpr_workgroup_id_x 1
		.amdhsa_system_sgpr_workgroup_id_y 0
		.amdhsa_system_sgpr_workgroup_id_z 0
		.amdhsa_system_sgpr_workgroup_info 0
		.amdhsa_system_vgpr_workitem_id 0
		.amdhsa_next_free_vgpr 1
		.amdhsa_next_free_sgpr 1
		.amdhsa_named_barrier_count 0
		.amdhsa_reserve_vcc 0
		.amdhsa_float_round_mode_32 0
		.amdhsa_float_round_mode_16_64 0
		.amdhsa_float_denorm_mode_32 3
		.amdhsa_float_denorm_mode_16_64 3
		.amdhsa_fp16_overflow 0
		.amdhsa_memory_ordered 1
		.amdhsa_forward_progress 1
		.amdhsa_inst_pref_size 0
		.amdhsa_round_robin_scheduling 0
		.amdhsa_exception_fp_ieee_invalid_op 0
		.amdhsa_exception_fp_denorm_src 0
		.amdhsa_exception_fp_ieee_div_zero 0
		.amdhsa_exception_fp_ieee_overflow 0
		.amdhsa_exception_fp_ieee_underflow 0
		.amdhsa_exception_fp_ieee_inexact 0
		.amdhsa_exception_int_div_zero 0
	.end_amdhsa_kernel
	.section	.text._ZN7rocprim17ROCPRIM_400000_NS6detail17trampoline_kernelINS0_14default_configENS1_27scan_by_key_config_selectorIj11FixedVectorIiLj4EEEEZZNS1_16scan_by_key_implILNS1_25lookback_scan_determinismE0ELb0ES3_N6thrust23THRUST_200600_302600_NS6detail15normal_iteratorINSB_10device_ptrIjEEEENSD_INSE_IS6_EEEESI_S6_NSB_4plusIvEENSB_8equal_toIvEES6_EE10hipError_tPvRmT2_T3_T4_T5_mT6_T7_P12ihipStream_tbENKUlT_T0_E_clISt17integral_constantIbLb0EES13_EEDaSY_SZ_EUlSY_E_NS1_11comp_targetILNS1_3genE8ELNS1_11target_archE1030ELNS1_3gpuE2ELNS1_3repE0EEENS1_30default_config_static_selectorELNS0_4arch9wavefront6targetE0EEEvT1_,"axG",@progbits,_ZN7rocprim17ROCPRIM_400000_NS6detail17trampoline_kernelINS0_14default_configENS1_27scan_by_key_config_selectorIj11FixedVectorIiLj4EEEEZZNS1_16scan_by_key_implILNS1_25lookback_scan_determinismE0ELb0ES3_N6thrust23THRUST_200600_302600_NS6detail15normal_iteratorINSB_10device_ptrIjEEEENSD_INSE_IS6_EEEESI_S6_NSB_4plusIvEENSB_8equal_toIvEES6_EE10hipError_tPvRmT2_T3_T4_T5_mT6_T7_P12ihipStream_tbENKUlT_T0_E_clISt17integral_constantIbLb0EES13_EEDaSY_SZ_EUlSY_E_NS1_11comp_targetILNS1_3genE8ELNS1_11target_archE1030ELNS1_3gpuE2ELNS1_3repE0EEENS1_30default_config_static_selectorELNS0_4arch9wavefront6targetE0EEEvT1_,comdat
.Lfunc_end2041:
	.size	_ZN7rocprim17ROCPRIM_400000_NS6detail17trampoline_kernelINS0_14default_configENS1_27scan_by_key_config_selectorIj11FixedVectorIiLj4EEEEZZNS1_16scan_by_key_implILNS1_25lookback_scan_determinismE0ELb0ES3_N6thrust23THRUST_200600_302600_NS6detail15normal_iteratorINSB_10device_ptrIjEEEENSD_INSE_IS6_EEEESI_S6_NSB_4plusIvEENSB_8equal_toIvEES6_EE10hipError_tPvRmT2_T3_T4_T5_mT6_T7_P12ihipStream_tbENKUlT_T0_E_clISt17integral_constantIbLb0EES13_EEDaSY_SZ_EUlSY_E_NS1_11comp_targetILNS1_3genE8ELNS1_11target_archE1030ELNS1_3gpuE2ELNS1_3repE0EEENS1_30default_config_static_selectorELNS0_4arch9wavefront6targetE0EEEvT1_, .Lfunc_end2041-_ZN7rocprim17ROCPRIM_400000_NS6detail17trampoline_kernelINS0_14default_configENS1_27scan_by_key_config_selectorIj11FixedVectorIiLj4EEEEZZNS1_16scan_by_key_implILNS1_25lookback_scan_determinismE0ELb0ES3_N6thrust23THRUST_200600_302600_NS6detail15normal_iteratorINSB_10device_ptrIjEEEENSD_INSE_IS6_EEEESI_S6_NSB_4plusIvEENSB_8equal_toIvEES6_EE10hipError_tPvRmT2_T3_T4_T5_mT6_T7_P12ihipStream_tbENKUlT_T0_E_clISt17integral_constantIbLb0EES13_EEDaSY_SZ_EUlSY_E_NS1_11comp_targetILNS1_3genE8ELNS1_11target_archE1030ELNS1_3gpuE2ELNS1_3repE0EEENS1_30default_config_static_selectorELNS0_4arch9wavefront6targetE0EEEvT1_
                                        ; -- End function
	.set _ZN7rocprim17ROCPRIM_400000_NS6detail17trampoline_kernelINS0_14default_configENS1_27scan_by_key_config_selectorIj11FixedVectorIiLj4EEEEZZNS1_16scan_by_key_implILNS1_25lookback_scan_determinismE0ELb0ES3_N6thrust23THRUST_200600_302600_NS6detail15normal_iteratorINSB_10device_ptrIjEEEENSD_INSE_IS6_EEEESI_S6_NSB_4plusIvEENSB_8equal_toIvEES6_EE10hipError_tPvRmT2_T3_T4_T5_mT6_T7_P12ihipStream_tbENKUlT_T0_E_clISt17integral_constantIbLb0EES13_EEDaSY_SZ_EUlSY_E_NS1_11comp_targetILNS1_3genE8ELNS1_11target_archE1030ELNS1_3gpuE2ELNS1_3repE0EEENS1_30default_config_static_selectorELNS0_4arch9wavefront6targetE0EEEvT1_.num_vgpr, 0
	.set _ZN7rocprim17ROCPRIM_400000_NS6detail17trampoline_kernelINS0_14default_configENS1_27scan_by_key_config_selectorIj11FixedVectorIiLj4EEEEZZNS1_16scan_by_key_implILNS1_25lookback_scan_determinismE0ELb0ES3_N6thrust23THRUST_200600_302600_NS6detail15normal_iteratorINSB_10device_ptrIjEEEENSD_INSE_IS6_EEEESI_S6_NSB_4plusIvEENSB_8equal_toIvEES6_EE10hipError_tPvRmT2_T3_T4_T5_mT6_T7_P12ihipStream_tbENKUlT_T0_E_clISt17integral_constantIbLb0EES13_EEDaSY_SZ_EUlSY_E_NS1_11comp_targetILNS1_3genE8ELNS1_11target_archE1030ELNS1_3gpuE2ELNS1_3repE0EEENS1_30default_config_static_selectorELNS0_4arch9wavefront6targetE0EEEvT1_.num_agpr, 0
	.set _ZN7rocprim17ROCPRIM_400000_NS6detail17trampoline_kernelINS0_14default_configENS1_27scan_by_key_config_selectorIj11FixedVectorIiLj4EEEEZZNS1_16scan_by_key_implILNS1_25lookback_scan_determinismE0ELb0ES3_N6thrust23THRUST_200600_302600_NS6detail15normal_iteratorINSB_10device_ptrIjEEEENSD_INSE_IS6_EEEESI_S6_NSB_4plusIvEENSB_8equal_toIvEES6_EE10hipError_tPvRmT2_T3_T4_T5_mT6_T7_P12ihipStream_tbENKUlT_T0_E_clISt17integral_constantIbLb0EES13_EEDaSY_SZ_EUlSY_E_NS1_11comp_targetILNS1_3genE8ELNS1_11target_archE1030ELNS1_3gpuE2ELNS1_3repE0EEENS1_30default_config_static_selectorELNS0_4arch9wavefront6targetE0EEEvT1_.numbered_sgpr, 0
	.set _ZN7rocprim17ROCPRIM_400000_NS6detail17trampoline_kernelINS0_14default_configENS1_27scan_by_key_config_selectorIj11FixedVectorIiLj4EEEEZZNS1_16scan_by_key_implILNS1_25lookback_scan_determinismE0ELb0ES3_N6thrust23THRUST_200600_302600_NS6detail15normal_iteratorINSB_10device_ptrIjEEEENSD_INSE_IS6_EEEESI_S6_NSB_4plusIvEENSB_8equal_toIvEES6_EE10hipError_tPvRmT2_T3_T4_T5_mT6_T7_P12ihipStream_tbENKUlT_T0_E_clISt17integral_constantIbLb0EES13_EEDaSY_SZ_EUlSY_E_NS1_11comp_targetILNS1_3genE8ELNS1_11target_archE1030ELNS1_3gpuE2ELNS1_3repE0EEENS1_30default_config_static_selectorELNS0_4arch9wavefront6targetE0EEEvT1_.num_named_barrier, 0
	.set _ZN7rocprim17ROCPRIM_400000_NS6detail17trampoline_kernelINS0_14default_configENS1_27scan_by_key_config_selectorIj11FixedVectorIiLj4EEEEZZNS1_16scan_by_key_implILNS1_25lookback_scan_determinismE0ELb0ES3_N6thrust23THRUST_200600_302600_NS6detail15normal_iteratorINSB_10device_ptrIjEEEENSD_INSE_IS6_EEEESI_S6_NSB_4plusIvEENSB_8equal_toIvEES6_EE10hipError_tPvRmT2_T3_T4_T5_mT6_T7_P12ihipStream_tbENKUlT_T0_E_clISt17integral_constantIbLb0EES13_EEDaSY_SZ_EUlSY_E_NS1_11comp_targetILNS1_3genE8ELNS1_11target_archE1030ELNS1_3gpuE2ELNS1_3repE0EEENS1_30default_config_static_selectorELNS0_4arch9wavefront6targetE0EEEvT1_.private_seg_size, 0
	.set _ZN7rocprim17ROCPRIM_400000_NS6detail17trampoline_kernelINS0_14default_configENS1_27scan_by_key_config_selectorIj11FixedVectorIiLj4EEEEZZNS1_16scan_by_key_implILNS1_25lookback_scan_determinismE0ELb0ES3_N6thrust23THRUST_200600_302600_NS6detail15normal_iteratorINSB_10device_ptrIjEEEENSD_INSE_IS6_EEEESI_S6_NSB_4plusIvEENSB_8equal_toIvEES6_EE10hipError_tPvRmT2_T3_T4_T5_mT6_T7_P12ihipStream_tbENKUlT_T0_E_clISt17integral_constantIbLb0EES13_EEDaSY_SZ_EUlSY_E_NS1_11comp_targetILNS1_3genE8ELNS1_11target_archE1030ELNS1_3gpuE2ELNS1_3repE0EEENS1_30default_config_static_selectorELNS0_4arch9wavefront6targetE0EEEvT1_.uses_vcc, 0
	.set _ZN7rocprim17ROCPRIM_400000_NS6detail17trampoline_kernelINS0_14default_configENS1_27scan_by_key_config_selectorIj11FixedVectorIiLj4EEEEZZNS1_16scan_by_key_implILNS1_25lookback_scan_determinismE0ELb0ES3_N6thrust23THRUST_200600_302600_NS6detail15normal_iteratorINSB_10device_ptrIjEEEENSD_INSE_IS6_EEEESI_S6_NSB_4plusIvEENSB_8equal_toIvEES6_EE10hipError_tPvRmT2_T3_T4_T5_mT6_T7_P12ihipStream_tbENKUlT_T0_E_clISt17integral_constantIbLb0EES13_EEDaSY_SZ_EUlSY_E_NS1_11comp_targetILNS1_3genE8ELNS1_11target_archE1030ELNS1_3gpuE2ELNS1_3repE0EEENS1_30default_config_static_selectorELNS0_4arch9wavefront6targetE0EEEvT1_.uses_flat_scratch, 0
	.set _ZN7rocprim17ROCPRIM_400000_NS6detail17trampoline_kernelINS0_14default_configENS1_27scan_by_key_config_selectorIj11FixedVectorIiLj4EEEEZZNS1_16scan_by_key_implILNS1_25lookback_scan_determinismE0ELb0ES3_N6thrust23THRUST_200600_302600_NS6detail15normal_iteratorINSB_10device_ptrIjEEEENSD_INSE_IS6_EEEESI_S6_NSB_4plusIvEENSB_8equal_toIvEES6_EE10hipError_tPvRmT2_T3_T4_T5_mT6_T7_P12ihipStream_tbENKUlT_T0_E_clISt17integral_constantIbLb0EES13_EEDaSY_SZ_EUlSY_E_NS1_11comp_targetILNS1_3genE8ELNS1_11target_archE1030ELNS1_3gpuE2ELNS1_3repE0EEENS1_30default_config_static_selectorELNS0_4arch9wavefront6targetE0EEEvT1_.has_dyn_sized_stack, 0
	.set _ZN7rocprim17ROCPRIM_400000_NS6detail17trampoline_kernelINS0_14default_configENS1_27scan_by_key_config_selectorIj11FixedVectorIiLj4EEEEZZNS1_16scan_by_key_implILNS1_25lookback_scan_determinismE0ELb0ES3_N6thrust23THRUST_200600_302600_NS6detail15normal_iteratorINSB_10device_ptrIjEEEENSD_INSE_IS6_EEEESI_S6_NSB_4plusIvEENSB_8equal_toIvEES6_EE10hipError_tPvRmT2_T3_T4_T5_mT6_T7_P12ihipStream_tbENKUlT_T0_E_clISt17integral_constantIbLb0EES13_EEDaSY_SZ_EUlSY_E_NS1_11comp_targetILNS1_3genE8ELNS1_11target_archE1030ELNS1_3gpuE2ELNS1_3repE0EEENS1_30default_config_static_selectorELNS0_4arch9wavefront6targetE0EEEvT1_.has_recursion, 0
	.set _ZN7rocprim17ROCPRIM_400000_NS6detail17trampoline_kernelINS0_14default_configENS1_27scan_by_key_config_selectorIj11FixedVectorIiLj4EEEEZZNS1_16scan_by_key_implILNS1_25lookback_scan_determinismE0ELb0ES3_N6thrust23THRUST_200600_302600_NS6detail15normal_iteratorINSB_10device_ptrIjEEEENSD_INSE_IS6_EEEESI_S6_NSB_4plusIvEENSB_8equal_toIvEES6_EE10hipError_tPvRmT2_T3_T4_T5_mT6_T7_P12ihipStream_tbENKUlT_T0_E_clISt17integral_constantIbLb0EES13_EEDaSY_SZ_EUlSY_E_NS1_11comp_targetILNS1_3genE8ELNS1_11target_archE1030ELNS1_3gpuE2ELNS1_3repE0EEENS1_30default_config_static_selectorELNS0_4arch9wavefront6targetE0EEEvT1_.has_indirect_call, 0
	.section	.AMDGPU.csdata,"",@progbits
; Kernel info:
; codeLenInByte = 0
; TotalNumSgprs: 0
; NumVgprs: 0
; ScratchSize: 0
; MemoryBound: 0
; FloatMode: 240
; IeeeMode: 1
; LDSByteSize: 0 bytes/workgroup (compile time only)
; SGPRBlocks: 0
; VGPRBlocks: 0
; NumSGPRsForWavesPerEU: 1
; NumVGPRsForWavesPerEU: 1
; NamedBarCnt: 0
; Occupancy: 16
; WaveLimiterHint : 0
; COMPUTE_PGM_RSRC2:SCRATCH_EN: 0
; COMPUTE_PGM_RSRC2:USER_SGPR: 2
; COMPUTE_PGM_RSRC2:TRAP_HANDLER: 0
; COMPUTE_PGM_RSRC2:TGID_X_EN: 1
; COMPUTE_PGM_RSRC2:TGID_Y_EN: 0
; COMPUTE_PGM_RSRC2:TGID_Z_EN: 0
; COMPUTE_PGM_RSRC2:TIDIG_COMP_CNT: 0
	.section	.text._ZN7rocprim17ROCPRIM_400000_NS6detail30init_device_scan_by_key_kernelINS1_19lookback_scan_stateINS0_5tupleIJ11FixedVectorIiLj4EEbEEELb1ELb0EEEN6thrust23THRUST_200600_302600_NS6detail15normal_iteratorINSA_10device_ptrIjEEEEjNS1_16block_id_wrapperIjLb1EEEEEvT_jjPNSI_10value_typeET0_PNSt15iterator_traitsISL_E10value_typeEmT1_T2_,"axG",@progbits,_ZN7rocprim17ROCPRIM_400000_NS6detail30init_device_scan_by_key_kernelINS1_19lookback_scan_stateINS0_5tupleIJ11FixedVectorIiLj4EEbEEELb1ELb0EEEN6thrust23THRUST_200600_302600_NS6detail15normal_iteratorINSA_10device_ptrIjEEEEjNS1_16block_id_wrapperIjLb1EEEEEvT_jjPNSI_10value_typeET0_PNSt15iterator_traitsISL_E10value_typeEmT1_T2_,comdat
	.protected	_ZN7rocprim17ROCPRIM_400000_NS6detail30init_device_scan_by_key_kernelINS1_19lookback_scan_stateINS0_5tupleIJ11FixedVectorIiLj4EEbEEELb1ELb0EEEN6thrust23THRUST_200600_302600_NS6detail15normal_iteratorINSA_10device_ptrIjEEEEjNS1_16block_id_wrapperIjLb1EEEEEvT_jjPNSI_10value_typeET0_PNSt15iterator_traitsISL_E10value_typeEmT1_T2_ ; -- Begin function _ZN7rocprim17ROCPRIM_400000_NS6detail30init_device_scan_by_key_kernelINS1_19lookback_scan_stateINS0_5tupleIJ11FixedVectorIiLj4EEbEEELb1ELb0EEEN6thrust23THRUST_200600_302600_NS6detail15normal_iteratorINSA_10device_ptrIjEEEEjNS1_16block_id_wrapperIjLb1EEEEEvT_jjPNSI_10value_typeET0_PNSt15iterator_traitsISL_E10value_typeEmT1_T2_
	.globl	_ZN7rocprim17ROCPRIM_400000_NS6detail30init_device_scan_by_key_kernelINS1_19lookback_scan_stateINS0_5tupleIJ11FixedVectorIiLj4EEbEEELb1ELb0EEEN6thrust23THRUST_200600_302600_NS6detail15normal_iteratorINSA_10device_ptrIjEEEEjNS1_16block_id_wrapperIjLb1EEEEEvT_jjPNSI_10value_typeET0_PNSt15iterator_traitsISL_E10value_typeEmT1_T2_
	.p2align	8
	.type	_ZN7rocprim17ROCPRIM_400000_NS6detail30init_device_scan_by_key_kernelINS1_19lookback_scan_stateINS0_5tupleIJ11FixedVectorIiLj4EEbEEELb1ELb0EEEN6thrust23THRUST_200600_302600_NS6detail15normal_iteratorINSA_10device_ptrIjEEEEjNS1_16block_id_wrapperIjLb1EEEEEvT_jjPNSI_10value_typeET0_PNSt15iterator_traitsISL_E10value_typeEmT1_T2_,@function
_ZN7rocprim17ROCPRIM_400000_NS6detail30init_device_scan_by_key_kernelINS1_19lookback_scan_stateINS0_5tupleIJ11FixedVectorIiLj4EEbEEELb1ELb0EEEN6thrust23THRUST_200600_302600_NS6detail15normal_iteratorINSA_10device_ptrIjEEEEjNS1_16block_id_wrapperIjLb1EEEEEvT_jjPNSI_10value_typeET0_PNSt15iterator_traitsISL_E10value_typeEmT1_T2_: ; @_ZN7rocprim17ROCPRIM_400000_NS6detail30init_device_scan_by_key_kernelINS1_19lookback_scan_stateINS0_5tupleIJ11FixedVectorIiLj4EEbEEELb1ELb0EEEN6thrust23THRUST_200600_302600_NS6detail15normal_iteratorINSA_10device_ptrIjEEEEjNS1_16block_id_wrapperIjLb1EEEEEvT_jjPNSI_10value_typeET0_PNSt15iterator_traitsISL_E10value_typeEmT1_T2_
; %bb.0:
	s_clause 0x1
	s_load_b32 s12, s[2:3], 0x5c
	s_load_b32 s18, s[2:3], 0x50
	s_bfe_u32 s13, ttmp6, 0x4000c
	s_load_b256 s[4:11], s[2:3], 0x10
	s_add_co_i32 s13, s13, 1
	s_and_b32 s14, ttmp6, 15
	s_mul_i32 s13, ttmp9, s13
	s_getreg_b32 s15, hwreg(HW_REG_IB_STS2, 6, 4)
	v_and_b32_e32 v1, 0x3ff, v0
	s_add_co_i32 s14, s14, s13
	s_wait_kmcnt 0x0
	s_and_b32 s19, s12, 0xffff
	s_cmp_eq_u32 s15, 0
	s_cselect_b32 s12, ttmp9, s14
	s_cmp_eq_u64 s[8:9], 0
	v_mad_u32 v2, s12, s19, v1
	s_cbranch_scc1 .LBB2042_11
; %bb.1:
	s_cmp_lt_u32 s7, s6
	s_mov_b32 s20, exec_lo
	s_cselect_b32 s12, s7, 0
	s_delay_alu instid0(VALU_DEP_1) | instid1(SALU_CYCLE_1)
	v_cmpx_eq_u32_e64 s12, v2
	s_cbranch_execz .LBB2042_10
; %bb.2:
	s_load_b64 s[12:13], s[0:1], 0x4
	v_bfe_u32 v3, v0, 10, 10
	v_bfe_u32 v0, v0, 20, 10
	s_wait_kmcnt 0x0
	s_lshr_b32 s0, s12, 16
	s_delay_alu instid0(VALU_DEP_2) | instskip(SKIP_4) | instid1(VALU_DEP_1)
	v_mul_u32_u24_e32 v3, s13, v3
	s_mul_i32 s0, s0, s13
	s_load_b128 s[12:15], s[2:3], 0x0
	v_mul_lo_u32 v1, s0, v1
	s_mov_b32 s0, 0
	v_add3_u32 v0, v1, v3, v0
	v_mov_b32_e32 v1, 0
	s_delay_alu instid0(VALU_DEP_2)
	v_mul_lo_u32 v0, v0, 20
	ds_store_2addr_b32 v0, v1, v1 offset0:2 offset1:3
	ds_store_2addr_b32 v0, v1, v1 offset1:1
	ds_store_b32 v0, v1 offset:16
.LBB2042_3:                             ; =>This Inner Loop Header: Depth=1
	v_add_nc_u32_e32 v3, s0, v0
	s_add_co_i32 s0, s0, 8
	s_delay_alu instid0(SALU_CYCLE_1)
	s_cmp_lg_u32 s0, 16
	ds_store_2addr_b32 v3, v1, v1 offset1:1
	s_cbranch_scc1 .LBB2042_3
; %bb.4:
	s_add_co_i32 s0, s7, 32
	s_delay_alu instid0(SALU_CYCLE_1)
	v_dual_mov_b32 v1, 0 :: v_dual_mov_b32 v3, s0
	s_mov_b32 s1, 0
	ds_store_b8 v0, v1 offset:16
	global_load_u8 v3, v3, s[4:5] scope:SCOPE_DEV
	s_wait_loadcnt 0x0
	v_and_b32_e32 v4, 0xffff, v3
	v_readfirstlane_b32 s21, v3
	s_delay_alu instid0(VALU_DEP_2)
	v_cmp_ne_u32_e32 vcc_lo, 0, v4
	s_cbranch_vccnz .LBB2042_9
; %bb.5:
	s_add_nc_u64 s[16:17], s[4:5], s[0:1]
	s_mov_b32 s7, 1
.LBB2042_6:                             ; =>This Loop Header: Depth=1
                                        ;     Child Loop BB2042_7 Depth 2
	s_delay_alu instid0(SALU_CYCLE_1)
	s_mov_b32 s21, s7
.LBB2042_7:                             ;   Parent Loop BB2042_6 Depth=1
                                        ; =>  This Inner Loop Header: Depth=2
	s_delay_alu instid0(SALU_CYCLE_1)
	s_add_co_i32 s21, s21, -1
	s_sleep 1
	s_cmp_eq_u32 s21, 0
	s_cbranch_scc0 .LBB2042_7
; %bb.8:                                ;   in Loop: Header=BB2042_6 Depth=1
	global_load_u8 v3, v1, s[16:17] scope:SCOPE_DEV
	s_cmp_lt_u32 s7, 32
	s_cselect_b32 s21, -1, 0
	s_delay_alu instid0(SALU_CYCLE_1) | instskip(SKIP_4) | instid1(VALU_DEP_2)
	s_cmp_lg_u32 s21, 0
	s_add_co_ci_u32 s7, s7, 0
	s_wait_loadcnt 0x0
	v_and_b32_e32 v4, 0xffff, v3
	v_readfirstlane_b32 s21, v3
	v_cmp_ne_u32_e32 vcc_lo, 0, v4
	s_cbranch_vccz .LBB2042_6
.LBB2042_9:
	s_and_b32 s7, 0xffff, s21
	v_mov_b32_e32 v1, 0
	s_cmp_eq_u32 s7, 1
	s_mul_u64 s[0:1], s[0:1], 20
	s_wait_kmcnt 0x0
	s_cselect_b32 s13, s13, s15
	s_cselect_b32 s12, s12, s14
	global_wb scope:SCOPE_DEV
	s_wait_storecnt_dscnt 0x0
	global_inv scope:SCOPE_DEV
	s_add_nc_u64 s[0:1], s[12:13], s[0:1]
	s_clause 0x1
	global_load_b128 v[4:7], v1, s[0:1]
	global_load_u8 v3, v1, s[0:1] offset:16
	s_wait_loadcnt 0x1
	ds_store_2addr_b32 v0, v4, v5 offset1:1
	ds_store_2addr_b32 v0, v6, v7 offset0:2 offset1:3
	global_store_b128 v1, v[4:7], s[8:9]
	s_wait_loadcnt 0x0
	global_store_b8 v1, v3, s[8:9] offset:16
.LBB2042_10:
	s_wait_xcnt 0x0
	s_or_b32 exec_lo, exec_lo, s20
.LBB2042_11:
	s_delay_alu instid0(SALU_CYCLE_1) | instskip(NEXT) | instid1(VALU_DEP_1)
	s_mov_b32 s0, exec_lo
	v_cmpx_eq_u32_e32 0, v2
	s_cbranch_execz .LBB2042_13
; %bb.12:
	s_load_b64 s[8:9], s[2:3], 0x48
	v_mov_b32_e32 v0, 0
	s_wait_kmcnt 0x0
	global_store_b32 v0, v0, s[8:9]
.LBB2042_13:
	s_wait_xcnt 0x0
	s_or_b32 exec_lo, exec_lo, s0
	s_delay_alu instid0(SALU_CYCLE_1)
	s_mov_b32 s0, exec_lo
	v_cmpx_gt_u32_e64 s6, v2
	s_cbranch_execz .LBB2042_15
; %bb.14:
	v_dual_mov_b32 v1, 0 :: v_dual_add_nc_u32 v0, 32, v2
	global_store_b8 v0, v1, s[4:5]
.LBB2042_15:
	s_wait_xcnt 0x0
	s_or_b32 exec_lo, exec_lo, s0
	v_mov_b32_e32 v3, 0
	s_mov_b32 s0, exec_lo
	v_cmpx_gt_u32_e32 32, v2
	s_cbranch_execz .LBB2042_17
; %bb.16:
	s_delay_alu instid0(VALU_DEP_2)
	v_add_nc_u64_e32 v[0:1], s[4:5], v[2:3]
	v_mov_b32_e32 v4, 0xff
	global_store_b8 v[0:1], v4, off
.LBB2042_17:
	s_wait_xcnt 0x0
	s_or_b32 exec_lo, exec_lo, s0
	s_load_b64 s[0:1], s[2:3], 0x38
	s_mov_b32 s4, exec_lo
	s_wait_kmcnt 0x0
	v_cmpx_gt_u64_e64 s[0:1], v[2:3]
	s_cbranch_execz .LBB2042_20
; %bb.18:
	s_clause 0x1
	s_load_b32 s4, s[2:3], 0x40
	s_load_b64 s[6:7], s[2:3], 0x30
	s_mov_b32 s5, 0
	s_wait_xcnt 0x0
	s_mul_i32 s2, s18, s19
	s_mov_b32 s9, s5
	s_mov_b32 s3, s5
	s_wait_kmcnt 0x0
	v_mul_u64_e32 v[0:1], s[4:5], v[2:3]
	s_add_co_i32 s8, s4, -1
	v_lshl_add_u64 v[4:5], v[2:3], 2, s[6:7]
	s_lshl_b64 s[8:9], s[8:9], 2
	s_delay_alu instid0(SALU_CYCLE_1) | instskip(SKIP_1) | instid1(SALU_CYCLE_1)
	s_add_nc_u64 s[8:9], s[10:11], s[8:9]
	s_mul_u64 s[10:11], s[4:5], s[2:3]
	s_lshl_b64 s[6:7], s[10:11], 2
	s_delay_alu instid0(VALU_DEP_2)
	v_lshl_add_u64 v[0:1], v[0:1], 2, s[8:9]
	s_lshl_b64 s[8:9], s[2:3], 2
.LBB2042_19:                            ; =>This Inner Loop Header: Depth=1
	global_load_b32 v6, v[0:1], off
	v_add_nc_u64_e32 v[2:3], s[2:3], v[2:3]
	s_wait_xcnt 0x0
	v_add_nc_u64_e32 v[0:1], s[6:7], v[0:1]
	s_delay_alu instid0(VALU_DEP_2)
	v_cmp_le_u64_e32 vcc_lo, s[0:1], v[2:3]
	s_or_b32 s5, vcc_lo, s5
	s_wait_loadcnt 0x0
	global_store_b32 v[4:5], v6, off
	s_wait_xcnt 0x0
	v_add_nc_u64_e32 v[4:5], s[8:9], v[4:5]
	s_and_not1_b32 exec_lo, exec_lo, s5
	s_cbranch_execnz .LBB2042_19
.LBB2042_20:
	s_endpgm
	.section	.rodata,"a",@progbits
	.p2align	6, 0x0
	.amdhsa_kernel _ZN7rocprim17ROCPRIM_400000_NS6detail30init_device_scan_by_key_kernelINS1_19lookback_scan_stateINS0_5tupleIJ11FixedVectorIiLj4EEbEEELb1ELb0EEEN6thrust23THRUST_200600_302600_NS6detail15normal_iteratorINSA_10device_ptrIjEEEEjNS1_16block_id_wrapperIjLb1EEEEEvT_jjPNSI_10value_typeET0_PNSt15iterator_traitsISL_E10value_typeEmT1_T2_
		.amdhsa_group_segment_fixed_size 5120
		.amdhsa_private_segment_fixed_size 0
		.amdhsa_kernarg_size 336
		.amdhsa_user_sgpr_count 4
		.amdhsa_user_sgpr_dispatch_ptr 1
		.amdhsa_user_sgpr_queue_ptr 0
		.amdhsa_user_sgpr_kernarg_segment_ptr 1
		.amdhsa_user_sgpr_dispatch_id 0
		.amdhsa_user_sgpr_kernarg_preload_length 0
		.amdhsa_user_sgpr_kernarg_preload_offset 0
		.amdhsa_user_sgpr_private_segment_size 0
		.amdhsa_wavefront_size32 1
		.amdhsa_uses_dynamic_stack 0
		.amdhsa_enable_private_segment 0
		.amdhsa_system_sgpr_workgroup_id_x 1
		.amdhsa_system_sgpr_workgroup_id_y 0
		.amdhsa_system_sgpr_workgroup_id_z 0
		.amdhsa_system_sgpr_workgroup_info 0
		.amdhsa_system_vgpr_workitem_id 2
		.amdhsa_next_free_vgpr 8
		.amdhsa_next_free_sgpr 22
		.amdhsa_named_barrier_count 0
		.amdhsa_reserve_vcc 1
		.amdhsa_float_round_mode_32 0
		.amdhsa_float_round_mode_16_64 0
		.amdhsa_float_denorm_mode_32 3
		.amdhsa_float_denorm_mode_16_64 3
		.amdhsa_fp16_overflow 0
		.amdhsa_memory_ordered 1
		.amdhsa_forward_progress 1
		.amdhsa_inst_pref_size 8
		.amdhsa_round_robin_scheduling 0
		.amdhsa_exception_fp_ieee_invalid_op 0
		.amdhsa_exception_fp_denorm_src 0
		.amdhsa_exception_fp_ieee_div_zero 0
		.amdhsa_exception_fp_ieee_overflow 0
		.amdhsa_exception_fp_ieee_underflow 0
		.amdhsa_exception_fp_ieee_inexact 0
		.amdhsa_exception_int_div_zero 0
	.end_amdhsa_kernel
	.section	.text._ZN7rocprim17ROCPRIM_400000_NS6detail30init_device_scan_by_key_kernelINS1_19lookback_scan_stateINS0_5tupleIJ11FixedVectorIiLj4EEbEEELb1ELb0EEEN6thrust23THRUST_200600_302600_NS6detail15normal_iteratorINSA_10device_ptrIjEEEEjNS1_16block_id_wrapperIjLb1EEEEEvT_jjPNSI_10value_typeET0_PNSt15iterator_traitsISL_E10value_typeEmT1_T2_,"axG",@progbits,_ZN7rocprim17ROCPRIM_400000_NS6detail30init_device_scan_by_key_kernelINS1_19lookback_scan_stateINS0_5tupleIJ11FixedVectorIiLj4EEbEEELb1ELb0EEEN6thrust23THRUST_200600_302600_NS6detail15normal_iteratorINSA_10device_ptrIjEEEEjNS1_16block_id_wrapperIjLb1EEEEEvT_jjPNSI_10value_typeET0_PNSt15iterator_traitsISL_E10value_typeEmT1_T2_,comdat
.Lfunc_end2042:
	.size	_ZN7rocprim17ROCPRIM_400000_NS6detail30init_device_scan_by_key_kernelINS1_19lookback_scan_stateINS0_5tupleIJ11FixedVectorIiLj4EEbEEELb1ELb0EEEN6thrust23THRUST_200600_302600_NS6detail15normal_iteratorINSA_10device_ptrIjEEEEjNS1_16block_id_wrapperIjLb1EEEEEvT_jjPNSI_10value_typeET0_PNSt15iterator_traitsISL_E10value_typeEmT1_T2_, .Lfunc_end2042-_ZN7rocprim17ROCPRIM_400000_NS6detail30init_device_scan_by_key_kernelINS1_19lookback_scan_stateINS0_5tupleIJ11FixedVectorIiLj4EEbEEELb1ELb0EEEN6thrust23THRUST_200600_302600_NS6detail15normal_iteratorINSA_10device_ptrIjEEEEjNS1_16block_id_wrapperIjLb1EEEEEvT_jjPNSI_10value_typeET0_PNSt15iterator_traitsISL_E10value_typeEmT1_T2_
                                        ; -- End function
	.set _ZN7rocprim17ROCPRIM_400000_NS6detail30init_device_scan_by_key_kernelINS1_19lookback_scan_stateINS0_5tupleIJ11FixedVectorIiLj4EEbEEELb1ELb0EEEN6thrust23THRUST_200600_302600_NS6detail15normal_iteratorINSA_10device_ptrIjEEEEjNS1_16block_id_wrapperIjLb1EEEEEvT_jjPNSI_10value_typeET0_PNSt15iterator_traitsISL_E10value_typeEmT1_T2_.num_vgpr, 8
	.set _ZN7rocprim17ROCPRIM_400000_NS6detail30init_device_scan_by_key_kernelINS1_19lookback_scan_stateINS0_5tupleIJ11FixedVectorIiLj4EEbEEELb1ELb0EEEN6thrust23THRUST_200600_302600_NS6detail15normal_iteratorINSA_10device_ptrIjEEEEjNS1_16block_id_wrapperIjLb1EEEEEvT_jjPNSI_10value_typeET0_PNSt15iterator_traitsISL_E10value_typeEmT1_T2_.num_agpr, 0
	.set _ZN7rocprim17ROCPRIM_400000_NS6detail30init_device_scan_by_key_kernelINS1_19lookback_scan_stateINS0_5tupleIJ11FixedVectorIiLj4EEbEEELb1ELb0EEEN6thrust23THRUST_200600_302600_NS6detail15normal_iteratorINSA_10device_ptrIjEEEEjNS1_16block_id_wrapperIjLb1EEEEEvT_jjPNSI_10value_typeET0_PNSt15iterator_traitsISL_E10value_typeEmT1_T2_.numbered_sgpr, 22
	.set _ZN7rocprim17ROCPRIM_400000_NS6detail30init_device_scan_by_key_kernelINS1_19lookback_scan_stateINS0_5tupleIJ11FixedVectorIiLj4EEbEEELb1ELb0EEEN6thrust23THRUST_200600_302600_NS6detail15normal_iteratorINSA_10device_ptrIjEEEEjNS1_16block_id_wrapperIjLb1EEEEEvT_jjPNSI_10value_typeET0_PNSt15iterator_traitsISL_E10value_typeEmT1_T2_.num_named_barrier, 0
	.set _ZN7rocprim17ROCPRIM_400000_NS6detail30init_device_scan_by_key_kernelINS1_19lookback_scan_stateINS0_5tupleIJ11FixedVectorIiLj4EEbEEELb1ELb0EEEN6thrust23THRUST_200600_302600_NS6detail15normal_iteratorINSA_10device_ptrIjEEEEjNS1_16block_id_wrapperIjLb1EEEEEvT_jjPNSI_10value_typeET0_PNSt15iterator_traitsISL_E10value_typeEmT1_T2_.private_seg_size, 0
	.set _ZN7rocprim17ROCPRIM_400000_NS6detail30init_device_scan_by_key_kernelINS1_19lookback_scan_stateINS0_5tupleIJ11FixedVectorIiLj4EEbEEELb1ELb0EEEN6thrust23THRUST_200600_302600_NS6detail15normal_iteratorINSA_10device_ptrIjEEEEjNS1_16block_id_wrapperIjLb1EEEEEvT_jjPNSI_10value_typeET0_PNSt15iterator_traitsISL_E10value_typeEmT1_T2_.uses_vcc, 1
	.set _ZN7rocprim17ROCPRIM_400000_NS6detail30init_device_scan_by_key_kernelINS1_19lookback_scan_stateINS0_5tupleIJ11FixedVectorIiLj4EEbEEELb1ELb0EEEN6thrust23THRUST_200600_302600_NS6detail15normal_iteratorINSA_10device_ptrIjEEEEjNS1_16block_id_wrapperIjLb1EEEEEvT_jjPNSI_10value_typeET0_PNSt15iterator_traitsISL_E10value_typeEmT1_T2_.uses_flat_scratch, 0
	.set _ZN7rocprim17ROCPRIM_400000_NS6detail30init_device_scan_by_key_kernelINS1_19lookback_scan_stateINS0_5tupleIJ11FixedVectorIiLj4EEbEEELb1ELb0EEEN6thrust23THRUST_200600_302600_NS6detail15normal_iteratorINSA_10device_ptrIjEEEEjNS1_16block_id_wrapperIjLb1EEEEEvT_jjPNSI_10value_typeET0_PNSt15iterator_traitsISL_E10value_typeEmT1_T2_.has_dyn_sized_stack, 0
	.set _ZN7rocprim17ROCPRIM_400000_NS6detail30init_device_scan_by_key_kernelINS1_19lookback_scan_stateINS0_5tupleIJ11FixedVectorIiLj4EEbEEELb1ELb0EEEN6thrust23THRUST_200600_302600_NS6detail15normal_iteratorINSA_10device_ptrIjEEEEjNS1_16block_id_wrapperIjLb1EEEEEvT_jjPNSI_10value_typeET0_PNSt15iterator_traitsISL_E10value_typeEmT1_T2_.has_recursion, 0
	.set _ZN7rocprim17ROCPRIM_400000_NS6detail30init_device_scan_by_key_kernelINS1_19lookback_scan_stateINS0_5tupleIJ11FixedVectorIiLj4EEbEEELb1ELb0EEEN6thrust23THRUST_200600_302600_NS6detail15normal_iteratorINSA_10device_ptrIjEEEEjNS1_16block_id_wrapperIjLb1EEEEEvT_jjPNSI_10value_typeET0_PNSt15iterator_traitsISL_E10value_typeEmT1_T2_.has_indirect_call, 0
	.section	.AMDGPU.csdata,"",@progbits
; Kernel info:
; codeLenInByte = 928
; TotalNumSgprs: 24
; NumVgprs: 8
; ScratchSize: 0
; MemoryBound: 0
; FloatMode: 240
; IeeeMode: 1
; LDSByteSize: 5120 bytes/workgroup (compile time only)
; SGPRBlocks: 0
; VGPRBlocks: 0
; NumSGPRsForWavesPerEU: 24
; NumVGPRsForWavesPerEU: 8
; NamedBarCnt: 0
; Occupancy: 16
; WaveLimiterHint : 0
; COMPUTE_PGM_RSRC2:SCRATCH_EN: 0
; COMPUTE_PGM_RSRC2:USER_SGPR: 4
; COMPUTE_PGM_RSRC2:TRAP_HANDLER: 0
; COMPUTE_PGM_RSRC2:TGID_X_EN: 1
; COMPUTE_PGM_RSRC2:TGID_Y_EN: 0
; COMPUTE_PGM_RSRC2:TGID_Z_EN: 0
; COMPUTE_PGM_RSRC2:TIDIG_COMP_CNT: 2
	.section	.text._ZN7rocprim17ROCPRIM_400000_NS6detail30init_device_scan_by_key_kernelINS1_19lookback_scan_stateINS0_5tupleIJ11FixedVectorIiLj4EEbEEELb1ELb0EEENS1_16block_id_wrapperIjLb1EEEEEvT_jjPNSB_10value_typeET0_,"axG",@progbits,_ZN7rocprim17ROCPRIM_400000_NS6detail30init_device_scan_by_key_kernelINS1_19lookback_scan_stateINS0_5tupleIJ11FixedVectorIiLj4EEbEEELb1ELb0EEENS1_16block_id_wrapperIjLb1EEEEEvT_jjPNSB_10value_typeET0_,comdat
	.protected	_ZN7rocprim17ROCPRIM_400000_NS6detail30init_device_scan_by_key_kernelINS1_19lookback_scan_stateINS0_5tupleIJ11FixedVectorIiLj4EEbEEELb1ELb0EEENS1_16block_id_wrapperIjLb1EEEEEvT_jjPNSB_10value_typeET0_ ; -- Begin function _ZN7rocprim17ROCPRIM_400000_NS6detail30init_device_scan_by_key_kernelINS1_19lookback_scan_stateINS0_5tupleIJ11FixedVectorIiLj4EEbEEELb1ELb0EEENS1_16block_id_wrapperIjLb1EEEEEvT_jjPNSB_10value_typeET0_
	.globl	_ZN7rocprim17ROCPRIM_400000_NS6detail30init_device_scan_by_key_kernelINS1_19lookback_scan_stateINS0_5tupleIJ11FixedVectorIiLj4EEbEEELb1ELb0EEENS1_16block_id_wrapperIjLb1EEEEEvT_jjPNSB_10value_typeET0_
	.p2align	8
	.type	_ZN7rocprim17ROCPRIM_400000_NS6detail30init_device_scan_by_key_kernelINS1_19lookback_scan_stateINS0_5tupleIJ11FixedVectorIiLj4EEbEEELb1ELb0EEENS1_16block_id_wrapperIjLb1EEEEEvT_jjPNSB_10value_typeET0_,@function
_ZN7rocprim17ROCPRIM_400000_NS6detail30init_device_scan_by_key_kernelINS1_19lookback_scan_stateINS0_5tupleIJ11FixedVectorIiLj4EEbEEELb1ELb0EEENS1_16block_id_wrapperIjLb1EEEEEvT_jjPNSB_10value_typeET0_: ; @_ZN7rocprim17ROCPRIM_400000_NS6detail30init_device_scan_by_key_kernelINS1_19lookback_scan_stateINS0_5tupleIJ11FixedVectorIiLj4EEbEEELb1ELb0EEENS1_16block_id_wrapperIjLb1EEEEEvT_jjPNSB_10value_typeET0_
; %bb.0:
	s_load_b32 s12, s[2:3], 0x3c
	s_bfe_u32 s13, ttmp6, 0x4000c
	s_load_b256 s[4:11], s[2:3], 0x10
	s_add_co_i32 s13, s13, 1
	s_and_b32 s14, ttmp6, 15
	s_mul_i32 s13, ttmp9, s13
	s_getreg_b32 s15, hwreg(HW_REG_IB_STS2, 6, 4)
	v_and_b32_e32 v2, 0x3ff, v0
	s_add_co_i32 s14, s14, s13
	s_wait_kmcnt 0x0
	s_and_b32 s12, s12, 0xffff
	s_cmp_eq_u32 s15, 0
	s_cselect_b32 s13, ttmp9, s14
	s_cmp_eq_u64 s[8:9], 0
	v_mad_u32 v1, s13, s12, v2
	s_cbranch_scc1 .LBB2043_11
; %bb.1:
	s_cmp_lt_u32 s7, s6
	s_mov_b32 s16, exec_lo
	s_cselect_b32 s12, s7, 0
	s_delay_alu instid0(VALU_DEP_1) | instid1(SALU_CYCLE_1)
	v_cmpx_eq_u32_e64 s12, v1
	s_cbranch_execz .LBB2043_10
; %bb.2:
	s_load_b64 s[12:13], s[0:1], 0x4
	v_bfe_u32 v3, v0, 10, 10
	v_bfe_u32 v0, v0, 20, 10
	s_wait_kmcnt 0x0
	s_lshr_b32 s0, s12, 16
	s_delay_alu instid0(VALU_DEP_2) | instskip(SKIP_4) | instid1(VALU_DEP_1)
	v_mul_u32_u24_e32 v3, s13, v3
	s_mul_i32 s0, s0, s13
	s_load_b128 s[12:15], s[2:3], 0x0
	v_mul_lo_u32 v2, s0, v2
	s_mov_b32 s0, 0
	v_add3_u32 v0, v2, v3, v0
	v_mov_b32_e32 v2, 0
	s_delay_alu instid0(VALU_DEP_2)
	v_mul_lo_u32 v0, v0, 20
	ds_store_2addr_b32 v0, v2, v2 offset0:2 offset1:3
	ds_store_2addr_b32 v0, v2, v2 offset1:1
	ds_store_b32 v0, v2 offset:16
.LBB2043_3:                             ; =>This Inner Loop Header: Depth=1
	v_add_nc_u32_e32 v3, s0, v0
	s_add_co_i32 s0, s0, 8
	s_delay_alu instid0(SALU_CYCLE_1)
	s_cmp_lg_u32 s0, 16
	ds_store_2addr_b32 v3, v2, v2 offset1:1
	s_cbranch_scc1 .LBB2043_3
; %bb.4:
	s_add_co_i32 s0, s7, 32
	s_delay_alu instid0(SALU_CYCLE_1)
	v_dual_mov_b32 v2, 0 :: v_dual_mov_b32 v3, s0
	s_mov_b32 s1, 0
	ds_store_b8 v0, v2 offset:16
	global_load_u8 v3, v3, s[4:5] scope:SCOPE_DEV
	s_wait_loadcnt 0x0
	v_and_b32_e32 v4, 0xffff, v3
	v_readfirstlane_b32 s17, v3
	s_delay_alu instid0(VALU_DEP_2)
	v_cmp_ne_u32_e32 vcc_lo, 0, v4
	s_cbranch_vccnz .LBB2043_9
; %bb.5:
	s_add_nc_u64 s[2:3], s[4:5], s[0:1]
	s_mov_b32 s7, 1
.LBB2043_6:                             ; =>This Loop Header: Depth=1
                                        ;     Child Loop BB2043_7 Depth 2
	s_delay_alu instid0(SALU_CYCLE_1)
	s_mov_b32 s17, s7
.LBB2043_7:                             ;   Parent Loop BB2043_6 Depth=1
                                        ; =>  This Inner Loop Header: Depth=2
	s_delay_alu instid0(SALU_CYCLE_1)
	s_add_co_i32 s17, s17, -1
	s_sleep 1
	s_cmp_eq_u32 s17, 0
	s_cbranch_scc0 .LBB2043_7
; %bb.8:                                ;   in Loop: Header=BB2043_6 Depth=1
	global_load_u8 v3, v2, s[2:3] scope:SCOPE_DEV
	s_cmp_lt_u32 s7, 32
	s_cselect_b32 s17, -1, 0
	s_delay_alu instid0(SALU_CYCLE_1) | instskip(SKIP_4) | instid1(VALU_DEP_2)
	s_cmp_lg_u32 s17, 0
	s_add_co_ci_u32 s7, s7, 0
	s_wait_loadcnt 0x0
	v_and_b32_e32 v4, 0xffff, v3
	v_readfirstlane_b32 s17, v3
	v_cmp_ne_u32_e32 vcc_lo, 0, v4
	s_cbranch_vccz .LBB2043_6
.LBB2043_9:
	s_and_b32 s2, 0xffff, s17
	v_mov_b32_e32 v6, 0
	s_cmp_eq_u32 s2, 1
	s_mul_u64 s[0:1], s[0:1], 20
	s_wait_kmcnt 0x0
	s_cselect_b32 s3, s13, s15
	s_cselect_b32 s2, s12, s14
	global_wb scope:SCOPE_DEV
	s_wait_storecnt_dscnt 0x0
	global_inv scope:SCOPE_DEV
	s_add_nc_u64 s[0:1], s[2:3], s[0:1]
	s_clause 0x1
	global_load_b128 v[2:5], v6, s[0:1]
	global_load_u8 v7, v6, s[0:1] offset:16
	s_wait_loadcnt 0x1
	ds_store_2addr_b32 v0, v2, v3 offset1:1
	ds_store_2addr_b32 v0, v4, v5 offset0:2 offset1:3
	global_store_b128 v6, v[2:5], s[8:9]
	s_wait_loadcnt 0x0
	global_store_b8 v6, v7, s[8:9] offset:16
.LBB2043_10:
	s_wait_xcnt 0x0
	s_or_b32 exec_lo, exec_lo, s16
.LBB2043_11:
	s_delay_alu instid0(SALU_CYCLE_1) | instskip(NEXT) | instid1(VALU_DEP_1)
	s_mov_b32 s0, exec_lo
	v_cmpx_eq_u32_e32 0, v1
	s_cbranch_execz .LBB2043_13
; %bb.12:
	v_mov_b32_e32 v0, 0
	global_store_b32 v0, v0, s[10:11]
.LBB2043_13:
	s_wait_xcnt 0x0
	s_or_b32 exec_lo, exec_lo, s0
	s_delay_alu instid0(SALU_CYCLE_1)
	s_mov_b32 s0, exec_lo
	v_cmpx_gt_u32_e64 s6, v1
	s_cbranch_execz .LBB2043_15
; %bb.14:
	v_dual_add_nc_u32 v0, 32, v1 :: v_dual_mov_b32 v2, 0
	global_store_b8 v0, v2, s[4:5]
.LBB2043_15:
	s_wait_xcnt 0x0
	s_or_b32 exec_lo, exec_lo, s0
	s_delay_alu instid0(SALU_CYCLE_1)
	s_mov_b32 s0, exec_lo
	v_cmpx_gt_u32_e32 32, v1
	s_cbranch_execz .LBB2043_17
; %bb.16:
	v_mov_b32_e32 v0, 0xff
	global_store_b8 v1, v0, s[4:5]
.LBB2043_17:
	s_endpgm
	.section	.rodata,"a",@progbits
	.p2align	6, 0x0
	.amdhsa_kernel _ZN7rocprim17ROCPRIM_400000_NS6detail30init_device_scan_by_key_kernelINS1_19lookback_scan_stateINS0_5tupleIJ11FixedVectorIiLj4EEbEEELb1ELb0EEENS1_16block_id_wrapperIjLb1EEEEEvT_jjPNSB_10value_typeET0_
		.amdhsa_group_segment_fixed_size 5120
		.amdhsa_private_segment_fixed_size 0
		.amdhsa_kernarg_size 304
		.amdhsa_user_sgpr_count 4
		.amdhsa_user_sgpr_dispatch_ptr 1
		.amdhsa_user_sgpr_queue_ptr 0
		.amdhsa_user_sgpr_kernarg_segment_ptr 1
		.amdhsa_user_sgpr_dispatch_id 0
		.amdhsa_user_sgpr_kernarg_preload_length 0
		.amdhsa_user_sgpr_kernarg_preload_offset 0
		.amdhsa_user_sgpr_private_segment_size 0
		.amdhsa_wavefront_size32 1
		.amdhsa_uses_dynamic_stack 0
		.amdhsa_enable_private_segment 0
		.amdhsa_system_sgpr_workgroup_id_x 1
		.amdhsa_system_sgpr_workgroup_id_y 0
		.amdhsa_system_sgpr_workgroup_id_z 0
		.amdhsa_system_sgpr_workgroup_info 0
		.amdhsa_system_vgpr_workitem_id 2
		.amdhsa_next_free_vgpr 8
		.amdhsa_next_free_sgpr 18
		.amdhsa_named_barrier_count 0
		.amdhsa_reserve_vcc 1
		.amdhsa_float_round_mode_32 0
		.amdhsa_float_round_mode_16_64 0
		.amdhsa_float_denorm_mode_32 3
		.amdhsa_float_denorm_mode_16_64 3
		.amdhsa_fp16_overflow 0
		.amdhsa_memory_ordered 1
		.amdhsa_forward_progress 1
		.amdhsa_inst_pref_size 6
		.amdhsa_round_robin_scheduling 0
		.amdhsa_exception_fp_ieee_invalid_op 0
		.amdhsa_exception_fp_denorm_src 0
		.amdhsa_exception_fp_ieee_div_zero 0
		.amdhsa_exception_fp_ieee_overflow 0
		.amdhsa_exception_fp_ieee_underflow 0
		.amdhsa_exception_fp_ieee_inexact 0
		.amdhsa_exception_int_div_zero 0
	.end_amdhsa_kernel
	.section	.text._ZN7rocprim17ROCPRIM_400000_NS6detail30init_device_scan_by_key_kernelINS1_19lookback_scan_stateINS0_5tupleIJ11FixedVectorIiLj4EEbEEELb1ELb0EEENS1_16block_id_wrapperIjLb1EEEEEvT_jjPNSB_10value_typeET0_,"axG",@progbits,_ZN7rocprim17ROCPRIM_400000_NS6detail30init_device_scan_by_key_kernelINS1_19lookback_scan_stateINS0_5tupleIJ11FixedVectorIiLj4EEbEEELb1ELb0EEENS1_16block_id_wrapperIjLb1EEEEEvT_jjPNSB_10value_typeET0_,comdat
.Lfunc_end2043:
	.size	_ZN7rocprim17ROCPRIM_400000_NS6detail30init_device_scan_by_key_kernelINS1_19lookback_scan_stateINS0_5tupleIJ11FixedVectorIiLj4EEbEEELb1ELb0EEENS1_16block_id_wrapperIjLb1EEEEEvT_jjPNSB_10value_typeET0_, .Lfunc_end2043-_ZN7rocprim17ROCPRIM_400000_NS6detail30init_device_scan_by_key_kernelINS1_19lookback_scan_stateINS0_5tupleIJ11FixedVectorIiLj4EEbEEELb1ELb0EEENS1_16block_id_wrapperIjLb1EEEEEvT_jjPNSB_10value_typeET0_
                                        ; -- End function
	.set _ZN7rocprim17ROCPRIM_400000_NS6detail30init_device_scan_by_key_kernelINS1_19lookback_scan_stateINS0_5tupleIJ11FixedVectorIiLj4EEbEEELb1ELb0EEENS1_16block_id_wrapperIjLb1EEEEEvT_jjPNSB_10value_typeET0_.num_vgpr, 8
	.set _ZN7rocprim17ROCPRIM_400000_NS6detail30init_device_scan_by_key_kernelINS1_19lookback_scan_stateINS0_5tupleIJ11FixedVectorIiLj4EEbEEELb1ELb0EEENS1_16block_id_wrapperIjLb1EEEEEvT_jjPNSB_10value_typeET0_.num_agpr, 0
	.set _ZN7rocprim17ROCPRIM_400000_NS6detail30init_device_scan_by_key_kernelINS1_19lookback_scan_stateINS0_5tupleIJ11FixedVectorIiLj4EEbEEELb1ELb0EEENS1_16block_id_wrapperIjLb1EEEEEvT_jjPNSB_10value_typeET0_.numbered_sgpr, 18
	.set _ZN7rocprim17ROCPRIM_400000_NS6detail30init_device_scan_by_key_kernelINS1_19lookback_scan_stateINS0_5tupleIJ11FixedVectorIiLj4EEbEEELb1ELb0EEENS1_16block_id_wrapperIjLb1EEEEEvT_jjPNSB_10value_typeET0_.num_named_barrier, 0
	.set _ZN7rocprim17ROCPRIM_400000_NS6detail30init_device_scan_by_key_kernelINS1_19lookback_scan_stateINS0_5tupleIJ11FixedVectorIiLj4EEbEEELb1ELb0EEENS1_16block_id_wrapperIjLb1EEEEEvT_jjPNSB_10value_typeET0_.private_seg_size, 0
	.set _ZN7rocprim17ROCPRIM_400000_NS6detail30init_device_scan_by_key_kernelINS1_19lookback_scan_stateINS0_5tupleIJ11FixedVectorIiLj4EEbEEELb1ELb0EEENS1_16block_id_wrapperIjLb1EEEEEvT_jjPNSB_10value_typeET0_.uses_vcc, 1
	.set _ZN7rocprim17ROCPRIM_400000_NS6detail30init_device_scan_by_key_kernelINS1_19lookback_scan_stateINS0_5tupleIJ11FixedVectorIiLj4EEbEEELb1ELb0EEENS1_16block_id_wrapperIjLb1EEEEEvT_jjPNSB_10value_typeET0_.uses_flat_scratch, 0
	.set _ZN7rocprim17ROCPRIM_400000_NS6detail30init_device_scan_by_key_kernelINS1_19lookback_scan_stateINS0_5tupleIJ11FixedVectorIiLj4EEbEEELb1ELb0EEENS1_16block_id_wrapperIjLb1EEEEEvT_jjPNSB_10value_typeET0_.has_dyn_sized_stack, 0
	.set _ZN7rocprim17ROCPRIM_400000_NS6detail30init_device_scan_by_key_kernelINS1_19lookback_scan_stateINS0_5tupleIJ11FixedVectorIiLj4EEbEEELb1ELb0EEENS1_16block_id_wrapperIjLb1EEEEEvT_jjPNSB_10value_typeET0_.has_recursion, 0
	.set _ZN7rocprim17ROCPRIM_400000_NS6detail30init_device_scan_by_key_kernelINS1_19lookback_scan_stateINS0_5tupleIJ11FixedVectorIiLj4EEbEEELb1ELb0EEENS1_16block_id_wrapperIjLb1EEEEEvT_jjPNSB_10value_typeET0_.has_indirect_call, 0
	.section	.AMDGPU.csdata,"",@progbits
; Kernel info:
; codeLenInByte = 696
; TotalNumSgprs: 20
; NumVgprs: 8
; ScratchSize: 0
; MemoryBound: 0
; FloatMode: 240
; IeeeMode: 1
; LDSByteSize: 5120 bytes/workgroup (compile time only)
; SGPRBlocks: 0
; VGPRBlocks: 0
; NumSGPRsForWavesPerEU: 20
; NumVGPRsForWavesPerEU: 8
; NamedBarCnt: 0
; Occupancy: 16
; WaveLimiterHint : 0
; COMPUTE_PGM_RSRC2:SCRATCH_EN: 0
; COMPUTE_PGM_RSRC2:USER_SGPR: 4
; COMPUTE_PGM_RSRC2:TRAP_HANDLER: 0
; COMPUTE_PGM_RSRC2:TGID_X_EN: 1
; COMPUTE_PGM_RSRC2:TGID_Y_EN: 0
; COMPUTE_PGM_RSRC2:TGID_Z_EN: 0
; COMPUTE_PGM_RSRC2:TIDIG_COMP_CNT: 2
	.section	.text._ZN7rocprim17ROCPRIM_400000_NS6detail17trampoline_kernelINS0_14default_configENS1_27scan_by_key_config_selectorIj11FixedVectorIiLj4EEEEZZNS1_16scan_by_key_implILNS1_25lookback_scan_determinismE0ELb0ES3_N6thrust23THRUST_200600_302600_NS6detail15normal_iteratorINSB_10device_ptrIjEEEENSD_INSE_IS6_EEEESI_S6_NSB_4plusIvEENSB_8equal_toIvEES6_EE10hipError_tPvRmT2_T3_T4_T5_mT6_T7_P12ihipStream_tbENKUlT_T0_E_clISt17integral_constantIbLb1EES13_EEDaSY_SZ_EUlSY_E_NS1_11comp_targetILNS1_3genE0ELNS1_11target_archE4294967295ELNS1_3gpuE0ELNS1_3repE0EEENS1_30default_config_static_selectorELNS0_4arch9wavefront6targetE0EEEvT1_,"axG",@progbits,_ZN7rocprim17ROCPRIM_400000_NS6detail17trampoline_kernelINS0_14default_configENS1_27scan_by_key_config_selectorIj11FixedVectorIiLj4EEEEZZNS1_16scan_by_key_implILNS1_25lookback_scan_determinismE0ELb0ES3_N6thrust23THRUST_200600_302600_NS6detail15normal_iteratorINSB_10device_ptrIjEEEENSD_INSE_IS6_EEEESI_S6_NSB_4plusIvEENSB_8equal_toIvEES6_EE10hipError_tPvRmT2_T3_T4_T5_mT6_T7_P12ihipStream_tbENKUlT_T0_E_clISt17integral_constantIbLb1EES13_EEDaSY_SZ_EUlSY_E_NS1_11comp_targetILNS1_3genE0ELNS1_11target_archE4294967295ELNS1_3gpuE0ELNS1_3repE0EEENS1_30default_config_static_selectorELNS0_4arch9wavefront6targetE0EEEvT1_,comdat
	.protected	_ZN7rocprim17ROCPRIM_400000_NS6detail17trampoline_kernelINS0_14default_configENS1_27scan_by_key_config_selectorIj11FixedVectorIiLj4EEEEZZNS1_16scan_by_key_implILNS1_25lookback_scan_determinismE0ELb0ES3_N6thrust23THRUST_200600_302600_NS6detail15normal_iteratorINSB_10device_ptrIjEEEENSD_INSE_IS6_EEEESI_S6_NSB_4plusIvEENSB_8equal_toIvEES6_EE10hipError_tPvRmT2_T3_T4_T5_mT6_T7_P12ihipStream_tbENKUlT_T0_E_clISt17integral_constantIbLb1EES13_EEDaSY_SZ_EUlSY_E_NS1_11comp_targetILNS1_3genE0ELNS1_11target_archE4294967295ELNS1_3gpuE0ELNS1_3repE0EEENS1_30default_config_static_selectorELNS0_4arch9wavefront6targetE0EEEvT1_ ; -- Begin function _ZN7rocprim17ROCPRIM_400000_NS6detail17trampoline_kernelINS0_14default_configENS1_27scan_by_key_config_selectorIj11FixedVectorIiLj4EEEEZZNS1_16scan_by_key_implILNS1_25lookback_scan_determinismE0ELb0ES3_N6thrust23THRUST_200600_302600_NS6detail15normal_iteratorINSB_10device_ptrIjEEEENSD_INSE_IS6_EEEESI_S6_NSB_4plusIvEENSB_8equal_toIvEES6_EE10hipError_tPvRmT2_T3_T4_T5_mT6_T7_P12ihipStream_tbENKUlT_T0_E_clISt17integral_constantIbLb1EES13_EEDaSY_SZ_EUlSY_E_NS1_11comp_targetILNS1_3genE0ELNS1_11target_archE4294967295ELNS1_3gpuE0ELNS1_3repE0EEENS1_30default_config_static_selectorELNS0_4arch9wavefront6targetE0EEEvT1_
	.globl	_ZN7rocprim17ROCPRIM_400000_NS6detail17trampoline_kernelINS0_14default_configENS1_27scan_by_key_config_selectorIj11FixedVectorIiLj4EEEEZZNS1_16scan_by_key_implILNS1_25lookback_scan_determinismE0ELb0ES3_N6thrust23THRUST_200600_302600_NS6detail15normal_iteratorINSB_10device_ptrIjEEEENSD_INSE_IS6_EEEESI_S6_NSB_4plusIvEENSB_8equal_toIvEES6_EE10hipError_tPvRmT2_T3_T4_T5_mT6_T7_P12ihipStream_tbENKUlT_T0_E_clISt17integral_constantIbLb1EES13_EEDaSY_SZ_EUlSY_E_NS1_11comp_targetILNS1_3genE0ELNS1_11target_archE4294967295ELNS1_3gpuE0ELNS1_3repE0EEENS1_30default_config_static_selectorELNS0_4arch9wavefront6targetE0EEEvT1_
	.p2align	8
	.type	_ZN7rocprim17ROCPRIM_400000_NS6detail17trampoline_kernelINS0_14default_configENS1_27scan_by_key_config_selectorIj11FixedVectorIiLj4EEEEZZNS1_16scan_by_key_implILNS1_25lookback_scan_determinismE0ELb0ES3_N6thrust23THRUST_200600_302600_NS6detail15normal_iteratorINSB_10device_ptrIjEEEENSD_INSE_IS6_EEEESI_S6_NSB_4plusIvEENSB_8equal_toIvEES6_EE10hipError_tPvRmT2_T3_T4_T5_mT6_T7_P12ihipStream_tbENKUlT_T0_E_clISt17integral_constantIbLb1EES13_EEDaSY_SZ_EUlSY_E_NS1_11comp_targetILNS1_3genE0ELNS1_11target_archE4294967295ELNS1_3gpuE0ELNS1_3repE0EEENS1_30default_config_static_selectorELNS0_4arch9wavefront6targetE0EEEvT1_,@function
_ZN7rocprim17ROCPRIM_400000_NS6detail17trampoline_kernelINS0_14default_configENS1_27scan_by_key_config_selectorIj11FixedVectorIiLj4EEEEZZNS1_16scan_by_key_implILNS1_25lookback_scan_determinismE0ELb0ES3_N6thrust23THRUST_200600_302600_NS6detail15normal_iteratorINSB_10device_ptrIjEEEENSD_INSE_IS6_EEEESI_S6_NSB_4plusIvEENSB_8equal_toIvEES6_EE10hipError_tPvRmT2_T3_T4_T5_mT6_T7_P12ihipStream_tbENKUlT_T0_E_clISt17integral_constantIbLb1EES13_EEDaSY_SZ_EUlSY_E_NS1_11comp_targetILNS1_3genE0ELNS1_11target_archE4294967295ELNS1_3gpuE0ELNS1_3repE0EEENS1_30default_config_static_selectorELNS0_4arch9wavefront6targetE0EEEvT1_: ; @_ZN7rocprim17ROCPRIM_400000_NS6detail17trampoline_kernelINS0_14default_configENS1_27scan_by_key_config_selectorIj11FixedVectorIiLj4EEEEZZNS1_16scan_by_key_implILNS1_25lookback_scan_determinismE0ELb0ES3_N6thrust23THRUST_200600_302600_NS6detail15normal_iteratorINSB_10device_ptrIjEEEENSD_INSE_IS6_EEEESI_S6_NSB_4plusIvEENSB_8equal_toIvEES6_EE10hipError_tPvRmT2_T3_T4_T5_mT6_T7_P12ihipStream_tbENKUlT_T0_E_clISt17integral_constantIbLb1EES13_EEDaSY_SZ_EUlSY_E_NS1_11comp_targetILNS1_3genE0ELNS1_11target_archE4294967295ELNS1_3gpuE0ELNS1_3repE0EEENS1_30default_config_static_selectorELNS0_4arch9wavefront6targetE0EEEvT1_
; %bb.0:
	s_endpgm
	.section	.rodata,"a",@progbits
	.p2align	6, 0x0
	.amdhsa_kernel _ZN7rocprim17ROCPRIM_400000_NS6detail17trampoline_kernelINS0_14default_configENS1_27scan_by_key_config_selectorIj11FixedVectorIiLj4EEEEZZNS1_16scan_by_key_implILNS1_25lookback_scan_determinismE0ELb0ES3_N6thrust23THRUST_200600_302600_NS6detail15normal_iteratorINSB_10device_ptrIjEEEENSD_INSE_IS6_EEEESI_S6_NSB_4plusIvEENSB_8equal_toIvEES6_EE10hipError_tPvRmT2_T3_T4_T5_mT6_T7_P12ihipStream_tbENKUlT_T0_E_clISt17integral_constantIbLb1EES13_EEDaSY_SZ_EUlSY_E_NS1_11comp_targetILNS1_3genE0ELNS1_11target_archE4294967295ELNS1_3gpuE0ELNS1_3repE0EEENS1_30default_config_static_selectorELNS0_4arch9wavefront6targetE0EEEvT1_
		.amdhsa_group_segment_fixed_size 0
		.amdhsa_private_segment_fixed_size 0
		.amdhsa_kernarg_size 144
		.amdhsa_user_sgpr_count 2
		.amdhsa_user_sgpr_dispatch_ptr 0
		.amdhsa_user_sgpr_queue_ptr 0
		.amdhsa_user_sgpr_kernarg_segment_ptr 1
		.amdhsa_user_sgpr_dispatch_id 0
		.amdhsa_user_sgpr_kernarg_preload_length 0
		.amdhsa_user_sgpr_kernarg_preload_offset 0
		.amdhsa_user_sgpr_private_segment_size 0
		.amdhsa_wavefront_size32 1
		.amdhsa_uses_dynamic_stack 0
		.amdhsa_enable_private_segment 0
		.amdhsa_system_sgpr_workgroup_id_x 1
		.amdhsa_system_sgpr_workgroup_id_y 0
		.amdhsa_system_sgpr_workgroup_id_z 0
		.amdhsa_system_sgpr_workgroup_info 0
		.amdhsa_system_vgpr_workitem_id 0
		.amdhsa_next_free_vgpr 1
		.amdhsa_next_free_sgpr 1
		.amdhsa_named_barrier_count 0
		.amdhsa_reserve_vcc 0
		.amdhsa_float_round_mode_32 0
		.amdhsa_float_round_mode_16_64 0
		.amdhsa_float_denorm_mode_32 3
		.amdhsa_float_denorm_mode_16_64 3
		.amdhsa_fp16_overflow 0
		.amdhsa_memory_ordered 1
		.amdhsa_forward_progress 1
		.amdhsa_inst_pref_size 1
		.amdhsa_round_robin_scheduling 0
		.amdhsa_exception_fp_ieee_invalid_op 0
		.amdhsa_exception_fp_denorm_src 0
		.amdhsa_exception_fp_ieee_div_zero 0
		.amdhsa_exception_fp_ieee_overflow 0
		.amdhsa_exception_fp_ieee_underflow 0
		.amdhsa_exception_fp_ieee_inexact 0
		.amdhsa_exception_int_div_zero 0
	.end_amdhsa_kernel
	.section	.text._ZN7rocprim17ROCPRIM_400000_NS6detail17trampoline_kernelINS0_14default_configENS1_27scan_by_key_config_selectorIj11FixedVectorIiLj4EEEEZZNS1_16scan_by_key_implILNS1_25lookback_scan_determinismE0ELb0ES3_N6thrust23THRUST_200600_302600_NS6detail15normal_iteratorINSB_10device_ptrIjEEEENSD_INSE_IS6_EEEESI_S6_NSB_4plusIvEENSB_8equal_toIvEES6_EE10hipError_tPvRmT2_T3_T4_T5_mT6_T7_P12ihipStream_tbENKUlT_T0_E_clISt17integral_constantIbLb1EES13_EEDaSY_SZ_EUlSY_E_NS1_11comp_targetILNS1_3genE0ELNS1_11target_archE4294967295ELNS1_3gpuE0ELNS1_3repE0EEENS1_30default_config_static_selectorELNS0_4arch9wavefront6targetE0EEEvT1_,"axG",@progbits,_ZN7rocprim17ROCPRIM_400000_NS6detail17trampoline_kernelINS0_14default_configENS1_27scan_by_key_config_selectorIj11FixedVectorIiLj4EEEEZZNS1_16scan_by_key_implILNS1_25lookback_scan_determinismE0ELb0ES3_N6thrust23THRUST_200600_302600_NS6detail15normal_iteratorINSB_10device_ptrIjEEEENSD_INSE_IS6_EEEESI_S6_NSB_4plusIvEENSB_8equal_toIvEES6_EE10hipError_tPvRmT2_T3_T4_T5_mT6_T7_P12ihipStream_tbENKUlT_T0_E_clISt17integral_constantIbLb1EES13_EEDaSY_SZ_EUlSY_E_NS1_11comp_targetILNS1_3genE0ELNS1_11target_archE4294967295ELNS1_3gpuE0ELNS1_3repE0EEENS1_30default_config_static_selectorELNS0_4arch9wavefront6targetE0EEEvT1_,comdat
.Lfunc_end2044:
	.size	_ZN7rocprim17ROCPRIM_400000_NS6detail17trampoline_kernelINS0_14default_configENS1_27scan_by_key_config_selectorIj11FixedVectorIiLj4EEEEZZNS1_16scan_by_key_implILNS1_25lookback_scan_determinismE0ELb0ES3_N6thrust23THRUST_200600_302600_NS6detail15normal_iteratorINSB_10device_ptrIjEEEENSD_INSE_IS6_EEEESI_S6_NSB_4plusIvEENSB_8equal_toIvEES6_EE10hipError_tPvRmT2_T3_T4_T5_mT6_T7_P12ihipStream_tbENKUlT_T0_E_clISt17integral_constantIbLb1EES13_EEDaSY_SZ_EUlSY_E_NS1_11comp_targetILNS1_3genE0ELNS1_11target_archE4294967295ELNS1_3gpuE0ELNS1_3repE0EEENS1_30default_config_static_selectorELNS0_4arch9wavefront6targetE0EEEvT1_, .Lfunc_end2044-_ZN7rocprim17ROCPRIM_400000_NS6detail17trampoline_kernelINS0_14default_configENS1_27scan_by_key_config_selectorIj11FixedVectorIiLj4EEEEZZNS1_16scan_by_key_implILNS1_25lookback_scan_determinismE0ELb0ES3_N6thrust23THRUST_200600_302600_NS6detail15normal_iteratorINSB_10device_ptrIjEEEENSD_INSE_IS6_EEEESI_S6_NSB_4plusIvEENSB_8equal_toIvEES6_EE10hipError_tPvRmT2_T3_T4_T5_mT6_T7_P12ihipStream_tbENKUlT_T0_E_clISt17integral_constantIbLb1EES13_EEDaSY_SZ_EUlSY_E_NS1_11comp_targetILNS1_3genE0ELNS1_11target_archE4294967295ELNS1_3gpuE0ELNS1_3repE0EEENS1_30default_config_static_selectorELNS0_4arch9wavefront6targetE0EEEvT1_
                                        ; -- End function
	.set _ZN7rocprim17ROCPRIM_400000_NS6detail17trampoline_kernelINS0_14default_configENS1_27scan_by_key_config_selectorIj11FixedVectorIiLj4EEEEZZNS1_16scan_by_key_implILNS1_25lookback_scan_determinismE0ELb0ES3_N6thrust23THRUST_200600_302600_NS6detail15normal_iteratorINSB_10device_ptrIjEEEENSD_INSE_IS6_EEEESI_S6_NSB_4plusIvEENSB_8equal_toIvEES6_EE10hipError_tPvRmT2_T3_T4_T5_mT6_T7_P12ihipStream_tbENKUlT_T0_E_clISt17integral_constantIbLb1EES13_EEDaSY_SZ_EUlSY_E_NS1_11comp_targetILNS1_3genE0ELNS1_11target_archE4294967295ELNS1_3gpuE0ELNS1_3repE0EEENS1_30default_config_static_selectorELNS0_4arch9wavefront6targetE0EEEvT1_.num_vgpr, 0
	.set _ZN7rocprim17ROCPRIM_400000_NS6detail17trampoline_kernelINS0_14default_configENS1_27scan_by_key_config_selectorIj11FixedVectorIiLj4EEEEZZNS1_16scan_by_key_implILNS1_25lookback_scan_determinismE0ELb0ES3_N6thrust23THRUST_200600_302600_NS6detail15normal_iteratorINSB_10device_ptrIjEEEENSD_INSE_IS6_EEEESI_S6_NSB_4plusIvEENSB_8equal_toIvEES6_EE10hipError_tPvRmT2_T3_T4_T5_mT6_T7_P12ihipStream_tbENKUlT_T0_E_clISt17integral_constantIbLb1EES13_EEDaSY_SZ_EUlSY_E_NS1_11comp_targetILNS1_3genE0ELNS1_11target_archE4294967295ELNS1_3gpuE0ELNS1_3repE0EEENS1_30default_config_static_selectorELNS0_4arch9wavefront6targetE0EEEvT1_.num_agpr, 0
	.set _ZN7rocprim17ROCPRIM_400000_NS6detail17trampoline_kernelINS0_14default_configENS1_27scan_by_key_config_selectorIj11FixedVectorIiLj4EEEEZZNS1_16scan_by_key_implILNS1_25lookback_scan_determinismE0ELb0ES3_N6thrust23THRUST_200600_302600_NS6detail15normal_iteratorINSB_10device_ptrIjEEEENSD_INSE_IS6_EEEESI_S6_NSB_4plusIvEENSB_8equal_toIvEES6_EE10hipError_tPvRmT2_T3_T4_T5_mT6_T7_P12ihipStream_tbENKUlT_T0_E_clISt17integral_constantIbLb1EES13_EEDaSY_SZ_EUlSY_E_NS1_11comp_targetILNS1_3genE0ELNS1_11target_archE4294967295ELNS1_3gpuE0ELNS1_3repE0EEENS1_30default_config_static_selectorELNS0_4arch9wavefront6targetE0EEEvT1_.numbered_sgpr, 0
	.set _ZN7rocprim17ROCPRIM_400000_NS6detail17trampoline_kernelINS0_14default_configENS1_27scan_by_key_config_selectorIj11FixedVectorIiLj4EEEEZZNS1_16scan_by_key_implILNS1_25lookback_scan_determinismE0ELb0ES3_N6thrust23THRUST_200600_302600_NS6detail15normal_iteratorINSB_10device_ptrIjEEEENSD_INSE_IS6_EEEESI_S6_NSB_4plusIvEENSB_8equal_toIvEES6_EE10hipError_tPvRmT2_T3_T4_T5_mT6_T7_P12ihipStream_tbENKUlT_T0_E_clISt17integral_constantIbLb1EES13_EEDaSY_SZ_EUlSY_E_NS1_11comp_targetILNS1_3genE0ELNS1_11target_archE4294967295ELNS1_3gpuE0ELNS1_3repE0EEENS1_30default_config_static_selectorELNS0_4arch9wavefront6targetE0EEEvT1_.num_named_barrier, 0
	.set _ZN7rocprim17ROCPRIM_400000_NS6detail17trampoline_kernelINS0_14default_configENS1_27scan_by_key_config_selectorIj11FixedVectorIiLj4EEEEZZNS1_16scan_by_key_implILNS1_25lookback_scan_determinismE0ELb0ES3_N6thrust23THRUST_200600_302600_NS6detail15normal_iteratorINSB_10device_ptrIjEEEENSD_INSE_IS6_EEEESI_S6_NSB_4plusIvEENSB_8equal_toIvEES6_EE10hipError_tPvRmT2_T3_T4_T5_mT6_T7_P12ihipStream_tbENKUlT_T0_E_clISt17integral_constantIbLb1EES13_EEDaSY_SZ_EUlSY_E_NS1_11comp_targetILNS1_3genE0ELNS1_11target_archE4294967295ELNS1_3gpuE0ELNS1_3repE0EEENS1_30default_config_static_selectorELNS0_4arch9wavefront6targetE0EEEvT1_.private_seg_size, 0
	.set _ZN7rocprim17ROCPRIM_400000_NS6detail17trampoline_kernelINS0_14default_configENS1_27scan_by_key_config_selectorIj11FixedVectorIiLj4EEEEZZNS1_16scan_by_key_implILNS1_25lookback_scan_determinismE0ELb0ES3_N6thrust23THRUST_200600_302600_NS6detail15normal_iteratorINSB_10device_ptrIjEEEENSD_INSE_IS6_EEEESI_S6_NSB_4plusIvEENSB_8equal_toIvEES6_EE10hipError_tPvRmT2_T3_T4_T5_mT6_T7_P12ihipStream_tbENKUlT_T0_E_clISt17integral_constantIbLb1EES13_EEDaSY_SZ_EUlSY_E_NS1_11comp_targetILNS1_3genE0ELNS1_11target_archE4294967295ELNS1_3gpuE0ELNS1_3repE0EEENS1_30default_config_static_selectorELNS0_4arch9wavefront6targetE0EEEvT1_.uses_vcc, 0
	.set _ZN7rocprim17ROCPRIM_400000_NS6detail17trampoline_kernelINS0_14default_configENS1_27scan_by_key_config_selectorIj11FixedVectorIiLj4EEEEZZNS1_16scan_by_key_implILNS1_25lookback_scan_determinismE0ELb0ES3_N6thrust23THRUST_200600_302600_NS6detail15normal_iteratorINSB_10device_ptrIjEEEENSD_INSE_IS6_EEEESI_S6_NSB_4plusIvEENSB_8equal_toIvEES6_EE10hipError_tPvRmT2_T3_T4_T5_mT6_T7_P12ihipStream_tbENKUlT_T0_E_clISt17integral_constantIbLb1EES13_EEDaSY_SZ_EUlSY_E_NS1_11comp_targetILNS1_3genE0ELNS1_11target_archE4294967295ELNS1_3gpuE0ELNS1_3repE0EEENS1_30default_config_static_selectorELNS0_4arch9wavefront6targetE0EEEvT1_.uses_flat_scratch, 0
	.set _ZN7rocprim17ROCPRIM_400000_NS6detail17trampoline_kernelINS0_14default_configENS1_27scan_by_key_config_selectorIj11FixedVectorIiLj4EEEEZZNS1_16scan_by_key_implILNS1_25lookback_scan_determinismE0ELb0ES3_N6thrust23THRUST_200600_302600_NS6detail15normal_iteratorINSB_10device_ptrIjEEEENSD_INSE_IS6_EEEESI_S6_NSB_4plusIvEENSB_8equal_toIvEES6_EE10hipError_tPvRmT2_T3_T4_T5_mT6_T7_P12ihipStream_tbENKUlT_T0_E_clISt17integral_constantIbLb1EES13_EEDaSY_SZ_EUlSY_E_NS1_11comp_targetILNS1_3genE0ELNS1_11target_archE4294967295ELNS1_3gpuE0ELNS1_3repE0EEENS1_30default_config_static_selectorELNS0_4arch9wavefront6targetE0EEEvT1_.has_dyn_sized_stack, 0
	.set _ZN7rocprim17ROCPRIM_400000_NS6detail17trampoline_kernelINS0_14default_configENS1_27scan_by_key_config_selectorIj11FixedVectorIiLj4EEEEZZNS1_16scan_by_key_implILNS1_25lookback_scan_determinismE0ELb0ES3_N6thrust23THRUST_200600_302600_NS6detail15normal_iteratorINSB_10device_ptrIjEEEENSD_INSE_IS6_EEEESI_S6_NSB_4plusIvEENSB_8equal_toIvEES6_EE10hipError_tPvRmT2_T3_T4_T5_mT6_T7_P12ihipStream_tbENKUlT_T0_E_clISt17integral_constantIbLb1EES13_EEDaSY_SZ_EUlSY_E_NS1_11comp_targetILNS1_3genE0ELNS1_11target_archE4294967295ELNS1_3gpuE0ELNS1_3repE0EEENS1_30default_config_static_selectorELNS0_4arch9wavefront6targetE0EEEvT1_.has_recursion, 0
	.set _ZN7rocprim17ROCPRIM_400000_NS6detail17trampoline_kernelINS0_14default_configENS1_27scan_by_key_config_selectorIj11FixedVectorIiLj4EEEEZZNS1_16scan_by_key_implILNS1_25lookback_scan_determinismE0ELb0ES3_N6thrust23THRUST_200600_302600_NS6detail15normal_iteratorINSB_10device_ptrIjEEEENSD_INSE_IS6_EEEESI_S6_NSB_4plusIvEENSB_8equal_toIvEES6_EE10hipError_tPvRmT2_T3_T4_T5_mT6_T7_P12ihipStream_tbENKUlT_T0_E_clISt17integral_constantIbLb1EES13_EEDaSY_SZ_EUlSY_E_NS1_11comp_targetILNS1_3genE0ELNS1_11target_archE4294967295ELNS1_3gpuE0ELNS1_3repE0EEENS1_30default_config_static_selectorELNS0_4arch9wavefront6targetE0EEEvT1_.has_indirect_call, 0
	.section	.AMDGPU.csdata,"",@progbits
; Kernel info:
; codeLenInByte = 4
; TotalNumSgprs: 0
; NumVgprs: 0
; ScratchSize: 0
; MemoryBound: 0
; FloatMode: 240
; IeeeMode: 1
; LDSByteSize: 0 bytes/workgroup (compile time only)
; SGPRBlocks: 0
; VGPRBlocks: 0
; NumSGPRsForWavesPerEU: 1
; NumVGPRsForWavesPerEU: 1
; NamedBarCnt: 0
; Occupancy: 16
; WaveLimiterHint : 0
; COMPUTE_PGM_RSRC2:SCRATCH_EN: 0
; COMPUTE_PGM_RSRC2:USER_SGPR: 2
; COMPUTE_PGM_RSRC2:TRAP_HANDLER: 0
; COMPUTE_PGM_RSRC2:TGID_X_EN: 1
; COMPUTE_PGM_RSRC2:TGID_Y_EN: 0
; COMPUTE_PGM_RSRC2:TGID_Z_EN: 0
; COMPUTE_PGM_RSRC2:TIDIG_COMP_CNT: 0
	.section	.text._ZN7rocprim17ROCPRIM_400000_NS6detail17trampoline_kernelINS0_14default_configENS1_27scan_by_key_config_selectorIj11FixedVectorIiLj4EEEEZZNS1_16scan_by_key_implILNS1_25lookback_scan_determinismE0ELb0ES3_N6thrust23THRUST_200600_302600_NS6detail15normal_iteratorINSB_10device_ptrIjEEEENSD_INSE_IS6_EEEESI_S6_NSB_4plusIvEENSB_8equal_toIvEES6_EE10hipError_tPvRmT2_T3_T4_T5_mT6_T7_P12ihipStream_tbENKUlT_T0_E_clISt17integral_constantIbLb1EES13_EEDaSY_SZ_EUlSY_E_NS1_11comp_targetILNS1_3genE10ELNS1_11target_archE1201ELNS1_3gpuE5ELNS1_3repE0EEENS1_30default_config_static_selectorELNS0_4arch9wavefront6targetE0EEEvT1_,"axG",@progbits,_ZN7rocprim17ROCPRIM_400000_NS6detail17trampoline_kernelINS0_14default_configENS1_27scan_by_key_config_selectorIj11FixedVectorIiLj4EEEEZZNS1_16scan_by_key_implILNS1_25lookback_scan_determinismE0ELb0ES3_N6thrust23THRUST_200600_302600_NS6detail15normal_iteratorINSB_10device_ptrIjEEEENSD_INSE_IS6_EEEESI_S6_NSB_4plusIvEENSB_8equal_toIvEES6_EE10hipError_tPvRmT2_T3_T4_T5_mT6_T7_P12ihipStream_tbENKUlT_T0_E_clISt17integral_constantIbLb1EES13_EEDaSY_SZ_EUlSY_E_NS1_11comp_targetILNS1_3genE10ELNS1_11target_archE1201ELNS1_3gpuE5ELNS1_3repE0EEENS1_30default_config_static_selectorELNS0_4arch9wavefront6targetE0EEEvT1_,comdat
	.protected	_ZN7rocprim17ROCPRIM_400000_NS6detail17trampoline_kernelINS0_14default_configENS1_27scan_by_key_config_selectorIj11FixedVectorIiLj4EEEEZZNS1_16scan_by_key_implILNS1_25lookback_scan_determinismE0ELb0ES3_N6thrust23THRUST_200600_302600_NS6detail15normal_iteratorINSB_10device_ptrIjEEEENSD_INSE_IS6_EEEESI_S6_NSB_4plusIvEENSB_8equal_toIvEES6_EE10hipError_tPvRmT2_T3_T4_T5_mT6_T7_P12ihipStream_tbENKUlT_T0_E_clISt17integral_constantIbLb1EES13_EEDaSY_SZ_EUlSY_E_NS1_11comp_targetILNS1_3genE10ELNS1_11target_archE1201ELNS1_3gpuE5ELNS1_3repE0EEENS1_30default_config_static_selectorELNS0_4arch9wavefront6targetE0EEEvT1_ ; -- Begin function _ZN7rocprim17ROCPRIM_400000_NS6detail17trampoline_kernelINS0_14default_configENS1_27scan_by_key_config_selectorIj11FixedVectorIiLj4EEEEZZNS1_16scan_by_key_implILNS1_25lookback_scan_determinismE0ELb0ES3_N6thrust23THRUST_200600_302600_NS6detail15normal_iteratorINSB_10device_ptrIjEEEENSD_INSE_IS6_EEEESI_S6_NSB_4plusIvEENSB_8equal_toIvEES6_EE10hipError_tPvRmT2_T3_T4_T5_mT6_T7_P12ihipStream_tbENKUlT_T0_E_clISt17integral_constantIbLb1EES13_EEDaSY_SZ_EUlSY_E_NS1_11comp_targetILNS1_3genE10ELNS1_11target_archE1201ELNS1_3gpuE5ELNS1_3repE0EEENS1_30default_config_static_selectorELNS0_4arch9wavefront6targetE0EEEvT1_
	.globl	_ZN7rocprim17ROCPRIM_400000_NS6detail17trampoline_kernelINS0_14default_configENS1_27scan_by_key_config_selectorIj11FixedVectorIiLj4EEEEZZNS1_16scan_by_key_implILNS1_25lookback_scan_determinismE0ELb0ES3_N6thrust23THRUST_200600_302600_NS6detail15normal_iteratorINSB_10device_ptrIjEEEENSD_INSE_IS6_EEEESI_S6_NSB_4plusIvEENSB_8equal_toIvEES6_EE10hipError_tPvRmT2_T3_T4_T5_mT6_T7_P12ihipStream_tbENKUlT_T0_E_clISt17integral_constantIbLb1EES13_EEDaSY_SZ_EUlSY_E_NS1_11comp_targetILNS1_3genE10ELNS1_11target_archE1201ELNS1_3gpuE5ELNS1_3repE0EEENS1_30default_config_static_selectorELNS0_4arch9wavefront6targetE0EEEvT1_
	.p2align	8
	.type	_ZN7rocprim17ROCPRIM_400000_NS6detail17trampoline_kernelINS0_14default_configENS1_27scan_by_key_config_selectorIj11FixedVectorIiLj4EEEEZZNS1_16scan_by_key_implILNS1_25lookback_scan_determinismE0ELb0ES3_N6thrust23THRUST_200600_302600_NS6detail15normal_iteratorINSB_10device_ptrIjEEEENSD_INSE_IS6_EEEESI_S6_NSB_4plusIvEENSB_8equal_toIvEES6_EE10hipError_tPvRmT2_T3_T4_T5_mT6_T7_P12ihipStream_tbENKUlT_T0_E_clISt17integral_constantIbLb1EES13_EEDaSY_SZ_EUlSY_E_NS1_11comp_targetILNS1_3genE10ELNS1_11target_archE1201ELNS1_3gpuE5ELNS1_3repE0EEENS1_30default_config_static_selectorELNS0_4arch9wavefront6targetE0EEEvT1_,@function
_ZN7rocprim17ROCPRIM_400000_NS6detail17trampoline_kernelINS0_14default_configENS1_27scan_by_key_config_selectorIj11FixedVectorIiLj4EEEEZZNS1_16scan_by_key_implILNS1_25lookback_scan_determinismE0ELb0ES3_N6thrust23THRUST_200600_302600_NS6detail15normal_iteratorINSB_10device_ptrIjEEEENSD_INSE_IS6_EEEESI_S6_NSB_4plusIvEENSB_8equal_toIvEES6_EE10hipError_tPvRmT2_T3_T4_T5_mT6_T7_P12ihipStream_tbENKUlT_T0_E_clISt17integral_constantIbLb1EES13_EEDaSY_SZ_EUlSY_E_NS1_11comp_targetILNS1_3genE10ELNS1_11target_archE1201ELNS1_3gpuE5ELNS1_3repE0EEENS1_30default_config_static_selectorELNS0_4arch9wavefront6targetE0EEEvT1_: ; @_ZN7rocprim17ROCPRIM_400000_NS6detail17trampoline_kernelINS0_14default_configENS1_27scan_by_key_config_selectorIj11FixedVectorIiLj4EEEEZZNS1_16scan_by_key_implILNS1_25lookback_scan_determinismE0ELb0ES3_N6thrust23THRUST_200600_302600_NS6detail15normal_iteratorINSB_10device_ptrIjEEEENSD_INSE_IS6_EEEESI_S6_NSB_4plusIvEENSB_8equal_toIvEES6_EE10hipError_tPvRmT2_T3_T4_T5_mT6_T7_P12ihipStream_tbENKUlT_T0_E_clISt17integral_constantIbLb1EES13_EEDaSY_SZ_EUlSY_E_NS1_11comp_targetILNS1_3genE10ELNS1_11target_archE1201ELNS1_3gpuE5ELNS1_3repE0EEENS1_30default_config_static_selectorELNS0_4arch9wavefront6targetE0EEEvT1_
; %bb.0:
	.section	.rodata,"a",@progbits
	.p2align	6, 0x0
	.amdhsa_kernel _ZN7rocprim17ROCPRIM_400000_NS6detail17trampoline_kernelINS0_14default_configENS1_27scan_by_key_config_selectorIj11FixedVectorIiLj4EEEEZZNS1_16scan_by_key_implILNS1_25lookback_scan_determinismE0ELb0ES3_N6thrust23THRUST_200600_302600_NS6detail15normal_iteratorINSB_10device_ptrIjEEEENSD_INSE_IS6_EEEESI_S6_NSB_4plusIvEENSB_8equal_toIvEES6_EE10hipError_tPvRmT2_T3_T4_T5_mT6_T7_P12ihipStream_tbENKUlT_T0_E_clISt17integral_constantIbLb1EES13_EEDaSY_SZ_EUlSY_E_NS1_11comp_targetILNS1_3genE10ELNS1_11target_archE1201ELNS1_3gpuE5ELNS1_3repE0EEENS1_30default_config_static_selectorELNS0_4arch9wavefront6targetE0EEEvT1_
		.amdhsa_group_segment_fixed_size 0
		.amdhsa_private_segment_fixed_size 0
		.amdhsa_kernarg_size 144
		.amdhsa_user_sgpr_count 2
		.amdhsa_user_sgpr_dispatch_ptr 0
		.amdhsa_user_sgpr_queue_ptr 0
		.amdhsa_user_sgpr_kernarg_segment_ptr 1
		.amdhsa_user_sgpr_dispatch_id 0
		.amdhsa_user_sgpr_kernarg_preload_length 0
		.amdhsa_user_sgpr_kernarg_preload_offset 0
		.amdhsa_user_sgpr_private_segment_size 0
		.amdhsa_wavefront_size32 1
		.amdhsa_uses_dynamic_stack 0
		.amdhsa_enable_private_segment 0
		.amdhsa_system_sgpr_workgroup_id_x 1
		.amdhsa_system_sgpr_workgroup_id_y 0
		.amdhsa_system_sgpr_workgroup_id_z 0
		.amdhsa_system_sgpr_workgroup_info 0
		.amdhsa_system_vgpr_workitem_id 0
		.amdhsa_next_free_vgpr 1
		.amdhsa_next_free_sgpr 1
		.amdhsa_named_barrier_count 0
		.amdhsa_reserve_vcc 0
		.amdhsa_float_round_mode_32 0
		.amdhsa_float_round_mode_16_64 0
		.amdhsa_float_denorm_mode_32 3
		.amdhsa_float_denorm_mode_16_64 3
		.amdhsa_fp16_overflow 0
		.amdhsa_memory_ordered 1
		.amdhsa_forward_progress 1
		.amdhsa_inst_pref_size 0
		.amdhsa_round_robin_scheduling 0
		.amdhsa_exception_fp_ieee_invalid_op 0
		.amdhsa_exception_fp_denorm_src 0
		.amdhsa_exception_fp_ieee_div_zero 0
		.amdhsa_exception_fp_ieee_overflow 0
		.amdhsa_exception_fp_ieee_underflow 0
		.amdhsa_exception_fp_ieee_inexact 0
		.amdhsa_exception_int_div_zero 0
	.end_amdhsa_kernel
	.section	.text._ZN7rocprim17ROCPRIM_400000_NS6detail17trampoline_kernelINS0_14default_configENS1_27scan_by_key_config_selectorIj11FixedVectorIiLj4EEEEZZNS1_16scan_by_key_implILNS1_25lookback_scan_determinismE0ELb0ES3_N6thrust23THRUST_200600_302600_NS6detail15normal_iteratorINSB_10device_ptrIjEEEENSD_INSE_IS6_EEEESI_S6_NSB_4plusIvEENSB_8equal_toIvEES6_EE10hipError_tPvRmT2_T3_T4_T5_mT6_T7_P12ihipStream_tbENKUlT_T0_E_clISt17integral_constantIbLb1EES13_EEDaSY_SZ_EUlSY_E_NS1_11comp_targetILNS1_3genE10ELNS1_11target_archE1201ELNS1_3gpuE5ELNS1_3repE0EEENS1_30default_config_static_selectorELNS0_4arch9wavefront6targetE0EEEvT1_,"axG",@progbits,_ZN7rocprim17ROCPRIM_400000_NS6detail17trampoline_kernelINS0_14default_configENS1_27scan_by_key_config_selectorIj11FixedVectorIiLj4EEEEZZNS1_16scan_by_key_implILNS1_25lookback_scan_determinismE0ELb0ES3_N6thrust23THRUST_200600_302600_NS6detail15normal_iteratorINSB_10device_ptrIjEEEENSD_INSE_IS6_EEEESI_S6_NSB_4plusIvEENSB_8equal_toIvEES6_EE10hipError_tPvRmT2_T3_T4_T5_mT6_T7_P12ihipStream_tbENKUlT_T0_E_clISt17integral_constantIbLb1EES13_EEDaSY_SZ_EUlSY_E_NS1_11comp_targetILNS1_3genE10ELNS1_11target_archE1201ELNS1_3gpuE5ELNS1_3repE0EEENS1_30default_config_static_selectorELNS0_4arch9wavefront6targetE0EEEvT1_,comdat
.Lfunc_end2045:
	.size	_ZN7rocprim17ROCPRIM_400000_NS6detail17trampoline_kernelINS0_14default_configENS1_27scan_by_key_config_selectorIj11FixedVectorIiLj4EEEEZZNS1_16scan_by_key_implILNS1_25lookback_scan_determinismE0ELb0ES3_N6thrust23THRUST_200600_302600_NS6detail15normal_iteratorINSB_10device_ptrIjEEEENSD_INSE_IS6_EEEESI_S6_NSB_4plusIvEENSB_8equal_toIvEES6_EE10hipError_tPvRmT2_T3_T4_T5_mT6_T7_P12ihipStream_tbENKUlT_T0_E_clISt17integral_constantIbLb1EES13_EEDaSY_SZ_EUlSY_E_NS1_11comp_targetILNS1_3genE10ELNS1_11target_archE1201ELNS1_3gpuE5ELNS1_3repE0EEENS1_30default_config_static_selectorELNS0_4arch9wavefront6targetE0EEEvT1_, .Lfunc_end2045-_ZN7rocprim17ROCPRIM_400000_NS6detail17trampoline_kernelINS0_14default_configENS1_27scan_by_key_config_selectorIj11FixedVectorIiLj4EEEEZZNS1_16scan_by_key_implILNS1_25lookback_scan_determinismE0ELb0ES3_N6thrust23THRUST_200600_302600_NS6detail15normal_iteratorINSB_10device_ptrIjEEEENSD_INSE_IS6_EEEESI_S6_NSB_4plusIvEENSB_8equal_toIvEES6_EE10hipError_tPvRmT2_T3_T4_T5_mT6_T7_P12ihipStream_tbENKUlT_T0_E_clISt17integral_constantIbLb1EES13_EEDaSY_SZ_EUlSY_E_NS1_11comp_targetILNS1_3genE10ELNS1_11target_archE1201ELNS1_3gpuE5ELNS1_3repE0EEENS1_30default_config_static_selectorELNS0_4arch9wavefront6targetE0EEEvT1_
                                        ; -- End function
	.set _ZN7rocprim17ROCPRIM_400000_NS6detail17trampoline_kernelINS0_14default_configENS1_27scan_by_key_config_selectorIj11FixedVectorIiLj4EEEEZZNS1_16scan_by_key_implILNS1_25lookback_scan_determinismE0ELb0ES3_N6thrust23THRUST_200600_302600_NS6detail15normal_iteratorINSB_10device_ptrIjEEEENSD_INSE_IS6_EEEESI_S6_NSB_4plusIvEENSB_8equal_toIvEES6_EE10hipError_tPvRmT2_T3_T4_T5_mT6_T7_P12ihipStream_tbENKUlT_T0_E_clISt17integral_constantIbLb1EES13_EEDaSY_SZ_EUlSY_E_NS1_11comp_targetILNS1_3genE10ELNS1_11target_archE1201ELNS1_3gpuE5ELNS1_3repE0EEENS1_30default_config_static_selectorELNS0_4arch9wavefront6targetE0EEEvT1_.num_vgpr, 0
	.set _ZN7rocprim17ROCPRIM_400000_NS6detail17trampoline_kernelINS0_14default_configENS1_27scan_by_key_config_selectorIj11FixedVectorIiLj4EEEEZZNS1_16scan_by_key_implILNS1_25lookback_scan_determinismE0ELb0ES3_N6thrust23THRUST_200600_302600_NS6detail15normal_iteratorINSB_10device_ptrIjEEEENSD_INSE_IS6_EEEESI_S6_NSB_4plusIvEENSB_8equal_toIvEES6_EE10hipError_tPvRmT2_T3_T4_T5_mT6_T7_P12ihipStream_tbENKUlT_T0_E_clISt17integral_constantIbLb1EES13_EEDaSY_SZ_EUlSY_E_NS1_11comp_targetILNS1_3genE10ELNS1_11target_archE1201ELNS1_3gpuE5ELNS1_3repE0EEENS1_30default_config_static_selectorELNS0_4arch9wavefront6targetE0EEEvT1_.num_agpr, 0
	.set _ZN7rocprim17ROCPRIM_400000_NS6detail17trampoline_kernelINS0_14default_configENS1_27scan_by_key_config_selectorIj11FixedVectorIiLj4EEEEZZNS1_16scan_by_key_implILNS1_25lookback_scan_determinismE0ELb0ES3_N6thrust23THRUST_200600_302600_NS6detail15normal_iteratorINSB_10device_ptrIjEEEENSD_INSE_IS6_EEEESI_S6_NSB_4plusIvEENSB_8equal_toIvEES6_EE10hipError_tPvRmT2_T3_T4_T5_mT6_T7_P12ihipStream_tbENKUlT_T0_E_clISt17integral_constantIbLb1EES13_EEDaSY_SZ_EUlSY_E_NS1_11comp_targetILNS1_3genE10ELNS1_11target_archE1201ELNS1_3gpuE5ELNS1_3repE0EEENS1_30default_config_static_selectorELNS0_4arch9wavefront6targetE0EEEvT1_.numbered_sgpr, 0
	.set _ZN7rocprim17ROCPRIM_400000_NS6detail17trampoline_kernelINS0_14default_configENS1_27scan_by_key_config_selectorIj11FixedVectorIiLj4EEEEZZNS1_16scan_by_key_implILNS1_25lookback_scan_determinismE0ELb0ES3_N6thrust23THRUST_200600_302600_NS6detail15normal_iteratorINSB_10device_ptrIjEEEENSD_INSE_IS6_EEEESI_S6_NSB_4plusIvEENSB_8equal_toIvEES6_EE10hipError_tPvRmT2_T3_T4_T5_mT6_T7_P12ihipStream_tbENKUlT_T0_E_clISt17integral_constantIbLb1EES13_EEDaSY_SZ_EUlSY_E_NS1_11comp_targetILNS1_3genE10ELNS1_11target_archE1201ELNS1_3gpuE5ELNS1_3repE0EEENS1_30default_config_static_selectorELNS0_4arch9wavefront6targetE0EEEvT1_.num_named_barrier, 0
	.set _ZN7rocprim17ROCPRIM_400000_NS6detail17trampoline_kernelINS0_14default_configENS1_27scan_by_key_config_selectorIj11FixedVectorIiLj4EEEEZZNS1_16scan_by_key_implILNS1_25lookback_scan_determinismE0ELb0ES3_N6thrust23THRUST_200600_302600_NS6detail15normal_iteratorINSB_10device_ptrIjEEEENSD_INSE_IS6_EEEESI_S6_NSB_4plusIvEENSB_8equal_toIvEES6_EE10hipError_tPvRmT2_T3_T4_T5_mT6_T7_P12ihipStream_tbENKUlT_T0_E_clISt17integral_constantIbLb1EES13_EEDaSY_SZ_EUlSY_E_NS1_11comp_targetILNS1_3genE10ELNS1_11target_archE1201ELNS1_3gpuE5ELNS1_3repE0EEENS1_30default_config_static_selectorELNS0_4arch9wavefront6targetE0EEEvT1_.private_seg_size, 0
	.set _ZN7rocprim17ROCPRIM_400000_NS6detail17trampoline_kernelINS0_14default_configENS1_27scan_by_key_config_selectorIj11FixedVectorIiLj4EEEEZZNS1_16scan_by_key_implILNS1_25lookback_scan_determinismE0ELb0ES3_N6thrust23THRUST_200600_302600_NS6detail15normal_iteratorINSB_10device_ptrIjEEEENSD_INSE_IS6_EEEESI_S6_NSB_4plusIvEENSB_8equal_toIvEES6_EE10hipError_tPvRmT2_T3_T4_T5_mT6_T7_P12ihipStream_tbENKUlT_T0_E_clISt17integral_constantIbLb1EES13_EEDaSY_SZ_EUlSY_E_NS1_11comp_targetILNS1_3genE10ELNS1_11target_archE1201ELNS1_3gpuE5ELNS1_3repE0EEENS1_30default_config_static_selectorELNS0_4arch9wavefront6targetE0EEEvT1_.uses_vcc, 0
	.set _ZN7rocprim17ROCPRIM_400000_NS6detail17trampoline_kernelINS0_14default_configENS1_27scan_by_key_config_selectorIj11FixedVectorIiLj4EEEEZZNS1_16scan_by_key_implILNS1_25lookback_scan_determinismE0ELb0ES3_N6thrust23THRUST_200600_302600_NS6detail15normal_iteratorINSB_10device_ptrIjEEEENSD_INSE_IS6_EEEESI_S6_NSB_4plusIvEENSB_8equal_toIvEES6_EE10hipError_tPvRmT2_T3_T4_T5_mT6_T7_P12ihipStream_tbENKUlT_T0_E_clISt17integral_constantIbLb1EES13_EEDaSY_SZ_EUlSY_E_NS1_11comp_targetILNS1_3genE10ELNS1_11target_archE1201ELNS1_3gpuE5ELNS1_3repE0EEENS1_30default_config_static_selectorELNS0_4arch9wavefront6targetE0EEEvT1_.uses_flat_scratch, 0
	.set _ZN7rocprim17ROCPRIM_400000_NS6detail17trampoline_kernelINS0_14default_configENS1_27scan_by_key_config_selectorIj11FixedVectorIiLj4EEEEZZNS1_16scan_by_key_implILNS1_25lookback_scan_determinismE0ELb0ES3_N6thrust23THRUST_200600_302600_NS6detail15normal_iteratorINSB_10device_ptrIjEEEENSD_INSE_IS6_EEEESI_S6_NSB_4plusIvEENSB_8equal_toIvEES6_EE10hipError_tPvRmT2_T3_T4_T5_mT6_T7_P12ihipStream_tbENKUlT_T0_E_clISt17integral_constantIbLb1EES13_EEDaSY_SZ_EUlSY_E_NS1_11comp_targetILNS1_3genE10ELNS1_11target_archE1201ELNS1_3gpuE5ELNS1_3repE0EEENS1_30default_config_static_selectorELNS0_4arch9wavefront6targetE0EEEvT1_.has_dyn_sized_stack, 0
	.set _ZN7rocprim17ROCPRIM_400000_NS6detail17trampoline_kernelINS0_14default_configENS1_27scan_by_key_config_selectorIj11FixedVectorIiLj4EEEEZZNS1_16scan_by_key_implILNS1_25lookback_scan_determinismE0ELb0ES3_N6thrust23THRUST_200600_302600_NS6detail15normal_iteratorINSB_10device_ptrIjEEEENSD_INSE_IS6_EEEESI_S6_NSB_4plusIvEENSB_8equal_toIvEES6_EE10hipError_tPvRmT2_T3_T4_T5_mT6_T7_P12ihipStream_tbENKUlT_T0_E_clISt17integral_constantIbLb1EES13_EEDaSY_SZ_EUlSY_E_NS1_11comp_targetILNS1_3genE10ELNS1_11target_archE1201ELNS1_3gpuE5ELNS1_3repE0EEENS1_30default_config_static_selectorELNS0_4arch9wavefront6targetE0EEEvT1_.has_recursion, 0
	.set _ZN7rocprim17ROCPRIM_400000_NS6detail17trampoline_kernelINS0_14default_configENS1_27scan_by_key_config_selectorIj11FixedVectorIiLj4EEEEZZNS1_16scan_by_key_implILNS1_25lookback_scan_determinismE0ELb0ES3_N6thrust23THRUST_200600_302600_NS6detail15normal_iteratorINSB_10device_ptrIjEEEENSD_INSE_IS6_EEEESI_S6_NSB_4plusIvEENSB_8equal_toIvEES6_EE10hipError_tPvRmT2_T3_T4_T5_mT6_T7_P12ihipStream_tbENKUlT_T0_E_clISt17integral_constantIbLb1EES13_EEDaSY_SZ_EUlSY_E_NS1_11comp_targetILNS1_3genE10ELNS1_11target_archE1201ELNS1_3gpuE5ELNS1_3repE0EEENS1_30default_config_static_selectorELNS0_4arch9wavefront6targetE0EEEvT1_.has_indirect_call, 0
	.section	.AMDGPU.csdata,"",@progbits
; Kernel info:
; codeLenInByte = 0
; TotalNumSgprs: 0
; NumVgprs: 0
; ScratchSize: 0
; MemoryBound: 0
; FloatMode: 240
; IeeeMode: 1
; LDSByteSize: 0 bytes/workgroup (compile time only)
; SGPRBlocks: 0
; VGPRBlocks: 0
; NumSGPRsForWavesPerEU: 1
; NumVGPRsForWavesPerEU: 1
; NamedBarCnt: 0
; Occupancy: 16
; WaveLimiterHint : 0
; COMPUTE_PGM_RSRC2:SCRATCH_EN: 0
; COMPUTE_PGM_RSRC2:USER_SGPR: 2
; COMPUTE_PGM_RSRC2:TRAP_HANDLER: 0
; COMPUTE_PGM_RSRC2:TGID_X_EN: 1
; COMPUTE_PGM_RSRC2:TGID_Y_EN: 0
; COMPUTE_PGM_RSRC2:TGID_Z_EN: 0
; COMPUTE_PGM_RSRC2:TIDIG_COMP_CNT: 0
	.section	.text._ZN7rocprim17ROCPRIM_400000_NS6detail17trampoline_kernelINS0_14default_configENS1_27scan_by_key_config_selectorIj11FixedVectorIiLj4EEEEZZNS1_16scan_by_key_implILNS1_25lookback_scan_determinismE0ELb0ES3_N6thrust23THRUST_200600_302600_NS6detail15normal_iteratorINSB_10device_ptrIjEEEENSD_INSE_IS6_EEEESI_S6_NSB_4plusIvEENSB_8equal_toIvEES6_EE10hipError_tPvRmT2_T3_T4_T5_mT6_T7_P12ihipStream_tbENKUlT_T0_E_clISt17integral_constantIbLb1EES13_EEDaSY_SZ_EUlSY_E_NS1_11comp_targetILNS1_3genE5ELNS1_11target_archE942ELNS1_3gpuE9ELNS1_3repE0EEENS1_30default_config_static_selectorELNS0_4arch9wavefront6targetE0EEEvT1_,"axG",@progbits,_ZN7rocprim17ROCPRIM_400000_NS6detail17trampoline_kernelINS0_14default_configENS1_27scan_by_key_config_selectorIj11FixedVectorIiLj4EEEEZZNS1_16scan_by_key_implILNS1_25lookback_scan_determinismE0ELb0ES3_N6thrust23THRUST_200600_302600_NS6detail15normal_iteratorINSB_10device_ptrIjEEEENSD_INSE_IS6_EEEESI_S6_NSB_4plusIvEENSB_8equal_toIvEES6_EE10hipError_tPvRmT2_T3_T4_T5_mT6_T7_P12ihipStream_tbENKUlT_T0_E_clISt17integral_constantIbLb1EES13_EEDaSY_SZ_EUlSY_E_NS1_11comp_targetILNS1_3genE5ELNS1_11target_archE942ELNS1_3gpuE9ELNS1_3repE0EEENS1_30default_config_static_selectorELNS0_4arch9wavefront6targetE0EEEvT1_,comdat
	.protected	_ZN7rocprim17ROCPRIM_400000_NS6detail17trampoline_kernelINS0_14default_configENS1_27scan_by_key_config_selectorIj11FixedVectorIiLj4EEEEZZNS1_16scan_by_key_implILNS1_25lookback_scan_determinismE0ELb0ES3_N6thrust23THRUST_200600_302600_NS6detail15normal_iteratorINSB_10device_ptrIjEEEENSD_INSE_IS6_EEEESI_S6_NSB_4plusIvEENSB_8equal_toIvEES6_EE10hipError_tPvRmT2_T3_T4_T5_mT6_T7_P12ihipStream_tbENKUlT_T0_E_clISt17integral_constantIbLb1EES13_EEDaSY_SZ_EUlSY_E_NS1_11comp_targetILNS1_3genE5ELNS1_11target_archE942ELNS1_3gpuE9ELNS1_3repE0EEENS1_30default_config_static_selectorELNS0_4arch9wavefront6targetE0EEEvT1_ ; -- Begin function _ZN7rocprim17ROCPRIM_400000_NS6detail17trampoline_kernelINS0_14default_configENS1_27scan_by_key_config_selectorIj11FixedVectorIiLj4EEEEZZNS1_16scan_by_key_implILNS1_25lookback_scan_determinismE0ELb0ES3_N6thrust23THRUST_200600_302600_NS6detail15normal_iteratorINSB_10device_ptrIjEEEENSD_INSE_IS6_EEEESI_S6_NSB_4plusIvEENSB_8equal_toIvEES6_EE10hipError_tPvRmT2_T3_T4_T5_mT6_T7_P12ihipStream_tbENKUlT_T0_E_clISt17integral_constantIbLb1EES13_EEDaSY_SZ_EUlSY_E_NS1_11comp_targetILNS1_3genE5ELNS1_11target_archE942ELNS1_3gpuE9ELNS1_3repE0EEENS1_30default_config_static_selectorELNS0_4arch9wavefront6targetE0EEEvT1_
	.globl	_ZN7rocprim17ROCPRIM_400000_NS6detail17trampoline_kernelINS0_14default_configENS1_27scan_by_key_config_selectorIj11FixedVectorIiLj4EEEEZZNS1_16scan_by_key_implILNS1_25lookback_scan_determinismE0ELb0ES3_N6thrust23THRUST_200600_302600_NS6detail15normal_iteratorINSB_10device_ptrIjEEEENSD_INSE_IS6_EEEESI_S6_NSB_4plusIvEENSB_8equal_toIvEES6_EE10hipError_tPvRmT2_T3_T4_T5_mT6_T7_P12ihipStream_tbENKUlT_T0_E_clISt17integral_constantIbLb1EES13_EEDaSY_SZ_EUlSY_E_NS1_11comp_targetILNS1_3genE5ELNS1_11target_archE942ELNS1_3gpuE9ELNS1_3repE0EEENS1_30default_config_static_selectorELNS0_4arch9wavefront6targetE0EEEvT1_
	.p2align	8
	.type	_ZN7rocprim17ROCPRIM_400000_NS6detail17trampoline_kernelINS0_14default_configENS1_27scan_by_key_config_selectorIj11FixedVectorIiLj4EEEEZZNS1_16scan_by_key_implILNS1_25lookback_scan_determinismE0ELb0ES3_N6thrust23THRUST_200600_302600_NS6detail15normal_iteratorINSB_10device_ptrIjEEEENSD_INSE_IS6_EEEESI_S6_NSB_4plusIvEENSB_8equal_toIvEES6_EE10hipError_tPvRmT2_T3_T4_T5_mT6_T7_P12ihipStream_tbENKUlT_T0_E_clISt17integral_constantIbLb1EES13_EEDaSY_SZ_EUlSY_E_NS1_11comp_targetILNS1_3genE5ELNS1_11target_archE942ELNS1_3gpuE9ELNS1_3repE0EEENS1_30default_config_static_selectorELNS0_4arch9wavefront6targetE0EEEvT1_,@function
_ZN7rocprim17ROCPRIM_400000_NS6detail17trampoline_kernelINS0_14default_configENS1_27scan_by_key_config_selectorIj11FixedVectorIiLj4EEEEZZNS1_16scan_by_key_implILNS1_25lookback_scan_determinismE0ELb0ES3_N6thrust23THRUST_200600_302600_NS6detail15normal_iteratorINSB_10device_ptrIjEEEENSD_INSE_IS6_EEEESI_S6_NSB_4plusIvEENSB_8equal_toIvEES6_EE10hipError_tPvRmT2_T3_T4_T5_mT6_T7_P12ihipStream_tbENKUlT_T0_E_clISt17integral_constantIbLb1EES13_EEDaSY_SZ_EUlSY_E_NS1_11comp_targetILNS1_3genE5ELNS1_11target_archE942ELNS1_3gpuE9ELNS1_3repE0EEENS1_30default_config_static_selectorELNS0_4arch9wavefront6targetE0EEEvT1_: ; @_ZN7rocprim17ROCPRIM_400000_NS6detail17trampoline_kernelINS0_14default_configENS1_27scan_by_key_config_selectorIj11FixedVectorIiLj4EEEEZZNS1_16scan_by_key_implILNS1_25lookback_scan_determinismE0ELb0ES3_N6thrust23THRUST_200600_302600_NS6detail15normal_iteratorINSB_10device_ptrIjEEEENSD_INSE_IS6_EEEESI_S6_NSB_4plusIvEENSB_8equal_toIvEES6_EE10hipError_tPvRmT2_T3_T4_T5_mT6_T7_P12ihipStream_tbENKUlT_T0_E_clISt17integral_constantIbLb1EES13_EEDaSY_SZ_EUlSY_E_NS1_11comp_targetILNS1_3genE5ELNS1_11target_archE942ELNS1_3gpuE9ELNS1_3repE0EEENS1_30default_config_static_selectorELNS0_4arch9wavefront6targetE0EEEvT1_
; %bb.0:
	.section	.rodata,"a",@progbits
	.p2align	6, 0x0
	.amdhsa_kernel _ZN7rocprim17ROCPRIM_400000_NS6detail17trampoline_kernelINS0_14default_configENS1_27scan_by_key_config_selectorIj11FixedVectorIiLj4EEEEZZNS1_16scan_by_key_implILNS1_25lookback_scan_determinismE0ELb0ES3_N6thrust23THRUST_200600_302600_NS6detail15normal_iteratorINSB_10device_ptrIjEEEENSD_INSE_IS6_EEEESI_S6_NSB_4plusIvEENSB_8equal_toIvEES6_EE10hipError_tPvRmT2_T3_T4_T5_mT6_T7_P12ihipStream_tbENKUlT_T0_E_clISt17integral_constantIbLb1EES13_EEDaSY_SZ_EUlSY_E_NS1_11comp_targetILNS1_3genE5ELNS1_11target_archE942ELNS1_3gpuE9ELNS1_3repE0EEENS1_30default_config_static_selectorELNS0_4arch9wavefront6targetE0EEEvT1_
		.amdhsa_group_segment_fixed_size 0
		.amdhsa_private_segment_fixed_size 0
		.amdhsa_kernarg_size 144
		.amdhsa_user_sgpr_count 2
		.amdhsa_user_sgpr_dispatch_ptr 0
		.amdhsa_user_sgpr_queue_ptr 0
		.amdhsa_user_sgpr_kernarg_segment_ptr 1
		.amdhsa_user_sgpr_dispatch_id 0
		.amdhsa_user_sgpr_kernarg_preload_length 0
		.amdhsa_user_sgpr_kernarg_preload_offset 0
		.amdhsa_user_sgpr_private_segment_size 0
		.amdhsa_wavefront_size32 1
		.amdhsa_uses_dynamic_stack 0
		.amdhsa_enable_private_segment 0
		.amdhsa_system_sgpr_workgroup_id_x 1
		.amdhsa_system_sgpr_workgroup_id_y 0
		.amdhsa_system_sgpr_workgroup_id_z 0
		.amdhsa_system_sgpr_workgroup_info 0
		.amdhsa_system_vgpr_workitem_id 0
		.amdhsa_next_free_vgpr 1
		.amdhsa_next_free_sgpr 1
		.amdhsa_named_barrier_count 0
		.amdhsa_reserve_vcc 0
		.amdhsa_float_round_mode_32 0
		.amdhsa_float_round_mode_16_64 0
		.amdhsa_float_denorm_mode_32 3
		.amdhsa_float_denorm_mode_16_64 3
		.amdhsa_fp16_overflow 0
		.amdhsa_memory_ordered 1
		.amdhsa_forward_progress 1
		.amdhsa_inst_pref_size 0
		.amdhsa_round_robin_scheduling 0
		.amdhsa_exception_fp_ieee_invalid_op 0
		.amdhsa_exception_fp_denorm_src 0
		.amdhsa_exception_fp_ieee_div_zero 0
		.amdhsa_exception_fp_ieee_overflow 0
		.amdhsa_exception_fp_ieee_underflow 0
		.amdhsa_exception_fp_ieee_inexact 0
		.amdhsa_exception_int_div_zero 0
	.end_amdhsa_kernel
	.section	.text._ZN7rocprim17ROCPRIM_400000_NS6detail17trampoline_kernelINS0_14default_configENS1_27scan_by_key_config_selectorIj11FixedVectorIiLj4EEEEZZNS1_16scan_by_key_implILNS1_25lookback_scan_determinismE0ELb0ES3_N6thrust23THRUST_200600_302600_NS6detail15normal_iteratorINSB_10device_ptrIjEEEENSD_INSE_IS6_EEEESI_S6_NSB_4plusIvEENSB_8equal_toIvEES6_EE10hipError_tPvRmT2_T3_T4_T5_mT6_T7_P12ihipStream_tbENKUlT_T0_E_clISt17integral_constantIbLb1EES13_EEDaSY_SZ_EUlSY_E_NS1_11comp_targetILNS1_3genE5ELNS1_11target_archE942ELNS1_3gpuE9ELNS1_3repE0EEENS1_30default_config_static_selectorELNS0_4arch9wavefront6targetE0EEEvT1_,"axG",@progbits,_ZN7rocprim17ROCPRIM_400000_NS6detail17trampoline_kernelINS0_14default_configENS1_27scan_by_key_config_selectorIj11FixedVectorIiLj4EEEEZZNS1_16scan_by_key_implILNS1_25lookback_scan_determinismE0ELb0ES3_N6thrust23THRUST_200600_302600_NS6detail15normal_iteratorINSB_10device_ptrIjEEEENSD_INSE_IS6_EEEESI_S6_NSB_4plusIvEENSB_8equal_toIvEES6_EE10hipError_tPvRmT2_T3_T4_T5_mT6_T7_P12ihipStream_tbENKUlT_T0_E_clISt17integral_constantIbLb1EES13_EEDaSY_SZ_EUlSY_E_NS1_11comp_targetILNS1_3genE5ELNS1_11target_archE942ELNS1_3gpuE9ELNS1_3repE0EEENS1_30default_config_static_selectorELNS0_4arch9wavefront6targetE0EEEvT1_,comdat
.Lfunc_end2046:
	.size	_ZN7rocprim17ROCPRIM_400000_NS6detail17trampoline_kernelINS0_14default_configENS1_27scan_by_key_config_selectorIj11FixedVectorIiLj4EEEEZZNS1_16scan_by_key_implILNS1_25lookback_scan_determinismE0ELb0ES3_N6thrust23THRUST_200600_302600_NS6detail15normal_iteratorINSB_10device_ptrIjEEEENSD_INSE_IS6_EEEESI_S6_NSB_4plusIvEENSB_8equal_toIvEES6_EE10hipError_tPvRmT2_T3_T4_T5_mT6_T7_P12ihipStream_tbENKUlT_T0_E_clISt17integral_constantIbLb1EES13_EEDaSY_SZ_EUlSY_E_NS1_11comp_targetILNS1_3genE5ELNS1_11target_archE942ELNS1_3gpuE9ELNS1_3repE0EEENS1_30default_config_static_selectorELNS0_4arch9wavefront6targetE0EEEvT1_, .Lfunc_end2046-_ZN7rocprim17ROCPRIM_400000_NS6detail17trampoline_kernelINS0_14default_configENS1_27scan_by_key_config_selectorIj11FixedVectorIiLj4EEEEZZNS1_16scan_by_key_implILNS1_25lookback_scan_determinismE0ELb0ES3_N6thrust23THRUST_200600_302600_NS6detail15normal_iteratorINSB_10device_ptrIjEEEENSD_INSE_IS6_EEEESI_S6_NSB_4plusIvEENSB_8equal_toIvEES6_EE10hipError_tPvRmT2_T3_T4_T5_mT6_T7_P12ihipStream_tbENKUlT_T0_E_clISt17integral_constantIbLb1EES13_EEDaSY_SZ_EUlSY_E_NS1_11comp_targetILNS1_3genE5ELNS1_11target_archE942ELNS1_3gpuE9ELNS1_3repE0EEENS1_30default_config_static_selectorELNS0_4arch9wavefront6targetE0EEEvT1_
                                        ; -- End function
	.set _ZN7rocprim17ROCPRIM_400000_NS6detail17trampoline_kernelINS0_14default_configENS1_27scan_by_key_config_selectorIj11FixedVectorIiLj4EEEEZZNS1_16scan_by_key_implILNS1_25lookback_scan_determinismE0ELb0ES3_N6thrust23THRUST_200600_302600_NS6detail15normal_iteratorINSB_10device_ptrIjEEEENSD_INSE_IS6_EEEESI_S6_NSB_4plusIvEENSB_8equal_toIvEES6_EE10hipError_tPvRmT2_T3_T4_T5_mT6_T7_P12ihipStream_tbENKUlT_T0_E_clISt17integral_constantIbLb1EES13_EEDaSY_SZ_EUlSY_E_NS1_11comp_targetILNS1_3genE5ELNS1_11target_archE942ELNS1_3gpuE9ELNS1_3repE0EEENS1_30default_config_static_selectorELNS0_4arch9wavefront6targetE0EEEvT1_.num_vgpr, 0
	.set _ZN7rocprim17ROCPRIM_400000_NS6detail17trampoline_kernelINS0_14default_configENS1_27scan_by_key_config_selectorIj11FixedVectorIiLj4EEEEZZNS1_16scan_by_key_implILNS1_25lookback_scan_determinismE0ELb0ES3_N6thrust23THRUST_200600_302600_NS6detail15normal_iteratorINSB_10device_ptrIjEEEENSD_INSE_IS6_EEEESI_S6_NSB_4plusIvEENSB_8equal_toIvEES6_EE10hipError_tPvRmT2_T3_T4_T5_mT6_T7_P12ihipStream_tbENKUlT_T0_E_clISt17integral_constantIbLb1EES13_EEDaSY_SZ_EUlSY_E_NS1_11comp_targetILNS1_3genE5ELNS1_11target_archE942ELNS1_3gpuE9ELNS1_3repE0EEENS1_30default_config_static_selectorELNS0_4arch9wavefront6targetE0EEEvT1_.num_agpr, 0
	.set _ZN7rocprim17ROCPRIM_400000_NS6detail17trampoline_kernelINS0_14default_configENS1_27scan_by_key_config_selectorIj11FixedVectorIiLj4EEEEZZNS1_16scan_by_key_implILNS1_25lookback_scan_determinismE0ELb0ES3_N6thrust23THRUST_200600_302600_NS6detail15normal_iteratorINSB_10device_ptrIjEEEENSD_INSE_IS6_EEEESI_S6_NSB_4plusIvEENSB_8equal_toIvEES6_EE10hipError_tPvRmT2_T3_T4_T5_mT6_T7_P12ihipStream_tbENKUlT_T0_E_clISt17integral_constantIbLb1EES13_EEDaSY_SZ_EUlSY_E_NS1_11comp_targetILNS1_3genE5ELNS1_11target_archE942ELNS1_3gpuE9ELNS1_3repE0EEENS1_30default_config_static_selectorELNS0_4arch9wavefront6targetE0EEEvT1_.numbered_sgpr, 0
	.set _ZN7rocprim17ROCPRIM_400000_NS6detail17trampoline_kernelINS0_14default_configENS1_27scan_by_key_config_selectorIj11FixedVectorIiLj4EEEEZZNS1_16scan_by_key_implILNS1_25lookback_scan_determinismE0ELb0ES3_N6thrust23THRUST_200600_302600_NS6detail15normal_iteratorINSB_10device_ptrIjEEEENSD_INSE_IS6_EEEESI_S6_NSB_4plusIvEENSB_8equal_toIvEES6_EE10hipError_tPvRmT2_T3_T4_T5_mT6_T7_P12ihipStream_tbENKUlT_T0_E_clISt17integral_constantIbLb1EES13_EEDaSY_SZ_EUlSY_E_NS1_11comp_targetILNS1_3genE5ELNS1_11target_archE942ELNS1_3gpuE9ELNS1_3repE0EEENS1_30default_config_static_selectorELNS0_4arch9wavefront6targetE0EEEvT1_.num_named_barrier, 0
	.set _ZN7rocprim17ROCPRIM_400000_NS6detail17trampoline_kernelINS0_14default_configENS1_27scan_by_key_config_selectorIj11FixedVectorIiLj4EEEEZZNS1_16scan_by_key_implILNS1_25lookback_scan_determinismE0ELb0ES3_N6thrust23THRUST_200600_302600_NS6detail15normal_iteratorINSB_10device_ptrIjEEEENSD_INSE_IS6_EEEESI_S6_NSB_4plusIvEENSB_8equal_toIvEES6_EE10hipError_tPvRmT2_T3_T4_T5_mT6_T7_P12ihipStream_tbENKUlT_T0_E_clISt17integral_constantIbLb1EES13_EEDaSY_SZ_EUlSY_E_NS1_11comp_targetILNS1_3genE5ELNS1_11target_archE942ELNS1_3gpuE9ELNS1_3repE0EEENS1_30default_config_static_selectorELNS0_4arch9wavefront6targetE0EEEvT1_.private_seg_size, 0
	.set _ZN7rocprim17ROCPRIM_400000_NS6detail17trampoline_kernelINS0_14default_configENS1_27scan_by_key_config_selectorIj11FixedVectorIiLj4EEEEZZNS1_16scan_by_key_implILNS1_25lookback_scan_determinismE0ELb0ES3_N6thrust23THRUST_200600_302600_NS6detail15normal_iteratorINSB_10device_ptrIjEEEENSD_INSE_IS6_EEEESI_S6_NSB_4plusIvEENSB_8equal_toIvEES6_EE10hipError_tPvRmT2_T3_T4_T5_mT6_T7_P12ihipStream_tbENKUlT_T0_E_clISt17integral_constantIbLb1EES13_EEDaSY_SZ_EUlSY_E_NS1_11comp_targetILNS1_3genE5ELNS1_11target_archE942ELNS1_3gpuE9ELNS1_3repE0EEENS1_30default_config_static_selectorELNS0_4arch9wavefront6targetE0EEEvT1_.uses_vcc, 0
	.set _ZN7rocprim17ROCPRIM_400000_NS6detail17trampoline_kernelINS0_14default_configENS1_27scan_by_key_config_selectorIj11FixedVectorIiLj4EEEEZZNS1_16scan_by_key_implILNS1_25lookback_scan_determinismE0ELb0ES3_N6thrust23THRUST_200600_302600_NS6detail15normal_iteratorINSB_10device_ptrIjEEEENSD_INSE_IS6_EEEESI_S6_NSB_4plusIvEENSB_8equal_toIvEES6_EE10hipError_tPvRmT2_T3_T4_T5_mT6_T7_P12ihipStream_tbENKUlT_T0_E_clISt17integral_constantIbLb1EES13_EEDaSY_SZ_EUlSY_E_NS1_11comp_targetILNS1_3genE5ELNS1_11target_archE942ELNS1_3gpuE9ELNS1_3repE0EEENS1_30default_config_static_selectorELNS0_4arch9wavefront6targetE0EEEvT1_.uses_flat_scratch, 0
	.set _ZN7rocprim17ROCPRIM_400000_NS6detail17trampoline_kernelINS0_14default_configENS1_27scan_by_key_config_selectorIj11FixedVectorIiLj4EEEEZZNS1_16scan_by_key_implILNS1_25lookback_scan_determinismE0ELb0ES3_N6thrust23THRUST_200600_302600_NS6detail15normal_iteratorINSB_10device_ptrIjEEEENSD_INSE_IS6_EEEESI_S6_NSB_4plusIvEENSB_8equal_toIvEES6_EE10hipError_tPvRmT2_T3_T4_T5_mT6_T7_P12ihipStream_tbENKUlT_T0_E_clISt17integral_constantIbLb1EES13_EEDaSY_SZ_EUlSY_E_NS1_11comp_targetILNS1_3genE5ELNS1_11target_archE942ELNS1_3gpuE9ELNS1_3repE0EEENS1_30default_config_static_selectorELNS0_4arch9wavefront6targetE0EEEvT1_.has_dyn_sized_stack, 0
	.set _ZN7rocprim17ROCPRIM_400000_NS6detail17trampoline_kernelINS0_14default_configENS1_27scan_by_key_config_selectorIj11FixedVectorIiLj4EEEEZZNS1_16scan_by_key_implILNS1_25lookback_scan_determinismE0ELb0ES3_N6thrust23THRUST_200600_302600_NS6detail15normal_iteratorINSB_10device_ptrIjEEEENSD_INSE_IS6_EEEESI_S6_NSB_4plusIvEENSB_8equal_toIvEES6_EE10hipError_tPvRmT2_T3_T4_T5_mT6_T7_P12ihipStream_tbENKUlT_T0_E_clISt17integral_constantIbLb1EES13_EEDaSY_SZ_EUlSY_E_NS1_11comp_targetILNS1_3genE5ELNS1_11target_archE942ELNS1_3gpuE9ELNS1_3repE0EEENS1_30default_config_static_selectorELNS0_4arch9wavefront6targetE0EEEvT1_.has_recursion, 0
	.set _ZN7rocprim17ROCPRIM_400000_NS6detail17trampoline_kernelINS0_14default_configENS1_27scan_by_key_config_selectorIj11FixedVectorIiLj4EEEEZZNS1_16scan_by_key_implILNS1_25lookback_scan_determinismE0ELb0ES3_N6thrust23THRUST_200600_302600_NS6detail15normal_iteratorINSB_10device_ptrIjEEEENSD_INSE_IS6_EEEESI_S6_NSB_4plusIvEENSB_8equal_toIvEES6_EE10hipError_tPvRmT2_T3_T4_T5_mT6_T7_P12ihipStream_tbENKUlT_T0_E_clISt17integral_constantIbLb1EES13_EEDaSY_SZ_EUlSY_E_NS1_11comp_targetILNS1_3genE5ELNS1_11target_archE942ELNS1_3gpuE9ELNS1_3repE0EEENS1_30default_config_static_selectorELNS0_4arch9wavefront6targetE0EEEvT1_.has_indirect_call, 0
	.section	.AMDGPU.csdata,"",@progbits
; Kernel info:
; codeLenInByte = 0
; TotalNumSgprs: 0
; NumVgprs: 0
; ScratchSize: 0
; MemoryBound: 0
; FloatMode: 240
; IeeeMode: 1
; LDSByteSize: 0 bytes/workgroup (compile time only)
; SGPRBlocks: 0
; VGPRBlocks: 0
; NumSGPRsForWavesPerEU: 1
; NumVGPRsForWavesPerEU: 1
; NamedBarCnt: 0
; Occupancy: 16
; WaveLimiterHint : 0
; COMPUTE_PGM_RSRC2:SCRATCH_EN: 0
; COMPUTE_PGM_RSRC2:USER_SGPR: 2
; COMPUTE_PGM_RSRC2:TRAP_HANDLER: 0
; COMPUTE_PGM_RSRC2:TGID_X_EN: 1
; COMPUTE_PGM_RSRC2:TGID_Y_EN: 0
; COMPUTE_PGM_RSRC2:TGID_Z_EN: 0
; COMPUTE_PGM_RSRC2:TIDIG_COMP_CNT: 0
	.section	.text._ZN7rocprim17ROCPRIM_400000_NS6detail17trampoline_kernelINS0_14default_configENS1_27scan_by_key_config_selectorIj11FixedVectorIiLj4EEEEZZNS1_16scan_by_key_implILNS1_25lookback_scan_determinismE0ELb0ES3_N6thrust23THRUST_200600_302600_NS6detail15normal_iteratorINSB_10device_ptrIjEEEENSD_INSE_IS6_EEEESI_S6_NSB_4plusIvEENSB_8equal_toIvEES6_EE10hipError_tPvRmT2_T3_T4_T5_mT6_T7_P12ihipStream_tbENKUlT_T0_E_clISt17integral_constantIbLb1EES13_EEDaSY_SZ_EUlSY_E_NS1_11comp_targetILNS1_3genE4ELNS1_11target_archE910ELNS1_3gpuE8ELNS1_3repE0EEENS1_30default_config_static_selectorELNS0_4arch9wavefront6targetE0EEEvT1_,"axG",@progbits,_ZN7rocprim17ROCPRIM_400000_NS6detail17trampoline_kernelINS0_14default_configENS1_27scan_by_key_config_selectorIj11FixedVectorIiLj4EEEEZZNS1_16scan_by_key_implILNS1_25lookback_scan_determinismE0ELb0ES3_N6thrust23THRUST_200600_302600_NS6detail15normal_iteratorINSB_10device_ptrIjEEEENSD_INSE_IS6_EEEESI_S6_NSB_4plusIvEENSB_8equal_toIvEES6_EE10hipError_tPvRmT2_T3_T4_T5_mT6_T7_P12ihipStream_tbENKUlT_T0_E_clISt17integral_constantIbLb1EES13_EEDaSY_SZ_EUlSY_E_NS1_11comp_targetILNS1_3genE4ELNS1_11target_archE910ELNS1_3gpuE8ELNS1_3repE0EEENS1_30default_config_static_selectorELNS0_4arch9wavefront6targetE0EEEvT1_,comdat
	.protected	_ZN7rocprim17ROCPRIM_400000_NS6detail17trampoline_kernelINS0_14default_configENS1_27scan_by_key_config_selectorIj11FixedVectorIiLj4EEEEZZNS1_16scan_by_key_implILNS1_25lookback_scan_determinismE0ELb0ES3_N6thrust23THRUST_200600_302600_NS6detail15normal_iteratorINSB_10device_ptrIjEEEENSD_INSE_IS6_EEEESI_S6_NSB_4plusIvEENSB_8equal_toIvEES6_EE10hipError_tPvRmT2_T3_T4_T5_mT6_T7_P12ihipStream_tbENKUlT_T0_E_clISt17integral_constantIbLb1EES13_EEDaSY_SZ_EUlSY_E_NS1_11comp_targetILNS1_3genE4ELNS1_11target_archE910ELNS1_3gpuE8ELNS1_3repE0EEENS1_30default_config_static_selectorELNS0_4arch9wavefront6targetE0EEEvT1_ ; -- Begin function _ZN7rocprim17ROCPRIM_400000_NS6detail17trampoline_kernelINS0_14default_configENS1_27scan_by_key_config_selectorIj11FixedVectorIiLj4EEEEZZNS1_16scan_by_key_implILNS1_25lookback_scan_determinismE0ELb0ES3_N6thrust23THRUST_200600_302600_NS6detail15normal_iteratorINSB_10device_ptrIjEEEENSD_INSE_IS6_EEEESI_S6_NSB_4plusIvEENSB_8equal_toIvEES6_EE10hipError_tPvRmT2_T3_T4_T5_mT6_T7_P12ihipStream_tbENKUlT_T0_E_clISt17integral_constantIbLb1EES13_EEDaSY_SZ_EUlSY_E_NS1_11comp_targetILNS1_3genE4ELNS1_11target_archE910ELNS1_3gpuE8ELNS1_3repE0EEENS1_30default_config_static_selectorELNS0_4arch9wavefront6targetE0EEEvT1_
	.globl	_ZN7rocprim17ROCPRIM_400000_NS6detail17trampoline_kernelINS0_14default_configENS1_27scan_by_key_config_selectorIj11FixedVectorIiLj4EEEEZZNS1_16scan_by_key_implILNS1_25lookback_scan_determinismE0ELb0ES3_N6thrust23THRUST_200600_302600_NS6detail15normal_iteratorINSB_10device_ptrIjEEEENSD_INSE_IS6_EEEESI_S6_NSB_4plusIvEENSB_8equal_toIvEES6_EE10hipError_tPvRmT2_T3_T4_T5_mT6_T7_P12ihipStream_tbENKUlT_T0_E_clISt17integral_constantIbLb1EES13_EEDaSY_SZ_EUlSY_E_NS1_11comp_targetILNS1_3genE4ELNS1_11target_archE910ELNS1_3gpuE8ELNS1_3repE0EEENS1_30default_config_static_selectorELNS0_4arch9wavefront6targetE0EEEvT1_
	.p2align	8
	.type	_ZN7rocprim17ROCPRIM_400000_NS6detail17trampoline_kernelINS0_14default_configENS1_27scan_by_key_config_selectorIj11FixedVectorIiLj4EEEEZZNS1_16scan_by_key_implILNS1_25lookback_scan_determinismE0ELb0ES3_N6thrust23THRUST_200600_302600_NS6detail15normal_iteratorINSB_10device_ptrIjEEEENSD_INSE_IS6_EEEESI_S6_NSB_4plusIvEENSB_8equal_toIvEES6_EE10hipError_tPvRmT2_T3_T4_T5_mT6_T7_P12ihipStream_tbENKUlT_T0_E_clISt17integral_constantIbLb1EES13_EEDaSY_SZ_EUlSY_E_NS1_11comp_targetILNS1_3genE4ELNS1_11target_archE910ELNS1_3gpuE8ELNS1_3repE0EEENS1_30default_config_static_selectorELNS0_4arch9wavefront6targetE0EEEvT1_,@function
_ZN7rocprim17ROCPRIM_400000_NS6detail17trampoline_kernelINS0_14default_configENS1_27scan_by_key_config_selectorIj11FixedVectorIiLj4EEEEZZNS1_16scan_by_key_implILNS1_25lookback_scan_determinismE0ELb0ES3_N6thrust23THRUST_200600_302600_NS6detail15normal_iteratorINSB_10device_ptrIjEEEENSD_INSE_IS6_EEEESI_S6_NSB_4plusIvEENSB_8equal_toIvEES6_EE10hipError_tPvRmT2_T3_T4_T5_mT6_T7_P12ihipStream_tbENKUlT_T0_E_clISt17integral_constantIbLb1EES13_EEDaSY_SZ_EUlSY_E_NS1_11comp_targetILNS1_3genE4ELNS1_11target_archE910ELNS1_3gpuE8ELNS1_3repE0EEENS1_30default_config_static_selectorELNS0_4arch9wavefront6targetE0EEEvT1_: ; @_ZN7rocprim17ROCPRIM_400000_NS6detail17trampoline_kernelINS0_14default_configENS1_27scan_by_key_config_selectorIj11FixedVectorIiLj4EEEEZZNS1_16scan_by_key_implILNS1_25lookback_scan_determinismE0ELb0ES3_N6thrust23THRUST_200600_302600_NS6detail15normal_iteratorINSB_10device_ptrIjEEEENSD_INSE_IS6_EEEESI_S6_NSB_4plusIvEENSB_8equal_toIvEES6_EE10hipError_tPvRmT2_T3_T4_T5_mT6_T7_P12ihipStream_tbENKUlT_T0_E_clISt17integral_constantIbLb1EES13_EEDaSY_SZ_EUlSY_E_NS1_11comp_targetILNS1_3genE4ELNS1_11target_archE910ELNS1_3gpuE8ELNS1_3repE0EEENS1_30default_config_static_selectorELNS0_4arch9wavefront6targetE0EEEvT1_
; %bb.0:
	.section	.rodata,"a",@progbits
	.p2align	6, 0x0
	.amdhsa_kernel _ZN7rocprim17ROCPRIM_400000_NS6detail17trampoline_kernelINS0_14default_configENS1_27scan_by_key_config_selectorIj11FixedVectorIiLj4EEEEZZNS1_16scan_by_key_implILNS1_25lookback_scan_determinismE0ELb0ES3_N6thrust23THRUST_200600_302600_NS6detail15normal_iteratorINSB_10device_ptrIjEEEENSD_INSE_IS6_EEEESI_S6_NSB_4plusIvEENSB_8equal_toIvEES6_EE10hipError_tPvRmT2_T3_T4_T5_mT6_T7_P12ihipStream_tbENKUlT_T0_E_clISt17integral_constantIbLb1EES13_EEDaSY_SZ_EUlSY_E_NS1_11comp_targetILNS1_3genE4ELNS1_11target_archE910ELNS1_3gpuE8ELNS1_3repE0EEENS1_30default_config_static_selectorELNS0_4arch9wavefront6targetE0EEEvT1_
		.amdhsa_group_segment_fixed_size 0
		.amdhsa_private_segment_fixed_size 0
		.amdhsa_kernarg_size 144
		.amdhsa_user_sgpr_count 2
		.amdhsa_user_sgpr_dispatch_ptr 0
		.amdhsa_user_sgpr_queue_ptr 0
		.amdhsa_user_sgpr_kernarg_segment_ptr 1
		.amdhsa_user_sgpr_dispatch_id 0
		.amdhsa_user_sgpr_kernarg_preload_length 0
		.amdhsa_user_sgpr_kernarg_preload_offset 0
		.amdhsa_user_sgpr_private_segment_size 0
		.amdhsa_wavefront_size32 1
		.amdhsa_uses_dynamic_stack 0
		.amdhsa_enable_private_segment 0
		.amdhsa_system_sgpr_workgroup_id_x 1
		.amdhsa_system_sgpr_workgroup_id_y 0
		.amdhsa_system_sgpr_workgroup_id_z 0
		.amdhsa_system_sgpr_workgroup_info 0
		.amdhsa_system_vgpr_workitem_id 0
		.amdhsa_next_free_vgpr 1
		.amdhsa_next_free_sgpr 1
		.amdhsa_named_barrier_count 0
		.amdhsa_reserve_vcc 0
		.amdhsa_float_round_mode_32 0
		.amdhsa_float_round_mode_16_64 0
		.amdhsa_float_denorm_mode_32 3
		.amdhsa_float_denorm_mode_16_64 3
		.amdhsa_fp16_overflow 0
		.amdhsa_memory_ordered 1
		.amdhsa_forward_progress 1
		.amdhsa_inst_pref_size 0
		.amdhsa_round_robin_scheduling 0
		.amdhsa_exception_fp_ieee_invalid_op 0
		.amdhsa_exception_fp_denorm_src 0
		.amdhsa_exception_fp_ieee_div_zero 0
		.amdhsa_exception_fp_ieee_overflow 0
		.amdhsa_exception_fp_ieee_underflow 0
		.amdhsa_exception_fp_ieee_inexact 0
		.amdhsa_exception_int_div_zero 0
	.end_amdhsa_kernel
	.section	.text._ZN7rocprim17ROCPRIM_400000_NS6detail17trampoline_kernelINS0_14default_configENS1_27scan_by_key_config_selectorIj11FixedVectorIiLj4EEEEZZNS1_16scan_by_key_implILNS1_25lookback_scan_determinismE0ELb0ES3_N6thrust23THRUST_200600_302600_NS6detail15normal_iteratorINSB_10device_ptrIjEEEENSD_INSE_IS6_EEEESI_S6_NSB_4plusIvEENSB_8equal_toIvEES6_EE10hipError_tPvRmT2_T3_T4_T5_mT6_T7_P12ihipStream_tbENKUlT_T0_E_clISt17integral_constantIbLb1EES13_EEDaSY_SZ_EUlSY_E_NS1_11comp_targetILNS1_3genE4ELNS1_11target_archE910ELNS1_3gpuE8ELNS1_3repE0EEENS1_30default_config_static_selectorELNS0_4arch9wavefront6targetE0EEEvT1_,"axG",@progbits,_ZN7rocprim17ROCPRIM_400000_NS6detail17trampoline_kernelINS0_14default_configENS1_27scan_by_key_config_selectorIj11FixedVectorIiLj4EEEEZZNS1_16scan_by_key_implILNS1_25lookback_scan_determinismE0ELb0ES3_N6thrust23THRUST_200600_302600_NS6detail15normal_iteratorINSB_10device_ptrIjEEEENSD_INSE_IS6_EEEESI_S6_NSB_4plusIvEENSB_8equal_toIvEES6_EE10hipError_tPvRmT2_T3_T4_T5_mT6_T7_P12ihipStream_tbENKUlT_T0_E_clISt17integral_constantIbLb1EES13_EEDaSY_SZ_EUlSY_E_NS1_11comp_targetILNS1_3genE4ELNS1_11target_archE910ELNS1_3gpuE8ELNS1_3repE0EEENS1_30default_config_static_selectorELNS0_4arch9wavefront6targetE0EEEvT1_,comdat
.Lfunc_end2047:
	.size	_ZN7rocprim17ROCPRIM_400000_NS6detail17trampoline_kernelINS0_14default_configENS1_27scan_by_key_config_selectorIj11FixedVectorIiLj4EEEEZZNS1_16scan_by_key_implILNS1_25lookback_scan_determinismE0ELb0ES3_N6thrust23THRUST_200600_302600_NS6detail15normal_iteratorINSB_10device_ptrIjEEEENSD_INSE_IS6_EEEESI_S6_NSB_4plusIvEENSB_8equal_toIvEES6_EE10hipError_tPvRmT2_T3_T4_T5_mT6_T7_P12ihipStream_tbENKUlT_T0_E_clISt17integral_constantIbLb1EES13_EEDaSY_SZ_EUlSY_E_NS1_11comp_targetILNS1_3genE4ELNS1_11target_archE910ELNS1_3gpuE8ELNS1_3repE0EEENS1_30default_config_static_selectorELNS0_4arch9wavefront6targetE0EEEvT1_, .Lfunc_end2047-_ZN7rocprim17ROCPRIM_400000_NS6detail17trampoline_kernelINS0_14default_configENS1_27scan_by_key_config_selectorIj11FixedVectorIiLj4EEEEZZNS1_16scan_by_key_implILNS1_25lookback_scan_determinismE0ELb0ES3_N6thrust23THRUST_200600_302600_NS6detail15normal_iteratorINSB_10device_ptrIjEEEENSD_INSE_IS6_EEEESI_S6_NSB_4plusIvEENSB_8equal_toIvEES6_EE10hipError_tPvRmT2_T3_T4_T5_mT6_T7_P12ihipStream_tbENKUlT_T0_E_clISt17integral_constantIbLb1EES13_EEDaSY_SZ_EUlSY_E_NS1_11comp_targetILNS1_3genE4ELNS1_11target_archE910ELNS1_3gpuE8ELNS1_3repE0EEENS1_30default_config_static_selectorELNS0_4arch9wavefront6targetE0EEEvT1_
                                        ; -- End function
	.set _ZN7rocprim17ROCPRIM_400000_NS6detail17trampoline_kernelINS0_14default_configENS1_27scan_by_key_config_selectorIj11FixedVectorIiLj4EEEEZZNS1_16scan_by_key_implILNS1_25lookback_scan_determinismE0ELb0ES3_N6thrust23THRUST_200600_302600_NS6detail15normal_iteratorINSB_10device_ptrIjEEEENSD_INSE_IS6_EEEESI_S6_NSB_4plusIvEENSB_8equal_toIvEES6_EE10hipError_tPvRmT2_T3_T4_T5_mT6_T7_P12ihipStream_tbENKUlT_T0_E_clISt17integral_constantIbLb1EES13_EEDaSY_SZ_EUlSY_E_NS1_11comp_targetILNS1_3genE4ELNS1_11target_archE910ELNS1_3gpuE8ELNS1_3repE0EEENS1_30default_config_static_selectorELNS0_4arch9wavefront6targetE0EEEvT1_.num_vgpr, 0
	.set _ZN7rocprim17ROCPRIM_400000_NS6detail17trampoline_kernelINS0_14default_configENS1_27scan_by_key_config_selectorIj11FixedVectorIiLj4EEEEZZNS1_16scan_by_key_implILNS1_25lookback_scan_determinismE0ELb0ES3_N6thrust23THRUST_200600_302600_NS6detail15normal_iteratorINSB_10device_ptrIjEEEENSD_INSE_IS6_EEEESI_S6_NSB_4plusIvEENSB_8equal_toIvEES6_EE10hipError_tPvRmT2_T3_T4_T5_mT6_T7_P12ihipStream_tbENKUlT_T0_E_clISt17integral_constantIbLb1EES13_EEDaSY_SZ_EUlSY_E_NS1_11comp_targetILNS1_3genE4ELNS1_11target_archE910ELNS1_3gpuE8ELNS1_3repE0EEENS1_30default_config_static_selectorELNS0_4arch9wavefront6targetE0EEEvT1_.num_agpr, 0
	.set _ZN7rocprim17ROCPRIM_400000_NS6detail17trampoline_kernelINS0_14default_configENS1_27scan_by_key_config_selectorIj11FixedVectorIiLj4EEEEZZNS1_16scan_by_key_implILNS1_25lookback_scan_determinismE0ELb0ES3_N6thrust23THRUST_200600_302600_NS6detail15normal_iteratorINSB_10device_ptrIjEEEENSD_INSE_IS6_EEEESI_S6_NSB_4plusIvEENSB_8equal_toIvEES6_EE10hipError_tPvRmT2_T3_T4_T5_mT6_T7_P12ihipStream_tbENKUlT_T0_E_clISt17integral_constantIbLb1EES13_EEDaSY_SZ_EUlSY_E_NS1_11comp_targetILNS1_3genE4ELNS1_11target_archE910ELNS1_3gpuE8ELNS1_3repE0EEENS1_30default_config_static_selectorELNS0_4arch9wavefront6targetE0EEEvT1_.numbered_sgpr, 0
	.set _ZN7rocprim17ROCPRIM_400000_NS6detail17trampoline_kernelINS0_14default_configENS1_27scan_by_key_config_selectorIj11FixedVectorIiLj4EEEEZZNS1_16scan_by_key_implILNS1_25lookback_scan_determinismE0ELb0ES3_N6thrust23THRUST_200600_302600_NS6detail15normal_iteratorINSB_10device_ptrIjEEEENSD_INSE_IS6_EEEESI_S6_NSB_4plusIvEENSB_8equal_toIvEES6_EE10hipError_tPvRmT2_T3_T4_T5_mT6_T7_P12ihipStream_tbENKUlT_T0_E_clISt17integral_constantIbLb1EES13_EEDaSY_SZ_EUlSY_E_NS1_11comp_targetILNS1_3genE4ELNS1_11target_archE910ELNS1_3gpuE8ELNS1_3repE0EEENS1_30default_config_static_selectorELNS0_4arch9wavefront6targetE0EEEvT1_.num_named_barrier, 0
	.set _ZN7rocprim17ROCPRIM_400000_NS6detail17trampoline_kernelINS0_14default_configENS1_27scan_by_key_config_selectorIj11FixedVectorIiLj4EEEEZZNS1_16scan_by_key_implILNS1_25lookback_scan_determinismE0ELb0ES3_N6thrust23THRUST_200600_302600_NS6detail15normal_iteratorINSB_10device_ptrIjEEEENSD_INSE_IS6_EEEESI_S6_NSB_4plusIvEENSB_8equal_toIvEES6_EE10hipError_tPvRmT2_T3_T4_T5_mT6_T7_P12ihipStream_tbENKUlT_T0_E_clISt17integral_constantIbLb1EES13_EEDaSY_SZ_EUlSY_E_NS1_11comp_targetILNS1_3genE4ELNS1_11target_archE910ELNS1_3gpuE8ELNS1_3repE0EEENS1_30default_config_static_selectorELNS0_4arch9wavefront6targetE0EEEvT1_.private_seg_size, 0
	.set _ZN7rocprim17ROCPRIM_400000_NS6detail17trampoline_kernelINS0_14default_configENS1_27scan_by_key_config_selectorIj11FixedVectorIiLj4EEEEZZNS1_16scan_by_key_implILNS1_25lookback_scan_determinismE0ELb0ES3_N6thrust23THRUST_200600_302600_NS6detail15normal_iteratorINSB_10device_ptrIjEEEENSD_INSE_IS6_EEEESI_S6_NSB_4plusIvEENSB_8equal_toIvEES6_EE10hipError_tPvRmT2_T3_T4_T5_mT6_T7_P12ihipStream_tbENKUlT_T0_E_clISt17integral_constantIbLb1EES13_EEDaSY_SZ_EUlSY_E_NS1_11comp_targetILNS1_3genE4ELNS1_11target_archE910ELNS1_3gpuE8ELNS1_3repE0EEENS1_30default_config_static_selectorELNS0_4arch9wavefront6targetE0EEEvT1_.uses_vcc, 0
	.set _ZN7rocprim17ROCPRIM_400000_NS6detail17trampoline_kernelINS0_14default_configENS1_27scan_by_key_config_selectorIj11FixedVectorIiLj4EEEEZZNS1_16scan_by_key_implILNS1_25lookback_scan_determinismE0ELb0ES3_N6thrust23THRUST_200600_302600_NS6detail15normal_iteratorINSB_10device_ptrIjEEEENSD_INSE_IS6_EEEESI_S6_NSB_4plusIvEENSB_8equal_toIvEES6_EE10hipError_tPvRmT2_T3_T4_T5_mT6_T7_P12ihipStream_tbENKUlT_T0_E_clISt17integral_constantIbLb1EES13_EEDaSY_SZ_EUlSY_E_NS1_11comp_targetILNS1_3genE4ELNS1_11target_archE910ELNS1_3gpuE8ELNS1_3repE0EEENS1_30default_config_static_selectorELNS0_4arch9wavefront6targetE0EEEvT1_.uses_flat_scratch, 0
	.set _ZN7rocprim17ROCPRIM_400000_NS6detail17trampoline_kernelINS0_14default_configENS1_27scan_by_key_config_selectorIj11FixedVectorIiLj4EEEEZZNS1_16scan_by_key_implILNS1_25lookback_scan_determinismE0ELb0ES3_N6thrust23THRUST_200600_302600_NS6detail15normal_iteratorINSB_10device_ptrIjEEEENSD_INSE_IS6_EEEESI_S6_NSB_4plusIvEENSB_8equal_toIvEES6_EE10hipError_tPvRmT2_T3_T4_T5_mT6_T7_P12ihipStream_tbENKUlT_T0_E_clISt17integral_constantIbLb1EES13_EEDaSY_SZ_EUlSY_E_NS1_11comp_targetILNS1_3genE4ELNS1_11target_archE910ELNS1_3gpuE8ELNS1_3repE0EEENS1_30default_config_static_selectorELNS0_4arch9wavefront6targetE0EEEvT1_.has_dyn_sized_stack, 0
	.set _ZN7rocprim17ROCPRIM_400000_NS6detail17trampoline_kernelINS0_14default_configENS1_27scan_by_key_config_selectorIj11FixedVectorIiLj4EEEEZZNS1_16scan_by_key_implILNS1_25lookback_scan_determinismE0ELb0ES3_N6thrust23THRUST_200600_302600_NS6detail15normal_iteratorINSB_10device_ptrIjEEEENSD_INSE_IS6_EEEESI_S6_NSB_4plusIvEENSB_8equal_toIvEES6_EE10hipError_tPvRmT2_T3_T4_T5_mT6_T7_P12ihipStream_tbENKUlT_T0_E_clISt17integral_constantIbLb1EES13_EEDaSY_SZ_EUlSY_E_NS1_11comp_targetILNS1_3genE4ELNS1_11target_archE910ELNS1_3gpuE8ELNS1_3repE0EEENS1_30default_config_static_selectorELNS0_4arch9wavefront6targetE0EEEvT1_.has_recursion, 0
	.set _ZN7rocprim17ROCPRIM_400000_NS6detail17trampoline_kernelINS0_14default_configENS1_27scan_by_key_config_selectorIj11FixedVectorIiLj4EEEEZZNS1_16scan_by_key_implILNS1_25lookback_scan_determinismE0ELb0ES3_N6thrust23THRUST_200600_302600_NS6detail15normal_iteratorINSB_10device_ptrIjEEEENSD_INSE_IS6_EEEESI_S6_NSB_4plusIvEENSB_8equal_toIvEES6_EE10hipError_tPvRmT2_T3_T4_T5_mT6_T7_P12ihipStream_tbENKUlT_T0_E_clISt17integral_constantIbLb1EES13_EEDaSY_SZ_EUlSY_E_NS1_11comp_targetILNS1_3genE4ELNS1_11target_archE910ELNS1_3gpuE8ELNS1_3repE0EEENS1_30default_config_static_selectorELNS0_4arch9wavefront6targetE0EEEvT1_.has_indirect_call, 0
	.section	.AMDGPU.csdata,"",@progbits
; Kernel info:
; codeLenInByte = 0
; TotalNumSgprs: 0
; NumVgprs: 0
; ScratchSize: 0
; MemoryBound: 0
; FloatMode: 240
; IeeeMode: 1
; LDSByteSize: 0 bytes/workgroup (compile time only)
; SGPRBlocks: 0
; VGPRBlocks: 0
; NumSGPRsForWavesPerEU: 1
; NumVGPRsForWavesPerEU: 1
; NamedBarCnt: 0
; Occupancy: 16
; WaveLimiterHint : 0
; COMPUTE_PGM_RSRC2:SCRATCH_EN: 0
; COMPUTE_PGM_RSRC2:USER_SGPR: 2
; COMPUTE_PGM_RSRC2:TRAP_HANDLER: 0
; COMPUTE_PGM_RSRC2:TGID_X_EN: 1
; COMPUTE_PGM_RSRC2:TGID_Y_EN: 0
; COMPUTE_PGM_RSRC2:TGID_Z_EN: 0
; COMPUTE_PGM_RSRC2:TIDIG_COMP_CNT: 0
	.section	.text._ZN7rocprim17ROCPRIM_400000_NS6detail17trampoline_kernelINS0_14default_configENS1_27scan_by_key_config_selectorIj11FixedVectorIiLj4EEEEZZNS1_16scan_by_key_implILNS1_25lookback_scan_determinismE0ELb0ES3_N6thrust23THRUST_200600_302600_NS6detail15normal_iteratorINSB_10device_ptrIjEEEENSD_INSE_IS6_EEEESI_S6_NSB_4plusIvEENSB_8equal_toIvEES6_EE10hipError_tPvRmT2_T3_T4_T5_mT6_T7_P12ihipStream_tbENKUlT_T0_E_clISt17integral_constantIbLb1EES13_EEDaSY_SZ_EUlSY_E_NS1_11comp_targetILNS1_3genE3ELNS1_11target_archE908ELNS1_3gpuE7ELNS1_3repE0EEENS1_30default_config_static_selectorELNS0_4arch9wavefront6targetE0EEEvT1_,"axG",@progbits,_ZN7rocprim17ROCPRIM_400000_NS6detail17trampoline_kernelINS0_14default_configENS1_27scan_by_key_config_selectorIj11FixedVectorIiLj4EEEEZZNS1_16scan_by_key_implILNS1_25lookback_scan_determinismE0ELb0ES3_N6thrust23THRUST_200600_302600_NS6detail15normal_iteratorINSB_10device_ptrIjEEEENSD_INSE_IS6_EEEESI_S6_NSB_4plusIvEENSB_8equal_toIvEES6_EE10hipError_tPvRmT2_T3_T4_T5_mT6_T7_P12ihipStream_tbENKUlT_T0_E_clISt17integral_constantIbLb1EES13_EEDaSY_SZ_EUlSY_E_NS1_11comp_targetILNS1_3genE3ELNS1_11target_archE908ELNS1_3gpuE7ELNS1_3repE0EEENS1_30default_config_static_selectorELNS0_4arch9wavefront6targetE0EEEvT1_,comdat
	.protected	_ZN7rocprim17ROCPRIM_400000_NS6detail17trampoline_kernelINS0_14default_configENS1_27scan_by_key_config_selectorIj11FixedVectorIiLj4EEEEZZNS1_16scan_by_key_implILNS1_25lookback_scan_determinismE0ELb0ES3_N6thrust23THRUST_200600_302600_NS6detail15normal_iteratorINSB_10device_ptrIjEEEENSD_INSE_IS6_EEEESI_S6_NSB_4plusIvEENSB_8equal_toIvEES6_EE10hipError_tPvRmT2_T3_T4_T5_mT6_T7_P12ihipStream_tbENKUlT_T0_E_clISt17integral_constantIbLb1EES13_EEDaSY_SZ_EUlSY_E_NS1_11comp_targetILNS1_3genE3ELNS1_11target_archE908ELNS1_3gpuE7ELNS1_3repE0EEENS1_30default_config_static_selectorELNS0_4arch9wavefront6targetE0EEEvT1_ ; -- Begin function _ZN7rocprim17ROCPRIM_400000_NS6detail17trampoline_kernelINS0_14default_configENS1_27scan_by_key_config_selectorIj11FixedVectorIiLj4EEEEZZNS1_16scan_by_key_implILNS1_25lookback_scan_determinismE0ELb0ES3_N6thrust23THRUST_200600_302600_NS6detail15normal_iteratorINSB_10device_ptrIjEEEENSD_INSE_IS6_EEEESI_S6_NSB_4plusIvEENSB_8equal_toIvEES6_EE10hipError_tPvRmT2_T3_T4_T5_mT6_T7_P12ihipStream_tbENKUlT_T0_E_clISt17integral_constantIbLb1EES13_EEDaSY_SZ_EUlSY_E_NS1_11comp_targetILNS1_3genE3ELNS1_11target_archE908ELNS1_3gpuE7ELNS1_3repE0EEENS1_30default_config_static_selectorELNS0_4arch9wavefront6targetE0EEEvT1_
	.globl	_ZN7rocprim17ROCPRIM_400000_NS6detail17trampoline_kernelINS0_14default_configENS1_27scan_by_key_config_selectorIj11FixedVectorIiLj4EEEEZZNS1_16scan_by_key_implILNS1_25lookback_scan_determinismE0ELb0ES3_N6thrust23THRUST_200600_302600_NS6detail15normal_iteratorINSB_10device_ptrIjEEEENSD_INSE_IS6_EEEESI_S6_NSB_4plusIvEENSB_8equal_toIvEES6_EE10hipError_tPvRmT2_T3_T4_T5_mT6_T7_P12ihipStream_tbENKUlT_T0_E_clISt17integral_constantIbLb1EES13_EEDaSY_SZ_EUlSY_E_NS1_11comp_targetILNS1_3genE3ELNS1_11target_archE908ELNS1_3gpuE7ELNS1_3repE0EEENS1_30default_config_static_selectorELNS0_4arch9wavefront6targetE0EEEvT1_
	.p2align	8
	.type	_ZN7rocprim17ROCPRIM_400000_NS6detail17trampoline_kernelINS0_14default_configENS1_27scan_by_key_config_selectorIj11FixedVectorIiLj4EEEEZZNS1_16scan_by_key_implILNS1_25lookback_scan_determinismE0ELb0ES3_N6thrust23THRUST_200600_302600_NS6detail15normal_iteratorINSB_10device_ptrIjEEEENSD_INSE_IS6_EEEESI_S6_NSB_4plusIvEENSB_8equal_toIvEES6_EE10hipError_tPvRmT2_T3_T4_T5_mT6_T7_P12ihipStream_tbENKUlT_T0_E_clISt17integral_constantIbLb1EES13_EEDaSY_SZ_EUlSY_E_NS1_11comp_targetILNS1_3genE3ELNS1_11target_archE908ELNS1_3gpuE7ELNS1_3repE0EEENS1_30default_config_static_selectorELNS0_4arch9wavefront6targetE0EEEvT1_,@function
_ZN7rocprim17ROCPRIM_400000_NS6detail17trampoline_kernelINS0_14default_configENS1_27scan_by_key_config_selectorIj11FixedVectorIiLj4EEEEZZNS1_16scan_by_key_implILNS1_25lookback_scan_determinismE0ELb0ES3_N6thrust23THRUST_200600_302600_NS6detail15normal_iteratorINSB_10device_ptrIjEEEENSD_INSE_IS6_EEEESI_S6_NSB_4plusIvEENSB_8equal_toIvEES6_EE10hipError_tPvRmT2_T3_T4_T5_mT6_T7_P12ihipStream_tbENKUlT_T0_E_clISt17integral_constantIbLb1EES13_EEDaSY_SZ_EUlSY_E_NS1_11comp_targetILNS1_3genE3ELNS1_11target_archE908ELNS1_3gpuE7ELNS1_3repE0EEENS1_30default_config_static_selectorELNS0_4arch9wavefront6targetE0EEEvT1_: ; @_ZN7rocprim17ROCPRIM_400000_NS6detail17trampoline_kernelINS0_14default_configENS1_27scan_by_key_config_selectorIj11FixedVectorIiLj4EEEEZZNS1_16scan_by_key_implILNS1_25lookback_scan_determinismE0ELb0ES3_N6thrust23THRUST_200600_302600_NS6detail15normal_iteratorINSB_10device_ptrIjEEEENSD_INSE_IS6_EEEESI_S6_NSB_4plusIvEENSB_8equal_toIvEES6_EE10hipError_tPvRmT2_T3_T4_T5_mT6_T7_P12ihipStream_tbENKUlT_T0_E_clISt17integral_constantIbLb1EES13_EEDaSY_SZ_EUlSY_E_NS1_11comp_targetILNS1_3genE3ELNS1_11target_archE908ELNS1_3gpuE7ELNS1_3repE0EEENS1_30default_config_static_selectorELNS0_4arch9wavefront6targetE0EEEvT1_
; %bb.0:
	.section	.rodata,"a",@progbits
	.p2align	6, 0x0
	.amdhsa_kernel _ZN7rocprim17ROCPRIM_400000_NS6detail17trampoline_kernelINS0_14default_configENS1_27scan_by_key_config_selectorIj11FixedVectorIiLj4EEEEZZNS1_16scan_by_key_implILNS1_25lookback_scan_determinismE0ELb0ES3_N6thrust23THRUST_200600_302600_NS6detail15normal_iteratorINSB_10device_ptrIjEEEENSD_INSE_IS6_EEEESI_S6_NSB_4plusIvEENSB_8equal_toIvEES6_EE10hipError_tPvRmT2_T3_T4_T5_mT6_T7_P12ihipStream_tbENKUlT_T0_E_clISt17integral_constantIbLb1EES13_EEDaSY_SZ_EUlSY_E_NS1_11comp_targetILNS1_3genE3ELNS1_11target_archE908ELNS1_3gpuE7ELNS1_3repE0EEENS1_30default_config_static_selectorELNS0_4arch9wavefront6targetE0EEEvT1_
		.amdhsa_group_segment_fixed_size 0
		.amdhsa_private_segment_fixed_size 0
		.amdhsa_kernarg_size 144
		.amdhsa_user_sgpr_count 2
		.amdhsa_user_sgpr_dispatch_ptr 0
		.amdhsa_user_sgpr_queue_ptr 0
		.amdhsa_user_sgpr_kernarg_segment_ptr 1
		.amdhsa_user_sgpr_dispatch_id 0
		.amdhsa_user_sgpr_kernarg_preload_length 0
		.amdhsa_user_sgpr_kernarg_preload_offset 0
		.amdhsa_user_sgpr_private_segment_size 0
		.amdhsa_wavefront_size32 1
		.amdhsa_uses_dynamic_stack 0
		.amdhsa_enable_private_segment 0
		.amdhsa_system_sgpr_workgroup_id_x 1
		.amdhsa_system_sgpr_workgroup_id_y 0
		.amdhsa_system_sgpr_workgroup_id_z 0
		.amdhsa_system_sgpr_workgroup_info 0
		.amdhsa_system_vgpr_workitem_id 0
		.amdhsa_next_free_vgpr 1
		.amdhsa_next_free_sgpr 1
		.amdhsa_named_barrier_count 0
		.amdhsa_reserve_vcc 0
		.amdhsa_float_round_mode_32 0
		.amdhsa_float_round_mode_16_64 0
		.amdhsa_float_denorm_mode_32 3
		.amdhsa_float_denorm_mode_16_64 3
		.amdhsa_fp16_overflow 0
		.amdhsa_memory_ordered 1
		.amdhsa_forward_progress 1
		.amdhsa_inst_pref_size 0
		.amdhsa_round_robin_scheduling 0
		.amdhsa_exception_fp_ieee_invalid_op 0
		.amdhsa_exception_fp_denorm_src 0
		.amdhsa_exception_fp_ieee_div_zero 0
		.amdhsa_exception_fp_ieee_overflow 0
		.amdhsa_exception_fp_ieee_underflow 0
		.amdhsa_exception_fp_ieee_inexact 0
		.amdhsa_exception_int_div_zero 0
	.end_amdhsa_kernel
	.section	.text._ZN7rocprim17ROCPRIM_400000_NS6detail17trampoline_kernelINS0_14default_configENS1_27scan_by_key_config_selectorIj11FixedVectorIiLj4EEEEZZNS1_16scan_by_key_implILNS1_25lookback_scan_determinismE0ELb0ES3_N6thrust23THRUST_200600_302600_NS6detail15normal_iteratorINSB_10device_ptrIjEEEENSD_INSE_IS6_EEEESI_S6_NSB_4plusIvEENSB_8equal_toIvEES6_EE10hipError_tPvRmT2_T3_T4_T5_mT6_T7_P12ihipStream_tbENKUlT_T0_E_clISt17integral_constantIbLb1EES13_EEDaSY_SZ_EUlSY_E_NS1_11comp_targetILNS1_3genE3ELNS1_11target_archE908ELNS1_3gpuE7ELNS1_3repE0EEENS1_30default_config_static_selectorELNS0_4arch9wavefront6targetE0EEEvT1_,"axG",@progbits,_ZN7rocprim17ROCPRIM_400000_NS6detail17trampoline_kernelINS0_14default_configENS1_27scan_by_key_config_selectorIj11FixedVectorIiLj4EEEEZZNS1_16scan_by_key_implILNS1_25lookback_scan_determinismE0ELb0ES3_N6thrust23THRUST_200600_302600_NS6detail15normal_iteratorINSB_10device_ptrIjEEEENSD_INSE_IS6_EEEESI_S6_NSB_4plusIvEENSB_8equal_toIvEES6_EE10hipError_tPvRmT2_T3_T4_T5_mT6_T7_P12ihipStream_tbENKUlT_T0_E_clISt17integral_constantIbLb1EES13_EEDaSY_SZ_EUlSY_E_NS1_11comp_targetILNS1_3genE3ELNS1_11target_archE908ELNS1_3gpuE7ELNS1_3repE0EEENS1_30default_config_static_selectorELNS0_4arch9wavefront6targetE0EEEvT1_,comdat
.Lfunc_end2048:
	.size	_ZN7rocprim17ROCPRIM_400000_NS6detail17trampoline_kernelINS0_14default_configENS1_27scan_by_key_config_selectorIj11FixedVectorIiLj4EEEEZZNS1_16scan_by_key_implILNS1_25lookback_scan_determinismE0ELb0ES3_N6thrust23THRUST_200600_302600_NS6detail15normal_iteratorINSB_10device_ptrIjEEEENSD_INSE_IS6_EEEESI_S6_NSB_4plusIvEENSB_8equal_toIvEES6_EE10hipError_tPvRmT2_T3_T4_T5_mT6_T7_P12ihipStream_tbENKUlT_T0_E_clISt17integral_constantIbLb1EES13_EEDaSY_SZ_EUlSY_E_NS1_11comp_targetILNS1_3genE3ELNS1_11target_archE908ELNS1_3gpuE7ELNS1_3repE0EEENS1_30default_config_static_selectorELNS0_4arch9wavefront6targetE0EEEvT1_, .Lfunc_end2048-_ZN7rocprim17ROCPRIM_400000_NS6detail17trampoline_kernelINS0_14default_configENS1_27scan_by_key_config_selectorIj11FixedVectorIiLj4EEEEZZNS1_16scan_by_key_implILNS1_25lookback_scan_determinismE0ELb0ES3_N6thrust23THRUST_200600_302600_NS6detail15normal_iteratorINSB_10device_ptrIjEEEENSD_INSE_IS6_EEEESI_S6_NSB_4plusIvEENSB_8equal_toIvEES6_EE10hipError_tPvRmT2_T3_T4_T5_mT6_T7_P12ihipStream_tbENKUlT_T0_E_clISt17integral_constantIbLb1EES13_EEDaSY_SZ_EUlSY_E_NS1_11comp_targetILNS1_3genE3ELNS1_11target_archE908ELNS1_3gpuE7ELNS1_3repE0EEENS1_30default_config_static_selectorELNS0_4arch9wavefront6targetE0EEEvT1_
                                        ; -- End function
	.set _ZN7rocprim17ROCPRIM_400000_NS6detail17trampoline_kernelINS0_14default_configENS1_27scan_by_key_config_selectorIj11FixedVectorIiLj4EEEEZZNS1_16scan_by_key_implILNS1_25lookback_scan_determinismE0ELb0ES3_N6thrust23THRUST_200600_302600_NS6detail15normal_iteratorINSB_10device_ptrIjEEEENSD_INSE_IS6_EEEESI_S6_NSB_4plusIvEENSB_8equal_toIvEES6_EE10hipError_tPvRmT2_T3_T4_T5_mT6_T7_P12ihipStream_tbENKUlT_T0_E_clISt17integral_constantIbLb1EES13_EEDaSY_SZ_EUlSY_E_NS1_11comp_targetILNS1_3genE3ELNS1_11target_archE908ELNS1_3gpuE7ELNS1_3repE0EEENS1_30default_config_static_selectorELNS0_4arch9wavefront6targetE0EEEvT1_.num_vgpr, 0
	.set _ZN7rocprim17ROCPRIM_400000_NS6detail17trampoline_kernelINS0_14default_configENS1_27scan_by_key_config_selectorIj11FixedVectorIiLj4EEEEZZNS1_16scan_by_key_implILNS1_25lookback_scan_determinismE0ELb0ES3_N6thrust23THRUST_200600_302600_NS6detail15normal_iteratorINSB_10device_ptrIjEEEENSD_INSE_IS6_EEEESI_S6_NSB_4plusIvEENSB_8equal_toIvEES6_EE10hipError_tPvRmT2_T3_T4_T5_mT6_T7_P12ihipStream_tbENKUlT_T0_E_clISt17integral_constantIbLb1EES13_EEDaSY_SZ_EUlSY_E_NS1_11comp_targetILNS1_3genE3ELNS1_11target_archE908ELNS1_3gpuE7ELNS1_3repE0EEENS1_30default_config_static_selectorELNS0_4arch9wavefront6targetE0EEEvT1_.num_agpr, 0
	.set _ZN7rocprim17ROCPRIM_400000_NS6detail17trampoline_kernelINS0_14default_configENS1_27scan_by_key_config_selectorIj11FixedVectorIiLj4EEEEZZNS1_16scan_by_key_implILNS1_25lookback_scan_determinismE0ELb0ES3_N6thrust23THRUST_200600_302600_NS6detail15normal_iteratorINSB_10device_ptrIjEEEENSD_INSE_IS6_EEEESI_S6_NSB_4plusIvEENSB_8equal_toIvEES6_EE10hipError_tPvRmT2_T3_T4_T5_mT6_T7_P12ihipStream_tbENKUlT_T0_E_clISt17integral_constantIbLb1EES13_EEDaSY_SZ_EUlSY_E_NS1_11comp_targetILNS1_3genE3ELNS1_11target_archE908ELNS1_3gpuE7ELNS1_3repE0EEENS1_30default_config_static_selectorELNS0_4arch9wavefront6targetE0EEEvT1_.numbered_sgpr, 0
	.set _ZN7rocprim17ROCPRIM_400000_NS6detail17trampoline_kernelINS0_14default_configENS1_27scan_by_key_config_selectorIj11FixedVectorIiLj4EEEEZZNS1_16scan_by_key_implILNS1_25lookback_scan_determinismE0ELb0ES3_N6thrust23THRUST_200600_302600_NS6detail15normal_iteratorINSB_10device_ptrIjEEEENSD_INSE_IS6_EEEESI_S6_NSB_4plusIvEENSB_8equal_toIvEES6_EE10hipError_tPvRmT2_T3_T4_T5_mT6_T7_P12ihipStream_tbENKUlT_T0_E_clISt17integral_constantIbLb1EES13_EEDaSY_SZ_EUlSY_E_NS1_11comp_targetILNS1_3genE3ELNS1_11target_archE908ELNS1_3gpuE7ELNS1_3repE0EEENS1_30default_config_static_selectorELNS0_4arch9wavefront6targetE0EEEvT1_.num_named_barrier, 0
	.set _ZN7rocprim17ROCPRIM_400000_NS6detail17trampoline_kernelINS0_14default_configENS1_27scan_by_key_config_selectorIj11FixedVectorIiLj4EEEEZZNS1_16scan_by_key_implILNS1_25lookback_scan_determinismE0ELb0ES3_N6thrust23THRUST_200600_302600_NS6detail15normal_iteratorINSB_10device_ptrIjEEEENSD_INSE_IS6_EEEESI_S6_NSB_4plusIvEENSB_8equal_toIvEES6_EE10hipError_tPvRmT2_T3_T4_T5_mT6_T7_P12ihipStream_tbENKUlT_T0_E_clISt17integral_constantIbLb1EES13_EEDaSY_SZ_EUlSY_E_NS1_11comp_targetILNS1_3genE3ELNS1_11target_archE908ELNS1_3gpuE7ELNS1_3repE0EEENS1_30default_config_static_selectorELNS0_4arch9wavefront6targetE0EEEvT1_.private_seg_size, 0
	.set _ZN7rocprim17ROCPRIM_400000_NS6detail17trampoline_kernelINS0_14default_configENS1_27scan_by_key_config_selectorIj11FixedVectorIiLj4EEEEZZNS1_16scan_by_key_implILNS1_25lookback_scan_determinismE0ELb0ES3_N6thrust23THRUST_200600_302600_NS6detail15normal_iteratorINSB_10device_ptrIjEEEENSD_INSE_IS6_EEEESI_S6_NSB_4plusIvEENSB_8equal_toIvEES6_EE10hipError_tPvRmT2_T3_T4_T5_mT6_T7_P12ihipStream_tbENKUlT_T0_E_clISt17integral_constantIbLb1EES13_EEDaSY_SZ_EUlSY_E_NS1_11comp_targetILNS1_3genE3ELNS1_11target_archE908ELNS1_3gpuE7ELNS1_3repE0EEENS1_30default_config_static_selectorELNS0_4arch9wavefront6targetE0EEEvT1_.uses_vcc, 0
	.set _ZN7rocprim17ROCPRIM_400000_NS6detail17trampoline_kernelINS0_14default_configENS1_27scan_by_key_config_selectorIj11FixedVectorIiLj4EEEEZZNS1_16scan_by_key_implILNS1_25lookback_scan_determinismE0ELb0ES3_N6thrust23THRUST_200600_302600_NS6detail15normal_iteratorINSB_10device_ptrIjEEEENSD_INSE_IS6_EEEESI_S6_NSB_4plusIvEENSB_8equal_toIvEES6_EE10hipError_tPvRmT2_T3_T4_T5_mT6_T7_P12ihipStream_tbENKUlT_T0_E_clISt17integral_constantIbLb1EES13_EEDaSY_SZ_EUlSY_E_NS1_11comp_targetILNS1_3genE3ELNS1_11target_archE908ELNS1_3gpuE7ELNS1_3repE0EEENS1_30default_config_static_selectorELNS0_4arch9wavefront6targetE0EEEvT1_.uses_flat_scratch, 0
	.set _ZN7rocprim17ROCPRIM_400000_NS6detail17trampoline_kernelINS0_14default_configENS1_27scan_by_key_config_selectorIj11FixedVectorIiLj4EEEEZZNS1_16scan_by_key_implILNS1_25lookback_scan_determinismE0ELb0ES3_N6thrust23THRUST_200600_302600_NS6detail15normal_iteratorINSB_10device_ptrIjEEEENSD_INSE_IS6_EEEESI_S6_NSB_4plusIvEENSB_8equal_toIvEES6_EE10hipError_tPvRmT2_T3_T4_T5_mT6_T7_P12ihipStream_tbENKUlT_T0_E_clISt17integral_constantIbLb1EES13_EEDaSY_SZ_EUlSY_E_NS1_11comp_targetILNS1_3genE3ELNS1_11target_archE908ELNS1_3gpuE7ELNS1_3repE0EEENS1_30default_config_static_selectorELNS0_4arch9wavefront6targetE0EEEvT1_.has_dyn_sized_stack, 0
	.set _ZN7rocprim17ROCPRIM_400000_NS6detail17trampoline_kernelINS0_14default_configENS1_27scan_by_key_config_selectorIj11FixedVectorIiLj4EEEEZZNS1_16scan_by_key_implILNS1_25lookback_scan_determinismE0ELb0ES3_N6thrust23THRUST_200600_302600_NS6detail15normal_iteratorINSB_10device_ptrIjEEEENSD_INSE_IS6_EEEESI_S6_NSB_4plusIvEENSB_8equal_toIvEES6_EE10hipError_tPvRmT2_T3_T4_T5_mT6_T7_P12ihipStream_tbENKUlT_T0_E_clISt17integral_constantIbLb1EES13_EEDaSY_SZ_EUlSY_E_NS1_11comp_targetILNS1_3genE3ELNS1_11target_archE908ELNS1_3gpuE7ELNS1_3repE0EEENS1_30default_config_static_selectorELNS0_4arch9wavefront6targetE0EEEvT1_.has_recursion, 0
	.set _ZN7rocprim17ROCPRIM_400000_NS6detail17trampoline_kernelINS0_14default_configENS1_27scan_by_key_config_selectorIj11FixedVectorIiLj4EEEEZZNS1_16scan_by_key_implILNS1_25lookback_scan_determinismE0ELb0ES3_N6thrust23THRUST_200600_302600_NS6detail15normal_iteratorINSB_10device_ptrIjEEEENSD_INSE_IS6_EEEESI_S6_NSB_4plusIvEENSB_8equal_toIvEES6_EE10hipError_tPvRmT2_T3_T4_T5_mT6_T7_P12ihipStream_tbENKUlT_T0_E_clISt17integral_constantIbLb1EES13_EEDaSY_SZ_EUlSY_E_NS1_11comp_targetILNS1_3genE3ELNS1_11target_archE908ELNS1_3gpuE7ELNS1_3repE0EEENS1_30default_config_static_selectorELNS0_4arch9wavefront6targetE0EEEvT1_.has_indirect_call, 0
	.section	.AMDGPU.csdata,"",@progbits
; Kernel info:
; codeLenInByte = 0
; TotalNumSgprs: 0
; NumVgprs: 0
; ScratchSize: 0
; MemoryBound: 0
; FloatMode: 240
; IeeeMode: 1
; LDSByteSize: 0 bytes/workgroup (compile time only)
; SGPRBlocks: 0
; VGPRBlocks: 0
; NumSGPRsForWavesPerEU: 1
; NumVGPRsForWavesPerEU: 1
; NamedBarCnt: 0
; Occupancy: 16
; WaveLimiterHint : 0
; COMPUTE_PGM_RSRC2:SCRATCH_EN: 0
; COMPUTE_PGM_RSRC2:USER_SGPR: 2
; COMPUTE_PGM_RSRC2:TRAP_HANDLER: 0
; COMPUTE_PGM_RSRC2:TGID_X_EN: 1
; COMPUTE_PGM_RSRC2:TGID_Y_EN: 0
; COMPUTE_PGM_RSRC2:TGID_Z_EN: 0
; COMPUTE_PGM_RSRC2:TIDIG_COMP_CNT: 0
	.section	.text._ZN7rocprim17ROCPRIM_400000_NS6detail17trampoline_kernelINS0_14default_configENS1_27scan_by_key_config_selectorIj11FixedVectorIiLj4EEEEZZNS1_16scan_by_key_implILNS1_25lookback_scan_determinismE0ELb0ES3_N6thrust23THRUST_200600_302600_NS6detail15normal_iteratorINSB_10device_ptrIjEEEENSD_INSE_IS6_EEEESI_S6_NSB_4plusIvEENSB_8equal_toIvEES6_EE10hipError_tPvRmT2_T3_T4_T5_mT6_T7_P12ihipStream_tbENKUlT_T0_E_clISt17integral_constantIbLb1EES13_EEDaSY_SZ_EUlSY_E_NS1_11comp_targetILNS1_3genE2ELNS1_11target_archE906ELNS1_3gpuE6ELNS1_3repE0EEENS1_30default_config_static_selectorELNS0_4arch9wavefront6targetE0EEEvT1_,"axG",@progbits,_ZN7rocprim17ROCPRIM_400000_NS6detail17trampoline_kernelINS0_14default_configENS1_27scan_by_key_config_selectorIj11FixedVectorIiLj4EEEEZZNS1_16scan_by_key_implILNS1_25lookback_scan_determinismE0ELb0ES3_N6thrust23THRUST_200600_302600_NS6detail15normal_iteratorINSB_10device_ptrIjEEEENSD_INSE_IS6_EEEESI_S6_NSB_4plusIvEENSB_8equal_toIvEES6_EE10hipError_tPvRmT2_T3_T4_T5_mT6_T7_P12ihipStream_tbENKUlT_T0_E_clISt17integral_constantIbLb1EES13_EEDaSY_SZ_EUlSY_E_NS1_11comp_targetILNS1_3genE2ELNS1_11target_archE906ELNS1_3gpuE6ELNS1_3repE0EEENS1_30default_config_static_selectorELNS0_4arch9wavefront6targetE0EEEvT1_,comdat
	.protected	_ZN7rocprim17ROCPRIM_400000_NS6detail17trampoline_kernelINS0_14default_configENS1_27scan_by_key_config_selectorIj11FixedVectorIiLj4EEEEZZNS1_16scan_by_key_implILNS1_25lookback_scan_determinismE0ELb0ES3_N6thrust23THRUST_200600_302600_NS6detail15normal_iteratorINSB_10device_ptrIjEEEENSD_INSE_IS6_EEEESI_S6_NSB_4plusIvEENSB_8equal_toIvEES6_EE10hipError_tPvRmT2_T3_T4_T5_mT6_T7_P12ihipStream_tbENKUlT_T0_E_clISt17integral_constantIbLb1EES13_EEDaSY_SZ_EUlSY_E_NS1_11comp_targetILNS1_3genE2ELNS1_11target_archE906ELNS1_3gpuE6ELNS1_3repE0EEENS1_30default_config_static_selectorELNS0_4arch9wavefront6targetE0EEEvT1_ ; -- Begin function _ZN7rocprim17ROCPRIM_400000_NS6detail17trampoline_kernelINS0_14default_configENS1_27scan_by_key_config_selectorIj11FixedVectorIiLj4EEEEZZNS1_16scan_by_key_implILNS1_25lookback_scan_determinismE0ELb0ES3_N6thrust23THRUST_200600_302600_NS6detail15normal_iteratorINSB_10device_ptrIjEEEENSD_INSE_IS6_EEEESI_S6_NSB_4plusIvEENSB_8equal_toIvEES6_EE10hipError_tPvRmT2_T3_T4_T5_mT6_T7_P12ihipStream_tbENKUlT_T0_E_clISt17integral_constantIbLb1EES13_EEDaSY_SZ_EUlSY_E_NS1_11comp_targetILNS1_3genE2ELNS1_11target_archE906ELNS1_3gpuE6ELNS1_3repE0EEENS1_30default_config_static_selectorELNS0_4arch9wavefront6targetE0EEEvT1_
	.globl	_ZN7rocprim17ROCPRIM_400000_NS6detail17trampoline_kernelINS0_14default_configENS1_27scan_by_key_config_selectorIj11FixedVectorIiLj4EEEEZZNS1_16scan_by_key_implILNS1_25lookback_scan_determinismE0ELb0ES3_N6thrust23THRUST_200600_302600_NS6detail15normal_iteratorINSB_10device_ptrIjEEEENSD_INSE_IS6_EEEESI_S6_NSB_4plusIvEENSB_8equal_toIvEES6_EE10hipError_tPvRmT2_T3_T4_T5_mT6_T7_P12ihipStream_tbENKUlT_T0_E_clISt17integral_constantIbLb1EES13_EEDaSY_SZ_EUlSY_E_NS1_11comp_targetILNS1_3genE2ELNS1_11target_archE906ELNS1_3gpuE6ELNS1_3repE0EEENS1_30default_config_static_selectorELNS0_4arch9wavefront6targetE0EEEvT1_
	.p2align	8
	.type	_ZN7rocprim17ROCPRIM_400000_NS6detail17trampoline_kernelINS0_14default_configENS1_27scan_by_key_config_selectorIj11FixedVectorIiLj4EEEEZZNS1_16scan_by_key_implILNS1_25lookback_scan_determinismE0ELb0ES3_N6thrust23THRUST_200600_302600_NS6detail15normal_iteratorINSB_10device_ptrIjEEEENSD_INSE_IS6_EEEESI_S6_NSB_4plusIvEENSB_8equal_toIvEES6_EE10hipError_tPvRmT2_T3_T4_T5_mT6_T7_P12ihipStream_tbENKUlT_T0_E_clISt17integral_constantIbLb1EES13_EEDaSY_SZ_EUlSY_E_NS1_11comp_targetILNS1_3genE2ELNS1_11target_archE906ELNS1_3gpuE6ELNS1_3repE0EEENS1_30default_config_static_selectorELNS0_4arch9wavefront6targetE0EEEvT1_,@function
_ZN7rocprim17ROCPRIM_400000_NS6detail17trampoline_kernelINS0_14default_configENS1_27scan_by_key_config_selectorIj11FixedVectorIiLj4EEEEZZNS1_16scan_by_key_implILNS1_25lookback_scan_determinismE0ELb0ES3_N6thrust23THRUST_200600_302600_NS6detail15normal_iteratorINSB_10device_ptrIjEEEENSD_INSE_IS6_EEEESI_S6_NSB_4plusIvEENSB_8equal_toIvEES6_EE10hipError_tPvRmT2_T3_T4_T5_mT6_T7_P12ihipStream_tbENKUlT_T0_E_clISt17integral_constantIbLb1EES13_EEDaSY_SZ_EUlSY_E_NS1_11comp_targetILNS1_3genE2ELNS1_11target_archE906ELNS1_3gpuE6ELNS1_3repE0EEENS1_30default_config_static_selectorELNS0_4arch9wavefront6targetE0EEEvT1_: ; @_ZN7rocprim17ROCPRIM_400000_NS6detail17trampoline_kernelINS0_14default_configENS1_27scan_by_key_config_selectorIj11FixedVectorIiLj4EEEEZZNS1_16scan_by_key_implILNS1_25lookback_scan_determinismE0ELb0ES3_N6thrust23THRUST_200600_302600_NS6detail15normal_iteratorINSB_10device_ptrIjEEEENSD_INSE_IS6_EEEESI_S6_NSB_4plusIvEENSB_8equal_toIvEES6_EE10hipError_tPvRmT2_T3_T4_T5_mT6_T7_P12ihipStream_tbENKUlT_T0_E_clISt17integral_constantIbLb1EES13_EEDaSY_SZ_EUlSY_E_NS1_11comp_targetILNS1_3genE2ELNS1_11target_archE906ELNS1_3gpuE6ELNS1_3repE0EEENS1_30default_config_static_selectorELNS0_4arch9wavefront6targetE0EEEvT1_
; %bb.0:
	.section	.rodata,"a",@progbits
	.p2align	6, 0x0
	.amdhsa_kernel _ZN7rocprim17ROCPRIM_400000_NS6detail17trampoline_kernelINS0_14default_configENS1_27scan_by_key_config_selectorIj11FixedVectorIiLj4EEEEZZNS1_16scan_by_key_implILNS1_25lookback_scan_determinismE0ELb0ES3_N6thrust23THRUST_200600_302600_NS6detail15normal_iteratorINSB_10device_ptrIjEEEENSD_INSE_IS6_EEEESI_S6_NSB_4plusIvEENSB_8equal_toIvEES6_EE10hipError_tPvRmT2_T3_T4_T5_mT6_T7_P12ihipStream_tbENKUlT_T0_E_clISt17integral_constantIbLb1EES13_EEDaSY_SZ_EUlSY_E_NS1_11comp_targetILNS1_3genE2ELNS1_11target_archE906ELNS1_3gpuE6ELNS1_3repE0EEENS1_30default_config_static_selectorELNS0_4arch9wavefront6targetE0EEEvT1_
		.amdhsa_group_segment_fixed_size 0
		.amdhsa_private_segment_fixed_size 0
		.amdhsa_kernarg_size 144
		.amdhsa_user_sgpr_count 2
		.amdhsa_user_sgpr_dispatch_ptr 0
		.amdhsa_user_sgpr_queue_ptr 0
		.amdhsa_user_sgpr_kernarg_segment_ptr 1
		.amdhsa_user_sgpr_dispatch_id 0
		.amdhsa_user_sgpr_kernarg_preload_length 0
		.amdhsa_user_sgpr_kernarg_preload_offset 0
		.amdhsa_user_sgpr_private_segment_size 0
		.amdhsa_wavefront_size32 1
		.amdhsa_uses_dynamic_stack 0
		.amdhsa_enable_private_segment 0
		.amdhsa_system_sgpr_workgroup_id_x 1
		.amdhsa_system_sgpr_workgroup_id_y 0
		.amdhsa_system_sgpr_workgroup_id_z 0
		.amdhsa_system_sgpr_workgroup_info 0
		.amdhsa_system_vgpr_workitem_id 0
		.amdhsa_next_free_vgpr 1
		.amdhsa_next_free_sgpr 1
		.amdhsa_named_barrier_count 0
		.amdhsa_reserve_vcc 0
		.amdhsa_float_round_mode_32 0
		.amdhsa_float_round_mode_16_64 0
		.amdhsa_float_denorm_mode_32 3
		.amdhsa_float_denorm_mode_16_64 3
		.amdhsa_fp16_overflow 0
		.amdhsa_memory_ordered 1
		.amdhsa_forward_progress 1
		.amdhsa_inst_pref_size 0
		.amdhsa_round_robin_scheduling 0
		.amdhsa_exception_fp_ieee_invalid_op 0
		.amdhsa_exception_fp_denorm_src 0
		.amdhsa_exception_fp_ieee_div_zero 0
		.amdhsa_exception_fp_ieee_overflow 0
		.amdhsa_exception_fp_ieee_underflow 0
		.amdhsa_exception_fp_ieee_inexact 0
		.amdhsa_exception_int_div_zero 0
	.end_amdhsa_kernel
	.section	.text._ZN7rocprim17ROCPRIM_400000_NS6detail17trampoline_kernelINS0_14default_configENS1_27scan_by_key_config_selectorIj11FixedVectorIiLj4EEEEZZNS1_16scan_by_key_implILNS1_25lookback_scan_determinismE0ELb0ES3_N6thrust23THRUST_200600_302600_NS6detail15normal_iteratorINSB_10device_ptrIjEEEENSD_INSE_IS6_EEEESI_S6_NSB_4plusIvEENSB_8equal_toIvEES6_EE10hipError_tPvRmT2_T3_T4_T5_mT6_T7_P12ihipStream_tbENKUlT_T0_E_clISt17integral_constantIbLb1EES13_EEDaSY_SZ_EUlSY_E_NS1_11comp_targetILNS1_3genE2ELNS1_11target_archE906ELNS1_3gpuE6ELNS1_3repE0EEENS1_30default_config_static_selectorELNS0_4arch9wavefront6targetE0EEEvT1_,"axG",@progbits,_ZN7rocprim17ROCPRIM_400000_NS6detail17trampoline_kernelINS0_14default_configENS1_27scan_by_key_config_selectorIj11FixedVectorIiLj4EEEEZZNS1_16scan_by_key_implILNS1_25lookback_scan_determinismE0ELb0ES3_N6thrust23THRUST_200600_302600_NS6detail15normal_iteratorINSB_10device_ptrIjEEEENSD_INSE_IS6_EEEESI_S6_NSB_4plusIvEENSB_8equal_toIvEES6_EE10hipError_tPvRmT2_T3_T4_T5_mT6_T7_P12ihipStream_tbENKUlT_T0_E_clISt17integral_constantIbLb1EES13_EEDaSY_SZ_EUlSY_E_NS1_11comp_targetILNS1_3genE2ELNS1_11target_archE906ELNS1_3gpuE6ELNS1_3repE0EEENS1_30default_config_static_selectorELNS0_4arch9wavefront6targetE0EEEvT1_,comdat
.Lfunc_end2049:
	.size	_ZN7rocprim17ROCPRIM_400000_NS6detail17trampoline_kernelINS0_14default_configENS1_27scan_by_key_config_selectorIj11FixedVectorIiLj4EEEEZZNS1_16scan_by_key_implILNS1_25lookback_scan_determinismE0ELb0ES3_N6thrust23THRUST_200600_302600_NS6detail15normal_iteratorINSB_10device_ptrIjEEEENSD_INSE_IS6_EEEESI_S6_NSB_4plusIvEENSB_8equal_toIvEES6_EE10hipError_tPvRmT2_T3_T4_T5_mT6_T7_P12ihipStream_tbENKUlT_T0_E_clISt17integral_constantIbLb1EES13_EEDaSY_SZ_EUlSY_E_NS1_11comp_targetILNS1_3genE2ELNS1_11target_archE906ELNS1_3gpuE6ELNS1_3repE0EEENS1_30default_config_static_selectorELNS0_4arch9wavefront6targetE0EEEvT1_, .Lfunc_end2049-_ZN7rocprim17ROCPRIM_400000_NS6detail17trampoline_kernelINS0_14default_configENS1_27scan_by_key_config_selectorIj11FixedVectorIiLj4EEEEZZNS1_16scan_by_key_implILNS1_25lookback_scan_determinismE0ELb0ES3_N6thrust23THRUST_200600_302600_NS6detail15normal_iteratorINSB_10device_ptrIjEEEENSD_INSE_IS6_EEEESI_S6_NSB_4plusIvEENSB_8equal_toIvEES6_EE10hipError_tPvRmT2_T3_T4_T5_mT6_T7_P12ihipStream_tbENKUlT_T0_E_clISt17integral_constantIbLb1EES13_EEDaSY_SZ_EUlSY_E_NS1_11comp_targetILNS1_3genE2ELNS1_11target_archE906ELNS1_3gpuE6ELNS1_3repE0EEENS1_30default_config_static_selectorELNS0_4arch9wavefront6targetE0EEEvT1_
                                        ; -- End function
	.set _ZN7rocprim17ROCPRIM_400000_NS6detail17trampoline_kernelINS0_14default_configENS1_27scan_by_key_config_selectorIj11FixedVectorIiLj4EEEEZZNS1_16scan_by_key_implILNS1_25lookback_scan_determinismE0ELb0ES3_N6thrust23THRUST_200600_302600_NS6detail15normal_iteratorINSB_10device_ptrIjEEEENSD_INSE_IS6_EEEESI_S6_NSB_4plusIvEENSB_8equal_toIvEES6_EE10hipError_tPvRmT2_T3_T4_T5_mT6_T7_P12ihipStream_tbENKUlT_T0_E_clISt17integral_constantIbLb1EES13_EEDaSY_SZ_EUlSY_E_NS1_11comp_targetILNS1_3genE2ELNS1_11target_archE906ELNS1_3gpuE6ELNS1_3repE0EEENS1_30default_config_static_selectorELNS0_4arch9wavefront6targetE0EEEvT1_.num_vgpr, 0
	.set _ZN7rocprim17ROCPRIM_400000_NS6detail17trampoline_kernelINS0_14default_configENS1_27scan_by_key_config_selectorIj11FixedVectorIiLj4EEEEZZNS1_16scan_by_key_implILNS1_25lookback_scan_determinismE0ELb0ES3_N6thrust23THRUST_200600_302600_NS6detail15normal_iteratorINSB_10device_ptrIjEEEENSD_INSE_IS6_EEEESI_S6_NSB_4plusIvEENSB_8equal_toIvEES6_EE10hipError_tPvRmT2_T3_T4_T5_mT6_T7_P12ihipStream_tbENKUlT_T0_E_clISt17integral_constantIbLb1EES13_EEDaSY_SZ_EUlSY_E_NS1_11comp_targetILNS1_3genE2ELNS1_11target_archE906ELNS1_3gpuE6ELNS1_3repE0EEENS1_30default_config_static_selectorELNS0_4arch9wavefront6targetE0EEEvT1_.num_agpr, 0
	.set _ZN7rocprim17ROCPRIM_400000_NS6detail17trampoline_kernelINS0_14default_configENS1_27scan_by_key_config_selectorIj11FixedVectorIiLj4EEEEZZNS1_16scan_by_key_implILNS1_25lookback_scan_determinismE0ELb0ES3_N6thrust23THRUST_200600_302600_NS6detail15normal_iteratorINSB_10device_ptrIjEEEENSD_INSE_IS6_EEEESI_S6_NSB_4plusIvEENSB_8equal_toIvEES6_EE10hipError_tPvRmT2_T3_T4_T5_mT6_T7_P12ihipStream_tbENKUlT_T0_E_clISt17integral_constantIbLb1EES13_EEDaSY_SZ_EUlSY_E_NS1_11comp_targetILNS1_3genE2ELNS1_11target_archE906ELNS1_3gpuE6ELNS1_3repE0EEENS1_30default_config_static_selectorELNS0_4arch9wavefront6targetE0EEEvT1_.numbered_sgpr, 0
	.set _ZN7rocprim17ROCPRIM_400000_NS6detail17trampoline_kernelINS0_14default_configENS1_27scan_by_key_config_selectorIj11FixedVectorIiLj4EEEEZZNS1_16scan_by_key_implILNS1_25lookback_scan_determinismE0ELb0ES3_N6thrust23THRUST_200600_302600_NS6detail15normal_iteratorINSB_10device_ptrIjEEEENSD_INSE_IS6_EEEESI_S6_NSB_4plusIvEENSB_8equal_toIvEES6_EE10hipError_tPvRmT2_T3_T4_T5_mT6_T7_P12ihipStream_tbENKUlT_T0_E_clISt17integral_constantIbLb1EES13_EEDaSY_SZ_EUlSY_E_NS1_11comp_targetILNS1_3genE2ELNS1_11target_archE906ELNS1_3gpuE6ELNS1_3repE0EEENS1_30default_config_static_selectorELNS0_4arch9wavefront6targetE0EEEvT1_.num_named_barrier, 0
	.set _ZN7rocprim17ROCPRIM_400000_NS6detail17trampoline_kernelINS0_14default_configENS1_27scan_by_key_config_selectorIj11FixedVectorIiLj4EEEEZZNS1_16scan_by_key_implILNS1_25lookback_scan_determinismE0ELb0ES3_N6thrust23THRUST_200600_302600_NS6detail15normal_iteratorINSB_10device_ptrIjEEEENSD_INSE_IS6_EEEESI_S6_NSB_4plusIvEENSB_8equal_toIvEES6_EE10hipError_tPvRmT2_T3_T4_T5_mT6_T7_P12ihipStream_tbENKUlT_T0_E_clISt17integral_constantIbLb1EES13_EEDaSY_SZ_EUlSY_E_NS1_11comp_targetILNS1_3genE2ELNS1_11target_archE906ELNS1_3gpuE6ELNS1_3repE0EEENS1_30default_config_static_selectorELNS0_4arch9wavefront6targetE0EEEvT1_.private_seg_size, 0
	.set _ZN7rocprim17ROCPRIM_400000_NS6detail17trampoline_kernelINS0_14default_configENS1_27scan_by_key_config_selectorIj11FixedVectorIiLj4EEEEZZNS1_16scan_by_key_implILNS1_25lookback_scan_determinismE0ELb0ES3_N6thrust23THRUST_200600_302600_NS6detail15normal_iteratorINSB_10device_ptrIjEEEENSD_INSE_IS6_EEEESI_S6_NSB_4plusIvEENSB_8equal_toIvEES6_EE10hipError_tPvRmT2_T3_T4_T5_mT6_T7_P12ihipStream_tbENKUlT_T0_E_clISt17integral_constantIbLb1EES13_EEDaSY_SZ_EUlSY_E_NS1_11comp_targetILNS1_3genE2ELNS1_11target_archE906ELNS1_3gpuE6ELNS1_3repE0EEENS1_30default_config_static_selectorELNS0_4arch9wavefront6targetE0EEEvT1_.uses_vcc, 0
	.set _ZN7rocprim17ROCPRIM_400000_NS6detail17trampoline_kernelINS0_14default_configENS1_27scan_by_key_config_selectorIj11FixedVectorIiLj4EEEEZZNS1_16scan_by_key_implILNS1_25lookback_scan_determinismE0ELb0ES3_N6thrust23THRUST_200600_302600_NS6detail15normal_iteratorINSB_10device_ptrIjEEEENSD_INSE_IS6_EEEESI_S6_NSB_4plusIvEENSB_8equal_toIvEES6_EE10hipError_tPvRmT2_T3_T4_T5_mT6_T7_P12ihipStream_tbENKUlT_T0_E_clISt17integral_constantIbLb1EES13_EEDaSY_SZ_EUlSY_E_NS1_11comp_targetILNS1_3genE2ELNS1_11target_archE906ELNS1_3gpuE6ELNS1_3repE0EEENS1_30default_config_static_selectorELNS0_4arch9wavefront6targetE0EEEvT1_.uses_flat_scratch, 0
	.set _ZN7rocprim17ROCPRIM_400000_NS6detail17trampoline_kernelINS0_14default_configENS1_27scan_by_key_config_selectorIj11FixedVectorIiLj4EEEEZZNS1_16scan_by_key_implILNS1_25lookback_scan_determinismE0ELb0ES3_N6thrust23THRUST_200600_302600_NS6detail15normal_iteratorINSB_10device_ptrIjEEEENSD_INSE_IS6_EEEESI_S6_NSB_4plusIvEENSB_8equal_toIvEES6_EE10hipError_tPvRmT2_T3_T4_T5_mT6_T7_P12ihipStream_tbENKUlT_T0_E_clISt17integral_constantIbLb1EES13_EEDaSY_SZ_EUlSY_E_NS1_11comp_targetILNS1_3genE2ELNS1_11target_archE906ELNS1_3gpuE6ELNS1_3repE0EEENS1_30default_config_static_selectorELNS0_4arch9wavefront6targetE0EEEvT1_.has_dyn_sized_stack, 0
	.set _ZN7rocprim17ROCPRIM_400000_NS6detail17trampoline_kernelINS0_14default_configENS1_27scan_by_key_config_selectorIj11FixedVectorIiLj4EEEEZZNS1_16scan_by_key_implILNS1_25lookback_scan_determinismE0ELb0ES3_N6thrust23THRUST_200600_302600_NS6detail15normal_iteratorINSB_10device_ptrIjEEEENSD_INSE_IS6_EEEESI_S6_NSB_4plusIvEENSB_8equal_toIvEES6_EE10hipError_tPvRmT2_T3_T4_T5_mT6_T7_P12ihipStream_tbENKUlT_T0_E_clISt17integral_constantIbLb1EES13_EEDaSY_SZ_EUlSY_E_NS1_11comp_targetILNS1_3genE2ELNS1_11target_archE906ELNS1_3gpuE6ELNS1_3repE0EEENS1_30default_config_static_selectorELNS0_4arch9wavefront6targetE0EEEvT1_.has_recursion, 0
	.set _ZN7rocprim17ROCPRIM_400000_NS6detail17trampoline_kernelINS0_14default_configENS1_27scan_by_key_config_selectorIj11FixedVectorIiLj4EEEEZZNS1_16scan_by_key_implILNS1_25lookback_scan_determinismE0ELb0ES3_N6thrust23THRUST_200600_302600_NS6detail15normal_iteratorINSB_10device_ptrIjEEEENSD_INSE_IS6_EEEESI_S6_NSB_4plusIvEENSB_8equal_toIvEES6_EE10hipError_tPvRmT2_T3_T4_T5_mT6_T7_P12ihipStream_tbENKUlT_T0_E_clISt17integral_constantIbLb1EES13_EEDaSY_SZ_EUlSY_E_NS1_11comp_targetILNS1_3genE2ELNS1_11target_archE906ELNS1_3gpuE6ELNS1_3repE0EEENS1_30default_config_static_selectorELNS0_4arch9wavefront6targetE0EEEvT1_.has_indirect_call, 0
	.section	.AMDGPU.csdata,"",@progbits
; Kernel info:
; codeLenInByte = 0
; TotalNumSgprs: 0
; NumVgprs: 0
; ScratchSize: 0
; MemoryBound: 0
; FloatMode: 240
; IeeeMode: 1
; LDSByteSize: 0 bytes/workgroup (compile time only)
; SGPRBlocks: 0
; VGPRBlocks: 0
; NumSGPRsForWavesPerEU: 1
; NumVGPRsForWavesPerEU: 1
; NamedBarCnt: 0
; Occupancy: 16
; WaveLimiterHint : 0
; COMPUTE_PGM_RSRC2:SCRATCH_EN: 0
; COMPUTE_PGM_RSRC2:USER_SGPR: 2
; COMPUTE_PGM_RSRC2:TRAP_HANDLER: 0
; COMPUTE_PGM_RSRC2:TGID_X_EN: 1
; COMPUTE_PGM_RSRC2:TGID_Y_EN: 0
; COMPUTE_PGM_RSRC2:TGID_Z_EN: 0
; COMPUTE_PGM_RSRC2:TIDIG_COMP_CNT: 0
	.section	.text._ZN7rocprim17ROCPRIM_400000_NS6detail17trampoline_kernelINS0_14default_configENS1_27scan_by_key_config_selectorIj11FixedVectorIiLj4EEEEZZNS1_16scan_by_key_implILNS1_25lookback_scan_determinismE0ELb0ES3_N6thrust23THRUST_200600_302600_NS6detail15normal_iteratorINSB_10device_ptrIjEEEENSD_INSE_IS6_EEEESI_S6_NSB_4plusIvEENSB_8equal_toIvEES6_EE10hipError_tPvRmT2_T3_T4_T5_mT6_T7_P12ihipStream_tbENKUlT_T0_E_clISt17integral_constantIbLb1EES13_EEDaSY_SZ_EUlSY_E_NS1_11comp_targetILNS1_3genE10ELNS1_11target_archE1200ELNS1_3gpuE4ELNS1_3repE0EEENS1_30default_config_static_selectorELNS0_4arch9wavefront6targetE0EEEvT1_,"axG",@progbits,_ZN7rocprim17ROCPRIM_400000_NS6detail17trampoline_kernelINS0_14default_configENS1_27scan_by_key_config_selectorIj11FixedVectorIiLj4EEEEZZNS1_16scan_by_key_implILNS1_25lookback_scan_determinismE0ELb0ES3_N6thrust23THRUST_200600_302600_NS6detail15normal_iteratorINSB_10device_ptrIjEEEENSD_INSE_IS6_EEEESI_S6_NSB_4plusIvEENSB_8equal_toIvEES6_EE10hipError_tPvRmT2_T3_T4_T5_mT6_T7_P12ihipStream_tbENKUlT_T0_E_clISt17integral_constantIbLb1EES13_EEDaSY_SZ_EUlSY_E_NS1_11comp_targetILNS1_3genE10ELNS1_11target_archE1200ELNS1_3gpuE4ELNS1_3repE0EEENS1_30default_config_static_selectorELNS0_4arch9wavefront6targetE0EEEvT1_,comdat
	.protected	_ZN7rocprim17ROCPRIM_400000_NS6detail17trampoline_kernelINS0_14default_configENS1_27scan_by_key_config_selectorIj11FixedVectorIiLj4EEEEZZNS1_16scan_by_key_implILNS1_25lookback_scan_determinismE0ELb0ES3_N6thrust23THRUST_200600_302600_NS6detail15normal_iteratorINSB_10device_ptrIjEEEENSD_INSE_IS6_EEEESI_S6_NSB_4plusIvEENSB_8equal_toIvEES6_EE10hipError_tPvRmT2_T3_T4_T5_mT6_T7_P12ihipStream_tbENKUlT_T0_E_clISt17integral_constantIbLb1EES13_EEDaSY_SZ_EUlSY_E_NS1_11comp_targetILNS1_3genE10ELNS1_11target_archE1200ELNS1_3gpuE4ELNS1_3repE0EEENS1_30default_config_static_selectorELNS0_4arch9wavefront6targetE0EEEvT1_ ; -- Begin function _ZN7rocprim17ROCPRIM_400000_NS6detail17trampoline_kernelINS0_14default_configENS1_27scan_by_key_config_selectorIj11FixedVectorIiLj4EEEEZZNS1_16scan_by_key_implILNS1_25lookback_scan_determinismE0ELb0ES3_N6thrust23THRUST_200600_302600_NS6detail15normal_iteratorINSB_10device_ptrIjEEEENSD_INSE_IS6_EEEESI_S6_NSB_4plusIvEENSB_8equal_toIvEES6_EE10hipError_tPvRmT2_T3_T4_T5_mT6_T7_P12ihipStream_tbENKUlT_T0_E_clISt17integral_constantIbLb1EES13_EEDaSY_SZ_EUlSY_E_NS1_11comp_targetILNS1_3genE10ELNS1_11target_archE1200ELNS1_3gpuE4ELNS1_3repE0EEENS1_30default_config_static_selectorELNS0_4arch9wavefront6targetE0EEEvT1_
	.globl	_ZN7rocprim17ROCPRIM_400000_NS6detail17trampoline_kernelINS0_14default_configENS1_27scan_by_key_config_selectorIj11FixedVectorIiLj4EEEEZZNS1_16scan_by_key_implILNS1_25lookback_scan_determinismE0ELb0ES3_N6thrust23THRUST_200600_302600_NS6detail15normal_iteratorINSB_10device_ptrIjEEEENSD_INSE_IS6_EEEESI_S6_NSB_4plusIvEENSB_8equal_toIvEES6_EE10hipError_tPvRmT2_T3_T4_T5_mT6_T7_P12ihipStream_tbENKUlT_T0_E_clISt17integral_constantIbLb1EES13_EEDaSY_SZ_EUlSY_E_NS1_11comp_targetILNS1_3genE10ELNS1_11target_archE1200ELNS1_3gpuE4ELNS1_3repE0EEENS1_30default_config_static_selectorELNS0_4arch9wavefront6targetE0EEEvT1_
	.p2align	8
	.type	_ZN7rocprim17ROCPRIM_400000_NS6detail17trampoline_kernelINS0_14default_configENS1_27scan_by_key_config_selectorIj11FixedVectorIiLj4EEEEZZNS1_16scan_by_key_implILNS1_25lookback_scan_determinismE0ELb0ES3_N6thrust23THRUST_200600_302600_NS6detail15normal_iteratorINSB_10device_ptrIjEEEENSD_INSE_IS6_EEEESI_S6_NSB_4plusIvEENSB_8equal_toIvEES6_EE10hipError_tPvRmT2_T3_T4_T5_mT6_T7_P12ihipStream_tbENKUlT_T0_E_clISt17integral_constantIbLb1EES13_EEDaSY_SZ_EUlSY_E_NS1_11comp_targetILNS1_3genE10ELNS1_11target_archE1200ELNS1_3gpuE4ELNS1_3repE0EEENS1_30default_config_static_selectorELNS0_4arch9wavefront6targetE0EEEvT1_,@function
_ZN7rocprim17ROCPRIM_400000_NS6detail17trampoline_kernelINS0_14default_configENS1_27scan_by_key_config_selectorIj11FixedVectorIiLj4EEEEZZNS1_16scan_by_key_implILNS1_25lookback_scan_determinismE0ELb0ES3_N6thrust23THRUST_200600_302600_NS6detail15normal_iteratorINSB_10device_ptrIjEEEENSD_INSE_IS6_EEEESI_S6_NSB_4plusIvEENSB_8equal_toIvEES6_EE10hipError_tPvRmT2_T3_T4_T5_mT6_T7_P12ihipStream_tbENKUlT_T0_E_clISt17integral_constantIbLb1EES13_EEDaSY_SZ_EUlSY_E_NS1_11comp_targetILNS1_3genE10ELNS1_11target_archE1200ELNS1_3gpuE4ELNS1_3repE0EEENS1_30default_config_static_selectorELNS0_4arch9wavefront6targetE0EEEvT1_: ; @_ZN7rocprim17ROCPRIM_400000_NS6detail17trampoline_kernelINS0_14default_configENS1_27scan_by_key_config_selectorIj11FixedVectorIiLj4EEEEZZNS1_16scan_by_key_implILNS1_25lookback_scan_determinismE0ELb0ES3_N6thrust23THRUST_200600_302600_NS6detail15normal_iteratorINSB_10device_ptrIjEEEENSD_INSE_IS6_EEEESI_S6_NSB_4plusIvEENSB_8equal_toIvEES6_EE10hipError_tPvRmT2_T3_T4_T5_mT6_T7_P12ihipStream_tbENKUlT_T0_E_clISt17integral_constantIbLb1EES13_EEDaSY_SZ_EUlSY_E_NS1_11comp_targetILNS1_3genE10ELNS1_11target_archE1200ELNS1_3gpuE4ELNS1_3repE0EEENS1_30default_config_static_selectorELNS0_4arch9wavefront6targetE0EEEvT1_
; %bb.0:
	.section	.rodata,"a",@progbits
	.p2align	6, 0x0
	.amdhsa_kernel _ZN7rocprim17ROCPRIM_400000_NS6detail17trampoline_kernelINS0_14default_configENS1_27scan_by_key_config_selectorIj11FixedVectorIiLj4EEEEZZNS1_16scan_by_key_implILNS1_25lookback_scan_determinismE0ELb0ES3_N6thrust23THRUST_200600_302600_NS6detail15normal_iteratorINSB_10device_ptrIjEEEENSD_INSE_IS6_EEEESI_S6_NSB_4plusIvEENSB_8equal_toIvEES6_EE10hipError_tPvRmT2_T3_T4_T5_mT6_T7_P12ihipStream_tbENKUlT_T0_E_clISt17integral_constantIbLb1EES13_EEDaSY_SZ_EUlSY_E_NS1_11comp_targetILNS1_3genE10ELNS1_11target_archE1200ELNS1_3gpuE4ELNS1_3repE0EEENS1_30default_config_static_selectorELNS0_4arch9wavefront6targetE0EEEvT1_
		.amdhsa_group_segment_fixed_size 0
		.amdhsa_private_segment_fixed_size 0
		.amdhsa_kernarg_size 144
		.amdhsa_user_sgpr_count 2
		.amdhsa_user_sgpr_dispatch_ptr 0
		.amdhsa_user_sgpr_queue_ptr 0
		.amdhsa_user_sgpr_kernarg_segment_ptr 1
		.amdhsa_user_sgpr_dispatch_id 0
		.amdhsa_user_sgpr_kernarg_preload_length 0
		.amdhsa_user_sgpr_kernarg_preload_offset 0
		.amdhsa_user_sgpr_private_segment_size 0
		.amdhsa_wavefront_size32 1
		.amdhsa_uses_dynamic_stack 0
		.amdhsa_enable_private_segment 0
		.amdhsa_system_sgpr_workgroup_id_x 1
		.amdhsa_system_sgpr_workgroup_id_y 0
		.amdhsa_system_sgpr_workgroup_id_z 0
		.amdhsa_system_sgpr_workgroup_info 0
		.amdhsa_system_vgpr_workitem_id 0
		.amdhsa_next_free_vgpr 1
		.amdhsa_next_free_sgpr 1
		.amdhsa_named_barrier_count 0
		.amdhsa_reserve_vcc 0
		.amdhsa_float_round_mode_32 0
		.amdhsa_float_round_mode_16_64 0
		.amdhsa_float_denorm_mode_32 3
		.amdhsa_float_denorm_mode_16_64 3
		.amdhsa_fp16_overflow 0
		.amdhsa_memory_ordered 1
		.amdhsa_forward_progress 1
		.amdhsa_inst_pref_size 0
		.amdhsa_round_robin_scheduling 0
		.amdhsa_exception_fp_ieee_invalid_op 0
		.amdhsa_exception_fp_denorm_src 0
		.amdhsa_exception_fp_ieee_div_zero 0
		.amdhsa_exception_fp_ieee_overflow 0
		.amdhsa_exception_fp_ieee_underflow 0
		.amdhsa_exception_fp_ieee_inexact 0
		.amdhsa_exception_int_div_zero 0
	.end_amdhsa_kernel
	.section	.text._ZN7rocprim17ROCPRIM_400000_NS6detail17trampoline_kernelINS0_14default_configENS1_27scan_by_key_config_selectorIj11FixedVectorIiLj4EEEEZZNS1_16scan_by_key_implILNS1_25lookback_scan_determinismE0ELb0ES3_N6thrust23THRUST_200600_302600_NS6detail15normal_iteratorINSB_10device_ptrIjEEEENSD_INSE_IS6_EEEESI_S6_NSB_4plusIvEENSB_8equal_toIvEES6_EE10hipError_tPvRmT2_T3_T4_T5_mT6_T7_P12ihipStream_tbENKUlT_T0_E_clISt17integral_constantIbLb1EES13_EEDaSY_SZ_EUlSY_E_NS1_11comp_targetILNS1_3genE10ELNS1_11target_archE1200ELNS1_3gpuE4ELNS1_3repE0EEENS1_30default_config_static_selectorELNS0_4arch9wavefront6targetE0EEEvT1_,"axG",@progbits,_ZN7rocprim17ROCPRIM_400000_NS6detail17trampoline_kernelINS0_14default_configENS1_27scan_by_key_config_selectorIj11FixedVectorIiLj4EEEEZZNS1_16scan_by_key_implILNS1_25lookback_scan_determinismE0ELb0ES3_N6thrust23THRUST_200600_302600_NS6detail15normal_iteratorINSB_10device_ptrIjEEEENSD_INSE_IS6_EEEESI_S6_NSB_4plusIvEENSB_8equal_toIvEES6_EE10hipError_tPvRmT2_T3_T4_T5_mT6_T7_P12ihipStream_tbENKUlT_T0_E_clISt17integral_constantIbLb1EES13_EEDaSY_SZ_EUlSY_E_NS1_11comp_targetILNS1_3genE10ELNS1_11target_archE1200ELNS1_3gpuE4ELNS1_3repE0EEENS1_30default_config_static_selectorELNS0_4arch9wavefront6targetE0EEEvT1_,comdat
.Lfunc_end2050:
	.size	_ZN7rocprim17ROCPRIM_400000_NS6detail17trampoline_kernelINS0_14default_configENS1_27scan_by_key_config_selectorIj11FixedVectorIiLj4EEEEZZNS1_16scan_by_key_implILNS1_25lookback_scan_determinismE0ELb0ES3_N6thrust23THRUST_200600_302600_NS6detail15normal_iteratorINSB_10device_ptrIjEEEENSD_INSE_IS6_EEEESI_S6_NSB_4plusIvEENSB_8equal_toIvEES6_EE10hipError_tPvRmT2_T3_T4_T5_mT6_T7_P12ihipStream_tbENKUlT_T0_E_clISt17integral_constantIbLb1EES13_EEDaSY_SZ_EUlSY_E_NS1_11comp_targetILNS1_3genE10ELNS1_11target_archE1200ELNS1_3gpuE4ELNS1_3repE0EEENS1_30default_config_static_selectorELNS0_4arch9wavefront6targetE0EEEvT1_, .Lfunc_end2050-_ZN7rocprim17ROCPRIM_400000_NS6detail17trampoline_kernelINS0_14default_configENS1_27scan_by_key_config_selectorIj11FixedVectorIiLj4EEEEZZNS1_16scan_by_key_implILNS1_25lookback_scan_determinismE0ELb0ES3_N6thrust23THRUST_200600_302600_NS6detail15normal_iteratorINSB_10device_ptrIjEEEENSD_INSE_IS6_EEEESI_S6_NSB_4plusIvEENSB_8equal_toIvEES6_EE10hipError_tPvRmT2_T3_T4_T5_mT6_T7_P12ihipStream_tbENKUlT_T0_E_clISt17integral_constantIbLb1EES13_EEDaSY_SZ_EUlSY_E_NS1_11comp_targetILNS1_3genE10ELNS1_11target_archE1200ELNS1_3gpuE4ELNS1_3repE0EEENS1_30default_config_static_selectorELNS0_4arch9wavefront6targetE0EEEvT1_
                                        ; -- End function
	.set _ZN7rocprim17ROCPRIM_400000_NS6detail17trampoline_kernelINS0_14default_configENS1_27scan_by_key_config_selectorIj11FixedVectorIiLj4EEEEZZNS1_16scan_by_key_implILNS1_25lookback_scan_determinismE0ELb0ES3_N6thrust23THRUST_200600_302600_NS6detail15normal_iteratorINSB_10device_ptrIjEEEENSD_INSE_IS6_EEEESI_S6_NSB_4plusIvEENSB_8equal_toIvEES6_EE10hipError_tPvRmT2_T3_T4_T5_mT6_T7_P12ihipStream_tbENKUlT_T0_E_clISt17integral_constantIbLb1EES13_EEDaSY_SZ_EUlSY_E_NS1_11comp_targetILNS1_3genE10ELNS1_11target_archE1200ELNS1_3gpuE4ELNS1_3repE0EEENS1_30default_config_static_selectorELNS0_4arch9wavefront6targetE0EEEvT1_.num_vgpr, 0
	.set _ZN7rocprim17ROCPRIM_400000_NS6detail17trampoline_kernelINS0_14default_configENS1_27scan_by_key_config_selectorIj11FixedVectorIiLj4EEEEZZNS1_16scan_by_key_implILNS1_25lookback_scan_determinismE0ELb0ES3_N6thrust23THRUST_200600_302600_NS6detail15normal_iteratorINSB_10device_ptrIjEEEENSD_INSE_IS6_EEEESI_S6_NSB_4plusIvEENSB_8equal_toIvEES6_EE10hipError_tPvRmT2_T3_T4_T5_mT6_T7_P12ihipStream_tbENKUlT_T0_E_clISt17integral_constantIbLb1EES13_EEDaSY_SZ_EUlSY_E_NS1_11comp_targetILNS1_3genE10ELNS1_11target_archE1200ELNS1_3gpuE4ELNS1_3repE0EEENS1_30default_config_static_selectorELNS0_4arch9wavefront6targetE0EEEvT1_.num_agpr, 0
	.set _ZN7rocprim17ROCPRIM_400000_NS6detail17trampoline_kernelINS0_14default_configENS1_27scan_by_key_config_selectorIj11FixedVectorIiLj4EEEEZZNS1_16scan_by_key_implILNS1_25lookback_scan_determinismE0ELb0ES3_N6thrust23THRUST_200600_302600_NS6detail15normal_iteratorINSB_10device_ptrIjEEEENSD_INSE_IS6_EEEESI_S6_NSB_4plusIvEENSB_8equal_toIvEES6_EE10hipError_tPvRmT2_T3_T4_T5_mT6_T7_P12ihipStream_tbENKUlT_T0_E_clISt17integral_constantIbLb1EES13_EEDaSY_SZ_EUlSY_E_NS1_11comp_targetILNS1_3genE10ELNS1_11target_archE1200ELNS1_3gpuE4ELNS1_3repE0EEENS1_30default_config_static_selectorELNS0_4arch9wavefront6targetE0EEEvT1_.numbered_sgpr, 0
	.set _ZN7rocprim17ROCPRIM_400000_NS6detail17trampoline_kernelINS0_14default_configENS1_27scan_by_key_config_selectorIj11FixedVectorIiLj4EEEEZZNS1_16scan_by_key_implILNS1_25lookback_scan_determinismE0ELb0ES3_N6thrust23THRUST_200600_302600_NS6detail15normal_iteratorINSB_10device_ptrIjEEEENSD_INSE_IS6_EEEESI_S6_NSB_4plusIvEENSB_8equal_toIvEES6_EE10hipError_tPvRmT2_T3_T4_T5_mT6_T7_P12ihipStream_tbENKUlT_T0_E_clISt17integral_constantIbLb1EES13_EEDaSY_SZ_EUlSY_E_NS1_11comp_targetILNS1_3genE10ELNS1_11target_archE1200ELNS1_3gpuE4ELNS1_3repE0EEENS1_30default_config_static_selectorELNS0_4arch9wavefront6targetE0EEEvT1_.num_named_barrier, 0
	.set _ZN7rocprim17ROCPRIM_400000_NS6detail17trampoline_kernelINS0_14default_configENS1_27scan_by_key_config_selectorIj11FixedVectorIiLj4EEEEZZNS1_16scan_by_key_implILNS1_25lookback_scan_determinismE0ELb0ES3_N6thrust23THRUST_200600_302600_NS6detail15normal_iteratorINSB_10device_ptrIjEEEENSD_INSE_IS6_EEEESI_S6_NSB_4plusIvEENSB_8equal_toIvEES6_EE10hipError_tPvRmT2_T3_T4_T5_mT6_T7_P12ihipStream_tbENKUlT_T0_E_clISt17integral_constantIbLb1EES13_EEDaSY_SZ_EUlSY_E_NS1_11comp_targetILNS1_3genE10ELNS1_11target_archE1200ELNS1_3gpuE4ELNS1_3repE0EEENS1_30default_config_static_selectorELNS0_4arch9wavefront6targetE0EEEvT1_.private_seg_size, 0
	.set _ZN7rocprim17ROCPRIM_400000_NS6detail17trampoline_kernelINS0_14default_configENS1_27scan_by_key_config_selectorIj11FixedVectorIiLj4EEEEZZNS1_16scan_by_key_implILNS1_25lookback_scan_determinismE0ELb0ES3_N6thrust23THRUST_200600_302600_NS6detail15normal_iteratorINSB_10device_ptrIjEEEENSD_INSE_IS6_EEEESI_S6_NSB_4plusIvEENSB_8equal_toIvEES6_EE10hipError_tPvRmT2_T3_T4_T5_mT6_T7_P12ihipStream_tbENKUlT_T0_E_clISt17integral_constantIbLb1EES13_EEDaSY_SZ_EUlSY_E_NS1_11comp_targetILNS1_3genE10ELNS1_11target_archE1200ELNS1_3gpuE4ELNS1_3repE0EEENS1_30default_config_static_selectorELNS0_4arch9wavefront6targetE0EEEvT1_.uses_vcc, 0
	.set _ZN7rocprim17ROCPRIM_400000_NS6detail17trampoline_kernelINS0_14default_configENS1_27scan_by_key_config_selectorIj11FixedVectorIiLj4EEEEZZNS1_16scan_by_key_implILNS1_25lookback_scan_determinismE0ELb0ES3_N6thrust23THRUST_200600_302600_NS6detail15normal_iteratorINSB_10device_ptrIjEEEENSD_INSE_IS6_EEEESI_S6_NSB_4plusIvEENSB_8equal_toIvEES6_EE10hipError_tPvRmT2_T3_T4_T5_mT6_T7_P12ihipStream_tbENKUlT_T0_E_clISt17integral_constantIbLb1EES13_EEDaSY_SZ_EUlSY_E_NS1_11comp_targetILNS1_3genE10ELNS1_11target_archE1200ELNS1_3gpuE4ELNS1_3repE0EEENS1_30default_config_static_selectorELNS0_4arch9wavefront6targetE0EEEvT1_.uses_flat_scratch, 0
	.set _ZN7rocprim17ROCPRIM_400000_NS6detail17trampoline_kernelINS0_14default_configENS1_27scan_by_key_config_selectorIj11FixedVectorIiLj4EEEEZZNS1_16scan_by_key_implILNS1_25lookback_scan_determinismE0ELb0ES3_N6thrust23THRUST_200600_302600_NS6detail15normal_iteratorINSB_10device_ptrIjEEEENSD_INSE_IS6_EEEESI_S6_NSB_4plusIvEENSB_8equal_toIvEES6_EE10hipError_tPvRmT2_T3_T4_T5_mT6_T7_P12ihipStream_tbENKUlT_T0_E_clISt17integral_constantIbLb1EES13_EEDaSY_SZ_EUlSY_E_NS1_11comp_targetILNS1_3genE10ELNS1_11target_archE1200ELNS1_3gpuE4ELNS1_3repE0EEENS1_30default_config_static_selectorELNS0_4arch9wavefront6targetE0EEEvT1_.has_dyn_sized_stack, 0
	.set _ZN7rocprim17ROCPRIM_400000_NS6detail17trampoline_kernelINS0_14default_configENS1_27scan_by_key_config_selectorIj11FixedVectorIiLj4EEEEZZNS1_16scan_by_key_implILNS1_25lookback_scan_determinismE0ELb0ES3_N6thrust23THRUST_200600_302600_NS6detail15normal_iteratorINSB_10device_ptrIjEEEENSD_INSE_IS6_EEEESI_S6_NSB_4plusIvEENSB_8equal_toIvEES6_EE10hipError_tPvRmT2_T3_T4_T5_mT6_T7_P12ihipStream_tbENKUlT_T0_E_clISt17integral_constantIbLb1EES13_EEDaSY_SZ_EUlSY_E_NS1_11comp_targetILNS1_3genE10ELNS1_11target_archE1200ELNS1_3gpuE4ELNS1_3repE0EEENS1_30default_config_static_selectorELNS0_4arch9wavefront6targetE0EEEvT1_.has_recursion, 0
	.set _ZN7rocprim17ROCPRIM_400000_NS6detail17trampoline_kernelINS0_14default_configENS1_27scan_by_key_config_selectorIj11FixedVectorIiLj4EEEEZZNS1_16scan_by_key_implILNS1_25lookback_scan_determinismE0ELb0ES3_N6thrust23THRUST_200600_302600_NS6detail15normal_iteratorINSB_10device_ptrIjEEEENSD_INSE_IS6_EEEESI_S6_NSB_4plusIvEENSB_8equal_toIvEES6_EE10hipError_tPvRmT2_T3_T4_T5_mT6_T7_P12ihipStream_tbENKUlT_T0_E_clISt17integral_constantIbLb1EES13_EEDaSY_SZ_EUlSY_E_NS1_11comp_targetILNS1_3genE10ELNS1_11target_archE1200ELNS1_3gpuE4ELNS1_3repE0EEENS1_30default_config_static_selectorELNS0_4arch9wavefront6targetE0EEEvT1_.has_indirect_call, 0
	.section	.AMDGPU.csdata,"",@progbits
; Kernel info:
; codeLenInByte = 0
; TotalNumSgprs: 0
; NumVgprs: 0
; ScratchSize: 0
; MemoryBound: 0
; FloatMode: 240
; IeeeMode: 1
; LDSByteSize: 0 bytes/workgroup (compile time only)
; SGPRBlocks: 0
; VGPRBlocks: 0
; NumSGPRsForWavesPerEU: 1
; NumVGPRsForWavesPerEU: 1
; NamedBarCnt: 0
; Occupancy: 16
; WaveLimiterHint : 0
; COMPUTE_PGM_RSRC2:SCRATCH_EN: 0
; COMPUTE_PGM_RSRC2:USER_SGPR: 2
; COMPUTE_PGM_RSRC2:TRAP_HANDLER: 0
; COMPUTE_PGM_RSRC2:TGID_X_EN: 1
; COMPUTE_PGM_RSRC2:TGID_Y_EN: 0
; COMPUTE_PGM_RSRC2:TGID_Z_EN: 0
; COMPUTE_PGM_RSRC2:TIDIG_COMP_CNT: 0
	.section	.text._ZN7rocprim17ROCPRIM_400000_NS6detail17trampoline_kernelINS0_14default_configENS1_27scan_by_key_config_selectorIj11FixedVectorIiLj4EEEEZZNS1_16scan_by_key_implILNS1_25lookback_scan_determinismE0ELb0ES3_N6thrust23THRUST_200600_302600_NS6detail15normal_iteratorINSB_10device_ptrIjEEEENSD_INSE_IS6_EEEESI_S6_NSB_4plusIvEENSB_8equal_toIvEES6_EE10hipError_tPvRmT2_T3_T4_T5_mT6_T7_P12ihipStream_tbENKUlT_T0_E_clISt17integral_constantIbLb1EES13_EEDaSY_SZ_EUlSY_E_NS1_11comp_targetILNS1_3genE9ELNS1_11target_archE1100ELNS1_3gpuE3ELNS1_3repE0EEENS1_30default_config_static_selectorELNS0_4arch9wavefront6targetE0EEEvT1_,"axG",@progbits,_ZN7rocprim17ROCPRIM_400000_NS6detail17trampoline_kernelINS0_14default_configENS1_27scan_by_key_config_selectorIj11FixedVectorIiLj4EEEEZZNS1_16scan_by_key_implILNS1_25lookback_scan_determinismE0ELb0ES3_N6thrust23THRUST_200600_302600_NS6detail15normal_iteratorINSB_10device_ptrIjEEEENSD_INSE_IS6_EEEESI_S6_NSB_4plusIvEENSB_8equal_toIvEES6_EE10hipError_tPvRmT2_T3_T4_T5_mT6_T7_P12ihipStream_tbENKUlT_T0_E_clISt17integral_constantIbLb1EES13_EEDaSY_SZ_EUlSY_E_NS1_11comp_targetILNS1_3genE9ELNS1_11target_archE1100ELNS1_3gpuE3ELNS1_3repE0EEENS1_30default_config_static_selectorELNS0_4arch9wavefront6targetE0EEEvT1_,comdat
	.protected	_ZN7rocprim17ROCPRIM_400000_NS6detail17trampoline_kernelINS0_14default_configENS1_27scan_by_key_config_selectorIj11FixedVectorIiLj4EEEEZZNS1_16scan_by_key_implILNS1_25lookback_scan_determinismE0ELb0ES3_N6thrust23THRUST_200600_302600_NS6detail15normal_iteratorINSB_10device_ptrIjEEEENSD_INSE_IS6_EEEESI_S6_NSB_4plusIvEENSB_8equal_toIvEES6_EE10hipError_tPvRmT2_T3_T4_T5_mT6_T7_P12ihipStream_tbENKUlT_T0_E_clISt17integral_constantIbLb1EES13_EEDaSY_SZ_EUlSY_E_NS1_11comp_targetILNS1_3genE9ELNS1_11target_archE1100ELNS1_3gpuE3ELNS1_3repE0EEENS1_30default_config_static_selectorELNS0_4arch9wavefront6targetE0EEEvT1_ ; -- Begin function _ZN7rocprim17ROCPRIM_400000_NS6detail17trampoline_kernelINS0_14default_configENS1_27scan_by_key_config_selectorIj11FixedVectorIiLj4EEEEZZNS1_16scan_by_key_implILNS1_25lookback_scan_determinismE0ELb0ES3_N6thrust23THRUST_200600_302600_NS6detail15normal_iteratorINSB_10device_ptrIjEEEENSD_INSE_IS6_EEEESI_S6_NSB_4plusIvEENSB_8equal_toIvEES6_EE10hipError_tPvRmT2_T3_T4_T5_mT6_T7_P12ihipStream_tbENKUlT_T0_E_clISt17integral_constantIbLb1EES13_EEDaSY_SZ_EUlSY_E_NS1_11comp_targetILNS1_3genE9ELNS1_11target_archE1100ELNS1_3gpuE3ELNS1_3repE0EEENS1_30default_config_static_selectorELNS0_4arch9wavefront6targetE0EEEvT1_
	.globl	_ZN7rocprim17ROCPRIM_400000_NS6detail17trampoline_kernelINS0_14default_configENS1_27scan_by_key_config_selectorIj11FixedVectorIiLj4EEEEZZNS1_16scan_by_key_implILNS1_25lookback_scan_determinismE0ELb0ES3_N6thrust23THRUST_200600_302600_NS6detail15normal_iteratorINSB_10device_ptrIjEEEENSD_INSE_IS6_EEEESI_S6_NSB_4plusIvEENSB_8equal_toIvEES6_EE10hipError_tPvRmT2_T3_T4_T5_mT6_T7_P12ihipStream_tbENKUlT_T0_E_clISt17integral_constantIbLb1EES13_EEDaSY_SZ_EUlSY_E_NS1_11comp_targetILNS1_3genE9ELNS1_11target_archE1100ELNS1_3gpuE3ELNS1_3repE0EEENS1_30default_config_static_selectorELNS0_4arch9wavefront6targetE0EEEvT1_
	.p2align	8
	.type	_ZN7rocprim17ROCPRIM_400000_NS6detail17trampoline_kernelINS0_14default_configENS1_27scan_by_key_config_selectorIj11FixedVectorIiLj4EEEEZZNS1_16scan_by_key_implILNS1_25lookback_scan_determinismE0ELb0ES3_N6thrust23THRUST_200600_302600_NS6detail15normal_iteratorINSB_10device_ptrIjEEEENSD_INSE_IS6_EEEESI_S6_NSB_4plusIvEENSB_8equal_toIvEES6_EE10hipError_tPvRmT2_T3_T4_T5_mT6_T7_P12ihipStream_tbENKUlT_T0_E_clISt17integral_constantIbLb1EES13_EEDaSY_SZ_EUlSY_E_NS1_11comp_targetILNS1_3genE9ELNS1_11target_archE1100ELNS1_3gpuE3ELNS1_3repE0EEENS1_30default_config_static_selectorELNS0_4arch9wavefront6targetE0EEEvT1_,@function
_ZN7rocprim17ROCPRIM_400000_NS6detail17trampoline_kernelINS0_14default_configENS1_27scan_by_key_config_selectorIj11FixedVectorIiLj4EEEEZZNS1_16scan_by_key_implILNS1_25lookback_scan_determinismE0ELb0ES3_N6thrust23THRUST_200600_302600_NS6detail15normal_iteratorINSB_10device_ptrIjEEEENSD_INSE_IS6_EEEESI_S6_NSB_4plusIvEENSB_8equal_toIvEES6_EE10hipError_tPvRmT2_T3_T4_T5_mT6_T7_P12ihipStream_tbENKUlT_T0_E_clISt17integral_constantIbLb1EES13_EEDaSY_SZ_EUlSY_E_NS1_11comp_targetILNS1_3genE9ELNS1_11target_archE1100ELNS1_3gpuE3ELNS1_3repE0EEENS1_30default_config_static_selectorELNS0_4arch9wavefront6targetE0EEEvT1_: ; @_ZN7rocprim17ROCPRIM_400000_NS6detail17trampoline_kernelINS0_14default_configENS1_27scan_by_key_config_selectorIj11FixedVectorIiLj4EEEEZZNS1_16scan_by_key_implILNS1_25lookback_scan_determinismE0ELb0ES3_N6thrust23THRUST_200600_302600_NS6detail15normal_iteratorINSB_10device_ptrIjEEEENSD_INSE_IS6_EEEESI_S6_NSB_4plusIvEENSB_8equal_toIvEES6_EE10hipError_tPvRmT2_T3_T4_T5_mT6_T7_P12ihipStream_tbENKUlT_T0_E_clISt17integral_constantIbLb1EES13_EEDaSY_SZ_EUlSY_E_NS1_11comp_targetILNS1_3genE9ELNS1_11target_archE1100ELNS1_3gpuE3ELNS1_3repE0EEENS1_30default_config_static_selectorELNS0_4arch9wavefront6targetE0EEEvT1_
; %bb.0:
	.section	.rodata,"a",@progbits
	.p2align	6, 0x0
	.amdhsa_kernel _ZN7rocprim17ROCPRIM_400000_NS6detail17trampoline_kernelINS0_14default_configENS1_27scan_by_key_config_selectorIj11FixedVectorIiLj4EEEEZZNS1_16scan_by_key_implILNS1_25lookback_scan_determinismE0ELb0ES3_N6thrust23THRUST_200600_302600_NS6detail15normal_iteratorINSB_10device_ptrIjEEEENSD_INSE_IS6_EEEESI_S6_NSB_4plusIvEENSB_8equal_toIvEES6_EE10hipError_tPvRmT2_T3_T4_T5_mT6_T7_P12ihipStream_tbENKUlT_T0_E_clISt17integral_constantIbLb1EES13_EEDaSY_SZ_EUlSY_E_NS1_11comp_targetILNS1_3genE9ELNS1_11target_archE1100ELNS1_3gpuE3ELNS1_3repE0EEENS1_30default_config_static_selectorELNS0_4arch9wavefront6targetE0EEEvT1_
		.amdhsa_group_segment_fixed_size 0
		.amdhsa_private_segment_fixed_size 0
		.amdhsa_kernarg_size 144
		.amdhsa_user_sgpr_count 2
		.amdhsa_user_sgpr_dispatch_ptr 0
		.amdhsa_user_sgpr_queue_ptr 0
		.amdhsa_user_sgpr_kernarg_segment_ptr 1
		.amdhsa_user_sgpr_dispatch_id 0
		.amdhsa_user_sgpr_kernarg_preload_length 0
		.amdhsa_user_sgpr_kernarg_preload_offset 0
		.amdhsa_user_sgpr_private_segment_size 0
		.amdhsa_wavefront_size32 1
		.amdhsa_uses_dynamic_stack 0
		.amdhsa_enable_private_segment 0
		.amdhsa_system_sgpr_workgroup_id_x 1
		.amdhsa_system_sgpr_workgroup_id_y 0
		.amdhsa_system_sgpr_workgroup_id_z 0
		.amdhsa_system_sgpr_workgroup_info 0
		.amdhsa_system_vgpr_workitem_id 0
		.amdhsa_next_free_vgpr 1
		.amdhsa_next_free_sgpr 1
		.amdhsa_named_barrier_count 0
		.amdhsa_reserve_vcc 0
		.amdhsa_float_round_mode_32 0
		.amdhsa_float_round_mode_16_64 0
		.amdhsa_float_denorm_mode_32 3
		.amdhsa_float_denorm_mode_16_64 3
		.amdhsa_fp16_overflow 0
		.amdhsa_memory_ordered 1
		.amdhsa_forward_progress 1
		.amdhsa_inst_pref_size 0
		.amdhsa_round_robin_scheduling 0
		.amdhsa_exception_fp_ieee_invalid_op 0
		.amdhsa_exception_fp_denorm_src 0
		.amdhsa_exception_fp_ieee_div_zero 0
		.amdhsa_exception_fp_ieee_overflow 0
		.amdhsa_exception_fp_ieee_underflow 0
		.amdhsa_exception_fp_ieee_inexact 0
		.amdhsa_exception_int_div_zero 0
	.end_amdhsa_kernel
	.section	.text._ZN7rocprim17ROCPRIM_400000_NS6detail17trampoline_kernelINS0_14default_configENS1_27scan_by_key_config_selectorIj11FixedVectorIiLj4EEEEZZNS1_16scan_by_key_implILNS1_25lookback_scan_determinismE0ELb0ES3_N6thrust23THRUST_200600_302600_NS6detail15normal_iteratorINSB_10device_ptrIjEEEENSD_INSE_IS6_EEEESI_S6_NSB_4plusIvEENSB_8equal_toIvEES6_EE10hipError_tPvRmT2_T3_T4_T5_mT6_T7_P12ihipStream_tbENKUlT_T0_E_clISt17integral_constantIbLb1EES13_EEDaSY_SZ_EUlSY_E_NS1_11comp_targetILNS1_3genE9ELNS1_11target_archE1100ELNS1_3gpuE3ELNS1_3repE0EEENS1_30default_config_static_selectorELNS0_4arch9wavefront6targetE0EEEvT1_,"axG",@progbits,_ZN7rocprim17ROCPRIM_400000_NS6detail17trampoline_kernelINS0_14default_configENS1_27scan_by_key_config_selectorIj11FixedVectorIiLj4EEEEZZNS1_16scan_by_key_implILNS1_25lookback_scan_determinismE0ELb0ES3_N6thrust23THRUST_200600_302600_NS6detail15normal_iteratorINSB_10device_ptrIjEEEENSD_INSE_IS6_EEEESI_S6_NSB_4plusIvEENSB_8equal_toIvEES6_EE10hipError_tPvRmT2_T3_T4_T5_mT6_T7_P12ihipStream_tbENKUlT_T0_E_clISt17integral_constantIbLb1EES13_EEDaSY_SZ_EUlSY_E_NS1_11comp_targetILNS1_3genE9ELNS1_11target_archE1100ELNS1_3gpuE3ELNS1_3repE0EEENS1_30default_config_static_selectorELNS0_4arch9wavefront6targetE0EEEvT1_,comdat
.Lfunc_end2051:
	.size	_ZN7rocprim17ROCPRIM_400000_NS6detail17trampoline_kernelINS0_14default_configENS1_27scan_by_key_config_selectorIj11FixedVectorIiLj4EEEEZZNS1_16scan_by_key_implILNS1_25lookback_scan_determinismE0ELb0ES3_N6thrust23THRUST_200600_302600_NS6detail15normal_iteratorINSB_10device_ptrIjEEEENSD_INSE_IS6_EEEESI_S6_NSB_4plusIvEENSB_8equal_toIvEES6_EE10hipError_tPvRmT2_T3_T4_T5_mT6_T7_P12ihipStream_tbENKUlT_T0_E_clISt17integral_constantIbLb1EES13_EEDaSY_SZ_EUlSY_E_NS1_11comp_targetILNS1_3genE9ELNS1_11target_archE1100ELNS1_3gpuE3ELNS1_3repE0EEENS1_30default_config_static_selectorELNS0_4arch9wavefront6targetE0EEEvT1_, .Lfunc_end2051-_ZN7rocprim17ROCPRIM_400000_NS6detail17trampoline_kernelINS0_14default_configENS1_27scan_by_key_config_selectorIj11FixedVectorIiLj4EEEEZZNS1_16scan_by_key_implILNS1_25lookback_scan_determinismE0ELb0ES3_N6thrust23THRUST_200600_302600_NS6detail15normal_iteratorINSB_10device_ptrIjEEEENSD_INSE_IS6_EEEESI_S6_NSB_4plusIvEENSB_8equal_toIvEES6_EE10hipError_tPvRmT2_T3_T4_T5_mT6_T7_P12ihipStream_tbENKUlT_T0_E_clISt17integral_constantIbLb1EES13_EEDaSY_SZ_EUlSY_E_NS1_11comp_targetILNS1_3genE9ELNS1_11target_archE1100ELNS1_3gpuE3ELNS1_3repE0EEENS1_30default_config_static_selectorELNS0_4arch9wavefront6targetE0EEEvT1_
                                        ; -- End function
	.set _ZN7rocprim17ROCPRIM_400000_NS6detail17trampoline_kernelINS0_14default_configENS1_27scan_by_key_config_selectorIj11FixedVectorIiLj4EEEEZZNS1_16scan_by_key_implILNS1_25lookback_scan_determinismE0ELb0ES3_N6thrust23THRUST_200600_302600_NS6detail15normal_iteratorINSB_10device_ptrIjEEEENSD_INSE_IS6_EEEESI_S6_NSB_4plusIvEENSB_8equal_toIvEES6_EE10hipError_tPvRmT2_T3_T4_T5_mT6_T7_P12ihipStream_tbENKUlT_T0_E_clISt17integral_constantIbLb1EES13_EEDaSY_SZ_EUlSY_E_NS1_11comp_targetILNS1_3genE9ELNS1_11target_archE1100ELNS1_3gpuE3ELNS1_3repE0EEENS1_30default_config_static_selectorELNS0_4arch9wavefront6targetE0EEEvT1_.num_vgpr, 0
	.set _ZN7rocprim17ROCPRIM_400000_NS6detail17trampoline_kernelINS0_14default_configENS1_27scan_by_key_config_selectorIj11FixedVectorIiLj4EEEEZZNS1_16scan_by_key_implILNS1_25lookback_scan_determinismE0ELb0ES3_N6thrust23THRUST_200600_302600_NS6detail15normal_iteratorINSB_10device_ptrIjEEEENSD_INSE_IS6_EEEESI_S6_NSB_4plusIvEENSB_8equal_toIvEES6_EE10hipError_tPvRmT2_T3_T4_T5_mT6_T7_P12ihipStream_tbENKUlT_T0_E_clISt17integral_constantIbLb1EES13_EEDaSY_SZ_EUlSY_E_NS1_11comp_targetILNS1_3genE9ELNS1_11target_archE1100ELNS1_3gpuE3ELNS1_3repE0EEENS1_30default_config_static_selectorELNS0_4arch9wavefront6targetE0EEEvT1_.num_agpr, 0
	.set _ZN7rocprim17ROCPRIM_400000_NS6detail17trampoline_kernelINS0_14default_configENS1_27scan_by_key_config_selectorIj11FixedVectorIiLj4EEEEZZNS1_16scan_by_key_implILNS1_25lookback_scan_determinismE0ELb0ES3_N6thrust23THRUST_200600_302600_NS6detail15normal_iteratorINSB_10device_ptrIjEEEENSD_INSE_IS6_EEEESI_S6_NSB_4plusIvEENSB_8equal_toIvEES6_EE10hipError_tPvRmT2_T3_T4_T5_mT6_T7_P12ihipStream_tbENKUlT_T0_E_clISt17integral_constantIbLb1EES13_EEDaSY_SZ_EUlSY_E_NS1_11comp_targetILNS1_3genE9ELNS1_11target_archE1100ELNS1_3gpuE3ELNS1_3repE0EEENS1_30default_config_static_selectorELNS0_4arch9wavefront6targetE0EEEvT1_.numbered_sgpr, 0
	.set _ZN7rocprim17ROCPRIM_400000_NS6detail17trampoline_kernelINS0_14default_configENS1_27scan_by_key_config_selectorIj11FixedVectorIiLj4EEEEZZNS1_16scan_by_key_implILNS1_25lookback_scan_determinismE0ELb0ES3_N6thrust23THRUST_200600_302600_NS6detail15normal_iteratorINSB_10device_ptrIjEEEENSD_INSE_IS6_EEEESI_S6_NSB_4plusIvEENSB_8equal_toIvEES6_EE10hipError_tPvRmT2_T3_T4_T5_mT6_T7_P12ihipStream_tbENKUlT_T0_E_clISt17integral_constantIbLb1EES13_EEDaSY_SZ_EUlSY_E_NS1_11comp_targetILNS1_3genE9ELNS1_11target_archE1100ELNS1_3gpuE3ELNS1_3repE0EEENS1_30default_config_static_selectorELNS0_4arch9wavefront6targetE0EEEvT1_.num_named_barrier, 0
	.set _ZN7rocprim17ROCPRIM_400000_NS6detail17trampoline_kernelINS0_14default_configENS1_27scan_by_key_config_selectorIj11FixedVectorIiLj4EEEEZZNS1_16scan_by_key_implILNS1_25lookback_scan_determinismE0ELb0ES3_N6thrust23THRUST_200600_302600_NS6detail15normal_iteratorINSB_10device_ptrIjEEEENSD_INSE_IS6_EEEESI_S6_NSB_4plusIvEENSB_8equal_toIvEES6_EE10hipError_tPvRmT2_T3_T4_T5_mT6_T7_P12ihipStream_tbENKUlT_T0_E_clISt17integral_constantIbLb1EES13_EEDaSY_SZ_EUlSY_E_NS1_11comp_targetILNS1_3genE9ELNS1_11target_archE1100ELNS1_3gpuE3ELNS1_3repE0EEENS1_30default_config_static_selectorELNS0_4arch9wavefront6targetE0EEEvT1_.private_seg_size, 0
	.set _ZN7rocprim17ROCPRIM_400000_NS6detail17trampoline_kernelINS0_14default_configENS1_27scan_by_key_config_selectorIj11FixedVectorIiLj4EEEEZZNS1_16scan_by_key_implILNS1_25lookback_scan_determinismE0ELb0ES3_N6thrust23THRUST_200600_302600_NS6detail15normal_iteratorINSB_10device_ptrIjEEEENSD_INSE_IS6_EEEESI_S6_NSB_4plusIvEENSB_8equal_toIvEES6_EE10hipError_tPvRmT2_T3_T4_T5_mT6_T7_P12ihipStream_tbENKUlT_T0_E_clISt17integral_constantIbLb1EES13_EEDaSY_SZ_EUlSY_E_NS1_11comp_targetILNS1_3genE9ELNS1_11target_archE1100ELNS1_3gpuE3ELNS1_3repE0EEENS1_30default_config_static_selectorELNS0_4arch9wavefront6targetE0EEEvT1_.uses_vcc, 0
	.set _ZN7rocprim17ROCPRIM_400000_NS6detail17trampoline_kernelINS0_14default_configENS1_27scan_by_key_config_selectorIj11FixedVectorIiLj4EEEEZZNS1_16scan_by_key_implILNS1_25lookback_scan_determinismE0ELb0ES3_N6thrust23THRUST_200600_302600_NS6detail15normal_iteratorINSB_10device_ptrIjEEEENSD_INSE_IS6_EEEESI_S6_NSB_4plusIvEENSB_8equal_toIvEES6_EE10hipError_tPvRmT2_T3_T4_T5_mT6_T7_P12ihipStream_tbENKUlT_T0_E_clISt17integral_constantIbLb1EES13_EEDaSY_SZ_EUlSY_E_NS1_11comp_targetILNS1_3genE9ELNS1_11target_archE1100ELNS1_3gpuE3ELNS1_3repE0EEENS1_30default_config_static_selectorELNS0_4arch9wavefront6targetE0EEEvT1_.uses_flat_scratch, 0
	.set _ZN7rocprim17ROCPRIM_400000_NS6detail17trampoline_kernelINS0_14default_configENS1_27scan_by_key_config_selectorIj11FixedVectorIiLj4EEEEZZNS1_16scan_by_key_implILNS1_25lookback_scan_determinismE0ELb0ES3_N6thrust23THRUST_200600_302600_NS6detail15normal_iteratorINSB_10device_ptrIjEEEENSD_INSE_IS6_EEEESI_S6_NSB_4plusIvEENSB_8equal_toIvEES6_EE10hipError_tPvRmT2_T3_T4_T5_mT6_T7_P12ihipStream_tbENKUlT_T0_E_clISt17integral_constantIbLb1EES13_EEDaSY_SZ_EUlSY_E_NS1_11comp_targetILNS1_3genE9ELNS1_11target_archE1100ELNS1_3gpuE3ELNS1_3repE0EEENS1_30default_config_static_selectorELNS0_4arch9wavefront6targetE0EEEvT1_.has_dyn_sized_stack, 0
	.set _ZN7rocprim17ROCPRIM_400000_NS6detail17trampoline_kernelINS0_14default_configENS1_27scan_by_key_config_selectorIj11FixedVectorIiLj4EEEEZZNS1_16scan_by_key_implILNS1_25lookback_scan_determinismE0ELb0ES3_N6thrust23THRUST_200600_302600_NS6detail15normal_iteratorINSB_10device_ptrIjEEEENSD_INSE_IS6_EEEESI_S6_NSB_4plusIvEENSB_8equal_toIvEES6_EE10hipError_tPvRmT2_T3_T4_T5_mT6_T7_P12ihipStream_tbENKUlT_T0_E_clISt17integral_constantIbLb1EES13_EEDaSY_SZ_EUlSY_E_NS1_11comp_targetILNS1_3genE9ELNS1_11target_archE1100ELNS1_3gpuE3ELNS1_3repE0EEENS1_30default_config_static_selectorELNS0_4arch9wavefront6targetE0EEEvT1_.has_recursion, 0
	.set _ZN7rocprim17ROCPRIM_400000_NS6detail17trampoline_kernelINS0_14default_configENS1_27scan_by_key_config_selectorIj11FixedVectorIiLj4EEEEZZNS1_16scan_by_key_implILNS1_25lookback_scan_determinismE0ELb0ES3_N6thrust23THRUST_200600_302600_NS6detail15normal_iteratorINSB_10device_ptrIjEEEENSD_INSE_IS6_EEEESI_S6_NSB_4plusIvEENSB_8equal_toIvEES6_EE10hipError_tPvRmT2_T3_T4_T5_mT6_T7_P12ihipStream_tbENKUlT_T0_E_clISt17integral_constantIbLb1EES13_EEDaSY_SZ_EUlSY_E_NS1_11comp_targetILNS1_3genE9ELNS1_11target_archE1100ELNS1_3gpuE3ELNS1_3repE0EEENS1_30default_config_static_selectorELNS0_4arch9wavefront6targetE0EEEvT1_.has_indirect_call, 0
	.section	.AMDGPU.csdata,"",@progbits
; Kernel info:
; codeLenInByte = 0
; TotalNumSgprs: 0
; NumVgprs: 0
; ScratchSize: 0
; MemoryBound: 0
; FloatMode: 240
; IeeeMode: 1
; LDSByteSize: 0 bytes/workgroup (compile time only)
; SGPRBlocks: 0
; VGPRBlocks: 0
; NumSGPRsForWavesPerEU: 1
; NumVGPRsForWavesPerEU: 1
; NamedBarCnt: 0
; Occupancy: 16
; WaveLimiterHint : 0
; COMPUTE_PGM_RSRC2:SCRATCH_EN: 0
; COMPUTE_PGM_RSRC2:USER_SGPR: 2
; COMPUTE_PGM_RSRC2:TRAP_HANDLER: 0
; COMPUTE_PGM_RSRC2:TGID_X_EN: 1
; COMPUTE_PGM_RSRC2:TGID_Y_EN: 0
; COMPUTE_PGM_RSRC2:TGID_Z_EN: 0
; COMPUTE_PGM_RSRC2:TIDIG_COMP_CNT: 0
	.section	.text._ZN7rocprim17ROCPRIM_400000_NS6detail17trampoline_kernelINS0_14default_configENS1_27scan_by_key_config_selectorIj11FixedVectorIiLj4EEEEZZNS1_16scan_by_key_implILNS1_25lookback_scan_determinismE0ELb0ES3_N6thrust23THRUST_200600_302600_NS6detail15normal_iteratorINSB_10device_ptrIjEEEENSD_INSE_IS6_EEEESI_S6_NSB_4plusIvEENSB_8equal_toIvEES6_EE10hipError_tPvRmT2_T3_T4_T5_mT6_T7_P12ihipStream_tbENKUlT_T0_E_clISt17integral_constantIbLb1EES13_EEDaSY_SZ_EUlSY_E_NS1_11comp_targetILNS1_3genE8ELNS1_11target_archE1030ELNS1_3gpuE2ELNS1_3repE0EEENS1_30default_config_static_selectorELNS0_4arch9wavefront6targetE0EEEvT1_,"axG",@progbits,_ZN7rocprim17ROCPRIM_400000_NS6detail17trampoline_kernelINS0_14default_configENS1_27scan_by_key_config_selectorIj11FixedVectorIiLj4EEEEZZNS1_16scan_by_key_implILNS1_25lookback_scan_determinismE0ELb0ES3_N6thrust23THRUST_200600_302600_NS6detail15normal_iteratorINSB_10device_ptrIjEEEENSD_INSE_IS6_EEEESI_S6_NSB_4plusIvEENSB_8equal_toIvEES6_EE10hipError_tPvRmT2_T3_T4_T5_mT6_T7_P12ihipStream_tbENKUlT_T0_E_clISt17integral_constantIbLb1EES13_EEDaSY_SZ_EUlSY_E_NS1_11comp_targetILNS1_3genE8ELNS1_11target_archE1030ELNS1_3gpuE2ELNS1_3repE0EEENS1_30default_config_static_selectorELNS0_4arch9wavefront6targetE0EEEvT1_,comdat
	.protected	_ZN7rocprim17ROCPRIM_400000_NS6detail17trampoline_kernelINS0_14default_configENS1_27scan_by_key_config_selectorIj11FixedVectorIiLj4EEEEZZNS1_16scan_by_key_implILNS1_25lookback_scan_determinismE0ELb0ES3_N6thrust23THRUST_200600_302600_NS6detail15normal_iteratorINSB_10device_ptrIjEEEENSD_INSE_IS6_EEEESI_S6_NSB_4plusIvEENSB_8equal_toIvEES6_EE10hipError_tPvRmT2_T3_T4_T5_mT6_T7_P12ihipStream_tbENKUlT_T0_E_clISt17integral_constantIbLb1EES13_EEDaSY_SZ_EUlSY_E_NS1_11comp_targetILNS1_3genE8ELNS1_11target_archE1030ELNS1_3gpuE2ELNS1_3repE0EEENS1_30default_config_static_selectorELNS0_4arch9wavefront6targetE0EEEvT1_ ; -- Begin function _ZN7rocprim17ROCPRIM_400000_NS6detail17trampoline_kernelINS0_14default_configENS1_27scan_by_key_config_selectorIj11FixedVectorIiLj4EEEEZZNS1_16scan_by_key_implILNS1_25lookback_scan_determinismE0ELb0ES3_N6thrust23THRUST_200600_302600_NS6detail15normal_iteratorINSB_10device_ptrIjEEEENSD_INSE_IS6_EEEESI_S6_NSB_4plusIvEENSB_8equal_toIvEES6_EE10hipError_tPvRmT2_T3_T4_T5_mT6_T7_P12ihipStream_tbENKUlT_T0_E_clISt17integral_constantIbLb1EES13_EEDaSY_SZ_EUlSY_E_NS1_11comp_targetILNS1_3genE8ELNS1_11target_archE1030ELNS1_3gpuE2ELNS1_3repE0EEENS1_30default_config_static_selectorELNS0_4arch9wavefront6targetE0EEEvT1_
	.globl	_ZN7rocprim17ROCPRIM_400000_NS6detail17trampoline_kernelINS0_14default_configENS1_27scan_by_key_config_selectorIj11FixedVectorIiLj4EEEEZZNS1_16scan_by_key_implILNS1_25lookback_scan_determinismE0ELb0ES3_N6thrust23THRUST_200600_302600_NS6detail15normal_iteratorINSB_10device_ptrIjEEEENSD_INSE_IS6_EEEESI_S6_NSB_4plusIvEENSB_8equal_toIvEES6_EE10hipError_tPvRmT2_T3_T4_T5_mT6_T7_P12ihipStream_tbENKUlT_T0_E_clISt17integral_constantIbLb1EES13_EEDaSY_SZ_EUlSY_E_NS1_11comp_targetILNS1_3genE8ELNS1_11target_archE1030ELNS1_3gpuE2ELNS1_3repE0EEENS1_30default_config_static_selectorELNS0_4arch9wavefront6targetE0EEEvT1_
	.p2align	8
	.type	_ZN7rocprim17ROCPRIM_400000_NS6detail17trampoline_kernelINS0_14default_configENS1_27scan_by_key_config_selectorIj11FixedVectorIiLj4EEEEZZNS1_16scan_by_key_implILNS1_25lookback_scan_determinismE0ELb0ES3_N6thrust23THRUST_200600_302600_NS6detail15normal_iteratorINSB_10device_ptrIjEEEENSD_INSE_IS6_EEEESI_S6_NSB_4plusIvEENSB_8equal_toIvEES6_EE10hipError_tPvRmT2_T3_T4_T5_mT6_T7_P12ihipStream_tbENKUlT_T0_E_clISt17integral_constantIbLb1EES13_EEDaSY_SZ_EUlSY_E_NS1_11comp_targetILNS1_3genE8ELNS1_11target_archE1030ELNS1_3gpuE2ELNS1_3repE0EEENS1_30default_config_static_selectorELNS0_4arch9wavefront6targetE0EEEvT1_,@function
_ZN7rocprim17ROCPRIM_400000_NS6detail17trampoline_kernelINS0_14default_configENS1_27scan_by_key_config_selectorIj11FixedVectorIiLj4EEEEZZNS1_16scan_by_key_implILNS1_25lookback_scan_determinismE0ELb0ES3_N6thrust23THRUST_200600_302600_NS6detail15normal_iteratorINSB_10device_ptrIjEEEENSD_INSE_IS6_EEEESI_S6_NSB_4plusIvEENSB_8equal_toIvEES6_EE10hipError_tPvRmT2_T3_T4_T5_mT6_T7_P12ihipStream_tbENKUlT_T0_E_clISt17integral_constantIbLb1EES13_EEDaSY_SZ_EUlSY_E_NS1_11comp_targetILNS1_3genE8ELNS1_11target_archE1030ELNS1_3gpuE2ELNS1_3repE0EEENS1_30default_config_static_selectorELNS0_4arch9wavefront6targetE0EEEvT1_: ; @_ZN7rocprim17ROCPRIM_400000_NS6detail17trampoline_kernelINS0_14default_configENS1_27scan_by_key_config_selectorIj11FixedVectorIiLj4EEEEZZNS1_16scan_by_key_implILNS1_25lookback_scan_determinismE0ELb0ES3_N6thrust23THRUST_200600_302600_NS6detail15normal_iteratorINSB_10device_ptrIjEEEENSD_INSE_IS6_EEEESI_S6_NSB_4plusIvEENSB_8equal_toIvEES6_EE10hipError_tPvRmT2_T3_T4_T5_mT6_T7_P12ihipStream_tbENKUlT_T0_E_clISt17integral_constantIbLb1EES13_EEDaSY_SZ_EUlSY_E_NS1_11comp_targetILNS1_3genE8ELNS1_11target_archE1030ELNS1_3gpuE2ELNS1_3repE0EEENS1_30default_config_static_selectorELNS0_4arch9wavefront6targetE0EEEvT1_
; %bb.0:
	.section	.rodata,"a",@progbits
	.p2align	6, 0x0
	.amdhsa_kernel _ZN7rocprim17ROCPRIM_400000_NS6detail17trampoline_kernelINS0_14default_configENS1_27scan_by_key_config_selectorIj11FixedVectorIiLj4EEEEZZNS1_16scan_by_key_implILNS1_25lookback_scan_determinismE0ELb0ES3_N6thrust23THRUST_200600_302600_NS6detail15normal_iteratorINSB_10device_ptrIjEEEENSD_INSE_IS6_EEEESI_S6_NSB_4plusIvEENSB_8equal_toIvEES6_EE10hipError_tPvRmT2_T3_T4_T5_mT6_T7_P12ihipStream_tbENKUlT_T0_E_clISt17integral_constantIbLb1EES13_EEDaSY_SZ_EUlSY_E_NS1_11comp_targetILNS1_3genE8ELNS1_11target_archE1030ELNS1_3gpuE2ELNS1_3repE0EEENS1_30default_config_static_selectorELNS0_4arch9wavefront6targetE0EEEvT1_
		.amdhsa_group_segment_fixed_size 0
		.amdhsa_private_segment_fixed_size 0
		.amdhsa_kernarg_size 144
		.amdhsa_user_sgpr_count 2
		.amdhsa_user_sgpr_dispatch_ptr 0
		.amdhsa_user_sgpr_queue_ptr 0
		.amdhsa_user_sgpr_kernarg_segment_ptr 1
		.amdhsa_user_sgpr_dispatch_id 0
		.amdhsa_user_sgpr_kernarg_preload_length 0
		.amdhsa_user_sgpr_kernarg_preload_offset 0
		.amdhsa_user_sgpr_private_segment_size 0
		.amdhsa_wavefront_size32 1
		.amdhsa_uses_dynamic_stack 0
		.amdhsa_enable_private_segment 0
		.amdhsa_system_sgpr_workgroup_id_x 1
		.amdhsa_system_sgpr_workgroup_id_y 0
		.amdhsa_system_sgpr_workgroup_id_z 0
		.amdhsa_system_sgpr_workgroup_info 0
		.amdhsa_system_vgpr_workitem_id 0
		.amdhsa_next_free_vgpr 1
		.amdhsa_next_free_sgpr 1
		.amdhsa_named_barrier_count 0
		.amdhsa_reserve_vcc 0
		.amdhsa_float_round_mode_32 0
		.amdhsa_float_round_mode_16_64 0
		.amdhsa_float_denorm_mode_32 3
		.amdhsa_float_denorm_mode_16_64 3
		.amdhsa_fp16_overflow 0
		.amdhsa_memory_ordered 1
		.amdhsa_forward_progress 1
		.amdhsa_inst_pref_size 0
		.amdhsa_round_robin_scheduling 0
		.amdhsa_exception_fp_ieee_invalid_op 0
		.amdhsa_exception_fp_denorm_src 0
		.amdhsa_exception_fp_ieee_div_zero 0
		.amdhsa_exception_fp_ieee_overflow 0
		.amdhsa_exception_fp_ieee_underflow 0
		.amdhsa_exception_fp_ieee_inexact 0
		.amdhsa_exception_int_div_zero 0
	.end_amdhsa_kernel
	.section	.text._ZN7rocprim17ROCPRIM_400000_NS6detail17trampoline_kernelINS0_14default_configENS1_27scan_by_key_config_selectorIj11FixedVectorIiLj4EEEEZZNS1_16scan_by_key_implILNS1_25lookback_scan_determinismE0ELb0ES3_N6thrust23THRUST_200600_302600_NS6detail15normal_iteratorINSB_10device_ptrIjEEEENSD_INSE_IS6_EEEESI_S6_NSB_4plusIvEENSB_8equal_toIvEES6_EE10hipError_tPvRmT2_T3_T4_T5_mT6_T7_P12ihipStream_tbENKUlT_T0_E_clISt17integral_constantIbLb1EES13_EEDaSY_SZ_EUlSY_E_NS1_11comp_targetILNS1_3genE8ELNS1_11target_archE1030ELNS1_3gpuE2ELNS1_3repE0EEENS1_30default_config_static_selectorELNS0_4arch9wavefront6targetE0EEEvT1_,"axG",@progbits,_ZN7rocprim17ROCPRIM_400000_NS6detail17trampoline_kernelINS0_14default_configENS1_27scan_by_key_config_selectorIj11FixedVectorIiLj4EEEEZZNS1_16scan_by_key_implILNS1_25lookback_scan_determinismE0ELb0ES3_N6thrust23THRUST_200600_302600_NS6detail15normal_iteratorINSB_10device_ptrIjEEEENSD_INSE_IS6_EEEESI_S6_NSB_4plusIvEENSB_8equal_toIvEES6_EE10hipError_tPvRmT2_T3_T4_T5_mT6_T7_P12ihipStream_tbENKUlT_T0_E_clISt17integral_constantIbLb1EES13_EEDaSY_SZ_EUlSY_E_NS1_11comp_targetILNS1_3genE8ELNS1_11target_archE1030ELNS1_3gpuE2ELNS1_3repE0EEENS1_30default_config_static_selectorELNS0_4arch9wavefront6targetE0EEEvT1_,comdat
.Lfunc_end2052:
	.size	_ZN7rocprim17ROCPRIM_400000_NS6detail17trampoline_kernelINS0_14default_configENS1_27scan_by_key_config_selectorIj11FixedVectorIiLj4EEEEZZNS1_16scan_by_key_implILNS1_25lookback_scan_determinismE0ELb0ES3_N6thrust23THRUST_200600_302600_NS6detail15normal_iteratorINSB_10device_ptrIjEEEENSD_INSE_IS6_EEEESI_S6_NSB_4plusIvEENSB_8equal_toIvEES6_EE10hipError_tPvRmT2_T3_T4_T5_mT6_T7_P12ihipStream_tbENKUlT_T0_E_clISt17integral_constantIbLb1EES13_EEDaSY_SZ_EUlSY_E_NS1_11comp_targetILNS1_3genE8ELNS1_11target_archE1030ELNS1_3gpuE2ELNS1_3repE0EEENS1_30default_config_static_selectorELNS0_4arch9wavefront6targetE0EEEvT1_, .Lfunc_end2052-_ZN7rocprim17ROCPRIM_400000_NS6detail17trampoline_kernelINS0_14default_configENS1_27scan_by_key_config_selectorIj11FixedVectorIiLj4EEEEZZNS1_16scan_by_key_implILNS1_25lookback_scan_determinismE0ELb0ES3_N6thrust23THRUST_200600_302600_NS6detail15normal_iteratorINSB_10device_ptrIjEEEENSD_INSE_IS6_EEEESI_S6_NSB_4plusIvEENSB_8equal_toIvEES6_EE10hipError_tPvRmT2_T3_T4_T5_mT6_T7_P12ihipStream_tbENKUlT_T0_E_clISt17integral_constantIbLb1EES13_EEDaSY_SZ_EUlSY_E_NS1_11comp_targetILNS1_3genE8ELNS1_11target_archE1030ELNS1_3gpuE2ELNS1_3repE0EEENS1_30default_config_static_selectorELNS0_4arch9wavefront6targetE0EEEvT1_
                                        ; -- End function
	.set _ZN7rocprim17ROCPRIM_400000_NS6detail17trampoline_kernelINS0_14default_configENS1_27scan_by_key_config_selectorIj11FixedVectorIiLj4EEEEZZNS1_16scan_by_key_implILNS1_25lookback_scan_determinismE0ELb0ES3_N6thrust23THRUST_200600_302600_NS6detail15normal_iteratorINSB_10device_ptrIjEEEENSD_INSE_IS6_EEEESI_S6_NSB_4plusIvEENSB_8equal_toIvEES6_EE10hipError_tPvRmT2_T3_T4_T5_mT6_T7_P12ihipStream_tbENKUlT_T0_E_clISt17integral_constantIbLb1EES13_EEDaSY_SZ_EUlSY_E_NS1_11comp_targetILNS1_3genE8ELNS1_11target_archE1030ELNS1_3gpuE2ELNS1_3repE0EEENS1_30default_config_static_selectorELNS0_4arch9wavefront6targetE0EEEvT1_.num_vgpr, 0
	.set _ZN7rocprim17ROCPRIM_400000_NS6detail17trampoline_kernelINS0_14default_configENS1_27scan_by_key_config_selectorIj11FixedVectorIiLj4EEEEZZNS1_16scan_by_key_implILNS1_25lookback_scan_determinismE0ELb0ES3_N6thrust23THRUST_200600_302600_NS6detail15normal_iteratorINSB_10device_ptrIjEEEENSD_INSE_IS6_EEEESI_S6_NSB_4plusIvEENSB_8equal_toIvEES6_EE10hipError_tPvRmT2_T3_T4_T5_mT6_T7_P12ihipStream_tbENKUlT_T0_E_clISt17integral_constantIbLb1EES13_EEDaSY_SZ_EUlSY_E_NS1_11comp_targetILNS1_3genE8ELNS1_11target_archE1030ELNS1_3gpuE2ELNS1_3repE0EEENS1_30default_config_static_selectorELNS0_4arch9wavefront6targetE0EEEvT1_.num_agpr, 0
	.set _ZN7rocprim17ROCPRIM_400000_NS6detail17trampoline_kernelINS0_14default_configENS1_27scan_by_key_config_selectorIj11FixedVectorIiLj4EEEEZZNS1_16scan_by_key_implILNS1_25lookback_scan_determinismE0ELb0ES3_N6thrust23THRUST_200600_302600_NS6detail15normal_iteratorINSB_10device_ptrIjEEEENSD_INSE_IS6_EEEESI_S6_NSB_4plusIvEENSB_8equal_toIvEES6_EE10hipError_tPvRmT2_T3_T4_T5_mT6_T7_P12ihipStream_tbENKUlT_T0_E_clISt17integral_constantIbLb1EES13_EEDaSY_SZ_EUlSY_E_NS1_11comp_targetILNS1_3genE8ELNS1_11target_archE1030ELNS1_3gpuE2ELNS1_3repE0EEENS1_30default_config_static_selectorELNS0_4arch9wavefront6targetE0EEEvT1_.numbered_sgpr, 0
	.set _ZN7rocprim17ROCPRIM_400000_NS6detail17trampoline_kernelINS0_14default_configENS1_27scan_by_key_config_selectorIj11FixedVectorIiLj4EEEEZZNS1_16scan_by_key_implILNS1_25lookback_scan_determinismE0ELb0ES3_N6thrust23THRUST_200600_302600_NS6detail15normal_iteratorINSB_10device_ptrIjEEEENSD_INSE_IS6_EEEESI_S6_NSB_4plusIvEENSB_8equal_toIvEES6_EE10hipError_tPvRmT2_T3_T4_T5_mT6_T7_P12ihipStream_tbENKUlT_T0_E_clISt17integral_constantIbLb1EES13_EEDaSY_SZ_EUlSY_E_NS1_11comp_targetILNS1_3genE8ELNS1_11target_archE1030ELNS1_3gpuE2ELNS1_3repE0EEENS1_30default_config_static_selectorELNS0_4arch9wavefront6targetE0EEEvT1_.num_named_barrier, 0
	.set _ZN7rocprim17ROCPRIM_400000_NS6detail17trampoline_kernelINS0_14default_configENS1_27scan_by_key_config_selectorIj11FixedVectorIiLj4EEEEZZNS1_16scan_by_key_implILNS1_25lookback_scan_determinismE0ELb0ES3_N6thrust23THRUST_200600_302600_NS6detail15normal_iteratorINSB_10device_ptrIjEEEENSD_INSE_IS6_EEEESI_S6_NSB_4plusIvEENSB_8equal_toIvEES6_EE10hipError_tPvRmT2_T3_T4_T5_mT6_T7_P12ihipStream_tbENKUlT_T0_E_clISt17integral_constantIbLb1EES13_EEDaSY_SZ_EUlSY_E_NS1_11comp_targetILNS1_3genE8ELNS1_11target_archE1030ELNS1_3gpuE2ELNS1_3repE0EEENS1_30default_config_static_selectorELNS0_4arch9wavefront6targetE0EEEvT1_.private_seg_size, 0
	.set _ZN7rocprim17ROCPRIM_400000_NS6detail17trampoline_kernelINS0_14default_configENS1_27scan_by_key_config_selectorIj11FixedVectorIiLj4EEEEZZNS1_16scan_by_key_implILNS1_25lookback_scan_determinismE0ELb0ES3_N6thrust23THRUST_200600_302600_NS6detail15normal_iteratorINSB_10device_ptrIjEEEENSD_INSE_IS6_EEEESI_S6_NSB_4plusIvEENSB_8equal_toIvEES6_EE10hipError_tPvRmT2_T3_T4_T5_mT6_T7_P12ihipStream_tbENKUlT_T0_E_clISt17integral_constantIbLb1EES13_EEDaSY_SZ_EUlSY_E_NS1_11comp_targetILNS1_3genE8ELNS1_11target_archE1030ELNS1_3gpuE2ELNS1_3repE0EEENS1_30default_config_static_selectorELNS0_4arch9wavefront6targetE0EEEvT1_.uses_vcc, 0
	.set _ZN7rocprim17ROCPRIM_400000_NS6detail17trampoline_kernelINS0_14default_configENS1_27scan_by_key_config_selectorIj11FixedVectorIiLj4EEEEZZNS1_16scan_by_key_implILNS1_25lookback_scan_determinismE0ELb0ES3_N6thrust23THRUST_200600_302600_NS6detail15normal_iteratorINSB_10device_ptrIjEEEENSD_INSE_IS6_EEEESI_S6_NSB_4plusIvEENSB_8equal_toIvEES6_EE10hipError_tPvRmT2_T3_T4_T5_mT6_T7_P12ihipStream_tbENKUlT_T0_E_clISt17integral_constantIbLb1EES13_EEDaSY_SZ_EUlSY_E_NS1_11comp_targetILNS1_3genE8ELNS1_11target_archE1030ELNS1_3gpuE2ELNS1_3repE0EEENS1_30default_config_static_selectorELNS0_4arch9wavefront6targetE0EEEvT1_.uses_flat_scratch, 0
	.set _ZN7rocprim17ROCPRIM_400000_NS6detail17trampoline_kernelINS0_14default_configENS1_27scan_by_key_config_selectorIj11FixedVectorIiLj4EEEEZZNS1_16scan_by_key_implILNS1_25lookback_scan_determinismE0ELb0ES3_N6thrust23THRUST_200600_302600_NS6detail15normal_iteratorINSB_10device_ptrIjEEEENSD_INSE_IS6_EEEESI_S6_NSB_4plusIvEENSB_8equal_toIvEES6_EE10hipError_tPvRmT2_T3_T4_T5_mT6_T7_P12ihipStream_tbENKUlT_T0_E_clISt17integral_constantIbLb1EES13_EEDaSY_SZ_EUlSY_E_NS1_11comp_targetILNS1_3genE8ELNS1_11target_archE1030ELNS1_3gpuE2ELNS1_3repE0EEENS1_30default_config_static_selectorELNS0_4arch9wavefront6targetE0EEEvT1_.has_dyn_sized_stack, 0
	.set _ZN7rocprim17ROCPRIM_400000_NS6detail17trampoline_kernelINS0_14default_configENS1_27scan_by_key_config_selectorIj11FixedVectorIiLj4EEEEZZNS1_16scan_by_key_implILNS1_25lookback_scan_determinismE0ELb0ES3_N6thrust23THRUST_200600_302600_NS6detail15normal_iteratorINSB_10device_ptrIjEEEENSD_INSE_IS6_EEEESI_S6_NSB_4plusIvEENSB_8equal_toIvEES6_EE10hipError_tPvRmT2_T3_T4_T5_mT6_T7_P12ihipStream_tbENKUlT_T0_E_clISt17integral_constantIbLb1EES13_EEDaSY_SZ_EUlSY_E_NS1_11comp_targetILNS1_3genE8ELNS1_11target_archE1030ELNS1_3gpuE2ELNS1_3repE0EEENS1_30default_config_static_selectorELNS0_4arch9wavefront6targetE0EEEvT1_.has_recursion, 0
	.set _ZN7rocprim17ROCPRIM_400000_NS6detail17trampoline_kernelINS0_14default_configENS1_27scan_by_key_config_selectorIj11FixedVectorIiLj4EEEEZZNS1_16scan_by_key_implILNS1_25lookback_scan_determinismE0ELb0ES3_N6thrust23THRUST_200600_302600_NS6detail15normal_iteratorINSB_10device_ptrIjEEEENSD_INSE_IS6_EEEESI_S6_NSB_4plusIvEENSB_8equal_toIvEES6_EE10hipError_tPvRmT2_T3_T4_T5_mT6_T7_P12ihipStream_tbENKUlT_T0_E_clISt17integral_constantIbLb1EES13_EEDaSY_SZ_EUlSY_E_NS1_11comp_targetILNS1_3genE8ELNS1_11target_archE1030ELNS1_3gpuE2ELNS1_3repE0EEENS1_30default_config_static_selectorELNS0_4arch9wavefront6targetE0EEEvT1_.has_indirect_call, 0
	.section	.AMDGPU.csdata,"",@progbits
; Kernel info:
; codeLenInByte = 0
; TotalNumSgprs: 0
; NumVgprs: 0
; ScratchSize: 0
; MemoryBound: 0
; FloatMode: 240
; IeeeMode: 1
; LDSByteSize: 0 bytes/workgroup (compile time only)
; SGPRBlocks: 0
; VGPRBlocks: 0
; NumSGPRsForWavesPerEU: 1
; NumVGPRsForWavesPerEU: 1
; NamedBarCnt: 0
; Occupancy: 16
; WaveLimiterHint : 0
; COMPUTE_PGM_RSRC2:SCRATCH_EN: 0
; COMPUTE_PGM_RSRC2:USER_SGPR: 2
; COMPUTE_PGM_RSRC2:TRAP_HANDLER: 0
; COMPUTE_PGM_RSRC2:TGID_X_EN: 1
; COMPUTE_PGM_RSRC2:TGID_Y_EN: 0
; COMPUTE_PGM_RSRC2:TGID_Z_EN: 0
; COMPUTE_PGM_RSRC2:TIDIG_COMP_CNT: 0
	.section	.text._ZN7rocprim17ROCPRIM_400000_NS6detail30init_device_scan_by_key_kernelINS1_19lookback_scan_stateINS0_5tupleIJ11FixedVectorIiLj4EEbEEELb1ELb0EEEN6thrust23THRUST_200600_302600_NS6detail15normal_iteratorINSA_10device_ptrIjEEEEjNS1_16block_id_wrapperIjLb0EEEEEvT_jjPNSI_10value_typeET0_PNSt15iterator_traitsISL_E10value_typeEmT1_T2_,"axG",@progbits,_ZN7rocprim17ROCPRIM_400000_NS6detail30init_device_scan_by_key_kernelINS1_19lookback_scan_stateINS0_5tupleIJ11FixedVectorIiLj4EEbEEELb1ELb0EEEN6thrust23THRUST_200600_302600_NS6detail15normal_iteratorINSA_10device_ptrIjEEEEjNS1_16block_id_wrapperIjLb0EEEEEvT_jjPNSI_10value_typeET0_PNSt15iterator_traitsISL_E10value_typeEmT1_T2_,comdat
	.protected	_ZN7rocprim17ROCPRIM_400000_NS6detail30init_device_scan_by_key_kernelINS1_19lookback_scan_stateINS0_5tupleIJ11FixedVectorIiLj4EEbEEELb1ELb0EEEN6thrust23THRUST_200600_302600_NS6detail15normal_iteratorINSA_10device_ptrIjEEEEjNS1_16block_id_wrapperIjLb0EEEEEvT_jjPNSI_10value_typeET0_PNSt15iterator_traitsISL_E10value_typeEmT1_T2_ ; -- Begin function _ZN7rocprim17ROCPRIM_400000_NS6detail30init_device_scan_by_key_kernelINS1_19lookback_scan_stateINS0_5tupleIJ11FixedVectorIiLj4EEbEEELb1ELb0EEEN6thrust23THRUST_200600_302600_NS6detail15normal_iteratorINSA_10device_ptrIjEEEEjNS1_16block_id_wrapperIjLb0EEEEEvT_jjPNSI_10value_typeET0_PNSt15iterator_traitsISL_E10value_typeEmT1_T2_
	.globl	_ZN7rocprim17ROCPRIM_400000_NS6detail30init_device_scan_by_key_kernelINS1_19lookback_scan_stateINS0_5tupleIJ11FixedVectorIiLj4EEbEEELb1ELb0EEEN6thrust23THRUST_200600_302600_NS6detail15normal_iteratorINSA_10device_ptrIjEEEEjNS1_16block_id_wrapperIjLb0EEEEEvT_jjPNSI_10value_typeET0_PNSt15iterator_traitsISL_E10value_typeEmT1_T2_
	.p2align	8
	.type	_ZN7rocprim17ROCPRIM_400000_NS6detail30init_device_scan_by_key_kernelINS1_19lookback_scan_stateINS0_5tupleIJ11FixedVectorIiLj4EEbEEELb1ELb0EEEN6thrust23THRUST_200600_302600_NS6detail15normal_iteratorINSA_10device_ptrIjEEEEjNS1_16block_id_wrapperIjLb0EEEEEvT_jjPNSI_10value_typeET0_PNSt15iterator_traitsISL_E10value_typeEmT1_T2_,@function
_ZN7rocprim17ROCPRIM_400000_NS6detail30init_device_scan_by_key_kernelINS1_19lookback_scan_stateINS0_5tupleIJ11FixedVectorIiLj4EEbEEELb1ELb0EEEN6thrust23THRUST_200600_302600_NS6detail15normal_iteratorINSA_10device_ptrIjEEEEjNS1_16block_id_wrapperIjLb0EEEEEvT_jjPNSI_10value_typeET0_PNSt15iterator_traitsISL_E10value_typeEmT1_T2_: ; @_ZN7rocprim17ROCPRIM_400000_NS6detail30init_device_scan_by_key_kernelINS1_19lookback_scan_stateINS0_5tupleIJ11FixedVectorIiLj4EEbEEELb1ELb0EEEN6thrust23THRUST_200600_302600_NS6detail15normal_iteratorINSA_10device_ptrIjEEEEjNS1_16block_id_wrapperIjLb0EEEEEvT_jjPNSI_10value_typeET0_PNSt15iterator_traitsISL_E10value_typeEmT1_T2_
; %bb.0:
	s_clause 0x1
	s_load_b32 s12, s[2:3], 0x54
	s_load_b32 s18, s[2:3], 0x48
	s_bfe_u32 s13, ttmp6, 0x4000c
	s_load_b256 s[4:11], s[2:3], 0x10
	s_add_co_i32 s13, s13, 1
	s_and_b32 s14, ttmp6, 15
	s_mul_i32 s13, ttmp9, s13
	s_getreg_b32 s15, hwreg(HW_REG_IB_STS2, 6, 4)
	v_and_b32_e32 v1, 0x3ff, v0
	s_add_co_i32 s14, s14, s13
	s_wait_kmcnt 0x0
	s_and_b32 s19, s12, 0xffff
	s_cmp_eq_u32 s15, 0
	s_cselect_b32 s12, ttmp9, s14
	s_cmp_eq_u64 s[8:9], 0
	v_mad_u32 v2, s12, s19, v1
	s_cbranch_scc1 .LBB2053_11
; %bb.1:
	s_cmp_lt_u32 s7, s6
	s_mov_b32 s20, exec_lo
	s_cselect_b32 s12, s7, 0
	s_delay_alu instid0(VALU_DEP_1) | instid1(SALU_CYCLE_1)
	v_cmpx_eq_u32_e64 s12, v2
	s_cbranch_execz .LBB2053_10
; %bb.2:
	s_load_b64 s[12:13], s[0:1], 0x4
	v_bfe_u32 v3, v0, 10, 10
	v_bfe_u32 v0, v0, 20, 10
	s_wait_kmcnt 0x0
	s_lshr_b32 s0, s12, 16
	s_delay_alu instid0(VALU_DEP_2) | instskip(SKIP_4) | instid1(VALU_DEP_1)
	v_mul_u32_u24_e32 v3, s13, v3
	s_mul_i32 s0, s0, s13
	s_load_b128 s[12:15], s[2:3], 0x0
	v_mul_lo_u32 v1, s0, v1
	s_mov_b32 s0, 0
	v_add3_u32 v0, v1, v3, v0
	v_mov_b32_e32 v1, 0
	s_delay_alu instid0(VALU_DEP_2)
	v_mul_lo_u32 v0, v0, 20
	ds_store_2addr_b32 v0, v1, v1 offset0:2 offset1:3
	ds_store_2addr_b32 v0, v1, v1 offset1:1
	ds_store_b32 v0, v1 offset:16
.LBB2053_3:                             ; =>This Inner Loop Header: Depth=1
	v_add_nc_u32_e32 v3, s0, v0
	s_add_co_i32 s0, s0, 8
	s_delay_alu instid0(SALU_CYCLE_1)
	s_cmp_lg_u32 s0, 16
	ds_store_2addr_b32 v3, v1, v1 offset1:1
	s_cbranch_scc1 .LBB2053_3
; %bb.4:
	s_add_co_i32 s0, s7, 32
	s_delay_alu instid0(SALU_CYCLE_1)
	v_dual_mov_b32 v1, 0 :: v_dual_mov_b32 v3, s0
	s_mov_b32 s1, 0
	ds_store_b8 v0, v1 offset:16
	global_load_u8 v3, v3, s[4:5] scope:SCOPE_DEV
	s_wait_loadcnt 0x0
	v_and_b32_e32 v4, 0xffff, v3
	v_readfirstlane_b32 s21, v3
	s_delay_alu instid0(VALU_DEP_2)
	v_cmp_ne_u32_e32 vcc_lo, 0, v4
	s_cbranch_vccnz .LBB2053_9
; %bb.5:
	s_add_nc_u64 s[16:17], s[4:5], s[0:1]
	s_mov_b32 s7, 1
.LBB2053_6:                             ; =>This Loop Header: Depth=1
                                        ;     Child Loop BB2053_7 Depth 2
	s_delay_alu instid0(SALU_CYCLE_1)
	s_mov_b32 s21, s7
.LBB2053_7:                             ;   Parent Loop BB2053_6 Depth=1
                                        ; =>  This Inner Loop Header: Depth=2
	s_delay_alu instid0(SALU_CYCLE_1)
	s_add_co_i32 s21, s21, -1
	s_sleep 1
	s_cmp_eq_u32 s21, 0
	s_cbranch_scc0 .LBB2053_7
; %bb.8:                                ;   in Loop: Header=BB2053_6 Depth=1
	global_load_u8 v3, v1, s[16:17] scope:SCOPE_DEV
	s_cmp_lt_u32 s7, 32
	s_cselect_b32 s21, -1, 0
	s_delay_alu instid0(SALU_CYCLE_1) | instskip(SKIP_4) | instid1(VALU_DEP_2)
	s_cmp_lg_u32 s21, 0
	s_add_co_ci_u32 s7, s7, 0
	s_wait_loadcnt 0x0
	v_and_b32_e32 v4, 0xffff, v3
	v_readfirstlane_b32 s21, v3
	v_cmp_ne_u32_e32 vcc_lo, 0, v4
	s_cbranch_vccz .LBB2053_6
.LBB2053_9:
	s_and_b32 s7, 0xffff, s21
	v_mov_b32_e32 v1, 0
	s_cmp_eq_u32 s7, 1
	s_mul_u64 s[0:1], s[0:1], 20
	s_wait_kmcnt 0x0
	s_cselect_b32 s13, s13, s15
	s_cselect_b32 s12, s12, s14
	global_wb scope:SCOPE_DEV
	s_wait_storecnt_dscnt 0x0
	global_inv scope:SCOPE_DEV
	s_add_nc_u64 s[0:1], s[12:13], s[0:1]
	s_clause 0x1
	global_load_b128 v[4:7], v1, s[0:1]
	global_load_u8 v3, v1, s[0:1] offset:16
	s_wait_loadcnt 0x1
	ds_store_2addr_b32 v0, v4, v5 offset1:1
	ds_store_2addr_b32 v0, v6, v7 offset0:2 offset1:3
	global_store_b128 v1, v[4:7], s[8:9]
	s_wait_loadcnt 0x0
	global_store_b8 v1, v3, s[8:9] offset:16
.LBB2053_10:
	s_wait_xcnt 0x0
	s_or_b32 exec_lo, exec_lo, s20
.LBB2053_11:
	s_delay_alu instid0(SALU_CYCLE_1) | instskip(NEXT) | instid1(VALU_DEP_1)
	s_mov_b32 s0, exec_lo
	v_cmpx_gt_u32_e64 s6, v2
	s_cbranch_execz .LBB2053_13
; %bb.12:
	v_dual_mov_b32 v1, 0 :: v_dual_add_nc_u32 v0, 32, v2
	global_store_b8 v0, v1, s[4:5]
.LBB2053_13:
	s_wait_xcnt 0x0
	s_or_b32 exec_lo, exec_lo, s0
	v_mov_b32_e32 v3, 0
	s_mov_b32 s0, exec_lo
	v_cmpx_gt_u32_e32 32, v2
	s_cbranch_execz .LBB2053_15
; %bb.14:
	s_delay_alu instid0(VALU_DEP_2)
	v_add_nc_u64_e32 v[0:1], s[4:5], v[2:3]
	v_mov_b32_e32 v4, 0xff
	global_store_b8 v[0:1], v4, off
.LBB2053_15:
	s_wait_xcnt 0x0
	s_or_b32 exec_lo, exec_lo, s0
	s_load_b64 s[0:1], s[2:3], 0x38
	s_mov_b32 s4, exec_lo
	s_wait_kmcnt 0x0
	v_cmpx_gt_u64_e64 s[0:1], v[2:3]
	s_cbranch_execz .LBB2053_18
; %bb.16:
	s_clause 0x1
	s_load_b32 s4, s[2:3], 0x40
	s_load_b64 s[6:7], s[2:3], 0x30
	s_mov_b32 s5, 0
	s_wait_xcnt 0x0
	s_mul_i32 s2, s18, s19
	s_mov_b32 s9, s5
	s_mov_b32 s3, s5
	s_wait_kmcnt 0x0
	v_mul_u64_e32 v[0:1], s[4:5], v[2:3]
	s_add_co_i32 s8, s4, -1
	v_lshl_add_u64 v[4:5], v[2:3], 2, s[6:7]
	s_lshl_b64 s[8:9], s[8:9], 2
	s_delay_alu instid0(SALU_CYCLE_1) | instskip(SKIP_1) | instid1(SALU_CYCLE_1)
	s_add_nc_u64 s[8:9], s[10:11], s[8:9]
	s_mul_u64 s[10:11], s[4:5], s[2:3]
	s_lshl_b64 s[6:7], s[10:11], 2
	s_delay_alu instid0(VALU_DEP_2)
	v_lshl_add_u64 v[0:1], v[0:1], 2, s[8:9]
	s_lshl_b64 s[8:9], s[2:3], 2
.LBB2053_17:                            ; =>This Inner Loop Header: Depth=1
	global_load_b32 v6, v[0:1], off
	v_add_nc_u64_e32 v[2:3], s[2:3], v[2:3]
	s_wait_xcnt 0x0
	v_add_nc_u64_e32 v[0:1], s[6:7], v[0:1]
	s_delay_alu instid0(VALU_DEP_2)
	v_cmp_le_u64_e32 vcc_lo, s[0:1], v[2:3]
	s_or_b32 s5, vcc_lo, s5
	s_wait_loadcnt 0x0
	global_store_b32 v[4:5], v6, off
	s_wait_xcnt 0x0
	v_add_nc_u64_e32 v[4:5], s[8:9], v[4:5]
	s_and_not1_b32 exec_lo, exec_lo, s5
	s_cbranch_execnz .LBB2053_17
.LBB2053_18:
	s_endpgm
	.section	.rodata,"a",@progbits
	.p2align	6, 0x0
	.amdhsa_kernel _ZN7rocprim17ROCPRIM_400000_NS6detail30init_device_scan_by_key_kernelINS1_19lookback_scan_stateINS0_5tupleIJ11FixedVectorIiLj4EEbEEELb1ELb0EEEN6thrust23THRUST_200600_302600_NS6detail15normal_iteratorINSA_10device_ptrIjEEEEjNS1_16block_id_wrapperIjLb0EEEEEvT_jjPNSI_10value_typeET0_PNSt15iterator_traitsISL_E10value_typeEmT1_T2_
		.amdhsa_group_segment_fixed_size 5120
		.amdhsa_private_segment_fixed_size 0
		.amdhsa_kernarg_size 328
		.amdhsa_user_sgpr_count 4
		.amdhsa_user_sgpr_dispatch_ptr 1
		.amdhsa_user_sgpr_queue_ptr 0
		.amdhsa_user_sgpr_kernarg_segment_ptr 1
		.amdhsa_user_sgpr_dispatch_id 0
		.amdhsa_user_sgpr_kernarg_preload_length 0
		.amdhsa_user_sgpr_kernarg_preload_offset 0
		.amdhsa_user_sgpr_private_segment_size 0
		.amdhsa_wavefront_size32 1
		.amdhsa_uses_dynamic_stack 0
		.amdhsa_enable_private_segment 0
		.amdhsa_system_sgpr_workgroup_id_x 1
		.amdhsa_system_sgpr_workgroup_id_y 0
		.amdhsa_system_sgpr_workgroup_id_z 0
		.amdhsa_system_sgpr_workgroup_info 0
		.amdhsa_system_vgpr_workitem_id 2
		.amdhsa_next_free_vgpr 8
		.amdhsa_next_free_sgpr 22
		.amdhsa_named_barrier_count 0
		.amdhsa_reserve_vcc 1
		.amdhsa_float_round_mode_32 0
		.amdhsa_float_round_mode_16_64 0
		.amdhsa_float_denorm_mode_32 3
		.amdhsa_float_denorm_mode_16_64 3
		.amdhsa_fp16_overflow 0
		.amdhsa_memory_ordered 1
		.amdhsa_forward_progress 1
		.amdhsa_inst_pref_size 7
		.amdhsa_round_robin_scheduling 0
		.amdhsa_exception_fp_ieee_invalid_op 0
		.amdhsa_exception_fp_denorm_src 0
		.amdhsa_exception_fp_ieee_div_zero 0
		.amdhsa_exception_fp_ieee_overflow 0
		.amdhsa_exception_fp_ieee_underflow 0
		.amdhsa_exception_fp_ieee_inexact 0
		.amdhsa_exception_int_div_zero 0
	.end_amdhsa_kernel
	.section	.text._ZN7rocprim17ROCPRIM_400000_NS6detail30init_device_scan_by_key_kernelINS1_19lookback_scan_stateINS0_5tupleIJ11FixedVectorIiLj4EEbEEELb1ELb0EEEN6thrust23THRUST_200600_302600_NS6detail15normal_iteratorINSA_10device_ptrIjEEEEjNS1_16block_id_wrapperIjLb0EEEEEvT_jjPNSI_10value_typeET0_PNSt15iterator_traitsISL_E10value_typeEmT1_T2_,"axG",@progbits,_ZN7rocprim17ROCPRIM_400000_NS6detail30init_device_scan_by_key_kernelINS1_19lookback_scan_stateINS0_5tupleIJ11FixedVectorIiLj4EEbEEELb1ELb0EEEN6thrust23THRUST_200600_302600_NS6detail15normal_iteratorINSA_10device_ptrIjEEEEjNS1_16block_id_wrapperIjLb0EEEEEvT_jjPNSI_10value_typeET0_PNSt15iterator_traitsISL_E10value_typeEmT1_T2_,comdat
.Lfunc_end2053:
	.size	_ZN7rocprim17ROCPRIM_400000_NS6detail30init_device_scan_by_key_kernelINS1_19lookback_scan_stateINS0_5tupleIJ11FixedVectorIiLj4EEbEEELb1ELb0EEEN6thrust23THRUST_200600_302600_NS6detail15normal_iteratorINSA_10device_ptrIjEEEEjNS1_16block_id_wrapperIjLb0EEEEEvT_jjPNSI_10value_typeET0_PNSt15iterator_traitsISL_E10value_typeEmT1_T2_, .Lfunc_end2053-_ZN7rocprim17ROCPRIM_400000_NS6detail30init_device_scan_by_key_kernelINS1_19lookback_scan_stateINS0_5tupleIJ11FixedVectorIiLj4EEbEEELb1ELb0EEEN6thrust23THRUST_200600_302600_NS6detail15normal_iteratorINSA_10device_ptrIjEEEEjNS1_16block_id_wrapperIjLb0EEEEEvT_jjPNSI_10value_typeET0_PNSt15iterator_traitsISL_E10value_typeEmT1_T2_
                                        ; -- End function
	.set _ZN7rocprim17ROCPRIM_400000_NS6detail30init_device_scan_by_key_kernelINS1_19lookback_scan_stateINS0_5tupleIJ11FixedVectorIiLj4EEbEEELb1ELb0EEEN6thrust23THRUST_200600_302600_NS6detail15normal_iteratorINSA_10device_ptrIjEEEEjNS1_16block_id_wrapperIjLb0EEEEEvT_jjPNSI_10value_typeET0_PNSt15iterator_traitsISL_E10value_typeEmT1_T2_.num_vgpr, 8
	.set _ZN7rocprim17ROCPRIM_400000_NS6detail30init_device_scan_by_key_kernelINS1_19lookback_scan_stateINS0_5tupleIJ11FixedVectorIiLj4EEbEEELb1ELb0EEEN6thrust23THRUST_200600_302600_NS6detail15normal_iteratorINSA_10device_ptrIjEEEEjNS1_16block_id_wrapperIjLb0EEEEEvT_jjPNSI_10value_typeET0_PNSt15iterator_traitsISL_E10value_typeEmT1_T2_.num_agpr, 0
	.set _ZN7rocprim17ROCPRIM_400000_NS6detail30init_device_scan_by_key_kernelINS1_19lookback_scan_stateINS0_5tupleIJ11FixedVectorIiLj4EEbEEELb1ELb0EEEN6thrust23THRUST_200600_302600_NS6detail15normal_iteratorINSA_10device_ptrIjEEEEjNS1_16block_id_wrapperIjLb0EEEEEvT_jjPNSI_10value_typeET0_PNSt15iterator_traitsISL_E10value_typeEmT1_T2_.numbered_sgpr, 22
	.set _ZN7rocprim17ROCPRIM_400000_NS6detail30init_device_scan_by_key_kernelINS1_19lookback_scan_stateINS0_5tupleIJ11FixedVectorIiLj4EEbEEELb1ELb0EEEN6thrust23THRUST_200600_302600_NS6detail15normal_iteratorINSA_10device_ptrIjEEEEjNS1_16block_id_wrapperIjLb0EEEEEvT_jjPNSI_10value_typeET0_PNSt15iterator_traitsISL_E10value_typeEmT1_T2_.num_named_barrier, 0
	.set _ZN7rocprim17ROCPRIM_400000_NS6detail30init_device_scan_by_key_kernelINS1_19lookback_scan_stateINS0_5tupleIJ11FixedVectorIiLj4EEbEEELb1ELb0EEEN6thrust23THRUST_200600_302600_NS6detail15normal_iteratorINSA_10device_ptrIjEEEEjNS1_16block_id_wrapperIjLb0EEEEEvT_jjPNSI_10value_typeET0_PNSt15iterator_traitsISL_E10value_typeEmT1_T2_.private_seg_size, 0
	.set _ZN7rocprim17ROCPRIM_400000_NS6detail30init_device_scan_by_key_kernelINS1_19lookback_scan_stateINS0_5tupleIJ11FixedVectorIiLj4EEbEEELb1ELb0EEEN6thrust23THRUST_200600_302600_NS6detail15normal_iteratorINSA_10device_ptrIjEEEEjNS1_16block_id_wrapperIjLb0EEEEEvT_jjPNSI_10value_typeET0_PNSt15iterator_traitsISL_E10value_typeEmT1_T2_.uses_vcc, 1
	.set _ZN7rocprim17ROCPRIM_400000_NS6detail30init_device_scan_by_key_kernelINS1_19lookback_scan_stateINS0_5tupleIJ11FixedVectorIiLj4EEbEEELb1ELb0EEEN6thrust23THRUST_200600_302600_NS6detail15normal_iteratorINSA_10device_ptrIjEEEEjNS1_16block_id_wrapperIjLb0EEEEEvT_jjPNSI_10value_typeET0_PNSt15iterator_traitsISL_E10value_typeEmT1_T2_.uses_flat_scratch, 0
	.set _ZN7rocprim17ROCPRIM_400000_NS6detail30init_device_scan_by_key_kernelINS1_19lookback_scan_stateINS0_5tupleIJ11FixedVectorIiLj4EEbEEELb1ELb0EEEN6thrust23THRUST_200600_302600_NS6detail15normal_iteratorINSA_10device_ptrIjEEEEjNS1_16block_id_wrapperIjLb0EEEEEvT_jjPNSI_10value_typeET0_PNSt15iterator_traitsISL_E10value_typeEmT1_T2_.has_dyn_sized_stack, 0
	.set _ZN7rocprim17ROCPRIM_400000_NS6detail30init_device_scan_by_key_kernelINS1_19lookback_scan_stateINS0_5tupleIJ11FixedVectorIiLj4EEbEEELb1ELb0EEEN6thrust23THRUST_200600_302600_NS6detail15normal_iteratorINSA_10device_ptrIjEEEEjNS1_16block_id_wrapperIjLb0EEEEEvT_jjPNSI_10value_typeET0_PNSt15iterator_traitsISL_E10value_typeEmT1_T2_.has_recursion, 0
	.set _ZN7rocprim17ROCPRIM_400000_NS6detail30init_device_scan_by_key_kernelINS1_19lookback_scan_stateINS0_5tupleIJ11FixedVectorIiLj4EEbEEELb1ELb0EEEN6thrust23THRUST_200600_302600_NS6detail15normal_iteratorINSA_10device_ptrIjEEEEjNS1_16block_id_wrapperIjLb0EEEEEvT_jjPNSI_10value_typeET0_PNSt15iterator_traitsISL_E10value_typeEmT1_T2_.has_indirect_call, 0
	.section	.AMDGPU.csdata,"",@progbits
; Kernel info:
; codeLenInByte = 876
; TotalNumSgprs: 24
; NumVgprs: 8
; ScratchSize: 0
; MemoryBound: 0
; FloatMode: 240
; IeeeMode: 1
; LDSByteSize: 5120 bytes/workgroup (compile time only)
; SGPRBlocks: 0
; VGPRBlocks: 0
; NumSGPRsForWavesPerEU: 24
; NumVGPRsForWavesPerEU: 8
; NamedBarCnt: 0
; Occupancy: 16
; WaveLimiterHint : 0
; COMPUTE_PGM_RSRC2:SCRATCH_EN: 0
; COMPUTE_PGM_RSRC2:USER_SGPR: 4
; COMPUTE_PGM_RSRC2:TRAP_HANDLER: 0
; COMPUTE_PGM_RSRC2:TGID_X_EN: 1
; COMPUTE_PGM_RSRC2:TGID_Y_EN: 0
; COMPUTE_PGM_RSRC2:TGID_Z_EN: 0
; COMPUTE_PGM_RSRC2:TIDIG_COMP_CNT: 2
	.section	.text._ZN7rocprim17ROCPRIM_400000_NS6detail30init_device_scan_by_key_kernelINS1_19lookback_scan_stateINS0_5tupleIJ11FixedVectorIiLj4EEbEEELb1ELb0EEENS1_16block_id_wrapperIjLb0EEEEEvT_jjPNSB_10value_typeET0_,"axG",@progbits,_ZN7rocprim17ROCPRIM_400000_NS6detail30init_device_scan_by_key_kernelINS1_19lookback_scan_stateINS0_5tupleIJ11FixedVectorIiLj4EEbEEELb1ELb0EEENS1_16block_id_wrapperIjLb0EEEEEvT_jjPNSB_10value_typeET0_,comdat
	.protected	_ZN7rocprim17ROCPRIM_400000_NS6detail30init_device_scan_by_key_kernelINS1_19lookback_scan_stateINS0_5tupleIJ11FixedVectorIiLj4EEbEEELb1ELb0EEENS1_16block_id_wrapperIjLb0EEEEEvT_jjPNSB_10value_typeET0_ ; -- Begin function _ZN7rocprim17ROCPRIM_400000_NS6detail30init_device_scan_by_key_kernelINS1_19lookback_scan_stateINS0_5tupleIJ11FixedVectorIiLj4EEbEEELb1ELb0EEENS1_16block_id_wrapperIjLb0EEEEEvT_jjPNSB_10value_typeET0_
	.globl	_ZN7rocprim17ROCPRIM_400000_NS6detail30init_device_scan_by_key_kernelINS1_19lookback_scan_stateINS0_5tupleIJ11FixedVectorIiLj4EEbEEELb1ELb0EEENS1_16block_id_wrapperIjLb0EEEEEvT_jjPNSB_10value_typeET0_
	.p2align	8
	.type	_ZN7rocprim17ROCPRIM_400000_NS6detail30init_device_scan_by_key_kernelINS1_19lookback_scan_stateINS0_5tupleIJ11FixedVectorIiLj4EEbEEELb1ELb0EEENS1_16block_id_wrapperIjLb0EEEEEvT_jjPNSB_10value_typeET0_,@function
_ZN7rocprim17ROCPRIM_400000_NS6detail30init_device_scan_by_key_kernelINS1_19lookback_scan_stateINS0_5tupleIJ11FixedVectorIiLj4EEbEEELb1ELb0EEENS1_16block_id_wrapperIjLb0EEEEEvT_jjPNSB_10value_typeET0_: ; @_ZN7rocprim17ROCPRIM_400000_NS6detail30init_device_scan_by_key_kernelINS1_19lookback_scan_stateINS0_5tupleIJ11FixedVectorIiLj4EEbEEELb1ELb0EEENS1_16block_id_wrapperIjLb0EEEEEvT_jjPNSB_10value_typeET0_
; %bb.0:
	s_load_b32 s8, s[2:3], 0x3c
	s_bfe_u32 s9, ttmp6, 0x4000c
	s_clause 0x1
	s_load_b128 s[4:7], s[2:3], 0x10
	s_load_b64 s[12:13], s[2:3], 0x20
	s_add_co_i32 s9, s9, 1
	s_and_b32 s10, ttmp6, 15
	s_mul_i32 s9, ttmp9, s9
	s_getreg_b32 s11, hwreg(HW_REG_IB_STS2, 6, 4)
	v_and_b32_e32 v2, 0x3ff, v0
	s_add_co_i32 s10, s10, s9
	s_wait_kmcnt 0x0
	s_and_b32 s8, s8, 0xffff
	s_cmp_eq_u32 s11, 0
	s_cselect_b32 s9, ttmp9, s10
	s_cmp_eq_u64 s[12:13], 0
	v_mad_u32 v1, s9, s8, v2
	s_cbranch_scc1 .LBB2054_11
; %bb.1:
	s_cmp_lt_u32 s7, s6
	s_mov_b32 s14, exec_lo
	s_cselect_b32 s8, s7, 0
	s_delay_alu instid0(VALU_DEP_1) | instid1(SALU_CYCLE_1)
	v_cmpx_eq_u32_e64 s8, v1
	s_cbranch_execz .LBB2054_10
; %bb.2:
	s_load_b64 s[8:9], s[0:1], 0x4
	v_bfe_u32 v3, v0, 10, 10
	v_bfe_u32 v0, v0, 20, 10
	s_wait_kmcnt 0x0
	s_lshr_b32 s0, s8, 16
	s_delay_alu instid0(VALU_DEP_2) | instskip(SKIP_4) | instid1(VALU_DEP_1)
	v_mul_u32_u24_e32 v3, s9, v3
	s_mul_i32 s0, s0, s9
	s_load_b128 s[8:11], s[2:3], 0x0
	v_mul_lo_u32 v2, s0, v2
	s_mov_b32 s0, 0
	v_add3_u32 v0, v2, v3, v0
	v_mov_b32_e32 v2, 0
	s_delay_alu instid0(VALU_DEP_2)
	v_mul_lo_u32 v0, v0, 20
	ds_store_2addr_b32 v0, v2, v2 offset0:2 offset1:3
	ds_store_2addr_b32 v0, v2, v2 offset1:1
	ds_store_b32 v0, v2 offset:16
.LBB2054_3:                             ; =>This Inner Loop Header: Depth=1
	v_add_nc_u32_e32 v3, s0, v0
	s_add_co_i32 s0, s0, 8
	s_delay_alu instid0(SALU_CYCLE_1)
	s_cmp_lg_u32 s0, 16
	ds_store_2addr_b32 v3, v2, v2 offset1:1
	s_cbranch_scc1 .LBB2054_3
; %bb.4:
	s_add_co_i32 s0, s7, 32
	s_delay_alu instid0(SALU_CYCLE_1)
	v_dual_mov_b32 v2, 0 :: v_dual_mov_b32 v3, s0
	s_mov_b32 s1, 0
	ds_store_b8 v0, v2 offset:16
	global_load_u8 v3, v3, s[4:5] scope:SCOPE_DEV
	s_wait_loadcnt 0x0
	v_and_b32_e32 v4, 0xffff, v3
	v_readfirstlane_b32 s15, v3
	s_delay_alu instid0(VALU_DEP_2)
	v_cmp_ne_u32_e32 vcc_lo, 0, v4
	s_cbranch_vccnz .LBB2054_9
; %bb.5:
	s_add_nc_u64 s[2:3], s[4:5], s[0:1]
	s_mov_b32 s7, 1
.LBB2054_6:                             ; =>This Loop Header: Depth=1
                                        ;     Child Loop BB2054_7 Depth 2
	s_delay_alu instid0(SALU_CYCLE_1)
	s_mov_b32 s15, s7
.LBB2054_7:                             ;   Parent Loop BB2054_6 Depth=1
                                        ; =>  This Inner Loop Header: Depth=2
	s_delay_alu instid0(SALU_CYCLE_1)
	s_add_co_i32 s15, s15, -1
	s_sleep 1
	s_cmp_eq_u32 s15, 0
	s_cbranch_scc0 .LBB2054_7
; %bb.8:                                ;   in Loop: Header=BB2054_6 Depth=1
	global_load_u8 v3, v2, s[2:3] scope:SCOPE_DEV
	s_cmp_lt_u32 s7, 32
	s_cselect_b32 s15, -1, 0
	s_delay_alu instid0(SALU_CYCLE_1) | instskip(SKIP_4) | instid1(VALU_DEP_2)
	s_cmp_lg_u32 s15, 0
	s_add_co_ci_u32 s7, s7, 0
	s_wait_loadcnt 0x0
	v_and_b32_e32 v4, 0xffff, v3
	v_readfirstlane_b32 s15, v3
	v_cmp_ne_u32_e32 vcc_lo, 0, v4
	s_cbranch_vccz .LBB2054_6
.LBB2054_9:
	s_and_b32 s2, 0xffff, s15
	v_mov_b32_e32 v6, 0
	s_cmp_eq_u32 s2, 1
	s_mul_u64 s[0:1], s[0:1], 20
	s_wait_kmcnt 0x0
	s_cselect_b32 s3, s9, s11
	s_cselect_b32 s2, s8, s10
	global_wb scope:SCOPE_DEV
	s_wait_storecnt_dscnt 0x0
	global_inv scope:SCOPE_DEV
	s_add_nc_u64 s[0:1], s[2:3], s[0:1]
	s_clause 0x1
	global_load_b128 v[2:5], v6, s[0:1]
	global_load_u8 v7, v6, s[0:1] offset:16
	s_wait_loadcnt 0x1
	ds_store_2addr_b32 v0, v2, v3 offset1:1
	ds_store_2addr_b32 v0, v4, v5 offset0:2 offset1:3
	global_store_b128 v6, v[2:5], s[12:13]
	s_wait_loadcnt 0x0
	global_store_b8 v6, v7, s[12:13] offset:16
.LBB2054_10:
	s_wait_xcnt 0x0
	s_or_b32 exec_lo, exec_lo, s14
.LBB2054_11:
	s_delay_alu instid0(SALU_CYCLE_1) | instskip(NEXT) | instid1(VALU_DEP_1)
	s_mov_b32 s0, exec_lo
	v_cmpx_gt_u32_e64 s6, v1
	s_cbranch_execz .LBB2054_13
; %bb.12:
	v_dual_add_nc_u32 v0, 32, v1 :: v_dual_mov_b32 v2, 0
	global_store_b8 v0, v2, s[4:5]
.LBB2054_13:
	s_wait_xcnt 0x0
	s_or_b32 exec_lo, exec_lo, s0
	s_delay_alu instid0(SALU_CYCLE_1)
	s_mov_b32 s0, exec_lo
	v_cmpx_gt_u32_e32 32, v1
	s_cbranch_execz .LBB2054_15
; %bb.14:
	v_mov_b32_e32 v0, 0xff
	global_store_b8 v1, v0, s[4:5]
.LBB2054_15:
	s_endpgm
	.section	.rodata,"a",@progbits
	.p2align	6, 0x0
	.amdhsa_kernel _ZN7rocprim17ROCPRIM_400000_NS6detail30init_device_scan_by_key_kernelINS1_19lookback_scan_stateINS0_5tupleIJ11FixedVectorIiLj4EEbEEELb1ELb0EEENS1_16block_id_wrapperIjLb0EEEEEvT_jjPNSB_10value_typeET0_
		.amdhsa_group_segment_fixed_size 5120
		.amdhsa_private_segment_fixed_size 0
		.amdhsa_kernarg_size 304
		.amdhsa_user_sgpr_count 4
		.amdhsa_user_sgpr_dispatch_ptr 1
		.amdhsa_user_sgpr_queue_ptr 0
		.amdhsa_user_sgpr_kernarg_segment_ptr 1
		.amdhsa_user_sgpr_dispatch_id 0
		.amdhsa_user_sgpr_kernarg_preload_length 0
		.amdhsa_user_sgpr_kernarg_preload_offset 0
		.amdhsa_user_sgpr_private_segment_size 0
		.amdhsa_wavefront_size32 1
		.amdhsa_uses_dynamic_stack 0
		.amdhsa_enable_private_segment 0
		.amdhsa_system_sgpr_workgroup_id_x 1
		.amdhsa_system_sgpr_workgroup_id_y 0
		.amdhsa_system_sgpr_workgroup_id_z 0
		.amdhsa_system_sgpr_workgroup_info 0
		.amdhsa_system_vgpr_workitem_id 2
		.amdhsa_next_free_vgpr 8
		.amdhsa_next_free_sgpr 16
		.amdhsa_named_barrier_count 0
		.amdhsa_reserve_vcc 1
		.amdhsa_float_round_mode_32 0
		.amdhsa_float_round_mode_16_64 0
		.amdhsa_float_denorm_mode_32 3
		.amdhsa_float_denorm_mode_16_64 3
		.amdhsa_fp16_overflow 0
		.amdhsa_memory_ordered 1
		.amdhsa_forward_progress 1
		.amdhsa_inst_pref_size 6
		.amdhsa_round_robin_scheduling 0
		.amdhsa_exception_fp_ieee_invalid_op 0
		.amdhsa_exception_fp_denorm_src 0
		.amdhsa_exception_fp_ieee_div_zero 0
		.amdhsa_exception_fp_ieee_overflow 0
		.amdhsa_exception_fp_ieee_underflow 0
		.amdhsa_exception_fp_ieee_inexact 0
		.amdhsa_exception_int_div_zero 0
	.end_amdhsa_kernel
	.section	.text._ZN7rocprim17ROCPRIM_400000_NS6detail30init_device_scan_by_key_kernelINS1_19lookback_scan_stateINS0_5tupleIJ11FixedVectorIiLj4EEbEEELb1ELb0EEENS1_16block_id_wrapperIjLb0EEEEEvT_jjPNSB_10value_typeET0_,"axG",@progbits,_ZN7rocprim17ROCPRIM_400000_NS6detail30init_device_scan_by_key_kernelINS1_19lookback_scan_stateINS0_5tupleIJ11FixedVectorIiLj4EEbEEELb1ELb0EEENS1_16block_id_wrapperIjLb0EEEEEvT_jjPNSB_10value_typeET0_,comdat
.Lfunc_end2054:
	.size	_ZN7rocprim17ROCPRIM_400000_NS6detail30init_device_scan_by_key_kernelINS1_19lookback_scan_stateINS0_5tupleIJ11FixedVectorIiLj4EEbEEELb1ELb0EEENS1_16block_id_wrapperIjLb0EEEEEvT_jjPNSB_10value_typeET0_, .Lfunc_end2054-_ZN7rocprim17ROCPRIM_400000_NS6detail30init_device_scan_by_key_kernelINS1_19lookback_scan_stateINS0_5tupleIJ11FixedVectorIiLj4EEbEEELb1ELb0EEENS1_16block_id_wrapperIjLb0EEEEEvT_jjPNSB_10value_typeET0_
                                        ; -- End function
	.set _ZN7rocprim17ROCPRIM_400000_NS6detail30init_device_scan_by_key_kernelINS1_19lookback_scan_stateINS0_5tupleIJ11FixedVectorIiLj4EEbEEELb1ELb0EEENS1_16block_id_wrapperIjLb0EEEEEvT_jjPNSB_10value_typeET0_.num_vgpr, 8
	.set _ZN7rocprim17ROCPRIM_400000_NS6detail30init_device_scan_by_key_kernelINS1_19lookback_scan_stateINS0_5tupleIJ11FixedVectorIiLj4EEbEEELb1ELb0EEENS1_16block_id_wrapperIjLb0EEEEEvT_jjPNSB_10value_typeET0_.num_agpr, 0
	.set _ZN7rocprim17ROCPRIM_400000_NS6detail30init_device_scan_by_key_kernelINS1_19lookback_scan_stateINS0_5tupleIJ11FixedVectorIiLj4EEbEEELb1ELb0EEENS1_16block_id_wrapperIjLb0EEEEEvT_jjPNSB_10value_typeET0_.numbered_sgpr, 16
	.set _ZN7rocprim17ROCPRIM_400000_NS6detail30init_device_scan_by_key_kernelINS1_19lookback_scan_stateINS0_5tupleIJ11FixedVectorIiLj4EEbEEELb1ELb0EEENS1_16block_id_wrapperIjLb0EEEEEvT_jjPNSB_10value_typeET0_.num_named_barrier, 0
	.set _ZN7rocprim17ROCPRIM_400000_NS6detail30init_device_scan_by_key_kernelINS1_19lookback_scan_stateINS0_5tupleIJ11FixedVectorIiLj4EEbEEELb1ELb0EEENS1_16block_id_wrapperIjLb0EEEEEvT_jjPNSB_10value_typeET0_.private_seg_size, 0
	.set _ZN7rocprim17ROCPRIM_400000_NS6detail30init_device_scan_by_key_kernelINS1_19lookback_scan_stateINS0_5tupleIJ11FixedVectorIiLj4EEbEEELb1ELb0EEENS1_16block_id_wrapperIjLb0EEEEEvT_jjPNSB_10value_typeET0_.uses_vcc, 1
	.set _ZN7rocprim17ROCPRIM_400000_NS6detail30init_device_scan_by_key_kernelINS1_19lookback_scan_stateINS0_5tupleIJ11FixedVectorIiLj4EEbEEELb1ELb0EEENS1_16block_id_wrapperIjLb0EEEEEvT_jjPNSB_10value_typeET0_.uses_flat_scratch, 0
	.set _ZN7rocprim17ROCPRIM_400000_NS6detail30init_device_scan_by_key_kernelINS1_19lookback_scan_stateINS0_5tupleIJ11FixedVectorIiLj4EEbEEELb1ELb0EEENS1_16block_id_wrapperIjLb0EEEEEvT_jjPNSB_10value_typeET0_.has_dyn_sized_stack, 0
	.set _ZN7rocprim17ROCPRIM_400000_NS6detail30init_device_scan_by_key_kernelINS1_19lookback_scan_stateINS0_5tupleIJ11FixedVectorIiLj4EEbEEELb1ELb0EEENS1_16block_id_wrapperIjLb0EEEEEvT_jjPNSB_10value_typeET0_.has_recursion, 0
	.set _ZN7rocprim17ROCPRIM_400000_NS6detail30init_device_scan_by_key_kernelINS1_19lookback_scan_stateINS0_5tupleIJ11FixedVectorIiLj4EEbEEELb1ELb0EEENS1_16block_id_wrapperIjLb0EEEEEvT_jjPNSB_10value_typeET0_.has_indirect_call, 0
	.section	.AMDGPU.csdata,"",@progbits
; Kernel info:
; codeLenInByte = 668
; TotalNumSgprs: 18
; NumVgprs: 8
; ScratchSize: 0
; MemoryBound: 0
; FloatMode: 240
; IeeeMode: 1
; LDSByteSize: 5120 bytes/workgroup (compile time only)
; SGPRBlocks: 0
; VGPRBlocks: 0
; NumSGPRsForWavesPerEU: 18
; NumVGPRsForWavesPerEU: 8
; NamedBarCnt: 0
; Occupancy: 16
; WaveLimiterHint : 0
; COMPUTE_PGM_RSRC2:SCRATCH_EN: 0
; COMPUTE_PGM_RSRC2:USER_SGPR: 4
; COMPUTE_PGM_RSRC2:TRAP_HANDLER: 0
; COMPUTE_PGM_RSRC2:TGID_X_EN: 1
; COMPUTE_PGM_RSRC2:TGID_Y_EN: 0
; COMPUTE_PGM_RSRC2:TGID_Z_EN: 0
; COMPUTE_PGM_RSRC2:TIDIG_COMP_CNT: 2
	.section	.text._ZN7rocprim17ROCPRIM_400000_NS6detail17trampoline_kernelINS0_14default_configENS1_27scan_by_key_config_selectorIj11FixedVectorIiLj4EEEEZZNS1_16scan_by_key_implILNS1_25lookback_scan_determinismE0ELb0ES3_N6thrust23THRUST_200600_302600_NS6detail15normal_iteratorINSB_10device_ptrIjEEEENSD_INSE_IS6_EEEESI_S6_NSB_4plusIvEENSB_8equal_toIvEES6_EE10hipError_tPvRmT2_T3_T4_T5_mT6_T7_P12ihipStream_tbENKUlT_T0_E_clISt17integral_constantIbLb1EES12_IbLb0EEEEDaSY_SZ_EUlSY_E_NS1_11comp_targetILNS1_3genE0ELNS1_11target_archE4294967295ELNS1_3gpuE0ELNS1_3repE0EEENS1_30default_config_static_selectorELNS0_4arch9wavefront6targetE0EEEvT1_,"axG",@progbits,_ZN7rocprim17ROCPRIM_400000_NS6detail17trampoline_kernelINS0_14default_configENS1_27scan_by_key_config_selectorIj11FixedVectorIiLj4EEEEZZNS1_16scan_by_key_implILNS1_25lookback_scan_determinismE0ELb0ES3_N6thrust23THRUST_200600_302600_NS6detail15normal_iteratorINSB_10device_ptrIjEEEENSD_INSE_IS6_EEEESI_S6_NSB_4plusIvEENSB_8equal_toIvEES6_EE10hipError_tPvRmT2_T3_T4_T5_mT6_T7_P12ihipStream_tbENKUlT_T0_E_clISt17integral_constantIbLb1EES12_IbLb0EEEEDaSY_SZ_EUlSY_E_NS1_11comp_targetILNS1_3genE0ELNS1_11target_archE4294967295ELNS1_3gpuE0ELNS1_3repE0EEENS1_30default_config_static_selectorELNS0_4arch9wavefront6targetE0EEEvT1_,comdat
	.protected	_ZN7rocprim17ROCPRIM_400000_NS6detail17trampoline_kernelINS0_14default_configENS1_27scan_by_key_config_selectorIj11FixedVectorIiLj4EEEEZZNS1_16scan_by_key_implILNS1_25lookback_scan_determinismE0ELb0ES3_N6thrust23THRUST_200600_302600_NS6detail15normal_iteratorINSB_10device_ptrIjEEEENSD_INSE_IS6_EEEESI_S6_NSB_4plusIvEENSB_8equal_toIvEES6_EE10hipError_tPvRmT2_T3_T4_T5_mT6_T7_P12ihipStream_tbENKUlT_T0_E_clISt17integral_constantIbLb1EES12_IbLb0EEEEDaSY_SZ_EUlSY_E_NS1_11comp_targetILNS1_3genE0ELNS1_11target_archE4294967295ELNS1_3gpuE0ELNS1_3repE0EEENS1_30default_config_static_selectorELNS0_4arch9wavefront6targetE0EEEvT1_ ; -- Begin function _ZN7rocprim17ROCPRIM_400000_NS6detail17trampoline_kernelINS0_14default_configENS1_27scan_by_key_config_selectorIj11FixedVectorIiLj4EEEEZZNS1_16scan_by_key_implILNS1_25lookback_scan_determinismE0ELb0ES3_N6thrust23THRUST_200600_302600_NS6detail15normal_iteratorINSB_10device_ptrIjEEEENSD_INSE_IS6_EEEESI_S6_NSB_4plusIvEENSB_8equal_toIvEES6_EE10hipError_tPvRmT2_T3_T4_T5_mT6_T7_P12ihipStream_tbENKUlT_T0_E_clISt17integral_constantIbLb1EES12_IbLb0EEEEDaSY_SZ_EUlSY_E_NS1_11comp_targetILNS1_3genE0ELNS1_11target_archE4294967295ELNS1_3gpuE0ELNS1_3repE0EEENS1_30default_config_static_selectorELNS0_4arch9wavefront6targetE0EEEvT1_
	.globl	_ZN7rocprim17ROCPRIM_400000_NS6detail17trampoline_kernelINS0_14default_configENS1_27scan_by_key_config_selectorIj11FixedVectorIiLj4EEEEZZNS1_16scan_by_key_implILNS1_25lookback_scan_determinismE0ELb0ES3_N6thrust23THRUST_200600_302600_NS6detail15normal_iteratorINSB_10device_ptrIjEEEENSD_INSE_IS6_EEEESI_S6_NSB_4plusIvEENSB_8equal_toIvEES6_EE10hipError_tPvRmT2_T3_T4_T5_mT6_T7_P12ihipStream_tbENKUlT_T0_E_clISt17integral_constantIbLb1EES12_IbLb0EEEEDaSY_SZ_EUlSY_E_NS1_11comp_targetILNS1_3genE0ELNS1_11target_archE4294967295ELNS1_3gpuE0ELNS1_3repE0EEENS1_30default_config_static_selectorELNS0_4arch9wavefront6targetE0EEEvT1_
	.p2align	8
	.type	_ZN7rocprim17ROCPRIM_400000_NS6detail17trampoline_kernelINS0_14default_configENS1_27scan_by_key_config_selectorIj11FixedVectorIiLj4EEEEZZNS1_16scan_by_key_implILNS1_25lookback_scan_determinismE0ELb0ES3_N6thrust23THRUST_200600_302600_NS6detail15normal_iteratorINSB_10device_ptrIjEEEENSD_INSE_IS6_EEEESI_S6_NSB_4plusIvEENSB_8equal_toIvEES6_EE10hipError_tPvRmT2_T3_T4_T5_mT6_T7_P12ihipStream_tbENKUlT_T0_E_clISt17integral_constantIbLb1EES12_IbLb0EEEEDaSY_SZ_EUlSY_E_NS1_11comp_targetILNS1_3genE0ELNS1_11target_archE4294967295ELNS1_3gpuE0ELNS1_3repE0EEENS1_30default_config_static_selectorELNS0_4arch9wavefront6targetE0EEEvT1_,@function
_ZN7rocprim17ROCPRIM_400000_NS6detail17trampoline_kernelINS0_14default_configENS1_27scan_by_key_config_selectorIj11FixedVectorIiLj4EEEEZZNS1_16scan_by_key_implILNS1_25lookback_scan_determinismE0ELb0ES3_N6thrust23THRUST_200600_302600_NS6detail15normal_iteratorINSB_10device_ptrIjEEEENSD_INSE_IS6_EEEESI_S6_NSB_4plusIvEENSB_8equal_toIvEES6_EE10hipError_tPvRmT2_T3_T4_T5_mT6_T7_P12ihipStream_tbENKUlT_T0_E_clISt17integral_constantIbLb1EES12_IbLb0EEEEDaSY_SZ_EUlSY_E_NS1_11comp_targetILNS1_3genE0ELNS1_11target_archE4294967295ELNS1_3gpuE0ELNS1_3repE0EEENS1_30default_config_static_selectorELNS0_4arch9wavefront6targetE0EEEvT1_: ; @_ZN7rocprim17ROCPRIM_400000_NS6detail17trampoline_kernelINS0_14default_configENS1_27scan_by_key_config_selectorIj11FixedVectorIiLj4EEEEZZNS1_16scan_by_key_implILNS1_25lookback_scan_determinismE0ELb0ES3_N6thrust23THRUST_200600_302600_NS6detail15normal_iteratorINSB_10device_ptrIjEEEENSD_INSE_IS6_EEEESI_S6_NSB_4plusIvEENSB_8equal_toIvEES6_EE10hipError_tPvRmT2_T3_T4_T5_mT6_T7_P12ihipStream_tbENKUlT_T0_E_clISt17integral_constantIbLb1EES12_IbLb0EEEEDaSY_SZ_EUlSY_E_NS1_11comp_targetILNS1_3genE0ELNS1_11target_archE4294967295ELNS1_3gpuE0ELNS1_3repE0EEENS1_30default_config_static_selectorELNS0_4arch9wavefront6targetE0EEEvT1_
; %bb.0:
	s_endpgm
	.section	.rodata,"a",@progbits
	.p2align	6, 0x0
	.amdhsa_kernel _ZN7rocprim17ROCPRIM_400000_NS6detail17trampoline_kernelINS0_14default_configENS1_27scan_by_key_config_selectorIj11FixedVectorIiLj4EEEEZZNS1_16scan_by_key_implILNS1_25lookback_scan_determinismE0ELb0ES3_N6thrust23THRUST_200600_302600_NS6detail15normal_iteratorINSB_10device_ptrIjEEEENSD_INSE_IS6_EEEESI_S6_NSB_4plusIvEENSB_8equal_toIvEES6_EE10hipError_tPvRmT2_T3_T4_T5_mT6_T7_P12ihipStream_tbENKUlT_T0_E_clISt17integral_constantIbLb1EES12_IbLb0EEEEDaSY_SZ_EUlSY_E_NS1_11comp_targetILNS1_3genE0ELNS1_11target_archE4294967295ELNS1_3gpuE0ELNS1_3repE0EEENS1_30default_config_static_selectorELNS0_4arch9wavefront6targetE0EEEvT1_
		.amdhsa_group_segment_fixed_size 0
		.amdhsa_private_segment_fixed_size 0
		.amdhsa_kernarg_size 144
		.amdhsa_user_sgpr_count 2
		.amdhsa_user_sgpr_dispatch_ptr 0
		.amdhsa_user_sgpr_queue_ptr 0
		.amdhsa_user_sgpr_kernarg_segment_ptr 1
		.amdhsa_user_sgpr_dispatch_id 0
		.amdhsa_user_sgpr_kernarg_preload_length 0
		.amdhsa_user_sgpr_kernarg_preload_offset 0
		.amdhsa_user_sgpr_private_segment_size 0
		.amdhsa_wavefront_size32 1
		.amdhsa_uses_dynamic_stack 0
		.amdhsa_enable_private_segment 0
		.amdhsa_system_sgpr_workgroup_id_x 1
		.amdhsa_system_sgpr_workgroup_id_y 0
		.amdhsa_system_sgpr_workgroup_id_z 0
		.amdhsa_system_sgpr_workgroup_info 0
		.amdhsa_system_vgpr_workitem_id 0
		.amdhsa_next_free_vgpr 1
		.amdhsa_next_free_sgpr 1
		.amdhsa_named_barrier_count 0
		.amdhsa_reserve_vcc 0
		.amdhsa_float_round_mode_32 0
		.amdhsa_float_round_mode_16_64 0
		.amdhsa_float_denorm_mode_32 3
		.amdhsa_float_denorm_mode_16_64 3
		.amdhsa_fp16_overflow 0
		.amdhsa_memory_ordered 1
		.amdhsa_forward_progress 1
		.amdhsa_inst_pref_size 1
		.amdhsa_round_robin_scheduling 0
		.amdhsa_exception_fp_ieee_invalid_op 0
		.amdhsa_exception_fp_denorm_src 0
		.amdhsa_exception_fp_ieee_div_zero 0
		.amdhsa_exception_fp_ieee_overflow 0
		.amdhsa_exception_fp_ieee_underflow 0
		.amdhsa_exception_fp_ieee_inexact 0
		.amdhsa_exception_int_div_zero 0
	.end_amdhsa_kernel
	.section	.text._ZN7rocprim17ROCPRIM_400000_NS6detail17trampoline_kernelINS0_14default_configENS1_27scan_by_key_config_selectorIj11FixedVectorIiLj4EEEEZZNS1_16scan_by_key_implILNS1_25lookback_scan_determinismE0ELb0ES3_N6thrust23THRUST_200600_302600_NS6detail15normal_iteratorINSB_10device_ptrIjEEEENSD_INSE_IS6_EEEESI_S6_NSB_4plusIvEENSB_8equal_toIvEES6_EE10hipError_tPvRmT2_T3_T4_T5_mT6_T7_P12ihipStream_tbENKUlT_T0_E_clISt17integral_constantIbLb1EES12_IbLb0EEEEDaSY_SZ_EUlSY_E_NS1_11comp_targetILNS1_3genE0ELNS1_11target_archE4294967295ELNS1_3gpuE0ELNS1_3repE0EEENS1_30default_config_static_selectorELNS0_4arch9wavefront6targetE0EEEvT1_,"axG",@progbits,_ZN7rocprim17ROCPRIM_400000_NS6detail17trampoline_kernelINS0_14default_configENS1_27scan_by_key_config_selectorIj11FixedVectorIiLj4EEEEZZNS1_16scan_by_key_implILNS1_25lookback_scan_determinismE0ELb0ES3_N6thrust23THRUST_200600_302600_NS6detail15normal_iteratorINSB_10device_ptrIjEEEENSD_INSE_IS6_EEEESI_S6_NSB_4plusIvEENSB_8equal_toIvEES6_EE10hipError_tPvRmT2_T3_T4_T5_mT6_T7_P12ihipStream_tbENKUlT_T0_E_clISt17integral_constantIbLb1EES12_IbLb0EEEEDaSY_SZ_EUlSY_E_NS1_11comp_targetILNS1_3genE0ELNS1_11target_archE4294967295ELNS1_3gpuE0ELNS1_3repE0EEENS1_30default_config_static_selectorELNS0_4arch9wavefront6targetE0EEEvT1_,comdat
.Lfunc_end2055:
	.size	_ZN7rocprim17ROCPRIM_400000_NS6detail17trampoline_kernelINS0_14default_configENS1_27scan_by_key_config_selectorIj11FixedVectorIiLj4EEEEZZNS1_16scan_by_key_implILNS1_25lookback_scan_determinismE0ELb0ES3_N6thrust23THRUST_200600_302600_NS6detail15normal_iteratorINSB_10device_ptrIjEEEENSD_INSE_IS6_EEEESI_S6_NSB_4plusIvEENSB_8equal_toIvEES6_EE10hipError_tPvRmT2_T3_T4_T5_mT6_T7_P12ihipStream_tbENKUlT_T0_E_clISt17integral_constantIbLb1EES12_IbLb0EEEEDaSY_SZ_EUlSY_E_NS1_11comp_targetILNS1_3genE0ELNS1_11target_archE4294967295ELNS1_3gpuE0ELNS1_3repE0EEENS1_30default_config_static_selectorELNS0_4arch9wavefront6targetE0EEEvT1_, .Lfunc_end2055-_ZN7rocprim17ROCPRIM_400000_NS6detail17trampoline_kernelINS0_14default_configENS1_27scan_by_key_config_selectorIj11FixedVectorIiLj4EEEEZZNS1_16scan_by_key_implILNS1_25lookback_scan_determinismE0ELb0ES3_N6thrust23THRUST_200600_302600_NS6detail15normal_iteratorINSB_10device_ptrIjEEEENSD_INSE_IS6_EEEESI_S6_NSB_4plusIvEENSB_8equal_toIvEES6_EE10hipError_tPvRmT2_T3_T4_T5_mT6_T7_P12ihipStream_tbENKUlT_T0_E_clISt17integral_constantIbLb1EES12_IbLb0EEEEDaSY_SZ_EUlSY_E_NS1_11comp_targetILNS1_3genE0ELNS1_11target_archE4294967295ELNS1_3gpuE0ELNS1_3repE0EEENS1_30default_config_static_selectorELNS0_4arch9wavefront6targetE0EEEvT1_
                                        ; -- End function
	.set _ZN7rocprim17ROCPRIM_400000_NS6detail17trampoline_kernelINS0_14default_configENS1_27scan_by_key_config_selectorIj11FixedVectorIiLj4EEEEZZNS1_16scan_by_key_implILNS1_25lookback_scan_determinismE0ELb0ES3_N6thrust23THRUST_200600_302600_NS6detail15normal_iteratorINSB_10device_ptrIjEEEENSD_INSE_IS6_EEEESI_S6_NSB_4plusIvEENSB_8equal_toIvEES6_EE10hipError_tPvRmT2_T3_T4_T5_mT6_T7_P12ihipStream_tbENKUlT_T0_E_clISt17integral_constantIbLb1EES12_IbLb0EEEEDaSY_SZ_EUlSY_E_NS1_11comp_targetILNS1_3genE0ELNS1_11target_archE4294967295ELNS1_3gpuE0ELNS1_3repE0EEENS1_30default_config_static_selectorELNS0_4arch9wavefront6targetE0EEEvT1_.num_vgpr, 0
	.set _ZN7rocprim17ROCPRIM_400000_NS6detail17trampoline_kernelINS0_14default_configENS1_27scan_by_key_config_selectorIj11FixedVectorIiLj4EEEEZZNS1_16scan_by_key_implILNS1_25lookback_scan_determinismE0ELb0ES3_N6thrust23THRUST_200600_302600_NS6detail15normal_iteratorINSB_10device_ptrIjEEEENSD_INSE_IS6_EEEESI_S6_NSB_4plusIvEENSB_8equal_toIvEES6_EE10hipError_tPvRmT2_T3_T4_T5_mT6_T7_P12ihipStream_tbENKUlT_T0_E_clISt17integral_constantIbLb1EES12_IbLb0EEEEDaSY_SZ_EUlSY_E_NS1_11comp_targetILNS1_3genE0ELNS1_11target_archE4294967295ELNS1_3gpuE0ELNS1_3repE0EEENS1_30default_config_static_selectorELNS0_4arch9wavefront6targetE0EEEvT1_.num_agpr, 0
	.set _ZN7rocprim17ROCPRIM_400000_NS6detail17trampoline_kernelINS0_14default_configENS1_27scan_by_key_config_selectorIj11FixedVectorIiLj4EEEEZZNS1_16scan_by_key_implILNS1_25lookback_scan_determinismE0ELb0ES3_N6thrust23THRUST_200600_302600_NS6detail15normal_iteratorINSB_10device_ptrIjEEEENSD_INSE_IS6_EEEESI_S6_NSB_4plusIvEENSB_8equal_toIvEES6_EE10hipError_tPvRmT2_T3_T4_T5_mT6_T7_P12ihipStream_tbENKUlT_T0_E_clISt17integral_constantIbLb1EES12_IbLb0EEEEDaSY_SZ_EUlSY_E_NS1_11comp_targetILNS1_3genE0ELNS1_11target_archE4294967295ELNS1_3gpuE0ELNS1_3repE0EEENS1_30default_config_static_selectorELNS0_4arch9wavefront6targetE0EEEvT1_.numbered_sgpr, 0
	.set _ZN7rocprim17ROCPRIM_400000_NS6detail17trampoline_kernelINS0_14default_configENS1_27scan_by_key_config_selectorIj11FixedVectorIiLj4EEEEZZNS1_16scan_by_key_implILNS1_25lookback_scan_determinismE0ELb0ES3_N6thrust23THRUST_200600_302600_NS6detail15normal_iteratorINSB_10device_ptrIjEEEENSD_INSE_IS6_EEEESI_S6_NSB_4plusIvEENSB_8equal_toIvEES6_EE10hipError_tPvRmT2_T3_T4_T5_mT6_T7_P12ihipStream_tbENKUlT_T0_E_clISt17integral_constantIbLb1EES12_IbLb0EEEEDaSY_SZ_EUlSY_E_NS1_11comp_targetILNS1_3genE0ELNS1_11target_archE4294967295ELNS1_3gpuE0ELNS1_3repE0EEENS1_30default_config_static_selectorELNS0_4arch9wavefront6targetE0EEEvT1_.num_named_barrier, 0
	.set _ZN7rocprim17ROCPRIM_400000_NS6detail17trampoline_kernelINS0_14default_configENS1_27scan_by_key_config_selectorIj11FixedVectorIiLj4EEEEZZNS1_16scan_by_key_implILNS1_25lookback_scan_determinismE0ELb0ES3_N6thrust23THRUST_200600_302600_NS6detail15normal_iteratorINSB_10device_ptrIjEEEENSD_INSE_IS6_EEEESI_S6_NSB_4plusIvEENSB_8equal_toIvEES6_EE10hipError_tPvRmT2_T3_T4_T5_mT6_T7_P12ihipStream_tbENKUlT_T0_E_clISt17integral_constantIbLb1EES12_IbLb0EEEEDaSY_SZ_EUlSY_E_NS1_11comp_targetILNS1_3genE0ELNS1_11target_archE4294967295ELNS1_3gpuE0ELNS1_3repE0EEENS1_30default_config_static_selectorELNS0_4arch9wavefront6targetE0EEEvT1_.private_seg_size, 0
	.set _ZN7rocprim17ROCPRIM_400000_NS6detail17trampoline_kernelINS0_14default_configENS1_27scan_by_key_config_selectorIj11FixedVectorIiLj4EEEEZZNS1_16scan_by_key_implILNS1_25lookback_scan_determinismE0ELb0ES3_N6thrust23THRUST_200600_302600_NS6detail15normal_iteratorINSB_10device_ptrIjEEEENSD_INSE_IS6_EEEESI_S6_NSB_4plusIvEENSB_8equal_toIvEES6_EE10hipError_tPvRmT2_T3_T4_T5_mT6_T7_P12ihipStream_tbENKUlT_T0_E_clISt17integral_constantIbLb1EES12_IbLb0EEEEDaSY_SZ_EUlSY_E_NS1_11comp_targetILNS1_3genE0ELNS1_11target_archE4294967295ELNS1_3gpuE0ELNS1_3repE0EEENS1_30default_config_static_selectorELNS0_4arch9wavefront6targetE0EEEvT1_.uses_vcc, 0
	.set _ZN7rocprim17ROCPRIM_400000_NS6detail17trampoline_kernelINS0_14default_configENS1_27scan_by_key_config_selectorIj11FixedVectorIiLj4EEEEZZNS1_16scan_by_key_implILNS1_25lookback_scan_determinismE0ELb0ES3_N6thrust23THRUST_200600_302600_NS6detail15normal_iteratorINSB_10device_ptrIjEEEENSD_INSE_IS6_EEEESI_S6_NSB_4plusIvEENSB_8equal_toIvEES6_EE10hipError_tPvRmT2_T3_T4_T5_mT6_T7_P12ihipStream_tbENKUlT_T0_E_clISt17integral_constantIbLb1EES12_IbLb0EEEEDaSY_SZ_EUlSY_E_NS1_11comp_targetILNS1_3genE0ELNS1_11target_archE4294967295ELNS1_3gpuE0ELNS1_3repE0EEENS1_30default_config_static_selectorELNS0_4arch9wavefront6targetE0EEEvT1_.uses_flat_scratch, 0
	.set _ZN7rocprim17ROCPRIM_400000_NS6detail17trampoline_kernelINS0_14default_configENS1_27scan_by_key_config_selectorIj11FixedVectorIiLj4EEEEZZNS1_16scan_by_key_implILNS1_25lookback_scan_determinismE0ELb0ES3_N6thrust23THRUST_200600_302600_NS6detail15normal_iteratorINSB_10device_ptrIjEEEENSD_INSE_IS6_EEEESI_S6_NSB_4plusIvEENSB_8equal_toIvEES6_EE10hipError_tPvRmT2_T3_T4_T5_mT6_T7_P12ihipStream_tbENKUlT_T0_E_clISt17integral_constantIbLb1EES12_IbLb0EEEEDaSY_SZ_EUlSY_E_NS1_11comp_targetILNS1_3genE0ELNS1_11target_archE4294967295ELNS1_3gpuE0ELNS1_3repE0EEENS1_30default_config_static_selectorELNS0_4arch9wavefront6targetE0EEEvT1_.has_dyn_sized_stack, 0
	.set _ZN7rocprim17ROCPRIM_400000_NS6detail17trampoline_kernelINS0_14default_configENS1_27scan_by_key_config_selectorIj11FixedVectorIiLj4EEEEZZNS1_16scan_by_key_implILNS1_25lookback_scan_determinismE0ELb0ES3_N6thrust23THRUST_200600_302600_NS6detail15normal_iteratorINSB_10device_ptrIjEEEENSD_INSE_IS6_EEEESI_S6_NSB_4plusIvEENSB_8equal_toIvEES6_EE10hipError_tPvRmT2_T3_T4_T5_mT6_T7_P12ihipStream_tbENKUlT_T0_E_clISt17integral_constantIbLb1EES12_IbLb0EEEEDaSY_SZ_EUlSY_E_NS1_11comp_targetILNS1_3genE0ELNS1_11target_archE4294967295ELNS1_3gpuE0ELNS1_3repE0EEENS1_30default_config_static_selectorELNS0_4arch9wavefront6targetE0EEEvT1_.has_recursion, 0
	.set _ZN7rocprim17ROCPRIM_400000_NS6detail17trampoline_kernelINS0_14default_configENS1_27scan_by_key_config_selectorIj11FixedVectorIiLj4EEEEZZNS1_16scan_by_key_implILNS1_25lookback_scan_determinismE0ELb0ES3_N6thrust23THRUST_200600_302600_NS6detail15normal_iteratorINSB_10device_ptrIjEEEENSD_INSE_IS6_EEEESI_S6_NSB_4plusIvEENSB_8equal_toIvEES6_EE10hipError_tPvRmT2_T3_T4_T5_mT6_T7_P12ihipStream_tbENKUlT_T0_E_clISt17integral_constantIbLb1EES12_IbLb0EEEEDaSY_SZ_EUlSY_E_NS1_11comp_targetILNS1_3genE0ELNS1_11target_archE4294967295ELNS1_3gpuE0ELNS1_3repE0EEENS1_30default_config_static_selectorELNS0_4arch9wavefront6targetE0EEEvT1_.has_indirect_call, 0
	.section	.AMDGPU.csdata,"",@progbits
; Kernel info:
; codeLenInByte = 4
; TotalNumSgprs: 0
; NumVgprs: 0
; ScratchSize: 0
; MemoryBound: 0
; FloatMode: 240
; IeeeMode: 1
; LDSByteSize: 0 bytes/workgroup (compile time only)
; SGPRBlocks: 0
; VGPRBlocks: 0
; NumSGPRsForWavesPerEU: 1
; NumVGPRsForWavesPerEU: 1
; NamedBarCnt: 0
; Occupancy: 16
; WaveLimiterHint : 0
; COMPUTE_PGM_RSRC2:SCRATCH_EN: 0
; COMPUTE_PGM_RSRC2:USER_SGPR: 2
; COMPUTE_PGM_RSRC2:TRAP_HANDLER: 0
; COMPUTE_PGM_RSRC2:TGID_X_EN: 1
; COMPUTE_PGM_RSRC2:TGID_Y_EN: 0
; COMPUTE_PGM_RSRC2:TGID_Z_EN: 0
; COMPUTE_PGM_RSRC2:TIDIG_COMP_CNT: 0
	.section	.text._ZN7rocprim17ROCPRIM_400000_NS6detail17trampoline_kernelINS0_14default_configENS1_27scan_by_key_config_selectorIj11FixedVectorIiLj4EEEEZZNS1_16scan_by_key_implILNS1_25lookback_scan_determinismE0ELb0ES3_N6thrust23THRUST_200600_302600_NS6detail15normal_iteratorINSB_10device_ptrIjEEEENSD_INSE_IS6_EEEESI_S6_NSB_4plusIvEENSB_8equal_toIvEES6_EE10hipError_tPvRmT2_T3_T4_T5_mT6_T7_P12ihipStream_tbENKUlT_T0_E_clISt17integral_constantIbLb1EES12_IbLb0EEEEDaSY_SZ_EUlSY_E_NS1_11comp_targetILNS1_3genE10ELNS1_11target_archE1201ELNS1_3gpuE5ELNS1_3repE0EEENS1_30default_config_static_selectorELNS0_4arch9wavefront6targetE0EEEvT1_,"axG",@progbits,_ZN7rocprim17ROCPRIM_400000_NS6detail17trampoline_kernelINS0_14default_configENS1_27scan_by_key_config_selectorIj11FixedVectorIiLj4EEEEZZNS1_16scan_by_key_implILNS1_25lookback_scan_determinismE0ELb0ES3_N6thrust23THRUST_200600_302600_NS6detail15normal_iteratorINSB_10device_ptrIjEEEENSD_INSE_IS6_EEEESI_S6_NSB_4plusIvEENSB_8equal_toIvEES6_EE10hipError_tPvRmT2_T3_T4_T5_mT6_T7_P12ihipStream_tbENKUlT_T0_E_clISt17integral_constantIbLb1EES12_IbLb0EEEEDaSY_SZ_EUlSY_E_NS1_11comp_targetILNS1_3genE10ELNS1_11target_archE1201ELNS1_3gpuE5ELNS1_3repE0EEENS1_30default_config_static_selectorELNS0_4arch9wavefront6targetE0EEEvT1_,comdat
	.protected	_ZN7rocprim17ROCPRIM_400000_NS6detail17trampoline_kernelINS0_14default_configENS1_27scan_by_key_config_selectorIj11FixedVectorIiLj4EEEEZZNS1_16scan_by_key_implILNS1_25lookback_scan_determinismE0ELb0ES3_N6thrust23THRUST_200600_302600_NS6detail15normal_iteratorINSB_10device_ptrIjEEEENSD_INSE_IS6_EEEESI_S6_NSB_4plusIvEENSB_8equal_toIvEES6_EE10hipError_tPvRmT2_T3_T4_T5_mT6_T7_P12ihipStream_tbENKUlT_T0_E_clISt17integral_constantIbLb1EES12_IbLb0EEEEDaSY_SZ_EUlSY_E_NS1_11comp_targetILNS1_3genE10ELNS1_11target_archE1201ELNS1_3gpuE5ELNS1_3repE0EEENS1_30default_config_static_selectorELNS0_4arch9wavefront6targetE0EEEvT1_ ; -- Begin function _ZN7rocprim17ROCPRIM_400000_NS6detail17trampoline_kernelINS0_14default_configENS1_27scan_by_key_config_selectorIj11FixedVectorIiLj4EEEEZZNS1_16scan_by_key_implILNS1_25lookback_scan_determinismE0ELb0ES3_N6thrust23THRUST_200600_302600_NS6detail15normal_iteratorINSB_10device_ptrIjEEEENSD_INSE_IS6_EEEESI_S6_NSB_4plusIvEENSB_8equal_toIvEES6_EE10hipError_tPvRmT2_T3_T4_T5_mT6_T7_P12ihipStream_tbENKUlT_T0_E_clISt17integral_constantIbLb1EES12_IbLb0EEEEDaSY_SZ_EUlSY_E_NS1_11comp_targetILNS1_3genE10ELNS1_11target_archE1201ELNS1_3gpuE5ELNS1_3repE0EEENS1_30default_config_static_selectorELNS0_4arch9wavefront6targetE0EEEvT1_
	.globl	_ZN7rocprim17ROCPRIM_400000_NS6detail17trampoline_kernelINS0_14default_configENS1_27scan_by_key_config_selectorIj11FixedVectorIiLj4EEEEZZNS1_16scan_by_key_implILNS1_25lookback_scan_determinismE0ELb0ES3_N6thrust23THRUST_200600_302600_NS6detail15normal_iteratorINSB_10device_ptrIjEEEENSD_INSE_IS6_EEEESI_S6_NSB_4plusIvEENSB_8equal_toIvEES6_EE10hipError_tPvRmT2_T3_T4_T5_mT6_T7_P12ihipStream_tbENKUlT_T0_E_clISt17integral_constantIbLb1EES12_IbLb0EEEEDaSY_SZ_EUlSY_E_NS1_11comp_targetILNS1_3genE10ELNS1_11target_archE1201ELNS1_3gpuE5ELNS1_3repE0EEENS1_30default_config_static_selectorELNS0_4arch9wavefront6targetE0EEEvT1_
	.p2align	8
	.type	_ZN7rocprim17ROCPRIM_400000_NS6detail17trampoline_kernelINS0_14default_configENS1_27scan_by_key_config_selectorIj11FixedVectorIiLj4EEEEZZNS1_16scan_by_key_implILNS1_25lookback_scan_determinismE0ELb0ES3_N6thrust23THRUST_200600_302600_NS6detail15normal_iteratorINSB_10device_ptrIjEEEENSD_INSE_IS6_EEEESI_S6_NSB_4plusIvEENSB_8equal_toIvEES6_EE10hipError_tPvRmT2_T3_T4_T5_mT6_T7_P12ihipStream_tbENKUlT_T0_E_clISt17integral_constantIbLb1EES12_IbLb0EEEEDaSY_SZ_EUlSY_E_NS1_11comp_targetILNS1_3genE10ELNS1_11target_archE1201ELNS1_3gpuE5ELNS1_3repE0EEENS1_30default_config_static_selectorELNS0_4arch9wavefront6targetE0EEEvT1_,@function
_ZN7rocprim17ROCPRIM_400000_NS6detail17trampoline_kernelINS0_14default_configENS1_27scan_by_key_config_selectorIj11FixedVectorIiLj4EEEEZZNS1_16scan_by_key_implILNS1_25lookback_scan_determinismE0ELb0ES3_N6thrust23THRUST_200600_302600_NS6detail15normal_iteratorINSB_10device_ptrIjEEEENSD_INSE_IS6_EEEESI_S6_NSB_4plusIvEENSB_8equal_toIvEES6_EE10hipError_tPvRmT2_T3_T4_T5_mT6_T7_P12ihipStream_tbENKUlT_T0_E_clISt17integral_constantIbLb1EES12_IbLb0EEEEDaSY_SZ_EUlSY_E_NS1_11comp_targetILNS1_3genE10ELNS1_11target_archE1201ELNS1_3gpuE5ELNS1_3repE0EEENS1_30default_config_static_selectorELNS0_4arch9wavefront6targetE0EEEvT1_: ; @_ZN7rocprim17ROCPRIM_400000_NS6detail17trampoline_kernelINS0_14default_configENS1_27scan_by_key_config_selectorIj11FixedVectorIiLj4EEEEZZNS1_16scan_by_key_implILNS1_25lookback_scan_determinismE0ELb0ES3_N6thrust23THRUST_200600_302600_NS6detail15normal_iteratorINSB_10device_ptrIjEEEENSD_INSE_IS6_EEEESI_S6_NSB_4plusIvEENSB_8equal_toIvEES6_EE10hipError_tPvRmT2_T3_T4_T5_mT6_T7_P12ihipStream_tbENKUlT_T0_E_clISt17integral_constantIbLb1EES12_IbLb0EEEEDaSY_SZ_EUlSY_E_NS1_11comp_targetILNS1_3genE10ELNS1_11target_archE1201ELNS1_3gpuE5ELNS1_3repE0EEENS1_30default_config_static_selectorELNS0_4arch9wavefront6targetE0EEEvT1_
; %bb.0:
	.section	.rodata,"a",@progbits
	.p2align	6, 0x0
	.amdhsa_kernel _ZN7rocprim17ROCPRIM_400000_NS6detail17trampoline_kernelINS0_14default_configENS1_27scan_by_key_config_selectorIj11FixedVectorIiLj4EEEEZZNS1_16scan_by_key_implILNS1_25lookback_scan_determinismE0ELb0ES3_N6thrust23THRUST_200600_302600_NS6detail15normal_iteratorINSB_10device_ptrIjEEEENSD_INSE_IS6_EEEESI_S6_NSB_4plusIvEENSB_8equal_toIvEES6_EE10hipError_tPvRmT2_T3_T4_T5_mT6_T7_P12ihipStream_tbENKUlT_T0_E_clISt17integral_constantIbLb1EES12_IbLb0EEEEDaSY_SZ_EUlSY_E_NS1_11comp_targetILNS1_3genE10ELNS1_11target_archE1201ELNS1_3gpuE5ELNS1_3repE0EEENS1_30default_config_static_selectorELNS0_4arch9wavefront6targetE0EEEvT1_
		.amdhsa_group_segment_fixed_size 0
		.amdhsa_private_segment_fixed_size 0
		.amdhsa_kernarg_size 144
		.amdhsa_user_sgpr_count 2
		.amdhsa_user_sgpr_dispatch_ptr 0
		.amdhsa_user_sgpr_queue_ptr 0
		.amdhsa_user_sgpr_kernarg_segment_ptr 1
		.amdhsa_user_sgpr_dispatch_id 0
		.amdhsa_user_sgpr_kernarg_preload_length 0
		.amdhsa_user_sgpr_kernarg_preload_offset 0
		.amdhsa_user_sgpr_private_segment_size 0
		.amdhsa_wavefront_size32 1
		.amdhsa_uses_dynamic_stack 0
		.amdhsa_enable_private_segment 0
		.amdhsa_system_sgpr_workgroup_id_x 1
		.amdhsa_system_sgpr_workgroup_id_y 0
		.amdhsa_system_sgpr_workgroup_id_z 0
		.amdhsa_system_sgpr_workgroup_info 0
		.amdhsa_system_vgpr_workitem_id 0
		.amdhsa_next_free_vgpr 1
		.amdhsa_next_free_sgpr 1
		.amdhsa_named_barrier_count 0
		.amdhsa_reserve_vcc 0
		.amdhsa_float_round_mode_32 0
		.amdhsa_float_round_mode_16_64 0
		.amdhsa_float_denorm_mode_32 3
		.amdhsa_float_denorm_mode_16_64 3
		.amdhsa_fp16_overflow 0
		.amdhsa_memory_ordered 1
		.amdhsa_forward_progress 1
		.amdhsa_inst_pref_size 0
		.amdhsa_round_robin_scheduling 0
		.amdhsa_exception_fp_ieee_invalid_op 0
		.amdhsa_exception_fp_denorm_src 0
		.amdhsa_exception_fp_ieee_div_zero 0
		.amdhsa_exception_fp_ieee_overflow 0
		.amdhsa_exception_fp_ieee_underflow 0
		.amdhsa_exception_fp_ieee_inexact 0
		.amdhsa_exception_int_div_zero 0
	.end_amdhsa_kernel
	.section	.text._ZN7rocprim17ROCPRIM_400000_NS6detail17trampoline_kernelINS0_14default_configENS1_27scan_by_key_config_selectorIj11FixedVectorIiLj4EEEEZZNS1_16scan_by_key_implILNS1_25lookback_scan_determinismE0ELb0ES3_N6thrust23THRUST_200600_302600_NS6detail15normal_iteratorINSB_10device_ptrIjEEEENSD_INSE_IS6_EEEESI_S6_NSB_4plusIvEENSB_8equal_toIvEES6_EE10hipError_tPvRmT2_T3_T4_T5_mT6_T7_P12ihipStream_tbENKUlT_T0_E_clISt17integral_constantIbLb1EES12_IbLb0EEEEDaSY_SZ_EUlSY_E_NS1_11comp_targetILNS1_3genE10ELNS1_11target_archE1201ELNS1_3gpuE5ELNS1_3repE0EEENS1_30default_config_static_selectorELNS0_4arch9wavefront6targetE0EEEvT1_,"axG",@progbits,_ZN7rocprim17ROCPRIM_400000_NS6detail17trampoline_kernelINS0_14default_configENS1_27scan_by_key_config_selectorIj11FixedVectorIiLj4EEEEZZNS1_16scan_by_key_implILNS1_25lookback_scan_determinismE0ELb0ES3_N6thrust23THRUST_200600_302600_NS6detail15normal_iteratorINSB_10device_ptrIjEEEENSD_INSE_IS6_EEEESI_S6_NSB_4plusIvEENSB_8equal_toIvEES6_EE10hipError_tPvRmT2_T3_T4_T5_mT6_T7_P12ihipStream_tbENKUlT_T0_E_clISt17integral_constantIbLb1EES12_IbLb0EEEEDaSY_SZ_EUlSY_E_NS1_11comp_targetILNS1_3genE10ELNS1_11target_archE1201ELNS1_3gpuE5ELNS1_3repE0EEENS1_30default_config_static_selectorELNS0_4arch9wavefront6targetE0EEEvT1_,comdat
.Lfunc_end2056:
	.size	_ZN7rocprim17ROCPRIM_400000_NS6detail17trampoline_kernelINS0_14default_configENS1_27scan_by_key_config_selectorIj11FixedVectorIiLj4EEEEZZNS1_16scan_by_key_implILNS1_25lookback_scan_determinismE0ELb0ES3_N6thrust23THRUST_200600_302600_NS6detail15normal_iteratorINSB_10device_ptrIjEEEENSD_INSE_IS6_EEEESI_S6_NSB_4plusIvEENSB_8equal_toIvEES6_EE10hipError_tPvRmT2_T3_T4_T5_mT6_T7_P12ihipStream_tbENKUlT_T0_E_clISt17integral_constantIbLb1EES12_IbLb0EEEEDaSY_SZ_EUlSY_E_NS1_11comp_targetILNS1_3genE10ELNS1_11target_archE1201ELNS1_3gpuE5ELNS1_3repE0EEENS1_30default_config_static_selectorELNS0_4arch9wavefront6targetE0EEEvT1_, .Lfunc_end2056-_ZN7rocprim17ROCPRIM_400000_NS6detail17trampoline_kernelINS0_14default_configENS1_27scan_by_key_config_selectorIj11FixedVectorIiLj4EEEEZZNS1_16scan_by_key_implILNS1_25lookback_scan_determinismE0ELb0ES3_N6thrust23THRUST_200600_302600_NS6detail15normal_iteratorINSB_10device_ptrIjEEEENSD_INSE_IS6_EEEESI_S6_NSB_4plusIvEENSB_8equal_toIvEES6_EE10hipError_tPvRmT2_T3_T4_T5_mT6_T7_P12ihipStream_tbENKUlT_T0_E_clISt17integral_constantIbLb1EES12_IbLb0EEEEDaSY_SZ_EUlSY_E_NS1_11comp_targetILNS1_3genE10ELNS1_11target_archE1201ELNS1_3gpuE5ELNS1_3repE0EEENS1_30default_config_static_selectorELNS0_4arch9wavefront6targetE0EEEvT1_
                                        ; -- End function
	.set _ZN7rocprim17ROCPRIM_400000_NS6detail17trampoline_kernelINS0_14default_configENS1_27scan_by_key_config_selectorIj11FixedVectorIiLj4EEEEZZNS1_16scan_by_key_implILNS1_25lookback_scan_determinismE0ELb0ES3_N6thrust23THRUST_200600_302600_NS6detail15normal_iteratorINSB_10device_ptrIjEEEENSD_INSE_IS6_EEEESI_S6_NSB_4plusIvEENSB_8equal_toIvEES6_EE10hipError_tPvRmT2_T3_T4_T5_mT6_T7_P12ihipStream_tbENKUlT_T0_E_clISt17integral_constantIbLb1EES12_IbLb0EEEEDaSY_SZ_EUlSY_E_NS1_11comp_targetILNS1_3genE10ELNS1_11target_archE1201ELNS1_3gpuE5ELNS1_3repE0EEENS1_30default_config_static_selectorELNS0_4arch9wavefront6targetE0EEEvT1_.num_vgpr, 0
	.set _ZN7rocprim17ROCPRIM_400000_NS6detail17trampoline_kernelINS0_14default_configENS1_27scan_by_key_config_selectorIj11FixedVectorIiLj4EEEEZZNS1_16scan_by_key_implILNS1_25lookback_scan_determinismE0ELb0ES3_N6thrust23THRUST_200600_302600_NS6detail15normal_iteratorINSB_10device_ptrIjEEEENSD_INSE_IS6_EEEESI_S6_NSB_4plusIvEENSB_8equal_toIvEES6_EE10hipError_tPvRmT2_T3_T4_T5_mT6_T7_P12ihipStream_tbENKUlT_T0_E_clISt17integral_constantIbLb1EES12_IbLb0EEEEDaSY_SZ_EUlSY_E_NS1_11comp_targetILNS1_3genE10ELNS1_11target_archE1201ELNS1_3gpuE5ELNS1_3repE0EEENS1_30default_config_static_selectorELNS0_4arch9wavefront6targetE0EEEvT1_.num_agpr, 0
	.set _ZN7rocprim17ROCPRIM_400000_NS6detail17trampoline_kernelINS0_14default_configENS1_27scan_by_key_config_selectorIj11FixedVectorIiLj4EEEEZZNS1_16scan_by_key_implILNS1_25lookback_scan_determinismE0ELb0ES3_N6thrust23THRUST_200600_302600_NS6detail15normal_iteratorINSB_10device_ptrIjEEEENSD_INSE_IS6_EEEESI_S6_NSB_4plusIvEENSB_8equal_toIvEES6_EE10hipError_tPvRmT2_T3_T4_T5_mT6_T7_P12ihipStream_tbENKUlT_T0_E_clISt17integral_constantIbLb1EES12_IbLb0EEEEDaSY_SZ_EUlSY_E_NS1_11comp_targetILNS1_3genE10ELNS1_11target_archE1201ELNS1_3gpuE5ELNS1_3repE0EEENS1_30default_config_static_selectorELNS0_4arch9wavefront6targetE0EEEvT1_.numbered_sgpr, 0
	.set _ZN7rocprim17ROCPRIM_400000_NS6detail17trampoline_kernelINS0_14default_configENS1_27scan_by_key_config_selectorIj11FixedVectorIiLj4EEEEZZNS1_16scan_by_key_implILNS1_25lookback_scan_determinismE0ELb0ES3_N6thrust23THRUST_200600_302600_NS6detail15normal_iteratorINSB_10device_ptrIjEEEENSD_INSE_IS6_EEEESI_S6_NSB_4plusIvEENSB_8equal_toIvEES6_EE10hipError_tPvRmT2_T3_T4_T5_mT6_T7_P12ihipStream_tbENKUlT_T0_E_clISt17integral_constantIbLb1EES12_IbLb0EEEEDaSY_SZ_EUlSY_E_NS1_11comp_targetILNS1_3genE10ELNS1_11target_archE1201ELNS1_3gpuE5ELNS1_3repE0EEENS1_30default_config_static_selectorELNS0_4arch9wavefront6targetE0EEEvT1_.num_named_barrier, 0
	.set _ZN7rocprim17ROCPRIM_400000_NS6detail17trampoline_kernelINS0_14default_configENS1_27scan_by_key_config_selectorIj11FixedVectorIiLj4EEEEZZNS1_16scan_by_key_implILNS1_25lookback_scan_determinismE0ELb0ES3_N6thrust23THRUST_200600_302600_NS6detail15normal_iteratorINSB_10device_ptrIjEEEENSD_INSE_IS6_EEEESI_S6_NSB_4plusIvEENSB_8equal_toIvEES6_EE10hipError_tPvRmT2_T3_T4_T5_mT6_T7_P12ihipStream_tbENKUlT_T0_E_clISt17integral_constantIbLb1EES12_IbLb0EEEEDaSY_SZ_EUlSY_E_NS1_11comp_targetILNS1_3genE10ELNS1_11target_archE1201ELNS1_3gpuE5ELNS1_3repE0EEENS1_30default_config_static_selectorELNS0_4arch9wavefront6targetE0EEEvT1_.private_seg_size, 0
	.set _ZN7rocprim17ROCPRIM_400000_NS6detail17trampoline_kernelINS0_14default_configENS1_27scan_by_key_config_selectorIj11FixedVectorIiLj4EEEEZZNS1_16scan_by_key_implILNS1_25lookback_scan_determinismE0ELb0ES3_N6thrust23THRUST_200600_302600_NS6detail15normal_iteratorINSB_10device_ptrIjEEEENSD_INSE_IS6_EEEESI_S6_NSB_4plusIvEENSB_8equal_toIvEES6_EE10hipError_tPvRmT2_T3_T4_T5_mT6_T7_P12ihipStream_tbENKUlT_T0_E_clISt17integral_constantIbLb1EES12_IbLb0EEEEDaSY_SZ_EUlSY_E_NS1_11comp_targetILNS1_3genE10ELNS1_11target_archE1201ELNS1_3gpuE5ELNS1_3repE0EEENS1_30default_config_static_selectorELNS0_4arch9wavefront6targetE0EEEvT1_.uses_vcc, 0
	.set _ZN7rocprim17ROCPRIM_400000_NS6detail17trampoline_kernelINS0_14default_configENS1_27scan_by_key_config_selectorIj11FixedVectorIiLj4EEEEZZNS1_16scan_by_key_implILNS1_25lookback_scan_determinismE0ELb0ES3_N6thrust23THRUST_200600_302600_NS6detail15normal_iteratorINSB_10device_ptrIjEEEENSD_INSE_IS6_EEEESI_S6_NSB_4plusIvEENSB_8equal_toIvEES6_EE10hipError_tPvRmT2_T3_T4_T5_mT6_T7_P12ihipStream_tbENKUlT_T0_E_clISt17integral_constantIbLb1EES12_IbLb0EEEEDaSY_SZ_EUlSY_E_NS1_11comp_targetILNS1_3genE10ELNS1_11target_archE1201ELNS1_3gpuE5ELNS1_3repE0EEENS1_30default_config_static_selectorELNS0_4arch9wavefront6targetE0EEEvT1_.uses_flat_scratch, 0
	.set _ZN7rocprim17ROCPRIM_400000_NS6detail17trampoline_kernelINS0_14default_configENS1_27scan_by_key_config_selectorIj11FixedVectorIiLj4EEEEZZNS1_16scan_by_key_implILNS1_25lookback_scan_determinismE0ELb0ES3_N6thrust23THRUST_200600_302600_NS6detail15normal_iteratorINSB_10device_ptrIjEEEENSD_INSE_IS6_EEEESI_S6_NSB_4plusIvEENSB_8equal_toIvEES6_EE10hipError_tPvRmT2_T3_T4_T5_mT6_T7_P12ihipStream_tbENKUlT_T0_E_clISt17integral_constantIbLb1EES12_IbLb0EEEEDaSY_SZ_EUlSY_E_NS1_11comp_targetILNS1_3genE10ELNS1_11target_archE1201ELNS1_3gpuE5ELNS1_3repE0EEENS1_30default_config_static_selectorELNS0_4arch9wavefront6targetE0EEEvT1_.has_dyn_sized_stack, 0
	.set _ZN7rocprim17ROCPRIM_400000_NS6detail17trampoline_kernelINS0_14default_configENS1_27scan_by_key_config_selectorIj11FixedVectorIiLj4EEEEZZNS1_16scan_by_key_implILNS1_25lookback_scan_determinismE0ELb0ES3_N6thrust23THRUST_200600_302600_NS6detail15normal_iteratorINSB_10device_ptrIjEEEENSD_INSE_IS6_EEEESI_S6_NSB_4plusIvEENSB_8equal_toIvEES6_EE10hipError_tPvRmT2_T3_T4_T5_mT6_T7_P12ihipStream_tbENKUlT_T0_E_clISt17integral_constantIbLb1EES12_IbLb0EEEEDaSY_SZ_EUlSY_E_NS1_11comp_targetILNS1_3genE10ELNS1_11target_archE1201ELNS1_3gpuE5ELNS1_3repE0EEENS1_30default_config_static_selectorELNS0_4arch9wavefront6targetE0EEEvT1_.has_recursion, 0
	.set _ZN7rocprim17ROCPRIM_400000_NS6detail17trampoline_kernelINS0_14default_configENS1_27scan_by_key_config_selectorIj11FixedVectorIiLj4EEEEZZNS1_16scan_by_key_implILNS1_25lookback_scan_determinismE0ELb0ES3_N6thrust23THRUST_200600_302600_NS6detail15normal_iteratorINSB_10device_ptrIjEEEENSD_INSE_IS6_EEEESI_S6_NSB_4plusIvEENSB_8equal_toIvEES6_EE10hipError_tPvRmT2_T3_T4_T5_mT6_T7_P12ihipStream_tbENKUlT_T0_E_clISt17integral_constantIbLb1EES12_IbLb0EEEEDaSY_SZ_EUlSY_E_NS1_11comp_targetILNS1_3genE10ELNS1_11target_archE1201ELNS1_3gpuE5ELNS1_3repE0EEENS1_30default_config_static_selectorELNS0_4arch9wavefront6targetE0EEEvT1_.has_indirect_call, 0
	.section	.AMDGPU.csdata,"",@progbits
; Kernel info:
; codeLenInByte = 0
; TotalNumSgprs: 0
; NumVgprs: 0
; ScratchSize: 0
; MemoryBound: 0
; FloatMode: 240
; IeeeMode: 1
; LDSByteSize: 0 bytes/workgroup (compile time only)
; SGPRBlocks: 0
; VGPRBlocks: 0
; NumSGPRsForWavesPerEU: 1
; NumVGPRsForWavesPerEU: 1
; NamedBarCnt: 0
; Occupancy: 16
; WaveLimiterHint : 0
; COMPUTE_PGM_RSRC2:SCRATCH_EN: 0
; COMPUTE_PGM_RSRC2:USER_SGPR: 2
; COMPUTE_PGM_RSRC2:TRAP_HANDLER: 0
; COMPUTE_PGM_RSRC2:TGID_X_EN: 1
; COMPUTE_PGM_RSRC2:TGID_Y_EN: 0
; COMPUTE_PGM_RSRC2:TGID_Z_EN: 0
; COMPUTE_PGM_RSRC2:TIDIG_COMP_CNT: 0
	.section	.text._ZN7rocprim17ROCPRIM_400000_NS6detail17trampoline_kernelINS0_14default_configENS1_27scan_by_key_config_selectorIj11FixedVectorIiLj4EEEEZZNS1_16scan_by_key_implILNS1_25lookback_scan_determinismE0ELb0ES3_N6thrust23THRUST_200600_302600_NS6detail15normal_iteratorINSB_10device_ptrIjEEEENSD_INSE_IS6_EEEESI_S6_NSB_4plusIvEENSB_8equal_toIvEES6_EE10hipError_tPvRmT2_T3_T4_T5_mT6_T7_P12ihipStream_tbENKUlT_T0_E_clISt17integral_constantIbLb1EES12_IbLb0EEEEDaSY_SZ_EUlSY_E_NS1_11comp_targetILNS1_3genE5ELNS1_11target_archE942ELNS1_3gpuE9ELNS1_3repE0EEENS1_30default_config_static_selectorELNS0_4arch9wavefront6targetE0EEEvT1_,"axG",@progbits,_ZN7rocprim17ROCPRIM_400000_NS6detail17trampoline_kernelINS0_14default_configENS1_27scan_by_key_config_selectorIj11FixedVectorIiLj4EEEEZZNS1_16scan_by_key_implILNS1_25lookback_scan_determinismE0ELb0ES3_N6thrust23THRUST_200600_302600_NS6detail15normal_iteratorINSB_10device_ptrIjEEEENSD_INSE_IS6_EEEESI_S6_NSB_4plusIvEENSB_8equal_toIvEES6_EE10hipError_tPvRmT2_T3_T4_T5_mT6_T7_P12ihipStream_tbENKUlT_T0_E_clISt17integral_constantIbLb1EES12_IbLb0EEEEDaSY_SZ_EUlSY_E_NS1_11comp_targetILNS1_3genE5ELNS1_11target_archE942ELNS1_3gpuE9ELNS1_3repE0EEENS1_30default_config_static_selectorELNS0_4arch9wavefront6targetE0EEEvT1_,comdat
	.protected	_ZN7rocprim17ROCPRIM_400000_NS6detail17trampoline_kernelINS0_14default_configENS1_27scan_by_key_config_selectorIj11FixedVectorIiLj4EEEEZZNS1_16scan_by_key_implILNS1_25lookback_scan_determinismE0ELb0ES3_N6thrust23THRUST_200600_302600_NS6detail15normal_iteratorINSB_10device_ptrIjEEEENSD_INSE_IS6_EEEESI_S6_NSB_4plusIvEENSB_8equal_toIvEES6_EE10hipError_tPvRmT2_T3_T4_T5_mT6_T7_P12ihipStream_tbENKUlT_T0_E_clISt17integral_constantIbLb1EES12_IbLb0EEEEDaSY_SZ_EUlSY_E_NS1_11comp_targetILNS1_3genE5ELNS1_11target_archE942ELNS1_3gpuE9ELNS1_3repE0EEENS1_30default_config_static_selectorELNS0_4arch9wavefront6targetE0EEEvT1_ ; -- Begin function _ZN7rocprim17ROCPRIM_400000_NS6detail17trampoline_kernelINS0_14default_configENS1_27scan_by_key_config_selectorIj11FixedVectorIiLj4EEEEZZNS1_16scan_by_key_implILNS1_25lookback_scan_determinismE0ELb0ES3_N6thrust23THRUST_200600_302600_NS6detail15normal_iteratorINSB_10device_ptrIjEEEENSD_INSE_IS6_EEEESI_S6_NSB_4plusIvEENSB_8equal_toIvEES6_EE10hipError_tPvRmT2_T3_T4_T5_mT6_T7_P12ihipStream_tbENKUlT_T0_E_clISt17integral_constantIbLb1EES12_IbLb0EEEEDaSY_SZ_EUlSY_E_NS1_11comp_targetILNS1_3genE5ELNS1_11target_archE942ELNS1_3gpuE9ELNS1_3repE0EEENS1_30default_config_static_selectorELNS0_4arch9wavefront6targetE0EEEvT1_
	.globl	_ZN7rocprim17ROCPRIM_400000_NS6detail17trampoline_kernelINS0_14default_configENS1_27scan_by_key_config_selectorIj11FixedVectorIiLj4EEEEZZNS1_16scan_by_key_implILNS1_25lookback_scan_determinismE0ELb0ES3_N6thrust23THRUST_200600_302600_NS6detail15normal_iteratorINSB_10device_ptrIjEEEENSD_INSE_IS6_EEEESI_S6_NSB_4plusIvEENSB_8equal_toIvEES6_EE10hipError_tPvRmT2_T3_T4_T5_mT6_T7_P12ihipStream_tbENKUlT_T0_E_clISt17integral_constantIbLb1EES12_IbLb0EEEEDaSY_SZ_EUlSY_E_NS1_11comp_targetILNS1_3genE5ELNS1_11target_archE942ELNS1_3gpuE9ELNS1_3repE0EEENS1_30default_config_static_selectorELNS0_4arch9wavefront6targetE0EEEvT1_
	.p2align	8
	.type	_ZN7rocprim17ROCPRIM_400000_NS6detail17trampoline_kernelINS0_14default_configENS1_27scan_by_key_config_selectorIj11FixedVectorIiLj4EEEEZZNS1_16scan_by_key_implILNS1_25lookback_scan_determinismE0ELb0ES3_N6thrust23THRUST_200600_302600_NS6detail15normal_iteratorINSB_10device_ptrIjEEEENSD_INSE_IS6_EEEESI_S6_NSB_4plusIvEENSB_8equal_toIvEES6_EE10hipError_tPvRmT2_T3_T4_T5_mT6_T7_P12ihipStream_tbENKUlT_T0_E_clISt17integral_constantIbLb1EES12_IbLb0EEEEDaSY_SZ_EUlSY_E_NS1_11comp_targetILNS1_3genE5ELNS1_11target_archE942ELNS1_3gpuE9ELNS1_3repE0EEENS1_30default_config_static_selectorELNS0_4arch9wavefront6targetE0EEEvT1_,@function
_ZN7rocprim17ROCPRIM_400000_NS6detail17trampoline_kernelINS0_14default_configENS1_27scan_by_key_config_selectorIj11FixedVectorIiLj4EEEEZZNS1_16scan_by_key_implILNS1_25lookback_scan_determinismE0ELb0ES3_N6thrust23THRUST_200600_302600_NS6detail15normal_iteratorINSB_10device_ptrIjEEEENSD_INSE_IS6_EEEESI_S6_NSB_4plusIvEENSB_8equal_toIvEES6_EE10hipError_tPvRmT2_T3_T4_T5_mT6_T7_P12ihipStream_tbENKUlT_T0_E_clISt17integral_constantIbLb1EES12_IbLb0EEEEDaSY_SZ_EUlSY_E_NS1_11comp_targetILNS1_3genE5ELNS1_11target_archE942ELNS1_3gpuE9ELNS1_3repE0EEENS1_30default_config_static_selectorELNS0_4arch9wavefront6targetE0EEEvT1_: ; @_ZN7rocprim17ROCPRIM_400000_NS6detail17trampoline_kernelINS0_14default_configENS1_27scan_by_key_config_selectorIj11FixedVectorIiLj4EEEEZZNS1_16scan_by_key_implILNS1_25lookback_scan_determinismE0ELb0ES3_N6thrust23THRUST_200600_302600_NS6detail15normal_iteratorINSB_10device_ptrIjEEEENSD_INSE_IS6_EEEESI_S6_NSB_4plusIvEENSB_8equal_toIvEES6_EE10hipError_tPvRmT2_T3_T4_T5_mT6_T7_P12ihipStream_tbENKUlT_T0_E_clISt17integral_constantIbLb1EES12_IbLb0EEEEDaSY_SZ_EUlSY_E_NS1_11comp_targetILNS1_3genE5ELNS1_11target_archE942ELNS1_3gpuE9ELNS1_3repE0EEENS1_30default_config_static_selectorELNS0_4arch9wavefront6targetE0EEEvT1_
; %bb.0:
	.section	.rodata,"a",@progbits
	.p2align	6, 0x0
	.amdhsa_kernel _ZN7rocprim17ROCPRIM_400000_NS6detail17trampoline_kernelINS0_14default_configENS1_27scan_by_key_config_selectorIj11FixedVectorIiLj4EEEEZZNS1_16scan_by_key_implILNS1_25lookback_scan_determinismE0ELb0ES3_N6thrust23THRUST_200600_302600_NS6detail15normal_iteratorINSB_10device_ptrIjEEEENSD_INSE_IS6_EEEESI_S6_NSB_4plusIvEENSB_8equal_toIvEES6_EE10hipError_tPvRmT2_T3_T4_T5_mT6_T7_P12ihipStream_tbENKUlT_T0_E_clISt17integral_constantIbLb1EES12_IbLb0EEEEDaSY_SZ_EUlSY_E_NS1_11comp_targetILNS1_3genE5ELNS1_11target_archE942ELNS1_3gpuE9ELNS1_3repE0EEENS1_30default_config_static_selectorELNS0_4arch9wavefront6targetE0EEEvT1_
		.amdhsa_group_segment_fixed_size 0
		.amdhsa_private_segment_fixed_size 0
		.amdhsa_kernarg_size 144
		.amdhsa_user_sgpr_count 2
		.amdhsa_user_sgpr_dispatch_ptr 0
		.amdhsa_user_sgpr_queue_ptr 0
		.amdhsa_user_sgpr_kernarg_segment_ptr 1
		.amdhsa_user_sgpr_dispatch_id 0
		.amdhsa_user_sgpr_kernarg_preload_length 0
		.amdhsa_user_sgpr_kernarg_preload_offset 0
		.amdhsa_user_sgpr_private_segment_size 0
		.amdhsa_wavefront_size32 1
		.amdhsa_uses_dynamic_stack 0
		.amdhsa_enable_private_segment 0
		.amdhsa_system_sgpr_workgroup_id_x 1
		.amdhsa_system_sgpr_workgroup_id_y 0
		.amdhsa_system_sgpr_workgroup_id_z 0
		.amdhsa_system_sgpr_workgroup_info 0
		.amdhsa_system_vgpr_workitem_id 0
		.amdhsa_next_free_vgpr 1
		.amdhsa_next_free_sgpr 1
		.amdhsa_named_barrier_count 0
		.amdhsa_reserve_vcc 0
		.amdhsa_float_round_mode_32 0
		.amdhsa_float_round_mode_16_64 0
		.amdhsa_float_denorm_mode_32 3
		.amdhsa_float_denorm_mode_16_64 3
		.amdhsa_fp16_overflow 0
		.amdhsa_memory_ordered 1
		.amdhsa_forward_progress 1
		.amdhsa_inst_pref_size 0
		.amdhsa_round_robin_scheduling 0
		.amdhsa_exception_fp_ieee_invalid_op 0
		.amdhsa_exception_fp_denorm_src 0
		.amdhsa_exception_fp_ieee_div_zero 0
		.amdhsa_exception_fp_ieee_overflow 0
		.amdhsa_exception_fp_ieee_underflow 0
		.amdhsa_exception_fp_ieee_inexact 0
		.amdhsa_exception_int_div_zero 0
	.end_amdhsa_kernel
	.section	.text._ZN7rocprim17ROCPRIM_400000_NS6detail17trampoline_kernelINS0_14default_configENS1_27scan_by_key_config_selectorIj11FixedVectorIiLj4EEEEZZNS1_16scan_by_key_implILNS1_25lookback_scan_determinismE0ELb0ES3_N6thrust23THRUST_200600_302600_NS6detail15normal_iteratorINSB_10device_ptrIjEEEENSD_INSE_IS6_EEEESI_S6_NSB_4plusIvEENSB_8equal_toIvEES6_EE10hipError_tPvRmT2_T3_T4_T5_mT6_T7_P12ihipStream_tbENKUlT_T0_E_clISt17integral_constantIbLb1EES12_IbLb0EEEEDaSY_SZ_EUlSY_E_NS1_11comp_targetILNS1_3genE5ELNS1_11target_archE942ELNS1_3gpuE9ELNS1_3repE0EEENS1_30default_config_static_selectorELNS0_4arch9wavefront6targetE0EEEvT1_,"axG",@progbits,_ZN7rocprim17ROCPRIM_400000_NS6detail17trampoline_kernelINS0_14default_configENS1_27scan_by_key_config_selectorIj11FixedVectorIiLj4EEEEZZNS1_16scan_by_key_implILNS1_25lookback_scan_determinismE0ELb0ES3_N6thrust23THRUST_200600_302600_NS6detail15normal_iteratorINSB_10device_ptrIjEEEENSD_INSE_IS6_EEEESI_S6_NSB_4plusIvEENSB_8equal_toIvEES6_EE10hipError_tPvRmT2_T3_T4_T5_mT6_T7_P12ihipStream_tbENKUlT_T0_E_clISt17integral_constantIbLb1EES12_IbLb0EEEEDaSY_SZ_EUlSY_E_NS1_11comp_targetILNS1_3genE5ELNS1_11target_archE942ELNS1_3gpuE9ELNS1_3repE0EEENS1_30default_config_static_selectorELNS0_4arch9wavefront6targetE0EEEvT1_,comdat
.Lfunc_end2057:
	.size	_ZN7rocprim17ROCPRIM_400000_NS6detail17trampoline_kernelINS0_14default_configENS1_27scan_by_key_config_selectorIj11FixedVectorIiLj4EEEEZZNS1_16scan_by_key_implILNS1_25lookback_scan_determinismE0ELb0ES3_N6thrust23THRUST_200600_302600_NS6detail15normal_iteratorINSB_10device_ptrIjEEEENSD_INSE_IS6_EEEESI_S6_NSB_4plusIvEENSB_8equal_toIvEES6_EE10hipError_tPvRmT2_T3_T4_T5_mT6_T7_P12ihipStream_tbENKUlT_T0_E_clISt17integral_constantIbLb1EES12_IbLb0EEEEDaSY_SZ_EUlSY_E_NS1_11comp_targetILNS1_3genE5ELNS1_11target_archE942ELNS1_3gpuE9ELNS1_3repE0EEENS1_30default_config_static_selectorELNS0_4arch9wavefront6targetE0EEEvT1_, .Lfunc_end2057-_ZN7rocprim17ROCPRIM_400000_NS6detail17trampoline_kernelINS0_14default_configENS1_27scan_by_key_config_selectorIj11FixedVectorIiLj4EEEEZZNS1_16scan_by_key_implILNS1_25lookback_scan_determinismE0ELb0ES3_N6thrust23THRUST_200600_302600_NS6detail15normal_iteratorINSB_10device_ptrIjEEEENSD_INSE_IS6_EEEESI_S6_NSB_4plusIvEENSB_8equal_toIvEES6_EE10hipError_tPvRmT2_T3_T4_T5_mT6_T7_P12ihipStream_tbENKUlT_T0_E_clISt17integral_constantIbLb1EES12_IbLb0EEEEDaSY_SZ_EUlSY_E_NS1_11comp_targetILNS1_3genE5ELNS1_11target_archE942ELNS1_3gpuE9ELNS1_3repE0EEENS1_30default_config_static_selectorELNS0_4arch9wavefront6targetE0EEEvT1_
                                        ; -- End function
	.set _ZN7rocprim17ROCPRIM_400000_NS6detail17trampoline_kernelINS0_14default_configENS1_27scan_by_key_config_selectorIj11FixedVectorIiLj4EEEEZZNS1_16scan_by_key_implILNS1_25lookback_scan_determinismE0ELb0ES3_N6thrust23THRUST_200600_302600_NS6detail15normal_iteratorINSB_10device_ptrIjEEEENSD_INSE_IS6_EEEESI_S6_NSB_4plusIvEENSB_8equal_toIvEES6_EE10hipError_tPvRmT2_T3_T4_T5_mT6_T7_P12ihipStream_tbENKUlT_T0_E_clISt17integral_constantIbLb1EES12_IbLb0EEEEDaSY_SZ_EUlSY_E_NS1_11comp_targetILNS1_3genE5ELNS1_11target_archE942ELNS1_3gpuE9ELNS1_3repE0EEENS1_30default_config_static_selectorELNS0_4arch9wavefront6targetE0EEEvT1_.num_vgpr, 0
	.set _ZN7rocprim17ROCPRIM_400000_NS6detail17trampoline_kernelINS0_14default_configENS1_27scan_by_key_config_selectorIj11FixedVectorIiLj4EEEEZZNS1_16scan_by_key_implILNS1_25lookback_scan_determinismE0ELb0ES3_N6thrust23THRUST_200600_302600_NS6detail15normal_iteratorINSB_10device_ptrIjEEEENSD_INSE_IS6_EEEESI_S6_NSB_4plusIvEENSB_8equal_toIvEES6_EE10hipError_tPvRmT2_T3_T4_T5_mT6_T7_P12ihipStream_tbENKUlT_T0_E_clISt17integral_constantIbLb1EES12_IbLb0EEEEDaSY_SZ_EUlSY_E_NS1_11comp_targetILNS1_3genE5ELNS1_11target_archE942ELNS1_3gpuE9ELNS1_3repE0EEENS1_30default_config_static_selectorELNS0_4arch9wavefront6targetE0EEEvT1_.num_agpr, 0
	.set _ZN7rocprim17ROCPRIM_400000_NS6detail17trampoline_kernelINS0_14default_configENS1_27scan_by_key_config_selectorIj11FixedVectorIiLj4EEEEZZNS1_16scan_by_key_implILNS1_25lookback_scan_determinismE0ELb0ES3_N6thrust23THRUST_200600_302600_NS6detail15normal_iteratorINSB_10device_ptrIjEEEENSD_INSE_IS6_EEEESI_S6_NSB_4plusIvEENSB_8equal_toIvEES6_EE10hipError_tPvRmT2_T3_T4_T5_mT6_T7_P12ihipStream_tbENKUlT_T0_E_clISt17integral_constantIbLb1EES12_IbLb0EEEEDaSY_SZ_EUlSY_E_NS1_11comp_targetILNS1_3genE5ELNS1_11target_archE942ELNS1_3gpuE9ELNS1_3repE0EEENS1_30default_config_static_selectorELNS0_4arch9wavefront6targetE0EEEvT1_.numbered_sgpr, 0
	.set _ZN7rocprim17ROCPRIM_400000_NS6detail17trampoline_kernelINS0_14default_configENS1_27scan_by_key_config_selectorIj11FixedVectorIiLj4EEEEZZNS1_16scan_by_key_implILNS1_25lookback_scan_determinismE0ELb0ES3_N6thrust23THRUST_200600_302600_NS6detail15normal_iteratorINSB_10device_ptrIjEEEENSD_INSE_IS6_EEEESI_S6_NSB_4plusIvEENSB_8equal_toIvEES6_EE10hipError_tPvRmT2_T3_T4_T5_mT6_T7_P12ihipStream_tbENKUlT_T0_E_clISt17integral_constantIbLb1EES12_IbLb0EEEEDaSY_SZ_EUlSY_E_NS1_11comp_targetILNS1_3genE5ELNS1_11target_archE942ELNS1_3gpuE9ELNS1_3repE0EEENS1_30default_config_static_selectorELNS0_4arch9wavefront6targetE0EEEvT1_.num_named_barrier, 0
	.set _ZN7rocprim17ROCPRIM_400000_NS6detail17trampoline_kernelINS0_14default_configENS1_27scan_by_key_config_selectorIj11FixedVectorIiLj4EEEEZZNS1_16scan_by_key_implILNS1_25lookback_scan_determinismE0ELb0ES3_N6thrust23THRUST_200600_302600_NS6detail15normal_iteratorINSB_10device_ptrIjEEEENSD_INSE_IS6_EEEESI_S6_NSB_4plusIvEENSB_8equal_toIvEES6_EE10hipError_tPvRmT2_T3_T4_T5_mT6_T7_P12ihipStream_tbENKUlT_T0_E_clISt17integral_constantIbLb1EES12_IbLb0EEEEDaSY_SZ_EUlSY_E_NS1_11comp_targetILNS1_3genE5ELNS1_11target_archE942ELNS1_3gpuE9ELNS1_3repE0EEENS1_30default_config_static_selectorELNS0_4arch9wavefront6targetE0EEEvT1_.private_seg_size, 0
	.set _ZN7rocprim17ROCPRIM_400000_NS6detail17trampoline_kernelINS0_14default_configENS1_27scan_by_key_config_selectorIj11FixedVectorIiLj4EEEEZZNS1_16scan_by_key_implILNS1_25lookback_scan_determinismE0ELb0ES3_N6thrust23THRUST_200600_302600_NS6detail15normal_iteratorINSB_10device_ptrIjEEEENSD_INSE_IS6_EEEESI_S6_NSB_4plusIvEENSB_8equal_toIvEES6_EE10hipError_tPvRmT2_T3_T4_T5_mT6_T7_P12ihipStream_tbENKUlT_T0_E_clISt17integral_constantIbLb1EES12_IbLb0EEEEDaSY_SZ_EUlSY_E_NS1_11comp_targetILNS1_3genE5ELNS1_11target_archE942ELNS1_3gpuE9ELNS1_3repE0EEENS1_30default_config_static_selectorELNS0_4arch9wavefront6targetE0EEEvT1_.uses_vcc, 0
	.set _ZN7rocprim17ROCPRIM_400000_NS6detail17trampoline_kernelINS0_14default_configENS1_27scan_by_key_config_selectorIj11FixedVectorIiLj4EEEEZZNS1_16scan_by_key_implILNS1_25lookback_scan_determinismE0ELb0ES3_N6thrust23THRUST_200600_302600_NS6detail15normal_iteratorINSB_10device_ptrIjEEEENSD_INSE_IS6_EEEESI_S6_NSB_4plusIvEENSB_8equal_toIvEES6_EE10hipError_tPvRmT2_T3_T4_T5_mT6_T7_P12ihipStream_tbENKUlT_T0_E_clISt17integral_constantIbLb1EES12_IbLb0EEEEDaSY_SZ_EUlSY_E_NS1_11comp_targetILNS1_3genE5ELNS1_11target_archE942ELNS1_3gpuE9ELNS1_3repE0EEENS1_30default_config_static_selectorELNS0_4arch9wavefront6targetE0EEEvT1_.uses_flat_scratch, 0
	.set _ZN7rocprim17ROCPRIM_400000_NS6detail17trampoline_kernelINS0_14default_configENS1_27scan_by_key_config_selectorIj11FixedVectorIiLj4EEEEZZNS1_16scan_by_key_implILNS1_25lookback_scan_determinismE0ELb0ES3_N6thrust23THRUST_200600_302600_NS6detail15normal_iteratorINSB_10device_ptrIjEEEENSD_INSE_IS6_EEEESI_S6_NSB_4plusIvEENSB_8equal_toIvEES6_EE10hipError_tPvRmT2_T3_T4_T5_mT6_T7_P12ihipStream_tbENKUlT_T0_E_clISt17integral_constantIbLb1EES12_IbLb0EEEEDaSY_SZ_EUlSY_E_NS1_11comp_targetILNS1_3genE5ELNS1_11target_archE942ELNS1_3gpuE9ELNS1_3repE0EEENS1_30default_config_static_selectorELNS0_4arch9wavefront6targetE0EEEvT1_.has_dyn_sized_stack, 0
	.set _ZN7rocprim17ROCPRIM_400000_NS6detail17trampoline_kernelINS0_14default_configENS1_27scan_by_key_config_selectorIj11FixedVectorIiLj4EEEEZZNS1_16scan_by_key_implILNS1_25lookback_scan_determinismE0ELb0ES3_N6thrust23THRUST_200600_302600_NS6detail15normal_iteratorINSB_10device_ptrIjEEEENSD_INSE_IS6_EEEESI_S6_NSB_4plusIvEENSB_8equal_toIvEES6_EE10hipError_tPvRmT2_T3_T4_T5_mT6_T7_P12ihipStream_tbENKUlT_T0_E_clISt17integral_constantIbLb1EES12_IbLb0EEEEDaSY_SZ_EUlSY_E_NS1_11comp_targetILNS1_3genE5ELNS1_11target_archE942ELNS1_3gpuE9ELNS1_3repE0EEENS1_30default_config_static_selectorELNS0_4arch9wavefront6targetE0EEEvT1_.has_recursion, 0
	.set _ZN7rocprim17ROCPRIM_400000_NS6detail17trampoline_kernelINS0_14default_configENS1_27scan_by_key_config_selectorIj11FixedVectorIiLj4EEEEZZNS1_16scan_by_key_implILNS1_25lookback_scan_determinismE0ELb0ES3_N6thrust23THRUST_200600_302600_NS6detail15normal_iteratorINSB_10device_ptrIjEEEENSD_INSE_IS6_EEEESI_S6_NSB_4plusIvEENSB_8equal_toIvEES6_EE10hipError_tPvRmT2_T3_T4_T5_mT6_T7_P12ihipStream_tbENKUlT_T0_E_clISt17integral_constantIbLb1EES12_IbLb0EEEEDaSY_SZ_EUlSY_E_NS1_11comp_targetILNS1_3genE5ELNS1_11target_archE942ELNS1_3gpuE9ELNS1_3repE0EEENS1_30default_config_static_selectorELNS0_4arch9wavefront6targetE0EEEvT1_.has_indirect_call, 0
	.section	.AMDGPU.csdata,"",@progbits
; Kernel info:
; codeLenInByte = 0
; TotalNumSgprs: 0
; NumVgprs: 0
; ScratchSize: 0
; MemoryBound: 0
; FloatMode: 240
; IeeeMode: 1
; LDSByteSize: 0 bytes/workgroup (compile time only)
; SGPRBlocks: 0
; VGPRBlocks: 0
; NumSGPRsForWavesPerEU: 1
; NumVGPRsForWavesPerEU: 1
; NamedBarCnt: 0
; Occupancy: 16
; WaveLimiterHint : 0
; COMPUTE_PGM_RSRC2:SCRATCH_EN: 0
; COMPUTE_PGM_RSRC2:USER_SGPR: 2
; COMPUTE_PGM_RSRC2:TRAP_HANDLER: 0
; COMPUTE_PGM_RSRC2:TGID_X_EN: 1
; COMPUTE_PGM_RSRC2:TGID_Y_EN: 0
; COMPUTE_PGM_RSRC2:TGID_Z_EN: 0
; COMPUTE_PGM_RSRC2:TIDIG_COMP_CNT: 0
	.section	.text._ZN7rocprim17ROCPRIM_400000_NS6detail17trampoline_kernelINS0_14default_configENS1_27scan_by_key_config_selectorIj11FixedVectorIiLj4EEEEZZNS1_16scan_by_key_implILNS1_25lookback_scan_determinismE0ELb0ES3_N6thrust23THRUST_200600_302600_NS6detail15normal_iteratorINSB_10device_ptrIjEEEENSD_INSE_IS6_EEEESI_S6_NSB_4plusIvEENSB_8equal_toIvEES6_EE10hipError_tPvRmT2_T3_T4_T5_mT6_T7_P12ihipStream_tbENKUlT_T0_E_clISt17integral_constantIbLb1EES12_IbLb0EEEEDaSY_SZ_EUlSY_E_NS1_11comp_targetILNS1_3genE4ELNS1_11target_archE910ELNS1_3gpuE8ELNS1_3repE0EEENS1_30default_config_static_selectorELNS0_4arch9wavefront6targetE0EEEvT1_,"axG",@progbits,_ZN7rocprim17ROCPRIM_400000_NS6detail17trampoline_kernelINS0_14default_configENS1_27scan_by_key_config_selectorIj11FixedVectorIiLj4EEEEZZNS1_16scan_by_key_implILNS1_25lookback_scan_determinismE0ELb0ES3_N6thrust23THRUST_200600_302600_NS6detail15normal_iteratorINSB_10device_ptrIjEEEENSD_INSE_IS6_EEEESI_S6_NSB_4plusIvEENSB_8equal_toIvEES6_EE10hipError_tPvRmT2_T3_T4_T5_mT6_T7_P12ihipStream_tbENKUlT_T0_E_clISt17integral_constantIbLb1EES12_IbLb0EEEEDaSY_SZ_EUlSY_E_NS1_11comp_targetILNS1_3genE4ELNS1_11target_archE910ELNS1_3gpuE8ELNS1_3repE0EEENS1_30default_config_static_selectorELNS0_4arch9wavefront6targetE0EEEvT1_,comdat
	.protected	_ZN7rocprim17ROCPRIM_400000_NS6detail17trampoline_kernelINS0_14default_configENS1_27scan_by_key_config_selectorIj11FixedVectorIiLj4EEEEZZNS1_16scan_by_key_implILNS1_25lookback_scan_determinismE0ELb0ES3_N6thrust23THRUST_200600_302600_NS6detail15normal_iteratorINSB_10device_ptrIjEEEENSD_INSE_IS6_EEEESI_S6_NSB_4plusIvEENSB_8equal_toIvEES6_EE10hipError_tPvRmT2_T3_T4_T5_mT6_T7_P12ihipStream_tbENKUlT_T0_E_clISt17integral_constantIbLb1EES12_IbLb0EEEEDaSY_SZ_EUlSY_E_NS1_11comp_targetILNS1_3genE4ELNS1_11target_archE910ELNS1_3gpuE8ELNS1_3repE0EEENS1_30default_config_static_selectorELNS0_4arch9wavefront6targetE0EEEvT1_ ; -- Begin function _ZN7rocprim17ROCPRIM_400000_NS6detail17trampoline_kernelINS0_14default_configENS1_27scan_by_key_config_selectorIj11FixedVectorIiLj4EEEEZZNS1_16scan_by_key_implILNS1_25lookback_scan_determinismE0ELb0ES3_N6thrust23THRUST_200600_302600_NS6detail15normal_iteratorINSB_10device_ptrIjEEEENSD_INSE_IS6_EEEESI_S6_NSB_4plusIvEENSB_8equal_toIvEES6_EE10hipError_tPvRmT2_T3_T4_T5_mT6_T7_P12ihipStream_tbENKUlT_T0_E_clISt17integral_constantIbLb1EES12_IbLb0EEEEDaSY_SZ_EUlSY_E_NS1_11comp_targetILNS1_3genE4ELNS1_11target_archE910ELNS1_3gpuE8ELNS1_3repE0EEENS1_30default_config_static_selectorELNS0_4arch9wavefront6targetE0EEEvT1_
	.globl	_ZN7rocprim17ROCPRIM_400000_NS6detail17trampoline_kernelINS0_14default_configENS1_27scan_by_key_config_selectorIj11FixedVectorIiLj4EEEEZZNS1_16scan_by_key_implILNS1_25lookback_scan_determinismE0ELb0ES3_N6thrust23THRUST_200600_302600_NS6detail15normal_iteratorINSB_10device_ptrIjEEEENSD_INSE_IS6_EEEESI_S6_NSB_4plusIvEENSB_8equal_toIvEES6_EE10hipError_tPvRmT2_T3_T4_T5_mT6_T7_P12ihipStream_tbENKUlT_T0_E_clISt17integral_constantIbLb1EES12_IbLb0EEEEDaSY_SZ_EUlSY_E_NS1_11comp_targetILNS1_3genE4ELNS1_11target_archE910ELNS1_3gpuE8ELNS1_3repE0EEENS1_30default_config_static_selectorELNS0_4arch9wavefront6targetE0EEEvT1_
	.p2align	8
	.type	_ZN7rocprim17ROCPRIM_400000_NS6detail17trampoline_kernelINS0_14default_configENS1_27scan_by_key_config_selectorIj11FixedVectorIiLj4EEEEZZNS1_16scan_by_key_implILNS1_25lookback_scan_determinismE0ELb0ES3_N6thrust23THRUST_200600_302600_NS6detail15normal_iteratorINSB_10device_ptrIjEEEENSD_INSE_IS6_EEEESI_S6_NSB_4plusIvEENSB_8equal_toIvEES6_EE10hipError_tPvRmT2_T3_T4_T5_mT6_T7_P12ihipStream_tbENKUlT_T0_E_clISt17integral_constantIbLb1EES12_IbLb0EEEEDaSY_SZ_EUlSY_E_NS1_11comp_targetILNS1_3genE4ELNS1_11target_archE910ELNS1_3gpuE8ELNS1_3repE0EEENS1_30default_config_static_selectorELNS0_4arch9wavefront6targetE0EEEvT1_,@function
_ZN7rocprim17ROCPRIM_400000_NS6detail17trampoline_kernelINS0_14default_configENS1_27scan_by_key_config_selectorIj11FixedVectorIiLj4EEEEZZNS1_16scan_by_key_implILNS1_25lookback_scan_determinismE0ELb0ES3_N6thrust23THRUST_200600_302600_NS6detail15normal_iteratorINSB_10device_ptrIjEEEENSD_INSE_IS6_EEEESI_S6_NSB_4plusIvEENSB_8equal_toIvEES6_EE10hipError_tPvRmT2_T3_T4_T5_mT6_T7_P12ihipStream_tbENKUlT_T0_E_clISt17integral_constantIbLb1EES12_IbLb0EEEEDaSY_SZ_EUlSY_E_NS1_11comp_targetILNS1_3genE4ELNS1_11target_archE910ELNS1_3gpuE8ELNS1_3repE0EEENS1_30default_config_static_selectorELNS0_4arch9wavefront6targetE0EEEvT1_: ; @_ZN7rocprim17ROCPRIM_400000_NS6detail17trampoline_kernelINS0_14default_configENS1_27scan_by_key_config_selectorIj11FixedVectorIiLj4EEEEZZNS1_16scan_by_key_implILNS1_25lookback_scan_determinismE0ELb0ES3_N6thrust23THRUST_200600_302600_NS6detail15normal_iteratorINSB_10device_ptrIjEEEENSD_INSE_IS6_EEEESI_S6_NSB_4plusIvEENSB_8equal_toIvEES6_EE10hipError_tPvRmT2_T3_T4_T5_mT6_T7_P12ihipStream_tbENKUlT_T0_E_clISt17integral_constantIbLb1EES12_IbLb0EEEEDaSY_SZ_EUlSY_E_NS1_11comp_targetILNS1_3genE4ELNS1_11target_archE910ELNS1_3gpuE8ELNS1_3repE0EEENS1_30default_config_static_selectorELNS0_4arch9wavefront6targetE0EEEvT1_
; %bb.0:
	.section	.rodata,"a",@progbits
	.p2align	6, 0x0
	.amdhsa_kernel _ZN7rocprim17ROCPRIM_400000_NS6detail17trampoline_kernelINS0_14default_configENS1_27scan_by_key_config_selectorIj11FixedVectorIiLj4EEEEZZNS1_16scan_by_key_implILNS1_25lookback_scan_determinismE0ELb0ES3_N6thrust23THRUST_200600_302600_NS6detail15normal_iteratorINSB_10device_ptrIjEEEENSD_INSE_IS6_EEEESI_S6_NSB_4plusIvEENSB_8equal_toIvEES6_EE10hipError_tPvRmT2_T3_T4_T5_mT6_T7_P12ihipStream_tbENKUlT_T0_E_clISt17integral_constantIbLb1EES12_IbLb0EEEEDaSY_SZ_EUlSY_E_NS1_11comp_targetILNS1_3genE4ELNS1_11target_archE910ELNS1_3gpuE8ELNS1_3repE0EEENS1_30default_config_static_selectorELNS0_4arch9wavefront6targetE0EEEvT1_
		.amdhsa_group_segment_fixed_size 0
		.amdhsa_private_segment_fixed_size 0
		.amdhsa_kernarg_size 144
		.amdhsa_user_sgpr_count 2
		.amdhsa_user_sgpr_dispatch_ptr 0
		.amdhsa_user_sgpr_queue_ptr 0
		.amdhsa_user_sgpr_kernarg_segment_ptr 1
		.amdhsa_user_sgpr_dispatch_id 0
		.amdhsa_user_sgpr_kernarg_preload_length 0
		.amdhsa_user_sgpr_kernarg_preload_offset 0
		.amdhsa_user_sgpr_private_segment_size 0
		.amdhsa_wavefront_size32 1
		.amdhsa_uses_dynamic_stack 0
		.amdhsa_enable_private_segment 0
		.amdhsa_system_sgpr_workgroup_id_x 1
		.amdhsa_system_sgpr_workgroup_id_y 0
		.amdhsa_system_sgpr_workgroup_id_z 0
		.amdhsa_system_sgpr_workgroup_info 0
		.amdhsa_system_vgpr_workitem_id 0
		.amdhsa_next_free_vgpr 1
		.amdhsa_next_free_sgpr 1
		.amdhsa_named_barrier_count 0
		.amdhsa_reserve_vcc 0
		.amdhsa_float_round_mode_32 0
		.amdhsa_float_round_mode_16_64 0
		.amdhsa_float_denorm_mode_32 3
		.amdhsa_float_denorm_mode_16_64 3
		.amdhsa_fp16_overflow 0
		.amdhsa_memory_ordered 1
		.amdhsa_forward_progress 1
		.amdhsa_inst_pref_size 0
		.amdhsa_round_robin_scheduling 0
		.amdhsa_exception_fp_ieee_invalid_op 0
		.amdhsa_exception_fp_denorm_src 0
		.amdhsa_exception_fp_ieee_div_zero 0
		.amdhsa_exception_fp_ieee_overflow 0
		.amdhsa_exception_fp_ieee_underflow 0
		.amdhsa_exception_fp_ieee_inexact 0
		.amdhsa_exception_int_div_zero 0
	.end_amdhsa_kernel
	.section	.text._ZN7rocprim17ROCPRIM_400000_NS6detail17trampoline_kernelINS0_14default_configENS1_27scan_by_key_config_selectorIj11FixedVectorIiLj4EEEEZZNS1_16scan_by_key_implILNS1_25lookback_scan_determinismE0ELb0ES3_N6thrust23THRUST_200600_302600_NS6detail15normal_iteratorINSB_10device_ptrIjEEEENSD_INSE_IS6_EEEESI_S6_NSB_4plusIvEENSB_8equal_toIvEES6_EE10hipError_tPvRmT2_T3_T4_T5_mT6_T7_P12ihipStream_tbENKUlT_T0_E_clISt17integral_constantIbLb1EES12_IbLb0EEEEDaSY_SZ_EUlSY_E_NS1_11comp_targetILNS1_3genE4ELNS1_11target_archE910ELNS1_3gpuE8ELNS1_3repE0EEENS1_30default_config_static_selectorELNS0_4arch9wavefront6targetE0EEEvT1_,"axG",@progbits,_ZN7rocprim17ROCPRIM_400000_NS6detail17trampoline_kernelINS0_14default_configENS1_27scan_by_key_config_selectorIj11FixedVectorIiLj4EEEEZZNS1_16scan_by_key_implILNS1_25lookback_scan_determinismE0ELb0ES3_N6thrust23THRUST_200600_302600_NS6detail15normal_iteratorINSB_10device_ptrIjEEEENSD_INSE_IS6_EEEESI_S6_NSB_4plusIvEENSB_8equal_toIvEES6_EE10hipError_tPvRmT2_T3_T4_T5_mT6_T7_P12ihipStream_tbENKUlT_T0_E_clISt17integral_constantIbLb1EES12_IbLb0EEEEDaSY_SZ_EUlSY_E_NS1_11comp_targetILNS1_3genE4ELNS1_11target_archE910ELNS1_3gpuE8ELNS1_3repE0EEENS1_30default_config_static_selectorELNS0_4arch9wavefront6targetE0EEEvT1_,comdat
.Lfunc_end2058:
	.size	_ZN7rocprim17ROCPRIM_400000_NS6detail17trampoline_kernelINS0_14default_configENS1_27scan_by_key_config_selectorIj11FixedVectorIiLj4EEEEZZNS1_16scan_by_key_implILNS1_25lookback_scan_determinismE0ELb0ES3_N6thrust23THRUST_200600_302600_NS6detail15normal_iteratorINSB_10device_ptrIjEEEENSD_INSE_IS6_EEEESI_S6_NSB_4plusIvEENSB_8equal_toIvEES6_EE10hipError_tPvRmT2_T3_T4_T5_mT6_T7_P12ihipStream_tbENKUlT_T0_E_clISt17integral_constantIbLb1EES12_IbLb0EEEEDaSY_SZ_EUlSY_E_NS1_11comp_targetILNS1_3genE4ELNS1_11target_archE910ELNS1_3gpuE8ELNS1_3repE0EEENS1_30default_config_static_selectorELNS0_4arch9wavefront6targetE0EEEvT1_, .Lfunc_end2058-_ZN7rocprim17ROCPRIM_400000_NS6detail17trampoline_kernelINS0_14default_configENS1_27scan_by_key_config_selectorIj11FixedVectorIiLj4EEEEZZNS1_16scan_by_key_implILNS1_25lookback_scan_determinismE0ELb0ES3_N6thrust23THRUST_200600_302600_NS6detail15normal_iteratorINSB_10device_ptrIjEEEENSD_INSE_IS6_EEEESI_S6_NSB_4plusIvEENSB_8equal_toIvEES6_EE10hipError_tPvRmT2_T3_T4_T5_mT6_T7_P12ihipStream_tbENKUlT_T0_E_clISt17integral_constantIbLb1EES12_IbLb0EEEEDaSY_SZ_EUlSY_E_NS1_11comp_targetILNS1_3genE4ELNS1_11target_archE910ELNS1_3gpuE8ELNS1_3repE0EEENS1_30default_config_static_selectorELNS0_4arch9wavefront6targetE0EEEvT1_
                                        ; -- End function
	.set _ZN7rocprim17ROCPRIM_400000_NS6detail17trampoline_kernelINS0_14default_configENS1_27scan_by_key_config_selectorIj11FixedVectorIiLj4EEEEZZNS1_16scan_by_key_implILNS1_25lookback_scan_determinismE0ELb0ES3_N6thrust23THRUST_200600_302600_NS6detail15normal_iteratorINSB_10device_ptrIjEEEENSD_INSE_IS6_EEEESI_S6_NSB_4plusIvEENSB_8equal_toIvEES6_EE10hipError_tPvRmT2_T3_T4_T5_mT6_T7_P12ihipStream_tbENKUlT_T0_E_clISt17integral_constantIbLb1EES12_IbLb0EEEEDaSY_SZ_EUlSY_E_NS1_11comp_targetILNS1_3genE4ELNS1_11target_archE910ELNS1_3gpuE8ELNS1_3repE0EEENS1_30default_config_static_selectorELNS0_4arch9wavefront6targetE0EEEvT1_.num_vgpr, 0
	.set _ZN7rocprim17ROCPRIM_400000_NS6detail17trampoline_kernelINS0_14default_configENS1_27scan_by_key_config_selectorIj11FixedVectorIiLj4EEEEZZNS1_16scan_by_key_implILNS1_25lookback_scan_determinismE0ELb0ES3_N6thrust23THRUST_200600_302600_NS6detail15normal_iteratorINSB_10device_ptrIjEEEENSD_INSE_IS6_EEEESI_S6_NSB_4plusIvEENSB_8equal_toIvEES6_EE10hipError_tPvRmT2_T3_T4_T5_mT6_T7_P12ihipStream_tbENKUlT_T0_E_clISt17integral_constantIbLb1EES12_IbLb0EEEEDaSY_SZ_EUlSY_E_NS1_11comp_targetILNS1_3genE4ELNS1_11target_archE910ELNS1_3gpuE8ELNS1_3repE0EEENS1_30default_config_static_selectorELNS0_4arch9wavefront6targetE0EEEvT1_.num_agpr, 0
	.set _ZN7rocprim17ROCPRIM_400000_NS6detail17trampoline_kernelINS0_14default_configENS1_27scan_by_key_config_selectorIj11FixedVectorIiLj4EEEEZZNS1_16scan_by_key_implILNS1_25lookback_scan_determinismE0ELb0ES3_N6thrust23THRUST_200600_302600_NS6detail15normal_iteratorINSB_10device_ptrIjEEEENSD_INSE_IS6_EEEESI_S6_NSB_4plusIvEENSB_8equal_toIvEES6_EE10hipError_tPvRmT2_T3_T4_T5_mT6_T7_P12ihipStream_tbENKUlT_T0_E_clISt17integral_constantIbLb1EES12_IbLb0EEEEDaSY_SZ_EUlSY_E_NS1_11comp_targetILNS1_3genE4ELNS1_11target_archE910ELNS1_3gpuE8ELNS1_3repE0EEENS1_30default_config_static_selectorELNS0_4arch9wavefront6targetE0EEEvT1_.numbered_sgpr, 0
	.set _ZN7rocprim17ROCPRIM_400000_NS6detail17trampoline_kernelINS0_14default_configENS1_27scan_by_key_config_selectorIj11FixedVectorIiLj4EEEEZZNS1_16scan_by_key_implILNS1_25lookback_scan_determinismE0ELb0ES3_N6thrust23THRUST_200600_302600_NS6detail15normal_iteratorINSB_10device_ptrIjEEEENSD_INSE_IS6_EEEESI_S6_NSB_4plusIvEENSB_8equal_toIvEES6_EE10hipError_tPvRmT2_T3_T4_T5_mT6_T7_P12ihipStream_tbENKUlT_T0_E_clISt17integral_constantIbLb1EES12_IbLb0EEEEDaSY_SZ_EUlSY_E_NS1_11comp_targetILNS1_3genE4ELNS1_11target_archE910ELNS1_3gpuE8ELNS1_3repE0EEENS1_30default_config_static_selectorELNS0_4arch9wavefront6targetE0EEEvT1_.num_named_barrier, 0
	.set _ZN7rocprim17ROCPRIM_400000_NS6detail17trampoline_kernelINS0_14default_configENS1_27scan_by_key_config_selectorIj11FixedVectorIiLj4EEEEZZNS1_16scan_by_key_implILNS1_25lookback_scan_determinismE0ELb0ES3_N6thrust23THRUST_200600_302600_NS6detail15normal_iteratorINSB_10device_ptrIjEEEENSD_INSE_IS6_EEEESI_S6_NSB_4plusIvEENSB_8equal_toIvEES6_EE10hipError_tPvRmT2_T3_T4_T5_mT6_T7_P12ihipStream_tbENKUlT_T0_E_clISt17integral_constantIbLb1EES12_IbLb0EEEEDaSY_SZ_EUlSY_E_NS1_11comp_targetILNS1_3genE4ELNS1_11target_archE910ELNS1_3gpuE8ELNS1_3repE0EEENS1_30default_config_static_selectorELNS0_4arch9wavefront6targetE0EEEvT1_.private_seg_size, 0
	.set _ZN7rocprim17ROCPRIM_400000_NS6detail17trampoline_kernelINS0_14default_configENS1_27scan_by_key_config_selectorIj11FixedVectorIiLj4EEEEZZNS1_16scan_by_key_implILNS1_25lookback_scan_determinismE0ELb0ES3_N6thrust23THRUST_200600_302600_NS6detail15normal_iteratorINSB_10device_ptrIjEEEENSD_INSE_IS6_EEEESI_S6_NSB_4plusIvEENSB_8equal_toIvEES6_EE10hipError_tPvRmT2_T3_T4_T5_mT6_T7_P12ihipStream_tbENKUlT_T0_E_clISt17integral_constantIbLb1EES12_IbLb0EEEEDaSY_SZ_EUlSY_E_NS1_11comp_targetILNS1_3genE4ELNS1_11target_archE910ELNS1_3gpuE8ELNS1_3repE0EEENS1_30default_config_static_selectorELNS0_4arch9wavefront6targetE0EEEvT1_.uses_vcc, 0
	.set _ZN7rocprim17ROCPRIM_400000_NS6detail17trampoline_kernelINS0_14default_configENS1_27scan_by_key_config_selectorIj11FixedVectorIiLj4EEEEZZNS1_16scan_by_key_implILNS1_25lookback_scan_determinismE0ELb0ES3_N6thrust23THRUST_200600_302600_NS6detail15normal_iteratorINSB_10device_ptrIjEEEENSD_INSE_IS6_EEEESI_S6_NSB_4plusIvEENSB_8equal_toIvEES6_EE10hipError_tPvRmT2_T3_T4_T5_mT6_T7_P12ihipStream_tbENKUlT_T0_E_clISt17integral_constantIbLb1EES12_IbLb0EEEEDaSY_SZ_EUlSY_E_NS1_11comp_targetILNS1_3genE4ELNS1_11target_archE910ELNS1_3gpuE8ELNS1_3repE0EEENS1_30default_config_static_selectorELNS0_4arch9wavefront6targetE0EEEvT1_.uses_flat_scratch, 0
	.set _ZN7rocprim17ROCPRIM_400000_NS6detail17trampoline_kernelINS0_14default_configENS1_27scan_by_key_config_selectorIj11FixedVectorIiLj4EEEEZZNS1_16scan_by_key_implILNS1_25lookback_scan_determinismE0ELb0ES3_N6thrust23THRUST_200600_302600_NS6detail15normal_iteratorINSB_10device_ptrIjEEEENSD_INSE_IS6_EEEESI_S6_NSB_4plusIvEENSB_8equal_toIvEES6_EE10hipError_tPvRmT2_T3_T4_T5_mT6_T7_P12ihipStream_tbENKUlT_T0_E_clISt17integral_constantIbLb1EES12_IbLb0EEEEDaSY_SZ_EUlSY_E_NS1_11comp_targetILNS1_3genE4ELNS1_11target_archE910ELNS1_3gpuE8ELNS1_3repE0EEENS1_30default_config_static_selectorELNS0_4arch9wavefront6targetE0EEEvT1_.has_dyn_sized_stack, 0
	.set _ZN7rocprim17ROCPRIM_400000_NS6detail17trampoline_kernelINS0_14default_configENS1_27scan_by_key_config_selectorIj11FixedVectorIiLj4EEEEZZNS1_16scan_by_key_implILNS1_25lookback_scan_determinismE0ELb0ES3_N6thrust23THRUST_200600_302600_NS6detail15normal_iteratorINSB_10device_ptrIjEEEENSD_INSE_IS6_EEEESI_S6_NSB_4plusIvEENSB_8equal_toIvEES6_EE10hipError_tPvRmT2_T3_T4_T5_mT6_T7_P12ihipStream_tbENKUlT_T0_E_clISt17integral_constantIbLb1EES12_IbLb0EEEEDaSY_SZ_EUlSY_E_NS1_11comp_targetILNS1_3genE4ELNS1_11target_archE910ELNS1_3gpuE8ELNS1_3repE0EEENS1_30default_config_static_selectorELNS0_4arch9wavefront6targetE0EEEvT1_.has_recursion, 0
	.set _ZN7rocprim17ROCPRIM_400000_NS6detail17trampoline_kernelINS0_14default_configENS1_27scan_by_key_config_selectorIj11FixedVectorIiLj4EEEEZZNS1_16scan_by_key_implILNS1_25lookback_scan_determinismE0ELb0ES3_N6thrust23THRUST_200600_302600_NS6detail15normal_iteratorINSB_10device_ptrIjEEEENSD_INSE_IS6_EEEESI_S6_NSB_4plusIvEENSB_8equal_toIvEES6_EE10hipError_tPvRmT2_T3_T4_T5_mT6_T7_P12ihipStream_tbENKUlT_T0_E_clISt17integral_constantIbLb1EES12_IbLb0EEEEDaSY_SZ_EUlSY_E_NS1_11comp_targetILNS1_3genE4ELNS1_11target_archE910ELNS1_3gpuE8ELNS1_3repE0EEENS1_30default_config_static_selectorELNS0_4arch9wavefront6targetE0EEEvT1_.has_indirect_call, 0
	.section	.AMDGPU.csdata,"",@progbits
; Kernel info:
; codeLenInByte = 0
; TotalNumSgprs: 0
; NumVgprs: 0
; ScratchSize: 0
; MemoryBound: 0
; FloatMode: 240
; IeeeMode: 1
; LDSByteSize: 0 bytes/workgroup (compile time only)
; SGPRBlocks: 0
; VGPRBlocks: 0
; NumSGPRsForWavesPerEU: 1
; NumVGPRsForWavesPerEU: 1
; NamedBarCnt: 0
; Occupancy: 16
; WaveLimiterHint : 0
; COMPUTE_PGM_RSRC2:SCRATCH_EN: 0
; COMPUTE_PGM_RSRC2:USER_SGPR: 2
; COMPUTE_PGM_RSRC2:TRAP_HANDLER: 0
; COMPUTE_PGM_RSRC2:TGID_X_EN: 1
; COMPUTE_PGM_RSRC2:TGID_Y_EN: 0
; COMPUTE_PGM_RSRC2:TGID_Z_EN: 0
; COMPUTE_PGM_RSRC2:TIDIG_COMP_CNT: 0
	.section	.text._ZN7rocprim17ROCPRIM_400000_NS6detail17trampoline_kernelINS0_14default_configENS1_27scan_by_key_config_selectorIj11FixedVectorIiLj4EEEEZZNS1_16scan_by_key_implILNS1_25lookback_scan_determinismE0ELb0ES3_N6thrust23THRUST_200600_302600_NS6detail15normal_iteratorINSB_10device_ptrIjEEEENSD_INSE_IS6_EEEESI_S6_NSB_4plusIvEENSB_8equal_toIvEES6_EE10hipError_tPvRmT2_T3_T4_T5_mT6_T7_P12ihipStream_tbENKUlT_T0_E_clISt17integral_constantIbLb1EES12_IbLb0EEEEDaSY_SZ_EUlSY_E_NS1_11comp_targetILNS1_3genE3ELNS1_11target_archE908ELNS1_3gpuE7ELNS1_3repE0EEENS1_30default_config_static_selectorELNS0_4arch9wavefront6targetE0EEEvT1_,"axG",@progbits,_ZN7rocprim17ROCPRIM_400000_NS6detail17trampoline_kernelINS0_14default_configENS1_27scan_by_key_config_selectorIj11FixedVectorIiLj4EEEEZZNS1_16scan_by_key_implILNS1_25lookback_scan_determinismE0ELb0ES3_N6thrust23THRUST_200600_302600_NS6detail15normal_iteratorINSB_10device_ptrIjEEEENSD_INSE_IS6_EEEESI_S6_NSB_4plusIvEENSB_8equal_toIvEES6_EE10hipError_tPvRmT2_T3_T4_T5_mT6_T7_P12ihipStream_tbENKUlT_T0_E_clISt17integral_constantIbLb1EES12_IbLb0EEEEDaSY_SZ_EUlSY_E_NS1_11comp_targetILNS1_3genE3ELNS1_11target_archE908ELNS1_3gpuE7ELNS1_3repE0EEENS1_30default_config_static_selectorELNS0_4arch9wavefront6targetE0EEEvT1_,comdat
	.protected	_ZN7rocprim17ROCPRIM_400000_NS6detail17trampoline_kernelINS0_14default_configENS1_27scan_by_key_config_selectorIj11FixedVectorIiLj4EEEEZZNS1_16scan_by_key_implILNS1_25lookback_scan_determinismE0ELb0ES3_N6thrust23THRUST_200600_302600_NS6detail15normal_iteratorINSB_10device_ptrIjEEEENSD_INSE_IS6_EEEESI_S6_NSB_4plusIvEENSB_8equal_toIvEES6_EE10hipError_tPvRmT2_T3_T4_T5_mT6_T7_P12ihipStream_tbENKUlT_T0_E_clISt17integral_constantIbLb1EES12_IbLb0EEEEDaSY_SZ_EUlSY_E_NS1_11comp_targetILNS1_3genE3ELNS1_11target_archE908ELNS1_3gpuE7ELNS1_3repE0EEENS1_30default_config_static_selectorELNS0_4arch9wavefront6targetE0EEEvT1_ ; -- Begin function _ZN7rocprim17ROCPRIM_400000_NS6detail17trampoline_kernelINS0_14default_configENS1_27scan_by_key_config_selectorIj11FixedVectorIiLj4EEEEZZNS1_16scan_by_key_implILNS1_25lookback_scan_determinismE0ELb0ES3_N6thrust23THRUST_200600_302600_NS6detail15normal_iteratorINSB_10device_ptrIjEEEENSD_INSE_IS6_EEEESI_S6_NSB_4plusIvEENSB_8equal_toIvEES6_EE10hipError_tPvRmT2_T3_T4_T5_mT6_T7_P12ihipStream_tbENKUlT_T0_E_clISt17integral_constantIbLb1EES12_IbLb0EEEEDaSY_SZ_EUlSY_E_NS1_11comp_targetILNS1_3genE3ELNS1_11target_archE908ELNS1_3gpuE7ELNS1_3repE0EEENS1_30default_config_static_selectorELNS0_4arch9wavefront6targetE0EEEvT1_
	.globl	_ZN7rocprim17ROCPRIM_400000_NS6detail17trampoline_kernelINS0_14default_configENS1_27scan_by_key_config_selectorIj11FixedVectorIiLj4EEEEZZNS1_16scan_by_key_implILNS1_25lookback_scan_determinismE0ELb0ES3_N6thrust23THRUST_200600_302600_NS6detail15normal_iteratorINSB_10device_ptrIjEEEENSD_INSE_IS6_EEEESI_S6_NSB_4plusIvEENSB_8equal_toIvEES6_EE10hipError_tPvRmT2_T3_T4_T5_mT6_T7_P12ihipStream_tbENKUlT_T0_E_clISt17integral_constantIbLb1EES12_IbLb0EEEEDaSY_SZ_EUlSY_E_NS1_11comp_targetILNS1_3genE3ELNS1_11target_archE908ELNS1_3gpuE7ELNS1_3repE0EEENS1_30default_config_static_selectorELNS0_4arch9wavefront6targetE0EEEvT1_
	.p2align	8
	.type	_ZN7rocprim17ROCPRIM_400000_NS6detail17trampoline_kernelINS0_14default_configENS1_27scan_by_key_config_selectorIj11FixedVectorIiLj4EEEEZZNS1_16scan_by_key_implILNS1_25lookback_scan_determinismE0ELb0ES3_N6thrust23THRUST_200600_302600_NS6detail15normal_iteratorINSB_10device_ptrIjEEEENSD_INSE_IS6_EEEESI_S6_NSB_4plusIvEENSB_8equal_toIvEES6_EE10hipError_tPvRmT2_T3_T4_T5_mT6_T7_P12ihipStream_tbENKUlT_T0_E_clISt17integral_constantIbLb1EES12_IbLb0EEEEDaSY_SZ_EUlSY_E_NS1_11comp_targetILNS1_3genE3ELNS1_11target_archE908ELNS1_3gpuE7ELNS1_3repE0EEENS1_30default_config_static_selectorELNS0_4arch9wavefront6targetE0EEEvT1_,@function
_ZN7rocprim17ROCPRIM_400000_NS6detail17trampoline_kernelINS0_14default_configENS1_27scan_by_key_config_selectorIj11FixedVectorIiLj4EEEEZZNS1_16scan_by_key_implILNS1_25lookback_scan_determinismE0ELb0ES3_N6thrust23THRUST_200600_302600_NS6detail15normal_iteratorINSB_10device_ptrIjEEEENSD_INSE_IS6_EEEESI_S6_NSB_4plusIvEENSB_8equal_toIvEES6_EE10hipError_tPvRmT2_T3_T4_T5_mT6_T7_P12ihipStream_tbENKUlT_T0_E_clISt17integral_constantIbLb1EES12_IbLb0EEEEDaSY_SZ_EUlSY_E_NS1_11comp_targetILNS1_3genE3ELNS1_11target_archE908ELNS1_3gpuE7ELNS1_3repE0EEENS1_30default_config_static_selectorELNS0_4arch9wavefront6targetE0EEEvT1_: ; @_ZN7rocprim17ROCPRIM_400000_NS6detail17trampoline_kernelINS0_14default_configENS1_27scan_by_key_config_selectorIj11FixedVectorIiLj4EEEEZZNS1_16scan_by_key_implILNS1_25lookback_scan_determinismE0ELb0ES3_N6thrust23THRUST_200600_302600_NS6detail15normal_iteratorINSB_10device_ptrIjEEEENSD_INSE_IS6_EEEESI_S6_NSB_4plusIvEENSB_8equal_toIvEES6_EE10hipError_tPvRmT2_T3_T4_T5_mT6_T7_P12ihipStream_tbENKUlT_T0_E_clISt17integral_constantIbLb1EES12_IbLb0EEEEDaSY_SZ_EUlSY_E_NS1_11comp_targetILNS1_3genE3ELNS1_11target_archE908ELNS1_3gpuE7ELNS1_3repE0EEENS1_30default_config_static_selectorELNS0_4arch9wavefront6targetE0EEEvT1_
; %bb.0:
	.section	.rodata,"a",@progbits
	.p2align	6, 0x0
	.amdhsa_kernel _ZN7rocprim17ROCPRIM_400000_NS6detail17trampoline_kernelINS0_14default_configENS1_27scan_by_key_config_selectorIj11FixedVectorIiLj4EEEEZZNS1_16scan_by_key_implILNS1_25lookback_scan_determinismE0ELb0ES3_N6thrust23THRUST_200600_302600_NS6detail15normal_iteratorINSB_10device_ptrIjEEEENSD_INSE_IS6_EEEESI_S6_NSB_4plusIvEENSB_8equal_toIvEES6_EE10hipError_tPvRmT2_T3_T4_T5_mT6_T7_P12ihipStream_tbENKUlT_T0_E_clISt17integral_constantIbLb1EES12_IbLb0EEEEDaSY_SZ_EUlSY_E_NS1_11comp_targetILNS1_3genE3ELNS1_11target_archE908ELNS1_3gpuE7ELNS1_3repE0EEENS1_30default_config_static_selectorELNS0_4arch9wavefront6targetE0EEEvT1_
		.amdhsa_group_segment_fixed_size 0
		.amdhsa_private_segment_fixed_size 0
		.amdhsa_kernarg_size 144
		.amdhsa_user_sgpr_count 2
		.amdhsa_user_sgpr_dispatch_ptr 0
		.amdhsa_user_sgpr_queue_ptr 0
		.amdhsa_user_sgpr_kernarg_segment_ptr 1
		.amdhsa_user_sgpr_dispatch_id 0
		.amdhsa_user_sgpr_kernarg_preload_length 0
		.amdhsa_user_sgpr_kernarg_preload_offset 0
		.amdhsa_user_sgpr_private_segment_size 0
		.amdhsa_wavefront_size32 1
		.amdhsa_uses_dynamic_stack 0
		.amdhsa_enable_private_segment 0
		.amdhsa_system_sgpr_workgroup_id_x 1
		.amdhsa_system_sgpr_workgroup_id_y 0
		.amdhsa_system_sgpr_workgroup_id_z 0
		.amdhsa_system_sgpr_workgroup_info 0
		.amdhsa_system_vgpr_workitem_id 0
		.amdhsa_next_free_vgpr 1
		.amdhsa_next_free_sgpr 1
		.amdhsa_named_barrier_count 0
		.amdhsa_reserve_vcc 0
		.amdhsa_float_round_mode_32 0
		.amdhsa_float_round_mode_16_64 0
		.amdhsa_float_denorm_mode_32 3
		.amdhsa_float_denorm_mode_16_64 3
		.amdhsa_fp16_overflow 0
		.amdhsa_memory_ordered 1
		.amdhsa_forward_progress 1
		.amdhsa_inst_pref_size 0
		.amdhsa_round_robin_scheduling 0
		.amdhsa_exception_fp_ieee_invalid_op 0
		.amdhsa_exception_fp_denorm_src 0
		.amdhsa_exception_fp_ieee_div_zero 0
		.amdhsa_exception_fp_ieee_overflow 0
		.amdhsa_exception_fp_ieee_underflow 0
		.amdhsa_exception_fp_ieee_inexact 0
		.amdhsa_exception_int_div_zero 0
	.end_amdhsa_kernel
	.section	.text._ZN7rocprim17ROCPRIM_400000_NS6detail17trampoline_kernelINS0_14default_configENS1_27scan_by_key_config_selectorIj11FixedVectorIiLj4EEEEZZNS1_16scan_by_key_implILNS1_25lookback_scan_determinismE0ELb0ES3_N6thrust23THRUST_200600_302600_NS6detail15normal_iteratorINSB_10device_ptrIjEEEENSD_INSE_IS6_EEEESI_S6_NSB_4plusIvEENSB_8equal_toIvEES6_EE10hipError_tPvRmT2_T3_T4_T5_mT6_T7_P12ihipStream_tbENKUlT_T0_E_clISt17integral_constantIbLb1EES12_IbLb0EEEEDaSY_SZ_EUlSY_E_NS1_11comp_targetILNS1_3genE3ELNS1_11target_archE908ELNS1_3gpuE7ELNS1_3repE0EEENS1_30default_config_static_selectorELNS0_4arch9wavefront6targetE0EEEvT1_,"axG",@progbits,_ZN7rocprim17ROCPRIM_400000_NS6detail17trampoline_kernelINS0_14default_configENS1_27scan_by_key_config_selectorIj11FixedVectorIiLj4EEEEZZNS1_16scan_by_key_implILNS1_25lookback_scan_determinismE0ELb0ES3_N6thrust23THRUST_200600_302600_NS6detail15normal_iteratorINSB_10device_ptrIjEEEENSD_INSE_IS6_EEEESI_S6_NSB_4plusIvEENSB_8equal_toIvEES6_EE10hipError_tPvRmT2_T3_T4_T5_mT6_T7_P12ihipStream_tbENKUlT_T0_E_clISt17integral_constantIbLb1EES12_IbLb0EEEEDaSY_SZ_EUlSY_E_NS1_11comp_targetILNS1_3genE3ELNS1_11target_archE908ELNS1_3gpuE7ELNS1_3repE0EEENS1_30default_config_static_selectorELNS0_4arch9wavefront6targetE0EEEvT1_,comdat
.Lfunc_end2059:
	.size	_ZN7rocprim17ROCPRIM_400000_NS6detail17trampoline_kernelINS0_14default_configENS1_27scan_by_key_config_selectorIj11FixedVectorIiLj4EEEEZZNS1_16scan_by_key_implILNS1_25lookback_scan_determinismE0ELb0ES3_N6thrust23THRUST_200600_302600_NS6detail15normal_iteratorINSB_10device_ptrIjEEEENSD_INSE_IS6_EEEESI_S6_NSB_4plusIvEENSB_8equal_toIvEES6_EE10hipError_tPvRmT2_T3_T4_T5_mT6_T7_P12ihipStream_tbENKUlT_T0_E_clISt17integral_constantIbLb1EES12_IbLb0EEEEDaSY_SZ_EUlSY_E_NS1_11comp_targetILNS1_3genE3ELNS1_11target_archE908ELNS1_3gpuE7ELNS1_3repE0EEENS1_30default_config_static_selectorELNS0_4arch9wavefront6targetE0EEEvT1_, .Lfunc_end2059-_ZN7rocprim17ROCPRIM_400000_NS6detail17trampoline_kernelINS0_14default_configENS1_27scan_by_key_config_selectorIj11FixedVectorIiLj4EEEEZZNS1_16scan_by_key_implILNS1_25lookback_scan_determinismE0ELb0ES3_N6thrust23THRUST_200600_302600_NS6detail15normal_iteratorINSB_10device_ptrIjEEEENSD_INSE_IS6_EEEESI_S6_NSB_4plusIvEENSB_8equal_toIvEES6_EE10hipError_tPvRmT2_T3_T4_T5_mT6_T7_P12ihipStream_tbENKUlT_T0_E_clISt17integral_constantIbLb1EES12_IbLb0EEEEDaSY_SZ_EUlSY_E_NS1_11comp_targetILNS1_3genE3ELNS1_11target_archE908ELNS1_3gpuE7ELNS1_3repE0EEENS1_30default_config_static_selectorELNS0_4arch9wavefront6targetE0EEEvT1_
                                        ; -- End function
	.set _ZN7rocprim17ROCPRIM_400000_NS6detail17trampoline_kernelINS0_14default_configENS1_27scan_by_key_config_selectorIj11FixedVectorIiLj4EEEEZZNS1_16scan_by_key_implILNS1_25lookback_scan_determinismE0ELb0ES3_N6thrust23THRUST_200600_302600_NS6detail15normal_iteratorINSB_10device_ptrIjEEEENSD_INSE_IS6_EEEESI_S6_NSB_4plusIvEENSB_8equal_toIvEES6_EE10hipError_tPvRmT2_T3_T4_T5_mT6_T7_P12ihipStream_tbENKUlT_T0_E_clISt17integral_constantIbLb1EES12_IbLb0EEEEDaSY_SZ_EUlSY_E_NS1_11comp_targetILNS1_3genE3ELNS1_11target_archE908ELNS1_3gpuE7ELNS1_3repE0EEENS1_30default_config_static_selectorELNS0_4arch9wavefront6targetE0EEEvT1_.num_vgpr, 0
	.set _ZN7rocprim17ROCPRIM_400000_NS6detail17trampoline_kernelINS0_14default_configENS1_27scan_by_key_config_selectorIj11FixedVectorIiLj4EEEEZZNS1_16scan_by_key_implILNS1_25lookback_scan_determinismE0ELb0ES3_N6thrust23THRUST_200600_302600_NS6detail15normal_iteratorINSB_10device_ptrIjEEEENSD_INSE_IS6_EEEESI_S6_NSB_4plusIvEENSB_8equal_toIvEES6_EE10hipError_tPvRmT2_T3_T4_T5_mT6_T7_P12ihipStream_tbENKUlT_T0_E_clISt17integral_constantIbLb1EES12_IbLb0EEEEDaSY_SZ_EUlSY_E_NS1_11comp_targetILNS1_3genE3ELNS1_11target_archE908ELNS1_3gpuE7ELNS1_3repE0EEENS1_30default_config_static_selectorELNS0_4arch9wavefront6targetE0EEEvT1_.num_agpr, 0
	.set _ZN7rocprim17ROCPRIM_400000_NS6detail17trampoline_kernelINS0_14default_configENS1_27scan_by_key_config_selectorIj11FixedVectorIiLj4EEEEZZNS1_16scan_by_key_implILNS1_25lookback_scan_determinismE0ELb0ES3_N6thrust23THRUST_200600_302600_NS6detail15normal_iteratorINSB_10device_ptrIjEEEENSD_INSE_IS6_EEEESI_S6_NSB_4plusIvEENSB_8equal_toIvEES6_EE10hipError_tPvRmT2_T3_T4_T5_mT6_T7_P12ihipStream_tbENKUlT_T0_E_clISt17integral_constantIbLb1EES12_IbLb0EEEEDaSY_SZ_EUlSY_E_NS1_11comp_targetILNS1_3genE3ELNS1_11target_archE908ELNS1_3gpuE7ELNS1_3repE0EEENS1_30default_config_static_selectorELNS0_4arch9wavefront6targetE0EEEvT1_.numbered_sgpr, 0
	.set _ZN7rocprim17ROCPRIM_400000_NS6detail17trampoline_kernelINS0_14default_configENS1_27scan_by_key_config_selectorIj11FixedVectorIiLj4EEEEZZNS1_16scan_by_key_implILNS1_25lookback_scan_determinismE0ELb0ES3_N6thrust23THRUST_200600_302600_NS6detail15normal_iteratorINSB_10device_ptrIjEEEENSD_INSE_IS6_EEEESI_S6_NSB_4plusIvEENSB_8equal_toIvEES6_EE10hipError_tPvRmT2_T3_T4_T5_mT6_T7_P12ihipStream_tbENKUlT_T0_E_clISt17integral_constantIbLb1EES12_IbLb0EEEEDaSY_SZ_EUlSY_E_NS1_11comp_targetILNS1_3genE3ELNS1_11target_archE908ELNS1_3gpuE7ELNS1_3repE0EEENS1_30default_config_static_selectorELNS0_4arch9wavefront6targetE0EEEvT1_.num_named_barrier, 0
	.set _ZN7rocprim17ROCPRIM_400000_NS6detail17trampoline_kernelINS0_14default_configENS1_27scan_by_key_config_selectorIj11FixedVectorIiLj4EEEEZZNS1_16scan_by_key_implILNS1_25lookback_scan_determinismE0ELb0ES3_N6thrust23THRUST_200600_302600_NS6detail15normal_iteratorINSB_10device_ptrIjEEEENSD_INSE_IS6_EEEESI_S6_NSB_4plusIvEENSB_8equal_toIvEES6_EE10hipError_tPvRmT2_T3_T4_T5_mT6_T7_P12ihipStream_tbENKUlT_T0_E_clISt17integral_constantIbLb1EES12_IbLb0EEEEDaSY_SZ_EUlSY_E_NS1_11comp_targetILNS1_3genE3ELNS1_11target_archE908ELNS1_3gpuE7ELNS1_3repE0EEENS1_30default_config_static_selectorELNS0_4arch9wavefront6targetE0EEEvT1_.private_seg_size, 0
	.set _ZN7rocprim17ROCPRIM_400000_NS6detail17trampoline_kernelINS0_14default_configENS1_27scan_by_key_config_selectorIj11FixedVectorIiLj4EEEEZZNS1_16scan_by_key_implILNS1_25lookback_scan_determinismE0ELb0ES3_N6thrust23THRUST_200600_302600_NS6detail15normal_iteratorINSB_10device_ptrIjEEEENSD_INSE_IS6_EEEESI_S6_NSB_4plusIvEENSB_8equal_toIvEES6_EE10hipError_tPvRmT2_T3_T4_T5_mT6_T7_P12ihipStream_tbENKUlT_T0_E_clISt17integral_constantIbLb1EES12_IbLb0EEEEDaSY_SZ_EUlSY_E_NS1_11comp_targetILNS1_3genE3ELNS1_11target_archE908ELNS1_3gpuE7ELNS1_3repE0EEENS1_30default_config_static_selectorELNS0_4arch9wavefront6targetE0EEEvT1_.uses_vcc, 0
	.set _ZN7rocprim17ROCPRIM_400000_NS6detail17trampoline_kernelINS0_14default_configENS1_27scan_by_key_config_selectorIj11FixedVectorIiLj4EEEEZZNS1_16scan_by_key_implILNS1_25lookback_scan_determinismE0ELb0ES3_N6thrust23THRUST_200600_302600_NS6detail15normal_iteratorINSB_10device_ptrIjEEEENSD_INSE_IS6_EEEESI_S6_NSB_4plusIvEENSB_8equal_toIvEES6_EE10hipError_tPvRmT2_T3_T4_T5_mT6_T7_P12ihipStream_tbENKUlT_T0_E_clISt17integral_constantIbLb1EES12_IbLb0EEEEDaSY_SZ_EUlSY_E_NS1_11comp_targetILNS1_3genE3ELNS1_11target_archE908ELNS1_3gpuE7ELNS1_3repE0EEENS1_30default_config_static_selectorELNS0_4arch9wavefront6targetE0EEEvT1_.uses_flat_scratch, 0
	.set _ZN7rocprim17ROCPRIM_400000_NS6detail17trampoline_kernelINS0_14default_configENS1_27scan_by_key_config_selectorIj11FixedVectorIiLj4EEEEZZNS1_16scan_by_key_implILNS1_25lookback_scan_determinismE0ELb0ES3_N6thrust23THRUST_200600_302600_NS6detail15normal_iteratorINSB_10device_ptrIjEEEENSD_INSE_IS6_EEEESI_S6_NSB_4plusIvEENSB_8equal_toIvEES6_EE10hipError_tPvRmT2_T3_T4_T5_mT6_T7_P12ihipStream_tbENKUlT_T0_E_clISt17integral_constantIbLb1EES12_IbLb0EEEEDaSY_SZ_EUlSY_E_NS1_11comp_targetILNS1_3genE3ELNS1_11target_archE908ELNS1_3gpuE7ELNS1_3repE0EEENS1_30default_config_static_selectorELNS0_4arch9wavefront6targetE0EEEvT1_.has_dyn_sized_stack, 0
	.set _ZN7rocprim17ROCPRIM_400000_NS6detail17trampoline_kernelINS0_14default_configENS1_27scan_by_key_config_selectorIj11FixedVectorIiLj4EEEEZZNS1_16scan_by_key_implILNS1_25lookback_scan_determinismE0ELb0ES3_N6thrust23THRUST_200600_302600_NS6detail15normal_iteratorINSB_10device_ptrIjEEEENSD_INSE_IS6_EEEESI_S6_NSB_4plusIvEENSB_8equal_toIvEES6_EE10hipError_tPvRmT2_T3_T4_T5_mT6_T7_P12ihipStream_tbENKUlT_T0_E_clISt17integral_constantIbLb1EES12_IbLb0EEEEDaSY_SZ_EUlSY_E_NS1_11comp_targetILNS1_3genE3ELNS1_11target_archE908ELNS1_3gpuE7ELNS1_3repE0EEENS1_30default_config_static_selectorELNS0_4arch9wavefront6targetE0EEEvT1_.has_recursion, 0
	.set _ZN7rocprim17ROCPRIM_400000_NS6detail17trampoline_kernelINS0_14default_configENS1_27scan_by_key_config_selectorIj11FixedVectorIiLj4EEEEZZNS1_16scan_by_key_implILNS1_25lookback_scan_determinismE0ELb0ES3_N6thrust23THRUST_200600_302600_NS6detail15normal_iteratorINSB_10device_ptrIjEEEENSD_INSE_IS6_EEEESI_S6_NSB_4plusIvEENSB_8equal_toIvEES6_EE10hipError_tPvRmT2_T3_T4_T5_mT6_T7_P12ihipStream_tbENKUlT_T0_E_clISt17integral_constantIbLb1EES12_IbLb0EEEEDaSY_SZ_EUlSY_E_NS1_11comp_targetILNS1_3genE3ELNS1_11target_archE908ELNS1_3gpuE7ELNS1_3repE0EEENS1_30default_config_static_selectorELNS0_4arch9wavefront6targetE0EEEvT1_.has_indirect_call, 0
	.section	.AMDGPU.csdata,"",@progbits
; Kernel info:
; codeLenInByte = 0
; TotalNumSgprs: 0
; NumVgprs: 0
; ScratchSize: 0
; MemoryBound: 0
; FloatMode: 240
; IeeeMode: 1
; LDSByteSize: 0 bytes/workgroup (compile time only)
; SGPRBlocks: 0
; VGPRBlocks: 0
; NumSGPRsForWavesPerEU: 1
; NumVGPRsForWavesPerEU: 1
; NamedBarCnt: 0
; Occupancy: 16
; WaveLimiterHint : 0
; COMPUTE_PGM_RSRC2:SCRATCH_EN: 0
; COMPUTE_PGM_RSRC2:USER_SGPR: 2
; COMPUTE_PGM_RSRC2:TRAP_HANDLER: 0
; COMPUTE_PGM_RSRC2:TGID_X_EN: 1
; COMPUTE_PGM_RSRC2:TGID_Y_EN: 0
; COMPUTE_PGM_RSRC2:TGID_Z_EN: 0
; COMPUTE_PGM_RSRC2:TIDIG_COMP_CNT: 0
	.section	.text._ZN7rocprim17ROCPRIM_400000_NS6detail17trampoline_kernelINS0_14default_configENS1_27scan_by_key_config_selectorIj11FixedVectorIiLj4EEEEZZNS1_16scan_by_key_implILNS1_25lookback_scan_determinismE0ELb0ES3_N6thrust23THRUST_200600_302600_NS6detail15normal_iteratorINSB_10device_ptrIjEEEENSD_INSE_IS6_EEEESI_S6_NSB_4plusIvEENSB_8equal_toIvEES6_EE10hipError_tPvRmT2_T3_T4_T5_mT6_T7_P12ihipStream_tbENKUlT_T0_E_clISt17integral_constantIbLb1EES12_IbLb0EEEEDaSY_SZ_EUlSY_E_NS1_11comp_targetILNS1_3genE2ELNS1_11target_archE906ELNS1_3gpuE6ELNS1_3repE0EEENS1_30default_config_static_selectorELNS0_4arch9wavefront6targetE0EEEvT1_,"axG",@progbits,_ZN7rocprim17ROCPRIM_400000_NS6detail17trampoline_kernelINS0_14default_configENS1_27scan_by_key_config_selectorIj11FixedVectorIiLj4EEEEZZNS1_16scan_by_key_implILNS1_25lookback_scan_determinismE0ELb0ES3_N6thrust23THRUST_200600_302600_NS6detail15normal_iteratorINSB_10device_ptrIjEEEENSD_INSE_IS6_EEEESI_S6_NSB_4plusIvEENSB_8equal_toIvEES6_EE10hipError_tPvRmT2_T3_T4_T5_mT6_T7_P12ihipStream_tbENKUlT_T0_E_clISt17integral_constantIbLb1EES12_IbLb0EEEEDaSY_SZ_EUlSY_E_NS1_11comp_targetILNS1_3genE2ELNS1_11target_archE906ELNS1_3gpuE6ELNS1_3repE0EEENS1_30default_config_static_selectorELNS0_4arch9wavefront6targetE0EEEvT1_,comdat
	.protected	_ZN7rocprim17ROCPRIM_400000_NS6detail17trampoline_kernelINS0_14default_configENS1_27scan_by_key_config_selectorIj11FixedVectorIiLj4EEEEZZNS1_16scan_by_key_implILNS1_25lookback_scan_determinismE0ELb0ES3_N6thrust23THRUST_200600_302600_NS6detail15normal_iteratorINSB_10device_ptrIjEEEENSD_INSE_IS6_EEEESI_S6_NSB_4plusIvEENSB_8equal_toIvEES6_EE10hipError_tPvRmT2_T3_T4_T5_mT6_T7_P12ihipStream_tbENKUlT_T0_E_clISt17integral_constantIbLb1EES12_IbLb0EEEEDaSY_SZ_EUlSY_E_NS1_11comp_targetILNS1_3genE2ELNS1_11target_archE906ELNS1_3gpuE6ELNS1_3repE0EEENS1_30default_config_static_selectorELNS0_4arch9wavefront6targetE0EEEvT1_ ; -- Begin function _ZN7rocprim17ROCPRIM_400000_NS6detail17trampoline_kernelINS0_14default_configENS1_27scan_by_key_config_selectorIj11FixedVectorIiLj4EEEEZZNS1_16scan_by_key_implILNS1_25lookback_scan_determinismE0ELb0ES3_N6thrust23THRUST_200600_302600_NS6detail15normal_iteratorINSB_10device_ptrIjEEEENSD_INSE_IS6_EEEESI_S6_NSB_4plusIvEENSB_8equal_toIvEES6_EE10hipError_tPvRmT2_T3_T4_T5_mT6_T7_P12ihipStream_tbENKUlT_T0_E_clISt17integral_constantIbLb1EES12_IbLb0EEEEDaSY_SZ_EUlSY_E_NS1_11comp_targetILNS1_3genE2ELNS1_11target_archE906ELNS1_3gpuE6ELNS1_3repE0EEENS1_30default_config_static_selectorELNS0_4arch9wavefront6targetE0EEEvT1_
	.globl	_ZN7rocprim17ROCPRIM_400000_NS6detail17trampoline_kernelINS0_14default_configENS1_27scan_by_key_config_selectorIj11FixedVectorIiLj4EEEEZZNS1_16scan_by_key_implILNS1_25lookback_scan_determinismE0ELb0ES3_N6thrust23THRUST_200600_302600_NS6detail15normal_iteratorINSB_10device_ptrIjEEEENSD_INSE_IS6_EEEESI_S6_NSB_4plusIvEENSB_8equal_toIvEES6_EE10hipError_tPvRmT2_T3_T4_T5_mT6_T7_P12ihipStream_tbENKUlT_T0_E_clISt17integral_constantIbLb1EES12_IbLb0EEEEDaSY_SZ_EUlSY_E_NS1_11comp_targetILNS1_3genE2ELNS1_11target_archE906ELNS1_3gpuE6ELNS1_3repE0EEENS1_30default_config_static_selectorELNS0_4arch9wavefront6targetE0EEEvT1_
	.p2align	8
	.type	_ZN7rocprim17ROCPRIM_400000_NS6detail17trampoline_kernelINS0_14default_configENS1_27scan_by_key_config_selectorIj11FixedVectorIiLj4EEEEZZNS1_16scan_by_key_implILNS1_25lookback_scan_determinismE0ELb0ES3_N6thrust23THRUST_200600_302600_NS6detail15normal_iteratorINSB_10device_ptrIjEEEENSD_INSE_IS6_EEEESI_S6_NSB_4plusIvEENSB_8equal_toIvEES6_EE10hipError_tPvRmT2_T3_T4_T5_mT6_T7_P12ihipStream_tbENKUlT_T0_E_clISt17integral_constantIbLb1EES12_IbLb0EEEEDaSY_SZ_EUlSY_E_NS1_11comp_targetILNS1_3genE2ELNS1_11target_archE906ELNS1_3gpuE6ELNS1_3repE0EEENS1_30default_config_static_selectorELNS0_4arch9wavefront6targetE0EEEvT1_,@function
_ZN7rocprim17ROCPRIM_400000_NS6detail17trampoline_kernelINS0_14default_configENS1_27scan_by_key_config_selectorIj11FixedVectorIiLj4EEEEZZNS1_16scan_by_key_implILNS1_25lookback_scan_determinismE0ELb0ES3_N6thrust23THRUST_200600_302600_NS6detail15normal_iteratorINSB_10device_ptrIjEEEENSD_INSE_IS6_EEEESI_S6_NSB_4plusIvEENSB_8equal_toIvEES6_EE10hipError_tPvRmT2_T3_T4_T5_mT6_T7_P12ihipStream_tbENKUlT_T0_E_clISt17integral_constantIbLb1EES12_IbLb0EEEEDaSY_SZ_EUlSY_E_NS1_11comp_targetILNS1_3genE2ELNS1_11target_archE906ELNS1_3gpuE6ELNS1_3repE0EEENS1_30default_config_static_selectorELNS0_4arch9wavefront6targetE0EEEvT1_: ; @_ZN7rocprim17ROCPRIM_400000_NS6detail17trampoline_kernelINS0_14default_configENS1_27scan_by_key_config_selectorIj11FixedVectorIiLj4EEEEZZNS1_16scan_by_key_implILNS1_25lookback_scan_determinismE0ELb0ES3_N6thrust23THRUST_200600_302600_NS6detail15normal_iteratorINSB_10device_ptrIjEEEENSD_INSE_IS6_EEEESI_S6_NSB_4plusIvEENSB_8equal_toIvEES6_EE10hipError_tPvRmT2_T3_T4_T5_mT6_T7_P12ihipStream_tbENKUlT_T0_E_clISt17integral_constantIbLb1EES12_IbLb0EEEEDaSY_SZ_EUlSY_E_NS1_11comp_targetILNS1_3genE2ELNS1_11target_archE906ELNS1_3gpuE6ELNS1_3repE0EEENS1_30default_config_static_selectorELNS0_4arch9wavefront6targetE0EEEvT1_
; %bb.0:
	.section	.rodata,"a",@progbits
	.p2align	6, 0x0
	.amdhsa_kernel _ZN7rocprim17ROCPRIM_400000_NS6detail17trampoline_kernelINS0_14default_configENS1_27scan_by_key_config_selectorIj11FixedVectorIiLj4EEEEZZNS1_16scan_by_key_implILNS1_25lookback_scan_determinismE0ELb0ES3_N6thrust23THRUST_200600_302600_NS6detail15normal_iteratorINSB_10device_ptrIjEEEENSD_INSE_IS6_EEEESI_S6_NSB_4plusIvEENSB_8equal_toIvEES6_EE10hipError_tPvRmT2_T3_T4_T5_mT6_T7_P12ihipStream_tbENKUlT_T0_E_clISt17integral_constantIbLb1EES12_IbLb0EEEEDaSY_SZ_EUlSY_E_NS1_11comp_targetILNS1_3genE2ELNS1_11target_archE906ELNS1_3gpuE6ELNS1_3repE0EEENS1_30default_config_static_selectorELNS0_4arch9wavefront6targetE0EEEvT1_
		.amdhsa_group_segment_fixed_size 0
		.amdhsa_private_segment_fixed_size 0
		.amdhsa_kernarg_size 144
		.amdhsa_user_sgpr_count 2
		.amdhsa_user_sgpr_dispatch_ptr 0
		.amdhsa_user_sgpr_queue_ptr 0
		.amdhsa_user_sgpr_kernarg_segment_ptr 1
		.amdhsa_user_sgpr_dispatch_id 0
		.amdhsa_user_sgpr_kernarg_preload_length 0
		.amdhsa_user_sgpr_kernarg_preload_offset 0
		.amdhsa_user_sgpr_private_segment_size 0
		.amdhsa_wavefront_size32 1
		.amdhsa_uses_dynamic_stack 0
		.amdhsa_enable_private_segment 0
		.amdhsa_system_sgpr_workgroup_id_x 1
		.amdhsa_system_sgpr_workgroup_id_y 0
		.amdhsa_system_sgpr_workgroup_id_z 0
		.amdhsa_system_sgpr_workgroup_info 0
		.amdhsa_system_vgpr_workitem_id 0
		.amdhsa_next_free_vgpr 1
		.amdhsa_next_free_sgpr 1
		.amdhsa_named_barrier_count 0
		.amdhsa_reserve_vcc 0
		.amdhsa_float_round_mode_32 0
		.amdhsa_float_round_mode_16_64 0
		.amdhsa_float_denorm_mode_32 3
		.amdhsa_float_denorm_mode_16_64 3
		.amdhsa_fp16_overflow 0
		.amdhsa_memory_ordered 1
		.amdhsa_forward_progress 1
		.amdhsa_inst_pref_size 0
		.amdhsa_round_robin_scheduling 0
		.amdhsa_exception_fp_ieee_invalid_op 0
		.amdhsa_exception_fp_denorm_src 0
		.amdhsa_exception_fp_ieee_div_zero 0
		.amdhsa_exception_fp_ieee_overflow 0
		.amdhsa_exception_fp_ieee_underflow 0
		.amdhsa_exception_fp_ieee_inexact 0
		.amdhsa_exception_int_div_zero 0
	.end_amdhsa_kernel
	.section	.text._ZN7rocprim17ROCPRIM_400000_NS6detail17trampoline_kernelINS0_14default_configENS1_27scan_by_key_config_selectorIj11FixedVectorIiLj4EEEEZZNS1_16scan_by_key_implILNS1_25lookback_scan_determinismE0ELb0ES3_N6thrust23THRUST_200600_302600_NS6detail15normal_iteratorINSB_10device_ptrIjEEEENSD_INSE_IS6_EEEESI_S6_NSB_4plusIvEENSB_8equal_toIvEES6_EE10hipError_tPvRmT2_T3_T4_T5_mT6_T7_P12ihipStream_tbENKUlT_T0_E_clISt17integral_constantIbLb1EES12_IbLb0EEEEDaSY_SZ_EUlSY_E_NS1_11comp_targetILNS1_3genE2ELNS1_11target_archE906ELNS1_3gpuE6ELNS1_3repE0EEENS1_30default_config_static_selectorELNS0_4arch9wavefront6targetE0EEEvT1_,"axG",@progbits,_ZN7rocprim17ROCPRIM_400000_NS6detail17trampoline_kernelINS0_14default_configENS1_27scan_by_key_config_selectorIj11FixedVectorIiLj4EEEEZZNS1_16scan_by_key_implILNS1_25lookback_scan_determinismE0ELb0ES3_N6thrust23THRUST_200600_302600_NS6detail15normal_iteratorINSB_10device_ptrIjEEEENSD_INSE_IS6_EEEESI_S6_NSB_4plusIvEENSB_8equal_toIvEES6_EE10hipError_tPvRmT2_T3_T4_T5_mT6_T7_P12ihipStream_tbENKUlT_T0_E_clISt17integral_constantIbLb1EES12_IbLb0EEEEDaSY_SZ_EUlSY_E_NS1_11comp_targetILNS1_3genE2ELNS1_11target_archE906ELNS1_3gpuE6ELNS1_3repE0EEENS1_30default_config_static_selectorELNS0_4arch9wavefront6targetE0EEEvT1_,comdat
.Lfunc_end2060:
	.size	_ZN7rocprim17ROCPRIM_400000_NS6detail17trampoline_kernelINS0_14default_configENS1_27scan_by_key_config_selectorIj11FixedVectorIiLj4EEEEZZNS1_16scan_by_key_implILNS1_25lookback_scan_determinismE0ELb0ES3_N6thrust23THRUST_200600_302600_NS6detail15normal_iteratorINSB_10device_ptrIjEEEENSD_INSE_IS6_EEEESI_S6_NSB_4plusIvEENSB_8equal_toIvEES6_EE10hipError_tPvRmT2_T3_T4_T5_mT6_T7_P12ihipStream_tbENKUlT_T0_E_clISt17integral_constantIbLb1EES12_IbLb0EEEEDaSY_SZ_EUlSY_E_NS1_11comp_targetILNS1_3genE2ELNS1_11target_archE906ELNS1_3gpuE6ELNS1_3repE0EEENS1_30default_config_static_selectorELNS0_4arch9wavefront6targetE0EEEvT1_, .Lfunc_end2060-_ZN7rocprim17ROCPRIM_400000_NS6detail17trampoline_kernelINS0_14default_configENS1_27scan_by_key_config_selectorIj11FixedVectorIiLj4EEEEZZNS1_16scan_by_key_implILNS1_25lookback_scan_determinismE0ELb0ES3_N6thrust23THRUST_200600_302600_NS6detail15normal_iteratorINSB_10device_ptrIjEEEENSD_INSE_IS6_EEEESI_S6_NSB_4plusIvEENSB_8equal_toIvEES6_EE10hipError_tPvRmT2_T3_T4_T5_mT6_T7_P12ihipStream_tbENKUlT_T0_E_clISt17integral_constantIbLb1EES12_IbLb0EEEEDaSY_SZ_EUlSY_E_NS1_11comp_targetILNS1_3genE2ELNS1_11target_archE906ELNS1_3gpuE6ELNS1_3repE0EEENS1_30default_config_static_selectorELNS0_4arch9wavefront6targetE0EEEvT1_
                                        ; -- End function
	.set _ZN7rocprim17ROCPRIM_400000_NS6detail17trampoline_kernelINS0_14default_configENS1_27scan_by_key_config_selectorIj11FixedVectorIiLj4EEEEZZNS1_16scan_by_key_implILNS1_25lookback_scan_determinismE0ELb0ES3_N6thrust23THRUST_200600_302600_NS6detail15normal_iteratorINSB_10device_ptrIjEEEENSD_INSE_IS6_EEEESI_S6_NSB_4plusIvEENSB_8equal_toIvEES6_EE10hipError_tPvRmT2_T3_T4_T5_mT6_T7_P12ihipStream_tbENKUlT_T0_E_clISt17integral_constantIbLb1EES12_IbLb0EEEEDaSY_SZ_EUlSY_E_NS1_11comp_targetILNS1_3genE2ELNS1_11target_archE906ELNS1_3gpuE6ELNS1_3repE0EEENS1_30default_config_static_selectorELNS0_4arch9wavefront6targetE0EEEvT1_.num_vgpr, 0
	.set _ZN7rocprim17ROCPRIM_400000_NS6detail17trampoline_kernelINS0_14default_configENS1_27scan_by_key_config_selectorIj11FixedVectorIiLj4EEEEZZNS1_16scan_by_key_implILNS1_25lookback_scan_determinismE0ELb0ES3_N6thrust23THRUST_200600_302600_NS6detail15normal_iteratorINSB_10device_ptrIjEEEENSD_INSE_IS6_EEEESI_S6_NSB_4plusIvEENSB_8equal_toIvEES6_EE10hipError_tPvRmT2_T3_T4_T5_mT6_T7_P12ihipStream_tbENKUlT_T0_E_clISt17integral_constantIbLb1EES12_IbLb0EEEEDaSY_SZ_EUlSY_E_NS1_11comp_targetILNS1_3genE2ELNS1_11target_archE906ELNS1_3gpuE6ELNS1_3repE0EEENS1_30default_config_static_selectorELNS0_4arch9wavefront6targetE0EEEvT1_.num_agpr, 0
	.set _ZN7rocprim17ROCPRIM_400000_NS6detail17trampoline_kernelINS0_14default_configENS1_27scan_by_key_config_selectorIj11FixedVectorIiLj4EEEEZZNS1_16scan_by_key_implILNS1_25lookback_scan_determinismE0ELb0ES3_N6thrust23THRUST_200600_302600_NS6detail15normal_iteratorINSB_10device_ptrIjEEEENSD_INSE_IS6_EEEESI_S6_NSB_4plusIvEENSB_8equal_toIvEES6_EE10hipError_tPvRmT2_T3_T4_T5_mT6_T7_P12ihipStream_tbENKUlT_T0_E_clISt17integral_constantIbLb1EES12_IbLb0EEEEDaSY_SZ_EUlSY_E_NS1_11comp_targetILNS1_3genE2ELNS1_11target_archE906ELNS1_3gpuE6ELNS1_3repE0EEENS1_30default_config_static_selectorELNS0_4arch9wavefront6targetE0EEEvT1_.numbered_sgpr, 0
	.set _ZN7rocprim17ROCPRIM_400000_NS6detail17trampoline_kernelINS0_14default_configENS1_27scan_by_key_config_selectorIj11FixedVectorIiLj4EEEEZZNS1_16scan_by_key_implILNS1_25lookback_scan_determinismE0ELb0ES3_N6thrust23THRUST_200600_302600_NS6detail15normal_iteratorINSB_10device_ptrIjEEEENSD_INSE_IS6_EEEESI_S6_NSB_4plusIvEENSB_8equal_toIvEES6_EE10hipError_tPvRmT2_T3_T4_T5_mT6_T7_P12ihipStream_tbENKUlT_T0_E_clISt17integral_constantIbLb1EES12_IbLb0EEEEDaSY_SZ_EUlSY_E_NS1_11comp_targetILNS1_3genE2ELNS1_11target_archE906ELNS1_3gpuE6ELNS1_3repE0EEENS1_30default_config_static_selectorELNS0_4arch9wavefront6targetE0EEEvT1_.num_named_barrier, 0
	.set _ZN7rocprim17ROCPRIM_400000_NS6detail17trampoline_kernelINS0_14default_configENS1_27scan_by_key_config_selectorIj11FixedVectorIiLj4EEEEZZNS1_16scan_by_key_implILNS1_25lookback_scan_determinismE0ELb0ES3_N6thrust23THRUST_200600_302600_NS6detail15normal_iteratorINSB_10device_ptrIjEEEENSD_INSE_IS6_EEEESI_S6_NSB_4plusIvEENSB_8equal_toIvEES6_EE10hipError_tPvRmT2_T3_T4_T5_mT6_T7_P12ihipStream_tbENKUlT_T0_E_clISt17integral_constantIbLb1EES12_IbLb0EEEEDaSY_SZ_EUlSY_E_NS1_11comp_targetILNS1_3genE2ELNS1_11target_archE906ELNS1_3gpuE6ELNS1_3repE0EEENS1_30default_config_static_selectorELNS0_4arch9wavefront6targetE0EEEvT1_.private_seg_size, 0
	.set _ZN7rocprim17ROCPRIM_400000_NS6detail17trampoline_kernelINS0_14default_configENS1_27scan_by_key_config_selectorIj11FixedVectorIiLj4EEEEZZNS1_16scan_by_key_implILNS1_25lookback_scan_determinismE0ELb0ES3_N6thrust23THRUST_200600_302600_NS6detail15normal_iteratorINSB_10device_ptrIjEEEENSD_INSE_IS6_EEEESI_S6_NSB_4plusIvEENSB_8equal_toIvEES6_EE10hipError_tPvRmT2_T3_T4_T5_mT6_T7_P12ihipStream_tbENKUlT_T0_E_clISt17integral_constantIbLb1EES12_IbLb0EEEEDaSY_SZ_EUlSY_E_NS1_11comp_targetILNS1_3genE2ELNS1_11target_archE906ELNS1_3gpuE6ELNS1_3repE0EEENS1_30default_config_static_selectorELNS0_4arch9wavefront6targetE0EEEvT1_.uses_vcc, 0
	.set _ZN7rocprim17ROCPRIM_400000_NS6detail17trampoline_kernelINS0_14default_configENS1_27scan_by_key_config_selectorIj11FixedVectorIiLj4EEEEZZNS1_16scan_by_key_implILNS1_25lookback_scan_determinismE0ELb0ES3_N6thrust23THRUST_200600_302600_NS6detail15normal_iteratorINSB_10device_ptrIjEEEENSD_INSE_IS6_EEEESI_S6_NSB_4plusIvEENSB_8equal_toIvEES6_EE10hipError_tPvRmT2_T3_T4_T5_mT6_T7_P12ihipStream_tbENKUlT_T0_E_clISt17integral_constantIbLb1EES12_IbLb0EEEEDaSY_SZ_EUlSY_E_NS1_11comp_targetILNS1_3genE2ELNS1_11target_archE906ELNS1_3gpuE6ELNS1_3repE0EEENS1_30default_config_static_selectorELNS0_4arch9wavefront6targetE0EEEvT1_.uses_flat_scratch, 0
	.set _ZN7rocprim17ROCPRIM_400000_NS6detail17trampoline_kernelINS0_14default_configENS1_27scan_by_key_config_selectorIj11FixedVectorIiLj4EEEEZZNS1_16scan_by_key_implILNS1_25lookback_scan_determinismE0ELb0ES3_N6thrust23THRUST_200600_302600_NS6detail15normal_iteratorINSB_10device_ptrIjEEEENSD_INSE_IS6_EEEESI_S6_NSB_4plusIvEENSB_8equal_toIvEES6_EE10hipError_tPvRmT2_T3_T4_T5_mT6_T7_P12ihipStream_tbENKUlT_T0_E_clISt17integral_constantIbLb1EES12_IbLb0EEEEDaSY_SZ_EUlSY_E_NS1_11comp_targetILNS1_3genE2ELNS1_11target_archE906ELNS1_3gpuE6ELNS1_3repE0EEENS1_30default_config_static_selectorELNS0_4arch9wavefront6targetE0EEEvT1_.has_dyn_sized_stack, 0
	.set _ZN7rocprim17ROCPRIM_400000_NS6detail17trampoline_kernelINS0_14default_configENS1_27scan_by_key_config_selectorIj11FixedVectorIiLj4EEEEZZNS1_16scan_by_key_implILNS1_25lookback_scan_determinismE0ELb0ES3_N6thrust23THRUST_200600_302600_NS6detail15normal_iteratorINSB_10device_ptrIjEEEENSD_INSE_IS6_EEEESI_S6_NSB_4plusIvEENSB_8equal_toIvEES6_EE10hipError_tPvRmT2_T3_T4_T5_mT6_T7_P12ihipStream_tbENKUlT_T0_E_clISt17integral_constantIbLb1EES12_IbLb0EEEEDaSY_SZ_EUlSY_E_NS1_11comp_targetILNS1_3genE2ELNS1_11target_archE906ELNS1_3gpuE6ELNS1_3repE0EEENS1_30default_config_static_selectorELNS0_4arch9wavefront6targetE0EEEvT1_.has_recursion, 0
	.set _ZN7rocprim17ROCPRIM_400000_NS6detail17trampoline_kernelINS0_14default_configENS1_27scan_by_key_config_selectorIj11FixedVectorIiLj4EEEEZZNS1_16scan_by_key_implILNS1_25lookback_scan_determinismE0ELb0ES3_N6thrust23THRUST_200600_302600_NS6detail15normal_iteratorINSB_10device_ptrIjEEEENSD_INSE_IS6_EEEESI_S6_NSB_4plusIvEENSB_8equal_toIvEES6_EE10hipError_tPvRmT2_T3_T4_T5_mT6_T7_P12ihipStream_tbENKUlT_T0_E_clISt17integral_constantIbLb1EES12_IbLb0EEEEDaSY_SZ_EUlSY_E_NS1_11comp_targetILNS1_3genE2ELNS1_11target_archE906ELNS1_3gpuE6ELNS1_3repE0EEENS1_30default_config_static_selectorELNS0_4arch9wavefront6targetE0EEEvT1_.has_indirect_call, 0
	.section	.AMDGPU.csdata,"",@progbits
; Kernel info:
; codeLenInByte = 0
; TotalNumSgprs: 0
; NumVgprs: 0
; ScratchSize: 0
; MemoryBound: 0
; FloatMode: 240
; IeeeMode: 1
; LDSByteSize: 0 bytes/workgroup (compile time only)
; SGPRBlocks: 0
; VGPRBlocks: 0
; NumSGPRsForWavesPerEU: 1
; NumVGPRsForWavesPerEU: 1
; NamedBarCnt: 0
; Occupancy: 16
; WaveLimiterHint : 0
; COMPUTE_PGM_RSRC2:SCRATCH_EN: 0
; COMPUTE_PGM_RSRC2:USER_SGPR: 2
; COMPUTE_PGM_RSRC2:TRAP_HANDLER: 0
; COMPUTE_PGM_RSRC2:TGID_X_EN: 1
; COMPUTE_PGM_RSRC2:TGID_Y_EN: 0
; COMPUTE_PGM_RSRC2:TGID_Z_EN: 0
; COMPUTE_PGM_RSRC2:TIDIG_COMP_CNT: 0
	.section	.text._ZN7rocprim17ROCPRIM_400000_NS6detail17trampoline_kernelINS0_14default_configENS1_27scan_by_key_config_selectorIj11FixedVectorIiLj4EEEEZZNS1_16scan_by_key_implILNS1_25lookback_scan_determinismE0ELb0ES3_N6thrust23THRUST_200600_302600_NS6detail15normal_iteratorINSB_10device_ptrIjEEEENSD_INSE_IS6_EEEESI_S6_NSB_4plusIvEENSB_8equal_toIvEES6_EE10hipError_tPvRmT2_T3_T4_T5_mT6_T7_P12ihipStream_tbENKUlT_T0_E_clISt17integral_constantIbLb1EES12_IbLb0EEEEDaSY_SZ_EUlSY_E_NS1_11comp_targetILNS1_3genE10ELNS1_11target_archE1200ELNS1_3gpuE4ELNS1_3repE0EEENS1_30default_config_static_selectorELNS0_4arch9wavefront6targetE0EEEvT1_,"axG",@progbits,_ZN7rocprim17ROCPRIM_400000_NS6detail17trampoline_kernelINS0_14default_configENS1_27scan_by_key_config_selectorIj11FixedVectorIiLj4EEEEZZNS1_16scan_by_key_implILNS1_25lookback_scan_determinismE0ELb0ES3_N6thrust23THRUST_200600_302600_NS6detail15normal_iteratorINSB_10device_ptrIjEEEENSD_INSE_IS6_EEEESI_S6_NSB_4plusIvEENSB_8equal_toIvEES6_EE10hipError_tPvRmT2_T3_T4_T5_mT6_T7_P12ihipStream_tbENKUlT_T0_E_clISt17integral_constantIbLb1EES12_IbLb0EEEEDaSY_SZ_EUlSY_E_NS1_11comp_targetILNS1_3genE10ELNS1_11target_archE1200ELNS1_3gpuE4ELNS1_3repE0EEENS1_30default_config_static_selectorELNS0_4arch9wavefront6targetE0EEEvT1_,comdat
	.protected	_ZN7rocprim17ROCPRIM_400000_NS6detail17trampoline_kernelINS0_14default_configENS1_27scan_by_key_config_selectorIj11FixedVectorIiLj4EEEEZZNS1_16scan_by_key_implILNS1_25lookback_scan_determinismE0ELb0ES3_N6thrust23THRUST_200600_302600_NS6detail15normal_iteratorINSB_10device_ptrIjEEEENSD_INSE_IS6_EEEESI_S6_NSB_4plusIvEENSB_8equal_toIvEES6_EE10hipError_tPvRmT2_T3_T4_T5_mT6_T7_P12ihipStream_tbENKUlT_T0_E_clISt17integral_constantIbLb1EES12_IbLb0EEEEDaSY_SZ_EUlSY_E_NS1_11comp_targetILNS1_3genE10ELNS1_11target_archE1200ELNS1_3gpuE4ELNS1_3repE0EEENS1_30default_config_static_selectorELNS0_4arch9wavefront6targetE0EEEvT1_ ; -- Begin function _ZN7rocprim17ROCPRIM_400000_NS6detail17trampoline_kernelINS0_14default_configENS1_27scan_by_key_config_selectorIj11FixedVectorIiLj4EEEEZZNS1_16scan_by_key_implILNS1_25lookback_scan_determinismE0ELb0ES3_N6thrust23THRUST_200600_302600_NS6detail15normal_iteratorINSB_10device_ptrIjEEEENSD_INSE_IS6_EEEESI_S6_NSB_4plusIvEENSB_8equal_toIvEES6_EE10hipError_tPvRmT2_T3_T4_T5_mT6_T7_P12ihipStream_tbENKUlT_T0_E_clISt17integral_constantIbLb1EES12_IbLb0EEEEDaSY_SZ_EUlSY_E_NS1_11comp_targetILNS1_3genE10ELNS1_11target_archE1200ELNS1_3gpuE4ELNS1_3repE0EEENS1_30default_config_static_selectorELNS0_4arch9wavefront6targetE0EEEvT1_
	.globl	_ZN7rocprim17ROCPRIM_400000_NS6detail17trampoline_kernelINS0_14default_configENS1_27scan_by_key_config_selectorIj11FixedVectorIiLj4EEEEZZNS1_16scan_by_key_implILNS1_25lookback_scan_determinismE0ELb0ES3_N6thrust23THRUST_200600_302600_NS6detail15normal_iteratorINSB_10device_ptrIjEEEENSD_INSE_IS6_EEEESI_S6_NSB_4plusIvEENSB_8equal_toIvEES6_EE10hipError_tPvRmT2_T3_T4_T5_mT6_T7_P12ihipStream_tbENKUlT_T0_E_clISt17integral_constantIbLb1EES12_IbLb0EEEEDaSY_SZ_EUlSY_E_NS1_11comp_targetILNS1_3genE10ELNS1_11target_archE1200ELNS1_3gpuE4ELNS1_3repE0EEENS1_30default_config_static_selectorELNS0_4arch9wavefront6targetE0EEEvT1_
	.p2align	8
	.type	_ZN7rocprim17ROCPRIM_400000_NS6detail17trampoline_kernelINS0_14default_configENS1_27scan_by_key_config_selectorIj11FixedVectorIiLj4EEEEZZNS1_16scan_by_key_implILNS1_25lookback_scan_determinismE0ELb0ES3_N6thrust23THRUST_200600_302600_NS6detail15normal_iteratorINSB_10device_ptrIjEEEENSD_INSE_IS6_EEEESI_S6_NSB_4plusIvEENSB_8equal_toIvEES6_EE10hipError_tPvRmT2_T3_T4_T5_mT6_T7_P12ihipStream_tbENKUlT_T0_E_clISt17integral_constantIbLb1EES12_IbLb0EEEEDaSY_SZ_EUlSY_E_NS1_11comp_targetILNS1_3genE10ELNS1_11target_archE1200ELNS1_3gpuE4ELNS1_3repE0EEENS1_30default_config_static_selectorELNS0_4arch9wavefront6targetE0EEEvT1_,@function
_ZN7rocprim17ROCPRIM_400000_NS6detail17trampoline_kernelINS0_14default_configENS1_27scan_by_key_config_selectorIj11FixedVectorIiLj4EEEEZZNS1_16scan_by_key_implILNS1_25lookback_scan_determinismE0ELb0ES3_N6thrust23THRUST_200600_302600_NS6detail15normal_iteratorINSB_10device_ptrIjEEEENSD_INSE_IS6_EEEESI_S6_NSB_4plusIvEENSB_8equal_toIvEES6_EE10hipError_tPvRmT2_T3_T4_T5_mT6_T7_P12ihipStream_tbENKUlT_T0_E_clISt17integral_constantIbLb1EES12_IbLb0EEEEDaSY_SZ_EUlSY_E_NS1_11comp_targetILNS1_3genE10ELNS1_11target_archE1200ELNS1_3gpuE4ELNS1_3repE0EEENS1_30default_config_static_selectorELNS0_4arch9wavefront6targetE0EEEvT1_: ; @_ZN7rocprim17ROCPRIM_400000_NS6detail17trampoline_kernelINS0_14default_configENS1_27scan_by_key_config_selectorIj11FixedVectorIiLj4EEEEZZNS1_16scan_by_key_implILNS1_25lookback_scan_determinismE0ELb0ES3_N6thrust23THRUST_200600_302600_NS6detail15normal_iteratorINSB_10device_ptrIjEEEENSD_INSE_IS6_EEEESI_S6_NSB_4plusIvEENSB_8equal_toIvEES6_EE10hipError_tPvRmT2_T3_T4_T5_mT6_T7_P12ihipStream_tbENKUlT_T0_E_clISt17integral_constantIbLb1EES12_IbLb0EEEEDaSY_SZ_EUlSY_E_NS1_11comp_targetILNS1_3genE10ELNS1_11target_archE1200ELNS1_3gpuE4ELNS1_3repE0EEENS1_30default_config_static_selectorELNS0_4arch9wavefront6targetE0EEEvT1_
; %bb.0:
	.section	.rodata,"a",@progbits
	.p2align	6, 0x0
	.amdhsa_kernel _ZN7rocprim17ROCPRIM_400000_NS6detail17trampoline_kernelINS0_14default_configENS1_27scan_by_key_config_selectorIj11FixedVectorIiLj4EEEEZZNS1_16scan_by_key_implILNS1_25lookback_scan_determinismE0ELb0ES3_N6thrust23THRUST_200600_302600_NS6detail15normal_iteratorINSB_10device_ptrIjEEEENSD_INSE_IS6_EEEESI_S6_NSB_4plusIvEENSB_8equal_toIvEES6_EE10hipError_tPvRmT2_T3_T4_T5_mT6_T7_P12ihipStream_tbENKUlT_T0_E_clISt17integral_constantIbLb1EES12_IbLb0EEEEDaSY_SZ_EUlSY_E_NS1_11comp_targetILNS1_3genE10ELNS1_11target_archE1200ELNS1_3gpuE4ELNS1_3repE0EEENS1_30default_config_static_selectorELNS0_4arch9wavefront6targetE0EEEvT1_
		.amdhsa_group_segment_fixed_size 0
		.amdhsa_private_segment_fixed_size 0
		.amdhsa_kernarg_size 144
		.amdhsa_user_sgpr_count 2
		.amdhsa_user_sgpr_dispatch_ptr 0
		.amdhsa_user_sgpr_queue_ptr 0
		.amdhsa_user_sgpr_kernarg_segment_ptr 1
		.amdhsa_user_sgpr_dispatch_id 0
		.amdhsa_user_sgpr_kernarg_preload_length 0
		.amdhsa_user_sgpr_kernarg_preload_offset 0
		.amdhsa_user_sgpr_private_segment_size 0
		.amdhsa_wavefront_size32 1
		.amdhsa_uses_dynamic_stack 0
		.amdhsa_enable_private_segment 0
		.amdhsa_system_sgpr_workgroup_id_x 1
		.amdhsa_system_sgpr_workgroup_id_y 0
		.amdhsa_system_sgpr_workgroup_id_z 0
		.amdhsa_system_sgpr_workgroup_info 0
		.amdhsa_system_vgpr_workitem_id 0
		.amdhsa_next_free_vgpr 1
		.amdhsa_next_free_sgpr 1
		.amdhsa_named_barrier_count 0
		.amdhsa_reserve_vcc 0
		.amdhsa_float_round_mode_32 0
		.amdhsa_float_round_mode_16_64 0
		.amdhsa_float_denorm_mode_32 3
		.amdhsa_float_denorm_mode_16_64 3
		.amdhsa_fp16_overflow 0
		.amdhsa_memory_ordered 1
		.amdhsa_forward_progress 1
		.amdhsa_inst_pref_size 0
		.amdhsa_round_robin_scheduling 0
		.amdhsa_exception_fp_ieee_invalid_op 0
		.amdhsa_exception_fp_denorm_src 0
		.amdhsa_exception_fp_ieee_div_zero 0
		.amdhsa_exception_fp_ieee_overflow 0
		.amdhsa_exception_fp_ieee_underflow 0
		.amdhsa_exception_fp_ieee_inexact 0
		.amdhsa_exception_int_div_zero 0
	.end_amdhsa_kernel
	.section	.text._ZN7rocprim17ROCPRIM_400000_NS6detail17trampoline_kernelINS0_14default_configENS1_27scan_by_key_config_selectorIj11FixedVectorIiLj4EEEEZZNS1_16scan_by_key_implILNS1_25lookback_scan_determinismE0ELb0ES3_N6thrust23THRUST_200600_302600_NS6detail15normal_iteratorINSB_10device_ptrIjEEEENSD_INSE_IS6_EEEESI_S6_NSB_4plusIvEENSB_8equal_toIvEES6_EE10hipError_tPvRmT2_T3_T4_T5_mT6_T7_P12ihipStream_tbENKUlT_T0_E_clISt17integral_constantIbLb1EES12_IbLb0EEEEDaSY_SZ_EUlSY_E_NS1_11comp_targetILNS1_3genE10ELNS1_11target_archE1200ELNS1_3gpuE4ELNS1_3repE0EEENS1_30default_config_static_selectorELNS0_4arch9wavefront6targetE0EEEvT1_,"axG",@progbits,_ZN7rocprim17ROCPRIM_400000_NS6detail17trampoline_kernelINS0_14default_configENS1_27scan_by_key_config_selectorIj11FixedVectorIiLj4EEEEZZNS1_16scan_by_key_implILNS1_25lookback_scan_determinismE0ELb0ES3_N6thrust23THRUST_200600_302600_NS6detail15normal_iteratorINSB_10device_ptrIjEEEENSD_INSE_IS6_EEEESI_S6_NSB_4plusIvEENSB_8equal_toIvEES6_EE10hipError_tPvRmT2_T3_T4_T5_mT6_T7_P12ihipStream_tbENKUlT_T0_E_clISt17integral_constantIbLb1EES12_IbLb0EEEEDaSY_SZ_EUlSY_E_NS1_11comp_targetILNS1_3genE10ELNS1_11target_archE1200ELNS1_3gpuE4ELNS1_3repE0EEENS1_30default_config_static_selectorELNS0_4arch9wavefront6targetE0EEEvT1_,comdat
.Lfunc_end2061:
	.size	_ZN7rocprim17ROCPRIM_400000_NS6detail17trampoline_kernelINS0_14default_configENS1_27scan_by_key_config_selectorIj11FixedVectorIiLj4EEEEZZNS1_16scan_by_key_implILNS1_25lookback_scan_determinismE0ELb0ES3_N6thrust23THRUST_200600_302600_NS6detail15normal_iteratorINSB_10device_ptrIjEEEENSD_INSE_IS6_EEEESI_S6_NSB_4plusIvEENSB_8equal_toIvEES6_EE10hipError_tPvRmT2_T3_T4_T5_mT6_T7_P12ihipStream_tbENKUlT_T0_E_clISt17integral_constantIbLb1EES12_IbLb0EEEEDaSY_SZ_EUlSY_E_NS1_11comp_targetILNS1_3genE10ELNS1_11target_archE1200ELNS1_3gpuE4ELNS1_3repE0EEENS1_30default_config_static_selectorELNS0_4arch9wavefront6targetE0EEEvT1_, .Lfunc_end2061-_ZN7rocprim17ROCPRIM_400000_NS6detail17trampoline_kernelINS0_14default_configENS1_27scan_by_key_config_selectorIj11FixedVectorIiLj4EEEEZZNS1_16scan_by_key_implILNS1_25lookback_scan_determinismE0ELb0ES3_N6thrust23THRUST_200600_302600_NS6detail15normal_iteratorINSB_10device_ptrIjEEEENSD_INSE_IS6_EEEESI_S6_NSB_4plusIvEENSB_8equal_toIvEES6_EE10hipError_tPvRmT2_T3_T4_T5_mT6_T7_P12ihipStream_tbENKUlT_T0_E_clISt17integral_constantIbLb1EES12_IbLb0EEEEDaSY_SZ_EUlSY_E_NS1_11comp_targetILNS1_3genE10ELNS1_11target_archE1200ELNS1_3gpuE4ELNS1_3repE0EEENS1_30default_config_static_selectorELNS0_4arch9wavefront6targetE0EEEvT1_
                                        ; -- End function
	.set _ZN7rocprim17ROCPRIM_400000_NS6detail17trampoline_kernelINS0_14default_configENS1_27scan_by_key_config_selectorIj11FixedVectorIiLj4EEEEZZNS1_16scan_by_key_implILNS1_25lookback_scan_determinismE0ELb0ES3_N6thrust23THRUST_200600_302600_NS6detail15normal_iteratorINSB_10device_ptrIjEEEENSD_INSE_IS6_EEEESI_S6_NSB_4plusIvEENSB_8equal_toIvEES6_EE10hipError_tPvRmT2_T3_T4_T5_mT6_T7_P12ihipStream_tbENKUlT_T0_E_clISt17integral_constantIbLb1EES12_IbLb0EEEEDaSY_SZ_EUlSY_E_NS1_11comp_targetILNS1_3genE10ELNS1_11target_archE1200ELNS1_3gpuE4ELNS1_3repE0EEENS1_30default_config_static_selectorELNS0_4arch9wavefront6targetE0EEEvT1_.num_vgpr, 0
	.set _ZN7rocprim17ROCPRIM_400000_NS6detail17trampoline_kernelINS0_14default_configENS1_27scan_by_key_config_selectorIj11FixedVectorIiLj4EEEEZZNS1_16scan_by_key_implILNS1_25lookback_scan_determinismE0ELb0ES3_N6thrust23THRUST_200600_302600_NS6detail15normal_iteratorINSB_10device_ptrIjEEEENSD_INSE_IS6_EEEESI_S6_NSB_4plusIvEENSB_8equal_toIvEES6_EE10hipError_tPvRmT2_T3_T4_T5_mT6_T7_P12ihipStream_tbENKUlT_T0_E_clISt17integral_constantIbLb1EES12_IbLb0EEEEDaSY_SZ_EUlSY_E_NS1_11comp_targetILNS1_3genE10ELNS1_11target_archE1200ELNS1_3gpuE4ELNS1_3repE0EEENS1_30default_config_static_selectorELNS0_4arch9wavefront6targetE0EEEvT1_.num_agpr, 0
	.set _ZN7rocprim17ROCPRIM_400000_NS6detail17trampoline_kernelINS0_14default_configENS1_27scan_by_key_config_selectorIj11FixedVectorIiLj4EEEEZZNS1_16scan_by_key_implILNS1_25lookback_scan_determinismE0ELb0ES3_N6thrust23THRUST_200600_302600_NS6detail15normal_iteratorINSB_10device_ptrIjEEEENSD_INSE_IS6_EEEESI_S6_NSB_4plusIvEENSB_8equal_toIvEES6_EE10hipError_tPvRmT2_T3_T4_T5_mT6_T7_P12ihipStream_tbENKUlT_T0_E_clISt17integral_constantIbLb1EES12_IbLb0EEEEDaSY_SZ_EUlSY_E_NS1_11comp_targetILNS1_3genE10ELNS1_11target_archE1200ELNS1_3gpuE4ELNS1_3repE0EEENS1_30default_config_static_selectorELNS0_4arch9wavefront6targetE0EEEvT1_.numbered_sgpr, 0
	.set _ZN7rocprim17ROCPRIM_400000_NS6detail17trampoline_kernelINS0_14default_configENS1_27scan_by_key_config_selectorIj11FixedVectorIiLj4EEEEZZNS1_16scan_by_key_implILNS1_25lookback_scan_determinismE0ELb0ES3_N6thrust23THRUST_200600_302600_NS6detail15normal_iteratorINSB_10device_ptrIjEEEENSD_INSE_IS6_EEEESI_S6_NSB_4plusIvEENSB_8equal_toIvEES6_EE10hipError_tPvRmT2_T3_T4_T5_mT6_T7_P12ihipStream_tbENKUlT_T0_E_clISt17integral_constantIbLb1EES12_IbLb0EEEEDaSY_SZ_EUlSY_E_NS1_11comp_targetILNS1_3genE10ELNS1_11target_archE1200ELNS1_3gpuE4ELNS1_3repE0EEENS1_30default_config_static_selectorELNS0_4arch9wavefront6targetE0EEEvT1_.num_named_barrier, 0
	.set _ZN7rocprim17ROCPRIM_400000_NS6detail17trampoline_kernelINS0_14default_configENS1_27scan_by_key_config_selectorIj11FixedVectorIiLj4EEEEZZNS1_16scan_by_key_implILNS1_25lookback_scan_determinismE0ELb0ES3_N6thrust23THRUST_200600_302600_NS6detail15normal_iteratorINSB_10device_ptrIjEEEENSD_INSE_IS6_EEEESI_S6_NSB_4plusIvEENSB_8equal_toIvEES6_EE10hipError_tPvRmT2_T3_T4_T5_mT6_T7_P12ihipStream_tbENKUlT_T0_E_clISt17integral_constantIbLb1EES12_IbLb0EEEEDaSY_SZ_EUlSY_E_NS1_11comp_targetILNS1_3genE10ELNS1_11target_archE1200ELNS1_3gpuE4ELNS1_3repE0EEENS1_30default_config_static_selectorELNS0_4arch9wavefront6targetE0EEEvT1_.private_seg_size, 0
	.set _ZN7rocprim17ROCPRIM_400000_NS6detail17trampoline_kernelINS0_14default_configENS1_27scan_by_key_config_selectorIj11FixedVectorIiLj4EEEEZZNS1_16scan_by_key_implILNS1_25lookback_scan_determinismE0ELb0ES3_N6thrust23THRUST_200600_302600_NS6detail15normal_iteratorINSB_10device_ptrIjEEEENSD_INSE_IS6_EEEESI_S6_NSB_4plusIvEENSB_8equal_toIvEES6_EE10hipError_tPvRmT2_T3_T4_T5_mT6_T7_P12ihipStream_tbENKUlT_T0_E_clISt17integral_constantIbLb1EES12_IbLb0EEEEDaSY_SZ_EUlSY_E_NS1_11comp_targetILNS1_3genE10ELNS1_11target_archE1200ELNS1_3gpuE4ELNS1_3repE0EEENS1_30default_config_static_selectorELNS0_4arch9wavefront6targetE0EEEvT1_.uses_vcc, 0
	.set _ZN7rocprim17ROCPRIM_400000_NS6detail17trampoline_kernelINS0_14default_configENS1_27scan_by_key_config_selectorIj11FixedVectorIiLj4EEEEZZNS1_16scan_by_key_implILNS1_25lookback_scan_determinismE0ELb0ES3_N6thrust23THRUST_200600_302600_NS6detail15normal_iteratorINSB_10device_ptrIjEEEENSD_INSE_IS6_EEEESI_S6_NSB_4plusIvEENSB_8equal_toIvEES6_EE10hipError_tPvRmT2_T3_T4_T5_mT6_T7_P12ihipStream_tbENKUlT_T0_E_clISt17integral_constantIbLb1EES12_IbLb0EEEEDaSY_SZ_EUlSY_E_NS1_11comp_targetILNS1_3genE10ELNS1_11target_archE1200ELNS1_3gpuE4ELNS1_3repE0EEENS1_30default_config_static_selectorELNS0_4arch9wavefront6targetE0EEEvT1_.uses_flat_scratch, 0
	.set _ZN7rocprim17ROCPRIM_400000_NS6detail17trampoline_kernelINS0_14default_configENS1_27scan_by_key_config_selectorIj11FixedVectorIiLj4EEEEZZNS1_16scan_by_key_implILNS1_25lookback_scan_determinismE0ELb0ES3_N6thrust23THRUST_200600_302600_NS6detail15normal_iteratorINSB_10device_ptrIjEEEENSD_INSE_IS6_EEEESI_S6_NSB_4plusIvEENSB_8equal_toIvEES6_EE10hipError_tPvRmT2_T3_T4_T5_mT6_T7_P12ihipStream_tbENKUlT_T0_E_clISt17integral_constantIbLb1EES12_IbLb0EEEEDaSY_SZ_EUlSY_E_NS1_11comp_targetILNS1_3genE10ELNS1_11target_archE1200ELNS1_3gpuE4ELNS1_3repE0EEENS1_30default_config_static_selectorELNS0_4arch9wavefront6targetE0EEEvT1_.has_dyn_sized_stack, 0
	.set _ZN7rocprim17ROCPRIM_400000_NS6detail17trampoline_kernelINS0_14default_configENS1_27scan_by_key_config_selectorIj11FixedVectorIiLj4EEEEZZNS1_16scan_by_key_implILNS1_25lookback_scan_determinismE0ELb0ES3_N6thrust23THRUST_200600_302600_NS6detail15normal_iteratorINSB_10device_ptrIjEEEENSD_INSE_IS6_EEEESI_S6_NSB_4plusIvEENSB_8equal_toIvEES6_EE10hipError_tPvRmT2_T3_T4_T5_mT6_T7_P12ihipStream_tbENKUlT_T0_E_clISt17integral_constantIbLb1EES12_IbLb0EEEEDaSY_SZ_EUlSY_E_NS1_11comp_targetILNS1_3genE10ELNS1_11target_archE1200ELNS1_3gpuE4ELNS1_3repE0EEENS1_30default_config_static_selectorELNS0_4arch9wavefront6targetE0EEEvT1_.has_recursion, 0
	.set _ZN7rocprim17ROCPRIM_400000_NS6detail17trampoline_kernelINS0_14default_configENS1_27scan_by_key_config_selectorIj11FixedVectorIiLj4EEEEZZNS1_16scan_by_key_implILNS1_25lookback_scan_determinismE0ELb0ES3_N6thrust23THRUST_200600_302600_NS6detail15normal_iteratorINSB_10device_ptrIjEEEENSD_INSE_IS6_EEEESI_S6_NSB_4plusIvEENSB_8equal_toIvEES6_EE10hipError_tPvRmT2_T3_T4_T5_mT6_T7_P12ihipStream_tbENKUlT_T0_E_clISt17integral_constantIbLb1EES12_IbLb0EEEEDaSY_SZ_EUlSY_E_NS1_11comp_targetILNS1_3genE10ELNS1_11target_archE1200ELNS1_3gpuE4ELNS1_3repE0EEENS1_30default_config_static_selectorELNS0_4arch9wavefront6targetE0EEEvT1_.has_indirect_call, 0
	.section	.AMDGPU.csdata,"",@progbits
; Kernel info:
; codeLenInByte = 0
; TotalNumSgprs: 0
; NumVgprs: 0
; ScratchSize: 0
; MemoryBound: 0
; FloatMode: 240
; IeeeMode: 1
; LDSByteSize: 0 bytes/workgroup (compile time only)
; SGPRBlocks: 0
; VGPRBlocks: 0
; NumSGPRsForWavesPerEU: 1
; NumVGPRsForWavesPerEU: 1
; NamedBarCnt: 0
; Occupancy: 16
; WaveLimiterHint : 0
; COMPUTE_PGM_RSRC2:SCRATCH_EN: 0
; COMPUTE_PGM_RSRC2:USER_SGPR: 2
; COMPUTE_PGM_RSRC2:TRAP_HANDLER: 0
; COMPUTE_PGM_RSRC2:TGID_X_EN: 1
; COMPUTE_PGM_RSRC2:TGID_Y_EN: 0
; COMPUTE_PGM_RSRC2:TGID_Z_EN: 0
; COMPUTE_PGM_RSRC2:TIDIG_COMP_CNT: 0
	.section	.text._ZN7rocprim17ROCPRIM_400000_NS6detail17trampoline_kernelINS0_14default_configENS1_27scan_by_key_config_selectorIj11FixedVectorIiLj4EEEEZZNS1_16scan_by_key_implILNS1_25lookback_scan_determinismE0ELb0ES3_N6thrust23THRUST_200600_302600_NS6detail15normal_iteratorINSB_10device_ptrIjEEEENSD_INSE_IS6_EEEESI_S6_NSB_4plusIvEENSB_8equal_toIvEES6_EE10hipError_tPvRmT2_T3_T4_T5_mT6_T7_P12ihipStream_tbENKUlT_T0_E_clISt17integral_constantIbLb1EES12_IbLb0EEEEDaSY_SZ_EUlSY_E_NS1_11comp_targetILNS1_3genE9ELNS1_11target_archE1100ELNS1_3gpuE3ELNS1_3repE0EEENS1_30default_config_static_selectorELNS0_4arch9wavefront6targetE0EEEvT1_,"axG",@progbits,_ZN7rocprim17ROCPRIM_400000_NS6detail17trampoline_kernelINS0_14default_configENS1_27scan_by_key_config_selectorIj11FixedVectorIiLj4EEEEZZNS1_16scan_by_key_implILNS1_25lookback_scan_determinismE0ELb0ES3_N6thrust23THRUST_200600_302600_NS6detail15normal_iteratorINSB_10device_ptrIjEEEENSD_INSE_IS6_EEEESI_S6_NSB_4plusIvEENSB_8equal_toIvEES6_EE10hipError_tPvRmT2_T3_T4_T5_mT6_T7_P12ihipStream_tbENKUlT_T0_E_clISt17integral_constantIbLb1EES12_IbLb0EEEEDaSY_SZ_EUlSY_E_NS1_11comp_targetILNS1_3genE9ELNS1_11target_archE1100ELNS1_3gpuE3ELNS1_3repE0EEENS1_30default_config_static_selectorELNS0_4arch9wavefront6targetE0EEEvT1_,comdat
	.protected	_ZN7rocprim17ROCPRIM_400000_NS6detail17trampoline_kernelINS0_14default_configENS1_27scan_by_key_config_selectorIj11FixedVectorIiLj4EEEEZZNS1_16scan_by_key_implILNS1_25lookback_scan_determinismE0ELb0ES3_N6thrust23THRUST_200600_302600_NS6detail15normal_iteratorINSB_10device_ptrIjEEEENSD_INSE_IS6_EEEESI_S6_NSB_4plusIvEENSB_8equal_toIvEES6_EE10hipError_tPvRmT2_T3_T4_T5_mT6_T7_P12ihipStream_tbENKUlT_T0_E_clISt17integral_constantIbLb1EES12_IbLb0EEEEDaSY_SZ_EUlSY_E_NS1_11comp_targetILNS1_3genE9ELNS1_11target_archE1100ELNS1_3gpuE3ELNS1_3repE0EEENS1_30default_config_static_selectorELNS0_4arch9wavefront6targetE0EEEvT1_ ; -- Begin function _ZN7rocprim17ROCPRIM_400000_NS6detail17trampoline_kernelINS0_14default_configENS1_27scan_by_key_config_selectorIj11FixedVectorIiLj4EEEEZZNS1_16scan_by_key_implILNS1_25lookback_scan_determinismE0ELb0ES3_N6thrust23THRUST_200600_302600_NS6detail15normal_iteratorINSB_10device_ptrIjEEEENSD_INSE_IS6_EEEESI_S6_NSB_4plusIvEENSB_8equal_toIvEES6_EE10hipError_tPvRmT2_T3_T4_T5_mT6_T7_P12ihipStream_tbENKUlT_T0_E_clISt17integral_constantIbLb1EES12_IbLb0EEEEDaSY_SZ_EUlSY_E_NS1_11comp_targetILNS1_3genE9ELNS1_11target_archE1100ELNS1_3gpuE3ELNS1_3repE0EEENS1_30default_config_static_selectorELNS0_4arch9wavefront6targetE0EEEvT1_
	.globl	_ZN7rocprim17ROCPRIM_400000_NS6detail17trampoline_kernelINS0_14default_configENS1_27scan_by_key_config_selectorIj11FixedVectorIiLj4EEEEZZNS1_16scan_by_key_implILNS1_25lookback_scan_determinismE0ELb0ES3_N6thrust23THRUST_200600_302600_NS6detail15normal_iteratorINSB_10device_ptrIjEEEENSD_INSE_IS6_EEEESI_S6_NSB_4plusIvEENSB_8equal_toIvEES6_EE10hipError_tPvRmT2_T3_T4_T5_mT6_T7_P12ihipStream_tbENKUlT_T0_E_clISt17integral_constantIbLb1EES12_IbLb0EEEEDaSY_SZ_EUlSY_E_NS1_11comp_targetILNS1_3genE9ELNS1_11target_archE1100ELNS1_3gpuE3ELNS1_3repE0EEENS1_30default_config_static_selectorELNS0_4arch9wavefront6targetE0EEEvT1_
	.p2align	8
	.type	_ZN7rocprim17ROCPRIM_400000_NS6detail17trampoline_kernelINS0_14default_configENS1_27scan_by_key_config_selectorIj11FixedVectorIiLj4EEEEZZNS1_16scan_by_key_implILNS1_25lookback_scan_determinismE0ELb0ES3_N6thrust23THRUST_200600_302600_NS6detail15normal_iteratorINSB_10device_ptrIjEEEENSD_INSE_IS6_EEEESI_S6_NSB_4plusIvEENSB_8equal_toIvEES6_EE10hipError_tPvRmT2_T3_T4_T5_mT6_T7_P12ihipStream_tbENKUlT_T0_E_clISt17integral_constantIbLb1EES12_IbLb0EEEEDaSY_SZ_EUlSY_E_NS1_11comp_targetILNS1_3genE9ELNS1_11target_archE1100ELNS1_3gpuE3ELNS1_3repE0EEENS1_30default_config_static_selectorELNS0_4arch9wavefront6targetE0EEEvT1_,@function
_ZN7rocprim17ROCPRIM_400000_NS6detail17trampoline_kernelINS0_14default_configENS1_27scan_by_key_config_selectorIj11FixedVectorIiLj4EEEEZZNS1_16scan_by_key_implILNS1_25lookback_scan_determinismE0ELb0ES3_N6thrust23THRUST_200600_302600_NS6detail15normal_iteratorINSB_10device_ptrIjEEEENSD_INSE_IS6_EEEESI_S6_NSB_4plusIvEENSB_8equal_toIvEES6_EE10hipError_tPvRmT2_T3_T4_T5_mT6_T7_P12ihipStream_tbENKUlT_T0_E_clISt17integral_constantIbLb1EES12_IbLb0EEEEDaSY_SZ_EUlSY_E_NS1_11comp_targetILNS1_3genE9ELNS1_11target_archE1100ELNS1_3gpuE3ELNS1_3repE0EEENS1_30default_config_static_selectorELNS0_4arch9wavefront6targetE0EEEvT1_: ; @_ZN7rocprim17ROCPRIM_400000_NS6detail17trampoline_kernelINS0_14default_configENS1_27scan_by_key_config_selectorIj11FixedVectorIiLj4EEEEZZNS1_16scan_by_key_implILNS1_25lookback_scan_determinismE0ELb0ES3_N6thrust23THRUST_200600_302600_NS6detail15normal_iteratorINSB_10device_ptrIjEEEENSD_INSE_IS6_EEEESI_S6_NSB_4plusIvEENSB_8equal_toIvEES6_EE10hipError_tPvRmT2_T3_T4_T5_mT6_T7_P12ihipStream_tbENKUlT_T0_E_clISt17integral_constantIbLb1EES12_IbLb0EEEEDaSY_SZ_EUlSY_E_NS1_11comp_targetILNS1_3genE9ELNS1_11target_archE1100ELNS1_3gpuE3ELNS1_3repE0EEENS1_30default_config_static_selectorELNS0_4arch9wavefront6targetE0EEEvT1_
; %bb.0:
	.section	.rodata,"a",@progbits
	.p2align	6, 0x0
	.amdhsa_kernel _ZN7rocprim17ROCPRIM_400000_NS6detail17trampoline_kernelINS0_14default_configENS1_27scan_by_key_config_selectorIj11FixedVectorIiLj4EEEEZZNS1_16scan_by_key_implILNS1_25lookback_scan_determinismE0ELb0ES3_N6thrust23THRUST_200600_302600_NS6detail15normal_iteratorINSB_10device_ptrIjEEEENSD_INSE_IS6_EEEESI_S6_NSB_4plusIvEENSB_8equal_toIvEES6_EE10hipError_tPvRmT2_T3_T4_T5_mT6_T7_P12ihipStream_tbENKUlT_T0_E_clISt17integral_constantIbLb1EES12_IbLb0EEEEDaSY_SZ_EUlSY_E_NS1_11comp_targetILNS1_3genE9ELNS1_11target_archE1100ELNS1_3gpuE3ELNS1_3repE0EEENS1_30default_config_static_selectorELNS0_4arch9wavefront6targetE0EEEvT1_
		.amdhsa_group_segment_fixed_size 0
		.amdhsa_private_segment_fixed_size 0
		.amdhsa_kernarg_size 144
		.amdhsa_user_sgpr_count 2
		.amdhsa_user_sgpr_dispatch_ptr 0
		.amdhsa_user_sgpr_queue_ptr 0
		.amdhsa_user_sgpr_kernarg_segment_ptr 1
		.amdhsa_user_sgpr_dispatch_id 0
		.amdhsa_user_sgpr_kernarg_preload_length 0
		.amdhsa_user_sgpr_kernarg_preload_offset 0
		.amdhsa_user_sgpr_private_segment_size 0
		.amdhsa_wavefront_size32 1
		.amdhsa_uses_dynamic_stack 0
		.amdhsa_enable_private_segment 0
		.amdhsa_system_sgpr_workgroup_id_x 1
		.amdhsa_system_sgpr_workgroup_id_y 0
		.amdhsa_system_sgpr_workgroup_id_z 0
		.amdhsa_system_sgpr_workgroup_info 0
		.amdhsa_system_vgpr_workitem_id 0
		.amdhsa_next_free_vgpr 1
		.amdhsa_next_free_sgpr 1
		.amdhsa_named_barrier_count 0
		.amdhsa_reserve_vcc 0
		.amdhsa_float_round_mode_32 0
		.amdhsa_float_round_mode_16_64 0
		.amdhsa_float_denorm_mode_32 3
		.amdhsa_float_denorm_mode_16_64 3
		.amdhsa_fp16_overflow 0
		.amdhsa_memory_ordered 1
		.amdhsa_forward_progress 1
		.amdhsa_inst_pref_size 0
		.amdhsa_round_robin_scheduling 0
		.amdhsa_exception_fp_ieee_invalid_op 0
		.amdhsa_exception_fp_denorm_src 0
		.amdhsa_exception_fp_ieee_div_zero 0
		.amdhsa_exception_fp_ieee_overflow 0
		.amdhsa_exception_fp_ieee_underflow 0
		.amdhsa_exception_fp_ieee_inexact 0
		.amdhsa_exception_int_div_zero 0
	.end_amdhsa_kernel
	.section	.text._ZN7rocprim17ROCPRIM_400000_NS6detail17trampoline_kernelINS0_14default_configENS1_27scan_by_key_config_selectorIj11FixedVectorIiLj4EEEEZZNS1_16scan_by_key_implILNS1_25lookback_scan_determinismE0ELb0ES3_N6thrust23THRUST_200600_302600_NS6detail15normal_iteratorINSB_10device_ptrIjEEEENSD_INSE_IS6_EEEESI_S6_NSB_4plusIvEENSB_8equal_toIvEES6_EE10hipError_tPvRmT2_T3_T4_T5_mT6_T7_P12ihipStream_tbENKUlT_T0_E_clISt17integral_constantIbLb1EES12_IbLb0EEEEDaSY_SZ_EUlSY_E_NS1_11comp_targetILNS1_3genE9ELNS1_11target_archE1100ELNS1_3gpuE3ELNS1_3repE0EEENS1_30default_config_static_selectorELNS0_4arch9wavefront6targetE0EEEvT1_,"axG",@progbits,_ZN7rocprim17ROCPRIM_400000_NS6detail17trampoline_kernelINS0_14default_configENS1_27scan_by_key_config_selectorIj11FixedVectorIiLj4EEEEZZNS1_16scan_by_key_implILNS1_25lookback_scan_determinismE0ELb0ES3_N6thrust23THRUST_200600_302600_NS6detail15normal_iteratorINSB_10device_ptrIjEEEENSD_INSE_IS6_EEEESI_S6_NSB_4plusIvEENSB_8equal_toIvEES6_EE10hipError_tPvRmT2_T3_T4_T5_mT6_T7_P12ihipStream_tbENKUlT_T0_E_clISt17integral_constantIbLb1EES12_IbLb0EEEEDaSY_SZ_EUlSY_E_NS1_11comp_targetILNS1_3genE9ELNS1_11target_archE1100ELNS1_3gpuE3ELNS1_3repE0EEENS1_30default_config_static_selectorELNS0_4arch9wavefront6targetE0EEEvT1_,comdat
.Lfunc_end2062:
	.size	_ZN7rocprim17ROCPRIM_400000_NS6detail17trampoline_kernelINS0_14default_configENS1_27scan_by_key_config_selectorIj11FixedVectorIiLj4EEEEZZNS1_16scan_by_key_implILNS1_25lookback_scan_determinismE0ELb0ES3_N6thrust23THRUST_200600_302600_NS6detail15normal_iteratorINSB_10device_ptrIjEEEENSD_INSE_IS6_EEEESI_S6_NSB_4plusIvEENSB_8equal_toIvEES6_EE10hipError_tPvRmT2_T3_T4_T5_mT6_T7_P12ihipStream_tbENKUlT_T0_E_clISt17integral_constantIbLb1EES12_IbLb0EEEEDaSY_SZ_EUlSY_E_NS1_11comp_targetILNS1_3genE9ELNS1_11target_archE1100ELNS1_3gpuE3ELNS1_3repE0EEENS1_30default_config_static_selectorELNS0_4arch9wavefront6targetE0EEEvT1_, .Lfunc_end2062-_ZN7rocprim17ROCPRIM_400000_NS6detail17trampoline_kernelINS0_14default_configENS1_27scan_by_key_config_selectorIj11FixedVectorIiLj4EEEEZZNS1_16scan_by_key_implILNS1_25lookback_scan_determinismE0ELb0ES3_N6thrust23THRUST_200600_302600_NS6detail15normal_iteratorINSB_10device_ptrIjEEEENSD_INSE_IS6_EEEESI_S6_NSB_4plusIvEENSB_8equal_toIvEES6_EE10hipError_tPvRmT2_T3_T4_T5_mT6_T7_P12ihipStream_tbENKUlT_T0_E_clISt17integral_constantIbLb1EES12_IbLb0EEEEDaSY_SZ_EUlSY_E_NS1_11comp_targetILNS1_3genE9ELNS1_11target_archE1100ELNS1_3gpuE3ELNS1_3repE0EEENS1_30default_config_static_selectorELNS0_4arch9wavefront6targetE0EEEvT1_
                                        ; -- End function
	.set _ZN7rocprim17ROCPRIM_400000_NS6detail17trampoline_kernelINS0_14default_configENS1_27scan_by_key_config_selectorIj11FixedVectorIiLj4EEEEZZNS1_16scan_by_key_implILNS1_25lookback_scan_determinismE0ELb0ES3_N6thrust23THRUST_200600_302600_NS6detail15normal_iteratorINSB_10device_ptrIjEEEENSD_INSE_IS6_EEEESI_S6_NSB_4plusIvEENSB_8equal_toIvEES6_EE10hipError_tPvRmT2_T3_T4_T5_mT6_T7_P12ihipStream_tbENKUlT_T0_E_clISt17integral_constantIbLb1EES12_IbLb0EEEEDaSY_SZ_EUlSY_E_NS1_11comp_targetILNS1_3genE9ELNS1_11target_archE1100ELNS1_3gpuE3ELNS1_3repE0EEENS1_30default_config_static_selectorELNS0_4arch9wavefront6targetE0EEEvT1_.num_vgpr, 0
	.set _ZN7rocprim17ROCPRIM_400000_NS6detail17trampoline_kernelINS0_14default_configENS1_27scan_by_key_config_selectorIj11FixedVectorIiLj4EEEEZZNS1_16scan_by_key_implILNS1_25lookback_scan_determinismE0ELb0ES3_N6thrust23THRUST_200600_302600_NS6detail15normal_iteratorINSB_10device_ptrIjEEEENSD_INSE_IS6_EEEESI_S6_NSB_4plusIvEENSB_8equal_toIvEES6_EE10hipError_tPvRmT2_T3_T4_T5_mT6_T7_P12ihipStream_tbENKUlT_T0_E_clISt17integral_constantIbLb1EES12_IbLb0EEEEDaSY_SZ_EUlSY_E_NS1_11comp_targetILNS1_3genE9ELNS1_11target_archE1100ELNS1_3gpuE3ELNS1_3repE0EEENS1_30default_config_static_selectorELNS0_4arch9wavefront6targetE0EEEvT1_.num_agpr, 0
	.set _ZN7rocprim17ROCPRIM_400000_NS6detail17trampoline_kernelINS0_14default_configENS1_27scan_by_key_config_selectorIj11FixedVectorIiLj4EEEEZZNS1_16scan_by_key_implILNS1_25lookback_scan_determinismE0ELb0ES3_N6thrust23THRUST_200600_302600_NS6detail15normal_iteratorINSB_10device_ptrIjEEEENSD_INSE_IS6_EEEESI_S6_NSB_4plusIvEENSB_8equal_toIvEES6_EE10hipError_tPvRmT2_T3_T4_T5_mT6_T7_P12ihipStream_tbENKUlT_T0_E_clISt17integral_constantIbLb1EES12_IbLb0EEEEDaSY_SZ_EUlSY_E_NS1_11comp_targetILNS1_3genE9ELNS1_11target_archE1100ELNS1_3gpuE3ELNS1_3repE0EEENS1_30default_config_static_selectorELNS0_4arch9wavefront6targetE0EEEvT1_.numbered_sgpr, 0
	.set _ZN7rocprim17ROCPRIM_400000_NS6detail17trampoline_kernelINS0_14default_configENS1_27scan_by_key_config_selectorIj11FixedVectorIiLj4EEEEZZNS1_16scan_by_key_implILNS1_25lookback_scan_determinismE0ELb0ES3_N6thrust23THRUST_200600_302600_NS6detail15normal_iteratorINSB_10device_ptrIjEEEENSD_INSE_IS6_EEEESI_S6_NSB_4plusIvEENSB_8equal_toIvEES6_EE10hipError_tPvRmT2_T3_T4_T5_mT6_T7_P12ihipStream_tbENKUlT_T0_E_clISt17integral_constantIbLb1EES12_IbLb0EEEEDaSY_SZ_EUlSY_E_NS1_11comp_targetILNS1_3genE9ELNS1_11target_archE1100ELNS1_3gpuE3ELNS1_3repE0EEENS1_30default_config_static_selectorELNS0_4arch9wavefront6targetE0EEEvT1_.num_named_barrier, 0
	.set _ZN7rocprim17ROCPRIM_400000_NS6detail17trampoline_kernelINS0_14default_configENS1_27scan_by_key_config_selectorIj11FixedVectorIiLj4EEEEZZNS1_16scan_by_key_implILNS1_25lookback_scan_determinismE0ELb0ES3_N6thrust23THRUST_200600_302600_NS6detail15normal_iteratorINSB_10device_ptrIjEEEENSD_INSE_IS6_EEEESI_S6_NSB_4plusIvEENSB_8equal_toIvEES6_EE10hipError_tPvRmT2_T3_T4_T5_mT6_T7_P12ihipStream_tbENKUlT_T0_E_clISt17integral_constantIbLb1EES12_IbLb0EEEEDaSY_SZ_EUlSY_E_NS1_11comp_targetILNS1_3genE9ELNS1_11target_archE1100ELNS1_3gpuE3ELNS1_3repE0EEENS1_30default_config_static_selectorELNS0_4arch9wavefront6targetE0EEEvT1_.private_seg_size, 0
	.set _ZN7rocprim17ROCPRIM_400000_NS6detail17trampoline_kernelINS0_14default_configENS1_27scan_by_key_config_selectorIj11FixedVectorIiLj4EEEEZZNS1_16scan_by_key_implILNS1_25lookback_scan_determinismE0ELb0ES3_N6thrust23THRUST_200600_302600_NS6detail15normal_iteratorINSB_10device_ptrIjEEEENSD_INSE_IS6_EEEESI_S6_NSB_4plusIvEENSB_8equal_toIvEES6_EE10hipError_tPvRmT2_T3_T4_T5_mT6_T7_P12ihipStream_tbENKUlT_T0_E_clISt17integral_constantIbLb1EES12_IbLb0EEEEDaSY_SZ_EUlSY_E_NS1_11comp_targetILNS1_3genE9ELNS1_11target_archE1100ELNS1_3gpuE3ELNS1_3repE0EEENS1_30default_config_static_selectorELNS0_4arch9wavefront6targetE0EEEvT1_.uses_vcc, 0
	.set _ZN7rocprim17ROCPRIM_400000_NS6detail17trampoline_kernelINS0_14default_configENS1_27scan_by_key_config_selectorIj11FixedVectorIiLj4EEEEZZNS1_16scan_by_key_implILNS1_25lookback_scan_determinismE0ELb0ES3_N6thrust23THRUST_200600_302600_NS6detail15normal_iteratorINSB_10device_ptrIjEEEENSD_INSE_IS6_EEEESI_S6_NSB_4plusIvEENSB_8equal_toIvEES6_EE10hipError_tPvRmT2_T3_T4_T5_mT6_T7_P12ihipStream_tbENKUlT_T0_E_clISt17integral_constantIbLb1EES12_IbLb0EEEEDaSY_SZ_EUlSY_E_NS1_11comp_targetILNS1_3genE9ELNS1_11target_archE1100ELNS1_3gpuE3ELNS1_3repE0EEENS1_30default_config_static_selectorELNS0_4arch9wavefront6targetE0EEEvT1_.uses_flat_scratch, 0
	.set _ZN7rocprim17ROCPRIM_400000_NS6detail17trampoline_kernelINS0_14default_configENS1_27scan_by_key_config_selectorIj11FixedVectorIiLj4EEEEZZNS1_16scan_by_key_implILNS1_25lookback_scan_determinismE0ELb0ES3_N6thrust23THRUST_200600_302600_NS6detail15normal_iteratorINSB_10device_ptrIjEEEENSD_INSE_IS6_EEEESI_S6_NSB_4plusIvEENSB_8equal_toIvEES6_EE10hipError_tPvRmT2_T3_T4_T5_mT6_T7_P12ihipStream_tbENKUlT_T0_E_clISt17integral_constantIbLb1EES12_IbLb0EEEEDaSY_SZ_EUlSY_E_NS1_11comp_targetILNS1_3genE9ELNS1_11target_archE1100ELNS1_3gpuE3ELNS1_3repE0EEENS1_30default_config_static_selectorELNS0_4arch9wavefront6targetE0EEEvT1_.has_dyn_sized_stack, 0
	.set _ZN7rocprim17ROCPRIM_400000_NS6detail17trampoline_kernelINS0_14default_configENS1_27scan_by_key_config_selectorIj11FixedVectorIiLj4EEEEZZNS1_16scan_by_key_implILNS1_25lookback_scan_determinismE0ELb0ES3_N6thrust23THRUST_200600_302600_NS6detail15normal_iteratorINSB_10device_ptrIjEEEENSD_INSE_IS6_EEEESI_S6_NSB_4plusIvEENSB_8equal_toIvEES6_EE10hipError_tPvRmT2_T3_T4_T5_mT6_T7_P12ihipStream_tbENKUlT_T0_E_clISt17integral_constantIbLb1EES12_IbLb0EEEEDaSY_SZ_EUlSY_E_NS1_11comp_targetILNS1_3genE9ELNS1_11target_archE1100ELNS1_3gpuE3ELNS1_3repE0EEENS1_30default_config_static_selectorELNS0_4arch9wavefront6targetE0EEEvT1_.has_recursion, 0
	.set _ZN7rocprim17ROCPRIM_400000_NS6detail17trampoline_kernelINS0_14default_configENS1_27scan_by_key_config_selectorIj11FixedVectorIiLj4EEEEZZNS1_16scan_by_key_implILNS1_25lookback_scan_determinismE0ELb0ES3_N6thrust23THRUST_200600_302600_NS6detail15normal_iteratorINSB_10device_ptrIjEEEENSD_INSE_IS6_EEEESI_S6_NSB_4plusIvEENSB_8equal_toIvEES6_EE10hipError_tPvRmT2_T3_T4_T5_mT6_T7_P12ihipStream_tbENKUlT_T0_E_clISt17integral_constantIbLb1EES12_IbLb0EEEEDaSY_SZ_EUlSY_E_NS1_11comp_targetILNS1_3genE9ELNS1_11target_archE1100ELNS1_3gpuE3ELNS1_3repE0EEENS1_30default_config_static_selectorELNS0_4arch9wavefront6targetE0EEEvT1_.has_indirect_call, 0
	.section	.AMDGPU.csdata,"",@progbits
; Kernel info:
; codeLenInByte = 0
; TotalNumSgprs: 0
; NumVgprs: 0
; ScratchSize: 0
; MemoryBound: 0
; FloatMode: 240
; IeeeMode: 1
; LDSByteSize: 0 bytes/workgroup (compile time only)
; SGPRBlocks: 0
; VGPRBlocks: 0
; NumSGPRsForWavesPerEU: 1
; NumVGPRsForWavesPerEU: 1
; NamedBarCnt: 0
; Occupancy: 16
; WaveLimiterHint : 0
; COMPUTE_PGM_RSRC2:SCRATCH_EN: 0
; COMPUTE_PGM_RSRC2:USER_SGPR: 2
; COMPUTE_PGM_RSRC2:TRAP_HANDLER: 0
; COMPUTE_PGM_RSRC2:TGID_X_EN: 1
; COMPUTE_PGM_RSRC2:TGID_Y_EN: 0
; COMPUTE_PGM_RSRC2:TGID_Z_EN: 0
; COMPUTE_PGM_RSRC2:TIDIG_COMP_CNT: 0
	.section	.text._ZN7rocprim17ROCPRIM_400000_NS6detail17trampoline_kernelINS0_14default_configENS1_27scan_by_key_config_selectorIj11FixedVectorIiLj4EEEEZZNS1_16scan_by_key_implILNS1_25lookback_scan_determinismE0ELb0ES3_N6thrust23THRUST_200600_302600_NS6detail15normal_iteratorINSB_10device_ptrIjEEEENSD_INSE_IS6_EEEESI_S6_NSB_4plusIvEENSB_8equal_toIvEES6_EE10hipError_tPvRmT2_T3_T4_T5_mT6_T7_P12ihipStream_tbENKUlT_T0_E_clISt17integral_constantIbLb1EES12_IbLb0EEEEDaSY_SZ_EUlSY_E_NS1_11comp_targetILNS1_3genE8ELNS1_11target_archE1030ELNS1_3gpuE2ELNS1_3repE0EEENS1_30default_config_static_selectorELNS0_4arch9wavefront6targetE0EEEvT1_,"axG",@progbits,_ZN7rocprim17ROCPRIM_400000_NS6detail17trampoline_kernelINS0_14default_configENS1_27scan_by_key_config_selectorIj11FixedVectorIiLj4EEEEZZNS1_16scan_by_key_implILNS1_25lookback_scan_determinismE0ELb0ES3_N6thrust23THRUST_200600_302600_NS6detail15normal_iteratorINSB_10device_ptrIjEEEENSD_INSE_IS6_EEEESI_S6_NSB_4plusIvEENSB_8equal_toIvEES6_EE10hipError_tPvRmT2_T3_T4_T5_mT6_T7_P12ihipStream_tbENKUlT_T0_E_clISt17integral_constantIbLb1EES12_IbLb0EEEEDaSY_SZ_EUlSY_E_NS1_11comp_targetILNS1_3genE8ELNS1_11target_archE1030ELNS1_3gpuE2ELNS1_3repE0EEENS1_30default_config_static_selectorELNS0_4arch9wavefront6targetE0EEEvT1_,comdat
	.protected	_ZN7rocprim17ROCPRIM_400000_NS6detail17trampoline_kernelINS0_14default_configENS1_27scan_by_key_config_selectorIj11FixedVectorIiLj4EEEEZZNS1_16scan_by_key_implILNS1_25lookback_scan_determinismE0ELb0ES3_N6thrust23THRUST_200600_302600_NS6detail15normal_iteratorINSB_10device_ptrIjEEEENSD_INSE_IS6_EEEESI_S6_NSB_4plusIvEENSB_8equal_toIvEES6_EE10hipError_tPvRmT2_T3_T4_T5_mT6_T7_P12ihipStream_tbENKUlT_T0_E_clISt17integral_constantIbLb1EES12_IbLb0EEEEDaSY_SZ_EUlSY_E_NS1_11comp_targetILNS1_3genE8ELNS1_11target_archE1030ELNS1_3gpuE2ELNS1_3repE0EEENS1_30default_config_static_selectorELNS0_4arch9wavefront6targetE0EEEvT1_ ; -- Begin function _ZN7rocprim17ROCPRIM_400000_NS6detail17trampoline_kernelINS0_14default_configENS1_27scan_by_key_config_selectorIj11FixedVectorIiLj4EEEEZZNS1_16scan_by_key_implILNS1_25lookback_scan_determinismE0ELb0ES3_N6thrust23THRUST_200600_302600_NS6detail15normal_iteratorINSB_10device_ptrIjEEEENSD_INSE_IS6_EEEESI_S6_NSB_4plusIvEENSB_8equal_toIvEES6_EE10hipError_tPvRmT2_T3_T4_T5_mT6_T7_P12ihipStream_tbENKUlT_T0_E_clISt17integral_constantIbLb1EES12_IbLb0EEEEDaSY_SZ_EUlSY_E_NS1_11comp_targetILNS1_3genE8ELNS1_11target_archE1030ELNS1_3gpuE2ELNS1_3repE0EEENS1_30default_config_static_selectorELNS0_4arch9wavefront6targetE0EEEvT1_
	.globl	_ZN7rocprim17ROCPRIM_400000_NS6detail17trampoline_kernelINS0_14default_configENS1_27scan_by_key_config_selectorIj11FixedVectorIiLj4EEEEZZNS1_16scan_by_key_implILNS1_25lookback_scan_determinismE0ELb0ES3_N6thrust23THRUST_200600_302600_NS6detail15normal_iteratorINSB_10device_ptrIjEEEENSD_INSE_IS6_EEEESI_S6_NSB_4plusIvEENSB_8equal_toIvEES6_EE10hipError_tPvRmT2_T3_T4_T5_mT6_T7_P12ihipStream_tbENKUlT_T0_E_clISt17integral_constantIbLb1EES12_IbLb0EEEEDaSY_SZ_EUlSY_E_NS1_11comp_targetILNS1_3genE8ELNS1_11target_archE1030ELNS1_3gpuE2ELNS1_3repE0EEENS1_30default_config_static_selectorELNS0_4arch9wavefront6targetE0EEEvT1_
	.p2align	8
	.type	_ZN7rocprim17ROCPRIM_400000_NS6detail17trampoline_kernelINS0_14default_configENS1_27scan_by_key_config_selectorIj11FixedVectorIiLj4EEEEZZNS1_16scan_by_key_implILNS1_25lookback_scan_determinismE0ELb0ES3_N6thrust23THRUST_200600_302600_NS6detail15normal_iteratorINSB_10device_ptrIjEEEENSD_INSE_IS6_EEEESI_S6_NSB_4plusIvEENSB_8equal_toIvEES6_EE10hipError_tPvRmT2_T3_T4_T5_mT6_T7_P12ihipStream_tbENKUlT_T0_E_clISt17integral_constantIbLb1EES12_IbLb0EEEEDaSY_SZ_EUlSY_E_NS1_11comp_targetILNS1_3genE8ELNS1_11target_archE1030ELNS1_3gpuE2ELNS1_3repE0EEENS1_30default_config_static_selectorELNS0_4arch9wavefront6targetE0EEEvT1_,@function
_ZN7rocprim17ROCPRIM_400000_NS6detail17trampoline_kernelINS0_14default_configENS1_27scan_by_key_config_selectorIj11FixedVectorIiLj4EEEEZZNS1_16scan_by_key_implILNS1_25lookback_scan_determinismE0ELb0ES3_N6thrust23THRUST_200600_302600_NS6detail15normal_iteratorINSB_10device_ptrIjEEEENSD_INSE_IS6_EEEESI_S6_NSB_4plusIvEENSB_8equal_toIvEES6_EE10hipError_tPvRmT2_T3_T4_T5_mT6_T7_P12ihipStream_tbENKUlT_T0_E_clISt17integral_constantIbLb1EES12_IbLb0EEEEDaSY_SZ_EUlSY_E_NS1_11comp_targetILNS1_3genE8ELNS1_11target_archE1030ELNS1_3gpuE2ELNS1_3repE0EEENS1_30default_config_static_selectorELNS0_4arch9wavefront6targetE0EEEvT1_: ; @_ZN7rocprim17ROCPRIM_400000_NS6detail17trampoline_kernelINS0_14default_configENS1_27scan_by_key_config_selectorIj11FixedVectorIiLj4EEEEZZNS1_16scan_by_key_implILNS1_25lookback_scan_determinismE0ELb0ES3_N6thrust23THRUST_200600_302600_NS6detail15normal_iteratorINSB_10device_ptrIjEEEENSD_INSE_IS6_EEEESI_S6_NSB_4plusIvEENSB_8equal_toIvEES6_EE10hipError_tPvRmT2_T3_T4_T5_mT6_T7_P12ihipStream_tbENKUlT_T0_E_clISt17integral_constantIbLb1EES12_IbLb0EEEEDaSY_SZ_EUlSY_E_NS1_11comp_targetILNS1_3genE8ELNS1_11target_archE1030ELNS1_3gpuE2ELNS1_3repE0EEENS1_30default_config_static_selectorELNS0_4arch9wavefront6targetE0EEEvT1_
; %bb.0:
	.section	.rodata,"a",@progbits
	.p2align	6, 0x0
	.amdhsa_kernel _ZN7rocprim17ROCPRIM_400000_NS6detail17trampoline_kernelINS0_14default_configENS1_27scan_by_key_config_selectorIj11FixedVectorIiLj4EEEEZZNS1_16scan_by_key_implILNS1_25lookback_scan_determinismE0ELb0ES3_N6thrust23THRUST_200600_302600_NS6detail15normal_iteratorINSB_10device_ptrIjEEEENSD_INSE_IS6_EEEESI_S6_NSB_4plusIvEENSB_8equal_toIvEES6_EE10hipError_tPvRmT2_T3_T4_T5_mT6_T7_P12ihipStream_tbENKUlT_T0_E_clISt17integral_constantIbLb1EES12_IbLb0EEEEDaSY_SZ_EUlSY_E_NS1_11comp_targetILNS1_3genE8ELNS1_11target_archE1030ELNS1_3gpuE2ELNS1_3repE0EEENS1_30default_config_static_selectorELNS0_4arch9wavefront6targetE0EEEvT1_
		.amdhsa_group_segment_fixed_size 0
		.amdhsa_private_segment_fixed_size 0
		.amdhsa_kernarg_size 144
		.amdhsa_user_sgpr_count 2
		.amdhsa_user_sgpr_dispatch_ptr 0
		.amdhsa_user_sgpr_queue_ptr 0
		.amdhsa_user_sgpr_kernarg_segment_ptr 1
		.amdhsa_user_sgpr_dispatch_id 0
		.amdhsa_user_sgpr_kernarg_preload_length 0
		.amdhsa_user_sgpr_kernarg_preload_offset 0
		.amdhsa_user_sgpr_private_segment_size 0
		.amdhsa_wavefront_size32 1
		.amdhsa_uses_dynamic_stack 0
		.amdhsa_enable_private_segment 0
		.amdhsa_system_sgpr_workgroup_id_x 1
		.amdhsa_system_sgpr_workgroup_id_y 0
		.amdhsa_system_sgpr_workgroup_id_z 0
		.amdhsa_system_sgpr_workgroup_info 0
		.amdhsa_system_vgpr_workitem_id 0
		.amdhsa_next_free_vgpr 1
		.amdhsa_next_free_sgpr 1
		.amdhsa_named_barrier_count 0
		.amdhsa_reserve_vcc 0
		.amdhsa_float_round_mode_32 0
		.amdhsa_float_round_mode_16_64 0
		.amdhsa_float_denorm_mode_32 3
		.amdhsa_float_denorm_mode_16_64 3
		.amdhsa_fp16_overflow 0
		.amdhsa_memory_ordered 1
		.amdhsa_forward_progress 1
		.amdhsa_inst_pref_size 0
		.amdhsa_round_robin_scheduling 0
		.amdhsa_exception_fp_ieee_invalid_op 0
		.amdhsa_exception_fp_denorm_src 0
		.amdhsa_exception_fp_ieee_div_zero 0
		.amdhsa_exception_fp_ieee_overflow 0
		.amdhsa_exception_fp_ieee_underflow 0
		.amdhsa_exception_fp_ieee_inexact 0
		.amdhsa_exception_int_div_zero 0
	.end_amdhsa_kernel
	.section	.text._ZN7rocprim17ROCPRIM_400000_NS6detail17trampoline_kernelINS0_14default_configENS1_27scan_by_key_config_selectorIj11FixedVectorIiLj4EEEEZZNS1_16scan_by_key_implILNS1_25lookback_scan_determinismE0ELb0ES3_N6thrust23THRUST_200600_302600_NS6detail15normal_iteratorINSB_10device_ptrIjEEEENSD_INSE_IS6_EEEESI_S6_NSB_4plusIvEENSB_8equal_toIvEES6_EE10hipError_tPvRmT2_T3_T4_T5_mT6_T7_P12ihipStream_tbENKUlT_T0_E_clISt17integral_constantIbLb1EES12_IbLb0EEEEDaSY_SZ_EUlSY_E_NS1_11comp_targetILNS1_3genE8ELNS1_11target_archE1030ELNS1_3gpuE2ELNS1_3repE0EEENS1_30default_config_static_selectorELNS0_4arch9wavefront6targetE0EEEvT1_,"axG",@progbits,_ZN7rocprim17ROCPRIM_400000_NS6detail17trampoline_kernelINS0_14default_configENS1_27scan_by_key_config_selectorIj11FixedVectorIiLj4EEEEZZNS1_16scan_by_key_implILNS1_25lookback_scan_determinismE0ELb0ES3_N6thrust23THRUST_200600_302600_NS6detail15normal_iteratorINSB_10device_ptrIjEEEENSD_INSE_IS6_EEEESI_S6_NSB_4plusIvEENSB_8equal_toIvEES6_EE10hipError_tPvRmT2_T3_T4_T5_mT6_T7_P12ihipStream_tbENKUlT_T0_E_clISt17integral_constantIbLb1EES12_IbLb0EEEEDaSY_SZ_EUlSY_E_NS1_11comp_targetILNS1_3genE8ELNS1_11target_archE1030ELNS1_3gpuE2ELNS1_3repE0EEENS1_30default_config_static_selectorELNS0_4arch9wavefront6targetE0EEEvT1_,comdat
.Lfunc_end2063:
	.size	_ZN7rocprim17ROCPRIM_400000_NS6detail17trampoline_kernelINS0_14default_configENS1_27scan_by_key_config_selectorIj11FixedVectorIiLj4EEEEZZNS1_16scan_by_key_implILNS1_25lookback_scan_determinismE0ELb0ES3_N6thrust23THRUST_200600_302600_NS6detail15normal_iteratorINSB_10device_ptrIjEEEENSD_INSE_IS6_EEEESI_S6_NSB_4plusIvEENSB_8equal_toIvEES6_EE10hipError_tPvRmT2_T3_T4_T5_mT6_T7_P12ihipStream_tbENKUlT_T0_E_clISt17integral_constantIbLb1EES12_IbLb0EEEEDaSY_SZ_EUlSY_E_NS1_11comp_targetILNS1_3genE8ELNS1_11target_archE1030ELNS1_3gpuE2ELNS1_3repE0EEENS1_30default_config_static_selectorELNS0_4arch9wavefront6targetE0EEEvT1_, .Lfunc_end2063-_ZN7rocprim17ROCPRIM_400000_NS6detail17trampoline_kernelINS0_14default_configENS1_27scan_by_key_config_selectorIj11FixedVectorIiLj4EEEEZZNS1_16scan_by_key_implILNS1_25lookback_scan_determinismE0ELb0ES3_N6thrust23THRUST_200600_302600_NS6detail15normal_iteratorINSB_10device_ptrIjEEEENSD_INSE_IS6_EEEESI_S6_NSB_4plusIvEENSB_8equal_toIvEES6_EE10hipError_tPvRmT2_T3_T4_T5_mT6_T7_P12ihipStream_tbENKUlT_T0_E_clISt17integral_constantIbLb1EES12_IbLb0EEEEDaSY_SZ_EUlSY_E_NS1_11comp_targetILNS1_3genE8ELNS1_11target_archE1030ELNS1_3gpuE2ELNS1_3repE0EEENS1_30default_config_static_selectorELNS0_4arch9wavefront6targetE0EEEvT1_
                                        ; -- End function
	.set _ZN7rocprim17ROCPRIM_400000_NS6detail17trampoline_kernelINS0_14default_configENS1_27scan_by_key_config_selectorIj11FixedVectorIiLj4EEEEZZNS1_16scan_by_key_implILNS1_25lookback_scan_determinismE0ELb0ES3_N6thrust23THRUST_200600_302600_NS6detail15normal_iteratorINSB_10device_ptrIjEEEENSD_INSE_IS6_EEEESI_S6_NSB_4plusIvEENSB_8equal_toIvEES6_EE10hipError_tPvRmT2_T3_T4_T5_mT6_T7_P12ihipStream_tbENKUlT_T0_E_clISt17integral_constantIbLb1EES12_IbLb0EEEEDaSY_SZ_EUlSY_E_NS1_11comp_targetILNS1_3genE8ELNS1_11target_archE1030ELNS1_3gpuE2ELNS1_3repE0EEENS1_30default_config_static_selectorELNS0_4arch9wavefront6targetE0EEEvT1_.num_vgpr, 0
	.set _ZN7rocprim17ROCPRIM_400000_NS6detail17trampoline_kernelINS0_14default_configENS1_27scan_by_key_config_selectorIj11FixedVectorIiLj4EEEEZZNS1_16scan_by_key_implILNS1_25lookback_scan_determinismE0ELb0ES3_N6thrust23THRUST_200600_302600_NS6detail15normal_iteratorINSB_10device_ptrIjEEEENSD_INSE_IS6_EEEESI_S6_NSB_4plusIvEENSB_8equal_toIvEES6_EE10hipError_tPvRmT2_T3_T4_T5_mT6_T7_P12ihipStream_tbENKUlT_T0_E_clISt17integral_constantIbLb1EES12_IbLb0EEEEDaSY_SZ_EUlSY_E_NS1_11comp_targetILNS1_3genE8ELNS1_11target_archE1030ELNS1_3gpuE2ELNS1_3repE0EEENS1_30default_config_static_selectorELNS0_4arch9wavefront6targetE0EEEvT1_.num_agpr, 0
	.set _ZN7rocprim17ROCPRIM_400000_NS6detail17trampoline_kernelINS0_14default_configENS1_27scan_by_key_config_selectorIj11FixedVectorIiLj4EEEEZZNS1_16scan_by_key_implILNS1_25lookback_scan_determinismE0ELb0ES3_N6thrust23THRUST_200600_302600_NS6detail15normal_iteratorINSB_10device_ptrIjEEEENSD_INSE_IS6_EEEESI_S6_NSB_4plusIvEENSB_8equal_toIvEES6_EE10hipError_tPvRmT2_T3_T4_T5_mT6_T7_P12ihipStream_tbENKUlT_T0_E_clISt17integral_constantIbLb1EES12_IbLb0EEEEDaSY_SZ_EUlSY_E_NS1_11comp_targetILNS1_3genE8ELNS1_11target_archE1030ELNS1_3gpuE2ELNS1_3repE0EEENS1_30default_config_static_selectorELNS0_4arch9wavefront6targetE0EEEvT1_.numbered_sgpr, 0
	.set _ZN7rocprim17ROCPRIM_400000_NS6detail17trampoline_kernelINS0_14default_configENS1_27scan_by_key_config_selectorIj11FixedVectorIiLj4EEEEZZNS1_16scan_by_key_implILNS1_25lookback_scan_determinismE0ELb0ES3_N6thrust23THRUST_200600_302600_NS6detail15normal_iteratorINSB_10device_ptrIjEEEENSD_INSE_IS6_EEEESI_S6_NSB_4plusIvEENSB_8equal_toIvEES6_EE10hipError_tPvRmT2_T3_T4_T5_mT6_T7_P12ihipStream_tbENKUlT_T0_E_clISt17integral_constantIbLb1EES12_IbLb0EEEEDaSY_SZ_EUlSY_E_NS1_11comp_targetILNS1_3genE8ELNS1_11target_archE1030ELNS1_3gpuE2ELNS1_3repE0EEENS1_30default_config_static_selectorELNS0_4arch9wavefront6targetE0EEEvT1_.num_named_barrier, 0
	.set _ZN7rocprim17ROCPRIM_400000_NS6detail17trampoline_kernelINS0_14default_configENS1_27scan_by_key_config_selectorIj11FixedVectorIiLj4EEEEZZNS1_16scan_by_key_implILNS1_25lookback_scan_determinismE0ELb0ES3_N6thrust23THRUST_200600_302600_NS6detail15normal_iteratorINSB_10device_ptrIjEEEENSD_INSE_IS6_EEEESI_S6_NSB_4plusIvEENSB_8equal_toIvEES6_EE10hipError_tPvRmT2_T3_T4_T5_mT6_T7_P12ihipStream_tbENKUlT_T0_E_clISt17integral_constantIbLb1EES12_IbLb0EEEEDaSY_SZ_EUlSY_E_NS1_11comp_targetILNS1_3genE8ELNS1_11target_archE1030ELNS1_3gpuE2ELNS1_3repE0EEENS1_30default_config_static_selectorELNS0_4arch9wavefront6targetE0EEEvT1_.private_seg_size, 0
	.set _ZN7rocprim17ROCPRIM_400000_NS6detail17trampoline_kernelINS0_14default_configENS1_27scan_by_key_config_selectorIj11FixedVectorIiLj4EEEEZZNS1_16scan_by_key_implILNS1_25lookback_scan_determinismE0ELb0ES3_N6thrust23THRUST_200600_302600_NS6detail15normal_iteratorINSB_10device_ptrIjEEEENSD_INSE_IS6_EEEESI_S6_NSB_4plusIvEENSB_8equal_toIvEES6_EE10hipError_tPvRmT2_T3_T4_T5_mT6_T7_P12ihipStream_tbENKUlT_T0_E_clISt17integral_constantIbLb1EES12_IbLb0EEEEDaSY_SZ_EUlSY_E_NS1_11comp_targetILNS1_3genE8ELNS1_11target_archE1030ELNS1_3gpuE2ELNS1_3repE0EEENS1_30default_config_static_selectorELNS0_4arch9wavefront6targetE0EEEvT1_.uses_vcc, 0
	.set _ZN7rocprim17ROCPRIM_400000_NS6detail17trampoline_kernelINS0_14default_configENS1_27scan_by_key_config_selectorIj11FixedVectorIiLj4EEEEZZNS1_16scan_by_key_implILNS1_25lookback_scan_determinismE0ELb0ES3_N6thrust23THRUST_200600_302600_NS6detail15normal_iteratorINSB_10device_ptrIjEEEENSD_INSE_IS6_EEEESI_S6_NSB_4plusIvEENSB_8equal_toIvEES6_EE10hipError_tPvRmT2_T3_T4_T5_mT6_T7_P12ihipStream_tbENKUlT_T0_E_clISt17integral_constantIbLb1EES12_IbLb0EEEEDaSY_SZ_EUlSY_E_NS1_11comp_targetILNS1_3genE8ELNS1_11target_archE1030ELNS1_3gpuE2ELNS1_3repE0EEENS1_30default_config_static_selectorELNS0_4arch9wavefront6targetE0EEEvT1_.uses_flat_scratch, 0
	.set _ZN7rocprim17ROCPRIM_400000_NS6detail17trampoline_kernelINS0_14default_configENS1_27scan_by_key_config_selectorIj11FixedVectorIiLj4EEEEZZNS1_16scan_by_key_implILNS1_25lookback_scan_determinismE0ELb0ES3_N6thrust23THRUST_200600_302600_NS6detail15normal_iteratorINSB_10device_ptrIjEEEENSD_INSE_IS6_EEEESI_S6_NSB_4plusIvEENSB_8equal_toIvEES6_EE10hipError_tPvRmT2_T3_T4_T5_mT6_T7_P12ihipStream_tbENKUlT_T0_E_clISt17integral_constantIbLb1EES12_IbLb0EEEEDaSY_SZ_EUlSY_E_NS1_11comp_targetILNS1_3genE8ELNS1_11target_archE1030ELNS1_3gpuE2ELNS1_3repE0EEENS1_30default_config_static_selectorELNS0_4arch9wavefront6targetE0EEEvT1_.has_dyn_sized_stack, 0
	.set _ZN7rocprim17ROCPRIM_400000_NS6detail17trampoline_kernelINS0_14default_configENS1_27scan_by_key_config_selectorIj11FixedVectorIiLj4EEEEZZNS1_16scan_by_key_implILNS1_25lookback_scan_determinismE0ELb0ES3_N6thrust23THRUST_200600_302600_NS6detail15normal_iteratorINSB_10device_ptrIjEEEENSD_INSE_IS6_EEEESI_S6_NSB_4plusIvEENSB_8equal_toIvEES6_EE10hipError_tPvRmT2_T3_T4_T5_mT6_T7_P12ihipStream_tbENKUlT_T0_E_clISt17integral_constantIbLb1EES12_IbLb0EEEEDaSY_SZ_EUlSY_E_NS1_11comp_targetILNS1_3genE8ELNS1_11target_archE1030ELNS1_3gpuE2ELNS1_3repE0EEENS1_30default_config_static_selectorELNS0_4arch9wavefront6targetE0EEEvT1_.has_recursion, 0
	.set _ZN7rocprim17ROCPRIM_400000_NS6detail17trampoline_kernelINS0_14default_configENS1_27scan_by_key_config_selectorIj11FixedVectorIiLj4EEEEZZNS1_16scan_by_key_implILNS1_25lookback_scan_determinismE0ELb0ES3_N6thrust23THRUST_200600_302600_NS6detail15normal_iteratorINSB_10device_ptrIjEEEENSD_INSE_IS6_EEEESI_S6_NSB_4plusIvEENSB_8equal_toIvEES6_EE10hipError_tPvRmT2_T3_T4_T5_mT6_T7_P12ihipStream_tbENKUlT_T0_E_clISt17integral_constantIbLb1EES12_IbLb0EEEEDaSY_SZ_EUlSY_E_NS1_11comp_targetILNS1_3genE8ELNS1_11target_archE1030ELNS1_3gpuE2ELNS1_3repE0EEENS1_30default_config_static_selectorELNS0_4arch9wavefront6targetE0EEEvT1_.has_indirect_call, 0
	.section	.AMDGPU.csdata,"",@progbits
; Kernel info:
; codeLenInByte = 0
; TotalNumSgprs: 0
; NumVgprs: 0
; ScratchSize: 0
; MemoryBound: 0
; FloatMode: 240
; IeeeMode: 1
; LDSByteSize: 0 bytes/workgroup (compile time only)
; SGPRBlocks: 0
; VGPRBlocks: 0
; NumSGPRsForWavesPerEU: 1
; NumVGPRsForWavesPerEU: 1
; NamedBarCnt: 0
; Occupancy: 16
; WaveLimiterHint : 0
; COMPUTE_PGM_RSRC2:SCRATCH_EN: 0
; COMPUTE_PGM_RSRC2:USER_SGPR: 2
; COMPUTE_PGM_RSRC2:TRAP_HANDLER: 0
; COMPUTE_PGM_RSRC2:TGID_X_EN: 1
; COMPUTE_PGM_RSRC2:TGID_Y_EN: 0
; COMPUTE_PGM_RSRC2:TGID_Z_EN: 0
; COMPUTE_PGM_RSRC2:TIDIG_COMP_CNT: 0
	.section	.text._ZN7rocprim17ROCPRIM_400000_NS6detail30init_device_scan_by_key_kernelINS1_19lookback_scan_stateINS0_5tupleIJ11FixedVectorIiLj4EEbEEELb0ELb0EEEN6thrust23THRUST_200600_302600_NS6detail15normal_iteratorINSA_10device_ptrIjEEEEjNS1_16block_id_wrapperIjLb1EEEEEvT_jjPNSI_10value_typeET0_PNSt15iterator_traitsISL_E10value_typeEmT1_T2_,"axG",@progbits,_ZN7rocprim17ROCPRIM_400000_NS6detail30init_device_scan_by_key_kernelINS1_19lookback_scan_stateINS0_5tupleIJ11FixedVectorIiLj4EEbEEELb0ELb0EEEN6thrust23THRUST_200600_302600_NS6detail15normal_iteratorINSA_10device_ptrIjEEEEjNS1_16block_id_wrapperIjLb1EEEEEvT_jjPNSI_10value_typeET0_PNSt15iterator_traitsISL_E10value_typeEmT1_T2_,comdat
	.protected	_ZN7rocprim17ROCPRIM_400000_NS6detail30init_device_scan_by_key_kernelINS1_19lookback_scan_stateINS0_5tupleIJ11FixedVectorIiLj4EEbEEELb0ELb0EEEN6thrust23THRUST_200600_302600_NS6detail15normal_iteratorINSA_10device_ptrIjEEEEjNS1_16block_id_wrapperIjLb1EEEEEvT_jjPNSI_10value_typeET0_PNSt15iterator_traitsISL_E10value_typeEmT1_T2_ ; -- Begin function _ZN7rocprim17ROCPRIM_400000_NS6detail30init_device_scan_by_key_kernelINS1_19lookback_scan_stateINS0_5tupleIJ11FixedVectorIiLj4EEbEEELb0ELb0EEEN6thrust23THRUST_200600_302600_NS6detail15normal_iteratorINSA_10device_ptrIjEEEEjNS1_16block_id_wrapperIjLb1EEEEEvT_jjPNSI_10value_typeET0_PNSt15iterator_traitsISL_E10value_typeEmT1_T2_
	.globl	_ZN7rocprim17ROCPRIM_400000_NS6detail30init_device_scan_by_key_kernelINS1_19lookback_scan_stateINS0_5tupleIJ11FixedVectorIiLj4EEbEEELb0ELb0EEEN6thrust23THRUST_200600_302600_NS6detail15normal_iteratorINSA_10device_ptrIjEEEEjNS1_16block_id_wrapperIjLb1EEEEEvT_jjPNSI_10value_typeET0_PNSt15iterator_traitsISL_E10value_typeEmT1_T2_
	.p2align	8
	.type	_ZN7rocprim17ROCPRIM_400000_NS6detail30init_device_scan_by_key_kernelINS1_19lookback_scan_stateINS0_5tupleIJ11FixedVectorIiLj4EEbEEELb0ELb0EEEN6thrust23THRUST_200600_302600_NS6detail15normal_iteratorINSA_10device_ptrIjEEEEjNS1_16block_id_wrapperIjLb1EEEEEvT_jjPNSI_10value_typeET0_PNSt15iterator_traitsISL_E10value_typeEmT1_T2_,@function
_ZN7rocprim17ROCPRIM_400000_NS6detail30init_device_scan_by_key_kernelINS1_19lookback_scan_stateINS0_5tupleIJ11FixedVectorIiLj4EEbEEELb0ELb0EEEN6thrust23THRUST_200600_302600_NS6detail15normal_iteratorINSA_10device_ptrIjEEEEjNS1_16block_id_wrapperIjLb1EEEEEvT_jjPNSI_10value_typeET0_PNSt15iterator_traitsISL_E10value_typeEmT1_T2_: ; @_ZN7rocprim17ROCPRIM_400000_NS6detail30init_device_scan_by_key_kernelINS1_19lookback_scan_stateINS0_5tupleIJ11FixedVectorIiLj4EEbEEELb0ELb0EEEN6thrust23THRUST_200600_302600_NS6detail15normal_iteratorINSA_10device_ptrIjEEEEjNS1_16block_id_wrapperIjLb1EEEEEvT_jjPNSI_10value_typeET0_PNSt15iterator_traitsISL_E10value_typeEmT1_T2_
; %bb.0:
	s_clause 0x1
	s_load_b32 s12, s[2:3], 0x5c
	s_load_b32 s18, s[2:3], 0x50
	s_bfe_u32 s13, ttmp6, 0x4000c
	s_load_b256 s[4:11], s[2:3], 0x10
	s_add_co_i32 s13, s13, 1
	s_and_b32 s14, ttmp6, 15
	s_mul_i32 s13, ttmp9, s13
	s_getreg_b32 s15, hwreg(HW_REG_IB_STS2, 6, 4)
	v_and_b32_e32 v1, 0x3ff, v0
	s_add_co_i32 s14, s14, s13
	s_wait_kmcnt 0x0
	s_and_b32 s19, s12, 0xffff
	s_cmp_eq_u32 s15, 0
	s_cselect_b32 s12, ttmp9, s14
	s_cmp_eq_u64 s[8:9], 0
	v_mad_u32 v2, s12, s19, v1
	s_cbranch_scc1 .LBB2064_9
; %bb.1:
	s_cmp_lt_u32 s7, s6
	s_mov_b32 s20, exec_lo
	s_cselect_b32 s12, s7, 0
	s_delay_alu instid0(VALU_DEP_1) | instid1(SALU_CYCLE_1)
	v_cmpx_eq_u32_e64 s12, v2
	s_cbranch_execz .LBB2064_8
; %bb.2:
	s_load_b64 s[12:13], s[0:1], 0x4
	v_bfe_u32 v3, v0, 10, 10
	v_bfe_u32 v0, v0, 20, 10
	s_wait_kmcnt 0x0
	s_lshr_b32 s0, s12, 16
	s_delay_alu instid0(VALU_DEP_2) | instskip(SKIP_4) | instid1(VALU_DEP_1)
	v_mul_u32_u24_e32 v3, s13, v3
	s_mul_i32 s0, s0, s13
	s_load_b128 s[12:15], s[2:3], 0x0
	v_mul_lo_u32 v1, s0, v1
	s_mov_b32 s0, 0
	v_add3_u32 v0, v1, v3, v0
	v_mov_b32_e32 v1, 0
	s_delay_alu instid0(VALU_DEP_2)
	v_mul_lo_u32 v0, v0, 20
	ds_store_2addr_b32 v0, v1, v1 offset0:2 offset1:3
	ds_store_2addr_b32 v0, v1, v1 offset1:1
	ds_store_b32 v0, v1 offset:16
.LBB2064_3:                             ; =>This Inner Loop Header: Depth=1
	v_add_nc_u32_e32 v3, s0, v0
	s_add_co_i32 s0, s0, 8
	s_delay_alu instid0(SALU_CYCLE_1)
	s_cmp_lg_u32 s0, 16
	ds_store_2addr_b32 v3, v1, v1 offset1:1
	s_cbranch_scc1 .LBB2064_3
; %bb.4:
	s_add_co_i32 s0, s7, 32
	s_delay_alu instid0(SALU_CYCLE_1)
	v_dual_mov_b32 v1, 0 :: v_dual_mov_b32 v3, s0
	s_mov_b32 s1, 0
	ds_store_b8 v0, v1 offset:16
	global_load_u8 v3, v3, s[4:5] scope:SCOPE_DEV
	s_wait_loadcnt 0x0
	v_and_b32_e32 v4, 0xffff, v3
	v_readfirstlane_b32 s7, v3
	s_delay_alu instid0(VALU_DEP_2)
	v_cmp_ne_u32_e32 vcc_lo, 0, v4
	s_cbranch_vccnz .LBB2064_7
; %bb.5:
	s_add_nc_u64 s[16:17], s[4:5], s[0:1]
.LBB2064_6:                             ; =>This Inner Loop Header: Depth=1
	global_load_u8 v3, v1, s[16:17] scope:SCOPE_DEV
	s_wait_loadcnt 0x0
	v_and_b32_e32 v4, 0xffff, v3
	v_readfirstlane_b32 s7, v3
	s_delay_alu instid0(VALU_DEP_2)
	v_cmp_eq_u32_e32 vcc_lo, 0, v4
	s_cbranch_vccnz .LBB2064_6
.LBB2064_7:
	s_and_b32 s7, 0xffff, s7
	v_mov_b32_e32 v1, 0
	s_cmp_eq_u32 s7, 1
	s_mul_u64 s[0:1], s[0:1], 20
	s_wait_kmcnt 0x0
	s_cselect_b32 s13, s13, s15
	s_cselect_b32 s12, s12, s14
	global_wb scope:SCOPE_DEV
	s_wait_storecnt_dscnt 0x0
	global_inv scope:SCOPE_DEV
	s_add_nc_u64 s[0:1], s[12:13], s[0:1]
	s_clause 0x1
	global_load_b128 v[4:7], v1, s[0:1]
	global_load_u8 v3, v1, s[0:1] offset:16
	s_wait_loadcnt 0x1
	ds_store_2addr_b32 v0, v4, v5 offset1:1
	ds_store_2addr_b32 v0, v6, v7 offset0:2 offset1:3
	global_store_b128 v1, v[4:7], s[8:9]
	s_wait_loadcnt 0x0
	global_store_b8 v1, v3, s[8:9] offset:16
.LBB2064_8:
	s_wait_xcnt 0x0
	s_or_b32 exec_lo, exec_lo, s20
.LBB2064_9:
	s_delay_alu instid0(SALU_CYCLE_1) | instskip(NEXT) | instid1(VALU_DEP_1)
	s_mov_b32 s0, exec_lo
	v_cmpx_eq_u32_e32 0, v2
	s_cbranch_execz .LBB2064_11
; %bb.10:
	s_load_b64 s[8:9], s[2:3], 0x48
	v_mov_b32_e32 v0, 0
	s_wait_kmcnt 0x0
	global_store_b32 v0, v0, s[8:9]
.LBB2064_11:
	s_wait_xcnt 0x0
	s_or_b32 exec_lo, exec_lo, s0
	s_delay_alu instid0(SALU_CYCLE_1)
	s_mov_b32 s0, exec_lo
	v_cmpx_gt_u32_e64 s6, v2
	s_cbranch_execz .LBB2064_13
; %bb.12:
	v_dual_mov_b32 v1, 0 :: v_dual_add_nc_u32 v0, 32, v2
	global_store_b8 v0, v1, s[4:5]
.LBB2064_13:
	s_wait_xcnt 0x0
	s_or_b32 exec_lo, exec_lo, s0
	v_mov_b32_e32 v3, 0
	s_mov_b32 s0, exec_lo
	v_cmpx_gt_u32_e32 32, v2
	s_cbranch_execz .LBB2064_15
; %bb.14:
	s_delay_alu instid0(VALU_DEP_2)
	v_add_nc_u64_e32 v[0:1], s[4:5], v[2:3]
	v_mov_b32_e32 v4, 0xff
	global_store_b8 v[0:1], v4, off
.LBB2064_15:
	s_wait_xcnt 0x0
	s_or_b32 exec_lo, exec_lo, s0
	s_load_b64 s[0:1], s[2:3], 0x38
	s_mov_b32 s4, exec_lo
	s_wait_kmcnt 0x0
	v_cmpx_gt_u64_e64 s[0:1], v[2:3]
	s_cbranch_execz .LBB2064_18
; %bb.16:
	s_clause 0x1
	s_load_b32 s4, s[2:3], 0x40
	s_load_b64 s[6:7], s[2:3], 0x30
	s_mov_b32 s5, 0
	s_wait_xcnt 0x0
	s_mul_i32 s2, s18, s19
	s_mov_b32 s9, s5
	s_mov_b32 s3, s5
	s_wait_kmcnt 0x0
	v_mul_u64_e32 v[0:1], s[4:5], v[2:3]
	s_add_co_i32 s8, s4, -1
	v_lshl_add_u64 v[4:5], v[2:3], 2, s[6:7]
	s_lshl_b64 s[8:9], s[8:9], 2
	s_delay_alu instid0(SALU_CYCLE_1) | instskip(SKIP_1) | instid1(SALU_CYCLE_1)
	s_add_nc_u64 s[8:9], s[10:11], s[8:9]
	s_mul_u64 s[10:11], s[4:5], s[2:3]
	s_lshl_b64 s[6:7], s[10:11], 2
	s_delay_alu instid0(VALU_DEP_2)
	v_lshl_add_u64 v[0:1], v[0:1], 2, s[8:9]
	s_lshl_b64 s[8:9], s[2:3], 2
.LBB2064_17:                            ; =>This Inner Loop Header: Depth=1
	global_load_b32 v6, v[0:1], off
	v_add_nc_u64_e32 v[2:3], s[2:3], v[2:3]
	s_wait_xcnt 0x0
	v_add_nc_u64_e32 v[0:1], s[6:7], v[0:1]
	s_delay_alu instid0(VALU_DEP_2)
	v_cmp_le_u64_e32 vcc_lo, s[0:1], v[2:3]
	s_or_b32 s5, vcc_lo, s5
	s_wait_loadcnt 0x0
	global_store_b32 v[4:5], v6, off
	s_wait_xcnt 0x0
	v_add_nc_u64_e32 v[4:5], s[8:9], v[4:5]
	s_and_not1_b32 exec_lo, exec_lo, s5
	s_cbranch_execnz .LBB2064_17
.LBB2064_18:
	s_endpgm
	.section	.rodata,"a",@progbits
	.p2align	6, 0x0
	.amdhsa_kernel _ZN7rocprim17ROCPRIM_400000_NS6detail30init_device_scan_by_key_kernelINS1_19lookback_scan_stateINS0_5tupleIJ11FixedVectorIiLj4EEbEEELb0ELb0EEEN6thrust23THRUST_200600_302600_NS6detail15normal_iteratorINSA_10device_ptrIjEEEEjNS1_16block_id_wrapperIjLb1EEEEEvT_jjPNSI_10value_typeET0_PNSt15iterator_traitsISL_E10value_typeEmT1_T2_
		.amdhsa_group_segment_fixed_size 5120
		.amdhsa_private_segment_fixed_size 0
		.amdhsa_kernarg_size 336
		.amdhsa_user_sgpr_count 4
		.amdhsa_user_sgpr_dispatch_ptr 1
		.amdhsa_user_sgpr_queue_ptr 0
		.amdhsa_user_sgpr_kernarg_segment_ptr 1
		.amdhsa_user_sgpr_dispatch_id 0
		.amdhsa_user_sgpr_kernarg_preload_length 0
		.amdhsa_user_sgpr_kernarg_preload_offset 0
		.amdhsa_user_sgpr_private_segment_size 0
		.amdhsa_wavefront_size32 1
		.amdhsa_uses_dynamic_stack 0
		.amdhsa_enable_private_segment 0
		.amdhsa_system_sgpr_workgroup_id_x 1
		.amdhsa_system_sgpr_workgroup_id_y 0
		.amdhsa_system_sgpr_workgroup_id_z 0
		.amdhsa_system_sgpr_workgroup_info 0
		.amdhsa_system_vgpr_workitem_id 2
		.amdhsa_next_free_vgpr 8
		.amdhsa_next_free_sgpr 21
		.amdhsa_named_barrier_count 0
		.amdhsa_reserve_vcc 1
		.amdhsa_float_round_mode_32 0
		.amdhsa_float_round_mode_16_64 0
		.amdhsa_float_denorm_mode_32 3
		.amdhsa_float_denorm_mode_16_64 3
		.amdhsa_fp16_overflow 0
		.amdhsa_memory_ordered 1
		.amdhsa_forward_progress 1
		.amdhsa_inst_pref_size 7
		.amdhsa_round_robin_scheduling 0
		.amdhsa_exception_fp_ieee_invalid_op 0
		.amdhsa_exception_fp_denorm_src 0
		.amdhsa_exception_fp_ieee_div_zero 0
		.amdhsa_exception_fp_ieee_overflow 0
		.amdhsa_exception_fp_ieee_underflow 0
		.amdhsa_exception_fp_ieee_inexact 0
		.amdhsa_exception_int_div_zero 0
	.end_amdhsa_kernel
	.section	.text._ZN7rocprim17ROCPRIM_400000_NS6detail30init_device_scan_by_key_kernelINS1_19lookback_scan_stateINS0_5tupleIJ11FixedVectorIiLj4EEbEEELb0ELb0EEEN6thrust23THRUST_200600_302600_NS6detail15normal_iteratorINSA_10device_ptrIjEEEEjNS1_16block_id_wrapperIjLb1EEEEEvT_jjPNSI_10value_typeET0_PNSt15iterator_traitsISL_E10value_typeEmT1_T2_,"axG",@progbits,_ZN7rocprim17ROCPRIM_400000_NS6detail30init_device_scan_by_key_kernelINS1_19lookback_scan_stateINS0_5tupleIJ11FixedVectorIiLj4EEbEEELb0ELb0EEEN6thrust23THRUST_200600_302600_NS6detail15normal_iteratorINSA_10device_ptrIjEEEEjNS1_16block_id_wrapperIjLb1EEEEEvT_jjPNSI_10value_typeET0_PNSt15iterator_traitsISL_E10value_typeEmT1_T2_,comdat
.Lfunc_end2064:
	.size	_ZN7rocprim17ROCPRIM_400000_NS6detail30init_device_scan_by_key_kernelINS1_19lookback_scan_stateINS0_5tupleIJ11FixedVectorIiLj4EEbEEELb0ELb0EEEN6thrust23THRUST_200600_302600_NS6detail15normal_iteratorINSA_10device_ptrIjEEEEjNS1_16block_id_wrapperIjLb1EEEEEvT_jjPNSI_10value_typeET0_PNSt15iterator_traitsISL_E10value_typeEmT1_T2_, .Lfunc_end2064-_ZN7rocprim17ROCPRIM_400000_NS6detail30init_device_scan_by_key_kernelINS1_19lookback_scan_stateINS0_5tupleIJ11FixedVectorIiLj4EEbEEELb0ELb0EEEN6thrust23THRUST_200600_302600_NS6detail15normal_iteratorINSA_10device_ptrIjEEEEjNS1_16block_id_wrapperIjLb1EEEEEvT_jjPNSI_10value_typeET0_PNSt15iterator_traitsISL_E10value_typeEmT1_T2_
                                        ; -- End function
	.set _ZN7rocprim17ROCPRIM_400000_NS6detail30init_device_scan_by_key_kernelINS1_19lookback_scan_stateINS0_5tupleIJ11FixedVectorIiLj4EEbEEELb0ELb0EEEN6thrust23THRUST_200600_302600_NS6detail15normal_iteratorINSA_10device_ptrIjEEEEjNS1_16block_id_wrapperIjLb1EEEEEvT_jjPNSI_10value_typeET0_PNSt15iterator_traitsISL_E10value_typeEmT1_T2_.num_vgpr, 8
	.set _ZN7rocprim17ROCPRIM_400000_NS6detail30init_device_scan_by_key_kernelINS1_19lookback_scan_stateINS0_5tupleIJ11FixedVectorIiLj4EEbEEELb0ELb0EEEN6thrust23THRUST_200600_302600_NS6detail15normal_iteratorINSA_10device_ptrIjEEEEjNS1_16block_id_wrapperIjLb1EEEEEvT_jjPNSI_10value_typeET0_PNSt15iterator_traitsISL_E10value_typeEmT1_T2_.num_agpr, 0
	.set _ZN7rocprim17ROCPRIM_400000_NS6detail30init_device_scan_by_key_kernelINS1_19lookback_scan_stateINS0_5tupleIJ11FixedVectorIiLj4EEbEEELb0ELb0EEEN6thrust23THRUST_200600_302600_NS6detail15normal_iteratorINSA_10device_ptrIjEEEEjNS1_16block_id_wrapperIjLb1EEEEEvT_jjPNSI_10value_typeET0_PNSt15iterator_traitsISL_E10value_typeEmT1_T2_.numbered_sgpr, 21
	.set _ZN7rocprim17ROCPRIM_400000_NS6detail30init_device_scan_by_key_kernelINS1_19lookback_scan_stateINS0_5tupleIJ11FixedVectorIiLj4EEbEEELb0ELb0EEEN6thrust23THRUST_200600_302600_NS6detail15normal_iteratorINSA_10device_ptrIjEEEEjNS1_16block_id_wrapperIjLb1EEEEEvT_jjPNSI_10value_typeET0_PNSt15iterator_traitsISL_E10value_typeEmT1_T2_.num_named_barrier, 0
	.set _ZN7rocprim17ROCPRIM_400000_NS6detail30init_device_scan_by_key_kernelINS1_19lookback_scan_stateINS0_5tupleIJ11FixedVectorIiLj4EEbEEELb0ELb0EEEN6thrust23THRUST_200600_302600_NS6detail15normal_iteratorINSA_10device_ptrIjEEEEjNS1_16block_id_wrapperIjLb1EEEEEvT_jjPNSI_10value_typeET0_PNSt15iterator_traitsISL_E10value_typeEmT1_T2_.private_seg_size, 0
	.set _ZN7rocprim17ROCPRIM_400000_NS6detail30init_device_scan_by_key_kernelINS1_19lookback_scan_stateINS0_5tupleIJ11FixedVectorIiLj4EEbEEELb0ELb0EEEN6thrust23THRUST_200600_302600_NS6detail15normal_iteratorINSA_10device_ptrIjEEEEjNS1_16block_id_wrapperIjLb1EEEEEvT_jjPNSI_10value_typeET0_PNSt15iterator_traitsISL_E10value_typeEmT1_T2_.uses_vcc, 1
	.set _ZN7rocprim17ROCPRIM_400000_NS6detail30init_device_scan_by_key_kernelINS1_19lookback_scan_stateINS0_5tupleIJ11FixedVectorIiLj4EEbEEELb0ELb0EEEN6thrust23THRUST_200600_302600_NS6detail15normal_iteratorINSA_10device_ptrIjEEEEjNS1_16block_id_wrapperIjLb1EEEEEvT_jjPNSI_10value_typeET0_PNSt15iterator_traitsISL_E10value_typeEmT1_T2_.uses_flat_scratch, 0
	.set _ZN7rocprim17ROCPRIM_400000_NS6detail30init_device_scan_by_key_kernelINS1_19lookback_scan_stateINS0_5tupleIJ11FixedVectorIiLj4EEbEEELb0ELb0EEEN6thrust23THRUST_200600_302600_NS6detail15normal_iteratorINSA_10device_ptrIjEEEEjNS1_16block_id_wrapperIjLb1EEEEEvT_jjPNSI_10value_typeET0_PNSt15iterator_traitsISL_E10value_typeEmT1_T2_.has_dyn_sized_stack, 0
	.set _ZN7rocprim17ROCPRIM_400000_NS6detail30init_device_scan_by_key_kernelINS1_19lookback_scan_stateINS0_5tupleIJ11FixedVectorIiLj4EEbEEELb0ELb0EEEN6thrust23THRUST_200600_302600_NS6detail15normal_iteratorINSA_10device_ptrIjEEEEjNS1_16block_id_wrapperIjLb1EEEEEvT_jjPNSI_10value_typeET0_PNSt15iterator_traitsISL_E10value_typeEmT1_T2_.has_recursion, 0
	.set _ZN7rocprim17ROCPRIM_400000_NS6detail30init_device_scan_by_key_kernelINS1_19lookback_scan_stateINS0_5tupleIJ11FixedVectorIiLj4EEbEEELb0ELb0EEEN6thrust23THRUST_200600_302600_NS6detail15normal_iteratorINSA_10device_ptrIjEEEEjNS1_16block_id_wrapperIjLb1EEEEEvT_jjPNSI_10value_typeET0_PNSt15iterator_traitsISL_E10value_typeEmT1_T2_.has_indirect_call, 0
	.section	.AMDGPU.csdata,"",@progbits
; Kernel info:
; codeLenInByte = 880
; TotalNumSgprs: 23
; NumVgprs: 8
; ScratchSize: 0
; MemoryBound: 0
; FloatMode: 240
; IeeeMode: 1
; LDSByteSize: 5120 bytes/workgroup (compile time only)
; SGPRBlocks: 0
; VGPRBlocks: 0
; NumSGPRsForWavesPerEU: 23
; NumVGPRsForWavesPerEU: 8
; NamedBarCnt: 0
; Occupancy: 16
; WaveLimiterHint : 0
; COMPUTE_PGM_RSRC2:SCRATCH_EN: 0
; COMPUTE_PGM_RSRC2:USER_SGPR: 4
; COMPUTE_PGM_RSRC2:TRAP_HANDLER: 0
; COMPUTE_PGM_RSRC2:TGID_X_EN: 1
; COMPUTE_PGM_RSRC2:TGID_Y_EN: 0
; COMPUTE_PGM_RSRC2:TGID_Z_EN: 0
; COMPUTE_PGM_RSRC2:TIDIG_COMP_CNT: 2
	.section	.text._ZN7rocprim17ROCPRIM_400000_NS6detail30init_device_scan_by_key_kernelINS1_19lookback_scan_stateINS0_5tupleIJ11FixedVectorIiLj4EEbEEELb0ELb0EEENS1_16block_id_wrapperIjLb1EEEEEvT_jjPNSB_10value_typeET0_,"axG",@progbits,_ZN7rocprim17ROCPRIM_400000_NS6detail30init_device_scan_by_key_kernelINS1_19lookback_scan_stateINS0_5tupleIJ11FixedVectorIiLj4EEbEEELb0ELb0EEENS1_16block_id_wrapperIjLb1EEEEEvT_jjPNSB_10value_typeET0_,comdat
	.protected	_ZN7rocprim17ROCPRIM_400000_NS6detail30init_device_scan_by_key_kernelINS1_19lookback_scan_stateINS0_5tupleIJ11FixedVectorIiLj4EEbEEELb0ELb0EEENS1_16block_id_wrapperIjLb1EEEEEvT_jjPNSB_10value_typeET0_ ; -- Begin function _ZN7rocprim17ROCPRIM_400000_NS6detail30init_device_scan_by_key_kernelINS1_19lookback_scan_stateINS0_5tupleIJ11FixedVectorIiLj4EEbEEELb0ELb0EEENS1_16block_id_wrapperIjLb1EEEEEvT_jjPNSB_10value_typeET0_
	.globl	_ZN7rocprim17ROCPRIM_400000_NS6detail30init_device_scan_by_key_kernelINS1_19lookback_scan_stateINS0_5tupleIJ11FixedVectorIiLj4EEbEEELb0ELb0EEENS1_16block_id_wrapperIjLb1EEEEEvT_jjPNSB_10value_typeET0_
	.p2align	8
	.type	_ZN7rocprim17ROCPRIM_400000_NS6detail30init_device_scan_by_key_kernelINS1_19lookback_scan_stateINS0_5tupleIJ11FixedVectorIiLj4EEbEEELb0ELb0EEENS1_16block_id_wrapperIjLb1EEEEEvT_jjPNSB_10value_typeET0_,@function
_ZN7rocprim17ROCPRIM_400000_NS6detail30init_device_scan_by_key_kernelINS1_19lookback_scan_stateINS0_5tupleIJ11FixedVectorIiLj4EEbEEELb0ELb0EEENS1_16block_id_wrapperIjLb1EEEEEvT_jjPNSB_10value_typeET0_: ; @_ZN7rocprim17ROCPRIM_400000_NS6detail30init_device_scan_by_key_kernelINS1_19lookback_scan_stateINS0_5tupleIJ11FixedVectorIiLj4EEbEEELb0ELb0EEENS1_16block_id_wrapperIjLb1EEEEEvT_jjPNSB_10value_typeET0_
; %bb.0:
	s_load_b32 s12, s[2:3], 0x3c
	s_bfe_u32 s13, ttmp6, 0x4000c
	s_load_b256 s[4:11], s[2:3], 0x10
	s_add_co_i32 s13, s13, 1
	s_and_b32 s14, ttmp6, 15
	s_mul_i32 s13, ttmp9, s13
	s_getreg_b32 s15, hwreg(HW_REG_IB_STS2, 6, 4)
	v_and_b32_e32 v2, 0x3ff, v0
	s_add_co_i32 s14, s14, s13
	s_wait_kmcnt 0x0
	s_and_b32 s12, s12, 0xffff
	s_cmp_eq_u32 s15, 0
	s_cselect_b32 s13, ttmp9, s14
	s_cmp_eq_u64 s[8:9], 0
	v_mad_u32 v1, s13, s12, v2
	s_cbranch_scc1 .LBB2065_9
; %bb.1:
	s_cmp_lt_u32 s7, s6
	s_mov_b32 s16, exec_lo
	s_cselect_b32 s12, s7, 0
	s_delay_alu instid0(VALU_DEP_1) | instid1(SALU_CYCLE_1)
	v_cmpx_eq_u32_e64 s12, v1
	s_cbranch_execz .LBB2065_8
; %bb.2:
	s_load_b64 s[12:13], s[0:1], 0x4
	v_bfe_u32 v3, v0, 10, 10
	v_bfe_u32 v0, v0, 20, 10
	s_wait_kmcnt 0x0
	s_lshr_b32 s0, s12, 16
	s_delay_alu instid0(VALU_DEP_2) | instskip(SKIP_4) | instid1(VALU_DEP_1)
	v_mul_u32_u24_e32 v3, s13, v3
	s_mul_i32 s0, s0, s13
	s_load_b128 s[12:15], s[2:3], 0x0
	v_mul_lo_u32 v2, s0, v2
	s_mov_b32 s0, 0
	v_add3_u32 v0, v2, v3, v0
	v_mov_b32_e32 v2, 0
	s_delay_alu instid0(VALU_DEP_2)
	v_mul_lo_u32 v0, v0, 20
	ds_store_2addr_b32 v0, v2, v2 offset0:2 offset1:3
	ds_store_2addr_b32 v0, v2, v2 offset1:1
	ds_store_b32 v0, v2 offset:16
.LBB2065_3:                             ; =>This Inner Loop Header: Depth=1
	v_add_nc_u32_e32 v3, s0, v0
	s_add_co_i32 s0, s0, 8
	s_delay_alu instid0(SALU_CYCLE_1)
	s_cmp_lg_u32 s0, 16
	ds_store_2addr_b32 v3, v2, v2 offset1:1
	s_cbranch_scc1 .LBB2065_3
; %bb.4:
	s_add_co_i32 s0, s7, 32
	s_delay_alu instid0(SALU_CYCLE_1)
	v_dual_mov_b32 v2, 0 :: v_dual_mov_b32 v3, s0
	s_mov_b32 s1, 0
	ds_store_b8 v0, v2 offset:16
	global_load_u8 v3, v3, s[4:5] scope:SCOPE_DEV
	s_wait_loadcnt 0x0
	v_and_b32_e32 v4, 0xffff, v3
	v_readfirstlane_b32 s7, v3
	s_delay_alu instid0(VALU_DEP_2)
	v_cmp_ne_u32_e32 vcc_lo, 0, v4
	s_cbranch_vccnz .LBB2065_7
; %bb.5:
	s_add_nc_u64 s[2:3], s[4:5], s[0:1]
.LBB2065_6:                             ; =>This Inner Loop Header: Depth=1
	global_load_u8 v3, v2, s[2:3] scope:SCOPE_DEV
	s_wait_loadcnt 0x0
	v_and_b32_e32 v4, 0xffff, v3
	v_readfirstlane_b32 s7, v3
	s_delay_alu instid0(VALU_DEP_2)
	v_cmp_eq_u32_e32 vcc_lo, 0, v4
	s_cbranch_vccnz .LBB2065_6
.LBB2065_7:
	s_and_b32 s2, 0xffff, s7
	v_mov_b32_e32 v6, 0
	s_cmp_eq_u32 s2, 1
	s_mul_u64 s[0:1], s[0:1], 20
	s_wait_kmcnt 0x0
	s_cselect_b32 s3, s13, s15
	s_cselect_b32 s2, s12, s14
	global_wb scope:SCOPE_DEV
	s_wait_storecnt_dscnt 0x0
	global_inv scope:SCOPE_DEV
	s_add_nc_u64 s[0:1], s[2:3], s[0:1]
	s_clause 0x1
	global_load_b128 v[2:5], v6, s[0:1]
	global_load_u8 v7, v6, s[0:1] offset:16
	s_wait_loadcnt 0x1
	ds_store_2addr_b32 v0, v2, v3 offset1:1
	ds_store_2addr_b32 v0, v4, v5 offset0:2 offset1:3
	global_store_b128 v6, v[2:5], s[8:9]
	s_wait_loadcnt 0x0
	global_store_b8 v6, v7, s[8:9] offset:16
.LBB2065_8:
	s_wait_xcnt 0x0
	s_or_b32 exec_lo, exec_lo, s16
.LBB2065_9:
	s_delay_alu instid0(SALU_CYCLE_1) | instskip(NEXT) | instid1(VALU_DEP_1)
	s_mov_b32 s0, exec_lo
	v_cmpx_eq_u32_e32 0, v1
	s_cbranch_execz .LBB2065_11
; %bb.10:
	v_mov_b32_e32 v0, 0
	global_store_b32 v0, v0, s[10:11]
.LBB2065_11:
	s_wait_xcnt 0x0
	s_or_b32 exec_lo, exec_lo, s0
	s_delay_alu instid0(SALU_CYCLE_1)
	s_mov_b32 s0, exec_lo
	v_cmpx_gt_u32_e64 s6, v1
	s_cbranch_execz .LBB2065_13
; %bb.12:
	v_dual_add_nc_u32 v0, 32, v1 :: v_dual_mov_b32 v2, 0
	global_store_b8 v0, v2, s[4:5]
.LBB2065_13:
	s_wait_xcnt 0x0
	s_or_b32 exec_lo, exec_lo, s0
	s_delay_alu instid0(SALU_CYCLE_1)
	s_mov_b32 s0, exec_lo
	v_cmpx_gt_u32_e32 32, v1
	s_cbranch_execz .LBB2065_15
; %bb.14:
	v_mov_b32_e32 v0, 0xff
	global_store_b8 v1, v0, s[4:5]
.LBB2065_15:
	s_endpgm
	.section	.rodata,"a",@progbits
	.p2align	6, 0x0
	.amdhsa_kernel _ZN7rocprim17ROCPRIM_400000_NS6detail30init_device_scan_by_key_kernelINS1_19lookback_scan_stateINS0_5tupleIJ11FixedVectorIiLj4EEbEEELb0ELb0EEENS1_16block_id_wrapperIjLb1EEEEEvT_jjPNSB_10value_typeET0_
		.amdhsa_group_segment_fixed_size 5120
		.amdhsa_private_segment_fixed_size 0
		.amdhsa_kernarg_size 304
		.amdhsa_user_sgpr_count 4
		.amdhsa_user_sgpr_dispatch_ptr 1
		.amdhsa_user_sgpr_queue_ptr 0
		.amdhsa_user_sgpr_kernarg_segment_ptr 1
		.amdhsa_user_sgpr_dispatch_id 0
		.amdhsa_user_sgpr_kernarg_preload_length 0
		.amdhsa_user_sgpr_kernarg_preload_offset 0
		.amdhsa_user_sgpr_private_segment_size 0
		.amdhsa_wavefront_size32 1
		.amdhsa_uses_dynamic_stack 0
		.amdhsa_enable_private_segment 0
		.amdhsa_system_sgpr_workgroup_id_x 1
		.amdhsa_system_sgpr_workgroup_id_y 0
		.amdhsa_system_sgpr_workgroup_id_z 0
		.amdhsa_system_sgpr_workgroup_info 0
		.amdhsa_system_vgpr_workitem_id 2
		.amdhsa_next_free_vgpr 8
		.amdhsa_next_free_sgpr 17
		.amdhsa_named_barrier_count 0
		.amdhsa_reserve_vcc 1
		.amdhsa_float_round_mode_32 0
		.amdhsa_float_round_mode_16_64 0
		.amdhsa_float_denorm_mode_32 3
		.amdhsa_float_denorm_mode_16_64 3
		.amdhsa_fp16_overflow 0
		.amdhsa_memory_ordered 1
		.amdhsa_forward_progress 1
		.amdhsa_inst_pref_size 6
		.amdhsa_round_robin_scheduling 0
		.amdhsa_exception_fp_ieee_invalid_op 0
		.amdhsa_exception_fp_denorm_src 0
		.amdhsa_exception_fp_ieee_div_zero 0
		.amdhsa_exception_fp_ieee_overflow 0
		.amdhsa_exception_fp_ieee_underflow 0
		.amdhsa_exception_fp_ieee_inexact 0
		.amdhsa_exception_int_div_zero 0
	.end_amdhsa_kernel
	.section	.text._ZN7rocprim17ROCPRIM_400000_NS6detail30init_device_scan_by_key_kernelINS1_19lookback_scan_stateINS0_5tupleIJ11FixedVectorIiLj4EEbEEELb0ELb0EEENS1_16block_id_wrapperIjLb1EEEEEvT_jjPNSB_10value_typeET0_,"axG",@progbits,_ZN7rocprim17ROCPRIM_400000_NS6detail30init_device_scan_by_key_kernelINS1_19lookback_scan_stateINS0_5tupleIJ11FixedVectorIiLj4EEbEEELb0ELb0EEENS1_16block_id_wrapperIjLb1EEEEEvT_jjPNSB_10value_typeET0_,comdat
.Lfunc_end2065:
	.size	_ZN7rocprim17ROCPRIM_400000_NS6detail30init_device_scan_by_key_kernelINS1_19lookback_scan_stateINS0_5tupleIJ11FixedVectorIiLj4EEbEEELb0ELb0EEENS1_16block_id_wrapperIjLb1EEEEEvT_jjPNSB_10value_typeET0_, .Lfunc_end2065-_ZN7rocprim17ROCPRIM_400000_NS6detail30init_device_scan_by_key_kernelINS1_19lookback_scan_stateINS0_5tupleIJ11FixedVectorIiLj4EEbEEELb0ELb0EEENS1_16block_id_wrapperIjLb1EEEEEvT_jjPNSB_10value_typeET0_
                                        ; -- End function
	.set _ZN7rocprim17ROCPRIM_400000_NS6detail30init_device_scan_by_key_kernelINS1_19lookback_scan_stateINS0_5tupleIJ11FixedVectorIiLj4EEbEEELb0ELb0EEENS1_16block_id_wrapperIjLb1EEEEEvT_jjPNSB_10value_typeET0_.num_vgpr, 8
	.set _ZN7rocprim17ROCPRIM_400000_NS6detail30init_device_scan_by_key_kernelINS1_19lookback_scan_stateINS0_5tupleIJ11FixedVectorIiLj4EEbEEELb0ELb0EEENS1_16block_id_wrapperIjLb1EEEEEvT_jjPNSB_10value_typeET0_.num_agpr, 0
	.set _ZN7rocprim17ROCPRIM_400000_NS6detail30init_device_scan_by_key_kernelINS1_19lookback_scan_stateINS0_5tupleIJ11FixedVectorIiLj4EEbEEELb0ELb0EEENS1_16block_id_wrapperIjLb1EEEEEvT_jjPNSB_10value_typeET0_.numbered_sgpr, 17
	.set _ZN7rocprim17ROCPRIM_400000_NS6detail30init_device_scan_by_key_kernelINS1_19lookback_scan_stateINS0_5tupleIJ11FixedVectorIiLj4EEbEEELb0ELb0EEENS1_16block_id_wrapperIjLb1EEEEEvT_jjPNSB_10value_typeET0_.num_named_barrier, 0
	.set _ZN7rocprim17ROCPRIM_400000_NS6detail30init_device_scan_by_key_kernelINS1_19lookback_scan_stateINS0_5tupleIJ11FixedVectorIiLj4EEbEEELb0ELb0EEENS1_16block_id_wrapperIjLb1EEEEEvT_jjPNSB_10value_typeET0_.private_seg_size, 0
	.set _ZN7rocprim17ROCPRIM_400000_NS6detail30init_device_scan_by_key_kernelINS1_19lookback_scan_stateINS0_5tupleIJ11FixedVectorIiLj4EEbEEELb0ELb0EEENS1_16block_id_wrapperIjLb1EEEEEvT_jjPNSB_10value_typeET0_.uses_vcc, 1
	.set _ZN7rocprim17ROCPRIM_400000_NS6detail30init_device_scan_by_key_kernelINS1_19lookback_scan_stateINS0_5tupleIJ11FixedVectorIiLj4EEbEEELb0ELb0EEENS1_16block_id_wrapperIjLb1EEEEEvT_jjPNSB_10value_typeET0_.uses_flat_scratch, 0
	.set _ZN7rocprim17ROCPRIM_400000_NS6detail30init_device_scan_by_key_kernelINS1_19lookback_scan_stateINS0_5tupleIJ11FixedVectorIiLj4EEbEEELb0ELb0EEENS1_16block_id_wrapperIjLb1EEEEEvT_jjPNSB_10value_typeET0_.has_dyn_sized_stack, 0
	.set _ZN7rocprim17ROCPRIM_400000_NS6detail30init_device_scan_by_key_kernelINS1_19lookback_scan_stateINS0_5tupleIJ11FixedVectorIiLj4EEbEEELb0ELb0EEENS1_16block_id_wrapperIjLb1EEEEEvT_jjPNSB_10value_typeET0_.has_recursion, 0
	.set _ZN7rocprim17ROCPRIM_400000_NS6detail30init_device_scan_by_key_kernelINS1_19lookback_scan_stateINS0_5tupleIJ11FixedVectorIiLj4EEbEEELb0ELb0EEENS1_16block_id_wrapperIjLb1EEEEEvT_jjPNSB_10value_typeET0_.has_indirect_call, 0
	.section	.AMDGPU.csdata,"",@progbits
; Kernel info:
; codeLenInByte = 648
; TotalNumSgprs: 19
; NumVgprs: 8
; ScratchSize: 0
; MemoryBound: 0
; FloatMode: 240
; IeeeMode: 1
; LDSByteSize: 5120 bytes/workgroup (compile time only)
; SGPRBlocks: 0
; VGPRBlocks: 0
; NumSGPRsForWavesPerEU: 19
; NumVGPRsForWavesPerEU: 8
; NamedBarCnt: 0
; Occupancy: 16
; WaveLimiterHint : 0
; COMPUTE_PGM_RSRC2:SCRATCH_EN: 0
; COMPUTE_PGM_RSRC2:USER_SGPR: 4
; COMPUTE_PGM_RSRC2:TRAP_HANDLER: 0
; COMPUTE_PGM_RSRC2:TGID_X_EN: 1
; COMPUTE_PGM_RSRC2:TGID_Y_EN: 0
; COMPUTE_PGM_RSRC2:TGID_Z_EN: 0
; COMPUTE_PGM_RSRC2:TIDIG_COMP_CNT: 2
	.section	.text._ZN7rocprim17ROCPRIM_400000_NS6detail17trampoline_kernelINS0_14default_configENS1_27scan_by_key_config_selectorIj11FixedVectorIiLj4EEEEZZNS1_16scan_by_key_implILNS1_25lookback_scan_determinismE0ELb0ES3_N6thrust23THRUST_200600_302600_NS6detail15normal_iteratorINSB_10device_ptrIjEEEENSD_INSE_IS6_EEEESI_S6_NSB_4plusIvEENSB_8equal_toIvEES6_EE10hipError_tPvRmT2_T3_T4_T5_mT6_T7_P12ihipStream_tbENKUlT_T0_E_clISt17integral_constantIbLb0EES12_IbLb1EEEEDaSY_SZ_EUlSY_E_NS1_11comp_targetILNS1_3genE0ELNS1_11target_archE4294967295ELNS1_3gpuE0ELNS1_3repE0EEENS1_30default_config_static_selectorELNS0_4arch9wavefront6targetE0EEEvT1_,"axG",@progbits,_ZN7rocprim17ROCPRIM_400000_NS6detail17trampoline_kernelINS0_14default_configENS1_27scan_by_key_config_selectorIj11FixedVectorIiLj4EEEEZZNS1_16scan_by_key_implILNS1_25lookback_scan_determinismE0ELb0ES3_N6thrust23THRUST_200600_302600_NS6detail15normal_iteratorINSB_10device_ptrIjEEEENSD_INSE_IS6_EEEESI_S6_NSB_4plusIvEENSB_8equal_toIvEES6_EE10hipError_tPvRmT2_T3_T4_T5_mT6_T7_P12ihipStream_tbENKUlT_T0_E_clISt17integral_constantIbLb0EES12_IbLb1EEEEDaSY_SZ_EUlSY_E_NS1_11comp_targetILNS1_3genE0ELNS1_11target_archE4294967295ELNS1_3gpuE0ELNS1_3repE0EEENS1_30default_config_static_selectorELNS0_4arch9wavefront6targetE0EEEvT1_,comdat
	.protected	_ZN7rocprim17ROCPRIM_400000_NS6detail17trampoline_kernelINS0_14default_configENS1_27scan_by_key_config_selectorIj11FixedVectorIiLj4EEEEZZNS1_16scan_by_key_implILNS1_25lookback_scan_determinismE0ELb0ES3_N6thrust23THRUST_200600_302600_NS6detail15normal_iteratorINSB_10device_ptrIjEEEENSD_INSE_IS6_EEEESI_S6_NSB_4plusIvEENSB_8equal_toIvEES6_EE10hipError_tPvRmT2_T3_T4_T5_mT6_T7_P12ihipStream_tbENKUlT_T0_E_clISt17integral_constantIbLb0EES12_IbLb1EEEEDaSY_SZ_EUlSY_E_NS1_11comp_targetILNS1_3genE0ELNS1_11target_archE4294967295ELNS1_3gpuE0ELNS1_3repE0EEENS1_30default_config_static_selectorELNS0_4arch9wavefront6targetE0EEEvT1_ ; -- Begin function _ZN7rocprim17ROCPRIM_400000_NS6detail17trampoline_kernelINS0_14default_configENS1_27scan_by_key_config_selectorIj11FixedVectorIiLj4EEEEZZNS1_16scan_by_key_implILNS1_25lookback_scan_determinismE0ELb0ES3_N6thrust23THRUST_200600_302600_NS6detail15normal_iteratorINSB_10device_ptrIjEEEENSD_INSE_IS6_EEEESI_S6_NSB_4plusIvEENSB_8equal_toIvEES6_EE10hipError_tPvRmT2_T3_T4_T5_mT6_T7_P12ihipStream_tbENKUlT_T0_E_clISt17integral_constantIbLb0EES12_IbLb1EEEEDaSY_SZ_EUlSY_E_NS1_11comp_targetILNS1_3genE0ELNS1_11target_archE4294967295ELNS1_3gpuE0ELNS1_3repE0EEENS1_30default_config_static_selectorELNS0_4arch9wavefront6targetE0EEEvT1_
	.globl	_ZN7rocprim17ROCPRIM_400000_NS6detail17trampoline_kernelINS0_14default_configENS1_27scan_by_key_config_selectorIj11FixedVectorIiLj4EEEEZZNS1_16scan_by_key_implILNS1_25lookback_scan_determinismE0ELb0ES3_N6thrust23THRUST_200600_302600_NS6detail15normal_iteratorINSB_10device_ptrIjEEEENSD_INSE_IS6_EEEESI_S6_NSB_4plusIvEENSB_8equal_toIvEES6_EE10hipError_tPvRmT2_T3_T4_T5_mT6_T7_P12ihipStream_tbENKUlT_T0_E_clISt17integral_constantIbLb0EES12_IbLb1EEEEDaSY_SZ_EUlSY_E_NS1_11comp_targetILNS1_3genE0ELNS1_11target_archE4294967295ELNS1_3gpuE0ELNS1_3repE0EEENS1_30default_config_static_selectorELNS0_4arch9wavefront6targetE0EEEvT1_
	.p2align	8
	.type	_ZN7rocprim17ROCPRIM_400000_NS6detail17trampoline_kernelINS0_14default_configENS1_27scan_by_key_config_selectorIj11FixedVectorIiLj4EEEEZZNS1_16scan_by_key_implILNS1_25lookback_scan_determinismE0ELb0ES3_N6thrust23THRUST_200600_302600_NS6detail15normal_iteratorINSB_10device_ptrIjEEEENSD_INSE_IS6_EEEESI_S6_NSB_4plusIvEENSB_8equal_toIvEES6_EE10hipError_tPvRmT2_T3_T4_T5_mT6_T7_P12ihipStream_tbENKUlT_T0_E_clISt17integral_constantIbLb0EES12_IbLb1EEEEDaSY_SZ_EUlSY_E_NS1_11comp_targetILNS1_3genE0ELNS1_11target_archE4294967295ELNS1_3gpuE0ELNS1_3repE0EEENS1_30default_config_static_selectorELNS0_4arch9wavefront6targetE0EEEvT1_,@function
_ZN7rocprim17ROCPRIM_400000_NS6detail17trampoline_kernelINS0_14default_configENS1_27scan_by_key_config_selectorIj11FixedVectorIiLj4EEEEZZNS1_16scan_by_key_implILNS1_25lookback_scan_determinismE0ELb0ES3_N6thrust23THRUST_200600_302600_NS6detail15normal_iteratorINSB_10device_ptrIjEEEENSD_INSE_IS6_EEEESI_S6_NSB_4plusIvEENSB_8equal_toIvEES6_EE10hipError_tPvRmT2_T3_T4_T5_mT6_T7_P12ihipStream_tbENKUlT_T0_E_clISt17integral_constantIbLb0EES12_IbLb1EEEEDaSY_SZ_EUlSY_E_NS1_11comp_targetILNS1_3genE0ELNS1_11target_archE4294967295ELNS1_3gpuE0ELNS1_3repE0EEENS1_30default_config_static_selectorELNS0_4arch9wavefront6targetE0EEEvT1_: ; @_ZN7rocprim17ROCPRIM_400000_NS6detail17trampoline_kernelINS0_14default_configENS1_27scan_by_key_config_selectorIj11FixedVectorIiLj4EEEEZZNS1_16scan_by_key_implILNS1_25lookback_scan_determinismE0ELb0ES3_N6thrust23THRUST_200600_302600_NS6detail15normal_iteratorINSB_10device_ptrIjEEEENSD_INSE_IS6_EEEESI_S6_NSB_4plusIvEENSB_8equal_toIvEES6_EE10hipError_tPvRmT2_T3_T4_T5_mT6_T7_P12ihipStream_tbENKUlT_T0_E_clISt17integral_constantIbLb0EES12_IbLb1EEEEDaSY_SZ_EUlSY_E_NS1_11comp_targetILNS1_3genE0ELNS1_11target_archE4294967295ELNS1_3gpuE0ELNS1_3repE0EEENS1_30default_config_static_selectorELNS0_4arch9wavefront6targetE0EEEvT1_
; %bb.0:
	s_clause 0x1
	s_load_b256 s[16:23], s[2:3], 0x38
	s_load_b64 s[36:37], s[2:3], 0x58
	v_and_b32_e32 v10, 0x3ff, v0
	s_delay_alu instid0(VALU_DEP_1)
	v_cmp_ne_u32_e64 s5, 0, v10
	v_cmp_eq_u32_e64 s4, 0, v10
	s_and_saveexec_b32 s6, s4
	s_cbranch_execz .LBB2066_4
; %bb.1:
	s_mov_b32 s8, exec_lo
	s_mov_b32 s7, exec_lo
	v_mbcnt_lo_u32_b32 v1, s8, 0
                                        ; implicit-def: $vgpr2
	s_delay_alu instid0(VALU_DEP_1)
	v_cmpx_eq_u32_e32 0, v1
	s_cbranch_execz .LBB2066_3
; %bb.2:
	s_load_b64 s[10:11], s[2:3], 0x88
	s_bcnt1_i32_b32 s8, s8
	s_delay_alu instid0(SALU_CYCLE_1)
	v_dual_mov_b32 v2, 0 :: v_dual_mov_b32 v3, s8
	s_wait_xcnt 0x0
	s_wait_kmcnt 0x0
	global_atomic_add_u32 v2, v2, v3, s[10:11] th:TH_ATOMIC_RETURN scope:SCOPE_DEV
.LBB2066_3:
	s_wait_xcnt 0x0
	s_or_b32 exec_lo, exec_lo, s7
	s_wait_loadcnt 0x0
	v_readfirstlane_b32 s7, v2
	s_delay_alu instid0(VALU_DEP_1)
	v_dual_mov_b32 v2, 0 :: v_dual_add_nc_u32 v1, s7, v1
	ds_store_b32 v2, v1
.LBB2066_4:
	s_or_b32 exec_lo, exec_lo, s6
	v_mov_b32_e32 v4, 0
	s_clause 0x2
	s_load_b256 s[8:15], s[2:3], 0x0
	s_load_b32 s6, s[2:3], 0x60
	s_load_b256 s[24:31], s[2:3], 0x68
	s_wait_dscnt 0x0
	s_barrier_signal -1
	s_barrier_wait -1
	ds_load_b32 v1, v4
	v_mov_b64_e32 v[2:3], 0
	v_dual_mov_b32 v5, v4 :: v_dual_mov_b32 v6, v4
	v_mov_b32_e32 v7, v4
	s_wait_xcnt 0x0
	s_mov_b32 s2, 0
	s_wait_dscnt 0x0
	s_barrier_signal -1
	s_barrier_wait -1
	s_barrier_signal -1
	s_barrier_wait -1
	s_clause 0x1
	scratch_store_b32 off, v4, off offset:256
	scratch_store_b128 off, v[4:7], off offset:240
	v_readfirstlane_b32 s38, v1
.LBB2066_5:                             ; =>This Inner Loop Header: Depth=1
	s_wait_xcnt 0x0
	s_add_co_i32 s3, s2, 0xf0
	s_add_co_i32 s2, s2, 8
	scratch_store_b64 off, v[2:3], s3
	s_cmp_lg_u32 s2, 16
	s_cbranch_scc1 .LBB2066_5
; %bb.6:
	s_wait_xcnt 0x1
	v_mov_b32_e32 v4, 0
	s_wait_xcnt 0x0
	v_mov_b64_e32 v[2:3], 0
	s_mov_b32 s2, 20
	s_wait_kmcnt 0x0
	s_movk_i32 s23, 0x104
	v_dual_mov_b32 v5, v4 :: v_dual_mov_b32 v6, v4
	v_mov_b32_e32 v7, v4
	s_clause 0x2
	scratch_store_b8 off, v4, off offset:256
	scratch_store_b32 off, v4, off offset:276
	scratch_store_b128 off, v[4:7], off offset:260
.LBB2066_7:                             ; =>This Inner Loop Header: Depth=1
	s_wait_xcnt 0x0
	s_add_co_i32 s3, s2, 0xf0
	s_add_co_i32 s2, s2, 8
	scratch_store_b64 off, v[2:3], s3
	s_cmp_lg_u32 s2, 36
	s_cbranch_scc1 .LBB2066_7
; %bb.8:
	s_wait_xcnt 0x1
	v_mov_b32_e32 v4, 0
	s_wait_xcnt 0x0
	v_mov_b64_e32 v[2:3], 0
	s_mov_b32 s2, 40
	s_movk_i32 s33, 0x118
	v_dual_mov_b32 v5, v4 :: v_dual_mov_b32 v6, v4
	v_mov_b32_e32 v7, v4
	s_clause 0x2
	scratch_store_b8 off, v4, off offset:276
	scratch_store_b32 off, v4, off offset:296
	scratch_store_b128 off, v[4:7], off offset:280
.LBB2066_9:                             ; =>This Inner Loop Header: Depth=1
	s_wait_xcnt 0x0
	s_add_co_i32 s3, s2, 0xf0
	s_add_co_i32 s2, s2, 8
	scratch_store_b64 off, v[2:3], s3
	s_cmp_lg_u32 s2, 56
	s_cbranch_scc1 .LBB2066_9
; %bb.10:
	s_wait_xcnt 0x1
	v_mov_b32_e32 v4, 0
	s_wait_xcnt 0x0
	v_mov_b64_e32 v[2:3], 0
	s_mov_b32 s2, 60
	s_movk_i32 s46, 0x12c
	v_dual_mov_b32 v5, v4 :: v_dual_mov_b32 v6, v4
	v_mov_b32_e32 v7, v4
	s_clause 0x2
	scratch_store_b8 off, v4, off offset:296
	scratch_store_b32 off, v4, off offset:316
	scratch_store_b128 off, v[4:7], off offset:300
.LBB2066_11:                            ; =>This Inner Loop Header: Depth=1
	s_wait_xcnt 0x0
	s_add_co_i32 s3, s2, 0xf0
	s_add_co_i32 s2, s2, 8
	scratch_store_b64 off, v[2:3], s3
	s_cmp_lg_u32 s2, 0x4c
	s_cbranch_scc1 .LBB2066_11
; %bb.12:
	s_wait_xcnt 0x1
	v_mov_b32_e32 v4, 0
	s_wait_xcnt 0x0
	v_mov_b64_e32 v[2:3], 0
	s_movk_i32 s2, 0x50
	s_movk_i32 s47, 0x140
	v_dual_mov_b32 v5, v4 :: v_dual_mov_b32 v6, v4
	v_mov_b32_e32 v7, v4
	s_clause 0x2
	scratch_store_b8 off, v4, off offset:316
	scratch_store_b32 off, v4, off offset:336
	scratch_store_b128 off, v[4:7], off offset:320
.LBB2066_13:                            ; =>This Inner Loop Header: Depth=1
	s_wait_xcnt 0x0
	s_add_co_i32 s3, s2, 0xf0
	s_add_co_i32 s2, s2, 8
	scratch_store_b64 off, v[2:3], s3
	s_cmp_lg_u32 s2, 0x60
	s_cbranch_scc1 .LBB2066_13
; %bb.14:
	s_wait_xcnt 0x1
	v_mov_b32_e32 v4, 0
	s_wait_xcnt 0x0
	v_mov_b64_e32 v[2:3], 0
	s_movk_i32 s2, 0x64
	;; [unrolled: 20-line block ×6, first 2 shown]
	s_movk_i32 s52, 0x1a4
	v_dual_mov_b32 v5, v4 :: v_dual_mov_b32 v6, v4
	v_mov_b32_e32 v7, v4
	s_clause 0x2
	scratch_store_b8 off, v4, off offset:416
	scratch_store_b32 off, v4, off offset:436
	scratch_store_b128 off, v[4:7], off offset:420
.LBB2066_23:                            ; =>This Inner Loop Header: Depth=1
	s_wait_xcnt 0x0
	s_add_co_i32 s3, s2, 0xf0
	s_add_co_i32 s2, s2, 8
	scratch_store_b64 off, v[2:3], s3
	s_cmp_lg_u32 s2, 0xc4
	s_cbranch_scc1 .LBB2066_23
; %bb.24:
	s_wait_xcnt 0x0
	v_mov_b64_e32 v[2:3], 0
	v_mov_b32_e32 v1, 0
	s_mov_b32 s2, 0
	scratch_store_b8 off, v1, off offset:436
.LBB2066_25:                            ; =>This Inner Loop Header: Depth=1
	s_wait_xcnt 0x0
	s_mov_b32 s3, s2
	s_add_co_i32 s2, s2, 8
	scratch_store_b64 off, v[2:3], s3
	s_cmp_lg_u32 s2, 16
	s_cbranch_scc1 .LBB2066_25
; %bb.26:
	s_wait_xcnt 0x0
	v_mov_b64_e32 v[2:3], 0
	s_mov_b32 s2, 16
.LBB2066_27:                            ; =>This Inner Loop Header: Depth=1
	s_wait_xcnt 0x0
	s_mov_b32 s3, s2
	s_add_co_i32 s2, s2, 8
	scratch_store_b64 off, v[2:3], s3
	s_cmp_lg_u32 s2, 32
	s_cbranch_scc1 .LBB2066_27
; %bb.28:
	s_wait_xcnt 0x0
	v_mov_b64_e32 v[2:3], 0
	s_mov_b32 s2, 32
	;; [unrolled: 11-line block ×4, first 2 shown]
.LBB2066_33:                            ; =>This Inner Loop Header: Depth=1
	s_wait_xcnt 0x0
	s_mov_b32 s3, s2
	s_add_co_i32 s2, s2, 8
	scratch_store_b64 off, v[2:3], s3
	s_cmp_lg_u32 s2, 0x50
	s_cbranch_scc1 .LBB2066_33
; %bb.34:
	s_wait_xcnt 0x0
	v_mov_b64_e32 v[2:3], 0
	s_movk_i32 s2, 0x50
.LBB2066_35:                            ; =>This Inner Loop Header: Depth=1
	s_wait_xcnt 0x0
	s_mov_b32 s3, s2
	s_add_co_i32 s2, s2, 8
	scratch_store_b64 off, v[2:3], s3
	s_cmp_lg_u32 s2, 0x60
	s_cbranch_scc1 .LBB2066_35
; %bb.36:
	s_wait_xcnt 0x0
	v_mov_b64_e32 v[2:3], 0
	s_movk_i32 s2, 0x60
	;; [unrolled: 11-line block ×5, first 2 shown]
.LBB2066_43:                            ; =>This Inner Loop Header: Depth=1
	s_wait_xcnt 0x0
	s_mov_b32 s3, s2
	s_add_co_i32 s2, s2, 8
	scratch_store_b64 off, v[2:3], s3
	s_cmp_lg_u32 s2, 0xa0
	s_cbranch_scc1 .LBB2066_43
; %bb.44:
	s_wait_xcnt 0x0
	s_lshl_b64 s[2:3], s[10:11], 2
	s_mov_b32 s7, 0
	s_add_nc_u64 s[2:3], s[8:9], s[2:3]
	s_mul_u64 s[8:9], s[36:37], s[6:7]
	s_mov_b32 s39, s7
	s_lshl_b64 s[34:35], s[10:11], 4
	s_add_nc_u64 s[42:43], s[8:9], s[38:39]
	s_add_nc_u64 s[8:9], s[24:25], -1
	s_cmp_lg_u64 s[28:29], 0
	v_cmp_ge_u64_e64 s39, s[42:43], s[8:9]
	s_mul_i32 s6, s38, 0x280
	s_add_nc_u64 s[10:11], s[12:13], s[34:35]
	s_cselect_b32 s63, -1, 0
	s_lshl_b64 s[12:13], s[6:7], 2
	s_lshl_b64 s[24:25], s[6:7], 4
	s_movk_i32 s58, 0x90
	s_movk_i32 s59, 0x80
	;; [unrolled: 1-line block ×5, first 2 shown]
	s_mov_b32 s53, 64
	s_mov_b32 s54, 48
	;; [unrolled: 1-line block ×4, first 2 shown]
	s_add_nc_u64 s[40:41], s[2:3], s[12:13]
	s_add_nc_u64 s[28:29], s[10:11], s[24:25]
	s_and_b32 vcc_lo, exec_lo, s39
	s_mul_i32 s57, s8, 0xfffffd80
	s_cbranch_vccz .LBB2066_68
; %bb.45:
	v_mov_b32_e32 v1, 0
	s_add_co_i32 s64, s57, s22
	s_delay_alu instid0(SALU_CYCLE_1)
	v_cmp_gt_u32_e64 s2, s64, v10
	flat_load_b32 v1, v1, s[40:41]
	s_wait_loadcnt_dscnt 0x0
	v_mov_b32_e32 v2, v1
	s_wait_xcnt 0x0
	s_and_saveexec_b32 s3, s2
	s_cbranch_execz .LBB2066_47
; %bb.46:
	flat_load_b32 v2, v10, s[40:41] scale_offset
.LBB2066_47:
	s_wait_xcnt 0x0
	s_or_b32 exec_lo, exec_lo, s3
	v_add_nc_u32_e32 v3, 64, v10
	s_delay_alu instid0(VALU_DEP_1)
	v_cmp_gt_u32_e64 s3, s64, v3
	v_mov_b32_e32 v3, v1
	s_and_saveexec_b32 s6, s3
	s_cbranch_execz .LBB2066_49
; %bb.48:
	flat_load_b32 v3, v10, s[40:41] offset:256 scale_offset
.LBB2066_49:
	s_wait_xcnt 0x0
	s_or_b32 exec_lo, exec_lo, s6
	v_add_nc_u32_e32 v4, 0x80, v10
	s_delay_alu instid0(VALU_DEP_1)
	v_cmp_gt_u32_e64 s6, s64, v4
	v_mov_b32_e32 v4, v1
	s_and_saveexec_b32 s7, s6
	s_cbranch_execz .LBB2066_51
; %bb.50:
	flat_load_b32 v4, v10, s[40:41] offset:512 scale_offset
.LBB2066_51:
	;; [unrolled: 11-line block ×8, first 2 shown]
	s_wait_xcnt 0x0
	s_or_b32 exec_lo, exec_lo, s13
	v_add_nc_u32_e32 v12, 0x240, v10
	s_mov_b32 s44, exec_lo
	s_delay_alu instid0(VALU_DEP_1) | instskip(SKIP_2) | instid1(SALU_CYCLE_1)
	v_cmp_gt_u32_e64 s13, s64, v12
	v_cmpx_le_u32_e64 s64, v12
	s_xor_b32 s44, exec_lo, s44
	s_and_not1_saveexec_b32 s44, s44
	s_cbranch_execz .LBB2066_65
; %bb.64:
	flat_load_b32 v1, v10, s[40:41] offset:2304 scale_offset
.LBB2066_65:
	s_wait_xcnt 0x0
	s_or_b32 exec_lo, exec_lo, s44
	v_lshlrev_b32_e32 v12, 2, v10
	s_cmp_eq_u64 s[42:43], 0
	s_mov_b64 s[44:45], s[40:41]
	s_wait_loadcnt_dscnt 0x0
	ds_store_2addr_stride64_b32 v12, v2, v3 offset1:1
	ds_store_2addr_stride64_b32 v12, v4, v5 offset0:2 offset1:3
	ds_store_2addr_stride64_b32 v12, v6, v7 offset0:4 offset1:5
	;; [unrolled: 1-line block ×4, first 2 shown]
	v_mad_u32_u24 v1, v10, 36, v12
	s_wait_storecnt_dscnt 0x0
	s_barrier_signal -1
	s_barrier_wait -1
	ds_load_2addr_b64 v[6:9], v1 offset1:1
	ds_load_2addr_b64 v[2:5], v1 offset0:2 offset1:3
	ds_load_b64 v[12:13], v1 offset:32
	s_cbranch_scc1 .LBB2066_71
; %bb.66:
	s_and_not1_b32 vcc_lo, exec_lo, s63
	s_cbranch_vccnz .LBB2066_69
; %bb.67:
	s_lshl_b64 s[44:45], s[42:43], 2
	s_mov_b32 s65, 0
	s_add_nc_u64 s[44:45], s[30:31], s[44:45]
	s_delay_alu instid0(SALU_CYCLE_1)
	s_add_nc_u64 s[44:45], s[44:45], -4
	s_branch .LBB2066_70
.LBB2066_68:
                                        ; implicit-def: $sgpr2
	s_cbranch_execnz .LBB2066_103
	s_branch .LBB2066_120
.LBB2066_69:
	s_add_nc_u64 s[44:45], s[40:41], -4
	s_mov_b32 s65, -1
.LBB2066_70:
	s_delay_alu instid0(SALU_CYCLE_1)
	s_and_not1_b32 vcc_lo, exec_lo, s65
.LBB2066_71:
	v_mov_b32_e32 v11, 0
	v_mad_i32_i24 v1, 0xffffffdc, v10, v1
	flat_load_b32 v14, v11, s[44:45]
	s_wait_dscnt 0x1
	ds_store_b32 v1, v13 offset:2560
	s_wait_loadcnt_dscnt 0x0
	s_barrier_signal -1
	s_barrier_wait -1
	s_and_saveexec_b32 s44, s5
; %bb.72:
	ds_load_b32 v14, v1 offset:2556
; %bb.73:
	s_or_b32 exec_lo, exec_lo, s44
	s_wait_dscnt 0x0
	s_barrier_signal -1
	s_barrier_wait -1
	s_and_saveexec_b32 s44, s2
	s_cbranch_execnz .LBB2066_106
; %bb.74:
	s_or_b32 exec_lo, exec_lo, s44
	s_and_saveexec_b32 s2, s3
	s_cbranch_execnz .LBB2066_107
.LBB2066_75:
	s_or_b32 exec_lo, exec_lo, s2
	s_and_saveexec_b32 s2, s6
	s_cbranch_execnz .LBB2066_108
.LBB2066_76:
	s_or_b32 exec_lo, exec_lo, s2
	s_and_saveexec_b32 s2, s7
	s_cbranch_execnz .LBB2066_109
.LBB2066_77:
	s_or_b32 exec_lo, exec_lo, s2
	s_and_saveexec_b32 s2, s8
	s_cbranch_execnz .LBB2066_110
.LBB2066_78:
	s_or_b32 exec_lo, exec_lo, s2
	s_and_saveexec_b32 s2, s9
	s_cbranch_execnz .LBB2066_111
.LBB2066_79:
	s_or_b32 exec_lo, exec_lo, s2
	s_and_saveexec_b32 s2, s10
	s_cbranch_execnz .LBB2066_112
.LBB2066_80:
	s_or_b32 exec_lo, exec_lo, s2
	s_and_saveexec_b32 s2, s11
	s_cbranch_execnz .LBB2066_113
.LBB2066_81:
	s_or_b32 exec_lo, exec_lo, s2
	s_and_saveexec_b32 s2, s12
	s_cbranch_execnz .LBB2066_114
.LBB2066_82:
	s_or_b32 exec_lo, exec_lo, s2
	s_and_saveexec_b32 s2, s13
	s_cbranch_execz .LBB2066_84
.LBB2066_83:
	flat_load_b128 v[16:19], v10, s[28:29] offset:9216 scale_offset
	s_wait_loadcnt_dscnt 0x0
	scratch_store_b128 off, v[16:19], off offset:144
.LBB2066_84:
	s_wait_xcnt 0x0
	s_or_b32 exec_lo, exec_lo, s2
	scratch_load_b128 v[16:19], off, off
	s_clause 0x8
	scratch_load_b128 v[20:23], off, s56
	scratch_load_b128 v[24:27], off, s55
	;; [unrolled: 1-line block ×9, first 2 shown]
	v_mad_u32_u24 v11, v10, 12, v1
	s_mov_b32 s3, 0
	s_mov_b32 s7, 0
	s_mov_b32 s6, exec_lo
                                        ; implicit-def: $sgpr2
	s_wait_loadcnt 0x9
	ds_store_b128 v11, v[16:19]
	s_wait_loadcnt 0x8
	ds_store_b128 v11, v[20:23] offset:1024
	s_wait_loadcnt 0x7
	ds_store_b128 v11, v[24:27] offset:2048
	;; [unrolled: 2-line block ×9, first 2 shown]
	v_mad_u32_u24 v1, 0x90, v10, v11
	s_wait_storecnt_dscnt 0x0
	s_barrier_signal -1
	s_barrier_wait -1
	ds_load_b128 v[16:19], v1 offset:16
	ds_load_b128 v[20:23], v1 offset:32
	;; [unrolled: 1-line block ×9, first 2 shown]
	v_mul_u32_u24_e32 v11, 10, v10
	s_wait_dscnt 0x8
	scratch_store_b128 off, v[16:19], s56
	s_wait_dscnt 0x7
	scratch_store_b128 off, v[20:23], s55
	;; [unrolled: 2-line block ×9, first 2 shown]
	s_wait_xcnt 0x0
	v_cmpx_gt_u32_e64 s64, v11
	s_cbranch_execz .LBB2066_102
; %bb.85:
	ds_load_b128 v[16:19], v1
	v_cmp_ne_u32_e32 vcc_lo, v14, v6
	v_or_b32_e32 v15, 1, v11
	s_mov_b32 s8, 0
	s_mov_b32 s7, exec_lo
                                        ; implicit-def: $sgpr2
	v_cndmask_b32_e64 v14, 0, 1, vcc_lo
	s_wait_dscnt 0x0
	s_clause 0x1
	scratch_store_b128 off, v[16:19], off offset:240
	scratch_store_b8 off, v14, off offset:256
	s_wait_xcnt 0x0
	v_cmpx_gt_u32_e64 s64, v15
	s_cbranch_execz .LBB2066_101
; %bb.86:
	v_dual_add_nc_u32 v14, 16, v1 :: v_dual_add_nc_u32 v18, 2, v11
	v_cmp_ne_u32_e32 vcc_lo, v6, v7
	s_mov_b32 s9, 0
	s_mov_b32 s8, exec_lo
	ds_load_2addr_b32 v[16:17], v14 offset0:2 offset1:3
	ds_load_2addr_b32 v[14:15], v14 offset1:1
                                        ; implicit-def: $sgpr2
	v_cndmask_b32_e64 v6, 0, 1, vcc_lo
	s_wait_dscnt 0x0
	scratch_store_b128 off, v[14:17], s23
	scratch_store_b8 off, v6, off offset:276
	s_wait_xcnt 0x0
	v_cmpx_gt_u32_e64 s64, v18
	s_cbranch_execz .LBB2066_100
; %bb.87:
	v_add_nc_u32_e32 v6, 32, v1
	v_cmp_ne_u32_e32 vcc_lo, v7, v8
	s_mov_b32 s10, 0
	s_mov_b32 s9, exec_lo
                                        ; implicit-def: $sgpr2
	ds_load_2addr_b64 v[14:17], v6 offset1:1
	v_add_nc_u32_e32 v6, 3, v11
	v_cndmask_b32_e64 v7, 0, 1, vcc_lo
	s_wait_dscnt 0x0
	scratch_store_b128 off, v[14:17], s33
	scratch_store_b8 off, v7, off offset:296
	s_wait_xcnt 0x0
	v_cmpx_gt_u32_e64 s64, v6
	s_cbranch_execz .LBB2066_99
; %bb.88:
	v_add_nc_u32_e32 v6, 48, v1
	v_cmp_ne_u32_e32 vcc_lo, v8, v9
	s_mov_b32 s11, 0
	s_mov_b32 s10, exec_lo
                                        ; implicit-def: $sgpr2
	ds_load_2addr_b32 v[16:17], v6 offset0:2 offset1:3
	ds_load_2addr_b32 v[14:15], v6 offset1:1
	v_add_nc_u32_e32 v6, 4, v11
	v_cndmask_b32_e64 v7, 0, 1, vcc_lo
	s_wait_dscnt 0x0
	scratch_store_b128 off, v[14:17], s46
	scratch_store_b8 off, v7, off offset:316
	s_wait_xcnt 0x0
	v_cmpx_gt_u32_e64 s64, v6
	s_cbranch_execz .LBB2066_98
; %bb.89:
	v_add_nc_u32_e32 v6, 64, v1
	v_cmp_ne_u32_e32 vcc_lo, v9, v2
	s_mov_b32 s12, 0
	s_mov_b32 s11, exec_lo
                                        ; implicit-def: $sgpr2
	ds_load_b128 v[14:17], v6
	v_add_nc_u32_e32 v6, 5, v11
	v_cndmask_b32_e64 v7, 0, 1, vcc_lo
	s_wait_dscnt 0x0
	scratch_store_b128 off, v[14:17], s47
	scratch_store_b8 off, v7, off offset:336
	s_wait_xcnt 0x0
	v_cmpx_gt_u32_e64 s64, v6
	s_cbranch_execz .LBB2066_97
; %bb.90:
	v_add_nc_u32_e32 v6, 0x50, v1
	v_cmp_ne_u32_e32 vcc_lo, v2, v3
	v_add_nc_u32_e32 v14, 6, v11
	s_mov_b32 s13, 0
	s_mov_b32 s12, exec_lo
	ds_load_2addr_b32 v[8:9], v6 offset0:2 offset1:3
	ds_load_2addr_b32 v[6:7], v6 offset1:1
	v_cndmask_b32_e64 v2, 0, 1, vcc_lo
                                        ; implicit-def: $sgpr2
	s_wait_dscnt 0x0
	scratch_store_b128 off, v[6:9], s48
	scratch_store_b8 off, v2, off offset:356
	s_wait_xcnt 0x0
	v_cmpx_gt_u32_e64 s64, v14
	s_cbranch_execz .LBB2066_96
; %bb.91:
	v_add_nc_u32_e32 v2, 0x60, v1
	v_cmp_ne_u32_e32 vcc_lo, v3, v4
	s_mov_b32 s44, 0
	s_mov_b32 s13, exec_lo
                                        ; implicit-def: $sgpr2
	ds_load_2addr_b64 v[6:9], v2 offset1:1
	v_add_nc_u32_e32 v2, 7, v11
	v_cndmask_b32_e64 v3, 0, 1, vcc_lo
	s_wait_dscnt 0x0
	scratch_store_b128 off, v[6:9], s49
	scratch_store_b8 off, v3, off offset:376
	s_wait_xcnt 0x0
	v_cmpx_gt_u32_e64 s64, v2
	s_cbranch_execz .LBB2066_95
; %bb.92:
	v_add_nc_u32_e32 v2, 0x70, v1
	v_cmp_ne_u32_e32 vcc_lo, v4, v5
	s_mov_b32 s45, 0
	s_mov_b32 s44, exec_lo
                                        ; implicit-def: $sgpr2
	ds_load_2addr_b32 v[8:9], v2 offset0:2 offset1:3
	ds_load_2addr_b32 v[6:7], v2 offset1:1
	v_add_nc_u32_e32 v2, 8, v11
	v_cndmask_b32_e64 v3, 0, 1, vcc_lo
	s_wait_dscnt 0x0
	scratch_store_b128 off, v[6:9], s50
	scratch_store_b8 off, v3, off offset:396
	s_wait_xcnt 0x0
	v_cmpx_gt_u32_e64 s64, v2
	s_xor_b32 s44, exec_lo, s44
	s_cbranch_execz .LBB2066_94
; %bb.93:
	v_add_nc_u32_e32 v1, 0x80, v1
	v_cmp_ne_u32_e64 s2, v5, v12
	ds_load_b128 v[6:9], v1
	v_add_nc_u32_e32 v1, 9, v11
	s_delay_alu instid0(VALU_DEP_1)
	v_cmp_gt_u32_e32 vcc_lo, s64, v1
	v_cndmask_b32_e64 v1, 0, 1, s2
	v_cmp_ne_u32_e64 s2, v12, v13
	s_wait_dscnt 0x0
	scratch_store_b128 off, v[6:9], s51
	scratch_store_b8 off, v1, off offset:416
	s_and_b32 s45, vcc_lo, exec_lo
.LBB2066_94:
	s_wait_xcnt 0x0
	s_or_b32 exec_lo, exec_lo, s44
	s_delay_alu instid0(SALU_CYCLE_1)
	s_and_b32 s44, s45, exec_lo
.LBB2066_95:
	s_or_b32 exec_lo, exec_lo, s13
	s_delay_alu instid0(SALU_CYCLE_1)
	s_and_b32 s13, s44, exec_lo
.LBB2066_96:
	s_or_b32 exec_lo, exec_lo, s12
	s_delay_alu instid0(SALU_CYCLE_1)
	s_and_b32 s12, s13, exec_lo
.LBB2066_97:
	s_or_b32 exec_lo, exec_lo, s11
	s_delay_alu instid0(SALU_CYCLE_1)
	s_and_b32 s11, s12, exec_lo
.LBB2066_98:
	s_or_b32 exec_lo, exec_lo, s10
	s_delay_alu instid0(SALU_CYCLE_1)
	s_and_b32 s10, s11, exec_lo
.LBB2066_99:
	s_or_b32 exec_lo, exec_lo, s9
	s_delay_alu instid0(SALU_CYCLE_1)
	s_and_b32 s9, s10, exec_lo
.LBB2066_100:
	s_or_b32 exec_lo, exec_lo, s8
	s_delay_alu instid0(SALU_CYCLE_1)
	s_and_b32 s8, s9, exec_lo
.LBB2066_101:
	s_or_b32 exec_lo, exec_lo, s7
	s_delay_alu instid0(SALU_CYCLE_1)
	s_and_b32 s7, s8, exec_lo
.LBB2066_102:
	s_or_b32 exec_lo, exec_lo, s6
	s_delay_alu instid0(SALU_CYCLE_1)
	s_and_b32 vcc_lo, exec_lo, s3
	s_cbranch_vccz .LBB2066_120
.LBB2066_103:
	s_clause 0x9
	flat_load_b32 v1, v10, s[40:41] scale_offset
	flat_load_b32 v2, v10, s[40:41] offset:256 scale_offset
	flat_load_b32 v3, v10, s[40:41] offset:512 scale_offset
	flat_load_b32 v4, v10, s[40:41] offset:768 scale_offset
	flat_load_b32 v5, v10, s[40:41] offset:1024 scale_offset
	flat_load_b32 v6, v10, s[40:41] offset:1280 scale_offset
	flat_load_b32 v7, v10, s[40:41] offset:1536 scale_offset
	flat_load_b32 v8, v10, s[40:41] offset:1792 scale_offset
	flat_load_b32 v9, v10, s[40:41] offset:2048 scale_offset
	flat_load_b32 v12, v10, s[40:41] offset:2304 scale_offset
	v_lshlrev_b32_e32 v13, 2, v10
	s_cmp_eq_u64 s[42:43], 0
	s_wait_loadcnt_dscnt 0x808
	ds_store_2addr_stride64_b32 v13, v1, v2 offset1:1
	s_wait_loadcnt_dscnt 0x607
	ds_store_2addr_stride64_b32 v13, v3, v4 offset0:2 offset1:3
	s_wait_loadcnt_dscnt 0x406
	ds_store_2addr_stride64_b32 v13, v5, v6 offset0:4 offset1:5
	;; [unrolled: 2-line block ×4, first 2 shown]
	v_mov_b32_e32 v1, 0
	v_mad_u32_u24 v11, v10, 36, v13
	s_wait_storecnt_dscnt 0x0
	s_barrier_signal -1
	s_barrier_wait -1
	ds_load_2addr_b64 v[2:5], v11 offset1:1
	ds_load_2addr_b64 v[6:9], v11 offset0:2 offset1:3
	ds_load_b64 v[12:13], v11 offset:32
	s_cbranch_scc1 .LBB2066_117
; %bb.104:
	s_and_not1_b32 vcc_lo, exec_lo, s63
	s_cbranch_vccnz .LBB2066_115
; %bb.105:
	s_lshl_b64 s[2:3], s[42:43], 2
	s_delay_alu instid0(SALU_CYCLE_1)
	s_add_nc_u64 s[2:3], s[30:31], s[2:3]
	s_wait_xcnt 0x0
	s_add_nc_u64 s[40:41], s[2:3], -4
	s_mov_b32 s2, 0
	s_branch .LBB2066_116
.LBB2066_106:
	flat_load_b128 v[16:19], v10, s[28:29] scale_offset
	s_wait_loadcnt_dscnt 0x0
	scratch_store_b128 off, v[16:19], off
	s_wait_xcnt 0x0
	s_or_b32 exec_lo, exec_lo, s44
	s_and_saveexec_b32 s2, s3
	s_cbranch_execz .LBB2066_75
.LBB2066_107:
	flat_load_b128 v[16:19], v10, s[28:29] offset:1024 scale_offset
	s_wait_loadcnt_dscnt 0x0
	scratch_store_b128 off, v[16:19], off offset:16
	s_wait_xcnt 0x0
	s_or_b32 exec_lo, exec_lo, s2
	s_and_saveexec_b32 s2, s6
	s_cbranch_execz .LBB2066_76
.LBB2066_108:
	flat_load_b128 v[16:19], v10, s[28:29] offset:2048 scale_offset
	s_wait_loadcnt_dscnt 0x0
	scratch_store_b128 off, v[16:19], off offset:32
	s_wait_xcnt 0x0
	s_or_b32 exec_lo, exec_lo, s2
	s_and_saveexec_b32 s2, s7
	s_cbranch_execz .LBB2066_77
.LBB2066_109:
	flat_load_b128 v[16:19], v10, s[28:29] offset:3072 scale_offset
	s_wait_loadcnt_dscnt 0x0
	scratch_store_b128 off, v[16:19], off offset:48
	s_wait_xcnt 0x0
	s_or_b32 exec_lo, exec_lo, s2
	s_and_saveexec_b32 s2, s8
	s_cbranch_execz .LBB2066_78
.LBB2066_110:
	flat_load_b128 v[16:19], v10, s[28:29] offset:4096 scale_offset
	s_wait_loadcnt_dscnt 0x0
	scratch_store_b128 off, v[16:19], off offset:64
	s_wait_xcnt 0x0
	s_or_b32 exec_lo, exec_lo, s2
	s_and_saveexec_b32 s2, s9
	s_cbranch_execz .LBB2066_79
.LBB2066_111:
	flat_load_b128 v[16:19], v10, s[28:29] offset:5120 scale_offset
	s_wait_loadcnt_dscnt 0x0
	scratch_store_b128 off, v[16:19], off offset:80
	s_wait_xcnt 0x0
	s_or_b32 exec_lo, exec_lo, s2
	s_and_saveexec_b32 s2, s10
	s_cbranch_execz .LBB2066_80
.LBB2066_112:
	flat_load_b128 v[16:19], v10, s[28:29] offset:6144 scale_offset
	s_wait_loadcnt_dscnt 0x0
	scratch_store_b128 off, v[16:19], off offset:96
	s_wait_xcnt 0x0
	s_or_b32 exec_lo, exec_lo, s2
	s_and_saveexec_b32 s2, s11
	s_cbranch_execz .LBB2066_81
.LBB2066_113:
	flat_load_b128 v[16:19], v10, s[28:29] offset:7168 scale_offset
	s_wait_loadcnt_dscnt 0x0
	scratch_store_b128 off, v[16:19], off offset:112
	s_wait_xcnt 0x0
	s_or_b32 exec_lo, exec_lo, s2
	s_and_saveexec_b32 s2, s12
	s_cbranch_execz .LBB2066_82
.LBB2066_114:
	flat_load_b128 v[16:19], v10, s[28:29] offset:8192 scale_offset
	s_wait_loadcnt_dscnt 0x0
	scratch_store_b128 off, v[16:19], off offset:128
	s_wait_xcnt 0x0
	s_or_b32 exec_lo, exec_lo, s2
	s_and_saveexec_b32 s2, s13
	s_cbranch_execnz .LBB2066_83
	s_branch .LBB2066_84
.LBB2066_115:
	s_wait_xcnt 0x0
	s_add_nc_u64 s[40:41], s[40:41], -4
	s_mov_b32 s2, -1
.LBB2066_116:
	s_delay_alu instid0(SALU_CYCLE_1)
	s_and_not1_b32 vcc_lo, exec_lo, s2
.LBB2066_117:
	flat_load_b32 v1, v1, s[40:41]
	v_mad_i32_i24 v11, 0xffffffdc, v10, v11
	s_wait_dscnt 0x1
	ds_store_b32 v11, v13 offset:2560
	s_wait_loadcnt_dscnt 0x0
	s_barrier_signal -1
	s_barrier_wait -1
	s_and_saveexec_b32 s2, s5
; %bb.118:
	ds_load_b32 v1, v11 offset:2556
; %bb.119:
	s_or_b32 exec_lo, exec_lo, s2
	s_wait_dscnt 0x0
	s_barrier_signal -1
	s_barrier_wait -1
	flat_load_b128 v[14:17], v10, s[28:29] scale_offset
	v_cmp_ne_u32_e32 vcc_lo, v9, v12
	v_cmp_ne_u32_e64 s2, v12, v13
	s_mov_b32 s7, -1
	v_cndmask_b32_e64 v76, 0, 1, vcc_lo
	v_cmp_ne_u32_e32 vcc_lo, v8, v9
	v_cndmask_b32_e64 v77, 0, 1, vcc_lo
	v_cmp_ne_u32_e32 vcc_lo, v7, v8
	;; [unrolled: 2-line block ×6, first 2 shown]
	v_mad_u32_u24 v4, v10, 12, v11
	v_cndmask_b32_e64 v82, 0, 1, vcc_lo
	v_cmp_ne_u32_e32 vcc_lo, v2, v3
	s_delay_alu instid0(VALU_DEP_3)
	v_mad_u32_u24 v72, 0x90, v10, v4
	v_cndmask_b32_e64 v11, 0, 1, vcc_lo
	v_cmp_ne_u32_e32 vcc_lo, v1, v2
	v_cndmask_b32_e64 v1, 0, 1, vcc_lo
	s_wait_loadcnt_dscnt 0x0
	scratch_store_b128 off, v[14:17], off
	flat_load_b128 v[14:17], v10, s[28:29] offset:1024 scale_offset
	s_wait_loadcnt_dscnt 0x0
	scratch_store_b128 off, v[14:17], off offset:16
	flat_load_b128 v[14:17], v10, s[28:29] offset:2048 scale_offset
	s_wait_loadcnt_dscnt 0x0
	scratch_store_b128 off, v[14:17], off offset:32
	;; [unrolled: 3-line block ×8, first 2 shown]
	flat_load_b128 v[14:17], v10, s[28:29] offset:9216 scale_offset
	scratch_load_b128 v[18:21], off, off
	s_clause 0x6
	scratch_load_b128 v[22:25], off, s56
	scratch_load_b128 v[26:29], off, s55
	;; [unrolled: 1-line block ×7, first 2 shown]
	s_wait_loadcnt_dscnt 0x800
	scratch_store_b128 off, v[14:17], off offset:144
	s_clause 0x1
	scratch_load_b128 v[14:17], off, s59
	scratch_load_b128 v[50:53], off, s58
	s_wait_loadcnt 0x9
	ds_store_b128 v4, v[18:21]
	s_wait_loadcnt 0x8
	ds_store_b128 v4, v[22:25] offset:1024
	s_wait_loadcnt 0x7
	ds_store_b128 v4, v[26:29] offset:2048
	s_wait_loadcnt 0x6
	ds_store_b128 v4, v[30:33] offset:3072
	s_wait_loadcnt 0x5
	ds_store_b128 v4, v[34:37] offset:4096
	s_wait_loadcnt 0x4
	ds_store_b128 v4, v[38:41] offset:5120
	s_wait_loadcnt 0x3
	ds_store_b128 v4, v[42:45] offset:6144
	s_wait_loadcnt 0x2
	ds_store_b128 v4, v[46:49] offset:7168
	s_wait_loadcnt 0x1
	ds_store_b128 v4, v[14:17] offset:8192
	s_wait_loadcnt 0x0
	ds_store_b128 v4, v[50:53] offset:9216
	s_wait_storecnt_dscnt 0x0
	s_barrier_signal -1
	s_barrier_wait -1
	ds_load_b128 v[2:5], v72 offset:16
	ds_load_b128 v[6:9], v72 offset:32
	;; [unrolled: 1-line block ×9, first 2 shown]
	ds_load_b128 v[40:43], v72
	ds_load_2addr_b32 v[46:47], v72 offset0:6 offset1:7
	ds_load_2addr_b32 v[44:45], v72 offset0:4 offset1:5
	ds_load_2addr_b64 v[48:51], v72 offset0:4 offset1:5
	ds_load_2addr_b32 v[54:55], v72 offset0:14 offset1:15
	ds_load_2addr_b32 v[52:53], v72 offset0:12 offset1:13
	ds_load_b128 v[56:59], v72 offset:64
	ds_load_2addr_b32 v[62:63], v72 offset0:22 offset1:23
	ds_load_2addr_b32 v[60:61], v72 offset0:20 offset1:21
	ds_load_2addr_b64 v[64:67], v72 offset0:12 offset1:13
	ds_load_2addr_b32 v[70:71], v72 offset0:30 offset1:31
	ds_load_2addr_b32 v[68:69], v72 offset0:28 offset1:29
	ds_load_b128 v[72:75], v72 offset:128
	s_wait_dscnt 0x15
	scratch_store_b128 off, v[2:5], s56
	s_wait_dscnt 0x14
	scratch_store_b128 off, v[6:9], s55
	;; [unrolled: 2-line block ×11, first 2 shown]
	s_clause 0x3
	scratch_store_b128 off, v[40:43], off offset:240
	scratch_store_b8 off, v1, off offset:256
	scratch_store_b8 off, v11, off offset:276
	;; [unrolled: 1-line block ×3, first 2 shown]
	s_wait_dscnt 0x7
	scratch_store_b128 off, v[52:55], s46
	s_wait_dscnt 0x6
	scratch_store_b128 off, v[56:59], s47
	;; [unrolled: 2-line block ×6, first 2 shown]
	s_clause 0x5
	scratch_store_b8 off, v81, off offset:316
	scratch_store_b8 off, v80, off offset:336
	;; [unrolled: 1-line block ×6, first 2 shown]
.LBB2066_120:
	s_wait_xcnt 0x0
	s_and_saveexec_b32 s3, s7
	s_cbranch_execz .LBB2066_122
; %bb.121:
	scratch_load_b128 v[2:5], off, s58
	v_cndmask_b32_e64 v1, 0, 1, s2
	s_wait_loadcnt 0x0
	scratch_store_b128 off, v[2:5], s52
	scratch_store_b8 off, v1, off offset:436
.LBB2066_122:
	s_wait_xcnt 0x0
	s_or_b32 exec_lo, exec_lo, s3
	s_load_b64 s[2:3], s[0:1], 0x4
	v_bfe_u32 v1, v0, 10, 10
	v_bfe_u32 v0, v0, 20, 10
	s_wait_storecnt 0x0
	s_barrier_signal -1
	s_barrier_wait -1
	s_wait_kmcnt 0x0
	s_lshr_b32 s0, s2, 16
	v_mul_u32_u24_e32 v1, s3, v1
	s_mul_i32 s0, s0, s3
	s_cmp_lg_u32 s38, 0
	v_mul_u32_u24_e32 v2, s0, v10
	s_mov_b32 s0, 0
	s_delay_alu instid0(VALU_DEP_1)
	v_add3_u32 v11, v2, v1, v0
	s_cbranch_scc0 .LBB2066_380
; %bb.123:
	v_mov_b64_e32 v[0:1], 0
	v_mov_b32_e32 v2, 0
	scratch_store_b32 off, v2, off offset:16
.LBB2066_124:                           ; =>This Inner Loop Header: Depth=1
	s_wait_xcnt 0x0
	s_mov_b32 s1, s0
	s_add_co_i32 s0, s0, 8
	scratch_store_b64 off, v[0:1], s1
	s_cmp_lg_u32 s0, 16
	s_cbranch_scc1 .LBB2066_124
; %bb.125:
	s_clause 0x2
	scratch_load_u8 v4, off, off offset:276
	scratch_load_b128 v[0:3], off, off offset:240
	scratch_load_u8 v5, off, off offset:256
	s_mov_b32 s0, exec_lo
	s_wait_loadcnt 0x1
	scratch_store_b128 off, v[0:3], off
	s_wait_loadcnt 0x0
	scratch_store_b8 off, v5, off offset:16
                                        ; implicit-def: $vgpr2_vgpr3
	s_wait_xcnt 0x0
	v_cmpx_ne_u16_e32 0, v4
	s_xor_b32 s0, exec_lo, s0
	s_cbranch_execz .LBB2066_127
; %bb.126:
	scratch_load_b128 v[0:3], off, off offset:260
.LBB2066_127:
	s_wait_xcnt 0x0
	s_or_saveexec_b32 s0, s0
	v_lshl_add_u32 v6, v11, 4, 0x2800
	s_xor_b32 exec_lo, exec_lo, s0
	s_cbranch_execz .LBB2066_133
; %bb.128:
	s_wait_loadcnt 0x0
	v_mov_b32_e32 v0, 0
	s_mov_b32 s1, 0
.LBB2066_129:                           ; =>This Inner Loop Header: Depth=1
	s_delay_alu instid0(SALU_CYCLE_1) | instskip(SKIP_1) | instid1(SALU_CYCLE_1)
	v_add_nc_u32_e32 v1, s1, v6
	s_add_co_i32 s1, s1, 8
	s_cmp_lg_u32 s1, 16
	ds_store_2addr_b32 v1, v0, v0 offset1:1
	s_cbranch_scc1 .LBB2066_129
; %bb.130:
	s_mov_b32 s1, 0
.LBB2066_131:                           ; =>This Inner Loop Header: Depth=1
	s_wait_xcnt 0x0
	s_add_co_i32 s3, s23, s1
	scratch_load_b64 v[0:1], off, s1
	scratch_load_b64 v[2:3], off, s3
	v_add_nc_u32_e32 v7, s1, v6
	s_mov_b32 s2, s1
	s_wait_xcnt 0x1
	s_add_co_i32 s1, s1, 8
                                        ; kill: killed $sgpr2
	s_delay_alu instid0(SALU_CYCLE_1)
	s_cmp_lg_u32 s1, 16
	s_wait_loadcnt 0x0
	v_dual_add_nc_u32 v1, v3, v1 :: v_dual_add_nc_u32 v0, v2, v0
	ds_store_2addr_b32 v7, v0, v1 offset1:1
	s_cbranch_scc1 .LBB2066_131
; %bb.132:
	ds_load_2addr_b32 v[0:1], v6 offset1:1
	ds_load_2addr_b32 v[2:3], v6 offset0:2 offset1:3
.LBB2066_133:
	s_wait_xcnt 0x0
	s_or_b32 exec_lo, exec_lo, s0
	scratch_load_u8 v7, off, off offset:296
	s_mov_b32 s0, exec_lo
	s_wait_loadcnt_dscnt 0x100
	scratch_store_b128 off, v[0:3], off
                                        ; implicit-def: $vgpr2_vgpr3
	s_wait_loadcnt 0x0
	v_cmpx_ne_u16_e32 0, v7
	s_xor_b32 s0, exec_lo, s0
	s_cbranch_execz .LBB2066_135
; %bb.134:
	scratch_load_b128 v[0:3], off, off offset:280
.LBB2066_135:
	s_wait_xcnt 0x0
	s_and_not1_saveexec_b32 s0, s0
	s_cbranch_execz .LBB2066_141
; %bb.136:
	s_wait_loadcnt 0x0
	v_mov_b32_e32 v0, 0
	s_mov_b32 s1, 0
.LBB2066_137:                           ; =>This Inner Loop Header: Depth=1
	s_delay_alu instid0(SALU_CYCLE_1) | instskip(SKIP_1) | instid1(SALU_CYCLE_1)
	v_add_nc_u32_e32 v1, s1, v6
	s_add_co_i32 s1, s1, 8
	s_cmp_lg_u32 s1, 16
	ds_store_2addr_b32 v1, v0, v0 offset1:1
	s_cbranch_scc1 .LBB2066_137
; %bb.138:
	s_mov_b32 s1, 0
.LBB2066_139:                           ; =>This Inner Loop Header: Depth=1
	s_wait_xcnt 0x0
	s_add_co_i32 s3, s33, s1
	scratch_load_b64 v[0:1], off, s1
	scratch_load_b64 v[2:3], off, s3
	v_add_nc_u32_e32 v8, s1, v6
	s_mov_b32 s2, s1
	s_wait_xcnt 0x1
	s_add_co_i32 s1, s1, 8
                                        ; kill: killed $sgpr3
                                        ; kill: killed $sgpr2
	s_delay_alu instid0(SALU_CYCLE_1)
	s_cmp_lg_u32 s1, 16
	s_wait_loadcnt 0x0
	v_dual_add_nc_u32 v1, v3, v1 :: v_dual_add_nc_u32 v0, v2, v0
	ds_store_2addr_b32 v8, v0, v1 offset1:1
	s_cbranch_scc1 .LBB2066_139
; %bb.140:
	ds_load_2addr_b32 v[0:1], v6 offset1:1
	ds_load_2addr_b32 v[2:3], v6 offset0:2 offset1:3
.LBB2066_141:
	s_wait_xcnt 0x0
	s_or_b32 exec_lo, exec_lo, s0
	scratch_load_u8 v8, off, off offset:316
	s_mov_b32 s0, exec_lo
	s_wait_loadcnt_dscnt 0x100
	scratch_store_b128 off, v[0:3], off
                                        ; implicit-def: $vgpr2_vgpr3
	s_wait_loadcnt 0x0
	v_cmpx_ne_u16_e32 0, v8
	s_xor_b32 s0, exec_lo, s0
	s_cbranch_execz .LBB2066_143
; %bb.142:
	scratch_load_b128 v[0:3], off, off offset:300
.LBB2066_143:
	s_wait_xcnt 0x0
	s_and_not1_saveexec_b32 s0, s0
	s_cbranch_execz .LBB2066_149
; %bb.144:
	s_wait_loadcnt 0x0
	v_mov_b32_e32 v0, 0
	s_mov_b32 s1, 0
.LBB2066_145:                           ; =>This Inner Loop Header: Depth=1
	s_delay_alu instid0(SALU_CYCLE_1) | instskip(SKIP_1) | instid1(SALU_CYCLE_1)
	v_add_nc_u32_e32 v1, s1, v6
	s_add_co_i32 s1, s1, 8
	s_cmp_lg_u32 s1, 16
	ds_store_2addr_b32 v1, v0, v0 offset1:1
	s_cbranch_scc1 .LBB2066_145
; %bb.146:
	s_mov_b32 s1, 0
.LBB2066_147:                           ; =>This Inner Loop Header: Depth=1
	s_wait_xcnt 0x0
	s_add_co_i32 s3, s46, s1
	scratch_load_b64 v[0:1], off, s1
	scratch_load_b64 v[2:3], off, s3
	v_add_nc_u32_e32 v9, s1, v6
	s_mov_b32 s2, s1
	s_wait_xcnt 0x1
	s_add_co_i32 s1, s1, 8
                                        ; kill: killed $sgpr3
                                        ; kill: killed $sgpr2
	s_delay_alu instid0(SALU_CYCLE_1)
	s_cmp_lg_u32 s1, 16
	s_wait_loadcnt 0x0
	v_dual_add_nc_u32 v1, v3, v1 :: v_dual_add_nc_u32 v0, v2, v0
	ds_store_2addr_b32 v9, v0, v1 offset1:1
	s_cbranch_scc1 .LBB2066_147
; %bb.148:
	ds_load_2addr_b32 v[0:1], v6 offset1:1
	ds_load_2addr_b32 v[2:3], v6 offset0:2 offset1:3
.LBB2066_149:
	;; [unrolled: 51-line block ×4, first 2 shown]
	s_wait_xcnt 0x0
	s_or_b32 exec_lo, exec_lo, s0
	scratch_load_u8 v13, off, off offset:376
	s_mov_b32 s0, exec_lo
	s_wait_loadcnt_dscnt 0x100
	scratch_store_b128 off, v[0:3], off
                                        ; implicit-def: $vgpr2_vgpr3
	s_wait_loadcnt 0x0
	v_cmpx_ne_u16_e32 0, v13
	s_xor_b32 s0, exec_lo, s0
	s_cbranch_execz .LBB2066_167
; %bb.166:
	scratch_load_b128 v[0:3], off, off offset:360
.LBB2066_167:
	s_wait_xcnt 0x0
	s_and_not1_saveexec_b32 s0, s0
	s_cbranch_execz .LBB2066_173
; %bb.168:
	s_wait_loadcnt 0x0
	v_mov_b32_e32 v0, 0
	s_mov_b32 s1, 0
.LBB2066_169:                           ; =>This Inner Loop Header: Depth=1
	s_delay_alu instid0(SALU_CYCLE_1) | instskip(SKIP_1) | instid1(SALU_CYCLE_1)
	v_add_nc_u32_e32 v1, s1, v6
	s_add_co_i32 s1, s1, 8
	s_cmp_lg_u32 s1, 16
	ds_store_2addr_b32 v1, v0, v0 offset1:1
	s_cbranch_scc1 .LBB2066_169
; %bb.170:
	s_mov_b32 s1, 0
.LBB2066_171:                           ; =>This Inner Loop Header: Depth=1
	s_wait_xcnt 0x0
	s_add_co_i32 s3, s49, s1
	scratch_load_b64 v[0:1], off, s1
	scratch_load_b64 v[2:3], off, s3
	v_add_nc_u32_e32 v14, s1, v6
	s_mov_b32 s2, s1
	s_wait_xcnt 0x1
	s_add_co_i32 s1, s1, 8
                                        ; kill: killed $sgpr2
                                        ; kill: killed $sgpr3
	s_delay_alu instid0(SALU_CYCLE_1)
	s_cmp_lg_u32 s1, 16
	s_wait_loadcnt 0x0
	v_dual_add_nc_u32 v1, v3, v1 :: v_dual_add_nc_u32 v0, v2, v0
	ds_store_2addr_b32 v14, v0, v1 offset1:1
	s_cbranch_scc1 .LBB2066_171
; %bb.172:
	ds_load_2addr_b32 v[0:1], v6 offset1:1
	ds_load_2addr_b32 v[2:3], v6 offset0:2 offset1:3
.LBB2066_173:
	s_wait_xcnt 0x0
	s_or_b32 exec_lo, exec_lo, s0
	scratch_load_u8 v14, off, off offset:396
	s_mov_b32 s0, exec_lo
	s_wait_loadcnt_dscnt 0x100
	scratch_store_b128 off, v[0:3], off
                                        ; implicit-def: $vgpr2_vgpr3
	s_wait_loadcnt 0x0
	v_cmpx_ne_u16_e32 0, v14
	s_xor_b32 s0, exec_lo, s0
	s_cbranch_execz .LBB2066_175
; %bb.174:
	scratch_load_b128 v[0:3], off, off offset:380
.LBB2066_175:
	s_wait_xcnt 0x0
	s_and_not1_saveexec_b32 s0, s0
	s_cbranch_execz .LBB2066_181
; %bb.176:
	s_wait_loadcnt 0x0
	v_mov_b32_e32 v0, 0
	s_mov_b32 s1, 0
.LBB2066_177:                           ; =>This Inner Loop Header: Depth=1
	s_delay_alu instid0(SALU_CYCLE_1) | instskip(SKIP_1) | instid1(SALU_CYCLE_1)
	v_add_nc_u32_e32 v1, s1, v6
	s_add_co_i32 s1, s1, 8
	s_cmp_lg_u32 s1, 16
	ds_store_2addr_b32 v1, v0, v0 offset1:1
	s_cbranch_scc1 .LBB2066_177
; %bb.178:
	s_mov_b32 s1, 0
.LBB2066_179:                           ; =>This Inner Loop Header: Depth=1
	s_wait_xcnt 0x0
	s_add_co_i32 s3, s50, s1
	scratch_load_b64 v[0:1], off, s1
	scratch_load_b64 v[2:3], off, s3
	v_add_nc_u32_e32 v15, s1, v6
	s_mov_b32 s2, s1
	s_wait_xcnt 0x1
	s_add_co_i32 s1, s1, 8
                                        ; kill: killed $sgpr3
                                        ; kill: killed $sgpr2
	s_delay_alu instid0(SALU_CYCLE_1)
	s_cmp_lg_u32 s1, 16
	s_wait_loadcnt 0x0
	v_dual_add_nc_u32 v1, v3, v1 :: v_dual_add_nc_u32 v0, v2, v0
	ds_store_2addr_b32 v15, v0, v1 offset1:1
	s_cbranch_scc1 .LBB2066_179
; %bb.180:
	ds_load_2addr_b32 v[0:1], v6 offset1:1
	ds_load_2addr_b32 v[2:3], v6 offset0:2 offset1:3
.LBB2066_181:
	s_wait_xcnt 0x0
	s_or_b32 exec_lo, exec_lo, s0
	scratch_load_u8 v15, off, off offset:416
	s_mov_b32 s0, exec_lo
	s_wait_loadcnt_dscnt 0x100
	scratch_store_b128 off, v[0:3], off
                                        ; implicit-def: $vgpr2_vgpr3
	s_wait_loadcnt 0x0
	v_cmpx_ne_u16_e32 0, v15
	s_xor_b32 s0, exec_lo, s0
	s_cbranch_execz .LBB2066_183
; %bb.182:
	scratch_load_b128 v[0:3], off, off offset:400
.LBB2066_183:
	s_wait_xcnt 0x0
	s_and_not1_saveexec_b32 s0, s0
	s_cbranch_execz .LBB2066_189
; %bb.184:
	s_wait_loadcnt 0x0
	v_mov_b32_e32 v0, 0
	s_mov_b32 s1, 0
.LBB2066_185:                           ; =>This Inner Loop Header: Depth=1
	s_delay_alu instid0(SALU_CYCLE_1) | instskip(SKIP_1) | instid1(SALU_CYCLE_1)
	v_add_nc_u32_e32 v1, s1, v6
	s_add_co_i32 s1, s1, 8
	s_cmp_lg_u32 s1, 16
	ds_store_2addr_b32 v1, v0, v0 offset1:1
	s_cbranch_scc1 .LBB2066_185
; %bb.186:
	s_mov_b32 s1, 0
.LBB2066_187:                           ; =>This Inner Loop Header: Depth=1
	s_wait_xcnt 0x0
	s_add_co_i32 s3, s51, s1
	scratch_load_b64 v[0:1], off, s1
	scratch_load_b64 v[2:3], off, s3
	v_add_nc_u32_e32 v16, s1, v6
	s_mov_b32 s2, s1
	s_wait_xcnt 0x1
	s_add_co_i32 s1, s1, 8
                                        ; kill: killed $sgpr3
                                        ; kill: killed $sgpr2
	s_delay_alu instid0(SALU_CYCLE_1)
	s_cmp_lg_u32 s1, 16
	s_wait_loadcnt 0x0
	v_dual_add_nc_u32 v1, v3, v1 :: v_dual_add_nc_u32 v0, v2, v0
	ds_store_2addr_b32 v16, v0, v1 offset1:1
	s_cbranch_scc1 .LBB2066_187
; %bb.188:
	ds_load_2addr_b32 v[0:1], v6 offset1:1
	ds_load_2addr_b32 v[2:3], v6 offset0:2 offset1:3
.LBB2066_189:
	s_wait_xcnt 0x0
	s_or_b32 exec_lo, exec_lo, s0
	scratch_load_u8 v16, off, off offset:436
	s_mov_b32 s0, exec_lo
	s_wait_loadcnt_dscnt 0x100
	scratch_store_b128 off, v[0:3], off
                                        ; implicit-def: $vgpr2_vgpr3
	s_wait_loadcnt 0x0
	v_cmpx_ne_u16_e32 0, v16
	s_xor_b32 s0, exec_lo, s0
	s_cbranch_execz .LBB2066_191
; %bb.190:
	scratch_load_b128 v[0:3], off, off offset:420
                                        ; implicit-def: $vgpr6
.LBB2066_191:
	s_wait_xcnt 0x0
	s_and_not1_saveexec_b32 s0, s0
	s_cbranch_execz .LBB2066_197
; %bb.192:
	s_wait_loadcnt 0x0
	v_mov_b32_e32 v0, 0
	s_mov_b32 s1, 0
.LBB2066_193:                           ; =>This Inner Loop Header: Depth=1
	s_delay_alu instid0(SALU_CYCLE_1) | instskip(SKIP_1) | instid1(SALU_CYCLE_1)
	v_add_nc_u32_e32 v1, s1, v6
	s_add_co_i32 s1, s1, 8
	s_cmp_lg_u32 s1, 16
	ds_store_2addr_b32 v1, v0, v0 offset1:1
	s_cbranch_scc1 .LBB2066_193
; %bb.194:
	s_mov_b32 s1, 0
.LBB2066_195:                           ; =>This Inner Loop Header: Depth=1
	s_wait_xcnt 0x0
	s_add_co_i32 s3, s52, s1
	scratch_load_b64 v[0:1], off, s1
	scratch_load_b64 v[2:3], off, s3
	v_add_nc_u32_e32 v17, s1, v6
	s_mov_b32 s2, s1
	s_wait_xcnt 0x1
	s_add_co_i32 s1, s1, 8
                                        ; kill: killed $sgpr3
                                        ; kill: killed $sgpr2
	s_delay_alu instid0(SALU_CYCLE_1)
	s_cmp_lg_u32 s1, 16
	s_wait_loadcnt 0x0
	v_dual_add_nc_u32 v1, v3, v1 :: v_dual_add_nc_u32 v0, v2, v0
	ds_store_2addr_b32 v17, v0, v1 offset1:1
	s_cbranch_scc1 .LBB2066_195
; %bb.196:
	ds_load_2addr_b32 v[0:1], v6 offset1:1
	ds_load_2addr_b32 v[2:3], v6 offset0:2 offset1:3
.LBB2066_197:
	s_wait_xcnt 0x0
	s_or_b32 exec_lo, exec_lo, s0
	s_clause 0x1
	scratch_load_u16 v6, off, off offset:17
	scratch_load_i8 v17, off, off offset:19
	v_and_b32_e32 v15, 1, v15
	v_bitop3_b16 v4, v4, 0xff, v5 bitop3:0xc8
	v_and_b32_e32 v5, 1, v7
	v_or_b32_e32 v7, v9, v8
	v_or_b32_e32 v9, v14, v13
	v_and_b32_e32 v8, 1, v12
	v_and_b32_e32 v12, 1, v16
	v_cmp_eq_u32_e64 s7, 1, v5
	v_lshrrev_b32_e32 v5, 5, v10
	v_cmp_eq_u32_e32 vcc_lo, 1, v15
	v_cmp_ne_u16_e64 s2, 0, v9
	v_cmp_ne_u16_e64 s1, 0, v7
	v_cmp_eq_u32_e64 s3, 1, v8
	v_cmp_eq_u32_e64 s6, 1, v12
	v_cmp_ne_u16_e64 s0, 0, v4
	s_or_b32 s2, s2, vcc_lo
	v_mul_u32_u24_e32 v7, 20, v10
	s_or_b32 s1, s1, s3
	s_or_b32 s2, s6, s2
	;; [unrolled: 1-line block ×4, first 2 shown]
	v_mad_u32_u24 v5, v5, 20, v7
	s_or_b32 s2, s1, s0
	v_cmp_gt_u32_e32 vcc_lo, 32, v10
	v_cndmask_b32_e64 v14, 0, 1, s2
	s_wait_loadcnt_dscnt 0x201
	ds_store_2addr_b32 v5, v0, v1 offset1:1
	s_wait_dscnt 0x1
	ds_store_2addr_b32 v5, v2, v3 offset0:2 offset1:3
	ds_store_b8 v5, v14 offset:16
	s_wait_loadcnt 0x1
	v_lshlrev_b16 v4, 8, v6
	s_wait_loadcnt 0x0
	v_perm_b32 v6, v6, v17, 0xc0c0005
	s_delay_alu instid0(VALU_DEP_2) | instskip(NEXT) | instid1(VALU_DEP_1)
	v_or_b32_e32 v4, v14, v4
	v_and_b32_e32 v4, 0xffff, v4
	s_delay_alu instid0(VALU_DEP_1)
	v_lshl_or_b32 v4, v6, 16, v4
	s_clause 0x1
	scratch_store_b128 off, v[0:3], off offset:216
	scratch_store_b32 off, v4, off offset:232
	s_wait_storecnt_dscnt 0x0
	s_barrier_signal -1
	s_barrier_wait -1
	s_wait_xcnt 0x0
	s_and_saveexec_b32 s3, vcc_lo
	s_cbranch_execz .LBB2066_265
; %bb.198:
	v_lshrrev_b32_e32 v12, 4, v10
	v_mul_u32_u24_e32 v13, 40, v10
	v_mul_lo_u32 v17, v11, 20
	s_delay_alu instid0(VALU_DEP_2)
	v_mad_u32_u24 v8, v12, 20, v13
	ds_load_u8 v15, v8 offset:36
	ds_load_b32 v16, v8 offset:16
	ds_load_2addr_b32 v[4:5], v8 offset1:1
	ds_load_2addr_b32 v[6:7], v8 offset0:2 offset1:3
	v_add_nc_u32_e32 v9, 0x2c00, v17
	v_add_nc_u32_e32 v18, 0x2c08, v17
	s_wait_dscnt 0x1
	ds_store_2addr_b32 v9, v4, v5 offset1:1
	s_wait_dscnt 0x1
	ds_store_2addr_b32 v18, v6, v7 offset1:1
	ds_store_b32 v17, v16 offset:11280
	v_cmp_ne_u16_e64 s0, 0, v15
                                        ; implicit-def: $vgpr4_vgpr5
	s_and_saveexec_b32 s1, s0
	s_delay_alu instid0(SALU_CYCLE_1)
	s_xor_b32 s0, exec_lo, s1
	s_cbranch_execz .LBB2066_200
; %bb.199:
	ds_load_2addr_b32 v[4:5], v8 offset0:5 offset1:6
	ds_load_2addr_b32 v[6:7], v8 offset0:7 offset1:8
.LBB2066_200:
	s_and_not1_saveexec_b32 s0, s0
	s_cbranch_execz .LBB2066_206
; %bb.201:
	s_wait_dscnt 0x1
	v_mov_b64_e32 v[4:5], 0
	s_mov_b32 s1, 0
.LBB2066_202:                           ; =>This Inner Loop Header: Depth=1
	s_wait_xcnt 0x0
	s_mov_b32 s6, s1
	s_add_co_i32 s1, s1, 8
	scratch_store_b64 off, v[4:5], s6
	s_cmp_lg_u32 s1, 16
	s_cbranch_scc1 .LBB2066_202
; %bb.203:
	s_wait_xcnt 0x0
	v_mul_u32_u24_e32 v4, 20, v12
	s_mov_b32 s1, 0
	s_delay_alu instid0(VALU_DEP_1)
	v_add3_u32 v4, v13, v4, 20
.LBB2066_204:                           ; =>This Inner Loop Header: Depth=1
	s_delay_alu instid0(VALU_DEP_1)
	v_dual_add_nc_u32 v5, s1, v9 :: v_dual_add_nc_u32 v17, s1, v4
	s_wait_xcnt 0x0
	s_mov_b32 s6, s1
	s_add_co_i32 s1, s1, 8
	s_wait_dscnt 0x0
	ds_load_2addr_b32 v[6:7], v5 offset1:1
	ds_load_2addr_b32 v[18:19], v17 offset1:1
	s_cmp_lg_u32 s1, 16
	s_wait_dscnt 0x0
	v_dual_add_nc_u32 v7, v19, v7 :: v_dual_add_nc_u32 v6, v18, v6
	scratch_store_b64 off, v[6:7], s6
	s_cbranch_scc1 .LBB2066_204
; %bb.205:
	scratch_load_b128 v[4:7], off, off
.LBB2066_206:
	s_wait_xcnt 0x0
	s_or_b32 exec_lo, exec_lo, s0
	v_bitop3_b16 v15, v15, 1, v16 bitop3:0xc8
	s_wait_loadcnt_dscnt 0x1
	v_mov_b32_dpp v20, v4 row_shr:1 row_mask:0xf bank_mask:0xf
	v_mov_b32_dpp v21, v5 row_shr:1 row_mask:0xf bank_mask:0xf
	s_wait_dscnt 0x0
	v_mov_b32_dpp v22, v6 row_shr:1 row_mask:0xf bank_mask:0xf
	v_mov_b32_dpp v23, v7 row_shr:1 row_mask:0xf bank_mask:0xf
	ds_store_b8 v9, v15 offset:16
	ds_load_b32 v16, v9 offset:16
	v_mbcnt_lo_u32_b32 v15, -1, 0
	s_mov_b32 s1, exec_lo
	ds_store_2addr_b32 v9, v4, v5 offset1:1
	ds_store_2addr_b32 v9, v6, v7 offset0:2 offset1:3
	v_and_b32_e32 v17, 15, v15
	s_wait_dscnt 0x2
	v_mov_b32_dpp v18, v16 row_shr:1 row_mask:0xf bank_mask:0xf
	s_clause 0x1
	scratch_store_b128 off, v[20:23], off
	scratch_store_b32 off, v18, off offset:16
	s_wait_xcnt 0x0
	v_cmpx_ne_u32_e32 0, v17
	s_xor_b32 s1, exec_lo, s1
	s_cbranch_execz .LBB2066_214
; %bb.207:
	v_and_b32_e32 v19, 0xff, v16
	s_mov_b32 s6, exec_lo
	s_delay_alu instid0(VALU_DEP_1)
	v_cmpx_eq_u16_e32 0, v19
	s_cbranch_execz .LBB2066_213
; %bb.208:
	v_mov_b64_e32 v[4:5], 0
	s_mov_b32 s0, 0
.LBB2066_209:                           ; =>This Inner Loop Header: Depth=1
	s_wait_xcnt 0x0
	s_add_co_i32 s7, s0, 0xb0
	s_add_co_i32 s0, s0, 8
	scratch_store_b64 off, v[4:5], s7
	s_cmp_lg_u32 s0, 16
	s_cbranch_scc1 .LBB2066_209
; %bb.210:
	s_mov_b32 s0, 0
.LBB2066_211:                           ; =>This Inner Loop Header: Depth=1
	scratch_load_b64 v[4:5], off, s0
	v_add_nc_u32_e32 v6, s0, v9
	s_add_co_i32 s7, s0, 0xb0
	s_wait_xcnt 0x0
	s_add_co_i32 s0, s0, 8
	s_delay_alu instid0(SALU_CYCLE_1)
	s_cmp_lg_u32 s0, 16
	ds_load_2addr_b32 v[6:7], v6 offset1:1
	s_wait_loadcnt_dscnt 0x0
	v_dual_add_nc_u32 v5, v7, v5 :: v_dual_add_nc_u32 v4, v6, v4
	scratch_store_b64 off, v[4:5], s7
	s_cbranch_scc1 .LBB2066_211
; %bb.212:
	scratch_load_b128 v[4:7], off, off offset:176
.LBB2066_213:
	s_wait_xcnt 0x0
	s_or_b32 exec_lo, exec_lo, s6
	v_or_b32_e32 v16, v18, v16
	s_delay_alu instid0(VALU_DEP_1)
	v_and_b32_e32 v16, 1, v16
	ds_store_b8 v9, v16 offset:16
	ds_load_b32 v16, v9 offset:16
	s_wait_loadcnt 0x0
	ds_store_2addr_b32 v9, v4, v5 offset1:1
	ds_store_2addr_b32 v9, v6, v7 offset0:2 offset1:3
.LBB2066_214:
	s_or_b32 exec_lo, exec_lo, s1
	v_mov_b32_dpp v20, v4 row_shr:2 row_mask:0xf bank_mask:0xf
	v_mov_b32_dpp v21, v5 row_shr:2 row_mask:0xf bank_mask:0xf
	;; [unrolled: 1-line block ×4, first 2 shown]
	s_wait_dscnt 0x2
	v_mov_b32_dpp v18, v16 row_shr:2 row_mask:0xf bank_mask:0xf
	s_mov_b32 s6, exec_lo
	s_clause 0x1
	scratch_store_b128 off, v[20:23], off
	scratch_store_b32 off, v18, off offset:16
	s_wait_xcnt 0x0
	v_cmpx_lt_u32_e32 1, v17
	s_cbranch_execz .LBB2066_222
; %bb.215:
	v_and_b32_e32 v19, 0xff, v16
	s_mov_b32 s7, 0
	s_mov_b32 s1, exec_lo
	s_delay_alu instid0(VALU_DEP_1)
	v_cmpx_eq_u16_e32 0, v19
	s_cbranch_execz .LBB2066_221
; %bb.216:
	v_mov_b64_e32 v[4:5], 0
.LBB2066_217:                           ; =>This Inner Loop Header: Depth=1
	s_wait_xcnt 0x0
	s_add_co_i32 s0, s7, 0xb0
	s_add_co_i32 s7, s7, 8
	scratch_store_b64 off, v[4:5], s0
	s_cmp_lg_u32 s7, 16
	s_cbranch_scc1 .LBB2066_217
; %bb.218:
	s_wait_xcnt 0x0
	s_mov_b32 s0, 0
.LBB2066_219:                           ; =>This Inner Loop Header: Depth=1
	scratch_load_b64 v[4:5], off, s0
	v_add_nc_u32_e32 v6, s0, v9
	s_add_co_i32 s7, s0, 0xb0
	s_wait_xcnt 0x0
	s_add_co_i32 s0, s0, 8
	s_delay_alu instid0(SALU_CYCLE_1)
	s_cmp_lg_u32 s0, 16
	ds_load_2addr_b32 v[6:7], v6 offset1:1
	s_wait_loadcnt_dscnt 0x0
	v_dual_add_nc_u32 v5, v7, v5 :: v_dual_add_nc_u32 v4, v6, v4
	scratch_store_b64 off, v[4:5], s7
	s_cbranch_scc1 .LBB2066_219
; %bb.220:
	scratch_load_b128 v[4:7], off, off offset:176
.LBB2066_221:
	s_wait_xcnt 0x0
	s_or_b32 exec_lo, exec_lo, s1
	v_and_b32_e32 v16, 1, v16
	v_and_b32_e32 v18, 1, v18
	s_delay_alu instid0(VALU_DEP_2) | instskip(NEXT) | instid1(VALU_DEP_2)
	v_cmp_eq_u32_e64 s0, 1, v16
	v_cmp_eq_u32_e64 s1, 1, v18
	s_or_b32 s0, s0, s1
	s_delay_alu instid0(SALU_CYCLE_1)
	v_cndmask_b32_e64 v16, 0, 1, s0
	ds_store_b8 v9, v16 offset:16
	ds_load_b32 v16, v9 offset:16
	s_wait_loadcnt 0x0
	ds_store_2addr_b32 v9, v4, v5 offset1:1
	ds_store_2addr_b32 v9, v6, v7 offset0:2 offset1:3
.LBB2066_222:
	s_or_b32 exec_lo, exec_lo, s6
	v_mov_b32_dpp v20, v4 row_shr:4 row_mask:0xf bank_mask:0xf
	v_mov_b32_dpp v21, v5 row_shr:4 row_mask:0xf bank_mask:0xf
	;; [unrolled: 1-line block ×4, first 2 shown]
	s_wait_dscnt 0x2
	v_mov_b32_dpp v18, v16 row_shr:4 row_mask:0xf bank_mask:0xf
	s_mov_b32 s6, exec_lo
	s_clause 0x1
	scratch_store_b128 off, v[20:23], off
	scratch_store_b32 off, v18, off offset:16
	s_wait_xcnt 0x0
	v_cmpx_lt_u32_e32 3, v17
	s_cbranch_execz .LBB2066_230
; %bb.223:
	v_and_b32_e32 v19, 0xff, v16
	s_mov_b32 s7, 0
	s_mov_b32 s1, exec_lo
	s_delay_alu instid0(VALU_DEP_1)
	v_cmpx_eq_u16_e32 0, v19
	s_cbranch_execz .LBB2066_229
; %bb.224:
	v_mov_b64_e32 v[4:5], 0
.LBB2066_225:                           ; =>This Inner Loop Header: Depth=1
	s_wait_xcnt 0x0
	s_add_co_i32 s0, s7, 0xb0
	s_add_co_i32 s7, s7, 8
	scratch_store_b64 off, v[4:5], s0
	s_cmp_lg_u32 s7, 16
	s_cbranch_scc1 .LBB2066_225
; %bb.226:
	s_wait_xcnt 0x0
	s_mov_b32 s0, 0
.LBB2066_227:                           ; =>This Inner Loop Header: Depth=1
	scratch_load_b64 v[4:5], off, s0
	v_add_nc_u32_e32 v6, s0, v9
	s_add_co_i32 s7, s0, 0xb0
	s_wait_xcnt 0x0
	s_add_co_i32 s0, s0, 8
	s_delay_alu instid0(SALU_CYCLE_1)
	s_cmp_lg_u32 s0, 16
	ds_load_2addr_b32 v[6:7], v6 offset1:1
	s_wait_loadcnt_dscnt 0x0
	v_dual_add_nc_u32 v5, v7, v5 :: v_dual_add_nc_u32 v4, v6, v4
	scratch_store_b64 off, v[4:5], s7
	s_cbranch_scc1 .LBB2066_227
; %bb.228:
	scratch_load_b128 v[4:7], off, off offset:176
.LBB2066_229:
	s_wait_xcnt 0x0
	s_or_b32 exec_lo, exec_lo, s1
	v_and_b32_e32 v16, 1, v16
	v_and_b32_e32 v18, 1, v18
	s_delay_alu instid0(VALU_DEP_2) | instskip(NEXT) | instid1(VALU_DEP_2)
	v_cmp_eq_u32_e64 s0, 1, v16
	v_cmp_eq_u32_e64 s1, 1, v18
	s_or_b32 s0, s0, s1
	s_delay_alu instid0(SALU_CYCLE_1)
	v_cndmask_b32_e64 v16, 0, 1, s0
	ds_store_b8 v9, v16 offset:16
	ds_load_b32 v16, v9 offset:16
	s_wait_loadcnt 0x0
	ds_store_2addr_b32 v9, v4, v5 offset1:1
	ds_store_2addr_b32 v9, v6, v7 offset0:2 offset1:3
.LBB2066_230:
	s_or_b32 exec_lo, exec_lo, s6
	v_mov_b32_dpp v20, v4 row_shr:8 row_mask:0xf bank_mask:0xf
	v_mov_b32_dpp v21, v5 row_shr:8 row_mask:0xf bank_mask:0xf
	;; [unrolled: 1-line block ×4, first 2 shown]
	s_wait_dscnt 0x2
	v_mov_b32_dpp v18, v16 row_shr:8 row_mask:0xf bank_mask:0xf
	s_mov_b32 s6, exec_lo
	s_clause 0x1
	scratch_store_b128 off, v[20:23], off
	scratch_store_b32 off, v18, off offset:16
	s_wait_xcnt 0x0
	v_cmpx_lt_u32_e32 7, v17
	s_cbranch_execz .LBB2066_238
; %bb.231:
	v_and_b32_e32 v17, 0xff, v16
	s_mov_b32 s7, 0
	s_mov_b32 s1, exec_lo
	s_delay_alu instid0(VALU_DEP_1)
	v_cmpx_eq_u16_e32 0, v17
	s_cbranch_execz .LBB2066_237
; %bb.232:
	v_mov_b64_e32 v[4:5], 0
.LBB2066_233:                           ; =>This Inner Loop Header: Depth=1
	s_wait_xcnt 0x0
	s_add_co_i32 s0, s7, 0xb0
	s_add_co_i32 s7, s7, 8
	scratch_store_b64 off, v[4:5], s0
	s_cmp_lg_u32 s7, 16
	s_cbranch_scc1 .LBB2066_233
; %bb.234:
	s_wait_xcnt 0x0
	s_mov_b32 s0, 0
.LBB2066_235:                           ; =>This Inner Loop Header: Depth=1
	scratch_load_b64 v[4:5], off, s0
	v_add_nc_u32_e32 v6, s0, v9
	s_add_co_i32 s7, s0, 0xb0
	s_wait_xcnt 0x0
	s_add_co_i32 s0, s0, 8
	s_delay_alu instid0(SALU_CYCLE_1)
	s_cmp_lg_u32 s0, 16
	ds_load_2addr_b32 v[6:7], v6 offset1:1
	s_wait_loadcnt_dscnt 0x0
	v_dual_add_nc_u32 v5, v7, v5 :: v_dual_add_nc_u32 v4, v6, v4
	scratch_store_b64 off, v[4:5], s7
	s_cbranch_scc1 .LBB2066_235
; %bb.236:
	scratch_load_b128 v[4:7], off, off offset:176
.LBB2066_237:
	s_wait_xcnt 0x0
	s_or_b32 exec_lo, exec_lo, s1
	v_and_b32_e32 v16, 1, v16
	v_and_b32_e32 v17, 1, v18
	s_delay_alu instid0(VALU_DEP_2) | instskip(NEXT) | instid1(VALU_DEP_2)
	v_cmp_eq_u32_e64 s0, 1, v16
	v_cmp_eq_u32_e64 s1, 1, v17
	s_or_b32 s0, s0, s1
	s_delay_alu instid0(SALU_CYCLE_1)
	v_cndmask_b32_e64 v16, 0, 1, s0
	ds_store_b8 v9, v16 offset:16
	ds_load_b32 v16, v9 offset:16
	s_wait_loadcnt 0x0
	ds_store_2addr_b32 v9, v4, v5 offset1:1
	ds_store_2addr_b32 v9, v6, v7 offset0:2 offset1:3
.LBB2066_238:
	s_or_b32 exec_lo, exec_lo, s6
	ds_swizzle_b32 v18, v4 offset:swizzle(BROADCAST,32,15)
	ds_swizzle_b32 v19, v5 offset:swizzle(BROADCAST,32,15)
	;; [unrolled: 1-line block ×4, first 2 shown]
	s_wait_dscnt 0x6
	ds_swizzle_b32 v17, v16 offset:swizzle(BROADCAST,32,15)
	v_and_b32_e32 v22, 16, v15
	s_mov_b32 s6, exec_lo
	s_wait_dscnt 0x1
	scratch_store_b128 off, v[18:21], off
	s_wait_dscnt 0x0
	scratch_store_b32 off, v17, off offset:16
	s_wait_xcnt 0x0
	v_cmpx_ne_u32_e32 0, v22
	s_cbranch_execz .LBB2066_246
; %bb.239:
	v_and_b32_e32 v18, 0xff, v16
	s_mov_b32 s7, 0
	s_mov_b32 s1, exec_lo
	s_delay_alu instid0(VALU_DEP_1)
	v_cmpx_eq_u16_e32 0, v18
	s_cbranch_execz .LBB2066_245
; %bb.240:
	v_mov_b64_e32 v[4:5], 0
.LBB2066_241:                           ; =>This Inner Loop Header: Depth=1
	s_wait_xcnt 0x0
	s_add_co_i32 s0, s7, 0xb0
	s_add_co_i32 s7, s7, 8
	scratch_store_b64 off, v[4:5], s0
	s_cmp_lg_u32 s7, 16
	s_cbranch_scc1 .LBB2066_241
; %bb.242:
	s_wait_xcnt 0x0
	s_mov_b32 s0, 0
.LBB2066_243:                           ; =>This Inner Loop Header: Depth=1
	scratch_load_b64 v[4:5], off, s0
	v_add_nc_u32_e32 v6, s0, v9
	s_add_co_i32 s7, s0, 0xb0
	s_wait_xcnt 0x0
	s_add_co_i32 s0, s0, 8
	s_delay_alu instid0(SALU_CYCLE_1)
	s_cmp_lg_u32 s0, 16
	ds_load_2addr_b32 v[6:7], v6 offset1:1
	s_wait_loadcnt_dscnt 0x0
	v_dual_add_nc_u32 v5, v7, v5 :: v_dual_add_nc_u32 v4, v6, v4
	scratch_store_b64 off, v[4:5], s7
	s_cbranch_scc1 .LBB2066_243
; %bb.244:
	scratch_load_b128 v[4:7], off, off offset:176
.LBB2066_245:
	s_wait_xcnt 0x0
	s_or_b32 exec_lo, exec_lo, s1
	v_and_b32_e32 v16, 1, v16
	v_and_b32_e32 v17, 1, v17
	s_delay_alu instid0(VALU_DEP_2) | instskip(NEXT) | instid1(VALU_DEP_2)
	v_cmp_eq_u32_e64 s0, 1, v16
	v_cmp_eq_u32_e64 s1, 1, v17
	s_or_b32 s0, s0, s1
	s_delay_alu instid0(SALU_CYCLE_1)
	v_cndmask_b32_e64 v16, 0, 1, s0
	ds_store_b8 v9, v16 offset:16
	ds_load_b32 v16, v9 offset:16
.LBB2066_246:
	s_or_b32 exec_lo, exec_lo, s6
	v_add_nc_u32_e32 v17, -1, v15
	s_delay_alu instid0(VALU_DEP_1) | instskip(NEXT) | instid1(VALU_DEP_1)
	v_cmp_gt_i32_e64 s0, 0, v17
	v_cndmask_b32_e64 v15, v17, v15, s0
	s_delay_alu instid0(VALU_DEP_1)
	v_lshlrev_b32_e32 v17, 2, v15
	ds_load_u8 v15, v8 offset:16
	s_wait_loadcnt 0x0
	ds_bpermute_b32 v4, v17, v4
	ds_bpermute_b32 v5, v17, v5
	s_wait_dscnt 0x3
	ds_bpermute_b32 v16, v17, v16
	ds_bpermute_b32 v6, v17, v6
	;; [unrolled: 1-line block ×3, first 2 shown]
	s_wait_dscnt 0x3
	ds_store_2addr_b32 v9, v4, v5 offset1:1
	s_wait_dscnt 0x1
	ds_store_2addr_b32 v9, v6, v7 offset0:2 offset1:3
	v_cmp_ne_u16_e64 s0, 0, v15
                                        ; implicit-def: $vgpr6_vgpr7
	s_and_saveexec_b32 s1, s0
	s_delay_alu instid0(SALU_CYCLE_1)
	s_xor_b32 s0, exec_lo, s1
	s_cbranch_execz .LBB2066_248
; %bb.247:
	ds_load_2addr_b32 v[4:5], v8 offset1:1
	ds_load_2addr_b32 v[6:7], v8 offset0:2 offset1:3
.LBB2066_248:
	s_and_not1_saveexec_b32 s0, s0
	s_cbranch_execz .LBB2066_254
; %bb.249:
	s_wait_dscnt 0x1
	v_mov_b64_e32 v[4:5], 0
	s_mov_b32 s1, 0
.LBB2066_250:                           ; =>This Inner Loop Header: Depth=1
	s_wait_xcnt 0x0
	s_mov_b32 s6, s1
	s_add_co_i32 s1, s1, 8
	scratch_store_b64 off, v[4:5], s6
	s_cmp_lg_u32 s1, 16
	s_cbranch_scc1 .LBB2066_250
; %bb.251:
	s_mov_b32 s1, 0
.LBB2066_252:                           ; =>This Inner Loop Header: Depth=1
	s_wait_dscnt 0x0
	s_wait_xcnt 0x0
	v_dual_add_nc_u32 v4, s1, v9 :: v_dual_add_nc_u32 v6, s1, v8
	s_mov_b32 s6, s1
	s_add_co_i32 s1, s1, 8
	ds_load_2addr_b32 v[4:5], v4 offset1:1
	ds_load_2addr_b32 v[6:7], v6 offset1:1
	s_cmp_lg_u32 s1, 16
	s_wait_dscnt 0x0
	v_dual_add_nc_u32 v5, v7, v5 :: v_dual_add_nc_u32 v4, v6, v4
	scratch_store_b64 off, v[4:5], s6
	s_cbranch_scc1 .LBB2066_252
; %bb.253:
	scratch_load_b128 v[4:7], off, off
.LBB2066_254:
	s_wait_xcnt 0x0
	s_or_b32 exec_lo, exec_lo, s0
	v_and_b32_e32 v15, 1, v15
	v_and_b32_e32 v16, 1, v16
	s_delay_alu instid0(VALU_DEP_2) | instskip(NEXT) | instid1(VALU_DEP_2)
	v_cmp_eq_u32_e64 s0, 1, v15
	v_cmp_eq_u32_e64 s1, 1, v16
	s_or_b32 s0, s1, s0
	s_delay_alu instid0(SALU_CYCLE_1)
	v_cndmask_b32_e64 v15, 0, 1, s0
	s_wait_loadcnt_dscnt 0x1
	ds_store_2addr_b32 v9, v4, v5 offset1:1
	s_wait_dscnt 0x1
	ds_store_2addr_b32 v9, v6, v7 offset0:2 offset1:3
	ds_store_b8 v9, v15 offset:16
	s_and_saveexec_b32 s0, s4
	s_cbranch_execz .LBB2066_256
; %bb.255:
	ds_store_2addr_b32 v9, v0, v1 offset1:1
	ds_store_2addr_b32 v9, v2, v3 offset0:2 offset1:3
	ds_store_b8 v9, v14 offset:16
.LBB2066_256:
	s_or_b32 exec_lo, exec_lo, s0
	; wave barrier
	ds_load_2addr_b32 v[0:1], v9 offset0:2 offset1:3
	ds_load_u8 v4, v9 offset:16
	ds_load_2addr_b32 v[2:3], v9 offset1:1
	s_wait_dscnt 0x2
	ds_store_2addr_b32 v8, v0, v1 offset0:2 offset1:3
	s_wait_dscnt 0x1
	ds_store_2addr_b32 v8, v2, v3 offset1:1
	ds_store_b8 v8, v4 offset:16
	; wave barrier
	ds_load_u8 v4, v8 offset:36
	ds_load_u8 v5, v9 offset:16
                                        ; implicit-def: $vgpr2_vgpr3
	s_wait_dscnt 0x1
	v_cmp_ne_u16_e64 s0, 0, v4
	s_and_saveexec_b32 s1, s0
	s_delay_alu instid0(SALU_CYCLE_1)
	s_xor_b32 s0, exec_lo, s1
	s_cbranch_execz .LBB2066_258
; %bb.257:
	ds_load_2addr_b32 v[0:1], v8 offset0:5 offset1:6
	ds_load_2addr_b32 v[2:3], v8 offset0:7 offset1:8
                                        ; implicit-def: $vgpr12
                                        ; implicit-def: $vgpr13
.LBB2066_258:
	s_and_not1_saveexec_b32 s0, s0
	s_cbranch_execz .LBB2066_264
; %bb.259:
	s_wait_dscnt 0x1
	v_mov_b64_e32 v[0:1], 0
	s_mov_b32 s1, 0
.LBB2066_260:                           ; =>This Inner Loop Header: Depth=1
	s_wait_xcnt 0x0
	s_mov_b32 s6, s1
	s_add_co_i32 s1, s1, 8
	scratch_store_b64 off, v[0:1], s6
	s_cmp_lg_u32 s1, 16
	s_cbranch_scc1 .LBB2066_260
; %bb.261:
	s_wait_xcnt 0x0
	v_mul_u32_u24_e32 v0, 20, v12
	s_mov_b32 s1, 0
	s_delay_alu instid0(VALU_DEP_1)
	v_add3_u32 v0, v13, v0, 20
.LBB2066_262:                           ; =>This Inner Loop Header: Depth=1
	s_delay_alu instid0(VALU_DEP_1)
	v_dual_add_nc_u32 v1, s1, v9 :: v_dual_add_nc_u32 v6, s1, v0
	s_wait_xcnt 0x0
	s_mov_b32 s6, s1
	s_add_co_i32 s1, s1, 8
	s_wait_dscnt 0x0
	ds_load_2addr_b32 v[2:3], v1 offset1:1
	ds_load_2addr_b32 v[6:7], v6 offset1:1
	s_cmp_lg_u32 s1, 16
	s_wait_dscnt 0x0
	v_dual_add_nc_u32 v3, v7, v3 :: v_dual_add_nc_u32 v2, v6, v2
	scratch_store_b64 off, v[2:3], s6
	s_cbranch_scc1 .LBB2066_262
; %bb.263:
	scratch_load_b128 v[0:3], off, off
.LBB2066_264:
	s_wait_xcnt 0x0
	s_or_b32 exec_lo, exec_lo, s0
	s_wait_dscnt 0x0
	v_bitop3_b16 v4, v4, 1, v5 bitop3:0xc8
	s_wait_loadcnt 0x0
	ds_store_2addr_b32 v9, v0, v1 offset1:1
	ds_store_2addr_b32 v9, v2, v3 offset0:2 offset1:3
	ds_store_2addr_b32 v8, v2, v3 offset0:7 offset1:8
	;; [unrolled: 1-line block ×3, first 2 shown]
	ds_store_b8 v8, v4 offset:36
.LBB2066_265:
	s_or_b32 exec_lo, exec_lo, s3
	s_wait_storecnt_dscnt 0x0
	s_barrier_signal -1
	s_barrier_wait -1
	s_and_saveexec_b32 s1, s5
	s_cbranch_execz .LBB2066_267
; %bb.266:
	v_add_nc_u32_e32 v0, -1, v10
	s_and_not1_b32 s2, s2, exec_lo
	s_delay_alu instid0(VALU_DEP_1) | instskip(SKIP_1) | instid1(VALU_DEP_1)
	v_lshrrev_b32_e32 v1, 5, v0
	v_mul_i32_i24_e32 v0, 20, v0
	v_mad_u32 v0, v1, 20, v0
	ds_load_u8 v4, v0 offset:16
	ds_load_2addr_b32 v[2:3], v0 offset0:2 offset1:3
	ds_load_2addr_b32 v[0:1], v0 offset1:1
	s_wait_dscnt 0x0
	s_clause 0x1
	scratch_store_b128 off, v[0:3], off offset:216
	scratch_store_b8 off, v4, off offset:232
	v_and_b32_e32 v5, 1, v4
	s_delay_alu instid0(VALU_DEP_1) | instskip(SKIP_1) | instid1(SALU_CYCLE_1)
	v_cmp_eq_u32_e64 s0, 1, v5
	s_and_b32 s0, s0, exec_lo
	s_or_b32 s2, s2, s0
.LBB2066_267:
	s_wait_xcnt 0x0
	s_or_b32 exec_lo, exec_lo, s1
	s_and_saveexec_b32 s3, vcc_lo
	s_cbranch_execz .LBB2066_391
; %bb.268:
	v_mov_b32_e32 v4, 0
	v_mbcnt_lo_u32_b32 v15, -1, 0
	s_mov_b32 s1, 0
	ds_load_b128 v[0:3], v4 offset:1280
	ds_load_b32 v14, v4 offset:1296
	v_cmp_eq_u32_e64 s0, 0, v15
	s_wait_dscnt 0x1
	scratch_store_b128 off, v[0:3], off offset:196
	s_wait_dscnt 0x0
	scratch_store_b32 off, v14, off offset:212
	s_wait_xcnt 0x0
	s_and_saveexec_b32 s6, s0
	s_cbranch_execz .LBB2066_270
; %bb.269:
	s_add_co_i32 s8, s38, 32
	s_mov_b32 s9, 0
	v_dual_mov_b32 v5, 1 :: v_dual_mov_b32 v6, s8
	s_mul_u64 s[10:11], s[8:9], 20
	s_delay_alu instid0(SALU_CYCLE_1)
	s_add_nc_u64 s[8:9], s[16:17], s[10:11]
	s_clause 0x1
	global_store_b128 v4, v[0:3], s[8:9]
	global_store_b8 v4, v14, s[8:9] offset:16
	global_wb scope:SCOPE_DEV
	s_wait_storecnt 0x0
	global_inv scope:SCOPE_DEV
	s_wait_xcnt 0x0
	global_store_b8 v6, v5, s[20:21] scope:SCOPE_DEV
.LBB2066_270:
	s_wait_xcnt 0x0
	s_or_b32 exec_lo, exec_lo, s6
	v_mul_lo_u32 v5, v11, 20
	s_delay_alu instid0(VALU_DEP_1)
	v_add_nc_u32_e32 v16, 0x3100, v5
	v_add_nc_u32_e32 v6, 0x3108, v5
	ds_store_2addr_b32 v16, v4, v4 offset1:1
	ds_store_2addr_b32 v6, v4, v4 offset1:1
	ds_store_b32 v5, v4 offset:12560
.LBB2066_271:                           ; =>This Inner Loop Header: Depth=1
	v_add_nc_u32_e32 v5, s1, v16
	s_add_co_i32 s1, s1, 8
	s_delay_alu instid0(SALU_CYCLE_1)
	s_cmp_lg_u32 s1, 16
	ds_store_2addr_b32 v5, v4, v4 offset1:1
	s_cbranch_scc1 .LBB2066_271
; %bb.272:
	v_mov_b32_e32 v6, 0
	v_mov_b64_e32 v[4:5], 0
	s_mov_b32 s1, 0
	s_delay_alu instid0(VALU_DEP_2)
	v_dual_mov_b32 v7, v6 :: v_dual_mov_b32 v8, v6
	v_mov_b32_e32 v9, v6
	ds_store_b8 v16, v6 offset:16
	s_clause 0x1
	scratch_store_b32 off, v6, off offset:192
	scratch_store_b128 off, v[6:9], off offset:176
.LBB2066_273:                           ; =>This Inner Loop Header: Depth=1
	s_wait_xcnt 0x0
	s_add_co_i32 s6, s1, 0xb0
	s_add_co_i32 s1, s1, 8
	scratch_store_b64 off, v[4:5], s6
	s_cmp_lg_u32 s1, 16
	s_cbranch_scc1 .LBB2066_273
; %bb.274:
	s_wait_xcnt 0x1
	v_xad_u32 v8, v15, -1, s38
	s_wait_xcnt 0x0
	v_mov_b32_e32 v5, 0
	s_mov_b32 s1, exec_lo
	s_delay_alu instid0(VALU_DEP_2)
	v_add_nc_u32_e32 v4, 32, v8
	scratch_store_b8 off, v5, off offset:192
	global_load_u8 v17, v4, s[20:21] scope:SCOPE_DEV
	s_wait_loadcnt 0x0
	v_cmpx_eq_u16_e32 0, v17
	s_cbranch_execz .LBB2066_278
; %bb.275:
	v_add_nc_u64_e32 v[6:7], s[20:21], v[4:5]
	s_mov_b32 s6, 0
.LBB2066_276:                           ; =>This Inner Loop Header: Depth=1
	global_load_u8 v17, v[6:7], off scope:SCOPE_DEV
	s_wait_loadcnt 0x0
	v_cmp_ne_u16_e32 vcc_lo, 0, v17
	s_or_b32 s6, vcc_lo, s6
	s_wait_xcnt 0x0
	s_and_not1_b32 exec_lo, exec_lo, s6
	s_cbranch_execnz .LBB2066_276
; %bb.277:
	s_or_b32 exec_lo, exec_lo, s6
.LBB2066_278:
	s_delay_alu instid0(SALU_CYCLE_1)
	s_or_b32 exec_lo, exec_lo, s1
	v_dual_mov_b32 v5, s17 :: v_dual_mov_b32 v6, s16
	v_cmp_eq_u16_e32 vcc_lo, 1, v17
	global_wb scope:SCOPE_DEV
	s_wait_storecnt_dscnt 0x0
	global_inv scope:SCOPE_DEV
	s_mov_b32 s1, 0
	v_dual_mov_b32 v18, 0 :: v_dual_cndmask_b32 v7, s19, v5
	v_cndmask_b32_e32 v6, s18, v6, vcc_lo
	s_delay_alu instid0(VALU_DEP_1)
	v_mad_nc_u64_u32 v[12:13], v4, 20, v[6:7]
                                        ; kill: killed $vgpr12_vgpr13
	s_clause 0x1
	global_load_b128 v[4:7], v[12:13], off
	global_load_u8 v9, v[12:13], off offset:16
	s_wait_xcnt 0x0
	v_mov_b64_e32 v[12:13], 0
	s_wait_loadcnt 0x1
	scratch_store_b128 off, v[4:7], off offset:176
	ds_store_2addr_b32 v16, v4, v5 offset1:1
	ds_store_2addr_b32 v16, v6, v7 offset0:2 offset1:3
	s_wait_loadcnt 0x0
	ds_store_b8 v16, v9 offset:16
	scratch_store_b32 off, v18, off offset:16
.LBB2066_279:                           ; =>This Inner Loop Header: Depth=1
	s_wait_xcnt 0x0
	s_mov_b32 s6, s1
	s_add_co_i32 s1, s1, 8
	scratch_store_b64 off, v[12:13], s6
	s_cmp_lg_u32 s1, 16
	s_cbranch_scc1 .LBB2066_279
; %bb.280:
	ds_load_b32 v9, v16 offset:16
	v_cmp_ne_u32_e32 vcc_lo, 31, v15
	v_lshlrev_b32_e64 v19, v15, -1
	s_mov_b32 s1, exec_lo
	s_wait_xcnt 0x0
	v_add_co_ci_u32_e64 v12, null, 0, v15, vcc_lo
	v_cmp_eq_u16_e32 vcc_lo, 2, v17
	s_delay_alu instid0(VALU_DEP_2)
	v_lshlrev_b32_e32 v18, 2, v12
	v_and_or_b32 v12, vcc_lo, v19, 0x80000000
	ds_bpermute_b32 v20, v18, v4
	ds_bpermute_b32 v21, v18, v5
	;; [unrolled: 1-line block ×4, first 2 shown]
	s_wait_dscnt 0x4
	ds_bpermute_b32 v13, v18, v9
	v_ctz_i32_b32_e32 v12, v12
	s_wait_dscnt 0x1
	scratch_store_b128 off, v[20:23], off
	s_wait_xcnt 0x0
	v_cmpx_lt_u32_e64 v15, v12
	s_cbranch_execz .LBB2066_288
; %bb.281:
	v_and_b32_e32 v20, 0xff, v9
	s_mov_b32 s6, exec_lo
	s_delay_alu instid0(VALU_DEP_1)
	v_cmpx_eq_u16_e32 0, v20
	s_cbranch_execz .LBB2066_287
; %bb.282:
	v_mov_b64_e32 v[4:5], 0
	s_mov_b32 s7, 0
.LBB2066_283:                           ; =>This Inner Loop Header: Depth=1
	s_wait_xcnt 0x0
	s_add_co_i32 s8, s7, 0xa0
	s_add_co_i32 s7, s7, 8
	scratch_store_b64 off, v[4:5], s8
	s_cmp_lg_u32 s7, 16
	s_cbranch_scc1 .LBB2066_283
; %bb.284:
	s_mov_b32 s7, 0
.LBB2066_285:                           ; =>This Inner Loop Header: Depth=1
	scratch_load_b64 v[4:5], off, s7
	v_add_nc_u32_e32 v6, s7, v16
	s_add_co_i32 s8, s7, 0xa0
	s_wait_xcnt 0x0
	s_add_co_i32 s7, s7, 8
	s_delay_alu instid0(SALU_CYCLE_1)
	s_cmp_lg_u32 s7, 16
	ds_load_2addr_b32 v[6:7], v6 offset1:1
	s_wait_loadcnt_dscnt 0x0
	v_dual_add_nc_u32 v5, v7, v5 :: v_dual_add_nc_u32 v4, v6, v4
	scratch_store_b64 off, v[4:5], s8
	s_cbranch_scc1 .LBB2066_285
; %bb.286:
	scratch_load_b128 v[4:7], off, off offset:160
.LBB2066_287:
	s_wait_xcnt 0x0
	s_or_b32 exec_lo, exec_lo, s6
	s_wait_dscnt 0x0
	v_or_b32_e32 v9, v13, v9
	s_delay_alu instid0(VALU_DEP_1)
	v_and_b32_e32 v9, 1, v9
	ds_store_b8 v16, v9 offset:16
	ds_load_b32 v9, v16 offset:16
	s_wait_loadcnt 0x0
	ds_store_2addr_b32 v16, v4, v5 offset1:1
	ds_store_2addr_b32 v16, v6, v7 offset0:2 offset1:3
.LBB2066_288:
	s_or_b32 exec_lo, exec_lo, s1
	v_cmp_gt_u32_e32 vcc_lo, 30, v15
	v_add_nc_u32_e32 v21, 2, v15
	s_mov_b32 s6, exec_lo
	s_wait_dscnt 0x0
	v_cndmask_b32_e64 v13, 0, 2, vcc_lo
	s_delay_alu instid0(VALU_DEP_1)
	v_add_lshl_u32 v20, v13, v15, 2
	ds_bpermute_b32 v22, v20, v4
	ds_bpermute_b32 v23, v20, v5
	;; [unrolled: 1-line block ×5, first 2 shown]
	s_wait_dscnt 0x1
	scratch_store_b128 off, v[22:25], off
	s_wait_xcnt 0x0
	v_cmpx_le_u32_e64 v21, v12
	s_cbranch_execz .LBB2066_296
; %bb.289:
	v_and_b32_e32 v22, 0xff, v9
	s_mov_b32 s1, exec_lo
	s_delay_alu instid0(VALU_DEP_1)
	v_cmpx_eq_u16_e32 0, v22
	s_cbranch_execz .LBB2066_295
; %bb.290:
	v_mov_b64_e32 v[4:5], 0
	s_mov_b32 s7, 0
.LBB2066_291:                           ; =>This Inner Loop Header: Depth=1
	s_wait_xcnt 0x0
	s_add_co_i32 s8, s7, 0xa0
	s_add_co_i32 s7, s7, 8
	scratch_store_b64 off, v[4:5], s8
	s_cmp_lg_u32 s7, 16
	s_cbranch_scc1 .LBB2066_291
; %bb.292:
	s_mov_b32 s7, 0
.LBB2066_293:                           ; =>This Inner Loop Header: Depth=1
	scratch_load_b64 v[4:5], off, s7
	v_add_nc_u32_e32 v6, s7, v16
	s_add_co_i32 s8, s7, 0xa0
	s_wait_xcnt 0x0
	s_add_co_i32 s7, s7, 8
	s_delay_alu instid0(SALU_CYCLE_1)
	s_cmp_lg_u32 s7, 16
	ds_load_2addr_b32 v[6:7], v6 offset1:1
	s_wait_loadcnt_dscnt 0x0
	v_dual_add_nc_u32 v5, v7, v5 :: v_dual_add_nc_u32 v4, v6, v4
	scratch_store_b64 off, v[4:5], s8
	s_cbranch_scc1 .LBB2066_293
; %bb.294:
	scratch_load_b128 v[4:7], off, off offset:160
.LBB2066_295:
	s_wait_xcnt 0x0
	s_or_b32 exec_lo, exec_lo, s1
	v_and_b32_e32 v9, 1, v9
	s_wait_dscnt 0x0
	v_and_b32_e32 v13, 1, v13
	s_delay_alu instid0(VALU_DEP_2) | instskip(NEXT) | instid1(VALU_DEP_2)
	v_cmp_eq_u32_e32 vcc_lo, 1, v9
	v_cmp_eq_u32_e64 s1, 1, v13
	s_or_b32 s1, vcc_lo, s1
	s_delay_alu instid0(SALU_CYCLE_1)
	v_cndmask_b32_e64 v9, 0, 1, s1
	ds_store_b8 v16, v9 offset:16
	ds_load_b32 v9, v16 offset:16
	s_wait_loadcnt 0x0
	ds_store_2addr_b32 v16, v4, v5 offset1:1
	ds_store_2addr_b32 v16, v6, v7 offset0:2 offset1:3
.LBB2066_296:
	s_or_b32 exec_lo, exec_lo, s6
	v_cmp_gt_u32_e32 vcc_lo, 28, v15
	v_add_nc_u32_e32 v23, 4, v15
	s_mov_b32 s6, exec_lo
	s_wait_dscnt 0x0
	v_cndmask_b32_e64 v13, 0, 4, vcc_lo
	s_delay_alu instid0(VALU_DEP_1)
	v_add_lshl_u32 v22, v13, v15, 2
	ds_bpermute_b32 v24, v22, v4
	ds_bpermute_b32 v25, v22, v5
	;; [unrolled: 1-line block ×5, first 2 shown]
	s_wait_dscnt 0x1
	scratch_store_b128 off, v[24:27], off
	s_wait_xcnt 0x0
	v_cmpx_le_u32_e64 v23, v12
	s_cbranch_execz .LBB2066_304
; %bb.297:
	v_and_b32_e32 v24, 0xff, v9
	s_mov_b32 s1, exec_lo
	s_delay_alu instid0(VALU_DEP_1)
	v_cmpx_eq_u16_e32 0, v24
	s_cbranch_execz .LBB2066_303
; %bb.298:
	v_mov_b64_e32 v[4:5], 0
	s_mov_b32 s7, 0
.LBB2066_299:                           ; =>This Inner Loop Header: Depth=1
	s_wait_xcnt 0x0
	s_add_co_i32 s8, s7, 0xa0
	s_add_co_i32 s7, s7, 8
	scratch_store_b64 off, v[4:5], s8
	s_cmp_lg_u32 s7, 16
	s_cbranch_scc1 .LBB2066_299
; %bb.300:
	s_mov_b32 s7, 0
.LBB2066_301:                           ; =>This Inner Loop Header: Depth=1
	scratch_load_b64 v[4:5], off, s7
	v_add_nc_u32_e32 v6, s7, v16
	s_add_co_i32 s8, s7, 0xa0
	s_wait_xcnt 0x0
	s_add_co_i32 s7, s7, 8
	s_delay_alu instid0(SALU_CYCLE_1)
	s_cmp_lg_u32 s7, 16
	ds_load_2addr_b32 v[6:7], v6 offset1:1
	s_wait_loadcnt_dscnt 0x0
	v_dual_add_nc_u32 v5, v7, v5 :: v_dual_add_nc_u32 v4, v6, v4
	scratch_store_b64 off, v[4:5], s8
	s_cbranch_scc1 .LBB2066_301
; %bb.302:
	scratch_load_b128 v[4:7], off, off offset:160
.LBB2066_303:
	s_wait_xcnt 0x0
	s_or_b32 exec_lo, exec_lo, s1
	v_and_b32_e32 v9, 1, v9
	s_wait_dscnt 0x0
	v_and_b32_e32 v13, 1, v13
	s_delay_alu instid0(VALU_DEP_2) | instskip(NEXT) | instid1(VALU_DEP_2)
	v_cmp_eq_u32_e32 vcc_lo, 1, v9
	v_cmp_eq_u32_e64 s1, 1, v13
	s_or_b32 s1, vcc_lo, s1
	s_delay_alu instid0(SALU_CYCLE_1)
	v_cndmask_b32_e64 v9, 0, 1, s1
	ds_store_b8 v16, v9 offset:16
	ds_load_b32 v9, v16 offset:16
	s_wait_loadcnt 0x0
	ds_store_2addr_b32 v16, v4, v5 offset1:1
	ds_store_2addr_b32 v16, v6, v7 offset0:2 offset1:3
.LBB2066_304:
	s_or_b32 exec_lo, exec_lo, s6
	v_cmp_gt_u32_e32 vcc_lo, 24, v15
	v_add_nc_u32_e32 v25, 8, v15
	s_mov_b32 s6, exec_lo
	s_wait_dscnt 0x0
	v_cndmask_b32_e64 v13, 0, 8, vcc_lo
	s_delay_alu instid0(VALU_DEP_1)
	v_add_lshl_u32 v24, v13, v15, 2
	ds_bpermute_b32 v26, v24, v4
	ds_bpermute_b32 v27, v24, v5
	ds_bpermute_b32 v28, v24, v6
	ds_bpermute_b32 v29, v24, v7
	ds_bpermute_b32 v13, v24, v9
	s_wait_dscnt 0x1
	scratch_store_b128 off, v[26:29], off
	s_wait_xcnt 0x0
	v_cmpx_le_u32_e64 v25, v12
	s_cbranch_execz .LBB2066_312
; %bb.305:
	v_and_b32_e32 v26, 0xff, v9
	s_mov_b32 s1, exec_lo
	s_delay_alu instid0(VALU_DEP_1)
	v_cmpx_eq_u16_e32 0, v26
	s_cbranch_execz .LBB2066_311
; %bb.306:
	v_mov_b64_e32 v[4:5], 0
	s_mov_b32 s7, 0
.LBB2066_307:                           ; =>This Inner Loop Header: Depth=1
	s_wait_xcnt 0x0
	s_add_co_i32 s8, s7, 0xa0
	s_add_co_i32 s7, s7, 8
	scratch_store_b64 off, v[4:5], s8
	s_cmp_lg_u32 s7, 16
	s_cbranch_scc1 .LBB2066_307
; %bb.308:
	s_mov_b32 s7, 0
.LBB2066_309:                           ; =>This Inner Loop Header: Depth=1
	scratch_load_b64 v[4:5], off, s7
	v_add_nc_u32_e32 v6, s7, v16
	s_add_co_i32 s8, s7, 0xa0
	s_wait_xcnt 0x0
	s_add_co_i32 s7, s7, 8
	s_delay_alu instid0(SALU_CYCLE_1)
	s_cmp_lg_u32 s7, 16
	ds_load_2addr_b32 v[6:7], v6 offset1:1
	s_wait_loadcnt_dscnt 0x0
	v_dual_add_nc_u32 v5, v7, v5 :: v_dual_add_nc_u32 v4, v6, v4
	scratch_store_b64 off, v[4:5], s8
	s_cbranch_scc1 .LBB2066_309
; %bb.310:
	scratch_load_b128 v[4:7], off, off offset:160
.LBB2066_311:
	s_wait_xcnt 0x0
	s_or_b32 exec_lo, exec_lo, s1
	v_and_b32_e32 v9, 1, v9
	s_wait_dscnt 0x0
	v_and_b32_e32 v13, 1, v13
	s_delay_alu instid0(VALU_DEP_2) | instskip(NEXT) | instid1(VALU_DEP_2)
	v_cmp_eq_u32_e32 vcc_lo, 1, v9
	v_cmp_eq_u32_e64 s1, 1, v13
	s_or_b32 s1, vcc_lo, s1
	s_delay_alu instid0(SALU_CYCLE_1)
	v_cndmask_b32_e64 v9, 0, 1, s1
	ds_store_b8 v16, v9 offset:16
	ds_load_b32 v9, v16 offset:16
	s_wait_loadcnt 0x0
	ds_store_2addr_b32 v16, v4, v5 offset1:1
	ds_store_2addr_b32 v16, v6, v7 offset0:2 offset1:3
.LBB2066_312:
	s_or_b32 exec_lo, exec_lo, s6
	v_lshl_or_b32 v26, v15, 2, 64
	v_add_nc_u32_e32 v27, 16, v15
	s_mov_b32 s6, exec_lo
	ds_bpermute_b32 v28, v26, v4
	ds_bpermute_b32 v29, v26, v5
	;; [unrolled: 1-line block ×4, first 2 shown]
	s_wait_dscnt 0x4
	ds_bpermute_b32 v13, v26, v9
	s_wait_dscnt 0x1
	scratch_store_b128 off, v[28:31], off
	s_wait_xcnt 0x0
	v_cmpx_le_u32_e64 v27, v12
	s_cbranch_execz .LBB2066_320
; %bb.313:
	v_and_b32_e32 v12, 0xff, v9
	s_mov_b32 s7, 0
	s_mov_b32 s1, exec_lo
	s_delay_alu instid0(VALU_DEP_1)
	v_cmpx_eq_u16_e32 0, v12
	s_cbranch_execz .LBB2066_319
; %bb.314:
	v_mov_b64_e32 v[4:5], 0
.LBB2066_315:                           ; =>This Inner Loop Header: Depth=1
	s_wait_xcnt 0x0
	s_add_co_i32 s8, s7, 0xa0
	s_add_co_i32 s7, s7, 8
	scratch_store_b64 off, v[4:5], s8
	s_cmp_lg_u32 s7, 16
	s_cbranch_scc1 .LBB2066_315
; %bb.316:
	s_mov_b32 s7, 0
.LBB2066_317:                           ; =>This Inner Loop Header: Depth=1
	scratch_load_b64 v[4:5], off, s7
	v_add_nc_u32_e32 v6, s7, v16
	s_add_co_i32 s8, s7, 0xa0
	s_wait_xcnt 0x0
	s_add_co_i32 s7, s7, 8
	s_delay_alu instid0(SALU_CYCLE_1)
	s_cmp_lg_u32 s7, 16
	ds_load_2addr_b32 v[6:7], v6 offset1:1
	s_wait_loadcnt_dscnt 0x0
	v_dual_add_nc_u32 v5, v7, v5 :: v_dual_add_nc_u32 v4, v6, v4
	scratch_store_b64 off, v[4:5], s8
	s_cbranch_scc1 .LBB2066_317
; %bb.318:
	scratch_load_b128 v[4:7], off, off offset:160
.LBB2066_319:
	s_wait_xcnt 0x0
	s_or_b32 exec_lo, exec_lo, s1
	v_and_b32_e32 v9, 1, v9
	s_wait_dscnt 0x0
	v_and_b32_e32 v12, 1, v13
	s_delay_alu instid0(VALU_DEP_2) | instskip(NEXT) | instid1(VALU_DEP_2)
	v_cmp_eq_u32_e32 vcc_lo, 1, v9
	v_cmp_eq_u32_e64 s1, 1, v12
	s_or_b32 s1, vcc_lo, s1
	s_delay_alu instid0(SALU_CYCLE_1)
	v_cndmask_b32_e64 v9, 0, 1, s1
	s_wait_loadcnt 0x0
	ds_store_2addr_b32 v16, v4, v5 offset1:1
	ds_store_2addr_b32 v16, v6, v7 offset0:2 offset1:3
	ds_store_b8 v16, v9 offset:16
.LBB2066_320:
	s_or_b32 exec_lo, exec_lo, s6
	ds_load_b32 v30, v16 offset:16
	ds_load_2addr_b32 v[6:7], v16 offset0:2 offset1:3
	ds_load_2addr_b32 v[4:5], v16 offset1:1
	v_mad_u32 v28, v11, 20, 0x3600
	s_wait_dscnt 0x3
	v_mov_b64_e32 v[12:13], 0
	v_lshl_add_u32 v29, v11, 4, 0x3b00
	v_mov_b32_e32 v9, 0
	s_wait_dscnt 0x2
	scratch_store_b32 off, v30, off offset:192
	s_wait_dscnt 0x0
	scratch_store_b128 off, v[4:7], off offset:176
	s_branch .LBB2066_324
.LBB2066_321:                           ;   in Loop: Header=BB2066_324 Depth=1
	scratch_load_b128 v[4:7], off, off
.LBB2066_322:                           ;   in Loop: Header=BB2066_324 Depth=1
	s_wait_xcnt 0x0
	s_or_b32 exec_lo, exec_lo, s6
	v_and_b32_e32 v30, 1, v30
	v_subrev_nc_u32_e32 v8, 32, v8
	s_delay_alu instid0(VALU_DEP_2) | instskip(SKIP_1) | instid1(SALU_CYCLE_1)
	v_cmp_eq_u32_e32 vcc_lo, 1, v30
	s_or_b32 s1, vcc_lo, s1
	v_cndmask_b32_e64 v30, 0, 1, s1
	s_mov_b32 s1, 0
	s_wait_loadcnt 0x0
	s_clause 0x1
	scratch_store_b128 off, v[4:7], off offset:176
	scratch_store_b8 off, v30, off offset:192
.LBB2066_323:                           ;   in Loop: Header=BB2066_324 Depth=1
	s_and_b32 vcc_lo, exec_lo, s1
	s_cbranch_vccnz .LBB2066_381
.LBB2066_324:                           ; =>This Loop Header: Depth=1
                                        ;     Child Loop BB2066_326 Depth 2
                                        ;     Child Loop BB2066_329 Depth 2
	;; [unrolled: 1-line block ×15, first 2 shown]
	s_wait_xcnt 0x0
	v_and_b32_e32 v4, 0xff, v17
	s_mov_b32 s1, -1
                                        ; implicit-def: $vgpr17
	s_delay_alu instid0(VALU_DEP_1)
	v_cmp_ne_u16_e32 vcc_lo, 2, v4
	s_cmp_lg_u32 vcc_lo, exec_lo
	s_cbranch_scc1 .LBB2066_323
; %bb.325:                              ;   in Loop: Header=BB2066_324 Depth=1
	v_dual_mov_b32 v4, v9 :: v_dual_mov_b32 v5, v9
	v_dual_mov_b32 v6, v9 :: v_dual_mov_b32 v7, v9
	s_mov_b32 s1, 0
	s_clause 0x1
	scratch_store_b32 off, v9, off offset:16
	scratch_store_b128 off, v[4:7], off
.LBB2066_326:                           ;   Parent Loop BB2066_324 Depth=1
                                        ; =>  This Inner Loop Header: Depth=2
	s_wait_xcnt 0x0
	s_mov_b32 s6, s1
	s_add_co_i32 s1, s1, 8
	scratch_store_b64 off, v[12:13], s6
	s_cmp_lg_u32 s1, 16
	s_cbranch_scc1 .LBB2066_326
; %bb.327:                              ;   in Loop: Header=BB2066_324 Depth=1
	scratch_store_b8 off, v9, off offset:16
	global_load_u8 v17, v8, s[20:21] scope:SCOPE_DEV
	s_mov_b32 s1, exec_lo
	s_wait_loadcnt 0x0
	s_wait_xcnt 0x0
	v_cmpx_eq_u16_e32 0, v17
	s_cbranch_execz .LBB2066_331
; %bb.328:                              ;   in Loop: Header=BB2066_324 Depth=1
	v_add_nc_u64_e32 v[4:5], s[20:21], v[8:9]
	s_mov_b32 s6, 0
.LBB2066_329:                           ;   Parent Loop BB2066_324 Depth=1
                                        ; =>  This Inner Loop Header: Depth=2
	global_load_u8 v17, v[4:5], off scope:SCOPE_DEV
	s_wait_loadcnt 0x0
	v_cmp_ne_u16_e32 vcc_lo, 0, v17
	s_or_b32 s6, vcc_lo, s6
	s_wait_xcnt 0x0
	s_and_not1_b32 exec_lo, exec_lo, s6
	s_cbranch_execnz .LBB2066_329
; %bb.330:                              ;   in Loop: Header=BB2066_324 Depth=1
	s_or_b32 exec_lo, exec_lo, s6
.LBB2066_331:                           ;   in Loop: Header=BB2066_324 Depth=1
	s_delay_alu instid0(SALU_CYCLE_1)
	s_or_b32 exec_lo, exec_lo, s1
	v_dual_mov_b32 v4, s17 :: v_dual_mov_b32 v6, s16
	v_cmp_eq_u16_e32 vcc_lo, 1, v17
	global_wb scope:SCOPE_DEV
	s_wait_storecnt 0x0
	global_inv scope:SCOPE_DEV
	s_mov_b32 s1, 0
	v_cndmask_b32_e32 v5, s19, v4, vcc_lo
	v_cndmask_b32_e32 v4, s18, v6, vcc_lo
	s_delay_alu instid0(VALU_DEP_1)
	v_mad_nc_u64_u32 v[30:31], v8, 20, v[4:5]
                                        ; kill: killed $vgpr30_vgpr31
	s_clause 0x1
	global_load_b128 v[4:7], v[30:31], off
	global_load_u8 v32, v[30:31], off offset:16
	s_wait_loadcnt 0x1
	scratch_store_b128 off, v[4:7], off
	ds_store_2addr_b32 v16, v4, v5 offset1:1
	ds_store_2addr_b32 v16, v6, v7 offset0:2 offset1:3
	s_wait_loadcnt 0x0
	ds_store_b8 v16, v32 offset:16
	ds_store_b32 v28, v9 offset:16
.LBB2066_332:                           ;   Parent Loop BB2066_324 Depth=1
                                        ; =>  This Inner Loop Header: Depth=2
	s_wait_xcnt 0x1
	v_add_nc_u32_e32 v30, s1, v28
	s_add_co_i32 s1, s1, 8
	s_delay_alu instid0(SALU_CYCLE_1)
	s_cmp_lg_u32 s1, 16
	ds_store_2addr_b32 v30, v9, v9 offset1:1
	s_cbranch_scc1 .LBB2066_332
; %bb.333:                              ;   in Loop: Header=BB2066_324 Depth=1
	ds_load_b32 v31, v16 offset:16
	ds_bpermute_b32 v33, v18, v4
	ds_bpermute_b32 v34, v18, v5
	;; [unrolled: 1-line block ×4, first 2 shown]
	v_cmp_eq_u16_e32 vcc_lo, 2, v17
	s_mov_b32 s1, exec_lo
	s_wait_dscnt 0x2
	ds_store_2addr_b32 v28, v33, v34 offset1:1
	s_wait_dscnt 0x1
	ds_store_2addr_b32 v28, v35, v36 offset0:2 offset1:3
	ds_bpermute_b32 v32, v18, v31
	v_and_or_b32 v30, vcc_lo, v19, 0x80000000
	s_delay_alu instid0(VALU_DEP_1) | instskip(SKIP_1) | instid1(VALU_DEP_1)
	v_ctz_i32_b32_e32 v30, v30
	s_wait_xcnt 0x0
	v_cmpx_lt_u32_e64 v15, v30
	s_cbranch_execz .LBB2066_341
; %bb.334:                              ;   in Loop: Header=BB2066_324 Depth=1
	v_and_b32_e32 v33, 0xff, v31
	s_mov_b32 s6, exec_lo
	s_delay_alu instid0(VALU_DEP_1)
	v_cmpx_eq_u16_e32 0, v33
	s_cbranch_execz .LBB2066_340
; %bb.335:                              ;   in Loop: Header=BB2066_324 Depth=1
	s_mov_b32 s7, 0
.LBB2066_336:                           ;   Parent Loop BB2066_324 Depth=1
                                        ; =>  This Inner Loop Header: Depth=2
	s_delay_alu instid0(SALU_CYCLE_1) | instskip(SKIP_1) | instid1(SALU_CYCLE_1)
	v_add_nc_u32_e32 v4, s7, v29
	s_add_co_i32 s7, s7, 8
	s_cmp_lg_u32 s7, 16
	ds_store_2addr_b32 v4, v9, v9 offset1:1
	s_cbranch_scc1 .LBB2066_336
; %bb.337:                              ;   in Loop: Header=BB2066_324 Depth=1
	s_mov_b32 s7, 0
.LBB2066_338:                           ;   Parent Loop BB2066_324 Depth=1
                                        ; =>  This Inner Loop Header: Depth=2
	s_delay_alu instid0(SALU_CYCLE_1)
	v_dual_add_nc_u32 v4, s7, v28 :: v_dual_add_nc_u32 v33, s7, v29
	v_add_nc_u32_e32 v6, s7, v16
	s_add_co_i32 s7, s7, 8
	ds_load_2addr_b32 v[4:5], v4 offset1:1
	ds_load_2addr_b32 v[6:7], v6 offset1:1
	s_cmp_lg_u32 s7, 16
	s_wait_dscnt 0x0
	v_dual_add_nc_u32 v5, v7, v5 :: v_dual_add_nc_u32 v4, v6, v4
	ds_store_2addr_b32 v33, v4, v5 offset1:1
	s_cbranch_scc1 .LBB2066_338
; %bb.339:                              ;   in Loop: Header=BB2066_324 Depth=1
	ds_load_2addr_b32 v[4:5], v29 offset1:1
	ds_load_2addr_b32 v[6:7], v29 offset0:2 offset1:3
.LBB2066_340:                           ;   in Loop: Header=BB2066_324 Depth=1
	s_or_b32 exec_lo, exec_lo, s6
	s_wait_dscnt 0x0
	v_or_b32_e32 v31, v32, v31
	s_delay_alu instid0(VALU_DEP_1)
	v_and_b32_e32 v31, 1, v31
	ds_store_b8 v16, v31 offset:16
	ds_load_b32 v31, v16 offset:16
	ds_store_2addr_b32 v16, v4, v5 offset1:1
	ds_store_2addr_b32 v16, v6, v7 offset0:2 offset1:3
.LBB2066_341:                           ;   in Loop: Header=BB2066_324 Depth=1
	s_or_b32 exec_lo, exec_lo, s1
	ds_bpermute_b32 v33, v20, v4
	ds_bpermute_b32 v34, v20, v5
	s_wait_dscnt 0x2
	ds_bpermute_b32 v32, v20, v31
	ds_bpermute_b32 v35, v20, v6
	;; [unrolled: 1-line block ×3, first 2 shown]
	s_mov_b32 s6, exec_lo
	s_wait_dscnt 0x3
	ds_store_2addr_b32 v28, v33, v34 offset1:1
	s_wait_dscnt 0x1
	ds_store_2addr_b32 v28, v35, v36 offset0:2 offset1:3
	v_cmpx_le_u32_e64 v21, v30
	s_cbranch_execz .LBB2066_349
; %bb.342:                              ;   in Loop: Header=BB2066_324 Depth=1
	v_and_b32_e32 v33, 0xff, v31
	s_mov_b32 s1, exec_lo
	s_delay_alu instid0(VALU_DEP_1)
	v_cmpx_eq_u16_e32 0, v33
	s_cbranch_execz .LBB2066_348
; %bb.343:                              ;   in Loop: Header=BB2066_324 Depth=1
	s_mov_b32 s7, 0
.LBB2066_344:                           ;   Parent Loop BB2066_324 Depth=1
                                        ; =>  This Inner Loop Header: Depth=2
	s_delay_alu instid0(SALU_CYCLE_1) | instskip(SKIP_1) | instid1(SALU_CYCLE_1)
	v_add_nc_u32_e32 v4, s7, v29
	s_add_co_i32 s7, s7, 8
	s_cmp_lg_u32 s7, 16
	ds_store_2addr_b32 v4, v9, v9 offset1:1
	s_cbranch_scc1 .LBB2066_344
; %bb.345:                              ;   in Loop: Header=BB2066_324 Depth=1
	s_mov_b32 s7, 0
.LBB2066_346:                           ;   Parent Loop BB2066_324 Depth=1
                                        ; =>  This Inner Loop Header: Depth=2
	s_delay_alu instid0(SALU_CYCLE_1)
	v_dual_add_nc_u32 v4, s7, v28 :: v_dual_add_nc_u32 v33, s7, v29
	v_add_nc_u32_e32 v6, s7, v16
	s_add_co_i32 s7, s7, 8
	ds_load_2addr_b32 v[4:5], v4 offset1:1
	ds_load_2addr_b32 v[6:7], v6 offset1:1
	s_cmp_lg_u32 s7, 16
	s_wait_dscnt 0x0
	v_dual_add_nc_u32 v5, v7, v5 :: v_dual_add_nc_u32 v4, v6, v4
	ds_store_2addr_b32 v33, v4, v5 offset1:1
	s_cbranch_scc1 .LBB2066_346
; %bb.347:                              ;   in Loop: Header=BB2066_324 Depth=1
	ds_load_2addr_b32 v[4:5], v29 offset1:1
	ds_load_2addr_b32 v[6:7], v29 offset0:2 offset1:3
.LBB2066_348:                           ;   in Loop: Header=BB2066_324 Depth=1
	s_or_b32 exec_lo, exec_lo, s1
	v_and_b32_e32 v31, 1, v31
	v_and_b32_e32 v32, 1, v32
	s_delay_alu instid0(VALU_DEP_2) | instskip(NEXT) | instid1(VALU_DEP_2)
	v_cmp_eq_u32_e32 vcc_lo, 1, v31
	v_cmp_eq_u32_e64 s1, 1, v32
	s_or_b32 s1, vcc_lo, s1
	s_delay_alu instid0(SALU_CYCLE_1)
	v_cndmask_b32_e64 v31, 0, 1, s1
	ds_store_b8 v16, v31 offset:16
	ds_load_b32 v31, v16 offset:16
	s_wait_dscnt 0x3
	ds_store_2addr_b32 v16, v4, v5 offset1:1
	s_wait_dscnt 0x3
	ds_store_2addr_b32 v16, v6, v7 offset0:2 offset1:3
.LBB2066_349:                           ;   in Loop: Header=BB2066_324 Depth=1
	s_or_b32 exec_lo, exec_lo, s6
	ds_bpermute_b32 v33, v22, v4
	ds_bpermute_b32 v34, v22, v5
	s_wait_dscnt 0x4
	ds_bpermute_b32 v32, v22, v31
	ds_bpermute_b32 v35, v22, v6
	;; [unrolled: 1-line block ×3, first 2 shown]
	s_mov_b32 s6, exec_lo
	s_wait_dscnt 0x3
	ds_store_2addr_b32 v28, v33, v34 offset1:1
	s_wait_dscnt 0x1
	ds_store_2addr_b32 v28, v35, v36 offset0:2 offset1:3
	v_cmpx_le_u32_e64 v23, v30
	s_cbranch_execz .LBB2066_357
; %bb.350:                              ;   in Loop: Header=BB2066_324 Depth=1
	v_and_b32_e32 v33, 0xff, v31
	s_mov_b32 s1, exec_lo
	s_delay_alu instid0(VALU_DEP_1)
	v_cmpx_eq_u16_e32 0, v33
	s_cbranch_execz .LBB2066_356
; %bb.351:                              ;   in Loop: Header=BB2066_324 Depth=1
	s_mov_b32 s7, 0
.LBB2066_352:                           ;   Parent Loop BB2066_324 Depth=1
                                        ; =>  This Inner Loop Header: Depth=2
	s_delay_alu instid0(SALU_CYCLE_1) | instskip(SKIP_1) | instid1(SALU_CYCLE_1)
	v_add_nc_u32_e32 v4, s7, v29
	s_add_co_i32 s7, s7, 8
	s_cmp_lg_u32 s7, 16
	ds_store_2addr_b32 v4, v9, v9 offset1:1
	s_cbranch_scc1 .LBB2066_352
; %bb.353:                              ;   in Loop: Header=BB2066_324 Depth=1
	s_mov_b32 s7, 0
.LBB2066_354:                           ;   Parent Loop BB2066_324 Depth=1
                                        ; =>  This Inner Loop Header: Depth=2
	s_delay_alu instid0(SALU_CYCLE_1)
	v_dual_add_nc_u32 v4, s7, v28 :: v_dual_add_nc_u32 v33, s7, v29
	v_add_nc_u32_e32 v6, s7, v16
	s_add_co_i32 s7, s7, 8
	ds_load_2addr_b32 v[4:5], v4 offset1:1
	ds_load_2addr_b32 v[6:7], v6 offset1:1
	s_cmp_lg_u32 s7, 16
	s_wait_dscnt 0x0
	v_dual_add_nc_u32 v5, v7, v5 :: v_dual_add_nc_u32 v4, v6, v4
	ds_store_2addr_b32 v33, v4, v5 offset1:1
	s_cbranch_scc1 .LBB2066_354
; %bb.355:                              ;   in Loop: Header=BB2066_324 Depth=1
	ds_load_2addr_b32 v[4:5], v29 offset1:1
	ds_load_2addr_b32 v[6:7], v29 offset0:2 offset1:3
.LBB2066_356:                           ;   in Loop: Header=BB2066_324 Depth=1
	s_or_b32 exec_lo, exec_lo, s1
	v_and_b32_e32 v31, 1, v31
	v_and_b32_e32 v32, 1, v32
	s_delay_alu instid0(VALU_DEP_2) | instskip(NEXT) | instid1(VALU_DEP_2)
	v_cmp_eq_u32_e32 vcc_lo, 1, v31
	v_cmp_eq_u32_e64 s1, 1, v32
	s_or_b32 s1, vcc_lo, s1
	s_delay_alu instid0(SALU_CYCLE_1)
	v_cndmask_b32_e64 v31, 0, 1, s1
	ds_store_b8 v16, v31 offset:16
	ds_load_b32 v31, v16 offset:16
	s_wait_dscnt 0x3
	ds_store_2addr_b32 v16, v4, v5 offset1:1
	s_wait_dscnt 0x3
	ds_store_2addr_b32 v16, v6, v7 offset0:2 offset1:3
.LBB2066_357:                           ;   in Loop: Header=BB2066_324 Depth=1
	s_or_b32 exec_lo, exec_lo, s6
	ds_bpermute_b32 v33, v24, v4
	ds_bpermute_b32 v34, v24, v5
	s_wait_dscnt 0x4
	ds_bpermute_b32 v32, v24, v31
	ds_bpermute_b32 v35, v24, v6
	;; [unrolled: 1-line block ×3, first 2 shown]
	s_mov_b32 s6, exec_lo
	s_wait_dscnt 0x3
	ds_store_2addr_b32 v28, v33, v34 offset1:1
	s_wait_dscnt 0x1
	ds_store_2addr_b32 v28, v35, v36 offset0:2 offset1:3
	v_cmpx_le_u32_e64 v25, v30
	s_cbranch_execz .LBB2066_365
; %bb.358:                              ;   in Loop: Header=BB2066_324 Depth=1
	v_and_b32_e32 v33, 0xff, v31
	s_mov_b32 s1, exec_lo
	s_delay_alu instid0(VALU_DEP_1)
	v_cmpx_eq_u16_e32 0, v33
	s_cbranch_execz .LBB2066_364
; %bb.359:                              ;   in Loop: Header=BB2066_324 Depth=1
	s_mov_b32 s7, 0
.LBB2066_360:                           ;   Parent Loop BB2066_324 Depth=1
                                        ; =>  This Inner Loop Header: Depth=2
	s_delay_alu instid0(SALU_CYCLE_1) | instskip(SKIP_1) | instid1(SALU_CYCLE_1)
	v_add_nc_u32_e32 v4, s7, v29
	s_add_co_i32 s7, s7, 8
	s_cmp_lg_u32 s7, 16
	ds_store_2addr_b32 v4, v9, v9 offset1:1
	s_cbranch_scc1 .LBB2066_360
; %bb.361:                              ;   in Loop: Header=BB2066_324 Depth=1
	s_mov_b32 s7, 0
.LBB2066_362:                           ;   Parent Loop BB2066_324 Depth=1
                                        ; =>  This Inner Loop Header: Depth=2
	s_delay_alu instid0(SALU_CYCLE_1)
	v_dual_add_nc_u32 v4, s7, v28 :: v_dual_add_nc_u32 v33, s7, v29
	v_add_nc_u32_e32 v6, s7, v16
	s_add_co_i32 s7, s7, 8
	ds_load_2addr_b32 v[4:5], v4 offset1:1
	ds_load_2addr_b32 v[6:7], v6 offset1:1
	s_cmp_lg_u32 s7, 16
	s_wait_dscnt 0x0
	v_dual_add_nc_u32 v5, v7, v5 :: v_dual_add_nc_u32 v4, v6, v4
	ds_store_2addr_b32 v33, v4, v5 offset1:1
	s_cbranch_scc1 .LBB2066_362
; %bb.363:                              ;   in Loop: Header=BB2066_324 Depth=1
	ds_load_2addr_b32 v[4:5], v29 offset1:1
	ds_load_2addr_b32 v[6:7], v29 offset0:2 offset1:3
.LBB2066_364:                           ;   in Loop: Header=BB2066_324 Depth=1
	s_or_b32 exec_lo, exec_lo, s1
	v_and_b32_e32 v31, 1, v31
	v_and_b32_e32 v32, 1, v32
	s_delay_alu instid0(VALU_DEP_2) | instskip(NEXT) | instid1(VALU_DEP_2)
	v_cmp_eq_u32_e32 vcc_lo, 1, v31
	v_cmp_eq_u32_e64 s1, 1, v32
	s_or_b32 s1, vcc_lo, s1
	s_delay_alu instid0(SALU_CYCLE_1)
	v_cndmask_b32_e64 v31, 0, 1, s1
	ds_store_b8 v16, v31 offset:16
	ds_load_b32 v31, v16 offset:16
	s_wait_dscnt 0x3
	ds_store_2addr_b32 v16, v4, v5 offset1:1
	s_wait_dscnt 0x3
	ds_store_2addr_b32 v16, v6, v7 offset0:2 offset1:3
.LBB2066_365:                           ;   in Loop: Header=BB2066_324 Depth=1
	s_or_b32 exec_lo, exec_lo, s6
	ds_bpermute_b32 v33, v26, v4
	ds_bpermute_b32 v34, v26, v5
	s_wait_dscnt 0x4
	ds_bpermute_b32 v32, v26, v31
	ds_bpermute_b32 v35, v26, v6
	;; [unrolled: 1-line block ×3, first 2 shown]
	v_and_b32_e32 v37, 1, v31
	s_mov_b32 s6, exec_lo
	s_wait_dscnt 0x3
	ds_store_2addr_b32 v28, v33, v34 offset1:1
	s_wait_dscnt 0x1
	ds_store_2addr_b32 v28, v35, v36 offset0:2 offset1:3
	v_cmp_eq_u32_e64 s1, 1, v37
	v_cmpx_le_u32_e64 v27, v30
	s_cbranch_execz .LBB2066_373
; %bb.366:                              ;   in Loop: Header=BB2066_324 Depth=1
	v_and_b32_e32 v30, 0xff, v31
	s_mov_b32 s7, exec_lo
	s_delay_alu instid0(VALU_DEP_1)
	v_cmpx_eq_u16_e32 0, v30
	s_cbranch_execz .LBB2066_372
; %bb.367:                              ;   in Loop: Header=BB2066_324 Depth=1
	s_mov_b32 s8, 0
.LBB2066_368:                           ;   Parent Loop BB2066_324 Depth=1
                                        ; =>  This Inner Loop Header: Depth=2
	s_delay_alu instid0(SALU_CYCLE_1) | instskip(SKIP_1) | instid1(SALU_CYCLE_1)
	v_add_nc_u32_e32 v4, s8, v29
	s_add_co_i32 s8, s8, 8
	s_cmp_lg_u32 s8, 16
	ds_store_2addr_b32 v4, v9, v9 offset1:1
	s_cbranch_scc1 .LBB2066_368
; %bb.369:                              ;   in Loop: Header=BB2066_324 Depth=1
	s_mov_b32 s8, 0
.LBB2066_370:                           ;   Parent Loop BB2066_324 Depth=1
                                        ; =>  This Inner Loop Header: Depth=2
	s_delay_alu instid0(SALU_CYCLE_1)
	v_dual_add_nc_u32 v4, s8, v28 :: v_dual_add_nc_u32 v30, s8, v29
	v_add_nc_u32_e32 v6, s8, v16
	s_add_co_i32 s8, s8, 8
	ds_load_2addr_b32 v[4:5], v4 offset1:1
	ds_load_2addr_b32 v[6:7], v6 offset1:1
	s_cmp_lg_u32 s8, 16
	s_wait_dscnt 0x0
	v_dual_add_nc_u32 v5, v7, v5 :: v_dual_add_nc_u32 v4, v6, v4
	ds_store_2addr_b32 v30, v4, v5 offset1:1
	s_cbranch_scc1 .LBB2066_370
; %bb.371:                              ;   in Loop: Header=BB2066_324 Depth=1
	ds_load_2addr_b32 v[4:5], v29 offset1:1
	ds_load_2addr_b32 v[6:7], v29 offset0:2 offset1:3
.LBB2066_372:                           ;   in Loop: Header=BB2066_324 Depth=1
	s_or_b32 exec_lo, exec_lo, s7
	v_and_b32_e32 v30, 1, v32
	s_and_not1_b32 s7, s1, exec_lo
	s_delay_alu instid0(VALU_DEP_1) | instskip(SKIP_1) | instid1(SALU_CYCLE_1)
	v_cmp_eq_u32_e32 vcc_lo, 1, v30
	s_or_b32 s1, s1, vcc_lo
	v_cndmask_b32_e64 v30, 0, 1, s1
	s_and_b32 s1, s1, exec_lo
	s_wait_dscnt 0x1
	ds_store_2addr_b32 v16, v4, v5 offset1:1
	s_wait_dscnt 0x1
	ds_store_2addr_b32 v16, v6, v7 offset0:2 offset1:3
	ds_store_b8 v16, v30 offset:16
	s_or_b32 s1, s7, s1
.LBB2066_373:                           ;   in Loop: Header=BB2066_324 Depth=1
	s_or_b32 exec_lo, exec_lo, s6
	scratch_load_u8 v30, off, off offset:192
	s_mov_b32 s6, exec_lo
                                        ; implicit-def: $vgpr6_vgpr7
	s_wait_loadcnt 0x0
	v_cmpx_ne_u16_e32 0, v30
	s_xor_b32 s6, exec_lo, s6
	s_cbranch_execz .LBB2066_375
; %bb.374:                              ;   in Loop: Header=BB2066_324 Depth=1
	scratch_load_b128 v[4:7], off, off offset:176
.LBB2066_375:                           ;   in Loop: Header=BB2066_324 Depth=1
	s_wait_xcnt 0x0
	s_and_not1_saveexec_b32 s6, s6
	s_cbranch_execz .LBB2066_322
; %bb.376:                              ;   in Loop: Header=BB2066_324 Depth=1
	s_mov_b32 s7, 0
.LBB2066_377:                           ;   Parent Loop BB2066_324 Depth=1
                                        ; =>  This Inner Loop Header: Depth=2
	s_wait_xcnt 0x0
	s_mov_b32 s8, s7
	s_add_co_i32 s7, s7, 8
	scratch_store_b64 off, v[12:13], s8
	s_cmp_lg_u32 s7, 16
	s_cbranch_scc1 .LBB2066_377
; %bb.378:                              ;   in Loop: Header=BB2066_324 Depth=1
	s_mov_b32 s7, 0
.LBB2066_379:                           ;   Parent Loop BB2066_324 Depth=1
                                        ; =>  This Inner Loop Header: Depth=2
	s_wait_xcnt 0x0
	s_add_co_i32 s8, s7, 0xb0
	s_wait_loadcnt 0x0
	scratch_load_b64 v[4:5], off, s8
	v_add_nc_u32_e32 v6, s7, v16
	s_wait_xcnt 0x0
	s_mov_b32 s8, s7
	s_add_co_i32 s7, s7, 8
	s_delay_alu instid0(SALU_CYCLE_1)
	s_cmp_lg_u32 s7, 16
	ds_load_2addr_b32 v[6:7], v6 offset1:1
	s_wait_loadcnt_dscnt 0x0
	v_dual_add_nc_u32 v5, v5, v7 :: v_dual_add_nc_u32 v4, v4, v6
	scratch_store_b64 off, v[4:5], s8
	s_cbranch_scc1 .LBB2066_379
	s_branch .LBB2066_321
.LBB2066_380:
	s_cbranch_execnz .LBB2066_482
	s_branch .LBB2066_725
.LBB2066_381:
	s_clause 0x1
	scratch_load_b128 v[4:7], off, off offset:176
	scratch_load_b32 v8, off, off offset:192
	s_wait_loadcnt 0x1
	scratch_store_b128 off, v[4:7], off
	s_wait_loadcnt 0x0
	scratch_store_b32 off, v8, off offset:16
	s_wait_xcnt 0x0
	s_and_saveexec_b32 s1, s0
	s_cbranch_execz .LBB2066_389
; %bb.382:
	v_and_b32_e32 v9, 0xff, v14
	s_mov_b32 s0, 0
	s_delay_alu instid0(VALU_DEP_1)
	v_cmp_ne_u32_e32 vcc_lo, 0, v9
	s_cbranch_vccnz .LBB2066_388
; %bb.383:
	v_mov_b64_e32 v[0:1], 0
.LBB2066_384:                           ; =>This Inner Loop Header: Depth=1
	s_wait_xcnt 0x0
	s_add_co_i32 s6, s0, 0xb0
	s_add_co_i32 s0, s0, 8
	scratch_store_b64 off, v[0:1], s6
	s_cmp_lg_u32 s0, 16
	s_cbranch_scc1 .LBB2066_384
; %bb.385:
	s_mov_b32 s0, 0
.LBB2066_386:                           ; =>This Inner Loop Header: Depth=1
	s_wait_xcnt 0x1
	s_add_co_i32 s7, s0, 0xc4
	scratch_load_b64 v[0:1], off, s0
	scratch_load_b64 v[2:3], off, s7
	s_mov_b32 s6, s0
                                        ; kill: killed $sgpr6
	s_add_co_i32 s6, s0, 0xb0
	s_wait_xcnt 0x1
	s_add_co_i32 s0, s0, 8
                                        ; kill: killed $sgpr7
	s_delay_alu instid0(SALU_CYCLE_1)
	s_cmp_lg_u32 s0, 16
	s_wait_loadcnt 0x0
	v_dual_add_nc_u32 v1, v3, v1 :: v_dual_add_nc_u32 v0, v2, v0
	scratch_store_b64 off, v[0:1], s6
	s_cbranch_scc1 .LBB2066_386
; %bb.387:
	scratch_load_b128 v[0:3], off, off offset:176
.LBB2066_388:
	s_add_co_i32 s6, s38, 32
	s_mov_b32 s7, 0
	v_bitop3_b16 v9, v14, 1, v8 bitop3:0xc8
	v_dual_mov_b32 v12, 0 :: v_dual_mov_b32 v13, 2
	v_mov_b32_e32 v14, s6
	s_mul_u64 s[8:9], s[6:7], 20
	s_delay_alu instid0(SALU_CYCLE_1)
	s_add_nc_u64 s[8:9], s[18:19], s[8:9]
	s_wait_loadcnt 0x0
	s_clause 0x1
	global_store_b128 v12, v[0:3], s[8:9]
	global_store_b8 v12, v9, s[8:9] offset:16
	global_wb scope:SCOPE_DEV
	s_wait_storecnt_dscnt 0x0
	global_inv scope:SCOPE_DEV
	s_wait_xcnt 0x0
	global_store_b8 v14, v13, s[20:21] scope:SCOPE_DEV
.LBB2066_389:
	s_wait_xcnt 0x0
	s_or_b32 exec_lo, exec_lo, s1
	s_delay_alu instid0(SALU_CYCLE_1)
	s_and_b32 exec_lo, exec_lo, s4
	s_cbranch_execz .LBB2066_391
; %bb.390:
	v_mov_b32_e32 v0, 0
	ds_store_b128 v0, v[4:7]
	ds_store_b8 v0, v8 offset:16
.LBB2066_391:
	s_or_b32 exec_lo, exec_lo, s3
	s_wait_storecnt 0x0
	s_wait_loadcnt_dscnt 0x0
	s_barrier_signal -1
	s_barrier_wait -1
	scratch_load_u8 v5, off, off offset:256
	v_mov_b32_e32 v4, 0
	ds_load_b128 v[0:3], v4
	ds_load_b32 v4, v4 offset:16
	s_wait_dscnt 0x1
	scratch_store_b128 off, v[0:3], off
	s_wait_dscnt 0x0
	scratch_store_b32 off, v4, off offset:16
	s_wait_xcnt 0x0
	s_and_saveexec_b32 s0, s5
	s_cbranch_execz .LBB2066_401
; %bb.392:
	s_wait_loadcnt 0x0
	v_and_b32_e32 v0, 0xff, v5
	s_delay_alu instid0(VALU_DEP_1) | instskip(SKIP_1) | instid1(SALU_CYCLE_1)
	v_cmp_ne_u16_e32 vcc_lo, 0, v0
                                        ; implicit-def: $vgpr2_vgpr3
	s_and_saveexec_b32 s1, vcc_lo
	s_xor_b32 s1, exec_lo, s1
	s_cbranch_execz .LBB2066_394
; %bb.393:
	scratch_load_b128 v[0:3], off, off offset:240
.LBB2066_394:
	s_wait_xcnt 0x0
	s_and_not1_saveexec_b32 s1, s1
	s_cbranch_execz .LBB2066_400
; %bb.395:
	s_wait_loadcnt 0x0
	v_mov_b64_e32 v[0:1], 0
	s_mov_b32 s3, 0
.LBB2066_396:                           ; =>This Inner Loop Header: Depth=1
	s_wait_xcnt 0x0
	s_add_co_i32 s6, s3, 0xb0
	s_add_co_i32 s3, s3, 8
	scratch_store_b64 off, v[0:1], s6
	s_cmp_lg_u32 s3, 16
	s_cbranch_scc1 .LBB2066_396
; %bb.397:
	s_mov_b32 s3, 0
.LBB2066_398:                           ; =>This Inner Loop Header: Depth=1
	s_wait_xcnt 0x0
	s_add_co_i32 s6, s3, 0xd8
	s_add_co_i32 s7, s3, 0xf0
	scratch_load_b64 v[0:1], off, s6
	scratch_load_b64 v[2:3], off, s7
                                        ; kill: killed $sgpr6
	s_wait_xcnt 0x1
	s_add_co_i32 s6, s3, 0xb0
	s_add_co_i32 s3, s3, 8
                                        ; kill: killed $sgpr7
	s_delay_alu instid0(SALU_CYCLE_1)
	s_cmp_lg_u32 s3, 16
	s_wait_loadcnt 0x0
	v_dual_add_nc_u32 v1, v3, v1 :: v_dual_add_nc_u32 v0, v2, v0
	scratch_store_b64 off, v[0:1], s6
	s_cbranch_scc1 .LBB2066_398
; %bb.399:
	scratch_load_b128 v[0:3], off, off offset:176
.LBB2066_400:
	s_wait_xcnt 0x0
	s_or_b32 exec_lo, exec_lo, s1
	v_and_b32_e32 v5, 1, v5
	s_wait_loadcnt 0x0
	scratch_store_b128 off, v[0:3], off offset:240
	v_cmp_eq_u32_e32 vcc_lo, 1, v5
	s_or_b32 s1, vcc_lo, s2
	s_delay_alu instid0(SALU_CYCLE_1)
	v_cndmask_b32_e64 v5, 0, 1, s1
.LBB2066_401:
	s_wait_xcnt 0x0
	s_or_b32 exec_lo, exec_lo, s0
	s_wait_loadcnt 0x0
	s_delay_alu instid0(VALU_DEP_1) | instskip(NEXT) | instid1(VALU_DEP_1)
	v_and_b32_e32 v0, 0xff, v5
	v_cmp_ne_u16_e32 vcc_lo, 0, v0
                                        ; implicit-def: $vgpr2_vgpr3
	s_and_saveexec_b32 s0, vcc_lo
	s_delay_alu instid0(SALU_CYCLE_1)
	s_xor_b32 s0, exec_lo, s0
	s_cbranch_execz .LBB2066_403
; %bb.402:
	scratch_load_b128 v[0:3], off, off offset:240
.LBB2066_403:
	s_wait_xcnt 0x0
	s_and_not1_saveexec_b32 s0, s0
	s_cbranch_execz .LBB2066_409
; %bb.404:
	s_wait_loadcnt 0x0
	v_mov_b64_e32 v[0:1], 0
	s_mov_b32 s1, 0
.LBB2066_405:                           ; =>This Inner Loop Header: Depth=1
	s_wait_xcnt 0x0
	s_add_co_i32 s2, s1, 0xb0
	s_add_co_i32 s1, s1, 8
	scratch_store_b64 off, v[0:1], s2
	s_cmp_lg_u32 s1, 16
	s_cbranch_scc1 .LBB2066_405
; %bb.406:
	s_mov_b32 s1, 0
.LBB2066_407:                           ; =>This Inner Loop Header: Depth=1
	s_wait_xcnt 0x1
	s_add_co_i32 s3, s1, 0xf0
	scratch_load_b64 v[0:1], off, s1
	scratch_load_b64 v[2:3], off, s3
	s_mov_b32 s2, s1
                                        ; kill: killed $sgpr2
	s_add_co_i32 s2, s1, 0xb0
	s_wait_xcnt 0x1
	s_add_co_i32 s1, s1, 8
                                        ; kill: killed $sgpr3
	s_delay_alu instid0(SALU_CYCLE_1)
	s_cmp_lg_u32 s1, 16
	s_wait_loadcnt 0x0
	v_dual_add_nc_u32 v1, v3, v1 :: v_dual_add_nc_u32 v0, v2, v0
	scratch_store_b64 off, v[0:1], s2
	s_cbranch_scc1 .LBB2066_407
; %bb.408:
	scratch_load_b128 v[0:3], off, off offset:176
.LBB2066_409:
	s_wait_xcnt 0x0
	s_or_b32 exec_lo, exec_lo, s0
	scratch_load_u8 v6, off, off offset:276
	v_or_b32_e32 v7, v5, v4
	v_bitop3_b16 v4, v5, 1, v4 bitop3:0xc8
	s_wait_loadcnt 0x1
	s_clause 0x1
	scratch_store_b128 off, v[0:3], off offset:240
	scratch_store_b8 off, v4, off offset:256
	v_and_b32_e32 v7, 1, v7
                                        ; implicit-def: $vgpr2_vgpr3
	s_delay_alu instid0(VALU_DEP_1) | instskip(SKIP_4) | instid1(SALU_CYCLE_1)
	v_cmp_eq_u32_e32 vcc_lo, 1, v7
	s_wait_loadcnt 0x0
	v_cmp_ne_u16_e64 s0, 0, v6
	s_wait_xcnt 0x0
	s_and_saveexec_b32 s1, s0
	s_xor_b32 s0, exec_lo, s1
	s_cbranch_execz .LBB2066_411
; %bb.410:
	scratch_load_b128 v[0:3], off, off offset:260
.LBB2066_411:
	s_wait_xcnt 0x0
	s_or_saveexec_b32 s0, s0
	v_lshl_add_u32 v4, v11, 4, 0x3f00
	s_xor_b32 exec_lo, exec_lo, s0
	s_cbranch_execz .LBB2066_417
; %bb.412:
	s_wait_loadcnt 0x0
	v_mov_b32_e32 v0, 0
	s_mov_b32 s1, 0
.LBB2066_413:                           ; =>This Inner Loop Header: Depth=1
	s_delay_alu instid0(SALU_CYCLE_1) | instskip(SKIP_1) | instid1(SALU_CYCLE_1)
	v_add_nc_u32_e32 v1, s1, v4
	s_add_co_i32 s1, s1, 8
	s_cmp_lg_u32 s1, 16
	ds_store_2addr_b32 v1, v0, v0 offset1:1
	s_cbranch_scc1 .LBB2066_413
; %bb.414:
	s_mov_b32 s1, 0
.LBB2066_415:                           ; =>This Inner Loop Header: Depth=1
	s_wait_xcnt 0x0
	s_add_co_i32 s2, s1, 0xf0
	s_clause 0x1
	scratch_load_b64 v[0:1], off, s2
	scratch_load_b64 v[2:3], off, s2 offset:20
	v_add_nc_u32_e32 v5, s1, v4
	s_add_co_i32 s1, s1, 8
	s_delay_alu instid0(SALU_CYCLE_1)
	s_cmp_lg_u32 s1, 16
	s_wait_loadcnt 0x0
	v_dual_add_nc_u32 v1, v3, v1 :: v_dual_add_nc_u32 v0, v2, v0
	ds_store_2addr_b32 v5, v0, v1 offset1:1
	s_cbranch_scc1 .LBB2066_415
; %bb.416:
	ds_load_2addr_b32 v[0:1], v4 offset1:1
	ds_load_2addr_b32 v[2:3], v4 offset0:2 offset1:3
.LBB2066_417:
	s_wait_xcnt 0x0
	s_or_b32 exec_lo, exec_lo, s0
	scratch_load_u8 v5, off, off offset:296
	v_and_b32_e32 v6, 1, v6
	s_mov_b32 s1, exec_lo
	s_delay_alu instid0(VALU_DEP_1) | instskip(SKIP_1) | instid1(SALU_CYCLE_1)
	v_cmp_eq_u32_e64 s0, 1, v6
	s_or_b32 s0, s0, vcc_lo
	v_cndmask_b32_e64 v6, 0, 1, s0
	s_wait_loadcnt_dscnt 0x100
	s_clause 0x1
	scratch_store_b128 off, v[0:3], off offset:260
	scratch_store_b8 off, v6, off offset:276
                                        ; implicit-def: $vgpr2_vgpr3
	s_wait_loadcnt 0x0
	v_cmpx_ne_u16_e32 0, v5
	s_xor_b32 s1, exec_lo, s1
	s_cbranch_execz .LBB2066_419
; %bb.418:
	scratch_load_b128 v[0:3], off, off offset:280
.LBB2066_419:
	s_wait_xcnt 0x0
	s_and_not1_saveexec_b32 s1, s1
	s_cbranch_execz .LBB2066_425
; %bb.420:
	s_wait_loadcnt 0x0
	v_mov_b32_e32 v0, 0
	s_mov_b32 s2, 0
.LBB2066_421:                           ; =>This Inner Loop Header: Depth=1
	s_delay_alu instid0(SALU_CYCLE_1) | instskip(SKIP_1) | instid1(SALU_CYCLE_1)
	v_add_nc_u32_e32 v1, s2, v4
	s_add_co_i32 s2, s2, 8
	s_cmp_lg_u32 s2, 16
	ds_store_2addr_b32 v1, v0, v0 offset1:1
	s_cbranch_scc1 .LBB2066_421
; %bb.422:
	s_mov_b32 s2, 0
.LBB2066_423:                           ; =>This Inner Loop Header: Depth=1
	s_wait_xcnt 0x0
	s_add_co_i32 s3, s2, 0xf0
	s_clause 0x1
	scratch_load_b64 v[0:1], off, s3 offset:20
	scratch_load_b64 v[2:3], off, s3 offset:40
	v_add_nc_u32_e32 v6, s2, v4
	s_add_co_i32 s2, s2, 8
	s_delay_alu instid0(SALU_CYCLE_1)
	s_cmp_lg_u32 s2, 16
	s_wait_loadcnt 0x0
	v_dual_add_nc_u32 v1, v3, v1 :: v_dual_add_nc_u32 v0, v2, v0
	ds_store_2addr_b32 v6, v0, v1 offset1:1
	s_cbranch_scc1 .LBB2066_423
; %bb.424:
	ds_load_2addr_b32 v[0:1], v4 offset1:1
	ds_load_2addr_b32 v[2:3], v4 offset0:2 offset1:3
.LBB2066_425:
	s_wait_xcnt 0x0
	s_or_b32 exec_lo, exec_lo, s1
	scratch_load_u8 v6, off, off offset:316
	v_and_b32_e32 v5, 1, v5
	s_mov_b32 s1, exec_lo
	s_delay_alu instid0(VALU_DEP_1) | instskip(SKIP_1) | instid1(SALU_CYCLE_1)
	v_cmp_eq_u32_e32 vcc_lo, 1, v5
	s_or_b32 s0, vcc_lo, s0
	v_cndmask_b32_e64 v5, 0, 1, s0
	s_wait_loadcnt_dscnt 0x100
	s_clause 0x1
	scratch_store_b128 off, v[0:3], off offset:280
	scratch_store_b8 off, v5, off offset:296
                                        ; implicit-def: $vgpr2_vgpr3
	s_wait_loadcnt 0x0
	v_cmpx_ne_u16_e32 0, v6
	s_xor_b32 s1, exec_lo, s1
	s_cbranch_execz .LBB2066_427
; %bb.426:
	scratch_load_b128 v[0:3], off, off offset:300
.LBB2066_427:
	s_wait_xcnt 0x0
	s_and_not1_saveexec_b32 s1, s1
	s_cbranch_execz .LBB2066_433
; %bb.428:
	s_wait_loadcnt 0x0
	v_mov_b32_e32 v0, 0
	s_mov_b32 s2, 0
.LBB2066_429:                           ; =>This Inner Loop Header: Depth=1
	s_delay_alu instid0(SALU_CYCLE_1) | instskip(SKIP_1) | instid1(SALU_CYCLE_1)
	v_add_nc_u32_e32 v1, s2, v4
	s_add_co_i32 s2, s2, 8
	s_cmp_lg_u32 s2, 16
	ds_store_2addr_b32 v1, v0, v0 offset1:1
	s_cbranch_scc1 .LBB2066_429
; %bb.430:
	s_mov_b32 s2, 0
.LBB2066_431:                           ; =>This Inner Loop Header: Depth=1
	s_wait_xcnt 0x0
	s_add_co_i32 s3, s2, 0xf0
	s_clause 0x1
	scratch_load_b64 v[0:1], off, s3 offset:40
	scratch_load_b64 v[2:3], off, s3 offset:60
	v_add_nc_u32_e32 v5, s2, v4
	s_add_co_i32 s2, s2, 8
	s_delay_alu instid0(SALU_CYCLE_1)
	s_cmp_lg_u32 s2, 16
	s_wait_loadcnt 0x0
	v_dual_add_nc_u32 v1, v3, v1 :: v_dual_add_nc_u32 v0, v2, v0
	ds_store_2addr_b32 v5, v0, v1 offset1:1
	s_cbranch_scc1 .LBB2066_431
; %bb.432:
	ds_load_2addr_b32 v[0:1], v4 offset1:1
	ds_load_2addr_b32 v[2:3], v4 offset0:2 offset1:3
.LBB2066_433:
	s_wait_xcnt 0x0
	s_or_b32 exec_lo, exec_lo, s1
	scratch_load_u8 v5, off, off offset:336
	v_and_b32_e32 v6, 1, v6
	s_mov_b32 s1, exec_lo
	s_delay_alu instid0(VALU_DEP_1) | instskip(SKIP_1) | instid1(SALU_CYCLE_1)
	v_cmp_eq_u32_e32 vcc_lo, 1, v6
	s_or_b32 s0, vcc_lo, s0
	;; [unrolled: 55-line block ×7, first 2 shown]
	v_cndmask_b32_e64 v5, 0, 1, s0
	s_wait_loadcnt_dscnt 0x100
	s_clause 0x1
	scratch_store_b128 off, v[0:3], off offset:400
	scratch_store_b8 off, v5, off offset:416
                                        ; implicit-def: $vgpr2_vgpr3
	s_wait_loadcnt 0x0
	v_cmpx_ne_u16_e32 0, v6
	s_xor_b32 s1, exec_lo, s1
	s_cbranch_execz .LBB2066_475
; %bb.474:
	scratch_load_b128 v[0:3], off, off offset:420
                                        ; implicit-def: $vgpr4
.LBB2066_475:
	s_wait_xcnt 0x0
	s_and_not1_saveexec_b32 s1, s1
	s_cbranch_execz .LBB2066_481
; %bb.476:
	s_wait_loadcnt 0x0
	v_mov_b32_e32 v0, 0
	s_mov_b32 s2, 0
.LBB2066_477:                           ; =>This Inner Loop Header: Depth=1
	s_delay_alu instid0(SALU_CYCLE_1) | instskip(SKIP_1) | instid1(SALU_CYCLE_1)
	v_add_nc_u32_e32 v1, s2, v4
	s_add_co_i32 s2, s2, 8
	s_cmp_lg_u32 s2, 16
	ds_store_2addr_b32 v1, v0, v0 offset1:1
	s_cbranch_scc1 .LBB2066_477
; %bb.478:
	s_mov_b32 s2, 0
.LBB2066_479:                           ; =>This Inner Loop Header: Depth=1
	s_wait_xcnt 0x0
	s_add_co_i32 s3, s2, 0xf0
	s_clause 0x1
	scratch_load_b64 v[0:1], off, s3 offset:160
	scratch_load_b64 v[2:3], off, s3 offset:180
	v_add_nc_u32_e32 v5, s2, v4
	s_add_co_i32 s2, s2, 8
	s_delay_alu instid0(SALU_CYCLE_1)
	s_cmp_lg_u32 s2, 16
	s_wait_loadcnt 0x0
	v_dual_add_nc_u32 v1, v3, v1 :: v_dual_add_nc_u32 v0, v2, v0
	ds_store_2addr_b32 v5, v0, v1 offset1:1
	s_cbranch_scc1 .LBB2066_479
; %bb.480:
	ds_load_2addr_b32 v[0:1], v4 offset1:1
	ds_load_2addr_b32 v[2:3], v4 offset0:2 offset1:3
.LBB2066_481:
	s_wait_xcnt 0x0
	s_or_b32 exec_lo, exec_lo, s1
	v_and_b32_e32 v4, 1, v6
	s_delay_alu instid0(VALU_DEP_1) | instskip(SKIP_1) | instid1(SALU_CYCLE_1)
	v_cmp_eq_u32_e32 vcc_lo, 1, v4
	s_or_b32 s0, vcc_lo, s0
	v_cndmask_b32_e64 v4, 0, 1, s0
	s_wait_loadcnt_dscnt 0x0
	s_clause 0x1
	scratch_store_b128 off, v[0:3], off offset:420
	scratch_store_b8 off, v4, off offset:436
	s_branch .LBB2066_725
.LBB2066_482:
	s_cmp_lg_u64 s[36:37], 0
	s_cselect_b32 s0, -1, 0
	s_cmp_lg_u64 s[26:27], 0
	s_cselect_b32 s1, -1, 0
	s_delay_alu instid0(SALU_CYCLE_1) | instskip(NEXT) | instid1(SALU_CYCLE_1)
	s_and_b32 s0, s0, s1
	s_and_b32 s0, s4, s0
	s_wait_xcnt 0x0
	s_and_saveexec_b32 s2, s0
	s_cbranch_execz .LBB2066_492
; %bb.483:
	scratch_load_u8 v4, off, off offset:256
	s_mov_b32 s0, exec_lo
                                        ; implicit-def: $vgpr2_vgpr3
	s_wait_loadcnt 0x0
	v_cmpx_ne_u16_e32 0, v4
	s_xor_b32 s0, exec_lo, s0
	s_cbranch_execz .LBB2066_485
; %bb.484:
	scratch_load_b128 v[0:3], off, off offset:240
.LBB2066_485:
	s_wait_xcnt 0x0
	s_and_not1_saveexec_b32 s3, s0
	s_cbranch_execz .LBB2066_491
; %bb.486:
	s_wait_loadcnt 0x0
	v_mov_b64_e32 v[0:1], 0
	s_mov_b32 s0, 0
.LBB2066_487:                           ; =>This Inner Loop Header: Depth=1
	s_wait_xcnt 0x0
	s_mov_b32 s1, s0
	s_add_co_i32 s0, s0, 8
	scratch_store_b64 off, v[0:1], s1
	s_cmp_lg_u32 s0, 16
	s_cbranch_scc1 .LBB2066_487
; %bb.488:
	s_wait_xcnt 0x0
	v_mov_b32_e32 v0, 0
	s_mov_b32 s6, 0
	s_mov_b64 s[0:1], s[26:27]
.LBB2066_489:                           ; =>This Inner Loop Header: Depth=1
	s_wait_xcnt 0x0
	s_add_co_i32 s7, s6, 0xf0
	global_load_b64 v[2:3], v0, s[0:1]
	scratch_load_b64 v[6:7], off, s7
	s_wait_xcnt 0x0
	s_mov_b32 s7, s6
	s_add_co_i32 s6, s6, 8
	s_add_nc_u64 s[0:1], s[0:1], 8
	s_cmp_lg_u32 s6, 16
	s_wait_loadcnt 0x0
	v_dual_add_nc_u32 v3, v7, v3 :: v_dual_add_nc_u32 v2, v6, v2
	scratch_store_b64 off, v[2:3], s7
	s_cbranch_scc1 .LBB2066_489
; %bb.490:
	scratch_load_b128 v[0:3], off, off
.LBB2066_491:
	s_wait_xcnt 0x0
	s_or_b32 exec_lo, exec_lo, s3
	v_mov_b32_e32 v5, 0
	global_load_u8 v5, v5, s[26:27] offset:16
	s_wait_loadcnt 0x0
	v_bitop3_b16 v4, v4, 1, v5 bitop3:0xc8
	s_clause 0x1
	scratch_store_b128 off, v[0:3], off offset:240
	scratch_store_b8 off, v4, off offset:256
.LBB2066_492:
	s_wait_xcnt 0x0
	s_or_b32 exec_lo, exec_lo, s2
	v_mov_b32_e32 v2, 0
	v_mov_b64_e32 v[0:1], 0
	s_mov_b32 s0, 0
	s_delay_alu instid0(VALU_DEP_2)
	v_dual_mov_b32 v3, v2 :: v_dual_mov_b32 v4, v2
	v_mov_b32_e32 v5, v2
	s_clause 0x1
	scratch_store_b32 off, v2, off offset:232
	scratch_store_b128 off, v[2:5], off offset:216
.LBB2066_493:                           ; =>This Inner Loop Header: Depth=1
	s_wait_xcnt 0x0
	s_add_co_i32 s1, s0, 0xd8
	s_add_co_i32 s0, s0, 8
	scratch_store_b64 off, v[0:1], s1
	s_cmp_lg_u32 s0, 16
	s_cbranch_scc1 .LBB2066_493
; %bb.494:
	s_wait_xcnt 0x0
	v_mov_b64_e32 v[0:1], 0
	v_mov_b32_e32 v2, 0
	s_mov_b32 s0, 0
	s_clause 0x1
	scratch_store_b8 off, v2, off offset:232
	scratch_store_b32 off, v2, off offset:16
.LBB2066_495:                           ; =>This Inner Loop Header: Depth=1
	s_wait_xcnt 0x0
	s_mov_b32 s1, s0
	s_add_co_i32 s0, s0, 8
	scratch_store_b64 off, v[0:1], s1
	s_cmp_lg_u32 s0, 16
	s_cbranch_scc1 .LBB2066_495
; %bb.496:
	s_clause 0x2
	scratch_load_u8 v4, off, off offset:276
	scratch_load_b128 v[0:3], off, off offset:240
	scratch_load_u8 v5, off, off offset:256
	s_mov_b32 s0, exec_lo
	s_wait_loadcnt 0x1
	scratch_store_b128 off, v[0:3], off
	s_wait_loadcnt 0x0
	scratch_store_b8 off, v5, off offset:16
                                        ; implicit-def: $vgpr2_vgpr3
	s_wait_xcnt 0x0
	v_cmpx_ne_u16_e32 0, v4
	s_xor_b32 s0, exec_lo, s0
	s_cbranch_execz .LBB2066_498
; %bb.497:
	scratch_load_b128 v[0:3], off, off offset:260
.LBB2066_498:
	s_wait_xcnt 0x0
	s_or_saveexec_b32 s0, s0
	v_lshl_add_u32 v6, v11, 4, 0x4300
	s_xor_b32 exec_lo, exec_lo, s0
	s_cbranch_execz .LBB2066_504
; %bb.499:
	s_wait_loadcnt 0x0
	v_mov_b32_e32 v0, 0
	s_mov_b32 s1, 0
.LBB2066_500:                           ; =>This Inner Loop Header: Depth=1
	s_delay_alu instid0(SALU_CYCLE_1) | instskip(SKIP_1) | instid1(SALU_CYCLE_1)
	v_add_nc_u32_e32 v1, s1, v6
	s_add_co_i32 s1, s1, 8
	s_cmp_lg_u32 s1, 16
	ds_store_2addr_b32 v1, v0, v0 offset1:1
	s_cbranch_scc1 .LBB2066_500
; %bb.501:
	s_mov_b32 s1, 0
.LBB2066_502:                           ; =>This Inner Loop Header: Depth=1
	s_wait_xcnt 0x0
	s_add_co_i32 s3, s23, s1
	scratch_load_b64 v[0:1], off, s1
	scratch_load_b64 v[2:3], off, s3
	v_add_nc_u32_e32 v7, s1, v6
	s_mov_b32 s2, s1
	s_wait_xcnt 0x1
	s_add_co_i32 s1, s1, 8
                                        ; kill: killed $sgpr2
	s_delay_alu instid0(SALU_CYCLE_1)
	s_cmp_lg_u32 s1, 16
	s_wait_loadcnt 0x0
	v_dual_add_nc_u32 v1, v3, v1 :: v_dual_add_nc_u32 v0, v2, v0
	ds_store_2addr_b32 v7, v0, v1 offset1:1
	s_cbranch_scc1 .LBB2066_502
; %bb.503:
	ds_load_2addr_b32 v[0:1], v6 offset1:1
	ds_load_2addr_b32 v[2:3], v6 offset0:2 offset1:3
.LBB2066_504:
	s_wait_xcnt 0x0
	s_or_b32 exec_lo, exec_lo, s0
	scratch_load_u8 v7, off, off offset:296
	s_mov_b32 s0, exec_lo
	s_wait_loadcnt_dscnt 0x100
	scratch_store_b128 off, v[0:3], off
                                        ; implicit-def: $vgpr2_vgpr3
	s_wait_loadcnt 0x0
	v_cmpx_ne_u16_e32 0, v7
	s_xor_b32 s0, exec_lo, s0
	s_cbranch_execz .LBB2066_506
; %bb.505:
	scratch_load_b128 v[0:3], off, off offset:280
.LBB2066_506:
	s_wait_xcnt 0x0
	s_and_not1_saveexec_b32 s0, s0
	s_cbranch_execz .LBB2066_512
; %bb.507:
	s_wait_loadcnt 0x0
	v_mov_b32_e32 v0, 0
	s_mov_b32 s1, 0
.LBB2066_508:                           ; =>This Inner Loop Header: Depth=1
	s_delay_alu instid0(SALU_CYCLE_1) | instskip(SKIP_1) | instid1(SALU_CYCLE_1)
	v_add_nc_u32_e32 v1, s1, v6
	s_add_co_i32 s1, s1, 8
	s_cmp_lg_u32 s1, 16
	ds_store_2addr_b32 v1, v0, v0 offset1:1
	s_cbranch_scc1 .LBB2066_508
; %bb.509:
	s_mov_b32 s1, 0
.LBB2066_510:                           ; =>This Inner Loop Header: Depth=1
	s_wait_xcnt 0x0
	s_add_co_i32 s3, s33, s1
	scratch_load_b64 v[0:1], off, s1
	scratch_load_b64 v[2:3], off, s3
	v_add_nc_u32_e32 v8, s1, v6
	s_mov_b32 s2, s1
	s_wait_xcnt 0x1
	s_add_co_i32 s1, s1, 8
                                        ; kill: killed $sgpr3
                                        ; kill: killed $sgpr2
	s_delay_alu instid0(SALU_CYCLE_1)
	s_cmp_lg_u32 s1, 16
	s_wait_loadcnt 0x0
	v_dual_add_nc_u32 v1, v3, v1 :: v_dual_add_nc_u32 v0, v2, v0
	ds_store_2addr_b32 v8, v0, v1 offset1:1
	s_cbranch_scc1 .LBB2066_510
; %bb.511:
	ds_load_2addr_b32 v[0:1], v6 offset1:1
	ds_load_2addr_b32 v[2:3], v6 offset0:2 offset1:3
.LBB2066_512:
	s_wait_xcnt 0x0
	s_or_b32 exec_lo, exec_lo, s0
	scratch_load_u8 v8, off, off offset:316
	s_mov_b32 s0, exec_lo
	s_wait_loadcnt_dscnt 0x100
	scratch_store_b128 off, v[0:3], off
                                        ; implicit-def: $vgpr2_vgpr3
	s_wait_loadcnt 0x0
	v_cmpx_ne_u16_e32 0, v8
	s_xor_b32 s0, exec_lo, s0
	s_cbranch_execz .LBB2066_514
; %bb.513:
	scratch_load_b128 v[0:3], off, off offset:300
.LBB2066_514:
	s_wait_xcnt 0x0
	s_and_not1_saveexec_b32 s0, s0
	s_cbranch_execz .LBB2066_520
; %bb.515:
	s_wait_loadcnt 0x0
	v_mov_b32_e32 v0, 0
	s_mov_b32 s1, 0
.LBB2066_516:                           ; =>This Inner Loop Header: Depth=1
	s_delay_alu instid0(SALU_CYCLE_1) | instskip(SKIP_1) | instid1(SALU_CYCLE_1)
	v_add_nc_u32_e32 v1, s1, v6
	s_add_co_i32 s1, s1, 8
	s_cmp_lg_u32 s1, 16
	ds_store_2addr_b32 v1, v0, v0 offset1:1
	s_cbranch_scc1 .LBB2066_516
; %bb.517:
	s_mov_b32 s1, 0
.LBB2066_518:                           ; =>This Inner Loop Header: Depth=1
	s_wait_xcnt 0x0
	s_add_co_i32 s3, s46, s1
	scratch_load_b64 v[0:1], off, s1
	scratch_load_b64 v[2:3], off, s3
	v_add_nc_u32_e32 v9, s1, v6
	s_mov_b32 s2, s1
	s_wait_xcnt 0x1
	s_add_co_i32 s1, s1, 8
                                        ; kill: killed $sgpr3
                                        ; kill: killed $sgpr2
	s_delay_alu instid0(SALU_CYCLE_1)
	s_cmp_lg_u32 s1, 16
	s_wait_loadcnt 0x0
	v_dual_add_nc_u32 v1, v3, v1 :: v_dual_add_nc_u32 v0, v2, v0
	ds_store_2addr_b32 v9, v0, v1 offset1:1
	s_cbranch_scc1 .LBB2066_518
; %bb.519:
	ds_load_2addr_b32 v[0:1], v6 offset1:1
	ds_load_2addr_b32 v[2:3], v6 offset0:2 offset1:3
.LBB2066_520:
	;; [unrolled: 51-line block ×5, first 2 shown]
	s_wait_xcnt 0x0
	s_or_b32 exec_lo, exec_lo, s0
	scratch_load_u8 v15, off, off offset:396
	s_mov_b32 s0, exec_lo
	s_wait_loadcnt_dscnt 0x100
	scratch_store_b128 off, v[0:3], off
                                        ; implicit-def: $vgpr2_vgpr3
	s_wait_loadcnt 0x0
	v_cmpx_ne_u16_e32 0, v15
	s_xor_b32 s0, exec_lo, s0
	s_cbranch_execz .LBB2066_546
; %bb.545:
	scratch_load_b128 v[0:3], off, off offset:380
.LBB2066_546:
	s_wait_xcnt 0x0
	s_and_not1_saveexec_b32 s0, s0
	s_cbranch_execz .LBB2066_552
; %bb.547:
	s_wait_loadcnt 0x0
	v_mov_b32_e32 v0, 0
	s_mov_b32 s1, 0
.LBB2066_548:                           ; =>This Inner Loop Header: Depth=1
	s_delay_alu instid0(SALU_CYCLE_1) | instskip(SKIP_1) | instid1(SALU_CYCLE_1)
	v_add_nc_u32_e32 v1, s1, v6
	s_add_co_i32 s1, s1, 8
	s_cmp_lg_u32 s1, 16
	ds_store_2addr_b32 v1, v0, v0 offset1:1
	s_cbranch_scc1 .LBB2066_548
; %bb.549:
	s_mov_b32 s1, 0
.LBB2066_550:                           ; =>This Inner Loop Header: Depth=1
	s_wait_xcnt 0x0
	s_add_co_i32 s3, s50, s1
	scratch_load_b64 v[0:1], off, s1
	scratch_load_b64 v[2:3], off, s3
	v_add_nc_u32_e32 v9, s1, v6
	s_mov_b32 s2, s1
	s_wait_xcnt 0x1
	s_add_co_i32 s1, s1, 8
                                        ; kill: killed $sgpr2
                                        ; kill: killed $sgpr3
	s_delay_alu instid0(SALU_CYCLE_1)
	s_cmp_lg_u32 s1, 16
	s_wait_loadcnt 0x0
	v_dual_add_nc_u32 v1, v3, v1 :: v_dual_add_nc_u32 v0, v2, v0
	ds_store_2addr_b32 v9, v0, v1 offset1:1
	s_cbranch_scc1 .LBB2066_550
; %bb.551:
	ds_load_2addr_b32 v[0:1], v6 offset1:1
	ds_load_2addr_b32 v[2:3], v6 offset0:2 offset1:3
.LBB2066_552:
	s_wait_xcnt 0x0
	s_or_b32 exec_lo, exec_lo, s0
	scratch_load_u8 v16, off, off offset:416
	s_mov_b32 s0, exec_lo
	s_wait_loadcnt_dscnt 0x100
	scratch_store_b128 off, v[0:3], off
                                        ; implicit-def: $vgpr2_vgpr3
	s_wait_loadcnt 0x0
	v_cmpx_ne_u16_e32 0, v16
	s_xor_b32 s0, exec_lo, s0
	s_cbranch_execz .LBB2066_554
; %bb.553:
	scratch_load_b128 v[0:3], off, off offset:400
.LBB2066_554:
	s_wait_xcnt 0x0
	s_and_not1_saveexec_b32 s0, s0
	s_cbranch_execz .LBB2066_560
; %bb.555:
	s_wait_loadcnt 0x0
	v_mov_b32_e32 v0, 0
	s_mov_b32 s1, 0
.LBB2066_556:                           ; =>This Inner Loop Header: Depth=1
	s_delay_alu instid0(SALU_CYCLE_1) | instskip(SKIP_1) | instid1(SALU_CYCLE_1)
	v_add_nc_u32_e32 v1, s1, v6
	s_add_co_i32 s1, s1, 8
	s_cmp_lg_u32 s1, 16
	ds_store_2addr_b32 v1, v0, v0 offset1:1
	s_cbranch_scc1 .LBB2066_556
; %bb.557:
	s_mov_b32 s1, 0
.LBB2066_558:                           ; =>This Inner Loop Header: Depth=1
	s_wait_xcnt 0x0
	s_add_co_i32 s3, s51, s1
	scratch_load_b64 v[0:1], off, s1
	scratch_load_b64 v[2:3], off, s3
	v_add_nc_u32_e32 v9, s1, v6
	s_mov_b32 s2, s1
	s_wait_xcnt 0x1
	s_add_co_i32 s1, s1, 8
                                        ; kill: killed $sgpr3
                                        ; kill: killed $sgpr2
	s_delay_alu instid0(SALU_CYCLE_1)
	s_cmp_lg_u32 s1, 16
	s_wait_loadcnt 0x0
	v_dual_add_nc_u32 v1, v3, v1 :: v_dual_add_nc_u32 v0, v2, v0
	ds_store_2addr_b32 v9, v0, v1 offset1:1
	s_cbranch_scc1 .LBB2066_558
; %bb.559:
	ds_load_2addr_b32 v[0:1], v6 offset1:1
	ds_load_2addr_b32 v[2:3], v6 offset0:2 offset1:3
.LBB2066_560:
	s_wait_xcnt 0x0
	s_or_b32 exec_lo, exec_lo, s0
	scratch_load_u8 v17, off, off offset:436
	s_mov_b32 s0, exec_lo
	s_wait_loadcnt_dscnt 0x100
	scratch_store_b128 off, v[0:3], off
                                        ; implicit-def: $vgpr2_vgpr3
	s_wait_loadcnt 0x0
	v_cmpx_ne_u16_e32 0, v17
	s_xor_b32 s0, exec_lo, s0
	s_cbranch_execz .LBB2066_562
; %bb.561:
	scratch_load_b128 v[0:3], off, off offset:420
                                        ; implicit-def: $vgpr6
.LBB2066_562:
	s_wait_xcnt 0x0
	s_and_not1_saveexec_b32 s0, s0
	s_cbranch_execz .LBB2066_568
; %bb.563:
	s_wait_loadcnt 0x0
	v_mov_b32_e32 v0, 0
	s_mov_b32 s1, 0
.LBB2066_564:                           ; =>This Inner Loop Header: Depth=1
	s_delay_alu instid0(SALU_CYCLE_1) | instskip(SKIP_1) | instid1(SALU_CYCLE_1)
	v_add_nc_u32_e32 v1, s1, v6
	s_add_co_i32 s1, s1, 8
	s_cmp_lg_u32 s1, 16
	ds_store_2addr_b32 v1, v0, v0 offset1:1
	s_cbranch_scc1 .LBB2066_564
; %bb.565:
	s_mov_b32 s1, 0
.LBB2066_566:                           ; =>This Inner Loop Header: Depth=1
	s_wait_xcnt 0x0
	s_add_co_i32 s3, s52, s1
	scratch_load_b64 v[0:1], off, s1
	scratch_load_b64 v[2:3], off, s3
	v_add_nc_u32_e32 v9, s1, v6
	s_mov_b32 s2, s1
	s_wait_xcnt 0x1
	s_add_co_i32 s1, s1, 8
                                        ; kill: killed $sgpr3
                                        ; kill: killed $sgpr2
	s_delay_alu instid0(SALU_CYCLE_1)
	s_cmp_lg_u32 s1, 16
	s_wait_loadcnt 0x0
	v_dual_add_nc_u32 v1, v3, v1 :: v_dual_add_nc_u32 v0, v2, v0
	ds_store_2addr_b32 v9, v0, v1 offset1:1
	s_cbranch_scc1 .LBB2066_566
; %bb.567:
	ds_load_2addr_b32 v[0:1], v6 offset1:1
	ds_load_2addr_b32 v[2:3], v6 offset0:2 offset1:3
.LBB2066_568:
	s_wait_xcnt 0x0
	s_or_b32 exec_lo, exec_lo, s0
	s_clause 0x1
	scratch_load_u16 v6, off, off offset:17
	scratch_load_u8 v9, off, off offset:19
	v_bitop3_b16 v4, v4, 0xff, v5 bitop3:0xc8
	v_and_b32_e32 v16, 1, v16
	v_and_b32_e32 v5, 1, v7
	v_or_b32_e32 v7, v12, v8
	v_or_b32_e32 v12, v15, v14
	v_and_b32_e32 v8, 1, v13
	v_and_b32_e32 v13, 1, v17
	v_cmp_ne_u16_e64 s0, 0, v4
	v_lshrrev_b32_e32 v14, 5, v10
	v_cmp_eq_u32_e32 vcc_lo, 1, v16
	v_cmp_ne_u16_e64 s3, 0, v12
	v_cmp_ne_u16_e64 s2, 0, v7
	v_cmp_eq_u32_e64 s6, 1, v8
	v_cmp_eq_u32_e64 s7, 1, v13
	v_mul_u32_u24_e32 v15, 20, v10
	s_or_b32 s2, s2, s6
	s_wait_loadcnt 0x1
	v_lshrrev_b32_e32 v4, 8, v6
	v_cmp_eq_u32_e64 s1, 1, v5
	v_mad_u32_u24 v5, v14, 20, v15
	s_delay_alu instid0(VALU_DEP_3) | instskip(SKIP_2) | instid1(SALU_CYCLE_1)
	v_lshlrev_b16 v4, 8, v4
	s_or_b32 s0, s0, s1
	s_or_b32 s1, s3, vcc_lo
	s_or_b32 s1, s7, s1
	s_delay_alu instid0(VALU_DEP_1) | instskip(SKIP_1) | instid1(SALU_CYCLE_1)
	v_bitop3_b16 v4, v6, v4, 0xff bitop3:0xec
	s_or_b32 s1, s1, s2
	s_or_b32 s0, s1, s0
	s_mov_b32 s1, exec_lo
	v_cndmask_b32_e64 v8, 0, 1, s0
	v_and_b32_e32 v12, 0xffff, v4
	s_wait_dscnt 0x1
	ds_store_2addr_b32 v5, v0, v1 offset1:1
	s_wait_dscnt 0x1
	ds_store_2addr_b32 v5, v2, v3 offset0:2 offset1:3
	ds_store_b8 v5, v8 offset:16
	s_wait_storecnt 0x0
	s_wait_loadcnt_dscnt 0x0
	s_barrier_signal -1
	s_barrier_wait -1
	v_cmpx_gt_u32_e32 32, v10
	s_cbranch_execz .LBB2066_636
; %bb.569:
	v_lshrrev_b32_e32 v15, 4, v10
	v_mul_u32_u24_e32 v16, 40, v10
	v_mul_lo_u32 v19, v11, 20
	s_mov_b32 s0, exec_lo
	s_delay_alu instid0(VALU_DEP_2)
	v_mad_u32_u24 v13, v15, 20, v16
	ds_load_u8 v17, v13 offset:36
	ds_load_b32 v18, v13 offset:16
	ds_load_2addr_b32 v[4:5], v13 offset1:1
	ds_load_2addr_b32 v[6:7], v13 offset0:2 offset1:3
	v_add_nc_u32_e32 v14, 0x4700, v19
	v_add_nc_u32_e32 v20, 0x4708, v19
	s_wait_dscnt 0x1
	ds_store_2addr_b32 v14, v4, v5 offset1:1
	s_wait_dscnt 0x1
	ds_store_2addr_b32 v20, v6, v7 offset1:1
	ds_store_b32 v19, v18 offset:18192
                                        ; implicit-def: $vgpr4_vgpr5
	v_cmpx_ne_u16_e32 0, v17
	s_xor_b32 s0, exec_lo, s0
	s_cbranch_execz .LBB2066_571
; %bb.570:
	ds_load_2addr_b32 v[4:5], v13 offset0:5 offset1:6
	ds_load_2addr_b32 v[6:7], v13 offset0:7 offset1:8
.LBB2066_571:
	s_and_not1_saveexec_b32 s0, s0
	s_cbranch_execz .LBB2066_577
; %bb.572:
	s_wait_dscnt 0x1
	v_mov_b64_e32 v[4:5], 0
	s_mov_b32 s2, 0
.LBB2066_573:                           ; =>This Inner Loop Header: Depth=1
	s_wait_xcnt 0x0
	s_mov_b32 s3, s2
	s_add_co_i32 s2, s2, 8
	scratch_store_b64 off, v[4:5], s3
	s_cmp_lg_u32 s2, 16
	s_cbranch_scc1 .LBB2066_573
; %bb.574:
	s_wait_xcnt 0x0
	v_mul_u32_u24_e32 v4, 20, v15
	s_mov_b32 s2, 0
	s_delay_alu instid0(VALU_DEP_1)
	v_add3_u32 v4, v16, v4, 20
.LBB2066_575:                           ; =>This Inner Loop Header: Depth=1
	s_delay_alu instid0(VALU_DEP_1)
	v_dual_add_nc_u32 v5, s2, v14 :: v_dual_add_nc_u32 v19, s2, v4
	s_wait_xcnt 0x0
	s_mov_b32 s3, s2
	s_add_co_i32 s2, s2, 8
	s_wait_dscnt 0x0
	ds_load_2addr_b32 v[6:7], v5 offset1:1
	ds_load_2addr_b32 v[20:21], v19 offset1:1
	s_cmp_lg_u32 s2, 16
	s_wait_dscnt 0x0
	v_dual_add_nc_u32 v7, v21, v7 :: v_dual_add_nc_u32 v6, v20, v6
	scratch_store_b64 off, v[6:7], s3
	s_cbranch_scc1 .LBB2066_575
; %bb.576:
	scratch_load_b128 v[4:7], off, off
.LBB2066_577:
	s_wait_xcnt 0x0
	s_or_b32 exec_lo, exec_lo, s0
	v_bitop3_b16 v17, v17, 1, v18 bitop3:0xc8
	s_wait_loadcnt_dscnt 0x1
	v_mov_b32_dpp v22, v4 row_shr:1 row_mask:0xf bank_mask:0xf
	v_mov_b32_dpp v23, v5 row_shr:1 row_mask:0xf bank_mask:0xf
	s_wait_dscnt 0x0
	v_mov_b32_dpp v24, v6 row_shr:1 row_mask:0xf bank_mask:0xf
	v_mov_b32_dpp v25, v7 row_shr:1 row_mask:0xf bank_mask:0xf
	ds_store_b8 v14, v17 offset:16
	ds_load_b32 v18, v14 offset:16
	v_mbcnt_lo_u32_b32 v17, -1, 0
	s_mov_b32 s0, exec_lo
	ds_store_2addr_b32 v14, v4, v5 offset1:1
	ds_store_2addr_b32 v14, v6, v7 offset0:2 offset1:3
	v_and_b32_e32 v19, 15, v17
	s_wait_dscnt 0x2
	v_mov_b32_dpp v20, v18 row_shr:1 row_mask:0xf bank_mask:0xf
	s_clause 0x1
	scratch_store_b128 off, v[22:25], off
	scratch_store_b32 off, v20, off offset:16
	s_wait_xcnt 0x0
	v_cmpx_ne_u32_e32 0, v19
	s_xor_b32 s0, exec_lo, s0
	s_cbranch_execz .LBB2066_585
; %bb.578:
	v_and_b32_e32 v21, 0xff, v18
	s_mov_b32 s2, exec_lo
	s_delay_alu instid0(VALU_DEP_1)
	v_cmpx_eq_u16_e32 0, v21
	s_cbranch_execz .LBB2066_584
; %bb.579:
	v_mov_b64_e32 v[4:5], 0
	s_mov_b32 s3, 0
.LBB2066_580:                           ; =>This Inner Loop Header: Depth=1
	s_wait_xcnt 0x0
	s_add_co_i32 s6, s3, 0xb0
	s_add_co_i32 s3, s3, 8
	scratch_store_b64 off, v[4:5], s6
	s_cmp_lg_u32 s3, 16
	s_cbranch_scc1 .LBB2066_580
; %bb.581:
	s_mov_b32 s3, 0
.LBB2066_582:                           ; =>This Inner Loop Header: Depth=1
	scratch_load_b64 v[4:5], off, s3
	v_add_nc_u32_e32 v6, s3, v14
	s_add_co_i32 s6, s3, 0xb0
	s_wait_xcnt 0x0
	s_add_co_i32 s3, s3, 8
	s_delay_alu instid0(SALU_CYCLE_1)
	s_cmp_lg_u32 s3, 16
	ds_load_2addr_b32 v[6:7], v6 offset1:1
	s_wait_loadcnt_dscnt 0x0
	v_dual_add_nc_u32 v5, v7, v5 :: v_dual_add_nc_u32 v4, v6, v4
	scratch_store_b64 off, v[4:5], s6
	s_cbranch_scc1 .LBB2066_582
; %bb.583:
	scratch_load_b128 v[4:7], off, off offset:176
.LBB2066_584:
	s_wait_xcnt 0x0
	s_or_b32 exec_lo, exec_lo, s2
	v_or_b32_e32 v18, v20, v18
	s_delay_alu instid0(VALU_DEP_1)
	v_and_b32_e32 v18, 1, v18
	ds_store_b8 v14, v18 offset:16
	ds_load_b32 v18, v14 offset:16
	s_wait_loadcnt 0x0
	ds_store_2addr_b32 v14, v4, v5 offset1:1
	ds_store_2addr_b32 v14, v6, v7 offset0:2 offset1:3
.LBB2066_585:
	s_or_b32 exec_lo, exec_lo, s0
	v_mov_b32_dpp v22, v4 row_shr:2 row_mask:0xf bank_mask:0xf
	v_mov_b32_dpp v23, v5 row_shr:2 row_mask:0xf bank_mask:0xf
	v_mov_b32_dpp v24, v6 row_shr:2 row_mask:0xf bank_mask:0xf
	v_mov_b32_dpp v25, v7 row_shr:2 row_mask:0xf bank_mask:0xf
	s_wait_dscnt 0x2
	v_mov_b32_dpp v20, v18 row_shr:2 row_mask:0xf bank_mask:0xf
	s_mov_b32 s2, exec_lo
	s_clause 0x1
	scratch_store_b128 off, v[22:25], off
	scratch_store_b32 off, v20, off offset:16
	s_wait_xcnt 0x0
	v_cmpx_lt_u32_e32 1, v19
	s_cbranch_execz .LBB2066_593
; %bb.586:
	v_and_b32_e32 v21, 0xff, v18
	s_mov_b32 s3, 0
	s_mov_b32 s0, exec_lo
	s_delay_alu instid0(VALU_DEP_1)
	v_cmpx_eq_u16_e32 0, v21
	s_cbranch_execz .LBB2066_592
; %bb.587:
	v_mov_b64_e32 v[4:5], 0
.LBB2066_588:                           ; =>This Inner Loop Header: Depth=1
	s_wait_xcnt 0x0
	s_add_co_i32 s6, s3, 0xb0
	s_add_co_i32 s3, s3, 8
	scratch_store_b64 off, v[4:5], s6
	s_cmp_lg_u32 s3, 16
	s_cbranch_scc1 .LBB2066_588
; %bb.589:
	s_mov_b32 s3, 0
.LBB2066_590:                           ; =>This Inner Loop Header: Depth=1
	scratch_load_b64 v[4:5], off, s3
	v_add_nc_u32_e32 v6, s3, v14
	s_add_co_i32 s6, s3, 0xb0
	s_wait_xcnt 0x0
	s_add_co_i32 s3, s3, 8
	s_delay_alu instid0(SALU_CYCLE_1)
	s_cmp_lg_u32 s3, 16
	ds_load_2addr_b32 v[6:7], v6 offset1:1
	s_wait_loadcnt_dscnt 0x0
	v_dual_add_nc_u32 v5, v7, v5 :: v_dual_add_nc_u32 v4, v6, v4
	scratch_store_b64 off, v[4:5], s6
	s_cbranch_scc1 .LBB2066_590
; %bb.591:
	scratch_load_b128 v[4:7], off, off offset:176
.LBB2066_592:
	s_wait_xcnt 0x0
	s_or_b32 exec_lo, exec_lo, s0
	v_and_b32_e32 v18, 1, v18
	v_and_b32_e32 v20, 1, v20
	s_delay_alu instid0(VALU_DEP_2) | instskip(NEXT) | instid1(VALU_DEP_2)
	v_cmp_eq_u32_e32 vcc_lo, 1, v18
	v_cmp_eq_u32_e64 s0, 1, v20
	s_or_b32 s0, vcc_lo, s0
	s_delay_alu instid0(SALU_CYCLE_1)
	v_cndmask_b32_e64 v18, 0, 1, s0
	ds_store_b8 v14, v18 offset:16
	ds_load_b32 v18, v14 offset:16
	s_wait_loadcnt 0x0
	ds_store_2addr_b32 v14, v4, v5 offset1:1
	ds_store_2addr_b32 v14, v6, v7 offset0:2 offset1:3
.LBB2066_593:
	s_or_b32 exec_lo, exec_lo, s2
	v_mov_b32_dpp v22, v4 row_shr:4 row_mask:0xf bank_mask:0xf
	v_mov_b32_dpp v23, v5 row_shr:4 row_mask:0xf bank_mask:0xf
	v_mov_b32_dpp v24, v6 row_shr:4 row_mask:0xf bank_mask:0xf
	v_mov_b32_dpp v25, v7 row_shr:4 row_mask:0xf bank_mask:0xf
	s_wait_dscnt 0x2
	v_mov_b32_dpp v20, v18 row_shr:4 row_mask:0xf bank_mask:0xf
	s_mov_b32 s2, exec_lo
	s_clause 0x1
	scratch_store_b128 off, v[22:25], off
	scratch_store_b32 off, v20, off offset:16
	s_wait_xcnt 0x0
	v_cmpx_lt_u32_e32 3, v19
	s_cbranch_execz .LBB2066_601
; %bb.594:
	v_and_b32_e32 v21, 0xff, v18
	s_mov_b32 s3, 0
	s_mov_b32 s0, exec_lo
	s_delay_alu instid0(VALU_DEP_1)
	v_cmpx_eq_u16_e32 0, v21
	s_cbranch_execz .LBB2066_600
; %bb.595:
	v_mov_b64_e32 v[4:5], 0
.LBB2066_596:                           ; =>This Inner Loop Header: Depth=1
	s_wait_xcnt 0x0
	s_add_co_i32 s6, s3, 0xb0
	s_add_co_i32 s3, s3, 8
	scratch_store_b64 off, v[4:5], s6
	s_cmp_lg_u32 s3, 16
	s_cbranch_scc1 .LBB2066_596
; %bb.597:
	s_mov_b32 s3, 0
.LBB2066_598:                           ; =>This Inner Loop Header: Depth=1
	scratch_load_b64 v[4:5], off, s3
	v_add_nc_u32_e32 v6, s3, v14
	s_add_co_i32 s6, s3, 0xb0
	s_wait_xcnt 0x0
	s_add_co_i32 s3, s3, 8
	s_delay_alu instid0(SALU_CYCLE_1)
	s_cmp_lg_u32 s3, 16
	ds_load_2addr_b32 v[6:7], v6 offset1:1
	s_wait_loadcnt_dscnt 0x0
	v_dual_add_nc_u32 v5, v7, v5 :: v_dual_add_nc_u32 v4, v6, v4
	scratch_store_b64 off, v[4:5], s6
	s_cbranch_scc1 .LBB2066_598
; %bb.599:
	scratch_load_b128 v[4:7], off, off offset:176
.LBB2066_600:
	s_wait_xcnt 0x0
	s_or_b32 exec_lo, exec_lo, s0
	v_and_b32_e32 v18, 1, v18
	v_and_b32_e32 v20, 1, v20
	s_delay_alu instid0(VALU_DEP_2) | instskip(NEXT) | instid1(VALU_DEP_2)
	v_cmp_eq_u32_e32 vcc_lo, 1, v18
	v_cmp_eq_u32_e64 s0, 1, v20
	s_or_b32 s0, vcc_lo, s0
	s_delay_alu instid0(SALU_CYCLE_1)
	v_cndmask_b32_e64 v18, 0, 1, s0
	ds_store_b8 v14, v18 offset:16
	ds_load_b32 v18, v14 offset:16
	s_wait_loadcnt 0x0
	ds_store_2addr_b32 v14, v4, v5 offset1:1
	ds_store_2addr_b32 v14, v6, v7 offset0:2 offset1:3
.LBB2066_601:
	;; [unrolled: 64-line block ×3, first 2 shown]
	s_or_b32 exec_lo, exec_lo, s2
	ds_swizzle_b32 v20, v4 offset:swizzle(BROADCAST,32,15)
	ds_swizzle_b32 v21, v5 offset:swizzle(BROADCAST,32,15)
	;; [unrolled: 1-line block ×4, first 2 shown]
	s_wait_dscnt 0x6
	ds_swizzle_b32 v19, v18 offset:swizzle(BROADCAST,32,15)
	v_and_b32_e32 v24, 16, v17
	s_mov_b32 s2, exec_lo
	s_wait_dscnt 0x1
	scratch_store_b128 off, v[20:23], off
	s_wait_dscnt 0x0
	scratch_store_b32 off, v19, off offset:16
	s_wait_xcnt 0x0
	v_cmpx_ne_u32_e32 0, v24
	s_cbranch_execz .LBB2066_617
; %bb.610:
	v_and_b32_e32 v20, 0xff, v18
	s_mov_b32 s3, 0
	s_mov_b32 s0, exec_lo
	s_delay_alu instid0(VALU_DEP_1)
	v_cmpx_eq_u16_e32 0, v20
	s_cbranch_execz .LBB2066_616
; %bb.611:
	v_mov_b64_e32 v[4:5], 0
.LBB2066_612:                           ; =>This Inner Loop Header: Depth=1
	s_wait_xcnt 0x0
	s_add_co_i32 s6, s3, 0xb0
	s_add_co_i32 s3, s3, 8
	scratch_store_b64 off, v[4:5], s6
	s_cmp_lg_u32 s3, 16
	s_cbranch_scc1 .LBB2066_612
; %bb.613:
	s_mov_b32 s3, 0
.LBB2066_614:                           ; =>This Inner Loop Header: Depth=1
	scratch_load_b64 v[4:5], off, s3
	v_add_nc_u32_e32 v6, s3, v14
	s_add_co_i32 s6, s3, 0xb0
	s_wait_xcnt 0x0
	s_add_co_i32 s3, s3, 8
	s_delay_alu instid0(SALU_CYCLE_1)
	s_cmp_lg_u32 s3, 16
	ds_load_2addr_b32 v[6:7], v6 offset1:1
	s_wait_loadcnt_dscnt 0x0
	v_dual_add_nc_u32 v5, v7, v5 :: v_dual_add_nc_u32 v4, v6, v4
	scratch_store_b64 off, v[4:5], s6
	s_cbranch_scc1 .LBB2066_614
; %bb.615:
	scratch_load_b128 v[4:7], off, off offset:176
.LBB2066_616:
	s_wait_xcnt 0x0
	s_or_b32 exec_lo, exec_lo, s0
	v_and_b32_e32 v18, 1, v18
	v_and_b32_e32 v19, 1, v19
	s_delay_alu instid0(VALU_DEP_2) | instskip(NEXT) | instid1(VALU_DEP_2)
	v_cmp_eq_u32_e32 vcc_lo, 1, v18
	v_cmp_eq_u32_e64 s0, 1, v19
	s_or_b32 s0, vcc_lo, s0
	s_delay_alu instid0(SALU_CYCLE_1)
	v_cndmask_b32_e64 v18, 0, 1, s0
	ds_store_b8 v14, v18 offset:16
	ds_load_b32 v18, v14 offset:16
.LBB2066_617:
	s_or_b32 exec_lo, exec_lo, s2
	v_add_nc_u32_e32 v19, -1, v17
	s_mov_b32 s0, exec_lo
	s_delay_alu instid0(VALU_DEP_1) | instskip(SKIP_1) | instid1(VALU_DEP_1)
	v_cmp_gt_i32_e32 vcc_lo, 0, v19
	v_cndmask_b32_e32 v17, v19, v17, vcc_lo
	v_lshlrev_b32_e32 v19, 2, v17
	ds_load_u8 v17, v13 offset:16
	s_wait_loadcnt 0x0
	ds_bpermute_b32 v4, v19, v4
	ds_bpermute_b32 v5, v19, v5
	s_wait_dscnt 0x3
	ds_bpermute_b32 v18, v19, v18
	ds_bpermute_b32 v6, v19, v6
	;; [unrolled: 1-line block ×3, first 2 shown]
	s_wait_dscnt 0x3
	ds_store_2addr_b32 v14, v4, v5 offset1:1
	s_wait_dscnt 0x1
	ds_store_2addr_b32 v14, v6, v7 offset0:2 offset1:3
                                        ; implicit-def: $vgpr6_vgpr7
	v_cmpx_ne_u16_e32 0, v17
	s_xor_b32 s0, exec_lo, s0
	s_cbranch_execz .LBB2066_619
; %bb.618:
	ds_load_2addr_b32 v[4:5], v13 offset1:1
	ds_load_2addr_b32 v[6:7], v13 offset0:2 offset1:3
.LBB2066_619:
	s_and_not1_saveexec_b32 s0, s0
	s_cbranch_execz .LBB2066_625
; %bb.620:
	s_wait_dscnt 0x1
	v_mov_b64_e32 v[4:5], 0
	s_mov_b32 s2, 0
.LBB2066_621:                           ; =>This Inner Loop Header: Depth=1
	s_wait_xcnt 0x0
	s_mov_b32 s3, s2
	s_add_co_i32 s2, s2, 8
	scratch_store_b64 off, v[4:5], s3
	s_cmp_lg_u32 s2, 16
	s_cbranch_scc1 .LBB2066_621
; %bb.622:
	s_mov_b32 s2, 0
.LBB2066_623:                           ; =>This Inner Loop Header: Depth=1
	s_wait_dscnt 0x0
	s_wait_xcnt 0x0
	v_dual_add_nc_u32 v4, s2, v14 :: v_dual_add_nc_u32 v6, s2, v13
	s_mov_b32 s3, s2
	s_add_co_i32 s2, s2, 8
	ds_load_2addr_b32 v[4:5], v4 offset1:1
	ds_load_2addr_b32 v[6:7], v6 offset1:1
	s_cmp_lg_u32 s2, 16
	s_wait_dscnt 0x0
	v_dual_add_nc_u32 v5, v7, v5 :: v_dual_add_nc_u32 v4, v6, v4
	scratch_store_b64 off, v[4:5], s3
	s_cbranch_scc1 .LBB2066_623
; %bb.624:
	scratch_load_b128 v[4:7], off, off
.LBB2066_625:
	s_wait_xcnt 0x0
	s_or_b32 exec_lo, exec_lo, s0
	v_and_b32_e32 v17, 1, v17
	v_and_b32_e32 v18, 1, v18
	s_delay_alu instid0(VALU_DEP_2) | instskip(NEXT) | instid1(VALU_DEP_2)
	v_cmp_eq_u32_e32 vcc_lo, 1, v17
	v_cmp_eq_u32_e64 s0, 1, v18
	s_or_b32 s0, s0, vcc_lo
	s_delay_alu instid0(SALU_CYCLE_1)
	v_cndmask_b32_e64 v17, 0, 1, s0
	s_wait_loadcnt_dscnt 0x1
	ds_store_2addr_b32 v14, v4, v5 offset1:1
	s_wait_dscnt 0x1
	ds_store_2addr_b32 v14, v6, v7 offset0:2 offset1:3
	ds_store_b8 v14, v17 offset:16
	s_and_saveexec_b32 s0, s4
	s_cbranch_execz .LBB2066_627
; %bb.626:
	ds_store_2addr_b32 v14, v0, v1 offset1:1
	ds_store_2addr_b32 v14, v2, v3 offset0:2 offset1:3
	ds_store_b8 v14, v8 offset:16
.LBB2066_627:
	s_or_b32 exec_lo, exec_lo, s0
	; wave barrier
	ds_load_2addr_b32 v[4:5], v14 offset0:2 offset1:3
	ds_load_u8 v17, v14 offset:16
	ds_load_2addr_b32 v[6:7], v14 offset1:1
	s_mov_b32 s0, exec_lo
	s_wait_dscnt 0x2
	ds_store_2addr_b32 v13, v4, v5 offset0:2 offset1:3
	s_wait_dscnt 0x1
	ds_store_2addr_b32 v13, v6, v7 offset1:1
	ds_store_b8 v13, v17 offset:16
	; wave barrier
	ds_load_u8 v17, v13 offset:36
	ds_load_u8 v18, v14 offset:16
                                        ; implicit-def: $vgpr6_vgpr7
	s_wait_dscnt 0x1
	v_cmpx_ne_u16_e32 0, v17
	s_xor_b32 s0, exec_lo, s0
	s_cbranch_execz .LBB2066_629
; %bb.628:
	ds_load_2addr_b32 v[4:5], v13 offset0:5 offset1:6
	ds_load_2addr_b32 v[6:7], v13 offset0:7 offset1:8
                                        ; implicit-def: $vgpr15
                                        ; implicit-def: $vgpr16
.LBB2066_629:
	s_and_not1_saveexec_b32 s0, s0
	s_cbranch_execz .LBB2066_635
; %bb.630:
	s_wait_dscnt 0x1
	v_mov_b64_e32 v[4:5], 0
	s_mov_b32 s2, 0
.LBB2066_631:                           ; =>This Inner Loop Header: Depth=1
	s_wait_xcnt 0x0
	s_mov_b32 s3, s2
	s_add_co_i32 s2, s2, 8
	scratch_store_b64 off, v[4:5], s3
	s_cmp_lg_u32 s2, 16
	s_cbranch_scc1 .LBB2066_631
; %bb.632:
	s_wait_xcnt 0x0
	v_mul_u32_u24_e32 v4, 20, v15
	s_mov_b32 s2, 0
	s_delay_alu instid0(VALU_DEP_1)
	v_add3_u32 v4, v16, v4, 20
.LBB2066_633:                           ; =>This Inner Loop Header: Depth=1
	s_delay_alu instid0(VALU_DEP_1)
	v_dual_add_nc_u32 v5, s2, v14 :: v_dual_add_nc_u32 v15, s2, v4
	s_wait_xcnt 0x0
	s_mov_b32 s3, s2
	s_add_co_i32 s2, s2, 8
	s_wait_dscnt 0x0
	ds_load_2addr_b32 v[6:7], v5 offset1:1
	ds_load_2addr_b32 v[20:21], v15 offset1:1
	s_cmp_lg_u32 s2, 16
	s_wait_dscnt 0x0
	v_dual_add_nc_u32 v7, v21, v7 :: v_dual_add_nc_u32 v6, v20, v6
	scratch_store_b64 off, v[6:7], s3
	s_cbranch_scc1 .LBB2066_633
; %bb.634:
	scratch_load_b128 v[4:7], off, off
.LBB2066_635:
	s_wait_xcnt 0x0
	s_or_b32 exec_lo, exec_lo, s0
	s_wait_dscnt 0x0
	v_bitop3_b16 v15, v17, 1, v18 bitop3:0xc8
	s_wait_loadcnt 0x0
	ds_store_2addr_b32 v14, v4, v5 offset1:1
	ds_store_2addr_b32 v14, v6, v7 offset0:2 offset1:3
	ds_store_2addr_b32 v13, v6, v7 offset0:7 offset1:8
	ds_store_2addr_b32 v13, v4, v5 offset0:5 offset1:6
	ds_store_b8 v13, v15 offset:36
.LBB2066_636:
	s_or_b32 exec_lo, exec_lo, s1
	v_lshl_or_b32 v4, v9, 16, v12
	s_wait_storecnt_dscnt 0x0
	s_barrier_signal -1
	s_barrier_wait -1
	s_and_saveexec_b32 s0, s5
	s_cbranch_execz .LBB2066_638
; %bb.637:
	v_add_nc_u32_e32 v0, -1, v10
	s_delay_alu instid0(VALU_DEP_1) | instskip(SKIP_1) | instid1(VALU_DEP_1)
	v_lshrrev_b32_e32 v1, 5, v0
	v_mul_i32_i24_e32 v0, 20, v0
	v_mad_u32 v5, v1, 20, v0
	ds_load_2addr_b32 v[0:1], v5 offset1:1
	ds_load_2addr_b32 v[2:3], v5 offset0:2 offset1:3
	ds_load_u8 v8, v5 offset:16
.LBB2066_638:
	s_or_b32 exec_lo, exec_lo, s0
	s_clause 0x1
	scratch_load_b128 v[12:15], off, off offset:240
	scratch_load_b32 v5, off, off offset:256
	v_dual_lshrrev_b32 v6, 16, v4 :: v_dual_lshrrev_b32 v7, 8, v4
	s_wait_dscnt 0x0
	v_perm_b32 v4, v8, v4, 0xc0c0004
	s_delay_alu instid0(VALU_DEP_2) | instskip(NEXT) | instid1(VALU_DEP_1)
	v_lshlrev_b16 v6, 8, v6
	v_bitop3_b16 v6, v7, v6, 0xff bitop3:0xec
	s_delay_alu instid0(VALU_DEP_1) | instskip(NEXT) | instid1(VALU_DEP_1)
	v_lshlrev_b32_e32 v6, 16, v6
	v_or_b32_e32 v4, v4, v6
	s_clause 0x1
	scratch_store_b128 off, v[0:3], off offset:176
	scratch_store_b32 off, v4, off offset:192
	s_wait_loadcnt 0x1
	scratch_store_b128 off, v[12:15], off offset:196
	s_wait_loadcnt 0x0
	scratch_store_b32 off, v5, off offset:212
                                        ; implicit-def: $vgpr2_vgpr3
	s_wait_xcnt 0x0
	s_and_saveexec_b32 s0, s5
	s_delay_alu instid0(SALU_CYCLE_1)
	s_xor_b32 s0, exec_lo, s0
	s_cbranch_execz .LBB2066_648
; %bb.639:
	v_and_b32_e32 v0, 0xff, v5
	s_delay_alu instid0(VALU_DEP_1) | instskip(SKIP_1) | instid1(SALU_CYCLE_1)
	v_cmp_ne_u16_e32 vcc_lo, 0, v0
                                        ; implicit-def: $vgpr2_vgpr3
	s_and_saveexec_b32 s1, vcc_lo
	s_xor_b32 s1, exec_lo, s1
	s_cbranch_execz .LBB2066_641
; %bb.640:
	scratch_load_b128 v[0:3], off, off offset:196
.LBB2066_641:
	s_wait_xcnt 0x0
	s_and_not1_saveexec_b32 s1, s1
	s_cbranch_execz .LBB2066_647
; %bb.642:
	s_wait_loadcnt 0x0
	v_mov_b64_e32 v[0:1], 0
	s_mov_b32 s2, 0
.LBB2066_643:                           ; =>This Inner Loop Header: Depth=1
	s_wait_xcnt 0x0
	s_mov_b32 s3, s2
	s_add_co_i32 s2, s2, 8
	scratch_store_b64 off, v[0:1], s3
	s_cmp_lg_u32 s2, 16
	s_cbranch_scc1 .LBB2066_643
; %bb.644:
	s_mov_b32 s2, 0
.LBB2066_645:                           ; =>This Inner Loop Header: Depth=1
	s_wait_xcnt 0x0
	s_add_co_i32 s3, s2, 0xb0
	s_add_co_i32 s5, s2, 0xc4
	scratch_load_b64 v[0:1], off, s3
	scratch_load_b64 v[2:3], off, s5
                                        ; kill: killed $sgpr3
	s_wait_xcnt 0x1
	s_mov_b32 s3, s2
	s_add_co_i32 s2, s2, 8
                                        ; kill: killed $sgpr5
	s_delay_alu instid0(SALU_CYCLE_1)
	s_cmp_lg_u32 s2, 16
	s_wait_loadcnt 0x0
	v_dual_add_nc_u32 v1, v3, v1 :: v_dual_add_nc_u32 v0, v2, v0
	scratch_store_b64 off, v[0:1], s3
	s_cbranch_scc1 .LBB2066_645
; %bb.646:
	scratch_load_b128 v[0:3], off, off
.LBB2066_647:
	s_wait_xcnt 0x0
	s_or_b32 exec_lo, exec_lo, s1
	v_bitop3_b16 v5, v5, 1, v8 bitop3:0xc8
	s_wait_loadcnt 0x0
	s_clause 0x1
	scratch_store_b128 off, v[0:3], off offset:196
	scratch_store_b8 off, v5, off offset:212
	;;#ASMSTART
	;;#ASMEND
.LBB2066_648:
	s_wait_xcnt 0x0
	s_and_not1_saveexec_b32 s0, s0
	s_cbranch_execz .LBB2066_650
; %bb.649:
	scratch_load_b128 v[0:3], off, off offset:196
.LBB2066_650:
	s_wait_xcnt 0x0
	s_or_b32 exec_lo, exec_lo, s0
	s_clause 0x3
	scratch_load_u16 v4, off, off offset:213
	scratch_load_u8 v7, off, off offset:215
	scratch_load_u8 v6, off, off offset:276
	scratch_load_b128 v[12:15], off, off offset:196
	s_mov_b32 s0, exec_lo
	s_wait_loadcnt 0x3
	v_perm_b32 v8, v5, v4, 0xc0c0004
	s_wait_loadcnt 0x2
	v_perm_b32 v4, v4, v7, 0xc0c0005
	s_delay_alu instid0(VALU_DEP_1)
	v_lshl_or_b32 v4, v4, 16, v8
	s_wait_loadcnt 0x0
	s_clause 0x3
	scratch_store_b128 off, v[12:15], off offset:240
	scratch_store_b8 off, v5, off offset:256
	scratch_store_b128 off, v[0:3], off
	scratch_store_b32 off, v4, off offset:16
                                        ; implicit-def: $vgpr2_vgpr3
	s_wait_xcnt 0x0
	v_cmpx_ne_u16_e32 0, v6
	s_xor_b32 s0, exec_lo, s0
	s_cbranch_execz .LBB2066_652
; %bb.651:
	scratch_load_b128 v[0:3], off, off offset:260
.LBB2066_652:
	s_wait_xcnt 0x0
	s_or_saveexec_b32 s0, s0
	v_lshl_add_u32 v4, v11, 4, 0x4c00
	s_xor_b32 exec_lo, exec_lo, s0
	s_cbranch_execz .LBB2066_658
; %bb.653:
	s_wait_loadcnt 0x0
	v_mov_b32_e32 v0, 0
	s_mov_b32 s1, 0
.LBB2066_654:                           ; =>This Inner Loop Header: Depth=1
	s_delay_alu instid0(SALU_CYCLE_1) | instskip(SKIP_1) | instid1(SALU_CYCLE_1)
	v_add_nc_u32_e32 v1, s1, v4
	s_add_co_i32 s1, s1, 8
	s_cmp_lg_u32 s1, 16
	ds_store_2addr_b32 v1, v0, v0 offset1:1
	s_cbranch_scc1 .LBB2066_654
; %bb.655:
	s_mov_b32 s1, 0
.LBB2066_656:                           ; =>This Inner Loop Header: Depth=1
	s_wait_xcnt 0x0
	s_add_co_i32 s3, s23, s1
	scratch_load_b64 v[0:1], off, s1
	scratch_load_b64 v[2:3], off, s3
	v_add_nc_u32_e32 v7, s1, v4
	s_mov_b32 s2, s1
	s_wait_xcnt 0x1
	s_add_co_i32 s1, s1, 8
                                        ; kill: killed $sgpr3
                                        ; kill: killed $sgpr2
	s_delay_alu instid0(SALU_CYCLE_1)
	s_cmp_lg_u32 s1, 16
	s_wait_loadcnt 0x0
	v_dual_add_nc_u32 v1, v3, v1 :: v_dual_add_nc_u32 v0, v2, v0
	ds_store_2addr_b32 v7, v0, v1 offset1:1
	s_cbranch_scc1 .LBB2066_656
; %bb.657:
	ds_load_2addr_b32 v[0:1], v4 offset1:1
	ds_load_2addr_b32 v[2:3], v4 offset0:2 offset1:3
.LBB2066_658:
	s_wait_xcnt 0x0
	s_or_b32 exec_lo, exec_lo, s0
	scratch_load_u8 v7, off, off offset:296
	v_or_b32_e32 v6, v6, v5
	s_mov_b32 s0, exec_lo
	s_wait_loadcnt_dscnt 0x100
	scratch_store_b128 off, v[0:3], off
	scratch_store_b128 off, v[0:3], s23
	scratch_store_b8 off, v6, off offset:276
                                        ; implicit-def: $vgpr2_vgpr3
	s_wait_loadcnt 0x0
	v_cmpx_ne_u16_e32 0, v7
	s_xor_b32 s0, exec_lo, s0
	s_cbranch_execz .LBB2066_660
; %bb.659:
	scratch_load_b128 v[0:3], off, off offset:280
.LBB2066_660:
	s_wait_xcnt 0x0
	s_and_not1_saveexec_b32 s0, s0
	s_cbranch_execz .LBB2066_666
; %bb.661:
	s_wait_loadcnt 0x0
	v_mov_b32_e32 v0, 0
	s_mov_b32 s1, 0
.LBB2066_662:                           ; =>This Inner Loop Header: Depth=1
	s_delay_alu instid0(SALU_CYCLE_1) | instskip(SKIP_1) | instid1(SALU_CYCLE_1)
	v_add_nc_u32_e32 v1, s1, v4
	s_add_co_i32 s1, s1, 8
	s_cmp_lg_u32 s1, 16
	ds_store_2addr_b32 v1, v0, v0 offset1:1
	s_cbranch_scc1 .LBB2066_662
; %bb.663:
	s_mov_b32 s1, 0
.LBB2066_664:                           ; =>This Inner Loop Header: Depth=1
	s_wait_xcnt 0x0
	s_add_co_i32 s3, s33, s1
	scratch_load_b64 v[0:1], off, s1
	scratch_load_b64 v[2:3], off, s3
	v_add_nc_u32_e32 v5, s1, v4
	s_mov_b32 s2, s1
	s_wait_xcnt 0x1
	s_add_co_i32 s1, s1, 8
                                        ; kill: killed $sgpr3
                                        ; kill: killed $sgpr2
	s_delay_alu instid0(SALU_CYCLE_1)
	s_cmp_lg_u32 s1, 16
	s_wait_loadcnt 0x0
	v_dual_add_nc_u32 v1, v3, v1 :: v_dual_add_nc_u32 v0, v2, v0
	ds_store_2addr_b32 v5, v0, v1 offset1:1
	s_cbranch_scc1 .LBB2066_664
; %bb.665:
	ds_load_2addr_b32 v[0:1], v4 offset1:1
	ds_load_2addr_b32 v[2:3], v4 offset0:2 offset1:3
.LBB2066_666:
	s_wait_xcnt 0x0
	s_or_b32 exec_lo, exec_lo, s0
	scratch_load_u8 v5, off, off offset:316
	v_and_b32_e32 v6, 0xff, v6
	v_and_b32_e32 v7, 1, v7
	s_mov_b32 s1, exec_lo
	s_delay_alu instid0(VALU_DEP_2) | instskip(NEXT) | instid1(VALU_DEP_2)
	v_cmp_ne_u16_e32 vcc_lo, 0, v6
	v_cmp_eq_u32_e64 s0, 1, v7
	s_or_b32 s0, vcc_lo, s0
	s_delay_alu instid0(SALU_CYCLE_1)
	v_cndmask_b32_e64 v6, 0, 1, s0
	s_wait_loadcnt_dscnt 0x100
	scratch_store_b128 off, v[0:3], off
	scratch_store_b128 off, v[0:3], s33
	scratch_store_b8 off, v6, off offset:296
                                        ; implicit-def: $vgpr2_vgpr3
	s_wait_loadcnt 0x0
	v_cmpx_ne_u16_e32 0, v5
	s_xor_b32 s1, exec_lo, s1
	s_cbranch_execz .LBB2066_668
; %bb.667:
	scratch_load_b128 v[0:3], off, off offset:300
.LBB2066_668:
	s_wait_xcnt 0x0
	s_and_not1_saveexec_b32 s1, s1
	s_cbranch_execz .LBB2066_674
; %bb.669:
	s_wait_loadcnt 0x0
	v_mov_b32_e32 v0, 0
	s_mov_b32 s2, 0
.LBB2066_670:                           ; =>This Inner Loop Header: Depth=1
	s_delay_alu instid0(SALU_CYCLE_1) | instskip(SKIP_1) | instid1(SALU_CYCLE_1)
	v_add_nc_u32_e32 v1, s2, v4
	s_add_co_i32 s2, s2, 8
	s_cmp_lg_u32 s2, 16
	ds_store_2addr_b32 v1, v0, v0 offset1:1
	s_cbranch_scc1 .LBB2066_670
; %bb.671:
	s_mov_b32 s2, 0
.LBB2066_672:                           ; =>This Inner Loop Header: Depth=1
	s_wait_xcnt 0x0
	s_add_co_i32 s5, s46, s2
	scratch_load_b64 v[0:1], off, s2
	scratch_load_b64 v[2:3], off, s5
	v_add_nc_u32_e32 v6, s2, v4
	s_mov_b32 s3, s2
	s_wait_xcnt 0x1
	s_add_co_i32 s2, s2, 8
                                        ; kill: killed $sgpr3
	s_delay_alu instid0(SALU_CYCLE_1)
	s_cmp_lg_u32 s2, 16
	s_wait_loadcnt 0x0
	v_dual_add_nc_u32 v1, v3, v1 :: v_dual_add_nc_u32 v0, v2, v0
	ds_store_2addr_b32 v6, v0, v1 offset1:1
	s_cbranch_scc1 .LBB2066_672
; %bb.673:
	ds_load_2addr_b32 v[0:1], v4 offset1:1
	ds_load_2addr_b32 v[2:3], v4 offset0:2 offset1:3
.LBB2066_674:
	s_wait_xcnt 0x0
	s_or_b32 exec_lo, exec_lo, s1
	scratch_load_u8 v6, off, off offset:336
	v_and_b32_e32 v5, 1, v5
	s_mov_b32 s1, exec_lo
	s_delay_alu instid0(VALU_DEP_1) | instskip(SKIP_1) | instid1(SALU_CYCLE_1)
	v_cmp_eq_u32_e32 vcc_lo, 1, v5
	s_or_b32 s0, vcc_lo, s0
	v_cndmask_b32_e64 v5, 0, 1, s0
	s_wait_loadcnt_dscnt 0x100
	scratch_store_b128 off, v[0:3], off
	scratch_store_b128 off, v[0:3], s46
	scratch_store_b8 off, v5, off offset:316
                                        ; implicit-def: $vgpr2_vgpr3
	s_wait_loadcnt 0x0
	v_cmpx_ne_u16_e32 0, v6
	s_xor_b32 s1, exec_lo, s1
	s_cbranch_execz .LBB2066_676
; %bb.675:
	scratch_load_b128 v[0:3], off, off offset:320
.LBB2066_676:
	s_wait_xcnt 0x0
	s_and_not1_saveexec_b32 s1, s1
	s_cbranch_execz .LBB2066_682
; %bb.677:
	s_wait_loadcnt 0x0
	v_mov_b32_e32 v0, 0
	s_mov_b32 s2, 0
.LBB2066_678:                           ; =>This Inner Loop Header: Depth=1
	s_delay_alu instid0(SALU_CYCLE_1) | instskip(SKIP_1) | instid1(SALU_CYCLE_1)
	v_add_nc_u32_e32 v1, s2, v4
	s_add_co_i32 s2, s2, 8
	s_cmp_lg_u32 s2, 16
	ds_store_2addr_b32 v1, v0, v0 offset1:1
	s_cbranch_scc1 .LBB2066_678
; %bb.679:
	s_mov_b32 s2, 0
.LBB2066_680:                           ; =>This Inner Loop Header: Depth=1
	s_wait_xcnt 0x0
	s_add_co_i32 s5, s47, s2
	scratch_load_b64 v[0:1], off, s2
	scratch_load_b64 v[2:3], off, s5
	v_add_nc_u32_e32 v5, s2, v4
	s_mov_b32 s3, s2
	s_wait_xcnt 0x1
	s_add_co_i32 s2, s2, 8
                                        ; kill: killed $sgpr5
                                        ; kill: killed $sgpr3
	s_delay_alu instid0(SALU_CYCLE_1)
	s_cmp_lg_u32 s2, 16
	s_wait_loadcnt 0x0
	v_dual_add_nc_u32 v1, v3, v1 :: v_dual_add_nc_u32 v0, v2, v0
	ds_store_2addr_b32 v5, v0, v1 offset1:1
	s_cbranch_scc1 .LBB2066_680
; %bb.681:
	ds_load_2addr_b32 v[0:1], v4 offset1:1
	ds_load_2addr_b32 v[2:3], v4 offset0:2 offset1:3
.LBB2066_682:
	s_wait_xcnt 0x0
	s_or_b32 exec_lo, exec_lo, s1
	scratch_load_u8 v5, off, off offset:356
	v_and_b32_e32 v6, 1, v6
	s_mov_b32 s1, exec_lo
	s_delay_alu instid0(VALU_DEP_1) | instskip(SKIP_1) | instid1(SALU_CYCLE_1)
	v_cmp_eq_u32_e32 vcc_lo, 1, v6
	s_or_b32 s0, vcc_lo, s0
	v_cndmask_b32_e64 v6, 0, 1, s0
	s_wait_loadcnt_dscnt 0x100
	scratch_store_b128 off, v[0:3], off
	scratch_store_b128 off, v[0:3], s47
	scratch_store_b8 off, v6, off offset:336
                                        ; implicit-def: $vgpr2_vgpr3
	s_wait_loadcnt 0x0
	v_cmpx_ne_u16_e32 0, v5
	s_xor_b32 s1, exec_lo, s1
	s_cbranch_execz .LBB2066_684
; %bb.683:
	scratch_load_b128 v[0:3], off, off offset:340
.LBB2066_684:
	s_wait_xcnt 0x0
	s_and_not1_saveexec_b32 s1, s1
	s_cbranch_execz .LBB2066_690
; %bb.685:
	s_wait_loadcnt 0x0
	v_mov_b32_e32 v0, 0
	s_mov_b32 s2, 0
.LBB2066_686:                           ; =>This Inner Loop Header: Depth=1
	s_delay_alu instid0(SALU_CYCLE_1) | instskip(SKIP_1) | instid1(SALU_CYCLE_1)
	v_add_nc_u32_e32 v1, s2, v4
	s_add_co_i32 s2, s2, 8
	s_cmp_lg_u32 s2, 16
	ds_store_2addr_b32 v1, v0, v0 offset1:1
	s_cbranch_scc1 .LBB2066_686
; %bb.687:
	s_mov_b32 s2, 0
.LBB2066_688:                           ; =>This Inner Loop Header: Depth=1
	s_wait_xcnt 0x0
	s_add_co_i32 s5, s48, s2
	scratch_load_b64 v[0:1], off, s2
	scratch_load_b64 v[2:3], off, s5
	v_add_nc_u32_e32 v6, s2, v4
	s_mov_b32 s3, s2
	s_wait_xcnt 0x1
	s_add_co_i32 s2, s2, 8
                                        ; kill: killed $sgpr5
                                        ; kill: killed $sgpr3
	s_delay_alu instid0(SALU_CYCLE_1)
	s_cmp_lg_u32 s2, 16
	s_wait_loadcnt 0x0
	v_dual_add_nc_u32 v1, v3, v1 :: v_dual_add_nc_u32 v0, v2, v0
	ds_store_2addr_b32 v6, v0, v1 offset1:1
	s_cbranch_scc1 .LBB2066_688
; %bb.689:
	ds_load_2addr_b32 v[0:1], v4 offset1:1
	ds_load_2addr_b32 v[2:3], v4 offset0:2 offset1:3
.LBB2066_690:
	s_wait_xcnt 0x0
	s_or_b32 exec_lo, exec_lo, s1
	scratch_load_u8 v6, off, off offset:376
	v_and_b32_e32 v5, 1, v5
	s_mov_b32 s1, exec_lo
	s_delay_alu instid0(VALU_DEP_1) | instskip(SKIP_1) | instid1(SALU_CYCLE_1)
	v_cmp_eq_u32_e32 vcc_lo, 1, v5
	s_or_b32 s0, vcc_lo, s0
	v_cndmask_b32_e64 v5, 0, 1, s0
	s_wait_loadcnt_dscnt 0x100
	scratch_store_b128 off, v[0:3], off
	scratch_store_b128 off, v[0:3], s48
	scratch_store_b8 off, v5, off offset:356
                                        ; implicit-def: $vgpr2_vgpr3
	s_wait_loadcnt 0x0
	v_cmpx_ne_u16_e32 0, v6
	s_xor_b32 s1, exec_lo, s1
	s_cbranch_execz .LBB2066_692
; %bb.691:
	scratch_load_b128 v[0:3], off, off offset:360
.LBB2066_692:
	s_wait_xcnt 0x0
	s_and_not1_saveexec_b32 s1, s1
	s_cbranch_execz .LBB2066_698
; %bb.693:
	s_wait_loadcnt 0x0
	v_mov_b32_e32 v0, 0
	s_mov_b32 s2, 0
.LBB2066_694:                           ; =>This Inner Loop Header: Depth=1
	s_delay_alu instid0(SALU_CYCLE_1) | instskip(SKIP_1) | instid1(SALU_CYCLE_1)
	v_add_nc_u32_e32 v1, s2, v4
	s_add_co_i32 s2, s2, 8
	s_cmp_lg_u32 s2, 16
	ds_store_2addr_b32 v1, v0, v0 offset1:1
	s_cbranch_scc1 .LBB2066_694
; %bb.695:
	s_mov_b32 s2, 0
.LBB2066_696:                           ; =>This Inner Loop Header: Depth=1
	s_wait_xcnt 0x0
	s_add_co_i32 s5, s49, s2
	scratch_load_b64 v[0:1], off, s2
	scratch_load_b64 v[2:3], off, s5
	v_add_nc_u32_e32 v5, s2, v4
	s_mov_b32 s3, s2
	s_wait_xcnt 0x1
	s_add_co_i32 s2, s2, 8
                                        ; kill: killed $sgpr5
                                        ; kill: killed $sgpr3
	s_delay_alu instid0(SALU_CYCLE_1)
	s_cmp_lg_u32 s2, 16
	s_wait_loadcnt 0x0
	v_dual_add_nc_u32 v1, v3, v1 :: v_dual_add_nc_u32 v0, v2, v0
	ds_store_2addr_b32 v5, v0, v1 offset1:1
	s_cbranch_scc1 .LBB2066_696
; %bb.697:
	ds_load_2addr_b32 v[0:1], v4 offset1:1
	ds_load_2addr_b32 v[2:3], v4 offset0:2 offset1:3
.LBB2066_698:
	s_wait_xcnt 0x0
	s_or_b32 exec_lo, exec_lo, s1
	scratch_load_u8 v5, off, off offset:396
	v_and_b32_e32 v6, 1, v6
	s_mov_b32 s1, exec_lo
	s_delay_alu instid0(VALU_DEP_1) | instskip(SKIP_1) | instid1(SALU_CYCLE_1)
	v_cmp_eq_u32_e32 vcc_lo, 1, v6
	s_or_b32 s0, vcc_lo, s0
	v_cndmask_b32_e64 v6, 0, 1, s0
	s_wait_loadcnt_dscnt 0x100
	scratch_store_b128 off, v[0:3], off
	scratch_store_b128 off, v[0:3], s49
	scratch_store_b8 off, v6, off offset:376
                                        ; implicit-def: $vgpr2_vgpr3
	s_wait_loadcnt 0x0
	v_cmpx_ne_u16_e32 0, v5
	s_xor_b32 s1, exec_lo, s1
	s_cbranch_execz .LBB2066_700
; %bb.699:
	scratch_load_b128 v[0:3], off, off offset:380
.LBB2066_700:
	s_wait_xcnt 0x0
	s_and_not1_saveexec_b32 s1, s1
	s_cbranch_execz .LBB2066_706
; %bb.701:
	s_wait_loadcnt 0x0
	v_mov_b32_e32 v0, 0
	s_mov_b32 s2, 0
.LBB2066_702:                           ; =>This Inner Loop Header: Depth=1
	s_delay_alu instid0(SALU_CYCLE_1) | instskip(SKIP_1) | instid1(SALU_CYCLE_1)
	v_add_nc_u32_e32 v1, s2, v4
	s_add_co_i32 s2, s2, 8
	s_cmp_lg_u32 s2, 16
	ds_store_2addr_b32 v1, v0, v0 offset1:1
	s_cbranch_scc1 .LBB2066_702
; %bb.703:
	s_mov_b32 s2, 0
.LBB2066_704:                           ; =>This Inner Loop Header: Depth=1
	s_wait_xcnt 0x0
	s_add_co_i32 s5, s50, s2
	scratch_load_b64 v[0:1], off, s2
	scratch_load_b64 v[2:3], off, s5
	v_add_nc_u32_e32 v6, s2, v4
	s_mov_b32 s3, s2
	s_wait_xcnt 0x1
	s_add_co_i32 s2, s2, 8
                                        ; kill: killed $sgpr5
                                        ; kill: killed $sgpr3
	s_delay_alu instid0(SALU_CYCLE_1)
	s_cmp_lg_u32 s2, 16
	s_wait_loadcnt 0x0
	v_dual_add_nc_u32 v1, v3, v1 :: v_dual_add_nc_u32 v0, v2, v0
	ds_store_2addr_b32 v6, v0, v1 offset1:1
	s_cbranch_scc1 .LBB2066_704
; %bb.705:
	ds_load_2addr_b32 v[0:1], v4 offset1:1
	ds_load_2addr_b32 v[2:3], v4 offset0:2 offset1:3
.LBB2066_706:
	s_wait_xcnt 0x0
	s_or_b32 exec_lo, exec_lo, s1
	scratch_load_u8 v6, off, off offset:416
	v_and_b32_e32 v5, 1, v5
	s_mov_b32 s1, exec_lo
	s_delay_alu instid0(VALU_DEP_1) | instskip(SKIP_1) | instid1(SALU_CYCLE_1)
	v_cmp_eq_u32_e32 vcc_lo, 1, v5
	s_or_b32 s0, vcc_lo, s0
	v_cndmask_b32_e64 v5, 0, 1, s0
	s_wait_loadcnt_dscnt 0x100
	scratch_store_b128 off, v[0:3], off
	scratch_store_b128 off, v[0:3], s50
	scratch_store_b8 off, v5, off offset:396
                                        ; implicit-def: $vgpr2_vgpr3
	s_wait_loadcnt 0x0
	v_cmpx_ne_u16_e32 0, v6
	s_xor_b32 s1, exec_lo, s1
	s_cbranch_execz .LBB2066_708
; %bb.707:
	scratch_load_b128 v[0:3], off, off offset:400
.LBB2066_708:
	s_wait_xcnt 0x0
	s_and_not1_saveexec_b32 s1, s1
	s_cbranch_execz .LBB2066_714
; %bb.709:
	s_wait_loadcnt 0x0
	v_mov_b32_e32 v0, 0
	s_mov_b32 s2, 0
.LBB2066_710:                           ; =>This Inner Loop Header: Depth=1
	s_delay_alu instid0(SALU_CYCLE_1) | instskip(SKIP_1) | instid1(SALU_CYCLE_1)
	v_add_nc_u32_e32 v1, s2, v4
	s_add_co_i32 s2, s2, 8
	s_cmp_lg_u32 s2, 16
	ds_store_2addr_b32 v1, v0, v0 offset1:1
	s_cbranch_scc1 .LBB2066_710
; %bb.711:
	s_mov_b32 s2, 0
.LBB2066_712:                           ; =>This Inner Loop Header: Depth=1
	s_wait_xcnt 0x0
	s_add_co_i32 s5, s51, s2
	scratch_load_b64 v[0:1], off, s2
	scratch_load_b64 v[2:3], off, s5
	v_add_nc_u32_e32 v5, s2, v4
	s_mov_b32 s3, s2
	s_wait_xcnt 0x1
	s_add_co_i32 s2, s2, 8
                                        ; kill: killed $sgpr5
                                        ; kill: killed $sgpr3
	s_delay_alu instid0(SALU_CYCLE_1)
	s_cmp_lg_u32 s2, 16
	s_wait_loadcnt 0x0
	v_dual_add_nc_u32 v1, v3, v1 :: v_dual_add_nc_u32 v0, v2, v0
	ds_store_2addr_b32 v5, v0, v1 offset1:1
	s_cbranch_scc1 .LBB2066_712
; %bb.713:
	ds_load_2addr_b32 v[0:1], v4 offset1:1
	ds_load_2addr_b32 v[2:3], v4 offset0:2 offset1:3
.LBB2066_714:
	s_wait_xcnt 0x0
	s_or_b32 exec_lo, exec_lo, s1
	scratch_load_u8 v5, off, off offset:436
	v_and_b32_e32 v6, 1, v6
	s_mov_b32 s1, exec_lo
	s_delay_alu instid0(VALU_DEP_1) | instskip(SKIP_1) | instid1(SALU_CYCLE_1)
	v_cmp_eq_u32_e32 vcc_lo, 1, v6
	s_or_b32 s0, vcc_lo, s0
	v_cndmask_b32_e64 v6, 0, 1, s0
	s_wait_loadcnt_dscnt 0x100
	scratch_store_b128 off, v[0:3], off
	scratch_store_b128 off, v[0:3], s51
	scratch_store_b8 off, v6, off offset:416
                                        ; implicit-def: $vgpr2_vgpr3
	s_wait_loadcnt 0x0
	v_cmpx_ne_u16_e32 0, v5
	s_xor_b32 s1, exec_lo, s1
	s_cbranch_execz .LBB2066_716
; %bb.715:
	scratch_load_b128 v[0:3], off, off offset:420
                                        ; implicit-def: $vgpr4
.LBB2066_716:
	s_wait_xcnt 0x0
	s_and_not1_saveexec_b32 s1, s1
	s_cbranch_execz .LBB2066_722
; %bb.717:
	s_wait_loadcnt 0x0
	v_mov_b32_e32 v0, 0
	s_mov_b32 s2, 0
.LBB2066_718:                           ; =>This Inner Loop Header: Depth=1
	s_delay_alu instid0(SALU_CYCLE_1) | instskip(SKIP_1) | instid1(SALU_CYCLE_1)
	v_add_nc_u32_e32 v1, s2, v4
	s_add_co_i32 s2, s2, 8
	s_cmp_lg_u32 s2, 16
	ds_store_2addr_b32 v1, v0, v0 offset1:1
	s_cbranch_scc1 .LBB2066_718
; %bb.719:
	s_mov_b32 s2, 0
.LBB2066_720:                           ; =>This Inner Loop Header: Depth=1
	s_wait_xcnt 0x0
	s_add_co_i32 s5, s52, s2
	scratch_load_b64 v[0:1], off, s2
	scratch_load_b64 v[2:3], off, s5
	v_add_nc_u32_e32 v6, s2, v4
	s_mov_b32 s3, s2
	s_wait_xcnt 0x1
	s_add_co_i32 s2, s2, 8
                                        ; kill: killed $sgpr5
                                        ; kill: killed $sgpr3
	s_delay_alu instid0(SALU_CYCLE_1)
	s_cmp_lg_u32 s2, 16
	s_wait_loadcnt 0x0
	v_dual_add_nc_u32 v1, v3, v1 :: v_dual_add_nc_u32 v0, v2, v0
	ds_store_2addr_b32 v6, v0, v1 offset1:1
	s_cbranch_scc1 .LBB2066_720
; %bb.721:
	ds_load_2addr_b32 v[0:1], v4 offset1:1
	ds_load_2addr_b32 v[2:3], v4 offset0:2 offset1:3
.LBB2066_722:
	s_wait_xcnt 0x0
	s_or_b32 exec_lo, exec_lo, s1
	v_dual_mov_b32 v4, 0 :: v_dual_bitop2_b32 v5, 1, v5 bitop3:0x40
	ds_load_b128 v[12:15], v4 offset:1280
	ds_load_u8 v6, v4 offset:1296
	v_cmp_eq_u32_e32 vcc_lo, 1, v5
	s_or_b32 s0, vcc_lo, s0
	s_delay_alu instid0(SALU_CYCLE_1)
	v_cndmask_b32_e64 v5, 0, 1, s0
	s_wait_loadcnt_dscnt 0x2
	scratch_store_b128 off, v[0:3], s52
	scratch_store_b8 off, v5, off offset:436
	s_wait_dscnt 0x1
	scratch_store_b128 off, v[12:15], off offset:216
	s_wait_dscnt 0x0
	scratch_store_b8 off, v6, off offset:232
	s_wait_xcnt 0x0
	s_and_saveexec_b32 s0, s4
	s_cbranch_execz .LBB2066_724
; %bb.723:
	scratch_load_b128 v[0:3], off, off offset:216
	v_mov_b32_e32 v5, 2
	s_wait_loadcnt 0x0
	s_clause 0x1
	global_store_b128 v4, v[0:3], s[18:19] offset:640
	global_store_b8 v4, v6, s[18:19] offset:656
	global_wb scope:SCOPE_DEV
	s_wait_storecnt 0x0
	global_inv scope:SCOPE_DEV
	s_wait_xcnt 0x0
	global_store_b8 v4, v5, s[20:21] offset:32 scope:SCOPE_DEV
.LBB2066_724:
	s_wait_xcnt 0x0
	s_or_b32 exec_lo, exec_lo, s0
.LBB2066_725:
	s_wait_xcnt 0x1
	v_mov_b64_e32 v[0:1], 0
	s_mov_b32 s0, 0
.LBB2066_726:                           ; =>This Inner Loop Header: Depth=1
	s_wait_xcnt 0x0
	s_mov_b32 s1, s0
	s_add_co_i32 s0, s0, 8
	scratch_store_b64 off, v[0:1], s1
	s_cmp_lg_u32 s0, 16
	s_cbranch_scc1 .LBB2066_726
; %bb.727:
	s_wait_xcnt 0x0
	v_mov_b64_e32 v[0:1], 0
	s_mov_b32 s0, 16
.LBB2066_728:                           ; =>This Inner Loop Header: Depth=1
	s_wait_xcnt 0x0
	s_mov_b32 s1, s0
	s_add_co_i32 s0, s0, 8
	scratch_store_b64 off, v[0:1], s1
	s_cmp_lg_u32 s0, 32
	s_cbranch_scc1 .LBB2066_728
; %bb.729:
	;; [unrolled: 11-line block ×5, first 2 shown]
	s_wait_xcnt 0x0
	v_mov_b64_e32 v[0:1], 0
	s_movk_i32 s0, 0x50
.LBB2066_736:                           ; =>This Inner Loop Header: Depth=1
	s_wait_xcnt 0x0
	s_mov_b32 s1, s0
	s_add_co_i32 s0, s0, 8
	scratch_store_b64 off, v[0:1], s1
	s_cmp_lg_u32 s0, 0x60
	s_cbranch_scc1 .LBB2066_736
; %bb.737:
	s_wait_xcnt 0x0
	v_mov_b64_e32 v[0:1], 0
	s_movk_i32 s0, 0x60
.LBB2066_738:                           ; =>This Inner Loop Header: Depth=1
	s_wait_xcnt 0x0
	s_mov_b32 s1, s0
	s_add_co_i32 s0, s0, 8
	scratch_store_b64 off, v[0:1], s1
	s_cmp_lg_u32 s0, 0x70
	s_cbranch_scc1 .LBB2066_738
; %bb.739:
	;; [unrolled: 11-line block ×5, first 2 shown]
	s_wait_xcnt 0x0
	s_add_nc_u64 s[0:1], s[14:15], s[34:35]
	s_movk_i32 s2, 0x90
	s_movk_i32 s3, 0x80
	;; [unrolled: 1-line block ×5, first 2 shown]
	s_and_b32 vcc_lo, exec_lo, s39
	s_add_nc_u64 s[0:1], s[0:1], s[24:25]
	s_cbranch_vccz .LBB2066_776
; %bb.746:
	v_mul_u32_u24_e32 v0, 10, v10
	s_add_co_i32 s57, s57, s22
	s_mov_b32 s7, exec_lo
	s_delay_alu instid0(VALU_DEP_1)
	v_cmpx_gt_u32_e64 s57, v0
	s_cbranch_execz .LBB2066_757
; %bb.747:
	scratch_load_b128 v[2:5], off, off offset:240
	v_or_b32_e32 v1, 1, v0
	s_delay_alu instid0(VALU_DEP_1)
	v_cmp_gt_u32_e32 vcc_lo, s57, v1
	s_wait_loadcnt 0x0
	scratch_store_b128 off, v[2:5], off
	s_wait_xcnt 0x0
	s_and_b32 exec_lo, exec_lo, vcc_lo
	s_cbranch_execz .LBB2066_757
; %bb.748:
	scratch_load_b128 v[2:5], off, s23
	v_add_nc_u32_e32 v1, 2, v0
	s_delay_alu instid0(VALU_DEP_1)
	v_cmp_gt_u32_e32 vcc_lo, s57, v1
	s_wait_loadcnt 0x0
	scratch_store_b128 off, v[2:5], s56
	s_wait_xcnt 0x0
	s_and_b32 exec_lo, exec_lo, vcc_lo
	s_cbranch_execz .LBB2066_757
; %bb.749:
	scratch_load_b128 v[2:5], off, s33
	v_add_nc_u32_e32 v1, 3, v0
	s_delay_alu instid0(VALU_DEP_1)
	v_cmp_gt_u32_e32 vcc_lo, s57, v1
	s_wait_loadcnt 0x0
	scratch_store_b128 off, v[2:5], s55
	s_wait_xcnt 0x0
	s_and_b32 exec_lo, exec_lo, vcc_lo
	s_cbranch_execz .LBB2066_757
; %bb.750:
	scratch_load_b128 v[2:5], off, s46
	v_add_nc_u32_e32 v1, 4, v0
	s_delay_alu instid0(VALU_DEP_1)
	v_cmp_gt_u32_e32 vcc_lo, s57, v1
	s_wait_loadcnt 0x0
	scratch_store_b128 off, v[2:5], s54
	s_wait_xcnt 0x0
	s_and_b32 exec_lo, exec_lo, vcc_lo
	s_cbranch_execz .LBB2066_757
; %bb.751:
	scratch_load_b128 v[2:5], off, s47
	v_add_nc_u32_e32 v1, 5, v0
	s_delay_alu instid0(VALU_DEP_1)
	v_cmp_gt_u32_e32 vcc_lo, s57, v1
	s_wait_loadcnt 0x0
	scratch_store_b128 off, v[2:5], s53
	s_wait_xcnt 0x0
	s_and_b32 exec_lo, exec_lo, vcc_lo
	s_cbranch_execz .LBB2066_757
; %bb.752:
	scratch_load_b128 v[2:5], off, s48
	v_add_nc_u32_e32 v1, 6, v0
	s_delay_alu instid0(VALU_DEP_1)
	v_cmp_gt_u32_e32 vcc_lo, s57, v1
	s_wait_loadcnt 0x0
	scratch_store_b128 off, v[2:5], s6
	s_wait_xcnt 0x0
	s_and_b32 exec_lo, exec_lo, vcc_lo
	s_cbranch_execz .LBB2066_757
; %bb.753:
	scratch_load_b128 v[2:5], off, s49
	v_add_nc_u32_e32 v1, 7, v0
	s_delay_alu instid0(VALU_DEP_1)
	v_cmp_gt_u32_e32 vcc_lo, s57, v1
	s_wait_loadcnt 0x0
	scratch_store_b128 off, v[2:5], s5
	s_wait_xcnt 0x0
	s_and_b32 exec_lo, exec_lo, vcc_lo
	s_cbranch_execz .LBB2066_757
; %bb.754:
	scratch_load_b128 v[2:5], off, s50
	v_add_nc_u32_e32 v1, 8, v0
	s_delay_alu instid0(VALU_DEP_1)
	v_cmp_gt_u32_e32 vcc_lo, s57, v1
	s_wait_loadcnt 0x0
	scratch_store_b128 off, v[2:5], s4
	s_wait_xcnt 0x0
	s_and_b32 exec_lo, exec_lo, vcc_lo
	s_cbranch_execz .LBB2066_757
; %bb.755:
	scratch_load_b128 v[2:5], off, s51
	v_add_nc_u32_e32 v1, 9, v0
	s_delay_alu instid0(VALU_DEP_1)
	v_cmp_gt_u32_e32 vcc_lo, s57, v1
	s_wait_loadcnt 0x0
	scratch_store_b128 off, v[2:5], s3
	s_wait_xcnt 0x0
	s_and_b32 exec_lo, exec_lo, vcc_lo
	s_cbranch_execz .LBB2066_757
; %bb.756:
	scratch_load_b128 v[2:5], off, s52
	s_wait_loadcnt 0x0
	scratch_store_b128 off, v[2:5], s2
.LBB2066_757:
	s_wait_xcnt 0x0
	s_or_b32 exec_lo, exec_lo, s7
	s_wait_loadcnt 0x0
	s_wait_storecnt 0x0
	s_barrier_signal -1
	s_barrier_wait -1
	scratch_load_b128 v[4:7], off, off
	s_clause 0x8
	scratch_load_b128 v[12:15], off, s56
	scratch_load_b128 v[16:19], off, s55
	scratch_load_b128 v[20:23], off, s54
	scratch_load_b128 v[24:27], off, s53
	scratch_load_b128 v[28:31], off, s6
	scratch_load_b128 v[32:35], off, s5
	scratch_load_b128 v[36:39], off, s4
	scratch_load_b128 v[40:43], off, s3
	scratch_load_b128 v[44:47], off, s2
	v_dual_mov_b32 v1, 0 :: v_dual_lshlrev_b32 v0, 4, v0
	s_mov_b32 s7, exec_lo
	s_wait_loadcnt 0x9
	ds_store_b128 v0, v[4:7]
	s_wait_loadcnt 0x8
	ds_store_b128 v0, v[12:15] offset:16
	s_wait_loadcnt 0x7
	ds_store_b128 v0, v[16:19] offset:32
	;; [unrolled: 2-line block ×9, first 2 shown]
	v_mad_i32_i24 v2, 0xffffff70, v10, v0
	s_wait_dscnt 0x0
	s_barrier_signal -1
	s_barrier_wait -1
	ds_load_b128 v[4:7], v2 offset:1024
	ds_load_b128 v[12:15], v2 offset:2048
	;; [unrolled: 1-line block ×9, first 2 shown]
	v_lshlrev_b32_e32 v0, 4, v10
	s_wait_dscnt 0x8
	scratch_store_b128 off, v[4:7], s56
	s_wait_dscnt 0x7
	scratch_store_b128 off, v[12:15], s55
	;; [unrolled: 2-line block ×9, first 2 shown]
	v_add_nc_u64_e32 v[0:1], s[0:1], v[0:1]
	s_wait_xcnt 0x0
	v_cmpx_gt_u32_e64 s57, v10
	s_cbranch_execz .LBB2066_759
; %bb.758:
	ds_load_2addr_b32 v[4:5], v2 offset0:2 offset1:3
	ds_load_2addr_b32 v[2:3], v2 offset1:1
	s_wait_dscnt 0x0
	flat_store_b128 v[0:1], v[2:5]
.LBB2066_759:
	s_wait_xcnt 0x0
	s_or_b32 exec_lo, exec_lo, s7
	v_add_nc_u32_e32 v2, 64, v10
	s_mov_b32 s7, exec_lo
	s_delay_alu instid0(VALU_DEP_1)
	v_cmpx_gt_u32_e64 s57, v2
	s_cbranch_execz .LBB2066_761
; %bb.760:
	scratch_load_b128 v[2:5], off, s56
	s_wait_loadcnt 0x0
	flat_store_b128 v[0:1], v[2:5] offset:1024
.LBB2066_761:
	s_wait_xcnt 0x0
	s_or_b32 exec_lo, exec_lo, s7
	v_add_nc_u32_e32 v2, 0x80, v10
	s_mov_b32 s7, exec_lo
	s_delay_alu instid0(VALU_DEP_1)
	v_cmpx_gt_u32_e64 s57, v2
	s_cbranch_execz .LBB2066_763
; %bb.762:
	scratch_load_b128 v[2:5], off, s55
	s_wait_loadcnt 0x0
	flat_store_b128 v[0:1], v[2:5] offset:2048
.LBB2066_763:
	;; [unrolled: 12-line block ×8, first 2 shown]
	s_wait_xcnt 0x0
	s_or_b32 exec_lo, exec_lo, s7
	v_add_nc_u32_e32 v0, 0x240, v10
	s_delay_alu instid0(VALU_DEP_1)
	v_cmp_gt_u32_e64 s7, s57, v0
	s_branch .LBB2066_778
.LBB2066_776:
	s_mov_b32 s7, 0
	s_cbranch_execz .LBB2066_778
; %bb.777:
	s_clause 0x3
	scratch_load_b128 v[0:3], off, s23
	scratch_load_b128 v[4:7], off, s33
	;; [unrolled: 1-line block ×4, first 2 shown]
                                        ; kill: killed $sgpr23
                                        ; kill: killed $sgpr33
                                        ; kill: killed $sgpr46
                                        ; kill: killed $sgpr47
	scratch_load_b128 v[20:23], off, off offset:240
	s_clause 0x4
	scratch_load_b128 v[24:27], off, s48
	scratch_load_b128 v[28:31], off, s49
	scratch_load_b128 v[32:35], off, s50
	scratch_load_b128 v[36:39], off, s51
	scratch_load_b128 v[40:43], off, s52
	v_mul_i32_i24_e32 v8, 0xffffff70, v10
	v_mul_u32_u24_e32 v9, 0xa0, v10
	s_or_b32 s7, s7, exec_lo
	s_wait_loadcnt 0x9
	scratch_store_b128 off, v[0:3], s56
	s_wait_loadcnt 0x8
	scratch_store_b128 off, v[4:7], s55
	;; [unrolled: 2-line block ×4, first 2 shown]
	s_wait_loadcnt 0x5
	scratch_store_b128 off, v[20:23], off
	s_wait_loadcnt 0x4
	scratch_store_b128 off, v[24:27], s6
	s_wait_loadcnt 0x3
	scratch_store_b128 off, v[28:31], s5
	;; [unrolled: 2-line block ×5, first 2 shown]
	s_wait_storecnt_dscnt 0x0
	s_barrier_signal -1
	s_barrier_wait -1
	scratch_load_b128 v[0:3], off, off
	s_clause 0x8
	scratch_load_b128 v[4:7], off, s56
	scratch_load_b128 v[12:15], off, s55
	;; [unrolled: 1-line block ×9, first 2 shown]
	v_mad_u32_u24 v8, 0xa0, v10, v8
	s_wait_loadcnt 0x9
	ds_store_b128 v9, v[0:3]
	s_wait_loadcnt 0x8
	ds_store_b128 v9, v[4:7] offset:16
	s_wait_loadcnt 0x7
	ds_store_b128 v9, v[12:15] offset:32
	;; [unrolled: 2-line block ×9, first 2 shown]
	s_wait_dscnt 0x0
	s_barrier_signal -1
	s_barrier_wait -1
	ds_load_b128 v[0:3], v8 offset:1024
	ds_load_b128 v[4:7], v8 offset:2048
	;; [unrolled: 1-line block ×9, first 2 shown]
	ds_load_2addr_b32 v[42:43], v8 offset0:2 offset1:3
	ds_load_2addr_b32 v[40:41], v8 offset1:1
	s_wait_dscnt 0xa
	scratch_store_b128 off, v[0:3], s56
	s_wait_dscnt 0x9
	scratch_store_b128 off, v[4:7], s55
	;; [unrolled: 2-line block ×9, first 2 shown]
	s_wait_dscnt 0x0
	flat_store_b128 v10, v[40:43], s[0:1] scale_offset
	scratch_load_b128 v[0:3], off, s56
	s_wait_loadcnt 0x0
	flat_store_b128 v10, v[0:3], s[0:1] offset:1024 scale_offset
	scratch_load_b128 v[0:3], off, s55
	s_wait_loadcnt 0x0
	flat_store_b128 v10, v[0:3], s[0:1] offset:2048 scale_offset
	;; [unrolled: 3-line block ×8, first 2 shown]
.LBB2066_778:
	s_wait_xcnt 0x0
	s_delay_alu instid0(VALU_DEP_1)
	s_and_saveexec_b32 s3, s7
	s_cbranch_execnz .LBB2066_780
; %bb.779:
	s_sendmsg sendmsg(MSG_DEALLOC_VGPRS)
	s_endpgm
.LBB2066_780:
	scratch_load_b128 v[0:3], off, s2
	s_wait_loadcnt 0x0
	flat_store_b128 v10, v[0:3], s[0:1] offset:9216 scale_offset
	s_sendmsg sendmsg(MSG_DEALLOC_VGPRS)
	s_endpgm
	.section	.rodata,"a",@progbits
	.p2align	6, 0x0
	.amdhsa_kernel _ZN7rocprim17ROCPRIM_400000_NS6detail17trampoline_kernelINS0_14default_configENS1_27scan_by_key_config_selectorIj11FixedVectorIiLj4EEEEZZNS1_16scan_by_key_implILNS1_25lookback_scan_determinismE0ELb0ES3_N6thrust23THRUST_200600_302600_NS6detail15normal_iteratorINSB_10device_ptrIjEEEENSD_INSE_IS6_EEEESI_S6_NSB_4plusIvEENSB_8equal_toIvEES6_EE10hipError_tPvRmT2_T3_T4_T5_mT6_T7_P12ihipStream_tbENKUlT_T0_E_clISt17integral_constantIbLb0EES12_IbLb1EEEEDaSY_SZ_EUlSY_E_NS1_11comp_targetILNS1_3genE0ELNS1_11target_archE4294967295ELNS1_3gpuE0ELNS1_3repE0EEENS1_30default_config_static_selectorELNS0_4arch9wavefront6targetE0EEEvT1_
		.amdhsa_group_segment_fixed_size 20480
		.amdhsa_private_segment_fixed_size 448
		.amdhsa_kernarg_size 144
		.amdhsa_user_sgpr_count 4
		.amdhsa_user_sgpr_dispatch_ptr 1
		.amdhsa_user_sgpr_queue_ptr 0
		.amdhsa_user_sgpr_kernarg_segment_ptr 1
		.amdhsa_user_sgpr_dispatch_id 0
		.amdhsa_user_sgpr_kernarg_preload_length 0
		.amdhsa_user_sgpr_kernarg_preload_offset 0
		.amdhsa_user_sgpr_private_segment_size 0
		.amdhsa_wavefront_size32 1
		.amdhsa_uses_dynamic_stack 0
		.amdhsa_enable_private_segment 1
		.amdhsa_system_sgpr_workgroup_id_x 1
		.amdhsa_system_sgpr_workgroup_id_y 0
		.amdhsa_system_sgpr_workgroup_id_z 0
		.amdhsa_system_sgpr_workgroup_info 0
		.amdhsa_system_vgpr_workitem_id 2
		.amdhsa_next_free_vgpr 113
		.amdhsa_next_free_sgpr 66
		.amdhsa_named_barrier_count 0
		.amdhsa_reserve_vcc 1
		.amdhsa_float_round_mode_32 0
		.amdhsa_float_round_mode_16_64 0
		.amdhsa_float_denorm_mode_32 3
		.amdhsa_float_denorm_mode_16_64 3
		.amdhsa_fp16_overflow 0
		.amdhsa_memory_ordered 1
		.amdhsa_forward_progress 1
		.amdhsa_inst_pref_size 254
		.amdhsa_round_robin_scheduling 0
		.amdhsa_exception_fp_ieee_invalid_op 0
		.amdhsa_exception_fp_denorm_src 0
		.amdhsa_exception_fp_ieee_div_zero 0
		.amdhsa_exception_fp_ieee_overflow 0
		.amdhsa_exception_fp_ieee_underflow 0
		.amdhsa_exception_fp_ieee_inexact 0
		.amdhsa_exception_int_div_zero 0
	.end_amdhsa_kernel
	.section	.text._ZN7rocprim17ROCPRIM_400000_NS6detail17trampoline_kernelINS0_14default_configENS1_27scan_by_key_config_selectorIj11FixedVectorIiLj4EEEEZZNS1_16scan_by_key_implILNS1_25lookback_scan_determinismE0ELb0ES3_N6thrust23THRUST_200600_302600_NS6detail15normal_iteratorINSB_10device_ptrIjEEEENSD_INSE_IS6_EEEESI_S6_NSB_4plusIvEENSB_8equal_toIvEES6_EE10hipError_tPvRmT2_T3_T4_T5_mT6_T7_P12ihipStream_tbENKUlT_T0_E_clISt17integral_constantIbLb0EES12_IbLb1EEEEDaSY_SZ_EUlSY_E_NS1_11comp_targetILNS1_3genE0ELNS1_11target_archE4294967295ELNS1_3gpuE0ELNS1_3repE0EEENS1_30default_config_static_selectorELNS0_4arch9wavefront6targetE0EEEvT1_,"axG",@progbits,_ZN7rocprim17ROCPRIM_400000_NS6detail17trampoline_kernelINS0_14default_configENS1_27scan_by_key_config_selectorIj11FixedVectorIiLj4EEEEZZNS1_16scan_by_key_implILNS1_25lookback_scan_determinismE0ELb0ES3_N6thrust23THRUST_200600_302600_NS6detail15normal_iteratorINSB_10device_ptrIjEEEENSD_INSE_IS6_EEEESI_S6_NSB_4plusIvEENSB_8equal_toIvEES6_EE10hipError_tPvRmT2_T3_T4_T5_mT6_T7_P12ihipStream_tbENKUlT_T0_E_clISt17integral_constantIbLb0EES12_IbLb1EEEEDaSY_SZ_EUlSY_E_NS1_11comp_targetILNS1_3genE0ELNS1_11target_archE4294967295ELNS1_3gpuE0ELNS1_3repE0EEENS1_30default_config_static_selectorELNS0_4arch9wavefront6targetE0EEEvT1_,comdat
.Lfunc_end2066:
	.size	_ZN7rocprim17ROCPRIM_400000_NS6detail17trampoline_kernelINS0_14default_configENS1_27scan_by_key_config_selectorIj11FixedVectorIiLj4EEEEZZNS1_16scan_by_key_implILNS1_25lookback_scan_determinismE0ELb0ES3_N6thrust23THRUST_200600_302600_NS6detail15normal_iteratorINSB_10device_ptrIjEEEENSD_INSE_IS6_EEEESI_S6_NSB_4plusIvEENSB_8equal_toIvEES6_EE10hipError_tPvRmT2_T3_T4_T5_mT6_T7_P12ihipStream_tbENKUlT_T0_E_clISt17integral_constantIbLb0EES12_IbLb1EEEEDaSY_SZ_EUlSY_E_NS1_11comp_targetILNS1_3genE0ELNS1_11target_archE4294967295ELNS1_3gpuE0ELNS1_3repE0EEENS1_30default_config_static_selectorELNS0_4arch9wavefront6targetE0EEEvT1_, .Lfunc_end2066-_ZN7rocprim17ROCPRIM_400000_NS6detail17trampoline_kernelINS0_14default_configENS1_27scan_by_key_config_selectorIj11FixedVectorIiLj4EEEEZZNS1_16scan_by_key_implILNS1_25lookback_scan_determinismE0ELb0ES3_N6thrust23THRUST_200600_302600_NS6detail15normal_iteratorINSB_10device_ptrIjEEEENSD_INSE_IS6_EEEESI_S6_NSB_4plusIvEENSB_8equal_toIvEES6_EE10hipError_tPvRmT2_T3_T4_T5_mT6_T7_P12ihipStream_tbENKUlT_T0_E_clISt17integral_constantIbLb0EES12_IbLb1EEEEDaSY_SZ_EUlSY_E_NS1_11comp_targetILNS1_3genE0ELNS1_11target_archE4294967295ELNS1_3gpuE0ELNS1_3repE0EEENS1_30default_config_static_selectorELNS0_4arch9wavefront6targetE0EEEvT1_
                                        ; -- End function
	.set _ZN7rocprim17ROCPRIM_400000_NS6detail17trampoline_kernelINS0_14default_configENS1_27scan_by_key_config_selectorIj11FixedVectorIiLj4EEEEZZNS1_16scan_by_key_implILNS1_25lookback_scan_determinismE0ELb0ES3_N6thrust23THRUST_200600_302600_NS6detail15normal_iteratorINSB_10device_ptrIjEEEENSD_INSE_IS6_EEEESI_S6_NSB_4plusIvEENSB_8equal_toIvEES6_EE10hipError_tPvRmT2_T3_T4_T5_mT6_T7_P12ihipStream_tbENKUlT_T0_E_clISt17integral_constantIbLb0EES12_IbLb1EEEEDaSY_SZ_EUlSY_E_NS1_11comp_targetILNS1_3genE0ELNS1_11target_archE4294967295ELNS1_3gpuE0ELNS1_3repE0EEENS1_30default_config_static_selectorELNS0_4arch9wavefront6targetE0EEEvT1_.num_vgpr, 83
	.set _ZN7rocprim17ROCPRIM_400000_NS6detail17trampoline_kernelINS0_14default_configENS1_27scan_by_key_config_selectorIj11FixedVectorIiLj4EEEEZZNS1_16scan_by_key_implILNS1_25lookback_scan_determinismE0ELb0ES3_N6thrust23THRUST_200600_302600_NS6detail15normal_iteratorINSB_10device_ptrIjEEEENSD_INSE_IS6_EEEESI_S6_NSB_4plusIvEENSB_8equal_toIvEES6_EE10hipError_tPvRmT2_T3_T4_T5_mT6_T7_P12ihipStream_tbENKUlT_T0_E_clISt17integral_constantIbLb0EES12_IbLb1EEEEDaSY_SZ_EUlSY_E_NS1_11comp_targetILNS1_3genE0ELNS1_11target_archE4294967295ELNS1_3gpuE0ELNS1_3repE0EEENS1_30default_config_static_selectorELNS0_4arch9wavefront6targetE0EEEvT1_.num_agpr, 0
	.set _ZN7rocprim17ROCPRIM_400000_NS6detail17trampoline_kernelINS0_14default_configENS1_27scan_by_key_config_selectorIj11FixedVectorIiLj4EEEEZZNS1_16scan_by_key_implILNS1_25lookback_scan_determinismE0ELb0ES3_N6thrust23THRUST_200600_302600_NS6detail15normal_iteratorINSB_10device_ptrIjEEEENSD_INSE_IS6_EEEESI_S6_NSB_4plusIvEENSB_8equal_toIvEES6_EE10hipError_tPvRmT2_T3_T4_T5_mT6_T7_P12ihipStream_tbENKUlT_T0_E_clISt17integral_constantIbLb0EES12_IbLb1EEEEDaSY_SZ_EUlSY_E_NS1_11comp_targetILNS1_3genE0ELNS1_11target_archE4294967295ELNS1_3gpuE0ELNS1_3repE0EEENS1_30default_config_static_selectorELNS0_4arch9wavefront6targetE0EEEvT1_.numbered_sgpr, 66
	.set _ZN7rocprim17ROCPRIM_400000_NS6detail17trampoline_kernelINS0_14default_configENS1_27scan_by_key_config_selectorIj11FixedVectorIiLj4EEEEZZNS1_16scan_by_key_implILNS1_25lookback_scan_determinismE0ELb0ES3_N6thrust23THRUST_200600_302600_NS6detail15normal_iteratorINSB_10device_ptrIjEEEENSD_INSE_IS6_EEEESI_S6_NSB_4plusIvEENSB_8equal_toIvEES6_EE10hipError_tPvRmT2_T3_T4_T5_mT6_T7_P12ihipStream_tbENKUlT_T0_E_clISt17integral_constantIbLb0EES12_IbLb1EEEEDaSY_SZ_EUlSY_E_NS1_11comp_targetILNS1_3genE0ELNS1_11target_archE4294967295ELNS1_3gpuE0ELNS1_3repE0EEENS1_30default_config_static_selectorELNS0_4arch9wavefront6targetE0EEEvT1_.num_named_barrier, 0
	.set _ZN7rocprim17ROCPRIM_400000_NS6detail17trampoline_kernelINS0_14default_configENS1_27scan_by_key_config_selectorIj11FixedVectorIiLj4EEEEZZNS1_16scan_by_key_implILNS1_25lookback_scan_determinismE0ELb0ES3_N6thrust23THRUST_200600_302600_NS6detail15normal_iteratorINSB_10device_ptrIjEEEENSD_INSE_IS6_EEEESI_S6_NSB_4plusIvEENSB_8equal_toIvEES6_EE10hipError_tPvRmT2_T3_T4_T5_mT6_T7_P12ihipStream_tbENKUlT_T0_E_clISt17integral_constantIbLb0EES12_IbLb1EEEEDaSY_SZ_EUlSY_E_NS1_11comp_targetILNS1_3genE0ELNS1_11target_archE4294967295ELNS1_3gpuE0ELNS1_3repE0EEENS1_30default_config_static_selectorELNS0_4arch9wavefront6targetE0EEEvT1_.private_seg_size, 448
	.set _ZN7rocprim17ROCPRIM_400000_NS6detail17trampoline_kernelINS0_14default_configENS1_27scan_by_key_config_selectorIj11FixedVectorIiLj4EEEEZZNS1_16scan_by_key_implILNS1_25lookback_scan_determinismE0ELb0ES3_N6thrust23THRUST_200600_302600_NS6detail15normal_iteratorINSB_10device_ptrIjEEEENSD_INSE_IS6_EEEESI_S6_NSB_4plusIvEENSB_8equal_toIvEES6_EE10hipError_tPvRmT2_T3_T4_T5_mT6_T7_P12ihipStream_tbENKUlT_T0_E_clISt17integral_constantIbLb0EES12_IbLb1EEEEDaSY_SZ_EUlSY_E_NS1_11comp_targetILNS1_3genE0ELNS1_11target_archE4294967295ELNS1_3gpuE0ELNS1_3repE0EEENS1_30default_config_static_selectorELNS0_4arch9wavefront6targetE0EEEvT1_.uses_vcc, 1
	.set _ZN7rocprim17ROCPRIM_400000_NS6detail17trampoline_kernelINS0_14default_configENS1_27scan_by_key_config_selectorIj11FixedVectorIiLj4EEEEZZNS1_16scan_by_key_implILNS1_25lookback_scan_determinismE0ELb0ES3_N6thrust23THRUST_200600_302600_NS6detail15normal_iteratorINSB_10device_ptrIjEEEENSD_INSE_IS6_EEEESI_S6_NSB_4plusIvEENSB_8equal_toIvEES6_EE10hipError_tPvRmT2_T3_T4_T5_mT6_T7_P12ihipStream_tbENKUlT_T0_E_clISt17integral_constantIbLb0EES12_IbLb1EEEEDaSY_SZ_EUlSY_E_NS1_11comp_targetILNS1_3genE0ELNS1_11target_archE4294967295ELNS1_3gpuE0ELNS1_3repE0EEENS1_30default_config_static_selectorELNS0_4arch9wavefront6targetE0EEEvT1_.uses_flat_scratch, 1
	.set _ZN7rocprim17ROCPRIM_400000_NS6detail17trampoline_kernelINS0_14default_configENS1_27scan_by_key_config_selectorIj11FixedVectorIiLj4EEEEZZNS1_16scan_by_key_implILNS1_25lookback_scan_determinismE0ELb0ES3_N6thrust23THRUST_200600_302600_NS6detail15normal_iteratorINSB_10device_ptrIjEEEENSD_INSE_IS6_EEEESI_S6_NSB_4plusIvEENSB_8equal_toIvEES6_EE10hipError_tPvRmT2_T3_T4_T5_mT6_T7_P12ihipStream_tbENKUlT_T0_E_clISt17integral_constantIbLb0EES12_IbLb1EEEEDaSY_SZ_EUlSY_E_NS1_11comp_targetILNS1_3genE0ELNS1_11target_archE4294967295ELNS1_3gpuE0ELNS1_3repE0EEENS1_30default_config_static_selectorELNS0_4arch9wavefront6targetE0EEEvT1_.has_dyn_sized_stack, 0
	.set _ZN7rocprim17ROCPRIM_400000_NS6detail17trampoline_kernelINS0_14default_configENS1_27scan_by_key_config_selectorIj11FixedVectorIiLj4EEEEZZNS1_16scan_by_key_implILNS1_25lookback_scan_determinismE0ELb0ES3_N6thrust23THRUST_200600_302600_NS6detail15normal_iteratorINSB_10device_ptrIjEEEENSD_INSE_IS6_EEEESI_S6_NSB_4plusIvEENSB_8equal_toIvEES6_EE10hipError_tPvRmT2_T3_T4_T5_mT6_T7_P12ihipStream_tbENKUlT_T0_E_clISt17integral_constantIbLb0EES12_IbLb1EEEEDaSY_SZ_EUlSY_E_NS1_11comp_targetILNS1_3genE0ELNS1_11target_archE4294967295ELNS1_3gpuE0ELNS1_3repE0EEENS1_30default_config_static_selectorELNS0_4arch9wavefront6targetE0EEEvT1_.has_recursion, 0
	.set _ZN7rocprim17ROCPRIM_400000_NS6detail17trampoline_kernelINS0_14default_configENS1_27scan_by_key_config_selectorIj11FixedVectorIiLj4EEEEZZNS1_16scan_by_key_implILNS1_25lookback_scan_determinismE0ELb0ES3_N6thrust23THRUST_200600_302600_NS6detail15normal_iteratorINSB_10device_ptrIjEEEENSD_INSE_IS6_EEEESI_S6_NSB_4plusIvEENSB_8equal_toIvEES6_EE10hipError_tPvRmT2_T3_T4_T5_mT6_T7_P12ihipStream_tbENKUlT_T0_E_clISt17integral_constantIbLb0EES12_IbLb1EEEEDaSY_SZ_EUlSY_E_NS1_11comp_targetILNS1_3genE0ELNS1_11target_archE4294967295ELNS1_3gpuE0ELNS1_3repE0EEENS1_30default_config_static_selectorELNS0_4arch9wavefront6targetE0EEEvT1_.has_indirect_call, 0
	.section	.AMDGPU.csdata,"",@progbits
; Kernel info:
; codeLenInByte = 32500
; TotalNumSgprs: 68
; NumVgprs: 83
; ScratchSize: 448
; MemoryBound: 0
; FloatMode: 240
; IeeeMode: 1
; LDSByteSize: 20480 bytes/workgroup (compile time only)
; SGPRBlocks: 0
; VGPRBlocks: 7
; NumSGPRsForWavesPerEU: 68
; NumVGPRsForWavesPerEU: 113
; NamedBarCnt: 0
; Occupancy: 8
; WaveLimiterHint : 1
; COMPUTE_PGM_RSRC2:SCRATCH_EN: 1
; COMPUTE_PGM_RSRC2:USER_SGPR: 4
; COMPUTE_PGM_RSRC2:TRAP_HANDLER: 0
; COMPUTE_PGM_RSRC2:TGID_X_EN: 1
; COMPUTE_PGM_RSRC2:TGID_Y_EN: 0
; COMPUTE_PGM_RSRC2:TGID_Z_EN: 0
; COMPUTE_PGM_RSRC2:TIDIG_COMP_CNT: 2
	.section	.text._ZN7rocprim17ROCPRIM_400000_NS6detail17trampoline_kernelINS0_14default_configENS1_27scan_by_key_config_selectorIj11FixedVectorIiLj4EEEEZZNS1_16scan_by_key_implILNS1_25lookback_scan_determinismE0ELb0ES3_N6thrust23THRUST_200600_302600_NS6detail15normal_iteratorINSB_10device_ptrIjEEEENSD_INSE_IS6_EEEESI_S6_NSB_4plusIvEENSB_8equal_toIvEES6_EE10hipError_tPvRmT2_T3_T4_T5_mT6_T7_P12ihipStream_tbENKUlT_T0_E_clISt17integral_constantIbLb0EES12_IbLb1EEEEDaSY_SZ_EUlSY_E_NS1_11comp_targetILNS1_3genE10ELNS1_11target_archE1201ELNS1_3gpuE5ELNS1_3repE0EEENS1_30default_config_static_selectorELNS0_4arch9wavefront6targetE0EEEvT1_,"axG",@progbits,_ZN7rocprim17ROCPRIM_400000_NS6detail17trampoline_kernelINS0_14default_configENS1_27scan_by_key_config_selectorIj11FixedVectorIiLj4EEEEZZNS1_16scan_by_key_implILNS1_25lookback_scan_determinismE0ELb0ES3_N6thrust23THRUST_200600_302600_NS6detail15normal_iteratorINSB_10device_ptrIjEEEENSD_INSE_IS6_EEEESI_S6_NSB_4plusIvEENSB_8equal_toIvEES6_EE10hipError_tPvRmT2_T3_T4_T5_mT6_T7_P12ihipStream_tbENKUlT_T0_E_clISt17integral_constantIbLb0EES12_IbLb1EEEEDaSY_SZ_EUlSY_E_NS1_11comp_targetILNS1_3genE10ELNS1_11target_archE1201ELNS1_3gpuE5ELNS1_3repE0EEENS1_30default_config_static_selectorELNS0_4arch9wavefront6targetE0EEEvT1_,comdat
	.protected	_ZN7rocprim17ROCPRIM_400000_NS6detail17trampoline_kernelINS0_14default_configENS1_27scan_by_key_config_selectorIj11FixedVectorIiLj4EEEEZZNS1_16scan_by_key_implILNS1_25lookback_scan_determinismE0ELb0ES3_N6thrust23THRUST_200600_302600_NS6detail15normal_iteratorINSB_10device_ptrIjEEEENSD_INSE_IS6_EEEESI_S6_NSB_4plusIvEENSB_8equal_toIvEES6_EE10hipError_tPvRmT2_T3_T4_T5_mT6_T7_P12ihipStream_tbENKUlT_T0_E_clISt17integral_constantIbLb0EES12_IbLb1EEEEDaSY_SZ_EUlSY_E_NS1_11comp_targetILNS1_3genE10ELNS1_11target_archE1201ELNS1_3gpuE5ELNS1_3repE0EEENS1_30default_config_static_selectorELNS0_4arch9wavefront6targetE0EEEvT1_ ; -- Begin function _ZN7rocprim17ROCPRIM_400000_NS6detail17trampoline_kernelINS0_14default_configENS1_27scan_by_key_config_selectorIj11FixedVectorIiLj4EEEEZZNS1_16scan_by_key_implILNS1_25lookback_scan_determinismE0ELb0ES3_N6thrust23THRUST_200600_302600_NS6detail15normal_iteratorINSB_10device_ptrIjEEEENSD_INSE_IS6_EEEESI_S6_NSB_4plusIvEENSB_8equal_toIvEES6_EE10hipError_tPvRmT2_T3_T4_T5_mT6_T7_P12ihipStream_tbENKUlT_T0_E_clISt17integral_constantIbLb0EES12_IbLb1EEEEDaSY_SZ_EUlSY_E_NS1_11comp_targetILNS1_3genE10ELNS1_11target_archE1201ELNS1_3gpuE5ELNS1_3repE0EEENS1_30default_config_static_selectorELNS0_4arch9wavefront6targetE0EEEvT1_
	.globl	_ZN7rocprim17ROCPRIM_400000_NS6detail17trampoline_kernelINS0_14default_configENS1_27scan_by_key_config_selectorIj11FixedVectorIiLj4EEEEZZNS1_16scan_by_key_implILNS1_25lookback_scan_determinismE0ELb0ES3_N6thrust23THRUST_200600_302600_NS6detail15normal_iteratorINSB_10device_ptrIjEEEENSD_INSE_IS6_EEEESI_S6_NSB_4plusIvEENSB_8equal_toIvEES6_EE10hipError_tPvRmT2_T3_T4_T5_mT6_T7_P12ihipStream_tbENKUlT_T0_E_clISt17integral_constantIbLb0EES12_IbLb1EEEEDaSY_SZ_EUlSY_E_NS1_11comp_targetILNS1_3genE10ELNS1_11target_archE1201ELNS1_3gpuE5ELNS1_3repE0EEENS1_30default_config_static_selectorELNS0_4arch9wavefront6targetE0EEEvT1_
	.p2align	8
	.type	_ZN7rocprim17ROCPRIM_400000_NS6detail17trampoline_kernelINS0_14default_configENS1_27scan_by_key_config_selectorIj11FixedVectorIiLj4EEEEZZNS1_16scan_by_key_implILNS1_25lookback_scan_determinismE0ELb0ES3_N6thrust23THRUST_200600_302600_NS6detail15normal_iteratorINSB_10device_ptrIjEEEENSD_INSE_IS6_EEEESI_S6_NSB_4plusIvEENSB_8equal_toIvEES6_EE10hipError_tPvRmT2_T3_T4_T5_mT6_T7_P12ihipStream_tbENKUlT_T0_E_clISt17integral_constantIbLb0EES12_IbLb1EEEEDaSY_SZ_EUlSY_E_NS1_11comp_targetILNS1_3genE10ELNS1_11target_archE1201ELNS1_3gpuE5ELNS1_3repE0EEENS1_30default_config_static_selectorELNS0_4arch9wavefront6targetE0EEEvT1_,@function
_ZN7rocprim17ROCPRIM_400000_NS6detail17trampoline_kernelINS0_14default_configENS1_27scan_by_key_config_selectorIj11FixedVectorIiLj4EEEEZZNS1_16scan_by_key_implILNS1_25lookback_scan_determinismE0ELb0ES3_N6thrust23THRUST_200600_302600_NS6detail15normal_iteratorINSB_10device_ptrIjEEEENSD_INSE_IS6_EEEESI_S6_NSB_4plusIvEENSB_8equal_toIvEES6_EE10hipError_tPvRmT2_T3_T4_T5_mT6_T7_P12ihipStream_tbENKUlT_T0_E_clISt17integral_constantIbLb0EES12_IbLb1EEEEDaSY_SZ_EUlSY_E_NS1_11comp_targetILNS1_3genE10ELNS1_11target_archE1201ELNS1_3gpuE5ELNS1_3repE0EEENS1_30default_config_static_selectorELNS0_4arch9wavefront6targetE0EEEvT1_: ; @_ZN7rocprim17ROCPRIM_400000_NS6detail17trampoline_kernelINS0_14default_configENS1_27scan_by_key_config_selectorIj11FixedVectorIiLj4EEEEZZNS1_16scan_by_key_implILNS1_25lookback_scan_determinismE0ELb0ES3_N6thrust23THRUST_200600_302600_NS6detail15normal_iteratorINSB_10device_ptrIjEEEENSD_INSE_IS6_EEEESI_S6_NSB_4plusIvEENSB_8equal_toIvEES6_EE10hipError_tPvRmT2_T3_T4_T5_mT6_T7_P12ihipStream_tbENKUlT_T0_E_clISt17integral_constantIbLb0EES12_IbLb1EEEEDaSY_SZ_EUlSY_E_NS1_11comp_targetILNS1_3genE10ELNS1_11target_archE1201ELNS1_3gpuE5ELNS1_3repE0EEENS1_30default_config_static_selectorELNS0_4arch9wavefront6targetE0EEEvT1_
; %bb.0:
	.section	.rodata,"a",@progbits
	.p2align	6, 0x0
	.amdhsa_kernel _ZN7rocprim17ROCPRIM_400000_NS6detail17trampoline_kernelINS0_14default_configENS1_27scan_by_key_config_selectorIj11FixedVectorIiLj4EEEEZZNS1_16scan_by_key_implILNS1_25lookback_scan_determinismE0ELb0ES3_N6thrust23THRUST_200600_302600_NS6detail15normal_iteratorINSB_10device_ptrIjEEEENSD_INSE_IS6_EEEESI_S6_NSB_4plusIvEENSB_8equal_toIvEES6_EE10hipError_tPvRmT2_T3_T4_T5_mT6_T7_P12ihipStream_tbENKUlT_T0_E_clISt17integral_constantIbLb0EES12_IbLb1EEEEDaSY_SZ_EUlSY_E_NS1_11comp_targetILNS1_3genE10ELNS1_11target_archE1201ELNS1_3gpuE5ELNS1_3repE0EEENS1_30default_config_static_selectorELNS0_4arch9wavefront6targetE0EEEvT1_
		.amdhsa_group_segment_fixed_size 0
		.amdhsa_private_segment_fixed_size 0
		.amdhsa_kernarg_size 144
		.amdhsa_user_sgpr_count 2
		.amdhsa_user_sgpr_dispatch_ptr 0
		.amdhsa_user_sgpr_queue_ptr 0
		.amdhsa_user_sgpr_kernarg_segment_ptr 1
		.amdhsa_user_sgpr_dispatch_id 0
		.amdhsa_user_sgpr_kernarg_preload_length 0
		.amdhsa_user_sgpr_kernarg_preload_offset 0
		.amdhsa_user_sgpr_private_segment_size 0
		.amdhsa_wavefront_size32 1
		.amdhsa_uses_dynamic_stack 0
		.amdhsa_enable_private_segment 0
		.amdhsa_system_sgpr_workgroup_id_x 1
		.amdhsa_system_sgpr_workgroup_id_y 0
		.amdhsa_system_sgpr_workgroup_id_z 0
		.amdhsa_system_sgpr_workgroup_info 0
		.amdhsa_system_vgpr_workitem_id 0
		.amdhsa_next_free_vgpr 1
		.amdhsa_next_free_sgpr 1
		.amdhsa_named_barrier_count 0
		.amdhsa_reserve_vcc 0
		.amdhsa_float_round_mode_32 0
		.amdhsa_float_round_mode_16_64 0
		.amdhsa_float_denorm_mode_32 3
		.amdhsa_float_denorm_mode_16_64 3
		.amdhsa_fp16_overflow 0
		.amdhsa_memory_ordered 1
		.amdhsa_forward_progress 1
		.amdhsa_inst_pref_size 0
		.amdhsa_round_robin_scheduling 0
		.amdhsa_exception_fp_ieee_invalid_op 0
		.amdhsa_exception_fp_denorm_src 0
		.amdhsa_exception_fp_ieee_div_zero 0
		.amdhsa_exception_fp_ieee_overflow 0
		.amdhsa_exception_fp_ieee_underflow 0
		.amdhsa_exception_fp_ieee_inexact 0
		.amdhsa_exception_int_div_zero 0
	.end_amdhsa_kernel
	.section	.text._ZN7rocprim17ROCPRIM_400000_NS6detail17trampoline_kernelINS0_14default_configENS1_27scan_by_key_config_selectorIj11FixedVectorIiLj4EEEEZZNS1_16scan_by_key_implILNS1_25lookback_scan_determinismE0ELb0ES3_N6thrust23THRUST_200600_302600_NS6detail15normal_iteratorINSB_10device_ptrIjEEEENSD_INSE_IS6_EEEESI_S6_NSB_4plusIvEENSB_8equal_toIvEES6_EE10hipError_tPvRmT2_T3_T4_T5_mT6_T7_P12ihipStream_tbENKUlT_T0_E_clISt17integral_constantIbLb0EES12_IbLb1EEEEDaSY_SZ_EUlSY_E_NS1_11comp_targetILNS1_3genE10ELNS1_11target_archE1201ELNS1_3gpuE5ELNS1_3repE0EEENS1_30default_config_static_selectorELNS0_4arch9wavefront6targetE0EEEvT1_,"axG",@progbits,_ZN7rocprim17ROCPRIM_400000_NS6detail17trampoline_kernelINS0_14default_configENS1_27scan_by_key_config_selectorIj11FixedVectorIiLj4EEEEZZNS1_16scan_by_key_implILNS1_25lookback_scan_determinismE0ELb0ES3_N6thrust23THRUST_200600_302600_NS6detail15normal_iteratorINSB_10device_ptrIjEEEENSD_INSE_IS6_EEEESI_S6_NSB_4plusIvEENSB_8equal_toIvEES6_EE10hipError_tPvRmT2_T3_T4_T5_mT6_T7_P12ihipStream_tbENKUlT_T0_E_clISt17integral_constantIbLb0EES12_IbLb1EEEEDaSY_SZ_EUlSY_E_NS1_11comp_targetILNS1_3genE10ELNS1_11target_archE1201ELNS1_3gpuE5ELNS1_3repE0EEENS1_30default_config_static_selectorELNS0_4arch9wavefront6targetE0EEEvT1_,comdat
.Lfunc_end2067:
	.size	_ZN7rocprim17ROCPRIM_400000_NS6detail17trampoline_kernelINS0_14default_configENS1_27scan_by_key_config_selectorIj11FixedVectorIiLj4EEEEZZNS1_16scan_by_key_implILNS1_25lookback_scan_determinismE0ELb0ES3_N6thrust23THRUST_200600_302600_NS6detail15normal_iteratorINSB_10device_ptrIjEEEENSD_INSE_IS6_EEEESI_S6_NSB_4plusIvEENSB_8equal_toIvEES6_EE10hipError_tPvRmT2_T3_T4_T5_mT6_T7_P12ihipStream_tbENKUlT_T0_E_clISt17integral_constantIbLb0EES12_IbLb1EEEEDaSY_SZ_EUlSY_E_NS1_11comp_targetILNS1_3genE10ELNS1_11target_archE1201ELNS1_3gpuE5ELNS1_3repE0EEENS1_30default_config_static_selectorELNS0_4arch9wavefront6targetE0EEEvT1_, .Lfunc_end2067-_ZN7rocprim17ROCPRIM_400000_NS6detail17trampoline_kernelINS0_14default_configENS1_27scan_by_key_config_selectorIj11FixedVectorIiLj4EEEEZZNS1_16scan_by_key_implILNS1_25lookback_scan_determinismE0ELb0ES3_N6thrust23THRUST_200600_302600_NS6detail15normal_iteratorINSB_10device_ptrIjEEEENSD_INSE_IS6_EEEESI_S6_NSB_4plusIvEENSB_8equal_toIvEES6_EE10hipError_tPvRmT2_T3_T4_T5_mT6_T7_P12ihipStream_tbENKUlT_T0_E_clISt17integral_constantIbLb0EES12_IbLb1EEEEDaSY_SZ_EUlSY_E_NS1_11comp_targetILNS1_3genE10ELNS1_11target_archE1201ELNS1_3gpuE5ELNS1_3repE0EEENS1_30default_config_static_selectorELNS0_4arch9wavefront6targetE0EEEvT1_
                                        ; -- End function
	.set _ZN7rocprim17ROCPRIM_400000_NS6detail17trampoline_kernelINS0_14default_configENS1_27scan_by_key_config_selectorIj11FixedVectorIiLj4EEEEZZNS1_16scan_by_key_implILNS1_25lookback_scan_determinismE0ELb0ES3_N6thrust23THRUST_200600_302600_NS6detail15normal_iteratorINSB_10device_ptrIjEEEENSD_INSE_IS6_EEEESI_S6_NSB_4plusIvEENSB_8equal_toIvEES6_EE10hipError_tPvRmT2_T3_T4_T5_mT6_T7_P12ihipStream_tbENKUlT_T0_E_clISt17integral_constantIbLb0EES12_IbLb1EEEEDaSY_SZ_EUlSY_E_NS1_11comp_targetILNS1_3genE10ELNS1_11target_archE1201ELNS1_3gpuE5ELNS1_3repE0EEENS1_30default_config_static_selectorELNS0_4arch9wavefront6targetE0EEEvT1_.num_vgpr, 0
	.set _ZN7rocprim17ROCPRIM_400000_NS6detail17trampoline_kernelINS0_14default_configENS1_27scan_by_key_config_selectorIj11FixedVectorIiLj4EEEEZZNS1_16scan_by_key_implILNS1_25lookback_scan_determinismE0ELb0ES3_N6thrust23THRUST_200600_302600_NS6detail15normal_iteratorINSB_10device_ptrIjEEEENSD_INSE_IS6_EEEESI_S6_NSB_4plusIvEENSB_8equal_toIvEES6_EE10hipError_tPvRmT2_T3_T4_T5_mT6_T7_P12ihipStream_tbENKUlT_T0_E_clISt17integral_constantIbLb0EES12_IbLb1EEEEDaSY_SZ_EUlSY_E_NS1_11comp_targetILNS1_3genE10ELNS1_11target_archE1201ELNS1_3gpuE5ELNS1_3repE0EEENS1_30default_config_static_selectorELNS0_4arch9wavefront6targetE0EEEvT1_.num_agpr, 0
	.set _ZN7rocprim17ROCPRIM_400000_NS6detail17trampoline_kernelINS0_14default_configENS1_27scan_by_key_config_selectorIj11FixedVectorIiLj4EEEEZZNS1_16scan_by_key_implILNS1_25lookback_scan_determinismE0ELb0ES3_N6thrust23THRUST_200600_302600_NS6detail15normal_iteratorINSB_10device_ptrIjEEEENSD_INSE_IS6_EEEESI_S6_NSB_4plusIvEENSB_8equal_toIvEES6_EE10hipError_tPvRmT2_T3_T4_T5_mT6_T7_P12ihipStream_tbENKUlT_T0_E_clISt17integral_constantIbLb0EES12_IbLb1EEEEDaSY_SZ_EUlSY_E_NS1_11comp_targetILNS1_3genE10ELNS1_11target_archE1201ELNS1_3gpuE5ELNS1_3repE0EEENS1_30default_config_static_selectorELNS0_4arch9wavefront6targetE0EEEvT1_.numbered_sgpr, 0
	.set _ZN7rocprim17ROCPRIM_400000_NS6detail17trampoline_kernelINS0_14default_configENS1_27scan_by_key_config_selectorIj11FixedVectorIiLj4EEEEZZNS1_16scan_by_key_implILNS1_25lookback_scan_determinismE0ELb0ES3_N6thrust23THRUST_200600_302600_NS6detail15normal_iteratorINSB_10device_ptrIjEEEENSD_INSE_IS6_EEEESI_S6_NSB_4plusIvEENSB_8equal_toIvEES6_EE10hipError_tPvRmT2_T3_T4_T5_mT6_T7_P12ihipStream_tbENKUlT_T0_E_clISt17integral_constantIbLb0EES12_IbLb1EEEEDaSY_SZ_EUlSY_E_NS1_11comp_targetILNS1_3genE10ELNS1_11target_archE1201ELNS1_3gpuE5ELNS1_3repE0EEENS1_30default_config_static_selectorELNS0_4arch9wavefront6targetE0EEEvT1_.num_named_barrier, 0
	.set _ZN7rocprim17ROCPRIM_400000_NS6detail17trampoline_kernelINS0_14default_configENS1_27scan_by_key_config_selectorIj11FixedVectorIiLj4EEEEZZNS1_16scan_by_key_implILNS1_25lookback_scan_determinismE0ELb0ES3_N6thrust23THRUST_200600_302600_NS6detail15normal_iteratorINSB_10device_ptrIjEEEENSD_INSE_IS6_EEEESI_S6_NSB_4plusIvEENSB_8equal_toIvEES6_EE10hipError_tPvRmT2_T3_T4_T5_mT6_T7_P12ihipStream_tbENKUlT_T0_E_clISt17integral_constantIbLb0EES12_IbLb1EEEEDaSY_SZ_EUlSY_E_NS1_11comp_targetILNS1_3genE10ELNS1_11target_archE1201ELNS1_3gpuE5ELNS1_3repE0EEENS1_30default_config_static_selectorELNS0_4arch9wavefront6targetE0EEEvT1_.private_seg_size, 0
	.set _ZN7rocprim17ROCPRIM_400000_NS6detail17trampoline_kernelINS0_14default_configENS1_27scan_by_key_config_selectorIj11FixedVectorIiLj4EEEEZZNS1_16scan_by_key_implILNS1_25lookback_scan_determinismE0ELb0ES3_N6thrust23THRUST_200600_302600_NS6detail15normal_iteratorINSB_10device_ptrIjEEEENSD_INSE_IS6_EEEESI_S6_NSB_4plusIvEENSB_8equal_toIvEES6_EE10hipError_tPvRmT2_T3_T4_T5_mT6_T7_P12ihipStream_tbENKUlT_T0_E_clISt17integral_constantIbLb0EES12_IbLb1EEEEDaSY_SZ_EUlSY_E_NS1_11comp_targetILNS1_3genE10ELNS1_11target_archE1201ELNS1_3gpuE5ELNS1_3repE0EEENS1_30default_config_static_selectorELNS0_4arch9wavefront6targetE0EEEvT1_.uses_vcc, 0
	.set _ZN7rocprim17ROCPRIM_400000_NS6detail17trampoline_kernelINS0_14default_configENS1_27scan_by_key_config_selectorIj11FixedVectorIiLj4EEEEZZNS1_16scan_by_key_implILNS1_25lookback_scan_determinismE0ELb0ES3_N6thrust23THRUST_200600_302600_NS6detail15normal_iteratorINSB_10device_ptrIjEEEENSD_INSE_IS6_EEEESI_S6_NSB_4plusIvEENSB_8equal_toIvEES6_EE10hipError_tPvRmT2_T3_T4_T5_mT6_T7_P12ihipStream_tbENKUlT_T0_E_clISt17integral_constantIbLb0EES12_IbLb1EEEEDaSY_SZ_EUlSY_E_NS1_11comp_targetILNS1_3genE10ELNS1_11target_archE1201ELNS1_3gpuE5ELNS1_3repE0EEENS1_30default_config_static_selectorELNS0_4arch9wavefront6targetE0EEEvT1_.uses_flat_scratch, 0
	.set _ZN7rocprim17ROCPRIM_400000_NS6detail17trampoline_kernelINS0_14default_configENS1_27scan_by_key_config_selectorIj11FixedVectorIiLj4EEEEZZNS1_16scan_by_key_implILNS1_25lookback_scan_determinismE0ELb0ES3_N6thrust23THRUST_200600_302600_NS6detail15normal_iteratorINSB_10device_ptrIjEEEENSD_INSE_IS6_EEEESI_S6_NSB_4plusIvEENSB_8equal_toIvEES6_EE10hipError_tPvRmT2_T3_T4_T5_mT6_T7_P12ihipStream_tbENKUlT_T0_E_clISt17integral_constantIbLb0EES12_IbLb1EEEEDaSY_SZ_EUlSY_E_NS1_11comp_targetILNS1_3genE10ELNS1_11target_archE1201ELNS1_3gpuE5ELNS1_3repE0EEENS1_30default_config_static_selectorELNS0_4arch9wavefront6targetE0EEEvT1_.has_dyn_sized_stack, 0
	.set _ZN7rocprim17ROCPRIM_400000_NS6detail17trampoline_kernelINS0_14default_configENS1_27scan_by_key_config_selectorIj11FixedVectorIiLj4EEEEZZNS1_16scan_by_key_implILNS1_25lookback_scan_determinismE0ELb0ES3_N6thrust23THRUST_200600_302600_NS6detail15normal_iteratorINSB_10device_ptrIjEEEENSD_INSE_IS6_EEEESI_S6_NSB_4plusIvEENSB_8equal_toIvEES6_EE10hipError_tPvRmT2_T3_T4_T5_mT6_T7_P12ihipStream_tbENKUlT_T0_E_clISt17integral_constantIbLb0EES12_IbLb1EEEEDaSY_SZ_EUlSY_E_NS1_11comp_targetILNS1_3genE10ELNS1_11target_archE1201ELNS1_3gpuE5ELNS1_3repE0EEENS1_30default_config_static_selectorELNS0_4arch9wavefront6targetE0EEEvT1_.has_recursion, 0
	.set _ZN7rocprim17ROCPRIM_400000_NS6detail17trampoline_kernelINS0_14default_configENS1_27scan_by_key_config_selectorIj11FixedVectorIiLj4EEEEZZNS1_16scan_by_key_implILNS1_25lookback_scan_determinismE0ELb0ES3_N6thrust23THRUST_200600_302600_NS6detail15normal_iteratorINSB_10device_ptrIjEEEENSD_INSE_IS6_EEEESI_S6_NSB_4plusIvEENSB_8equal_toIvEES6_EE10hipError_tPvRmT2_T3_T4_T5_mT6_T7_P12ihipStream_tbENKUlT_T0_E_clISt17integral_constantIbLb0EES12_IbLb1EEEEDaSY_SZ_EUlSY_E_NS1_11comp_targetILNS1_3genE10ELNS1_11target_archE1201ELNS1_3gpuE5ELNS1_3repE0EEENS1_30default_config_static_selectorELNS0_4arch9wavefront6targetE0EEEvT1_.has_indirect_call, 0
	.section	.AMDGPU.csdata,"",@progbits
; Kernel info:
; codeLenInByte = 0
; TotalNumSgprs: 0
; NumVgprs: 0
; ScratchSize: 0
; MemoryBound: 0
; FloatMode: 240
; IeeeMode: 1
; LDSByteSize: 0 bytes/workgroup (compile time only)
; SGPRBlocks: 0
; VGPRBlocks: 0
; NumSGPRsForWavesPerEU: 1
; NumVGPRsForWavesPerEU: 1
; NamedBarCnt: 0
; Occupancy: 16
; WaveLimiterHint : 0
; COMPUTE_PGM_RSRC2:SCRATCH_EN: 0
; COMPUTE_PGM_RSRC2:USER_SGPR: 2
; COMPUTE_PGM_RSRC2:TRAP_HANDLER: 0
; COMPUTE_PGM_RSRC2:TGID_X_EN: 1
; COMPUTE_PGM_RSRC2:TGID_Y_EN: 0
; COMPUTE_PGM_RSRC2:TGID_Z_EN: 0
; COMPUTE_PGM_RSRC2:TIDIG_COMP_CNT: 0
	.section	.text._ZN7rocprim17ROCPRIM_400000_NS6detail17trampoline_kernelINS0_14default_configENS1_27scan_by_key_config_selectorIj11FixedVectorIiLj4EEEEZZNS1_16scan_by_key_implILNS1_25lookback_scan_determinismE0ELb0ES3_N6thrust23THRUST_200600_302600_NS6detail15normal_iteratorINSB_10device_ptrIjEEEENSD_INSE_IS6_EEEESI_S6_NSB_4plusIvEENSB_8equal_toIvEES6_EE10hipError_tPvRmT2_T3_T4_T5_mT6_T7_P12ihipStream_tbENKUlT_T0_E_clISt17integral_constantIbLb0EES12_IbLb1EEEEDaSY_SZ_EUlSY_E_NS1_11comp_targetILNS1_3genE5ELNS1_11target_archE942ELNS1_3gpuE9ELNS1_3repE0EEENS1_30default_config_static_selectorELNS0_4arch9wavefront6targetE0EEEvT1_,"axG",@progbits,_ZN7rocprim17ROCPRIM_400000_NS6detail17trampoline_kernelINS0_14default_configENS1_27scan_by_key_config_selectorIj11FixedVectorIiLj4EEEEZZNS1_16scan_by_key_implILNS1_25lookback_scan_determinismE0ELb0ES3_N6thrust23THRUST_200600_302600_NS6detail15normal_iteratorINSB_10device_ptrIjEEEENSD_INSE_IS6_EEEESI_S6_NSB_4plusIvEENSB_8equal_toIvEES6_EE10hipError_tPvRmT2_T3_T4_T5_mT6_T7_P12ihipStream_tbENKUlT_T0_E_clISt17integral_constantIbLb0EES12_IbLb1EEEEDaSY_SZ_EUlSY_E_NS1_11comp_targetILNS1_3genE5ELNS1_11target_archE942ELNS1_3gpuE9ELNS1_3repE0EEENS1_30default_config_static_selectorELNS0_4arch9wavefront6targetE0EEEvT1_,comdat
	.protected	_ZN7rocprim17ROCPRIM_400000_NS6detail17trampoline_kernelINS0_14default_configENS1_27scan_by_key_config_selectorIj11FixedVectorIiLj4EEEEZZNS1_16scan_by_key_implILNS1_25lookback_scan_determinismE0ELb0ES3_N6thrust23THRUST_200600_302600_NS6detail15normal_iteratorINSB_10device_ptrIjEEEENSD_INSE_IS6_EEEESI_S6_NSB_4plusIvEENSB_8equal_toIvEES6_EE10hipError_tPvRmT2_T3_T4_T5_mT6_T7_P12ihipStream_tbENKUlT_T0_E_clISt17integral_constantIbLb0EES12_IbLb1EEEEDaSY_SZ_EUlSY_E_NS1_11comp_targetILNS1_3genE5ELNS1_11target_archE942ELNS1_3gpuE9ELNS1_3repE0EEENS1_30default_config_static_selectorELNS0_4arch9wavefront6targetE0EEEvT1_ ; -- Begin function _ZN7rocprim17ROCPRIM_400000_NS6detail17trampoline_kernelINS0_14default_configENS1_27scan_by_key_config_selectorIj11FixedVectorIiLj4EEEEZZNS1_16scan_by_key_implILNS1_25lookback_scan_determinismE0ELb0ES3_N6thrust23THRUST_200600_302600_NS6detail15normal_iteratorINSB_10device_ptrIjEEEENSD_INSE_IS6_EEEESI_S6_NSB_4plusIvEENSB_8equal_toIvEES6_EE10hipError_tPvRmT2_T3_T4_T5_mT6_T7_P12ihipStream_tbENKUlT_T0_E_clISt17integral_constantIbLb0EES12_IbLb1EEEEDaSY_SZ_EUlSY_E_NS1_11comp_targetILNS1_3genE5ELNS1_11target_archE942ELNS1_3gpuE9ELNS1_3repE0EEENS1_30default_config_static_selectorELNS0_4arch9wavefront6targetE0EEEvT1_
	.globl	_ZN7rocprim17ROCPRIM_400000_NS6detail17trampoline_kernelINS0_14default_configENS1_27scan_by_key_config_selectorIj11FixedVectorIiLj4EEEEZZNS1_16scan_by_key_implILNS1_25lookback_scan_determinismE0ELb0ES3_N6thrust23THRUST_200600_302600_NS6detail15normal_iteratorINSB_10device_ptrIjEEEENSD_INSE_IS6_EEEESI_S6_NSB_4plusIvEENSB_8equal_toIvEES6_EE10hipError_tPvRmT2_T3_T4_T5_mT6_T7_P12ihipStream_tbENKUlT_T0_E_clISt17integral_constantIbLb0EES12_IbLb1EEEEDaSY_SZ_EUlSY_E_NS1_11comp_targetILNS1_3genE5ELNS1_11target_archE942ELNS1_3gpuE9ELNS1_3repE0EEENS1_30default_config_static_selectorELNS0_4arch9wavefront6targetE0EEEvT1_
	.p2align	8
	.type	_ZN7rocprim17ROCPRIM_400000_NS6detail17trampoline_kernelINS0_14default_configENS1_27scan_by_key_config_selectorIj11FixedVectorIiLj4EEEEZZNS1_16scan_by_key_implILNS1_25lookback_scan_determinismE0ELb0ES3_N6thrust23THRUST_200600_302600_NS6detail15normal_iteratorINSB_10device_ptrIjEEEENSD_INSE_IS6_EEEESI_S6_NSB_4plusIvEENSB_8equal_toIvEES6_EE10hipError_tPvRmT2_T3_T4_T5_mT6_T7_P12ihipStream_tbENKUlT_T0_E_clISt17integral_constantIbLb0EES12_IbLb1EEEEDaSY_SZ_EUlSY_E_NS1_11comp_targetILNS1_3genE5ELNS1_11target_archE942ELNS1_3gpuE9ELNS1_3repE0EEENS1_30default_config_static_selectorELNS0_4arch9wavefront6targetE0EEEvT1_,@function
_ZN7rocprim17ROCPRIM_400000_NS6detail17trampoline_kernelINS0_14default_configENS1_27scan_by_key_config_selectorIj11FixedVectorIiLj4EEEEZZNS1_16scan_by_key_implILNS1_25lookback_scan_determinismE0ELb0ES3_N6thrust23THRUST_200600_302600_NS6detail15normal_iteratorINSB_10device_ptrIjEEEENSD_INSE_IS6_EEEESI_S6_NSB_4plusIvEENSB_8equal_toIvEES6_EE10hipError_tPvRmT2_T3_T4_T5_mT6_T7_P12ihipStream_tbENKUlT_T0_E_clISt17integral_constantIbLb0EES12_IbLb1EEEEDaSY_SZ_EUlSY_E_NS1_11comp_targetILNS1_3genE5ELNS1_11target_archE942ELNS1_3gpuE9ELNS1_3repE0EEENS1_30default_config_static_selectorELNS0_4arch9wavefront6targetE0EEEvT1_: ; @_ZN7rocprim17ROCPRIM_400000_NS6detail17trampoline_kernelINS0_14default_configENS1_27scan_by_key_config_selectorIj11FixedVectorIiLj4EEEEZZNS1_16scan_by_key_implILNS1_25lookback_scan_determinismE0ELb0ES3_N6thrust23THRUST_200600_302600_NS6detail15normal_iteratorINSB_10device_ptrIjEEEENSD_INSE_IS6_EEEESI_S6_NSB_4plusIvEENSB_8equal_toIvEES6_EE10hipError_tPvRmT2_T3_T4_T5_mT6_T7_P12ihipStream_tbENKUlT_T0_E_clISt17integral_constantIbLb0EES12_IbLb1EEEEDaSY_SZ_EUlSY_E_NS1_11comp_targetILNS1_3genE5ELNS1_11target_archE942ELNS1_3gpuE9ELNS1_3repE0EEENS1_30default_config_static_selectorELNS0_4arch9wavefront6targetE0EEEvT1_
; %bb.0:
	.section	.rodata,"a",@progbits
	.p2align	6, 0x0
	.amdhsa_kernel _ZN7rocprim17ROCPRIM_400000_NS6detail17trampoline_kernelINS0_14default_configENS1_27scan_by_key_config_selectorIj11FixedVectorIiLj4EEEEZZNS1_16scan_by_key_implILNS1_25lookback_scan_determinismE0ELb0ES3_N6thrust23THRUST_200600_302600_NS6detail15normal_iteratorINSB_10device_ptrIjEEEENSD_INSE_IS6_EEEESI_S6_NSB_4plusIvEENSB_8equal_toIvEES6_EE10hipError_tPvRmT2_T3_T4_T5_mT6_T7_P12ihipStream_tbENKUlT_T0_E_clISt17integral_constantIbLb0EES12_IbLb1EEEEDaSY_SZ_EUlSY_E_NS1_11comp_targetILNS1_3genE5ELNS1_11target_archE942ELNS1_3gpuE9ELNS1_3repE0EEENS1_30default_config_static_selectorELNS0_4arch9wavefront6targetE0EEEvT1_
		.amdhsa_group_segment_fixed_size 0
		.amdhsa_private_segment_fixed_size 0
		.amdhsa_kernarg_size 144
		.amdhsa_user_sgpr_count 2
		.amdhsa_user_sgpr_dispatch_ptr 0
		.amdhsa_user_sgpr_queue_ptr 0
		.amdhsa_user_sgpr_kernarg_segment_ptr 1
		.amdhsa_user_sgpr_dispatch_id 0
		.amdhsa_user_sgpr_kernarg_preload_length 0
		.amdhsa_user_sgpr_kernarg_preload_offset 0
		.amdhsa_user_sgpr_private_segment_size 0
		.amdhsa_wavefront_size32 1
		.amdhsa_uses_dynamic_stack 0
		.amdhsa_enable_private_segment 0
		.amdhsa_system_sgpr_workgroup_id_x 1
		.amdhsa_system_sgpr_workgroup_id_y 0
		.amdhsa_system_sgpr_workgroup_id_z 0
		.amdhsa_system_sgpr_workgroup_info 0
		.amdhsa_system_vgpr_workitem_id 0
		.amdhsa_next_free_vgpr 1
		.amdhsa_next_free_sgpr 1
		.amdhsa_named_barrier_count 0
		.amdhsa_reserve_vcc 0
		.amdhsa_float_round_mode_32 0
		.amdhsa_float_round_mode_16_64 0
		.amdhsa_float_denorm_mode_32 3
		.amdhsa_float_denorm_mode_16_64 3
		.amdhsa_fp16_overflow 0
		.amdhsa_memory_ordered 1
		.amdhsa_forward_progress 1
		.amdhsa_inst_pref_size 0
		.amdhsa_round_robin_scheduling 0
		.amdhsa_exception_fp_ieee_invalid_op 0
		.amdhsa_exception_fp_denorm_src 0
		.amdhsa_exception_fp_ieee_div_zero 0
		.amdhsa_exception_fp_ieee_overflow 0
		.amdhsa_exception_fp_ieee_underflow 0
		.amdhsa_exception_fp_ieee_inexact 0
		.amdhsa_exception_int_div_zero 0
	.end_amdhsa_kernel
	.section	.text._ZN7rocprim17ROCPRIM_400000_NS6detail17trampoline_kernelINS0_14default_configENS1_27scan_by_key_config_selectorIj11FixedVectorIiLj4EEEEZZNS1_16scan_by_key_implILNS1_25lookback_scan_determinismE0ELb0ES3_N6thrust23THRUST_200600_302600_NS6detail15normal_iteratorINSB_10device_ptrIjEEEENSD_INSE_IS6_EEEESI_S6_NSB_4plusIvEENSB_8equal_toIvEES6_EE10hipError_tPvRmT2_T3_T4_T5_mT6_T7_P12ihipStream_tbENKUlT_T0_E_clISt17integral_constantIbLb0EES12_IbLb1EEEEDaSY_SZ_EUlSY_E_NS1_11comp_targetILNS1_3genE5ELNS1_11target_archE942ELNS1_3gpuE9ELNS1_3repE0EEENS1_30default_config_static_selectorELNS0_4arch9wavefront6targetE0EEEvT1_,"axG",@progbits,_ZN7rocprim17ROCPRIM_400000_NS6detail17trampoline_kernelINS0_14default_configENS1_27scan_by_key_config_selectorIj11FixedVectorIiLj4EEEEZZNS1_16scan_by_key_implILNS1_25lookback_scan_determinismE0ELb0ES3_N6thrust23THRUST_200600_302600_NS6detail15normal_iteratorINSB_10device_ptrIjEEEENSD_INSE_IS6_EEEESI_S6_NSB_4plusIvEENSB_8equal_toIvEES6_EE10hipError_tPvRmT2_T3_T4_T5_mT6_T7_P12ihipStream_tbENKUlT_T0_E_clISt17integral_constantIbLb0EES12_IbLb1EEEEDaSY_SZ_EUlSY_E_NS1_11comp_targetILNS1_3genE5ELNS1_11target_archE942ELNS1_3gpuE9ELNS1_3repE0EEENS1_30default_config_static_selectorELNS0_4arch9wavefront6targetE0EEEvT1_,comdat
.Lfunc_end2068:
	.size	_ZN7rocprim17ROCPRIM_400000_NS6detail17trampoline_kernelINS0_14default_configENS1_27scan_by_key_config_selectorIj11FixedVectorIiLj4EEEEZZNS1_16scan_by_key_implILNS1_25lookback_scan_determinismE0ELb0ES3_N6thrust23THRUST_200600_302600_NS6detail15normal_iteratorINSB_10device_ptrIjEEEENSD_INSE_IS6_EEEESI_S6_NSB_4plusIvEENSB_8equal_toIvEES6_EE10hipError_tPvRmT2_T3_T4_T5_mT6_T7_P12ihipStream_tbENKUlT_T0_E_clISt17integral_constantIbLb0EES12_IbLb1EEEEDaSY_SZ_EUlSY_E_NS1_11comp_targetILNS1_3genE5ELNS1_11target_archE942ELNS1_3gpuE9ELNS1_3repE0EEENS1_30default_config_static_selectorELNS0_4arch9wavefront6targetE0EEEvT1_, .Lfunc_end2068-_ZN7rocprim17ROCPRIM_400000_NS6detail17trampoline_kernelINS0_14default_configENS1_27scan_by_key_config_selectorIj11FixedVectorIiLj4EEEEZZNS1_16scan_by_key_implILNS1_25lookback_scan_determinismE0ELb0ES3_N6thrust23THRUST_200600_302600_NS6detail15normal_iteratorINSB_10device_ptrIjEEEENSD_INSE_IS6_EEEESI_S6_NSB_4plusIvEENSB_8equal_toIvEES6_EE10hipError_tPvRmT2_T3_T4_T5_mT6_T7_P12ihipStream_tbENKUlT_T0_E_clISt17integral_constantIbLb0EES12_IbLb1EEEEDaSY_SZ_EUlSY_E_NS1_11comp_targetILNS1_3genE5ELNS1_11target_archE942ELNS1_3gpuE9ELNS1_3repE0EEENS1_30default_config_static_selectorELNS0_4arch9wavefront6targetE0EEEvT1_
                                        ; -- End function
	.set _ZN7rocprim17ROCPRIM_400000_NS6detail17trampoline_kernelINS0_14default_configENS1_27scan_by_key_config_selectorIj11FixedVectorIiLj4EEEEZZNS1_16scan_by_key_implILNS1_25lookback_scan_determinismE0ELb0ES3_N6thrust23THRUST_200600_302600_NS6detail15normal_iteratorINSB_10device_ptrIjEEEENSD_INSE_IS6_EEEESI_S6_NSB_4plusIvEENSB_8equal_toIvEES6_EE10hipError_tPvRmT2_T3_T4_T5_mT6_T7_P12ihipStream_tbENKUlT_T0_E_clISt17integral_constantIbLb0EES12_IbLb1EEEEDaSY_SZ_EUlSY_E_NS1_11comp_targetILNS1_3genE5ELNS1_11target_archE942ELNS1_3gpuE9ELNS1_3repE0EEENS1_30default_config_static_selectorELNS0_4arch9wavefront6targetE0EEEvT1_.num_vgpr, 0
	.set _ZN7rocprim17ROCPRIM_400000_NS6detail17trampoline_kernelINS0_14default_configENS1_27scan_by_key_config_selectorIj11FixedVectorIiLj4EEEEZZNS1_16scan_by_key_implILNS1_25lookback_scan_determinismE0ELb0ES3_N6thrust23THRUST_200600_302600_NS6detail15normal_iteratorINSB_10device_ptrIjEEEENSD_INSE_IS6_EEEESI_S6_NSB_4plusIvEENSB_8equal_toIvEES6_EE10hipError_tPvRmT2_T3_T4_T5_mT6_T7_P12ihipStream_tbENKUlT_T0_E_clISt17integral_constantIbLb0EES12_IbLb1EEEEDaSY_SZ_EUlSY_E_NS1_11comp_targetILNS1_3genE5ELNS1_11target_archE942ELNS1_3gpuE9ELNS1_3repE0EEENS1_30default_config_static_selectorELNS0_4arch9wavefront6targetE0EEEvT1_.num_agpr, 0
	.set _ZN7rocprim17ROCPRIM_400000_NS6detail17trampoline_kernelINS0_14default_configENS1_27scan_by_key_config_selectorIj11FixedVectorIiLj4EEEEZZNS1_16scan_by_key_implILNS1_25lookback_scan_determinismE0ELb0ES3_N6thrust23THRUST_200600_302600_NS6detail15normal_iteratorINSB_10device_ptrIjEEEENSD_INSE_IS6_EEEESI_S6_NSB_4plusIvEENSB_8equal_toIvEES6_EE10hipError_tPvRmT2_T3_T4_T5_mT6_T7_P12ihipStream_tbENKUlT_T0_E_clISt17integral_constantIbLb0EES12_IbLb1EEEEDaSY_SZ_EUlSY_E_NS1_11comp_targetILNS1_3genE5ELNS1_11target_archE942ELNS1_3gpuE9ELNS1_3repE0EEENS1_30default_config_static_selectorELNS0_4arch9wavefront6targetE0EEEvT1_.numbered_sgpr, 0
	.set _ZN7rocprim17ROCPRIM_400000_NS6detail17trampoline_kernelINS0_14default_configENS1_27scan_by_key_config_selectorIj11FixedVectorIiLj4EEEEZZNS1_16scan_by_key_implILNS1_25lookback_scan_determinismE0ELb0ES3_N6thrust23THRUST_200600_302600_NS6detail15normal_iteratorINSB_10device_ptrIjEEEENSD_INSE_IS6_EEEESI_S6_NSB_4plusIvEENSB_8equal_toIvEES6_EE10hipError_tPvRmT2_T3_T4_T5_mT6_T7_P12ihipStream_tbENKUlT_T0_E_clISt17integral_constantIbLb0EES12_IbLb1EEEEDaSY_SZ_EUlSY_E_NS1_11comp_targetILNS1_3genE5ELNS1_11target_archE942ELNS1_3gpuE9ELNS1_3repE0EEENS1_30default_config_static_selectorELNS0_4arch9wavefront6targetE0EEEvT1_.num_named_barrier, 0
	.set _ZN7rocprim17ROCPRIM_400000_NS6detail17trampoline_kernelINS0_14default_configENS1_27scan_by_key_config_selectorIj11FixedVectorIiLj4EEEEZZNS1_16scan_by_key_implILNS1_25lookback_scan_determinismE0ELb0ES3_N6thrust23THRUST_200600_302600_NS6detail15normal_iteratorINSB_10device_ptrIjEEEENSD_INSE_IS6_EEEESI_S6_NSB_4plusIvEENSB_8equal_toIvEES6_EE10hipError_tPvRmT2_T3_T4_T5_mT6_T7_P12ihipStream_tbENKUlT_T0_E_clISt17integral_constantIbLb0EES12_IbLb1EEEEDaSY_SZ_EUlSY_E_NS1_11comp_targetILNS1_3genE5ELNS1_11target_archE942ELNS1_3gpuE9ELNS1_3repE0EEENS1_30default_config_static_selectorELNS0_4arch9wavefront6targetE0EEEvT1_.private_seg_size, 0
	.set _ZN7rocprim17ROCPRIM_400000_NS6detail17trampoline_kernelINS0_14default_configENS1_27scan_by_key_config_selectorIj11FixedVectorIiLj4EEEEZZNS1_16scan_by_key_implILNS1_25lookback_scan_determinismE0ELb0ES3_N6thrust23THRUST_200600_302600_NS6detail15normal_iteratorINSB_10device_ptrIjEEEENSD_INSE_IS6_EEEESI_S6_NSB_4plusIvEENSB_8equal_toIvEES6_EE10hipError_tPvRmT2_T3_T4_T5_mT6_T7_P12ihipStream_tbENKUlT_T0_E_clISt17integral_constantIbLb0EES12_IbLb1EEEEDaSY_SZ_EUlSY_E_NS1_11comp_targetILNS1_3genE5ELNS1_11target_archE942ELNS1_3gpuE9ELNS1_3repE0EEENS1_30default_config_static_selectorELNS0_4arch9wavefront6targetE0EEEvT1_.uses_vcc, 0
	.set _ZN7rocprim17ROCPRIM_400000_NS6detail17trampoline_kernelINS0_14default_configENS1_27scan_by_key_config_selectorIj11FixedVectorIiLj4EEEEZZNS1_16scan_by_key_implILNS1_25lookback_scan_determinismE0ELb0ES3_N6thrust23THRUST_200600_302600_NS6detail15normal_iteratorINSB_10device_ptrIjEEEENSD_INSE_IS6_EEEESI_S6_NSB_4plusIvEENSB_8equal_toIvEES6_EE10hipError_tPvRmT2_T3_T4_T5_mT6_T7_P12ihipStream_tbENKUlT_T0_E_clISt17integral_constantIbLb0EES12_IbLb1EEEEDaSY_SZ_EUlSY_E_NS1_11comp_targetILNS1_3genE5ELNS1_11target_archE942ELNS1_3gpuE9ELNS1_3repE0EEENS1_30default_config_static_selectorELNS0_4arch9wavefront6targetE0EEEvT1_.uses_flat_scratch, 0
	.set _ZN7rocprim17ROCPRIM_400000_NS6detail17trampoline_kernelINS0_14default_configENS1_27scan_by_key_config_selectorIj11FixedVectorIiLj4EEEEZZNS1_16scan_by_key_implILNS1_25lookback_scan_determinismE0ELb0ES3_N6thrust23THRUST_200600_302600_NS6detail15normal_iteratorINSB_10device_ptrIjEEEENSD_INSE_IS6_EEEESI_S6_NSB_4plusIvEENSB_8equal_toIvEES6_EE10hipError_tPvRmT2_T3_T4_T5_mT6_T7_P12ihipStream_tbENKUlT_T0_E_clISt17integral_constantIbLb0EES12_IbLb1EEEEDaSY_SZ_EUlSY_E_NS1_11comp_targetILNS1_3genE5ELNS1_11target_archE942ELNS1_3gpuE9ELNS1_3repE0EEENS1_30default_config_static_selectorELNS0_4arch9wavefront6targetE0EEEvT1_.has_dyn_sized_stack, 0
	.set _ZN7rocprim17ROCPRIM_400000_NS6detail17trampoline_kernelINS0_14default_configENS1_27scan_by_key_config_selectorIj11FixedVectorIiLj4EEEEZZNS1_16scan_by_key_implILNS1_25lookback_scan_determinismE0ELb0ES3_N6thrust23THRUST_200600_302600_NS6detail15normal_iteratorINSB_10device_ptrIjEEEENSD_INSE_IS6_EEEESI_S6_NSB_4plusIvEENSB_8equal_toIvEES6_EE10hipError_tPvRmT2_T3_T4_T5_mT6_T7_P12ihipStream_tbENKUlT_T0_E_clISt17integral_constantIbLb0EES12_IbLb1EEEEDaSY_SZ_EUlSY_E_NS1_11comp_targetILNS1_3genE5ELNS1_11target_archE942ELNS1_3gpuE9ELNS1_3repE0EEENS1_30default_config_static_selectorELNS0_4arch9wavefront6targetE0EEEvT1_.has_recursion, 0
	.set _ZN7rocprim17ROCPRIM_400000_NS6detail17trampoline_kernelINS0_14default_configENS1_27scan_by_key_config_selectorIj11FixedVectorIiLj4EEEEZZNS1_16scan_by_key_implILNS1_25lookback_scan_determinismE0ELb0ES3_N6thrust23THRUST_200600_302600_NS6detail15normal_iteratorINSB_10device_ptrIjEEEENSD_INSE_IS6_EEEESI_S6_NSB_4plusIvEENSB_8equal_toIvEES6_EE10hipError_tPvRmT2_T3_T4_T5_mT6_T7_P12ihipStream_tbENKUlT_T0_E_clISt17integral_constantIbLb0EES12_IbLb1EEEEDaSY_SZ_EUlSY_E_NS1_11comp_targetILNS1_3genE5ELNS1_11target_archE942ELNS1_3gpuE9ELNS1_3repE0EEENS1_30default_config_static_selectorELNS0_4arch9wavefront6targetE0EEEvT1_.has_indirect_call, 0
	.section	.AMDGPU.csdata,"",@progbits
; Kernel info:
; codeLenInByte = 0
; TotalNumSgprs: 0
; NumVgprs: 0
; ScratchSize: 0
; MemoryBound: 0
; FloatMode: 240
; IeeeMode: 1
; LDSByteSize: 0 bytes/workgroup (compile time only)
; SGPRBlocks: 0
; VGPRBlocks: 0
; NumSGPRsForWavesPerEU: 1
; NumVGPRsForWavesPerEU: 1
; NamedBarCnt: 0
; Occupancy: 16
; WaveLimiterHint : 0
; COMPUTE_PGM_RSRC2:SCRATCH_EN: 0
; COMPUTE_PGM_RSRC2:USER_SGPR: 2
; COMPUTE_PGM_RSRC2:TRAP_HANDLER: 0
; COMPUTE_PGM_RSRC2:TGID_X_EN: 1
; COMPUTE_PGM_RSRC2:TGID_Y_EN: 0
; COMPUTE_PGM_RSRC2:TGID_Z_EN: 0
; COMPUTE_PGM_RSRC2:TIDIG_COMP_CNT: 0
	.section	.text._ZN7rocprim17ROCPRIM_400000_NS6detail17trampoline_kernelINS0_14default_configENS1_27scan_by_key_config_selectorIj11FixedVectorIiLj4EEEEZZNS1_16scan_by_key_implILNS1_25lookback_scan_determinismE0ELb0ES3_N6thrust23THRUST_200600_302600_NS6detail15normal_iteratorINSB_10device_ptrIjEEEENSD_INSE_IS6_EEEESI_S6_NSB_4plusIvEENSB_8equal_toIvEES6_EE10hipError_tPvRmT2_T3_T4_T5_mT6_T7_P12ihipStream_tbENKUlT_T0_E_clISt17integral_constantIbLb0EES12_IbLb1EEEEDaSY_SZ_EUlSY_E_NS1_11comp_targetILNS1_3genE4ELNS1_11target_archE910ELNS1_3gpuE8ELNS1_3repE0EEENS1_30default_config_static_selectorELNS0_4arch9wavefront6targetE0EEEvT1_,"axG",@progbits,_ZN7rocprim17ROCPRIM_400000_NS6detail17trampoline_kernelINS0_14default_configENS1_27scan_by_key_config_selectorIj11FixedVectorIiLj4EEEEZZNS1_16scan_by_key_implILNS1_25lookback_scan_determinismE0ELb0ES3_N6thrust23THRUST_200600_302600_NS6detail15normal_iteratorINSB_10device_ptrIjEEEENSD_INSE_IS6_EEEESI_S6_NSB_4plusIvEENSB_8equal_toIvEES6_EE10hipError_tPvRmT2_T3_T4_T5_mT6_T7_P12ihipStream_tbENKUlT_T0_E_clISt17integral_constantIbLb0EES12_IbLb1EEEEDaSY_SZ_EUlSY_E_NS1_11comp_targetILNS1_3genE4ELNS1_11target_archE910ELNS1_3gpuE8ELNS1_3repE0EEENS1_30default_config_static_selectorELNS0_4arch9wavefront6targetE0EEEvT1_,comdat
	.protected	_ZN7rocprim17ROCPRIM_400000_NS6detail17trampoline_kernelINS0_14default_configENS1_27scan_by_key_config_selectorIj11FixedVectorIiLj4EEEEZZNS1_16scan_by_key_implILNS1_25lookback_scan_determinismE0ELb0ES3_N6thrust23THRUST_200600_302600_NS6detail15normal_iteratorINSB_10device_ptrIjEEEENSD_INSE_IS6_EEEESI_S6_NSB_4plusIvEENSB_8equal_toIvEES6_EE10hipError_tPvRmT2_T3_T4_T5_mT6_T7_P12ihipStream_tbENKUlT_T0_E_clISt17integral_constantIbLb0EES12_IbLb1EEEEDaSY_SZ_EUlSY_E_NS1_11comp_targetILNS1_3genE4ELNS1_11target_archE910ELNS1_3gpuE8ELNS1_3repE0EEENS1_30default_config_static_selectorELNS0_4arch9wavefront6targetE0EEEvT1_ ; -- Begin function _ZN7rocprim17ROCPRIM_400000_NS6detail17trampoline_kernelINS0_14default_configENS1_27scan_by_key_config_selectorIj11FixedVectorIiLj4EEEEZZNS1_16scan_by_key_implILNS1_25lookback_scan_determinismE0ELb0ES3_N6thrust23THRUST_200600_302600_NS6detail15normal_iteratorINSB_10device_ptrIjEEEENSD_INSE_IS6_EEEESI_S6_NSB_4plusIvEENSB_8equal_toIvEES6_EE10hipError_tPvRmT2_T3_T4_T5_mT6_T7_P12ihipStream_tbENKUlT_T0_E_clISt17integral_constantIbLb0EES12_IbLb1EEEEDaSY_SZ_EUlSY_E_NS1_11comp_targetILNS1_3genE4ELNS1_11target_archE910ELNS1_3gpuE8ELNS1_3repE0EEENS1_30default_config_static_selectorELNS0_4arch9wavefront6targetE0EEEvT1_
	.globl	_ZN7rocprim17ROCPRIM_400000_NS6detail17trampoline_kernelINS0_14default_configENS1_27scan_by_key_config_selectorIj11FixedVectorIiLj4EEEEZZNS1_16scan_by_key_implILNS1_25lookback_scan_determinismE0ELb0ES3_N6thrust23THRUST_200600_302600_NS6detail15normal_iteratorINSB_10device_ptrIjEEEENSD_INSE_IS6_EEEESI_S6_NSB_4plusIvEENSB_8equal_toIvEES6_EE10hipError_tPvRmT2_T3_T4_T5_mT6_T7_P12ihipStream_tbENKUlT_T0_E_clISt17integral_constantIbLb0EES12_IbLb1EEEEDaSY_SZ_EUlSY_E_NS1_11comp_targetILNS1_3genE4ELNS1_11target_archE910ELNS1_3gpuE8ELNS1_3repE0EEENS1_30default_config_static_selectorELNS0_4arch9wavefront6targetE0EEEvT1_
	.p2align	8
	.type	_ZN7rocprim17ROCPRIM_400000_NS6detail17trampoline_kernelINS0_14default_configENS1_27scan_by_key_config_selectorIj11FixedVectorIiLj4EEEEZZNS1_16scan_by_key_implILNS1_25lookback_scan_determinismE0ELb0ES3_N6thrust23THRUST_200600_302600_NS6detail15normal_iteratorINSB_10device_ptrIjEEEENSD_INSE_IS6_EEEESI_S6_NSB_4plusIvEENSB_8equal_toIvEES6_EE10hipError_tPvRmT2_T3_T4_T5_mT6_T7_P12ihipStream_tbENKUlT_T0_E_clISt17integral_constantIbLb0EES12_IbLb1EEEEDaSY_SZ_EUlSY_E_NS1_11comp_targetILNS1_3genE4ELNS1_11target_archE910ELNS1_3gpuE8ELNS1_3repE0EEENS1_30default_config_static_selectorELNS0_4arch9wavefront6targetE0EEEvT1_,@function
_ZN7rocprim17ROCPRIM_400000_NS6detail17trampoline_kernelINS0_14default_configENS1_27scan_by_key_config_selectorIj11FixedVectorIiLj4EEEEZZNS1_16scan_by_key_implILNS1_25lookback_scan_determinismE0ELb0ES3_N6thrust23THRUST_200600_302600_NS6detail15normal_iteratorINSB_10device_ptrIjEEEENSD_INSE_IS6_EEEESI_S6_NSB_4plusIvEENSB_8equal_toIvEES6_EE10hipError_tPvRmT2_T3_T4_T5_mT6_T7_P12ihipStream_tbENKUlT_T0_E_clISt17integral_constantIbLb0EES12_IbLb1EEEEDaSY_SZ_EUlSY_E_NS1_11comp_targetILNS1_3genE4ELNS1_11target_archE910ELNS1_3gpuE8ELNS1_3repE0EEENS1_30default_config_static_selectorELNS0_4arch9wavefront6targetE0EEEvT1_: ; @_ZN7rocprim17ROCPRIM_400000_NS6detail17trampoline_kernelINS0_14default_configENS1_27scan_by_key_config_selectorIj11FixedVectorIiLj4EEEEZZNS1_16scan_by_key_implILNS1_25lookback_scan_determinismE0ELb0ES3_N6thrust23THRUST_200600_302600_NS6detail15normal_iteratorINSB_10device_ptrIjEEEENSD_INSE_IS6_EEEESI_S6_NSB_4plusIvEENSB_8equal_toIvEES6_EE10hipError_tPvRmT2_T3_T4_T5_mT6_T7_P12ihipStream_tbENKUlT_T0_E_clISt17integral_constantIbLb0EES12_IbLb1EEEEDaSY_SZ_EUlSY_E_NS1_11comp_targetILNS1_3genE4ELNS1_11target_archE910ELNS1_3gpuE8ELNS1_3repE0EEENS1_30default_config_static_selectorELNS0_4arch9wavefront6targetE0EEEvT1_
; %bb.0:
	.section	.rodata,"a",@progbits
	.p2align	6, 0x0
	.amdhsa_kernel _ZN7rocprim17ROCPRIM_400000_NS6detail17trampoline_kernelINS0_14default_configENS1_27scan_by_key_config_selectorIj11FixedVectorIiLj4EEEEZZNS1_16scan_by_key_implILNS1_25lookback_scan_determinismE0ELb0ES3_N6thrust23THRUST_200600_302600_NS6detail15normal_iteratorINSB_10device_ptrIjEEEENSD_INSE_IS6_EEEESI_S6_NSB_4plusIvEENSB_8equal_toIvEES6_EE10hipError_tPvRmT2_T3_T4_T5_mT6_T7_P12ihipStream_tbENKUlT_T0_E_clISt17integral_constantIbLb0EES12_IbLb1EEEEDaSY_SZ_EUlSY_E_NS1_11comp_targetILNS1_3genE4ELNS1_11target_archE910ELNS1_3gpuE8ELNS1_3repE0EEENS1_30default_config_static_selectorELNS0_4arch9wavefront6targetE0EEEvT1_
		.amdhsa_group_segment_fixed_size 0
		.amdhsa_private_segment_fixed_size 0
		.amdhsa_kernarg_size 144
		.amdhsa_user_sgpr_count 2
		.amdhsa_user_sgpr_dispatch_ptr 0
		.amdhsa_user_sgpr_queue_ptr 0
		.amdhsa_user_sgpr_kernarg_segment_ptr 1
		.amdhsa_user_sgpr_dispatch_id 0
		.amdhsa_user_sgpr_kernarg_preload_length 0
		.amdhsa_user_sgpr_kernarg_preload_offset 0
		.amdhsa_user_sgpr_private_segment_size 0
		.amdhsa_wavefront_size32 1
		.amdhsa_uses_dynamic_stack 0
		.amdhsa_enable_private_segment 0
		.amdhsa_system_sgpr_workgroup_id_x 1
		.amdhsa_system_sgpr_workgroup_id_y 0
		.amdhsa_system_sgpr_workgroup_id_z 0
		.amdhsa_system_sgpr_workgroup_info 0
		.amdhsa_system_vgpr_workitem_id 0
		.amdhsa_next_free_vgpr 1
		.amdhsa_next_free_sgpr 1
		.amdhsa_named_barrier_count 0
		.amdhsa_reserve_vcc 0
		.amdhsa_float_round_mode_32 0
		.amdhsa_float_round_mode_16_64 0
		.amdhsa_float_denorm_mode_32 3
		.amdhsa_float_denorm_mode_16_64 3
		.amdhsa_fp16_overflow 0
		.amdhsa_memory_ordered 1
		.amdhsa_forward_progress 1
		.amdhsa_inst_pref_size 0
		.amdhsa_round_robin_scheduling 0
		.amdhsa_exception_fp_ieee_invalid_op 0
		.amdhsa_exception_fp_denorm_src 0
		.amdhsa_exception_fp_ieee_div_zero 0
		.amdhsa_exception_fp_ieee_overflow 0
		.amdhsa_exception_fp_ieee_underflow 0
		.amdhsa_exception_fp_ieee_inexact 0
		.amdhsa_exception_int_div_zero 0
	.end_amdhsa_kernel
	.section	.text._ZN7rocprim17ROCPRIM_400000_NS6detail17trampoline_kernelINS0_14default_configENS1_27scan_by_key_config_selectorIj11FixedVectorIiLj4EEEEZZNS1_16scan_by_key_implILNS1_25lookback_scan_determinismE0ELb0ES3_N6thrust23THRUST_200600_302600_NS6detail15normal_iteratorINSB_10device_ptrIjEEEENSD_INSE_IS6_EEEESI_S6_NSB_4plusIvEENSB_8equal_toIvEES6_EE10hipError_tPvRmT2_T3_T4_T5_mT6_T7_P12ihipStream_tbENKUlT_T0_E_clISt17integral_constantIbLb0EES12_IbLb1EEEEDaSY_SZ_EUlSY_E_NS1_11comp_targetILNS1_3genE4ELNS1_11target_archE910ELNS1_3gpuE8ELNS1_3repE0EEENS1_30default_config_static_selectorELNS0_4arch9wavefront6targetE0EEEvT1_,"axG",@progbits,_ZN7rocprim17ROCPRIM_400000_NS6detail17trampoline_kernelINS0_14default_configENS1_27scan_by_key_config_selectorIj11FixedVectorIiLj4EEEEZZNS1_16scan_by_key_implILNS1_25lookback_scan_determinismE0ELb0ES3_N6thrust23THRUST_200600_302600_NS6detail15normal_iteratorINSB_10device_ptrIjEEEENSD_INSE_IS6_EEEESI_S6_NSB_4plusIvEENSB_8equal_toIvEES6_EE10hipError_tPvRmT2_T3_T4_T5_mT6_T7_P12ihipStream_tbENKUlT_T0_E_clISt17integral_constantIbLb0EES12_IbLb1EEEEDaSY_SZ_EUlSY_E_NS1_11comp_targetILNS1_3genE4ELNS1_11target_archE910ELNS1_3gpuE8ELNS1_3repE0EEENS1_30default_config_static_selectorELNS0_4arch9wavefront6targetE0EEEvT1_,comdat
.Lfunc_end2069:
	.size	_ZN7rocprim17ROCPRIM_400000_NS6detail17trampoline_kernelINS0_14default_configENS1_27scan_by_key_config_selectorIj11FixedVectorIiLj4EEEEZZNS1_16scan_by_key_implILNS1_25lookback_scan_determinismE0ELb0ES3_N6thrust23THRUST_200600_302600_NS6detail15normal_iteratorINSB_10device_ptrIjEEEENSD_INSE_IS6_EEEESI_S6_NSB_4plusIvEENSB_8equal_toIvEES6_EE10hipError_tPvRmT2_T3_T4_T5_mT6_T7_P12ihipStream_tbENKUlT_T0_E_clISt17integral_constantIbLb0EES12_IbLb1EEEEDaSY_SZ_EUlSY_E_NS1_11comp_targetILNS1_3genE4ELNS1_11target_archE910ELNS1_3gpuE8ELNS1_3repE0EEENS1_30default_config_static_selectorELNS0_4arch9wavefront6targetE0EEEvT1_, .Lfunc_end2069-_ZN7rocprim17ROCPRIM_400000_NS6detail17trampoline_kernelINS0_14default_configENS1_27scan_by_key_config_selectorIj11FixedVectorIiLj4EEEEZZNS1_16scan_by_key_implILNS1_25lookback_scan_determinismE0ELb0ES3_N6thrust23THRUST_200600_302600_NS6detail15normal_iteratorINSB_10device_ptrIjEEEENSD_INSE_IS6_EEEESI_S6_NSB_4plusIvEENSB_8equal_toIvEES6_EE10hipError_tPvRmT2_T3_T4_T5_mT6_T7_P12ihipStream_tbENKUlT_T0_E_clISt17integral_constantIbLb0EES12_IbLb1EEEEDaSY_SZ_EUlSY_E_NS1_11comp_targetILNS1_3genE4ELNS1_11target_archE910ELNS1_3gpuE8ELNS1_3repE0EEENS1_30default_config_static_selectorELNS0_4arch9wavefront6targetE0EEEvT1_
                                        ; -- End function
	.set _ZN7rocprim17ROCPRIM_400000_NS6detail17trampoline_kernelINS0_14default_configENS1_27scan_by_key_config_selectorIj11FixedVectorIiLj4EEEEZZNS1_16scan_by_key_implILNS1_25lookback_scan_determinismE0ELb0ES3_N6thrust23THRUST_200600_302600_NS6detail15normal_iteratorINSB_10device_ptrIjEEEENSD_INSE_IS6_EEEESI_S6_NSB_4plusIvEENSB_8equal_toIvEES6_EE10hipError_tPvRmT2_T3_T4_T5_mT6_T7_P12ihipStream_tbENKUlT_T0_E_clISt17integral_constantIbLb0EES12_IbLb1EEEEDaSY_SZ_EUlSY_E_NS1_11comp_targetILNS1_3genE4ELNS1_11target_archE910ELNS1_3gpuE8ELNS1_3repE0EEENS1_30default_config_static_selectorELNS0_4arch9wavefront6targetE0EEEvT1_.num_vgpr, 0
	.set _ZN7rocprim17ROCPRIM_400000_NS6detail17trampoline_kernelINS0_14default_configENS1_27scan_by_key_config_selectorIj11FixedVectorIiLj4EEEEZZNS1_16scan_by_key_implILNS1_25lookback_scan_determinismE0ELb0ES3_N6thrust23THRUST_200600_302600_NS6detail15normal_iteratorINSB_10device_ptrIjEEEENSD_INSE_IS6_EEEESI_S6_NSB_4plusIvEENSB_8equal_toIvEES6_EE10hipError_tPvRmT2_T3_T4_T5_mT6_T7_P12ihipStream_tbENKUlT_T0_E_clISt17integral_constantIbLb0EES12_IbLb1EEEEDaSY_SZ_EUlSY_E_NS1_11comp_targetILNS1_3genE4ELNS1_11target_archE910ELNS1_3gpuE8ELNS1_3repE0EEENS1_30default_config_static_selectorELNS0_4arch9wavefront6targetE0EEEvT1_.num_agpr, 0
	.set _ZN7rocprim17ROCPRIM_400000_NS6detail17trampoline_kernelINS0_14default_configENS1_27scan_by_key_config_selectorIj11FixedVectorIiLj4EEEEZZNS1_16scan_by_key_implILNS1_25lookback_scan_determinismE0ELb0ES3_N6thrust23THRUST_200600_302600_NS6detail15normal_iteratorINSB_10device_ptrIjEEEENSD_INSE_IS6_EEEESI_S6_NSB_4plusIvEENSB_8equal_toIvEES6_EE10hipError_tPvRmT2_T3_T4_T5_mT6_T7_P12ihipStream_tbENKUlT_T0_E_clISt17integral_constantIbLb0EES12_IbLb1EEEEDaSY_SZ_EUlSY_E_NS1_11comp_targetILNS1_3genE4ELNS1_11target_archE910ELNS1_3gpuE8ELNS1_3repE0EEENS1_30default_config_static_selectorELNS0_4arch9wavefront6targetE0EEEvT1_.numbered_sgpr, 0
	.set _ZN7rocprim17ROCPRIM_400000_NS6detail17trampoline_kernelINS0_14default_configENS1_27scan_by_key_config_selectorIj11FixedVectorIiLj4EEEEZZNS1_16scan_by_key_implILNS1_25lookback_scan_determinismE0ELb0ES3_N6thrust23THRUST_200600_302600_NS6detail15normal_iteratorINSB_10device_ptrIjEEEENSD_INSE_IS6_EEEESI_S6_NSB_4plusIvEENSB_8equal_toIvEES6_EE10hipError_tPvRmT2_T3_T4_T5_mT6_T7_P12ihipStream_tbENKUlT_T0_E_clISt17integral_constantIbLb0EES12_IbLb1EEEEDaSY_SZ_EUlSY_E_NS1_11comp_targetILNS1_3genE4ELNS1_11target_archE910ELNS1_3gpuE8ELNS1_3repE0EEENS1_30default_config_static_selectorELNS0_4arch9wavefront6targetE0EEEvT1_.num_named_barrier, 0
	.set _ZN7rocprim17ROCPRIM_400000_NS6detail17trampoline_kernelINS0_14default_configENS1_27scan_by_key_config_selectorIj11FixedVectorIiLj4EEEEZZNS1_16scan_by_key_implILNS1_25lookback_scan_determinismE0ELb0ES3_N6thrust23THRUST_200600_302600_NS6detail15normal_iteratorINSB_10device_ptrIjEEEENSD_INSE_IS6_EEEESI_S6_NSB_4plusIvEENSB_8equal_toIvEES6_EE10hipError_tPvRmT2_T3_T4_T5_mT6_T7_P12ihipStream_tbENKUlT_T0_E_clISt17integral_constantIbLb0EES12_IbLb1EEEEDaSY_SZ_EUlSY_E_NS1_11comp_targetILNS1_3genE4ELNS1_11target_archE910ELNS1_3gpuE8ELNS1_3repE0EEENS1_30default_config_static_selectorELNS0_4arch9wavefront6targetE0EEEvT1_.private_seg_size, 0
	.set _ZN7rocprim17ROCPRIM_400000_NS6detail17trampoline_kernelINS0_14default_configENS1_27scan_by_key_config_selectorIj11FixedVectorIiLj4EEEEZZNS1_16scan_by_key_implILNS1_25lookback_scan_determinismE0ELb0ES3_N6thrust23THRUST_200600_302600_NS6detail15normal_iteratorINSB_10device_ptrIjEEEENSD_INSE_IS6_EEEESI_S6_NSB_4plusIvEENSB_8equal_toIvEES6_EE10hipError_tPvRmT2_T3_T4_T5_mT6_T7_P12ihipStream_tbENKUlT_T0_E_clISt17integral_constantIbLb0EES12_IbLb1EEEEDaSY_SZ_EUlSY_E_NS1_11comp_targetILNS1_3genE4ELNS1_11target_archE910ELNS1_3gpuE8ELNS1_3repE0EEENS1_30default_config_static_selectorELNS0_4arch9wavefront6targetE0EEEvT1_.uses_vcc, 0
	.set _ZN7rocprim17ROCPRIM_400000_NS6detail17trampoline_kernelINS0_14default_configENS1_27scan_by_key_config_selectorIj11FixedVectorIiLj4EEEEZZNS1_16scan_by_key_implILNS1_25lookback_scan_determinismE0ELb0ES3_N6thrust23THRUST_200600_302600_NS6detail15normal_iteratorINSB_10device_ptrIjEEEENSD_INSE_IS6_EEEESI_S6_NSB_4plusIvEENSB_8equal_toIvEES6_EE10hipError_tPvRmT2_T3_T4_T5_mT6_T7_P12ihipStream_tbENKUlT_T0_E_clISt17integral_constantIbLb0EES12_IbLb1EEEEDaSY_SZ_EUlSY_E_NS1_11comp_targetILNS1_3genE4ELNS1_11target_archE910ELNS1_3gpuE8ELNS1_3repE0EEENS1_30default_config_static_selectorELNS0_4arch9wavefront6targetE0EEEvT1_.uses_flat_scratch, 0
	.set _ZN7rocprim17ROCPRIM_400000_NS6detail17trampoline_kernelINS0_14default_configENS1_27scan_by_key_config_selectorIj11FixedVectorIiLj4EEEEZZNS1_16scan_by_key_implILNS1_25lookback_scan_determinismE0ELb0ES3_N6thrust23THRUST_200600_302600_NS6detail15normal_iteratorINSB_10device_ptrIjEEEENSD_INSE_IS6_EEEESI_S6_NSB_4plusIvEENSB_8equal_toIvEES6_EE10hipError_tPvRmT2_T3_T4_T5_mT6_T7_P12ihipStream_tbENKUlT_T0_E_clISt17integral_constantIbLb0EES12_IbLb1EEEEDaSY_SZ_EUlSY_E_NS1_11comp_targetILNS1_3genE4ELNS1_11target_archE910ELNS1_3gpuE8ELNS1_3repE0EEENS1_30default_config_static_selectorELNS0_4arch9wavefront6targetE0EEEvT1_.has_dyn_sized_stack, 0
	.set _ZN7rocprim17ROCPRIM_400000_NS6detail17trampoline_kernelINS0_14default_configENS1_27scan_by_key_config_selectorIj11FixedVectorIiLj4EEEEZZNS1_16scan_by_key_implILNS1_25lookback_scan_determinismE0ELb0ES3_N6thrust23THRUST_200600_302600_NS6detail15normal_iteratorINSB_10device_ptrIjEEEENSD_INSE_IS6_EEEESI_S6_NSB_4plusIvEENSB_8equal_toIvEES6_EE10hipError_tPvRmT2_T3_T4_T5_mT6_T7_P12ihipStream_tbENKUlT_T0_E_clISt17integral_constantIbLb0EES12_IbLb1EEEEDaSY_SZ_EUlSY_E_NS1_11comp_targetILNS1_3genE4ELNS1_11target_archE910ELNS1_3gpuE8ELNS1_3repE0EEENS1_30default_config_static_selectorELNS0_4arch9wavefront6targetE0EEEvT1_.has_recursion, 0
	.set _ZN7rocprim17ROCPRIM_400000_NS6detail17trampoline_kernelINS0_14default_configENS1_27scan_by_key_config_selectorIj11FixedVectorIiLj4EEEEZZNS1_16scan_by_key_implILNS1_25lookback_scan_determinismE0ELb0ES3_N6thrust23THRUST_200600_302600_NS6detail15normal_iteratorINSB_10device_ptrIjEEEENSD_INSE_IS6_EEEESI_S6_NSB_4plusIvEENSB_8equal_toIvEES6_EE10hipError_tPvRmT2_T3_T4_T5_mT6_T7_P12ihipStream_tbENKUlT_T0_E_clISt17integral_constantIbLb0EES12_IbLb1EEEEDaSY_SZ_EUlSY_E_NS1_11comp_targetILNS1_3genE4ELNS1_11target_archE910ELNS1_3gpuE8ELNS1_3repE0EEENS1_30default_config_static_selectorELNS0_4arch9wavefront6targetE0EEEvT1_.has_indirect_call, 0
	.section	.AMDGPU.csdata,"",@progbits
; Kernel info:
; codeLenInByte = 0
; TotalNumSgprs: 0
; NumVgprs: 0
; ScratchSize: 0
; MemoryBound: 0
; FloatMode: 240
; IeeeMode: 1
; LDSByteSize: 0 bytes/workgroup (compile time only)
; SGPRBlocks: 0
; VGPRBlocks: 0
; NumSGPRsForWavesPerEU: 1
; NumVGPRsForWavesPerEU: 1
; NamedBarCnt: 0
; Occupancy: 16
; WaveLimiterHint : 0
; COMPUTE_PGM_RSRC2:SCRATCH_EN: 0
; COMPUTE_PGM_RSRC2:USER_SGPR: 2
; COMPUTE_PGM_RSRC2:TRAP_HANDLER: 0
; COMPUTE_PGM_RSRC2:TGID_X_EN: 1
; COMPUTE_PGM_RSRC2:TGID_Y_EN: 0
; COMPUTE_PGM_RSRC2:TGID_Z_EN: 0
; COMPUTE_PGM_RSRC2:TIDIG_COMP_CNT: 0
	.section	.text._ZN7rocprim17ROCPRIM_400000_NS6detail17trampoline_kernelINS0_14default_configENS1_27scan_by_key_config_selectorIj11FixedVectorIiLj4EEEEZZNS1_16scan_by_key_implILNS1_25lookback_scan_determinismE0ELb0ES3_N6thrust23THRUST_200600_302600_NS6detail15normal_iteratorINSB_10device_ptrIjEEEENSD_INSE_IS6_EEEESI_S6_NSB_4plusIvEENSB_8equal_toIvEES6_EE10hipError_tPvRmT2_T3_T4_T5_mT6_T7_P12ihipStream_tbENKUlT_T0_E_clISt17integral_constantIbLb0EES12_IbLb1EEEEDaSY_SZ_EUlSY_E_NS1_11comp_targetILNS1_3genE3ELNS1_11target_archE908ELNS1_3gpuE7ELNS1_3repE0EEENS1_30default_config_static_selectorELNS0_4arch9wavefront6targetE0EEEvT1_,"axG",@progbits,_ZN7rocprim17ROCPRIM_400000_NS6detail17trampoline_kernelINS0_14default_configENS1_27scan_by_key_config_selectorIj11FixedVectorIiLj4EEEEZZNS1_16scan_by_key_implILNS1_25lookback_scan_determinismE0ELb0ES3_N6thrust23THRUST_200600_302600_NS6detail15normal_iteratorINSB_10device_ptrIjEEEENSD_INSE_IS6_EEEESI_S6_NSB_4plusIvEENSB_8equal_toIvEES6_EE10hipError_tPvRmT2_T3_T4_T5_mT6_T7_P12ihipStream_tbENKUlT_T0_E_clISt17integral_constantIbLb0EES12_IbLb1EEEEDaSY_SZ_EUlSY_E_NS1_11comp_targetILNS1_3genE3ELNS1_11target_archE908ELNS1_3gpuE7ELNS1_3repE0EEENS1_30default_config_static_selectorELNS0_4arch9wavefront6targetE0EEEvT1_,comdat
	.protected	_ZN7rocprim17ROCPRIM_400000_NS6detail17trampoline_kernelINS0_14default_configENS1_27scan_by_key_config_selectorIj11FixedVectorIiLj4EEEEZZNS1_16scan_by_key_implILNS1_25lookback_scan_determinismE0ELb0ES3_N6thrust23THRUST_200600_302600_NS6detail15normal_iteratorINSB_10device_ptrIjEEEENSD_INSE_IS6_EEEESI_S6_NSB_4plusIvEENSB_8equal_toIvEES6_EE10hipError_tPvRmT2_T3_T4_T5_mT6_T7_P12ihipStream_tbENKUlT_T0_E_clISt17integral_constantIbLb0EES12_IbLb1EEEEDaSY_SZ_EUlSY_E_NS1_11comp_targetILNS1_3genE3ELNS1_11target_archE908ELNS1_3gpuE7ELNS1_3repE0EEENS1_30default_config_static_selectorELNS0_4arch9wavefront6targetE0EEEvT1_ ; -- Begin function _ZN7rocprim17ROCPRIM_400000_NS6detail17trampoline_kernelINS0_14default_configENS1_27scan_by_key_config_selectorIj11FixedVectorIiLj4EEEEZZNS1_16scan_by_key_implILNS1_25lookback_scan_determinismE0ELb0ES3_N6thrust23THRUST_200600_302600_NS6detail15normal_iteratorINSB_10device_ptrIjEEEENSD_INSE_IS6_EEEESI_S6_NSB_4plusIvEENSB_8equal_toIvEES6_EE10hipError_tPvRmT2_T3_T4_T5_mT6_T7_P12ihipStream_tbENKUlT_T0_E_clISt17integral_constantIbLb0EES12_IbLb1EEEEDaSY_SZ_EUlSY_E_NS1_11comp_targetILNS1_3genE3ELNS1_11target_archE908ELNS1_3gpuE7ELNS1_3repE0EEENS1_30default_config_static_selectorELNS0_4arch9wavefront6targetE0EEEvT1_
	.globl	_ZN7rocprim17ROCPRIM_400000_NS6detail17trampoline_kernelINS0_14default_configENS1_27scan_by_key_config_selectorIj11FixedVectorIiLj4EEEEZZNS1_16scan_by_key_implILNS1_25lookback_scan_determinismE0ELb0ES3_N6thrust23THRUST_200600_302600_NS6detail15normal_iteratorINSB_10device_ptrIjEEEENSD_INSE_IS6_EEEESI_S6_NSB_4plusIvEENSB_8equal_toIvEES6_EE10hipError_tPvRmT2_T3_T4_T5_mT6_T7_P12ihipStream_tbENKUlT_T0_E_clISt17integral_constantIbLb0EES12_IbLb1EEEEDaSY_SZ_EUlSY_E_NS1_11comp_targetILNS1_3genE3ELNS1_11target_archE908ELNS1_3gpuE7ELNS1_3repE0EEENS1_30default_config_static_selectorELNS0_4arch9wavefront6targetE0EEEvT1_
	.p2align	8
	.type	_ZN7rocprim17ROCPRIM_400000_NS6detail17trampoline_kernelINS0_14default_configENS1_27scan_by_key_config_selectorIj11FixedVectorIiLj4EEEEZZNS1_16scan_by_key_implILNS1_25lookback_scan_determinismE0ELb0ES3_N6thrust23THRUST_200600_302600_NS6detail15normal_iteratorINSB_10device_ptrIjEEEENSD_INSE_IS6_EEEESI_S6_NSB_4plusIvEENSB_8equal_toIvEES6_EE10hipError_tPvRmT2_T3_T4_T5_mT6_T7_P12ihipStream_tbENKUlT_T0_E_clISt17integral_constantIbLb0EES12_IbLb1EEEEDaSY_SZ_EUlSY_E_NS1_11comp_targetILNS1_3genE3ELNS1_11target_archE908ELNS1_3gpuE7ELNS1_3repE0EEENS1_30default_config_static_selectorELNS0_4arch9wavefront6targetE0EEEvT1_,@function
_ZN7rocprim17ROCPRIM_400000_NS6detail17trampoline_kernelINS0_14default_configENS1_27scan_by_key_config_selectorIj11FixedVectorIiLj4EEEEZZNS1_16scan_by_key_implILNS1_25lookback_scan_determinismE0ELb0ES3_N6thrust23THRUST_200600_302600_NS6detail15normal_iteratorINSB_10device_ptrIjEEEENSD_INSE_IS6_EEEESI_S6_NSB_4plusIvEENSB_8equal_toIvEES6_EE10hipError_tPvRmT2_T3_T4_T5_mT6_T7_P12ihipStream_tbENKUlT_T0_E_clISt17integral_constantIbLb0EES12_IbLb1EEEEDaSY_SZ_EUlSY_E_NS1_11comp_targetILNS1_3genE3ELNS1_11target_archE908ELNS1_3gpuE7ELNS1_3repE0EEENS1_30default_config_static_selectorELNS0_4arch9wavefront6targetE0EEEvT1_: ; @_ZN7rocprim17ROCPRIM_400000_NS6detail17trampoline_kernelINS0_14default_configENS1_27scan_by_key_config_selectorIj11FixedVectorIiLj4EEEEZZNS1_16scan_by_key_implILNS1_25lookback_scan_determinismE0ELb0ES3_N6thrust23THRUST_200600_302600_NS6detail15normal_iteratorINSB_10device_ptrIjEEEENSD_INSE_IS6_EEEESI_S6_NSB_4plusIvEENSB_8equal_toIvEES6_EE10hipError_tPvRmT2_T3_T4_T5_mT6_T7_P12ihipStream_tbENKUlT_T0_E_clISt17integral_constantIbLb0EES12_IbLb1EEEEDaSY_SZ_EUlSY_E_NS1_11comp_targetILNS1_3genE3ELNS1_11target_archE908ELNS1_3gpuE7ELNS1_3repE0EEENS1_30default_config_static_selectorELNS0_4arch9wavefront6targetE0EEEvT1_
; %bb.0:
	.section	.rodata,"a",@progbits
	.p2align	6, 0x0
	.amdhsa_kernel _ZN7rocprim17ROCPRIM_400000_NS6detail17trampoline_kernelINS0_14default_configENS1_27scan_by_key_config_selectorIj11FixedVectorIiLj4EEEEZZNS1_16scan_by_key_implILNS1_25lookback_scan_determinismE0ELb0ES3_N6thrust23THRUST_200600_302600_NS6detail15normal_iteratorINSB_10device_ptrIjEEEENSD_INSE_IS6_EEEESI_S6_NSB_4plusIvEENSB_8equal_toIvEES6_EE10hipError_tPvRmT2_T3_T4_T5_mT6_T7_P12ihipStream_tbENKUlT_T0_E_clISt17integral_constantIbLb0EES12_IbLb1EEEEDaSY_SZ_EUlSY_E_NS1_11comp_targetILNS1_3genE3ELNS1_11target_archE908ELNS1_3gpuE7ELNS1_3repE0EEENS1_30default_config_static_selectorELNS0_4arch9wavefront6targetE0EEEvT1_
		.amdhsa_group_segment_fixed_size 0
		.amdhsa_private_segment_fixed_size 0
		.amdhsa_kernarg_size 144
		.amdhsa_user_sgpr_count 2
		.amdhsa_user_sgpr_dispatch_ptr 0
		.amdhsa_user_sgpr_queue_ptr 0
		.amdhsa_user_sgpr_kernarg_segment_ptr 1
		.amdhsa_user_sgpr_dispatch_id 0
		.amdhsa_user_sgpr_kernarg_preload_length 0
		.amdhsa_user_sgpr_kernarg_preload_offset 0
		.amdhsa_user_sgpr_private_segment_size 0
		.amdhsa_wavefront_size32 1
		.amdhsa_uses_dynamic_stack 0
		.amdhsa_enable_private_segment 0
		.amdhsa_system_sgpr_workgroup_id_x 1
		.amdhsa_system_sgpr_workgroup_id_y 0
		.amdhsa_system_sgpr_workgroup_id_z 0
		.amdhsa_system_sgpr_workgroup_info 0
		.amdhsa_system_vgpr_workitem_id 0
		.amdhsa_next_free_vgpr 1
		.amdhsa_next_free_sgpr 1
		.amdhsa_named_barrier_count 0
		.amdhsa_reserve_vcc 0
		.amdhsa_float_round_mode_32 0
		.amdhsa_float_round_mode_16_64 0
		.amdhsa_float_denorm_mode_32 3
		.amdhsa_float_denorm_mode_16_64 3
		.amdhsa_fp16_overflow 0
		.amdhsa_memory_ordered 1
		.amdhsa_forward_progress 1
		.amdhsa_inst_pref_size 0
		.amdhsa_round_robin_scheduling 0
		.amdhsa_exception_fp_ieee_invalid_op 0
		.amdhsa_exception_fp_denorm_src 0
		.amdhsa_exception_fp_ieee_div_zero 0
		.amdhsa_exception_fp_ieee_overflow 0
		.amdhsa_exception_fp_ieee_underflow 0
		.amdhsa_exception_fp_ieee_inexact 0
		.amdhsa_exception_int_div_zero 0
	.end_amdhsa_kernel
	.section	.text._ZN7rocprim17ROCPRIM_400000_NS6detail17trampoline_kernelINS0_14default_configENS1_27scan_by_key_config_selectorIj11FixedVectorIiLj4EEEEZZNS1_16scan_by_key_implILNS1_25lookback_scan_determinismE0ELb0ES3_N6thrust23THRUST_200600_302600_NS6detail15normal_iteratorINSB_10device_ptrIjEEEENSD_INSE_IS6_EEEESI_S6_NSB_4plusIvEENSB_8equal_toIvEES6_EE10hipError_tPvRmT2_T3_T4_T5_mT6_T7_P12ihipStream_tbENKUlT_T0_E_clISt17integral_constantIbLb0EES12_IbLb1EEEEDaSY_SZ_EUlSY_E_NS1_11comp_targetILNS1_3genE3ELNS1_11target_archE908ELNS1_3gpuE7ELNS1_3repE0EEENS1_30default_config_static_selectorELNS0_4arch9wavefront6targetE0EEEvT1_,"axG",@progbits,_ZN7rocprim17ROCPRIM_400000_NS6detail17trampoline_kernelINS0_14default_configENS1_27scan_by_key_config_selectorIj11FixedVectorIiLj4EEEEZZNS1_16scan_by_key_implILNS1_25lookback_scan_determinismE0ELb0ES3_N6thrust23THRUST_200600_302600_NS6detail15normal_iteratorINSB_10device_ptrIjEEEENSD_INSE_IS6_EEEESI_S6_NSB_4plusIvEENSB_8equal_toIvEES6_EE10hipError_tPvRmT2_T3_T4_T5_mT6_T7_P12ihipStream_tbENKUlT_T0_E_clISt17integral_constantIbLb0EES12_IbLb1EEEEDaSY_SZ_EUlSY_E_NS1_11comp_targetILNS1_3genE3ELNS1_11target_archE908ELNS1_3gpuE7ELNS1_3repE0EEENS1_30default_config_static_selectorELNS0_4arch9wavefront6targetE0EEEvT1_,comdat
.Lfunc_end2070:
	.size	_ZN7rocprim17ROCPRIM_400000_NS6detail17trampoline_kernelINS0_14default_configENS1_27scan_by_key_config_selectorIj11FixedVectorIiLj4EEEEZZNS1_16scan_by_key_implILNS1_25lookback_scan_determinismE0ELb0ES3_N6thrust23THRUST_200600_302600_NS6detail15normal_iteratorINSB_10device_ptrIjEEEENSD_INSE_IS6_EEEESI_S6_NSB_4plusIvEENSB_8equal_toIvEES6_EE10hipError_tPvRmT2_T3_T4_T5_mT6_T7_P12ihipStream_tbENKUlT_T0_E_clISt17integral_constantIbLb0EES12_IbLb1EEEEDaSY_SZ_EUlSY_E_NS1_11comp_targetILNS1_3genE3ELNS1_11target_archE908ELNS1_3gpuE7ELNS1_3repE0EEENS1_30default_config_static_selectorELNS0_4arch9wavefront6targetE0EEEvT1_, .Lfunc_end2070-_ZN7rocprim17ROCPRIM_400000_NS6detail17trampoline_kernelINS0_14default_configENS1_27scan_by_key_config_selectorIj11FixedVectorIiLj4EEEEZZNS1_16scan_by_key_implILNS1_25lookback_scan_determinismE0ELb0ES3_N6thrust23THRUST_200600_302600_NS6detail15normal_iteratorINSB_10device_ptrIjEEEENSD_INSE_IS6_EEEESI_S6_NSB_4plusIvEENSB_8equal_toIvEES6_EE10hipError_tPvRmT2_T3_T4_T5_mT6_T7_P12ihipStream_tbENKUlT_T0_E_clISt17integral_constantIbLb0EES12_IbLb1EEEEDaSY_SZ_EUlSY_E_NS1_11comp_targetILNS1_3genE3ELNS1_11target_archE908ELNS1_3gpuE7ELNS1_3repE0EEENS1_30default_config_static_selectorELNS0_4arch9wavefront6targetE0EEEvT1_
                                        ; -- End function
	.set _ZN7rocprim17ROCPRIM_400000_NS6detail17trampoline_kernelINS0_14default_configENS1_27scan_by_key_config_selectorIj11FixedVectorIiLj4EEEEZZNS1_16scan_by_key_implILNS1_25lookback_scan_determinismE0ELb0ES3_N6thrust23THRUST_200600_302600_NS6detail15normal_iteratorINSB_10device_ptrIjEEEENSD_INSE_IS6_EEEESI_S6_NSB_4plusIvEENSB_8equal_toIvEES6_EE10hipError_tPvRmT2_T3_T4_T5_mT6_T7_P12ihipStream_tbENKUlT_T0_E_clISt17integral_constantIbLb0EES12_IbLb1EEEEDaSY_SZ_EUlSY_E_NS1_11comp_targetILNS1_3genE3ELNS1_11target_archE908ELNS1_3gpuE7ELNS1_3repE0EEENS1_30default_config_static_selectorELNS0_4arch9wavefront6targetE0EEEvT1_.num_vgpr, 0
	.set _ZN7rocprim17ROCPRIM_400000_NS6detail17trampoline_kernelINS0_14default_configENS1_27scan_by_key_config_selectorIj11FixedVectorIiLj4EEEEZZNS1_16scan_by_key_implILNS1_25lookback_scan_determinismE0ELb0ES3_N6thrust23THRUST_200600_302600_NS6detail15normal_iteratorINSB_10device_ptrIjEEEENSD_INSE_IS6_EEEESI_S6_NSB_4plusIvEENSB_8equal_toIvEES6_EE10hipError_tPvRmT2_T3_T4_T5_mT6_T7_P12ihipStream_tbENKUlT_T0_E_clISt17integral_constantIbLb0EES12_IbLb1EEEEDaSY_SZ_EUlSY_E_NS1_11comp_targetILNS1_3genE3ELNS1_11target_archE908ELNS1_3gpuE7ELNS1_3repE0EEENS1_30default_config_static_selectorELNS0_4arch9wavefront6targetE0EEEvT1_.num_agpr, 0
	.set _ZN7rocprim17ROCPRIM_400000_NS6detail17trampoline_kernelINS0_14default_configENS1_27scan_by_key_config_selectorIj11FixedVectorIiLj4EEEEZZNS1_16scan_by_key_implILNS1_25lookback_scan_determinismE0ELb0ES3_N6thrust23THRUST_200600_302600_NS6detail15normal_iteratorINSB_10device_ptrIjEEEENSD_INSE_IS6_EEEESI_S6_NSB_4plusIvEENSB_8equal_toIvEES6_EE10hipError_tPvRmT2_T3_T4_T5_mT6_T7_P12ihipStream_tbENKUlT_T0_E_clISt17integral_constantIbLb0EES12_IbLb1EEEEDaSY_SZ_EUlSY_E_NS1_11comp_targetILNS1_3genE3ELNS1_11target_archE908ELNS1_3gpuE7ELNS1_3repE0EEENS1_30default_config_static_selectorELNS0_4arch9wavefront6targetE0EEEvT1_.numbered_sgpr, 0
	.set _ZN7rocprim17ROCPRIM_400000_NS6detail17trampoline_kernelINS0_14default_configENS1_27scan_by_key_config_selectorIj11FixedVectorIiLj4EEEEZZNS1_16scan_by_key_implILNS1_25lookback_scan_determinismE0ELb0ES3_N6thrust23THRUST_200600_302600_NS6detail15normal_iteratorINSB_10device_ptrIjEEEENSD_INSE_IS6_EEEESI_S6_NSB_4plusIvEENSB_8equal_toIvEES6_EE10hipError_tPvRmT2_T3_T4_T5_mT6_T7_P12ihipStream_tbENKUlT_T0_E_clISt17integral_constantIbLb0EES12_IbLb1EEEEDaSY_SZ_EUlSY_E_NS1_11comp_targetILNS1_3genE3ELNS1_11target_archE908ELNS1_3gpuE7ELNS1_3repE0EEENS1_30default_config_static_selectorELNS0_4arch9wavefront6targetE0EEEvT1_.num_named_barrier, 0
	.set _ZN7rocprim17ROCPRIM_400000_NS6detail17trampoline_kernelINS0_14default_configENS1_27scan_by_key_config_selectorIj11FixedVectorIiLj4EEEEZZNS1_16scan_by_key_implILNS1_25lookback_scan_determinismE0ELb0ES3_N6thrust23THRUST_200600_302600_NS6detail15normal_iteratorINSB_10device_ptrIjEEEENSD_INSE_IS6_EEEESI_S6_NSB_4plusIvEENSB_8equal_toIvEES6_EE10hipError_tPvRmT2_T3_T4_T5_mT6_T7_P12ihipStream_tbENKUlT_T0_E_clISt17integral_constantIbLb0EES12_IbLb1EEEEDaSY_SZ_EUlSY_E_NS1_11comp_targetILNS1_3genE3ELNS1_11target_archE908ELNS1_3gpuE7ELNS1_3repE0EEENS1_30default_config_static_selectorELNS0_4arch9wavefront6targetE0EEEvT1_.private_seg_size, 0
	.set _ZN7rocprim17ROCPRIM_400000_NS6detail17trampoline_kernelINS0_14default_configENS1_27scan_by_key_config_selectorIj11FixedVectorIiLj4EEEEZZNS1_16scan_by_key_implILNS1_25lookback_scan_determinismE0ELb0ES3_N6thrust23THRUST_200600_302600_NS6detail15normal_iteratorINSB_10device_ptrIjEEEENSD_INSE_IS6_EEEESI_S6_NSB_4plusIvEENSB_8equal_toIvEES6_EE10hipError_tPvRmT2_T3_T4_T5_mT6_T7_P12ihipStream_tbENKUlT_T0_E_clISt17integral_constantIbLb0EES12_IbLb1EEEEDaSY_SZ_EUlSY_E_NS1_11comp_targetILNS1_3genE3ELNS1_11target_archE908ELNS1_3gpuE7ELNS1_3repE0EEENS1_30default_config_static_selectorELNS0_4arch9wavefront6targetE0EEEvT1_.uses_vcc, 0
	.set _ZN7rocprim17ROCPRIM_400000_NS6detail17trampoline_kernelINS0_14default_configENS1_27scan_by_key_config_selectorIj11FixedVectorIiLj4EEEEZZNS1_16scan_by_key_implILNS1_25lookback_scan_determinismE0ELb0ES3_N6thrust23THRUST_200600_302600_NS6detail15normal_iteratorINSB_10device_ptrIjEEEENSD_INSE_IS6_EEEESI_S6_NSB_4plusIvEENSB_8equal_toIvEES6_EE10hipError_tPvRmT2_T3_T4_T5_mT6_T7_P12ihipStream_tbENKUlT_T0_E_clISt17integral_constantIbLb0EES12_IbLb1EEEEDaSY_SZ_EUlSY_E_NS1_11comp_targetILNS1_3genE3ELNS1_11target_archE908ELNS1_3gpuE7ELNS1_3repE0EEENS1_30default_config_static_selectorELNS0_4arch9wavefront6targetE0EEEvT1_.uses_flat_scratch, 0
	.set _ZN7rocprim17ROCPRIM_400000_NS6detail17trampoline_kernelINS0_14default_configENS1_27scan_by_key_config_selectorIj11FixedVectorIiLj4EEEEZZNS1_16scan_by_key_implILNS1_25lookback_scan_determinismE0ELb0ES3_N6thrust23THRUST_200600_302600_NS6detail15normal_iteratorINSB_10device_ptrIjEEEENSD_INSE_IS6_EEEESI_S6_NSB_4plusIvEENSB_8equal_toIvEES6_EE10hipError_tPvRmT2_T3_T4_T5_mT6_T7_P12ihipStream_tbENKUlT_T0_E_clISt17integral_constantIbLb0EES12_IbLb1EEEEDaSY_SZ_EUlSY_E_NS1_11comp_targetILNS1_3genE3ELNS1_11target_archE908ELNS1_3gpuE7ELNS1_3repE0EEENS1_30default_config_static_selectorELNS0_4arch9wavefront6targetE0EEEvT1_.has_dyn_sized_stack, 0
	.set _ZN7rocprim17ROCPRIM_400000_NS6detail17trampoline_kernelINS0_14default_configENS1_27scan_by_key_config_selectorIj11FixedVectorIiLj4EEEEZZNS1_16scan_by_key_implILNS1_25lookback_scan_determinismE0ELb0ES3_N6thrust23THRUST_200600_302600_NS6detail15normal_iteratorINSB_10device_ptrIjEEEENSD_INSE_IS6_EEEESI_S6_NSB_4plusIvEENSB_8equal_toIvEES6_EE10hipError_tPvRmT2_T3_T4_T5_mT6_T7_P12ihipStream_tbENKUlT_T0_E_clISt17integral_constantIbLb0EES12_IbLb1EEEEDaSY_SZ_EUlSY_E_NS1_11comp_targetILNS1_3genE3ELNS1_11target_archE908ELNS1_3gpuE7ELNS1_3repE0EEENS1_30default_config_static_selectorELNS0_4arch9wavefront6targetE0EEEvT1_.has_recursion, 0
	.set _ZN7rocprim17ROCPRIM_400000_NS6detail17trampoline_kernelINS0_14default_configENS1_27scan_by_key_config_selectorIj11FixedVectorIiLj4EEEEZZNS1_16scan_by_key_implILNS1_25lookback_scan_determinismE0ELb0ES3_N6thrust23THRUST_200600_302600_NS6detail15normal_iteratorINSB_10device_ptrIjEEEENSD_INSE_IS6_EEEESI_S6_NSB_4plusIvEENSB_8equal_toIvEES6_EE10hipError_tPvRmT2_T3_T4_T5_mT6_T7_P12ihipStream_tbENKUlT_T0_E_clISt17integral_constantIbLb0EES12_IbLb1EEEEDaSY_SZ_EUlSY_E_NS1_11comp_targetILNS1_3genE3ELNS1_11target_archE908ELNS1_3gpuE7ELNS1_3repE0EEENS1_30default_config_static_selectorELNS0_4arch9wavefront6targetE0EEEvT1_.has_indirect_call, 0
	.section	.AMDGPU.csdata,"",@progbits
; Kernel info:
; codeLenInByte = 0
; TotalNumSgprs: 0
; NumVgprs: 0
; ScratchSize: 0
; MemoryBound: 0
; FloatMode: 240
; IeeeMode: 1
; LDSByteSize: 0 bytes/workgroup (compile time only)
; SGPRBlocks: 0
; VGPRBlocks: 0
; NumSGPRsForWavesPerEU: 1
; NumVGPRsForWavesPerEU: 1
; NamedBarCnt: 0
; Occupancy: 16
; WaveLimiterHint : 0
; COMPUTE_PGM_RSRC2:SCRATCH_EN: 0
; COMPUTE_PGM_RSRC2:USER_SGPR: 2
; COMPUTE_PGM_RSRC2:TRAP_HANDLER: 0
; COMPUTE_PGM_RSRC2:TGID_X_EN: 1
; COMPUTE_PGM_RSRC2:TGID_Y_EN: 0
; COMPUTE_PGM_RSRC2:TGID_Z_EN: 0
; COMPUTE_PGM_RSRC2:TIDIG_COMP_CNT: 0
	.section	.text._ZN7rocprim17ROCPRIM_400000_NS6detail17trampoline_kernelINS0_14default_configENS1_27scan_by_key_config_selectorIj11FixedVectorIiLj4EEEEZZNS1_16scan_by_key_implILNS1_25lookback_scan_determinismE0ELb0ES3_N6thrust23THRUST_200600_302600_NS6detail15normal_iteratorINSB_10device_ptrIjEEEENSD_INSE_IS6_EEEESI_S6_NSB_4plusIvEENSB_8equal_toIvEES6_EE10hipError_tPvRmT2_T3_T4_T5_mT6_T7_P12ihipStream_tbENKUlT_T0_E_clISt17integral_constantIbLb0EES12_IbLb1EEEEDaSY_SZ_EUlSY_E_NS1_11comp_targetILNS1_3genE2ELNS1_11target_archE906ELNS1_3gpuE6ELNS1_3repE0EEENS1_30default_config_static_selectorELNS0_4arch9wavefront6targetE0EEEvT1_,"axG",@progbits,_ZN7rocprim17ROCPRIM_400000_NS6detail17trampoline_kernelINS0_14default_configENS1_27scan_by_key_config_selectorIj11FixedVectorIiLj4EEEEZZNS1_16scan_by_key_implILNS1_25lookback_scan_determinismE0ELb0ES3_N6thrust23THRUST_200600_302600_NS6detail15normal_iteratorINSB_10device_ptrIjEEEENSD_INSE_IS6_EEEESI_S6_NSB_4plusIvEENSB_8equal_toIvEES6_EE10hipError_tPvRmT2_T3_T4_T5_mT6_T7_P12ihipStream_tbENKUlT_T0_E_clISt17integral_constantIbLb0EES12_IbLb1EEEEDaSY_SZ_EUlSY_E_NS1_11comp_targetILNS1_3genE2ELNS1_11target_archE906ELNS1_3gpuE6ELNS1_3repE0EEENS1_30default_config_static_selectorELNS0_4arch9wavefront6targetE0EEEvT1_,comdat
	.protected	_ZN7rocprim17ROCPRIM_400000_NS6detail17trampoline_kernelINS0_14default_configENS1_27scan_by_key_config_selectorIj11FixedVectorIiLj4EEEEZZNS1_16scan_by_key_implILNS1_25lookback_scan_determinismE0ELb0ES3_N6thrust23THRUST_200600_302600_NS6detail15normal_iteratorINSB_10device_ptrIjEEEENSD_INSE_IS6_EEEESI_S6_NSB_4plusIvEENSB_8equal_toIvEES6_EE10hipError_tPvRmT2_T3_T4_T5_mT6_T7_P12ihipStream_tbENKUlT_T0_E_clISt17integral_constantIbLb0EES12_IbLb1EEEEDaSY_SZ_EUlSY_E_NS1_11comp_targetILNS1_3genE2ELNS1_11target_archE906ELNS1_3gpuE6ELNS1_3repE0EEENS1_30default_config_static_selectorELNS0_4arch9wavefront6targetE0EEEvT1_ ; -- Begin function _ZN7rocprim17ROCPRIM_400000_NS6detail17trampoline_kernelINS0_14default_configENS1_27scan_by_key_config_selectorIj11FixedVectorIiLj4EEEEZZNS1_16scan_by_key_implILNS1_25lookback_scan_determinismE0ELb0ES3_N6thrust23THRUST_200600_302600_NS6detail15normal_iteratorINSB_10device_ptrIjEEEENSD_INSE_IS6_EEEESI_S6_NSB_4plusIvEENSB_8equal_toIvEES6_EE10hipError_tPvRmT2_T3_T4_T5_mT6_T7_P12ihipStream_tbENKUlT_T0_E_clISt17integral_constantIbLb0EES12_IbLb1EEEEDaSY_SZ_EUlSY_E_NS1_11comp_targetILNS1_3genE2ELNS1_11target_archE906ELNS1_3gpuE6ELNS1_3repE0EEENS1_30default_config_static_selectorELNS0_4arch9wavefront6targetE0EEEvT1_
	.globl	_ZN7rocprim17ROCPRIM_400000_NS6detail17trampoline_kernelINS0_14default_configENS1_27scan_by_key_config_selectorIj11FixedVectorIiLj4EEEEZZNS1_16scan_by_key_implILNS1_25lookback_scan_determinismE0ELb0ES3_N6thrust23THRUST_200600_302600_NS6detail15normal_iteratorINSB_10device_ptrIjEEEENSD_INSE_IS6_EEEESI_S6_NSB_4plusIvEENSB_8equal_toIvEES6_EE10hipError_tPvRmT2_T3_T4_T5_mT6_T7_P12ihipStream_tbENKUlT_T0_E_clISt17integral_constantIbLb0EES12_IbLb1EEEEDaSY_SZ_EUlSY_E_NS1_11comp_targetILNS1_3genE2ELNS1_11target_archE906ELNS1_3gpuE6ELNS1_3repE0EEENS1_30default_config_static_selectorELNS0_4arch9wavefront6targetE0EEEvT1_
	.p2align	8
	.type	_ZN7rocprim17ROCPRIM_400000_NS6detail17trampoline_kernelINS0_14default_configENS1_27scan_by_key_config_selectorIj11FixedVectorIiLj4EEEEZZNS1_16scan_by_key_implILNS1_25lookback_scan_determinismE0ELb0ES3_N6thrust23THRUST_200600_302600_NS6detail15normal_iteratorINSB_10device_ptrIjEEEENSD_INSE_IS6_EEEESI_S6_NSB_4plusIvEENSB_8equal_toIvEES6_EE10hipError_tPvRmT2_T3_T4_T5_mT6_T7_P12ihipStream_tbENKUlT_T0_E_clISt17integral_constantIbLb0EES12_IbLb1EEEEDaSY_SZ_EUlSY_E_NS1_11comp_targetILNS1_3genE2ELNS1_11target_archE906ELNS1_3gpuE6ELNS1_3repE0EEENS1_30default_config_static_selectorELNS0_4arch9wavefront6targetE0EEEvT1_,@function
_ZN7rocprim17ROCPRIM_400000_NS6detail17trampoline_kernelINS0_14default_configENS1_27scan_by_key_config_selectorIj11FixedVectorIiLj4EEEEZZNS1_16scan_by_key_implILNS1_25lookback_scan_determinismE0ELb0ES3_N6thrust23THRUST_200600_302600_NS6detail15normal_iteratorINSB_10device_ptrIjEEEENSD_INSE_IS6_EEEESI_S6_NSB_4plusIvEENSB_8equal_toIvEES6_EE10hipError_tPvRmT2_T3_T4_T5_mT6_T7_P12ihipStream_tbENKUlT_T0_E_clISt17integral_constantIbLb0EES12_IbLb1EEEEDaSY_SZ_EUlSY_E_NS1_11comp_targetILNS1_3genE2ELNS1_11target_archE906ELNS1_3gpuE6ELNS1_3repE0EEENS1_30default_config_static_selectorELNS0_4arch9wavefront6targetE0EEEvT1_: ; @_ZN7rocprim17ROCPRIM_400000_NS6detail17trampoline_kernelINS0_14default_configENS1_27scan_by_key_config_selectorIj11FixedVectorIiLj4EEEEZZNS1_16scan_by_key_implILNS1_25lookback_scan_determinismE0ELb0ES3_N6thrust23THRUST_200600_302600_NS6detail15normal_iteratorINSB_10device_ptrIjEEEENSD_INSE_IS6_EEEESI_S6_NSB_4plusIvEENSB_8equal_toIvEES6_EE10hipError_tPvRmT2_T3_T4_T5_mT6_T7_P12ihipStream_tbENKUlT_T0_E_clISt17integral_constantIbLb0EES12_IbLb1EEEEDaSY_SZ_EUlSY_E_NS1_11comp_targetILNS1_3genE2ELNS1_11target_archE906ELNS1_3gpuE6ELNS1_3repE0EEENS1_30default_config_static_selectorELNS0_4arch9wavefront6targetE0EEEvT1_
; %bb.0:
	.section	.rodata,"a",@progbits
	.p2align	6, 0x0
	.amdhsa_kernel _ZN7rocprim17ROCPRIM_400000_NS6detail17trampoline_kernelINS0_14default_configENS1_27scan_by_key_config_selectorIj11FixedVectorIiLj4EEEEZZNS1_16scan_by_key_implILNS1_25lookback_scan_determinismE0ELb0ES3_N6thrust23THRUST_200600_302600_NS6detail15normal_iteratorINSB_10device_ptrIjEEEENSD_INSE_IS6_EEEESI_S6_NSB_4plusIvEENSB_8equal_toIvEES6_EE10hipError_tPvRmT2_T3_T4_T5_mT6_T7_P12ihipStream_tbENKUlT_T0_E_clISt17integral_constantIbLb0EES12_IbLb1EEEEDaSY_SZ_EUlSY_E_NS1_11comp_targetILNS1_3genE2ELNS1_11target_archE906ELNS1_3gpuE6ELNS1_3repE0EEENS1_30default_config_static_selectorELNS0_4arch9wavefront6targetE0EEEvT1_
		.amdhsa_group_segment_fixed_size 0
		.amdhsa_private_segment_fixed_size 0
		.amdhsa_kernarg_size 144
		.amdhsa_user_sgpr_count 2
		.amdhsa_user_sgpr_dispatch_ptr 0
		.amdhsa_user_sgpr_queue_ptr 0
		.amdhsa_user_sgpr_kernarg_segment_ptr 1
		.amdhsa_user_sgpr_dispatch_id 0
		.amdhsa_user_sgpr_kernarg_preload_length 0
		.amdhsa_user_sgpr_kernarg_preload_offset 0
		.amdhsa_user_sgpr_private_segment_size 0
		.amdhsa_wavefront_size32 1
		.amdhsa_uses_dynamic_stack 0
		.amdhsa_enable_private_segment 0
		.amdhsa_system_sgpr_workgroup_id_x 1
		.amdhsa_system_sgpr_workgroup_id_y 0
		.amdhsa_system_sgpr_workgroup_id_z 0
		.amdhsa_system_sgpr_workgroup_info 0
		.amdhsa_system_vgpr_workitem_id 0
		.amdhsa_next_free_vgpr 1
		.amdhsa_next_free_sgpr 1
		.amdhsa_named_barrier_count 0
		.amdhsa_reserve_vcc 0
		.amdhsa_float_round_mode_32 0
		.amdhsa_float_round_mode_16_64 0
		.amdhsa_float_denorm_mode_32 3
		.amdhsa_float_denorm_mode_16_64 3
		.amdhsa_fp16_overflow 0
		.amdhsa_memory_ordered 1
		.amdhsa_forward_progress 1
		.amdhsa_inst_pref_size 0
		.amdhsa_round_robin_scheduling 0
		.amdhsa_exception_fp_ieee_invalid_op 0
		.amdhsa_exception_fp_denorm_src 0
		.amdhsa_exception_fp_ieee_div_zero 0
		.amdhsa_exception_fp_ieee_overflow 0
		.amdhsa_exception_fp_ieee_underflow 0
		.amdhsa_exception_fp_ieee_inexact 0
		.amdhsa_exception_int_div_zero 0
	.end_amdhsa_kernel
	.section	.text._ZN7rocprim17ROCPRIM_400000_NS6detail17trampoline_kernelINS0_14default_configENS1_27scan_by_key_config_selectorIj11FixedVectorIiLj4EEEEZZNS1_16scan_by_key_implILNS1_25lookback_scan_determinismE0ELb0ES3_N6thrust23THRUST_200600_302600_NS6detail15normal_iteratorINSB_10device_ptrIjEEEENSD_INSE_IS6_EEEESI_S6_NSB_4plusIvEENSB_8equal_toIvEES6_EE10hipError_tPvRmT2_T3_T4_T5_mT6_T7_P12ihipStream_tbENKUlT_T0_E_clISt17integral_constantIbLb0EES12_IbLb1EEEEDaSY_SZ_EUlSY_E_NS1_11comp_targetILNS1_3genE2ELNS1_11target_archE906ELNS1_3gpuE6ELNS1_3repE0EEENS1_30default_config_static_selectorELNS0_4arch9wavefront6targetE0EEEvT1_,"axG",@progbits,_ZN7rocprim17ROCPRIM_400000_NS6detail17trampoline_kernelINS0_14default_configENS1_27scan_by_key_config_selectorIj11FixedVectorIiLj4EEEEZZNS1_16scan_by_key_implILNS1_25lookback_scan_determinismE0ELb0ES3_N6thrust23THRUST_200600_302600_NS6detail15normal_iteratorINSB_10device_ptrIjEEEENSD_INSE_IS6_EEEESI_S6_NSB_4plusIvEENSB_8equal_toIvEES6_EE10hipError_tPvRmT2_T3_T4_T5_mT6_T7_P12ihipStream_tbENKUlT_T0_E_clISt17integral_constantIbLb0EES12_IbLb1EEEEDaSY_SZ_EUlSY_E_NS1_11comp_targetILNS1_3genE2ELNS1_11target_archE906ELNS1_3gpuE6ELNS1_3repE0EEENS1_30default_config_static_selectorELNS0_4arch9wavefront6targetE0EEEvT1_,comdat
.Lfunc_end2071:
	.size	_ZN7rocprim17ROCPRIM_400000_NS6detail17trampoline_kernelINS0_14default_configENS1_27scan_by_key_config_selectorIj11FixedVectorIiLj4EEEEZZNS1_16scan_by_key_implILNS1_25lookback_scan_determinismE0ELb0ES3_N6thrust23THRUST_200600_302600_NS6detail15normal_iteratorINSB_10device_ptrIjEEEENSD_INSE_IS6_EEEESI_S6_NSB_4plusIvEENSB_8equal_toIvEES6_EE10hipError_tPvRmT2_T3_T4_T5_mT6_T7_P12ihipStream_tbENKUlT_T0_E_clISt17integral_constantIbLb0EES12_IbLb1EEEEDaSY_SZ_EUlSY_E_NS1_11comp_targetILNS1_3genE2ELNS1_11target_archE906ELNS1_3gpuE6ELNS1_3repE0EEENS1_30default_config_static_selectorELNS0_4arch9wavefront6targetE0EEEvT1_, .Lfunc_end2071-_ZN7rocprim17ROCPRIM_400000_NS6detail17trampoline_kernelINS0_14default_configENS1_27scan_by_key_config_selectorIj11FixedVectorIiLj4EEEEZZNS1_16scan_by_key_implILNS1_25lookback_scan_determinismE0ELb0ES3_N6thrust23THRUST_200600_302600_NS6detail15normal_iteratorINSB_10device_ptrIjEEEENSD_INSE_IS6_EEEESI_S6_NSB_4plusIvEENSB_8equal_toIvEES6_EE10hipError_tPvRmT2_T3_T4_T5_mT6_T7_P12ihipStream_tbENKUlT_T0_E_clISt17integral_constantIbLb0EES12_IbLb1EEEEDaSY_SZ_EUlSY_E_NS1_11comp_targetILNS1_3genE2ELNS1_11target_archE906ELNS1_3gpuE6ELNS1_3repE0EEENS1_30default_config_static_selectorELNS0_4arch9wavefront6targetE0EEEvT1_
                                        ; -- End function
	.set _ZN7rocprim17ROCPRIM_400000_NS6detail17trampoline_kernelINS0_14default_configENS1_27scan_by_key_config_selectorIj11FixedVectorIiLj4EEEEZZNS1_16scan_by_key_implILNS1_25lookback_scan_determinismE0ELb0ES3_N6thrust23THRUST_200600_302600_NS6detail15normal_iteratorINSB_10device_ptrIjEEEENSD_INSE_IS6_EEEESI_S6_NSB_4plusIvEENSB_8equal_toIvEES6_EE10hipError_tPvRmT2_T3_T4_T5_mT6_T7_P12ihipStream_tbENKUlT_T0_E_clISt17integral_constantIbLb0EES12_IbLb1EEEEDaSY_SZ_EUlSY_E_NS1_11comp_targetILNS1_3genE2ELNS1_11target_archE906ELNS1_3gpuE6ELNS1_3repE0EEENS1_30default_config_static_selectorELNS0_4arch9wavefront6targetE0EEEvT1_.num_vgpr, 0
	.set _ZN7rocprim17ROCPRIM_400000_NS6detail17trampoline_kernelINS0_14default_configENS1_27scan_by_key_config_selectorIj11FixedVectorIiLj4EEEEZZNS1_16scan_by_key_implILNS1_25lookback_scan_determinismE0ELb0ES3_N6thrust23THRUST_200600_302600_NS6detail15normal_iteratorINSB_10device_ptrIjEEEENSD_INSE_IS6_EEEESI_S6_NSB_4plusIvEENSB_8equal_toIvEES6_EE10hipError_tPvRmT2_T3_T4_T5_mT6_T7_P12ihipStream_tbENKUlT_T0_E_clISt17integral_constantIbLb0EES12_IbLb1EEEEDaSY_SZ_EUlSY_E_NS1_11comp_targetILNS1_3genE2ELNS1_11target_archE906ELNS1_3gpuE6ELNS1_3repE0EEENS1_30default_config_static_selectorELNS0_4arch9wavefront6targetE0EEEvT1_.num_agpr, 0
	.set _ZN7rocprim17ROCPRIM_400000_NS6detail17trampoline_kernelINS0_14default_configENS1_27scan_by_key_config_selectorIj11FixedVectorIiLj4EEEEZZNS1_16scan_by_key_implILNS1_25lookback_scan_determinismE0ELb0ES3_N6thrust23THRUST_200600_302600_NS6detail15normal_iteratorINSB_10device_ptrIjEEEENSD_INSE_IS6_EEEESI_S6_NSB_4plusIvEENSB_8equal_toIvEES6_EE10hipError_tPvRmT2_T3_T4_T5_mT6_T7_P12ihipStream_tbENKUlT_T0_E_clISt17integral_constantIbLb0EES12_IbLb1EEEEDaSY_SZ_EUlSY_E_NS1_11comp_targetILNS1_3genE2ELNS1_11target_archE906ELNS1_3gpuE6ELNS1_3repE0EEENS1_30default_config_static_selectorELNS0_4arch9wavefront6targetE0EEEvT1_.numbered_sgpr, 0
	.set _ZN7rocprim17ROCPRIM_400000_NS6detail17trampoline_kernelINS0_14default_configENS1_27scan_by_key_config_selectorIj11FixedVectorIiLj4EEEEZZNS1_16scan_by_key_implILNS1_25lookback_scan_determinismE0ELb0ES3_N6thrust23THRUST_200600_302600_NS6detail15normal_iteratorINSB_10device_ptrIjEEEENSD_INSE_IS6_EEEESI_S6_NSB_4plusIvEENSB_8equal_toIvEES6_EE10hipError_tPvRmT2_T3_T4_T5_mT6_T7_P12ihipStream_tbENKUlT_T0_E_clISt17integral_constantIbLb0EES12_IbLb1EEEEDaSY_SZ_EUlSY_E_NS1_11comp_targetILNS1_3genE2ELNS1_11target_archE906ELNS1_3gpuE6ELNS1_3repE0EEENS1_30default_config_static_selectorELNS0_4arch9wavefront6targetE0EEEvT1_.num_named_barrier, 0
	.set _ZN7rocprim17ROCPRIM_400000_NS6detail17trampoline_kernelINS0_14default_configENS1_27scan_by_key_config_selectorIj11FixedVectorIiLj4EEEEZZNS1_16scan_by_key_implILNS1_25lookback_scan_determinismE0ELb0ES3_N6thrust23THRUST_200600_302600_NS6detail15normal_iteratorINSB_10device_ptrIjEEEENSD_INSE_IS6_EEEESI_S6_NSB_4plusIvEENSB_8equal_toIvEES6_EE10hipError_tPvRmT2_T3_T4_T5_mT6_T7_P12ihipStream_tbENKUlT_T0_E_clISt17integral_constantIbLb0EES12_IbLb1EEEEDaSY_SZ_EUlSY_E_NS1_11comp_targetILNS1_3genE2ELNS1_11target_archE906ELNS1_3gpuE6ELNS1_3repE0EEENS1_30default_config_static_selectorELNS0_4arch9wavefront6targetE0EEEvT1_.private_seg_size, 0
	.set _ZN7rocprim17ROCPRIM_400000_NS6detail17trampoline_kernelINS0_14default_configENS1_27scan_by_key_config_selectorIj11FixedVectorIiLj4EEEEZZNS1_16scan_by_key_implILNS1_25lookback_scan_determinismE0ELb0ES3_N6thrust23THRUST_200600_302600_NS6detail15normal_iteratorINSB_10device_ptrIjEEEENSD_INSE_IS6_EEEESI_S6_NSB_4plusIvEENSB_8equal_toIvEES6_EE10hipError_tPvRmT2_T3_T4_T5_mT6_T7_P12ihipStream_tbENKUlT_T0_E_clISt17integral_constantIbLb0EES12_IbLb1EEEEDaSY_SZ_EUlSY_E_NS1_11comp_targetILNS1_3genE2ELNS1_11target_archE906ELNS1_3gpuE6ELNS1_3repE0EEENS1_30default_config_static_selectorELNS0_4arch9wavefront6targetE0EEEvT1_.uses_vcc, 0
	.set _ZN7rocprim17ROCPRIM_400000_NS6detail17trampoline_kernelINS0_14default_configENS1_27scan_by_key_config_selectorIj11FixedVectorIiLj4EEEEZZNS1_16scan_by_key_implILNS1_25lookback_scan_determinismE0ELb0ES3_N6thrust23THRUST_200600_302600_NS6detail15normal_iteratorINSB_10device_ptrIjEEEENSD_INSE_IS6_EEEESI_S6_NSB_4plusIvEENSB_8equal_toIvEES6_EE10hipError_tPvRmT2_T3_T4_T5_mT6_T7_P12ihipStream_tbENKUlT_T0_E_clISt17integral_constantIbLb0EES12_IbLb1EEEEDaSY_SZ_EUlSY_E_NS1_11comp_targetILNS1_3genE2ELNS1_11target_archE906ELNS1_3gpuE6ELNS1_3repE0EEENS1_30default_config_static_selectorELNS0_4arch9wavefront6targetE0EEEvT1_.uses_flat_scratch, 0
	.set _ZN7rocprim17ROCPRIM_400000_NS6detail17trampoline_kernelINS0_14default_configENS1_27scan_by_key_config_selectorIj11FixedVectorIiLj4EEEEZZNS1_16scan_by_key_implILNS1_25lookback_scan_determinismE0ELb0ES3_N6thrust23THRUST_200600_302600_NS6detail15normal_iteratorINSB_10device_ptrIjEEEENSD_INSE_IS6_EEEESI_S6_NSB_4plusIvEENSB_8equal_toIvEES6_EE10hipError_tPvRmT2_T3_T4_T5_mT6_T7_P12ihipStream_tbENKUlT_T0_E_clISt17integral_constantIbLb0EES12_IbLb1EEEEDaSY_SZ_EUlSY_E_NS1_11comp_targetILNS1_3genE2ELNS1_11target_archE906ELNS1_3gpuE6ELNS1_3repE0EEENS1_30default_config_static_selectorELNS0_4arch9wavefront6targetE0EEEvT1_.has_dyn_sized_stack, 0
	.set _ZN7rocprim17ROCPRIM_400000_NS6detail17trampoline_kernelINS0_14default_configENS1_27scan_by_key_config_selectorIj11FixedVectorIiLj4EEEEZZNS1_16scan_by_key_implILNS1_25lookback_scan_determinismE0ELb0ES3_N6thrust23THRUST_200600_302600_NS6detail15normal_iteratorINSB_10device_ptrIjEEEENSD_INSE_IS6_EEEESI_S6_NSB_4plusIvEENSB_8equal_toIvEES6_EE10hipError_tPvRmT2_T3_T4_T5_mT6_T7_P12ihipStream_tbENKUlT_T0_E_clISt17integral_constantIbLb0EES12_IbLb1EEEEDaSY_SZ_EUlSY_E_NS1_11comp_targetILNS1_3genE2ELNS1_11target_archE906ELNS1_3gpuE6ELNS1_3repE0EEENS1_30default_config_static_selectorELNS0_4arch9wavefront6targetE0EEEvT1_.has_recursion, 0
	.set _ZN7rocprim17ROCPRIM_400000_NS6detail17trampoline_kernelINS0_14default_configENS1_27scan_by_key_config_selectorIj11FixedVectorIiLj4EEEEZZNS1_16scan_by_key_implILNS1_25lookback_scan_determinismE0ELb0ES3_N6thrust23THRUST_200600_302600_NS6detail15normal_iteratorINSB_10device_ptrIjEEEENSD_INSE_IS6_EEEESI_S6_NSB_4plusIvEENSB_8equal_toIvEES6_EE10hipError_tPvRmT2_T3_T4_T5_mT6_T7_P12ihipStream_tbENKUlT_T0_E_clISt17integral_constantIbLb0EES12_IbLb1EEEEDaSY_SZ_EUlSY_E_NS1_11comp_targetILNS1_3genE2ELNS1_11target_archE906ELNS1_3gpuE6ELNS1_3repE0EEENS1_30default_config_static_selectorELNS0_4arch9wavefront6targetE0EEEvT1_.has_indirect_call, 0
	.section	.AMDGPU.csdata,"",@progbits
; Kernel info:
; codeLenInByte = 0
; TotalNumSgprs: 0
; NumVgprs: 0
; ScratchSize: 0
; MemoryBound: 0
; FloatMode: 240
; IeeeMode: 1
; LDSByteSize: 0 bytes/workgroup (compile time only)
; SGPRBlocks: 0
; VGPRBlocks: 0
; NumSGPRsForWavesPerEU: 1
; NumVGPRsForWavesPerEU: 1
; NamedBarCnt: 0
; Occupancy: 16
; WaveLimiterHint : 0
; COMPUTE_PGM_RSRC2:SCRATCH_EN: 0
; COMPUTE_PGM_RSRC2:USER_SGPR: 2
; COMPUTE_PGM_RSRC2:TRAP_HANDLER: 0
; COMPUTE_PGM_RSRC2:TGID_X_EN: 1
; COMPUTE_PGM_RSRC2:TGID_Y_EN: 0
; COMPUTE_PGM_RSRC2:TGID_Z_EN: 0
; COMPUTE_PGM_RSRC2:TIDIG_COMP_CNT: 0
	.section	.text._ZN7rocprim17ROCPRIM_400000_NS6detail17trampoline_kernelINS0_14default_configENS1_27scan_by_key_config_selectorIj11FixedVectorIiLj4EEEEZZNS1_16scan_by_key_implILNS1_25lookback_scan_determinismE0ELb0ES3_N6thrust23THRUST_200600_302600_NS6detail15normal_iteratorINSB_10device_ptrIjEEEENSD_INSE_IS6_EEEESI_S6_NSB_4plusIvEENSB_8equal_toIvEES6_EE10hipError_tPvRmT2_T3_T4_T5_mT6_T7_P12ihipStream_tbENKUlT_T0_E_clISt17integral_constantIbLb0EES12_IbLb1EEEEDaSY_SZ_EUlSY_E_NS1_11comp_targetILNS1_3genE10ELNS1_11target_archE1200ELNS1_3gpuE4ELNS1_3repE0EEENS1_30default_config_static_selectorELNS0_4arch9wavefront6targetE0EEEvT1_,"axG",@progbits,_ZN7rocprim17ROCPRIM_400000_NS6detail17trampoline_kernelINS0_14default_configENS1_27scan_by_key_config_selectorIj11FixedVectorIiLj4EEEEZZNS1_16scan_by_key_implILNS1_25lookback_scan_determinismE0ELb0ES3_N6thrust23THRUST_200600_302600_NS6detail15normal_iteratorINSB_10device_ptrIjEEEENSD_INSE_IS6_EEEESI_S6_NSB_4plusIvEENSB_8equal_toIvEES6_EE10hipError_tPvRmT2_T3_T4_T5_mT6_T7_P12ihipStream_tbENKUlT_T0_E_clISt17integral_constantIbLb0EES12_IbLb1EEEEDaSY_SZ_EUlSY_E_NS1_11comp_targetILNS1_3genE10ELNS1_11target_archE1200ELNS1_3gpuE4ELNS1_3repE0EEENS1_30default_config_static_selectorELNS0_4arch9wavefront6targetE0EEEvT1_,comdat
	.protected	_ZN7rocprim17ROCPRIM_400000_NS6detail17trampoline_kernelINS0_14default_configENS1_27scan_by_key_config_selectorIj11FixedVectorIiLj4EEEEZZNS1_16scan_by_key_implILNS1_25lookback_scan_determinismE0ELb0ES3_N6thrust23THRUST_200600_302600_NS6detail15normal_iteratorINSB_10device_ptrIjEEEENSD_INSE_IS6_EEEESI_S6_NSB_4plusIvEENSB_8equal_toIvEES6_EE10hipError_tPvRmT2_T3_T4_T5_mT6_T7_P12ihipStream_tbENKUlT_T0_E_clISt17integral_constantIbLb0EES12_IbLb1EEEEDaSY_SZ_EUlSY_E_NS1_11comp_targetILNS1_3genE10ELNS1_11target_archE1200ELNS1_3gpuE4ELNS1_3repE0EEENS1_30default_config_static_selectorELNS0_4arch9wavefront6targetE0EEEvT1_ ; -- Begin function _ZN7rocprim17ROCPRIM_400000_NS6detail17trampoline_kernelINS0_14default_configENS1_27scan_by_key_config_selectorIj11FixedVectorIiLj4EEEEZZNS1_16scan_by_key_implILNS1_25lookback_scan_determinismE0ELb0ES3_N6thrust23THRUST_200600_302600_NS6detail15normal_iteratorINSB_10device_ptrIjEEEENSD_INSE_IS6_EEEESI_S6_NSB_4plusIvEENSB_8equal_toIvEES6_EE10hipError_tPvRmT2_T3_T4_T5_mT6_T7_P12ihipStream_tbENKUlT_T0_E_clISt17integral_constantIbLb0EES12_IbLb1EEEEDaSY_SZ_EUlSY_E_NS1_11comp_targetILNS1_3genE10ELNS1_11target_archE1200ELNS1_3gpuE4ELNS1_3repE0EEENS1_30default_config_static_selectorELNS0_4arch9wavefront6targetE0EEEvT1_
	.globl	_ZN7rocprim17ROCPRIM_400000_NS6detail17trampoline_kernelINS0_14default_configENS1_27scan_by_key_config_selectorIj11FixedVectorIiLj4EEEEZZNS1_16scan_by_key_implILNS1_25lookback_scan_determinismE0ELb0ES3_N6thrust23THRUST_200600_302600_NS6detail15normal_iteratorINSB_10device_ptrIjEEEENSD_INSE_IS6_EEEESI_S6_NSB_4plusIvEENSB_8equal_toIvEES6_EE10hipError_tPvRmT2_T3_T4_T5_mT6_T7_P12ihipStream_tbENKUlT_T0_E_clISt17integral_constantIbLb0EES12_IbLb1EEEEDaSY_SZ_EUlSY_E_NS1_11comp_targetILNS1_3genE10ELNS1_11target_archE1200ELNS1_3gpuE4ELNS1_3repE0EEENS1_30default_config_static_selectorELNS0_4arch9wavefront6targetE0EEEvT1_
	.p2align	8
	.type	_ZN7rocprim17ROCPRIM_400000_NS6detail17trampoline_kernelINS0_14default_configENS1_27scan_by_key_config_selectorIj11FixedVectorIiLj4EEEEZZNS1_16scan_by_key_implILNS1_25lookback_scan_determinismE0ELb0ES3_N6thrust23THRUST_200600_302600_NS6detail15normal_iteratorINSB_10device_ptrIjEEEENSD_INSE_IS6_EEEESI_S6_NSB_4plusIvEENSB_8equal_toIvEES6_EE10hipError_tPvRmT2_T3_T4_T5_mT6_T7_P12ihipStream_tbENKUlT_T0_E_clISt17integral_constantIbLb0EES12_IbLb1EEEEDaSY_SZ_EUlSY_E_NS1_11comp_targetILNS1_3genE10ELNS1_11target_archE1200ELNS1_3gpuE4ELNS1_3repE0EEENS1_30default_config_static_selectorELNS0_4arch9wavefront6targetE0EEEvT1_,@function
_ZN7rocprim17ROCPRIM_400000_NS6detail17trampoline_kernelINS0_14default_configENS1_27scan_by_key_config_selectorIj11FixedVectorIiLj4EEEEZZNS1_16scan_by_key_implILNS1_25lookback_scan_determinismE0ELb0ES3_N6thrust23THRUST_200600_302600_NS6detail15normal_iteratorINSB_10device_ptrIjEEEENSD_INSE_IS6_EEEESI_S6_NSB_4plusIvEENSB_8equal_toIvEES6_EE10hipError_tPvRmT2_T3_T4_T5_mT6_T7_P12ihipStream_tbENKUlT_T0_E_clISt17integral_constantIbLb0EES12_IbLb1EEEEDaSY_SZ_EUlSY_E_NS1_11comp_targetILNS1_3genE10ELNS1_11target_archE1200ELNS1_3gpuE4ELNS1_3repE0EEENS1_30default_config_static_selectorELNS0_4arch9wavefront6targetE0EEEvT1_: ; @_ZN7rocprim17ROCPRIM_400000_NS6detail17trampoline_kernelINS0_14default_configENS1_27scan_by_key_config_selectorIj11FixedVectorIiLj4EEEEZZNS1_16scan_by_key_implILNS1_25lookback_scan_determinismE0ELb0ES3_N6thrust23THRUST_200600_302600_NS6detail15normal_iteratorINSB_10device_ptrIjEEEENSD_INSE_IS6_EEEESI_S6_NSB_4plusIvEENSB_8equal_toIvEES6_EE10hipError_tPvRmT2_T3_T4_T5_mT6_T7_P12ihipStream_tbENKUlT_T0_E_clISt17integral_constantIbLb0EES12_IbLb1EEEEDaSY_SZ_EUlSY_E_NS1_11comp_targetILNS1_3genE10ELNS1_11target_archE1200ELNS1_3gpuE4ELNS1_3repE0EEENS1_30default_config_static_selectorELNS0_4arch9wavefront6targetE0EEEvT1_
; %bb.0:
	.section	.rodata,"a",@progbits
	.p2align	6, 0x0
	.amdhsa_kernel _ZN7rocprim17ROCPRIM_400000_NS6detail17trampoline_kernelINS0_14default_configENS1_27scan_by_key_config_selectorIj11FixedVectorIiLj4EEEEZZNS1_16scan_by_key_implILNS1_25lookback_scan_determinismE0ELb0ES3_N6thrust23THRUST_200600_302600_NS6detail15normal_iteratorINSB_10device_ptrIjEEEENSD_INSE_IS6_EEEESI_S6_NSB_4plusIvEENSB_8equal_toIvEES6_EE10hipError_tPvRmT2_T3_T4_T5_mT6_T7_P12ihipStream_tbENKUlT_T0_E_clISt17integral_constantIbLb0EES12_IbLb1EEEEDaSY_SZ_EUlSY_E_NS1_11comp_targetILNS1_3genE10ELNS1_11target_archE1200ELNS1_3gpuE4ELNS1_3repE0EEENS1_30default_config_static_selectorELNS0_4arch9wavefront6targetE0EEEvT1_
		.amdhsa_group_segment_fixed_size 0
		.amdhsa_private_segment_fixed_size 0
		.amdhsa_kernarg_size 144
		.amdhsa_user_sgpr_count 2
		.amdhsa_user_sgpr_dispatch_ptr 0
		.amdhsa_user_sgpr_queue_ptr 0
		.amdhsa_user_sgpr_kernarg_segment_ptr 1
		.amdhsa_user_sgpr_dispatch_id 0
		.amdhsa_user_sgpr_kernarg_preload_length 0
		.amdhsa_user_sgpr_kernarg_preload_offset 0
		.amdhsa_user_sgpr_private_segment_size 0
		.amdhsa_wavefront_size32 1
		.amdhsa_uses_dynamic_stack 0
		.amdhsa_enable_private_segment 0
		.amdhsa_system_sgpr_workgroup_id_x 1
		.amdhsa_system_sgpr_workgroup_id_y 0
		.amdhsa_system_sgpr_workgroup_id_z 0
		.amdhsa_system_sgpr_workgroup_info 0
		.amdhsa_system_vgpr_workitem_id 0
		.amdhsa_next_free_vgpr 1
		.amdhsa_next_free_sgpr 1
		.amdhsa_named_barrier_count 0
		.amdhsa_reserve_vcc 0
		.amdhsa_float_round_mode_32 0
		.amdhsa_float_round_mode_16_64 0
		.amdhsa_float_denorm_mode_32 3
		.amdhsa_float_denorm_mode_16_64 3
		.amdhsa_fp16_overflow 0
		.amdhsa_memory_ordered 1
		.amdhsa_forward_progress 1
		.amdhsa_inst_pref_size 0
		.amdhsa_round_robin_scheduling 0
		.amdhsa_exception_fp_ieee_invalid_op 0
		.amdhsa_exception_fp_denorm_src 0
		.amdhsa_exception_fp_ieee_div_zero 0
		.amdhsa_exception_fp_ieee_overflow 0
		.amdhsa_exception_fp_ieee_underflow 0
		.amdhsa_exception_fp_ieee_inexact 0
		.amdhsa_exception_int_div_zero 0
	.end_amdhsa_kernel
	.section	.text._ZN7rocprim17ROCPRIM_400000_NS6detail17trampoline_kernelINS0_14default_configENS1_27scan_by_key_config_selectorIj11FixedVectorIiLj4EEEEZZNS1_16scan_by_key_implILNS1_25lookback_scan_determinismE0ELb0ES3_N6thrust23THRUST_200600_302600_NS6detail15normal_iteratorINSB_10device_ptrIjEEEENSD_INSE_IS6_EEEESI_S6_NSB_4plusIvEENSB_8equal_toIvEES6_EE10hipError_tPvRmT2_T3_T4_T5_mT6_T7_P12ihipStream_tbENKUlT_T0_E_clISt17integral_constantIbLb0EES12_IbLb1EEEEDaSY_SZ_EUlSY_E_NS1_11comp_targetILNS1_3genE10ELNS1_11target_archE1200ELNS1_3gpuE4ELNS1_3repE0EEENS1_30default_config_static_selectorELNS0_4arch9wavefront6targetE0EEEvT1_,"axG",@progbits,_ZN7rocprim17ROCPRIM_400000_NS6detail17trampoline_kernelINS0_14default_configENS1_27scan_by_key_config_selectorIj11FixedVectorIiLj4EEEEZZNS1_16scan_by_key_implILNS1_25lookback_scan_determinismE0ELb0ES3_N6thrust23THRUST_200600_302600_NS6detail15normal_iteratorINSB_10device_ptrIjEEEENSD_INSE_IS6_EEEESI_S6_NSB_4plusIvEENSB_8equal_toIvEES6_EE10hipError_tPvRmT2_T3_T4_T5_mT6_T7_P12ihipStream_tbENKUlT_T0_E_clISt17integral_constantIbLb0EES12_IbLb1EEEEDaSY_SZ_EUlSY_E_NS1_11comp_targetILNS1_3genE10ELNS1_11target_archE1200ELNS1_3gpuE4ELNS1_3repE0EEENS1_30default_config_static_selectorELNS0_4arch9wavefront6targetE0EEEvT1_,comdat
.Lfunc_end2072:
	.size	_ZN7rocprim17ROCPRIM_400000_NS6detail17trampoline_kernelINS0_14default_configENS1_27scan_by_key_config_selectorIj11FixedVectorIiLj4EEEEZZNS1_16scan_by_key_implILNS1_25lookback_scan_determinismE0ELb0ES3_N6thrust23THRUST_200600_302600_NS6detail15normal_iteratorINSB_10device_ptrIjEEEENSD_INSE_IS6_EEEESI_S6_NSB_4plusIvEENSB_8equal_toIvEES6_EE10hipError_tPvRmT2_T3_T4_T5_mT6_T7_P12ihipStream_tbENKUlT_T0_E_clISt17integral_constantIbLb0EES12_IbLb1EEEEDaSY_SZ_EUlSY_E_NS1_11comp_targetILNS1_3genE10ELNS1_11target_archE1200ELNS1_3gpuE4ELNS1_3repE0EEENS1_30default_config_static_selectorELNS0_4arch9wavefront6targetE0EEEvT1_, .Lfunc_end2072-_ZN7rocprim17ROCPRIM_400000_NS6detail17trampoline_kernelINS0_14default_configENS1_27scan_by_key_config_selectorIj11FixedVectorIiLj4EEEEZZNS1_16scan_by_key_implILNS1_25lookback_scan_determinismE0ELb0ES3_N6thrust23THRUST_200600_302600_NS6detail15normal_iteratorINSB_10device_ptrIjEEEENSD_INSE_IS6_EEEESI_S6_NSB_4plusIvEENSB_8equal_toIvEES6_EE10hipError_tPvRmT2_T3_T4_T5_mT6_T7_P12ihipStream_tbENKUlT_T0_E_clISt17integral_constantIbLb0EES12_IbLb1EEEEDaSY_SZ_EUlSY_E_NS1_11comp_targetILNS1_3genE10ELNS1_11target_archE1200ELNS1_3gpuE4ELNS1_3repE0EEENS1_30default_config_static_selectorELNS0_4arch9wavefront6targetE0EEEvT1_
                                        ; -- End function
	.set _ZN7rocprim17ROCPRIM_400000_NS6detail17trampoline_kernelINS0_14default_configENS1_27scan_by_key_config_selectorIj11FixedVectorIiLj4EEEEZZNS1_16scan_by_key_implILNS1_25lookback_scan_determinismE0ELb0ES3_N6thrust23THRUST_200600_302600_NS6detail15normal_iteratorINSB_10device_ptrIjEEEENSD_INSE_IS6_EEEESI_S6_NSB_4plusIvEENSB_8equal_toIvEES6_EE10hipError_tPvRmT2_T3_T4_T5_mT6_T7_P12ihipStream_tbENKUlT_T0_E_clISt17integral_constantIbLb0EES12_IbLb1EEEEDaSY_SZ_EUlSY_E_NS1_11comp_targetILNS1_3genE10ELNS1_11target_archE1200ELNS1_3gpuE4ELNS1_3repE0EEENS1_30default_config_static_selectorELNS0_4arch9wavefront6targetE0EEEvT1_.num_vgpr, 0
	.set _ZN7rocprim17ROCPRIM_400000_NS6detail17trampoline_kernelINS0_14default_configENS1_27scan_by_key_config_selectorIj11FixedVectorIiLj4EEEEZZNS1_16scan_by_key_implILNS1_25lookback_scan_determinismE0ELb0ES3_N6thrust23THRUST_200600_302600_NS6detail15normal_iteratorINSB_10device_ptrIjEEEENSD_INSE_IS6_EEEESI_S6_NSB_4plusIvEENSB_8equal_toIvEES6_EE10hipError_tPvRmT2_T3_T4_T5_mT6_T7_P12ihipStream_tbENKUlT_T0_E_clISt17integral_constantIbLb0EES12_IbLb1EEEEDaSY_SZ_EUlSY_E_NS1_11comp_targetILNS1_3genE10ELNS1_11target_archE1200ELNS1_3gpuE4ELNS1_3repE0EEENS1_30default_config_static_selectorELNS0_4arch9wavefront6targetE0EEEvT1_.num_agpr, 0
	.set _ZN7rocprim17ROCPRIM_400000_NS6detail17trampoline_kernelINS0_14default_configENS1_27scan_by_key_config_selectorIj11FixedVectorIiLj4EEEEZZNS1_16scan_by_key_implILNS1_25lookback_scan_determinismE0ELb0ES3_N6thrust23THRUST_200600_302600_NS6detail15normal_iteratorINSB_10device_ptrIjEEEENSD_INSE_IS6_EEEESI_S6_NSB_4plusIvEENSB_8equal_toIvEES6_EE10hipError_tPvRmT2_T3_T4_T5_mT6_T7_P12ihipStream_tbENKUlT_T0_E_clISt17integral_constantIbLb0EES12_IbLb1EEEEDaSY_SZ_EUlSY_E_NS1_11comp_targetILNS1_3genE10ELNS1_11target_archE1200ELNS1_3gpuE4ELNS1_3repE0EEENS1_30default_config_static_selectorELNS0_4arch9wavefront6targetE0EEEvT1_.numbered_sgpr, 0
	.set _ZN7rocprim17ROCPRIM_400000_NS6detail17trampoline_kernelINS0_14default_configENS1_27scan_by_key_config_selectorIj11FixedVectorIiLj4EEEEZZNS1_16scan_by_key_implILNS1_25lookback_scan_determinismE0ELb0ES3_N6thrust23THRUST_200600_302600_NS6detail15normal_iteratorINSB_10device_ptrIjEEEENSD_INSE_IS6_EEEESI_S6_NSB_4plusIvEENSB_8equal_toIvEES6_EE10hipError_tPvRmT2_T3_T4_T5_mT6_T7_P12ihipStream_tbENKUlT_T0_E_clISt17integral_constantIbLb0EES12_IbLb1EEEEDaSY_SZ_EUlSY_E_NS1_11comp_targetILNS1_3genE10ELNS1_11target_archE1200ELNS1_3gpuE4ELNS1_3repE0EEENS1_30default_config_static_selectorELNS0_4arch9wavefront6targetE0EEEvT1_.num_named_barrier, 0
	.set _ZN7rocprim17ROCPRIM_400000_NS6detail17trampoline_kernelINS0_14default_configENS1_27scan_by_key_config_selectorIj11FixedVectorIiLj4EEEEZZNS1_16scan_by_key_implILNS1_25lookback_scan_determinismE0ELb0ES3_N6thrust23THRUST_200600_302600_NS6detail15normal_iteratorINSB_10device_ptrIjEEEENSD_INSE_IS6_EEEESI_S6_NSB_4plusIvEENSB_8equal_toIvEES6_EE10hipError_tPvRmT2_T3_T4_T5_mT6_T7_P12ihipStream_tbENKUlT_T0_E_clISt17integral_constantIbLb0EES12_IbLb1EEEEDaSY_SZ_EUlSY_E_NS1_11comp_targetILNS1_3genE10ELNS1_11target_archE1200ELNS1_3gpuE4ELNS1_3repE0EEENS1_30default_config_static_selectorELNS0_4arch9wavefront6targetE0EEEvT1_.private_seg_size, 0
	.set _ZN7rocprim17ROCPRIM_400000_NS6detail17trampoline_kernelINS0_14default_configENS1_27scan_by_key_config_selectorIj11FixedVectorIiLj4EEEEZZNS1_16scan_by_key_implILNS1_25lookback_scan_determinismE0ELb0ES3_N6thrust23THRUST_200600_302600_NS6detail15normal_iteratorINSB_10device_ptrIjEEEENSD_INSE_IS6_EEEESI_S6_NSB_4plusIvEENSB_8equal_toIvEES6_EE10hipError_tPvRmT2_T3_T4_T5_mT6_T7_P12ihipStream_tbENKUlT_T0_E_clISt17integral_constantIbLb0EES12_IbLb1EEEEDaSY_SZ_EUlSY_E_NS1_11comp_targetILNS1_3genE10ELNS1_11target_archE1200ELNS1_3gpuE4ELNS1_3repE0EEENS1_30default_config_static_selectorELNS0_4arch9wavefront6targetE0EEEvT1_.uses_vcc, 0
	.set _ZN7rocprim17ROCPRIM_400000_NS6detail17trampoline_kernelINS0_14default_configENS1_27scan_by_key_config_selectorIj11FixedVectorIiLj4EEEEZZNS1_16scan_by_key_implILNS1_25lookback_scan_determinismE0ELb0ES3_N6thrust23THRUST_200600_302600_NS6detail15normal_iteratorINSB_10device_ptrIjEEEENSD_INSE_IS6_EEEESI_S6_NSB_4plusIvEENSB_8equal_toIvEES6_EE10hipError_tPvRmT2_T3_T4_T5_mT6_T7_P12ihipStream_tbENKUlT_T0_E_clISt17integral_constantIbLb0EES12_IbLb1EEEEDaSY_SZ_EUlSY_E_NS1_11comp_targetILNS1_3genE10ELNS1_11target_archE1200ELNS1_3gpuE4ELNS1_3repE0EEENS1_30default_config_static_selectorELNS0_4arch9wavefront6targetE0EEEvT1_.uses_flat_scratch, 0
	.set _ZN7rocprim17ROCPRIM_400000_NS6detail17trampoline_kernelINS0_14default_configENS1_27scan_by_key_config_selectorIj11FixedVectorIiLj4EEEEZZNS1_16scan_by_key_implILNS1_25lookback_scan_determinismE0ELb0ES3_N6thrust23THRUST_200600_302600_NS6detail15normal_iteratorINSB_10device_ptrIjEEEENSD_INSE_IS6_EEEESI_S6_NSB_4plusIvEENSB_8equal_toIvEES6_EE10hipError_tPvRmT2_T3_T4_T5_mT6_T7_P12ihipStream_tbENKUlT_T0_E_clISt17integral_constantIbLb0EES12_IbLb1EEEEDaSY_SZ_EUlSY_E_NS1_11comp_targetILNS1_3genE10ELNS1_11target_archE1200ELNS1_3gpuE4ELNS1_3repE0EEENS1_30default_config_static_selectorELNS0_4arch9wavefront6targetE0EEEvT1_.has_dyn_sized_stack, 0
	.set _ZN7rocprim17ROCPRIM_400000_NS6detail17trampoline_kernelINS0_14default_configENS1_27scan_by_key_config_selectorIj11FixedVectorIiLj4EEEEZZNS1_16scan_by_key_implILNS1_25lookback_scan_determinismE0ELb0ES3_N6thrust23THRUST_200600_302600_NS6detail15normal_iteratorINSB_10device_ptrIjEEEENSD_INSE_IS6_EEEESI_S6_NSB_4plusIvEENSB_8equal_toIvEES6_EE10hipError_tPvRmT2_T3_T4_T5_mT6_T7_P12ihipStream_tbENKUlT_T0_E_clISt17integral_constantIbLb0EES12_IbLb1EEEEDaSY_SZ_EUlSY_E_NS1_11comp_targetILNS1_3genE10ELNS1_11target_archE1200ELNS1_3gpuE4ELNS1_3repE0EEENS1_30default_config_static_selectorELNS0_4arch9wavefront6targetE0EEEvT1_.has_recursion, 0
	.set _ZN7rocprim17ROCPRIM_400000_NS6detail17trampoline_kernelINS0_14default_configENS1_27scan_by_key_config_selectorIj11FixedVectorIiLj4EEEEZZNS1_16scan_by_key_implILNS1_25lookback_scan_determinismE0ELb0ES3_N6thrust23THRUST_200600_302600_NS6detail15normal_iteratorINSB_10device_ptrIjEEEENSD_INSE_IS6_EEEESI_S6_NSB_4plusIvEENSB_8equal_toIvEES6_EE10hipError_tPvRmT2_T3_T4_T5_mT6_T7_P12ihipStream_tbENKUlT_T0_E_clISt17integral_constantIbLb0EES12_IbLb1EEEEDaSY_SZ_EUlSY_E_NS1_11comp_targetILNS1_3genE10ELNS1_11target_archE1200ELNS1_3gpuE4ELNS1_3repE0EEENS1_30default_config_static_selectorELNS0_4arch9wavefront6targetE0EEEvT1_.has_indirect_call, 0
	.section	.AMDGPU.csdata,"",@progbits
; Kernel info:
; codeLenInByte = 0
; TotalNumSgprs: 0
; NumVgprs: 0
; ScratchSize: 0
; MemoryBound: 0
; FloatMode: 240
; IeeeMode: 1
; LDSByteSize: 0 bytes/workgroup (compile time only)
; SGPRBlocks: 0
; VGPRBlocks: 0
; NumSGPRsForWavesPerEU: 1
; NumVGPRsForWavesPerEU: 1
; NamedBarCnt: 0
; Occupancy: 16
; WaveLimiterHint : 0
; COMPUTE_PGM_RSRC2:SCRATCH_EN: 0
; COMPUTE_PGM_RSRC2:USER_SGPR: 2
; COMPUTE_PGM_RSRC2:TRAP_HANDLER: 0
; COMPUTE_PGM_RSRC2:TGID_X_EN: 1
; COMPUTE_PGM_RSRC2:TGID_Y_EN: 0
; COMPUTE_PGM_RSRC2:TGID_Z_EN: 0
; COMPUTE_PGM_RSRC2:TIDIG_COMP_CNT: 0
	.section	.text._ZN7rocprim17ROCPRIM_400000_NS6detail17trampoline_kernelINS0_14default_configENS1_27scan_by_key_config_selectorIj11FixedVectorIiLj4EEEEZZNS1_16scan_by_key_implILNS1_25lookback_scan_determinismE0ELb0ES3_N6thrust23THRUST_200600_302600_NS6detail15normal_iteratorINSB_10device_ptrIjEEEENSD_INSE_IS6_EEEESI_S6_NSB_4plusIvEENSB_8equal_toIvEES6_EE10hipError_tPvRmT2_T3_T4_T5_mT6_T7_P12ihipStream_tbENKUlT_T0_E_clISt17integral_constantIbLb0EES12_IbLb1EEEEDaSY_SZ_EUlSY_E_NS1_11comp_targetILNS1_3genE9ELNS1_11target_archE1100ELNS1_3gpuE3ELNS1_3repE0EEENS1_30default_config_static_selectorELNS0_4arch9wavefront6targetE0EEEvT1_,"axG",@progbits,_ZN7rocprim17ROCPRIM_400000_NS6detail17trampoline_kernelINS0_14default_configENS1_27scan_by_key_config_selectorIj11FixedVectorIiLj4EEEEZZNS1_16scan_by_key_implILNS1_25lookback_scan_determinismE0ELb0ES3_N6thrust23THRUST_200600_302600_NS6detail15normal_iteratorINSB_10device_ptrIjEEEENSD_INSE_IS6_EEEESI_S6_NSB_4plusIvEENSB_8equal_toIvEES6_EE10hipError_tPvRmT2_T3_T4_T5_mT6_T7_P12ihipStream_tbENKUlT_T0_E_clISt17integral_constantIbLb0EES12_IbLb1EEEEDaSY_SZ_EUlSY_E_NS1_11comp_targetILNS1_3genE9ELNS1_11target_archE1100ELNS1_3gpuE3ELNS1_3repE0EEENS1_30default_config_static_selectorELNS0_4arch9wavefront6targetE0EEEvT1_,comdat
	.protected	_ZN7rocprim17ROCPRIM_400000_NS6detail17trampoline_kernelINS0_14default_configENS1_27scan_by_key_config_selectorIj11FixedVectorIiLj4EEEEZZNS1_16scan_by_key_implILNS1_25lookback_scan_determinismE0ELb0ES3_N6thrust23THRUST_200600_302600_NS6detail15normal_iteratorINSB_10device_ptrIjEEEENSD_INSE_IS6_EEEESI_S6_NSB_4plusIvEENSB_8equal_toIvEES6_EE10hipError_tPvRmT2_T3_T4_T5_mT6_T7_P12ihipStream_tbENKUlT_T0_E_clISt17integral_constantIbLb0EES12_IbLb1EEEEDaSY_SZ_EUlSY_E_NS1_11comp_targetILNS1_3genE9ELNS1_11target_archE1100ELNS1_3gpuE3ELNS1_3repE0EEENS1_30default_config_static_selectorELNS0_4arch9wavefront6targetE0EEEvT1_ ; -- Begin function _ZN7rocprim17ROCPRIM_400000_NS6detail17trampoline_kernelINS0_14default_configENS1_27scan_by_key_config_selectorIj11FixedVectorIiLj4EEEEZZNS1_16scan_by_key_implILNS1_25lookback_scan_determinismE0ELb0ES3_N6thrust23THRUST_200600_302600_NS6detail15normal_iteratorINSB_10device_ptrIjEEEENSD_INSE_IS6_EEEESI_S6_NSB_4plusIvEENSB_8equal_toIvEES6_EE10hipError_tPvRmT2_T3_T4_T5_mT6_T7_P12ihipStream_tbENKUlT_T0_E_clISt17integral_constantIbLb0EES12_IbLb1EEEEDaSY_SZ_EUlSY_E_NS1_11comp_targetILNS1_3genE9ELNS1_11target_archE1100ELNS1_3gpuE3ELNS1_3repE0EEENS1_30default_config_static_selectorELNS0_4arch9wavefront6targetE0EEEvT1_
	.globl	_ZN7rocprim17ROCPRIM_400000_NS6detail17trampoline_kernelINS0_14default_configENS1_27scan_by_key_config_selectorIj11FixedVectorIiLj4EEEEZZNS1_16scan_by_key_implILNS1_25lookback_scan_determinismE0ELb0ES3_N6thrust23THRUST_200600_302600_NS6detail15normal_iteratorINSB_10device_ptrIjEEEENSD_INSE_IS6_EEEESI_S6_NSB_4plusIvEENSB_8equal_toIvEES6_EE10hipError_tPvRmT2_T3_T4_T5_mT6_T7_P12ihipStream_tbENKUlT_T0_E_clISt17integral_constantIbLb0EES12_IbLb1EEEEDaSY_SZ_EUlSY_E_NS1_11comp_targetILNS1_3genE9ELNS1_11target_archE1100ELNS1_3gpuE3ELNS1_3repE0EEENS1_30default_config_static_selectorELNS0_4arch9wavefront6targetE0EEEvT1_
	.p2align	8
	.type	_ZN7rocprim17ROCPRIM_400000_NS6detail17trampoline_kernelINS0_14default_configENS1_27scan_by_key_config_selectorIj11FixedVectorIiLj4EEEEZZNS1_16scan_by_key_implILNS1_25lookback_scan_determinismE0ELb0ES3_N6thrust23THRUST_200600_302600_NS6detail15normal_iteratorINSB_10device_ptrIjEEEENSD_INSE_IS6_EEEESI_S6_NSB_4plusIvEENSB_8equal_toIvEES6_EE10hipError_tPvRmT2_T3_T4_T5_mT6_T7_P12ihipStream_tbENKUlT_T0_E_clISt17integral_constantIbLb0EES12_IbLb1EEEEDaSY_SZ_EUlSY_E_NS1_11comp_targetILNS1_3genE9ELNS1_11target_archE1100ELNS1_3gpuE3ELNS1_3repE0EEENS1_30default_config_static_selectorELNS0_4arch9wavefront6targetE0EEEvT1_,@function
_ZN7rocprim17ROCPRIM_400000_NS6detail17trampoline_kernelINS0_14default_configENS1_27scan_by_key_config_selectorIj11FixedVectorIiLj4EEEEZZNS1_16scan_by_key_implILNS1_25lookback_scan_determinismE0ELb0ES3_N6thrust23THRUST_200600_302600_NS6detail15normal_iteratorINSB_10device_ptrIjEEEENSD_INSE_IS6_EEEESI_S6_NSB_4plusIvEENSB_8equal_toIvEES6_EE10hipError_tPvRmT2_T3_T4_T5_mT6_T7_P12ihipStream_tbENKUlT_T0_E_clISt17integral_constantIbLb0EES12_IbLb1EEEEDaSY_SZ_EUlSY_E_NS1_11comp_targetILNS1_3genE9ELNS1_11target_archE1100ELNS1_3gpuE3ELNS1_3repE0EEENS1_30default_config_static_selectorELNS0_4arch9wavefront6targetE0EEEvT1_: ; @_ZN7rocprim17ROCPRIM_400000_NS6detail17trampoline_kernelINS0_14default_configENS1_27scan_by_key_config_selectorIj11FixedVectorIiLj4EEEEZZNS1_16scan_by_key_implILNS1_25lookback_scan_determinismE0ELb0ES3_N6thrust23THRUST_200600_302600_NS6detail15normal_iteratorINSB_10device_ptrIjEEEENSD_INSE_IS6_EEEESI_S6_NSB_4plusIvEENSB_8equal_toIvEES6_EE10hipError_tPvRmT2_T3_T4_T5_mT6_T7_P12ihipStream_tbENKUlT_T0_E_clISt17integral_constantIbLb0EES12_IbLb1EEEEDaSY_SZ_EUlSY_E_NS1_11comp_targetILNS1_3genE9ELNS1_11target_archE1100ELNS1_3gpuE3ELNS1_3repE0EEENS1_30default_config_static_selectorELNS0_4arch9wavefront6targetE0EEEvT1_
; %bb.0:
	.section	.rodata,"a",@progbits
	.p2align	6, 0x0
	.amdhsa_kernel _ZN7rocprim17ROCPRIM_400000_NS6detail17trampoline_kernelINS0_14default_configENS1_27scan_by_key_config_selectorIj11FixedVectorIiLj4EEEEZZNS1_16scan_by_key_implILNS1_25lookback_scan_determinismE0ELb0ES3_N6thrust23THRUST_200600_302600_NS6detail15normal_iteratorINSB_10device_ptrIjEEEENSD_INSE_IS6_EEEESI_S6_NSB_4plusIvEENSB_8equal_toIvEES6_EE10hipError_tPvRmT2_T3_T4_T5_mT6_T7_P12ihipStream_tbENKUlT_T0_E_clISt17integral_constantIbLb0EES12_IbLb1EEEEDaSY_SZ_EUlSY_E_NS1_11comp_targetILNS1_3genE9ELNS1_11target_archE1100ELNS1_3gpuE3ELNS1_3repE0EEENS1_30default_config_static_selectorELNS0_4arch9wavefront6targetE0EEEvT1_
		.amdhsa_group_segment_fixed_size 0
		.amdhsa_private_segment_fixed_size 0
		.amdhsa_kernarg_size 144
		.amdhsa_user_sgpr_count 2
		.amdhsa_user_sgpr_dispatch_ptr 0
		.amdhsa_user_sgpr_queue_ptr 0
		.amdhsa_user_sgpr_kernarg_segment_ptr 1
		.amdhsa_user_sgpr_dispatch_id 0
		.amdhsa_user_sgpr_kernarg_preload_length 0
		.amdhsa_user_sgpr_kernarg_preload_offset 0
		.amdhsa_user_sgpr_private_segment_size 0
		.amdhsa_wavefront_size32 1
		.amdhsa_uses_dynamic_stack 0
		.amdhsa_enable_private_segment 0
		.amdhsa_system_sgpr_workgroup_id_x 1
		.amdhsa_system_sgpr_workgroup_id_y 0
		.amdhsa_system_sgpr_workgroup_id_z 0
		.amdhsa_system_sgpr_workgroup_info 0
		.amdhsa_system_vgpr_workitem_id 0
		.amdhsa_next_free_vgpr 1
		.amdhsa_next_free_sgpr 1
		.amdhsa_named_barrier_count 0
		.amdhsa_reserve_vcc 0
		.amdhsa_float_round_mode_32 0
		.amdhsa_float_round_mode_16_64 0
		.amdhsa_float_denorm_mode_32 3
		.amdhsa_float_denorm_mode_16_64 3
		.amdhsa_fp16_overflow 0
		.amdhsa_memory_ordered 1
		.amdhsa_forward_progress 1
		.amdhsa_inst_pref_size 0
		.amdhsa_round_robin_scheduling 0
		.amdhsa_exception_fp_ieee_invalid_op 0
		.amdhsa_exception_fp_denorm_src 0
		.amdhsa_exception_fp_ieee_div_zero 0
		.amdhsa_exception_fp_ieee_overflow 0
		.amdhsa_exception_fp_ieee_underflow 0
		.amdhsa_exception_fp_ieee_inexact 0
		.amdhsa_exception_int_div_zero 0
	.end_amdhsa_kernel
	.section	.text._ZN7rocprim17ROCPRIM_400000_NS6detail17trampoline_kernelINS0_14default_configENS1_27scan_by_key_config_selectorIj11FixedVectorIiLj4EEEEZZNS1_16scan_by_key_implILNS1_25lookback_scan_determinismE0ELb0ES3_N6thrust23THRUST_200600_302600_NS6detail15normal_iteratorINSB_10device_ptrIjEEEENSD_INSE_IS6_EEEESI_S6_NSB_4plusIvEENSB_8equal_toIvEES6_EE10hipError_tPvRmT2_T3_T4_T5_mT6_T7_P12ihipStream_tbENKUlT_T0_E_clISt17integral_constantIbLb0EES12_IbLb1EEEEDaSY_SZ_EUlSY_E_NS1_11comp_targetILNS1_3genE9ELNS1_11target_archE1100ELNS1_3gpuE3ELNS1_3repE0EEENS1_30default_config_static_selectorELNS0_4arch9wavefront6targetE0EEEvT1_,"axG",@progbits,_ZN7rocprim17ROCPRIM_400000_NS6detail17trampoline_kernelINS0_14default_configENS1_27scan_by_key_config_selectorIj11FixedVectorIiLj4EEEEZZNS1_16scan_by_key_implILNS1_25lookback_scan_determinismE0ELb0ES3_N6thrust23THRUST_200600_302600_NS6detail15normal_iteratorINSB_10device_ptrIjEEEENSD_INSE_IS6_EEEESI_S6_NSB_4plusIvEENSB_8equal_toIvEES6_EE10hipError_tPvRmT2_T3_T4_T5_mT6_T7_P12ihipStream_tbENKUlT_T0_E_clISt17integral_constantIbLb0EES12_IbLb1EEEEDaSY_SZ_EUlSY_E_NS1_11comp_targetILNS1_3genE9ELNS1_11target_archE1100ELNS1_3gpuE3ELNS1_3repE0EEENS1_30default_config_static_selectorELNS0_4arch9wavefront6targetE0EEEvT1_,comdat
.Lfunc_end2073:
	.size	_ZN7rocprim17ROCPRIM_400000_NS6detail17trampoline_kernelINS0_14default_configENS1_27scan_by_key_config_selectorIj11FixedVectorIiLj4EEEEZZNS1_16scan_by_key_implILNS1_25lookback_scan_determinismE0ELb0ES3_N6thrust23THRUST_200600_302600_NS6detail15normal_iteratorINSB_10device_ptrIjEEEENSD_INSE_IS6_EEEESI_S6_NSB_4plusIvEENSB_8equal_toIvEES6_EE10hipError_tPvRmT2_T3_T4_T5_mT6_T7_P12ihipStream_tbENKUlT_T0_E_clISt17integral_constantIbLb0EES12_IbLb1EEEEDaSY_SZ_EUlSY_E_NS1_11comp_targetILNS1_3genE9ELNS1_11target_archE1100ELNS1_3gpuE3ELNS1_3repE0EEENS1_30default_config_static_selectorELNS0_4arch9wavefront6targetE0EEEvT1_, .Lfunc_end2073-_ZN7rocprim17ROCPRIM_400000_NS6detail17trampoline_kernelINS0_14default_configENS1_27scan_by_key_config_selectorIj11FixedVectorIiLj4EEEEZZNS1_16scan_by_key_implILNS1_25lookback_scan_determinismE0ELb0ES3_N6thrust23THRUST_200600_302600_NS6detail15normal_iteratorINSB_10device_ptrIjEEEENSD_INSE_IS6_EEEESI_S6_NSB_4plusIvEENSB_8equal_toIvEES6_EE10hipError_tPvRmT2_T3_T4_T5_mT6_T7_P12ihipStream_tbENKUlT_T0_E_clISt17integral_constantIbLb0EES12_IbLb1EEEEDaSY_SZ_EUlSY_E_NS1_11comp_targetILNS1_3genE9ELNS1_11target_archE1100ELNS1_3gpuE3ELNS1_3repE0EEENS1_30default_config_static_selectorELNS0_4arch9wavefront6targetE0EEEvT1_
                                        ; -- End function
	.set _ZN7rocprim17ROCPRIM_400000_NS6detail17trampoline_kernelINS0_14default_configENS1_27scan_by_key_config_selectorIj11FixedVectorIiLj4EEEEZZNS1_16scan_by_key_implILNS1_25lookback_scan_determinismE0ELb0ES3_N6thrust23THRUST_200600_302600_NS6detail15normal_iteratorINSB_10device_ptrIjEEEENSD_INSE_IS6_EEEESI_S6_NSB_4plusIvEENSB_8equal_toIvEES6_EE10hipError_tPvRmT2_T3_T4_T5_mT6_T7_P12ihipStream_tbENKUlT_T0_E_clISt17integral_constantIbLb0EES12_IbLb1EEEEDaSY_SZ_EUlSY_E_NS1_11comp_targetILNS1_3genE9ELNS1_11target_archE1100ELNS1_3gpuE3ELNS1_3repE0EEENS1_30default_config_static_selectorELNS0_4arch9wavefront6targetE0EEEvT1_.num_vgpr, 0
	.set _ZN7rocprim17ROCPRIM_400000_NS6detail17trampoline_kernelINS0_14default_configENS1_27scan_by_key_config_selectorIj11FixedVectorIiLj4EEEEZZNS1_16scan_by_key_implILNS1_25lookback_scan_determinismE0ELb0ES3_N6thrust23THRUST_200600_302600_NS6detail15normal_iteratorINSB_10device_ptrIjEEEENSD_INSE_IS6_EEEESI_S6_NSB_4plusIvEENSB_8equal_toIvEES6_EE10hipError_tPvRmT2_T3_T4_T5_mT6_T7_P12ihipStream_tbENKUlT_T0_E_clISt17integral_constantIbLb0EES12_IbLb1EEEEDaSY_SZ_EUlSY_E_NS1_11comp_targetILNS1_3genE9ELNS1_11target_archE1100ELNS1_3gpuE3ELNS1_3repE0EEENS1_30default_config_static_selectorELNS0_4arch9wavefront6targetE0EEEvT1_.num_agpr, 0
	.set _ZN7rocprim17ROCPRIM_400000_NS6detail17trampoline_kernelINS0_14default_configENS1_27scan_by_key_config_selectorIj11FixedVectorIiLj4EEEEZZNS1_16scan_by_key_implILNS1_25lookback_scan_determinismE0ELb0ES3_N6thrust23THRUST_200600_302600_NS6detail15normal_iteratorINSB_10device_ptrIjEEEENSD_INSE_IS6_EEEESI_S6_NSB_4plusIvEENSB_8equal_toIvEES6_EE10hipError_tPvRmT2_T3_T4_T5_mT6_T7_P12ihipStream_tbENKUlT_T0_E_clISt17integral_constantIbLb0EES12_IbLb1EEEEDaSY_SZ_EUlSY_E_NS1_11comp_targetILNS1_3genE9ELNS1_11target_archE1100ELNS1_3gpuE3ELNS1_3repE0EEENS1_30default_config_static_selectorELNS0_4arch9wavefront6targetE0EEEvT1_.numbered_sgpr, 0
	.set _ZN7rocprim17ROCPRIM_400000_NS6detail17trampoline_kernelINS0_14default_configENS1_27scan_by_key_config_selectorIj11FixedVectorIiLj4EEEEZZNS1_16scan_by_key_implILNS1_25lookback_scan_determinismE0ELb0ES3_N6thrust23THRUST_200600_302600_NS6detail15normal_iteratorINSB_10device_ptrIjEEEENSD_INSE_IS6_EEEESI_S6_NSB_4plusIvEENSB_8equal_toIvEES6_EE10hipError_tPvRmT2_T3_T4_T5_mT6_T7_P12ihipStream_tbENKUlT_T0_E_clISt17integral_constantIbLb0EES12_IbLb1EEEEDaSY_SZ_EUlSY_E_NS1_11comp_targetILNS1_3genE9ELNS1_11target_archE1100ELNS1_3gpuE3ELNS1_3repE0EEENS1_30default_config_static_selectorELNS0_4arch9wavefront6targetE0EEEvT1_.num_named_barrier, 0
	.set _ZN7rocprim17ROCPRIM_400000_NS6detail17trampoline_kernelINS0_14default_configENS1_27scan_by_key_config_selectorIj11FixedVectorIiLj4EEEEZZNS1_16scan_by_key_implILNS1_25lookback_scan_determinismE0ELb0ES3_N6thrust23THRUST_200600_302600_NS6detail15normal_iteratorINSB_10device_ptrIjEEEENSD_INSE_IS6_EEEESI_S6_NSB_4plusIvEENSB_8equal_toIvEES6_EE10hipError_tPvRmT2_T3_T4_T5_mT6_T7_P12ihipStream_tbENKUlT_T0_E_clISt17integral_constantIbLb0EES12_IbLb1EEEEDaSY_SZ_EUlSY_E_NS1_11comp_targetILNS1_3genE9ELNS1_11target_archE1100ELNS1_3gpuE3ELNS1_3repE0EEENS1_30default_config_static_selectorELNS0_4arch9wavefront6targetE0EEEvT1_.private_seg_size, 0
	.set _ZN7rocprim17ROCPRIM_400000_NS6detail17trampoline_kernelINS0_14default_configENS1_27scan_by_key_config_selectorIj11FixedVectorIiLj4EEEEZZNS1_16scan_by_key_implILNS1_25lookback_scan_determinismE0ELb0ES3_N6thrust23THRUST_200600_302600_NS6detail15normal_iteratorINSB_10device_ptrIjEEEENSD_INSE_IS6_EEEESI_S6_NSB_4plusIvEENSB_8equal_toIvEES6_EE10hipError_tPvRmT2_T3_T4_T5_mT6_T7_P12ihipStream_tbENKUlT_T0_E_clISt17integral_constantIbLb0EES12_IbLb1EEEEDaSY_SZ_EUlSY_E_NS1_11comp_targetILNS1_3genE9ELNS1_11target_archE1100ELNS1_3gpuE3ELNS1_3repE0EEENS1_30default_config_static_selectorELNS0_4arch9wavefront6targetE0EEEvT1_.uses_vcc, 0
	.set _ZN7rocprim17ROCPRIM_400000_NS6detail17trampoline_kernelINS0_14default_configENS1_27scan_by_key_config_selectorIj11FixedVectorIiLj4EEEEZZNS1_16scan_by_key_implILNS1_25lookback_scan_determinismE0ELb0ES3_N6thrust23THRUST_200600_302600_NS6detail15normal_iteratorINSB_10device_ptrIjEEEENSD_INSE_IS6_EEEESI_S6_NSB_4plusIvEENSB_8equal_toIvEES6_EE10hipError_tPvRmT2_T3_T4_T5_mT6_T7_P12ihipStream_tbENKUlT_T0_E_clISt17integral_constantIbLb0EES12_IbLb1EEEEDaSY_SZ_EUlSY_E_NS1_11comp_targetILNS1_3genE9ELNS1_11target_archE1100ELNS1_3gpuE3ELNS1_3repE0EEENS1_30default_config_static_selectorELNS0_4arch9wavefront6targetE0EEEvT1_.uses_flat_scratch, 0
	.set _ZN7rocprim17ROCPRIM_400000_NS6detail17trampoline_kernelINS0_14default_configENS1_27scan_by_key_config_selectorIj11FixedVectorIiLj4EEEEZZNS1_16scan_by_key_implILNS1_25lookback_scan_determinismE0ELb0ES3_N6thrust23THRUST_200600_302600_NS6detail15normal_iteratorINSB_10device_ptrIjEEEENSD_INSE_IS6_EEEESI_S6_NSB_4plusIvEENSB_8equal_toIvEES6_EE10hipError_tPvRmT2_T3_T4_T5_mT6_T7_P12ihipStream_tbENKUlT_T0_E_clISt17integral_constantIbLb0EES12_IbLb1EEEEDaSY_SZ_EUlSY_E_NS1_11comp_targetILNS1_3genE9ELNS1_11target_archE1100ELNS1_3gpuE3ELNS1_3repE0EEENS1_30default_config_static_selectorELNS0_4arch9wavefront6targetE0EEEvT1_.has_dyn_sized_stack, 0
	.set _ZN7rocprim17ROCPRIM_400000_NS6detail17trampoline_kernelINS0_14default_configENS1_27scan_by_key_config_selectorIj11FixedVectorIiLj4EEEEZZNS1_16scan_by_key_implILNS1_25lookback_scan_determinismE0ELb0ES3_N6thrust23THRUST_200600_302600_NS6detail15normal_iteratorINSB_10device_ptrIjEEEENSD_INSE_IS6_EEEESI_S6_NSB_4plusIvEENSB_8equal_toIvEES6_EE10hipError_tPvRmT2_T3_T4_T5_mT6_T7_P12ihipStream_tbENKUlT_T0_E_clISt17integral_constantIbLb0EES12_IbLb1EEEEDaSY_SZ_EUlSY_E_NS1_11comp_targetILNS1_3genE9ELNS1_11target_archE1100ELNS1_3gpuE3ELNS1_3repE0EEENS1_30default_config_static_selectorELNS0_4arch9wavefront6targetE0EEEvT1_.has_recursion, 0
	.set _ZN7rocprim17ROCPRIM_400000_NS6detail17trampoline_kernelINS0_14default_configENS1_27scan_by_key_config_selectorIj11FixedVectorIiLj4EEEEZZNS1_16scan_by_key_implILNS1_25lookback_scan_determinismE0ELb0ES3_N6thrust23THRUST_200600_302600_NS6detail15normal_iteratorINSB_10device_ptrIjEEEENSD_INSE_IS6_EEEESI_S6_NSB_4plusIvEENSB_8equal_toIvEES6_EE10hipError_tPvRmT2_T3_T4_T5_mT6_T7_P12ihipStream_tbENKUlT_T0_E_clISt17integral_constantIbLb0EES12_IbLb1EEEEDaSY_SZ_EUlSY_E_NS1_11comp_targetILNS1_3genE9ELNS1_11target_archE1100ELNS1_3gpuE3ELNS1_3repE0EEENS1_30default_config_static_selectorELNS0_4arch9wavefront6targetE0EEEvT1_.has_indirect_call, 0
	.section	.AMDGPU.csdata,"",@progbits
; Kernel info:
; codeLenInByte = 0
; TotalNumSgprs: 0
; NumVgprs: 0
; ScratchSize: 0
; MemoryBound: 0
; FloatMode: 240
; IeeeMode: 1
; LDSByteSize: 0 bytes/workgroup (compile time only)
; SGPRBlocks: 0
; VGPRBlocks: 0
; NumSGPRsForWavesPerEU: 1
; NumVGPRsForWavesPerEU: 1
; NamedBarCnt: 0
; Occupancy: 16
; WaveLimiterHint : 0
; COMPUTE_PGM_RSRC2:SCRATCH_EN: 0
; COMPUTE_PGM_RSRC2:USER_SGPR: 2
; COMPUTE_PGM_RSRC2:TRAP_HANDLER: 0
; COMPUTE_PGM_RSRC2:TGID_X_EN: 1
; COMPUTE_PGM_RSRC2:TGID_Y_EN: 0
; COMPUTE_PGM_RSRC2:TGID_Z_EN: 0
; COMPUTE_PGM_RSRC2:TIDIG_COMP_CNT: 0
	.section	.text._ZN7rocprim17ROCPRIM_400000_NS6detail17trampoline_kernelINS0_14default_configENS1_27scan_by_key_config_selectorIj11FixedVectorIiLj4EEEEZZNS1_16scan_by_key_implILNS1_25lookback_scan_determinismE0ELb0ES3_N6thrust23THRUST_200600_302600_NS6detail15normal_iteratorINSB_10device_ptrIjEEEENSD_INSE_IS6_EEEESI_S6_NSB_4plusIvEENSB_8equal_toIvEES6_EE10hipError_tPvRmT2_T3_T4_T5_mT6_T7_P12ihipStream_tbENKUlT_T0_E_clISt17integral_constantIbLb0EES12_IbLb1EEEEDaSY_SZ_EUlSY_E_NS1_11comp_targetILNS1_3genE8ELNS1_11target_archE1030ELNS1_3gpuE2ELNS1_3repE0EEENS1_30default_config_static_selectorELNS0_4arch9wavefront6targetE0EEEvT1_,"axG",@progbits,_ZN7rocprim17ROCPRIM_400000_NS6detail17trampoline_kernelINS0_14default_configENS1_27scan_by_key_config_selectorIj11FixedVectorIiLj4EEEEZZNS1_16scan_by_key_implILNS1_25lookback_scan_determinismE0ELb0ES3_N6thrust23THRUST_200600_302600_NS6detail15normal_iteratorINSB_10device_ptrIjEEEENSD_INSE_IS6_EEEESI_S6_NSB_4plusIvEENSB_8equal_toIvEES6_EE10hipError_tPvRmT2_T3_T4_T5_mT6_T7_P12ihipStream_tbENKUlT_T0_E_clISt17integral_constantIbLb0EES12_IbLb1EEEEDaSY_SZ_EUlSY_E_NS1_11comp_targetILNS1_3genE8ELNS1_11target_archE1030ELNS1_3gpuE2ELNS1_3repE0EEENS1_30default_config_static_selectorELNS0_4arch9wavefront6targetE0EEEvT1_,comdat
	.protected	_ZN7rocprim17ROCPRIM_400000_NS6detail17trampoline_kernelINS0_14default_configENS1_27scan_by_key_config_selectorIj11FixedVectorIiLj4EEEEZZNS1_16scan_by_key_implILNS1_25lookback_scan_determinismE0ELb0ES3_N6thrust23THRUST_200600_302600_NS6detail15normal_iteratorINSB_10device_ptrIjEEEENSD_INSE_IS6_EEEESI_S6_NSB_4plusIvEENSB_8equal_toIvEES6_EE10hipError_tPvRmT2_T3_T4_T5_mT6_T7_P12ihipStream_tbENKUlT_T0_E_clISt17integral_constantIbLb0EES12_IbLb1EEEEDaSY_SZ_EUlSY_E_NS1_11comp_targetILNS1_3genE8ELNS1_11target_archE1030ELNS1_3gpuE2ELNS1_3repE0EEENS1_30default_config_static_selectorELNS0_4arch9wavefront6targetE0EEEvT1_ ; -- Begin function _ZN7rocprim17ROCPRIM_400000_NS6detail17trampoline_kernelINS0_14default_configENS1_27scan_by_key_config_selectorIj11FixedVectorIiLj4EEEEZZNS1_16scan_by_key_implILNS1_25lookback_scan_determinismE0ELb0ES3_N6thrust23THRUST_200600_302600_NS6detail15normal_iteratorINSB_10device_ptrIjEEEENSD_INSE_IS6_EEEESI_S6_NSB_4plusIvEENSB_8equal_toIvEES6_EE10hipError_tPvRmT2_T3_T4_T5_mT6_T7_P12ihipStream_tbENKUlT_T0_E_clISt17integral_constantIbLb0EES12_IbLb1EEEEDaSY_SZ_EUlSY_E_NS1_11comp_targetILNS1_3genE8ELNS1_11target_archE1030ELNS1_3gpuE2ELNS1_3repE0EEENS1_30default_config_static_selectorELNS0_4arch9wavefront6targetE0EEEvT1_
	.globl	_ZN7rocprim17ROCPRIM_400000_NS6detail17trampoline_kernelINS0_14default_configENS1_27scan_by_key_config_selectorIj11FixedVectorIiLj4EEEEZZNS1_16scan_by_key_implILNS1_25lookback_scan_determinismE0ELb0ES3_N6thrust23THRUST_200600_302600_NS6detail15normal_iteratorINSB_10device_ptrIjEEEENSD_INSE_IS6_EEEESI_S6_NSB_4plusIvEENSB_8equal_toIvEES6_EE10hipError_tPvRmT2_T3_T4_T5_mT6_T7_P12ihipStream_tbENKUlT_T0_E_clISt17integral_constantIbLb0EES12_IbLb1EEEEDaSY_SZ_EUlSY_E_NS1_11comp_targetILNS1_3genE8ELNS1_11target_archE1030ELNS1_3gpuE2ELNS1_3repE0EEENS1_30default_config_static_selectorELNS0_4arch9wavefront6targetE0EEEvT1_
	.p2align	8
	.type	_ZN7rocprim17ROCPRIM_400000_NS6detail17trampoline_kernelINS0_14default_configENS1_27scan_by_key_config_selectorIj11FixedVectorIiLj4EEEEZZNS1_16scan_by_key_implILNS1_25lookback_scan_determinismE0ELb0ES3_N6thrust23THRUST_200600_302600_NS6detail15normal_iteratorINSB_10device_ptrIjEEEENSD_INSE_IS6_EEEESI_S6_NSB_4plusIvEENSB_8equal_toIvEES6_EE10hipError_tPvRmT2_T3_T4_T5_mT6_T7_P12ihipStream_tbENKUlT_T0_E_clISt17integral_constantIbLb0EES12_IbLb1EEEEDaSY_SZ_EUlSY_E_NS1_11comp_targetILNS1_3genE8ELNS1_11target_archE1030ELNS1_3gpuE2ELNS1_3repE0EEENS1_30default_config_static_selectorELNS0_4arch9wavefront6targetE0EEEvT1_,@function
_ZN7rocprim17ROCPRIM_400000_NS6detail17trampoline_kernelINS0_14default_configENS1_27scan_by_key_config_selectorIj11FixedVectorIiLj4EEEEZZNS1_16scan_by_key_implILNS1_25lookback_scan_determinismE0ELb0ES3_N6thrust23THRUST_200600_302600_NS6detail15normal_iteratorINSB_10device_ptrIjEEEENSD_INSE_IS6_EEEESI_S6_NSB_4plusIvEENSB_8equal_toIvEES6_EE10hipError_tPvRmT2_T3_T4_T5_mT6_T7_P12ihipStream_tbENKUlT_T0_E_clISt17integral_constantIbLb0EES12_IbLb1EEEEDaSY_SZ_EUlSY_E_NS1_11comp_targetILNS1_3genE8ELNS1_11target_archE1030ELNS1_3gpuE2ELNS1_3repE0EEENS1_30default_config_static_selectorELNS0_4arch9wavefront6targetE0EEEvT1_: ; @_ZN7rocprim17ROCPRIM_400000_NS6detail17trampoline_kernelINS0_14default_configENS1_27scan_by_key_config_selectorIj11FixedVectorIiLj4EEEEZZNS1_16scan_by_key_implILNS1_25lookback_scan_determinismE0ELb0ES3_N6thrust23THRUST_200600_302600_NS6detail15normal_iteratorINSB_10device_ptrIjEEEENSD_INSE_IS6_EEEESI_S6_NSB_4plusIvEENSB_8equal_toIvEES6_EE10hipError_tPvRmT2_T3_T4_T5_mT6_T7_P12ihipStream_tbENKUlT_T0_E_clISt17integral_constantIbLb0EES12_IbLb1EEEEDaSY_SZ_EUlSY_E_NS1_11comp_targetILNS1_3genE8ELNS1_11target_archE1030ELNS1_3gpuE2ELNS1_3repE0EEENS1_30default_config_static_selectorELNS0_4arch9wavefront6targetE0EEEvT1_
; %bb.0:
	.section	.rodata,"a",@progbits
	.p2align	6, 0x0
	.amdhsa_kernel _ZN7rocprim17ROCPRIM_400000_NS6detail17trampoline_kernelINS0_14default_configENS1_27scan_by_key_config_selectorIj11FixedVectorIiLj4EEEEZZNS1_16scan_by_key_implILNS1_25lookback_scan_determinismE0ELb0ES3_N6thrust23THRUST_200600_302600_NS6detail15normal_iteratorINSB_10device_ptrIjEEEENSD_INSE_IS6_EEEESI_S6_NSB_4plusIvEENSB_8equal_toIvEES6_EE10hipError_tPvRmT2_T3_T4_T5_mT6_T7_P12ihipStream_tbENKUlT_T0_E_clISt17integral_constantIbLb0EES12_IbLb1EEEEDaSY_SZ_EUlSY_E_NS1_11comp_targetILNS1_3genE8ELNS1_11target_archE1030ELNS1_3gpuE2ELNS1_3repE0EEENS1_30default_config_static_selectorELNS0_4arch9wavefront6targetE0EEEvT1_
		.amdhsa_group_segment_fixed_size 0
		.amdhsa_private_segment_fixed_size 0
		.amdhsa_kernarg_size 144
		.amdhsa_user_sgpr_count 2
		.amdhsa_user_sgpr_dispatch_ptr 0
		.amdhsa_user_sgpr_queue_ptr 0
		.amdhsa_user_sgpr_kernarg_segment_ptr 1
		.amdhsa_user_sgpr_dispatch_id 0
		.amdhsa_user_sgpr_kernarg_preload_length 0
		.amdhsa_user_sgpr_kernarg_preload_offset 0
		.amdhsa_user_sgpr_private_segment_size 0
		.amdhsa_wavefront_size32 1
		.amdhsa_uses_dynamic_stack 0
		.amdhsa_enable_private_segment 0
		.amdhsa_system_sgpr_workgroup_id_x 1
		.amdhsa_system_sgpr_workgroup_id_y 0
		.amdhsa_system_sgpr_workgroup_id_z 0
		.amdhsa_system_sgpr_workgroup_info 0
		.amdhsa_system_vgpr_workitem_id 0
		.amdhsa_next_free_vgpr 1
		.amdhsa_next_free_sgpr 1
		.amdhsa_named_barrier_count 0
		.amdhsa_reserve_vcc 0
		.amdhsa_float_round_mode_32 0
		.amdhsa_float_round_mode_16_64 0
		.amdhsa_float_denorm_mode_32 3
		.amdhsa_float_denorm_mode_16_64 3
		.amdhsa_fp16_overflow 0
		.amdhsa_memory_ordered 1
		.amdhsa_forward_progress 1
		.amdhsa_inst_pref_size 0
		.amdhsa_round_robin_scheduling 0
		.amdhsa_exception_fp_ieee_invalid_op 0
		.amdhsa_exception_fp_denorm_src 0
		.amdhsa_exception_fp_ieee_div_zero 0
		.amdhsa_exception_fp_ieee_overflow 0
		.amdhsa_exception_fp_ieee_underflow 0
		.amdhsa_exception_fp_ieee_inexact 0
		.amdhsa_exception_int_div_zero 0
	.end_amdhsa_kernel
	.section	.text._ZN7rocprim17ROCPRIM_400000_NS6detail17trampoline_kernelINS0_14default_configENS1_27scan_by_key_config_selectorIj11FixedVectorIiLj4EEEEZZNS1_16scan_by_key_implILNS1_25lookback_scan_determinismE0ELb0ES3_N6thrust23THRUST_200600_302600_NS6detail15normal_iteratorINSB_10device_ptrIjEEEENSD_INSE_IS6_EEEESI_S6_NSB_4plusIvEENSB_8equal_toIvEES6_EE10hipError_tPvRmT2_T3_T4_T5_mT6_T7_P12ihipStream_tbENKUlT_T0_E_clISt17integral_constantIbLb0EES12_IbLb1EEEEDaSY_SZ_EUlSY_E_NS1_11comp_targetILNS1_3genE8ELNS1_11target_archE1030ELNS1_3gpuE2ELNS1_3repE0EEENS1_30default_config_static_selectorELNS0_4arch9wavefront6targetE0EEEvT1_,"axG",@progbits,_ZN7rocprim17ROCPRIM_400000_NS6detail17trampoline_kernelINS0_14default_configENS1_27scan_by_key_config_selectorIj11FixedVectorIiLj4EEEEZZNS1_16scan_by_key_implILNS1_25lookback_scan_determinismE0ELb0ES3_N6thrust23THRUST_200600_302600_NS6detail15normal_iteratorINSB_10device_ptrIjEEEENSD_INSE_IS6_EEEESI_S6_NSB_4plusIvEENSB_8equal_toIvEES6_EE10hipError_tPvRmT2_T3_T4_T5_mT6_T7_P12ihipStream_tbENKUlT_T0_E_clISt17integral_constantIbLb0EES12_IbLb1EEEEDaSY_SZ_EUlSY_E_NS1_11comp_targetILNS1_3genE8ELNS1_11target_archE1030ELNS1_3gpuE2ELNS1_3repE0EEENS1_30default_config_static_selectorELNS0_4arch9wavefront6targetE0EEEvT1_,comdat
.Lfunc_end2074:
	.size	_ZN7rocprim17ROCPRIM_400000_NS6detail17trampoline_kernelINS0_14default_configENS1_27scan_by_key_config_selectorIj11FixedVectorIiLj4EEEEZZNS1_16scan_by_key_implILNS1_25lookback_scan_determinismE0ELb0ES3_N6thrust23THRUST_200600_302600_NS6detail15normal_iteratorINSB_10device_ptrIjEEEENSD_INSE_IS6_EEEESI_S6_NSB_4plusIvEENSB_8equal_toIvEES6_EE10hipError_tPvRmT2_T3_T4_T5_mT6_T7_P12ihipStream_tbENKUlT_T0_E_clISt17integral_constantIbLb0EES12_IbLb1EEEEDaSY_SZ_EUlSY_E_NS1_11comp_targetILNS1_3genE8ELNS1_11target_archE1030ELNS1_3gpuE2ELNS1_3repE0EEENS1_30default_config_static_selectorELNS0_4arch9wavefront6targetE0EEEvT1_, .Lfunc_end2074-_ZN7rocprim17ROCPRIM_400000_NS6detail17trampoline_kernelINS0_14default_configENS1_27scan_by_key_config_selectorIj11FixedVectorIiLj4EEEEZZNS1_16scan_by_key_implILNS1_25lookback_scan_determinismE0ELb0ES3_N6thrust23THRUST_200600_302600_NS6detail15normal_iteratorINSB_10device_ptrIjEEEENSD_INSE_IS6_EEEESI_S6_NSB_4plusIvEENSB_8equal_toIvEES6_EE10hipError_tPvRmT2_T3_T4_T5_mT6_T7_P12ihipStream_tbENKUlT_T0_E_clISt17integral_constantIbLb0EES12_IbLb1EEEEDaSY_SZ_EUlSY_E_NS1_11comp_targetILNS1_3genE8ELNS1_11target_archE1030ELNS1_3gpuE2ELNS1_3repE0EEENS1_30default_config_static_selectorELNS0_4arch9wavefront6targetE0EEEvT1_
                                        ; -- End function
	.set _ZN7rocprim17ROCPRIM_400000_NS6detail17trampoline_kernelINS0_14default_configENS1_27scan_by_key_config_selectorIj11FixedVectorIiLj4EEEEZZNS1_16scan_by_key_implILNS1_25lookback_scan_determinismE0ELb0ES3_N6thrust23THRUST_200600_302600_NS6detail15normal_iteratorINSB_10device_ptrIjEEEENSD_INSE_IS6_EEEESI_S6_NSB_4plusIvEENSB_8equal_toIvEES6_EE10hipError_tPvRmT2_T3_T4_T5_mT6_T7_P12ihipStream_tbENKUlT_T0_E_clISt17integral_constantIbLb0EES12_IbLb1EEEEDaSY_SZ_EUlSY_E_NS1_11comp_targetILNS1_3genE8ELNS1_11target_archE1030ELNS1_3gpuE2ELNS1_3repE0EEENS1_30default_config_static_selectorELNS0_4arch9wavefront6targetE0EEEvT1_.num_vgpr, 0
	.set _ZN7rocprim17ROCPRIM_400000_NS6detail17trampoline_kernelINS0_14default_configENS1_27scan_by_key_config_selectorIj11FixedVectorIiLj4EEEEZZNS1_16scan_by_key_implILNS1_25lookback_scan_determinismE0ELb0ES3_N6thrust23THRUST_200600_302600_NS6detail15normal_iteratorINSB_10device_ptrIjEEEENSD_INSE_IS6_EEEESI_S6_NSB_4plusIvEENSB_8equal_toIvEES6_EE10hipError_tPvRmT2_T3_T4_T5_mT6_T7_P12ihipStream_tbENKUlT_T0_E_clISt17integral_constantIbLb0EES12_IbLb1EEEEDaSY_SZ_EUlSY_E_NS1_11comp_targetILNS1_3genE8ELNS1_11target_archE1030ELNS1_3gpuE2ELNS1_3repE0EEENS1_30default_config_static_selectorELNS0_4arch9wavefront6targetE0EEEvT1_.num_agpr, 0
	.set _ZN7rocprim17ROCPRIM_400000_NS6detail17trampoline_kernelINS0_14default_configENS1_27scan_by_key_config_selectorIj11FixedVectorIiLj4EEEEZZNS1_16scan_by_key_implILNS1_25lookback_scan_determinismE0ELb0ES3_N6thrust23THRUST_200600_302600_NS6detail15normal_iteratorINSB_10device_ptrIjEEEENSD_INSE_IS6_EEEESI_S6_NSB_4plusIvEENSB_8equal_toIvEES6_EE10hipError_tPvRmT2_T3_T4_T5_mT6_T7_P12ihipStream_tbENKUlT_T0_E_clISt17integral_constantIbLb0EES12_IbLb1EEEEDaSY_SZ_EUlSY_E_NS1_11comp_targetILNS1_3genE8ELNS1_11target_archE1030ELNS1_3gpuE2ELNS1_3repE0EEENS1_30default_config_static_selectorELNS0_4arch9wavefront6targetE0EEEvT1_.numbered_sgpr, 0
	.set _ZN7rocprim17ROCPRIM_400000_NS6detail17trampoline_kernelINS0_14default_configENS1_27scan_by_key_config_selectorIj11FixedVectorIiLj4EEEEZZNS1_16scan_by_key_implILNS1_25lookback_scan_determinismE0ELb0ES3_N6thrust23THRUST_200600_302600_NS6detail15normal_iteratorINSB_10device_ptrIjEEEENSD_INSE_IS6_EEEESI_S6_NSB_4plusIvEENSB_8equal_toIvEES6_EE10hipError_tPvRmT2_T3_T4_T5_mT6_T7_P12ihipStream_tbENKUlT_T0_E_clISt17integral_constantIbLb0EES12_IbLb1EEEEDaSY_SZ_EUlSY_E_NS1_11comp_targetILNS1_3genE8ELNS1_11target_archE1030ELNS1_3gpuE2ELNS1_3repE0EEENS1_30default_config_static_selectorELNS0_4arch9wavefront6targetE0EEEvT1_.num_named_barrier, 0
	.set _ZN7rocprim17ROCPRIM_400000_NS6detail17trampoline_kernelINS0_14default_configENS1_27scan_by_key_config_selectorIj11FixedVectorIiLj4EEEEZZNS1_16scan_by_key_implILNS1_25lookback_scan_determinismE0ELb0ES3_N6thrust23THRUST_200600_302600_NS6detail15normal_iteratorINSB_10device_ptrIjEEEENSD_INSE_IS6_EEEESI_S6_NSB_4plusIvEENSB_8equal_toIvEES6_EE10hipError_tPvRmT2_T3_T4_T5_mT6_T7_P12ihipStream_tbENKUlT_T0_E_clISt17integral_constantIbLb0EES12_IbLb1EEEEDaSY_SZ_EUlSY_E_NS1_11comp_targetILNS1_3genE8ELNS1_11target_archE1030ELNS1_3gpuE2ELNS1_3repE0EEENS1_30default_config_static_selectorELNS0_4arch9wavefront6targetE0EEEvT1_.private_seg_size, 0
	.set _ZN7rocprim17ROCPRIM_400000_NS6detail17trampoline_kernelINS0_14default_configENS1_27scan_by_key_config_selectorIj11FixedVectorIiLj4EEEEZZNS1_16scan_by_key_implILNS1_25lookback_scan_determinismE0ELb0ES3_N6thrust23THRUST_200600_302600_NS6detail15normal_iteratorINSB_10device_ptrIjEEEENSD_INSE_IS6_EEEESI_S6_NSB_4plusIvEENSB_8equal_toIvEES6_EE10hipError_tPvRmT2_T3_T4_T5_mT6_T7_P12ihipStream_tbENKUlT_T0_E_clISt17integral_constantIbLb0EES12_IbLb1EEEEDaSY_SZ_EUlSY_E_NS1_11comp_targetILNS1_3genE8ELNS1_11target_archE1030ELNS1_3gpuE2ELNS1_3repE0EEENS1_30default_config_static_selectorELNS0_4arch9wavefront6targetE0EEEvT1_.uses_vcc, 0
	.set _ZN7rocprim17ROCPRIM_400000_NS6detail17trampoline_kernelINS0_14default_configENS1_27scan_by_key_config_selectorIj11FixedVectorIiLj4EEEEZZNS1_16scan_by_key_implILNS1_25lookback_scan_determinismE0ELb0ES3_N6thrust23THRUST_200600_302600_NS6detail15normal_iteratorINSB_10device_ptrIjEEEENSD_INSE_IS6_EEEESI_S6_NSB_4plusIvEENSB_8equal_toIvEES6_EE10hipError_tPvRmT2_T3_T4_T5_mT6_T7_P12ihipStream_tbENKUlT_T0_E_clISt17integral_constantIbLb0EES12_IbLb1EEEEDaSY_SZ_EUlSY_E_NS1_11comp_targetILNS1_3genE8ELNS1_11target_archE1030ELNS1_3gpuE2ELNS1_3repE0EEENS1_30default_config_static_selectorELNS0_4arch9wavefront6targetE0EEEvT1_.uses_flat_scratch, 0
	.set _ZN7rocprim17ROCPRIM_400000_NS6detail17trampoline_kernelINS0_14default_configENS1_27scan_by_key_config_selectorIj11FixedVectorIiLj4EEEEZZNS1_16scan_by_key_implILNS1_25lookback_scan_determinismE0ELb0ES3_N6thrust23THRUST_200600_302600_NS6detail15normal_iteratorINSB_10device_ptrIjEEEENSD_INSE_IS6_EEEESI_S6_NSB_4plusIvEENSB_8equal_toIvEES6_EE10hipError_tPvRmT2_T3_T4_T5_mT6_T7_P12ihipStream_tbENKUlT_T0_E_clISt17integral_constantIbLb0EES12_IbLb1EEEEDaSY_SZ_EUlSY_E_NS1_11comp_targetILNS1_3genE8ELNS1_11target_archE1030ELNS1_3gpuE2ELNS1_3repE0EEENS1_30default_config_static_selectorELNS0_4arch9wavefront6targetE0EEEvT1_.has_dyn_sized_stack, 0
	.set _ZN7rocprim17ROCPRIM_400000_NS6detail17trampoline_kernelINS0_14default_configENS1_27scan_by_key_config_selectorIj11FixedVectorIiLj4EEEEZZNS1_16scan_by_key_implILNS1_25lookback_scan_determinismE0ELb0ES3_N6thrust23THRUST_200600_302600_NS6detail15normal_iteratorINSB_10device_ptrIjEEEENSD_INSE_IS6_EEEESI_S6_NSB_4plusIvEENSB_8equal_toIvEES6_EE10hipError_tPvRmT2_T3_T4_T5_mT6_T7_P12ihipStream_tbENKUlT_T0_E_clISt17integral_constantIbLb0EES12_IbLb1EEEEDaSY_SZ_EUlSY_E_NS1_11comp_targetILNS1_3genE8ELNS1_11target_archE1030ELNS1_3gpuE2ELNS1_3repE0EEENS1_30default_config_static_selectorELNS0_4arch9wavefront6targetE0EEEvT1_.has_recursion, 0
	.set _ZN7rocprim17ROCPRIM_400000_NS6detail17trampoline_kernelINS0_14default_configENS1_27scan_by_key_config_selectorIj11FixedVectorIiLj4EEEEZZNS1_16scan_by_key_implILNS1_25lookback_scan_determinismE0ELb0ES3_N6thrust23THRUST_200600_302600_NS6detail15normal_iteratorINSB_10device_ptrIjEEEENSD_INSE_IS6_EEEESI_S6_NSB_4plusIvEENSB_8equal_toIvEES6_EE10hipError_tPvRmT2_T3_T4_T5_mT6_T7_P12ihipStream_tbENKUlT_T0_E_clISt17integral_constantIbLb0EES12_IbLb1EEEEDaSY_SZ_EUlSY_E_NS1_11comp_targetILNS1_3genE8ELNS1_11target_archE1030ELNS1_3gpuE2ELNS1_3repE0EEENS1_30default_config_static_selectorELNS0_4arch9wavefront6targetE0EEEvT1_.has_indirect_call, 0
	.section	.AMDGPU.csdata,"",@progbits
; Kernel info:
; codeLenInByte = 0
; TotalNumSgprs: 0
; NumVgprs: 0
; ScratchSize: 0
; MemoryBound: 0
; FloatMode: 240
; IeeeMode: 1
; LDSByteSize: 0 bytes/workgroup (compile time only)
; SGPRBlocks: 0
; VGPRBlocks: 0
; NumSGPRsForWavesPerEU: 1
; NumVGPRsForWavesPerEU: 1
; NamedBarCnt: 0
; Occupancy: 16
; WaveLimiterHint : 0
; COMPUTE_PGM_RSRC2:SCRATCH_EN: 0
; COMPUTE_PGM_RSRC2:USER_SGPR: 2
; COMPUTE_PGM_RSRC2:TRAP_HANDLER: 0
; COMPUTE_PGM_RSRC2:TGID_X_EN: 1
; COMPUTE_PGM_RSRC2:TGID_Y_EN: 0
; COMPUTE_PGM_RSRC2:TGID_Z_EN: 0
; COMPUTE_PGM_RSRC2:TIDIG_COMP_CNT: 0
	.section	.text._ZN7rocprim17ROCPRIM_400000_NS6detail17trampoline_kernelINS0_14default_configENS1_27scan_by_key_config_selectorIj11FixedVectorIiLj4EEEEZZNS1_16scan_by_key_implILNS1_25lookback_scan_determinismE0ELb1ES3_N6thrust23THRUST_200600_302600_NS6detail15normal_iteratorINSB_10device_ptrIjEEEENSD_INSE_IS6_EEEESI_S6_NSB_4plusIvEENSB_8equal_toIvEES6_EE10hipError_tPvRmT2_T3_T4_T5_mT6_T7_P12ihipStream_tbENKUlT_T0_E_clISt17integral_constantIbLb0EES13_EEDaSY_SZ_EUlSY_E_NS1_11comp_targetILNS1_3genE0ELNS1_11target_archE4294967295ELNS1_3gpuE0ELNS1_3repE0EEENS1_30default_config_static_selectorELNS0_4arch9wavefront6targetE0EEEvT1_,"axG",@progbits,_ZN7rocprim17ROCPRIM_400000_NS6detail17trampoline_kernelINS0_14default_configENS1_27scan_by_key_config_selectorIj11FixedVectorIiLj4EEEEZZNS1_16scan_by_key_implILNS1_25lookback_scan_determinismE0ELb1ES3_N6thrust23THRUST_200600_302600_NS6detail15normal_iteratorINSB_10device_ptrIjEEEENSD_INSE_IS6_EEEESI_S6_NSB_4plusIvEENSB_8equal_toIvEES6_EE10hipError_tPvRmT2_T3_T4_T5_mT6_T7_P12ihipStream_tbENKUlT_T0_E_clISt17integral_constantIbLb0EES13_EEDaSY_SZ_EUlSY_E_NS1_11comp_targetILNS1_3genE0ELNS1_11target_archE4294967295ELNS1_3gpuE0ELNS1_3repE0EEENS1_30default_config_static_selectorELNS0_4arch9wavefront6targetE0EEEvT1_,comdat
	.protected	_ZN7rocprim17ROCPRIM_400000_NS6detail17trampoline_kernelINS0_14default_configENS1_27scan_by_key_config_selectorIj11FixedVectorIiLj4EEEEZZNS1_16scan_by_key_implILNS1_25lookback_scan_determinismE0ELb1ES3_N6thrust23THRUST_200600_302600_NS6detail15normal_iteratorINSB_10device_ptrIjEEEENSD_INSE_IS6_EEEESI_S6_NSB_4plusIvEENSB_8equal_toIvEES6_EE10hipError_tPvRmT2_T3_T4_T5_mT6_T7_P12ihipStream_tbENKUlT_T0_E_clISt17integral_constantIbLb0EES13_EEDaSY_SZ_EUlSY_E_NS1_11comp_targetILNS1_3genE0ELNS1_11target_archE4294967295ELNS1_3gpuE0ELNS1_3repE0EEENS1_30default_config_static_selectorELNS0_4arch9wavefront6targetE0EEEvT1_ ; -- Begin function _ZN7rocprim17ROCPRIM_400000_NS6detail17trampoline_kernelINS0_14default_configENS1_27scan_by_key_config_selectorIj11FixedVectorIiLj4EEEEZZNS1_16scan_by_key_implILNS1_25lookback_scan_determinismE0ELb1ES3_N6thrust23THRUST_200600_302600_NS6detail15normal_iteratorINSB_10device_ptrIjEEEENSD_INSE_IS6_EEEESI_S6_NSB_4plusIvEENSB_8equal_toIvEES6_EE10hipError_tPvRmT2_T3_T4_T5_mT6_T7_P12ihipStream_tbENKUlT_T0_E_clISt17integral_constantIbLb0EES13_EEDaSY_SZ_EUlSY_E_NS1_11comp_targetILNS1_3genE0ELNS1_11target_archE4294967295ELNS1_3gpuE0ELNS1_3repE0EEENS1_30default_config_static_selectorELNS0_4arch9wavefront6targetE0EEEvT1_
	.globl	_ZN7rocprim17ROCPRIM_400000_NS6detail17trampoline_kernelINS0_14default_configENS1_27scan_by_key_config_selectorIj11FixedVectorIiLj4EEEEZZNS1_16scan_by_key_implILNS1_25lookback_scan_determinismE0ELb1ES3_N6thrust23THRUST_200600_302600_NS6detail15normal_iteratorINSB_10device_ptrIjEEEENSD_INSE_IS6_EEEESI_S6_NSB_4plusIvEENSB_8equal_toIvEES6_EE10hipError_tPvRmT2_T3_T4_T5_mT6_T7_P12ihipStream_tbENKUlT_T0_E_clISt17integral_constantIbLb0EES13_EEDaSY_SZ_EUlSY_E_NS1_11comp_targetILNS1_3genE0ELNS1_11target_archE4294967295ELNS1_3gpuE0ELNS1_3repE0EEENS1_30default_config_static_selectorELNS0_4arch9wavefront6targetE0EEEvT1_
	.p2align	8
	.type	_ZN7rocprim17ROCPRIM_400000_NS6detail17trampoline_kernelINS0_14default_configENS1_27scan_by_key_config_selectorIj11FixedVectorIiLj4EEEEZZNS1_16scan_by_key_implILNS1_25lookback_scan_determinismE0ELb1ES3_N6thrust23THRUST_200600_302600_NS6detail15normal_iteratorINSB_10device_ptrIjEEEENSD_INSE_IS6_EEEESI_S6_NSB_4plusIvEENSB_8equal_toIvEES6_EE10hipError_tPvRmT2_T3_T4_T5_mT6_T7_P12ihipStream_tbENKUlT_T0_E_clISt17integral_constantIbLb0EES13_EEDaSY_SZ_EUlSY_E_NS1_11comp_targetILNS1_3genE0ELNS1_11target_archE4294967295ELNS1_3gpuE0ELNS1_3repE0EEENS1_30default_config_static_selectorELNS0_4arch9wavefront6targetE0EEEvT1_,@function
_ZN7rocprim17ROCPRIM_400000_NS6detail17trampoline_kernelINS0_14default_configENS1_27scan_by_key_config_selectorIj11FixedVectorIiLj4EEEEZZNS1_16scan_by_key_implILNS1_25lookback_scan_determinismE0ELb1ES3_N6thrust23THRUST_200600_302600_NS6detail15normal_iteratorINSB_10device_ptrIjEEEENSD_INSE_IS6_EEEESI_S6_NSB_4plusIvEENSB_8equal_toIvEES6_EE10hipError_tPvRmT2_T3_T4_T5_mT6_T7_P12ihipStream_tbENKUlT_T0_E_clISt17integral_constantIbLb0EES13_EEDaSY_SZ_EUlSY_E_NS1_11comp_targetILNS1_3genE0ELNS1_11target_archE4294967295ELNS1_3gpuE0ELNS1_3repE0EEENS1_30default_config_static_selectorELNS0_4arch9wavefront6targetE0EEEvT1_: ; @_ZN7rocprim17ROCPRIM_400000_NS6detail17trampoline_kernelINS0_14default_configENS1_27scan_by_key_config_selectorIj11FixedVectorIiLj4EEEEZZNS1_16scan_by_key_implILNS1_25lookback_scan_determinismE0ELb1ES3_N6thrust23THRUST_200600_302600_NS6detail15normal_iteratorINSB_10device_ptrIjEEEENSD_INSE_IS6_EEEESI_S6_NSB_4plusIvEENSB_8equal_toIvEES6_EE10hipError_tPvRmT2_T3_T4_T5_mT6_T7_P12ihipStream_tbENKUlT_T0_E_clISt17integral_constantIbLb0EES13_EEDaSY_SZ_EUlSY_E_NS1_11comp_targetILNS1_3genE0ELNS1_11target_archE4294967295ELNS1_3gpuE0ELNS1_3repE0EEENS1_30default_config_static_selectorELNS0_4arch9wavefront6targetE0EEEvT1_
; %bb.0:
	s_load_b64 s[34:35], s[0:1], 0x4
	s_clause 0x4
	s_load_b96 s[28:30], s[2:3], 0x58
	s_load_b256 s[4:11], s[2:3], 0x0
	s_load_b128 s[24:27], s[2:3], 0x20
	s_load_b256 s[12:19], s[2:3], 0x38
	s_load_b128 s[20:23], s[2:3], 0x68
	v_mov_b32_e32 v4, 0
	v_and_b32_e32 v12, 0x3ff, v0
	v_bfe_u32 v10, v0, 20, 10
	v_bfe_u32 v0, v0, 10, 10
	v_mov_b64_e32 v[2:3], 0
	v_dual_mov_b32 v5, v4 :: v_dual_mov_b32 v6, v4
	v_mov_b32_e32 v7, v4
	s_barrier_signal -1
	s_barrier_wait -1
	s_clause 0x1
	scratch_store_b32 off, v4, off offset:256
	scratch_store_b128 off, v[4:7], off offset:240
	s_wait_kmcnt 0x0
	s_lshr_b32 s0, s34, 16
	v_mul_u32_u24_e32 v11, s35, v0
	s_mul_i32 s1, s0, s35
	s_mov_b32 s0, s30
	v_mul_u32_u24_e32 v13, s1, v12
	s_mov_b32 s1, 0
.LBB2075_1:                             ; =>This Inner Loop Header: Depth=1
	s_wait_xcnt 0x0
	s_add_co_i32 s2, s1, 0xf0
	s_add_co_i32 s1, s1, 8
	scratch_store_b64 off, v[2:3], s2
	s_cmp_lg_u32 s1, 16
	s_cbranch_scc1 .LBB2075_1
; %bb.2:
	s_wait_xcnt 0x0
	v_mov_b32_e32 v2, 0
	v_mov_b64_e32 v[0:1], 0
	s_mov_b32 s1, 20
	s_movk_i32 s19, 0x104
	s_delay_alu instid0(VALU_DEP_2)
	v_dual_mov_b32 v3, v2 :: v_dual_mov_b32 v4, v2
	v_mov_b32_e32 v5, v2
	s_clause 0x2
	scratch_store_b8 off, v2, off offset:256
	scratch_store_b32 off, v2, off offset:276
	scratch_store_b128 off, v[2:5], off offset:260
.LBB2075_3:                             ; =>This Inner Loop Header: Depth=1
	s_wait_xcnt 0x0
	s_add_co_i32 s2, s1, 0xf0
	s_add_co_i32 s1, s1, 8
	scratch_store_b64 off, v[0:1], s2
	s_cmp_lg_u32 s1, 36
	s_cbranch_scc1 .LBB2075_3
; %bb.4:
	s_wait_xcnt 0x1
	v_mov_b32_e32 v2, 0
	s_wait_xcnt 0x0
	v_mov_b64_e32 v[0:1], 0
	s_mov_b32 s1, 40
	s_movk_i32 s33, 0x118
	v_dual_mov_b32 v3, v2 :: v_dual_mov_b32 v4, v2
	v_mov_b32_e32 v5, v2
	s_clause 0x2
	scratch_store_b8 off, v2, off offset:276
	scratch_store_b32 off, v2, off offset:296
	scratch_store_b128 off, v[2:5], off offset:280
.LBB2075_5:                             ; =>This Inner Loop Header: Depth=1
	s_wait_xcnt 0x0
	s_add_co_i32 s2, s1, 0xf0
	s_add_co_i32 s1, s1, 8
	scratch_store_b64 off, v[0:1], s2
	s_cmp_lg_u32 s1, 56
	s_cbranch_scc1 .LBB2075_5
; %bb.6:
	s_wait_xcnt 0x1
	v_mov_b32_e32 v2, 0
	s_wait_xcnt 0x0
	v_mov_b64_e32 v[0:1], 0
	s_mov_b32 s1, 60
	s_movk_i32 s40, 0x12c
	v_dual_mov_b32 v3, v2 :: v_dual_mov_b32 v4, v2
	v_mov_b32_e32 v5, v2
	s_clause 0x2
	scratch_store_b8 off, v2, off offset:296
	scratch_store_b32 off, v2, off offset:316
	scratch_store_b128 off, v[2:5], off offset:300
.LBB2075_7:                             ; =>This Inner Loop Header: Depth=1
	s_wait_xcnt 0x0
	s_add_co_i32 s2, s1, 0xf0
	s_add_co_i32 s1, s1, 8
	scratch_store_b64 off, v[0:1], s2
	s_cmp_lg_u32 s1, 0x4c
	s_cbranch_scc1 .LBB2075_7
; %bb.8:
	s_wait_xcnt 0x1
	v_mov_b32_e32 v2, 0
	s_wait_xcnt 0x0
	v_mov_b64_e32 v[0:1], 0
	s_movk_i32 s1, 0x50
	s_movk_i32 s41, 0x140
	v_dual_mov_b32 v3, v2 :: v_dual_mov_b32 v4, v2
	v_mov_b32_e32 v5, v2
	s_clause 0x2
	scratch_store_b8 off, v2, off offset:316
	scratch_store_b32 off, v2, off offset:336
	scratch_store_b128 off, v[2:5], off offset:320
.LBB2075_9:                             ; =>This Inner Loop Header: Depth=1
	s_wait_xcnt 0x0
	s_add_co_i32 s2, s1, 0xf0
	s_add_co_i32 s1, s1, 8
	scratch_store_b64 off, v[0:1], s2
	s_cmp_lg_u32 s1, 0x60
	s_cbranch_scc1 .LBB2075_9
; %bb.10:
	s_wait_xcnt 0x1
	v_mov_b32_e32 v2, 0
	s_wait_xcnt 0x0
	v_mov_b64_e32 v[0:1], 0
	s_movk_i32 s1, 0x64
	s_movk_i32 s42, 0x154
	v_dual_mov_b32 v3, v2 :: v_dual_mov_b32 v4, v2
	v_mov_b32_e32 v5, v2
	s_clause 0x2
	scratch_store_b8 off, v2, off offset:336
	scratch_store_b32 off, v2, off offset:356
	scratch_store_b128 off, v[2:5], off offset:340
.LBB2075_11:                            ; =>This Inner Loop Header: Depth=1
	s_wait_xcnt 0x0
	s_add_co_i32 s2, s1, 0xf0
	s_add_co_i32 s1, s1, 8
	scratch_store_b64 off, v[0:1], s2
	s_cmp_lg_u32 s1, 0x74
	s_cbranch_scc1 .LBB2075_11
; %bb.12:
	s_wait_xcnt 0x1
	v_mov_b32_e32 v2, 0
	s_wait_xcnt 0x0
	v_mov_b64_e32 v[0:1], 0
	s_movk_i32 s1, 0x78
	s_movk_i32 s43, 0x168
	v_dual_mov_b32 v3, v2 :: v_dual_mov_b32 v4, v2
	v_mov_b32_e32 v5, v2
	s_clause 0x2
	scratch_store_b8 off, v2, off offset:356
	scratch_store_b32 off, v2, off offset:376
	scratch_store_b128 off, v[2:5], off offset:360
.LBB2075_13:                            ; =>This Inner Loop Header: Depth=1
	s_wait_xcnt 0x0
	s_add_co_i32 s2, s1, 0xf0
	s_add_co_i32 s1, s1, 8
	scratch_store_b64 off, v[0:1], s2
	s_cmp_lg_u32 s1, 0x88
	s_cbranch_scc1 .LBB2075_13
	;; [unrolled: 20-line block ×5, first 2 shown]
; %bb.20:
	s_wait_xcnt 0x1
	v_mov_b64_e32 v[2:3], s[24:25]
	s_wait_xcnt 0x0
	v_mov_b64_e32 v[0:1], 0
	v_mov_b64_e32 v[4:5], s[26:27]
	v_mov_b32_e32 v6, 0
	s_mov_b32 s1, 0
	s_clause 0x1
	scratch_store_b8 off, v6, off offset:436
	scratch_store_b128 off, v[2:5], off offset:160
.LBB2075_21:                            ; =>This Inner Loop Header: Depth=1
	s_wait_xcnt 0x0
	s_mov_b32 s2, s1
	s_add_co_i32 s1, s1, 8
	scratch_store_b64 off, v[0:1], s2
	s_cmp_lg_u32 s1, 16
	s_cbranch_scc1 .LBB2075_21
; %bb.22:
	s_wait_xcnt 0x0
	v_mov_b64_e32 v[0:1], 0
	s_mov_b32 s1, 16
.LBB2075_23:                            ; =>This Inner Loop Header: Depth=1
	s_wait_xcnt 0x0
	s_mov_b32 s2, s1
	s_add_co_i32 s1, s1, 8
	scratch_store_b64 off, v[0:1], s2
	s_cmp_lg_u32 s1, 32
	s_cbranch_scc1 .LBB2075_23
; %bb.24:
	s_wait_xcnt 0x0
	v_mov_b64_e32 v[0:1], 0
	s_mov_b32 s1, 32
	;; [unrolled: 11-line block ×4, first 2 shown]
.LBB2075_29:                            ; =>This Inner Loop Header: Depth=1
	s_wait_xcnt 0x0
	s_mov_b32 s2, s1
	s_add_co_i32 s1, s1, 8
	scratch_store_b64 off, v[0:1], s2
	s_cmp_lg_u32 s1, 0x50
	s_cbranch_scc1 .LBB2075_29
; %bb.30:
	s_wait_xcnt 0x0
	v_mov_b64_e32 v[0:1], 0
	s_movk_i32 s1, 0x50
.LBB2075_31:                            ; =>This Inner Loop Header: Depth=1
	s_wait_xcnt 0x0
	s_mov_b32 s2, s1
	s_add_co_i32 s1, s1, 8
	scratch_store_b64 off, v[0:1], s2
	s_cmp_lg_u32 s1, 0x60
	s_cbranch_scc1 .LBB2075_31
; %bb.32:
	s_wait_xcnt 0x0
	v_mov_b64_e32 v[0:1], 0
	s_movk_i32 s1, 0x60
	;; [unrolled: 11-line block ×5, first 2 shown]
.LBB2075_39:                            ; =>This Inner Loop Header: Depth=1
	s_wait_xcnt 0x0
	s_mov_b32 s2, s1
	s_add_co_i32 s1, s1, 8
	scratch_store_b64 off, v[0:1], s2
	s_cmp_lg_u32 s1, 0xa0
	s_cbranch_scc1 .LBB2075_39
; %bb.40:
	s_bfe_u32 s1, ttmp6, 0x4000c
	s_and_b32 s30, ttmp6, 15
	s_add_co_i32 s1, s1, 1
	s_getreg_b32 s31, hwreg(HW_REG_IB_STS2, 6, 4)
	s_mul_i32 s1, ttmp9, s1
	s_wait_xcnt 0x0
	s_lshl_b64 s[2:3], s[6:7], 2
	s_add_co_i32 s30, s30, s1
	s_cmp_eq_u32 s31, 0
	s_mov_b32 s1, 0
	s_cselect_b32 s34, ttmp9, s30
	s_mul_u64 s[30:31], s[28:29], s[0:1]
	s_mov_b32 s35, s1
	s_add_nc_u64 s[58:59], s[20:21], -1
	s_add_nc_u64 s[30:31], s[30:31], s[34:35]
	s_add_nc_u64 s[2:3], s[4:5], s[2:3]
	v_cmp_ge_u64_e64 s35, s[30:31], s[58:59]
	s_mul_i32 s4, s34, 0x280
	s_lshl_b64 s[20:21], s[6:7], 4
	s_mov_b32 s5, s1
	s_add_nc_u64 s[6:7], s[8:9], s[20:21]
	s_lshl_b64 s[8:9], s[4:5], 2
	s_lshl_b64 s[30:31], s[4:5], 4
	s_movk_i32 s52, 0x90
	s_movk_i32 s53, 0x80
	;; [unrolled: 1-line block ×5, first 2 shown]
	s_mov_b32 s47, 64
	s_mov_b32 s48, 48
	;; [unrolled: 1-line block ×4, first 2 shown]
	s_add_nc_u64 s[38:39], s[2:3], s[8:9]
	s_add_nc_u64 s[36:37], s[6:7], s[30:31]
	s_and_b32 vcc_lo, exec_lo, s35
	s_mul_i32 s51, s58, 0xfffffd80
	s_cbranch_vccz .LBB2075_93
; %bb.41:
	v_mov_b32_e32 v0, 0
	s_add_co_i32 s57, s51, s18
	s_delay_alu instid0(SALU_CYCLE_1)
	v_cmp_gt_u32_e32 vcc_lo, s57, v12
	flat_load_b32 v0, v0, s[38:39]
	s_wait_loadcnt_dscnt 0x0
	v_mov_b32_e32 v1, v0
	s_wait_xcnt 0x0
	s_and_saveexec_b32 s0, vcc_lo
	s_cbranch_execz .LBB2075_43
; %bb.42:
	flat_load_b32 v1, v12, s[38:39] scale_offset
.LBB2075_43:
	s_wait_xcnt 0x0
	s_or_b32 exec_lo, exec_lo, s0
	v_add_nc_u32_e32 v2, 64, v12
	s_delay_alu instid0(VALU_DEP_1)
	v_cmp_gt_u32_e64 s0, s57, v2
	v_mov_b32_e32 v2, v0
	s_and_saveexec_b32 s1, s0
	s_cbranch_execz .LBB2075_45
; %bb.44:
	flat_load_b32 v2, v12, s[38:39] offset:256 scale_offset
.LBB2075_45:
	s_wait_xcnt 0x0
	s_or_b32 exec_lo, exec_lo, s1
	v_add_nc_u32_e32 v3, 0x80, v12
	s_delay_alu instid0(VALU_DEP_1)
	v_cmp_gt_u32_e64 s1, s57, v3
	v_mov_b32_e32 v3, v0
	s_and_saveexec_b32 s2, s1
	s_cbranch_execz .LBB2075_47
; %bb.46:
	flat_load_b32 v3, v12, s[38:39] offset:512 scale_offset
.LBB2075_47:
	;; [unrolled: 11-line block ×8, first 2 shown]
	s_wait_xcnt 0x0
	s_or_b32 exec_lo, exec_lo, s8
	v_add_nc_u32_e32 v14, 0x240, v12
	s_delay_alu instid0(VALU_DEP_1) | instskip(SKIP_2) | instid1(SALU_CYCLE_1)
	v_cmp_gt_u32_e64 s8, s57, v14
	v_cmp_le_u32_e64 s9, s57, v14
	s_and_saveexec_b32 s58, s9
	s_xor_b32 s9, exec_lo, s58
	s_delay_alu instid0(SALU_CYCLE_1)
	s_and_not1_saveexec_b32 s9, s9
	s_cbranch_execz .LBB2075_61
; %bb.60:
	flat_load_b32 v0, v12, s[38:39] offset:2304 scale_offset
.LBB2075_61:
	s_wait_xcnt 0x0
	s_or_b32 exec_lo, exec_lo, s9
	v_lshlrev_b32_e32 v15, 2, v12
	s_mov_b32 s58, exec_lo
	s_wait_loadcnt_dscnt 0x0
	ds_store_2addr_stride64_b32 v15, v1, v2 offset1:1
	ds_store_2addr_stride64_b32 v15, v3, v4 offset0:2 offset1:3
	ds_store_2addr_stride64_b32 v15, v5, v6 offset0:4 offset1:5
	;; [unrolled: 1-line block ×4, first 2 shown]
	v_mov_b32_e32 v0, 0
	s_wait_storecnt_dscnt 0x0
	s_barrier_signal -1
	s_barrier_wait -1
	flat_load_b32 v14, v0, s[38:39]
	v_mad_u32_u24 v15, v12, 36, v15
	ds_load_2addr_b64 v[4:7], v15 offset1:1
	s_wait_xcnt 0x0
	ds_load_2addr_b64 v[0:3], v15 offset0:2 offset1:3
	ds_load_b64 v[8:9], v15 offset:32
	v_mad_i32_i24 v16, 0xffffffdc, v12, v15
	s_wait_dscnt 0x2
	ds_store_b32 v16, v4 offset:2816
	s_wait_loadcnt_dscnt 0x0
	s_barrier_signal -1
	s_barrier_wait -1
	v_cmpx_ne_u32_e32 63, v12
; %bb.62:
	ds_load_b32 v14, v16 offset:2820
; %bb.63:
	s_or_b32 exec_lo, exec_lo, s58
	s_wait_dscnt 0x0
	s_barrier_signal -1
	s_barrier_wait -1
	s_and_saveexec_b32 s9, vcc_lo
	s_cbranch_execnz .LBB2075_740
; %bb.64:
	s_or_b32 exec_lo, exec_lo, s9
	s_and_saveexec_b32 s9, s0
	s_cbranch_execnz .LBB2075_741
.LBB2075_65:
	s_or_b32 exec_lo, exec_lo, s9
	s_and_saveexec_b32 s0, s1
	s_cbranch_execnz .LBB2075_742
.LBB2075_66:
	s_or_b32 exec_lo, exec_lo, s0
	s_and_saveexec_b32 s0, s2
	s_cbranch_execnz .LBB2075_743
.LBB2075_67:
	s_or_b32 exec_lo, exec_lo, s0
	s_and_saveexec_b32 s0, s3
	s_cbranch_execnz .LBB2075_744
.LBB2075_68:
	s_or_b32 exec_lo, exec_lo, s0
	s_and_saveexec_b32 s0, s4
	s_cbranch_execnz .LBB2075_745
.LBB2075_69:
	s_or_b32 exec_lo, exec_lo, s0
	s_and_saveexec_b32 s0, s5
	s_cbranch_execnz .LBB2075_746
.LBB2075_70:
	s_or_b32 exec_lo, exec_lo, s0
	s_and_saveexec_b32 s0, s6
	s_cbranch_execnz .LBB2075_747
.LBB2075_71:
	s_or_b32 exec_lo, exec_lo, s0
	s_and_saveexec_b32 s0, s7
	s_cbranch_execnz .LBB2075_748
.LBB2075_72:
	s_or_b32 exec_lo, exec_lo, s0
	v_mul_u32_u24_e32 v15, 10, v12
	s_and_saveexec_b32 s0, s8
	s_cbranch_execz .LBB2075_74
.LBB2075_73:
	flat_load_b128 v[18:21], v12, s[36:37] offset:9216 scale_offset
	s_wait_loadcnt_dscnt 0x0
	scratch_store_b128 off, v[18:21], off offset:144
.LBB2075_74:
	s_wait_xcnt 0x0
	s_or_b32 exec_lo, exec_lo, s0
	scratch_load_b128 v[18:21], off, off
	s_clause 0x8
	scratch_load_b128 v[22:25], off, s50
	scratch_load_b128 v[26:29], off, s49
	scratch_load_b128 v[30:33], off, s48
	scratch_load_b128 v[34:37], off, s47
	scratch_load_b128 v[38:41], off, s56
	scratch_load_b128 v[42:45], off, s55
	scratch_load_b128 v[46:49], off, s54
	scratch_load_b128 v[50:53], off, s53
	scratch_load_b128 v[54:57], off, s52
	v_mad_u32_u24 v16, v12, 12, v16
	s_mov_b32 s0, 0
	s_mov_b32 s1, 0
	s_mov_b32 s2, exec_lo
                                        ; implicit-def: $sgpr4
	s_wait_loadcnt 0x9
	ds_store_b128 v16, v[18:21]
	s_wait_loadcnt 0x8
	ds_store_b128 v16, v[22:25] offset:1024
	s_wait_loadcnt 0x7
	ds_store_b128 v16, v[26:29] offset:2048
	;; [unrolled: 2-line block ×9, first 2 shown]
	v_mad_u32_u24 v58, 0x90, v12, v16
	s_wait_storecnt_dscnt 0x0
	s_barrier_signal -1
	s_barrier_wait -1
	ds_load_b128 v[16:19], v58
	ds_load_b128 v[20:23], v58 offset:16
	ds_load_b128 v[24:27], v58 offset:32
	;; [unrolled: 1-line block ×9, first 2 shown]
	s_wait_dscnt 0x9
	scratch_store_b128 off, v[16:19], off
	s_wait_dscnt 0x8
	scratch_store_b128 off, v[20:23], s50
	s_wait_dscnt 0x7
	scratch_store_b128 off, v[24:27], s49
	;; [unrolled: 2-line block ×9, first 2 shown]
	s_wait_xcnt 0x0
	v_cmpx_gt_u32_e64 s57, v15
	s_cbranch_execz .LBB2075_92
; %bb.75:
	v_mov_b32_e32 v16, 0xa0
	v_cmp_ne_u32_e32 vcc_lo, v4, v5
	s_mov_b32 s3, 0
	s_mov_b32 s1, exec_lo
                                        ; implicit-def: $sgpr4
	s_delay_alu instid0(VALU_DEP_2)
	v_cndmask_b32_e32 v17, 0, v16, vcc_lo
	v_cndmask_b32_e64 v4, 0, 1, vcc_lo
	scratch_load_b128 v[18:21], v17, off
	s_wait_xcnt 0x0
	v_or_b32_e32 v17, 1, v15
	s_wait_loadcnt 0x0
	s_clause 0x1
	scratch_store_b128 off, v[18:21], off offset:240
	scratch_store_b8 off, v4, off offset:256
	s_wait_xcnt 0x0
	v_cmpx_gt_u32_e64 s57, v17
	s_cbranch_execz .LBB2075_91
; %bb.76:
	v_cmp_ne_u32_e32 vcc_lo, v5, v6
	s_mov_b32 s5, 0
	s_mov_b32 s3, exec_lo
                                        ; implicit-def: $sgpr4
	v_cndmask_b32_e32 v5, s50, v16, vcc_lo
	v_cndmask_b32_e64 v4, 0, 1, vcc_lo
	scratch_load_b128 v[16:19], v5, off
	s_wait_xcnt 0x0
	v_add_nc_u32_e32 v5, 2, v15
	s_wait_loadcnt 0x0
	scratch_store_b128 off, v[16:19], s19
	scratch_store_b8 off, v4, off offset:276
	s_wait_xcnt 0x0
	v_cmpx_gt_u32_e64 s57, v5
	s_cbranch_execz .LBB2075_90
; %bb.77:
	v_mov_b32_e32 v4, 0xa0
	v_cmp_ne_u32_e32 vcc_lo, v6, v7
	s_mov_b32 s6, 0
	s_mov_b32 s5, exec_lo
                                        ; implicit-def: $sgpr4
	s_delay_alu instid0(VALU_DEP_2)
	v_cndmask_b32_e32 v6, s49, v4, vcc_lo
	v_cndmask_b32_e64 v5, 0, 1, vcc_lo
	scratch_load_b128 v[16:19], v6, off
	s_wait_xcnt 0x0
	v_add_nc_u32_e32 v6, 3, v15
	s_wait_loadcnt 0x0
	scratch_store_b128 off, v[16:19], s33
	scratch_store_b8 off, v5, off offset:296
	s_wait_xcnt 0x0
	v_cmpx_gt_u32_e64 s57, v6
	s_cbranch_execz .LBB2075_89
; %bb.78:
	v_cmp_ne_u32_e32 vcc_lo, v7, v0
	s_mov_b32 s7, 0
	s_mov_b32 s6, exec_lo
                                        ; implicit-def: $sgpr4
	v_dual_cndmask_b32 v4, s48, v4 :: v_dual_add_nc_u32 v17, 4, v15
	v_cndmask_b32_e64 v16, 0, 1, vcc_lo
	scratch_load_b128 v[4:7], v4, off
	s_wait_loadcnt 0x0
	scratch_store_b128 off, v[4:7], s40
	scratch_store_b8 off, v16, off offset:316
	s_wait_xcnt 0x0
	v_cmpx_gt_u32_e64 s57, v17
	s_cbranch_execz .LBB2075_88
; %bb.79:
	v_mov_b32_e32 v4, 0xa0
	v_cmp_ne_u32_e32 vcc_lo, v0, v1
	s_mov_b32 s8, 0
	s_mov_b32 s7, exec_lo
                                        ; implicit-def: $sgpr4
	s_delay_alu instid0(VALU_DEP_2)
	v_cndmask_b32_e32 v5, s47, v4, vcc_lo
	v_cndmask_b32_e64 v0, 0, 1, vcc_lo
	scratch_load_b128 v[16:19], v5, off
	s_wait_xcnt 0x0
	v_add_nc_u32_e32 v5, 5, v15
	s_wait_loadcnt 0x0
	scratch_store_b128 off, v[16:19], s41
	scratch_store_b8 off, v0, off offset:336
	s_wait_xcnt 0x0
	v_cmpx_gt_u32_e64 s57, v5
	s_cbranch_execz .LBB2075_87
; %bb.80:
	v_cmp_ne_u32_e32 vcc_lo, v1, v2
	s_mov_b32 s9, 0
	s_mov_b32 s8, exec_lo
                                        ; implicit-def: $sgpr4
	v_cndmask_b32_e32 v1, s56, v4, vcc_lo
	v_cndmask_b32_e64 v0, 0, 1, vcc_lo
	scratch_load_b128 v[4:7], v1, off
	s_wait_xcnt 0x0
	v_add_nc_u32_e32 v1, 6, v15
	s_wait_loadcnt 0x0
	scratch_store_b128 off, v[4:7], s42
	scratch_store_b8 off, v0, off offset:356
	s_wait_xcnt 0x0
	v_cmpx_gt_u32_e64 s57, v1
	s_cbranch_execz .LBB2075_86
; %bb.81:
	v_mov_b32_e32 v0, 0xa0
	v_cmp_ne_u32_e32 vcc_lo, v2, v3
	s_mov_b32 s58, 0
	s_mov_b32 s9, exec_lo
                                        ; implicit-def: $sgpr4
	s_delay_alu instid0(VALU_DEP_2)
	v_cndmask_b32_e32 v2, s55, v0, vcc_lo
	v_cndmask_b32_e64 v1, 0, 1, vcc_lo
	scratch_load_b128 v[4:7], v2, off
	s_wait_xcnt 0x0
	v_add_nc_u32_e32 v2, 7, v15
	s_wait_loadcnt 0x0
	scratch_store_b128 off, v[4:7], s43
	scratch_store_b8 off, v1, off offset:376
	s_wait_xcnt 0x0
	v_cmpx_gt_u32_e64 s57, v2
	s_cbranch_execz .LBB2075_85
; %bb.82:
	v_cmp_ne_u32_e32 vcc_lo, v3, v8
	s_mov_b32 s59, 0
	s_mov_b32 s58, exec_lo
                                        ; implicit-def: $sgpr4
	v_dual_cndmask_b32 v0, s54, v0 :: v_dual_add_nc_u32 v5, 8, v15
	v_cndmask_b32_e64 v4, 0, 1, vcc_lo
	scratch_load_b128 v[0:3], v0, off
	s_wait_loadcnt 0x0
	scratch_store_b128 off, v[0:3], s44
	scratch_store_b8 off, v4, off offset:396
	s_wait_xcnt 0x0
	v_cmpx_gt_u32_e64 s57, v5
	s_xor_b32 s58, exec_lo, s58
	s_cbranch_execz .LBB2075_84
; %bb.83:
	v_dual_mov_b32 v0, 0xa0 :: v_dual_add_nc_u32 v5, 9, v15
	v_cmp_ne_u32_e32 vcc_lo, v8, v9
	v_cmp_ne_u32_e64 s4, v9, v14
	s_delay_alu instid0(VALU_DEP_3)
	v_cndmask_b32_e32 v0, s53, v0, vcc_lo
	v_cndmask_b32_e64 v4, 0, 1, vcc_lo
	v_cmp_gt_u32_e32 vcc_lo, s57, v5
	scratch_load_b128 v[0:3], v0, off
	s_wait_loadcnt 0x0
	scratch_store_b128 off, v[0:3], s45
	scratch_store_b8 off, v4, off offset:416
	s_and_b32 s59, vcc_lo, exec_lo
.LBB2075_84:
	s_wait_xcnt 0x0
	s_or_b32 exec_lo, exec_lo, s58
	s_delay_alu instid0(SALU_CYCLE_1)
	s_and_b32 s58, s59, exec_lo
.LBB2075_85:
	s_or_b32 exec_lo, exec_lo, s9
	s_delay_alu instid0(SALU_CYCLE_1)
	s_and_b32 s9, s58, exec_lo
.LBB2075_86:
	s_or_b32 exec_lo, exec_lo, s8
	s_delay_alu instid0(SALU_CYCLE_1)
	s_and_b32 s8, s9, exec_lo
.LBB2075_87:
	s_or_b32 exec_lo, exec_lo, s7
	s_delay_alu instid0(SALU_CYCLE_1)
	s_and_b32 s7, s8, exec_lo
.LBB2075_88:
	s_or_b32 exec_lo, exec_lo, s6
	s_delay_alu instid0(SALU_CYCLE_1)
	s_and_b32 s6, s7, exec_lo
.LBB2075_89:
	s_or_b32 exec_lo, exec_lo, s5
	s_delay_alu instid0(SALU_CYCLE_1)
	s_and_b32 s5, s6, exec_lo
.LBB2075_90:
	s_or_b32 exec_lo, exec_lo, s3
	s_delay_alu instid0(SALU_CYCLE_1)
	s_and_b32 s3, s5, exec_lo
.LBB2075_91:
	s_or_b32 exec_lo, exec_lo, s1
	s_delay_alu instid0(SALU_CYCLE_1)
	s_and_b32 s1, s3, exec_lo
.LBB2075_92:
	s_or_b32 exec_lo, exec_lo, s2
	s_delay_alu instid0(SALU_CYCLE_1)
	s_and_b32 vcc_lo, exec_lo, s0
	s_cbranch_vccnz .LBB2075_94
	s_branch .LBB2075_97
.LBB2075_93:
                                        ; implicit-def: $sgpr4
	s_cbranch_execz .LBB2075_97
.LBB2075_94:
	s_clause 0x9
	flat_load_b32 v0, v12, s[38:39] scale_offset
	flat_load_b32 v1, v12, s[38:39] offset:256 scale_offset
	flat_load_b32 v2, v12, s[38:39] offset:512 scale_offset
	;; [unrolled: 1-line block ×9, first 2 shown]
	v_dual_mov_b32 v14, 0 :: v_dual_lshlrev_b32 v15, 2, v12
	s_mov_b32 s0, exec_lo
	s_wait_loadcnt_dscnt 0x808
	ds_store_2addr_stride64_b32 v15, v0, v1 offset1:1
	s_wait_loadcnt_dscnt 0x607
	ds_store_2addr_stride64_b32 v15, v2, v3 offset0:2 offset1:3
	s_wait_loadcnt_dscnt 0x406
	ds_store_2addr_stride64_b32 v15, v4, v5 offset0:4 offset1:5
	;; [unrolled: 2-line block ×4, first 2 shown]
	s_wait_storecnt_dscnt 0x0
	s_barrier_signal -1
	s_barrier_wait -1
	flat_load_b32 v14, v14, s[38:39] offset:2560
	v_mad_u32_u24 v15, v12, 36, v15
	ds_load_2addr_b64 v[4:7], v15 offset1:1
	ds_load_2addr_b64 v[0:3], v15 offset0:2 offset1:3
	ds_load_b64 v[8:9], v15 offset:32
	v_mad_i32_i24 v15, 0xffffffdc, v12, v15
	s_wait_dscnt 0x2
	ds_store_b32 v15, v4 offset:2816
	s_wait_loadcnt_dscnt 0x0
	s_barrier_signal -1
	s_barrier_wait -1
	v_cmpx_ne_u32_e32 63, v12
; %bb.95:
	ds_load_b32 v14, v15 offset:2820
; %bb.96:
	s_or_b32 exec_lo, exec_lo, s0
	s_wait_dscnt 0x0
	s_barrier_signal -1
	s_barrier_wait -1
	flat_load_b128 v[16:19], v12, s[36:37] scale_offset
	v_cmp_ne_u32_e64 s2, v7, v0
	v_cmp_ne_u32_e64 s3, v0, v1
	v_mad_u32_u24 v0, v12, 12, v15
	v_cmp_ne_u32_e32 vcc_lo, v4, v5
	v_cmp_ne_u32_e64 s0, v5, v6
	v_cmp_ne_u32_e64 s1, v6, v7
	;; [unrolled: 1-line block ×3, first 2 shown]
	v_mad_u32_u24 v64, 0x90, v12, v0
	v_cmp_ne_u32_e64 s5, v2, v3
	v_cmp_ne_u32_e64 s6, v3, v8
	v_mov_b32_e32 v63, 0xa0
	v_cmp_ne_u32_e64 s7, v8, v9
	v_cndmask_b32_e64 v61, 0, 1, s4
	v_cndmask_b32_e64 v58, 0, 1, s1
	v_cndmask_b32_e64 v56, 0, 1, vcc_lo
	v_cndmask_b32_e64 v57, 0, 1, s0
	v_cndmask_b32_e64 v59, 0, 1, s2
	;; [unrolled: 1-line block ×6, first 2 shown]
	s_wait_loadcnt_dscnt 0x0
	scratch_store_b128 off, v[16:19], off
	flat_load_b128 v[16:19], v12, s[36:37] offset:1024 scale_offset
	s_wait_loadcnt_dscnt 0x0
	scratch_store_b128 off, v[16:19], off offset:16
	flat_load_b128 v[16:19], v12, s[36:37] offset:2048 scale_offset
	s_wait_loadcnt_dscnt 0x0
	scratch_store_b128 off, v[16:19], off offset:32
	;; [unrolled: 3-line block ×8, first 2 shown]
	flat_load_b128 v[16:19], v12, s[36:37] offset:9216 scale_offset
	scratch_load_b128 v[20:23], off, off
	s_clause 0x6
	scratch_load_b128 v[24:27], off, s50
	scratch_load_b128 v[28:31], off, s49
	;; [unrolled: 1-line block ×7, first 2 shown]
	s_wait_loadcnt_dscnt 0x800
	scratch_store_b128 off, v[16:19], off offset:144
	s_clause 0x1
	scratch_load_b128 v[16:19], off, s53
	scratch_load_b128 v[52:55], off, s52
	s_wait_loadcnt 0x9
	ds_store_b128 v0, v[20:23]
	s_wait_loadcnt 0x8
	ds_store_b128 v0, v[24:27] offset:1024
	s_wait_loadcnt 0x7
	ds_store_b128 v0, v[28:31] offset:2048
	;; [unrolled: 2-line block ×9, first 2 shown]
	s_wait_storecnt_dscnt 0x0
	s_barrier_signal -1
	s_barrier_wait -1
	ds_load_b128 v[0:3], v64
	ds_load_b128 v[4:7], v64 offset:16
	ds_load_b128 v[16:19], v64 offset:32
	;; [unrolled: 1-line block ×8, first 2 shown]
	v_cndmask_b32_e64 v49, s50, v63, s0
	v_cndmask_b32_e64 v50, s49, v63, s1
	;; [unrolled: 1-line block ×3, first 2 shown]
	v_cndmask_b32_e32 v48, 0, v63, vcc_lo
	v_cndmask_b32_e64 v52, s47, v63, s3
	v_cndmask_b32_e64 v53, s56, v63, s4
	;; [unrolled: 1-line block ×3, first 2 shown]
	ds_load_b128 v[44:47], v64 offset:144
	v_cndmask_b32_e64 v55, s54, v63, s6
	s_wait_dscnt 0x9
	scratch_store_b128 off, v[0:3], off
	s_wait_dscnt 0x8
	scratch_store_b128 off, v[4:7], s50
	s_wait_dscnt 0x7
	scratch_store_b128 off, v[16:19], s49
	;; [unrolled: 2-line block ×5, first 2 shown]
	scratch_load_b128 v[0:3], v49, off
	scratch_load_b128 v[4:7], v50, off
	;; [unrolled: 1-line block ×3, first 2 shown]
	s_wait_dscnt 0x3
	scratch_store_b128 off, v[32:35], s55
	s_wait_dscnt 0x2
	scratch_store_b128 off, v[36:39], s54
	;; [unrolled: 2-line block ×3, first 2 shown]
	v_cndmask_b32_e64 v63, s53, v63, s7
	scratch_load_b128 v[20:23], v51, off
	scratch_load_b128 v[24:27], v52, off
	scratch_load_b128 v[28:31], v53, off
	scratch_load_b128 v[32:35], v54, off
	scratch_load_b128 v[36:39], v55, off
	scratch_load_b128 v[40:43], v63, off
	v_cmp_ne_u32_e64 s4, v9, v14
	s_mov_b32 s1, -1
	s_wait_dscnt 0x0
	scratch_store_b128 off, v[44:47], s52
	s_wait_loadcnt 0x8
	scratch_store_b128 off, v[0:3], s19
	s_wait_loadcnt 0x7
	;; [unrolled: 2-line block ×3, first 2 shown]
	s_clause 0x3
	scratch_store_b128 off, v[16:19], off offset:240
	scratch_store_b8 off, v56, off offset:256
	scratch_store_b8 off, v57, off offset:276
	;; [unrolled: 1-line block ×3, first 2 shown]
	s_wait_loadcnt 0x5
	scratch_store_b128 off, v[20:23], s40
	s_wait_loadcnt 0x4
	scratch_store_b128 off, v[24:27], s41
	;; [unrolled: 2-line block ×6, first 2 shown]
	s_clause 0x5
	scratch_store_b8 off, v59, off offset:316
	scratch_store_b8 off, v60, off offset:336
	;; [unrolled: 1-line block ×6, first 2 shown]
.LBB2075_97:
	s_wait_xcnt 0x0
	s_and_saveexec_b32 s0, s1
	s_cbranch_execz .LBB2075_99
; %bb.98:
	v_mov_b32_e32 v0, 0xa0
	v_cndmask_b32_e64 v4, 0, 1, s4
	s_delay_alu instid0(VALU_DEP_2)
	v_cndmask_b32_e64 v0, s52, v0, s4
	scratch_load_b128 v[0:3], v0, off
	s_wait_loadcnt 0x0
	scratch_store_b128 off, v[0:3], s46
	scratch_store_b8 off, v4, off offset:436
.LBB2075_99:
	s_wait_xcnt 0x0
	s_or_b32 exec_lo, exec_lo, s0
	v_add3_u32 v13, v13, v11, v10
	s_cmp_lg_u32 s34, 0
	s_wait_storecnt 0x0
	s_barrier_signal -1
	s_barrier_wait -1
	s_cbranch_scc0 .LBB2075_355
; %bb.100:
	s_clause 0x2
	scratch_load_u8 v5, off, off offset:276
	scratch_load_b128 v[0:3], off, off offset:240
	scratch_load_b32 v4, off, off offset:256
	s_mov_b32 s0, exec_lo
	s_wait_loadcnt 0x1
	scratch_store_b128 off, v[0:3], off offset:200
	s_wait_loadcnt 0x0
	scratch_store_b32 off, v4, off offset:216
                                        ; implicit-def: $vgpr2_vgpr3
	s_wait_xcnt 0x0
	v_cmpx_ne_u16_e32 0, v5
	s_xor_b32 s0, exec_lo, s0
	s_cbranch_execz .LBB2075_102
; %bb.101:
	scratch_load_b128 v[0:3], off, off offset:260
.LBB2075_102:
	s_wait_xcnt 0x0
	s_or_saveexec_b32 s0, s0
	v_lshl_add_u32 v6, v13, 4, 0x2800
	s_xor_b32 exec_lo, exec_lo, s0
	s_cbranch_execz .LBB2075_108
; %bb.103:
	s_wait_loadcnt 0x0
	v_mov_b32_e32 v0, 0
	s_mov_b32 s1, 0
.LBB2075_104:                           ; =>This Inner Loop Header: Depth=1
	s_delay_alu instid0(SALU_CYCLE_1) | instskip(SKIP_1) | instid1(SALU_CYCLE_1)
	v_add_nc_u32_e32 v1, s1, v6
	s_add_co_i32 s1, s1, 8
	s_cmp_lg_u32 s1, 16
	ds_store_2addr_b32 v1, v0, v0 offset1:1
	s_cbranch_scc1 .LBB2075_104
; %bb.105:
	s_mov_b32 s1, 0
.LBB2075_106:                           ; =>This Inner Loop Header: Depth=1
	s_wait_xcnt 0x1
	s_add_co_i32 s2, s1, 0xc8
	s_wait_xcnt 0x0
	s_add_co_i32 s3, s19, s1
	scratch_load_b64 v[0:1], off, s2
	scratch_load_b64 v[2:3], off, s3
	v_add_nc_u32_e32 v7, s1, v6
	s_add_co_i32 s1, s1, 8
                                        ; kill: killed $sgpr3
                                        ; kill: killed $sgpr2
	s_delay_alu instid0(SALU_CYCLE_1)
	s_cmp_lg_u32 s1, 16
	s_wait_loadcnt 0x0
	v_dual_add_nc_u32 v1, v3, v1 :: v_dual_add_nc_u32 v0, v2, v0
	ds_store_2addr_b32 v7, v0, v1 offset1:1
	s_cbranch_scc1 .LBB2075_106
; %bb.107:
	ds_load_2addr_b32 v[0:1], v6 offset1:1
	ds_load_2addr_b32 v[2:3], v6 offset0:2 offset1:3
.LBB2075_108:
	s_wait_xcnt 0x0
	s_or_b32 exec_lo, exec_lo, s0
	scratch_load_u8 v7, off, off offset:296
	s_mov_b32 s0, exec_lo
	s_wait_loadcnt_dscnt 0x100
	scratch_store_b128 off, v[0:3], off offset:200
                                        ; implicit-def: $vgpr2_vgpr3
	s_wait_loadcnt 0x0
	v_cmpx_ne_u16_e32 0, v7
	s_xor_b32 s0, exec_lo, s0
	s_cbranch_execz .LBB2075_110
; %bb.109:
	scratch_load_b128 v[0:3], off, off offset:280
.LBB2075_110:
	s_wait_xcnt 0x0
	s_and_not1_saveexec_b32 s0, s0
	s_cbranch_execz .LBB2075_116
; %bb.111:
	s_wait_loadcnt 0x0
	v_mov_b32_e32 v0, 0
	s_mov_b32 s1, 0
.LBB2075_112:                           ; =>This Inner Loop Header: Depth=1
	s_delay_alu instid0(SALU_CYCLE_1) | instskip(SKIP_1) | instid1(SALU_CYCLE_1)
	v_add_nc_u32_e32 v1, s1, v6
	s_add_co_i32 s1, s1, 8
	s_cmp_lg_u32 s1, 16
	ds_store_2addr_b32 v1, v0, v0 offset1:1
	s_cbranch_scc1 .LBB2075_112
; %bb.113:
	s_mov_b32 s1, 0
.LBB2075_114:                           ; =>This Inner Loop Header: Depth=1
	s_wait_xcnt 0x1
	s_add_co_i32 s2, s1, 0xc8
	s_wait_xcnt 0x0
	s_add_co_i32 s3, s33, s1
	scratch_load_b64 v[0:1], off, s2
	scratch_load_b64 v[2:3], off, s3
	v_add_nc_u32_e32 v8, s1, v6
	s_add_co_i32 s1, s1, 8
                                        ; kill: killed $sgpr3
                                        ; kill: killed $sgpr2
	s_delay_alu instid0(SALU_CYCLE_1)
	s_cmp_lg_u32 s1, 16
	s_wait_loadcnt 0x0
	v_dual_add_nc_u32 v1, v3, v1 :: v_dual_add_nc_u32 v0, v2, v0
	ds_store_2addr_b32 v8, v0, v1 offset1:1
	s_cbranch_scc1 .LBB2075_114
; %bb.115:
	ds_load_2addr_b32 v[0:1], v6 offset1:1
	ds_load_2addr_b32 v[2:3], v6 offset0:2 offset1:3
.LBB2075_116:
	s_wait_xcnt 0x0
	s_or_b32 exec_lo, exec_lo, s0
	scratch_load_u8 v8, off, off offset:316
	s_mov_b32 s0, exec_lo
	s_wait_loadcnt_dscnt 0x100
	scratch_store_b128 off, v[0:3], off offset:200
                                        ; implicit-def: $vgpr2_vgpr3
	s_wait_loadcnt 0x0
	v_cmpx_ne_u16_e32 0, v8
	s_xor_b32 s0, exec_lo, s0
	s_cbranch_execz .LBB2075_118
; %bb.117:
	scratch_load_b128 v[0:3], off, off offset:300
.LBB2075_118:
	s_wait_xcnt 0x0
	s_and_not1_saveexec_b32 s0, s0
	;; [unrolled: 51-line block ×5, first 2 shown]
	s_cbranch_execz .LBB2075_148
; %bb.143:
	s_wait_loadcnt 0x0
	v_mov_b32_e32 v0, 0
	s_mov_b32 s1, 0
.LBB2075_144:                           ; =>This Inner Loop Header: Depth=1
	s_delay_alu instid0(SALU_CYCLE_1) | instskip(SKIP_1) | instid1(SALU_CYCLE_1)
	v_add_nc_u32_e32 v1, s1, v6
	s_add_co_i32 s1, s1, 8
	s_cmp_lg_u32 s1, 16
	ds_store_2addr_b32 v1, v0, v0 offset1:1
	s_cbranch_scc1 .LBB2075_144
; %bb.145:
	s_mov_b32 s1, 0
.LBB2075_146:                           ; =>This Inner Loop Header: Depth=1
	s_wait_xcnt 0x1
	s_add_co_i32 s2, s1, 0xc8
	s_wait_xcnt 0x0
	s_add_co_i32 s3, s43, s1
	scratch_load_b64 v[0:1], off, s2
	scratch_load_b64 v[2:3], off, s3
	v_add_nc_u32_e32 v14, s1, v6
	s_add_co_i32 s1, s1, 8
                                        ; kill: killed $sgpr2
                                        ; kill: killed $sgpr3
	s_delay_alu instid0(SALU_CYCLE_1)
	s_cmp_lg_u32 s1, 16
	s_wait_loadcnt 0x0
	v_dual_add_nc_u32 v1, v3, v1 :: v_dual_add_nc_u32 v0, v2, v0
	ds_store_2addr_b32 v14, v0, v1 offset1:1
	s_cbranch_scc1 .LBB2075_146
; %bb.147:
	ds_load_2addr_b32 v[0:1], v6 offset1:1
	ds_load_2addr_b32 v[2:3], v6 offset0:2 offset1:3
.LBB2075_148:
	s_wait_xcnt 0x0
	s_or_b32 exec_lo, exec_lo, s0
	scratch_load_u8 v14, off, off offset:396
	s_mov_b32 s0, exec_lo
	s_wait_loadcnt_dscnt 0x100
	scratch_store_b128 off, v[0:3], off offset:200
                                        ; implicit-def: $vgpr2_vgpr3
	s_wait_loadcnt 0x0
	v_cmpx_ne_u16_e32 0, v14
	s_xor_b32 s0, exec_lo, s0
	s_cbranch_execz .LBB2075_150
; %bb.149:
	scratch_load_b128 v[0:3], off, off offset:380
.LBB2075_150:
	s_wait_xcnt 0x0
	s_and_not1_saveexec_b32 s0, s0
	s_cbranch_execz .LBB2075_156
; %bb.151:
	s_wait_loadcnt 0x0
	v_mov_b32_e32 v0, 0
	s_mov_b32 s1, 0
.LBB2075_152:                           ; =>This Inner Loop Header: Depth=1
	s_delay_alu instid0(SALU_CYCLE_1) | instskip(SKIP_1) | instid1(SALU_CYCLE_1)
	v_add_nc_u32_e32 v1, s1, v6
	s_add_co_i32 s1, s1, 8
	s_cmp_lg_u32 s1, 16
	ds_store_2addr_b32 v1, v0, v0 offset1:1
	s_cbranch_scc1 .LBB2075_152
; %bb.153:
	s_mov_b32 s1, 0
.LBB2075_154:                           ; =>This Inner Loop Header: Depth=1
	s_wait_xcnt 0x1
	s_add_co_i32 s2, s1, 0xc8
	s_wait_xcnt 0x0
	s_add_co_i32 s3, s44, s1
	scratch_load_b64 v[0:1], off, s2
	scratch_load_b64 v[2:3], off, s3
	v_add_nc_u32_e32 v15, s1, v6
	s_add_co_i32 s1, s1, 8
                                        ; kill: killed $sgpr3
                                        ; kill: killed $sgpr2
	s_delay_alu instid0(SALU_CYCLE_1)
	s_cmp_lg_u32 s1, 16
	s_wait_loadcnt 0x0
	v_dual_add_nc_u32 v1, v3, v1 :: v_dual_add_nc_u32 v0, v2, v0
	ds_store_2addr_b32 v15, v0, v1 offset1:1
	s_cbranch_scc1 .LBB2075_154
; %bb.155:
	ds_load_2addr_b32 v[0:1], v6 offset1:1
	ds_load_2addr_b32 v[2:3], v6 offset0:2 offset1:3
.LBB2075_156:
	s_wait_xcnt 0x0
	s_or_b32 exec_lo, exec_lo, s0
	scratch_load_u8 v15, off, off offset:416
	s_mov_b32 s0, exec_lo
	s_wait_loadcnt_dscnt 0x100
	scratch_store_b128 off, v[0:3], off offset:200
                                        ; implicit-def: $vgpr2_vgpr3
	s_wait_loadcnt 0x0
	v_cmpx_ne_u16_e32 0, v15
	s_xor_b32 s0, exec_lo, s0
	s_cbranch_execz .LBB2075_158
; %bb.157:
	scratch_load_b128 v[0:3], off, off offset:400
.LBB2075_158:
	s_wait_xcnt 0x0
	s_and_not1_saveexec_b32 s0, s0
	s_cbranch_execz .LBB2075_164
; %bb.159:
	s_wait_loadcnt 0x0
	v_mov_b32_e32 v0, 0
	s_mov_b32 s1, 0
.LBB2075_160:                           ; =>This Inner Loop Header: Depth=1
	s_delay_alu instid0(SALU_CYCLE_1) | instskip(SKIP_1) | instid1(SALU_CYCLE_1)
	v_add_nc_u32_e32 v1, s1, v6
	s_add_co_i32 s1, s1, 8
	s_cmp_lg_u32 s1, 16
	ds_store_2addr_b32 v1, v0, v0 offset1:1
	s_cbranch_scc1 .LBB2075_160
; %bb.161:
	s_mov_b32 s1, 0
.LBB2075_162:                           ; =>This Inner Loop Header: Depth=1
	s_wait_xcnt 0x1
	s_add_co_i32 s2, s1, 0xc8
	s_wait_xcnt 0x0
	s_add_co_i32 s3, s45, s1
	scratch_load_b64 v[0:1], off, s2
	scratch_load_b64 v[2:3], off, s3
	v_add_nc_u32_e32 v16, s1, v6
	s_add_co_i32 s1, s1, 8
                                        ; kill: killed $sgpr3
                                        ; kill: killed $sgpr2
	s_delay_alu instid0(SALU_CYCLE_1)
	s_cmp_lg_u32 s1, 16
	s_wait_loadcnt 0x0
	v_dual_add_nc_u32 v1, v3, v1 :: v_dual_add_nc_u32 v0, v2, v0
	ds_store_2addr_b32 v16, v0, v1 offset1:1
	s_cbranch_scc1 .LBB2075_162
; %bb.163:
	ds_load_2addr_b32 v[0:1], v6 offset1:1
	ds_load_2addr_b32 v[2:3], v6 offset0:2 offset1:3
.LBB2075_164:
	s_wait_xcnt 0x0
	s_or_b32 exec_lo, exec_lo, s0
	scratch_load_u8 v16, off, off offset:436
	s_mov_b32 s0, exec_lo
	s_wait_loadcnt_dscnt 0x100
	scratch_store_b128 off, v[0:3], off offset:200
                                        ; implicit-def: $vgpr2_vgpr3
	s_wait_loadcnt 0x0
	v_cmpx_ne_u16_e32 0, v16
	s_xor_b32 s0, exec_lo, s0
	s_cbranch_execz .LBB2075_166
; %bb.165:
	scratch_load_b128 v[0:3], off, off offset:420
                                        ; implicit-def: $vgpr6
.LBB2075_166:
	s_wait_xcnt 0x0
	s_and_not1_saveexec_b32 s0, s0
	s_cbranch_execz .LBB2075_172
; %bb.167:
	s_wait_loadcnt 0x0
	v_mov_b32_e32 v0, 0
	s_mov_b32 s1, 0
.LBB2075_168:                           ; =>This Inner Loop Header: Depth=1
	s_delay_alu instid0(SALU_CYCLE_1) | instskip(SKIP_1) | instid1(SALU_CYCLE_1)
	v_add_nc_u32_e32 v1, s1, v6
	s_add_co_i32 s1, s1, 8
	s_cmp_lg_u32 s1, 16
	ds_store_2addr_b32 v1, v0, v0 offset1:1
	s_cbranch_scc1 .LBB2075_168
; %bb.169:
	s_mov_b32 s1, 0
.LBB2075_170:                           ; =>This Inner Loop Header: Depth=1
	s_wait_xcnt 0x1
	s_add_co_i32 s2, s1, 0xc8
	s_wait_xcnt 0x0
	s_add_co_i32 s3, s46, s1
	scratch_load_b64 v[0:1], off, s2
	scratch_load_b64 v[2:3], off, s3
	v_add_nc_u32_e32 v17, s1, v6
	s_add_co_i32 s1, s1, 8
                                        ; kill: killed $sgpr3
                                        ; kill: killed $sgpr2
	s_delay_alu instid0(SALU_CYCLE_1)
	s_cmp_lg_u32 s1, 16
	s_wait_loadcnt 0x0
	v_dual_add_nc_u32 v1, v3, v1 :: v_dual_add_nc_u32 v0, v2, v0
	ds_store_2addr_b32 v17, v0, v1 offset1:1
	s_cbranch_scc1 .LBB2075_170
; %bb.171:
	ds_load_2addr_b32 v[0:1], v6 offset1:1
	ds_load_2addr_b32 v[2:3], v6 offset0:2 offset1:3
.LBB2075_172:
	s_wait_xcnt 0x0
	s_or_b32 exec_lo, exec_lo, s0
	v_or_b32_e32 v6, v15, v14
	v_or_b32_e32 v9, v10, v9
	v_and_b32_e32 v10, 1, v11
	v_or_b32_e32 v5, v7, v5
	v_and_b32_e32 v7, 1, v8
	v_cmp_ne_u16_e32 vcc_lo, 0, v6
	v_and_b32_e32 v6, 1, v16
	v_cmp_ne_u16_e64 s0, 0, v9
	v_cmp_eq_u32_e64 s1, 1, v10
	v_cmp_ne_u16_e64 s2, 0, v5
	v_cmp_eq_u32_e64 s3, 1, v7
	v_cmp_eq_u32_e64 s4, 1, v6
	v_and_b32_e32 v4, 1, v4
	s_or_b32 s0, s0, s1
	v_mul_u32_u24_e32 v5, 20, v12
	s_or_b32 s1, s2, s3
	s_or_b32 s2, vcc_lo, s4
	v_cmp_eq_u32_e32 vcc_lo, 1, v4
	s_or_b32 s0, s2, s0
	v_lshrrev_b32_e32 v4, 5, v12
	s_or_b32 s0, s0, s1
	s_delay_alu instid0(SALU_CYCLE_1)
	s_or_b32 s0, s0, vcc_lo
	v_cmp_gt_u32_e32 vcc_lo, 32, v12
	v_cndmask_b32_e64 v14, 0, 1, s0
	v_mad_u32_u24 v4, v4, 20, v5
	s_wait_loadcnt_dscnt 0x0
	s_clause 0x1
	scratch_store_b128 off, v[0:3], off offset:200
	scratch_store_b8 off, v14, off offset:216
	ds_store_2addr_b32 v4, v0, v1 offset1:1
	ds_store_2addr_b32 v4, v2, v3 offset0:2 offset1:3
	ds_store_b8 v4, v14 offset:16
	s_wait_storecnt_dscnt 0x0
	s_barrier_signal -1
	s_barrier_wait -1
	s_wait_xcnt 0x0
	s_and_saveexec_b32 s0, vcc_lo
	s_delay_alu instid0(SALU_CYCLE_1)
	s_xor_b32 s2, exec_lo, s0
	s_cbranch_execz .LBB2075_240
; %bb.173:
	v_lshrrev_b32_e32 v10, 4, v12
	v_mul_u32_u24_e32 v11, 40, v12
	v_mul_lo_u32 v17, v13, 20
	s_delay_alu instid0(VALU_DEP_2)
	v_mad_u32_u24 v8, v10, 20, v11
	ds_load_u8 v15, v8 offset:36
	ds_load_b32 v16, v8 offset:16
	ds_load_2addr_b32 v[4:5], v8 offset1:1
	ds_load_2addr_b32 v[6:7], v8 offset0:2 offset1:3
	v_add_nc_u32_e32 v9, 0x2c00, v17
	v_add_nc_u32_e32 v18, 0x2c08, v17
	s_wait_dscnt 0x1
	ds_store_2addr_b32 v9, v4, v5 offset1:1
	s_wait_dscnt 0x1
	ds_store_2addr_b32 v18, v6, v7 offset1:1
	ds_store_b32 v17, v16 offset:11280
	v_cmp_ne_u16_e64 s0, 0, v15
                                        ; implicit-def: $vgpr4_vgpr5
	s_and_saveexec_b32 s1, s0
	s_delay_alu instid0(SALU_CYCLE_1)
	s_xor_b32 s0, exec_lo, s1
	s_cbranch_execz .LBB2075_175
; %bb.174:
	ds_load_2addr_b32 v[4:5], v8 offset0:5 offset1:6
	ds_load_2addr_b32 v[6:7], v8 offset0:7 offset1:8
.LBB2075_175:
	s_and_not1_saveexec_b32 s0, s0
	s_cbranch_execz .LBB2075_181
; %bb.176:
	s_wait_dscnt 0x1
	v_mov_b64_e32 v[4:5], 0
	s_mov_b32 s1, 0
.LBB2075_177:                           ; =>This Inner Loop Header: Depth=1
	s_wait_xcnt 0x0
	s_mov_b32 s3, s1
	s_add_co_i32 s1, s1, 8
	scratch_store_b64 off, v[4:5], s3
	s_cmp_lg_u32 s1, 16
	s_cbranch_scc1 .LBB2075_177
; %bb.178:
	s_wait_xcnt 0x0
	v_mul_u32_u24_e32 v4, 20, v10
	s_mov_b32 s1, 0
	s_delay_alu instid0(VALU_DEP_1)
	v_add3_u32 v4, v11, v4, 20
.LBB2075_179:                           ; =>This Inner Loop Header: Depth=1
	s_delay_alu instid0(VALU_DEP_1)
	v_dual_add_nc_u32 v5, s1, v9 :: v_dual_add_nc_u32 v17, s1, v4
	s_wait_xcnt 0x0
	s_mov_b32 s3, s1
	s_add_co_i32 s1, s1, 8
	s_wait_dscnt 0x0
	ds_load_2addr_b32 v[6:7], v5 offset1:1
	ds_load_2addr_b32 v[18:19], v17 offset1:1
	s_cmp_lg_u32 s1, 16
	s_wait_dscnt 0x0
	v_dual_add_nc_u32 v7, v19, v7 :: v_dual_add_nc_u32 v6, v18, v6
	scratch_store_b64 off, v[6:7], s3
	s_cbranch_scc1 .LBB2075_179
; %bb.180:
	scratch_load_b128 v[4:7], off, off
.LBB2075_181:
	s_wait_xcnt 0x0
	s_or_b32 exec_lo, exec_lo, s0
	v_bitop3_b16 v15, v15, 1, v16 bitop3:0xc8
	s_wait_loadcnt_dscnt 0x1
	v_mov_b32_dpp v20, v4 row_shr:1 row_mask:0xf bank_mask:0xf
	v_mov_b32_dpp v21, v5 row_shr:1 row_mask:0xf bank_mask:0xf
	s_wait_dscnt 0x0
	v_mov_b32_dpp v22, v6 row_shr:1 row_mask:0xf bank_mask:0xf
	v_mov_b32_dpp v23, v7 row_shr:1 row_mask:0xf bank_mask:0xf
	ds_store_b8 v9, v15 offset:16
	ds_load_b32 v16, v9 offset:16
	v_mbcnt_lo_u32_b32 v15, -1, 0
	s_mov_b32 s1, exec_lo
	ds_store_2addr_b32 v9, v4, v5 offset1:1
	ds_store_2addr_b32 v9, v6, v7 offset0:2 offset1:3
	v_and_b32_e32 v17, 15, v15
	s_wait_dscnt 0x2
	v_mov_b32_dpp v18, v16 row_shr:1 row_mask:0xf bank_mask:0xf
	s_clause 0x1
	scratch_store_b128 off, v[20:23], off
	scratch_store_b32 off, v18, off offset:16
	s_wait_xcnt 0x0
	v_cmpx_ne_u32_e32 0, v17
	s_xor_b32 s1, exec_lo, s1
	s_cbranch_execz .LBB2075_189
; %bb.182:
	v_and_b32_e32 v19, 0xff, v16
	s_mov_b32 s3, exec_lo
	s_delay_alu instid0(VALU_DEP_1)
	v_cmpx_eq_u16_e32 0, v19
	s_cbranch_execz .LBB2075_188
; %bb.183:
	v_mov_b64_e32 v[4:5], 0
	s_mov_b32 s0, 0
.LBB2075_184:                           ; =>This Inner Loop Header: Depth=1
	s_wait_xcnt 0x0
	s_add_co_i32 s4, s0, 0xa0
	s_add_co_i32 s0, s0, 8
	scratch_store_b64 off, v[4:5], s4
	s_cmp_lg_u32 s0, 16
	s_cbranch_scc1 .LBB2075_184
; %bb.185:
	s_mov_b32 s0, 0
.LBB2075_186:                           ; =>This Inner Loop Header: Depth=1
	scratch_load_b64 v[4:5], off, s0
	v_add_nc_u32_e32 v6, s0, v9
	s_add_co_i32 s4, s0, 0xa0
	s_wait_xcnt 0x0
	s_add_co_i32 s0, s0, 8
	s_delay_alu instid0(SALU_CYCLE_1)
	s_cmp_lg_u32 s0, 16
	ds_load_2addr_b32 v[6:7], v6 offset1:1
	s_wait_loadcnt_dscnt 0x0
	v_dual_add_nc_u32 v5, v7, v5 :: v_dual_add_nc_u32 v4, v6, v4
	scratch_store_b64 off, v[4:5], s4
	s_cbranch_scc1 .LBB2075_186
; %bb.187:
	scratch_load_b128 v[4:7], off, off offset:160
.LBB2075_188:
	s_wait_xcnt 0x0
	s_or_b32 exec_lo, exec_lo, s3
	v_or_b32_e32 v16, v18, v16
	s_delay_alu instid0(VALU_DEP_1)
	v_and_b32_e32 v16, 1, v16
	ds_store_b8 v9, v16 offset:16
	ds_load_b32 v16, v9 offset:16
	s_wait_loadcnt 0x0
	ds_store_2addr_b32 v9, v4, v5 offset1:1
	ds_store_2addr_b32 v9, v6, v7 offset0:2 offset1:3
.LBB2075_189:
	s_or_b32 exec_lo, exec_lo, s1
	v_mov_b32_dpp v20, v4 row_shr:2 row_mask:0xf bank_mask:0xf
	v_mov_b32_dpp v21, v5 row_shr:2 row_mask:0xf bank_mask:0xf
	;; [unrolled: 1-line block ×4, first 2 shown]
	s_wait_dscnt 0x2
	v_mov_b32_dpp v18, v16 row_shr:2 row_mask:0xf bank_mask:0xf
	s_mov_b32 s3, exec_lo
	s_clause 0x1
	scratch_store_b128 off, v[20:23], off
	scratch_store_b32 off, v18, off offset:16
	s_wait_xcnt 0x0
	v_cmpx_lt_u32_e32 1, v17
	s_cbranch_execz .LBB2075_197
; %bb.190:
	v_and_b32_e32 v19, 0xff, v16
	s_mov_b32 s4, 0
	s_mov_b32 s1, exec_lo
	s_delay_alu instid0(VALU_DEP_1)
	v_cmpx_eq_u16_e32 0, v19
	s_cbranch_execz .LBB2075_196
; %bb.191:
	v_mov_b64_e32 v[4:5], 0
.LBB2075_192:                           ; =>This Inner Loop Header: Depth=1
	s_wait_xcnt 0x0
	s_add_co_i32 s0, s4, 0xa0
	s_add_co_i32 s4, s4, 8
	scratch_store_b64 off, v[4:5], s0
	s_cmp_lg_u32 s4, 16
	s_cbranch_scc1 .LBB2075_192
; %bb.193:
	s_wait_xcnt 0x0
	s_mov_b32 s0, 0
.LBB2075_194:                           ; =>This Inner Loop Header: Depth=1
	scratch_load_b64 v[4:5], off, s0
	v_add_nc_u32_e32 v6, s0, v9
	s_add_co_i32 s4, s0, 0xa0
	s_wait_xcnt 0x0
	s_add_co_i32 s0, s0, 8
	s_delay_alu instid0(SALU_CYCLE_1)
	s_cmp_lg_u32 s0, 16
	ds_load_2addr_b32 v[6:7], v6 offset1:1
	s_wait_loadcnt_dscnt 0x0
	v_dual_add_nc_u32 v5, v7, v5 :: v_dual_add_nc_u32 v4, v6, v4
	scratch_store_b64 off, v[4:5], s4
	s_cbranch_scc1 .LBB2075_194
; %bb.195:
	scratch_load_b128 v[4:7], off, off offset:160
.LBB2075_196:
	s_wait_xcnt 0x0
	s_or_b32 exec_lo, exec_lo, s1
	v_and_b32_e32 v16, 1, v16
	v_and_b32_e32 v18, 1, v18
	s_delay_alu instid0(VALU_DEP_2) | instskip(NEXT) | instid1(VALU_DEP_2)
	v_cmp_eq_u32_e64 s0, 1, v16
	v_cmp_eq_u32_e64 s1, 1, v18
	s_or_b32 s0, s0, s1
	s_delay_alu instid0(SALU_CYCLE_1)
	v_cndmask_b32_e64 v16, 0, 1, s0
	ds_store_b8 v9, v16 offset:16
	ds_load_b32 v16, v9 offset:16
	s_wait_loadcnt 0x0
	ds_store_2addr_b32 v9, v4, v5 offset1:1
	ds_store_2addr_b32 v9, v6, v7 offset0:2 offset1:3
.LBB2075_197:
	s_or_b32 exec_lo, exec_lo, s3
	v_mov_b32_dpp v20, v4 row_shr:4 row_mask:0xf bank_mask:0xf
	v_mov_b32_dpp v21, v5 row_shr:4 row_mask:0xf bank_mask:0xf
	;; [unrolled: 1-line block ×4, first 2 shown]
	s_wait_dscnt 0x2
	v_mov_b32_dpp v18, v16 row_shr:4 row_mask:0xf bank_mask:0xf
	s_mov_b32 s3, exec_lo
	s_clause 0x1
	scratch_store_b128 off, v[20:23], off
	scratch_store_b32 off, v18, off offset:16
	s_wait_xcnt 0x0
	v_cmpx_lt_u32_e32 3, v17
	s_cbranch_execz .LBB2075_205
; %bb.198:
	v_and_b32_e32 v19, 0xff, v16
	s_mov_b32 s4, 0
	s_mov_b32 s1, exec_lo
	s_delay_alu instid0(VALU_DEP_1)
	v_cmpx_eq_u16_e32 0, v19
	s_cbranch_execz .LBB2075_204
; %bb.199:
	v_mov_b64_e32 v[4:5], 0
.LBB2075_200:                           ; =>This Inner Loop Header: Depth=1
	s_wait_xcnt 0x0
	s_add_co_i32 s0, s4, 0xa0
	s_add_co_i32 s4, s4, 8
	scratch_store_b64 off, v[4:5], s0
	s_cmp_lg_u32 s4, 16
	s_cbranch_scc1 .LBB2075_200
; %bb.201:
	s_wait_xcnt 0x0
	s_mov_b32 s0, 0
.LBB2075_202:                           ; =>This Inner Loop Header: Depth=1
	scratch_load_b64 v[4:5], off, s0
	v_add_nc_u32_e32 v6, s0, v9
	s_add_co_i32 s4, s0, 0xa0
	s_wait_xcnt 0x0
	s_add_co_i32 s0, s0, 8
	s_delay_alu instid0(SALU_CYCLE_1)
	s_cmp_lg_u32 s0, 16
	ds_load_2addr_b32 v[6:7], v6 offset1:1
	s_wait_loadcnt_dscnt 0x0
	v_dual_add_nc_u32 v5, v7, v5 :: v_dual_add_nc_u32 v4, v6, v4
	scratch_store_b64 off, v[4:5], s4
	s_cbranch_scc1 .LBB2075_202
; %bb.203:
	scratch_load_b128 v[4:7], off, off offset:160
.LBB2075_204:
	s_wait_xcnt 0x0
	s_or_b32 exec_lo, exec_lo, s1
	v_and_b32_e32 v16, 1, v16
	v_and_b32_e32 v18, 1, v18
	s_delay_alu instid0(VALU_DEP_2) | instskip(NEXT) | instid1(VALU_DEP_2)
	v_cmp_eq_u32_e64 s0, 1, v16
	v_cmp_eq_u32_e64 s1, 1, v18
	s_or_b32 s0, s0, s1
	s_delay_alu instid0(SALU_CYCLE_1)
	v_cndmask_b32_e64 v16, 0, 1, s0
	ds_store_b8 v9, v16 offset:16
	ds_load_b32 v16, v9 offset:16
	s_wait_loadcnt 0x0
	ds_store_2addr_b32 v9, v4, v5 offset1:1
	ds_store_2addr_b32 v9, v6, v7 offset0:2 offset1:3
.LBB2075_205:
	s_or_b32 exec_lo, exec_lo, s3
	v_mov_b32_dpp v20, v4 row_shr:8 row_mask:0xf bank_mask:0xf
	v_mov_b32_dpp v21, v5 row_shr:8 row_mask:0xf bank_mask:0xf
	;; [unrolled: 1-line block ×4, first 2 shown]
	s_wait_dscnt 0x2
	v_mov_b32_dpp v18, v16 row_shr:8 row_mask:0xf bank_mask:0xf
	s_mov_b32 s3, exec_lo
	s_clause 0x1
	scratch_store_b128 off, v[20:23], off
	scratch_store_b32 off, v18, off offset:16
	s_wait_xcnt 0x0
	v_cmpx_lt_u32_e32 7, v17
	s_cbranch_execz .LBB2075_213
; %bb.206:
	v_and_b32_e32 v17, 0xff, v16
	s_mov_b32 s4, 0
	s_mov_b32 s1, exec_lo
	s_delay_alu instid0(VALU_DEP_1)
	v_cmpx_eq_u16_e32 0, v17
	s_cbranch_execz .LBB2075_212
; %bb.207:
	v_mov_b64_e32 v[4:5], 0
.LBB2075_208:                           ; =>This Inner Loop Header: Depth=1
	s_wait_xcnt 0x0
	s_add_co_i32 s0, s4, 0xa0
	s_add_co_i32 s4, s4, 8
	scratch_store_b64 off, v[4:5], s0
	s_cmp_lg_u32 s4, 16
	s_cbranch_scc1 .LBB2075_208
; %bb.209:
	s_wait_xcnt 0x0
	s_mov_b32 s0, 0
.LBB2075_210:                           ; =>This Inner Loop Header: Depth=1
	scratch_load_b64 v[4:5], off, s0
	v_add_nc_u32_e32 v6, s0, v9
	s_add_co_i32 s4, s0, 0xa0
	s_wait_xcnt 0x0
	s_add_co_i32 s0, s0, 8
	s_delay_alu instid0(SALU_CYCLE_1)
	s_cmp_lg_u32 s0, 16
	ds_load_2addr_b32 v[6:7], v6 offset1:1
	s_wait_loadcnt_dscnt 0x0
	v_dual_add_nc_u32 v5, v7, v5 :: v_dual_add_nc_u32 v4, v6, v4
	scratch_store_b64 off, v[4:5], s4
	s_cbranch_scc1 .LBB2075_210
; %bb.211:
	scratch_load_b128 v[4:7], off, off offset:160
.LBB2075_212:
	s_wait_xcnt 0x0
	s_or_b32 exec_lo, exec_lo, s1
	v_and_b32_e32 v16, 1, v16
	v_and_b32_e32 v17, 1, v18
	s_delay_alu instid0(VALU_DEP_2) | instskip(NEXT) | instid1(VALU_DEP_2)
	v_cmp_eq_u32_e64 s0, 1, v16
	v_cmp_eq_u32_e64 s1, 1, v17
	s_or_b32 s0, s0, s1
	s_delay_alu instid0(SALU_CYCLE_1)
	v_cndmask_b32_e64 v16, 0, 1, s0
	ds_store_b8 v9, v16 offset:16
	ds_load_b32 v16, v9 offset:16
	s_wait_loadcnt 0x0
	ds_store_2addr_b32 v9, v4, v5 offset1:1
	ds_store_2addr_b32 v9, v6, v7 offset0:2 offset1:3
.LBB2075_213:
	s_or_b32 exec_lo, exec_lo, s3
	ds_swizzle_b32 v18, v4 offset:swizzle(BROADCAST,32,15)
	ds_swizzle_b32 v19, v5 offset:swizzle(BROADCAST,32,15)
	;; [unrolled: 1-line block ×4, first 2 shown]
	s_wait_dscnt 0x6
	ds_swizzle_b32 v17, v16 offset:swizzle(BROADCAST,32,15)
	v_and_b32_e32 v22, 16, v15
	s_mov_b32 s3, exec_lo
	s_wait_dscnt 0x1
	scratch_store_b128 off, v[18:21], off
	s_wait_dscnt 0x0
	scratch_store_b32 off, v17, off offset:16
	s_wait_xcnt 0x0
	v_cmpx_ne_u32_e32 0, v22
	s_cbranch_execz .LBB2075_221
; %bb.214:
	v_and_b32_e32 v18, 0xff, v16
	s_mov_b32 s4, 0
	s_mov_b32 s1, exec_lo
	s_delay_alu instid0(VALU_DEP_1)
	v_cmpx_eq_u16_e32 0, v18
	s_cbranch_execz .LBB2075_220
; %bb.215:
	v_mov_b64_e32 v[4:5], 0
.LBB2075_216:                           ; =>This Inner Loop Header: Depth=1
	s_wait_xcnt 0x0
	s_add_co_i32 s0, s4, 0xa0
	s_add_co_i32 s4, s4, 8
	scratch_store_b64 off, v[4:5], s0
	s_cmp_lg_u32 s4, 16
	s_cbranch_scc1 .LBB2075_216
; %bb.217:
	s_wait_xcnt 0x0
	s_mov_b32 s0, 0
.LBB2075_218:                           ; =>This Inner Loop Header: Depth=1
	scratch_load_b64 v[4:5], off, s0
	v_add_nc_u32_e32 v6, s0, v9
	s_add_co_i32 s4, s0, 0xa0
	s_wait_xcnt 0x0
	s_add_co_i32 s0, s0, 8
	s_delay_alu instid0(SALU_CYCLE_1)
	s_cmp_lg_u32 s0, 16
	ds_load_2addr_b32 v[6:7], v6 offset1:1
	s_wait_loadcnt_dscnt 0x0
	v_dual_add_nc_u32 v5, v7, v5 :: v_dual_add_nc_u32 v4, v6, v4
	scratch_store_b64 off, v[4:5], s4
	s_cbranch_scc1 .LBB2075_218
; %bb.219:
	scratch_load_b128 v[4:7], off, off offset:160
.LBB2075_220:
	s_wait_xcnt 0x0
	s_or_b32 exec_lo, exec_lo, s1
	v_and_b32_e32 v16, 1, v16
	v_and_b32_e32 v17, 1, v17
	s_delay_alu instid0(VALU_DEP_2) | instskip(NEXT) | instid1(VALU_DEP_2)
	v_cmp_eq_u32_e64 s0, 1, v16
	v_cmp_eq_u32_e64 s1, 1, v17
	s_or_b32 s0, s0, s1
	s_delay_alu instid0(SALU_CYCLE_1)
	v_cndmask_b32_e64 v16, 0, 1, s0
	ds_store_b8 v9, v16 offset:16
	ds_load_b32 v16, v9 offset:16
.LBB2075_221:
	s_or_b32 exec_lo, exec_lo, s3
	v_add_nc_u32_e32 v17, -1, v15
	s_delay_alu instid0(VALU_DEP_1) | instskip(NEXT) | instid1(VALU_DEP_1)
	v_cmp_gt_i32_e64 s0, 0, v17
	v_cndmask_b32_e64 v15, v17, v15, s0
	s_delay_alu instid0(VALU_DEP_1)
	v_lshlrev_b32_e32 v17, 2, v15
	ds_load_u8 v15, v8 offset:16
	s_wait_loadcnt 0x0
	ds_bpermute_b32 v4, v17, v4
	ds_bpermute_b32 v5, v17, v5
	s_wait_dscnt 0x3
	ds_bpermute_b32 v16, v17, v16
	ds_bpermute_b32 v6, v17, v6
	;; [unrolled: 1-line block ×3, first 2 shown]
	s_wait_dscnt 0x3
	ds_store_2addr_b32 v9, v4, v5 offset1:1
	s_wait_dscnt 0x1
	ds_store_2addr_b32 v9, v6, v7 offset0:2 offset1:3
	v_cmp_ne_u16_e64 s0, 0, v15
                                        ; implicit-def: $vgpr6_vgpr7
	s_and_saveexec_b32 s1, s0
	s_delay_alu instid0(SALU_CYCLE_1)
	s_xor_b32 s0, exec_lo, s1
	s_cbranch_execz .LBB2075_223
; %bb.222:
	ds_load_2addr_b32 v[4:5], v8 offset1:1
	ds_load_2addr_b32 v[6:7], v8 offset0:2 offset1:3
.LBB2075_223:
	s_and_not1_saveexec_b32 s0, s0
	s_cbranch_execz .LBB2075_229
; %bb.224:
	s_wait_dscnt 0x1
	v_mov_b64_e32 v[4:5], 0
	s_mov_b32 s1, 0
.LBB2075_225:                           ; =>This Inner Loop Header: Depth=1
	s_wait_xcnt 0x0
	s_mov_b32 s3, s1
	s_add_co_i32 s1, s1, 8
	scratch_store_b64 off, v[4:5], s3
	s_cmp_lg_u32 s1, 16
	s_cbranch_scc1 .LBB2075_225
; %bb.226:
	s_mov_b32 s1, 0
.LBB2075_227:                           ; =>This Inner Loop Header: Depth=1
	s_wait_dscnt 0x0
	s_wait_xcnt 0x0
	v_dual_add_nc_u32 v4, s1, v9 :: v_dual_add_nc_u32 v6, s1, v8
	s_mov_b32 s3, s1
	s_add_co_i32 s1, s1, 8
	ds_load_2addr_b32 v[4:5], v4 offset1:1
	ds_load_2addr_b32 v[6:7], v6 offset1:1
	s_cmp_lg_u32 s1, 16
	s_wait_dscnt 0x0
	v_dual_add_nc_u32 v5, v7, v5 :: v_dual_add_nc_u32 v4, v6, v4
	scratch_store_b64 off, v[4:5], s3
	s_cbranch_scc1 .LBB2075_227
; %bb.228:
	scratch_load_b128 v[4:7], off, off
.LBB2075_229:
	s_wait_xcnt 0x0
	s_or_b32 exec_lo, exec_lo, s0
	v_and_b32_e32 v15, 1, v15
	v_and_b32_e32 v16, 1, v16
	s_delay_alu instid0(VALU_DEP_2) | instskip(NEXT) | instid1(VALU_DEP_2)
	v_cmp_eq_u32_e64 s0, 1, v15
	v_cmp_eq_u32_e64 s1, 1, v16
	s_or_b32 s0, s1, s0
	s_mov_b32 s1, exec_lo
	v_cndmask_b32_e64 v15, 0, 1, s0
	s_wait_loadcnt_dscnt 0x1
	ds_store_2addr_b32 v9, v4, v5 offset1:1
	s_wait_dscnt 0x1
	ds_store_2addr_b32 v9, v6, v7 offset0:2 offset1:3
	ds_store_b8 v9, v15 offset:16
	v_cmpx_eq_u32_e32 0, v12
	s_cbranch_execz .LBB2075_231
; %bb.230:
	ds_store_2addr_b32 v9, v0, v1 offset1:1
	ds_store_2addr_b32 v9, v2, v3 offset0:2 offset1:3
	ds_store_b8 v9, v14 offset:16
.LBB2075_231:
	s_or_b32 exec_lo, exec_lo, s1
	; wave barrier
	ds_load_2addr_b32 v[0:1], v9 offset0:2 offset1:3
	ds_load_u8 v4, v9 offset:16
	ds_load_2addr_b32 v[2:3], v9 offset1:1
	s_wait_dscnt 0x2
	ds_store_2addr_b32 v8, v0, v1 offset0:2 offset1:3
	s_wait_dscnt 0x1
	ds_store_2addr_b32 v8, v2, v3 offset1:1
	ds_store_b8 v8, v4 offset:16
	; wave barrier
	ds_load_u8 v4, v8 offset:36
	ds_load_u8 v5, v9 offset:16
                                        ; implicit-def: $vgpr2_vgpr3
	s_wait_dscnt 0x1
	v_cmp_ne_u16_e64 s0, 0, v4
	s_and_saveexec_b32 s1, s0
	s_delay_alu instid0(SALU_CYCLE_1)
	s_xor_b32 s0, exec_lo, s1
	s_cbranch_execz .LBB2075_233
; %bb.232:
	ds_load_2addr_b32 v[0:1], v8 offset0:5 offset1:6
	ds_load_2addr_b32 v[2:3], v8 offset0:7 offset1:8
                                        ; implicit-def: $vgpr10
                                        ; implicit-def: $vgpr11
.LBB2075_233:
	s_and_not1_saveexec_b32 s0, s0
	s_cbranch_execz .LBB2075_239
; %bb.234:
	s_wait_dscnt 0x1
	v_mov_b64_e32 v[0:1], 0
	s_mov_b32 s1, 0
.LBB2075_235:                           ; =>This Inner Loop Header: Depth=1
	s_wait_xcnt 0x0
	s_mov_b32 s3, s1
	s_add_co_i32 s1, s1, 8
	scratch_store_b64 off, v[0:1], s3
	s_cmp_lg_u32 s1, 16
	s_cbranch_scc1 .LBB2075_235
; %bb.236:
	s_wait_xcnt 0x0
	v_mul_u32_u24_e32 v0, 20, v10
	s_mov_b32 s1, 0
	s_delay_alu instid0(VALU_DEP_1)
	v_add3_u32 v0, v11, v0, 20
.LBB2075_237:                           ; =>This Inner Loop Header: Depth=1
	s_delay_alu instid0(VALU_DEP_1)
	v_dual_add_nc_u32 v1, s1, v9 :: v_dual_add_nc_u32 v6, s1, v0
	s_wait_xcnt 0x0
	s_mov_b32 s3, s1
	s_add_co_i32 s1, s1, 8
	s_wait_dscnt 0x0
	ds_load_2addr_b32 v[2:3], v1 offset1:1
	ds_load_2addr_b32 v[6:7], v6 offset1:1
	s_cmp_lg_u32 s1, 16
	s_wait_dscnt 0x0
	v_dual_add_nc_u32 v3, v7, v3 :: v_dual_add_nc_u32 v2, v6, v2
	scratch_store_b64 off, v[2:3], s3
	s_cbranch_scc1 .LBB2075_237
; %bb.238:
	scratch_load_b128 v[0:3], off, off
.LBB2075_239:
	s_wait_xcnt 0x0
	s_or_b32 exec_lo, exec_lo, s0
	s_wait_dscnt 0x0
	v_bitop3_b16 v4, v4, 1, v5 bitop3:0xc8
	s_wait_loadcnt 0x0
	ds_store_2addr_b32 v9, v0, v1 offset1:1
	ds_store_2addr_b32 v9, v2, v3 offset0:2 offset1:3
	ds_store_2addr_b32 v8, v2, v3 offset0:7 offset1:8
	;; [unrolled: 1-line block ×3, first 2 shown]
	ds_store_b8 v8, v4 offset:36
.LBB2075_240:
	s_or_b32 exec_lo, exec_lo, s2
	v_cmp_eq_u32_e64 s1, 0, v12
	v_cmp_ne_u32_e64 s0, 0, v12
	s_wait_storecnt_dscnt 0x0
	s_barrier_signal -1
	s_barrier_wait -1
	s_and_saveexec_b32 s2, s0
	s_cbranch_execz .LBB2075_242
; %bb.241:
	v_add_nc_u32_e32 v0, -1, v12
	s_delay_alu instid0(VALU_DEP_1) | instskip(SKIP_1) | instid1(VALU_DEP_1)
	v_lshrrev_b32_e32 v1, 5, v0
	v_mul_i32_i24_e32 v0, 20, v0
	v_mad_u32 v0, v1, 20, v0
	ds_load_2addr_b32 v[2:3], v0 offset0:2 offset1:3
	ds_load_u8 v4, v0 offset:16
	ds_load_2addr_b32 v[0:1], v0 offset1:1
	s_wait_dscnt 0x0
	s_clause 0x1
	scratch_store_b128 off, v[0:3], off offset:200
	scratch_store_b8 off, v4, off offset:216
.LBB2075_242:
	s_wait_xcnt 0x0
	s_or_b32 exec_lo, exec_lo, s2
	s_and_saveexec_b32 s4, vcc_lo
	s_cbranch_execz .LBB2075_366
; %bb.243:
	v_mov_b32_e32 v4, 0
	v_mbcnt_lo_u32_b32 v15, -1, 0
	s_mov_b32 s3, 0
	ds_load_b128 v[0:3], v4 offset:1280
	ds_load_b32 v14, v4 offset:1296
	v_cmp_eq_u32_e64 s2, 0, v15
	s_wait_dscnt 0x1
	scratch_store_b128 off, v[0:3], off offset:180
	s_wait_dscnt 0x0
	scratch_store_b32 off, v14, off offset:196
	s_wait_xcnt 0x0
	s_and_saveexec_b32 s5, s2
	s_cbranch_execz .LBB2075_245
; %bb.244:
	s_add_co_i32 s6, s34, 32
	s_mov_b32 s7, 0
	v_dual_mov_b32 v5, 1 :: v_dual_mov_b32 v6, s6
	s_mul_u64 s[8:9], s[6:7], 20
	s_delay_alu instid0(SALU_CYCLE_1)
	s_add_nc_u64 s[6:7], s[12:13], s[8:9]
	s_clause 0x1
	global_store_b128 v4, v[0:3], s[6:7]
	global_store_b8 v4, v14, s[6:7] offset:16
	global_wb scope:SCOPE_DEV
	s_wait_storecnt 0x0
	global_inv scope:SCOPE_DEV
	s_wait_xcnt 0x0
	global_store_b8 v6, v5, s[16:17] scope:SCOPE_DEV
.LBB2075_245:
	s_wait_xcnt 0x0
	s_or_b32 exec_lo, exec_lo, s5
	v_mul_lo_u32 v5, v13, 20
	s_delay_alu instid0(VALU_DEP_1)
	v_add_nc_u32_e32 v16, 0x3100, v5
	v_add_nc_u32_e32 v6, 0x3108, v5
	ds_store_2addr_b32 v16, v4, v4 offset1:1
	ds_store_2addr_b32 v6, v4, v4 offset1:1
	ds_store_b32 v5, v4 offset:12560
.LBB2075_246:                           ; =>This Inner Loop Header: Depth=1
	v_add_nc_u32_e32 v5, s3, v16
	s_add_co_i32 s3, s3, 8
	s_delay_alu instid0(SALU_CYCLE_1)
	s_cmp_lg_u32 s3, 16
	ds_store_2addr_b32 v5, v4, v4 offset1:1
	s_cbranch_scc1 .LBB2075_246
; %bb.247:
	v_mov_b32_e32 v6, 0
	v_mov_b64_e32 v[4:5], 0
	s_mov_b32 s3, 0
	s_delay_alu instid0(VALU_DEP_2)
	v_dual_mov_b32 v7, v6 :: v_dual_mov_b32 v8, v6
	v_mov_b32_e32 v9, v6
	ds_store_b8 v16, v6 offset:16
	s_clause 0x1
	scratch_store_b32 off, v6, off offset:176
	scratch_store_b128 off, v[6:9], off offset:160
.LBB2075_248:                           ; =>This Inner Loop Header: Depth=1
	s_wait_xcnt 0x0
	s_add_co_i32 s5, s3, 0xa0
	s_add_co_i32 s3, s3, 8
	scratch_store_b64 off, v[4:5], s5
	s_cmp_lg_u32 s3, 16
	s_cbranch_scc1 .LBB2075_248
; %bb.249:
	s_wait_xcnt 0x1
	v_xad_u32 v8, v15, -1, s34
	s_wait_xcnt 0x0
	v_mov_b32_e32 v5, 0
	s_mov_b32 s3, exec_lo
	s_delay_alu instid0(VALU_DEP_2)
	v_add_nc_u32_e32 v4, 32, v8
	scratch_store_b8 off, v5, off offset:176
	global_load_u8 v17, v4, s[16:17] scope:SCOPE_DEV
	s_wait_loadcnt 0x0
	v_cmpx_eq_u16_e32 0, v17
	s_cbranch_execz .LBB2075_253
; %bb.250:
	v_add_nc_u64_e32 v[6:7], s[16:17], v[4:5]
	s_mov_b32 s5, 0
.LBB2075_251:                           ; =>This Inner Loop Header: Depth=1
	global_load_u8 v17, v[6:7], off scope:SCOPE_DEV
	s_wait_loadcnt 0x0
	v_cmp_ne_u16_e32 vcc_lo, 0, v17
	s_or_b32 s5, vcc_lo, s5
	s_wait_xcnt 0x0
	s_and_not1_b32 exec_lo, exec_lo, s5
	s_cbranch_execnz .LBB2075_251
; %bb.252:
	s_or_b32 exec_lo, exec_lo, s5
.LBB2075_253:
	s_delay_alu instid0(SALU_CYCLE_1)
	s_or_b32 exec_lo, exec_lo, s3
	v_dual_mov_b32 v5, s13 :: v_dual_mov_b32 v6, s12
	v_cmp_eq_u16_e32 vcc_lo, 1, v17
	global_wb scope:SCOPE_DEV
	s_wait_storecnt_dscnt 0x0
	global_inv scope:SCOPE_DEV
	s_mov_b32 s3, 0
	v_dual_mov_b32 v18, 0 :: v_dual_cndmask_b32 v7, s15, v5
	v_cndmask_b32_e32 v6, s14, v6, vcc_lo
	s_delay_alu instid0(VALU_DEP_1)
	v_mad_nc_u64_u32 v[10:11], v4, 20, v[6:7]
                                        ; kill: killed $vgpr10_vgpr11
	s_clause 0x1
	global_load_b128 v[4:7], v[10:11], off
	global_load_u8 v9, v[10:11], off offset:16
	s_wait_xcnt 0x0
	v_mov_b64_e32 v[10:11], 0
	s_wait_loadcnt 0x1
	scratch_store_b128 off, v[4:7], off offset:160
	ds_store_2addr_b32 v16, v4, v5 offset1:1
	ds_store_2addr_b32 v16, v6, v7 offset0:2 offset1:3
	s_wait_loadcnt 0x0
	ds_store_b8 v16, v9 offset:16
	scratch_store_b32 off, v18, off offset:16
.LBB2075_254:                           ; =>This Inner Loop Header: Depth=1
	s_wait_xcnt 0x0
	s_mov_b32 s5, s3
	s_add_co_i32 s3, s3, 8
	scratch_store_b64 off, v[10:11], s5
	s_cmp_lg_u32 s3, 16
	s_cbranch_scc1 .LBB2075_254
; %bb.255:
	ds_load_b32 v9, v16 offset:16
	v_cmp_ne_u32_e32 vcc_lo, 31, v15
	v_lshlrev_b32_e64 v19, v15, -1
	s_mov_b32 s3, exec_lo
	s_wait_xcnt 0x0
	v_add_co_ci_u32_e64 v10, null, 0, v15, vcc_lo
	v_cmp_eq_u16_e32 vcc_lo, 2, v17
	s_delay_alu instid0(VALU_DEP_2)
	v_lshlrev_b32_e32 v18, 2, v10
	v_and_or_b32 v10, vcc_lo, v19, 0x80000000
	ds_bpermute_b32 v20, v18, v4
	ds_bpermute_b32 v21, v18, v5
	;; [unrolled: 1-line block ×4, first 2 shown]
	s_wait_dscnt 0x4
	ds_bpermute_b32 v11, v18, v9
	v_ctz_i32_b32_e32 v10, v10
	s_wait_dscnt 0x1
	scratch_store_b128 off, v[20:23], off
	s_wait_xcnt 0x0
	v_cmpx_lt_u32_e64 v15, v10
	s_cbranch_execz .LBB2075_263
; %bb.256:
	v_and_b32_e32 v20, 0xff, v9
	s_mov_b32 s5, exec_lo
	s_delay_alu instid0(VALU_DEP_1)
	v_cmpx_eq_u16_e32 0, v20
	s_cbranch_execz .LBB2075_262
; %bb.257:
	v_mov_b64_e32 v[4:5], 0
	s_mov_b32 s6, 0
.LBB2075_258:                           ; =>This Inner Loop Header: Depth=1
	s_wait_xcnt 0x0
	s_add_co_i32 s7, s6, 0x1b8
	s_add_co_i32 s6, s6, 8
	scratch_store_b64 off, v[4:5], s7
	s_cmp_lg_u32 s6, 16
	s_cbranch_scc1 .LBB2075_258
; %bb.259:
	s_mov_b32 s6, 0
.LBB2075_260:                           ; =>This Inner Loop Header: Depth=1
	scratch_load_b64 v[4:5], off, s6
	v_add_nc_u32_e32 v6, s6, v16
	s_add_co_i32 s7, s6, 0x1b8
	s_wait_xcnt 0x0
	s_add_co_i32 s6, s6, 8
	s_delay_alu instid0(SALU_CYCLE_1)
	s_cmp_lg_u32 s6, 16
	ds_load_2addr_b32 v[6:7], v6 offset1:1
	s_wait_loadcnt_dscnt 0x0
	v_dual_add_nc_u32 v5, v7, v5 :: v_dual_add_nc_u32 v4, v6, v4
	scratch_store_b64 off, v[4:5], s7
	s_cbranch_scc1 .LBB2075_260
; %bb.261:
	scratch_load_b128 v[4:7], off, off offset:440
.LBB2075_262:
	s_wait_xcnt 0x0
	s_or_b32 exec_lo, exec_lo, s5
	s_wait_dscnt 0x0
	v_or_b32_e32 v9, v11, v9
	s_delay_alu instid0(VALU_DEP_1)
	v_and_b32_e32 v9, 1, v9
	ds_store_b8 v16, v9 offset:16
	ds_load_b32 v9, v16 offset:16
	s_wait_loadcnt 0x0
	ds_store_2addr_b32 v16, v4, v5 offset1:1
	ds_store_2addr_b32 v16, v6, v7 offset0:2 offset1:3
.LBB2075_263:
	s_or_b32 exec_lo, exec_lo, s3
	v_cmp_gt_u32_e32 vcc_lo, 30, v15
	v_add_nc_u32_e32 v21, 2, v15
	s_mov_b32 s5, exec_lo
	s_wait_dscnt 0x0
	v_cndmask_b32_e64 v11, 0, 2, vcc_lo
	s_delay_alu instid0(VALU_DEP_1)
	v_add_lshl_u32 v20, v11, v15, 2
	ds_bpermute_b32 v22, v20, v4
	ds_bpermute_b32 v23, v20, v5
	;; [unrolled: 1-line block ×5, first 2 shown]
	s_wait_dscnt 0x1
	scratch_store_b128 off, v[22:25], off
	s_wait_xcnt 0x0
	v_cmpx_le_u32_e64 v21, v10
	s_cbranch_execz .LBB2075_271
; %bb.264:
	v_and_b32_e32 v22, 0xff, v9
	s_mov_b32 s3, exec_lo
	s_delay_alu instid0(VALU_DEP_1)
	v_cmpx_eq_u16_e32 0, v22
	s_cbranch_execz .LBB2075_270
; %bb.265:
	v_mov_b64_e32 v[4:5], 0
	s_mov_b32 s6, 0
.LBB2075_266:                           ; =>This Inner Loop Header: Depth=1
	s_wait_xcnt 0x0
	s_add_co_i32 s7, s6, 0x1b8
	s_add_co_i32 s6, s6, 8
	scratch_store_b64 off, v[4:5], s7
	s_cmp_lg_u32 s6, 16
	s_cbranch_scc1 .LBB2075_266
; %bb.267:
	s_mov_b32 s6, 0
.LBB2075_268:                           ; =>This Inner Loop Header: Depth=1
	scratch_load_b64 v[4:5], off, s6
	v_add_nc_u32_e32 v6, s6, v16
	s_add_co_i32 s7, s6, 0x1b8
	s_wait_xcnt 0x0
	s_add_co_i32 s6, s6, 8
	s_delay_alu instid0(SALU_CYCLE_1)
	s_cmp_lg_u32 s6, 16
	ds_load_2addr_b32 v[6:7], v6 offset1:1
	s_wait_loadcnt_dscnt 0x0
	v_dual_add_nc_u32 v5, v7, v5 :: v_dual_add_nc_u32 v4, v6, v4
	scratch_store_b64 off, v[4:5], s7
	s_cbranch_scc1 .LBB2075_268
; %bb.269:
	scratch_load_b128 v[4:7], off, off offset:440
.LBB2075_270:
	s_wait_xcnt 0x0
	s_or_b32 exec_lo, exec_lo, s3
	v_and_b32_e32 v9, 1, v9
	s_wait_dscnt 0x0
	v_and_b32_e32 v11, 1, v11
	s_delay_alu instid0(VALU_DEP_2) | instskip(NEXT) | instid1(VALU_DEP_2)
	v_cmp_eq_u32_e32 vcc_lo, 1, v9
	v_cmp_eq_u32_e64 s3, 1, v11
	s_or_b32 s3, vcc_lo, s3
	s_delay_alu instid0(SALU_CYCLE_1)
	v_cndmask_b32_e64 v9, 0, 1, s3
	ds_store_b8 v16, v9 offset:16
	ds_load_b32 v9, v16 offset:16
	s_wait_loadcnt 0x0
	ds_store_2addr_b32 v16, v4, v5 offset1:1
	ds_store_2addr_b32 v16, v6, v7 offset0:2 offset1:3
.LBB2075_271:
	s_or_b32 exec_lo, exec_lo, s5
	v_cmp_gt_u32_e32 vcc_lo, 28, v15
	v_add_nc_u32_e32 v23, 4, v15
	s_mov_b32 s5, exec_lo
	s_wait_dscnt 0x0
	v_cndmask_b32_e64 v11, 0, 4, vcc_lo
	s_delay_alu instid0(VALU_DEP_1)
	v_add_lshl_u32 v22, v11, v15, 2
	ds_bpermute_b32 v24, v22, v4
	ds_bpermute_b32 v25, v22, v5
	;; [unrolled: 1-line block ×5, first 2 shown]
	s_wait_dscnt 0x1
	scratch_store_b128 off, v[24:27], off
	s_wait_xcnt 0x0
	v_cmpx_le_u32_e64 v23, v10
	s_cbranch_execz .LBB2075_279
; %bb.272:
	v_and_b32_e32 v24, 0xff, v9
	s_mov_b32 s3, exec_lo
	s_delay_alu instid0(VALU_DEP_1)
	v_cmpx_eq_u16_e32 0, v24
	s_cbranch_execz .LBB2075_278
; %bb.273:
	v_mov_b64_e32 v[4:5], 0
	s_mov_b32 s6, 0
.LBB2075_274:                           ; =>This Inner Loop Header: Depth=1
	s_wait_xcnt 0x0
	s_add_co_i32 s7, s6, 0x1b8
	s_add_co_i32 s6, s6, 8
	scratch_store_b64 off, v[4:5], s7
	s_cmp_lg_u32 s6, 16
	s_cbranch_scc1 .LBB2075_274
; %bb.275:
	s_mov_b32 s6, 0
.LBB2075_276:                           ; =>This Inner Loop Header: Depth=1
	scratch_load_b64 v[4:5], off, s6
	v_add_nc_u32_e32 v6, s6, v16
	s_add_co_i32 s7, s6, 0x1b8
	s_wait_xcnt 0x0
	s_add_co_i32 s6, s6, 8
	s_delay_alu instid0(SALU_CYCLE_1)
	s_cmp_lg_u32 s6, 16
	ds_load_2addr_b32 v[6:7], v6 offset1:1
	s_wait_loadcnt_dscnt 0x0
	v_dual_add_nc_u32 v5, v7, v5 :: v_dual_add_nc_u32 v4, v6, v4
	scratch_store_b64 off, v[4:5], s7
	s_cbranch_scc1 .LBB2075_276
; %bb.277:
	scratch_load_b128 v[4:7], off, off offset:440
.LBB2075_278:
	s_wait_xcnt 0x0
	s_or_b32 exec_lo, exec_lo, s3
	v_and_b32_e32 v9, 1, v9
	s_wait_dscnt 0x0
	v_and_b32_e32 v11, 1, v11
	s_delay_alu instid0(VALU_DEP_2) | instskip(NEXT) | instid1(VALU_DEP_2)
	v_cmp_eq_u32_e32 vcc_lo, 1, v9
	v_cmp_eq_u32_e64 s3, 1, v11
	s_or_b32 s3, vcc_lo, s3
	s_delay_alu instid0(SALU_CYCLE_1)
	v_cndmask_b32_e64 v9, 0, 1, s3
	ds_store_b8 v16, v9 offset:16
	ds_load_b32 v9, v16 offset:16
	s_wait_loadcnt 0x0
	ds_store_2addr_b32 v16, v4, v5 offset1:1
	ds_store_2addr_b32 v16, v6, v7 offset0:2 offset1:3
.LBB2075_279:
	s_or_b32 exec_lo, exec_lo, s5
	v_cmp_gt_u32_e32 vcc_lo, 24, v15
	v_add_nc_u32_e32 v25, 8, v15
	s_mov_b32 s5, exec_lo
	s_wait_dscnt 0x0
	v_cndmask_b32_e64 v11, 0, 8, vcc_lo
	s_delay_alu instid0(VALU_DEP_1)
	v_add_lshl_u32 v24, v11, v15, 2
	ds_bpermute_b32 v26, v24, v4
	ds_bpermute_b32 v27, v24, v5
	;; [unrolled: 1-line block ×5, first 2 shown]
	s_wait_dscnt 0x1
	scratch_store_b128 off, v[26:29], off
	s_wait_xcnt 0x0
	v_cmpx_le_u32_e64 v25, v10
	s_cbranch_execz .LBB2075_287
; %bb.280:
	v_and_b32_e32 v26, 0xff, v9
	s_mov_b32 s3, exec_lo
	s_delay_alu instid0(VALU_DEP_1)
	v_cmpx_eq_u16_e32 0, v26
	s_cbranch_execz .LBB2075_286
; %bb.281:
	v_mov_b64_e32 v[4:5], 0
	s_mov_b32 s6, 0
.LBB2075_282:                           ; =>This Inner Loop Header: Depth=1
	s_wait_xcnt 0x0
	s_add_co_i32 s7, s6, 0x1b8
	s_add_co_i32 s6, s6, 8
	scratch_store_b64 off, v[4:5], s7
	s_cmp_lg_u32 s6, 16
	s_cbranch_scc1 .LBB2075_282
; %bb.283:
	s_mov_b32 s6, 0
.LBB2075_284:                           ; =>This Inner Loop Header: Depth=1
	scratch_load_b64 v[4:5], off, s6
	v_add_nc_u32_e32 v6, s6, v16
	s_add_co_i32 s7, s6, 0x1b8
	s_wait_xcnt 0x0
	s_add_co_i32 s6, s6, 8
	s_delay_alu instid0(SALU_CYCLE_1)
	s_cmp_lg_u32 s6, 16
	ds_load_2addr_b32 v[6:7], v6 offset1:1
	s_wait_loadcnt_dscnt 0x0
	v_dual_add_nc_u32 v5, v7, v5 :: v_dual_add_nc_u32 v4, v6, v4
	scratch_store_b64 off, v[4:5], s7
	s_cbranch_scc1 .LBB2075_284
; %bb.285:
	scratch_load_b128 v[4:7], off, off offset:440
.LBB2075_286:
	s_wait_xcnt 0x0
	s_or_b32 exec_lo, exec_lo, s3
	v_and_b32_e32 v9, 1, v9
	s_wait_dscnt 0x0
	v_and_b32_e32 v11, 1, v11
	s_delay_alu instid0(VALU_DEP_2) | instskip(NEXT) | instid1(VALU_DEP_2)
	v_cmp_eq_u32_e32 vcc_lo, 1, v9
	v_cmp_eq_u32_e64 s3, 1, v11
	s_or_b32 s3, vcc_lo, s3
	s_delay_alu instid0(SALU_CYCLE_1)
	v_cndmask_b32_e64 v9, 0, 1, s3
	ds_store_b8 v16, v9 offset:16
	ds_load_b32 v9, v16 offset:16
	s_wait_loadcnt 0x0
	ds_store_2addr_b32 v16, v4, v5 offset1:1
	ds_store_2addr_b32 v16, v6, v7 offset0:2 offset1:3
.LBB2075_287:
	s_or_b32 exec_lo, exec_lo, s5
	v_lshl_or_b32 v26, v15, 2, 64
	v_add_nc_u32_e32 v27, 16, v15
	s_mov_b32 s5, exec_lo
	ds_bpermute_b32 v28, v26, v4
	ds_bpermute_b32 v29, v26, v5
	ds_bpermute_b32 v30, v26, v6
	ds_bpermute_b32 v31, v26, v7
	s_wait_dscnt 0x4
	ds_bpermute_b32 v11, v26, v9
	s_wait_dscnt 0x1
	scratch_store_b128 off, v[28:31], off
	s_wait_xcnt 0x0
	v_cmpx_le_u32_e64 v27, v10
	s_cbranch_execz .LBB2075_295
; %bb.288:
	v_and_b32_e32 v10, 0xff, v9
	s_mov_b32 s6, 0
	s_mov_b32 s3, exec_lo
	s_delay_alu instid0(VALU_DEP_1)
	v_cmpx_eq_u16_e32 0, v10
	s_cbranch_execz .LBB2075_294
; %bb.289:
	v_mov_b64_e32 v[4:5], 0
.LBB2075_290:                           ; =>This Inner Loop Header: Depth=1
	s_wait_xcnt 0x0
	s_add_co_i32 s7, s6, 0x1b8
	s_add_co_i32 s6, s6, 8
	scratch_store_b64 off, v[4:5], s7
	s_cmp_lg_u32 s6, 16
	s_cbranch_scc1 .LBB2075_290
; %bb.291:
	s_mov_b32 s6, 0
.LBB2075_292:                           ; =>This Inner Loop Header: Depth=1
	scratch_load_b64 v[4:5], off, s6
	v_add_nc_u32_e32 v6, s6, v16
	s_add_co_i32 s7, s6, 0x1b8
	s_wait_xcnt 0x0
	s_add_co_i32 s6, s6, 8
	s_delay_alu instid0(SALU_CYCLE_1)
	s_cmp_lg_u32 s6, 16
	ds_load_2addr_b32 v[6:7], v6 offset1:1
	s_wait_loadcnt_dscnt 0x0
	v_dual_add_nc_u32 v5, v7, v5 :: v_dual_add_nc_u32 v4, v6, v4
	scratch_store_b64 off, v[4:5], s7
	s_cbranch_scc1 .LBB2075_292
; %bb.293:
	scratch_load_b128 v[4:7], off, off offset:440
.LBB2075_294:
	s_wait_xcnt 0x0
	s_or_b32 exec_lo, exec_lo, s3
	v_and_b32_e32 v9, 1, v9
	s_wait_dscnt 0x0
	v_and_b32_e32 v10, 1, v11
	s_delay_alu instid0(VALU_DEP_2) | instskip(NEXT) | instid1(VALU_DEP_2)
	v_cmp_eq_u32_e32 vcc_lo, 1, v9
	v_cmp_eq_u32_e64 s3, 1, v10
	s_or_b32 s3, vcc_lo, s3
	s_delay_alu instid0(SALU_CYCLE_1)
	v_cndmask_b32_e64 v9, 0, 1, s3
	s_wait_loadcnt 0x0
	ds_store_2addr_b32 v16, v4, v5 offset1:1
	ds_store_2addr_b32 v16, v6, v7 offset0:2 offset1:3
	ds_store_b8 v16, v9 offset:16
.LBB2075_295:
	s_or_b32 exec_lo, exec_lo, s5
	ds_load_b32 v30, v16 offset:16
	ds_load_2addr_b32 v[6:7], v16 offset0:2 offset1:3
	ds_load_2addr_b32 v[4:5], v16 offset1:1
	v_mad_u32 v28, v13, 20, 0x3600
	s_wait_dscnt 0x3
	v_mov_b64_e32 v[10:11], 0
	v_lshl_add_u32 v29, v13, 4, 0x3b00
	v_mov_b32_e32 v9, 0
	s_wait_dscnt 0x2
	scratch_store_b32 off, v30, off offset:176
	s_wait_dscnt 0x0
	scratch_store_b128 off, v[4:7], off offset:160
	s_branch .LBB2075_299
.LBB2075_296:                           ;   in Loop: Header=BB2075_299 Depth=1
	scratch_load_b128 v[4:7], off, off
.LBB2075_297:                           ;   in Loop: Header=BB2075_299 Depth=1
	s_wait_xcnt 0x0
	s_or_b32 exec_lo, exec_lo, s5
	v_and_b32_e32 v30, 1, v30
	v_subrev_nc_u32_e32 v8, 32, v8
	s_delay_alu instid0(VALU_DEP_2) | instskip(SKIP_1) | instid1(SALU_CYCLE_1)
	v_cmp_eq_u32_e32 vcc_lo, 1, v30
	s_or_b32 s3, vcc_lo, s3
	v_cndmask_b32_e64 v30, 0, 1, s3
	s_mov_b32 s3, 0
	s_wait_loadcnt 0x0
	s_clause 0x1
	scratch_store_b128 off, v[4:7], off offset:160
	scratch_store_b8 off, v30, off offset:176
.LBB2075_298:                           ;   in Loop: Header=BB2075_299 Depth=1
	s_and_b32 vcc_lo, exec_lo, s3
	s_cbranch_vccnz .LBB2075_356
.LBB2075_299:                           ; =>This Loop Header: Depth=1
                                        ;     Child Loop BB2075_301 Depth 2
                                        ;     Child Loop BB2075_304 Depth 2
	;; [unrolled: 1-line block ×15, first 2 shown]
	s_wait_xcnt 0x0
	v_and_b32_e32 v4, 0xff, v17
	s_mov_b32 s3, -1
                                        ; implicit-def: $vgpr17
	s_delay_alu instid0(VALU_DEP_1)
	v_cmp_ne_u16_e32 vcc_lo, 2, v4
	s_cmp_lg_u32 vcc_lo, exec_lo
	s_cbranch_scc1 .LBB2075_298
; %bb.300:                              ;   in Loop: Header=BB2075_299 Depth=1
	v_dual_mov_b32 v4, v9 :: v_dual_mov_b32 v5, v9
	v_dual_mov_b32 v6, v9 :: v_dual_mov_b32 v7, v9
	s_mov_b32 s3, 0
	s_clause 0x1
	scratch_store_b32 off, v9, off offset:16
	scratch_store_b128 off, v[4:7], off
.LBB2075_301:                           ;   Parent Loop BB2075_299 Depth=1
                                        ; =>  This Inner Loop Header: Depth=2
	s_wait_xcnt 0x0
	s_mov_b32 s5, s3
	s_add_co_i32 s3, s3, 8
	scratch_store_b64 off, v[10:11], s5
	s_cmp_lg_u32 s3, 16
	s_cbranch_scc1 .LBB2075_301
; %bb.302:                              ;   in Loop: Header=BB2075_299 Depth=1
	scratch_store_b8 off, v9, off offset:16
	global_load_u8 v17, v8, s[16:17] scope:SCOPE_DEV
	s_mov_b32 s3, exec_lo
	s_wait_loadcnt 0x0
	s_wait_xcnt 0x0
	v_cmpx_eq_u16_e32 0, v17
	s_cbranch_execz .LBB2075_306
; %bb.303:                              ;   in Loop: Header=BB2075_299 Depth=1
	v_add_nc_u64_e32 v[4:5], s[16:17], v[8:9]
	s_mov_b32 s5, 0
.LBB2075_304:                           ;   Parent Loop BB2075_299 Depth=1
                                        ; =>  This Inner Loop Header: Depth=2
	global_load_u8 v17, v[4:5], off scope:SCOPE_DEV
	s_wait_loadcnt 0x0
	v_cmp_ne_u16_e32 vcc_lo, 0, v17
	s_or_b32 s5, vcc_lo, s5
	s_wait_xcnt 0x0
	s_and_not1_b32 exec_lo, exec_lo, s5
	s_cbranch_execnz .LBB2075_304
; %bb.305:                              ;   in Loop: Header=BB2075_299 Depth=1
	s_or_b32 exec_lo, exec_lo, s5
.LBB2075_306:                           ;   in Loop: Header=BB2075_299 Depth=1
	s_delay_alu instid0(SALU_CYCLE_1)
	s_or_b32 exec_lo, exec_lo, s3
	v_dual_mov_b32 v4, s13 :: v_dual_mov_b32 v6, s12
	v_cmp_eq_u16_e32 vcc_lo, 1, v17
	global_wb scope:SCOPE_DEV
	s_wait_storecnt 0x0
	global_inv scope:SCOPE_DEV
	s_mov_b32 s3, 0
	v_cndmask_b32_e32 v5, s15, v4, vcc_lo
	v_cndmask_b32_e32 v4, s14, v6, vcc_lo
	s_delay_alu instid0(VALU_DEP_1)
	v_mad_nc_u64_u32 v[30:31], v8, 20, v[4:5]
                                        ; kill: killed $vgpr30_vgpr31
	s_clause 0x1
	global_load_b128 v[4:7], v[30:31], off
	global_load_u8 v32, v[30:31], off offset:16
	s_wait_loadcnt 0x1
	scratch_store_b128 off, v[4:7], off
	ds_store_2addr_b32 v16, v4, v5 offset1:1
	ds_store_2addr_b32 v16, v6, v7 offset0:2 offset1:3
	s_wait_loadcnt 0x0
	ds_store_b8 v16, v32 offset:16
	ds_store_b32 v28, v9 offset:16
.LBB2075_307:                           ;   Parent Loop BB2075_299 Depth=1
                                        ; =>  This Inner Loop Header: Depth=2
	s_wait_xcnt 0x1
	v_add_nc_u32_e32 v30, s3, v28
	s_add_co_i32 s3, s3, 8
	s_delay_alu instid0(SALU_CYCLE_1)
	s_cmp_lg_u32 s3, 16
	ds_store_2addr_b32 v30, v9, v9 offset1:1
	s_cbranch_scc1 .LBB2075_307
; %bb.308:                              ;   in Loop: Header=BB2075_299 Depth=1
	ds_load_b32 v31, v16 offset:16
	ds_bpermute_b32 v33, v18, v4
	ds_bpermute_b32 v34, v18, v5
	;; [unrolled: 1-line block ×4, first 2 shown]
	v_cmp_eq_u16_e32 vcc_lo, 2, v17
	s_mov_b32 s3, exec_lo
	s_wait_dscnt 0x2
	ds_store_2addr_b32 v28, v33, v34 offset1:1
	s_wait_dscnt 0x1
	ds_store_2addr_b32 v28, v35, v36 offset0:2 offset1:3
	ds_bpermute_b32 v32, v18, v31
	v_and_or_b32 v30, vcc_lo, v19, 0x80000000
	s_delay_alu instid0(VALU_DEP_1) | instskip(SKIP_1) | instid1(VALU_DEP_1)
	v_ctz_i32_b32_e32 v30, v30
	s_wait_xcnt 0x0
	v_cmpx_lt_u32_e64 v15, v30
	s_cbranch_execz .LBB2075_316
; %bb.309:                              ;   in Loop: Header=BB2075_299 Depth=1
	v_and_b32_e32 v33, 0xff, v31
	s_mov_b32 s5, exec_lo
	s_delay_alu instid0(VALU_DEP_1)
	v_cmpx_eq_u16_e32 0, v33
	s_cbranch_execz .LBB2075_315
; %bb.310:                              ;   in Loop: Header=BB2075_299 Depth=1
	s_mov_b32 s6, 0
.LBB2075_311:                           ;   Parent Loop BB2075_299 Depth=1
                                        ; =>  This Inner Loop Header: Depth=2
	s_delay_alu instid0(SALU_CYCLE_1) | instskip(SKIP_1) | instid1(SALU_CYCLE_1)
	v_add_nc_u32_e32 v4, s6, v29
	s_add_co_i32 s6, s6, 8
	s_cmp_lg_u32 s6, 16
	ds_store_2addr_b32 v4, v9, v9 offset1:1
	s_cbranch_scc1 .LBB2075_311
; %bb.312:                              ;   in Loop: Header=BB2075_299 Depth=1
	s_mov_b32 s6, 0
.LBB2075_313:                           ;   Parent Loop BB2075_299 Depth=1
                                        ; =>  This Inner Loop Header: Depth=2
	s_delay_alu instid0(SALU_CYCLE_1)
	v_dual_add_nc_u32 v4, s6, v28 :: v_dual_add_nc_u32 v33, s6, v29
	v_add_nc_u32_e32 v6, s6, v16
	s_add_co_i32 s6, s6, 8
	ds_load_2addr_b32 v[4:5], v4 offset1:1
	ds_load_2addr_b32 v[6:7], v6 offset1:1
	s_cmp_lg_u32 s6, 16
	s_wait_dscnt 0x0
	v_dual_add_nc_u32 v5, v7, v5 :: v_dual_add_nc_u32 v4, v6, v4
	ds_store_2addr_b32 v33, v4, v5 offset1:1
	s_cbranch_scc1 .LBB2075_313
; %bb.314:                              ;   in Loop: Header=BB2075_299 Depth=1
	ds_load_2addr_b32 v[4:5], v29 offset1:1
	ds_load_2addr_b32 v[6:7], v29 offset0:2 offset1:3
.LBB2075_315:                           ;   in Loop: Header=BB2075_299 Depth=1
	s_or_b32 exec_lo, exec_lo, s5
	s_wait_dscnt 0x0
	v_or_b32_e32 v31, v32, v31
	s_delay_alu instid0(VALU_DEP_1)
	v_and_b32_e32 v31, 1, v31
	ds_store_b8 v16, v31 offset:16
	ds_load_b32 v31, v16 offset:16
	ds_store_2addr_b32 v16, v4, v5 offset1:1
	ds_store_2addr_b32 v16, v6, v7 offset0:2 offset1:3
.LBB2075_316:                           ;   in Loop: Header=BB2075_299 Depth=1
	s_or_b32 exec_lo, exec_lo, s3
	ds_bpermute_b32 v33, v20, v4
	ds_bpermute_b32 v34, v20, v5
	s_wait_dscnt 0x2
	ds_bpermute_b32 v32, v20, v31
	ds_bpermute_b32 v35, v20, v6
	;; [unrolled: 1-line block ×3, first 2 shown]
	s_mov_b32 s5, exec_lo
	s_wait_dscnt 0x3
	ds_store_2addr_b32 v28, v33, v34 offset1:1
	s_wait_dscnt 0x1
	ds_store_2addr_b32 v28, v35, v36 offset0:2 offset1:3
	v_cmpx_le_u32_e64 v21, v30
	s_cbranch_execz .LBB2075_324
; %bb.317:                              ;   in Loop: Header=BB2075_299 Depth=1
	v_and_b32_e32 v33, 0xff, v31
	s_mov_b32 s3, exec_lo
	s_delay_alu instid0(VALU_DEP_1)
	v_cmpx_eq_u16_e32 0, v33
	s_cbranch_execz .LBB2075_323
; %bb.318:                              ;   in Loop: Header=BB2075_299 Depth=1
	s_mov_b32 s6, 0
.LBB2075_319:                           ;   Parent Loop BB2075_299 Depth=1
                                        ; =>  This Inner Loop Header: Depth=2
	s_delay_alu instid0(SALU_CYCLE_1) | instskip(SKIP_1) | instid1(SALU_CYCLE_1)
	v_add_nc_u32_e32 v4, s6, v29
	s_add_co_i32 s6, s6, 8
	s_cmp_lg_u32 s6, 16
	ds_store_2addr_b32 v4, v9, v9 offset1:1
	s_cbranch_scc1 .LBB2075_319
; %bb.320:                              ;   in Loop: Header=BB2075_299 Depth=1
	s_mov_b32 s6, 0
.LBB2075_321:                           ;   Parent Loop BB2075_299 Depth=1
                                        ; =>  This Inner Loop Header: Depth=2
	s_delay_alu instid0(SALU_CYCLE_1)
	v_dual_add_nc_u32 v4, s6, v28 :: v_dual_add_nc_u32 v33, s6, v29
	v_add_nc_u32_e32 v6, s6, v16
	s_add_co_i32 s6, s6, 8
	ds_load_2addr_b32 v[4:5], v4 offset1:1
	ds_load_2addr_b32 v[6:7], v6 offset1:1
	s_cmp_lg_u32 s6, 16
	s_wait_dscnt 0x0
	v_dual_add_nc_u32 v5, v7, v5 :: v_dual_add_nc_u32 v4, v6, v4
	ds_store_2addr_b32 v33, v4, v5 offset1:1
	s_cbranch_scc1 .LBB2075_321
; %bb.322:                              ;   in Loop: Header=BB2075_299 Depth=1
	ds_load_2addr_b32 v[4:5], v29 offset1:1
	ds_load_2addr_b32 v[6:7], v29 offset0:2 offset1:3
.LBB2075_323:                           ;   in Loop: Header=BB2075_299 Depth=1
	s_or_b32 exec_lo, exec_lo, s3
	v_and_b32_e32 v31, 1, v31
	v_and_b32_e32 v32, 1, v32
	s_delay_alu instid0(VALU_DEP_2) | instskip(NEXT) | instid1(VALU_DEP_2)
	v_cmp_eq_u32_e32 vcc_lo, 1, v31
	v_cmp_eq_u32_e64 s3, 1, v32
	s_or_b32 s3, vcc_lo, s3
	s_delay_alu instid0(SALU_CYCLE_1)
	v_cndmask_b32_e64 v31, 0, 1, s3
	ds_store_b8 v16, v31 offset:16
	ds_load_b32 v31, v16 offset:16
	s_wait_dscnt 0x3
	ds_store_2addr_b32 v16, v4, v5 offset1:1
	s_wait_dscnt 0x3
	ds_store_2addr_b32 v16, v6, v7 offset0:2 offset1:3
.LBB2075_324:                           ;   in Loop: Header=BB2075_299 Depth=1
	s_or_b32 exec_lo, exec_lo, s5
	ds_bpermute_b32 v33, v22, v4
	ds_bpermute_b32 v34, v22, v5
	s_wait_dscnt 0x4
	ds_bpermute_b32 v32, v22, v31
	ds_bpermute_b32 v35, v22, v6
	ds_bpermute_b32 v36, v22, v7
	s_mov_b32 s5, exec_lo
	s_wait_dscnt 0x3
	ds_store_2addr_b32 v28, v33, v34 offset1:1
	s_wait_dscnt 0x1
	ds_store_2addr_b32 v28, v35, v36 offset0:2 offset1:3
	v_cmpx_le_u32_e64 v23, v30
	s_cbranch_execz .LBB2075_332
; %bb.325:                              ;   in Loop: Header=BB2075_299 Depth=1
	v_and_b32_e32 v33, 0xff, v31
	s_mov_b32 s3, exec_lo
	s_delay_alu instid0(VALU_DEP_1)
	v_cmpx_eq_u16_e32 0, v33
	s_cbranch_execz .LBB2075_331
; %bb.326:                              ;   in Loop: Header=BB2075_299 Depth=1
	s_mov_b32 s6, 0
.LBB2075_327:                           ;   Parent Loop BB2075_299 Depth=1
                                        ; =>  This Inner Loop Header: Depth=2
	s_delay_alu instid0(SALU_CYCLE_1) | instskip(SKIP_1) | instid1(SALU_CYCLE_1)
	v_add_nc_u32_e32 v4, s6, v29
	s_add_co_i32 s6, s6, 8
	s_cmp_lg_u32 s6, 16
	ds_store_2addr_b32 v4, v9, v9 offset1:1
	s_cbranch_scc1 .LBB2075_327
; %bb.328:                              ;   in Loop: Header=BB2075_299 Depth=1
	s_mov_b32 s6, 0
.LBB2075_329:                           ;   Parent Loop BB2075_299 Depth=1
                                        ; =>  This Inner Loop Header: Depth=2
	s_delay_alu instid0(SALU_CYCLE_1)
	v_dual_add_nc_u32 v4, s6, v28 :: v_dual_add_nc_u32 v33, s6, v29
	v_add_nc_u32_e32 v6, s6, v16
	s_add_co_i32 s6, s6, 8
	ds_load_2addr_b32 v[4:5], v4 offset1:1
	ds_load_2addr_b32 v[6:7], v6 offset1:1
	s_cmp_lg_u32 s6, 16
	s_wait_dscnt 0x0
	v_dual_add_nc_u32 v5, v7, v5 :: v_dual_add_nc_u32 v4, v6, v4
	ds_store_2addr_b32 v33, v4, v5 offset1:1
	s_cbranch_scc1 .LBB2075_329
; %bb.330:                              ;   in Loop: Header=BB2075_299 Depth=1
	ds_load_2addr_b32 v[4:5], v29 offset1:1
	ds_load_2addr_b32 v[6:7], v29 offset0:2 offset1:3
.LBB2075_331:                           ;   in Loop: Header=BB2075_299 Depth=1
	s_or_b32 exec_lo, exec_lo, s3
	v_and_b32_e32 v31, 1, v31
	v_and_b32_e32 v32, 1, v32
	s_delay_alu instid0(VALU_DEP_2) | instskip(NEXT) | instid1(VALU_DEP_2)
	v_cmp_eq_u32_e32 vcc_lo, 1, v31
	v_cmp_eq_u32_e64 s3, 1, v32
	s_or_b32 s3, vcc_lo, s3
	s_delay_alu instid0(SALU_CYCLE_1)
	v_cndmask_b32_e64 v31, 0, 1, s3
	ds_store_b8 v16, v31 offset:16
	ds_load_b32 v31, v16 offset:16
	s_wait_dscnt 0x3
	ds_store_2addr_b32 v16, v4, v5 offset1:1
	s_wait_dscnt 0x3
	ds_store_2addr_b32 v16, v6, v7 offset0:2 offset1:3
.LBB2075_332:                           ;   in Loop: Header=BB2075_299 Depth=1
	s_or_b32 exec_lo, exec_lo, s5
	ds_bpermute_b32 v33, v24, v4
	ds_bpermute_b32 v34, v24, v5
	s_wait_dscnt 0x4
	ds_bpermute_b32 v32, v24, v31
	ds_bpermute_b32 v35, v24, v6
	;; [unrolled: 1-line block ×3, first 2 shown]
	s_mov_b32 s5, exec_lo
	s_wait_dscnt 0x3
	ds_store_2addr_b32 v28, v33, v34 offset1:1
	s_wait_dscnt 0x1
	ds_store_2addr_b32 v28, v35, v36 offset0:2 offset1:3
	v_cmpx_le_u32_e64 v25, v30
	s_cbranch_execz .LBB2075_340
; %bb.333:                              ;   in Loop: Header=BB2075_299 Depth=1
	v_and_b32_e32 v33, 0xff, v31
	s_mov_b32 s3, exec_lo
	s_delay_alu instid0(VALU_DEP_1)
	v_cmpx_eq_u16_e32 0, v33
	s_cbranch_execz .LBB2075_339
; %bb.334:                              ;   in Loop: Header=BB2075_299 Depth=1
	s_mov_b32 s6, 0
.LBB2075_335:                           ;   Parent Loop BB2075_299 Depth=1
                                        ; =>  This Inner Loop Header: Depth=2
	s_delay_alu instid0(SALU_CYCLE_1) | instskip(SKIP_1) | instid1(SALU_CYCLE_1)
	v_add_nc_u32_e32 v4, s6, v29
	s_add_co_i32 s6, s6, 8
	s_cmp_lg_u32 s6, 16
	ds_store_2addr_b32 v4, v9, v9 offset1:1
	s_cbranch_scc1 .LBB2075_335
; %bb.336:                              ;   in Loop: Header=BB2075_299 Depth=1
	s_mov_b32 s6, 0
.LBB2075_337:                           ;   Parent Loop BB2075_299 Depth=1
                                        ; =>  This Inner Loop Header: Depth=2
	s_delay_alu instid0(SALU_CYCLE_1)
	v_dual_add_nc_u32 v4, s6, v28 :: v_dual_add_nc_u32 v33, s6, v29
	v_add_nc_u32_e32 v6, s6, v16
	s_add_co_i32 s6, s6, 8
	ds_load_2addr_b32 v[4:5], v4 offset1:1
	ds_load_2addr_b32 v[6:7], v6 offset1:1
	s_cmp_lg_u32 s6, 16
	s_wait_dscnt 0x0
	v_dual_add_nc_u32 v5, v7, v5 :: v_dual_add_nc_u32 v4, v6, v4
	ds_store_2addr_b32 v33, v4, v5 offset1:1
	s_cbranch_scc1 .LBB2075_337
; %bb.338:                              ;   in Loop: Header=BB2075_299 Depth=1
	ds_load_2addr_b32 v[4:5], v29 offset1:1
	ds_load_2addr_b32 v[6:7], v29 offset0:2 offset1:3
.LBB2075_339:                           ;   in Loop: Header=BB2075_299 Depth=1
	s_or_b32 exec_lo, exec_lo, s3
	v_and_b32_e32 v31, 1, v31
	v_and_b32_e32 v32, 1, v32
	s_delay_alu instid0(VALU_DEP_2) | instskip(NEXT) | instid1(VALU_DEP_2)
	v_cmp_eq_u32_e32 vcc_lo, 1, v31
	v_cmp_eq_u32_e64 s3, 1, v32
	s_or_b32 s3, vcc_lo, s3
	s_delay_alu instid0(SALU_CYCLE_1)
	v_cndmask_b32_e64 v31, 0, 1, s3
	ds_store_b8 v16, v31 offset:16
	ds_load_b32 v31, v16 offset:16
	s_wait_dscnt 0x3
	ds_store_2addr_b32 v16, v4, v5 offset1:1
	s_wait_dscnt 0x3
	ds_store_2addr_b32 v16, v6, v7 offset0:2 offset1:3
.LBB2075_340:                           ;   in Loop: Header=BB2075_299 Depth=1
	s_or_b32 exec_lo, exec_lo, s5
	ds_bpermute_b32 v33, v26, v4
	ds_bpermute_b32 v34, v26, v5
	s_wait_dscnt 0x4
	ds_bpermute_b32 v32, v26, v31
	ds_bpermute_b32 v35, v26, v6
	;; [unrolled: 1-line block ×3, first 2 shown]
	v_and_b32_e32 v37, 1, v31
	s_mov_b32 s5, exec_lo
	s_wait_dscnt 0x3
	ds_store_2addr_b32 v28, v33, v34 offset1:1
	s_wait_dscnt 0x1
	ds_store_2addr_b32 v28, v35, v36 offset0:2 offset1:3
	v_cmp_eq_u32_e64 s3, 1, v37
	v_cmpx_le_u32_e64 v27, v30
	s_cbranch_execz .LBB2075_348
; %bb.341:                              ;   in Loop: Header=BB2075_299 Depth=1
	v_and_b32_e32 v30, 0xff, v31
	s_mov_b32 s6, exec_lo
	s_delay_alu instid0(VALU_DEP_1)
	v_cmpx_eq_u16_e32 0, v30
	s_cbranch_execz .LBB2075_347
; %bb.342:                              ;   in Loop: Header=BB2075_299 Depth=1
	s_mov_b32 s7, 0
.LBB2075_343:                           ;   Parent Loop BB2075_299 Depth=1
                                        ; =>  This Inner Loop Header: Depth=2
	s_delay_alu instid0(SALU_CYCLE_1) | instskip(SKIP_1) | instid1(SALU_CYCLE_1)
	v_add_nc_u32_e32 v4, s7, v29
	s_add_co_i32 s7, s7, 8
	s_cmp_lg_u32 s7, 16
	ds_store_2addr_b32 v4, v9, v9 offset1:1
	s_cbranch_scc1 .LBB2075_343
; %bb.344:                              ;   in Loop: Header=BB2075_299 Depth=1
	s_mov_b32 s7, 0
.LBB2075_345:                           ;   Parent Loop BB2075_299 Depth=1
                                        ; =>  This Inner Loop Header: Depth=2
	s_delay_alu instid0(SALU_CYCLE_1)
	v_dual_add_nc_u32 v4, s7, v28 :: v_dual_add_nc_u32 v30, s7, v29
	v_add_nc_u32_e32 v6, s7, v16
	s_add_co_i32 s7, s7, 8
	ds_load_2addr_b32 v[4:5], v4 offset1:1
	ds_load_2addr_b32 v[6:7], v6 offset1:1
	s_cmp_lg_u32 s7, 16
	s_wait_dscnt 0x0
	v_dual_add_nc_u32 v5, v7, v5 :: v_dual_add_nc_u32 v4, v6, v4
	ds_store_2addr_b32 v30, v4, v5 offset1:1
	s_cbranch_scc1 .LBB2075_345
; %bb.346:                              ;   in Loop: Header=BB2075_299 Depth=1
	ds_load_2addr_b32 v[4:5], v29 offset1:1
	ds_load_2addr_b32 v[6:7], v29 offset0:2 offset1:3
.LBB2075_347:                           ;   in Loop: Header=BB2075_299 Depth=1
	s_or_b32 exec_lo, exec_lo, s6
	v_and_b32_e32 v30, 1, v32
	s_and_not1_b32 s6, s3, exec_lo
	s_delay_alu instid0(VALU_DEP_1) | instskip(SKIP_1) | instid1(SALU_CYCLE_1)
	v_cmp_eq_u32_e32 vcc_lo, 1, v30
	s_or_b32 s3, s3, vcc_lo
	v_cndmask_b32_e64 v30, 0, 1, s3
	s_and_b32 s3, s3, exec_lo
	s_wait_dscnt 0x1
	ds_store_2addr_b32 v16, v4, v5 offset1:1
	s_wait_dscnt 0x1
	ds_store_2addr_b32 v16, v6, v7 offset0:2 offset1:3
	ds_store_b8 v16, v30 offset:16
	s_or_b32 s3, s6, s3
.LBB2075_348:                           ;   in Loop: Header=BB2075_299 Depth=1
	s_or_b32 exec_lo, exec_lo, s5
	scratch_load_u8 v30, off, off offset:176
	s_mov_b32 s5, exec_lo
                                        ; implicit-def: $vgpr6_vgpr7
	s_wait_loadcnt 0x0
	v_cmpx_ne_u16_e32 0, v30
	s_xor_b32 s5, exec_lo, s5
	s_cbranch_execz .LBB2075_350
; %bb.349:                              ;   in Loop: Header=BB2075_299 Depth=1
	scratch_load_b128 v[4:7], off, off offset:160
.LBB2075_350:                           ;   in Loop: Header=BB2075_299 Depth=1
	s_wait_xcnt 0x0
	s_and_not1_saveexec_b32 s5, s5
	s_cbranch_execz .LBB2075_297
; %bb.351:                              ;   in Loop: Header=BB2075_299 Depth=1
	s_mov_b32 s6, 0
.LBB2075_352:                           ;   Parent Loop BB2075_299 Depth=1
                                        ; =>  This Inner Loop Header: Depth=2
	s_wait_xcnt 0x0
	s_mov_b32 s7, s6
	s_add_co_i32 s6, s6, 8
	scratch_store_b64 off, v[10:11], s7
	s_cmp_lg_u32 s6, 16
	s_cbranch_scc1 .LBB2075_352
; %bb.353:                              ;   in Loop: Header=BB2075_299 Depth=1
	s_mov_b32 s6, 0
.LBB2075_354:                           ;   Parent Loop BB2075_299 Depth=1
                                        ; =>  This Inner Loop Header: Depth=2
	s_wait_xcnt 0x0
	s_add_co_i32 s7, s6, 0xa0
	s_wait_loadcnt 0x0
	scratch_load_b64 v[4:5], off, s7
	v_add_nc_u32_e32 v6, s6, v16
	s_wait_xcnt 0x0
	s_mov_b32 s7, s6
	s_add_co_i32 s6, s6, 8
	s_delay_alu instid0(SALU_CYCLE_1)
	s_cmp_lg_u32 s6, 16
	ds_load_2addr_b32 v[6:7], v6 offset1:1
	s_wait_loadcnt_dscnt 0x0
	v_dual_add_nc_u32 v5, v5, v7 :: v_dual_add_nc_u32 v4, v4, v6
	scratch_store_b64 off, v[4:5], s7
	s_cbranch_scc1 .LBB2075_354
	s_branch .LBB2075_296
.LBB2075_355:
	s_cbranch_execnz .LBB2075_451
	s_branch .LBB2075_684
.LBB2075_356:
	s_clause 0x1
	scratch_load_b128 v[4:7], off, off offset:160
	scratch_load_b32 v8, off, off offset:176
	s_wait_loadcnt 0x1
	scratch_store_b128 off, v[4:7], off
	s_wait_loadcnt 0x0
	scratch_store_b32 off, v8, off offset:16
	s_wait_xcnt 0x0
	s_and_saveexec_b32 s3, s2
	s_cbranch_execz .LBB2075_364
; %bb.357:
	v_and_b32_e32 v9, 0xff, v14
	s_mov_b32 s2, 0
	s_delay_alu instid0(VALU_DEP_1)
	v_cmp_ne_u32_e32 vcc_lo, 0, v9
	s_cbranch_vccnz .LBB2075_363
; %bb.358:
	v_mov_b64_e32 v[0:1], 0
.LBB2075_359:                           ; =>This Inner Loop Header: Depth=1
	s_wait_xcnt 0x0
	s_add_co_i32 s5, s2, 0xa0
	s_add_co_i32 s2, s2, 8
	scratch_store_b64 off, v[0:1], s5
	s_cmp_lg_u32 s2, 16
	s_cbranch_scc1 .LBB2075_359
; %bb.360:
	s_mov_b32 s2, 0
.LBB2075_361:                           ; =>This Inner Loop Header: Depth=1
	s_wait_xcnt 0x1
	s_add_co_i32 s6, s2, 0xb4
	scratch_load_b64 v[0:1], off, s2
	scratch_load_b64 v[2:3], off, s6
	s_mov_b32 s5, s2
                                        ; kill: killed $sgpr5
	s_add_co_i32 s5, s2, 0xa0
	s_wait_xcnt 0x1
	s_add_co_i32 s2, s2, 8
                                        ; kill: killed $sgpr6
	s_delay_alu instid0(SALU_CYCLE_1)
	s_cmp_lg_u32 s2, 16
	s_wait_loadcnt 0x0
	v_dual_add_nc_u32 v1, v3, v1 :: v_dual_add_nc_u32 v0, v2, v0
	scratch_store_b64 off, v[0:1], s5
	s_cbranch_scc1 .LBB2075_361
; %bb.362:
	scratch_load_b128 v[0:3], off, off offset:160
.LBB2075_363:
	s_add_co_i32 s6, s34, 32
	s_mov_b32 s7, 0
	v_bitop3_b16 v9, v14, 1, v8 bitop3:0xc8
	v_dual_mov_b32 v10, 0 :: v_dual_mov_b32 v11, 2
	v_mov_b32_e32 v14, s6
	s_mul_u64 s[8:9], s[6:7], 20
	s_delay_alu instid0(SALU_CYCLE_1)
	s_add_nc_u64 s[8:9], s[14:15], s[8:9]
	s_wait_loadcnt 0x0
	s_clause 0x1
	global_store_b128 v10, v[0:3], s[8:9]
	global_store_b8 v10, v9, s[8:9] offset:16
	global_wb scope:SCOPE_DEV
	s_wait_storecnt_dscnt 0x0
	global_inv scope:SCOPE_DEV
	s_wait_xcnt 0x0
	global_store_b8 v14, v11, s[16:17] scope:SCOPE_DEV
.LBB2075_364:
	s_wait_xcnt 0x0
	s_or_b32 exec_lo, exec_lo, s3
	s_delay_alu instid0(SALU_CYCLE_1)
	s_and_b32 exec_lo, exec_lo, s1
	s_cbranch_execz .LBB2075_366
; %bb.365:
	v_mov_b32_e32 v0, 0
	ds_store_b128 v0, v[4:7]
	ds_store_b8 v0, v8 offset:16
.LBB2075_366:
	s_or_b32 exec_lo, exec_lo, s4
	s_wait_storecnt 0x0
	s_wait_loadcnt_dscnt 0x0
	s_barrier_signal -1
	s_barrier_wait -1
	s_clause 0x1
	scratch_load_b128 v[0:3], off, off offset:240
	scratch_load_b32 v5, off, off offset:256
	v_mov_b32_e32 v4, 0
	ds_load_b128 v[6:9], v4
	ds_load_b32 v4, v4 offset:16
	s_wait_dscnt 0x1
	scratch_store_b128 off, v[6:9], off
	s_wait_dscnt 0x0
	scratch_store_b32 off, v4, off offset:16
	s_wait_loadcnt 0x1
	scratch_store_b128 off, v[0:3], off offset:160
	s_wait_loadcnt 0x0
	s_clause 0x2
	scratch_store_b32 off, v5, off offset:176
	scratch_store_b128 off, v[6:9], off offset:180
	scratch_store_b32 off, v4, off offset:196
                                        ; implicit-def: $vgpr5
	s_wait_xcnt 0x0
	s_and_saveexec_b32 s1, s0
	s_delay_alu instid0(SALU_CYCLE_1)
	s_xor_b32 s0, exec_lo, s1
	s_cbranch_execz .LBB2075_376
; %bb.367:
	scratch_load_u8 v5, off, off offset:216
	s_mov_b32 s1, exec_lo
                                        ; implicit-def: $vgpr2_vgpr3
	s_wait_loadcnt 0x0
	v_cmpx_ne_u16_e32 0, v5
	s_xor_b32 s1, exec_lo, s1
	s_cbranch_execz .LBB2075_369
; %bb.368:
	scratch_load_b128 v[0:3], off, off offset:200
.LBB2075_369:
	s_wait_xcnt 0x0
	s_and_not1_saveexec_b32 s1, s1
	s_cbranch_execz .LBB2075_375
; %bb.370:
	s_wait_loadcnt 0x0
	v_mov_b64_e32 v[0:1], 0
	s_mov_b32 s2, 0
.LBB2075_371:                           ; =>This Inner Loop Header: Depth=1
	s_wait_xcnt 0x0
	s_add_co_i32 s3, s2, 0x1b8
	s_add_co_i32 s2, s2, 8
	scratch_store_b64 off, v[0:1], s3
	s_cmp_lg_u32 s2, 16
	s_cbranch_scc1 .LBB2075_371
; %bb.372:
	s_mov_b32 s2, 0
.LBB2075_373:                           ; =>This Inner Loop Header: Depth=1
	s_wait_xcnt 0x1
	s_add_co_i32 s4, s2, 0xc8
	scratch_load_b64 v[0:1], off, s2
	scratch_load_b64 v[2:3], off, s4
	s_mov_b32 s3, s2
                                        ; kill: killed $sgpr3
	s_add_co_i32 s3, s2, 0x1b8
	s_wait_xcnt 0x1
	s_add_co_i32 s2, s2, 8
                                        ; kill: killed $sgpr4
	s_delay_alu instid0(SALU_CYCLE_1)
	s_cmp_lg_u32 s2, 16
	s_wait_loadcnt 0x0
	v_dual_add_nc_u32 v1, v3, v1 :: v_dual_add_nc_u32 v0, v2, v0
	scratch_store_b64 off, v[0:1], s3
	s_cbranch_scc1 .LBB2075_373
; %bb.374:
	scratch_load_b128 v[0:3], off, off offset:440
.LBB2075_375:
	s_wait_xcnt 0x0
	s_or_b32 exec_lo, exec_lo, s1
	v_bitop3_b16 v5, v5, 1, v4 bitop3:0xc8
	s_wait_loadcnt 0x0
	s_clause 0x1
	scratch_store_b128 off, v[0:3], off offset:180
	scratch_store_b8 off, v5, off offset:196
.LBB2075_376:
	s_wait_xcnt 0x0
	s_and_not1_saveexec_b32 s0, s0
	s_cbranch_execz .LBB2075_378
; %bb.377:
	scratch_load_u8 v5, off, off offset:196
.LBB2075_378:
	s_wait_xcnt 0x0
	s_or_b32 exec_lo, exec_lo, s0
	s_clause 0x1
	scratch_load_u8 v7, off, off offset:176
	scratch_load_b128 v[0:3], off, off offset:180
	s_mov_b32 s0, exec_lo
	s_wait_loadcnt 0x0
	s_clause 0x1
	scratch_store_b128 off, v[0:3], off offset:240
	scratch_store_b8 off, v5, off offset:256
                                        ; implicit-def: $vgpr2_vgpr3
	s_wait_xcnt 0x0
	v_cmpx_ne_u16_e32 0, v7
	s_xor_b32 s0, exec_lo, s0
	s_cbranch_execz .LBB2075_380
; %bb.379:
	scratch_load_b128 v[0:3], off, off offset:160
.LBB2075_380:
	s_wait_xcnt 0x0
	s_or_saveexec_b32 s0, s0
	v_lshl_add_u32 v4, v13, 4, 0x3f00
	s_xor_b32 exec_lo, exec_lo, s0
	s_cbranch_execz .LBB2075_386
; %bb.381:
	s_wait_loadcnt 0x0
	v_mov_b32_e32 v0, 0
	s_mov_b32 s1, 0
.LBB2075_382:                           ; =>This Inner Loop Header: Depth=1
	s_delay_alu instid0(SALU_CYCLE_1) | instskip(SKIP_1) | instid1(SALU_CYCLE_1)
	v_add_nc_u32_e32 v1, s1, v4
	s_add_co_i32 s1, s1, 8
	s_cmp_lg_u32 s1, 16
	ds_store_2addr_b32 v1, v0, v0 offset1:1
	s_cbranch_scc1 .LBB2075_382
; %bb.383:
	s_mov_b32 s1, 0
.LBB2075_384:                           ; =>This Inner Loop Header: Depth=1
	s_wait_xcnt 0x1
	s_add_co_i32 s2, s1, 0xb4
	s_wait_xcnt 0x0
	s_add_co_i32 s3, s1, 0xa0
	scratch_load_b64 v[0:1], off, s2
	scratch_load_b64 v[2:3], off, s3
	v_add_nc_u32_e32 v6, s1, v4
	s_add_co_i32 s1, s1, 8
                                        ; kill: killed $sgpr3
                                        ; kill: killed $sgpr2
	s_delay_alu instid0(SALU_CYCLE_1)
	s_cmp_lg_u32 s1, 16
	s_wait_loadcnt 0x0
	v_dual_add_nc_u32 v1, v3, v1 :: v_dual_add_nc_u32 v0, v2, v0
	ds_store_2addr_b32 v6, v0, v1 offset1:1
	s_cbranch_scc1 .LBB2075_384
; %bb.385:
	ds_load_2addr_b32 v[0:1], v4 offset1:1
	ds_load_2addr_b32 v[2:3], v4 offset0:2 offset1:3
.LBB2075_386:
	s_wait_xcnt 0x0
	s_or_b32 exec_lo, exec_lo, s0
	scratch_load_u8 v6, off, off offset:276
	scratch_load_b128 v[8:11], off, s19
	v_or_b32_e32 v14, v7, v5
	v_bitop3_b16 v5, v7, 1, v5 bitop3:0xc8
	s_wait_loadcnt_dscnt 0x200
	scratch_store_b128 off, v[0:3], off offset:180
	s_wait_loadcnt 0x0
	scratch_store_b128 off, v[8:11], off offset:160
	scratch_store_b128 off, v[0:3], s19
	scratch_store_b8 off, v5, off offset:276
	v_and_b32_e32 v14, 1, v14
	v_cmp_ne_u16_e64 s0, 0, v6
                                        ; implicit-def: $vgpr2_vgpr3
	s_delay_alu instid0(VALU_DEP_2) | instskip(SKIP_2) | instid1(SALU_CYCLE_1)
	v_cmp_eq_u32_e32 vcc_lo, 1, v14
	s_wait_xcnt 0x0
	s_and_saveexec_b32 s1, s0
	s_xor_b32 s0, exec_lo, s1
	s_cbranch_execz .LBB2075_388
; %bb.387:
	scratch_load_b128 v[0:3], off, off offset:160
.LBB2075_388:
	s_wait_xcnt 0x0
	s_and_not1_saveexec_b32 s0, s0
	s_cbranch_execz .LBB2075_394
; %bb.389:
	s_wait_loadcnt 0x0
	v_mov_b32_e32 v0, 0
	s_mov_b32 s1, 0
.LBB2075_390:                           ; =>This Inner Loop Header: Depth=1
	s_delay_alu instid0(SALU_CYCLE_1) | instskip(SKIP_1) | instid1(SALU_CYCLE_1)
	v_add_nc_u32_e32 v1, s1, v4
	s_add_co_i32 s1, s1, 8
	s_cmp_lg_u32 s1, 16
	ds_store_2addr_b32 v1, v0, v0 offset1:1
	s_cbranch_scc1 .LBB2075_390
; %bb.391:
	s_mov_b32 s1, 0
.LBB2075_392:                           ; =>This Inner Loop Header: Depth=1
	s_wait_xcnt 0x1
	s_add_co_i32 s2, s1, 0xb4
	s_wait_xcnt 0x0
	s_add_co_i32 s3, s1, 0xa0
	scratch_load_b64 v[0:1], off, s2
	scratch_load_b64 v[2:3], off, s3
	v_add_nc_u32_e32 v5, s1, v4
	s_add_co_i32 s1, s1, 8
                                        ; kill: killed $sgpr3
                                        ; kill: killed $sgpr2
	s_delay_alu instid0(SALU_CYCLE_1)
	s_cmp_lg_u32 s1, 16
	s_wait_loadcnt 0x0
	v_dual_add_nc_u32 v1, v3, v1 :: v_dual_add_nc_u32 v0, v2, v0
	ds_store_2addr_b32 v5, v0, v1 offset1:1
	s_cbranch_scc1 .LBB2075_392
; %bb.393:
	ds_load_2addr_b32 v[0:1], v4 offset1:1
	ds_load_2addr_b32 v[2:3], v4 offset0:2 offset1:3
.LBB2075_394:
	s_wait_xcnt 0x0
	s_or_b32 exec_lo, exec_lo, s0
	scratch_load_u8 v5, off, off offset:296
	scratch_load_b128 v[8:11], off, s33
	v_and_b32_e32 v6, 1, v6
	s_mov_b32 s1, exec_lo
	s_delay_alu instid0(VALU_DEP_1) | instskip(SKIP_1) | instid1(SALU_CYCLE_1)
	v_cmp_eq_u32_e64 s0, 1, v6
	s_or_b32 s0, s0, vcc_lo
	v_cndmask_b32_e64 v6, 0, 1, s0
	s_wait_loadcnt_dscnt 0x200
	scratch_store_b128 off, v[0:3], off offset:180
	s_wait_loadcnt 0x0
	scratch_store_b128 off, v[8:11], off offset:160
	scratch_store_b128 off, v[0:3], s33
	scratch_store_b8 off, v6, off offset:296
                                        ; implicit-def: $vgpr2_vgpr3
	s_wait_xcnt 0x0
	v_cmpx_ne_u16_e32 0, v5
	s_xor_b32 s1, exec_lo, s1
	s_cbranch_execz .LBB2075_396
; %bb.395:
	scratch_load_b128 v[0:3], off, off offset:160
.LBB2075_396:
	s_wait_xcnt 0x0
	s_and_not1_saveexec_b32 s1, s1
	s_cbranch_execz .LBB2075_402
; %bb.397:
	s_wait_loadcnt 0x0
	v_mov_b32_e32 v0, 0
	s_mov_b32 s2, 0
.LBB2075_398:                           ; =>This Inner Loop Header: Depth=1
	s_delay_alu instid0(SALU_CYCLE_1) | instskip(SKIP_1) | instid1(SALU_CYCLE_1)
	v_add_nc_u32_e32 v1, s2, v4
	s_add_co_i32 s2, s2, 8
	s_cmp_lg_u32 s2, 16
	ds_store_2addr_b32 v1, v0, v0 offset1:1
	s_cbranch_scc1 .LBB2075_398
; %bb.399:
	s_mov_b32 s2, 0
.LBB2075_400:                           ; =>This Inner Loop Header: Depth=1
	s_wait_xcnt 0x1
	s_add_co_i32 s3, s2, 0xb4
	s_wait_xcnt 0x0
	s_add_co_i32 s4, s2, 0xa0
	scratch_load_b64 v[0:1], off, s3
	scratch_load_b64 v[2:3], off, s4
	v_add_nc_u32_e32 v6, s2, v4
	s_add_co_i32 s2, s2, 8
                                        ; kill: killed $sgpr3
                                        ; kill: killed $sgpr4
	s_delay_alu instid0(SALU_CYCLE_1)
	s_cmp_lg_u32 s2, 16
	s_wait_loadcnt 0x0
	v_dual_add_nc_u32 v1, v3, v1 :: v_dual_add_nc_u32 v0, v2, v0
	ds_store_2addr_b32 v6, v0, v1 offset1:1
	s_cbranch_scc1 .LBB2075_400
; %bb.401:
	ds_load_2addr_b32 v[0:1], v4 offset1:1
	ds_load_2addr_b32 v[2:3], v4 offset0:2 offset1:3
.LBB2075_402:
	s_wait_xcnt 0x0
	s_or_b32 exec_lo, exec_lo, s1
	scratch_load_u8 v6, off, off offset:316
	scratch_load_b128 v[8:11], off, s40
	v_and_b32_e32 v5, 1, v5
	s_mov_b32 s1, exec_lo
	s_delay_alu instid0(VALU_DEP_1) | instskip(SKIP_1) | instid1(SALU_CYCLE_1)
	v_cmp_eq_u32_e32 vcc_lo, 1, v5
	s_or_b32 s0, vcc_lo, s0
	v_cndmask_b32_e64 v5, 0, 1, s0
	s_wait_loadcnt_dscnt 0x200
	scratch_store_b128 off, v[0:3], off offset:180
	s_wait_loadcnt 0x0
	scratch_store_b128 off, v[8:11], off offset:160
	scratch_store_b128 off, v[0:3], s40
	scratch_store_b8 off, v5, off offset:316
                                        ; implicit-def: $vgpr2_vgpr3
	s_wait_xcnt 0x0
	v_cmpx_ne_u16_e32 0, v6
	s_xor_b32 s1, exec_lo, s1
	s_cbranch_execz .LBB2075_404
; %bb.403:
	scratch_load_b128 v[0:3], off, off offset:160
.LBB2075_404:
	s_wait_xcnt 0x0
	s_and_not1_saveexec_b32 s1, s1
	s_cbranch_execz .LBB2075_410
; %bb.405:
	s_wait_loadcnt 0x0
	v_mov_b32_e32 v0, 0
	s_mov_b32 s2, 0
.LBB2075_406:                           ; =>This Inner Loop Header: Depth=1
	s_delay_alu instid0(SALU_CYCLE_1) | instskip(SKIP_1) | instid1(SALU_CYCLE_1)
	v_add_nc_u32_e32 v1, s2, v4
	s_add_co_i32 s2, s2, 8
	s_cmp_lg_u32 s2, 16
	ds_store_2addr_b32 v1, v0, v0 offset1:1
	s_cbranch_scc1 .LBB2075_406
; %bb.407:
	s_mov_b32 s2, 0
.LBB2075_408:                           ; =>This Inner Loop Header: Depth=1
	s_wait_xcnt 0x1
	s_add_co_i32 s3, s2, 0xb4
	s_wait_xcnt 0x0
	s_add_co_i32 s4, s2, 0xa0
	scratch_load_b64 v[0:1], off, s3
	scratch_load_b64 v[2:3], off, s4
	v_add_nc_u32_e32 v5, s2, v4
	s_add_co_i32 s2, s2, 8
                                        ; kill: killed $sgpr3
                                        ; kill: killed $sgpr4
	s_delay_alu instid0(SALU_CYCLE_1)
	s_cmp_lg_u32 s2, 16
	s_wait_loadcnt 0x0
	v_dual_add_nc_u32 v1, v3, v1 :: v_dual_add_nc_u32 v0, v2, v0
	ds_store_2addr_b32 v5, v0, v1 offset1:1
	s_cbranch_scc1 .LBB2075_408
; %bb.409:
	ds_load_2addr_b32 v[0:1], v4 offset1:1
	ds_load_2addr_b32 v[2:3], v4 offset0:2 offset1:3
.LBB2075_410:
	s_wait_xcnt 0x0
	s_or_b32 exec_lo, exec_lo, s1
	scratch_load_u8 v5, off, off offset:336
	scratch_load_b128 v[8:11], off, s41
	v_and_b32_e32 v6, 1, v6
	s_mov_b32 s1, exec_lo
	s_delay_alu instid0(VALU_DEP_1) | instskip(SKIP_1) | instid1(SALU_CYCLE_1)
	v_cmp_eq_u32_e32 vcc_lo, 1, v6
	s_or_b32 s0, vcc_lo, s0
	v_cndmask_b32_e64 v6, 0, 1, s0
	s_wait_loadcnt_dscnt 0x200
	scratch_store_b128 off, v[0:3], off offset:180
	s_wait_loadcnt 0x0
	scratch_store_b128 off, v[8:11], off offset:160
	scratch_store_b128 off, v[0:3], s41
	scratch_store_b8 off, v6, off offset:336
                                        ; implicit-def: $vgpr2_vgpr3
	s_wait_xcnt 0x0
	v_cmpx_ne_u16_e32 0, v5
	s_xor_b32 s1, exec_lo, s1
	s_cbranch_execz .LBB2075_412
; %bb.411:
	scratch_load_b128 v[0:3], off, off offset:160
.LBB2075_412:
	s_wait_xcnt 0x0
	s_and_not1_saveexec_b32 s1, s1
	s_cbranch_execz .LBB2075_418
; %bb.413:
	s_wait_loadcnt 0x0
	v_mov_b32_e32 v0, 0
	s_mov_b32 s2, 0
.LBB2075_414:                           ; =>This Inner Loop Header: Depth=1
	s_delay_alu instid0(SALU_CYCLE_1) | instskip(SKIP_1) | instid1(SALU_CYCLE_1)
	v_add_nc_u32_e32 v1, s2, v4
	s_add_co_i32 s2, s2, 8
	s_cmp_lg_u32 s2, 16
	ds_store_2addr_b32 v1, v0, v0 offset1:1
	s_cbranch_scc1 .LBB2075_414
; %bb.415:
	s_mov_b32 s2, 0
.LBB2075_416:                           ; =>This Inner Loop Header: Depth=1
	s_wait_xcnt 0x1
	s_add_co_i32 s3, s2, 0xb4
	s_wait_xcnt 0x0
	s_add_co_i32 s4, s2, 0xa0
	scratch_load_b64 v[0:1], off, s3
	scratch_load_b64 v[2:3], off, s4
	v_add_nc_u32_e32 v6, s2, v4
	s_add_co_i32 s2, s2, 8
                                        ; kill: killed $sgpr4
                                        ; kill: killed $sgpr3
	s_delay_alu instid0(SALU_CYCLE_1)
	s_cmp_lg_u32 s2, 16
	s_wait_loadcnt 0x0
	v_dual_add_nc_u32 v1, v3, v1 :: v_dual_add_nc_u32 v0, v2, v0
	ds_store_2addr_b32 v6, v0, v1 offset1:1
	s_cbranch_scc1 .LBB2075_416
; %bb.417:
	ds_load_2addr_b32 v[0:1], v4 offset1:1
	ds_load_2addr_b32 v[2:3], v4 offset0:2 offset1:3
.LBB2075_418:
	s_wait_xcnt 0x0
	s_or_b32 exec_lo, exec_lo, s1
	scratch_load_u8 v6, off, off offset:356
	scratch_load_b128 v[8:11], off, s42
	v_and_b32_e32 v5, 1, v5
	s_mov_b32 s1, exec_lo
	s_delay_alu instid0(VALU_DEP_1) | instskip(SKIP_1) | instid1(SALU_CYCLE_1)
	v_cmp_eq_u32_e32 vcc_lo, 1, v5
	s_or_b32 s0, vcc_lo, s0
	v_cndmask_b32_e64 v5, 0, 1, s0
	s_wait_loadcnt_dscnt 0x200
	scratch_store_b128 off, v[0:3], off offset:180
	s_wait_loadcnt 0x0
	scratch_store_b128 off, v[8:11], off offset:160
	scratch_store_b128 off, v[0:3], s42
	scratch_store_b8 off, v5, off offset:356
                                        ; implicit-def: $vgpr2_vgpr3
	s_wait_xcnt 0x0
	v_cmpx_ne_u16_e32 0, v6
	s_xor_b32 s1, exec_lo, s1
	s_cbranch_execz .LBB2075_420
; %bb.419:
	scratch_load_b128 v[0:3], off, off offset:160
.LBB2075_420:
	s_wait_xcnt 0x0
	s_and_not1_saveexec_b32 s1, s1
	s_cbranch_execz .LBB2075_426
; %bb.421:
	s_wait_loadcnt 0x0
	v_mov_b32_e32 v0, 0
	s_mov_b32 s2, 0
.LBB2075_422:                           ; =>This Inner Loop Header: Depth=1
	s_delay_alu instid0(SALU_CYCLE_1) | instskip(SKIP_1) | instid1(SALU_CYCLE_1)
	v_add_nc_u32_e32 v1, s2, v4
	s_add_co_i32 s2, s2, 8
	s_cmp_lg_u32 s2, 16
	ds_store_2addr_b32 v1, v0, v0 offset1:1
	s_cbranch_scc1 .LBB2075_422
; %bb.423:
	s_mov_b32 s2, 0
.LBB2075_424:                           ; =>This Inner Loop Header: Depth=1
	s_wait_xcnt 0x1
	s_add_co_i32 s3, s2, 0xb4
	s_wait_xcnt 0x0
	s_add_co_i32 s4, s2, 0xa0
	scratch_load_b64 v[0:1], off, s3
	scratch_load_b64 v[2:3], off, s4
	v_add_nc_u32_e32 v5, s2, v4
	s_add_co_i32 s2, s2, 8
                                        ; kill: killed $sgpr4
                                        ; kill: killed $sgpr3
	s_delay_alu instid0(SALU_CYCLE_1)
	s_cmp_lg_u32 s2, 16
	s_wait_loadcnt 0x0
	v_dual_add_nc_u32 v1, v3, v1 :: v_dual_add_nc_u32 v0, v2, v0
	ds_store_2addr_b32 v5, v0, v1 offset1:1
	s_cbranch_scc1 .LBB2075_424
; %bb.425:
	ds_load_2addr_b32 v[0:1], v4 offset1:1
	ds_load_2addr_b32 v[2:3], v4 offset0:2 offset1:3
.LBB2075_426:
	;; [unrolled: 61-line block ×4, first 2 shown]
	s_wait_xcnt 0x0
	s_or_b32 exec_lo, exec_lo, s1
	scratch_load_u8 v5, off, off offset:416
	scratch_load_b128 v[8:11], off, s45
	v_and_b32_e32 v6, 1, v6
	s_mov_b32 s1, exec_lo
	s_delay_alu instid0(VALU_DEP_1) | instskip(SKIP_1) | instid1(SALU_CYCLE_1)
	v_cmp_eq_u32_e32 vcc_lo, 1, v6
	s_or_b32 s0, vcc_lo, s0
	v_cndmask_b32_e64 v6, 0, 1, s0
	s_wait_loadcnt_dscnt 0x200
	scratch_store_b128 off, v[0:3], off offset:180
	s_wait_loadcnt 0x0
	scratch_store_b128 off, v[8:11], off offset:160
	scratch_store_b128 off, v[0:3], s45
	scratch_store_b8 off, v6, off offset:416
                                        ; implicit-def: $vgpr2_vgpr3
	s_wait_xcnt 0x0
	v_cmpx_ne_u16_e32 0, v5
	s_xor_b32 s1, exec_lo, s1
	s_cbranch_execz .LBB2075_444
; %bb.443:
	scratch_load_b128 v[0:3], off, off offset:160
                                        ; implicit-def: $vgpr4
.LBB2075_444:
	s_wait_xcnt 0x0
	s_and_not1_saveexec_b32 s1, s1
	s_cbranch_execz .LBB2075_450
; %bb.445:
	s_wait_loadcnt 0x0
	v_mov_b32_e32 v0, 0
	s_mov_b32 s2, 0
.LBB2075_446:                           ; =>This Inner Loop Header: Depth=1
	s_delay_alu instid0(SALU_CYCLE_1) | instskip(SKIP_1) | instid1(SALU_CYCLE_1)
	v_add_nc_u32_e32 v1, s2, v4
	s_add_co_i32 s2, s2, 8
	s_cmp_lg_u32 s2, 16
	ds_store_2addr_b32 v1, v0, v0 offset1:1
	s_cbranch_scc1 .LBB2075_446
; %bb.447:
	s_mov_b32 s2, 0
.LBB2075_448:                           ; =>This Inner Loop Header: Depth=1
	s_wait_xcnt 0x1
	s_add_co_i32 s3, s2, 0xb4
	s_wait_xcnt 0x0
	s_add_co_i32 s4, s2, 0xa0
	scratch_load_b64 v[0:1], off, s3
	scratch_load_b64 v[2:3], off, s4
	v_add_nc_u32_e32 v6, s2, v4
	s_add_co_i32 s2, s2, 8
                                        ; kill: killed $sgpr4
                                        ; kill: killed $sgpr3
	s_delay_alu instid0(SALU_CYCLE_1)
	s_cmp_lg_u32 s2, 16
	s_wait_loadcnt 0x0
	v_dual_add_nc_u32 v1, v3, v1 :: v_dual_add_nc_u32 v0, v2, v0
	ds_store_2addr_b32 v6, v0, v1 offset1:1
	s_cbranch_scc1 .LBB2075_448
; %bb.449:
	ds_load_2addr_b32 v[0:1], v4 offset1:1
	ds_load_2addr_b32 v[2:3], v4 offset0:2 offset1:3
.LBB2075_450:
	s_wait_xcnt 0x0
	s_or_b32 exec_lo, exec_lo, s1
	v_and_b32_e32 v4, 1, v5
	s_delay_alu instid0(VALU_DEP_1) | instskip(SKIP_1) | instid1(SALU_CYCLE_1)
	v_cmp_eq_u32_e32 vcc_lo, 1, v4
	s_or_b32 s0, vcc_lo, s0
	v_cndmask_b32_e64 v4, 0, 1, s0
	s_wait_loadcnt_dscnt 0x0
	scratch_store_b128 off, v[0:3], s46
	scratch_store_b8 off, v4, off offset:436
	s_branch .LBB2075_684
.LBB2075_451:
	s_cmp_eq_u64 s[28:29], 0
	s_wait_xcnt 0x1
	v_mov_b64_e32 v[0:1], s[24:25]
	s_cselect_b32 s0, -1, 0
	s_cmp_eq_u64 s[22:23], 0
	v_mov_b64_e32 v[2:3], s[26:27]
	s_cselect_b32 s1, -1, 0
	s_delay_alu instid0(SALU_CYCLE_1) | instskip(NEXT) | instid1(SALU_CYCLE_1)
	s_or_b32 s0, s0, s1
	s_and_b32 vcc_lo, exec_lo, s0
	s_cbranch_vccnz .LBB2075_453
; %bb.452:
	v_mov_b32_e32 v0, 0
	global_load_b128 v[0:3], v0, s[22:23]
.LBB2075_453:
	v_mov_b32_e32 v6, 0
	s_wait_xcnt 0x0
	v_mov_b64_e32 v[4:5], 0
	s_mov_b32 s0, 0
	s_delay_alu instid0(VALU_DEP_2)
	v_dual_mov_b32 v7, v6 :: v_dual_mov_b32 v8, v6
	v_mov_b32_e32 v9, v6
	s_clause 0x1
	scratch_store_b32 off, v6, off offset:456
	scratch_store_b128 off, v[6:9], off offset:440
.LBB2075_454:                           ; =>This Inner Loop Header: Depth=1
	s_wait_xcnt 0x0
	s_add_co_i32 s1, s0, 0x1b8
	s_add_co_i32 s0, s0, 8
	scratch_store_b64 off, v[4:5], s1
	s_cmp_lg_u32 s0, 16
	s_cbranch_scc1 .LBB2075_454
; %bb.455:
	s_clause 0x2
	scratch_load_u8 v9, off, off offset:276
	scratch_load_b128 v[4:7], off, off offset:240
	scratch_load_b32 v8, off, off offset:256
	v_mov_b32_e32 v10, 0
	s_mov_b32 s0, exec_lo
	scratch_store_b8 off, v10, off offset:456
	s_wait_loadcnt 0x3
	s_clause 0x1
	scratch_store_b128 off, v[0:3], off offset:200
	scratch_store_b8 off, v10, off offset:216
	s_wait_loadcnt 0x1
	scratch_store_b128 off, v[4:7], off offset:180
	s_wait_loadcnt 0x0
	scratch_store_b32 off, v8, off offset:196
                                        ; implicit-def: $vgpr6_vgpr7
	s_wait_xcnt 0x0
	v_cmpx_ne_u16_e32 0, v9
	s_xor_b32 s0, exec_lo, s0
	s_cbranch_execz .LBB2075_457
; %bb.456:
	scratch_load_b128 v[4:7], off, off offset:260
.LBB2075_457:
	s_wait_xcnt 0x0
	s_or_saveexec_b32 s0, s0
	v_lshl_add_u32 v10, v13, 4, 0x4300
	s_xor_b32 exec_lo, exec_lo, s0
	s_cbranch_execz .LBB2075_463
; %bb.458:
	s_wait_loadcnt 0x0
	v_mov_b32_e32 v4, 0
	s_mov_b32 s1, 0
.LBB2075_459:                           ; =>This Inner Loop Header: Depth=1
	s_delay_alu instid0(SALU_CYCLE_1) | instskip(SKIP_1) | instid1(SALU_CYCLE_1)
	v_add_nc_u32_e32 v5, s1, v10
	s_add_co_i32 s1, s1, 8
	s_cmp_lg_u32 s1, 16
	ds_store_2addr_b32 v5, v4, v4 offset1:1
	s_cbranch_scc1 .LBB2075_459
; %bb.460:
	s_mov_b32 s1, 0
.LBB2075_461:                           ; =>This Inner Loop Header: Depth=1
	s_wait_xcnt 0x1
	s_add_co_i32 s2, s1, 0xb4
	s_wait_xcnt 0x0
	s_add_co_i32 s3, s19, s1
	scratch_load_b64 v[4:5], off, s2
	scratch_load_b64 v[6:7], off, s3
	v_add_nc_u32_e32 v11, s1, v10
	s_add_co_i32 s1, s1, 8
	s_delay_alu instid0(SALU_CYCLE_1)
	s_cmp_lg_u32 s1, 16
	s_wait_loadcnt 0x0
	v_dual_add_nc_u32 v5, v7, v5 :: v_dual_add_nc_u32 v4, v6, v4
	ds_store_2addr_b32 v11, v4, v5 offset1:1
	s_cbranch_scc1 .LBB2075_461
; %bb.462:
	ds_load_2addr_b32 v[4:5], v10 offset1:1
	ds_load_2addr_b32 v[6:7], v10 offset0:2 offset1:3
.LBB2075_463:
	s_wait_xcnt 0x0
	s_or_b32 exec_lo, exec_lo, s0
	scratch_load_u8 v11, off, off offset:296
	s_mov_b32 s0, exec_lo
	s_wait_loadcnt_dscnt 0x100
	scratch_store_b128 off, v[4:7], off offset:180
                                        ; implicit-def: $vgpr6_vgpr7
	s_wait_loadcnt 0x0
	v_cmpx_ne_u16_e32 0, v11
	s_xor_b32 s0, exec_lo, s0
	s_cbranch_execz .LBB2075_465
; %bb.464:
	scratch_load_b128 v[4:7], off, off offset:280
.LBB2075_465:
	s_wait_xcnt 0x0
	s_and_not1_saveexec_b32 s0, s0
	s_cbranch_execz .LBB2075_471
; %bb.466:
	s_wait_loadcnt 0x0
	v_mov_b32_e32 v4, 0
	s_mov_b32 s1, 0
.LBB2075_467:                           ; =>This Inner Loop Header: Depth=1
	s_delay_alu instid0(SALU_CYCLE_1) | instskip(SKIP_1) | instid1(SALU_CYCLE_1)
	v_add_nc_u32_e32 v5, s1, v10
	s_add_co_i32 s1, s1, 8
	s_cmp_lg_u32 s1, 16
	ds_store_2addr_b32 v5, v4, v4 offset1:1
	s_cbranch_scc1 .LBB2075_467
; %bb.468:
	s_mov_b32 s1, 0
.LBB2075_469:                           ; =>This Inner Loop Header: Depth=1
	s_wait_xcnt 0x1
	s_add_co_i32 s2, s1, 0xb4
	s_wait_xcnt 0x0
	s_add_co_i32 s3, s33, s1
	scratch_load_b64 v[4:5], off, s2
	scratch_load_b64 v[6:7], off, s3
	v_add_nc_u32_e32 v14, s1, v10
	s_add_co_i32 s1, s1, 8
	s_delay_alu instid0(SALU_CYCLE_1)
	s_cmp_lg_u32 s1, 16
	s_wait_loadcnt 0x0
	v_dual_add_nc_u32 v5, v7, v5 :: v_dual_add_nc_u32 v4, v6, v4
	ds_store_2addr_b32 v14, v4, v5 offset1:1
	s_cbranch_scc1 .LBB2075_469
; %bb.470:
	ds_load_2addr_b32 v[4:5], v10 offset1:1
	ds_load_2addr_b32 v[6:7], v10 offset0:2 offset1:3
.LBB2075_471:
	s_wait_xcnt 0x0
	s_or_b32 exec_lo, exec_lo, s0
	scratch_load_u8 v14, off, off offset:316
	s_mov_b32 s0, exec_lo
	s_wait_loadcnt_dscnt 0x100
	scratch_store_b128 off, v[4:7], off offset:180
                                        ; implicit-def: $vgpr6_vgpr7
	s_wait_loadcnt 0x0
	v_cmpx_ne_u16_e32 0, v14
	s_xor_b32 s0, exec_lo, s0
	s_cbranch_execz .LBB2075_473
; %bb.472:
	scratch_load_b128 v[4:7], off, off offset:300
.LBB2075_473:
	s_wait_xcnt 0x0
	s_and_not1_saveexec_b32 s0, s0
	;; [unrolled: 49-line block ×7, first 2 shown]
	s_cbranch_execz .LBB2075_519
; %bb.514:
	s_wait_loadcnt 0x0
	v_mov_b32_e32 v4, 0
	s_mov_b32 s1, 0
.LBB2075_515:                           ; =>This Inner Loop Header: Depth=1
	s_delay_alu instid0(SALU_CYCLE_1) | instskip(SKIP_1) | instid1(SALU_CYCLE_1)
	v_add_nc_u32_e32 v5, s1, v10
	s_add_co_i32 s1, s1, 8
	s_cmp_lg_u32 s1, 16
	ds_store_2addr_b32 v5, v4, v4 offset1:1
	s_cbranch_scc1 .LBB2075_515
; %bb.516:
	s_mov_b32 s1, 0
.LBB2075_517:                           ; =>This Inner Loop Header: Depth=1
	s_wait_xcnt 0x1
	s_add_co_i32 s2, s1, 0xb4
	s_wait_xcnt 0x0
	s_add_co_i32 s3, s45, s1
	scratch_load_b64 v[4:5], off, s2
	scratch_load_b64 v[6:7], off, s3
	v_add_nc_u32_e32 v20, s1, v10
	s_add_co_i32 s1, s1, 8
	s_delay_alu instid0(SALU_CYCLE_1)
	s_cmp_lg_u32 s1, 16
	s_wait_loadcnt 0x0
	v_dual_add_nc_u32 v5, v7, v5 :: v_dual_add_nc_u32 v4, v6, v4
	ds_store_2addr_b32 v20, v4, v5 offset1:1
	s_cbranch_scc1 .LBB2075_517
; %bb.518:
	ds_load_2addr_b32 v[4:5], v10 offset1:1
	ds_load_2addr_b32 v[6:7], v10 offset0:2 offset1:3
.LBB2075_519:
	s_wait_xcnt 0x0
	s_or_b32 exec_lo, exec_lo, s0
	scratch_load_u8 v20, off, off offset:436
	s_mov_b32 s0, exec_lo
	s_wait_loadcnt_dscnt 0x100
	scratch_store_b128 off, v[4:7], off offset:180
                                        ; implicit-def: $vgpr6_vgpr7
	s_wait_loadcnt 0x0
	v_cmpx_ne_u16_e32 0, v20
	s_xor_b32 s0, exec_lo, s0
	s_cbranch_execz .LBB2075_521
; %bb.520:
	scratch_load_b128 v[4:7], off, off offset:420
                                        ; implicit-def: $vgpr10
.LBB2075_521:
	s_wait_xcnt 0x0
	s_and_not1_saveexec_b32 s0, s0
	s_cbranch_execz .LBB2075_527
; %bb.522:
	s_wait_loadcnt 0x0
	v_mov_b32_e32 v4, 0
	s_mov_b32 s1, 0
.LBB2075_523:                           ; =>This Inner Loop Header: Depth=1
	s_delay_alu instid0(SALU_CYCLE_1) | instskip(SKIP_1) | instid1(SALU_CYCLE_1)
	v_add_nc_u32_e32 v5, s1, v10
	s_add_co_i32 s1, s1, 8
	s_cmp_lg_u32 s1, 16
	ds_store_2addr_b32 v5, v4, v4 offset1:1
	s_cbranch_scc1 .LBB2075_523
; %bb.524:
	s_mov_b32 s1, 0
.LBB2075_525:                           ; =>This Inner Loop Header: Depth=1
	s_wait_xcnt 0x1
	s_add_co_i32 s2, s1, 0xb4
	s_wait_xcnt 0x0
	s_add_co_i32 s3, s46, s1
	scratch_load_b64 v[4:5], off, s2
	scratch_load_b64 v[6:7], off, s3
	v_add_nc_u32_e32 v21, s1, v10
	s_add_co_i32 s1, s1, 8
	s_delay_alu instid0(SALU_CYCLE_1)
	s_cmp_lg_u32 s1, 16
	s_wait_loadcnt 0x0
	v_dual_add_nc_u32 v5, v7, v5 :: v_dual_add_nc_u32 v4, v6, v4
	ds_store_2addr_b32 v21, v4, v5 offset1:1
	s_cbranch_scc1 .LBB2075_525
; %bb.526:
	ds_load_2addr_b32 v[4:5], v10 offset1:1
	ds_load_2addr_b32 v[6:7], v10 offset0:2 offset1:3
.LBB2075_527:
	s_wait_xcnt 0x0
	s_or_b32 exec_lo, exec_lo, s0
	v_or_b32_e32 v10, v19, v18
	v_or_b32_e32 v15, v16, v15
	v_and_b32_e32 v16, 1, v17
	v_or_b32_e32 v9, v11, v9
	v_and_b32_e32 v11, 1, v14
	v_cmp_ne_u16_e32 vcc_lo, 0, v10
	v_and_b32_e32 v10, 1, v20
	v_cmp_eq_u32_e64 s1, 1, v16
	v_cmp_ne_u16_e64 s2, 0, v9
	v_cmp_eq_u32_e64 s3, 1, v11
	v_and_b32_e32 v8, 1, v8
	v_cmp_eq_u32_e64 s4, 1, v10
	v_mov_b32_e32 v10, 0
	v_cmp_ne_u16_e64 s0, 0, v15
	v_mul_u32_u24_e32 v9, 20, v12
	s_or_b32 s0, s0, s1
	s_or_b32 s1, s2, s3
	s_or_b32 s2, vcc_lo, s4
	v_cmp_eq_u32_e32 vcc_lo, 1, v8
	s_or_b32 s0, s2, s0
	v_lshrrev_b32_e32 v8, 5, v12
	s_or_b32 s0, s0, s1
	s_delay_alu instid0(SALU_CYCLE_1) | instskip(NEXT) | instid1(SALU_CYCLE_1)
	s_or_b32 s0, s0, vcc_lo
	v_cndmask_b32_e64 v18, 0, 1, s0
	s_delay_alu instid0(VALU_DEP_2)
	v_mad_u32_u24 v8, v8, 20, v9
	s_wait_loadcnt_dscnt 0x0
	s_clause 0x3
	scratch_store_b128 off, v[4:7], off offset:180
	scratch_store_b8 off, v18, off offset:196
	scratch_store_b128 off, v[0:3], off offset:160
	scratch_store_b8 off, v10, off offset:176
	ds_store_2addr_b32 v8, v4, v5 offset1:1
	ds_store_2addr_b32 v8, v6, v7 offset0:2 offset1:3
	ds_store_b8 v8, v18 offset:16
	s_wait_storecnt_dscnt 0x0
	s_barrier_signal -1
	s_barrier_wait -1
	s_mov_b32 s0, exec_lo
	s_wait_xcnt 0x0
	v_cmpx_gt_u32_e32 32, v12
	s_xor_b32 s1, exec_lo, s0
	s_cbranch_execz .LBB2075_595
; %bb.528:
	v_lshrrev_b32_e32 v16, 4, v12
	v_mul_u32_u24_e32 v17, 40, v12
	v_mul_lo_u32 v21, v13, 20
	s_mov_b32 s0, exec_lo
	s_delay_alu instid0(VALU_DEP_2)
	v_mad_u32_u24 v14, v16, 20, v17
	ds_load_u8 v19, v14 offset:36
	ds_load_b32 v20, v14 offset:16
	ds_load_2addr_b32 v[8:9], v14 offset1:1
	ds_load_2addr_b32 v[10:11], v14 offset0:2 offset1:3
	v_add_nc_u32_e32 v15, 0x4700, v21
	v_add_nc_u32_e32 v22, 0x4708, v21
	s_wait_dscnt 0x1
	ds_store_2addr_b32 v15, v8, v9 offset1:1
	s_wait_dscnt 0x1
	ds_store_2addr_b32 v22, v10, v11 offset1:1
	ds_store_b32 v21, v20 offset:18192
                                        ; implicit-def: $vgpr8_vgpr9
	v_cmpx_ne_u16_e32 0, v19
	s_xor_b32 s0, exec_lo, s0
	s_cbranch_execz .LBB2075_530
; %bb.529:
	ds_load_2addr_b32 v[8:9], v14 offset0:5 offset1:6
	ds_load_2addr_b32 v[10:11], v14 offset0:7 offset1:8
.LBB2075_530:
	s_and_not1_saveexec_b32 s0, s0
	s_cbranch_execz .LBB2075_536
; %bb.531:
	s_wait_dscnt 0x1
	v_mov_b64_e32 v[8:9], 0
	s_mov_b32 s2, 0
.LBB2075_532:                           ; =>This Inner Loop Header: Depth=1
	s_wait_xcnt 0x0
	s_mov_b32 s3, s2
	s_add_co_i32 s2, s2, 8
	scratch_store_b64 off, v[8:9], s3
	s_cmp_lg_u32 s2, 16
	s_cbranch_scc1 .LBB2075_532
; %bb.533:
	s_wait_xcnt 0x0
	v_mul_u32_u24_e32 v8, 20, v16
	s_mov_b32 s2, 0
	s_delay_alu instid0(VALU_DEP_1)
	v_add3_u32 v8, v17, v8, 20
.LBB2075_534:                           ; =>This Inner Loop Header: Depth=1
	s_delay_alu instid0(VALU_DEP_1)
	v_dual_add_nc_u32 v9, s2, v15 :: v_dual_add_nc_u32 v21, s2, v8
	s_wait_xcnt 0x0
	s_mov_b32 s3, s2
	s_add_co_i32 s2, s2, 8
	s_wait_dscnt 0x0
	ds_load_2addr_b32 v[10:11], v9 offset1:1
	ds_load_2addr_b32 v[22:23], v21 offset1:1
	s_cmp_lg_u32 s2, 16
	s_wait_dscnt 0x0
	v_dual_add_nc_u32 v11, v23, v11 :: v_dual_add_nc_u32 v10, v22, v10
	scratch_store_b64 off, v[10:11], s3
	s_cbranch_scc1 .LBB2075_534
; %bb.535:
	scratch_load_b128 v[8:11], off, off
.LBB2075_536:
	s_wait_xcnt 0x0
	s_or_b32 exec_lo, exec_lo, s0
	v_bitop3_b16 v19, v19, 1, v20 bitop3:0xc8
	s_wait_loadcnt_dscnt 0x1
	v_mov_b32_dpp v24, v8 row_shr:1 row_mask:0xf bank_mask:0xf
	v_mov_b32_dpp v25, v9 row_shr:1 row_mask:0xf bank_mask:0xf
	s_wait_dscnt 0x0
	v_mov_b32_dpp v26, v10 row_shr:1 row_mask:0xf bank_mask:0xf
	v_mov_b32_dpp v27, v11 row_shr:1 row_mask:0xf bank_mask:0xf
	ds_store_b8 v15, v19 offset:16
	ds_load_b32 v20, v15 offset:16
	v_mbcnt_lo_u32_b32 v19, -1, 0
	s_mov_b32 s0, exec_lo
	ds_store_2addr_b32 v15, v8, v9 offset1:1
	ds_store_2addr_b32 v15, v10, v11 offset0:2 offset1:3
	v_and_b32_e32 v21, 15, v19
	s_wait_dscnt 0x2
	v_mov_b32_dpp v22, v20 row_shr:1 row_mask:0xf bank_mask:0xf
	s_clause 0x1
	scratch_store_b128 off, v[24:27], off
	scratch_store_b32 off, v22, off offset:16
	s_wait_xcnt 0x0
	v_cmpx_ne_u32_e32 0, v21
	s_xor_b32 s0, exec_lo, s0
	s_cbranch_execz .LBB2075_544
; %bb.537:
	v_and_b32_e32 v23, 0xff, v20
	s_mov_b32 s2, exec_lo
	s_delay_alu instid0(VALU_DEP_1)
	v_cmpx_eq_u16_e32 0, v23
	s_cbranch_execz .LBB2075_543
; %bb.538:
	v_mov_b64_e32 v[8:9], 0
	s_mov_b32 s3, 0
.LBB2075_539:                           ; =>This Inner Loop Header: Depth=1
	s_wait_xcnt 0x0
	s_add_co_i32 s4, s3, 0xdc
	s_add_co_i32 s3, s3, 8
	scratch_store_b64 off, v[8:9], s4
	s_cmp_lg_u32 s3, 16
	s_cbranch_scc1 .LBB2075_539
; %bb.540:
	s_mov_b32 s3, 0
.LBB2075_541:                           ; =>This Inner Loop Header: Depth=1
	scratch_load_b64 v[8:9], off, s3
	v_add_nc_u32_e32 v10, s3, v15
	s_add_co_i32 s4, s3, 0xdc
	s_wait_xcnt 0x0
	s_add_co_i32 s3, s3, 8
	s_delay_alu instid0(SALU_CYCLE_1)
	s_cmp_lg_u32 s3, 16
	ds_load_2addr_b32 v[10:11], v10 offset1:1
	s_wait_loadcnt_dscnt 0x0
	v_dual_add_nc_u32 v9, v11, v9 :: v_dual_add_nc_u32 v8, v10, v8
	scratch_store_b64 off, v[8:9], s4
	s_cbranch_scc1 .LBB2075_541
; %bb.542:
	scratch_load_b128 v[8:11], off, off offset:220
.LBB2075_543:
	s_wait_xcnt 0x0
	s_or_b32 exec_lo, exec_lo, s2
	v_or_b32_e32 v20, v22, v20
	s_delay_alu instid0(VALU_DEP_1)
	v_and_b32_e32 v20, 1, v20
	ds_store_b8 v15, v20 offset:16
	ds_load_b32 v20, v15 offset:16
	s_wait_loadcnt 0x0
	ds_store_2addr_b32 v15, v8, v9 offset1:1
	ds_store_2addr_b32 v15, v10, v11 offset0:2 offset1:3
.LBB2075_544:
	s_or_b32 exec_lo, exec_lo, s0
	v_mov_b32_dpp v24, v8 row_shr:2 row_mask:0xf bank_mask:0xf
	v_mov_b32_dpp v25, v9 row_shr:2 row_mask:0xf bank_mask:0xf
	v_mov_b32_dpp v26, v10 row_shr:2 row_mask:0xf bank_mask:0xf
	v_mov_b32_dpp v27, v11 row_shr:2 row_mask:0xf bank_mask:0xf
	s_wait_dscnt 0x2
	v_mov_b32_dpp v22, v20 row_shr:2 row_mask:0xf bank_mask:0xf
	s_mov_b32 s2, exec_lo
	s_clause 0x1
	scratch_store_b128 off, v[24:27], off
	scratch_store_b32 off, v22, off offset:16
	s_wait_xcnt 0x0
	v_cmpx_lt_u32_e32 1, v21
	s_cbranch_execz .LBB2075_552
; %bb.545:
	v_and_b32_e32 v23, 0xff, v20
	s_mov_b32 s3, 0
	s_mov_b32 s0, exec_lo
	s_delay_alu instid0(VALU_DEP_1)
	v_cmpx_eq_u16_e32 0, v23
	s_cbranch_execz .LBB2075_551
; %bb.546:
	v_mov_b64_e32 v[8:9], 0
.LBB2075_547:                           ; =>This Inner Loop Header: Depth=1
	s_wait_xcnt 0x0
	s_add_co_i32 s4, s3, 0xdc
	s_add_co_i32 s3, s3, 8
	scratch_store_b64 off, v[8:9], s4
	s_cmp_lg_u32 s3, 16
	s_cbranch_scc1 .LBB2075_547
; %bb.548:
	s_mov_b32 s3, 0
.LBB2075_549:                           ; =>This Inner Loop Header: Depth=1
	scratch_load_b64 v[8:9], off, s3
	v_add_nc_u32_e32 v10, s3, v15
	s_add_co_i32 s4, s3, 0xdc
	s_wait_xcnt 0x0
	s_add_co_i32 s3, s3, 8
	s_delay_alu instid0(SALU_CYCLE_1)
	s_cmp_lg_u32 s3, 16
	ds_load_2addr_b32 v[10:11], v10 offset1:1
	s_wait_loadcnt_dscnt 0x0
	v_dual_add_nc_u32 v9, v11, v9 :: v_dual_add_nc_u32 v8, v10, v8
	scratch_store_b64 off, v[8:9], s4
	s_cbranch_scc1 .LBB2075_549
; %bb.550:
	scratch_load_b128 v[8:11], off, off offset:220
.LBB2075_551:
	s_wait_xcnt 0x0
	s_or_b32 exec_lo, exec_lo, s0
	v_and_b32_e32 v20, 1, v20
	v_and_b32_e32 v22, 1, v22
	s_delay_alu instid0(VALU_DEP_2) | instskip(NEXT) | instid1(VALU_DEP_2)
	v_cmp_eq_u32_e32 vcc_lo, 1, v20
	v_cmp_eq_u32_e64 s0, 1, v22
	s_or_b32 s0, vcc_lo, s0
	s_delay_alu instid0(SALU_CYCLE_1)
	v_cndmask_b32_e64 v20, 0, 1, s0
	ds_store_b8 v15, v20 offset:16
	ds_load_b32 v20, v15 offset:16
	s_wait_loadcnt 0x0
	ds_store_2addr_b32 v15, v8, v9 offset1:1
	ds_store_2addr_b32 v15, v10, v11 offset0:2 offset1:3
.LBB2075_552:
	s_or_b32 exec_lo, exec_lo, s2
	v_mov_b32_dpp v24, v8 row_shr:4 row_mask:0xf bank_mask:0xf
	v_mov_b32_dpp v25, v9 row_shr:4 row_mask:0xf bank_mask:0xf
	v_mov_b32_dpp v26, v10 row_shr:4 row_mask:0xf bank_mask:0xf
	v_mov_b32_dpp v27, v11 row_shr:4 row_mask:0xf bank_mask:0xf
	s_wait_dscnt 0x2
	v_mov_b32_dpp v22, v20 row_shr:4 row_mask:0xf bank_mask:0xf
	s_mov_b32 s2, exec_lo
	s_clause 0x1
	scratch_store_b128 off, v[24:27], off
	scratch_store_b32 off, v22, off offset:16
	s_wait_xcnt 0x0
	v_cmpx_lt_u32_e32 3, v21
	s_cbranch_execz .LBB2075_560
; %bb.553:
	v_and_b32_e32 v23, 0xff, v20
	s_mov_b32 s3, 0
	s_mov_b32 s0, exec_lo
	s_delay_alu instid0(VALU_DEP_1)
	v_cmpx_eq_u16_e32 0, v23
	s_cbranch_execz .LBB2075_559
; %bb.554:
	v_mov_b64_e32 v[8:9], 0
.LBB2075_555:                           ; =>This Inner Loop Header: Depth=1
	s_wait_xcnt 0x0
	s_add_co_i32 s4, s3, 0xdc
	s_add_co_i32 s3, s3, 8
	scratch_store_b64 off, v[8:9], s4
	s_cmp_lg_u32 s3, 16
	s_cbranch_scc1 .LBB2075_555
; %bb.556:
	s_mov_b32 s3, 0
.LBB2075_557:                           ; =>This Inner Loop Header: Depth=1
	scratch_load_b64 v[8:9], off, s3
	v_add_nc_u32_e32 v10, s3, v15
	s_add_co_i32 s4, s3, 0xdc
	s_wait_xcnt 0x0
	s_add_co_i32 s3, s3, 8
	s_delay_alu instid0(SALU_CYCLE_1)
	s_cmp_lg_u32 s3, 16
	ds_load_2addr_b32 v[10:11], v10 offset1:1
	s_wait_loadcnt_dscnt 0x0
	v_dual_add_nc_u32 v9, v11, v9 :: v_dual_add_nc_u32 v8, v10, v8
	scratch_store_b64 off, v[8:9], s4
	s_cbranch_scc1 .LBB2075_557
; %bb.558:
	scratch_load_b128 v[8:11], off, off offset:220
.LBB2075_559:
	s_wait_xcnt 0x0
	s_or_b32 exec_lo, exec_lo, s0
	v_and_b32_e32 v20, 1, v20
	v_and_b32_e32 v22, 1, v22
	s_delay_alu instid0(VALU_DEP_2) | instskip(NEXT) | instid1(VALU_DEP_2)
	v_cmp_eq_u32_e32 vcc_lo, 1, v20
	v_cmp_eq_u32_e64 s0, 1, v22
	s_or_b32 s0, vcc_lo, s0
	s_delay_alu instid0(SALU_CYCLE_1)
	v_cndmask_b32_e64 v20, 0, 1, s0
	ds_store_b8 v15, v20 offset:16
	ds_load_b32 v20, v15 offset:16
	s_wait_loadcnt 0x0
	ds_store_2addr_b32 v15, v8, v9 offset1:1
	ds_store_2addr_b32 v15, v10, v11 offset0:2 offset1:3
.LBB2075_560:
	;; [unrolled: 64-line block ×3, first 2 shown]
	s_or_b32 exec_lo, exec_lo, s2
	ds_swizzle_b32 v22, v8 offset:swizzle(BROADCAST,32,15)
	ds_swizzle_b32 v23, v9 offset:swizzle(BROADCAST,32,15)
	;; [unrolled: 1-line block ×4, first 2 shown]
	s_wait_dscnt 0x6
	ds_swizzle_b32 v21, v20 offset:swizzle(BROADCAST,32,15)
	v_and_b32_e32 v26, 16, v19
	s_mov_b32 s2, exec_lo
	s_wait_dscnt 0x1
	scratch_store_b128 off, v[22:25], off
	s_wait_dscnt 0x0
	scratch_store_b32 off, v21, off offset:16
	s_wait_xcnt 0x0
	v_cmpx_ne_u32_e32 0, v26
	s_cbranch_execz .LBB2075_576
; %bb.569:
	v_and_b32_e32 v22, 0xff, v20
	s_mov_b32 s3, 0
	s_mov_b32 s0, exec_lo
	s_delay_alu instid0(VALU_DEP_1)
	v_cmpx_eq_u16_e32 0, v22
	s_cbranch_execz .LBB2075_575
; %bb.570:
	v_mov_b64_e32 v[8:9], 0
.LBB2075_571:                           ; =>This Inner Loop Header: Depth=1
	s_wait_xcnt 0x0
	s_add_co_i32 s4, s3, 0xdc
	s_add_co_i32 s3, s3, 8
	scratch_store_b64 off, v[8:9], s4
	s_cmp_lg_u32 s3, 16
	s_cbranch_scc1 .LBB2075_571
; %bb.572:
	s_mov_b32 s3, 0
.LBB2075_573:                           ; =>This Inner Loop Header: Depth=1
	scratch_load_b64 v[8:9], off, s3
	v_add_nc_u32_e32 v10, s3, v15
	s_add_co_i32 s4, s3, 0xdc
	s_wait_xcnt 0x0
	s_add_co_i32 s3, s3, 8
	s_delay_alu instid0(SALU_CYCLE_1)
	s_cmp_lg_u32 s3, 16
	ds_load_2addr_b32 v[10:11], v10 offset1:1
	s_wait_loadcnt_dscnt 0x0
	v_dual_add_nc_u32 v9, v11, v9 :: v_dual_add_nc_u32 v8, v10, v8
	scratch_store_b64 off, v[8:9], s4
	s_cbranch_scc1 .LBB2075_573
; %bb.574:
	scratch_load_b128 v[8:11], off, off offset:220
.LBB2075_575:
	s_wait_xcnt 0x0
	s_or_b32 exec_lo, exec_lo, s0
	v_and_b32_e32 v20, 1, v20
	v_and_b32_e32 v21, 1, v21
	s_delay_alu instid0(VALU_DEP_2) | instskip(NEXT) | instid1(VALU_DEP_2)
	v_cmp_eq_u32_e32 vcc_lo, 1, v20
	v_cmp_eq_u32_e64 s0, 1, v21
	s_or_b32 s0, vcc_lo, s0
	s_delay_alu instid0(SALU_CYCLE_1)
	v_cndmask_b32_e64 v20, 0, 1, s0
	ds_store_b8 v15, v20 offset:16
	ds_load_b32 v20, v15 offset:16
.LBB2075_576:
	s_or_b32 exec_lo, exec_lo, s2
	v_add_nc_u32_e32 v21, -1, v19
	s_mov_b32 s0, exec_lo
	s_delay_alu instid0(VALU_DEP_1) | instskip(SKIP_1) | instid1(VALU_DEP_1)
	v_cmp_gt_i32_e32 vcc_lo, 0, v21
	v_cndmask_b32_e32 v19, v21, v19, vcc_lo
	v_lshlrev_b32_e32 v21, 2, v19
	ds_load_u8 v19, v14 offset:16
	s_wait_loadcnt 0x0
	ds_bpermute_b32 v8, v21, v8
	ds_bpermute_b32 v9, v21, v9
	s_wait_dscnt 0x3
	ds_bpermute_b32 v20, v21, v20
	ds_bpermute_b32 v10, v21, v10
	;; [unrolled: 1-line block ×3, first 2 shown]
	s_wait_dscnt 0x3
	ds_store_2addr_b32 v15, v8, v9 offset1:1
	s_wait_dscnt 0x1
	ds_store_2addr_b32 v15, v10, v11 offset0:2 offset1:3
                                        ; implicit-def: $vgpr10_vgpr11
	v_cmpx_ne_u16_e32 0, v19
	s_xor_b32 s0, exec_lo, s0
	s_cbranch_execz .LBB2075_578
; %bb.577:
	ds_load_2addr_b32 v[8:9], v14 offset1:1
	ds_load_2addr_b32 v[10:11], v14 offset0:2 offset1:3
.LBB2075_578:
	s_and_not1_saveexec_b32 s0, s0
	s_cbranch_execz .LBB2075_584
; %bb.579:
	s_wait_dscnt 0x1
	v_mov_b64_e32 v[8:9], 0
	s_mov_b32 s2, 0
.LBB2075_580:                           ; =>This Inner Loop Header: Depth=1
	s_wait_xcnt 0x0
	s_mov_b32 s3, s2
	s_add_co_i32 s2, s2, 8
	scratch_store_b64 off, v[8:9], s3
	s_cmp_lg_u32 s2, 16
	s_cbranch_scc1 .LBB2075_580
; %bb.581:
	s_mov_b32 s2, 0
.LBB2075_582:                           ; =>This Inner Loop Header: Depth=1
	s_wait_dscnt 0x0
	s_wait_xcnt 0x0
	v_dual_add_nc_u32 v8, s2, v15 :: v_dual_add_nc_u32 v10, s2, v14
	s_mov_b32 s3, s2
	s_add_co_i32 s2, s2, 8
	ds_load_2addr_b32 v[8:9], v8 offset1:1
	ds_load_2addr_b32 v[10:11], v10 offset1:1
	s_cmp_lg_u32 s2, 16
	s_wait_dscnt 0x0
	v_dual_add_nc_u32 v9, v11, v9 :: v_dual_add_nc_u32 v8, v10, v8
	scratch_store_b64 off, v[8:9], s3
	s_cbranch_scc1 .LBB2075_582
; %bb.583:
	scratch_load_b128 v[8:11], off, off
.LBB2075_584:
	s_wait_xcnt 0x0
	s_or_b32 exec_lo, exec_lo, s0
	v_and_b32_e32 v19, 1, v19
	v_and_b32_e32 v20, 1, v20
	s_delay_alu instid0(VALU_DEP_2) | instskip(NEXT) | instid1(VALU_DEP_2)
	v_cmp_eq_u32_e32 vcc_lo, 1, v19
	v_cmp_eq_u32_e64 s0, 1, v20
	s_or_b32 s0, s0, vcc_lo
	s_delay_alu instid0(SALU_CYCLE_1)
	v_cndmask_b32_e64 v19, 0, 1, s0
	s_mov_b32 s0, exec_lo
	s_wait_loadcnt_dscnt 0x1
	ds_store_2addr_b32 v15, v8, v9 offset1:1
	s_wait_dscnt 0x1
	ds_store_2addr_b32 v15, v10, v11 offset0:2 offset1:3
	ds_store_b8 v15, v19 offset:16
	v_cmpx_eq_u32_e32 0, v12
	s_cbranch_execz .LBB2075_586
; %bb.585:
	ds_store_2addr_b32 v15, v4, v5 offset1:1
	ds_store_2addr_b32 v15, v6, v7 offset0:2 offset1:3
	ds_store_b8 v15, v18 offset:16
.LBB2075_586:
	s_or_b32 exec_lo, exec_lo, s0
	; wave barrier
	ds_load_2addr_b32 v[4:5], v15 offset0:2 offset1:3
	ds_load_u8 v8, v15 offset:16
	ds_load_2addr_b32 v[6:7], v15 offset1:1
	s_mov_b32 s0, exec_lo
	s_wait_dscnt 0x2
	ds_store_2addr_b32 v14, v4, v5 offset0:2 offset1:3
	s_wait_dscnt 0x1
	ds_store_2addr_b32 v14, v6, v7 offset1:1
	ds_store_b8 v14, v8 offset:16
	; wave barrier
	ds_load_u8 v8, v14 offset:36
	ds_load_u8 v9, v15 offset:16
                                        ; implicit-def: $vgpr6_vgpr7
	s_wait_dscnt 0x1
	v_cmpx_ne_u16_e32 0, v8
	s_xor_b32 s0, exec_lo, s0
	s_cbranch_execz .LBB2075_588
; %bb.587:
	ds_load_2addr_b32 v[4:5], v14 offset0:5 offset1:6
	ds_load_2addr_b32 v[6:7], v14 offset0:7 offset1:8
                                        ; implicit-def: $vgpr16
                                        ; implicit-def: $vgpr17
.LBB2075_588:
	s_and_not1_saveexec_b32 s0, s0
	s_cbranch_execz .LBB2075_594
; %bb.589:
	s_wait_dscnt 0x1
	v_mov_b64_e32 v[4:5], 0
	s_mov_b32 s2, 0
.LBB2075_590:                           ; =>This Inner Loop Header: Depth=1
	s_wait_xcnt 0x0
	s_mov_b32 s3, s2
	s_add_co_i32 s2, s2, 8
	scratch_store_b64 off, v[4:5], s3
	s_cmp_lg_u32 s2, 16
	s_cbranch_scc1 .LBB2075_590
; %bb.591:
	s_wait_xcnt 0x0
	v_mul_u32_u24_e32 v4, 20, v16
	s_mov_b32 s2, 0
	s_delay_alu instid0(VALU_DEP_1)
	v_add3_u32 v4, v17, v4, 20
.LBB2075_592:                           ; =>This Inner Loop Header: Depth=1
	s_delay_alu instid0(VALU_DEP_1)
	v_dual_add_nc_u32 v5, s2, v15 :: v_dual_add_nc_u32 v10, s2, v4
	s_wait_xcnt 0x0
	s_mov_b32 s3, s2
	s_add_co_i32 s2, s2, 8
	s_wait_dscnt 0x0
	ds_load_2addr_b32 v[6:7], v5 offset1:1
	ds_load_2addr_b32 v[10:11], v10 offset1:1
	s_cmp_lg_u32 s2, 16
	s_wait_dscnt 0x0
	v_dual_add_nc_u32 v7, v11, v7 :: v_dual_add_nc_u32 v6, v10, v6
	scratch_store_b64 off, v[6:7], s3
	s_cbranch_scc1 .LBB2075_592
; %bb.593:
	scratch_load_b128 v[4:7], off, off
.LBB2075_594:
	s_wait_xcnt 0x0
	s_or_b32 exec_lo, exec_lo, s0
	s_wait_dscnt 0x0
	v_bitop3_b16 v8, v8, 1, v9 bitop3:0xc8
	s_wait_loadcnt 0x0
	ds_store_2addr_b32 v15, v4, v5 offset1:1
	ds_store_2addr_b32 v15, v6, v7 offset0:2 offset1:3
	ds_store_2addr_b32 v14, v6, v7 offset0:7 offset1:8
	;; [unrolled: 1-line block ×3, first 2 shown]
	ds_store_b8 v14, v8 offset:36
.LBB2075_595:
	s_or_b32 exec_lo, exec_lo, s1
	s_wait_storecnt_dscnt 0x0
	s_barrier_signal -1
	s_barrier_wait -1
	scratch_load_b128 v[4:7], off, off offset:160
	v_mov_b32_e32 v8, 0
	v_cmp_eq_u32_e64 s0, 0, v12
	v_cmp_ne_u32_e32 vcc_lo, 0, v12
	s_wait_loadcnt 0x0
	s_clause 0x1
	scratch_store_b128 off, v[4:7], off offset:180
	scratch_store_b8 off, v8, off offset:196
	s_wait_xcnt 0x0
	s_and_saveexec_b32 s2, vcc_lo
	s_cbranch_execz .LBB2075_605
; %bb.596:
	v_add_nc_u32_e32 v4, -1, v12
	s_delay_alu instid0(VALU_DEP_1) | instskip(SKIP_1) | instid1(VALU_DEP_1)
	v_lshrrev_b32_e32 v5, 5, v4
	v_mul_i32_i24_e32 v4, 20, v4
	v_mad_u32 v9, v5, 20, v4
                                        ; implicit-def: $vgpr6_vgpr7
	ds_load_u8 v8, v9 offset:16
	s_wait_dscnt 0x0
	v_cmp_ne_u16_e64 s1, 0, v8
	s_and_saveexec_b32 s3, s1
	s_delay_alu instid0(SALU_CYCLE_1)
	s_xor_b32 s1, exec_lo, s3
	s_cbranch_execz .LBB2075_598
; %bb.597:
	ds_load_2addr_b32 v[4:5], v9 offset1:1
	ds_load_2addr_b32 v[6:7], v9 offset0:2 offset1:3
                                        ; implicit-def: $vgpr9
.LBB2075_598:
	s_and_not1_saveexec_b32 s1, s1
	s_cbranch_execz .LBB2075_604
; %bb.599:
	s_wait_dscnt 0x1
	v_mov_b64_e32 v[4:5], 0
	s_mov_b32 s3, 0
.LBB2075_600:                           ; =>This Inner Loop Header: Depth=1
	s_wait_xcnt 0x0
	s_mov_b32 s4, s3
	s_add_co_i32 s3, s3, 8
	scratch_store_b64 off, v[4:5], s4
	s_cmp_lg_u32 s3, 16
	s_cbranch_scc1 .LBB2075_600
; %bb.601:
	s_mov_b32 s3, 0
.LBB2075_602:                           ; =>This Inner Loop Header: Depth=1
	s_wait_xcnt 0x0
	s_add_co_i32 s4, s3, 0xa0
	s_wait_dscnt 0x0
	v_add_nc_u32_e32 v6, s3, v9
	scratch_load_b64 v[4:5], off, s4
	s_wait_xcnt 0x0
	s_mov_b32 s4, s3
	s_add_co_i32 s3, s3, 8
	ds_load_2addr_b32 v[6:7], v6 offset1:1
	s_cmp_lg_u32 s3, 16
	s_wait_loadcnt_dscnt 0x0
	v_dual_add_nc_u32 v5, v7, v5 :: v_dual_add_nc_u32 v4, v6, v4
	scratch_store_b64 off, v[4:5], s4
	s_cbranch_scc1 .LBB2075_602
; %bb.603:
	scratch_load_b128 v[4:7], off, off
.LBB2075_604:
	s_wait_xcnt 0x0
	s_or_b32 exec_lo, exec_lo, s1
	s_wait_loadcnt_dscnt 0x0
	s_clause 0x1
	scratch_store_b128 off, v[4:7], off offset:180
	scratch_store_b8 off, v8, off offset:196
.LBB2075_605:
	s_wait_xcnt 0x0
	s_or_b32 exec_lo, exec_lo, s2
	s_clause 0x1
	scratch_load_b128 v[14:17], off, off offset:240
	scratch_load_b32 v4, off, off offset:256
	v_mov_b32_e32 v5, 0
	s_wait_loadcnt 0x1
	scratch_store_b128 off, v[14:17], off
	s_wait_loadcnt 0x0
	s_clause 0x2
	scratch_store_b32 off, v4, off offset:16
	scratch_store_b128 off, v[0:3], off offset:160
	scratch_store_b8 off, v5, off offset:176
	s_wait_xcnt 0x0
	s_and_saveexec_b32 s1, vcc_lo
	s_cbranch_execz .LBB2075_607
; %bb.606:
	scratch_load_b128 v[0:3], off, off offset:180
	v_mov_b32_e32 v5, v8
	s_wait_loadcnt 0x0
	s_clause 0x1
	scratch_store_b128 off, v[0:3], off offset:160
	scratch_store_b8 off, v8, off offset:176
.LBB2075_607:
	s_wait_xcnt 0x0
	s_or_b32 exec_lo, exec_lo, s1
	s_clause 0x1
	scratch_load_u8 v6, off, off offset:16
	scratch_load_b128 v[0:3], off, off offset:160
	s_mov_b32 s1, exec_lo
	s_wait_loadcnt 0x0
	s_clause 0x1
	scratch_store_b128 off, v[0:3], off offset:240
	scratch_store_b8 off, v5, off offset:256
                                        ; implicit-def: $vgpr2_vgpr3
	s_wait_xcnt 0x0
	v_cmpx_ne_u16_e32 0, v6
	s_xor_b32 s1, exec_lo, s1
	s_cbranch_execz .LBB2075_609
; %bb.608:
	scratch_load_b128 v[0:3], off, off
.LBB2075_609:
	s_wait_xcnt 0x0
	s_or_saveexec_b32 s1, s1
	v_lshl_add_u32 v4, v13, 4, 0x4c00
	s_xor_b32 exec_lo, exec_lo, s1
	s_cbranch_execz .LBB2075_615
; %bb.610:
	s_wait_loadcnt 0x0
	v_mov_b32_e32 v0, 0
	s_mov_b32 s2, 0
.LBB2075_611:                           ; =>This Inner Loop Header: Depth=1
	s_delay_alu instid0(SALU_CYCLE_1) | instskip(SKIP_1) | instid1(SALU_CYCLE_1)
	v_add_nc_u32_e32 v1, s2, v4
	s_add_co_i32 s2, s2, 8
	s_cmp_lg_u32 s2, 16
	ds_store_2addr_b32 v1, v0, v0 offset1:1
	s_cbranch_scc1 .LBB2075_611
; %bb.612:
	s_mov_b32 s2, 0
.LBB2075_613:                           ; =>This Inner Loop Header: Depth=1
	s_delay_alu instid0(SALU_CYCLE_1)
	s_add_co_i32 s3, s2, 0xa0
	s_mov_b32 s4, s2
	scratch_load_b64 v[0:1], off, s3
	scratch_load_b64 v[2:3], off, s2
	v_add_nc_u32_e32 v7, s2, v4
	s_wait_xcnt 0x0
	s_add_co_i32 s2, s2, 8
                                        ; kill: killed $sgpr4
                                        ; kill: killed $sgpr3
	s_delay_alu instid0(SALU_CYCLE_1)
	s_cmp_lg_u32 s2, 16
	s_wait_loadcnt 0x0
	v_dual_add_nc_u32 v1, v3, v1 :: v_dual_add_nc_u32 v0, v2, v0
	ds_store_2addr_b32 v7, v0, v1 offset1:1
	s_cbranch_scc1 .LBB2075_613
; %bb.614:
	ds_load_2addr_b32 v[0:1], v4 offset1:1
	ds_load_2addr_b32 v[2:3], v4 offset0:2 offset1:3
.LBB2075_615:
	s_or_b32 exec_lo, exec_lo, s1
	scratch_load_u8 v7, off, off offset:276
	scratch_load_b128 v[8:11], off, s19
	v_bitop3_b16 v5, v6, 1, v5 bitop3:0xc8
	s_mov_b32 s1, exec_lo
	s_wait_loadcnt_dscnt 0x200
	scratch_store_b128 off, v[0:3], off offset:160
	s_wait_loadcnt 0x0
	scratch_store_b128 off, v[8:11], off
	scratch_store_b128 off, v[0:3], s19
	scratch_store_b8 off, v5, off offset:276
                                        ; implicit-def: $vgpr2_vgpr3
	s_wait_xcnt 0x0
	v_cmpx_ne_u16_e32 0, v7
	s_xor_b32 s1, exec_lo, s1
	s_cbranch_execz .LBB2075_617
; %bb.616:
	scratch_load_b128 v[0:3], off, off
.LBB2075_617:
	s_wait_xcnt 0x0
	s_and_not1_saveexec_b32 s1, s1
	s_cbranch_execz .LBB2075_623
; %bb.618:
	s_wait_loadcnt 0x0
	v_mov_b32_e32 v0, 0
	s_mov_b32 s2, 0
.LBB2075_619:                           ; =>This Inner Loop Header: Depth=1
	s_delay_alu instid0(SALU_CYCLE_1) | instskip(SKIP_1) | instid1(SALU_CYCLE_1)
	v_add_nc_u32_e32 v1, s2, v4
	s_add_co_i32 s2, s2, 8
	s_cmp_lg_u32 s2, 16
	ds_store_2addr_b32 v1, v0, v0 offset1:1
	s_cbranch_scc1 .LBB2075_619
; %bb.620:
	s_mov_b32 s2, 0
.LBB2075_621:                           ; =>This Inner Loop Header: Depth=1
	s_delay_alu instid0(SALU_CYCLE_1)
	s_add_co_i32 s3, s2, 0xa0
	s_mov_b32 s4, s2
	scratch_load_b64 v[0:1], off, s3
	scratch_load_b64 v[2:3], off, s2
	v_add_nc_u32_e32 v6, s2, v4
	s_wait_xcnt 0x0
	s_add_co_i32 s2, s2, 8
                                        ; kill: killed $sgpr4
                                        ; kill: killed $sgpr3
	s_delay_alu instid0(SALU_CYCLE_1)
	s_cmp_lg_u32 s2, 16
	s_wait_loadcnt 0x0
	v_dual_add_nc_u32 v1, v3, v1 :: v_dual_add_nc_u32 v0, v2, v0
	ds_store_2addr_b32 v6, v0, v1 offset1:1
	s_cbranch_scc1 .LBB2075_621
; %bb.622:
	ds_load_2addr_b32 v[0:1], v4 offset1:1
	ds_load_2addr_b32 v[2:3], v4 offset0:2 offset1:3
.LBB2075_623:
	s_or_b32 exec_lo, exec_lo, s1
	scratch_load_u8 v6, off, off offset:296
	scratch_load_b128 v[8:11], off, s33
	v_or_b32_e32 v7, v7, v5
	s_mov_b32 s1, exec_lo
	s_wait_loadcnt_dscnt 0x200
	scratch_store_b128 off, v[0:3], off offset:160
	s_wait_loadcnt 0x0
	scratch_store_b128 off, v[8:11], off
	scratch_store_b128 off, v[0:3], s33
	scratch_store_b8 off, v7, off offset:296
                                        ; implicit-def: $vgpr2_vgpr3
	s_wait_xcnt 0x0
	v_cmpx_ne_u16_e32 0, v6
	s_xor_b32 s1, exec_lo, s1
	s_cbranch_execz .LBB2075_625
; %bb.624:
	scratch_load_b128 v[0:3], off, off
.LBB2075_625:
	s_wait_xcnt 0x0
	s_and_not1_saveexec_b32 s1, s1
	s_cbranch_execz .LBB2075_631
; %bb.626:
	s_wait_loadcnt 0x0
	v_mov_b32_e32 v0, 0
	s_mov_b32 s2, 0
.LBB2075_627:                           ; =>This Inner Loop Header: Depth=1
	s_delay_alu instid0(SALU_CYCLE_1) | instskip(SKIP_1) | instid1(SALU_CYCLE_1)
	v_add_nc_u32_e32 v1, s2, v4
	s_add_co_i32 s2, s2, 8
	s_cmp_lg_u32 s2, 16
	ds_store_2addr_b32 v1, v0, v0 offset1:1
	s_cbranch_scc1 .LBB2075_627
; %bb.628:
	s_mov_b32 s2, 0
.LBB2075_629:                           ; =>This Inner Loop Header: Depth=1
	s_delay_alu instid0(SALU_CYCLE_1)
	s_add_co_i32 s3, s2, 0xa0
	s_mov_b32 s4, s2
	scratch_load_b64 v[0:1], off, s3
	scratch_load_b64 v[2:3], off, s2
	v_add_nc_u32_e32 v5, s2, v4
	s_wait_xcnt 0x0
	s_add_co_i32 s2, s2, 8
                                        ; kill: killed $sgpr4
                                        ; kill: killed $sgpr3
	s_delay_alu instid0(SALU_CYCLE_1)
	s_cmp_lg_u32 s2, 16
	s_wait_loadcnt 0x0
	v_dual_add_nc_u32 v1, v3, v1 :: v_dual_add_nc_u32 v0, v2, v0
	ds_store_2addr_b32 v5, v0, v1 offset1:1
	s_cbranch_scc1 .LBB2075_629
; %bb.630:
	ds_load_2addr_b32 v[0:1], v4 offset1:1
	ds_load_2addr_b32 v[2:3], v4 offset0:2 offset1:3
.LBB2075_631:
	s_or_b32 exec_lo, exec_lo, s1
	scratch_load_u8 v5, off, off offset:316
	scratch_load_b128 v[8:11], off, s40
	v_and_b32_e32 v6, 1, v6
	v_cmp_ne_u16_e32 vcc_lo, 0, v7
	s_mov_b32 s2, exec_lo
	s_delay_alu instid0(VALU_DEP_2) | instskip(SKIP_1) | instid1(SALU_CYCLE_1)
	v_cmp_eq_u32_e64 s1, 1, v6
	s_or_b32 s1, vcc_lo, s1
	v_cndmask_b32_e64 v6, 0, 1, s1
	s_wait_loadcnt_dscnt 0x200
	scratch_store_b128 off, v[0:3], off offset:160
	s_wait_loadcnt 0x0
	scratch_store_b128 off, v[8:11], off
	scratch_store_b128 off, v[0:3], s40
	scratch_store_b8 off, v6, off offset:316
                                        ; implicit-def: $vgpr2_vgpr3
	s_wait_xcnt 0x0
	v_cmpx_ne_u16_e32 0, v5
	s_xor_b32 s2, exec_lo, s2
	s_cbranch_execz .LBB2075_633
; %bb.632:
	scratch_load_b128 v[0:3], off, off
.LBB2075_633:
	s_wait_xcnt 0x0
	s_and_not1_saveexec_b32 s2, s2
	s_cbranch_execz .LBB2075_639
; %bb.634:
	s_wait_loadcnt 0x0
	v_mov_b32_e32 v0, 0
	s_mov_b32 s3, 0
.LBB2075_635:                           ; =>This Inner Loop Header: Depth=1
	s_delay_alu instid0(SALU_CYCLE_1) | instskip(SKIP_1) | instid1(SALU_CYCLE_1)
	v_add_nc_u32_e32 v1, s3, v4
	s_add_co_i32 s3, s3, 8
	s_cmp_lg_u32 s3, 16
	ds_store_2addr_b32 v1, v0, v0 offset1:1
	s_cbranch_scc1 .LBB2075_635
; %bb.636:
	s_mov_b32 s3, 0
.LBB2075_637:                           ; =>This Inner Loop Header: Depth=1
	s_delay_alu instid0(SALU_CYCLE_1)
	s_add_co_i32 s4, s3, 0xa0
	s_mov_b32 s5, s3
	scratch_load_b64 v[0:1], off, s4
	scratch_load_b64 v[2:3], off, s3
	v_add_nc_u32_e32 v6, s3, v4
	s_wait_xcnt 0x0
	s_add_co_i32 s3, s3, 8
                                        ; kill: killed $sgpr5
                                        ; kill: killed $sgpr4
	s_delay_alu instid0(SALU_CYCLE_1)
	s_cmp_lg_u32 s3, 16
	s_wait_loadcnt 0x0
	v_dual_add_nc_u32 v1, v3, v1 :: v_dual_add_nc_u32 v0, v2, v0
	ds_store_2addr_b32 v6, v0, v1 offset1:1
	s_cbranch_scc1 .LBB2075_637
; %bb.638:
	ds_load_2addr_b32 v[0:1], v4 offset1:1
	ds_load_2addr_b32 v[2:3], v4 offset0:2 offset1:3
.LBB2075_639:
	s_or_b32 exec_lo, exec_lo, s2
	scratch_load_u8 v6, off, off offset:336
	scratch_load_b128 v[8:11], off, s41
	v_and_b32_e32 v5, 1, v5
	s_mov_b32 s2, exec_lo
	s_delay_alu instid0(VALU_DEP_1) | instskip(SKIP_1) | instid1(SALU_CYCLE_1)
	v_cmp_eq_u32_e32 vcc_lo, 1, v5
	s_or_b32 s1, vcc_lo, s1
	v_cndmask_b32_e64 v5, 0, 1, s1
	s_wait_loadcnt_dscnt 0x200
	scratch_store_b128 off, v[0:3], off offset:160
	s_wait_loadcnt 0x0
	scratch_store_b128 off, v[8:11], off
	scratch_store_b128 off, v[0:3], s41
	scratch_store_b8 off, v5, off offset:336
                                        ; implicit-def: $vgpr2_vgpr3
	s_wait_xcnt 0x0
	v_cmpx_ne_u16_e32 0, v6
	s_xor_b32 s2, exec_lo, s2
	s_cbranch_execz .LBB2075_641
; %bb.640:
	scratch_load_b128 v[0:3], off, off
.LBB2075_641:
	s_wait_xcnt 0x0
	s_and_not1_saveexec_b32 s2, s2
	s_cbranch_execz .LBB2075_647
; %bb.642:
	s_wait_loadcnt 0x0
	v_mov_b32_e32 v0, 0
	s_mov_b32 s3, 0
.LBB2075_643:                           ; =>This Inner Loop Header: Depth=1
	s_delay_alu instid0(SALU_CYCLE_1) | instskip(SKIP_1) | instid1(SALU_CYCLE_1)
	v_add_nc_u32_e32 v1, s3, v4
	s_add_co_i32 s3, s3, 8
	s_cmp_lg_u32 s3, 16
	ds_store_2addr_b32 v1, v0, v0 offset1:1
	s_cbranch_scc1 .LBB2075_643
; %bb.644:
	s_mov_b32 s3, 0
.LBB2075_645:                           ; =>This Inner Loop Header: Depth=1
	s_delay_alu instid0(SALU_CYCLE_1)
	s_add_co_i32 s4, s3, 0xa0
	s_mov_b32 s5, s3
	scratch_load_b64 v[0:1], off, s4
	scratch_load_b64 v[2:3], off, s3
	v_add_nc_u32_e32 v5, s3, v4
	s_wait_xcnt 0x0
	s_add_co_i32 s3, s3, 8
                                        ; kill: killed $sgpr5
                                        ; kill: killed $sgpr4
	s_delay_alu instid0(SALU_CYCLE_1)
	s_cmp_lg_u32 s3, 16
	s_wait_loadcnt 0x0
	v_dual_add_nc_u32 v1, v3, v1 :: v_dual_add_nc_u32 v0, v2, v0
	ds_store_2addr_b32 v5, v0, v1 offset1:1
	s_cbranch_scc1 .LBB2075_645
; %bb.646:
	ds_load_2addr_b32 v[0:1], v4 offset1:1
	ds_load_2addr_b32 v[2:3], v4 offset0:2 offset1:3
.LBB2075_647:
	s_or_b32 exec_lo, exec_lo, s2
	scratch_load_u8 v5, off, off offset:356
	scratch_load_b128 v[8:11], off, s42
	v_and_b32_e32 v6, 1, v6
	s_mov_b32 s2, exec_lo
	s_delay_alu instid0(VALU_DEP_1) | instskip(SKIP_1) | instid1(SALU_CYCLE_1)
	v_cmp_eq_u32_e32 vcc_lo, 1, v6
	;; [unrolled: 60-line block ×5, first 2 shown]
	s_or_b32 s1, vcc_lo, s1
	v_cndmask_b32_e64 v6, 0, 1, s1
	s_wait_loadcnt_dscnt 0x200
	scratch_store_b128 off, v[0:3], off offset:160
	s_wait_loadcnt 0x0
	scratch_store_b128 off, v[8:11], off
	scratch_store_b128 off, v[0:3], s45
	scratch_store_b8 off, v6, off offset:416
                                        ; implicit-def: $vgpr2_vgpr3
	s_wait_xcnt 0x0
	v_cmpx_ne_u16_e32 0, v5
	s_xor_b32 s2, exec_lo, s2
	s_cbranch_execz .LBB2075_673
; %bb.672:
	scratch_load_b128 v[0:3], off, off
                                        ; implicit-def: $vgpr4
.LBB2075_673:
	s_wait_xcnt 0x0
	s_and_not1_saveexec_b32 s2, s2
	s_cbranch_execz .LBB2075_679
; %bb.674:
	s_wait_loadcnt 0x0
	v_mov_b32_e32 v0, 0
	s_mov_b32 s3, 0
.LBB2075_675:                           ; =>This Inner Loop Header: Depth=1
	s_delay_alu instid0(SALU_CYCLE_1) | instskip(SKIP_1) | instid1(SALU_CYCLE_1)
	v_add_nc_u32_e32 v1, s3, v4
	s_add_co_i32 s3, s3, 8
	s_cmp_lg_u32 s3, 16
	ds_store_2addr_b32 v1, v0, v0 offset1:1
	s_cbranch_scc1 .LBB2075_675
; %bb.676:
	s_mov_b32 s3, 0
.LBB2075_677:                           ; =>This Inner Loop Header: Depth=1
	s_delay_alu instid0(SALU_CYCLE_1)
	s_add_co_i32 s4, s3, 0xa0
	s_mov_b32 s5, s3
	scratch_load_b64 v[0:1], off, s4
	scratch_load_b64 v[2:3], off, s3
	v_add_nc_u32_e32 v6, s3, v4
	s_wait_xcnt 0x0
	s_add_co_i32 s3, s3, 8
                                        ; kill: killed $sgpr5
                                        ; kill: killed $sgpr4
	s_delay_alu instid0(SALU_CYCLE_1)
	s_cmp_lg_u32 s3, 16
	s_wait_loadcnt 0x0
	v_dual_add_nc_u32 v1, v3, v1 :: v_dual_add_nc_u32 v0, v2, v0
	ds_store_2addr_b32 v6, v0, v1 offset1:1
	s_cbranch_scc1 .LBB2075_677
; %bb.678:
	ds_load_2addr_b32 v[0:1], v4 offset1:1
	ds_load_2addr_b32 v[2:3], v4 offset0:2 offset1:3
.LBB2075_679:
	s_or_b32 exec_lo, exec_lo, s2
	v_dual_mov_b32 v6, 0 :: v_dual_bitop2_b32 v5, 1, v5 bitop3:0x40
	ds_load_u8 v4, v6 offset:1296
	ds_load_b128 v[6:9], v6 offset:1280
	v_cmp_eq_u32_e32 vcc_lo, 1, v5
	s_or_b32 s1, vcc_lo, s1
	s_delay_alu instid0(SALU_CYCLE_1)
	v_cndmask_b32_e64 v10, 0, 1, s1
	s_mov_b32 s1, 0
	s_wait_loadcnt_dscnt 0x2
	scratch_store_b128 off, v[0:3], s46
	scratch_store_b8 off, v10, off offset:436
	s_wait_dscnt 0x1
	v_and_b32_e32 v5, 0xffff, v4
	s_wait_dscnt 0x0
	scratch_store_b128 off, v[6:9], off offset:440
	v_cmp_ne_u32_e32 vcc_lo, 0, v5
	s_cbranch_vccz .LBB2075_749
; %bb.680:
	scratch_load_b128 v[0:3], off, off offset:440
	s_and_not1_b32 vcc_lo, exec_lo, s1
	s_cbranch_vccz .LBB2075_750
; %bb.681:
	s_wait_loadcnt 0x0
	s_clause 0x1
	scratch_store_b128 off, v[0:3], off offset:440
	scratch_store_b8 off, v4, off offset:456
	s_wait_xcnt 0x0
	s_and_saveexec_b32 s1, s0
	s_cbranch_execz .LBB2075_683
.LBB2075_682:
	v_dual_mov_b32 v5, 0 :: v_dual_mov_b32 v6, 2
	s_clause 0x1
	global_store_b128 v5, v[0:3], s[14:15] offset:640
	global_store_b8 v5, v4, s[14:15] offset:656
	global_wb scope:SCOPE_DEV
	s_wait_storecnt 0x0
	global_inv scope:SCOPE_DEV
	s_wait_xcnt 0x0
	global_store_b8 v5, v6, s[16:17] offset:32 scope:SCOPE_DEV
.LBB2075_683:
	s_wait_xcnt 0x0
	s_or_b32 exec_lo, exec_lo, s1
.LBB2075_684:
	s_wait_xcnt 0x1
	v_mov_b64_e32 v[0:1], 0
	s_mov_b32 s0, 0
.LBB2075_685:                           ; =>This Inner Loop Header: Depth=1
	s_wait_xcnt 0x0
	s_mov_b32 s1, s0
	s_add_co_i32 s0, s0, 8
	scratch_store_b64 off, v[0:1], s1
	s_cmp_lg_u32 s0, 16
	s_cbranch_scc1 .LBB2075_685
; %bb.686:
	s_wait_xcnt 0x0
	v_mov_b64_e32 v[0:1], 0
	s_mov_b32 s0, 16
.LBB2075_687:                           ; =>This Inner Loop Header: Depth=1
	s_wait_xcnt 0x0
	s_mov_b32 s1, s0
	s_add_co_i32 s0, s0, 8
	scratch_store_b64 off, v[0:1], s1
	s_cmp_lg_u32 s0, 32
	s_cbranch_scc1 .LBB2075_687
; %bb.688:
	;; [unrolled: 11-line block ×5, first 2 shown]
	s_wait_xcnt 0x0
	v_mov_b64_e32 v[0:1], 0
	s_movk_i32 s0, 0x50
.LBB2075_695:                           ; =>This Inner Loop Header: Depth=1
	s_wait_xcnt 0x0
	s_mov_b32 s1, s0
	s_add_co_i32 s0, s0, 8
	scratch_store_b64 off, v[0:1], s1
	s_cmp_lg_u32 s0, 0x60
	s_cbranch_scc1 .LBB2075_695
; %bb.696:
	s_wait_xcnt 0x0
	v_mov_b64_e32 v[0:1], 0
	s_movk_i32 s0, 0x60
.LBB2075_697:                           ; =>This Inner Loop Header: Depth=1
	s_wait_xcnt 0x0
	s_mov_b32 s1, s0
	s_add_co_i32 s0, s0, 8
	scratch_store_b64 off, v[0:1], s1
	s_cmp_lg_u32 s0, 0x70
	s_cbranch_scc1 .LBB2075_697
; %bb.698:
	;; [unrolled: 11-line block ×5, first 2 shown]
	s_wait_xcnt 0x0
	s_add_nc_u64 s[0:1], s[10:11], s[20:21]
	s_movk_i32 s2, 0x90
	s_movk_i32 s3, 0x80
	;; [unrolled: 1-line block ×5, first 2 shown]
	s_and_b32 vcc_lo, exec_lo, s35
	s_add_nc_u64 s[0:1], s[0:1], s[30:31]
	s_cbranch_vccz .LBB2075_735
; %bb.705:
	v_mul_u32_u24_e32 v0, 10, v12
	s_add_co_i32 s51, s51, s18
	s_mov_b32 s7, exec_lo
	s_delay_alu instid0(VALU_DEP_1)
	v_cmpx_gt_u32_e64 s51, v0
	s_cbranch_execz .LBB2075_716
; %bb.706:
	scratch_load_b128 v[2:5], off, off offset:240
	v_or_b32_e32 v1, 1, v0
	s_delay_alu instid0(VALU_DEP_1)
	v_cmp_gt_u32_e32 vcc_lo, s51, v1
	s_wait_loadcnt 0x0
	scratch_store_b128 off, v[2:5], off
	s_wait_xcnt 0x0
	s_and_b32 exec_lo, exec_lo, vcc_lo
	s_cbranch_execz .LBB2075_716
; %bb.707:
	scratch_load_b128 v[2:5], off, s19
	v_add_nc_u32_e32 v1, 2, v0
	s_delay_alu instid0(VALU_DEP_1)
	v_cmp_gt_u32_e32 vcc_lo, s51, v1
	s_wait_loadcnt 0x0
	scratch_store_b128 off, v[2:5], s50
	s_wait_xcnt 0x0
	s_and_b32 exec_lo, exec_lo, vcc_lo
	s_cbranch_execz .LBB2075_716
; %bb.708:
	scratch_load_b128 v[2:5], off, s33
	v_add_nc_u32_e32 v1, 3, v0
	s_delay_alu instid0(VALU_DEP_1)
	v_cmp_gt_u32_e32 vcc_lo, s51, v1
	s_wait_loadcnt 0x0
	scratch_store_b128 off, v[2:5], s49
	;; [unrolled: 10-line block ×8, first 2 shown]
	s_wait_xcnt 0x0
	s_and_b32 exec_lo, exec_lo, vcc_lo
	s_cbranch_execz .LBB2075_716
; %bb.715:
	scratch_load_b128 v[2:5], off, s46
	s_wait_loadcnt 0x0
	scratch_store_b128 off, v[2:5], s2
.LBB2075_716:
	s_wait_xcnt 0x0
	s_or_b32 exec_lo, exec_lo, s7
	s_wait_loadcnt 0x0
	s_wait_storecnt 0x0
	s_barrier_signal -1
	s_barrier_wait -1
	scratch_load_b128 v[4:7], off, off
	s_clause 0x8
	scratch_load_b128 v[8:11], off, s50
	scratch_load_b128 v[14:17], off, s49
	;; [unrolled: 1-line block ×9, first 2 shown]
	v_dual_mov_b32 v1, 0 :: v_dual_lshlrev_b32 v0, 4, v0
	s_mov_b32 s7, exec_lo
	s_wait_loadcnt 0x9
	ds_store_b128 v0, v[4:7]
	s_wait_loadcnt 0x8
	ds_store_b128 v0, v[8:11] offset:16
	s_wait_loadcnt 0x7
	ds_store_b128 v0, v[14:17] offset:32
	;; [unrolled: 2-line block ×9, first 2 shown]
	v_mad_i32_i24 v2, 0xffffff70, v12, v0
	s_wait_dscnt 0x0
	s_barrier_signal -1
	s_barrier_wait -1
	ds_load_b128 v[4:7], v2 offset:1024
	ds_load_b128 v[8:11], v2 offset:2048
	;; [unrolled: 1-line block ×9, first 2 shown]
	v_lshlrev_b32_e32 v0, 4, v12
	s_wait_dscnt 0x8
	scratch_store_b128 off, v[4:7], s50
	s_wait_dscnt 0x7
	scratch_store_b128 off, v[8:11], s49
	;; [unrolled: 2-line block ×9, first 2 shown]
	v_add_nc_u64_e32 v[0:1], s[0:1], v[0:1]
	s_wait_xcnt 0x0
	v_cmpx_gt_u32_e64 s51, v12
	s_cbranch_execz .LBB2075_718
; %bb.717:
	ds_load_2addr_b32 v[4:5], v2 offset0:2 offset1:3
	ds_load_2addr_b32 v[2:3], v2 offset1:1
	s_wait_dscnt 0x0
	flat_store_b128 v[0:1], v[2:5]
.LBB2075_718:
	s_wait_xcnt 0x0
	s_or_b32 exec_lo, exec_lo, s7
	v_add_nc_u32_e32 v2, 64, v12
	s_mov_b32 s7, exec_lo
	s_delay_alu instid0(VALU_DEP_1)
	v_cmpx_gt_u32_e64 s51, v2
	s_cbranch_execz .LBB2075_720
; %bb.719:
	scratch_load_b128 v[2:5], off, s50
	s_wait_loadcnt 0x0
	flat_store_b128 v[0:1], v[2:5] offset:1024
.LBB2075_720:
	s_wait_xcnt 0x0
	s_or_b32 exec_lo, exec_lo, s7
	v_add_nc_u32_e32 v2, 0x80, v12
	s_mov_b32 s7, exec_lo
	s_delay_alu instid0(VALU_DEP_1)
	v_cmpx_gt_u32_e64 s51, v2
	s_cbranch_execz .LBB2075_722
; %bb.721:
	scratch_load_b128 v[2:5], off, s49
	s_wait_loadcnt 0x0
	flat_store_b128 v[0:1], v[2:5] offset:2048
.LBB2075_722:
	;; [unrolled: 12-line block ×8, first 2 shown]
	s_wait_xcnt 0x0
	s_or_b32 exec_lo, exec_lo, s7
	v_add_nc_u32_e32 v0, 0x240, v12
	s_delay_alu instid0(VALU_DEP_1)
	v_cmp_gt_u32_e64 s7, s51, v0
	s_branch .LBB2075_737
.LBB2075_735:
	s_mov_b32 s7, 0
	s_cbranch_execz .LBB2075_737
; %bb.736:
	s_clause 0x3
	scratch_load_b128 v[0:3], off, s19
	scratch_load_b128 v[4:7], off, s33
	;; [unrolled: 1-line block ×4, first 2 shown]
                                        ; kill: killed $sgpr40
                                        ; kill: killed $sgpr41
                                        ; kill: killed $sgpr19
                                        ; kill: killed $sgpr33
	scratch_load_b128 v[18:21], off, off offset:240
	s_clause 0x4
	scratch_load_b128 v[22:25], off, s42
	scratch_load_b128 v[26:29], off, s43
	;; [unrolled: 1-line block ×5, first 2 shown]
	v_mul_i32_i24_e32 v13, 0xffffff70, v12
	v_mul_u32_u24_e32 v42, 0xa0, v12
	s_or_b32 s7, s7, exec_lo
                                        ; kill: killed $sgpr44
                                        ; kill: killed $sgpr45
                                        ; kill: killed $sgpr42
                                        ; kill: killed $sgpr46
                                        ; kill: killed $sgpr43
	s_wait_loadcnt 0x9
	scratch_store_b128 off, v[0:3], s50
	s_wait_loadcnt 0x8
	scratch_store_b128 off, v[4:7], s49
	;; [unrolled: 2-line block ×4, first 2 shown]
	s_wait_loadcnt 0x5
	scratch_store_b128 off, v[18:21], off
	s_wait_loadcnt 0x4
	scratch_store_b128 off, v[22:25], s6
	s_wait_loadcnt 0x3
	scratch_store_b128 off, v[26:29], s5
	;; [unrolled: 2-line block ×5, first 2 shown]
	s_wait_storecnt_dscnt 0x0
	s_barrier_signal -1
	s_barrier_wait -1
	scratch_load_b128 v[0:3], off, off
	s_clause 0x8
	scratch_load_b128 v[4:7], off, s50
	scratch_load_b128 v[8:11], off, s49
	;; [unrolled: 1-line block ×9, first 2 shown]
	v_mad_u32_u24 v13, 0xa0, v12, v13
	s_wait_loadcnt 0x9
	ds_store_b128 v42, v[0:3]
	s_wait_loadcnt 0x8
	ds_store_b128 v42, v[4:7] offset:16
	s_wait_loadcnt 0x7
	ds_store_b128 v42, v[8:11] offset:32
	;; [unrolled: 2-line block ×9, first 2 shown]
	s_wait_dscnt 0x0
	s_barrier_signal -1
	s_barrier_wait -1
	ds_load_b128 v[0:3], v13 offset:1024
	ds_load_b128 v[4:7], v13 offset:2048
	;; [unrolled: 1-line block ×9, first 2 shown]
	ds_load_2addr_b32 v[40:41], v13 offset0:2 offset1:3
	ds_load_2addr_b32 v[38:39], v13 offset1:1
	s_wait_dscnt 0xa
	scratch_store_b128 off, v[0:3], s50
	s_wait_dscnt 0x9
	scratch_store_b128 off, v[4:7], s49
	;; [unrolled: 2-line block ×9, first 2 shown]
	s_wait_dscnt 0x0
	flat_store_b128 v12, v[38:41], s[0:1] scale_offset
	scratch_load_b128 v[0:3], off, s50
	s_wait_loadcnt 0x0
	flat_store_b128 v12, v[0:3], s[0:1] offset:1024 scale_offset
	scratch_load_b128 v[0:3], off, s49
	s_wait_loadcnt 0x0
	flat_store_b128 v12, v[0:3], s[0:1] offset:2048 scale_offset
	;; [unrolled: 3-line block ×8, first 2 shown]
.LBB2075_737:
	s_wait_xcnt 0x0
	s_delay_alu instid0(VALU_DEP_1)
	s_and_saveexec_b32 s3, s7
	s_cbranch_execnz .LBB2075_739
; %bb.738:
	s_sendmsg sendmsg(MSG_DEALLOC_VGPRS)
	s_endpgm
.LBB2075_739:
	scratch_load_b128 v[0:3], off, s2
	s_wait_loadcnt 0x0
	flat_store_b128 v12, v[0:3], s[0:1] offset:9216 scale_offset
	s_sendmsg sendmsg(MSG_DEALLOC_VGPRS)
	s_endpgm
.LBB2075_740:
	flat_load_b128 v[18:21], v12, s[36:37] scale_offset
	s_wait_loadcnt_dscnt 0x0
	scratch_store_b128 off, v[18:21], off
	s_wait_xcnt 0x0
	s_or_b32 exec_lo, exec_lo, s9
	s_and_saveexec_b32 s9, s0
	s_cbranch_execz .LBB2075_65
.LBB2075_741:
	flat_load_b128 v[18:21], v12, s[36:37] offset:1024 scale_offset
	s_wait_loadcnt_dscnt 0x0
	scratch_store_b128 off, v[18:21], off offset:16
	s_wait_xcnt 0x0
	s_or_b32 exec_lo, exec_lo, s9
	s_and_saveexec_b32 s0, s1
	s_cbranch_execz .LBB2075_66
.LBB2075_742:
	flat_load_b128 v[18:21], v12, s[36:37] offset:2048 scale_offset
	s_wait_loadcnt_dscnt 0x0
	scratch_store_b128 off, v[18:21], off offset:32
	s_wait_xcnt 0x0
	s_or_b32 exec_lo, exec_lo, s0
	s_and_saveexec_b32 s0, s2
	s_cbranch_execz .LBB2075_67
.LBB2075_743:
	flat_load_b128 v[18:21], v12, s[36:37] offset:3072 scale_offset
	s_wait_loadcnt_dscnt 0x0
	scratch_store_b128 off, v[18:21], off offset:48
	s_wait_xcnt 0x0
	s_or_b32 exec_lo, exec_lo, s0
	s_and_saveexec_b32 s0, s3
	s_cbranch_execz .LBB2075_68
.LBB2075_744:
	flat_load_b128 v[18:21], v12, s[36:37] offset:4096 scale_offset
	s_wait_loadcnt_dscnt 0x0
	scratch_store_b128 off, v[18:21], off offset:64
	s_wait_xcnt 0x0
	s_or_b32 exec_lo, exec_lo, s0
	s_and_saveexec_b32 s0, s4
	s_cbranch_execz .LBB2075_69
.LBB2075_745:
	flat_load_b128 v[18:21], v12, s[36:37] offset:5120 scale_offset
	s_wait_loadcnt_dscnt 0x0
	scratch_store_b128 off, v[18:21], off offset:80
	s_wait_xcnt 0x0
	s_or_b32 exec_lo, exec_lo, s0
	s_and_saveexec_b32 s0, s5
	s_cbranch_execz .LBB2075_70
.LBB2075_746:
	flat_load_b128 v[18:21], v12, s[36:37] offset:6144 scale_offset
	s_wait_loadcnt_dscnt 0x0
	scratch_store_b128 off, v[18:21], off offset:96
	s_wait_xcnt 0x0
	s_or_b32 exec_lo, exec_lo, s0
	s_and_saveexec_b32 s0, s6
	s_cbranch_execz .LBB2075_71
.LBB2075_747:
	flat_load_b128 v[18:21], v12, s[36:37] offset:7168 scale_offset
	s_wait_loadcnt_dscnt 0x0
	scratch_store_b128 off, v[18:21], off offset:112
	s_wait_xcnt 0x0
	s_or_b32 exec_lo, exec_lo, s0
	s_and_saveexec_b32 s0, s7
	s_cbranch_execz .LBB2075_72
.LBB2075_748:
	flat_load_b128 v[18:21], v12, s[36:37] offset:8192 scale_offset
	s_wait_loadcnt_dscnt 0x0
	scratch_store_b128 off, v[18:21], off offset:128
	s_wait_xcnt 0x0
	s_or_b32 exec_lo, exec_lo, s0
	v_mul_u32_u24_e32 v15, 10, v12
	s_and_saveexec_b32 s0, s8
	s_cbranch_execnz .LBB2075_73
	s_branch .LBB2075_74
.LBB2075_749:
                                        ; implicit-def: $vgpr2_vgpr3
.LBB2075_750:
	s_wait_loadcnt 0x0
	s_wait_xcnt 0x2
	v_mov_b64_e32 v[0:1], 0
	s_mov_b32 s1, 0
.LBB2075_751:                           ; =>This Inner Loop Header: Depth=1
	s_wait_xcnt 0x0
	s_mov_b32 s2, s1
	s_add_co_i32 s1, s1, 8
	scratch_store_b64 off, v[0:1], s2
	s_cmp_lg_u32 s1, 16
	s_cbranch_scc1 .LBB2075_751
; %bb.752:
	s_mov_b32 s1, 0
.LBB2075_753:                           ; =>This Inner Loop Header: Depth=1
	s_wait_xcnt 0x0
	s_add_co_i32 s2, s1, 0xc8
	s_add_co_i32 s3, s1, 0x1b8
	scratch_load_b64 v[0:1], off, s2
	scratch_load_b64 v[2:3], off, s3
                                        ; kill: killed $sgpr2
	s_wait_xcnt 0x1
	s_mov_b32 s2, s1
	s_add_co_i32 s1, s1, 8
                                        ; kill: killed $sgpr3
	s_delay_alu instid0(SALU_CYCLE_1)
	s_cmp_lg_u32 s1, 16
	s_wait_loadcnt 0x0
	v_dual_add_nc_u32 v1, v3, v1 :: v_dual_add_nc_u32 v0, v2, v0
	scratch_store_b64 off, v[0:1], s2
	s_cbranch_scc1 .LBB2075_753
; %bb.754:
	scratch_load_b128 v[0:3], off, off
	s_wait_loadcnt 0x0
	s_clause 0x1
	scratch_store_b128 off, v[0:3], off offset:440
	scratch_store_b8 off, v4, off offset:456
	s_wait_xcnt 0x0
	s_and_saveexec_b32 s1, s0
	s_cbranch_execnz .LBB2075_682
	s_branch .LBB2075_683
	.section	.rodata,"a",@progbits
	.p2align	6, 0x0
	.amdhsa_kernel _ZN7rocprim17ROCPRIM_400000_NS6detail17trampoline_kernelINS0_14default_configENS1_27scan_by_key_config_selectorIj11FixedVectorIiLj4EEEEZZNS1_16scan_by_key_implILNS1_25lookback_scan_determinismE0ELb1ES3_N6thrust23THRUST_200600_302600_NS6detail15normal_iteratorINSB_10device_ptrIjEEEENSD_INSE_IS6_EEEESI_S6_NSB_4plusIvEENSB_8equal_toIvEES6_EE10hipError_tPvRmT2_T3_T4_T5_mT6_T7_P12ihipStream_tbENKUlT_T0_E_clISt17integral_constantIbLb0EES13_EEDaSY_SZ_EUlSY_E_NS1_11comp_targetILNS1_3genE0ELNS1_11target_archE4294967295ELNS1_3gpuE0ELNS1_3repE0EEENS1_30default_config_static_selectorELNS0_4arch9wavefront6targetE0EEEvT1_
		.amdhsa_group_segment_fixed_size 20480
		.amdhsa_private_segment_fixed_size 464
		.amdhsa_kernarg_size 144
		.amdhsa_user_sgpr_count 4
		.amdhsa_user_sgpr_dispatch_ptr 1
		.amdhsa_user_sgpr_queue_ptr 0
		.amdhsa_user_sgpr_kernarg_segment_ptr 1
		.amdhsa_user_sgpr_dispatch_id 0
		.amdhsa_user_sgpr_kernarg_preload_length 0
		.amdhsa_user_sgpr_kernarg_preload_offset 0
		.amdhsa_user_sgpr_private_segment_size 0
		.amdhsa_wavefront_size32 1
		.amdhsa_uses_dynamic_stack 0
		.amdhsa_enable_private_segment 1
		.amdhsa_system_sgpr_workgroup_id_x 1
		.amdhsa_system_sgpr_workgroup_id_y 0
		.amdhsa_system_sgpr_workgroup_id_z 0
		.amdhsa_system_sgpr_workgroup_info 0
		.amdhsa_system_vgpr_workitem_id 2
		.amdhsa_next_free_vgpr 113
		.amdhsa_next_free_sgpr 60
		.amdhsa_named_barrier_count 0
		.amdhsa_reserve_vcc 1
		.amdhsa_float_round_mode_32 0
		.amdhsa_float_round_mode_16_64 0
		.amdhsa_float_denorm_mode_32 3
		.amdhsa_float_denorm_mode_16_64 3
		.amdhsa_fp16_overflow 0
		.amdhsa_memory_ordered 1
		.amdhsa_forward_progress 1
		.amdhsa_inst_pref_size 255
		.amdhsa_round_robin_scheduling 0
		.amdhsa_exception_fp_ieee_invalid_op 0
		.amdhsa_exception_fp_denorm_src 0
		.amdhsa_exception_fp_ieee_div_zero 0
		.amdhsa_exception_fp_ieee_overflow 0
		.amdhsa_exception_fp_ieee_underflow 0
		.amdhsa_exception_fp_ieee_inexact 0
		.amdhsa_exception_int_div_zero 0
	.end_amdhsa_kernel
	.section	.text._ZN7rocprim17ROCPRIM_400000_NS6detail17trampoline_kernelINS0_14default_configENS1_27scan_by_key_config_selectorIj11FixedVectorIiLj4EEEEZZNS1_16scan_by_key_implILNS1_25lookback_scan_determinismE0ELb1ES3_N6thrust23THRUST_200600_302600_NS6detail15normal_iteratorINSB_10device_ptrIjEEEENSD_INSE_IS6_EEEESI_S6_NSB_4plusIvEENSB_8equal_toIvEES6_EE10hipError_tPvRmT2_T3_T4_T5_mT6_T7_P12ihipStream_tbENKUlT_T0_E_clISt17integral_constantIbLb0EES13_EEDaSY_SZ_EUlSY_E_NS1_11comp_targetILNS1_3genE0ELNS1_11target_archE4294967295ELNS1_3gpuE0ELNS1_3repE0EEENS1_30default_config_static_selectorELNS0_4arch9wavefront6targetE0EEEvT1_,"axG",@progbits,_ZN7rocprim17ROCPRIM_400000_NS6detail17trampoline_kernelINS0_14default_configENS1_27scan_by_key_config_selectorIj11FixedVectorIiLj4EEEEZZNS1_16scan_by_key_implILNS1_25lookback_scan_determinismE0ELb1ES3_N6thrust23THRUST_200600_302600_NS6detail15normal_iteratorINSB_10device_ptrIjEEEENSD_INSE_IS6_EEEESI_S6_NSB_4plusIvEENSB_8equal_toIvEES6_EE10hipError_tPvRmT2_T3_T4_T5_mT6_T7_P12ihipStream_tbENKUlT_T0_E_clISt17integral_constantIbLb0EES13_EEDaSY_SZ_EUlSY_E_NS1_11comp_targetILNS1_3genE0ELNS1_11target_archE4294967295ELNS1_3gpuE0ELNS1_3repE0EEENS1_30default_config_static_selectorELNS0_4arch9wavefront6targetE0EEEvT1_,comdat
.Lfunc_end2075:
	.size	_ZN7rocprim17ROCPRIM_400000_NS6detail17trampoline_kernelINS0_14default_configENS1_27scan_by_key_config_selectorIj11FixedVectorIiLj4EEEEZZNS1_16scan_by_key_implILNS1_25lookback_scan_determinismE0ELb1ES3_N6thrust23THRUST_200600_302600_NS6detail15normal_iteratorINSB_10device_ptrIjEEEENSD_INSE_IS6_EEEESI_S6_NSB_4plusIvEENSB_8equal_toIvEES6_EE10hipError_tPvRmT2_T3_T4_T5_mT6_T7_P12ihipStream_tbENKUlT_T0_E_clISt17integral_constantIbLb0EES13_EEDaSY_SZ_EUlSY_E_NS1_11comp_targetILNS1_3genE0ELNS1_11target_archE4294967295ELNS1_3gpuE0ELNS1_3repE0EEENS1_30default_config_static_selectorELNS0_4arch9wavefront6targetE0EEEvT1_, .Lfunc_end2075-_ZN7rocprim17ROCPRIM_400000_NS6detail17trampoline_kernelINS0_14default_configENS1_27scan_by_key_config_selectorIj11FixedVectorIiLj4EEEEZZNS1_16scan_by_key_implILNS1_25lookback_scan_determinismE0ELb1ES3_N6thrust23THRUST_200600_302600_NS6detail15normal_iteratorINSB_10device_ptrIjEEEENSD_INSE_IS6_EEEESI_S6_NSB_4plusIvEENSB_8equal_toIvEES6_EE10hipError_tPvRmT2_T3_T4_T5_mT6_T7_P12ihipStream_tbENKUlT_T0_E_clISt17integral_constantIbLb0EES13_EEDaSY_SZ_EUlSY_E_NS1_11comp_targetILNS1_3genE0ELNS1_11target_archE4294967295ELNS1_3gpuE0ELNS1_3repE0EEENS1_30default_config_static_selectorELNS0_4arch9wavefront6targetE0EEEvT1_
                                        ; -- End function
	.set _ZN7rocprim17ROCPRIM_400000_NS6detail17trampoline_kernelINS0_14default_configENS1_27scan_by_key_config_selectorIj11FixedVectorIiLj4EEEEZZNS1_16scan_by_key_implILNS1_25lookback_scan_determinismE0ELb1ES3_N6thrust23THRUST_200600_302600_NS6detail15normal_iteratorINSB_10device_ptrIjEEEENSD_INSE_IS6_EEEESI_S6_NSB_4plusIvEENSB_8equal_toIvEES6_EE10hipError_tPvRmT2_T3_T4_T5_mT6_T7_P12ihipStream_tbENKUlT_T0_E_clISt17integral_constantIbLb0EES13_EEDaSY_SZ_EUlSY_E_NS1_11comp_targetILNS1_3genE0ELNS1_11target_archE4294967295ELNS1_3gpuE0ELNS1_3repE0EEENS1_30default_config_static_selectorELNS0_4arch9wavefront6targetE0EEEvT1_.num_vgpr, 65
	.set _ZN7rocprim17ROCPRIM_400000_NS6detail17trampoline_kernelINS0_14default_configENS1_27scan_by_key_config_selectorIj11FixedVectorIiLj4EEEEZZNS1_16scan_by_key_implILNS1_25lookback_scan_determinismE0ELb1ES3_N6thrust23THRUST_200600_302600_NS6detail15normal_iteratorINSB_10device_ptrIjEEEENSD_INSE_IS6_EEEESI_S6_NSB_4plusIvEENSB_8equal_toIvEES6_EE10hipError_tPvRmT2_T3_T4_T5_mT6_T7_P12ihipStream_tbENKUlT_T0_E_clISt17integral_constantIbLb0EES13_EEDaSY_SZ_EUlSY_E_NS1_11comp_targetILNS1_3genE0ELNS1_11target_archE4294967295ELNS1_3gpuE0ELNS1_3repE0EEENS1_30default_config_static_selectorELNS0_4arch9wavefront6targetE0EEEvT1_.num_agpr, 0
	.set _ZN7rocprim17ROCPRIM_400000_NS6detail17trampoline_kernelINS0_14default_configENS1_27scan_by_key_config_selectorIj11FixedVectorIiLj4EEEEZZNS1_16scan_by_key_implILNS1_25lookback_scan_determinismE0ELb1ES3_N6thrust23THRUST_200600_302600_NS6detail15normal_iteratorINSB_10device_ptrIjEEEENSD_INSE_IS6_EEEESI_S6_NSB_4plusIvEENSB_8equal_toIvEES6_EE10hipError_tPvRmT2_T3_T4_T5_mT6_T7_P12ihipStream_tbENKUlT_T0_E_clISt17integral_constantIbLb0EES13_EEDaSY_SZ_EUlSY_E_NS1_11comp_targetILNS1_3genE0ELNS1_11target_archE4294967295ELNS1_3gpuE0ELNS1_3repE0EEENS1_30default_config_static_selectorELNS0_4arch9wavefront6targetE0EEEvT1_.numbered_sgpr, 60
	.set _ZN7rocprim17ROCPRIM_400000_NS6detail17trampoline_kernelINS0_14default_configENS1_27scan_by_key_config_selectorIj11FixedVectorIiLj4EEEEZZNS1_16scan_by_key_implILNS1_25lookback_scan_determinismE0ELb1ES3_N6thrust23THRUST_200600_302600_NS6detail15normal_iteratorINSB_10device_ptrIjEEEENSD_INSE_IS6_EEEESI_S6_NSB_4plusIvEENSB_8equal_toIvEES6_EE10hipError_tPvRmT2_T3_T4_T5_mT6_T7_P12ihipStream_tbENKUlT_T0_E_clISt17integral_constantIbLb0EES13_EEDaSY_SZ_EUlSY_E_NS1_11comp_targetILNS1_3genE0ELNS1_11target_archE4294967295ELNS1_3gpuE0ELNS1_3repE0EEENS1_30default_config_static_selectorELNS0_4arch9wavefront6targetE0EEEvT1_.num_named_barrier, 0
	.set _ZN7rocprim17ROCPRIM_400000_NS6detail17trampoline_kernelINS0_14default_configENS1_27scan_by_key_config_selectorIj11FixedVectorIiLj4EEEEZZNS1_16scan_by_key_implILNS1_25lookback_scan_determinismE0ELb1ES3_N6thrust23THRUST_200600_302600_NS6detail15normal_iteratorINSB_10device_ptrIjEEEENSD_INSE_IS6_EEEESI_S6_NSB_4plusIvEENSB_8equal_toIvEES6_EE10hipError_tPvRmT2_T3_T4_T5_mT6_T7_P12ihipStream_tbENKUlT_T0_E_clISt17integral_constantIbLb0EES13_EEDaSY_SZ_EUlSY_E_NS1_11comp_targetILNS1_3genE0ELNS1_11target_archE4294967295ELNS1_3gpuE0ELNS1_3repE0EEENS1_30default_config_static_selectorELNS0_4arch9wavefront6targetE0EEEvT1_.private_seg_size, 464
	.set _ZN7rocprim17ROCPRIM_400000_NS6detail17trampoline_kernelINS0_14default_configENS1_27scan_by_key_config_selectorIj11FixedVectorIiLj4EEEEZZNS1_16scan_by_key_implILNS1_25lookback_scan_determinismE0ELb1ES3_N6thrust23THRUST_200600_302600_NS6detail15normal_iteratorINSB_10device_ptrIjEEEENSD_INSE_IS6_EEEESI_S6_NSB_4plusIvEENSB_8equal_toIvEES6_EE10hipError_tPvRmT2_T3_T4_T5_mT6_T7_P12ihipStream_tbENKUlT_T0_E_clISt17integral_constantIbLb0EES13_EEDaSY_SZ_EUlSY_E_NS1_11comp_targetILNS1_3genE0ELNS1_11target_archE4294967295ELNS1_3gpuE0ELNS1_3repE0EEENS1_30default_config_static_selectorELNS0_4arch9wavefront6targetE0EEEvT1_.uses_vcc, 1
	.set _ZN7rocprim17ROCPRIM_400000_NS6detail17trampoline_kernelINS0_14default_configENS1_27scan_by_key_config_selectorIj11FixedVectorIiLj4EEEEZZNS1_16scan_by_key_implILNS1_25lookback_scan_determinismE0ELb1ES3_N6thrust23THRUST_200600_302600_NS6detail15normal_iteratorINSB_10device_ptrIjEEEENSD_INSE_IS6_EEEESI_S6_NSB_4plusIvEENSB_8equal_toIvEES6_EE10hipError_tPvRmT2_T3_T4_T5_mT6_T7_P12ihipStream_tbENKUlT_T0_E_clISt17integral_constantIbLb0EES13_EEDaSY_SZ_EUlSY_E_NS1_11comp_targetILNS1_3genE0ELNS1_11target_archE4294967295ELNS1_3gpuE0ELNS1_3repE0EEENS1_30default_config_static_selectorELNS0_4arch9wavefront6targetE0EEEvT1_.uses_flat_scratch, 1
	.set _ZN7rocprim17ROCPRIM_400000_NS6detail17trampoline_kernelINS0_14default_configENS1_27scan_by_key_config_selectorIj11FixedVectorIiLj4EEEEZZNS1_16scan_by_key_implILNS1_25lookback_scan_determinismE0ELb1ES3_N6thrust23THRUST_200600_302600_NS6detail15normal_iteratorINSB_10device_ptrIjEEEENSD_INSE_IS6_EEEESI_S6_NSB_4plusIvEENSB_8equal_toIvEES6_EE10hipError_tPvRmT2_T3_T4_T5_mT6_T7_P12ihipStream_tbENKUlT_T0_E_clISt17integral_constantIbLb0EES13_EEDaSY_SZ_EUlSY_E_NS1_11comp_targetILNS1_3genE0ELNS1_11target_archE4294967295ELNS1_3gpuE0ELNS1_3repE0EEENS1_30default_config_static_selectorELNS0_4arch9wavefront6targetE0EEEvT1_.has_dyn_sized_stack, 0
	.set _ZN7rocprim17ROCPRIM_400000_NS6detail17trampoline_kernelINS0_14default_configENS1_27scan_by_key_config_selectorIj11FixedVectorIiLj4EEEEZZNS1_16scan_by_key_implILNS1_25lookback_scan_determinismE0ELb1ES3_N6thrust23THRUST_200600_302600_NS6detail15normal_iteratorINSB_10device_ptrIjEEEENSD_INSE_IS6_EEEESI_S6_NSB_4plusIvEENSB_8equal_toIvEES6_EE10hipError_tPvRmT2_T3_T4_T5_mT6_T7_P12ihipStream_tbENKUlT_T0_E_clISt17integral_constantIbLb0EES13_EEDaSY_SZ_EUlSY_E_NS1_11comp_targetILNS1_3genE0ELNS1_11target_archE4294967295ELNS1_3gpuE0ELNS1_3repE0EEENS1_30default_config_static_selectorELNS0_4arch9wavefront6targetE0EEEvT1_.has_recursion, 0
	.set _ZN7rocprim17ROCPRIM_400000_NS6detail17trampoline_kernelINS0_14default_configENS1_27scan_by_key_config_selectorIj11FixedVectorIiLj4EEEEZZNS1_16scan_by_key_implILNS1_25lookback_scan_determinismE0ELb1ES3_N6thrust23THRUST_200600_302600_NS6detail15normal_iteratorINSB_10device_ptrIjEEEENSD_INSE_IS6_EEEESI_S6_NSB_4plusIvEENSB_8equal_toIvEES6_EE10hipError_tPvRmT2_T3_T4_T5_mT6_T7_P12ihipStream_tbENKUlT_T0_E_clISt17integral_constantIbLb0EES13_EEDaSY_SZ_EUlSY_E_NS1_11comp_targetILNS1_3genE0ELNS1_11target_archE4294967295ELNS1_3gpuE0ELNS1_3repE0EEENS1_30default_config_static_selectorELNS0_4arch9wavefront6targetE0EEEvT1_.has_indirect_call, 0
	.section	.AMDGPU.csdata,"",@progbits
; Kernel info:
; codeLenInByte = 32680
; TotalNumSgprs: 62
; NumVgprs: 65
; ScratchSize: 464
; MemoryBound: 1
; FloatMode: 240
; IeeeMode: 1
; LDSByteSize: 20480 bytes/workgroup (compile time only)
; SGPRBlocks: 0
; VGPRBlocks: 7
; NumSGPRsForWavesPerEU: 62
; NumVGPRsForWavesPerEU: 113
; NamedBarCnt: 0
; Occupancy: 8
; WaveLimiterHint : 1
; COMPUTE_PGM_RSRC2:SCRATCH_EN: 1
; COMPUTE_PGM_RSRC2:USER_SGPR: 4
; COMPUTE_PGM_RSRC2:TRAP_HANDLER: 0
; COMPUTE_PGM_RSRC2:TGID_X_EN: 1
; COMPUTE_PGM_RSRC2:TGID_Y_EN: 0
; COMPUTE_PGM_RSRC2:TGID_Z_EN: 0
; COMPUTE_PGM_RSRC2:TIDIG_COMP_CNT: 2
	.section	.text._ZN7rocprim17ROCPRIM_400000_NS6detail17trampoline_kernelINS0_14default_configENS1_27scan_by_key_config_selectorIj11FixedVectorIiLj4EEEEZZNS1_16scan_by_key_implILNS1_25lookback_scan_determinismE0ELb1ES3_N6thrust23THRUST_200600_302600_NS6detail15normal_iteratorINSB_10device_ptrIjEEEENSD_INSE_IS6_EEEESI_S6_NSB_4plusIvEENSB_8equal_toIvEES6_EE10hipError_tPvRmT2_T3_T4_T5_mT6_T7_P12ihipStream_tbENKUlT_T0_E_clISt17integral_constantIbLb0EES13_EEDaSY_SZ_EUlSY_E_NS1_11comp_targetILNS1_3genE10ELNS1_11target_archE1201ELNS1_3gpuE5ELNS1_3repE0EEENS1_30default_config_static_selectorELNS0_4arch9wavefront6targetE0EEEvT1_,"axG",@progbits,_ZN7rocprim17ROCPRIM_400000_NS6detail17trampoline_kernelINS0_14default_configENS1_27scan_by_key_config_selectorIj11FixedVectorIiLj4EEEEZZNS1_16scan_by_key_implILNS1_25lookback_scan_determinismE0ELb1ES3_N6thrust23THRUST_200600_302600_NS6detail15normal_iteratorINSB_10device_ptrIjEEEENSD_INSE_IS6_EEEESI_S6_NSB_4plusIvEENSB_8equal_toIvEES6_EE10hipError_tPvRmT2_T3_T4_T5_mT6_T7_P12ihipStream_tbENKUlT_T0_E_clISt17integral_constantIbLb0EES13_EEDaSY_SZ_EUlSY_E_NS1_11comp_targetILNS1_3genE10ELNS1_11target_archE1201ELNS1_3gpuE5ELNS1_3repE0EEENS1_30default_config_static_selectorELNS0_4arch9wavefront6targetE0EEEvT1_,comdat
	.protected	_ZN7rocprim17ROCPRIM_400000_NS6detail17trampoline_kernelINS0_14default_configENS1_27scan_by_key_config_selectorIj11FixedVectorIiLj4EEEEZZNS1_16scan_by_key_implILNS1_25lookback_scan_determinismE0ELb1ES3_N6thrust23THRUST_200600_302600_NS6detail15normal_iteratorINSB_10device_ptrIjEEEENSD_INSE_IS6_EEEESI_S6_NSB_4plusIvEENSB_8equal_toIvEES6_EE10hipError_tPvRmT2_T3_T4_T5_mT6_T7_P12ihipStream_tbENKUlT_T0_E_clISt17integral_constantIbLb0EES13_EEDaSY_SZ_EUlSY_E_NS1_11comp_targetILNS1_3genE10ELNS1_11target_archE1201ELNS1_3gpuE5ELNS1_3repE0EEENS1_30default_config_static_selectorELNS0_4arch9wavefront6targetE0EEEvT1_ ; -- Begin function _ZN7rocprim17ROCPRIM_400000_NS6detail17trampoline_kernelINS0_14default_configENS1_27scan_by_key_config_selectorIj11FixedVectorIiLj4EEEEZZNS1_16scan_by_key_implILNS1_25lookback_scan_determinismE0ELb1ES3_N6thrust23THRUST_200600_302600_NS6detail15normal_iteratorINSB_10device_ptrIjEEEENSD_INSE_IS6_EEEESI_S6_NSB_4plusIvEENSB_8equal_toIvEES6_EE10hipError_tPvRmT2_T3_T4_T5_mT6_T7_P12ihipStream_tbENKUlT_T0_E_clISt17integral_constantIbLb0EES13_EEDaSY_SZ_EUlSY_E_NS1_11comp_targetILNS1_3genE10ELNS1_11target_archE1201ELNS1_3gpuE5ELNS1_3repE0EEENS1_30default_config_static_selectorELNS0_4arch9wavefront6targetE0EEEvT1_
	.globl	_ZN7rocprim17ROCPRIM_400000_NS6detail17trampoline_kernelINS0_14default_configENS1_27scan_by_key_config_selectorIj11FixedVectorIiLj4EEEEZZNS1_16scan_by_key_implILNS1_25lookback_scan_determinismE0ELb1ES3_N6thrust23THRUST_200600_302600_NS6detail15normal_iteratorINSB_10device_ptrIjEEEENSD_INSE_IS6_EEEESI_S6_NSB_4plusIvEENSB_8equal_toIvEES6_EE10hipError_tPvRmT2_T3_T4_T5_mT6_T7_P12ihipStream_tbENKUlT_T0_E_clISt17integral_constantIbLb0EES13_EEDaSY_SZ_EUlSY_E_NS1_11comp_targetILNS1_3genE10ELNS1_11target_archE1201ELNS1_3gpuE5ELNS1_3repE0EEENS1_30default_config_static_selectorELNS0_4arch9wavefront6targetE0EEEvT1_
	.p2align	8
	.type	_ZN7rocprim17ROCPRIM_400000_NS6detail17trampoline_kernelINS0_14default_configENS1_27scan_by_key_config_selectorIj11FixedVectorIiLj4EEEEZZNS1_16scan_by_key_implILNS1_25lookback_scan_determinismE0ELb1ES3_N6thrust23THRUST_200600_302600_NS6detail15normal_iteratorINSB_10device_ptrIjEEEENSD_INSE_IS6_EEEESI_S6_NSB_4plusIvEENSB_8equal_toIvEES6_EE10hipError_tPvRmT2_T3_T4_T5_mT6_T7_P12ihipStream_tbENKUlT_T0_E_clISt17integral_constantIbLb0EES13_EEDaSY_SZ_EUlSY_E_NS1_11comp_targetILNS1_3genE10ELNS1_11target_archE1201ELNS1_3gpuE5ELNS1_3repE0EEENS1_30default_config_static_selectorELNS0_4arch9wavefront6targetE0EEEvT1_,@function
_ZN7rocprim17ROCPRIM_400000_NS6detail17trampoline_kernelINS0_14default_configENS1_27scan_by_key_config_selectorIj11FixedVectorIiLj4EEEEZZNS1_16scan_by_key_implILNS1_25lookback_scan_determinismE0ELb1ES3_N6thrust23THRUST_200600_302600_NS6detail15normal_iteratorINSB_10device_ptrIjEEEENSD_INSE_IS6_EEEESI_S6_NSB_4plusIvEENSB_8equal_toIvEES6_EE10hipError_tPvRmT2_T3_T4_T5_mT6_T7_P12ihipStream_tbENKUlT_T0_E_clISt17integral_constantIbLb0EES13_EEDaSY_SZ_EUlSY_E_NS1_11comp_targetILNS1_3genE10ELNS1_11target_archE1201ELNS1_3gpuE5ELNS1_3repE0EEENS1_30default_config_static_selectorELNS0_4arch9wavefront6targetE0EEEvT1_: ; @_ZN7rocprim17ROCPRIM_400000_NS6detail17trampoline_kernelINS0_14default_configENS1_27scan_by_key_config_selectorIj11FixedVectorIiLj4EEEEZZNS1_16scan_by_key_implILNS1_25lookback_scan_determinismE0ELb1ES3_N6thrust23THRUST_200600_302600_NS6detail15normal_iteratorINSB_10device_ptrIjEEEENSD_INSE_IS6_EEEESI_S6_NSB_4plusIvEENSB_8equal_toIvEES6_EE10hipError_tPvRmT2_T3_T4_T5_mT6_T7_P12ihipStream_tbENKUlT_T0_E_clISt17integral_constantIbLb0EES13_EEDaSY_SZ_EUlSY_E_NS1_11comp_targetILNS1_3genE10ELNS1_11target_archE1201ELNS1_3gpuE5ELNS1_3repE0EEENS1_30default_config_static_selectorELNS0_4arch9wavefront6targetE0EEEvT1_
; %bb.0:
	.section	.rodata,"a",@progbits
	.p2align	6, 0x0
	.amdhsa_kernel _ZN7rocprim17ROCPRIM_400000_NS6detail17trampoline_kernelINS0_14default_configENS1_27scan_by_key_config_selectorIj11FixedVectorIiLj4EEEEZZNS1_16scan_by_key_implILNS1_25lookback_scan_determinismE0ELb1ES3_N6thrust23THRUST_200600_302600_NS6detail15normal_iteratorINSB_10device_ptrIjEEEENSD_INSE_IS6_EEEESI_S6_NSB_4plusIvEENSB_8equal_toIvEES6_EE10hipError_tPvRmT2_T3_T4_T5_mT6_T7_P12ihipStream_tbENKUlT_T0_E_clISt17integral_constantIbLb0EES13_EEDaSY_SZ_EUlSY_E_NS1_11comp_targetILNS1_3genE10ELNS1_11target_archE1201ELNS1_3gpuE5ELNS1_3repE0EEENS1_30default_config_static_selectorELNS0_4arch9wavefront6targetE0EEEvT1_
		.amdhsa_group_segment_fixed_size 0
		.amdhsa_private_segment_fixed_size 0
		.amdhsa_kernarg_size 144
		.amdhsa_user_sgpr_count 2
		.amdhsa_user_sgpr_dispatch_ptr 0
		.amdhsa_user_sgpr_queue_ptr 0
		.amdhsa_user_sgpr_kernarg_segment_ptr 1
		.amdhsa_user_sgpr_dispatch_id 0
		.amdhsa_user_sgpr_kernarg_preload_length 0
		.amdhsa_user_sgpr_kernarg_preload_offset 0
		.amdhsa_user_sgpr_private_segment_size 0
		.amdhsa_wavefront_size32 1
		.amdhsa_uses_dynamic_stack 0
		.amdhsa_enable_private_segment 0
		.amdhsa_system_sgpr_workgroup_id_x 1
		.amdhsa_system_sgpr_workgroup_id_y 0
		.amdhsa_system_sgpr_workgroup_id_z 0
		.amdhsa_system_sgpr_workgroup_info 0
		.amdhsa_system_vgpr_workitem_id 0
		.amdhsa_next_free_vgpr 1
		.amdhsa_next_free_sgpr 1
		.amdhsa_named_barrier_count 0
		.amdhsa_reserve_vcc 0
		.amdhsa_float_round_mode_32 0
		.amdhsa_float_round_mode_16_64 0
		.amdhsa_float_denorm_mode_32 3
		.amdhsa_float_denorm_mode_16_64 3
		.amdhsa_fp16_overflow 0
		.amdhsa_memory_ordered 1
		.amdhsa_forward_progress 1
		.amdhsa_inst_pref_size 0
		.amdhsa_round_robin_scheduling 0
		.amdhsa_exception_fp_ieee_invalid_op 0
		.amdhsa_exception_fp_denorm_src 0
		.amdhsa_exception_fp_ieee_div_zero 0
		.amdhsa_exception_fp_ieee_overflow 0
		.amdhsa_exception_fp_ieee_underflow 0
		.amdhsa_exception_fp_ieee_inexact 0
		.amdhsa_exception_int_div_zero 0
	.end_amdhsa_kernel
	.section	.text._ZN7rocprim17ROCPRIM_400000_NS6detail17trampoline_kernelINS0_14default_configENS1_27scan_by_key_config_selectorIj11FixedVectorIiLj4EEEEZZNS1_16scan_by_key_implILNS1_25lookback_scan_determinismE0ELb1ES3_N6thrust23THRUST_200600_302600_NS6detail15normal_iteratorINSB_10device_ptrIjEEEENSD_INSE_IS6_EEEESI_S6_NSB_4plusIvEENSB_8equal_toIvEES6_EE10hipError_tPvRmT2_T3_T4_T5_mT6_T7_P12ihipStream_tbENKUlT_T0_E_clISt17integral_constantIbLb0EES13_EEDaSY_SZ_EUlSY_E_NS1_11comp_targetILNS1_3genE10ELNS1_11target_archE1201ELNS1_3gpuE5ELNS1_3repE0EEENS1_30default_config_static_selectorELNS0_4arch9wavefront6targetE0EEEvT1_,"axG",@progbits,_ZN7rocprim17ROCPRIM_400000_NS6detail17trampoline_kernelINS0_14default_configENS1_27scan_by_key_config_selectorIj11FixedVectorIiLj4EEEEZZNS1_16scan_by_key_implILNS1_25lookback_scan_determinismE0ELb1ES3_N6thrust23THRUST_200600_302600_NS6detail15normal_iteratorINSB_10device_ptrIjEEEENSD_INSE_IS6_EEEESI_S6_NSB_4plusIvEENSB_8equal_toIvEES6_EE10hipError_tPvRmT2_T3_T4_T5_mT6_T7_P12ihipStream_tbENKUlT_T0_E_clISt17integral_constantIbLb0EES13_EEDaSY_SZ_EUlSY_E_NS1_11comp_targetILNS1_3genE10ELNS1_11target_archE1201ELNS1_3gpuE5ELNS1_3repE0EEENS1_30default_config_static_selectorELNS0_4arch9wavefront6targetE0EEEvT1_,comdat
.Lfunc_end2076:
	.size	_ZN7rocprim17ROCPRIM_400000_NS6detail17trampoline_kernelINS0_14default_configENS1_27scan_by_key_config_selectorIj11FixedVectorIiLj4EEEEZZNS1_16scan_by_key_implILNS1_25lookback_scan_determinismE0ELb1ES3_N6thrust23THRUST_200600_302600_NS6detail15normal_iteratorINSB_10device_ptrIjEEEENSD_INSE_IS6_EEEESI_S6_NSB_4plusIvEENSB_8equal_toIvEES6_EE10hipError_tPvRmT2_T3_T4_T5_mT6_T7_P12ihipStream_tbENKUlT_T0_E_clISt17integral_constantIbLb0EES13_EEDaSY_SZ_EUlSY_E_NS1_11comp_targetILNS1_3genE10ELNS1_11target_archE1201ELNS1_3gpuE5ELNS1_3repE0EEENS1_30default_config_static_selectorELNS0_4arch9wavefront6targetE0EEEvT1_, .Lfunc_end2076-_ZN7rocprim17ROCPRIM_400000_NS6detail17trampoline_kernelINS0_14default_configENS1_27scan_by_key_config_selectorIj11FixedVectorIiLj4EEEEZZNS1_16scan_by_key_implILNS1_25lookback_scan_determinismE0ELb1ES3_N6thrust23THRUST_200600_302600_NS6detail15normal_iteratorINSB_10device_ptrIjEEEENSD_INSE_IS6_EEEESI_S6_NSB_4plusIvEENSB_8equal_toIvEES6_EE10hipError_tPvRmT2_T3_T4_T5_mT6_T7_P12ihipStream_tbENKUlT_T0_E_clISt17integral_constantIbLb0EES13_EEDaSY_SZ_EUlSY_E_NS1_11comp_targetILNS1_3genE10ELNS1_11target_archE1201ELNS1_3gpuE5ELNS1_3repE0EEENS1_30default_config_static_selectorELNS0_4arch9wavefront6targetE0EEEvT1_
                                        ; -- End function
	.set _ZN7rocprim17ROCPRIM_400000_NS6detail17trampoline_kernelINS0_14default_configENS1_27scan_by_key_config_selectorIj11FixedVectorIiLj4EEEEZZNS1_16scan_by_key_implILNS1_25lookback_scan_determinismE0ELb1ES3_N6thrust23THRUST_200600_302600_NS6detail15normal_iteratorINSB_10device_ptrIjEEEENSD_INSE_IS6_EEEESI_S6_NSB_4plusIvEENSB_8equal_toIvEES6_EE10hipError_tPvRmT2_T3_T4_T5_mT6_T7_P12ihipStream_tbENKUlT_T0_E_clISt17integral_constantIbLb0EES13_EEDaSY_SZ_EUlSY_E_NS1_11comp_targetILNS1_3genE10ELNS1_11target_archE1201ELNS1_3gpuE5ELNS1_3repE0EEENS1_30default_config_static_selectorELNS0_4arch9wavefront6targetE0EEEvT1_.num_vgpr, 0
	.set _ZN7rocprim17ROCPRIM_400000_NS6detail17trampoline_kernelINS0_14default_configENS1_27scan_by_key_config_selectorIj11FixedVectorIiLj4EEEEZZNS1_16scan_by_key_implILNS1_25lookback_scan_determinismE0ELb1ES3_N6thrust23THRUST_200600_302600_NS6detail15normal_iteratorINSB_10device_ptrIjEEEENSD_INSE_IS6_EEEESI_S6_NSB_4plusIvEENSB_8equal_toIvEES6_EE10hipError_tPvRmT2_T3_T4_T5_mT6_T7_P12ihipStream_tbENKUlT_T0_E_clISt17integral_constantIbLb0EES13_EEDaSY_SZ_EUlSY_E_NS1_11comp_targetILNS1_3genE10ELNS1_11target_archE1201ELNS1_3gpuE5ELNS1_3repE0EEENS1_30default_config_static_selectorELNS0_4arch9wavefront6targetE0EEEvT1_.num_agpr, 0
	.set _ZN7rocprim17ROCPRIM_400000_NS6detail17trampoline_kernelINS0_14default_configENS1_27scan_by_key_config_selectorIj11FixedVectorIiLj4EEEEZZNS1_16scan_by_key_implILNS1_25lookback_scan_determinismE0ELb1ES3_N6thrust23THRUST_200600_302600_NS6detail15normal_iteratorINSB_10device_ptrIjEEEENSD_INSE_IS6_EEEESI_S6_NSB_4plusIvEENSB_8equal_toIvEES6_EE10hipError_tPvRmT2_T3_T4_T5_mT6_T7_P12ihipStream_tbENKUlT_T0_E_clISt17integral_constantIbLb0EES13_EEDaSY_SZ_EUlSY_E_NS1_11comp_targetILNS1_3genE10ELNS1_11target_archE1201ELNS1_3gpuE5ELNS1_3repE0EEENS1_30default_config_static_selectorELNS0_4arch9wavefront6targetE0EEEvT1_.numbered_sgpr, 0
	.set _ZN7rocprim17ROCPRIM_400000_NS6detail17trampoline_kernelINS0_14default_configENS1_27scan_by_key_config_selectorIj11FixedVectorIiLj4EEEEZZNS1_16scan_by_key_implILNS1_25lookback_scan_determinismE0ELb1ES3_N6thrust23THRUST_200600_302600_NS6detail15normal_iteratorINSB_10device_ptrIjEEEENSD_INSE_IS6_EEEESI_S6_NSB_4plusIvEENSB_8equal_toIvEES6_EE10hipError_tPvRmT2_T3_T4_T5_mT6_T7_P12ihipStream_tbENKUlT_T0_E_clISt17integral_constantIbLb0EES13_EEDaSY_SZ_EUlSY_E_NS1_11comp_targetILNS1_3genE10ELNS1_11target_archE1201ELNS1_3gpuE5ELNS1_3repE0EEENS1_30default_config_static_selectorELNS0_4arch9wavefront6targetE0EEEvT1_.num_named_barrier, 0
	.set _ZN7rocprim17ROCPRIM_400000_NS6detail17trampoline_kernelINS0_14default_configENS1_27scan_by_key_config_selectorIj11FixedVectorIiLj4EEEEZZNS1_16scan_by_key_implILNS1_25lookback_scan_determinismE0ELb1ES3_N6thrust23THRUST_200600_302600_NS6detail15normal_iteratorINSB_10device_ptrIjEEEENSD_INSE_IS6_EEEESI_S6_NSB_4plusIvEENSB_8equal_toIvEES6_EE10hipError_tPvRmT2_T3_T4_T5_mT6_T7_P12ihipStream_tbENKUlT_T0_E_clISt17integral_constantIbLb0EES13_EEDaSY_SZ_EUlSY_E_NS1_11comp_targetILNS1_3genE10ELNS1_11target_archE1201ELNS1_3gpuE5ELNS1_3repE0EEENS1_30default_config_static_selectorELNS0_4arch9wavefront6targetE0EEEvT1_.private_seg_size, 0
	.set _ZN7rocprim17ROCPRIM_400000_NS6detail17trampoline_kernelINS0_14default_configENS1_27scan_by_key_config_selectorIj11FixedVectorIiLj4EEEEZZNS1_16scan_by_key_implILNS1_25lookback_scan_determinismE0ELb1ES3_N6thrust23THRUST_200600_302600_NS6detail15normal_iteratorINSB_10device_ptrIjEEEENSD_INSE_IS6_EEEESI_S6_NSB_4plusIvEENSB_8equal_toIvEES6_EE10hipError_tPvRmT2_T3_T4_T5_mT6_T7_P12ihipStream_tbENKUlT_T0_E_clISt17integral_constantIbLb0EES13_EEDaSY_SZ_EUlSY_E_NS1_11comp_targetILNS1_3genE10ELNS1_11target_archE1201ELNS1_3gpuE5ELNS1_3repE0EEENS1_30default_config_static_selectorELNS0_4arch9wavefront6targetE0EEEvT1_.uses_vcc, 0
	.set _ZN7rocprim17ROCPRIM_400000_NS6detail17trampoline_kernelINS0_14default_configENS1_27scan_by_key_config_selectorIj11FixedVectorIiLj4EEEEZZNS1_16scan_by_key_implILNS1_25lookback_scan_determinismE0ELb1ES3_N6thrust23THRUST_200600_302600_NS6detail15normal_iteratorINSB_10device_ptrIjEEEENSD_INSE_IS6_EEEESI_S6_NSB_4plusIvEENSB_8equal_toIvEES6_EE10hipError_tPvRmT2_T3_T4_T5_mT6_T7_P12ihipStream_tbENKUlT_T0_E_clISt17integral_constantIbLb0EES13_EEDaSY_SZ_EUlSY_E_NS1_11comp_targetILNS1_3genE10ELNS1_11target_archE1201ELNS1_3gpuE5ELNS1_3repE0EEENS1_30default_config_static_selectorELNS0_4arch9wavefront6targetE0EEEvT1_.uses_flat_scratch, 0
	.set _ZN7rocprim17ROCPRIM_400000_NS6detail17trampoline_kernelINS0_14default_configENS1_27scan_by_key_config_selectorIj11FixedVectorIiLj4EEEEZZNS1_16scan_by_key_implILNS1_25lookback_scan_determinismE0ELb1ES3_N6thrust23THRUST_200600_302600_NS6detail15normal_iteratorINSB_10device_ptrIjEEEENSD_INSE_IS6_EEEESI_S6_NSB_4plusIvEENSB_8equal_toIvEES6_EE10hipError_tPvRmT2_T3_T4_T5_mT6_T7_P12ihipStream_tbENKUlT_T0_E_clISt17integral_constantIbLb0EES13_EEDaSY_SZ_EUlSY_E_NS1_11comp_targetILNS1_3genE10ELNS1_11target_archE1201ELNS1_3gpuE5ELNS1_3repE0EEENS1_30default_config_static_selectorELNS0_4arch9wavefront6targetE0EEEvT1_.has_dyn_sized_stack, 0
	.set _ZN7rocprim17ROCPRIM_400000_NS6detail17trampoline_kernelINS0_14default_configENS1_27scan_by_key_config_selectorIj11FixedVectorIiLj4EEEEZZNS1_16scan_by_key_implILNS1_25lookback_scan_determinismE0ELb1ES3_N6thrust23THRUST_200600_302600_NS6detail15normal_iteratorINSB_10device_ptrIjEEEENSD_INSE_IS6_EEEESI_S6_NSB_4plusIvEENSB_8equal_toIvEES6_EE10hipError_tPvRmT2_T3_T4_T5_mT6_T7_P12ihipStream_tbENKUlT_T0_E_clISt17integral_constantIbLb0EES13_EEDaSY_SZ_EUlSY_E_NS1_11comp_targetILNS1_3genE10ELNS1_11target_archE1201ELNS1_3gpuE5ELNS1_3repE0EEENS1_30default_config_static_selectorELNS0_4arch9wavefront6targetE0EEEvT1_.has_recursion, 0
	.set _ZN7rocprim17ROCPRIM_400000_NS6detail17trampoline_kernelINS0_14default_configENS1_27scan_by_key_config_selectorIj11FixedVectorIiLj4EEEEZZNS1_16scan_by_key_implILNS1_25lookback_scan_determinismE0ELb1ES3_N6thrust23THRUST_200600_302600_NS6detail15normal_iteratorINSB_10device_ptrIjEEEENSD_INSE_IS6_EEEESI_S6_NSB_4plusIvEENSB_8equal_toIvEES6_EE10hipError_tPvRmT2_T3_T4_T5_mT6_T7_P12ihipStream_tbENKUlT_T0_E_clISt17integral_constantIbLb0EES13_EEDaSY_SZ_EUlSY_E_NS1_11comp_targetILNS1_3genE10ELNS1_11target_archE1201ELNS1_3gpuE5ELNS1_3repE0EEENS1_30default_config_static_selectorELNS0_4arch9wavefront6targetE0EEEvT1_.has_indirect_call, 0
	.section	.AMDGPU.csdata,"",@progbits
; Kernel info:
; codeLenInByte = 0
; TotalNumSgprs: 0
; NumVgprs: 0
; ScratchSize: 0
; MemoryBound: 0
; FloatMode: 240
; IeeeMode: 1
; LDSByteSize: 0 bytes/workgroup (compile time only)
; SGPRBlocks: 0
; VGPRBlocks: 0
; NumSGPRsForWavesPerEU: 1
; NumVGPRsForWavesPerEU: 1
; NamedBarCnt: 0
; Occupancy: 16
; WaveLimiterHint : 0
; COMPUTE_PGM_RSRC2:SCRATCH_EN: 0
; COMPUTE_PGM_RSRC2:USER_SGPR: 2
; COMPUTE_PGM_RSRC2:TRAP_HANDLER: 0
; COMPUTE_PGM_RSRC2:TGID_X_EN: 1
; COMPUTE_PGM_RSRC2:TGID_Y_EN: 0
; COMPUTE_PGM_RSRC2:TGID_Z_EN: 0
; COMPUTE_PGM_RSRC2:TIDIG_COMP_CNT: 0
	.section	.text._ZN7rocprim17ROCPRIM_400000_NS6detail17trampoline_kernelINS0_14default_configENS1_27scan_by_key_config_selectorIj11FixedVectorIiLj4EEEEZZNS1_16scan_by_key_implILNS1_25lookback_scan_determinismE0ELb1ES3_N6thrust23THRUST_200600_302600_NS6detail15normal_iteratorINSB_10device_ptrIjEEEENSD_INSE_IS6_EEEESI_S6_NSB_4plusIvEENSB_8equal_toIvEES6_EE10hipError_tPvRmT2_T3_T4_T5_mT6_T7_P12ihipStream_tbENKUlT_T0_E_clISt17integral_constantIbLb0EES13_EEDaSY_SZ_EUlSY_E_NS1_11comp_targetILNS1_3genE5ELNS1_11target_archE942ELNS1_3gpuE9ELNS1_3repE0EEENS1_30default_config_static_selectorELNS0_4arch9wavefront6targetE0EEEvT1_,"axG",@progbits,_ZN7rocprim17ROCPRIM_400000_NS6detail17trampoline_kernelINS0_14default_configENS1_27scan_by_key_config_selectorIj11FixedVectorIiLj4EEEEZZNS1_16scan_by_key_implILNS1_25lookback_scan_determinismE0ELb1ES3_N6thrust23THRUST_200600_302600_NS6detail15normal_iteratorINSB_10device_ptrIjEEEENSD_INSE_IS6_EEEESI_S6_NSB_4plusIvEENSB_8equal_toIvEES6_EE10hipError_tPvRmT2_T3_T4_T5_mT6_T7_P12ihipStream_tbENKUlT_T0_E_clISt17integral_constantIbLb0EES13_EEDaSY_SZ_EUlSY_E_NS1_11comp_targetILNS1_3genE5ELNS1_11target_archE942ELNS1_3gpuE9ELNS1_3repE0EEENS1_30default_config_static_selectorELNS0_4arch9wavefront6targetE0EEEvT1_,comdat
	.protected	_ZN7rocprim17ROCPRIM_400000_NS6detail17trampoline_kernelINS0_14default_configENS1_27scan_by_key_config_selectorIj11FixedVectorIiLj4EEEEZZNS1_16scan_by_key_implILNS1_25lookback_scan_determinismE0ELb1ES3_N6thrust23THRUST_200600_302600_NS6detail15normal_iteratorINSB_10device_ptrIjEEEENSD_INSE_IS6_EEEESI_S6_NSB_4plusIvEENSB_8equal_toIvEES6_EE10hipError_tPvRmT2_T3_T4_T5_mT6_T7_P12ihipStream_tbENKUlT_T0_E_clISt17integral_constantIbLb0EES13_EEDaSY_SZ_EUlSY_E_NS1_11comp_targetILNS1_3genE5ELNS1_11target_archE942ELNS1_3gpuE9ELNS1_3repE0EEENS1_30default_config_static_selectorELNS0_4arch9wavefront6targetE0EEEvT1_ ; -- Begin function _ZN7rocprim17ROCPRIM_400000_NS6detail17trampoline_kernelINS0_14default_configENS1_27scan_by_key_config_selectorIj11FixedVectorIiLj4EEEEZZNS1_16scan_by_key_implILNS1_25lookback_scan_determinismE0ELb1ES3_N6thrust23THRUST_200600_302600_NS6detail15normal_iteratorINSB_10device_ptrIjEEEENSD_INSE_IS6_EEEESI_S6_NSB_4plusIvEENSB_8equal_toIvEES6_EE10hipError_tPvRmT2_T3_T4_T5_mT6_T7_P12ihipStream_tbENKUlT_T0_E_clISt17integral_constantIbLb0EES13_EEDaSY_SZ_EUlSY_E_NS1_11comp_targetILNS1_3genE5ELNS1_11target_archE942ELNS1_3gpuE9ELNS1_3repE0EEENS1_30default_config_static_selectorELNS0_4arch9wavefront6targetE0EEEvT1_
	.globl	_ZN7rocprim17ROCPRIM_400000_NS6detail17trampoline_kernelINS0_14default_configENS1_27scan_by_key_config_selectorIj11FixedVectorIiLj4EEEEZZNS1_16scan_by_key_implILNS1_25lookback_scan_determinismE0ELb1ES3_N6thrust23THRUST_200600_302600_NS6detail15normal_iteratorINSB_10device_ptrIjEEEENSD_INSE_IS6_EEEESI_S6_NSB_4plusIvEENSB_8equal_toIvEES6_EE10hipError_tPvRmT2_T3_T4_T5_mT6_T7_P12ihipStream_tbENKUlT_T0_E_clISt17integral_constantIbLb0EES13_EEDaSY_SZ_EUlSY_E_NS1_11comp_targetILNS1_3genE5ELNS1_11target_archE942ELNS1_3gpuE9ELNS1_3repE0EEENS1_30default_config_static_selectorELNS0_4arch9wavefront6targetE0EEEvT1_
	.p2align	8
	.type	_ZN7rocprim17ROCPRIM_400000_NS6detail17trampoline_kernelINS0_14default_configENS1_27scan_by_key_config_selectorIj11FixedVectorIiLj4EEEEZZNS1_16scan_by_key_implILNS1_25lookback_scan_determinismE0ELb1ES3_N6thrust23THRUST_200600_302600_NS6detail15normal_iteratorINSB_10device_ptrIjEEEENSD_INSE_IS6_EEEESI_S6_NSB_4plusIvEENSB_8equal_toIvEES6_EE10hipError_tPvRmT2_T3_T4_T5_mT6_T7_P12ihipStream_tbENKUlT_T0_E_clISt17integral_constantIbLb0EES13_EEDaSY_SZ_EUlSY_E_NS1_11comp_targetILNS1_3genE5ELNS1_11target_archE942ELNS1_3gpuE9ELNS1_3repE0EEENS1_30default_config_static_selectorELNS0_4arch9wavefront6targetE0EEEvT1_,@function
_ZN7rocprim17ROCPRIM_400000_NS6detail17trampoline_kernelINS0_14default_configENS1_27scan_by_key_config_selectorIj11FixedVectorIiLj4EEEEZZNS1_16scan_by_key_implILNS1_25lookback_scan_determinismE0ELb1ES3_N6thrust23THRUST_200600_302600_NS6detail15normal_iteratorINSB_10device_ptrIjEEEENSD_INSE_IS6_EEEESI_S6_NSB_4plusIvEENSB_8equal_toIvEES6_EE10hipError_tPvRmT2_T3_T4_T5_mT6_T7_P12ihipStream_tbENKUlT_T0_E_clISt17integral_constantIbLb0EES13_EEDaSY_SZ_EUlSY_E_NS1_11comp_targetILNS1_3genE5ELNS1_11target_archE942ELNS1_3gpuE9ELNS1_3repE0EEENS1_30default_config_static_selectorELNS0_4arch9wavefront6targetE0EEEvT1_: ; @_ZN7rocprim17ROCPRIM_400000_NS6detail17trampoline_kernelINS0_14default_configENS1_27scan_by_key_config_selectorIj11FixedVectorIiLj4EEEEZZNS1_16scan_by_key_implILNS1_25lookback_scan_determinismE0ELb1ES3_N6thrust23THRUST_200600_302600_NS6detail15normal_iteratorINSB_10device_ptrIjEEEENSD_INSE_IS6_EEEESI_S6_NSB_4plusIvEENSB_8equal_toIvEES6_EE10hipError_tPvRmT2_T3_T4_T5_mT6_T7_P12ihipStream_tbENKUlT_T0_E_clISt17integral_constantIbLb0EES13_EEDaSY_SZ_EUlSY_E_NS1_11comp_targetILNS1_3genE5ELNS1_11target_archE942ELNS1_3gpuE9ELNS1_3repE0EEENS1_30default_config_static_selectorELNS0_4arch9wavefront6targetE0EEEvT1_
; %bb.0:
	.section	.rodata,"a",@progbits
	.p2align	6, 0x0
	.amdhsa_kernel _ZN7rocprim17ROCPRIM_400000_NS6detail17trampoline_kernelINS0_14default_configENS1_27scan_by_key_config_selectorIj11FixedVectorIiLj4EEEEZZNS1_16scan_by_key_implILNS1_25lookback_scan_determinismE0ELb1ES3_N6thrust23THRUST_200600_302600_NS6detail15normal_iteratorINSB_10device_ptrIjEEEENSD_INSE_IS6_EEEESI_S6_NSB_4plusIvEENSB_8equal_toIvEES6_EE10hipError_tPvRmT2_T3_T4_T5_mT6_T7_P12ihipStream_tbENKUlT_T0_E_clISt17integral_constantIbLb0EES13_EEDaSY_SZ_EUlSY_E_NS1_11comp_targetILNS1_3genE5ELNS1_11target_archE942ELNS1_3gpuE9ELNS1_3repE0EEENS1_30default_config_static_selectorELNS0_4arch9wavefront6targetE0EEEvT1_
		.amdhsa_group_segment_fixed_size 0
		.amdhsa_private_segment_fixed_size 0
		.amdhsa_kernarg_size 144
		.amdhsa_user_sgpr_count 2
		.amdhsa_user_sgpr_dispatch_ptr 0
		.amdhsa_user_sgpr_queue_ptr 0
		.amdhsa_user_sgpr_kernarg_segment_ptr 1
		.amdhsa_user_sgpr_dispatch_id 0
		.amdhsa_user_sgpr_kernarg_preload_length 0
		.amdhsa_user_sgpr_kernarg_preload_offset 0
		.amdhsa_user_sgpr_private_segment_size 0
		.amdhsa_wavefront_size32 1
		.amdhsa_uses_dynamic_stack 0
		.amdhsa_enable_private_segment 0
		.amdhsa_system_sgpr_workgroup_id_x 1
		.amdhsa_system_sgpr_workgroup_id_y 0
		.amdhsa_system_sgpr_workgroup_id_z 0
		.amdhsa_system_sgpr_workgroup_info 0
		.amdhsa_system_vgpr_workitem_id 0
		.amdhsa_next_free_vgpr 1
		.amdhsa_next_free_sgpr 1
		.amdhsa_named_barrier_count 0
		.amdhsa_reserve_vcc 0
		.amdhsa_float_round_mode_32 0
		.amdhsa_float_round_mode_16_64 0
		.amdhsa_float_denorm_mode_32 3
		.amdhsa_float_denorm_mode_16_64 3
		.amdhsa_fp16_overflow 0
		.amdhsa_memory_ordered 1
		.amdhsa_forward_progress 1
		.amdhsa_inst_pref_size 0
		.amdhsa_round_robin_scheduling 0
		.amdhsa_exception_fp_ieee_invalid_op 0
		.amdhsa_exception_fp_denorm_src 0
		.amdhsa_exception_fp_ieee_div_zero 0
		.amdhsa_exception_fp_ieee_overflow 0
		.amdhsa_exception_fp_ieee_underflow 0
		.amdhsa_exception_fp_ieee_inexact 0
		.amdhsa_exception_int_div_zero 0
	.end_amdhsa_kernel
	.section	.text._ZN7rocprim17ROCPRIM_400000_NS6detail17trampoline_kernelINS0_14default_configENS1_27scan_by_key_config_selectorIj11FixedVectorIiLj4EEEEZZNS1_16scan_by_key_implILNS1_25lookback_scan_determinismE0ELb1ES3_N6thrust23THRUST_200600_302600_NS6detail15normal_iteratorINSB_10device_ptrIjEEEENSD_INSE_IS6_EEEESI_S6_NSB_4plusIvEENSB_8equal_toIvEES6_EE10hipError_tPvRmT2_T3_T4_T5_mT6_T7_P12ihipStream_tbENKUlT_T0_E_clISt17integral_constantIbLb0EES13_EEDaSY_SZ_EUlSY_E_NS1_11comp_targetILNS1_3genE5ELNS1_11target_archE942ELNS1_3gpuE9ELNS1_3repE0EEENS1_30default_config_static_selectorELNS0_4arch9wavefront6targetE0EEEvT1_,"axG",@progbits,_ZN7rocprim17ROCPRIM_400000_NS6detail17trampoline_kernelINS0_14default_configENS1_27scan_by_key_config_selectorIj11FixedVectorIiLj4EEEEZZNS1_16scan_by_key_implILNS1_25lookback_scan_determinismE0ELb1ES3_N6thrust23THRUST_200600_302600_NS6detail15normal_iteratorINSB_10device_ptrIjEEEENSD_INSE_IS6_EEEESI_S6_NSB_4plusIvEENSB_8equal_toIvEES6_EE10hipError_tPvRmT2_T3_T4_T5_mT6_T7_P12ihipStream_tbENKUlT_T0_E_clISt17integral_constantIbLb0EES13_EEDaSY_SZ_EUlSY_E_NS1_11comp_targetILNS1_3genE5ELNS1_11target_archE942ELNS1_3gpuE9ELNS1_3repE0EEENS1_30default_config_static_selectorELNS0_4arch9wavefront6targetE0EEEvT1_,comdat
.Lfunc_end2077:
	.size	_ZN7rocprim17ROCPRIM_400000_NS6detail17trampoline_kernelINS0_14default_configENS1_27scan_by_key_config_selectorIj11FixedVectorIiLj4EEEEZZNS1_16scan_by_key_implILNS1_25lookback_scan_determinismE0ELb1ES3_N6thrust23THRUST_200600_302600_NS6detail15normal_iteratorINSB_10device_ptrIjEEEENSD_INSE_IS6_EEEESI_S6_NSB_4plusIvEENSB_8equal_toIvEES6_EE10hipError_tPvRmT2_T3_T4_T5_mT6_T7_P12ihipStream_tbENKUlT_T0_E_clISt17integral_constantIbLb0EES13_EEDaSY_SZ_EUlSY_E_NS1_11comp_targetILNS1_3genE5ELNS1_11target_archE942ELNS1_3gpuE9ELNS1_3repE0EEENS1_30default_config_static_selectorELNS0_4arch9wavefront6targetE0EEEvT1_, .Lfunc_end2077-_ZN7rocprim17ROCPRIM_400000_NS6detail17trampoline_kernelINS0_14default_configENS1_27scan_by_key_config_selectorIj11FixedVectorIiLj4EEEEZZNS1_16scan_by_key_implILNS1_25lookback_scan_determinismE0ELb1ES3_N6thrust23THRUST_200600_302600_NS6detail15normal_iteratorINSB_10device_ptrIjEEEENSD_INSE_IS6_EEEESI_S6_NSB_4plusIvEENSB_8equal_toIvEES6_EE10hipError_tPvRmT2_T3_T4_T5_mT6_T7_P12ihipStream_tbENKUlT_T0_E_clISt17integral_constantIbLb0EES13_EEDaSY_SZ_EUlSY_E_NS1_11comp_targetILNS1_3genE5ELNS1_11target_archE942ELNS1_3gpuE9ELNS1_3repE0EEENS1_30default_config_static_selectorELNS0_4arch9wavefront6targetE0EEEvT1_
                                        ; -- End function
	.set _ZN7rocprim17ROCPRIM_400000_NS6detail17trampoline_kernelINS0_14default_configENS1_27scan_by_key_config_selectorIj11FixedVectorIiLj4EEEEZZNS1_16scan_by_key_implILNS1_25lookback_scan_determinismE0ELb1ES3_N6thrust23THRUST_200600_302600_NS6detail15normal_iteratorINSB_10device_ptrIjEEEENSD_INSE_IS6_EEEESI_S6_NSB_4plusIvEENSB_8equal_toIvEES6_EE10hipError_tPvRmT2_T3_T4_T5_mT6_T7_P12ihipStream_tbENKUlT_T0_E_clISt17integral_constantIbLb0EES13_EEDaSY_SZ_EUlSY_E_NS1_11comp_targetILNS1_3genE5ELNS1_11target_archE942ELNS1_3gpuE9ELNS1_3repE0EEENS1_30default_config_static_selectorELNS0_4arch9wavefront6targetE0EEEvT1_.num_vgpr, 0
	.set _ZN7rocprim17ROCPRIM_400000_NS6detail17trampoline_kernelINS0_14default_configENS1_27scan_by_key_config_selectorIj11FixedVectorIiLj4EEEEZZNS1_16scan_by_key_implILNS1_25lookback_scan_determinismE0ELb1ES3_N6thrust23THRUST_200600_302600_NS6detail15normal_iteratorINSB_10device_ptrIjEEEENSD_INSE_IS6_EEEESI_S6_NSB_4plusIvEENSB_8equal_toIvEES6_EE10hipError_tPvRmT2_T3_T4_T5_mT6_T7_P12ihipStream_tbENKUlT_T0_E_clISt17integral_constantIbLb0EES13_EEDaSY_SZ_EUlSY_E_NS1_11comp_targetILNS1_3genE5ELNS1_11target_archE942ELNS1_3gpuE9ELNS1_3repE0EEENS1_30default_config_static_selectorELNS0_4arch9wavefront6targetE0EEEvT1_.num_agpr, 0
	.set _ZN7rocprim17ROCPRIM_400000_NS6detail17trampoline_kernelINS0_14default_configENS1_27scan_by_key_config_selectorIj11FixedVectorIiLj4EEEEZZNS1_16scan_by_key_implILNS1_25lookback_scan_determinismE0ELb1ES3_N6thrust23THRUST_200600_302600_NS6detail15normal_iteratorINSB_10device_ptrIjEEEENSD_INSE_IS6_EEEESI_S6_NSB_4plusIvEENSB_8equal_toIvEES6_EE10hipError_tPvRmT2_T3_T4_T5_mT6_T7_P12ihipStream_tbENKUlT_T0_E_clISt17integral_constantIbLb0EES13_EEDaSY_SZ_EUlSY_E_NS1_11comp_targetILNS1_3genE5ELNS1_11target_archE942ELNS1_3gpuE9ELNS1_3repE0EEENS1_30default_config_static_selectorELNS0_4arch9wavefront6targetE0EEEvT1_.numbered_sgpr, 0
	.set _ZN7rocprim17ROCPRIM_400000_NS6detail17trampoline_kernelINS0_14default_configENS1_27scan_by_key_config_selectorIj11FixedVectorIiLj4EEEEZZNS1_16scan_by_key_implILNS1_25lookback_scan_determinismE0ELb1ES3_N6thrust23THRUST_200600_302600_NS6detail15normal_iteratorINSB_10device_ptrIjEEEENSD_INSE_IS6_EEEESI_S6_NSB_4plusIvEENSB_8equal_toIvEES6_EE10hipError_tPvRmT2_T3_T4_T5_mT6_T7_P12ihipStream_tbENKUlT_T0_E_clISt17integral_constantIbLb0EES13_EEDaSY_SZ_EUlSY_E_NS1_11comp_targetILNS1_3genE5ELNS1_11target_archE942ELNS1_3gpuE9ELNS1_3repE0EEENS1_30default_config_static_selectorELNS0_4arch9wavefront6targetE0EEEvT1_.num_named_barrier, 0
	.set _ZN7rocprim17ROCPRIM_400000_NS6detail17trampoline_kernelINS0_14default_configENS1_27scan_by_key_config_selectorIj11FixedVectorIiLj4EEEEZZNS1_16scan_by_key_implILNS1_25lookback_scan_determinismE0ELb1ES3_N6thrust23THRUST_200600_302600_NS6detail15normal_iteratorINSB_10device_ptrIjEEEENSD_INSE_IS6_EEEESI_S6_NSB_4plusIvEENSB_8equal_toIvEES6_EE10hipError_tPvRmT2_T3_T4_T5_mT6_T7_P12ihipStream_tbENKUlT_T0_E_clISt17integral_constantIbLb0EES13_EEDaSY_SZ_EUlSY_E_NS1_11comp_targetILNS1_3genE5ELNS1_11target_archE942ELNS1_3gpuE9ELNS1_3repE0EEENS1_30default_config_static_selectorELNS0_4arch9wavefront6targetE0EEEvT1_.private_seg_size, 0
	.set _ZN7rocprim17ROCPRIM_400000_NS6detail17trampoline_kernelINS0_14default_configENS1_27scan_by_key_config_selectorIj11FixedVectorIiLj4EEEEZZNS1_16scan_by_key_implILNS1_25lookback_scan_determinismE0ELb1ES3_N6thrust23THRUST_200600_302600_NS6detail15normal_iteratorINSB_10device_ptrIjEEEENSD_INSE_IS6_EEEESI_S6_NSB_4plusIvEENSB_8equal_toIvEES6_EE10hipError_tPvRmT2_T3_T4_T5_mT6_T7_P12ihipStream_tbENKUlT_T0_E_clISt17integral_constantIbLb0EES13_EEDaSY_SZ_EUlSY_E_NS1_11comp_targetILNS1_3genE5ELNS1_11target_archE942ELNS1_3gpuE9ELNS1_3repE0EEENS1_30default_config_static_selectorELNS0_4arch9wavefront6targetE0EEEvT1_.uses_vcc, 0
	.set _ZN7rocprim17ROCPRIM_400000_NS6detail17trampoline_kernelINS0_14default_configENS1_27scan_by_key_config_selectorIj11FixedVectorIiLj4EEEEZZNS1_16scan_by_key_implILNS1_25lookback_scan_determinismE0ELb1ES3_N6thrust23THRUST_200600_302600_NS6detail15normal_iteratorINSB_10device_ptrIjEEEENSD_INSE_IS6_EEEESI_S6_NSB_4plusIvEENSB_8equal_toIvEES6_EE10hipError_tPvRmT2_T3_T4_T5_mT6_T7_P12ihipStream_tbENKUlT_T0_E_clISt17integral_constantIbLb0EES13_EEDaSY_SZ_EUlSY_E_NS1_11comp_targetILNS1_3genE5ELNS1_11target_archE942ELNS1_3gpuE9ELNS1_3repE0EEENS1_30default_config_static_selectorELNS0_4arch9wavefront6targetE0EEEvT1_.uses_flat_scratch, 0
	.set _ZN7rocprim17ROCPRIM_400000_NS6detail17trampoline_kernelINS0_14default_configENS1_27scan_by_key_config_selectorIj11FixedVectorIiLj4EEEEZZNS1_16scan_by_key_implILNS1_25lookback_scan_determinismE0ELb1ES3_N6thrust23THRUST_200600_302600_NS6detail15normal_iteratorINSB_10device_ptrIjEEEENSD_INSE_IS6_EEEESI_S6_NSB_4plusIvEENSB_8equal_toIvEES6_EE10hipError_tPvRmT2_T3_T4_T5_mT6_T7_P12ihipStream_tbENKUlT_T0_E_clISt17integral_constantIbLb0EES13_EEDaSY_SZ_EUlSY_E_NS1_11comp_targetILNS1_3genE5ELNS1_11target_archE942ELNS1_3gpuE9ELNS1_3repE0EEENS1_30default_config_static_selectorELNS0_4arch9wavefront6targetE0EEEvT1_.has_dyn_sized_stack, 0
	.set _ZN7rocprim17ROCPRIM_400000_NS6detail17trampoline_kernelINS0_14default_configENS1_27scan_by_key_config_selectorIj11FixedVectorIiLj4EEEEZZNS1_16scan_by_key_implILNS1_25lookback_scan_determinismE0ELb1ES3_N6thrust23THRUST_200600_302600_NS6detail15normal_iteratorINSB_10device_ptrIjEEEENSD_INSE_IS6_EEEESI_S6_NSB_4plusIvEENSB_8equal_toIvEES6_EE10hipError_tPvRmT2_T3_T4_T5_mT6_T7_P12ihipStream_tbENKUlT_T0_E_clISt17integral_constantIbLb0EES13_EEDaSY_SZ_EUlSY_E_NS1_11comp_targetILNS1_3genE5ELNS1_11target_archE942ELNS1_3gpuE9ELNS1_3repE0EEENS1_30default_config_static_selectorELNS0_4arch9wavefront6targetE0EEEvT1_.has_recursion, 0
	.set _ZN7rocprim17ROCPRIM_400000_NS6detail17trampoline_kernelINS0_14default_configENS1_27scan_by_key_config_selectorIj11FixedVectorIiLj4EEEEZZNS1_16scan_by_key_implILNS1_25lookback_scan_determinismE0ELb1ES3_N6thrust23THRUST_200600_302600_NS6detail15normal_iteratorINSB_10device_ptrIjEEEENSD_INSE_IS6_EEEESI_S6_NSB_4plusIvEENSB_8equal_toIvEES6_EE10hipError_tPvRmT2_T3_T4_T5_mT6_T7_P12ihipStream_tbENKUlT_T0_E_clISt17integral_constantIbLb0EES13_EEDaSY_SZ_EUlSY_E_NS1_11comp_targetILNS1_3genE5ELNS1_11target_archE942ELNS1_3gpuE9ELNS1_3repE0EEENS1_30default_config_static_selectorELNS0_4arch9wavefront6targetE0EEEvT1_.has_indirect_call, 0
	.section	.AMDGPU.csdata,"",@progbits
; Kernel info:
; codeLenInByte = 0
; TotalNumSgprs: 0
; NumVgprs: 0
; ScratchSize: 0
; MemoryBound: 0
; FloatMode: 240
; IeeeMode: 1
; LDSByteSize: 0 bytes/workgroup (compile time only)
; SGPRBlocks: 0
; VGPRBlocks: 0
; NumSGPRsForWavesPerEU: 1
; NumVGPRsForWavesPerEU: 1
; NamedBarCnt: 0
; Occupancy: 16
; WaveLimiterHint : 0
; COMPUTE_PGM_RSRC2:SCRATCH_EN: 0
; COMPUTE_PGM_RSRC2:USER_SGPR: 2
; COMPUTE_PGM_RSRC2:TRAP_HANDLER: 0
; COMPUTE_PGM_RSRC2:TGID_X_EN: 1
; COMPUTE_PGM_RSRC2:TGID_Y_EN: 0
; COMPUTE_PGM_RSRC2:TGID_Z_EN: 0
; COMPUTE_PGM_RSRC2:TIDIG_COMP_CNT: 0
	.section	.text._ZN7rocprim17ROCPRIM_400000_NS6detail17trampoline_kernelINS0_14default_configENS1_27scan_by_key_config_selectorIj11FixedVectorIiLj4EEEEZZNS1_16scan_by_key_implILNS1_25lookback_scan_determinismE0ELb1ES3_N6thrust23THRUST_200600_302600_NS6detail15normal_iteratorINSB_10device_ptrIjEEEENSD_INSE_IS6_EEEESI_S6_NSB_4plusIvEENSB_8equal_toIvEES6_EE10hipError_tPvRmT2_T3_T4_T5_mT6_T7_P12ihipStream_tbENKUlT_T0_E_clISt17integral_constantIbLb0EES13_EEDaSY_SZ_EUlSY_E_NS1_11comp_targetILNS1_3genE4ELNS1_11target_archE910ELNS1_3gpuE8ELNS1_3repE0EEENS1_30default_config_static_selectorELNS0_4arch9wavefront6targetE0EEEvT1_,"axG",@progbits,_ZN7rocprim17ROCPRIM_400000_NS6detail17trampoline_kernelINS0_14default_configENS1_27scan_by_key_config_selectorIj11FixedVectorIiLj4EEEEZZNS1_16scan_by_key_implILNS1_25lookback_scan_determinismE0ELb1ES3_N6thrust23THRUST_200600_302600_NS6detail15normal_iteratorINSB_10device_ptrIjEEEENSD_INSE_IS6_EEEESI_S6_NSB_4plusIvEENSB_8equal_toIvEES6_EE10hipError_tPvRmT2_T3_T4_T5_mT6_T7_P12ihipStream_tbENKUlT_T0_E_clISt17integral_constantIbLb0EES13_EEDaSY_SZ_EUlSY_E_NS1_11comp_targetILNS1_3genE4ELNS1_11target_archE910ELNS1_3gpuE8ELNS1_3repE0EEENS1_30default_config_static_selectorELNS0_4arch9wavefront6targetE0EEEvT1_,comdat
	.protected	_ZN7rocprim17ROCPRIM_400000_NS6detail17trampoline_kernelINS0_14default_configENS1_27scan_by_key_config_selectorIj11FixedVectorIiLj4EEEEZZNS1_16scan_by_key_implILNS1_25lookback_scan_determinismE0ELb1ES3_N6thrust23THRUST_200600_302600_NS6detail15normal_iteratorINSB_10device_ptrIjEEEENSD_INSE_IS6_EEEESI_S6_NSB_4plusIvEENSB_8equal_toIvEES6_EE10hipError_tPvRmT2_T3_T4_T5_mT6_T7_P12ihipStream_tbENKUlT_T0_E_clISt17integral_constantIbLb0EES13_EEDaSY_SZ_EUlSY_E_NS1_11comp_targetILNS1_3genE4ELNS1_11target_archE910ELNS1_3gpuE8ELNS1_3repE0EEENS1_30default_config_static_selectorELNS0_4arch9wavefront6targetE0EEEvT1_ ; -- Begin function _ZN7rocprim17ROCPRIM_400000_NS6detail17trampoline_kernelINS0_14default_configENS1_27scan_by_key_config_selectorIj11FixedVectorIiLj4EEEEZZNS1_16scan_by_key_implILNS1_25lookback_scan_determinismE0ELb1ES3_N6thrust23THRUST_200600_302600_NS6detail15normal_iteratorINSB_10device_ptrIjEEEENSD_INSE_IS6_EEEESI_S6_NSB_4plusIvEENSB_8equal_toIvEES6_EE10hipError_tPvRmT2_T3_T4_T5_mT6_T7_P12ihipStream_tbENKUlT_T0_E_clISt17integral_constantIbLb0EES13_EEDaSY_SZ_EUlSY_E_NS1_11comp_targetILNS1_3genE4ELNS1_11target_archE910ELNS1_3gpuE8ELNS1_3repE0EEENS1_30default_config_static_selectorELNS0_4arch9wavefront6targetE0EEEvT1_
	.globl	_ZN7rocprim17ROCPRIM_400000_NS6detail17trampoline_kernelINS0_14default_configENS1_27scan_by_key_config_selectorIj11FixedVectorIiLj4EEEEZZNS1_16scan_by_key_implILNS1_25lookback_scan_determinismE0ELb1ES3_N6thrust23THRUST_200600_302600_NS6detail15normal_iteratorINSB_10device_ptrIjEEEENSD_INSE_IS6_EEEESI_S6_NSB_4plusIvEENSB_8equal_toIvEES6_EE10hipError_tPvRmT2_T3_T4_T5_mT6_T7_P12ihipStream_tbENKUlT_T0_E_clISt17integral_constantIbLb0EES13_EEDaSY_SZ_EUlSY_E_NS1_11comp_targetILNS1_3genE4ELNS1_11target_archE910ELNS1_3gpuE8ELNS1_3repE0EEENS1_30default_config_static_selectorELNS0_4arch9wavefront6targetE0EEEvT1_
	.p2align	8
	.type	_ZN7rocprim17ROCPRIM_400000_NS6detail17trampoline_kernelINS0_14default_configENS1_27scan_by_key_config_selectorIj11FixedVectorIiLj4EEEEZZNS1_16scan_by_key_implILNS1_25lookback_scan_determinismE0ELb1ES3_N6thrust23THRUST_200600_302600_NS6detail15normal_iteratorINSB_10device_ptrIjEEEENSD_INSE_IS6_EEEESI_S6_NSB_4plusIvEENSB_8equal_toIvEES6_EE10hipError_tPvRmT2_T3_T4_T5_mT6_T7_P12ihipStream_tbENKUlT_T0_E_clISt17integral_constantIbLb0EES13_EEDaSY_SZ_EUlSY_E_NS1_11comp_targetILNS1_3genE4ELNS1_11target_archE910ELNS1_3gpuE8ELNS1_3repE0EEENS1_30default_config_static_selectorELNS0_4arch9wavefront6targetE0EEEvT1_,@function
_ZN7rocprim17ROCPRIM_400000_NS6detail17trampoline_kernelINS0_14default_configENS1_27scan_by_key_config_selectorIj11FixedVectorIiLj4EEEEZZNS1_16scan_by_key_implILNS1_25lookback_scan_determinismE0ELb1ES3_N6thrust23THRUST_200600_302600_NS6detail15normal_iteratorINSB_10device_ptrIjEEEENSD_INSE_IS6_EEEESI_S6_NSB_4plusIvEENSB_8equal_toIvEES6_EE10hipError_tPvRmT2_T3_T4_T5_mT6_T7_P12ihipStream_tbENKUlT_T0_E_clISt17integral_constantIbLb0EES13_EEDaSY_SZ_EUlSY_E_NS1_11comp_targetILNS1_3genE4ELNS1_11target_archE910ELNS1_3gpuE8ELNS1_3repE0EEENS1_30default_config_static_selectorELNS0_4arch9wavefront6targetE0EEEvT1_: ; @_ZN7rocprim17ROCPRIM_400000_NS6detail17trampoline_kernelINS0_14default_configENS1_27scan_by_key_config_selectorIj11FixedVectorIiLj4EEEEZZNS1_16scan_by_key_implILNS1_25lookback_scan_determinismE0ELb1ES3_N6thrust23THRUST_200600_302600_NS6detail15normal_iteratorINSB_10device_ptrIjEEEENSD_INSE_IS6_EEEESI_S6_NSB_4plusIvEENSB_8equal_toIvEES6_EE10hipError_tPvRmT2_T3_T4_T5_mT6_T7_P12ihipStream_tbENKUlT_T0_E_clISt17integral_constantIbLb0EES13_EEDaSY_SZ_EUlSY_E_NS1_11comp_targetILNS1_3genE4ELNS1_11target_archE910ELNS1_3gpuE8ELNS1_3repE0EEENS1_30default_config_static_selectorELNS0_4arch9wavefront6targetE0EEEvT1_
; %bb.0:
	.section	.rodata,"a",@progbits
	.p2align	6, 0x0
	.amdhsa_kernel _ZN7rocprim17ROCPRIM_400000_NS6detail17trampoline_kernelINS0_14default_configENS1_27scan_by_key_config_selectorIj11FixedVectorIiLj4EEEEZZNS1_16scan_by_key_implILNS1_25lookback_scan_determinismE0ELb1ES3_N6thrust23THRUST_200600_302600_NS6detail15normal_iteratorINSB_10device_ptrIjEEEENSD_INSE_IS6_EEEESI_S6_NSB_4plusIvEENSB_8equal_toIvEES6_EE10hipError_tPvRmT2_T3_T4_T5_mT6_T7_P12ihipStream_tbENKUlT_T0_E_clISt17integral_constantIbLb0EES13_EEDaSY_SZ_EUlSY_E_NS1_11comp_targetILNS1_3genE4ELNS1_11target_archE910ELNS1_3gpuE8ELNS1_3repE0EEENS1_30default_config_static_selectorELNS0_4arch9wavefront6targetE0EEEvT1_
		.amdhsa_group_segment_fixed_size 0
		.amdhsa_private_segment_fixed_size 0
		.amdhsa_kernarg_size 144
		.amdhsa_user_sgpr_count 2
		.amdhsa_user_sgpr_dispatch_ptr 0
		.amdhsa_user_sgpr_queue_ptr 0
		.amdhsa_user_sgpr_kernarg_segment_ptr 1
		.amdhsa_user_sgpr_dispatch_id 0
		.amdhsa_user_sgpr_kernarg_preload_length 0
		.amdhsa_user_sgpr_kernarg_preload_offset 0
		.amdhsa_user_sgpr_private_segment_size 0
		.amdhsa_wavefront_size32 1
		.amdhsa_uses_dynamic_stack 0
		.amdhsa_enable_private_segment 0
		.amdhsa_system_sgpr_workgroup_id_x 1
		.amdhsa_system_sgpr_workgroup_id_y 0
		.amdhsa_system_sgpr_workgroup_id_z 0
		.amdhsa_system_sgpr_workgroup_info 0
		.amdhsa_system_vgpr_workitem_id 0
		.amdhsa_next_free_vgpr 1
		.amdhsa_next_free_sgpr 1
		.amdhsa_named_barrier_count 0
		.amdhsa_reserve_vcc 0
		.amdhsa_float_round_mode_32 0
		.amdhsa_float_round_mode_16_64 0
		.amdhsa_float_denorm_mode_32 3
		.amdhsa_float_denorm_mode_16_64 3
		.amdhsa_fp16_overflow 0
		.amdhsa_memory_ordered 1
		.amdhsa_forward_progress 1
		.amdhsa_inst_pref_size 0
		.amdhsa_round_robin_scheduling 0
		.amdhsa_exception_fp_ieee_invalid_op 0
		.amdhsa_exception_fp_denorm_src 0
		.amdhsa_exception_fp_ieee_div_zero 0
		.amdhsa_exception_fp_ieee_overflow 0
		.amdhsa_exception_fp_ieee_underflow 0
		.amdhsa_exception_fp_ieee_inexact 0
		.amdhsa_exception_int_div_zero 0
	.end_amdhsa_kernel
	.section	.text._ZN7rocprim17ROCPRIM_400000_NS6detail17trampoline_kernelINS0_14default_configENS1_27scan_by_key_config_selectorIj11FixedVectorIiLj4EEEEZZNS1_16scan_by_key_implILNS1_25lookback_scan_determinismE0ELb1ES3_N6thrust23THRUST_200600_302600_NS6detail15normal_iteratorINSB_10device_ptrIjEEEENSD_INSE_IS6_EEEESI_S6_NSB_4plusIvEENSB_8equal_toIvEES6_EE10hipError_tPvRmT2_T3_T4_T5_mT6_T7_P12ihipStream_tbENKUlT_T0_E_clISt17integral_constantIbLb0EES13_EEDaSY_SZ_EUlSY_E_NS1_11comp_targetILNS1_3genE4ELNS1_11target_archE910ELNS1_3gpuE8ELNS1_3repE0EEENS1_30default_config_static_selectorELNS0_4arch9wavefront6targetE0EEEvT1_,"axG",@progbits,_ZN7rocprim17ROCPRIM_400000_NS6detail17trampoline_kernelINS0_14default_configENS1_27scan_by_key_config_selectorIj11FixedVectorIiLj4EEEEZZNS1_16scan_by_key_implILNS1_25lookback_scan_determinismE0ELb1ES3_N6thrust23THRUST_200600_302600_NS6detail15normal_iteratorINSB_10device_ptrIjEEEENSD_INSE_IS6_EEEESI_S6_NSB_4plusIvEENSB_8equal_toIvEES6_EE10hipError_tPvRmT2_T3_T4_T5_mT6_T7_P12ihipStream_tbENKUlT_T0_E_clISt17integral_constantIbLb0EES13_EEDaSY_SZ_EUlSY_E_NS1_11comp_targetILNS1_3genE4ELNS1_11target_archE910ELNS1_3gpuE8ELNS1_3repE0EEENS1_30default_config_static_selectorELNS0_4arch9wavefront6targetE0EEEvT1_,comdat
.Lfunc_end2078:
	.size	_ZN7rocprim17ROCPRIM_400000_NS6detail17trampoline_kernelINS0_14default_configENS1_27scan_by_key_config_selectorIj11FixedVectorIiLj4EEEEZZNS1_16scan_by_key_implILNS1_25lookback_scan_determinismE0ELb1ES3_N6thrust23THRUST_200600_302600_NS6detail15normal_iteratorINSB_10device_ptrIjEEEENSD_INSE_IS6_EEEESI_S6_NSB_4plusIvEENSB_8equal_toIvEES6_EE10hipError_tPvRmT2_T3_T4_T5_mT6_T7_P12ihipStream_tbENKUlT_T0_E_clISt17integral_constantIbLb0EES13_EEDaSY_SZ_EUlSY_E_NS1_11comp_targetILNS1_3genE4ELNS1_11target_archE910ELNS1_3gpuE8ELNS1_3repE0EEENS1_30default_config_static_selectorELNS0_4arch9wavefront6targetE0EEEvT1_, .Lfunc_end2078-_ZN7rocprim17ROCPRIM_400000_NS6detail17trampoline_kernelINS0_14default_configENS1_27scan_by_key_config_selectorIj11FixedVectorIiLj4EEEEZZNS1_16scan_by_key_implILNS1_25lookback_scan_determinismE0ELb1ES3_N6thrust23THRUST_200600_302600_NS6detail15normal_iteratorINSB_10device_ptrIjEEEENSD_INSE_IS6_EEEESI_S6_NSB_4plusIvEENSB_8equal_toIvEES6_EE10hipError_tPvRmT2_T3_T4_T5_mT6_T7_P12ihipStream_tbENKUlT_T0_E_clISt17integral_constantIbLb0EES13_EEDaSY_SZ_EUlSY_E_NS1_11comp_targetILNS1_3genE4ELNS1_11target_archE910ELNS1_3gpuE8ELNS1_3repE0EEENS1_30default_config_static_selectorELNS0_4arch9wavefront6targetE0EEEvT1_
                                        ; -- End function
	.set _ZN7rocprim17ROCPRIM_400000_NS6detail17trampoline_kernelINS0_14default_configENS1_27scan_by_key_config_selectorIj11FixedVectorIiLj4EEEEZZNS1_16scan_by_key_implILNS1_25lookback_scan_determinismE0ELb1ES3_N6thrust23THRUST_200600_302600_NS6detail15normal_iteratorINSB_10device_ptrIjEEEENSD_INSE_IS6_EEEESI_S6_NSB_4plusIvEENSB_8equal_toIvEES6_EE10hipError_tPvRmT2_T3_T4_T5_mT6_T7_P12ihipStream_tbENKUlT_T0_E_clISt17integral_constantIbLb0EES13_EEDaSY_SZ_EUlSY_E_NS1_11comp_targetILNS1_3genE4ELNS1_11target_archE910ELNS1_3gpuE8ELNS1_3repE0EEENS1_30default_config_static_selectorELNS0_4arch9wavefront6targetE0EEEvT1_.num_vgpr, 0
	.set _ZN7rocprim17ROCPRIM_400000_NS6detail17trampoline_kernelINS0_14default_configENS1_27scan_by_key_config_selectorIj11FixedVectorIiLj4EEEEZZNS1_16scan_by_key_implILNS1_25lookback_scan_determinismE0ELb1ES3_N6thrust23THRUST_200600_302600_NS6detail15normal_iteratorINSB_10device_ptrIjEEEENSD_INSE_IS6_EEEESI_S6_NSB_4plusIvEENSB_8equal_toIvEES6_EE10hipError_tPvRmT2_T3_T4_T5_mT6_T7_P12ihipStream_tbENKUlT_T0_E_clISt17integral_constantIbLb0EES13_EEDaSY_SZ_EUlSY_E_NS1_11comp_targetILNS1_3genE4ELNS1_11target_archE910ELNS1_3gpuE8ELNS1_3repE0EEENS1_30default_config_static_selectorELNS0_4arch9wavefront6targetE0EEEvT1_.num_agpr, 0
	.set _ZN7rocprim17ROCPRIM_400000_NS6detail17trampoline_kernelINS0_14default_configENS1_27scan_by_key_config_selectorIj11FixedVectorIiLj4EEEEZZNS1_16scan_by_key_implILNS1_25lookback_scan_determinismE0ELb1ES3_N6thrust23THRUST_200600_302600_NS6detail15normal_iteratorINSB_10device_ptrIjEEEENSD_INSE_IS6_EEEESI_S6_NSB_4plusIvEENSB_8equal_toIvEES6_EE10hipError_tPvRmT2_T3_T4_T5_mT6_T7_P12ihipStream_tbENKUlT_T0_E_clISt17integral_constantIbLb0EES13_EEDaSY_SZ_EUlSY_E_NS1_11comp_targetILNS1_3genE4ELNS1_11target_archE910ELNS1_3gpuE8ELNS1_3repE0EEENS1_30default_config_static_selectorELNS0_4arch9wavefront6targetE0EEEvT1_.numbered_sgpr, 0
	.set _ZN7rocprim17ROCPRIM_400000_NS6detail17trampoline_kernelINS0_14default_configENS1_27scan_by_key_config_selectorIj11FixedVectorIiLj4EEEEZZNS1_16scan_by_key_implILNS1_25lookback_scan_determinismE0ELb1ES3_N6thrust23THRUST_200600_302600_NS6detail15normal_iteratorINSB_10device_ptrIjEEEENSD_INSE_IS6_EEEESI_S6_NSB_4plusIvEENSB_8equal_toIvEES6_EE10hipError_tPvRmT2_T3_T4_T5_mT6_T7_P12ihipStream_tbENKUlT_T0_E_clISt17integral_constantIbLb0EES13_EEDaSY_SZ_EUlSY_E_NS1_11comp_targetILNS1_3genE4ELNS1_11target_archE910ELNS1_3gpuE8ELNS1_3repE0EEENS1_30default_config_static_selectorELNS0_4arch9wavefront6targetE0EEEvT1_.num_named_barrier, 0
	.set _ZN7rocprim17ROCPRIM_400000_NS6detail17trampoline_kernelINS0_14default_configENS1_27scan_by_key_config_selectorIj11FixedVectorIiLj4EEEEZZNS1_16scan_by_key_implILNS1_25lookback_scan_determinismE0ELb1ES3_N6thrust23THRUST_200600_302600_NS6detail15normal_iteratorINSB_10device_ptrIjEEEENSD_INSE_IS6_EEEESI_S6_NSB_4plusIvEENSB_8equal_toIvEES6_EE10hipError_tPvRmT2_T3_T4_T5_mT6_T7_P12ihipStream_tbENKUlT_T0_E_clISt17integral_constantIbLb0EES13_EEDaSY_SZ_EUlSY_E_NS1_11comp_targetILNS1_3genE4ELNS1_11target_archE910ELNS1_3gpuE8ELNS1_3repE0EEENS1_30default_config_static_selectorELNS0_4arch9wavefront6targetE0EEEvT1_.private_seg_size, 0
	.set _ZN7rocprim17ROCPRIM_400000_NS6detail17trampoline_kernelINS0_14default_configENS1_27scan_by_key_config_selectorIj11FixedVectorIiLj4EEEEZZNS1_16scan_by_key_implILNS1_25lookback_scan_determinismE0ELb1ES3_N6thrust23THRUST_200600_302600_NS6detail15normal_iteratorINSB_10device_ptrIjEEEENSD_INSE_IS6_EEEESI_S6_NSB_4plusIvEENSB_8equal_toIvEES6_EE10hipError_tPvRmT2_T3_T4_T5_mT6_T7_P12ihipStream_tbENKUlT_T0_E_clISt17integral_constantIbLb0EES13_EEDaSY_SZ_EUlSY_E_NS1_11comp_targetILNS1_3genE4ELNS1_11target_archE910ELNS1_3gpuE8ELNS1_3repE0EEENS1_30default_config_static_selectorELNS0_4arch9wavefront6targetE0EEEvT1_.uses_vcc, 0
	.set _ZN7rocprim17ROCPRIM_400000_NS6detail17trampoline_kernelINS0_14default_configENS1_27scan_by_key_config_selectorIj11FixedVectorIiLj4EEEEZZNS1_16scan_by_key_implILNS1_25lookback_scan_determinismE0ELb1ES3_N6thrust23THRUST_200600_302600_NS6detail15normal_iteratorINSB_10device_ptrIjEEEENSD_INSE_IS6_EEEESI_S6_NSB_4plusIvEENSB_8equal_toIvEES6_EE10hipError_tPvRmT2_T3_T4_T5_mT6_T7_P12ihipStream_tbENKUlT_T0_E_clISt17integral_constantIbLb0EES13_EEDaSY_SZ_EUlSY_E_NS1_11comp_targetILNS1_3genE4ELNS1_11target_archE910ELNS1_3gpuE8ELNS1_3repE0EEENS1_30default_config_static_selectorELNS0_4arch9wavefront6targetE0EEEvT1_.uses_flat_scratch, 0
	.set _ZN7rocprim17ROCPRIM_400000_NS6detail17trampoline_kernelINS0_14default_configENS1_27scan_by_key_config_selectorIj11FixedVectorIiLj4EEEEZZNS1_16scan_by_key_implILNS1_25lookback_scan_determinismE0ELb1ES3_N6thrust23THRUST_200600_302600_NS6detail15normal_iteratorINSB_10device_ptrIjEEEENSD_INSE_IS6_EEEESI_S6_NSB_4plusIvEENSB_8equal_toIvEES6_EE10hipError_tPvRmT2_T3_T4_T5_mT6_T7_P12ihipStream_tbENKUlT_T0_E_clISt17integral_constantIbLb0EES13_EEDaSY_SZ_EUlSY_E_NS1_11comp_targetILNS1_3genE4ELNS1_11target_archE910ELNS1_3gpuE8ELNS1_3repE0EEENS1_30default_config_static_selectorELNS0_4arch9wavefront6targetE0EEEvT1_.has_dyn_sized_stack, 0
	.set _ZN7rocprim17ROCPRIM_400000_NS6detail17trampoline_kernelINS0_14default_configENS1_27scan_by_key_config_selectorIj11FixedVectorIiLj4EEEEZZNS1_16scan_by_key_implILNS1_25lookback_scan_determinismE0ELb1ES3_N6thrust23THRUST_200600_302600_NS6detail15normal_iteratorINSB_10device_ptrIjEEEENSD_INSE_IS6_EEEESI_S6_NSB_4plusIvEENSB_8equal_toIvEES6_EE10hipError_tPvRmT2_T3_T4_T5_mT6_T7_P12ihipStream_tbENKUlT_T0_E_clISt17integral_constantIbLb0EES13_EEDaSY_SZ_EUlSY_E_NS1_11comp_targetILNS1_3genE4ELNS1_11target_archE910ELNS1_3gpuE8ELNS1_3repE0EEENS1_30default_config_static_selectorELNS0_4arch9wavefront6targetE0EEEvT1_.has_recursion, 0
	.set _ZN7rocprim17ROCPRIM_400000_NS6detail17trampoline_kernelINS0_14default_configENS1_27scan_by_key_config_selectorIj11FixedVectorIiLj4EEEEZZNS1_16scan_by_key_implILNS1_25lookback_scan_determinismE0ELb1ES3_N6thrust23THRUST_200600_302600_NS6detail15normal_iteratorINSB_10device_ptrIjEEEENSD_INSE_IS6_EEEESI_S6_NSB_4plusIvEENSB_8equal_toIvEES6_EE10hipError_tPvRmT2_T3_T4_T5_mT6_T7_P12ihipStream_tbENKUlT_T0_E_clISt17integral_constantIbLb0EES13_EEDaSY_SZ_EUlSY_E_NS1_11comp_targetILNS1_3genE4ELNS1_11target_archE910ELNS1_3gpuE8ELNS1_3repE0EEENS1_30default_config_static_selectorELNS0_4arch9wavefront6targetE0EEEvT1_.has_indirect_call, 0
	.section	.AMDGPU.csdata,"",@progbits
; Kernel info:
; codeLenInByte = 0
; TotalNumSgprs: 0
; NumVgprs: 0
; ScratchSize: 0
; MemoryBound: 0
; FloatMode: 240
; IeeeMode: 1
; LDSByteSize: 0 bytes/workgroup (compile time only)
; SGPRBlocks: 0
; VGPRBlocks: 0
; NumSGPRsForWavesPerEU: 1
; NumVGPRsForWavesPerEU: 1
; NamedBarCnt: 0
; Occupancy: 16
; WaveLimiterHint : 0
; COMPUTE_PGM_RSRC2:SCRATCH_EN: 0
; COMPUTE_PGM_RSRC2:USER_SGPR: 2
; COMPUTE_PGM_RSRC2:TRAP_HANDLER: 0
; COMPUTE_PGM_RSRC2:TGID_X_EN: 1
; COMPUTE_PGM_RSRC2:TGID_Y_EN: 0
; COMPUTE_PGM_RSRC2:TGID_Z_EN: 0
; COMPUTE_PGM_RSRC2:TIDIG_COMP_CNT: 0
	.section	.text._ZN7rocprim17ROCPRIM_400000_NS6detail17trampoline_kernelINS0_14default_configENS1_27scan_by_key_config_selectorIj11FixedVectorIiLj4EEEEZZNS1_16scan_by_key_implILNS1_25lookback_scan_determinismE0ELb1ES3_N6thrust23THRUST_200600_302600_NS6detail15normal_iteratorINSB_10device_ptrIjEEEENSD_INSE_IS6_EEEESI_S6_NSB_4plusIvEENSB_8equal_toIvEES6_EE10hipError_tPvRmT2_T3_T4_T5_mT6_T7_P12ihipStream_tbENKUlT_T0_E_clISt17integral_constantIbLb0EES13_EEDaSY_SZ_EUlSY_E_NS1_11comp_targetILNS1_3genE3ELNS1_11target_archE908ELNS1_3gpuE7ELNS1_3repE0EEENS1_30default_config_static_selectorELNS0_4arch9wavefront6targetE0EEEvT1_,"axG",@progbits,_ZN7rocprim17ROCPRIM_400000_NS6detail17trampoline_kernelINS0_14default_configENS1_27scan_by_key_config_selectorIj11FixedVectorIiLj4EEEEZZNS1_16scan_by_key_implILNS1_25lookback_scan_determinismE0ELb1ES3_N6thrust23THRUST_200600_302600_NS6detail15normal_iteratorINSB_10device_ptrIjEEEENSD_INSE_IS6_EEEESI_S6_NSB_4plusIvEENSB_8equal_toIvEES6_EE10hipError_tPvRmT2_T3_T4_T5_mT6_T7_P12ihipStream_tbENKUlT_T0_E_clISt17integral_constantIbLb0EES13_EEDaSY_SZ_EUlSY_E_NS1_11comp_targetILNS1_3genE3ELNS1_11target_archE908ELNS1_3gpuE7ELNS1_3repE0EEENS1_30default_config_static_selectorELNS0_4arch9wavefront6targetE0EEEvT1_,comdat
	.protected	_ZN7rocprim17ROCPRIM_400000_NS6detail17trampoline_kernelINS0_14default_configENS1_27scan_by_key_config_selectorIj11FixedVectorIiLj4EEEEZZNS1_16scan_by_key_implILNS1_25lookback_scan_determinismE0ELb1ES3_N6thrust23THRUST_200600_302600_NS6detail15normal_iteratorINSB_10device_ptrIjEEEENSD_INSE_IS6_EEEESI_S6_NSB_4plusIvEENSB_8equal_toIvEES6_EE10hipError_tPvRmT2_T3_T4_T5_mT6_T7_P12ihipStream_tbENKUlT_T0_E_clISt17integral_constantIbLb0EES13_EEDaSY_SZ_EUlSY_E_NS1_11comp_targetILNS1_3genE3ELNS1_11target_archE908ELNS1_3gpuE7ELNS1_3repE0EEENS1_30default_config_static_selectorELNS0_4arch9wavefront6targetE0EEEvT1_ ; -- Begin function _ZN7rocprim17ROCPRIM_400000_NS6detail17trampoline_kernelINS0_14default_configENS1_27scan_by_key_config_selectorIj11FixedVectorIiLj4EEEEZZNS1_16scan_by_key_implILNS1_25lookback_scan_determinismE0ELb1ES3_N6thrust23THRUST_200600_302600_NS6detail15normal_iteratorINSB_10device_ptrIjEEEENSD_INSE_IS6_EEEESI_S6_NSB_4plusIvEENSB_8equal_toIvEES6_EE10hipError_tPvRmT2_T3_T4_T5_mT6_T7_P12ihipStream_tbENKUlT_T0_E_clISt17integral_constantIbLb0EES13_EEDaSY_SZ_EUlSY_E_NS1_11comp_targetILNS1_3genE3ELNS1_11target_archE908ELNS1_3gpuE7ELNS1_3repE0EEENS1_30default_config_static_selectorELNS0_4arch9wavefront6targetE0EEEvT1_
	.globl	_ZN7rocprim17ROCPRIM_400000_NS6detail17trampoline_kernelINS0_14default_configENS1_27scan_by_key_config_selectorIj11FixedVectorIiLj4EEEEZZNS1_16scan_by_key_implILNS1_25lookback_scan_determinismE0ELb1ES3_N6thrust23THRUST_200600_302600_NS6detail15normal_iteratorINSB_10device_ptrIjEEEENSD_INSE_IS6_EEEESI_S6_NSB_4plusIvEENSB_8equal_toIvEES6_EE10hipError_tPvRmT2_T3_T4_T5_mT6_T7_P12ihipStream_tbENKUlT_T0_E_clISt17integral_constantIbLb0EES13_EEDaSY_SZ_EUlSY_E_NS1_11comp_targetILNS1_3genE3ELNS1_11target_archE908ELNS1_3gpuE7ELNS1_3repE0EEENS1_30default_config_static_selectorELNS0_4arch9wavefront6targetE0EEEvT1_
	.p2align	8
	.type	_ZN7rocprim17ROCPRIM_400000_NS6detail17trampoline_kernelINS0_14default_configENS1_27scan_by_key_config_selectorIj11FixedVectorIiLj4EEEEZZNS1_16scan_by_key_implILNS1_25lookback_scan_determinismE0ELb1ES3_N6thrust23THRUST_200600_302600_NS6detail15normal_iteratorINSB_10device_ptrIjEEEENSD_INSE_IS6_EEEESI_S6_NSB_4plusIvEENSB_8equal_toIvEES6_EE10hipError_tPvRmT2_T3_T4_T5_mT6_T7_P12ihipStream_tbENKUlT_T0_E_clISt17integral_constantIbLb0EES13_EEDaSY_SZ_EUlSY_E_NS1_11comp_targetILNS1_3genE3ELNS1_11target_archE908ELNS1_3gpuE7ELNS1_3repE0EEENS1_30default_config_static_selectorELNS0_4arch9wavefront6targetE0EEEvT1_,@function
_ZN7rocprim17ROCPRIM_400000_NS6detail17trampoline_kernelINS0_14default_configENS1_27scan_by_key_config_selectorIj11FixedVectorIiLj4EEEEZZNS1_16scan_by_key_implILNS1_25lookback_scan_determinismE0ELb1ES3_N6thrust23THRUST_200600_302600_NS6detail15normal_iteratorINSB_10device_ptrIjEEEENSD_INSE_IS6_EEEESI_S6_NSB_4plusIvEENSB_8equal_toIvEES6_EE10hipError_tPvRmT2_T3_T4_T5_mT6_T7_P12ihipStream_tbENKUlT_T0_E_clISt17integral_constantIbLb0EES13_EEDaSY_SZ_EUlSY_E_NS1_11comp_targetILNS1_3genE3ELNS1_11target_archE908ELNS1_3gpuE7ELNS1_3repE0EEENS1_30default_config_static_selectorELNS0_4arch9wavefront6targetE0EEEvT1_: ; @_ZN7rocprim17ROCPRIM_400000_NS6detail17trampoline_kernelINS0_14default_configENS1_27scan_by_key_config_selectorIj11FixedVectorIiLj4EEEEZZNS1_16scan_by_key_implILNS1_25lookback_scan_determinismE0ELb1ES3_N6thrust23THRUST_200600_302600_NS6detail15normal_iteratorINSB_10device_ptrIjEEEENSD_INSE_IS6_EEEESI_S6_NSB_4plusIvEENSB_8equal_toIvEES6_EE10hipError_tPvRmT2_T3_T4_T5_mT6_T7_P12ihipStream_tbENKUlT_T0_E_clISt17integral_constantIbLb0EES13_EEDaSY_SZ_EUlSY_E_NS1_11comp_targetILNS1_3genE3ELNS1_11target_archE908ELNS1_3gpuE7ELNS1_3repE0EEENS1_30default_config_static_selectorELNS0_4arch9wavefront6targetE0EEEvT1_
; %bb.0:
	.section	.rodata,"a",@progbits
	.p2align	6, 0x0
	.amdhsa_kernel _ZN7rocprim17ROCPRIM_400000_NS6detail17trampoline_kernelINS0_14default_configENS1_27scan_by_key_config_selectorIj11FixedVectorIiLj4EEEEZZNS1_16scan_by_key_implILNS1_25lookback_scan_determinismE0ELb1ES3_N6thrust23THRUST_200600_302600_NS6detail15normal_iteratorINSB_10device_ptrIjEEEENSD_INSE_IS6_EEEESI_S6_NSB_4plusIvEENSB_8equal_toIvEES6_EE10hipError_tPvRmT2_T3_T4_T5_mT6_T7_P12ihipStream_tbENKUlT_T0_E_clISt17integral_constantIbLb0EES13_EEDaSY_SZ_EUlSY_E_NS1_11comp_targetILNS1_3genE3ELNS1_11target_archE908ELNS1_3gpuE7ELNS1_3repE0EEENS1_30default_config_static_selectorELNS0_4arch9wavefront6targetE0EEEvT1_
		.amdhsa_group_segment_fixed_size 0
		.amdhsa_private_segment_fixed_size 0
		.amdhsa_kernarg_size 144
		.amdhsa_user_sgpr_count 2
		.amdhsa_user_sgpr_dispatch_ptr 0
		.amdhsa_user_sgpr_queue_ptr 0
		.amdhsa_user_sgpr_kernarg_segment_ptr 1
		.amdhsa_user_sgpr_dispatch_id 0
		.amdhsa_user_sgpr_kernarg_preload_length 0
		.amdhsa_user_sgpr_kernarg_preload_offset 0
		.amdhsa_user_sgpr_private_segment_size 0
		.amdhsa_wavefront_size32 1
		.amdhsa_uses_dynamic_stack 0
		.amdhsa_enable_private_segment 0
		.amdhsa_system_sgpr_workgroup_id_x 1
		.amdhsa_system_sgpr_workgroup_id_y 0
		.amdhsa_system_sgpr_workgroup_id_z 0
		.amdhsa_system_sgpr_workgroup_info 0
		.amdhsa_system_vgpr_workitem_id 0
		.amdhsa_next_free_vgpr 1
		.amdhsa_next_free_sgpr 1
		.amdhsa_named_barrier_count 0
		.amdhsa_reserve_vcc 0
		.amdhsa_float_round_mode_32 0
		.amdhsa_float_round_mode_16_64 0
		.amdhsa_float_denorm_mode_32 3
		.amdhsa_float_denorm_mode_16_64 3
		.amdhsa_fp16_overflow 0
		.amdhsa_memory_ordered 1
		.amdhsa_forward_progress 1
		.amdhsa_inst_pref_size 0
		.amdhsa_round_robin_scheduling 0
		.amdhsa_exception_fp_ieee_invalid_op 0
		.amdhsa_exception_fp_denorm_src 0
		.amdhsa_exception_fp_ieee_div_zero 0
		.amdhsa_exception_fp_ieee_overflow 0
		.amdhsa_exception_fp_ieee_underflow 0
		.amdhsa_exception_fp_ieee_inexact 0
		.amdhsa_exception_int_div_zero 0
	.end_amdhsa_kernel
	.section	.text._ZN7rocprim17ROCPRIM_400000_NS6detail17trampoline_kernelINS0_14default_configENS1_27scan_by_key_config_selectorIj11FixedVectorIiLj4EEEEZZNS1_16scan_by_key_implILNS1_25lookback_scan_determinismE0ELb1ES3_N6thrust23THRUST_200600_302600_NS6detail15normal_iteratorINSB_10device_ptrIjEEEENSD_INSE_IS6_EEEESI_S6_NSB_4plusIvEENSB_8equal_toIvEES6_EE10hipError_tPvRmT2_T3_T4_T5_mT6_T7_P12ihipStream_tbENKUlT_T0_E_clISt17integral_constantIbLb0EES13_EEDaSY_SZ_EUlSY_E_NS1_11comp_targetILNS1_3genE3ELNS1_11target_archE908ELNS1_3gpuE7ELNS1_3repE0EEENS1_30default_config_static_selectorELNS0_4arch9wavefront6targetE0EEEvT1_,"axG",@progbits,_ZN7rocprim17ROCPRIM_400000_NS6detail17trampoline_kernelINS0_14default_configENS1_27scan_by_key_config_selectorIj11FixedVectorIiLj4EEEEZZNS1_16scan_by_key_implILNS1_25lookback_scan_determinismE0ELb1ES3_N6thrust23THRUST_200600_302600_NS6detail15normal_iteratorINSB_10device_ptrIjEEEENSD_INSE_IS6_EEEESI_S6_NSB_4plusIvEENSB_8equal_toIvEES6_EE10hipError_tPvRmT2_T3_T4_T5_mT6_T7_P12ihipStream_tbENKUlT_T0_E_clISt17integral_constantIbLb0EES13_EEDaSY_SZ_EUlSY_E_NS1_11comp_targetILNS1_3genE3ELNS1_11target_archE908ELNS1_3gpuE7ELNS1_3repE0EEENS1_30default_config_static_selectorELNS0_4arch9wavefront6targetE0EEEvT1_,comdat
.Lfunc_end2079:
	.size	_ZN7rocprim17ROCPRIM_400000_NS6detail17trampoline_kernelINS0_14default_configENS1_27scan_by_key_config_selectorIj11FixedVectorIiLj4EEEEZZNS1_16scan_by_key_implILNS1_25lookback_scan_determinismE0ELb1ES3_N6thrust23THRUST_200600_302600_NS6detail15normal_iteratorINSB_10device_ptrIjEEEENSD_INSE_IS6_EEEESI_S6_NSB_4plusIvEENSB_8equal_toIvEES6_EE10hipError_tPvRmT2_T3_T4_T5_mT6_T7_P12ihipStream_tbENKUlT_T0_E_clISt17integral_constantIbLb0EES13_EEDaSY_SZ_EUlSY_E_NS1_11comp_targetILNS1_3genE3ELNS1_11target_archE908ELNS1_3gpuE7ELNS1_3repE0EEENS1_30default_config_static_selectorELNS0_4arch9wavefront6targetE0EEEvT1_, .Lfunc_end2079-_ZN7rocprim17ROCPRIM_400000_NS6detail17trampoline_kernelINS0_14default_configENS1_27scan_by_key_config_selectorIj11FixedVectorIiLj4EEEEZZNS1_16scan_by_key_implILNS1_25lookback_scan_determinismE0ELb1ES3_N6thrust23THRUST_200600_302600_NS6detail15normal_iteratorINSB_10device_ptrIjEEEENSD_INSE_IS6_EEEESI_S6_NSB_4plusIvEENSB_8equal_toIvEES6_EE10hipError_tPvRmT2_T3_T4_T5_mT6_T7_P12ihipStream_tbENKUlT_T0_E_clISt17integral_constantIbLb0EES13_EEDaSY_SZ_EUlSY_E_NS1_11comp_targetILNS1_3genE3ELNS1_11target_archE908ELNS1_3gpuE7ELNS1_3repE0EEENS1_30default_config_static_selectorELNS0_4arch9wavefront6targetE0EEEvT1_
                                        ; -- End function
	.set _ZN7rocprim17ROCPRIM_400000_NS6detail17trampoline_kernelINS0_14default_configENS1_27scan_by_key_config_selectorIj11FixedVectorIiLj4EEEEZZNS1_16scan_by_key_implILNS1_25lookback_scan_determinismE0ELb1ES3_N6thrust23THRUST_200600_302600_NS6detail15normal_iteratorINSB_10device_ptrIjEEEENSD_INSE_IS6_EEEESI_S6_NSB_4plusIvEENSB_8equal_toIvEES6_EE10hipError_tPvRmT2_T3_T4_T5_mT6_T7_P12ihipStream_tbENKUlT_T0_E_clISt17integral_constantIbLb0EES13_EEDaSY_SZ_EUlSY_E_NS1_11comp_targetILNS1_3genE3ELNS1_11target_archE908ELNS1_3gpuE7ELNS1_3repE0EEENS1_30default_config_static_selectorELNS0_4arch9wavefront6targetE0EEEvT1_.num_vgpr, 0
	.set _ZN7rocprim17ROCPRIM_400000_NS6detail17trampoline_kernelINS0_14default_configENS1_27scan_by_key_config_selectorIj11FixedVectorIiLj4EEEEZZNS1_16scan_by_key_implILNS1_25lookback_scan_determinismE0ELb1ES3_N6thrust23THRUST_200600_302600_NS6detail15normal_iteratorINSB_10device_ptrIjEEEENSD_INSE_IS6_EEEESI_S6_NSB_4plusIvEENSB_8equal_toIvEES6_EE10hipError_tPvRmT2_T3_T4_T5_mT6_T7_P12ihipStream_tbENKUlT_T0_E_clISt17integral_constantIbLb0EES13_EEDaSY_SZ_EUlSY_E_NS1_11comp_targetILNS1_3genE3ELNS1_11target_archE908ELNS1_3gpuE7ELNS1_3repE0EEENS1_30default_config_static_selectorELNS0_4arch9wavefront6targetE0EEEvT1_.num_agpr, 0
	.set _ZN7rocprim17ROCPRIM_400000_NS6detail17trampoline_kernelINS0_14default_configENS1_27scan_by_key_config_selectorIj11FixedVectorIiLj4EEEEZZNS1_16scan_by_key_implILNS1_25lookback_scan_determinismE0ELb1ES3_N6thrust23THRUST_200600_302600_NS6detail15normal_iteratorINSB_10device_ptrIjEEEENSD_INSE_IS6_EEEESI_S6_NSB_4plusIvEENSB_8equal_toIvEES6_EE10hipError_tPvRmT2_T3_T4_T5_mT6_T7_P12ihipStream_tbENKUlT_T0_E_clISt17integral_constantIbLb0EES13_EEDaSY_SZ_EUlSY_E_NS1_11comp_targetILNS1_3genE3ELNS1_11target_archE908ELNS1_3gpuE7ELNS1_3repE0EEENS1_30default_config_static_selectorELNS0_4arch9wavefront6targetE0EEEvT1_.numbered_sgpr, 0
	.set _ZN7rocprim17ROCPRIM_400000_NS6detail17trampoline_kernelINS0_14default_configENS1_27scan_by_key_config_selectorIj11FixedVectorIiLj4EEEEZZNS1_16scan_by_key_implILNS1_25lookback_scan_determinismE0ELb1ES3_N6thrust23THRUST_200600_302600_NS6detail15normal_iteratorINSB_10device_ptrIjEEEENSD_INSE_IS6_EEEESI_S6_NSB_4plusIvEENSB_8equal_toIvEES6_EE10hipError_tPvRmT2_T3_T4_T5_mT6_T7_P12ihipStream_tbENKUlT_T0_E_clISt17integral_constantIbLb0EES13_EEDaSY_SZ_EUlSY_E_NS1_11comp_targetILNS1_3genE3ELNS1_11target_archE908ELNS1_3gpuE7ELNS1_3repE0EEENS1_30default_config_static_selectorELNS0_4arch9wavefront6targetE0EEEvT1_.num_named_barrier, 0
	.set _ZN7rocprim17ROCPRIM_400000_NS6detail17trampoline_kernelINS0_14default_configENS1_27scan_by_key_config_selectorIj11FixedVectorIiLj4EEEEZZNS1_16scan_by_key_implILNS1_25lookback_scan_determinismE0ELb1ES3_N6thrust23THRUST_200600_302600_NS6detail15normal_iteratorINSB_10device_ptrIjEEEENSD_INSE_IS6_EEEESI_S6_NSB_4plusIvEENSB_8equal_toIvEES6_EE10hipError_tPvRmT2_T3_T4_T5_mT6_T7_P12ihipStream_tbENKUlT_T0_E_clISt17integral_constantIbLb0EES13_EEDaSY_SZ_EUlSY_E_NS1_11comp_targetILNS1_3genE3ELNS1_11target_archE908ELNS1_3gpuE7ELNS1_3repE0EEENS1_30default_config_static_selectorELNS0_4arch9wavefront6targetE0EEEvT1_.private_seg_size, 0
	.set _ZN7rocprim17ROCPRIM_400000_NS6detail17trampoline_kernelINS0_14default_configENS1_27scan_by_key_config_selectorIj11FixedVectorIiLj4EEEEZZNS1_16scan_by_key_implILNS1_25lookback_scan_determinismE0ELb1ES3_N6thrust23THRUST_200600_302600_NS6detail15normal_iteratorINSB_10device_ptrIjEEEENSD_INSE_IS6_EEEESI_S6_NSB_4plusIvEENSB_8equal_toIvEES6_EE10hipError_tPvRmT2_T3_T4_T5_mT6_T7_P12ihipStream_tbENKUlT_T0_E_clISt17integral_constantIbLb0EES13_EEDaSY_SZ_EUlSY_E_NS1_11comp_targetILNS1_3genE3ELNS1_11target_archE908ELNS1_3gpuE7ELNS1_3repE0EEENS1_30default_config_static_selectorELNS0_4arch9wavefront6targetE0EEEvT1_.uses_vcc, 0
	.set _ZN7rocprim17ROCPRIM_400000_NS6detail17trampoline_kernelINS0_14default_configENS1_27scan_by_key_config_selectorIj11FixedVectorIiLj4EEEEZZNS1_16scan_by_key_implILNS1_25lookback_scan_determinismE0ELb1ES3_N6thrust23THRUST_200600_302600_NS6detail15normal_iteratorINSB_10device_ptrIjEEEENSD_INSE_IS6_EEEESI_S6_NSB_4plusIvEENSB_8equal_toIvEES6_EE10hipError_tPvRmT2_T3_T4_T5_mT6_T7_P12ihipStream_tbENKUlT_T0_E_clISt17integral_constantIbLb0EES13_EEDaSY_SZ_EUlSY_E_NS1_11comp_targetILNS1_3genE3ELNS1_11target_archE908ELNS1_3gpuE7ELNS1_3repE0EEENS1_30default_config_static_selectorELNS0_4arch9wavefront6targetE0EEEvT1_.uses_flat_scratch, 0
	.set _ZN7rocprim17ROCPRIM_400000_NS6detail17trampoline_kernelINS0_14default_configENS1_27scan_by_key_config_selectorIj11FixedVectorIiLj4EEEEZZNS1_16scan_by_key_implILNS1_25lookback_scan_determinismE0ELb1ES3_N6thrust23THRUST_200600_302600_NS6detail15normal_iteratorINSB_10device_ptrIjEEEENSD_INSE_IS6_EEEESI_S6_NSB_4plusIvEENSB_8equal_toIvEES6_EE10hipError_tPvRmT2_T3_T4_T5_mT6_T7_P12ihipStream_tbENKUlT_T0_E_clISt17integral_constantIbLb0EES13_EEDaSY_SZ_EUlSY_E_NS1_11comp_targetILNS1_3genE3ELNS1_11target_archE908ELNS1_3gpuE7ELNS1_3repE0EEENS1_30default_config_static_selectorELNS0_4arch9wavefront6targetE0EEEvT1_.has_dyn_sized_stack, 0
	.set _ZN7rocprim17ROCPRIM_400000_NS6detail17trampoline_kernelINS0_14default_configENS1_27scan_by_key_config_selectorIj11FixedVectorIiLj4EEEEZZNS1_16scan_by_key_implILNS1_25lookback_scan_determinismE0ELb1ES3_N6thrust23THRUST_200600_302600_NS6detail15normal_iteratorINSB_10device_ptrIjEEEENSD_INSE_IS6_EEEESI_S6_NSB_4plusIvEENSB_8equal_toIvEES6_EE10hipError_tPvRmT2_T3_T4_T5_mT6_T7_P12ihipStream_tbENKUlT_T0_E_clISt17integral_constantIbLb0EES13_EEDaSY_SZ_EUlSY_E_NS1_11comp_targetILNS1_3genE3ELNS1_11target_archE908ELNS1_3gpuE7ELNS1_3repE0EEENS1_30default_config_static_selectorELNS0_4arch9wavefront6targetE0EEEvT1_.has_recursion, 0
	.set _ZN7rocprim17ROCPRIM_400000_NS6detail17trampoline_kernelINS0_14default_configENS1_27scan_by_key_config_selectorIj11FixedVectorIiLj4EEEEZZNS1_16scan_by_key_implILNS1_25lookback_scan_determinismE0ELb1ES3_N6thrust23THRUST_200600_302600_NS6detail15normal_iteratorINSB_10device_ptrIjEEEENSD_INSE_IS6_EEEESI_S6_NSB_4plusIvEENSB_8equal_toIvEES6_EE10hipError_tPvRmT2_T3_T4_T5_mT6_T7_P12ihipStream_tbENKUlT_T0_E_clISt17integral_constantIbLb0EES13_EEDaSY_SZ_EUlSY_E_NS1_11comp_targetILNS1_3genE3ELNS1_11target_archE908ELNS1_3gpuE7ELNS1_3repE0EEENS1_30default_config_static_selectorELNS0_4arch9wavefront6targetE0EEEvT1_.has_indirect_call, 0
	.section	.AMDGPU.csdata,"",@progbits
; Kernel info:
; codeLenInByte = 0
; TotalNumSgprs: 0
; NumVgprs: 0
; ScratchSize: 0
; MemoryBound: 0
; FloatMode: 240
; IeeeMode: 1
; LDSByteSize: 0 bytes/workgroup (compile time only)
; SGPRBlocks: 0
; VGPRBlocks: 0
; NumSGPRsForWavesPerEU: 1
; NumVGPRsForWavesPerEU: 1
; NamedBarCnt: 0
; Occupancy: 16
; WaveLimiterHint : 0
; COMPUTE_PGM_RSRC2:SCRATCH_EN: 0
; COMPUTE_PGM_RSRC2:USER_SGPR: 2
; COMPUTE_PGM_RSRC2:TRAP_HANDLER: 0
; COMPUTE_PGM_RSRC2:TGID_X_EN: 1
; COMPUTE_PGM_RSRC2:TGID_Y_EN: 0
; COMPUTE_PGM_RSRC2:TGID_Z_EN: 0
; COMPUTE_PGM_RSRC2:TIDIG_COMP_CNT: 0
	.section	.text._ZN7rocprim17ROCPRIM_400000_NS6detail17trampoline_kernelINS0_14default_configENS1_27scan_by_key_config_selectorIj11FixedVectorIiLj4EEEEZZNS1_16scan_by_key_implILNS1_25lookback_scan_determinismE0ELb1ES3_N6thrust23THRUST_200600_302600_NS6detail15normal_iteratorINSB_10device_ptrIjEEEENSD_INSE_IS6_EEEESI_S6_NSB_4plusIvEENSB_8equal_toIvEES6_EE10hipError_tPvRmT2_T3_T4_T5_mT6_T7_P12ihipStream_tbENKUlT_T0_E_clISt17integral_constantIbLb0EES13_EEDaSY_SZ_EUlSY_E_NS1_11comp_targetILNS1_3genE2ELNS1_11target_archE906ELNS1_3gpuE6ELNS1_3repE0EEENS1_30default_config_static_selectorELNS0_4arch9wavefront6targetE0EEEvT1_,"axG",@progbits,_ZN7rocprim17ROCPRIM_400000_NS6detail17trampoline_kernelINS0_14default_configENS1_27scan_by_key_config_selectorIj11FixedVectorIiLj4EEEEZZNS1_16scan_by_key_implILNS1_25lookback_scan_determinismE0ELb1ES3_N6thrust23THRUST_200600_302600_NS6detail15normal_iteratorINSB_10device_ptrIjEEEENSD_INSE_IS6_EEEESI_S6_NSB_4plusIvEENSB_8equal_toIvEES6_EE10hipError_tPvRmT2_T3_T4_T5_mT6_T7_P12ihipStream_tbENKUlT_T0_E_clISt17integral_constantIbLb0EES13_EEDaSY_SZ_EUlSY_E_NS1_11comp_targetILNS1_3genE2ELNS1_11target_archE906ELNS1_3gpuE6ELNS1_3repE0EEENS1_30default_config_static_selectorELNS0_4arch9wavefront6targetE0EEEvT1_,comdat
	.protected	_ZN7rocprim17ROCPRIM_400000_NS6detail17trampoline_kernelINS0_14default_configENS1_27scan_by_key_config_selectorIj11FixedVectorIiLj4EEEEZZNS1_16scan_by_key_implILNS1_25lookback_scan_determinismE0ELb1ES3_N6thrust23THRUST_200600_302600_NS6detail15normal_iteratorINSB_10device_ptrIjEEEENSD_INSE_IS6_EEEESI_S6_NSB_4plusIvEENSB_8equal_toIvEES6_EE10hipError_tPvRmT2_T3_T4_T5_mT6_T7_P12ihipStream_tbENKUlT_T0_E_clISt17integral_constantIbLb0EES13_EEDaSY_SZ_EUlSY_E_NS1_11comp_targetILNS1_3genE2ELNS1_11target_archE906ELNS1_3gpuE6ELNS1_3repE0EEENS1_30default_config_static_selectorELNS0_4arch9wavefront6targetE0EEEvT1_ ; -- Begin function _ZN7rocprim17ROCPRIM_400000_NS6detail17trampoline_kernelINS0_14default_configENS1_27scan_by_key_config_selectorIj11FixedVectorIiLj4EEEEZZNS1_16scan_by_key_implILNS1_25lookback_scan_determinismE0ELb1ES3_N6thrust23THRUST_200600_302600_NS6detail15normal_iteratorINSB_10device_ptrIjEEEENSD_INSE_IS6_EEEESI_S6_NSB_4plusIvEENSB_8equal_toIvEES6_EE10hipError_tPvRmT2_T3_T4_T5_mT6_T7_P12ihipStream_tbENKUlT_T0_E_clISt17integral_constantIbLb0EES13_EEDaSY_SZ_EUlSY_E_NS1_11comp_targetILNS1_3genE2ELNS1_11target_archE906ELNS1_3gpuE6ELNS1_3repE0EEENS1_30default_config_static_selectorELNS0_4arch9wavefront6targetE0EEEvT1_
	.globl	_ZN7rocprim17ROCPRIM_400000_NS6detail17trampoline_kernelINS0_14default_configENS1_27scan_by_key_config_selectorIj11FixedVectorIiLj4EEEEZZNS1_16scan_by_key_implILNS1_25lookback_scan_determinismE0ELb1ES3_N6thrust23THRUST_200600_302600_NS6detail15normal_iteratorINSB_10device_ptrIjEEEENSD_INSE_IS6_EEEESI_S6_NSB_4plusIvEENSB_8equal_toIvEES6_EE10hipError_tPvRmT2_T3_T4_T5_mT6_T7_P12ihipStream_tbENKUlT_T0_E_clISt17integral_constantIbLb0EES13_EEDaSY_SZ_EUlSY_E_NS1_11comp_targetILNS1_3genE2ELNS1_11target_archE906ELNS1_3gpuE6ELNS1_3repE0EEENS1_30default_config_static_selectorELNS0_4arch9wavefront6targetE0EEEvT1_
	.p2align	8
	.type	_ZN7rocprim17ROCPRIM_400000_NS6detail17trampoline_kernelINS0_14default_configENS1_27scan_by_key_config_selectorIj11FixedVectorIiLj4EEEEZZNS1_16scan_by_key_implILNS1_25lookback_scan_determinismE0ELb1ES3_N6thrust23THRUST_200600_302600_NS6detail15normal_iteratorINSB_10device_ptrIjEEEENSD_INSE_IS6_EEEESI_S6_NSB_4plusIvEENSB_8equal_toIvEES6_EE10hipError_tPvRmT2_T3_T4_T5_mT6_T7_P12ihipStream_tbENKUlT_T0_E_clISt17integral_constantIbLb0EES13_EEDaSY_SZ_EUlSY_E_NS1_11comp_targetILNS1_3genE2ELNS1_11target_archE906ELNS1_3gpuE6ELNS1_3repE0EEENS1_30default_config_static_selectorELNS0_4arch9wavefront6targetE0EEEvT1_,@function
_ZN7rocprim17ROCPRIM_400000_NS6detail17trampoline_kernelINS0_14default_configENS1_27scan_by_key_config_selectorIj11FixedVectorIiLj4EEEEZZNS1_16scan_by_key_implILNS1_25lookback_scan_determinismE0ELb1ES3_N6thrust23THRUST_200600_302600_NS6detail15normal_iteratorINSB_10device_ptrIjEEEENSD_INSE_IS6_EEEESI_S6_NSB_4plusIvEENSB_8equal_toIvEES6_EE10hipError_tPvRmT2_T3_T4_T5_mT6_T7_P12ihipStream_tbENKUlT_T0_E_clISt17integral_constantIbLb0EES13_EEDaSY_SZ_EUlSY_E_NS1_11comp_targetILNS1_3genE2ELNS1_11target_archE906ELNS1_3gpuE6ELNS1_3repE0EEENS1_30default_config_static_selectorELNS0_4arch9wavefront6targetE0EEEvT1_: ; @_ZN7rocprim17ROCPRIM_400000_NS6detail17trampoline_kernelINS0_14default_configENS1_27scan_by_key_config_selectorIj11FixedVectorIiLj4EEEEZZNS1_16scan_by_key_implILNS1_25lookback_scan_determinismE0ELb1ES3_N6thrust23THRUST_200600_302600_NS6detail15normal_iteratorINSB_10device_ptrIjEEEENSD_INSE_IS6_EEEESI_S6_NSB_4plusIvEENSB_8equal_toIvEES6_EE10hipError_tPvRmT2_T3_T4_T5_mT6_T7_P12ihipStream_tbENKUlT_T0_E_clISt17integral_constantIbLb0EES13_EEDaSY_SZ_EUlSY_E_NS1_11comp_targetILNS1_3genE2ELNS1_11target_archE906ELNS1_3gpuE6ELNS1_3repE0EEENS1_30default_config_static_selectorELNS0_4arch9wavefront6targetE0EEEvT1_
; %bb.0:
	.section	.rodata,"a",@progbits
	.p2align	6, 0x0
	.amdhsa_kernel _ZN7rocprim17ROCPRIM_400000_NS6detail17trampoline_kernelINS0_14default_configENS1_27scan_by_key_config_selectorIj11FixedVectorIiLj4EEEEZZNS1_16scan_by_key_implILNS1_25lookback_scan_determinismE0ELb1ES3_N6thrust23THRUST_200600_302600_NS6detail15normal_iteratorINSB_10device_ptrIjEEEENSD_INSE_IS6_EEEESI_S6_NSB_4plusIvEENSB_8equal_toIvEES6_EE10hipError_tPvRmT2_T3_T4_T5_mT6_T7_P12ihipStream_tbENKUlT_T0_E_clISt17integral_constantIbLb0EES13_EEDaSY_SZ_EUlSY_E_NS1_11comp_targetILNS1_3genE2ELNS1_11target_archE906ELNS1_3gpuE6ELNS1_3repE0EEENS1_30default_config_static_selectorELNS0_4arch9wavefront6targetE0EEEvT1_
		.amdhsa_group_segment_fixed_size 0
		.amdhsa_private_segment_fixed_size 0
		.amdhsa_kernarg_size 144
		.amdhsa_user_sgpr_count 2
		.amdhsa_user_sgpr_dispatch_ptr 0
		.amdhsa_user_sgpr_queue_ptr 0
		.amdhsa_user_sgpr_kernarg_segment_ptr 1
		.amdhsa_user_sgpr_dispatch_id 0
		.amdhsa_user_sgpr_kernarg_preload_length 0
		.amdhsa_user_sgpr_kernarg_preload_offset 0
		.amdhsa_user_sgpr_private_segment_size 0
		.amdhsa_wavefront_size32 1
		.amdhsa_uses_dynamic_stack 0
		.amdhsa_enable_private_segment 0
		.amdhsa_system_sgpr_workgroup_id_x 1
		.amdhsa_system_sgpr_workgroup_id_y 0
		.amdhsa_system_sgpr_workgroup_id_z 0
		.amdhsa_system_sgpr_workgroup_info 0
		.amdhsa_system_vgpr_workitem_id 0
		.amdhsa_next_free_vgpr 1
		.amdhsa_next_free_sgpr 1
		.amdhsa_named_barrier_count 0
		.amdhsa_reserve_vcc 0
		.amdhsa_float_round_mode_32 0
		.amdhsa_float_round_mode_16_64 0
		.amdhsa_float_denorm_mode_32 3
		.amdhsa_float_denorm_mode_16_64 3
		.amdhsa_fp16_overflow 0
		.amdhsa_memory_ordered 1
		.amdhsa_forward_progress 1
		.amdhsa_inst_pref_size 0
		.amdhsa_round_robin_scheduling 0
		.amdhsa_exception_fp_ieee_invalid_op 0
		.amdhsa_exception_fp_denorm_src 0
		.amdhsa_exception_fp_ieee_div_zero 0
		.amdhsa_exception_fp_ieee_overflow 0
		.amdhsa_exception_fp_ieee_underflow 0
		.amdhsa_exception_fp_ieee_inexact 0
		.amdhsa_exception_int_div_zero 0
	.end_amdhsa_kernel
	.section	.text._ZN7rocprim17ROCPRIM_400000_NS6detail17trampoline_kernelINS0_14default_configENS1_27scan_by_key_config_selectorIj11FixedVectorIiLj4EEEEZZNS1_16scan_by_key_implILNS1_25lookback_scan_determinismE0ELb1ES3_N6thrust23THRUST_200600_302600_NS6detail15normal_iteratorINSB_10device_ptrIjEEEENSD_INSE_IS6_EEEESI_S6_NSB_4plusIvEENSB_8equal_toIvEES6_EE10hipError_tPvRmT2_T3_T4_T5_mT6_T7_P12ihipStream_tbENKUlT_T0_E_clISt17integral_constantIbLb0EES13_EEDaSY_SZ_EUlSY_E_NS1_11comp_targetILNS1_3genE2ELNS1_11target_archE906ELNS1_3gpuE6ELNS1_3repE0EEENS1_30default_config_static_selectorELNS0_4arch9wavefront6targetE0EEEvT1_,"axG",@progbits,_ZN7rocprim17ROCPRIM_400000_NS6detail17trampoline_kernelINS0_14default_configENS1_27scan_by_key_config_selectorIj11FixedVectorIiLj4EEEEZZNS1_16scan_by_key_implILNS1_25lookback_scan_determinismE0ELb1ES3_N6thrust23THRUST_200600_302600_NS6detail15normal_iteratorINSB_10device_ptrIjEEEENSD_INSE_IS6_EEEESI_S6_NSB_4plusIvEENSB_8equal_toIvEES6_EE10hipError_tPvRmT2_T3_T4_T5_mT6_T7_P12ihipStream_tbENKUlT_T0_E_clISt17integral_constantIbLb0EES13_EEDaSY_SZ_EUlSY_E_NS1_11comp_targetILNS1_3genE2ELNS1_11target_archE906ELNS1_3gpuE6ELNS1_3repE0EEENS1_30default_config_static_selectorELNS0_4arch9wavefront6targetE0EEEvT1_,comdat
.Lfunc_end2080:
	.size	_ZN7rocprim17ROCPRIM_400000_NS6detail17trampoline_kernelINS0_14default_configENS1_27scan_by_key_config_selectorIj11FixedVectorIiLj4EEEEZZNS1_16scan_by_key_implILNS1_25lookback_scan_determinismE0ELb1ES3_N6thrust23THRUST_200600_302600_NS6detail15normal_iteratorINSB_10device_ptrIjEEEENSD_INSE_IS6_EEEESI_S6_NSB_4plusIvEENSB_8equal_toIvEES6_EE10hipError_tPvRmT2_T3_T4_T5_mT6_T7_P12ihipStream_tbENKUlT_T0_E_clISt17integral_constantIbLb0EES13_EEDaSY_SZ_EUlSY_E_NS1_11comp_targetILNS1_3genE2ELNS1_11target_archE906ELNS1_3gpuE6ELNS1_3repE0EEENS1_30default_config_static_selectorELNS0_4arch9wavefront6targetE0EEEvT1_, .Lfunc_end2080-_ZN7rocprim17ROCPRIM_400000_NS6detail17trampoline_kernelINS0_14default_configENS1_27scan_by_key_config_selectorIj11FixedVectorIiLj4EEEEZZNS1_16scan_by_key_implILNS1_25lookback_scan_determinismE0ELb1ES3_N6thrust23THRUST_200600_302600_NS6detail15normal_iteratorINSB_10device_ptrIjEEEENSD_INSE_IS6_EEEESI_S6_NSB_4plusIvEENSB_8equal_toIvEES6_EE10hipError_tPvRmT2_T3_T4_T5_mT6_T7_P12ihipStream_tbENKUlT_T0_E_clISt17integral_constantIbLb0EES13_EEDaSY_SZ_EUlSY_E_NS1_11comp_targetILNS1_3genE2ELNS1_11target_archE906ELNS1_3gpuE6ELNS1_3repE0EEENS1_30default_config_static_selectorELNS0_4arch9wavefront6targetE0EEEvT1_
                                        ; -- End function
	.set _ZN7rocprim17ROCPRIM_400000_NS6detail17trampoline_kernelINS0_14default_configENS1_27scan_by_key_config_selectorIj11FixedVectorIiLj4EEEEZZNS1_16scan_by_key_implILNS1_25lookback_scan_determinismE0ELb1ES3_N6thrust23THRUST_200600_302600_NS6detail15normal_iteratorINSB_10device_ptrIjEEEENSD_INSE_IS6_EEEESI_S6_NSB_4plusIvEENSB_8equal_toIvEES6_EE10hipError_tPvRmT2_T3_T4_T5_mT6_T7_P12ihipStream_tbENKUlT_T0_E_clISt17integral_constantIbLb0EES13_EEDaSY_SZ_EUlSY_E_NS1_11comp_targetILNS1_3genE2ELNS1_11target_archE906ELNS1_3gpuE6ELNS1_3repE0EEENS1_30default_config_static_selectorELNS0_4arch9wavefront6targetE0EEEvT1_.num_vgpr, 0
	.set _ZN7rocprim17ROCPRIM_400000_NS6detail17trampoline_kernelINS0_14default_configENS1_27scan_by_key_config_selectorIj11FixedVectorIiLj4EEEEZZNS1_16scan_by_key_implILNS1_25lookback_scan_determinismE0ELb1ES3_N6thrust23THRUST_200600_302600_NS6detail15normal_iteratorINSB_10device_ptrIjEEEENSD_INSE_IS6_EEEESI_S6_NSB_4plusIvEENSB_8equal_toIvEES6_EE10hipError_tPvRmT2_T3_T4_T5_mT6_T7_P12ihipStream_tbENKUlT_T0_E_clISt17integral_constantIbLb0EES13_EEDaSY_SZ_EUlSY_E_NS1_11comp_targetILNS1_3genE2ELNS1_11target_archE906ELNS1_3gpuE6ELNS1_3repE0EEENS1_30default_config_static_selectorELNS0_4arch9wavefront6targetE0EEEvT1_.num_agpr, 0
	.set _ZN7rocprim17ROCPRIM_400000_NS6detail17trampoline_kernelINS0_14default_configENS1_27scan_by_key_config_selectorIj11FixedVectorIiLj4EEEEZZNS1_16scan_by_key_implILNS1_25lookback_scan_determinismE0ELb1ES3_N6thrust23THRUST_200600_302600_NS6detail15normal_iteratorINSB_10device_ptrIjEEEENSD_INSE_IS6_EEEESI_S6_NSB_4plusIvEENSB_8equal_toIvEES6_EE10hipError_tPvRmT2_T3_T4_T5_mT6_T7_P12ihipStream_tbENKUlT_T0_E_clISt17integral_constantIbLb0EES13_EEDaSY_SZ_EUlSY_E_NS1_11comp_targetILNS1_3genE2ELNS1_11target_archE906ELNS1_3gpuE6ELNS1_3repE0EEENS1_30default_config_static_selectorELNS0_4arch9wavefront6targetE0EEEvT1_.numbered_sgpr, 0
	.set _ZN7rocprim17ROCPRIM_400000_NS6detail17trampoline_kernelINS0_14default_configENS1_27scan_by_key_config_selectorIj11FixedVectorIiLj4EEEEZZNS1_16scan_by_key_implILNS1_25lookback_scan_determinismE0ELb1ES3_N6thrust23THRUST_200600_302600_NS6detail15normal_iteratorINSB_10device_ptrIjEEEENSD_INSE_IS6_EEEESI_S6_NSB_4plusIvEENSB_8equal_toIvEES6_EE10hipError_tPvRmT2_T3_T4_T5_mT6_T7_P12ihipStream_tbENKUlT_T0_E_clISt17integral_constantIbLb0EES13_EEDaSY_SZ_EUlSY_E_NS1_11comp_targetILNS1_3genE2ELNS1_11target_archE906ELNS1_3gpuE6ELNS1_3repE0EEENS1_30default_config_static_selectorELNS0_4arch9wavefront6targetE0EEEvT1_.num_named_barrier, 0
	.set _ZN7rocprim17ROCPRIM_400000_NS6detail17trampoline_kernelINS0_14default_configENS1_27scan_by_key_config_selectorIj11FixedVectorIiLj4EEEEZZNS1_16scan_by_key_implILNS1_25lookback_scan_determinismE0ELb1ES3_N6thrust23THRUST_200600_302600_NS6detail15normal_iteratorINSB_10device_ptrIjEEEENSD_INSE_IS6_EEEESI_S6_NSB_4plusIvEENSB_8equal_toIvEES6_EE10hipError_tPvRmT2_T3_T4_T5_mT6_T7_P12ihipStream_tbENKUlT_T0_E_clISt17integral_constantIbLb0EES13_EEDaSY_SZ_EUlSY_E_NS1_11comp_targetILNS1_3genE2ELNS1_11target_archE906ELNS1_3gpuE6ELNS1_3repE0EEENS1_30default_config_static_selectorELNS0_4arch9wavefront6targetE0EEEvT1_.private_seg_size, 0
	.set _ZN7rocprim17ROCPRIM_400000_NS6detail17trampoline_kernelINS0_14default_configENS1_27scan_by_key_config_selectorIj11FixedVectorIiLj4EEEEZZNS1_16scan_by_key_implILNS1_25lookback_scan_determinismE0ELb1ES3_N6thrust23THRUST_200600_302600_NS6detail15normal_iteratorINSB_10device_ptrIjEEEENSD_INSE_IS6_EEEESI_S6_NSB_4plusIvEENSB_8equal_toIvEES6_EE10hipError_tPvRmT2_T3_T4_T5_mT6_T7_P12ihipStream_tbENKUlT_T0_E_clISt17integral_constantIbLb0EES13_EEDaSY_SZ_EUlSY_E_NS1_11comp_targetILNS1_3genE2ELNS1_11target_archE906ELNS1_3gpuE6ELNS1_3repE0EEENS1_30default_config_static_selectorELNS0_4arch9wavefront6targetE0EEEvT1_.uses_vcc, 0
	.set _ZN7rocprim17ROCPRIM_400000_NS6detail17trampoline_kernelINS0_14default_configENS1_27scan_by_key_config_selectorIj11FixedVectorIiLj4EEEEZZNS1_16scan_by_key_implILNS1_25lookback_scan_determinismE0ELb1ES3_N6thrust23THRUST_200600_302600_NS6detail15normal_iteratorINSB_10device_ptrIjEEEENSD_INSE_IS6_EEEESI_S6_NSB_4plusIvEENSB_8equal_toIvEES6_EE10hipError_tPvRmT2_T3_T4_T5_mT6_T7_P12ihipStream_tbENKUlT_T0_E_clISt17integral_constantIbLb0EES13_EEDaSY_SZ_EUlSY_E_NS1_11comp_targetILNS1_3genE2ELNS1_11target_archE906ELNS1_3gpuE6ELNS1_3repE0EEENS1_30default_config_static_selectorELNS0_4arch9wavefront6targetE0EEEvT1_.uses_flat_scratch, 0
	.set _ZN7rocprim17ROCPRIM_400000_NS6detail17trampoline_kernelINS0_14default_configENS1_27scan_by_key_config_selectorIj11FixedVectorIiLj4EEEEZZNS1_16scan_by_key_implILNS1_25lookback_scan_determinismE0ELb1ES3_N6thrust23THRUST_200600_302600_NS6detail15normal_iteratorINSB_10device_ptrIjEEEENSD_INSE_IS6_EEEESI_S6_NSB_4plusIvEENSB_8equal_toIvEES6_EE10hipError_tPvRmT2_T3_T4_T5_mT6_T7_P12ihipStream_tbENKUlT_T0_E_clISt17integral_constantIbLb0EES13_EEDaSY_SZ_EUlSY_E_NS1_11comp_targetILNS1_3genE2ELNS1_11target_archE906ELNS1_3gpuE6ELNS1_3repE0EEENS1_30default_config_static_selectorELNS0_4arch9wavefront6targetE0EEEvT1_.has_dyn_sized_stack, 0
	.set _ZN7rocprim17ROCPRIM_400000_NS6detail17trampoline_kernelINS0_14default_configENS1_27scan_by_key_config_selectorIj11FixedVectorIiLj4EEEEZZNS1_16scan_by_key_implILNS1_25lookback_scan_determinismE0ELb1ES3_N6thrust23THRUST_200600_302600_NS6detail15normal_iteratorINSB_10device_ptrIjEEEENSD_INSE_IS6_EEEESI_S6_NSB_4plusIvEENSB_8equal_toIvEES6_EE10hipError_tPvRmT2_T3_T4_T5_mT6_T7_P12ihipStream_tbENKUlT_T0_E_clISt17integral_constantIbLb0EES13_EEDaSY_SZ_EUlSY_E_NS1_11comp_targetILNS1_3genE2ELNS1_11target_archE906ELNS1_3gpuE6ELNS1_3repE0EEENS1_30default_config_static_selectorELNS0_4arch9wavefront6targetE0EEEvT1_.has_recursion, 0
	.set _ZN7rocprim17ROCPRIM_400000_NS6detail17trampoline_kernelINS0_14default_configENS1_27scan_by_key_config_selectorIj11FixedVectorIiLj4EEEEZZNS1_16scan_by_key_implILNS1_25lookback_scan_determinismE0ELb1ES3_N6thrust23THRUST_200600_302600_NS6detail15normal_iteratorINSB_10device_ptrIjEEEENSD_INSE_IS6_EEEESI_S6_NSB_4plusIvEENSB_8equal_toIvEES6_EE10hipError_tPvRmT2_T3_T4_T5_mT6_T7_P12ihipStream_tbENKUlT_T0_E_clISt17integral_constantIbLb0EES13_EEDaSY_SZ_EUlSY_E_NS1_11comp_targetILNS1_3genE2ELNS1_11target_archE906ELNS1_3gpuE6ELNS1_3repE0EEENS1_30default_config_static_selectorELNS0_4arch9wavefront6targetE0EEEvT1_.has_indirect_call, 0
	.section	.AMDGPU.csdata,"",@progbits
; Kernel info:
; codeLenInByte = 0
; TotalNumSgprs: 0
; NumVgprs: 0
; ScratchSize: 0
; MemoryBound: 0
; FloatMode: 240
; IeeeMode: 1
; LDSByteSize: 0 bytes/workgroup (compile time only)
; SGPRBlocks: 0
; VGPRBlocks: 0
; NumSGPRsForWavesPerEU: 1
; NumVGPRsForWavesPerEU: 1
; NamedBarCnt: 0
; Occupancy: 16
; WaveLimiterHint : 0
; COMPUTE_PGM_RSRC2:SCRATCH_EN: 0
; COMPUTE_PGM_RSRC2:USER_SGPR: 2
; COMPUTE_PGM_RSRC2:TRAP_HANDLER: 0
; COMPUTE_PGM_RSRC2:TGID_X_EN: 1
; COMPUTE_PGM_RSRC2:TGID_Y_EN: 0
; COMPUTE_PGM_RSRC2:TGID_Z_EN: 0
; COMPUTE_PGM_RSRC2:TIDIG_COMP_CNT: 0
	.section	.text._ZN7rocprim17ROCPRIM_400000_NS6detail17trampoline_kernelINS0_14default_configENS1_27scan_by_key_config_selectorIj11FixedVectorIiLj4EEEEZZNS1_16scan_by_key_implILNS1_25lookback_scan_determinismE0ELb1ES3_N6thrust23THRUST_200600_302600_NS6detail15normal_iteratorINSB_10device_ptrIjEEEENSD_INSE_IS6_EEEESI_S6_NSB_4plusIvEENSB_8equal_toIvEES6_EE10hipError_tPvRmT2_T3_T4_T5_mT6_T7_P12ihipStream_tbENKUlT_T0_E_clISt17integral_constantIbLb0EES13_EEDaSY_SZ_EUlSY_E_NS1_11comp_targetILNS1_3genE10ELNS1_11target_archE1200ELNS1_3gpuE4ELNS1_3repE0EEENS1_30default_config_static_selectorELNS0_4arch9wavefront6targetE0EEEvT1_,"axG",@progbits,_ZN7rocprim17ROCPRIM_400000_NS6detail17trampoline_kernelINS0_14default_configENS1_27scan_by_key_config_selectorIj11FixedVectorIiLj4EEEEZZNS1_16scan_by_key_implILNS1_25lookback_scan_determinismE0ELb1ES3_N6thrust23THRUST_200600_302600_NS6detail15normal_iteratorINSB_10device_ptrIjEEEENSD_INSE_IS6_EEEESI_S6_NSB_4plusIvEENSB_8equal_toIvEES6_EE10hipError_tPvRmT2_T3_T4_T5_mT6_T7_P12ihipStream_tbENKUlT_T0_E_clISt17integral_constantIbLb0EES13_EEDaSY_SZ_EUlSY_E_NS1_11comp_targetILNS1_3genE10ELNS1_11target_archE1200ELNS1_3gpuE4ELNS1_3repE0EEENS1_30default_config_static_selectorELNS0_4arch9wavefront6targetE0EEEvT1_,comdat
	.protected	_ZN7rocprim17ROCPRIM_400000_NS6detail17trampoline_kernelINS0_14default_configENS1_27scan_by_key_config_selectorIj11FixedVectorIiLj4EEEEZZNS1_16scan_by_key_implILNS1_25lookback_scan_determinismE0ELb1ES3_N6thrust23THRUST_200600_302600_NS6detail15normal_iteratorINSB_10device_ptrIjEEEENSD_INSE_IS6_EEEESI_S6_NSB_4plusIvEENSB_8equal_toIvEES6_EE10hipError_tPvRmT2_T3_T4_T5_mT6_T7_P12ihipStream_tbENKUlT_T0_E_clISt17integral_constantIbLb0EES13_EEDaSY_SZ_EUlSY_E_NS1_11comp_targetILNS1_3genE10ELNS1_11target_archE1200ELNS1_3gpuE4ELNS1_3repE0EEENS1_30default_config_static_selectorELNS0_4arch9wavefront6targetE0EEEvT1_ ; -- Begin function _ZN7rocprim17ROCPRIM_400000_NS6detail17trampoline_kernelINS0_14default_configENS1_27scan_by_key_config_selectorIj11FixedVectorIiLj4EEEEZZNS1_16scan_by_key_implILNS1_25lookback_scan_determinismE0ELb1ES3_N6thrust23THRUST_200600_302600_NS6detail15normal_iteratorINSB_10device_ptrIjEEEENSD_INSE_IS6_EEEESI_S6_NSB_4plusIvEENSB_8equal_toIvEES6_EE10hipError_tPvRmT2_T3_T4_T5_mT6_T7_P12ihipStream_tbENKUlT_T0_E_clISt17integral_constantIbLb0EES13_EEDaSY_SZ_EUlSY_E_NS1_11comp_targetILNS1_3genE10ELNS1_11target_archE1200ELNS1_3gpuE4ELNS1_3repE0EEENS1_30default_config_static_selectorELNS0_4arch9wavefront6targetE0EEEvT1_
	.globl	_ZN7rocprim17ROCPRIM_400000_NS6detail17trampoline_kernelINS0_14default_configENS1_27scan_by_key_config_selectorIj11FixedVectorIiLj4EEEEZZNS1_16scan_by_key_implILNS1_25lookback_scan_determinismE0ELb1ES3_N6thrust23THRUST_200600_302600_NS6detail15normal_iteratorINSB_10device_ptrIjEEEENSD_INSE_IS6_EEEESI_S6_NSB_4plusIvEENSB_8equal_toIvEES6_EE10hipError_tPvRmT2_T3_T4_T5_mT6_T7_P12ihipStream_tbENKUlT_T0_E_clISt17integral_constantIbLb0EES13_EEDaSY_SZ_EUlSY_E_NS1_11comp_targetILNS1_3genE10ELNS1_11target_archE1200ELNS1_3gpuE4ELNS1_3repE0EEENS1_30default_config_static_selectorELNS0_4arch9wavefront6targetE0EEEvT1_
	.p2align	8
	.type	_ZN7rocprim17ROCPRIM_400000_NS6detail17trampoline_kernelINS0_14default_configENS1_27scan_by_key_config_selectorIj11FixedVectorIiLj4EEEEZZNS1_16scan_by_key_implILNS1_25lookback_scan_determinismE0ELb1ES3_N6thrust23THRUST_200600_302600_NS6detail15normal_iteratorINSB_10device_ptrIjEEEENSD_INSE_IS6_EEEESI_S6_NSB_4plusIvEENSB_8equal_toIvEES6_EE10hipError_tPvRmT2_T3_T4_T5_mT6_T7_P12ihipStream_tbENKUlT_T0_E_clISt17integral_constantIbLb0EES13_EEDaSY_SZ_EUlSY_E_NS1_11comp_targetILNS1_3genE10ELNS1_11target_archE1200ELNS1_3gpuE4ELNS1_3repE0EEENS1_30default_config_static_selectorELNS0_4arch9wavefront6targetE0EEEvT1_,@function
_ZN7rocprim17ROCPRIM_400000_NS6detail17trampoline_kernelINS0_14default_configENS1_27scan_by_key_config_selectorIj11FixedVectorIiLj4EEEEZZNS1_16scan_by_key_implILNS1_25lookback_scan_determinismE0ELb1ES3_N6thrust23THRUST_200600_302600_NS6detail15normal_iteratorINSB_10device_ptrIjEEEENSD_INSE_IS6_EEEESI_S6_NSB_4plusIvEENSB_8equal_toIvEES6_EE10hipError_tPvRmT2_T3_T4_T5_mT6_T7_P12ihipStream_tbENKUlT_T0_E_clISt17integral_constantIbLb0EES13_EEDaSY_SZ_EUlSY_E_NS1_11comp_targetILNS1_3genE10ELNS1_11target_archE1200ELNS1_3gpuE4ELNS1_3repE0EEENS1_30default_config_static_selectorELNS0_4arch9wavefront6targetE0EEEvT1_: ; @_ZN7rocprim17ROCPRIM_400000_NS6detail17trampoline_kernelINS0_14default_configENS1_27scan_by_key_config_selectorIj11FixedVectorIiLj4EEEEZZNS1_16scan_by_key_implILNS1_25lookback_scan_determinismE0ELb1ES3_N6thrust23THRUST_200600_302600_NS6detail15normal_iteratorINSB_10device_ptrIjEEEENSD_INSE_IS6_EEEESI_S6_NSB_4plusIvEENSB_8equal_toIvEES6_EE10hipError_tPvRmT2_T3_T4_T5_mT6_T7_P12ihipStream_tbENKUlT_T0_E_clISt17integral_constantIbLb0EES13_EEDaSY_SZ_EUlSY_E_NS1_11comp_targetILNS1_3genE10ELNS1_11target_archE1200ELNS1_3gpuE4ELNS1_3repE0EEENS1_30default_config_static_selectorELNS0_4arch9wavefront6targetE0EEEvT1_
; %bb.0:
	.section	.rodata,"a",@progbits
	.p2align	6, 0x0
	.amdhsa_kernel _ZN7rocprim17ROCPRIM_400000_NS6detail17trampoline_kernelINS0_14default_configENS1_27scan_by_key_config_selectorIj11FixedVectorIiLj4EEEEZZNS1_16scan_by_key_implILNS1_25lookback_scan_determinismE0ELb1ES3_N6thrust23THRUST_200600_302600_NS6detail15normal_iteratorINSB_10device_ptrIjEEEENSD_INSE_IS6_EEEESI_S6_NSB_4plusIvEENSB_8equal_toIvEES6_EE10hipError_tPvRmT2_T3_T4_T5_mT6_T7_P12ihipStream_tbENKUlT_T0_E_clISt17integral_constantIbLb0EES13_EEDaSY_SZ_EUlSY_E_NS1_11comp_targetILNS1_3genE10ELNS1_11target_archE1200ELNS1_3gpuE4ELNS1_3repE0EEENS1_30default_config_static_selectorELNS0_4arch9wavefront6targetE0EEEvT1_
		.amdhsa_group_segment_fixed_size 0
		.amdhsa_private_segment_fixed_size 0
		.amdhsa_kernarg_size 144
		.amdhsa_user_sgpr_count 2
		.amdhsa_user_sgpr_dispatch_ptr 0
		.amdhsa_user_sgpr_queue_ptr 0
		.amdhsa_user_sgpr_kernarg_segment_ptr 1
		.amdhsa_user_sgpr_dispatch_id 0
		.amdhsa_user_sgpr_kernarg_preload_length 0
		.amdhsa_user_sgpr_kernarg_preload_offset 0
		.amdhsa_user_sgpr_private_segment_size 0
		.amdhsa_wavefront_size32 1
		.amdhsa_uses_dynamic_stack 0
		.amdhsa_enable_private_segment 0
		.amdhsa_system_sgpr_workgroup_id_x 1
		.amdhsa_system_sgpr_workgroup_id_y 0
		.amdhsa_system_sgpr_workgroup_id_z 0
		.amdhsa_system_sgpr_workgroup_info 0
		.amdhsa_system_vgpr_workitem_id 0
		.amdhsa_next_free_vgpr 1
		.amdhsa_next_free_sgpr 1
		.amdhsa_named_barrier_count 0
		.amdhsa_reserve_vcc 0
		.amdhsa_float_round_mode_32 0
		.amdhsa_float_round_mode_16_64 0
		.amdhsa_float_denorm_mode_32 3
		.amdhsa_float_denorm_mode_16_64 3
		.amdhsa_fp16_overflow 0
		.amdhsa_memory_ordered 1
		.amdhsa_forward_progress 1
		.amdhsa_inst_pref_size 0
		.amdhsa_round_robin_scheduling 0
		.amdhsa_exception_fp_ieee_invalid_op 0
		.amdhsa_exception_fp_denorm_src 0
		.amdhsa_exception_fp_ieee_div_zero 0
		.amdhsa_exception_fp_ieee_overflow 0
		.amdhsa_exception_fp_ieee_underflow 0
		.amdhsa_exception_fp_ieee_inexact 0
		.amdhsa_exception_int_div_zero 0
	.end_amdhsa_kernel
	.section	.text._ZN7rocprim17ROCPRIM_400000_NS6detail17trampoline_kernelINS0_14default_configENS1_27scan_by_key_config_selectorIj11FixedVectorIiLj4EEEEZZNS1_16scan_by_key_implILNS1_25lookback_scan_determinismE0ELb1ES3_N6thrust23THRUST_200600_302600_NS6detail15normal_iteratorINSB_10device_ptrIjEEEENSD_INSE_IS6_EEEESI_S6_NSB_4plusIvEENSB_8equal_toIvEES6_EE10hipError_tPvRmT2_T3_T4_T5_mT6_T7_P12ihipStream_tbENKUlT_T0_E_clISt17integral_constantIbLb0EES13_EEDaSY_SZ_EUlSY_E_NS1_11comp_targetILNS1_3genE10ELNS1_11target_archE1200ELNS1_3gpuE4ELNS1_3repE0EEENS1_30default_config_static_selectorELNS0_4arch9wavefront6targetE0EEEvT1_,"axG",@progbits,_ZN7rocprim17ROCPRIM_400000_NS6detail17trampoline_kernelINS0_14default_configENS1_27scan_by_key_config_selectorIj11FixedVectorIiLj4EEEEZZNS1_16scan_by_key_implILNS1_25lookback_scan_determinismE0ELb1ES3_N6thrust23THRUST_200600_302600_NS6detail15normal_iteratorINSB_10device_ptrIjEEEENSD_INSE_IS6_EEEESI_S6_NSB_4plusIvEENSB_8equal_toIvEES6_EE10hipError_tPvRmT2_T3_T4_T5_mT6_T7_P12ihipStream_tbENKUlT_T0_E_clISt17integral_constantIbLb0EES13_EEDaSY_SZ_EUlSY_E_NS1_11comp_targetILNS1_3genE10ELNS1_11target_archE1200ELNS1_3gpuE4ELNS1_3repE0EEENS1_30default_config_static_selectorELNS0_4arch9wavefront6targetE0EEEvT1_,comdat
.Lfunc_end2081:
	.size	_ZN7rocprim17ROCPRIM_400000_NS6detail17trampoline_kernelINS0_14default_configENS1_27scan_by_key_config_selectorIj11FixedVectorIiLj4EEEEZZNS1_16scan_by_key_implILNS1_25lookback_scan_determinismE0ELb1ES3_N6thrust23THRUST_200600_302600_NS6detail15normal_iteratorINSB_10device_ptrIjEEEENSD_INSE_IS6_EEEESI_S6_NSB_4plusIvEENSB_8equal_toIvEES6_EE10hipError_tPvRmT2_T3_T4_T5_mT6_T7_P12ihipStream_tbENKUlT_T0_E_clISt17integral_constantIbLb0EES13_EEDaSY_SZ_EUlSY_E_NS1_11comp_targetILNS1_3genE10ELNS1_11target_archE1200ELNS1_3gpuE4ELNS1_3repE0EEENS1_30default_config_static_selectorELNS0_4arch9wavefront6targetE0EEEvT1_, .Lfunc_end2081-_ZN7rocprim17ROCPRIM_400000_NS6detail17trampoline_kernelINS0_14default_configENS1_27scan_by_key_config_selectorIj11FixedVectorIiLj4EEEEZZNS1_16scan_by_key_implILNS1_25lookback_scan_determinismE0ELb1ES3_N6thrust23THRUST_200600_302600_NS6detail15normal_iteratorINSB_10device_ptrIjEEEENSD_INSE_IS6_EEEESI_S6_NSB_4plusIvEENSB_8equal_toIvEES6_EE10hipError_tPvRmT2_T3_T4_T5_mT6_T7_P12ihipStream_tbENKUlT_T0_E_clISt17integral_constantIbLb0EES13_EEDaSY_SZ_EUlSY_E_NS1_11comp_targetILNS1_3genE10ELNS1_11target_archE1200ELNS1_3gpuE4ELNS1_3repE0EEENS1_30default_config_static_selectorELNS0_4arch9wavefront6targetE0EEEvT1_
                                        ; -- End function
	.set _ZN7rocprim17ROCPRIM_400000_NS6detail17trampoline_kernelINS0_14default_configENS1_27scan_by_key_config_selectorIj11FixedVectorIiLj4EEEEZZNS1_16scan_by_key_implILNS1_25lookback_scan_determinismE0ELb1ES3_N6thrust23THRUST_200600_302600_NS6detail15normal_iteratorINSB_10device_ptrIjEEEENSD_INSE_IS6_EEEESI_S6_NSB_4plusIvEENSB_8equal_toIvEES6_EE10hipError_tPvRmT2_T3_T4_T5_mT6_T7_P12ihipStream_tbENKUlT_T0_E_clISt17integral_constantIbLb0EES13_EEDaSY_SZ_EUlSY_E_NS1_11comp_targetILNS1_3genE10ELNS1_11target_archE1200ELNS1_3gpuE4ELNS1_3repE0EEENS1_30default_config_static_selectorELNS0_4arch9wavefront6targetE0EEEvT1_.num_vgpr, 0
	.set _ZN7rocprim17ROCPRIM_400000_NS6detail17trampoline_kernelINS0_14default_configENS1_27scan_by_key_config_selectorIj11FixedVectorIiLj4EEEEZZNS1_16scan_by_key_implILNS1_25lookback_scan_determinismE0ELb1ES3_N6thrust23THRUST_200600_302600_NS6detail15normal_iteratorINSB_10device_ptrIjEEEENSD_INSE_IS6_EEEESI_S6_NSB_4plusIvEENSB_8equal_toIvEES6_EE10hipError_tPvRmT2_T3_T4_T5_mT6_T7_P12ihipStream_tbENKUlT_T0_E_clISt17integral_constantIbLb0EES13_EEDaSY_SZ_EUlSY_E_NS1_11comp_targetILNS1_3genE10ELNS1_11target_archE1200ELNS1_3gpuE4ELNS1_3repE0EEENS1_30default_config_static_selectorELNS0_4arch9wavefront6targetE0EEEvT1_.num_agpr, 0
	.set _ZN7rocprim17ROCPRIM_400000_NS6detail17trampoline_kernelINS0_14default_configENS1_27scan_by_key_config_selectorIj11FixedVectorIiLj4EEEEZZNS1_16scan_by_key_implILNS1_25lookback_scan_determinismE0ELb1ES3_N6thrust23THRUST_200600_302600_NS6detail15normal_iteratorINSB_10device_ptrIjEEEENSD_INSE_IS6_EEEESI_S6_NSB_4plusIvEENSB_8equal_toIvEES6_EE10hipError_tPvRmT2_T3_T4_T5_mT6_T7_P12ihipStream_tbENKUlT_T0_E_clISt17integral_constantIbLb0EES13_EEDaSY_SZ_EUlSY_E_NS1_11comp_targetILNS1_3genE10ELNS1_11target_archE1200ELNS1_3gpuE4ELNS1_3repE0EEENS1_30default_config_static_selectorELNS0_4arch9wavefront6targetE0EEEvT1_.numbered_sgpr, 0
	.set _ZN7rocprim17ROCPRIM_400000_NS6detail17trampoline_kernelINS0_14default_configENS1_27scan_by_key_config_selectorIj11FixedVectorIiLj4EEEEZZNS1_16scan_by_key_implILNS1_25lookback_scan_determinismE0ELb1ES3_N6thrust23THRUST_200600_302600_NS6detail15normal_iteratorINSB_10device_ptrIjEEEENSD_INSE_IS6_EEEESI_S6_NSB_4plusIvEENSB_8equal_toIvEES6_EE10hipError_tPvRmT2_T3_T4_T5_mT6_T7_P12ihipStream_tbENKUlT_T0_E_clISt17integral_constantIbLb0EES13_EEDaSY_SZ_EUlSY_E_NS1_11comp_targetILNS1_3genE10ELNS1_11target_archE1200ELNS1_3gpuE4ELNS1_3repE0EEENS1_30default_config_static_selectorELNS0_4arch9wavefront6targetE0EEEvT1_.num_named_barrier, 0
	.set _ZN7rocprim17ROCPRIM_400000_NS6detail17trampoline_kernelINS0_14default_configENS1_27scan_by_key_config_selectorIj11FixedVectorIiLj4EEEEZZNS1_16scan_by_key_implILNS1_25lookback_scan_determinismE0ELb1ES3_N6thrust23THRUST_200600_302600_NS6detail15normal_iteratorINSB_10device_ptrIjEEEENSD_INSE_IS6_EEEESI_S6_NSB_4plusIvEENSB_8equal_toIvEES6_EE10hipError_tPvRmT2_T3_T4_T5_mT6_T7_P12ihipStream_tbENKUlT_T0_E_clISt17integral_constantIbLb0EES13_EEDaSY_SZ_EUlSY_E_NS1_11comp_targetILNS1_3genE10ELNS1_11target_archE1200ELNS1_3gpuE4ELNS1_3repE0EEENS1_30default_config_static_selectorELNS0_4arch9wavefront6targetE0EEEvT1_.private_seg_size, 0
	.set _ZN7rocprim17ROCPRIM_400000_NS6detail17trampoline_kernelINS0_14default_configENS1_27scan_by_key_config_selectorIj11FixedVectorIiLj4EEEEZZNS1_16scan_by_key_implILNS1_25lookback_scan_determinismE0ELb1ES3_N6thrust23THRUST_200600_302600_NS6detail15normal_iteratorINSB_10device_ptrIjEEEENSD_INSE_IS6_EEEESI_S6_NSB_4plusIvEENSB_8equal_toIvEES6_EE10hipError_tPvRmT2_T3_T4_T5_mT6_T7_P12ihipStream_tbENKUlT_T0_E_clISt17integral_constantIbLb0EES13_EEDaSY_SZ_EUlSY_E_NS1_11comp_targetILNS1_3genE10ELNS1_11target_archE1200ELNS1_3gpuE4ELNS1_3repE0EEENS1_30default_config_static_selectorELNS0_4arch9wavefront6targetE0EEEvT1_.uses_vcc, 0
	.set _ZN7rocprim17ROCPRIM_400000_NS6detail17trampoline_kernelINS0_14default_configENS1_27scan_by_key_config_selectorIj11FixedVectorIiLj4EEEEZZNS1_16scan_by_key_implILNS1_25lookback_scan_determinismE0ELb1ES3_N6thrust23THRUST_200600_302600_NS6detail15normal_iteratorINSB_10device_ptrIjEEEENSD_INSE_IS6_EEEESI_S6_NSB_4plusIvEENSB_8equal_toIvEES6_EE10hipError_tPvRmT2_T3_T4_T5_mT6_T7_P12ihipStream_tbENKUlT_T0_E_clISt17integral_constantIbLb0EES13_EEDaSY_SZ_EUlSY_E_NS1_11comp_targetILNS1_3genE10ELNS1_11target_archE1200ELNS1_3gpuE4ELNS1_3repE0EEENS1_30default_config_static_selectorELNS0_4arch9wavefront6targetE0EEEvT1_.uses_flat_scratch, 0
	.set _ZN7rocprim17ROCPRIM_400000_NS6detail17trampoline_kernelINS0_14default_configENS1_27scan_by_key_config_selectorIj11FixedVectorIiLj4EEEEZZNS1_16scan_by_key_implILNS1_25lookback_scan_determinismE0ELb1ES3_N6thrust23THRUST_200600_302600_NS6detail15normal_iteratorINSB_10device_ptrIjEEEENSD_INSE_IS6_EEEESI_S6_NSB_4plusIvEENSB_8equal_toIvEES6_EE10hipError_tPvRmT2_T3_T4_T5_mT6_T7_P12ihipStream_tbENKUlT_T0_E_clISt17integral_constantIbLb0EES13_EEDaSY_SZ_EUlSY_E_NS1_11comp_targetILNS1_3genE10ELNS1_11target_archE1200ELNS1_3gpuE4ELNS1_3repE0EEENS1_30default_config_static_selectorELNS0_4arch9wavefront6targetE0EEEvT1_.has_dyn_sized_stack, 0
	.set _ZN7rocprim17ROCPRIM_400000_NS6detail17trampoline_kernelINS0_14default_configENS1_27scan_by_key_config_selectorIj11FixedVectorIiLj4EEEEZZNS1_16scan_by_key_implILNS1_25lookback_scan_determinismE0ELb1ES3_N6thrust23THRUST_200600_302600_NS6detail15normal_iteratorINSB_10device_ptrIjEEEENSD_INSE_IS6_EEEESI_S6_NSB_4plusIvEENSB_8equal_toIvEES6_EE10hipError_tPvRmT2_T3_T4_T5_mT6_T7_P12ihipStream_tbENKUlT_T0_E_clISt17integral_constantIbLb0EES13_EEDaSY_SZ_EUlSY_E_NS1_11comp_targetILNS1_3genE10ELNS1_11target_archE1200ELNS1_3gpuE4ELNS1_3repE0EEENS1_30default_config_static_selectorELNS0_4arch9wavefront6targetE0EEEvT1_.has_recursion, 0
	.set _ZN7rocprim17ROCPRIM_400000_NS6detail17trampoline_kernelINS0_14default_configENS1_27scan_by_key_config_selectorIj11FixedVectorIiLj4EEEEZZNS1_16scan_by_key_implILNS1_25lookback_scan_determinismE0ELb1ES3_N6thrust23THRUST_200600_302600_NS6detail15normal_iteratorINSB_10device_ptrIjEEEENSD_INSE_IS6_EEEESI_S6_NSB_4plusIvEENSB_8equal_toIvEES6_EE10hipError_tPvRmT2_T3_T4_T5_mT6_T7_P12ihipStream_tbENKUlT_T0_E_clISt17integral_constantIbLb0EES13_EEDaSY_SZ_EUlSY_E_NS1_11comp_targetILNS1_3genE10ELNS1_11target_archE1200ELNS1_3gpuE4ELNS1_3repE0EEENS1_30default_config_static_selectorELNS0_4arch9wavefront6targetE0EEEvT1_.has_indirect_call, 0
	.section	.AMDGPU.csdata,"",@progbits
; Kernel info:
; codeLenInByte = 0
; TotalNumSgprs: 0
; NumVgprs: 0
; ScratchSize: 0
; MemoryBound: 0
; FloatMode: 240
; IeeeMode: 1
; LDSByteSize: 0 bytes/workgroup (compile time only)
; SGPRBlocks: 0
; VGPRBlocks: 0
; NumSGPRsForWavesPerEU: 1
; NumVGPRsForWavesPerEU: 1
; NamedBarCnt: 0
; Occupancy: 16
; WaveLimiterHint : 0
; COMPUTE_PGM_RSRC2:SCRATCH_EN: 0
; COMPUTE_PGM_RSRC2:USER_SGPR: 2
; COMPUTE_PGM_RSRC2:TRAP_HANDLER: 0
; COMPUTE_PGM_RSRC2:TGID_X_EN: 1
; COMPUTE_PGM_RSRC2:TGID_Y_EN: 0
; COMPUTE_PGM_RSRC2:TGID_Z_EN: 0
; COMPUTE_PGM_RSRC2:TIDIG_COMP_CNT: 0
	.section	.text._ZN7rocprim17ROCPRIM_400000_NS6detail17trampoline_kernelINS0_14default_configENS1_27scan_by_key_config_selectorIj11FixedVectorIiLj4EEEEZZNS1_16scan_by_key_implILNS1_25lookback_scan_determinismE0ELb1ES3_N6thrust23THRUST_200600_302600_NS6detail15normal_iteratorINSB_10device_ptrIjEEEENSD_INSE_IS6_EEEESI_S6_NSB_4plusIvEENSB_8equal_toIvEES6_EE10hipError_tPvRmT2_T3_T4_T5_mT6_T7_P12ihipStream_tbENKUlT_T0_E_clISt17integral_constantIbLb0EES13_EEDaSY_SZ_EUlSY_E_NS1_11comp_targetILNS1_3genE9ELNS1_11target_archE1100ELNS1_3gpuE3ELNS1_3repE0EEENS1_30default_config_static_selectorELNS0_4arch9wavefront6targetE0EEEvT1_,"axG",@progbits,_ZN7rocprim17ROCPRIM_400000_NS6detail17trampoline_kernelINS0_14default_configENS1_27scan_by_key_config_selectorIj11FixedVectorIiLj4EEEEZZNS1_16scan_by_key_implILNS1_25lookback_scan_determinismE0ELb1ES3_N6thrust23THRUST_200600_302600_NS6detail15normal_iteratorINSB_10device_ptrIjEEEENSD_INSE_IS6_EEEESI_S6_NSB_4plusIvEENSB_8equal_toIvEES6_EE10hipError_tPvRmT2_T3_T4_T5_mT6_T7_P12ihipStream_tbENKUlT_T0_E_clISt17integral_constantIbLb0EES13_EEDaSY_SZ_EUlSY_E_NS1_11comp_targetILNS1_3genE9ELNS1_11target_archE1100ELNS1_3gpuE3ELNS1_3repE0EEENS1_30default_config_static_selectorELNS0_4arch9wavefront6targetE0EEEvT1_,comdat
	.protected	_ZN7rocprim17ROCPRIM_400000_NS6detail17trampoline_kernelINS0_14default_configENS1_27scan_by_key_config_selectorIj11FixedVectorIiLj4EEEEZZNS1_16scan_by_key_implILNS1_25lookback_scan_determinismE0ELb1ES3_N6thrust23THRUST_200600_302600_NS6detail15normal_iteratorINSB_10device_ptrIjEEEENSD_INSE_IS6_EEEESI_S6_NSB_4plusIvEENSB_8equal_toIvEES6_EE10hipError_tPvRmT2_T3_T4_T5_mT6_T7_P12ihipStream_tbENKUlT_T0_E_clISt17integral_constantIbLb0EES13_EEDaSY_SZ_EUlSY_E_NS1_11comp_targetILNS1_3genE9ELNS1_11target_archE1100ELNS1_3gpuE3ELNS1_3repE0EEENS1_30default_config_static_selectorELNS0_4arch9wavefront6targetE0EEEvT1_ ; -- Begin function _ZN7rocprim17ROCPRIM_400000_NS6detail17trampoline_kernelINS0_14default_configENS1_27scan_by_key_config_selectorIj11FixedVectorIiLj4EEEEZZNS1_16scan_by_key_implILNS1_25lookback_scan_determinismE0ELb1ES3_N6thrust23THRUST_200600_302600_NS6detail15normal_iteratorINSB_10device_ptrIjEEEENSD_INSE_IS6_EEEESI_S6_NSB_4plusIvEENSB_8equal_toIvEES6_EE10hipError_tPvRmT2_T3_T4_T5_mT6_T7_P12ihipStream_tbENKUlT_T0_E_clISt17integral_constantIbLb0EES13_EEDaSY_SZ_EUlSY_E_NS1_11comp_targetILNS1_3genE9ELNS1_11target_archE1100ELNS1_3gpuE3ELNS1_3repE0EEENS1_30default_config_static_selectorELNS0_4arch9wavefront6targetE0EEEvT1_
	.globl	_ZN7rocprim17ROCPRIM_400000_NS6detail17trampoline_kernelINS0_14default_configENS1_27scan_by_key_config_selectorIj11FixedVectorIiLj4EEEEZZNS1_16scan_by_key_implILNS1_25lookback_scan_determinismE0ELb1ES3_N6thrust23THRUST_200600_302600_NS6detail15normal_iteratorINSB_10device_ptrIjEEEENSD_INSE_IS6_EEEESI_S6_NSB_4plusIvEENSB_8equal_toIvEES6_EE10hipError_tPvRmT2_T3_T4_T5_mT6_T7_P12ihipStream_tbENKUlT_T0_E_clISt17integral_constantIbLb0EES13_EEDaSY_SZ_EUlSY_E_NS1_11comp_targetILNS1_3genE9ELNS1_11target_archE1100ELNS1_3gpuE3ELNS1_3repE0EEENS1_30default_config_static_selectorELNS0_4arch9wavefront6targetE0EEEvT1_
	.p2align	8
	.type	_ZN7rocprim17ROCPRIM_400000_NS6detail17trampoline_kernelINS0_14default_configENS1_27scan_by_key_config_selectorIj11FixedVectorIiLj4EEEEZZNS1_16scan_by_key_implILNS1_25lookback_scan_determinismE0ELb1ES3_N6thrust23THRUST_200600_302600_NS6detail15normal_iteratorINSB_10device_ptrIjEEEENSD_INSE_IS6_EEEESI_S6_NSB_4plusIvEENSB_8equal_toIvEES6_EE10hipError_tPvRmT2_T3_T4_T5_mT6_T7_P12ihipStream_tbENKUlT_T0_E_clISt17integral_constantIbLb0EES13_EEDaSY_SZ_EUlSY_E_NS1_11comp_targetILNS1_3genE9ELNS1_11target_archE1100ELNS1_3gpuE3ELNS1_3repE0EEENS1_30default_config_static_selectorELNS0_4arch9wavefront6targetE0EEEvT1_,@function
_ZN7rocprim17ROCPRIM_400000_NS6detail17trampoline_kernelINS0_14default_configENS1_27scan_by_key_config_selectorIj11FixedVectorIiLj4EEEEZZNS1_16scan_by_key_implILNS1_25lookback_scan_determinismE0ELb1ES3_N6thrust23THRUST_200600_302600_NS6detail15normal_iteratorINSB_10device_ptrIjEEEENSD_INSE_IS6_EEEESI_S6_NSB_4plusIvEENSB_8equal_toIvEES6_EE10hipError_tPvRmT2_T3_T4_T5_mT6_T7_P12ihipStream_tbENKUlT_T0_E_clISt17integral_constantIbLb0EES13_EEDaSY_SZ_EUlSY_E_NS1_11comp_targetILNS1_3genE9ELNS1_11target_archE1100ELNS1_3gpuE3ELNS1_3repE0EEENS1_30default_config_static_selectorELNS0_4arch9wavefront6targetE0EEEvT1_: ; @_ZN7rocprim17ROCPRIM_400000_NS6detail17trampoline_kernelINS0_14default_configENS1_27scan_by_key_config_selectorIj11FixedVectorIiLj4EEEEZZNS1_16scan_by_key_implILNS1_25lookback_scan_determinismE0ELb1ES3_N6thrust23THRUST_200600_302600_NS6detail15normal_iteratorINSB_10device_ptrIjEEEENSD_INSE_IS6_EEEESI_S6_NSB_4plusIvEENSB_8equal_toIvEES6_EE10hipError_tPvRmT2_T3_T4_T5_mT6_T7_P12ihipStream_tbENKUlT_T0_E_clISt17integral_constantIbLb0EES13_EEDaSY_SZ_EUlSY_E_NS1_11comp_targetILNS1_3genE9ELNS1_11target_archE1100ELNS1_3gpuE3ELNS1_3repE0EEENS1_30default_config_static_selectorELNS0_4arch9wavefront6targetE0EEEvT1_
; %bb.0:
	.section	.rodata,"a",@progbits
	.p2align	6, 0x0
	.amdhsa_kernel _ZN7rocprim17ROCPRIM_400000_NS6detail17trampoline_kernelINS0_14default_configENS1_27scan_by_key_config_selectorIj11FixedVectorIiLj4EEEEZZNS1_16scan_by_key_implILNS1_25lookback_scan_determinismE0ELb1ES3_N6thrust23THRUST_200600_302600_NS6detail15normal_iteratorINSB_10device_ptrIjEEEENSD_INSE_IS6_EEEESI_S6_NSB_4plusIvEENSB_8equal_toIvEES6_EE10hipError_tPvRmT2_T3_T4_T5_mT6_T7_P12ihipStream_tbENKUlT_T0_E_clISt17integral_constantIbLb0EES13_EEDaSY_SZ_EUlSY_E_NS1_11comp_targetILNS1_3genE9ELNS1_11target_archE1100ELNS1_3gpuE3ELNS1_3repE0EEENS1_30default_config_static_selectorELNS0_4arch9wavefront6targetE0EEEvT1_
		.amdhsa_group_segment_fixed_size 0
		.amdhsa_private_segment_fixed_size 0
		.amdhsa_kernarg_size 144
		.amdhsa_user_sgpr_count 2
		.amdhsa_user_sgpr_dispatch_ptr 0
		.amdhsa_user_sgpr_queue_ptr 0
		.amdhsa_user_sgpr_kernarg_segment_ptr 1
		.amdhsa_user_sgpr_dispatch_id 0
		.amdhsa_user_sgpr_kernarg_preload_length 0
		.amdhsa_user_sgpr_kernarg_preload_offset 0
		.amdhsa_user_sgpr_private_segment_size 0
		.amdhsa_wavefront_size32 1
		.amdhsa_uses_dynamic_stack 0
		.amdhsa_enable_private_segment 0
		.amdhsa_system_sgpr_workgroup_id_x 1
		.amdhsa_system_sgpr_workgroup_id_y 0
		.amdhsa_system_sgpr_workgroup_id_z 0
		.amdhsa_system_sgpr_workgroup_info 0
		.amdhsa_system_vgpr_workitem_id 0
		.amdhsa_next_free_vgpr 1
		.amdhsa_next_free_sgpr 1
		.amdhsa_named_barrier_count 0
		.amdhsa_reserve_vcc 0
		.amdhsa_float_round_mode_32 0
		.amdhsa_float_round_mode_16_64 0
		.amdhsa_float_denorm_mode_32 3
		.amdhsa_float_denorm_mode_16_64 3
		.amdhsa_fp16_overflow 0
		.amdhsa_memory_ordered 1
		.amdhsa_forward_progress 1
		.amdhsa_inst_pref_size 0
		.amdhsa_round_robin_scheduling 0
		.amdhsa_exception_fp_ieee_invalid_op 0
		.amdhsa_exception_fp_denorm_src 0
		.amdhsa_exception_fp_ieee_div_zero 0
		.amdhsa_exception_fp_ieee_overflow 0
		.amdhsa_exception_fp_ieee_underflow 0
		.amdhsa_exception_fp_ieee_inexact 0
		.amdhsa_exception_int_div_zero 0
	.end_amdhsa_kernel
	.section	.text._ZN7rocprim17ROCPRIM_400000_NS6detail17trampoline_kernelINS0_14default_configENS1_27scan_by_key_config_selectorIj11FixedVectorIiLj4EEEEZZNS1_16scan_by_key_implILNS1_25lookback_scan_determinismE0ELb1ES3_N6thrust23THRUST_200600_302600_NS6detail15normal_iteratorINSB_10device_ptrIjEEEENSD_INSE_IS6_EEEESI_S6_NSB_4plusIvEENSB_8equal_toIvEES6_EE10hipError_tPvRmT2_T3_T4_T5_mT6_T7_P12ihipStream_tbENKUlT_T0_E_clISt17integral_constantIbLb0EES13_EEDaSY_SZ_EUlSY_E_NS1_11comp_targetILNS1_3genE9ELNS1_11target_archE1100ELNS1_3gpuE3ELNS1_3repE0EEENS1_30default_config_static_selectorELNS0_4arch9wavefront6targetE0EEEvT1_,"axG",@progbits,_ZN7rocprim17ROCPRIM_400000_NS6detail17trampoline_kernelINS0_14default_configENS1_27scan_by_key_config_selectorIj11FixedVectorIiLj4EEEEZZNS1_16scan_by_key_implILNS1_25lookback_scan_determinismE0ELb1ES3_N6thrust23THRUST_200600_302600_NS6detail15normal_iteratorINSB_10device_ptrIjEEEENSD_INSE_IS6_EEEESI_S6_NSB_4plusIvEENSB_8equal_toIvEES6_EE10hipError_tPvRmT2_T3_T4_T5_mT6_T7_P12ihipStream_tbENKUlT_T0_E_clISt17integral_constantIbLb0EES13_EEDaSY_SZ_EUlSY_E_NS1_11comp_targetILNS1_3genE9ELNS1_11target_archE1100ELNS1_3gpuE3ELNS1_3repE0EEENS1_30default_config_static_selectorELNS0_4arch9wavefront6targetE0EEEvT1_,comdat
.Lfunc_end2082:
	.size	_ZN7rocprim17ROCPRIM_400000_NS6detail17trampoline_kernelINS0_14default_configENS1_27scan_by_key_config_selectorIj11FixedVectorIiLj4EEEEZZNS1_16scan_by_key_implILNS1_25lookback_scan_determinismE0ELb1ES3_N6thrust23THRUST_200600_302600_NS6detail15normal_iteratorINSB_10device_ptrIjEEEENSD_INSE_IS6_EEEESI_S6_NSB_4plusIvEENSB_8equal_toIvEES6_EE10hipError_tPvRmT2_T3_T4_T5_mT6_T7_P12ihipStream_tbENKUlT_T0_E_clISt17integral_constantIbLb0EES13_EEDaSY_SZ_EUlSY_E_NS1_11comp_targetILNS1_3genE9ELNS1_11target_archE1100ELNS1_3gpuE3ELNS1_3repE0EEENS1_30default_config_static_selectorELNS0_4arch9wavefront6targetE0EEEvT1_, .Lfunc_end2082-_ZN7rocprim17ROCPRIM_400000_NS6detail17trampoline_kernelINS0_14default_configENS1_27scan_by_key_config_selectorIj11FixedVectorIiLj4EEEEZZNS1_16scan_by_key_implILNS1_25lookback_scan_determinismE0ELb1ES3_N6thrust23THRUST_200600_302600_NS6detail15normal_iteratorINSB_10device_ptrIjEEEENSD_INSE_IS6_EEEESI_S6_NSB_4plusIvEENSB_8equal_toIvEES6_EE10hipError_tPvRmT2_T3_T4_T5_mT6_T7_P12ihipStream_tbENKUlT_T0_E_clISt17integral_constantIbLb0EES13_EEDaSY_SZ_EUlSY_E_NS1_11comp_targetILNS1_3genE9ELNS1_11target_archE1100ELNS1_3gpuE3ELNS1_3repE0EEENS1_30default_config_static_selectorELNS0_4arch9wavefront6targetE0EEEvT1_
                                        ; -- End function
	.set _ZN7rocprim17ROCPRIM_400000_NS6detail17trampoline_kernelINS0_14default_configENS1_27scan_by_key_config_selectorIj11FixedVectorIiLj4EEEEZZNS1_16scan_by_key_implILNS1_25lookback_scan_determinismE0ELb1ES3_N6thrust23THRUST_200600_302600_NS6detail15normal_iteratorINSB_10device_ptrIjEEEENSD_INSE_IS6_EEEESI_S6_NSB_4plusIvEENSB_8equal_toIvEES6_EE10hipError_tPvRmT2_T3_T4_T5_mT6_T7_P12ihipStream_tbENKUlT_T0_E_clISt17integral_constantIbLb0EES13_EEDaSY_SZ_EUlSY_E_NS1_11comp_targetILNS1_3genE9ELNS1_11target_archE1100ELNS1_3gpuE3ELNS1_3repE0EEENS1_30default_config_static_selectorELNS0_4arch9wavefront6targetE0EEEvT1_.num_vgpr, 0
	.set _ZN7rocprim17ROCPRIM_400000_NS6detail17trampoline_kernelINS0_14default_configENS1_27scan_by_key_config_selectorIj11FixedVectorIiLj4EEEEZZNS1_16scan_by_key_implILNS1_25lookback_scan_determinismE0ELb1ES3_N6thrust23THRUST_200600_302600_NS6detail15normal_iteratorINSB_10device_ptrIjEEEENSD_INSE_IS6_EEEESI_S6_NSB_4plusIvEENSB_8equal_toIvEES6_EE10hipError_tPvRmT2_T3_T4_T5_mT6_T7_P12ihipStream_tbENKUlT_T0_E_clISt17integral_constantIbLb0EES13_EEDaSY_SZ_EUlSY_E_NS1_11comp_targetILNS1_3genE9ELNS1_11target_archE1100ELNS1_3gpuE3ELNS1_3repE0EEENS1_30default_config_static_selectorELNS0_4arch9wavefront6targetE0EEEvT1_.num_agpr, 0
	.set _ZN7rocprim17ROCPRIM_400000_NS6detail17trampoline_kernelINS0_14default_configENS1_27scan_by_key_config_selectorIj11FixedVectorIiLj4EEEEZZNS1_16scan_by_key_implILNS1_25lookback_scan_determinismE0ELb1ES3_N6thrust23THRUST_200600_302600_NS6detail15normal_iteratorINSB_10device_ptrIjEEEENSD_INSE_IS6_EEEESI_S6_NSB_4plusIvEENSB_8equal_toIvEES6_EE10hipError_tPvRmT2_T3_T4_T5_mT6_T7_P12ihipStream_tbENKUlT_T0_E_clISt17integral_constantIbLb0EES13_EEDaSY_SZ_EUlSY_E_NS1_11comp_targetILNS1_3genE9ELNS1_11target_archE1100ELNS1_3gpuE3ELNS1_3repE0EEENS1_30default_config_static_selectorELNS0_4arch9wavefront6targetE0EEEvT1_.numbered_sgpr, 0
	.set _ZN7rocprim17ROCPRIM_400000_NS6detail17trampoline_kernelINS0_14default_configENS1_27scan_by_key_config_selectorIj11FixedVectorIiLj4EEEEZZNS1_16scan_by_key_implILNS1_25lookback_scan_determinismE0ELb1ES3_N6thrust23THRUST_200600_302600_NS6detail15normal_iteratorINSB_10device_ptrIjEEEENSD_INSE_IS6_EEEESI_S6_NSB_4plusIvEENSB_8equal_toIvEES6_EE10hipError_tPvRmT2_T3_T4_T5_mT6_T7_P12ihipStream_tbENKUlT_T0_E_clISt17integral_constantIbLb0EES13_EEDaSY_SZ_EUlSY_E_NS1_11comp_targetILNS1_3genE9ELNS1_11target_archE1100ELNS1_3gpuE3ELNS1_3repE0EEENS1_30default_config_static_selectorELNS0_4arch9wavefront6targetE0EEEvT1_.num_named_barrier, 0
	.set _ZN7rocprim17ROCPRIM_400000_NS6detail17trampoline_kernelINS0_14default_configENS1_27scan_by_key_config_selectorIj11FixedVectorIiLj4EEEEZZNS1_16scan_by_key_implILNS1_25lookback_scan_determinismE0ELb1ES3_N6thrust23THRUST_200600_302600_NS6detail15normal_iteratorINSB_10device_ptrIjEEEENSD_INSE_IS6_EEEESI_S6_NSB_4plusIvEENSB_8equal_toIvEES6_EE10hipError_tPvRmT2_T3_T4_T5_mT6_T7_P12ihipStream_tbENKUlT_T0_E_clISt17integral_constantIbLb0EES13_EEDaSY_SZ_EUlSY_E_NS1_11comp_targetILNS1_3genE9ELNS1_11target_archE1100ELNS1_3gpuE3ELNS1_3repE0EEENS1_30default_config_static_selectorELNS0_4arch9wavefront6targetE0EEEvT1_.private_seg_size, 0
	.set _ZN7rocprim17ROCPRIM_400000_NS6detail17trampoline_kernelINS0_14default_configENS1_27scan_by_key_config_selectorIj11FixedVectorIiLj4EEEEZZNS1_16scan_by_key_implILNS1_25lookback_scan_determinismE0ELb1ES3_N6thrust23THRUST_200600_302600_NS6detail15normal_iteratorINSB_10device_ptrIjEEEENSD_INSE_IS6_EEEESI_S6_NSB_4plusIvEENSB_8equal_toIvEES6_EE10hipError_tPvRmT2_T3_T4_T5_mT6_T7_P12ihipStream_tbENKUlT_T0_E_clISt17integral_constantIbLb0EES13_EEDaSY_SZ_EUlSY_E_NS1_11comp_targetILNS1_3genE9ELNS1_11target_archE1100ELNS1_3gpuE3ELNS1_3repE0EEENS1_30default_config_static_selectorELNS0_4arch9wavefront6targetE0EEEvT1_.uses_vcc, 0
	.set _ZN7rocprim17ROCPRIM_400000_NS6detail17trampoline_kernelINS0_14default_configENS1_27scan_by_key_config_selectorIj11FixedVectorIiLj4EEEEZZNS1_16scan_by_key_implILNS1_25lookback_scan_determinismE0ELb1ES3_N6thrust23THRUST_200600_302600_NS6detail15normal_iteratorINSB_10device_ptrIjEEEENSD_INSE_IS6_EEEESI_S6_NSB_4plusIvEENSB_8equal_toIvEES6_EE10hipError_tPvRmT2_T3_T4_T5_mT6_T7_P12ihipStream_tbENKUlT_T0_E_clISt17integral_constantIbLb0EES13_EEDaSY_SZ_EUlSY_E_NS1_11comp_targetILNS1_3genE9ELNS1_11target_archE1100ELNS1_3gpuE3ELNS1_3repE0EEENS1_30default_config_static_selectorELNS0_4arch9wavefront6targetE0EEEvT1_.uses_flat_scratch, 0
	.set _ZN7rocprim17ROCPRIM_400000_NS6detail17trampoline_kernelINS0_14default_configENS1_27scan_by_key_config_selectorIj11FixedVectorIiLj4EEEEZZNS1_16scan_by_key_implILNS1_25lookback_scan_determinismE0ELb1ES3_N6thrust23THRUST_200600_302600_NS6detail15normal_iteratorINSB_10device_ptrIjEEEENSD_INSE_IS6_EEEESI_S6_NSB_4plusIvEENSB_8equal_toIvEES6_EE10hipError_tPvRmT2_T3_T4_T5_mT6_T7_P12ihipStream_tbENKUlT_T0_E_clISt17integral_constantIbLb0EES13_EEDaSY_SZ_EUlSY_E_NS1_11comp_targetILNS1_3genE9ELNS1_11target_archE1100ELNS1_3gpuE3ELNS1_3repE0EEENS1_30default_config_static_selectorELNS0_4arch9wavefront6targetE0EEEvT1_.has_dyn_sized_stack, 0
	.set _ZN7rocprim17ROCPRIM_400000_NS6detail17trampoline_kernelINS0_14default_configENS1_27scan_by_key_config_selectorIj11FixedVectorIiLj4EEEEZZNS1_16scan_by_key_implILNS1_25lookback_scan_determinismE0ELb1ES3_N6thrust23THRUST_200600_302600_NS6detail15normal_iteratorINSB_10device_ptrIjEEEENSD_INSE_IS6_EEEESI_S6_NSB_4plusIvEENSB_8equal_toIvEES6_EE10hipError_tPvRmT2_T3_T4_T5_mT6_T7_P12ihipStream_tbENKUlT_T0_E_clISt17integral_constantIbLb0EES13_EEDaSY_SZ_EUlSY_E_NS1_11comp_targetILNS1_3genE9ELNS1_11target_archE1100ELNS1_3gpuE3ELNS1_3repE0EEENS1_30default_config_static_selectorELNS0_4arch9wavefront6targetE0EEEvT1_.has_recursion, 0
	.set _ZN7rocprim17ROCPRIM_400000_NS6detail17trampoline_kernelINS0_14default_configENS1_27scan_by_key_config_selectorIj11FixedVectorIiLj4EEEEZZNS1_16scan_by_key_implILNS1_25lookback_scan_determinismE0ELb1ES3_N6thrust23THRUST_200600_302600_NS6detail15normal_iteratorINSB_10device_ptrIjEEEENSD_INSE_IS6_EEEESI_S6_NSB_4plusIvEENSB_8equal_toIvEES6_EE10hipError_tPvRmT2_T3_T4_T5_mT6_T7_P12ihipStream_tbENKUlT_T0_E_clISt17integral_constantIbLb0EES13_EEDaSY_SZ_EUlSY_E_NS1_11comp_targetILNS1_3genE9ELNS1_11target_archE1100ELNS1_3gpuE3ELNS1_3repE0EEENS1_30default_config_static_selectorELNS0_4arch9wavefront6targetE0EEEvT1_.has_indirect_call, 0
	.section	.AMDGPU.csdata,"",@progbits
; Kernel info:
; codeLenInByte = 0
; TotalNumSgprs: 0
; NumVgprs: 0
; ScratchSize: 0
; MemoryBound: 0
; FloatMode: 240
; IeeeMode: 1
; LDSByteSize: 0 bytes/workgroup (compile time only)
; SGPRBlocks: 0
; VGPRBlocks: 0
; NumSGPRsForWavesPerEU: 1
; NumVGPRsForWavesPerEU: 1
; NamedBarCnt: 0
; Occupancy: 16
; WaveLimiterHint : 0
; COMPUTE_PGM_RSRC2:SCRATCH_EN: 0
; COMPUTE_PGM_RSRC2:USER_SGPR: 2
; COMPUTE_PGM_RSRC2:TRAP_HANDLER: 0
; COMPUTE_PGM_RSRC2:TGID_X_EN: 1
; COMPUTE_PGM_RSRC2:TGID_Y_EN: 0
; COMPUTE_PGM_RSRC2:TGID_Z_EN: 0
; COMPUTE_PGM_RSRC2:TIDIG_COMP_CNT: 0
	.section	.text._ZN7rocprim17ROCPRIM_400000_NS6detail17trampoline_kernelINS0_14default_configENS1_27scan_by_key_config_selectorIj11FixedVectorIiLj4EEEEZZNS1_16scan_by_key_implILNS1_25lookback_scan_determinismE0ELb1ES3_N6thrust23THRUST_200600_302600_NS6detail15normal_iteratorINSB_10device_ptrIjEEEENSD_INSE_IS6_EEEESI_S6_NSB_4plusIvEENSB_8equal_toIvEES6_EE10hipError_tPvRmT2_T3_T4_T5_mT6_T7_P12ihipStream_tbENKUlT_T0_E_clISt17integral_constantIbLb0EES13_EEDaSY_SZ_EUlSY_E_NS1_11comp_targetILNS1_3genE8ELNS1_11target_archE1030ELNS1_3gpuE2ELNS1_3repE0EEENS1_30default_config_static_selectorELNS0_4arch9wavefront6targetE0EEEvT1_,"axG",@progbits,_ZN7rocprim17ROCPRIM_400000_NS6detail17trampoline_kernelINS0_14default_configENS1_27scan_by_key_config_selectorIj11FixedVectorIiLj4EEEEZZNS1_16scan_by_key_implILNS1_25lookback_scan_determinismE0ELb1ES3_N6thrust23THRUST_200600_302600_NS6detail15normal_iteratorINSB_10device_ptrIjEEEENSD_INSE_IS6_EEEESI_S6_NSB_4plusIvEENSB_8equal_toIvEES6_EE10hipError_tPvRmT2_T3_T4_T5_mT6_T7_P12ihipStream_tbENKUlT_T0_E_clISt17integral_constantIbLb0EES13_EEDaSY_SZ_EUlSY_E_NS1_11comp_targetILNS1_3genE8ELNS1_11target_archE1030ELNS1_3gpuE2ELNS1_3repE0EEENS1_30default_config_static_selectorELNS0_4arch9wavefront6targetE0EEEvT1_,comdat
	.protected	_ZN7rocprim17ROCPRIM_400000_NS6detail17trampoline_kernelINS0_14default_configENS1_27scan_by_key_config_selectorIj11FixedVectorIiLj4EEEEZZNS1_16scan_by_key_implILNS1_25lookback_scan_determinismE0ELb1ES3_N6thrust23THRUST_200600_302600_NS6detail15normal_iteratorINSB_10device_ptrIjEEEENSD_INSE_IS6_EEEESI_S6_NSB_4plusIvEENSB_8equal_toIvEES6_EE10hipError_tPvRmT2_T3_T4_T5_mT6_T7_P12ihipStream_tbENKUlT_T0_E_clISt17integral_constantIbLb0EES13_EEDaSY_SZ_EUlSY_E_NS1_11comp_targetILNS1_3genE8ELNS1_11target_archE1030ELNS1_3gpuE2ELNS1_3repE0EEENS1_30default_config_static_selectorELNS0_4arch9wavefront6targetE0EEEvT1_ ; -- Begin function _ZN7rocprim17ROCPRIM_400000_NS6detail17trampoline_kernelINS0_14default_configENS1_27scan_by_key_config_selectorIj11FixedVectorIiLj4EEEEZZNS1_16scan_by_key_implILNS1_25lookback_scan_determinismE0ELb1ES3_N6thrust23THRUST_200600_302600_NS6detail15normal_iteratorINSB_10device_ptrIjEEEENSD_INSE_IS6_EEEESI_S6_NSB_4plusIvEENSB_8equal_toIvEES6_EE10hipError_tPvRmT2_T3_T4_T5_mT6_T7_P12ihipStream_tbENKUlT_T0_E_clISt17integral_constantIbLb0EES13_EEDaSY_SZ_EUlSY_E_NS1_11comp_targetILNS1_3genE8ELNS1_11target_archE1030ELNS1_3gpuE2ELNS1_3repE0EEENS1_30default_config_static_selectorELNS0_4arch9wavefront6targetE0EEEvT1_
	.globl	_ZN7rocprim17ROCPRIM_400000_NS6detail17trampoline_kernelINS0_14default_configENS1_27scan_by_key_config_selectorIj11FixedVectorIiLj4EEEEZZNS1_16scan_by_key_implILNS1_25lookback_scan_determinismE0ELb1ES3_N6thrust23THRUST_200600_302600_NS6detail15normal_iteratorINSB_10device_ptrIjEEEENSD_INSE_IS6_EEEESI_S6_NSB_4plusIvEENSB_8equal_toIvEES6_EE10hipError_tPvRmT2_T3_T4_T5_mT6_T7_P12ihipStream_tbENKUlT_T0_E_clISt17integral_constantIbLb0EES13_EEDaSY_SZ_EUlSY_E_NS1_11comp_targetILNS1_3genE8ELNS1_11target_archE1030ELNS1_3gpuE2ELNS1_3repE0EEENS1_30default_config_static_selectorELNS0_4arch9wavefront6targetE0EEEvT1_
	.p2align	8
	.type	_ZN7rocprim17ROCPRIM_400000_NS6detail17trampoline_kernelINS0_14default_configENS1_27scan_by_key_config_selectorIj11FixedVectorIiLj4EEEEZZNS1_16scan_by_key_implILNS1_25lookback_scan_determinismE0ELb1ES3_N6thrust23THRUST_200600_302600_NS6detail15normal_iteratorINSB_10device_ptrIjEEEENSD_INSE_IS6_EEEESI_S6_NSB_4plusIvEENSB_8equal_toIvEES6_EE10hipError_tPvRmT2_T3_T4_T5_mT6_T7_P12ihipStream_tbENKUlT_T0_E_clISt17integral_constantIbLb0EES13_EEDaSY_SZ_EUlSY_E_NS1_11comp_targetILNS1_3genE8ELNS1_11target_archE1030ELNS1_3gpuE2ELNS1_3repE0EEENS1_30default_config_static_selectorELNS0_4arch9wavefront6targetE0EEEvT1_,@function
_ZN7rocprim17ROCPRIM_400000_NS6detail17trampoline_kernelINS0_14default_configENS1_27scan_by_key_config_selectorIj11FixedVectorIiLj4EEEEZZNS1_16scan_by_key_implILNS1_25lookback_scan_determinismE0ELb1ES3_N6thrust23THRUST_200600_302600_NS6detail15normal_iteratorINSB_10device_ptrIjEEEENSD_INSE_IS6_EEEESI_S6_NSB_4plusIvEENSB_8equal_toIvEES6_EE10hipError_tPvRmT2_T3_T4_T5_mT6_T7_P12ihipStream_tbENKUlT_T0_E_clISt17integral_constantIbLb0EES13_EEDaSY_SZ_EUlSY_E_NS1_11comp_targetILNS1_3genE8ELNS1_11target_archE1030ELNS1_3gpuE2ELNS1_3repE0EEENS1_30default_config_static_selectorELNS0_4arch9wavefront6targetE0EEEvT1_: ; @_ZN7rocprim17ROCPRIM_400000_NS6detail17trampoline_kernelINS0_14default_configENS1_27scan_by_key_config_selectorIj11FixedVectorIiLj4EEEEZZNS1_16scan_by_key_implILNS1_25lookback_scan_determinismE0ELb1ES3_N6thrust23THRUST_200600_302600_NS6detail15normal_iteratorINSB_10device_ptrIjEEEENSD_INSE_IS6_EEEESI_S6_NSB_4plusIvEENSB_8equal_toIvEES6_EE10hipError_tPvRmT2_T3_T4_T5_mT6_T7_P12ihipStream_tbENKUlT_T0_E_clISt17integral_constantIbLb0EES13_EEDaSY_SZ_EUlSY_E_NS1_11comp_targetILNS1_3genE8ELNS1_11target_archE1030ELNS1_3gpuE2ELNS1_3repE0EEENS1_30default_config_static_selectorELNS0_4arch9wavefront6targetE0EEEvT1_
; %bb.0:
	.section	.rodata,"a",@progbits
	.p2align	6, 0x0
	.amdhsa_kernel _ZN7rocprim17ROCPRIM_400000_NS6detail17trampoline_kernelINS0_14default_configENS1_27scan_by_key_config_selectorIj11FixedVectorIiLj4EEEEZZNS1_16scan_by_key_implILNS1_25lookback_scan_determinismE0ELb1ES3_N6thrust23THRUST_200600_302600_NS6detail15normal_iteratorINSB_10device_ptrIjEEEENSD_INSE_IS6_EEEESI_S6_NSB_4plusIvEENSB_8equal_toIvEES6_EE10hipError_tPvRmT2_T3_T4_T5_mT6_T7_P12ihipStream_tbENKUlT_T0_E_clISt17integral_constantIbLb0EES13_EEDaSY_SZ_EUlSY_E_NS1_11comp_targetILNS1_3genE8ELNS1_11target_archE1030ELNS1_3gpuE2ELNS1_3repE0EEENS1_30default_config_static_selectorELNS0_4arch9wavefront6targetE0EEEvT1_
		.amdhsa_group_segment_fixed_size 0
		.amdhsa_private_segment_fixed_size 0
		.amdhsa_kernarg_size 144
		.amdhsa_user_sgpr_count 2
		.amdhsa_user_sgpr_dispatch_ptr 0
		.amdhsa_user_sgpr_queue_ptr 0
		.amdhsa_user_sgpr_kernarg_segment_ptr 1
		.amdhsa_user_sgpr_dispatch_id 0
		.amdhsa_user_sgpr_kernarg_preload_length 0
		.amdhsa_user_sgpr_kernarg_preload_offset 0
		.amdhsa_user_sgpr_private_segment_size 0
		.amdhsa_wavefront_size32 1
		.amdhsa_uses_dynamic_stack 0
		.amdhsa_enable_private_segment 0
		.amdhsa_system_sgpr_workgroup_id_x 1
		.amdhsa_system_sgpr_workgroup_id_y 0
		.amdhsa_system_sgpr_workgroup_id_z 0
		.amdhsa_system_sgpr_workgroup_info 0
		.amdhsa_system_vgpr_workitem_id 0
		.amdhsa_next_free_vgpr 1
		.amdhsa_next_free_sgpr 1
		.amdhsa_named_barrier_count 0
		.amdhsa_reserve_vcc 0
		.amdhsa_float_round_mode_32 0
		.amdhsa_float_round_mode_16_64 0
		.amdhsa_float_denorm_mode_32 3
		.amdhsa_float_denorm_mode_16_64 3
		.amdhsa_fp16_overflow 0
		.amdhsa_memory_ordered 1
		.amdhsa_forward_progress 1
		.amdhsa_inst_pref_size 0
		.amdhsa_round_robin_scheduling 0
		.amdhsa_exception_fp_ieee_invalid_op 0
		.amdhsa_exception_fp_denorm_src 0
		.amdhsa_exception_fp_ieee_div_zero 0
		.amdhsa_exception_fp_ieee_overflow 0
		.amdhsa_exception_fp_ieee_underflow 0
		.amdhsa_exception_fp_ieee_inexact 0
		.amdhsa_exception_int_div_zero 0
	.end_amdhsa_kernel
	.section	.text._ZN7rocprim17ROCPRIM_400000_NS6detail17trampoline_kernelINS0_14default_configENS1_27scan_by_key_config_selectorIj11FixedVectorIiLj4EEEEZZNS1_16scan_by_key_implILNS1_25lookback_scan_determinismE0ELb1ES3_N6thrust23THRUST_200600_302600_NS6detail15normal_iteratorINSB_10device_ptrIjEEEENSD_INSE_IS6_EEEESI_S6_NSB_4plusIvEENSB_8equal_toIvEES6_EE10hipError_tPvRmT2_T3_T4_T5_mT6_T7_P12ihipStream_tbENKUlT_T0_E_clISt17integral_constantIbLb0EES13_EEDaSY_SZ_EUlSY_E_NS1_11comp_targetILNS1_3genE8ELNS1_11target_archE1030ELNS1_3gpuE2ELNS1_3repE0EEENS1_30default_config_static_selectorELNS0_4arch9wavefront6targetE0EEEvT1_,"axG",@progbits,_ZN7rocprim17ROCPRIM_400000_NS6detail17trampoline_kernelINS0_14default_configENS1_27scan_by_key_config_selectorIj11FixedVectorIiLj4EEEEZZNS1_16scan_by_key_implILNS1_25lookback_scan_determinismE0ELb1ES3_N6thrust23THRUST_200600_302600_NS6detail15normal_iteratorINSB_10device_ptrIjEEEENSD_INSE_IS6_EEEESI_S6_NSB_4plusIvEENSB_8equal_toIvEES6_EE10hipError_tPvRmT2_T3_T4_T5_mT6_T7_P12ihipStream_tbENKUlT_T0_E_clISt17integral_constantIbLb0EES13_EEDaSY_SZ_EUlSY_E_NS1_11comp_targetILNS1_3genE8ELNS1_11target_archE1030ELNS1_3gpuE2ELNS1_3repE0EEENS1_30default_config_static_selectorELNS0_4arch9wavefront6targetE0EEEvT1_,comdat
.Lfunc_end2083:
	.size	_ZN7rocprim17ROCPRIM_400000_NS6detail17trampoline_kernelINS0_14default_configENS1_27scan_by_key_config_selectorIj11FixedVectorIiLj4EEEEZZNS1_16scan_by_key_implILNS1_25lookback_scan_determinismE0ELb1ES3_N6thrust23THRUST_200600_302600_NS6detail15normal_iteratorINSB_10device_ptrIjEEEENSD_INSE_IS6_EEEESI_S6_NSB_4plusIvEENSB_8equal_toIvEES6_EE10hipError_tPvRmT2_T3_T4_T5_mT6_T7_P12ihipStream_tbENKUlT_T0_E_clISt17integral_constantIbLb0EES13_EEDaSY_SZ_EUlSY_E_NS1_11comp_targetILNS1_3genE8ELNS1_11target_archE1030ELNS1_3gpuE2ELNS1_3repE0EEENS1_30default_config_static_selectorELNS0_4arch9wavefront6targetE0EEEvT1_, .Lfunc_end2083-_ZN7rocprim17ROCPRIM_400000_NS6detail17trampoline_kernelINS0_14default_configENS1_27scan_by_key_config_selectorIj11FixedVectorIiLj4EEEEZZNS1_16scan_by_key_implILNS1_25lookback_scan_determinismE0ELb1ES3_N6thrust23THRUST_200600_302600_NS6detail15normal_iteratorINSB_10device_ptrIjEEEENSD_INSE_IS6_EEEESI_S6_NSB_4plusIvEENSB_8equal_toIvEES6_EE10hipError_tPvRmT2_T3_T4_T5_mT6_T7_P12ihipStream_tbENKUlT_T0_E_clISt17integral_constantIbLb0EES13_EEDaSY_SZ_EUlSY_E_NS1_11comp_targetILNS1_3genE8ELNS1_11target_archE1030ELNS1_3gpuE2ELNS1_3repE0EEENS1_30default_config_static_selectorELNS0_4arch9wavefront6targetE0EEEvT1_
                                        ; -- End function
	.set _ZN7rocprim17ROCPRIM_400000_NS6detail17trampoline_kernelINS0_14default_configENS1_27scan_by_key_config_selectorIj11FixedVectorIiLj4EEEEZZNS1_16scan_by_key_implILNS1_25lookback_scan_determinismE0ELb1ES3_N6thrust23THRUST_200600_302600_NS6detail15normal_iteratorINSB_10device_ptrIjEEEENSD_INSE_IS6_EEEESI_S6_NSB_4plusIvEENSB_8equal_toIvEES6_EE10hipError_tPvRmT2_T3_T4_T5_mT6_T7_P12ihipStream_tbENKUlT_T0_E_clISt17integral_constantIbLb0EES13_EEDaSY_SZ_EUlSY_E_NS1_11comp_targetILNS1_3genE8ELNS1_11target_archE1030ELNS1_3gpuE2ELNS1_3repE0EEENS1_30default_config_static_selectorELNS0_4arch9wavefront6targetE0EEEvT1_.num_vgpr, 0
	.set _ZN7rocprim17ROCPRIM_400000_NS6detail17trampoline_kernelINS0_14default_configENS1_27scan_by_key_config_selectorIj11FixedVectorIiLj4EEEEZZNS1_16scan_by_key_implILNS1_25lookback_scan_determinismE0ELb1ES3_N6thrust23THRUST_200600_302600_NS6detail15normal_iteratorINSB_10device_ptrIjEEEENSD_INSE_IS6_EEEESI_S6_NSB_4plusIvEENSB_8equal_toIvEES6_EE10hipError_tPvRmT2_T3_T4_T5_mT6_T7_P12ihipStream_tbENKUlT_T0_E_clISt17integral_constantIbLb0EES13_EEDaSY_SZ_EUlSY_E_NS1_11comp_targetILNS1_3genE8ELNS1_11target_archE1030ELNS1_3gpuE2ELNS1_3repE0EEENS1_30default_config_static_selectorELNS0_4arch9wavefront6targetE0EEEvT1_.num_agpr, 0
	.set _ZN7rocprim17ROCPRIM_400000_NS6detail17trampoline_kernelINS0_14default_configENS1_27scan_by_key_config_selectorIj11FixedVectorIiLj4EEEEZZNS1_16scan_by_key_implILNS1_25lookback_scan_determinismE0ELb1ES3_N6thrust23THRUST_200600_302600_NS6detail15normal_iteratorINSB_10device_ptrIjEEEENSD_INSE_IS6_EEEESI_S6_NSB_4plusIvEENSB_8equal_toIvEES6_EE10hipError_tPvRmT2_T3_T4_T5_mT6_T7_P12ihipStream_tbENKUlT_T0_E_clISt17integral_constantIbLb0EES13_EEDaSY_SZ_EUlSY_E_NS1_11comp_targetILNS1_3genE8ELNS1_11target_archE1030ELNS1_3gpuE2ELNS1_3repE0EEENS1_30default_config_static_selectorELNS0_4arch9wavefront6targetE0EEEvT1_.numbered_sgpr, 0
	.set _ZN7rocprim17ROCPRIM_400000_NS6detail17trampoline_kernelINS0_14default_configENS1_27scan_by_key_config_selectorIj11FixedVectorIiLj4EEEEZZNS1_16scan_by_key_implILNS1_25lookback_scan_determinismE0ELb1ES3_N6thrust23THRUST_200600_302600_NS6detail15normal_iteratorINSB_10device_ptrIjEEEENSD_INSE_IS6_EEEESI_S6_NSB_4plusIvEENSB_8equal_toIvEES6_EE10hipError_tPvRmT2_T3_T4_T5_mT6_T7_P12ihipStream_tbENKUlT_T0_E_clISt17integral_constantIbLb0EES13_EEDaSY_SZ_EUlSY_E_NS1_11comp_targetILNS1_3genE8ELNS1_11target_archE1030ELNS1_3gpuE2ELNS1_3repE0EEENS1_30default_config_static_selectorELNS0_4arch9wavefront6targetE0EEEvT1_.num_named_barrier, 0
	.set _ZN7rocprim17ROCPRIM_400000_NS6detail17trampoline_kernelINS0_14default_configENS1_27scan_by_key_config_selectorIj11FixedVectorIiLj4EEEEZZNS1_16scan_by_key_implILNS1_25lookback_scan_determinismE0ELb1ES3_N6thrust23THRUST_200600_302600_NS6detail15normal_iteratorINSB_10device_ptrIjEEEENSD_INSE_IS6_EEEESI_S6_NSB_4plusIvEENSB_8equal_toIvEES6_EE10hipError_tPvRmT2_T3_T4_T5_mT6_T7_P12ihipStream_tbENKUlT_T0_E_clISt17integral_constantIbLb0EES13_EEDaSY_SZ_EUlSY_E_NS1_11comp_targetILNS1_3genE8ELNS1_11target_archE1030ELNS1_3gpuE2ELNS1_3repE0EEENS1_30default_config_static_selectorELNS0_4arch9wavefront6targetE0EEEvT1_.private_seg_size, 0
	.set _ZN7rocprim17ROCPRIM_400000_NS6detail17trampoline_kernelINS0_14default_configENS1_27scan_by_key_config_selectorIj11FixedVectorIiLj4EEEEZZNS1_16scan_by_key_implILNS1_25lookback_scan_determinismE0ELb1ES3_N6thrust23THRUST_200600_302600_NS6detail15normal_iteratorINSB_10device_ptrIjEEEENSD_INSE_IS6_EEEESI_S6_NSB_4plusIvEENSB_8equal_toIvEES6_EE10hipError_tPvRmT2_T3_T4_T5_mT6_T7_P12ihipStream_tbENKUlT_T0_E_clISt17integral_constantIbLb0EES13_EEDaSY_SZ_EUlSY_E_NS1_11comp_targetILNS1_3genE8ELNS1_11target_archE1030ELNS1_3gpuE2ELNS1_3repE0EEENS1_30default_config_static_selectorELNS0_4arch9wavefront6targetE0EEEvT1_.uses_vcc, 0
	.set _ZN7rocprim17ROCPRIM_400000_NS6detail17trampoline_kernelINS0_14default_configENS1_27scan_by_key_config_selectorIj11FixedVectorIiLj4EEEEZZNS1_16scan_by_key_implILNS1_25lookback_scan_determinismE0ELb1ES3_N6thrust23THRUST_200600_302600_NS6detail15normal_iteratorINSB_10device_ptrIjEEEENSD_INSE_IS6_EEEESI_S6_NSB_4plusIvEENSB_8equal_toIvEES6_EE10hipError_tPvRmT2_T3_T4_T5_mT6_T7_P12ihipStream_tbENKUlT_T0_E_clISt17integral_constantIbLb0EES13_EEDaSY_SZ_EUlSY_E_NS1_11comp_targetILNS1_3genE8ELNS1_11target_archE1030ELNS1_3gpuE2ELNS1_3repE0EEENS1_30default_config_static_selectorELNS0_4arch9wavefront6targetE0EEEvT1_.uses_flat_scratch, 0
	.set _ZN7rocprim17ROCPRIM_400000_NS6detail17trampoline_kernelINS0_14default_configENS1_27scan_by_key_config_selectorIj11FixedVectorIiLj4EEEEZZNS1_16scan_by_key_implILNS1_25lookback_scan_determinismE0ELb1ES3_N6thrust23THRUST_200600_302600_NS6detail15normal_iteratorINSB_10device_ptrIjEEEENSD_INSE_IS6_EEEESI_S6_NSB_4plusIvEENSB_8equal_toIvEES6_EE10hipError_tPvRmT2_T3_T4_T5_mT6_T7_P12ihipStream_tbENKUlT_T0_E_clISt17integral_constantIbLb0EES13_EEDaSY_SZ_EUlSY_E_NS1_11comp_targetILNS1_3genE8ELNS1_11target_archE1030ELNS1_3gpuE2ELNS1_3repE0EEENS1_30default_config_static_selectorELNS0_4arch9wavefront6targetE0EEEvT1_.has_dyn_sized_stack, 0
	.set _ZN7rocprim17ROCPRIM_400000_NS6detail17trampoline_kernelINS0_14default_configENS1_27scan_by_key_config_selectorIj11FixedVectorIiLj4EEEEZZNS1_16scan_by_key_implILNS1_25lookback_scan_determinismE0ELb1ES3_N6thrust23THRUST_200600_302600_NS6detail15normal_iteratorINSB_10device_ptrIjEEEENSD_INSE_IS6_EEEESI_S6_NSB_4plusIvEENSB_8equal_toIvEES6_EE10hipError_tPvRmT2_T3_T4_T5_mT6_T7_P12ihipStream_tbENKUlT_T0_E_clISt17integral_constantIbLb0EES13_EEDaSY_SZ_EUlSY_E_NS1_11comp_targetILNS1_3genE8ELNS1_11target_archE1030ELNS1_3gpuE2ELNS1_3repE0EEENS1_30default_config_static_selectorELNS0_4arch9wavefront6targetE0EEEvT1_.has_recursion, 0
	.set _ZN7rocprim17ROCPRIM_400000_NS6detail17trampoline_kernelINS0_14default_configENS1_27scan_by_key_config_selectorIj11FixedVectorIiLj4EEEEZZNS1_16scan_by_key_implILNS1_25lookback_scan_determinismE0ELb1ES3_N6thrust23THRUST_200600_302600_NS6detail15normal_iteratorINSB_10device_ptrIjEEEENSD_INSE_IS6_EEEESI_S6_NSB_4plusIvEENSB_8equal_toIvEES6_EE10hipError_tPvRmT2_T3_T4_T5_mT6_T7_P12ihipStream_tbENKUlT_T0_E_clISt17integral_constantIbLb0EES13_EEDaSY_SZ_EUlSY_E_NS1_11comp_targetILNS1_3genE8ELNS1_11target_archE1030ELNS1_3gpuE2ELNS1_3repE0EEENS1_30default_config_static_selectorELNS0_4arch9wavefront6targetE0EEEvT1_.has_indirect_call, 0
	.section	.AMDGPU.csdata,"",@progbits
; Kernel info:
; codeLenInByte = 0
; TotalNumSgprs: 0
; NumVgprs: 0
; ScratchSize: 0
; MemoryBound: 0
; FloatMode: 240
; IeeeMode: 1
; LDSByteSize: 0 bytes/workgroup (compile time only)
; SGPRBlocks: 0
; VGPRBlocks: 0
; NumSGPRsForWavesPerEU: 1
; NumVGPRsForWavesPerEU: 1
; NamedBarCnt: 0
; Occupancy: 16
; WaveLimiterHint : 0
; COMPUTE_PGM_RSRC2:SCRATCH_EN: 0
; COMPUTE_PGM_RSRC2:USER_SGPR: 2
; COMPUTE_PGM_RSRC2:TRAP_HANDLER: 0
; COMPUTE_PGM_RSRC2:TGID_X_EN: 1
; COMPUTE_PGM_RSRC2:TGID_Y_EN: 0
; COMPUTE_PGM_RSRC2:TGID_Z_EN: 0
; COMPUTE_PGM_RSRC2:TIDIG_COMP_CNT: 0
	.section	.text._ZN7rocprim17ROCPRIM_400000_NS6detail17trampoline_kernelINS0_14default_configENS1_27scan_by_key_config_selectorIj11FixedVectorIiLj4EEEEZZNS1_16scan_by_key_implILNS1_25lookback_scan_determinismE0ELb1ES3_N6thrust23THRUST_200600_302600_NS6detail15normal_iteratorINSB_10device_ptrIjEEEENSD_INSE_IS6_EEEESI_S6_NSB_4plusIvEENSB_8equal_toIvEES6_EE10hipError_tPvRmT2_T3_T4_T5_mT6_T7_P12ihipStream_tbENKUlT_T0_E_clISt17integral_constantIbLb1EES13_EEDaSY_SZ_EUlSY_E_NS1_11comp_targetILNS1_3genE0ELNS1_11target_archE4294967295ELNS1_3gpuE0ELNS1_3repE0EEENS1_30default_config_static_selectorELNS0_4arch9wavefront6targetE0EEEvT1_,"axG",@progbits,_ZN7rocprim17ROCPRIM_400000_NS6detail17trampoline_kernelINS0_14default_configENS1_27scan_by_key_config_selectorIj11FixedVectorIiLj4EEEEZZNS1_16scan_by_key_implILNS1_25lookback_scan_determinismE0ELb1ES3_N6thrust23THRUST_200600_302600_NS6detail15normal_iteratorINSB_10device_ptrIjEEEENSD_INSE_IS6_EEEESI_S6_NSB_4plusIvEENSB_8equal_toIvEES6_EE10hipError_tPvRmT2_T3_T4_T5_mT6_T7_P12ihipStream_tbENKUlT_T0_E_clISt17integral_constantIbLb1EES13_EEDaSY_SZ_EUlSY_E_NS1_11comp_targetILNS1_3genE0ELNS1_11target_archE4294967295ELNS1_3gpuE0ELNS1_3repE0EEENS1_30default_config_static_selectorELNS0_4arch9wavefront6targetE0EEEvT1_,comdat
	.protected	_ZN7rocprim17ROCPRIM_400000_NS6detail17trampoline_kernelINS0_14default_configENS1_27scan_by_key_config_selectorIj11FixedVectorIiLj4EEEEZZNS1_16scan_by_key_implILNS1_25lookback_scan_determinismE0ELb1ES3_N6thrust23THRUST_200600_302600_NS6detail15normal_iteratorINSB_10device_ptrIjEEEENSD_INSE_IS6_EEEESI_S6_NSB_4plusIvEENSB_8equal_toIvEES6_EE10hipError_tPvRmT2_T3_T4_T5_mT6_T7_P12ihipStream_tbENKUlT_T0_E_clISt17integral_constantIbLb1EES13_EEDaSY_SZ_EUlSY_E_NS1_11comp_targetILNS1_3genE0ELNS1_11target_archE4294967295ELNS1_3gpuE0ELNS1_3repE0EEENS1_30default_config_static_selectorELNS0_4arch9wavefront6targetE0EEEvT1_ ; -- Begin function _ZN7rocprim17ROCPRIM_400000_NS6detail17trampoline_kernelINS0_14default_configENS1_27scan_by_key_config_selectorIj11FixedVectorIiLj4EEEEZZNS1_16scan_by_key_implILNS1_25lookback_scan_determinismE0ELb1ES3_N6thrust23THRUST_200600_302600_NS6detail15normal_iteratorINSB_10device_ptrIjEEEENSD_INSE_IS6_EEEESI_S6_NSB_4plusIvEENSB_8equal_toIvEES6_EE10hipError_tPvRmT2_T3_T4_T5_mT6_T7_P12ihipStream_tbENKUlT_T0_E_clISt17integral_constantIbLb1EES13_EEDaSY_SZ_EUlSY_E_NS1_11comp_targetILNS1_3genE0ELNS1_11target_archE4294967295ELNS1_3gpuE0ELNS1_3repE0EEENS1_30default_config_static_selectorELNS0_4arch9wavefront6targetE0EEEvT1_
	.globl	_ZN7rocprim17ROCPRIM_400000_NS6detail17trampoline_kernelINS0_14default_configENS1_27scan_by_key_config_selectorIj11FixedVectorIiLj4EEEEZZNS1_16scan_by_key_implILNS1_25lookback_scan_determinismE0ELb1ES3_N6thrust23THRUST_200600_302600_NS6detail15normal_iteratorINSB_10device_ptrIjEEEENSD_INSE_IS6_EEEESI_S6_NSB_4plusIvEENSB_8equal_toIvEES6_EE10hipError_tPvRmT2_T3_T4_T5_mT6_T7_P12ihipStream_tbENKUlT_T0_E_clISt17integral_constantIbLb1EES13_EEDaSY_SZ_EUlSY_E_NS1_11comp_targetILNS1_3genE0ELNS1_11target_archE4294967295ELNS1_3gpuE0ELNS1_3repE0EEENS1_30default_config_static_selectorELNS0_4arch9wavefront6targetE0EEEvT1_
	.p2align	8
	.type	_ZN7rocprim17ROCPRIM_400000_NS6detail17trampoline_kernelINS0_14default_configENS1_27scan_by_key_config_selectorIj11FixedVectorIiLj4EEEEZZNS1_16scan_by_key_implILNS1_25lookback_scan_determinismE0ELb1ES3_N6thrust23THRUST_200600_302600_NS6detail15normal_iteratorINSB_10device_ptrIjEEEENSD_INSE_IS6_EEEESI_S6_NSB_4plusIvEENSB_8equal_toIvEES6_EE10hipError_tPvRmT2_T3_T4_T5_mT6_T7_P12ihipStream_tbENKUlT_T0_E_clISt17integral_constantIbLb1EES13_EEDaSY_SZ_EUlSY_E_NS1_11comp_targetILNS1_3genE0ELNS1_11target_archE4294967295ELNS1_3gpuE0ELNS1_3repE0EEENS1_30default_config_static_selectorELNS0_4arch9wavefront6targetE0EEEvT1_,@function
_ZN7rocprim17ROCPRIM_400000_NS6detail17trampoline_kernelINS0_14default_configENS1_27scan_by_key_config_selectorIj11FixedVectorIiLj4EEEEZZNS1_16scan_by_key_implILNS1_25lookback_scan_determinismE0ELb1ES3_N6thrust23THRUST_200600_302600_NS6detail15normal_iteratorINSB_10device_ptrIjEEEENSD_INSE_IS6_EEEESI_S6_NSB_4plusIvEENSB_8equal_toIvEES6_EE10hipError_tPvRmT2_T3_T4_T5_mT6_T7_P12ihipStream_tbENKUlT_T0_E_clISt17integral_constantIbLb1EES13_EEDaSY_SZ_EUlSY_E_NS1_11comp_targetILNS1_3genE0ELNS1_11target_archE4294967295ELNS1_3gpuE0ELNS1_3repE0EEENS1_30default_config_static_selectorELNS0_4arch9wavefront6targetE0EEEvT1_: ; @_ZN7rocprim17ROCPRIM_400000_NS6detail17trampoline_kernelINS0_14default_configENS1_27scan_by_key_config_selectorIj11FixedVectorIiLj4EEEEZZNS1_16scan_by_key_implILNS1_25lookback_scan_determinismE0ELb1ES3_N6thrust23THRUST_200600_302600_NS6detail15normal_iteratorINSB_10device_ptrIjEEEENSD_INSE_IS6_EEEESI_S6_NSB_4plusIvEENSB_8equal_toIvEES6_EE10hipError_tPvRmT2_T3_T4_T5_mT6_T7_P12ihipStream_tbENKUlT_T0_E_clISt17integral_constantIbLb1EES13_EEDaSY_SZ_EUlSY_E_NS1_11comp_targetILNS1_3genE0ELNS1_11target_archE4294967295ELNS1_3gpuE0ELNS1_3repE0EEENS1_30default_config_static_selectorELNS0_4arch9wavefront6targetE0EEEvT1_
; %bb.0:
	s_endpgm
	.section	.rodata,"a",@progbits
	.p2align	6, 0x0
	.amdhsa_kernel _ZN7rocprim17ROCPRIM_400000_NS6detail17trampoline_kernelINS0_14default_configENS1_27scan_by_key_config_selectorIj11FixedVectorIiLj4EEEEZZNS1_16scan_by_key_implILNS1_25lookback_scan_determinismE0ELb1ES3_N6thrust23THRUST_200600_302600_NS6detail15normal_iteratorINSB_10device_ptrIjEEEENSD_INSE_IS6_EEEESI_S6_NSB_4plusIvEENSB_8equal_toIvEES6_EE10hipError_tPvRmT2_T3_T4_T5_mT6_T7_P12ihipStream_tbENKUlT_T0_E_clISt17integral_constantIbLb1EES13_EEDaSY_SZ_EUlSY_E_NS1_11comp_targetILNS1_3genE0ELNS1_11target_archE4294967295ELNS1_3gpuE0ELNS1_3repE0EEENS1_30default_config_static_selectorELNS0_4arch9wavefront6targetE0EEEvT1_
		.amdhsa_group_segment_fixed_size 0
		.amdhsa_private_segment_fixed_size 0
		.amdhsa_kernarg_size 144
		.amdhsa_user_sgpr_count 2
		.amdhsa_user_sgpr_dispatch_ptr 0
		.amdhsa_user_sgpr_queue_ptr 0
		.amdhsa_user_sgpr_kernarg_segment_ptr 1
		.amdhsa_user_sgpr_dispatch_id 0
		.amdhsa_user_sgpr_kernarg_preload_length 0
		.amdhsa_user_sgpr_kernarg_preload_offset 0
		.amdhsa_user_sgpr_private_segment_size 0
		.amdhsa_wavefront_size32 1
		.amdhsa_uses_dynamic_stack 0
		.amdhsa_enable_private_segment 0
		.amdhsa_system_sgpr_workgroup_id_x 1
		.amdhsa_system_sgpr_workgroup_id_y 0
		.amdhsa_system_sgpr_workgroup_id_z 0
		.amdhsa_system_sgpr_workgroup_info 0
		.amdhsa_system_vgpr_workitem_id 0
		.amdhsa_next_free_vgpr 1
		.amdhsa_next_free_sgpr 1
		.amdhsa_named_barrier_count 0
		.amdhsa_reserve_vcc 0
		.amdhsa_float_round_mode_32 0
		.amdhsa_float_round_mode_16_64 0
		.amdhsa_float_denorm_mode_32 3
		.amdhsa_float_denorm_mode_16_64 3
		.amdhsa_fp16_overflow 0
		.amdhsa_memory_ordered 1
		.amdhsa_forward_progress 1
		.amdhsa_inst_pref_size 1
		.amdhsa_round_robin_scheduling 0
		.amdhsa_exception_fp_ieee_invalid_op 0
		.amdhsa_exception_fp_denorm_src 0
		.amdhsa_exception_fp_ieee_div_zero 0
		.amdhsa_exception_fp_ieee_overflow 0
		.amdhsa_exception_fp_ieee_underflow 0
		.amdhsa_exception_fp_ieee_inexact 0
		.amdhsa_exception_int_div_zero 0
	.end_amdhsa_kernel
	.section	.text._ZN7rocprim17ROCPRIM_400000_NS6detail17trampoline_kernelINS0_14default_configENS1_27scan_by_key_config_selectorIj11FixedVectorIiLj4EEEEZZNS1_16scan_by_key_implILNS1_25lookback_scan_determinismE0ELb1ES3_N6thrust23THRUST_200600_302600_NS6detail15normal_iteratorINSB_10device_ptrIjEEEENSD_INSE_IS6_EEEESI_S6_NSB_4plusIvEENSB_8equal_toIvEES6_EE10hipError_tPvRmT2_T3_T4_T5_mT6_T7_P12ihipStream_tbENKUlT_T0_E_clISt17integral_constantIbLb1EES13_EEDaSY_SZ_EUlSY_E_NS1_11comp_targetILNS1_3genE0ELNS1_11target_archE4294967295ELNS1_3gpuE0ELNS1_3repE0EEENS1_30default_config_static_selectorELNS0_4arch9wavefront6targetE0EEEvT1_,"axG",@progbits,_ZN7rocprim17ROCPRIM_400000_NS6detail17trampoline_kernelINS0_14default_configENS1_27scan_by_key_config_selectorIj11FixedVectorIiLj4EEEEZZNS1_16scan_by_key_implILNS1_25lookback_scan_determinismE0ELb1ES3_N6thrust23THRUST_200600_302600_NS6detail15normal_iteratorINSB_10device_ptrIjEEEENSD_INSE_IS6_EEEESI_S6_NSB_4plusIvEENSB_8equal_toIvEES6_EE10hipError_tPvRmT2_T3_T4_T5_mT6_T7_P12ihipStream_tbENKUlT_T0_E_clISt17integral_constantIbLb1EES13_EEDaSY_SZ_EUlSY_E_NS1_11comp_targetILNS1_3genE0ELNS1_11target_archE4294967295ELNS1_3gpuE0ELNS1_3repE0EEENS1_30default_config_static_selectorELNS0_4arch9wavefront6targetE0EEEvT1_,comdat
.Lfunc_end2084:
	.size	_ZN7rocprim17ROCPRIM_400000_NS6detail17trampoline_kernelINS0_14default_configENS1_27scan_by_key_config_selectorIj11FixedVectorIiLj4EEEEZZNS1_16scan_by_key_implILNS1_25lookback_scan_determinismE0ELb1ES3_N6thrust23THRUST_200600_302600_NS6detail15normal_iteratorINSB_10device_ptrIjEEEENSD_INSE_IS6_EEEESI_S6_NSB_4plusIvEENSB_8equal_toIvEES6_EE10hipError_tPvRmT2_T3_T4_T5_mT6_T7_P12ihipStream_tbENKUlT_T0_E_clISt17integral_constantIbLb1EES13_EEDaSY_SZ_EUlSY_E_NS1_11comp_targetILNS1_3genE0ELNS1_11target_archE4294967295ELNS1_3gpuE0ELNS1_3repE0EEENS1_30default_config_static_selectorELNS0_4arch9wavefront6targetE0EEEvT1_, .Lfunc_end2084-_ZN7rocprim17ROCPRIM_400000_NS6detail17trampoline_kernelINS0_14default_configENS1_27scan_by_key_config_selectorIj11FixedVectorIiLj4EEEEZZNS1_16scan_by_key_implILNS1_25lookback_scan_determinismE0ELb1ES3_N6thrust23THRUST_200600_302600_NS6detail15normal_iteratorINSB_10device_ptrIjEEEENSD_INSE_IS6_EEEESI_S6_NSB_4plusIvEENSB_8equal_toIvEES6_EE10hipError_tPvRmT2_T3_T4_T5_mT6_T7_P12ihipStream_tbENKUlT_T0_E_clISt17integral_constantIbLb1EES13_EEDaSY_SZ_EUlSY_E_NS1_11comp_targetILNS1_3genE0ELNS1_11target_archE4294967295ELNS1_3gpuE0ELNS1_3repE0EEENS1_30default_config_static_selectorELNS0_4arch9wavefront6targetE0EEEvT1_
                                        ; -- End function
	.set _ZN7rocprim17ROCPRIM_400000_NS6detail17trampoline_kernelINS0_14default_configENS1_27scan_by_key_config_selectorIj11FixedVectorIiLj4EEEEZZNS1_16scan_by_key_implILNS1_25lookback_scan_determinismE0ELb1ES3_N6thrust23THRUST_200600_302600_NS6detail15normal_iteratorINSB_10device_ptrIjEEEENSD_INSE_IS6_EEEESI_S6_NSB_4plusIvEENSB_8equal_toIvEES6_EE10hipError_tPvRmT2_T3_T4_T5_mT6_T7_P12ihipStream_tbENKUlT_T0_E_clISt17integral_constantIbLb1EES13_EEDaSY_SZ_EUlSY_E_NS1_11comp_targetILNS1_3genE0ELNS1_11target_archE4294967295ELNS1_3gpuE0ELNS1_3repE0EEENS1_30default_config_static_selectorELNS0_4arch9wavefront6targetE0EEEvT1_.num_vgpr, 0
	.set _ZN7rocprim17ROCPRIM_400000_NS6detail17trampoline_kernelINS0_14default_configENS1_27scan_by_key_config_selectorIj11FixedVectorIiLj4EEEEZZNS1_16scan_by_key_implILNS1_25lookback_scan_determinismE0ELb1ES3_N6thrust23THRUST_200600_302600_NS6detail15normal_iteratorINSB_10device_ptrIjEEEENSD_INSE_IS6_EEEESI_S6_NSB_4plusIvEENSB_8equal_toIvEES6_EE10hipError_tPvRmT2_T3_T4_T5_mT6_T7_P12ihipStream_tbENKUlT_T0_E_clISt17integral_constantIbLb1EES13_EEDaSY_SZ_EUlSY_E_NS1_11comp_targetILNS1_3genE0ELNS1_11target_archE4294967295ELNS1_3gpuE0ELNS1_3repE0EEENS1_30default_config_static_selectorELNS0_4arch9wavefront6targetE0EEEvT1_.num_agpr, 0
	.set _ZN7rocprim17ROCPRIM_400000_NS6detail17trampoline_kernelINS0_14default_configENS1_27scan_by_key_config_selectorIj11FixedVectorIiLj4EEEEZZNS1_16scan_by_key_implILNS1_25lookback_scan_determinismE0ELb1ES3_N6thrust23THRUST_200600_302600_NS6detail15normal_iteratorINSB_10device_ptrIjEEEENSD_INSE_IS6_EEEESI_S6_NSB_4plusIvEENSB_8equal_toIvEES6_EE10hipError_tPvRmT2_T3_T4_T5_mT6_T7_P12ihipStream_tbENKUlT_T0_E_clISt17integral_constantIbLb1EES13_EEDaSY_SZ_EUlSY_E_NS1_11comp_targetILNS1_3genE0ELNS1_11target_archE4294967295ELNS1_3gpuE0ELNS1_3repE0EEENS1_30default_config_static_selectorELNS0_4arch9wavefront6targetE0EEEvT1_.numbered_sgpr, 0
	.set _ZN7rocprim17ROCPRIM_400000_NS6detail17trampoline_kernelINS0_14default_configENS1_27scan_by_key_config_selectorIj11FixedVectorIiLj4EEEEZZNS1_16scan_by_key_implILNS1_25lookback_scan_determinismE0ELb1ES3_N6thrust23THRUST_200600_302600_NS6detail15normal_iteratorINSB_10device_ptrIjEEEENSD_INSE_IS6_EEEESI_S6_NSB_4plusIvEENSB_8equal_toIvEES6_EE10hipError_tPvRmT2_T3_T4_T5_mT6_T7_P12ihipStream_tbENKUlT_T0_E_clISt17integral_constantIbLb1EES13_EEDaSY_SZ_EUlSY_E_NS1_11comp_targetILNS1_3genE0ELNS1_11target_archE4294967295ELNS1_3gpuE0ELNS1_3repE0EEENS1_30default_config_static_selectorELNS0_4arch9wavefront6targetE0EEEvT1_.num_named_barrier, 0
	.set _ZN7rocprim17ROCPRIM_400000_NS6detail17trampoline_kernelINS0_14default_configENS1_27scan_by_key_config_selectorIj11FixedVectorIiLj4EEEEZZNS1_16scan_by_key_implILNS1_25lookback_scan_determinismE0ELb1ES3_N6thrust23THRUST_200600_302600_NS6detail15normal_iteratorINSB_10device_ptrIjEEEENSD_INSE_IS6_EEEESI_S6_NSB_4plusIvEENSB_8equal_toIvEES6_EE10hipError_tPvRmT2_T3_T4_T5_mT6_T7_P12ihipStream_tbENKUlT_T0_E_clISt17integral_constantIbLb1EES13_EEDaSY_SZ_EUlSY_E_NS1_11comp_targetILNS1_3genE0ELNS1_11target_archE4294967295ELNS1_3gpuE0ELNS1_3repE0EEENS1_30default_config_static_selectorELNS0_4arch9wavefront6targetE0EEEvT1_.private_seg_size, 0
	.set _ZN7rocprim17ROCPRIM_400000_NS6detail17trampoline_kernelINS0_14default_configENS1_27scan_by_key_config_selectorIj11FixedVectorIiLj4EEEEZZNS1_16scan_by_key_implILNS1_25lookback_scan_determinismE0ELb1ES3_N6thrust23THRUST_200600_302600_NS6detail15normal_iteratorINSB_10device_ptrIjEEEENSD_INSE_IS6_EEEESI_S6_NSB_4plusIvEENSB_8equal_toIvEES6_EE10hipError_tPvRmT2_T3_T4_T5_mT6_T7_P12ihipStream_tbENKUlT_T0_E_clISt17integral_constantIbLb1EES13_EEDaSY_SZ_EUlSY_E_NS1_11comp_targetILNS1_3genE0ELNS1_11target_archE4294967295ELNS1_3gpuE0ELNS1_3repE0EEENS1_30default_config_static_selectorELNS0_4arch9wavefront6targetE0EEEvT1_.uses_vcc, 0
	.set _ZN7rocprim17ROCPRIM_400000_NS6detail17trampoline_kernelINS0_14default_configENS1_27scan_by_key_config_selectorIj11FixedVectorIiLj4EEEEZZNS1_16scan_by_key_implILNS1_25lookback_scan_determinismE0ELb1ES3_N6thrust23THRUST_200600_302600_NS6detail15normal_iteratorINSB_10device_ptrIjEEEENSD_INSE_IS6_EEEESI_S6_NSB_4plusIvEENSB_8equal_toIvEES6_EE10hipError_tPvRmT2_T3_T4_T5_mT6_T7_P12ihipStream_tbENKUlT_T0_E_clISt17integral_constantIbLb1EES13_EEDaSY_SZ_EUlSY_E_NS1_11comp_targetILNS1_3genE0ELNS1_11target_archE4294967295ELNS1_3gpuE0ELNS1_3repE0EEENS1_30default_config_static_selectorELNS0_4arch9wavefront6targetE0EEEvT1_.uses_flat_scratch, 0
	.set _ZN7rocprim17ROCPRIM_400000_NS6detail17trampoline_kernelINS0_14default_configENS1_27scan_by_key_config_selectorIj11FixedVectorIiLj4EEEEZZNS1_16scan_by_key_implILNS1_25lookback_scan_determinismE0ELb1ES3_N6thrust23THRUST_200600_302600_NS6detail15normal_iteratorINSB_10device_ptrIjEEEENSD_INSE_IS6_EEEESI_S6_NSB_4plusIvEENSB_8equal_toIvEES6_EE10hipError_tPvRmT2_T3_T4_T5_mT6_T7_P12ihipStream_tbENKUlT_T0_E_clISt17integral_constantIbLb1EES13_EEDaSY_SZ_EUlSY_E_NS1_11comp_targetILNS1_3genE0ELNS1_11target_archE4294967295ELNS1_3gpuE0ELNS1_3repE0EEENS1_30default_config_static_selectorELNS0_4arch9wavefront6targetE0EEEvT1_.has_dyn_sized_stack, 0
	.set _ZN7rocprim17ROCPRIM_400000_NS6detail17trampoline_kernelINS0_14default_configENS1_27scan_by_key_config_selectorIj11FixedVectorIiLj4EEEEZZNS1_16scan_by_key_implILNS1_25lookback_scan_determinismE0ELb1ES3_N6thrust23THRUST_200600_302600_NS6detail15normal_iteratorINSB_10device_ptrIjEEEENSD_INSE_IS6_EEEESI_S6_NSB_4plusIvEENSB_8equal_toIvEES6_EE10hipError_tPvRmT2_T3_T4_T5_mT6_T7_P12ihipStream_tbENKUlT_T0_E_clISt17integral_constantIbLb1EES13_EEDaSY_SZ_EUlSY_E_NS1_11comp_targetILNS1_3genE0ELNS1_11target_archE4294967295ELNS1_3gpuE0ELNS1_3repE0EEENS1_30default_config_static_selectorELNS0_4arch9wavefront6targetE0EEEvT1_.has_recursion, 0
	.set _ZN7rocprim17ROCPRIM_400000_NS6detail17trampoline_kernelINS0_14default_configENS1_27scan_by_key_config_selectorIj11FixedVectorIiLj4EEEEZZNS1_16scan_by_key_implILNS1_25lookback_scan_determinismE0ELb1ES3_N6thrust23THRUST_200600_302600_NS6detail15normal_iteratorINSB_10device_ptrIjEEEENSD_INSE_IS6_EEEESI_S6_NSB_4plusIvEENSB_8equal_toIvEES6_EE10hipError_tPvRmT2_T3_T4_T5_mT6_T7_P12ihipStream_tbENKUlT_T0_E_clISt17integral_constantIbLb1EES13_EEDaSY_SZ_EUlSY_E_NS1_11comp_targetILNS1_3genE0ELNS1_11target_archE4294967295ELNS1_3gpuE0ELNS1_3repE0EEENS1_30default_config_static_selectorELNS0_4arch9wavefront6targetE0EEEvT1_.has_indirect_call, 0
	.section	.AMDGPU.csdata,"",@progbits
; Kernel info:
; codeLenInByte = 4
; TotalNumSgprs: 0
; NumVgprs: 0
; ScratchSize: 0
; MemoryBound: 0
; FloatMode: 240
; IeeeMode: 1
; LDSByteSize: 0 bytes/workgroup (compile time only)
; SGPRBlocks: 0
; VGPRBlocks: 0
; NumSGPRsForWavesPerEU: 1
; NumVGPRsForWavesPerEU: 1
; NamedBarCnt: 0
; Occupancy: 16
; WaveLimiterHint : 0
; COMPUTE_PGM_RSRC2:SCRATCH_EN: 0
; COMPUTE_PGM_RSRC2:USER_SGPR: 2
; COMPUTE_PGM_RSRC2:TRAP_HANDLER: 0
; COMPUTE_PGM_RSRC2:TGID_X_EN: 1
; COMPUTE_PGM_RSRC2:TGID_Y_EN: 0
; COMPUTE_PGM_RSRC2:TGID_Z_EN: 0
; COMPUTE_PGM_RSRC2:TIDIG_COMP_CNT: 0
	.section	.text._ZN7rocprim17ROCPRIM_400000_NS6detail17trampoline_kernelINS0_14default_configENS1_27scan_by_key_config_selectorIj11FixedVectorIiLj4EEEEZZNS1_16scan_by_key_implILNS1_25lookback_scan_determinismE0ELb1ES3_N6thrust23THRUST_200600_302600_NS6detail15normal_iteratorINSB_10device_ptrIjEEEENSD_INSE_IS6_EEEESI_S6_NSB_4plusIvEENSB_8equal_toIvEES6_EE10hipError_tPvRmT2_T3_T4_T5_mT6_T7_P12ihipStream_tbENKUlT_T0_E_clISt17integral_constantIbLb1EES13_EEDaSY_SZ_EUlSY_E_NS1_11comp_targetILNS1_3genE10ELNS1_11target_archE1201ELNS1_3gpuE5ELNS1_3repE0EEENS1_30default_config_static_selectorELNS0_4arch9wavefront6targetE0EEEvT1_,"axG",@progbits,_ZN7rocprim17ROCPRIM_400000_NS6detail17trampoline_kernelINS0_14default_configENS1_27scan_by_key_config_selectorIj11FixedVectorIiLj4EEEEZZNS1_16scan_by_key_implILNS1_25lookback_scan_determinismE0ELb1ES3_N6thrust23THRUST_200600_302600_NS6detail15normal_iteratorINSB_10device_ptrIjEEEENSD_INSE_IS6_EEEESI_S6_NSB_4plusIvEENSB_8equal_toIvEES6_EE10hipError_tPvRmT2_T3_T4_T5_mT6_T7_P12ihipStream_tbENKUlT_T0_E_clISt17integral_constantIbLb1EES13_EEDaSY_SZ_EUlSY_E_NS1_11comp_targetILNS1_3genE10ELNS1_11target_archE1201ELNS1_3gpuE5ELNS1_3repE0EEENS1_30default_config_static_selectorELNS0_4arch9wavefront6targetE0EEEvT1_,comdat
	.protected	_ZN7rocprim17ROCPRIM_400000_NS6detail17trampoline_kernelINS0_14default_configENS1_27scan_by_key_config_selectorIj11FixedVectorIiLj4EEEEZZNS1_16scan_by_key_implILNS1_25lookback_scan_determinismE0ELb1ES3_N6thrust23THRUST_200600_302600_NS6detail15normal_iteratorINSB_10device_ptrIjEEEENSD_INSE_IS6_EEEESI_S6_NSB_4plusIvEENSB_8equal_toIvEES6_EE10hipError_tPvRmT2_T3_T4_T5_mT6_T7_P12ihipStream_tbENKUlT_T0_E_clISt17integral_constantIbLb1EES13_EEDaSY_SZ_EUlSY_E_NS1_11comp_targetILNS1_3genE10ELNS1_11target_archE1201ELNS1_3gpuE5ELNS1_3repE0EEENS1_30default_config_static_selectorELNS0_4arch9wavefront6targetE0EEEvT1_ ; -- Begin function _ZN7rocprim17ROCPRIM_400000_NS6detail17trampoline_kernelINS0_14default_configENS1_27scan_by_key_config_selectorIj11FixedVectorIiLj4EEEEZZNS1_16scan_by_key_implILNS1_25lookback_scan_determinismE0ELb1ES3_N6thrust23THRUST_200600_302600_NS6detail15normal_iteratorINSB_10device_ptrIjEEEENSD_INSE_IS6_EEEESI_S6_NSB_4plusIvEENSB_8equal_toIvEES6_EE10hipError_tPvRmT2_T3_T4_T5_mT6_T7_P12ihipStream_tbENKUlT_T0_E_clISt17integral_constantIbLb1EES13_EEDaSY_SZ_EUlSY_E_NS1_11comp_targetILNS1_3genE10ELNS1_11target_archE1201ELNS1_3gpuE5ELNS1_3repE0EEENS1_30default_config_static_selectorELNS0_4arch9wavefront6targetE0EEEvT1_
	.globl	_ZN7rocprim17ROCPRIM_400000_NS6detail17trampoline_kernelINS0_14default_configENS1_27scan_by_key_config_selectorIj11FixedVectorIiLj4EEEEZZNS1_16scan_by_key_implILNS1_25lookback_scan_determinismE0ELb1ES3_N6thrust23THRUST_200600_302600_NS6detail15normal_iteratorINSB_10device_ptrIjEEEENSD_INSE_IS6_EEEESI_S6_NSB_4plusIvEENSB_8equal_toIvEES6_EE10hipError_tPvRmT2_T3_T4_T5_mT6_T7_P12ihipStream_tbENKUlT_T0_E_clISt17integral_constantIbLb1EES13_EEDaSY_SZ_EUlSY_E_NS1_11comp_targetILNS1_3genE10ELNS1_11target_archE1201ELNS1_3gpuE5ELNS1_3repE0EEENS1_30default_config_static_selectorELNS0_4arch9wavefront6targetE0EEEvT1_
	.p2align	8
	.type	_ZN7rocprim17ROCPRIM_400000_NS6detail17trampoline_kernelINS0_14default_configENS1_27scan_by_key_config_selectorIj11FixedVectorIiLj4EEEEZZNS1_16scan_by_key_implILNS1_25lookback_scan_determinismE0ELb1ES3_N6thrust23THRUST_200600_302600_NS6detail15normal_iteratorINSB_10device_ptrIjEEEENSD_INSE_IS6_EEEESI_S6_NSB_4plusIvEENSB_8equal_toIvEES6_EE10hipError_tPvRmT2_T3_T4_T5_mT6_T7_P12ihipStream_tbENKUlT_T0_E_clISt17integral_constantIbLb1EES13_EEDaSY_SZ_EUlSY_E_NS1_11comp_targetILNS1_3genE10ELNS1_11target_archE1201ELNS1_3gpuE5ELNS1_3repE0EEENS1_30default_config_static_selectorELNS0_4arch9wavefront6targetE0EEEvT1_,@function
_ZN7rocprim17ROCPRIM_400000_NS6detail17trampoline_kernelINS0_14default_configENS1_27scan_by_key_config_selectorIj11FixedVectorIiLj4EEEEZZNS1_16scan_by_key_implILNS1_25lookback_scan_determinismE0ELb1ES3_N6thrust23THRUST_200600_302600_NS6detail15normal_iteratorINSB_10device_ptrIjEEEENSD_INSE_IS6_EEEESI_S6_NSB_4plusIvEENSB_8equal_toIvEES6_EE10hipError_tPvRmT2_T3_T4_T5_mT6_T7_P12ihipStream_tbENKUlT_T0_E_clISt17integral_constantIbLb1EES13_EEDaSY_SZ_EUlSY_E_NS1_11comp_targetILNS1_3genE10ELNS1_11target_archE1201ELNS1_3gpuE5ELNS1_3repE0EEENS1_30default_config_static_selectorELNS0_4arch9wavefront6targetE0EEEvT1_: ; @_ZN7rocprim17ROCPRIM_400000_NS6detail17trampoline_kernelINS0_14default_configENS1_27scan_by_key_config_selectorIj11FixedVectorIiLj4EEEEZZNS1_16scan_by_key_implILNS1_25lookback_scan_determinismE0ELb1ES3_N6thrust23THRUST_200600_302600_NS6detail15normal_iteratorINSB_10device_ptrIjEEEENSD_INSE_IS6_EEEESI_S6_NSB_4plusIvEENSB_8equal_toIvEES6_EE10hipError_tPvRmT2_T3_T4_T5_mT6_T7_P12ihipStream_tbENKUlT_T0_E_clISt17integral_constantIbLb1EES13_EEDaSY_SZ_EUlSY_E_NS1_11comp_targetILNS1_3genE10ELNS1_11target_archE1201ELNS1_3gpuE5ELNS1_3repE0EEENS1_30default_config_static_selectorELNS0_4arch9wavefront6targetE0EEEvT1_
; %bb.0:
	.section	.rodata,"a",@progbits
	.p2align	6, 0x0
	.amdhsa_kernel _ZN7rocprim17ROCPRIM_400000_NS6detail17trampoline_kernelINS0_14default_configENS1_27scan_by_key_config_selectorIj11FixedVectorIiLj4EEEEZZNS1_16scan_by_key_implILNS1_25lookback_scan_determinismE0ELb1ES3_N6thrust23THRUST_200600_302600_NS6detail15normal_iteratorINSB_10device_ptrIjEEEENSD_INSE_IS6_EEEESI_S6_NSB_4plusIvEENSB_8equal_toIvEES6_EE10hipError_tPvRmT2_T3_T4_T5_mT6_T7_P12ihipStream_tbENKUlT_T0_E_clISt17integral_constantIbLb1EES13_EEDaSY_SZ_EUlSY_E_NS1_11comp_targetILNS1_3genE10ELNS1_11target_archE1201ELNS1_3gpuE5ELNS1_3repE0EEENS1_30default_config_static_selectorELNS0_4arch9wavefront6targetE0EEEvT1_
		.amdhsa_group_segment_fixed_size 0
		.amdhsa_private_segment_fixed_size 0
		.amdhsa_kernarg_size 144
		.amdhsa_user_sgpr_count 2
		.amdhsa_user_sgpr_dispatch_ptr 0
		.amdhsa_user_sgpr_queue_ptr 0
		.amdhsa_user_sgpr_kernarg_segment_ptr 1
		.amdhsa_user_sgpr_dispatch_id 0
		.amdhsa_user_sgpr_kernarg_preload_length 0
		.amdhsa_user_sgpr_kernarg_preload_offset 0
		.amdhsa_user_sgpr_private_segment_size 0
		.amdhsa_wavefront_size32 1
		.amdhsa_uses_dynamic_stack 0
		.amdhsa_enable_private_segment 0
		.amdhsa_system_sgpr_workgroup_id_x 1
		.amdhsa_system_sgpr_workgroup_id_y 0
		.amdhsa_system_sgpr_workgroup_id_z 0
		.amdhsa_system_sgpr_workgroup_info 0
		.amdhsa_system_vgpr_workitem_id 0
		.amdhsa_next_free_vgpr 1
		.amdhsa_next_free_sgpr 1
		.amdhsa_named_barrier_count 0
		.amdhsa_reserve_vcc 0
		.amdhsa_float_round_mode_32 0
		.amdhsa_float_round_mode_16_64 0
		.amdhsa_float_denorm_mode_32 3
		.amdhsa_float_denorm_mode_16_64 3
		.amdhsa_fp16_overflow 0
		.amdhsa_memory_ordered 1
		.amdhsa_forward_progress 1
		.amdhsa_inst_pref_size 0
		.amdhsa_round_robin_scheduling 0
		.amdhsa_exception_fp_ieee_invalid_op 0
		.amdhsa_exception_fp_denorm_src 0
		.amdhsa_exception_fp_ieee_div_zero 0
		.amdhsa_exception_fp_ieee_overflow 0
		.amdhsa_exception_fp_ieee_underflow 0
		.amdhsa_exception_fp_ieee_inexact 0
		.amdhsa_exception_int_div_zero 0
	.end_amdhsa_kernel
	.section	.text._ZN7rocprim17ROCPRIM_400000_NS6detail17trampoline_kernelINS0_14default_configENS1_27scan_by_key_config_selectorIj11FixedVectorIiLj4EEEEZZNS1_16scan_by_key_implILNS1_25lookback_scan_determinismE0ELb1ES3_N6thrust23THRUST_200600_302600_NS6detail15normal_iteratorINSB_10device_ptrIjEEEENSD_INSE_IS6_EEEESI_S6_NSB_4plusIvEENSB_8equal_toIvEES6_EE10hipError_tPvRmT2_T3_T4_T5_mT6_T7_P12ihipStream_tbENKUlT_T0_E_clISt17integral_constantIbLb1EES13_EEDaSY_SZ_EUlSY_E_NS1_11comp_targetILNS1_3genE10ELNS1_11target_archE1201ELNS1_3gpuE5ELNS1_3repE0EEENS1_30default_config_static_selectorELNS0_4arch9wavefront6targetE0EEEvT1_,"axG",@progbits,_ZN7rocprim17ROCPRIM_400000_NS6detail17trampoline_kernelINS0_14default_configENS1_27scan_by_key_config_selectorIj11FixedVectorIiLj4EEEEZZNS1_16scan_by_key_implILNS1_25lookback_scan_determinismE0ELb1ES3_N6thrust23THRUST_200600_302600_NS6detail15normal_iteratorINSB_10device_ptrIjEEEENSD_INSE_IS6_EEEESI_S6_NSB_4plusIvEENSB_8equal_toIvEES6_EE10hipError_tPvRmT2_T3_T4_T5_mT6_T7_P12ihipStream_tbENKUlT_T0_E_clISt17integral_constantIbLb1EES13_EEDaSY_SZ_EUlSY_E_NS1_11comp_targetILNS1_3genE10ELNS1_11target_archE1201ELNS1_3gpuE5ELNS1_3repE0EEENS1_30default_config_static_selectorELNS0_4arch9wavefront6targetE0EEEvT1_,comdat
.Lfunc_end2085:
	.size	_ZN7rocprim17ROCPRIM_400000_NS6detail17trampoline_kernelINS0_14default_configENS1_27scan_by_key_config_selectorIj11FixedVectorIiLj4EEEEZZNS1_16scan_by_key_implILNS1_25lookback_scan_determinismE0ELb1ES3_N6thrust23THRUST_200600_302600_NS6detail15normal_iteratorINSB_10device_ptrIjEEEENSD_INSE_IS6_EEEESI_S6_NSB_4plusIvEENSB_8equal_toIvEES6_EE10hipError_tPvRmT2_T3_T4_T5_mT6_T7_P12ihipStream_tbENKUlT_T0_E_clISt17integral_constantIbLb1EES13_EEDaSY_SZ_EUlSY_E_NS1_11comp_targetILNS1_3genE10ELNS1_11target_archE1201ELNS1_3gpuE5ELNS1_3repE0EEENS1_30default_config_static_selectorELNS0_4arch9wavefront6targetE0EEEvT1_, .Lfunc_end2085-_ZN7rocprim17ROCPRIM_400000_NS6detail17trampoline_kernelINS0_14default_configENS1_27scan_by_key_config_selectorIj11FixedVectorIiLj4EEEEZZNS1_16scan_by_key_implILNS1_25lookback_scan_determinismE0ELb1ES3_N6thrust23THRUST_200600_302600_NS6detail15normal_iteratorINSB_10device_ptrIjEEEENSD_INSE_IS6_EEEESI_S6_NSB_4plusIvEENSB_8equal_toIvEES6_EE10hipError_tPvRmT2_T3_T4_T5_mT6_T7_P12ihipStream_tbENKUlT_T0_E_clISt17integral_constantIbLb1EES13_EEDaSY_SZ_EUlSY_E_NS1_11comp_targetILNS1_3genE10ELNS1_11target_archE1201ELNS1_3gpuE5ELNS1_3repE0EEENS1_30default_config_static_selectorELNS0_4arch9wavefront6targetE0EEEvT1_
                                        ; -- End function
	.set _ZN7rocprim17ROCPRIM_400000_NS6detail17trampoline_kernelINS0_14default_configENS1_27scan_by_key_config_selectorIj11FixedVectorIiLj4EEEEZZNS1_16scan_by_key_implILNS1_25lookback_scan_determinismE0ELb1ES3_N6thrust23THRUST_200600_302600_NS6detail15normal_iteratorINSB_10device_ptrIjEEEENSD_INSE_IS6_EEEESI_S6_NSB_4plusIvEENSB_8equal_toIvEES6_EE10hipError_tPvRmT2_T3_T4_T5_mT6_T7_P12ihipStream_tbENKUlT_T0_E_clISt17integral_constantIbLb1EES13_EEDaSY_SZ_EUlSY_E_NS1_11comp_targetILNS1_3genE10ELNS1_11target_archE1201ELNS1_3gpuE5ELNS1_3repE0EEENS1_30default_config_static_selectorELNS0_4arch9wavefront6targetE0EEEvT1_.num_vgpr, 0
	.set _ZN7rocprim17ROCPRIM_400000_NS6detail17trampoline_kernelINS0_14default_configENS1_27scan_by_key_config_selectorIj11FixedVectorIiLj4EEEEZZNS1_16scan_by_key_implILNS1_25lookback_scan_determinismE0ELb1ES3_N6thrust23THRUST_200600_302600_NS6detail15normal_iteratorINSB_10device_ptrIjEEEENSD_INSE_IS6_EEEESI_S6_NSB_4plusIvEENSB_8equal_toIvEES6_EE10hipError_tPvRmT2_T3_T4_T5_mT6_T7_P12ihipStream_tbENKUlT_T0_E_clISt17integral_constantIbLb1EES13_EEDaSY_SZ_EUlSY_E_NS1_11comp_targetILNS1_3genE10ELNS1_11target_archE1201ELNS1_3gpuE5ELNS1_3repE0EEENS1_30default_config_static_selectorELNS0_4arch9wavefront6targetE0EEEvT1_.num_agpr, 0
	.set _ZN7rocprim17ROCPRIM_400000_NS6detail17trampoline_kernelINS0_14default_configENS1_27scan_by_key_config_selectorIj11FixedVectorIiLj4EEEEZZNS1_16scan_by_key_implILNS1_25lookback_scan_determinismE0ELb1ES3_N6thrust23THRUST_200600_302600_NS6detail15normal_iteratorINSB_10device_ptrIjEEEENSD_INSE_IS6_EEEESI_S6_NSB_4plusIvEENSB_8equal_toIvEES6_EE10hipError_tPvRmT2_T3_T4_T5_mT6_T7_P12ihipStream_tbENKUlT_T0_E_clISt17integral_constantIbLb1EES13_EEDaSY_SZ_EUlSY_E_NS1_11comp_targetILNS1_3genE10ELNS1_11target_archE1201ELNS1_3gpuE5ELNS1_3repE0EEENS1_30default_config_static_selectorELNS0_4arch9wavefront6targetE0EEEvT1_.numbered_sgpr, 0
	.set _ZN7rocprim17ROCPRIM_400000_NS6detail17trampoline_kernelINS0_14default_configENS1_27scan_by_key_config_selectorIj11FixedVectorIiLj4EEEEZZNS1_16scan_by_key_implILNS1_25lookback_scan_determinismE0ELb1ES3_N6thrust23THRUST_200600_302600_NS6detail15normal_iteratorINSB_10device_ptrIjEEEENSD_INSE_IS6_EEEESI_S6_NSB_4plusIvEENSB_8equal_toIvEES6_EE10hipError_tPvRmT2_T3_T4_T5_mT6_T7_P12ihipStream_tbENKUlT_T0_E_clISt17integral_constantIbLb1EES13_EEDaSY_SZ_EUlSY_E_NS1_11comp_targetILNS1_3genE10ELNS1_11target_archE1201ELNS1_3gpuE5ELNS1_3repE0EEENS1_30default_config_static_selectorELNS0_4arch9wavefront6targetE0EEEvT1_.num_named_barrier, 0
	.set _ZN7rocprim17ROCPRIM_400000_NS6detail17trampoline_kernelINS0_14default_configENS1_27scan_by_key_config_selectorIj11FixedVectorIiLj4EEEEZZNS1_16scan_by_key_implILNS1_25lookback_scan_determinismE0ELb1ES3_N6thrust23THRUST_200600_302600_NS6detail15normal_iteratorINSB_10device_ptrIjEEEENSD_INSE_IS6_EEEESI_S6_NSB_4plusIvEENSB_8equal_toIvEES6_EE10hipError_tPvRmT2_T3_T4_T5_mT6_T7_P12ihipStream_tbENKUlT_T0_E_clISt17integral_constantIbLb1EES13_EEDaSY_SZ_EUlSY_E_NS1_11comp_targetILNS1_3genE10ELNS1_11target_archE1201ELNS1_3gpuE5ELNS1_3repE0EEENS1_30default_config_static_selectorELNS0_4arch9wavefront6targetE0EEEvT1_.private_seg_size, 0
	.set _ZN7rocprim17ROCPRIM_400000_NS6detail17trampoline_kernelINS0_14default_configENS1_27scan_by_key_config_selectorIj11FixedVectorIiLj4EEEEZZNS1_16scan_by_key_implILNS1_25lookback_scan_determinismE0ELb1ES3_N6thrust23THRUST_200600_302600_NS6detail15normal_iteratorINSB_10device_ptrIjEEEENSD_INSE_IS6_EEEESI_S6_NSB_4plusIvEENSB_8equal_toIvEES6_EE10hipError_tPvRmT2_T3_T4_T5_mT6_T7_P12ihipStream_tbENKUlT_T0_E_clISt17integral_constantIbLb1EES13_EEDaSY_SZ_EUlSY_E_NS1_11comp_targetILNS1_3genE10ELNS1_11target_archE1201ELNS1_3gpuE5ELNS1_3repE0EEENS1_30default_config_static_selectorELNS0_4arch9wavefront6targetE0EEEvT1_.uses_vcc, 0
	.set _ZN7rocprim17ROCPRIM_400000_NS6detail17trampoline_kernelINS0_14default_configENS1_27scan_by_key_config_selectorIj11FixedVectorIiLj4EEEEZZNS1_16scan_by_key_implILNS1_25lookback_scan_determinismE0ELb1ES3_N6thrust23THRUST_200600_302600_NS6detail15normal_iteratorINSB_10device_ptrIjEEEENSD_INSE_IS6_EEEESI_S6_NSB_4plusIvEENSB_8equal_toIvEES6_EE10hipError_tPvRmT2_T3_T4_T5_mT6_T7_P12ihipStream_tbENKUlT_T0_E_clISt17integral_constantIbLb1EES13_EEDaSY_SZ_EUlSY_E_NS1_11comp_targetILNS1_3genE10ELNS1_11target_archE1201ELNS1_3gpuE5ELNS1_3repE0EEENS1_30default_config_static_selectorELNS0_4arch9wavefront6targetE0EEEvT1_.uses_flat_scratch, 0
	.set _ZN7rocprim17ROCPRIM_400000_NS6detail17trampoline_kernelINS0_14default_configENS1_27scan_by_key_config_selectorIj11FixedVectorIiLj4EEEEZZNS1_16scan_by_key_implILNS1_25lookback_scan_determinismE0ELb1ES3_N6thrust23THRUST_200600_302600_NS6detail15normal_iteratorINSB_10device_ptrIjEEEENSD_INSE_IS6_EEEESI_S6_NSB_4plusIvEENSB_8equal_toIvEES6_EE10hipError_tPvRmT2_T3_T4_T5_mT6_T7_P12ihipStream_tbENKUlT_T0_E_clISt17integral_constantIbLb1EES13_EEDaSY_SZ_EUlSY_E_NS1_11comp_targetILNS1_3genE10ELNS1_11target_archE1201ELNS1_3gpuE5ELNS1_3repE0EEENS1_30default_config_static_selectorELNS0_4arch9wavefront6targetE0EEEvT1_.has_dyn_sized_stack, 0
	.set _ZN7rocprim17ROCPRIM_400000_NS6detail17trampoline_kernelINS0_14default_configENS1_27scan_by_key_config_selectorIj11FixedVectorIiLj4EEEEZZNS1_16scan_by_key_implILNS1_25lookback_scan_determinismE0ELb1ES3_N6thrust23THRUST_200600_302600_NS6detail15normal_iteratorINSB_10device_ptrIjEEEENSD_INSE_IS6_EEEESI_S6_NSB_4plusIvEENSB_8equal_toIvEES6_EE10hipError_tPvRmT2_T3_T4_T5_mT6_T7_P12ihipStream_tbENKUlT_T0_E_clISt17integral_constantIbLb1EES13_EEDaSY_SZ_EUlSY_E_NS1_11comp_targetILNS1_3genE10ELNS1_11target_archE1201ELNS1_3gpuE5ELNS1_3repE0EEENS1_30default_config_static_selectorELNS0_4arch9wavefront6targetE0EEEvT1_.has_recursion, 0
	.set _ZN7rocprim17ROCPRIM_400000_NS6detail17trampoline_kernelINS0_14default_configENS1_27scan_by_key_config_selectorIj11FixedVectorIiLj4EEEEZZNS1_16scan_by_key_implILNS1_25lookback_scan_determinismE0ELb1ES3_N6thrust23THRUST_200600_302600_NS6detail15normal_iteratorINSB_10device_ptrIjEEEENSD_INSE_IS6_EEEESI_S6_NSB_4plusIvEENSB_8equal_toIvEES6_EE10hipError_tPvRmT2_T3_T4_T5_mT6_T7_P12ihipStream_tbENKUlT_T0_E_clISt17integral_constantIbLb1EES13_EEDaSY_SZ_EUlSY_E_NS1_11comp_targetILNS1_3genE10ELNS1_11target_archE1201ELNS1_3gpuE5ELNS1_3repE0EEENS1_30default_config_static_selectorELNS0_4arch9wavefront6targetE0EEEvT1_.has_indirect_call, 0
	.section	.AMDGPU.csdata,"",@progbits
; Kernel info:
; codeLenInByte = 0
; TotalNumSgprs: 0
; NumVgprs: 0
; ScratchSize: 0
; MemoryBound: 0
; FloatMode: 240
; IeeeMode: 1
; LDSByteSize: 0 bytes/workgroup (compile time only)
; SGPRBlocks: 0
; VGPRBlocks: 0
; NumSGPRsForWavesPerEU: 1
; NumVGPRsForWavesPerEU: 1
; NamedBarCnt: 0
; Occupancy: 16
; WaveLimiterHint : 0
; COMPUTE_PGM_RSRC2:SCRATCH_EN: 0
; COMPUTE_PGM_RSRC2:USER_SGPR: 2
; COMPUTE_PGM_RSRC2:TRAP_HANDLER: 0
; COMPUTE_PGM_RSRC2:TGID_X_EN: 1
; COMPUTE_PGM_RSRC2:TGID_Y_EN: 0
; COMPUTE_PGM_RSRC2:TGID_Z_EN: 0
; COMPUTE_PGM_RSRC2:TIDIG_COMP_CNT: 0
	.section	.text._ZN7rocprim17ROCPRIM_400000_NS6detail17trampoline_kernelINS0_14default_configENS1_27scan_by_key_config_selectorIj11FixedVectorIiLj4EEEEZZNS1_16scan_by_key_implILNS1_25lookback_scan_determinismE0ELb1ES3_N6thrust23THRUST_200600_302600_NS6detail15normal_iteratorINSB_10device_ptrIjEEEENSD_INSE_IS6_EEEESI_S6_NSB_4plusIvEENSB_8equal_toIvEES6_EE10hipError_tPvRmT2_T3_T4_T5_mT6_T7_P12ihipStream_tbENKUlT_T0_E_clISt17integral_constantIbLb1EES13_EEDaSY_SZ_EUlSY_E_NS1_11comp_targetILNS1_3genE5ELNS1_11target_archE942ELNS1_3gpuE9ELNS1_3repE0EEENS1_30default_config_static_selectorELNS0_4arch9wavefront6targetE0EEEvT1_,"axG",@progbits,_ZN7rocprim17ROCPRIM_400000_NS6detail17trampoline_kernelINS0_14default_configENS1_27scan_by_key_config_selectorIj11FixedVectorIiLj4EEEEZZNS1_16scan_by_key_implILNS1_25lookback_scan_determinismE0ELb1ES3_N6thrust23THRUST_200600_302600_NS6detail15normal_iteratorINSB_10device_ptrIjEEEENSD_INSE_IS6_EEEESI_S6_NSB_4plusIvEENSB_8equal_toIvEES6_EE10hipError_tPvRmT2_T3_T4_T5_mT6_T7_P12ihipStream_tbENKUlT_T0_E_clISt17integral_constantIbLb1EES13_EEDaSY_SZ_EUlSY_E_NS1_11comp_targetILNS1_3genE5ELNS1_11target_archE942ELNS1_3gpuE9ELNS1_3repE0EEENS1_30default_config_static_selectorELNS0_4arch9wavefront6targetE0EEEvT1_,comdat
	.protected	_ZN7rocprim17ROCPRIM_400000_NS6detail17trampoline_kernelINS0_14default_configENS1_27scan_by_key_config_selectorIj11FixedVectorIiLj4EEEEZZNS1_16scan_by_key_implILNS1_25lookback_scan_determinismE0ELb1ES3_N6thrust23THRUST_200600_302600_NS6detail15normal_iteratorINSB_10device_ptrIjEEEENSD_INSE_IS6_EEEESI_S6_NSB_4plusIvEENSB_8equal_toIvEES6_EE10hipError_tPvRmT2_T3_T4_T5_mT6_T7_P12ihipStream_tbENKUlT_T0_E_clISt17integral_constantIbLb1EES13_EEDaSY_SZ_EUlSY_E_NS1_11comp_targetILNS1_3genE5ELNS1_11target_archE942ELNS1_3gpuE9ELNS1_3repE0EEENS1_30default_config_static_selectorELNS0_4arch9wavefront6targetE0EEEvT1_ ; -- Begin function _ZN7rocprim17ROCPRIM_400000_NS6detail17trampoline_kernelINS0_14default_configENS1_27scan_by_key_config_selectorIj11FixedVectorIiLj4EEEEZZNS1_16scan_by_key_implILNS1_25lookback_scan_determinismE0ELb1ES3_N6thrust23THRUST_200600_302600_NS6detail15normal_iteratorINSB_10device_ptrIjEEEENSD_INSE_IS6_EEEESI_S6_NSB_4plusIvEENSB_8equal_toIvEES6_EE10hipError_tPvRmT2_T3_T4_T5_mT6_T7_P12ihipStream_tbENKUlT_T0_E_clISt17integral_constantIbLb1EES13_EEDaSY_SZ_EUlSY_E_NS1_11comp_targetILNS1_3genE5ELNS1_11target_archE942ELNS1_3gpuE9ELNS1_3repE0EEENS1_30default_config_static_selectorELNS0_4arch9wavefront6targetE0EEEvT1_
	.globl	_ZN7rocprim17ROCPRIM_400000_NS6detail17trampoline_kernelINS0_14default_configENS1_27scan_by_key_config_selectorIj11FixedVectorIiLj4EEEEZZNS1_16scan_by_key_implILNS1_25lookback_scan_determinismE0ELb1ES3_N6thrust23THRUST_200600_302600_NS6detail15normal_iteratorINSB_10device_ptrIjEEEENSD_INSE_IS6_EEEESI_S6_NSB_4plusIvEENSB_8equal_toIvEES6_EE10hipError_tPvRmT2_T3_T4_T5_mT6_T7_P12ihipStream_tbENKUlT_T0_E_clISt17integral_constantIbLb1EES13_EEDaSY_SZ_EUlSY_E_NS1_11comp_targetILNS1_3genE5ELNS1_11target_archE942ELNS1_3gpuE9ELNS1_3repE0EEENS1_30default_config_static_selectorELNS0_4arch9wavefront6targetE0EEEvT1_
	.p2align	8
	.type	_ZN7rocprim17ROCPRIM_400000_NS6detail17trampoline_kernelINS0_14default_configENS1_27scan_by_key_config_selectorIj11FixedVectorIiLj4EEEEZZNS1_16scan_by_key_implILNS1_25lookback_scan_determinismE0ELb1ES3_N6thrust23THRUST_200600_302600_NS6detail15normal_iteratorINSB_10device_ptrIjEEEENSD_INSE_IS6_EEEESI_S6_NSB_4plusIvEENSB_8equal_toIvEES6_EE10hipError_tPvRmT2_T3_T4_T5_mT6_T7_P12ihipStream_tbENKUlT_T0_E_clISt17integral_constantIbLb1EES13_EEDaSY_SZ_EUlSY_E_NS1_11comp_targetILNS1_3genE5ELNS1_11target_archE942ELNS1_3gpuE9ELNS1_3repE0EEENS1_30default_config_static_selectorELNS0_4arch9wavefront6targetE0EEEvT1_,@function
_ZN7rocprim17ROCPRIM_400000_NS6detail17trampoline_kernelINS0_14default_configENS1_27scan_by_key_config_selectorIj11FixedVectorIiLj4EEEEZZNS1_16scan_by_key_implILNS1_25lookback_scan_determinismE0ELb1ES3_N6thrust23THRUST_200600_302600_NS6detail15normal_iteratorINSB_10device_ptrIjEEEENSD_INSE_IS6_EEEESI_S6_NSB_4plusIvEENSB_8equal_toIvEES6_EE10hipError_tPvRmT2_T3_T4_T5_mT6_T7_P12ihipStream_tbENKUlT_T0_E_clISt17integral_constantIbLb1EES13_EEDaSY_SZ_EUlSY_E_NS1_11comp_targetILNS1_3genE5ELNS1_11target_archE942ELNS1_3gpuE9ELNS1_3repE0EEENS1_30default_config_static_selectorELNS0_4arch9wavefront6targetE0EEEvT1_: ; @_ZN7rocprim17ROCPRIM_400000_NS6detail17trampoline_kernelINS0_14default_configENS1_27scan_by_key_config_selectorIj11FixedVectorIiLj4EEEEZZNS1_16scan_by_key_implILNS1_25lookback_scan_determinismE0ELb1ES3_N6thrust23THRUST_200600_302600_NS6detail15normal_iteratorINSB_10device_ptrIjEEEENSD_INSE_IS6_EEEESI_S6_NSB_4plusIvEENSB_8equal_toIvEES6_EE10hipError_tPvRmT2_T3_T4_T5_mT6_T7_P12ihipStream_tbENKUlT_T0_E_clISt17integral_constantIbLb1EES13_EEDaSY_SZ_EUlSY_E_NS1_11comp_targetILNS1_3genE5ELNS1_11target_archE942ELNS1_3gpuE9ELNS1_3repE0EEENS1_30default_config_static_selectorELNS0_4arch9wavefront6targetE0EEEvT1_
; %bb.0:
	.section	.rodata,"a",@progbits
	.p2align	6, 0x0
	.amdhsa_kernel _ZN7rocprim17ROCPRIM_400000_NS6detail17trampoline_kernelINS0_14default_configENS1_27scan_by_key_config_selectorIj11FixedVectorIiLj4EEEEZZNS1_16scan_by_key_implILNS1_25lookback_scan_determinismE0ELb1ES3_N6thrust23THRUST_200600_302600_NS6detail15normal_iteratorINSB_10device_ptrIjEEEENSD_INSE_IS6_EEEESI_S6_NSB_4plusIvEENSB_8equal_toIvEES6_EE10hipError_tPvRmT2_T3_T4_T5_mT6_T7_P12ihipStream_tbENKUlT_T0_E_clISt17integral_constantIbLb1EES13_EEDaSY_SZ_EUlSY_E_NS1_11comp_targetILNS1_3genE5ELNS1_11target_archE942ELNS1_3gpuE9ELNS1_3repE0EEENS1_30default_config_static_selectorELNS0_4arch9wavefront6targetE0EEEvT1_
		.amdhsa_group_segment_fixed_size 0
		.amdhsa_private_segment_fixed_size 0
		.amdhsa_kernarg_size 144
		.amdhsa_user_sgpr_count 2
		.amdhsa_user_sgpr_dispatch_ptr 0
		.amdhsa_user_sgpr_queue_ptr 0
		.amdhsa_user_sgpr_kernarg_segment_ptr 1
		.amdhsa_user_sgpr_dispatch_id 0
		.amdhsa_user_sgpr_kernarg_preload_length 0
		.amdhsa_user_sgpr_kernarg_preload_offset 0
		.amdhsa_user_sgpr_private_segment_size 0
		.amdhsa_wavefront_size32 1
		.amdhsa_uses_dynamic_stack 0
		.amdhsa_enable_private_segment 0
		.amdhsa_system_sgpr_workgroup_id_x 1
		.amdhsa_system_sgpr_workgroup_id_y 0
		.amdhsa_system_sgpr_workgroup_id_z 0
		.amdhsa_system_sgpr_workgroup_info 0
		.amdhsa_system_vgpr_workitem_id 0
		.amdhsa_next_free_vgpr 1
		.amdhsa_next_free_sgpr 1
		.amdhsa_named_barrier_count 0
		.amdhsa_reserve_vcc 0
		.amdhsa_float_round_mode_32 0
		.amdhsa_float_round_mode_16_64 0
		.amdhsa_float_denorm_mode_32 3
		.amdhsa_float_denorm_mode_16_64 3
		.amdhsa_fp16_overflow 0
		.amdhsa_memory_ordered 1
		.amdhsa_forward_progress 1
		.amdhsa_inst_pref_size 0
		.amdhsa_round_robin_scheduling 0
		.amdhsa_exception_fp_ieee_invalid_op 0
		.amdhsa_exception_fp_denorm_src 0
		.amdhsa_exception_fp_ieee_div_zero 0
		.amdhsa_exception_fp_ieee_overflow 0
		.amdhsa_exception_fp_ieee_underflow 0
		.amdhsa_exception_fp_ieee_inexact 0
		.amdhsa_exception_int_div_zero 0
	.end_amdhsa_kernel
	.section	.text._ZN7rocprim17ROCPRIM_400000_NS6detail17trampoline_kernelINS0_14default_configENS1_27scan_by_key_config_selectorIj11FixedVectorIiLj4EEEEZZNS1_16scan_by_key_implILNS1_25lookback_scan_determinismE0ELb1ES3_N6thrust23THRUST_200600_302600_NS6detail15normal_iteratorINSB_10device_ptrIjEEEENSD_INSE_IS6_EEEESI_S6_NSB_4plusIvEENSB_8equal_toIvEES6_EE10hipError_tPvRmT2_T3_T4_T5_mT6_T7_P12ihipStream_tbENKUlT_T0_E_clISt17integral_constantIbLb1EES13_EEDaSY_SZ_EUlSY_E_NS1_11comp_targetILNS1_3genE5ELNS1_11target_archE942ELNS1_3gpuE9ELNS1_3repE0EEENS1_30default_config_static_selectorELNS0_4arch9wavefront6targetE0EEEvT1_,"axG",@progbits,_ZN7rocprim17ROCPRIM_400000_NS6detail17trampoline_kernelINS0_14default_configENS1_27scan_by_key_config_selectorIj11FixedVectorIiLj4EEEEZZNS1_16scan_by_key_implILNS1_25lookback_scan_determinismE0ELb1ES3_N6thrust23THRUST_200600_302600_NS6detail15normal_iteratorINSB_10device_ptrIjEEEENSD_INSE_IS6_EEEESI_S6_NSB_4plusIvEENSB_8equal_toIvEES6_EE10hipError_tPvRmT2_T3_T4_T5_mT6_T7_P12ihipStream_tbENKUlT_T0_E_clISt17integral_constantIbLb1EES13_EEDaSY_SZ_EUlSY_E_NS1_11comp_targetILNS1_3genE5ELNS1_11target_archE942ELNS1_3gpuE9ELNS1_3repE0EEENS1_30default_config_static_selectorELNS0_4arch9wavefront6targetE0EEEvT1_,comdat
.Lfunc_end2086:
	.size	_ZN7rocprim17ROCPRIM_400000_NS6detail17trampoline_kernelINS0_14default_configENS1_27scan_by_key_config_selectorIj11FixedVectorIiLj4EEEEZZNS1_16scan_by_key_implILNS1_25lookback_scan_determinismE0ELb1ES3_N6thrust23THRUST_200600_302600_NS6detail15normal_iteratorINSB_10device_ptrIjEEEENSD_INSE_IS6_EEEESI_S6_NSB_4plusIvEENSB_8equal_toIvEES6_EE10hipError_tPvRmT2_T3_T4_T5_mT6_T7_P12ihipStream_tbENKUlT_T0_E_clISt17integral_constantIbLb1EES13_EEDaSY_SZ_EUlSY_E_NS1_11comp_targetILNS1_3genE5ELNS1_11target_archE942ELNS1_3gpuE9ELNS1_3repE0EEENS1_30default_config_static_selectorELNS0_4arch9wavefront6targetE0EEEvT1_, .Lfunc_end2086-_ZN7rocprim17ROCPRIM_400000_NS6detail17trampoline_kernelINS0_14default_configENS1_27scan_by_key_config_selectorIj11FixedVectorIiLj4EEEEZZNS1_16scan_by_key_implILNS1_25lookback_scan_determinismE0ELb1ES3_N6thrust23THRUST_200600_302600_NS6detail15normal_iteratorINSB_10device_ptrIjEEEENSD_INSE_IS6_EEEESI_S6_NSB_4plusIvEENSB_8equal_toIvEES6_EE10hipError_tPvRmT2_T3_T4_T5_mT6_T7_P12ihipStream_tbENKUlT_T0_E_clISt17integral_constantIbLb1EES13_EEDaSY_SZ_EUlSY_E_NS1_11comp_targetILNS1_3genE5ELNS1_11target_archE942ELNS1_3gpuE9ELNS1_3repE0EEENS1_30default_config_static_selectorELNS0_4arch9wavefront6targetE0EEEvT1_
                                        ; -- End function
	.set _ZN7rocprim17ROCPRIM_400000_NS6detail17trampoline_kernelINS0_14default_configENS1_27scan_by_key_config_selectorIj11FixedVectorIiLj4EEEEZZNS1_16scan_by_key_implILNS1_25lookback_scan_determinismE0ELb1ES3_N6thrust23THRUST_200600_302600_NS6detail15normal_iteratorINSB_10device_ptrIjEEEENSD_INSE_IS6_EEEESI_S6_NSB_4plusIvEENSB_8equal_toIvEES6_EE10hipError_tPvRmT2_T3_T4_T5_mT6_T7_P12ihipStream_tbENKUlT_T0_E_clISt17integral_constantIbLb1EES13_EEDaSY_SZ_EUlSY_E_NS1_11comp_targetILNS1_3genE5ELNS1_11target_archE942ELNS1_3gpuE9ELNS1_3repE0EEENS1_30default_config_static_selectorELNS0_4arch9wavefront6targetE0EEEvT1_.num_vgpr, 0
	.set _ZN7rocprim17ROCPRIM_400000_NS6detail17trampoline_kernelINS0_14default_configENS1_27scan_by_key_config_selectorIj11FixedVectorIiLj4EEEEZZNS1_16scan_by_key_implILNS1_25lookback_scan_determinismE0ELb1ES3_N6thrust23THRUST_200600_302600_NS6detail15normal_iteratorINSB_10device_ptrIjEEEENSD_INSE_IS6_EEEESI_S6_NSB_4plusIvEENSB_8equal_toIvEES6_EE10hipError_tPvRmT2_T3_T4_T5_mT6_T7_P12ihipStream_tbENKUlT_T0_E_clISt17integral_constantIbLb1EES13_EEDaSY_SZ_EUlSY_E_NS1_11comp_targetILNS1_3genE5ELNS1_11target_archE942ELNS1_3gpuE9ELNS1_3repE0EEENS1_30default_config_static_selectorELNS0_4arch9wavefront6targetE0EEEvT1_.num_agpr, 0
	.set _ZN7rocprim17ROCPRIM_400000_NS6detail17trampoline_kernelINS0_14default_configENS1_27scan_by_key_config_selectorIj11FixedVectorIiLj4EEEEZZNS1_16scan_by_key_implILNS1_25lookback_scan_determinismE0ELb1ES3_N6thrust23THRUST_200600_302600_NS6detail15normal_iteratorINSB_10device_ptrIjEEEENSD_INSE_IS6_EEEESI_S6_NSB_4plusIvEENSB_8equal_toIvEES6_EE10hipError_tPvRmT2_T3_T4_T5_mT6_T7_P12ihipStream_tbENKUlT_T0_E_clISt17integral_constantIbLb1EES13_EEDaSY_SZ_EUlSY_E_NS1_11comp_targetILNS1_3genE5ELNS1_11target_archE942ELNS1_3gpuE9ELNS1_3repE0EEENS1_30default_config_static_selectorELNS0_4arch9wavefront6targetE0EEEvT1_.numbered_sgpr, 0
	.set _ZN7rocprim17ROCPRIM_400000_NS6detail17trampoline_kernelINS0_14default_configENS1_27scan_by_key_config_selectorIj11FixedVectorIiLj4EEEEZZNS1_16scan_by_key_implILNS1_25lookback_scan_determinismE0ELb1ES3_N6thrust23THRUST_200600_302600_NS6detail15normal_iteratorINSB_10device_ptrIjEEEENSD_INSE_IS6_EEEESI_S6_NSB_4plusIvEENSB_8equal_toIvEES6_EE10hipError_tPvRmT2_T3_T4_T5_mT6_T7_P12ihipStream_tbENKUlT_T0_E_clISt17integral_constantIbLb1EES13_EEDaSY_SZ_EUlSY_E_NS1_11comp_targetILNS1_3genE5ELNS1_11target_archE942ELNS1_3gpuE9ELNS1_3repE0EEENS1_30default_config_static_selectorELNS0_4arch9wavefront6targetE0EEEvT1_.num_named_barrier, 0
	.set _ZN7rocprim17ROCPRIM_400000_NS6detail17trampoline_kernelINS0_14default_configENS1_27scan_by_key_config_selectorIj11FixedVectorIiLj4EEEEZZNS1_16scan_by_key_implILNS1_25lookback_scan_determinismE0ELb1ES3_N6thrust23THRUST_200600_302600_NS6detail15normal_iteratorINSB_10device_ptrIjEEEENSD_INSE_IS6_EEEESI_S6_NSB_4plusIvEENSB_8equal_toIvEES6_EE10hipError_tPvRmT2_T3_T4_T5_mT6_T7_P12ihipStream_tbENKUlT_T0_E_clISt17integral_constantIbLb1EES13_EEDaSY_SZ_EUlSY_E_NS1_11comp_targetILNS1_3genE5ELNS1_11target_archE942ELNS1_3gpuE9ELNS1_3repE0EEENS1_30default_config_static_selectorELNS0_4arch9wavefront6targetE0EEEvT1_.private_seg_size, 0
	.set _ZN7rocprim17ROCPRIM_400000_NS6detail17trampoline_kernelINS0_14default_configENS1_27scan_by_key_config_selectorIj11FixedVectorIiLj4EEEEZZNS1_16scan_by_key_implILNS1_25lookback_scan_determinismE0ELb1ES3_N6thrust23THRUST_200600_302600_NS6detail15normal_iteratorINSB_10device_ptrIjEEEENSD_INSE_IS6_EEEESI_S6_NSB_4plusIvEENSB_8equal_toIvEES6_EE10hipError_tPvRmT2_T3_T4_T5_mT6_T7_P12ihipStream_tbENKUlT_T0_E_clISt17integral_constantIbLb1EES13_EEDaSY_SZ_EUlSY_E_NS1_11comp_targetILNS1_3genE5ELNS1_11target_archE942ELNS1_3gpuE9ELNS1_3repE0EEENS1_30default_config_static_selectorELNS0_4arch9wavefront6targetE0EEEvT1_.uses_vcc, 0
	.set _ZN7rocprim17ROCPRIM_400000_NS6detail17trampoline_kernelINS0_14default_configENS1_27scan_by_key_config_selectorIj11FixedVectorIiLj4EEEEZZNS1_16scan_by_key_implILNS1_25lookback_scan_determinismE0ELb1ES3_N6thrust23THRUST_200600_302600_NS6detail15normal_iteratorINSB_10device_ptrIjEEEENSD_INSE_IS6_EEEESI_S6_NSB_4plusIvEENSB_8equal_toIvEES6_EE10hipError_tPvRmT2_T3_T4_T5_mT6_T7_P12ihipStream_tbENKUlT_T0_E_clISt17integral_constantIbLb1EES13_EEDaSY_SZ_EUlSY_E_NS1_11comp_targetILNS1_3genE5ELNS1_11target_archE942ELNS1_3gpuE9ELNS1_3repE0EEENS1_30default_config_static_selectorELNS0_4arch9wavefront6targetE0EEEvT1_.uses_flat_scratch, 0
	.set _ZN7rocprim17ROCPRIM_400000_NS6detail17trampoline_kernelINS0_14default_configENS1_27scan_by_key_config_selectorIj11FixedVectorIiLj4EEEEZZNS1_16scan_by_key_implILNS1_25lookback_scan_determinismE0ELb1ES3_N6thrust23THRUST_200600_302600_NS6detail15normal_iteratorINSB_10device_ptrIjEEEENSD_INSE_IS6_EEEESI_S6_NSB_4plusIvEENSB_8equal_toIvEES6_EE10hipError_tPvRmT2_T3_T4_T5_mT6_T7_P12ihipStream_tbENKUlT_T0_E_clISt17integral_constantIbLb1EES13_EEDaSY_SZ_EUlSY_E_NS1_11comp_targetILNS1_3genE5ELNS1_11target_archE942ELNS1_3gpuE9ELNS1_3repE0EEENS1_30default_config_static_selectorELNS0_4arch9wavefront6targetE0EEEvT1_.has_dyn_sized_stack, 0
	.set _ZN7rocprim17ROCPRIM_400000_NS6detail17trampoline_kernelINS0_14default_configENS1_27scan_by_key_config_selectorIj11FixedVectorIiLj4EEEEZZNS1_16scan_by_key_implILNS1_25lookback_scan_determinismE0ELb1ES3_N6thrust23THRUST_200600_302600_NS6detail15normal_iteratorINSB_10device_ptrIjEEEENSD_INSE_IS6_EEEESI_S6_NSB_4plusIvEENSB_8equal_toIvEES6_EE10hipError_tPvRmT2_T3_T4_T5_mT6_T7_P12ihipStream_tbENKUlT_T0_E_clISt17integral_constantIbLb1EES13_EEDaSY_SZ_EUlSY_E_NS1_11comp_targetILNS1_3genE5ELNS1_11target_archE942ELNS1_3gpuE9ELNS1_3repE0EEENS1_30default_config_static_selectorELNS0_4arch9wavefront6targetE0EEEvT1_.has_recursion, 0
	.set _ZN7rocprim17ROCPRIM_400000_NS6detail17trampoline_kernelINS0_14default_configENS1_27scan_by_key_config_selectorIj11FixedVectorIiLj4EEEEZZNS1_16scan_by_key_implILNS1_25lookback_scan_determinismE0ELb1ES3_N6thrust23THRUST_200600_302600_NS6detail15normal_iteratorINSB_10device_ptrIjEEEENSD_INSE_IS6_EEEESI_S6_NSB_4plusIvEENSB_8equal_toIvEES6_EE10hipError_tPvRmT2_T3_T4_T5_mT6_T7_P12ihipStream_tbENKUlT_T0_E_clISt17integral_constantIbLb1EES13_EEDaSY_SZ_EUlSY_E_NS1_11comp_targetILNS1_3genE5ELNS1_11target_archE942ELNS1_3gpuE9ELNS1_3repE0EEENS1_30default_config_static_selectorELNS0_4arch9wavefront6targetE0EEEvT1_.has_indirect_call, 0
	.section	.AMDGPU.csdata,"",@progbits
; Kernel info:
; codeLenInByte = 0
; TotalNumSgprs: 0
; NumVgprs: 0
; ScratchSize: 0
; MemoryBound: 0
; FloatMode: 240
; IeeeMode: 1
; LDSByteSize: 0 bytes/workgroup (compile time only)
; SGPRBlocks: 0
; VGPRBlocks: 0
; NumSGPRsForWavesPerEU: 1
; NumVGPRsForWavesPerEU: 1
; NamedBarCnt: 0
; Occupancy: 16
; WaveLimiterHint : 0
; COMPUTE_PGM_RSRC2:SCRATCH_EN: 0
; COMPUTE_PGM_RSRC2:USER_SGPR: 2
; COMPUTE_PGM_RSRC2:TRAP_HANDLER: 0
; COMPUTE_PGM_RSRC2:TGID_X_EN: 1
; COMPUTE_PGM_RSRC2:TGID_Y_EN: 0
; COMPUTE_PGM_RSRC2:TGID_Z_EN: 0
; COMPUTE_PGM_RSRC2:TIDIG_COMP_CNT: 0
	.section	.text._ZN7rocprim17ROCPRIM_400000_NS6detail17trampoline_kernelINS0_14default_configENS1_27scan_by_key_config_selectorIj11FixedVectorIiLj4EEEEZZNS1_16scan_by_key_implILNS1_25lookback_scan_determinismE0ELb1ES3_N6thrust23THRUST_200600_302600_NS6detail15normal_iteratorINSB_10device_ptrIjEEEENSD_INSE_IS6_EEEESI_S6_NSB_4plusIvEENSB_8equal_toIvEES6_EE10hipError_tPvRmT2_T3_T4_T5_mT6_T7_P12ihipStream_tbENKUlT_T0_E_clISt17integral_constantIbLb1EES13_EEDaSY_SZ_EUlSY_E_NS1_11comp_targetILNS1_3genE4ELNS1_11target_archE910ELNS1_3gpuE8ELNS1_3repE0EEENS1_30default_config_static_selectorELNS0_4arch9wavefront6targetE0EEEvT1_,"axG",@progbits,_ZN7rocprim17ROCPRIM_400000_NS6detail17trampoline_kernelINS0_14default_configENS1_27scan_by_key_config_selectorIj11FixedVectorIiLj4EEEEZZNS1_16scan_by_key_implILNS1_25lookback_scan_determinismE0ELb1ES3_N6thrust23THRUST_200600_302600_NS6detail15normal_iteratorINSB_10device_ptrIjEEEENSD_INSE_IS6_EEEESI_S6_NSB_4plusIvEENSB_8equal_toIvEES6_EE10hipError_tPvRmT2_T3_T4_T5_mT6_T7_P12ihipStream_tbENKUlT_T0_E_clISt17integral_constantIbLb1EES13_EEDaSY_SZ_EUlSY_E_NS1_11comp_targetILNS1_3genE4ELNS1_11target_archE910ELNS1_3gpuE8ELNS1_3repE0EEENS1_30default_config_static_selectorELNS0_4arch9wavefront6targetE0EEEvT1_,comdat
	.protected	_ZN7rocprim17ROCPRIM_400000_NS6detail17trampoline_kernelINS0_14default_configENS1_27scan_by_key_config_selectorIj11FixedVectorIiLj4EEEEZZNS1_16scan_by_key_implILNS1_25lookback_scan_determinismE0ELb1ES3_N6thrust23THRUST_200600_302600_NS6detail15normal_iteratorINSB_10device_ptrIjEEEENSD_INSE_IS6_EEEESI_S6_NSB_4plusIvEENSB_8equal_toIvEES6_EE10hipError_tPvRmT2_T3_T4_T5_mT6_T7_P12ihipStream_tbENKUlT_T0_E_clISt17integral_constantIbLb1EES13_EEDaSY_SZ_EUlSY_E_NS1_11comp_targetILNS1_3genE4ELNS1_11target_archE910ELNS1_3gpuE8ELNS1_3repE0EEENS1_30default_config_static_selectorELNS0_4arch9wavefront6targetE0EEEvT1_ ; -- Begin function _ZN7rocprim17ROCPRIM_400000_NS6detail17trampoline_kernelINS0_14default_configENS1_27scan_by_key_config_selectorIj11FixedVectorIiLj4EEEEZZNS1_16scan_by_key_implILNS1_25lookback_scan_determinismE0ELb1ES3_N6thrust23THRUST_200600_302600_NS6detail15normal_iteratorINSB_10device_ptrIjEEEENSD_INSE_IS6_EEEESI_S6_NSB_4plusIvEENSB_8equal_toIvEES6_EE10hipError_tPvRmT2_T3_T4_T5_mT6_T7_P12ihipStream_tbENKUlT_T0_E_clISt17integral_constantIbLb1EES13_EEDaSY_SZ_EUlSY_E_NS1_11comp_targetILNS1_3genE4ELNS1_11target_archE910ELNS1_3gpuE8ELNS1_3repE0EEENS1_30default_config_static_selectorELNS0_4arch9wavefront6targetE0EEEvT1_
	.globl	_ZN7rocprim17ROCPRIM_400000_NS6detail17trampoline_kernelINS0_14default_configENS1_27scan_by_key_config_selectorIj11FixedVectorIiLj4EEEEZZNS1_16scan_by_key_implILNS1_25lookback_scan_determinismE0ELb1ES3_N6thrust23THRUST_200600_302600_NS6detail15normal_iteratorINSB_10device_ptrIjEEEENSD_INSE_IS6_EEEESI_S6_NSB_4plusIvEENSB_8equal_toIvEES6_EE10hipError_tPvRmT2_T3_T4_T5_mT6_T7_P12ihipStream_tbENKUlT_T0_E_clISt17integral_constantIbLb1EES13_EEDaSY_SZ_EUlSY_E_NS1_11comp_targetILNS1_3genE4ELNS1_11target_archE910ELNS1_3gpuE8ELNS1_3repE0EEENS1_30default_config_static_selectorELNS0_4arch9wavefront6targetE0EEEvT1_
	.p2align	8
	.type	_ZN7rocprim17ROCPRIM_400000_NS6detail17trampoline_kernelINS0_14default_configENS1_27scan_by_key_config_selectorIj11FixedVectorIiLj4EEEEZZNS1_16scan_by_key_implILNS1_25lookback_scan_determinismE0ELb1ES3_N6thrust23THRUST_200600_302600_NS6detail15normal_iteratorINSB_10device_ptrIjEEEENSD_INSE_IS6_EEEESI_S6_NSB_4plusIvEENSB_8equal_toIvEES6_EE10hipError_tPvRmT2_T3_T4_T5_mT6_T7_P12ihipStream_tbENKUlT_T0_E_clISt17integral_constantIbLb1EES13_EEDaSY_SZ_EUlSY_E_NS1_11comp_targetILNS1_3genE4ELNS1_11target_archE910ELNS1_3gpuE8ELNS1_3repE0EEENS1_30default_config_static_selectorELNS0_4arch9wavefront6targetE0EEEvT1_,@function
_ZN7rocprim17ROCPRIM_400000_NS6detail17trampoline_kernelINS0_14default_configENS1_27scan_by_key_config_selectorIj11FixedVectorIiLj4EEEEZZNS1_16scan_by_key_implILNS1_25lookback_scan_determinismE0ELb1ES3_N6thrust23THRUST_200600_302600_NS6detail15normal_iteratorINSB_10device_ptrIjEEEENSD_INSE_IS6_EEEESI_S6_NSB_4plusIvEENSB_8equal_toIvEES6_EE10hipError_tPvRmT2_T3_T4_T5_mT6_T7_P12ihipStream_tbENKUlT_T0_E_clISt17integral_constantIbLb1EES13_EEDaSY_SZ_EUlSY_E_NS1_11comp_targetILNS1_3genE4ELNS1_11target_archE910ELNS1_3gpuE8ELNS1_3repE0EEENS1_30default_config_static_selectorELNS0_4arch9wavefront6targetE0EEEvT1_: ; @_ZN7rocprim17ROCPRIM_400000_NS6detail17trampoline_kernelINS0_14default_configENS1_27scan_by_key_config_selectorIj11FixedVectorIiLj4EEEEZZNS1_16scan_by_key_implILNS1_25lookback_scan_determinismE0ELb1ES3_N6thrust23THRUST_200600_302600_NS6detail15normal_iteratorINSB_10device_ptrIjEEEENSD_INSE_IS6_EEEESI_S6_NSB_4plusIvEENSB_8equal_toIvEES6_EE10hipError_tPvRmT2_T3_T4_T5_mT6_T7_P12ihipStream_tbENKUlT_T0_E_clISt17integral_constantIbLb1EES13_EEDaSY_SZ_EUlSY_E_NS1_11comp_targetILNS1_3genE4ELNS1_11target_archE910ELNS1_3gpuE8ELNS1_3repE0EEENS1_30default_config_static_selectorELNS0_4arch9wavefront6targetE0EEEvT1_
; %bb.0:
	.section	.rodata,"a",@progbits
	.p2align	6, 0x0
	.amdhsa_kernel _ZN7rocprim17ROCPRIM_400000_NS6detail17trampoline_kernelINS0_14default_configENS1_27scan_by_key_config_selectorIj11FixedVectorIiLj4EEEEZZNS1_16scan_by_key_implILNS1_25lookback_scan_determinismE0ELb1ES3_N6thrust23THRUST_200600_302600_NS6detail15normal_iteratorINSB_10device_ptrIjEEEENSD_INSE_IS6_EEEESI_S6_NSB_4plusIvEENSB_8equal_toIvEES6_EE10hipError_tPvRmT2_T3_T4_T5_mT6_T7_P12ihipStream_tbENKUlT_T0_E_clISt17integral_constantIbLb1EES13_EEDaSY_SZ_EUlSY_E_NS1_11comp_targetILNS1_3genE4ELNS1_11target_archE910ELNS1_3gpuE8ELNS1_3repE0EEENS1_30default_config_static_selectorELNS0_4arch9wavefront6targetE0EEEvT1_
		.amdhsa_group_segment_fixed_size 0
		.amdhsa_private_segment_fixed_size 0
		.amdhsa_kernarg_size 144
		.amdhsa_user_sgpr_count 2
		.amdhsa_user_sgpr_dispatch_ptr 0
		.amdhsa_user_sgpr_queue_ptr 0
		.amdhsa_user_sgpr_kernarg_segment_ptr 1
		.amdhsa_user_sgpr_dispatch_id 0
		.amdhsa_user_sgpr_kernarg_preload_length 0
		.amdhsa_user_sgpr_kernarg_preload_offset 0
		.amdhsa_user_sgpr_private_segment_size 0
		.amdhsa_wavefront_size32 1
		.amdhsa_uses_dynamic_stack 0
		.amdhsa_enable_private_segment 0
		.amdhsa_system_sgpr_workgroup_id_x 1
		.amdhsa_system_sgpr_workgroup_id_y 0
		.amdhsa_system_sgpr_workgroup_id_z 0
		.amdhsa_system_sgpr_workgroup_info 0
		.amdhsa_system_vgpr_workitem_id 0
		.amdhsa_next_free_vgpr 1
		.amdhsa_next_free_sgpr 1
		.amdhsa_named_barrier_count 0
		.amdhsa_reserve_vcc 0
		.amdhsa_float_round_mode_32 0
		.amdhsa_float_round_mode_16_64 0
		.amdhsa_float_denorm_mode_32 3
		.amdhsa_float_denorm_mode_16_64 3
		.amdhsa_fp16_overflow 0
		.amdhsa_memory_ordered 1
		.amdhsa_forward_progress 1
		.amdhsa_inst_pref_size 0
		.amdhsa_round_robin_scheduling 0
		.amdhsa_exception_fp_ieee_invalid_op 0
		.amdhsa_exception_fp_denorm_src 0
		.amdhsa_exception_fp_ieee_div_zero 0
		.amdhsa_exception_fp_ieee_overflow 0
		.amdhsa_exception_fp_ieee_underflow 0
		.amdhsa_exception_fp_ieee_inexact 0
		.amdhsa_exception_int_div_zero 0
	.end_amdhsa_kernel
	.section	.text._ZN7rocprim17ROCPRIM_400000_NS6detail17trampoline_kernelINS0_14default_configENS1_27scan_by_key_config_selectorIj11FixedVectorIiLj4EEEEZZNS1_16scan_by_key_implILNS1_25lookback_scan_determinismE0ELb1ES3_N6thrust23THRUST_200600_302600_NS6detail15normal_iteratorINSB_10device_ptrIjEEEENSD_INSE_IS6_EEEESI_S6_NSB_4plusIvEENSB_8equal_toIvEES6_EE10hipError_tPvRmT2_T3_T4_T5_mT6_T7_P12ihipStream_tbENKUlT_T0_E_clISt17integral_constantIbLb1EES13_EEDaSY_SZ_EUlSY_E_NS1_11comp_targetILNS1_3genE4ELNS1_11target_archE910ELNS1_3gpuE8ELNS1_3repE0EEENS1_30default_config_static_selectorELNS0_4arch9wavefront6targetE0EEEvT1_,"axG",@progbits,_ZN7rocprim17ROCPRIM_400000_NS6detail17trampoline_kernelINS0_14default_configENS1_27scan_by_key_config_selectorIj11FixedVectorIiLj4EEEEZZNS1_16scan_by_key_implILNS1_25lookback_scan_determinismE0ELb1ES3_N6thrust23THRUST_200600_302600_NS6detail15normal_iteratorINSB_10device_ptrIjEEEENSD_INSE_IS6_EEEESI_S6_NSB_4plusIvEENSB_8equal_toIvEES6_EE10hipError_tPvRmT2_T3_T4_T5_mT6_T7_P12ihipStream_tbENKUlT_T0_E_clISt17integral_constantIbLb1EES13_EEDaSY_SZ_EUlSY_E_NS1_11comp_targetILNS1_3genE4ELNS1_11target_archE910ELNS1_3gpuE8ELNS1_3repE0EEENS1_30default_config_static_selectorELNS0_4arch9wavefront6targetE0EEEvT1_,comdat
.Lfunc_end2087:
	.size	_ZN7rocprim17ROCPRIM_400000_NS6detail17trampoline_kernelINS0_14default_configENS1_27scan_by_key_config_selectorIj11FixedVectorIiLj4EEEEZZNS1_16scan_by_key_implILNS1_25lookback_scan_determinismE0ELb1ES3_N6thrust23THRUST_200600_302600_NS6detail15normal_iteratorINSB_10device_ptrIjEEEENSD_INSE_IS6_EEEESI_S6_NSB_4plusIvEENSB_8equal_toIvEES6_EE10hipError_tPvRmT2_T3_T4_T5_mT6_T7_P12ihipStream_tbENKUlT_T0_E_clISt17integral_constantIbLb1EES13_EEDaSY_SZ_EUlSY_E_NS1_11comp_targetILNS1_3genE4ELNS1_11target_archE910ELNS1_3gpuE8ELNS1_3repE0EEENS1_30default_config_static_selectorELNS0_4arch9wavefront6targetE0EEEvT1_, .Lfunc_end2087-_ZN7rocprim17ROCPRIM_400000_NS6detail17trampoline_kernelINS0_14default_configENS1_27scan_by_key_config_selectorIj11FixedVectorIiLj4EEEEZZNS1_16scan_by_key_implILNS1_25lookback_scan_determinismE0ELb1ES3_N6thrust23THRUST_200600_302600_NS6detail15normal_iteratorINSB_10device_ptrIjEEEENSD_INSE_IS6_EEEESI_S6_NSB_4plusIvEENSB_8equal_toIvEES6_EE10hipError_tPvRmT2_T3_T4_T5_mT6_T7_P12ihipStream_tbENKUlT_T0_E_clISt17integral_constantIbLb1EES13_EEDaSY_SZ_EUlSY_E_NS1_11comp_targetILNS1_3genE4ELNS1_11target_archE910ELNS1_3gpuE8ELNS1_3repE0EEENS1_30default_config_static_selectorELNS0_4arch9wavefront6targetE0EEEvT1_
                                        ; -- End function
	.set _ZN7rocprim17ROCPRIM_400000_NS6detail17trampoline_kernelINS0_14default_configENS1_27scan_by_key_config_selectorIj11FixedVectorIiLj4EEEEZZNS1_16scan_by_key_implILNS1_25lookback_scan_determinismE0ELb1ES3_N6thrust23THRUST_200600_302600_NS6detail15normal_iteratorINSB_10device_ptrIjEEEENSD_INSE_IS6_EEEESI_S6_NSB_4plusIvEENSB_8equal_toIvEES6_EE10hipError_tPvRmT2_T3_T4_T5_mT6_T7_P12ihipStream_tbENKUlT_T0_E_clISt17integral_constantIbLb1EES13_EEDaSY_SZ_EUlSY_E_NS1_11comp_targetILNS1_3genE4ELNS1_11target_archE910ELNS1_3gpuE8ELNS1_3repE0EEENS1_30default_config_static_selectorELNS0_4arch9wavefront6targetE0EEEvT1_.num_vgpr, 0
	.set _ZN7rocprim17ROCPRIM_400000_NS6detail17trampoline_kernelINS0_14default_configENS1_27scan_by_key_config_selectorIj11FixedVectorIiLj4EEEEZZNS1_16scan_by_key_implILNS1_25lookback_scan_determinismE0ELb1ES3_N6thrust23THRUST_200600_302600_NS6detail15normal_iteratorINSB_10device_ptrIjEEEENSD_INSE_IS6_EEEESI_S6_NSB_4plusIvEENSB_8equal_toIvEES6_EE10hipError_tPvRmT2_T3_T4_T5_mT6_T7_P12ihipStream_tbENKUlT_T0_E_clISt17integral_constantIbLb1EES13_EEDaSY_SZ_EUlSY_E_NS1_11comp_targetILNS1_3genE4ELNS1_11target_archE910ELNS1_3gpuE8ELNS1_3repE0EEENS1_30default_config_static_selectorELNS0_4arch9wavefront6targetE0EEEvT1_.num_agpr, 0
	.set _ZN7rocprim17ROCPRIM_400000_NS6detail17trampoline_kernelINS0_14default_configENS1_27scan_by_key_config_selectorIj11FixedVectorIiLj4EEEEZZNS1_16scan_by_key_implILNS1_25lookback_scan_determinismE0ELb1ES3_N6thrust23THRUST_200600_302600_NS6detail15normal_iteratorINSB_10device_ptrIjEEEENSD_INSE_IS6_EEEESI_S6_NSB_4plusIvEENSB_8equal_toIvEES6_EE10hipError_tPvRmT2_T3_T4_T5_mT6_T7_P12ihipStream_tbENKUlT_T0_E_clISt17integral_constantIbLb1EES13_EEDaSY_SZ_EUlSY_E_NS1_11comp_targetILNS1_3genE4ELNS1_11target_archE910ELNS1_3gpuE8ELNS1_3repE0EEENS1_30default_config_static_selectorELNS0_4arch9wavefront6targetE0EEEvT1_.numbered_sgpr, 0
	.set _ZN7rocprim17ROCPRIM_400000_NS6detail17trampoline_kernelINS0_14default_configENS1_27scan_by_key_config_selectorIj11FixedVectorIiLj4EEEEZZNS1_16scan_by_key_implILNS1_25lookback_scan_determinismE0ELb1ES3_N6thrust23THRUST_200600_302600_NS6detail15normal_iteratorINSB_10device_ptrIjEEEENSD_INSE_IS6_EEEESI_S6_NSB_4plusIvEENSB_8equal_toIvEES6_EE10hipError_tPvRmT2_T3_T4_T5_mT6_T7_P12ihipStream_tbENKUlT_T0_E_clISt17integral_constantIbLb1EES13_EEDaSY_SZ_EUlSY_E_NS1_11comp_targetILNS1_3genE4ELNS1_11target_archE910ELNS1_3gpuE8ELNS1_3repE0EEENS1_30default_config_static_selectorELNS0_4arch9wavefront6targetE0EEEvT1_.num_named_barrier, 0
	.set _ZN7rocprim17ROCPRIM_400000_NS6detail17trampoline_kernelINS0_14default_configENS1_27scan_by_key_config_selectorIj11FixedVectorIiLj4EEEEZZNS1_16scan_by_key_implILNS1_25lookback_scan_determinismE0ELb1ES3_N6thrust23THRUST_200600_302600_NS6detail15normal_iteratorINSB_10device_ptrIjEEEENSD_INSE_IS6_EEEESI_S6_NSB_4plusIvEENSB_8equal_toIvEES6_EE10hipError_tPvRmT2_T3_T4_T5_mT6_T7_P12ihipStream_tbENKUlT_T0_E_clISt17integral_constantIbLb1EES13_EEDaSY_SZ_EUlSY_E_NS1_11comp_targetILNS1_3genE4ELNS1_11target_archE910ELNS1_3gpuE8ELNS1_3repE0EEENS1_30default_config_static_selectorELNS0_4arch9wavefront6targetE0EEEvT1_.private_seg_size, 0
	.set _ZN7rocprim17ROCPRIM_400000_NS6detail17trampoline_kernelINS0_14default_configENS1_27scan_by_key_config_selectorIj11FixedVectorIiLj4EEEEZZNS1_16scan_by_key_implILNS1_25lookback_scan_determinismE0ELb1ES3_N6thrust23THRUST_200600_302600_NS6detail15normal_iteratorINSB_10device_ptrIjEEEENSD_INSE_IS6_EEEESI_S6_NSB_4plusIvEENSB_8equal_toIvEES6_EE10hipError_tPvRmT2_T3_T4_T5_mT6_T7_P12ihipStream_tbENKUlT_T0_E_clISt17integral_constantIbLb1EES13_EEDaSY_SZ_EUlSY_E_NS1_11comp_targetILNS1_3genE4ELNS1_11target_archE910ELNS1_3gpuE8ELNS1_3repE0EEENS1_30default_config_static_selectorELNS0_4arch9wavefront6targetE0EEEvT1_.uses_vcc, 0
	.set _ZN7rocprim17ROCPRIM_400000_NS6detail17trampoline_kernelINS0_14default_configENS1_27scan_by_key_config_selectorIj11FixedVectorIiLj4EEEEZZNS1_16scan_by_key_implILNS1_25lookback_scan_determinismE0ELb1ES3_N6thrust23THRUST_200600_302600_NS6detail15normal_iteratorINSB_10device_ptrIjEEEENSD_INSE_IS6_EEEESI_S6_NSB_4plusIvEENSB_8equal_toIvEES6_EE10hipError_tPvRmT2_T3_T4_T5_mT6_T7_P12ihipStream_tbENKUlT_T0_E_clISt17integral_constantIbLb1EES13_EEDaSY_SZ_EUlSY_E_NS1_11comp_targetILNS1_3genE4ELNS1_11target_archE910ELNS1_3gpuE8ELNS1_3repE0EEENS1_30default_config_static_selectorELNS0_4arch9wavefront6targetE0EEEvT1_.uses_flat_scratch, 0
	.set _ZN7rocprim17ROCPRIM_400000_NS6detail17trampoline_kernelINS0_14default_configENS1_27scan_by_key_config_selectorIj11FixedVectorIiLj4EEEEZZNS1_16scan_by_key_implILNS1_25lookback_scan_determinismE0ELb1ES3_N6thrust23THRUST_200600_302600_NS6detail15normal_iteratorINSB_10device_ptrIjEEEENSD_INSE_IS6_EEEESI_S6_NSB_4plusIvEENSB_8equal_toIvEES6_EE10hipError_tPvRmT2_T3_T4_T5_mT6_T7_P12ihipStream_tbENKUlT_T0_E_clISt17integral_constantIbLb1EES13_EEDaSY_SZ_EUlSY_E_NS1_11comp_targetILNS1_3genE4ELNS1_11target_archE910ELNS1_3gpuE8ELNS1_3repE0EEENS1_30default_config_static_selectorELNS0_4arch9wavefront6targetE0EEEvT1_.has_dyn_sized_stack, 0
	.set _ZN7rocprim17ROCPRIM_400000_NS6detail17trampoline_kernelINS0_14default_configENS1_27scan_by_key_config_selectorIj11FixedVectorIiLj4EEEEZZNS1_16scan_by_key_implILNS1_25lookback_scan_determinismE0ELb1ES3_N6thrust23THRUST_200600_302600_NS6detail15normal_iteratorINSB_10device_ptrIjEEEENSD_INSE_IS6_EEEESI_S6_NSB_4plusIvEENSB_8equal_toIvEES6_EE10hipError_tPvRmT2_T3_T4_T5_mT6_T7_P12ihipStream_tbENKUlT_T0_E_clISt17integral_constantIbLb1EES13_EEDaSY_SZ_EUlSY_E_NS1_11comp_targetILNS1_3genE4ELNS1_11target_archE910ELNS1_3gpuE8ELNS1_3repE0EEENS1_30default_config_static_selectorELNS0_4arch9wavefront6targetE0EEEvT1_.has_recursion, 0
	.set _ZN7rocprim17ROCPRIM_400000_NS6detail17trampoline_kernelINS0_14default_configENS1_27scan_by_key_config_selectorIj11FixedVectorIiLj4EEEEZZNS1_16scan_by_key_implILNS1_25lookback_scan_determinismE0ELb1ES3_N6thrust23THRUST_200600_302600_NS6detail15normal_iteratorINSB_10device_ptrIjEEEENSD_INSE_IS6_EEEESI_S6_NSB_4plusIvEENSB_8equal_toIvEES6_EE10hipError_tPvRmT2_T3_T4_T5_mT6_T7_P12ihipStream_tbENKUlT_T0_E_clISt17integral_constantIbLb1EES13_EEDaSY_SZ_EUlSY_E_NS1_11comp_targetILNS1_3genE4ELNS1_11target_archE910ELNS1_3gpuE8ELNS1_3repE0EEENS1_30default_config_static_selectorELNS0_4arch9wavefront6targetE0EEEvT1_.has_indirect_call, 0
	.section	.AMDGPU.csdata,"",@progbits
; Kernel info:
; codeLenInByte = 0
; TotalNumSgprs: 0
; NumVgprs: 0
; ScratchSize: 0
; MemoryBound: 0
; FloatMode: 240
; IeeeMode: 1
; LDSByteSize: 0 bytes/workgroup (compile time only)
; SGPRBlocks: 0
; VGPRBlocks: 0
; NumSGPRsForWavesPerEU: 1
; NumVGPRsForWavesPerEU: 1
; NamedBarCnt: 0
; Occupancy: 16
; WaveLimiterHint : 0
; COMPUTE_PGM_RSRC2:SCRATCH_EN: 0
; COMPUTE_PGM_RSRC2:USER_SGPR: 2
; COMPUTE_PGM_RSRC2:TRAP_HANDLER: 0
; COMPUTE_PGM_RSRC2:TGID_X_EN: 1
; COMPUTE_PGM_RSRC2:TGID_Y_EN: 0
; COMPUTE_PGM_RSRC2:TGID_Z_EN: 0
; COMPUTE_PGM_RSRC2:TIDIG_COMP_CNT: 0
	.section	.text._ZN7rocprim17ROCPRIM_400000_NS6detail17trampoline_kernelINS0_14default_configENS1_27scan_by_key_config_selectorIj11FixedVectorIiLj4EEEEZZNS1_16scan_by_key_implILNS1_25lookback_scan_determinismE0ELb1ES3_N6thrust23THRUST_200600_302600_NS6detail15normal_iteratorINSB_10device_ptrIjEEEENSD_INSE_IS6_EEEESI_S6_NSB_4plusIvEENSB_8equal_toIvEES6_EE10hipError_tPvRmT2_T3_T4_T5_mT6_T7_P12ihipStream_tbENKUlT_T0_E_clISt17integral_constantIbLb1EES13_EEDaSY_SZ_EUlSY_E_NS1_11comp_targetILNS1_3genE3ELNS1_11target_archE908ELNS1_3gpuE7ELNS1_3repE0EEENS1_30default_config_static_selectorELNS0_4arch9wavefront6targetE0EEEvT1_,"axG",@progbits,_ZN7rocprim17ROCPRIM_400000_NS6detail17trampoline_kernelINS0_14default_configENS1_27scan_by_key_config_selectorIj11FixedVectorIiLj4EEEEZZNS1_16scan_by_key_implILNS1_25lookback_scan_determinismE0ELb1ES3_N6thrust23THRUST_200600_302600_NS6detail15normal_iteratorINSB_10device_ptrIjEEEENSD_INSE_IS6_EEEESI_S6_NSB_4plusIvEENSB_8equal_toIvEES6_EE10hipError_tPvRmT2_T3_T4_T5_mT6_T7_P12ihipStream_tbENKUlT_T0_E_clISt17integral_constantIbLb1EES13_EEDaSY_SZ_EUlSY_E_NS1_11comp_targetILNS1_3genE3ELNS1_11target_archE908ELNS1_3gpuE7ELNS1_3repE0EEENS1_30default_config_static_selectorELNS0_4arch9wavefront6targetE0EEEvT1_,comdat
	.protected	_ZN7rocprim17ROCPRIM_400000_NS6detail17trampoline_kernelINS0_14default_configENS1_27scan_by_key_config_selectorIj11FixedVectorIiLj4EEEEZZNS1_16scan_by_key_implILNS1_25lookback_scan_determinismE0ELb1ES3_N6thrust23THRUST_200600_302600_NS6detail15normal_iteratorINSB_10device_ptrIjEEEENSD_INSE_IS6_EEEESI_S6_NSB_4plusIvEENSB_8equal_toIvEES6_EE10hipError_tPvRmT2_T3_T4_T5_mT6_T7_P12ihipStream_tbENKUlT_T0_E_clISt17integral_constantIbLb1EES13_EEDaSY_SZ_EUlSY_E_NS1_11comp_targetILNS1_3genE3ELNS1_11target_archE908ELNS1_3gpuE7ELNS1_3repE0EEENS1_30default_config_static_selectorELNS0_4arch9wavefront6targetE0EEEvT1_ ; -- Begin function _ZN7rocprim17ROCPRIM_400000_NS6detail17trampoline_kernelINS0_14default_configENS1_27scan_by_key_config_selectorIj11FixedVectorIiLj4EEEEZZNS1_16scan_by_key_implILNS1_25lookback_scan_determinismE0ELb1ES3_N6thrust23THRUST_200600_302600_NS6detail15normal_iteratorINSB_10device_ptrIjEEEENSD_INSE_IS6_EEEESI_S6_NSB_4plusIvEENSB_8equal_toIvEES6_EE10hipError_tPvRmT2_T3_T4_T5_mT6_T7_P12ihipStream_tbENKUlT_T0_E_clISt17integral_constantIbLb1EES13_EEDaSY_SZ_EUlSY_E_NS1_11comp_targetILNS1_3genE3ELNS1_11target_archE908ELNS1_3gpuE7ELNS1_3repE0EEENS1_30default_config_static_selectorELNS0_4arch9wavefront6targetE0EEEvT1_
	.globl	_ZN7rocprim17ROCPRIM_400000_NS6detail17trampoline_kernelINS0_14default_configENS1_27scan_by_key_config_selectorIj11FixedVectorIiLj4EEEEZZNS1_16scan_by_key_implILNS1_25lookback_scan_determinismE0ELb1ES3_N6thrust23THRUST_200600_302600_NS6detail15normal_iteratorINSB_10device_ptrIjEEEENSD_INSE_IS6_EEEESI_S6_NSB_4plusIvEENSB_8equal_toIvEES6_EE10hipError_tPvRmT2_T3_T4_T5_mT6_T7_P12ihipStream_tbENKUlT_T0_E_clISt17integral_constantIbLb1EES13_EEDaSY_SZ_EUlSY_E_NS1_11comp_targetILNS1_3genE3ELNS1_11target_archE908ELNS1_3gpuE7ELNS1_3repE0EEENS1_30default_config_static_selectorELNS0_4arch9wavefront6targetE0EEEvT1_
	.p2align	8
	.type	_ZN7rocprim17ROCPRIM_400000_NS6detail17trampoline_kernelINS0_14default_configENS1_27scan_by_key_config_selectorIj11FixedVectorIiLj4EEEEZZNS1_16scan_by_key_implILNS1_25lookback_scan_determinismE0ELb1ES3_N6thrust23THRUST_200600_302600_NS6detail15normal_iteratorINSB_10device_ptrIjEEEENSD_INSE_IS6_EEEESI_S6_NSB_4plusIvEENSB_8equal_toIvEES6_EE10hipError_tPvRmT2_T3_T4_T5_mT6_T7_P12ihipStream_tbENKUlT_T0_E_clISt17integral_constantIbLb1EES13_EEDaSY_SZ_EUlSY_E_NS1_11comp_targetILNS1_3genE3ELNS1_11target_archE908ELNS1_3gpuE7ELNS1_3repE0EEENS1_30default_config_static_selectorELNS0_4arch9wavefront6targetE0EEEvT1_,@function
_ZN7rocprim17ROCPRIM_400000_NS6detail17trampoline_kernelINS0_14default_configENS1_27scan_by_key_config_selectorIj11FixedVectorIiLj4EEEEZZNS1_16scan_by_key_implILNS1_25lookback_scan_determinismE0ELb1ES3_N6thrust23THRUST_200600_302600_NS6detail15normal_iteratorINSB_10device_ptrIjEEEENSD_INSE_IS6_EEEESI_S6_NSB_4plusIvEENSB_8equal_toIvEES6_EE10hipError_tPvRmT2_T3_T4_T5_mT6_T7_P12ihipStream_tbENKUlT_T0_E_clISt17integral_constantIbLb1EES13_EEDaSY_SZ_EUlSY_E_NS1_11comp_targetILNS1_3genE3ELNS1_11target_archE908ELNS1_3gpuE7ELNS1_3repE0EEENS1_30default_config_static_selectorELNS0_4arch9wavefront6targetE0EEEvT1_: ; @_ZN7rocprim17ROCPRIM_400000_NS6detail17trampoline_kernelINS0_14default_configENS1_27scan_by_key_config_selectorIj11FixedVectorIiLj4EEEEZZNS1_16scan_by_key_implILNS1_25lookback_scan_determinismE0ELb1ES3_N6thrust23THRUST_200600_302600_NS6detail15normal_iteratorINSB_10device_ptrIjEEEENSD_INSE_IS6_EEEESI_S6_NSB_4plusIvEENSB_8equal_toIvEES6_EE10hipError_tPvRmT2_T3_T4_T5_mT6_T7_P12ihipStream_tbENKUlT_T0_E_clISt17integral_constantIbLb1EES13_EEDaSY_SZ_EUlSY_E_NS1_11comp_targetILNS1_3genE3ELNS1_11target_archE908ELNS1_3gpuE7ELNS1_3repE0EEENS1_30default_config_static_selectorELNS0_4arch9wavefront6targetE0EEEvT1_
; %bb.0:
	.section	.rodata,"a",@progbits
	.p2align	6, 0x0
	.amdhsa_kernel _ZN7rocprim17ROCPRIM_400000_NS6detail17trampoline_kernelINS0_14default_configENS1_27scan_by_key_config_selectorIj11FixedVectorIiLj4EEEEZZNS1_16scan_by_key_implILNS1_25lookback_scan_determinismE0ELb1ES3_N6thrust23THRUST_200600_302600_NS6detail15normal_iteratorINSB_10device_ptrIjEEEENSD_INSE_IS6_EEEESI_S6_NSB_4plusIvEENSB_8equal_toIvEES6_EE10hipError_tPvRmT2_T3_T4_T5_mT6_T7_P12ihipStream_tbENKUlT_T0_E_clISt17integral_constantIbLb1EES13_EEDaSY_SZ_EUlSY_E_NS1_11comp_targetILNS1_3genE3ELNS1_11target_archE908ELNS1_3gpuE7ELNS1_3repE0EEENS1_30default_config_static_selectorELNS0_4arch9wavefront6targetE0EEEvT1_
		.amdhsa_group_segment_fixed_size 0
		.amdhsa_private_segment_fixed_size 0
		.amdhsa_kernarg_size 144
		.amdhsa_user_sgpr_count 2
		.amdhsa_user_sgpr_dispatch_ptr 0
		.amdhsa_user_sgpr_queue_ptr 0
		.amdhsa_user_sgpr_kernarg_segment_ptr 1
		.amdhsa_user_sgpr_dispatch_id 0
		.amdhsa_user_sgpr_kernarg_preload_length 0
		.amdhsa_user_sgpr_kernarg_preload_offset 0
		.amdhsa_user_sgpr_private_segment_size 0
		.amdhsa_wavefront_size32 1
		.amdhsa_uses_dynamic_stack 0
		.amdhsa_enable_private_segment 0
		.amdhsa_system_sgpr_workgroup_id_x 1
		.amdhsa_system_sgpr_workgroup_id_y 0
		.amdhsa_system_sgpr_workgroup_id_z 0
		.amdhsa_system_sgpr_workgroup_info 0
		.amdhsa_system_vgpr_workitem_id 0
		.amdhsa_next_free_vgpr 1
		.amdhsa_next_free_sgpr 1
		.amdhsa_named_barrier_count 0
		.amdhsa_reserve_vcc 0
		.amdhsa_float_round_mode_32 0
		.amdhsa_float_round_mode_16_64 0
		.amdhsa_float_denorm_mode_32 3
		.amdhsa_float_denorm_mode_16_64 3
		.amdhsa_fp16_overflow 0
		.amdhsa_memory_ordered 1
		.amdhsa_forward_progress 1
		.amdhsa_inst_pref_size 0
		.amdhsa_round_robin_scheduling 0
		.amdhsa_exception_fp_ieee_invalid_op 0
		.amdhsa_exception_fp_denorm_src 0
		.amdhsa_exception_fp_ieee_div_zero 0
		.amdhsa_exception_fp_ieee_overflow 0
		.amdhsa_exception_fp_ieee_underflow 0
		.amdhsa_exception_fp_ieee_inexact 0
		.amdhsa_exception_int_div_zero 0
	.end_amdhsa_kernel
	.section	.text._ZN7rocprim17ROCPRIM_400000_NS6detail17trampoline_kernelINS0_14default_configENS1_27scan_by_key_config_selectorIj11FixedVectorIiLj4EEEEZZNS1_16scan_by_key_implILNS1_25lookback_scan_determinismE0ELb1ES3_N6thrust23THRUST_200600_302600_NS6detail15normal_iteratorINSB_10device_ptrIjEEEENSD_INSE_IS6_EEEESI_S6_NSB_4plusIvEENSB_8equal_toIvEES6_EE10hipError_tPvRmT2_T3_T4_T5_mT6_T7_P12ihipStream_tbENKUlT_T0_E_clISt17integral_constantIbLb1EES13_EEDaSY_SZ_EUlSY_E_NS1_11comp_targetILNS1_3genE3ELNS1_11target_archE908ELNS1_3gpuE7ELNS1_3repE0EEENS1_30default_config_static_selectorELNS0_4arch9wavefront6targetE0EEEvT1_,"axG",@progbits,_ZN7rocprim17ROCPRIM_400000_NS6detail17trampoline_kernelINS0_14default_configENS1_27scan_by_key_config_selectorIj11FixedVectorIiLj4EEEEZZNS1_16scan_by_key_implILNS1_25lookback_scan_determinismE0ELb1ES3_N6thrust23THRUST_200600_302600_NS6detail15normal_iteratorINSB_10device_ptrIjEEEENSD_INSE_IS6_EEEESI_S6_NSB_4plusIvEENSB_8equal_toIvEES6_EE10hipError_tPvRmT2_T3_T4_T5_mT6_T7_P12ihipStream_tbENKUlT_T0_E_clISt17integral_constantIbLb1EES13_EEDaSY_SZ_EUlSY_E_NS1_11comp_targetILNS1_3genE3ELNS1_11target_archE908ELNS1_3gpuE7ELNS1_3repE0EEENS1_30default_config_static_selectorELNS0_4arch9wavefront6targetE0EEEvT1_,comdat
.Lfunc_end2088:
	.size	_ZN7rocprim17ROCPRIM_400000_NS6detail17trampoline_kernelINS0_14default_configENS1_27scan_by_key_config_selectorIj11FixedVectorIiLj4EEEEZZNS1_16scan_by_key_implILNS1_25lookback_scan_determinismE0ELb1ES3_N6thrust23THRUST_200600_302600_NS6detail15normal_iteratorINSB_10device_ptrIjEEEENSD_INSE_IS6_EEEESI_S6_NSB_4plusIvEENSB_8equal_toIvEES6_EE10hipError_tPvRmT2_T3_T4_T5_mT6_T7_P12ihipStream_tbENKUlT_T0_E_clISt17integral_constantIbLb1EES13_EEDaSY_SZ_EUlSY_E_NS1_11comp_targetILNS1_3genE3ELNS1_11target_archE908ELNS1_3gpuE7ELNS1_3repE0EEENS1_30default_config_static_selectorELNS0_4arch9wavefront6targetE0EEEvT1_, .Lfunc_end2088-_ZN7rocprim17ROCPRIM_400000_NS6detail17trampoline_kernelINS0_14default_configENS1_27scan_by_key_config_selectorIj11FixedVectorIiLj4EEEEZZNS1_16scan_by_key_implILNS1_25lookback_scan_determinismE0ELb1ES3_N6thrust23THRUST_200600_302600_NS6detail15normal_iteratorINSB_10device_ptrIjEEEENSD_INSE_IS6_EEEESI_S6_NSB_4plusIvEENSB_8equal_toIvEES6_EE10hipError_tPvRmT2_T3_T4_T5_mT6_T7_P12ihipStream_tbENKUlT_T0_E_clISt17integral_constantIbLb1EES13_EEDaSY_SZ_EUlSY_E_NS1_11comp_targetILNS1_3genE3ELNS1_11target_archE908ELNS1_3gpuE7ELNS1_3repE0EEENS1_30default_config_static_selectorELNS0_4arch9wavefront6targetE0EEEvT1_
                                        ; -- End function
	.set _ZN7rocprim17ROCPRIM_400000_NS6detail17trampoline_kernelINS0_14default_configENS1_27scan_by_key_config_selectorIj11FixedVectorIiLj4EEEEZZNS1_16scan_by_key_implILNS1_25lookback_scan_determinismE0ELb1ES3_N6thrust23THRUST_200600_302600_NS6detail15normal_iteratorINSB_10device_ptrIjEEEENSD_INSE_IS6_EEEESI_S6_NSB_4plusIvEENSB_8equal_toIvEES6_EE10hipError_tPvRmT2_T3_T4_T5_mT6_T7_P12ihipStream_tbENKUlT_T0_E_clISt17integral_constantIbLb1EES13_EEDaSY_SZ_EUlSY_E_NS1_11comp_targetILNS1_3genE3ELNS1_11target_archE908ELNS1_3gpuE7ELNS1_3repE0EEENS1_30default_config_static_selectorELNS0_4arch9wavefront6targetE0EEEvT1_.num_vgpr, 0
	.set _ZN7rocprim17ROCPRIM_400000_NS6detail17trampoline_kernelINS0_14default_configENS1_27scan_by_key_config_selectorIj11FixedVectorIiLj4EEEEZZNS1_16scan_by_key_implILNS1_25lookback_scan_determinismE0ELb1ES3_N6thrust23THRUST_200600_302600_NS6detail15normal_iteratorINSB_10device_ptrIjEEEENSD_INSE_IS6_EEEESI_S6_NSB_4plusIvEENSB_8equal_toIvEES6_EE10hipError_tPvRmT2_T3_T4_T5_mT6_T7_P12ihipStream_tbENKUlT_T0_E_clISt17integral_constantIbLb1EES13_EEDaSY_SZ_EUlSY_E_NS1_11comp_targetILNS1_3genE3ELNS1_11target_archE908ELNS1_3gpuE7ELNS1_3repE0EEENS1_30default_config_static_selectorELNS0_4arch9wavefront6targetE0EEEvT1_.num_agpr, 0
	.set _ZN7rocprim17ROCPRIM_400000_NS6detail17trampoline_kernelINS0_14default_configENS1_27scan_by_key_config_selectorIj11FixedVectorIiLj4EEEEZZNS1_16scan_by_key_implILNS1_25lookback_scan_determinismE0ELb1ES3_N6thrust23THRUST_200600_302600_NS6detail15normal_iteratorINSB_10device_ptrIjEEEENSD_INSE_IS6_EEEESI_S6_NSB_4plusIvEENSB_8equal_toIvEES6_EE10hipError_tPvRmT2_T3_T4_T5_mT6_T7_P12ihipStream_tbENKUlT_T0_E_clISt17integral_constantIbLb1EES13_EEDaSY_SZ_EUlSY_E_NS1_11comp_targetILNS1_3genE3ELNS1_11target_archE908ELNS1_3gpuE7ELNS1_3repE0EEENS1_30default_config_static_selectorELNS0_4arch9wavefront6targetE0EEEvT1_.numbered_sgpr, 0
	.set _ZN7rocprim17ROCPRIM_400000_NS6detail17trampoline_kernelINS0_14default_configENS1_27scan_by_key_config_selectorIj11FixedVectorIiLj4EEEEZZNS1_16scan_by_key_implILNS1_25lookback_scan_determinismE0ELb1ES3_N6thrust23THRUST_200600_302600_NS6detail15normal_iteratorINSB_10device_ptrIjEEEENSD_INSE_IS6_EEEESI_S6_NSB_4plusIvEENSB_8equal_toIvEES6_EE10hipError_tPvRmT2_T3_T4_T5_mT6_T7_P12ihipStream_tbENKUlT_T0_E_clISt17integral_constantIbLb1EES13_EEDaSY_SZ_EUlSY_E_NS1_11comp_targetILNS1_3genE3ELNS1_11target_archE908ELNS1_3gpuE7ELNS1_3repE0EEENS1_30default_config_static_selectorELNS0_4arch9wavefront6targetE0EEEvT1_.num_named_barrier, 0
	.set _ZN7rocprim17ROCPRIM_400000_NS6detail17trampoline_kernelINS0_14default_configENS1_27scan_by_key_config_selectorIj11FixedVectorIiLj4EEEEZZNS1_16scan_by_key_implILNS1_25lookback_scan_determinismE0ELb1ES3_N6thrust23THRUST_200600_302600_NS6detail15normal_iteratorINSB_10device_ptrIjEEEENSD_INSE_IS6_EEEESI_S6_NSB_4plusIvEENSB_8equal_toIvEES6_EE10hipError_tPvRmT2_T3_T4_T5_mT6_T7_P12ihipStream_tbENKUlT_T0_E_clISt17integral_constantIbLb1EES13_EEDaSY_SZ_EUlSY_E_NS1_11comp_targetILNS1_3genE3ELNS1_11target_archE908ELNS1_3gpuE7ELNS1_3repE0EEENS1_30default_config_static_selectorELNS0_4arch9wavefront6targetE0EEEvT1_.private_seg_size, 0
	.set _ZN7rocprim17ROCPRIM_400000_NS6detail17trampoline_kernelINS0_14default_configENS1_27scan_by_key_config_selectorIj11FixedVectorIiLj4EEEEZZNS1_16scan_by_key_implILNS1_25lookback_scan_determinismE0ELb1ES3_N6thrust23THRUST_200600_302600_NS6detail15normal_iteratorINSB_10device_ptrIjEEEENSD_INSE_IS6_EEEESI_S6_NSB_4plusIvEENSB_8equal_toIvEES6_EE10hipError_tPvRmT2_T3_T4_T5_mT6_T7_P12ihipStream_tbENKUlT_T0_E_clISt17integral_constantIbLb1EES13_EEDaSY_SZ_EUlSY_E_NS1_11comp_targetILNS1_3genE3ELNS1_11target_archE908ELNS1_3gpuE7ELNS1_3repE0EEENS1_30default_config_static_selectorELNS0_4arch9wavefront6targetE0EEEvT1_.uses_vcc, 0
	.set _ZN7rocprim17ROCPRIM_400000_NS6detail17trampoline_kernelINS0_14default_configENS1_27scan_by_key_config_selectorIj11FixedVectorIiLj4EEEEZZNS1_16scan_by_key_implILNS1_25lookback_scan_determinismE0ELb1ES3_N6thrust23THRUST_200600_302600_NS6detail15normal_iteratorINSB_10device_ptrIjEEEENSD_INSE_IS6_EEEESI_S6_NSB_4plusIvEENSB_8equal_toIvEES6_EE10hipError_tPvRmT2_T3_T4_T5_mT6_T7_P12ihipStream_tbENKUlT_T0_E_clISt17integral_constantIbLb1EES13_EEDaSY_SZ_EUlSY_E_NS1_11comp_targetILNS1_3genE3ELNS1_11target_archE908ELNS1_3gpuE7ELNS1_3repE0EEENS1_30default_config_static_selectorELNS0_4arch9wavefront6targetE0EEEvT1_.uses_flat_scratch, 0
	.set _ZN7rocprim17ROCPRIM_400000_NS6detail17trampoline_kernelINS0_14default_configENS1_27scan_by_key_config_selectorIj11FixedVectorIiLj4EEEEZZNS1_16scan_by_key_implILNS1_25lookback_scan_determinismE0ELb1ES3_N6thrust23THRUST_200600_302600_NS6detail15normal_iteratorINSB_10device_ptrIjEEEENSD_INSE_IS6_EEEESI_S6_NSB_4plusIvEENSB_8equal_toIvEES6_EE10hipError_tPvRmT2_T3_T4_T5_mT6_T7_P12ihipStream_tbENKUlT_T0_E_clISt17integral_constantIbLb1EES13_EEDaSY_SZ_EUlSY_E_NS1_11comp_targetILNS1_3genE3ELNS1_11target_archE908ELNS1_3gpuE7ELNS1_3repE0EEENS1_30default_config_static_selectorELNS0_4arch9wavefront6targetE0EEEvT1_.has_dyn_sized_stack, 0
	.set _ZN7rocprim17ROCPRIM_400000_NS6detail17trampoline_kernelINS0_14default_configENS1_27scan_by_key_config_selectorIj11FixedVectorIiLj4EEEEZZNS1_16scan_by_key_implILNS1_25lookback_scan_determinismE0ELb1ES3_N6thrust23THRUST_200600_302600_NS6detail15normal_iteratorINSB_10device_ptrIjEEEENSD_INSE_IS6_EEEESI_S6_NSB_4plusIvEENSB_8equal_toIvEES6_EE10hipError_tPvRmT2_T3_T4_T5_mT6_T7_P12ihipStream_tbENKUlT_T0_E_clISt17integral_constantIbLb1EES13_EEDaSY_SZ_EUlSY_E_NS1_11comp_targetILNS1_3genE3ELNS1_11target_archE908ELNS1_3gpuE7ELNS1_3repE0EEENS1_30default_config_static_selectorELNS0_4arch9wavefront6targetE0EEEvT1_.has_recursion, 0
	.set _ZN7rocprim17ROCPRIM_400000_NS6detail17trampoline_kernelINS0_14default_configENS1_27scan_by_key_config_selectorIj11FixedVectorIiLj4EEEEZZNS1_16scan_by_key_implILNS1_25lookback_scan_determinismE0ELb1ES3_N6thrust23THRUST_200600_302600_NS6detail15normal_iteratorINSB_10device_ptrIjEEEENSD_INSE_IS6_EEEESI_S6_NSB_4plusIvEENSB_8equal_toIvEES6_EE10hipError_tPvRmT2_T3_T4_T5_mT6_T7_P12ihipStream_tbENKUlT_T0_E_clISt17integral_constantIbLb1EES13_EEDaSY_SZ_EUlSY_E_NS1_11comp_targetILNS1_3genE3ELNS1_11target_archE908ELNS1_3gpuE7ELNS1_3repE0EEENS1_30default_config_static_selectorELNS0_4arch9wavefront6targetE0EEEvT1_.has_indirect_call, 0
	.section	.AMDGPU.csdata,"",@progbits
; Kernel info:
; codeLenInByte = 0
; TotalNumSgprs: 0
; NumVgprs: 0
; ScratchSize: 0
; MemoryBound: 0
; FloatMode: 240
; IeeeMode: 1
; LDSByteSize: 0 bytes/workgroup (compile time only)
; SGPRBlocks: 0
; VGPRBlocks: 0
; NumSGPRsForWavesPerEU: 1
; NumVGPRsForWavesPerEU: 1
; NamedBarCnt: 0
; Occupancy: 16
; WaveLimiterHint : 0
; COMPUTE_PGM_RSRC2:SCRATCH_EN: 0
; COMPUTE_PGM_RSRC2:USER_SGPR: 2
; COMPUTE_PGM_RSRC2:TRAP_HANDLER: 0
; COMPUTE_PGM_RSRC2:TGID_X_EN: 1
; COMPUTE_PGM_RSRC2:TGID_Y_EN: 0
; COMPUTE_PGM_RSRC2:TGID_Z_EN: 0
; COMPUTE_PGM_RSRC2:TIDIG_COMP_CNT: 0
	.section	.text._ZN7rocprim17ROCPRIM_400000_NS6detail17trampoline_kernelINS0_14default_configENS1_27scan_by_key_config_selectorIj11FixedVectorIiLj4EEEEZZNS1_16scan_by_key_implILNS1_25lookback_scan_determinismE0ELb1ES3_N6thrust23THRUST_200600_302600_NS6detail15normal_iteratorINSB_10device_ptrIjEEEENSD_INSE_IS6_EEEESI_S6_NSB_4plusIvEENSB_8equal_toIvEES6_EE10hipError_tPvRmT2_T3_T4_T5_mT6_T7_P12ihipStream_tbENKUlT_T0_E_clISt17integral_constantIbLb1EES13_EEDaSY_SZ_EUlSY_E_NS1_11comp_targetILNS1_3genE2ELNS1_11target_archE906ELNS1_3gpuE6ELNS1_3repE0EEENS1_30default_config_static_selectorELNS0_4arch9wavefront6targetE0EEEvT1_,"axG",@progbits,_ZN7rocprim17ROCPRIM_400000_NS6detail17trampoline_kernelINS0_14default_configENS1_27scan_by_key_config_selectorIj11FixedVectorIiLj4EEEEZZNS1_16scan_by_key_implILNS1_25lookback_scan_determinismE0ELb1ES3_N6thrust23THRUST_200600_302600_NS6detail15normal_iteratorINSB_10device_ptrIjEEEENSD_INSE_IS6_EEEESI_S6_NSB_4plusIvEENSB_8equal_toIvEES6_EE10hipError_tPvRmT2_T3_T4_T5_mT6_T7_P12ihipStream_tbENKUlT_T0_E_clISt17integral_constantIbLb1EES13_EEDaSY_SZ_EUlSY_E_NS1_11comp_targetILNS1_3genE2ELNS1_11target_archE906ELNS1_3gpuE6ELNS1_3repE0EEENS1_30default_config_static_selectorELNS0_4arch9wavefront6targetE0EEEvT1_,comdat
	.protected	_ZN7rocprim17ROCPRIM_400000_NS6detail17trampoline_kernelINS0_14default_configENS1_27scan_by_key_config_selectorIj11FixedVectorIiLj4EEEEZZNS1_16scan_by_key_implILNS1_25lookback_scan_determinismE0ELb1ES3_N6thrust23THRUST_200600_302600_NS6detail15normal_iteratorINSB_10device_ptrIjEEEENSD_INSE_IS6_EEEESI_S6_NSB_4plusIvEENSB_8equal_toIvEES6_EE10hipError_tPvRmT2_T3_T4_T5_mT6_T7_P12ihipStream_tbENKUlT_T0_E_clISt17integral_constantIbLb1EES13_EEDaSY_SZ_EUlSY_E_NS1_11comp_targetILNS1_3genE2ELNS1_11target_archE906ELNS1_3gpuE6ELNS1_3repE0EEENS1_30default_config_static_selectorELNS0_4arch9wavefront6targetE0EEEvT1_ ; -- Begin function _ZN7rocprim17ROCPRIM_400000_NS6detail17trampoline_kernelINS0_14default_configENS1_27scan_by_key_config_selectorIj11FixedVectorIiLj4EEEEZZNS1_16scan_by_key_implILNS1_25lookback_scan_determinismE0ELb1ES3_N6thrust23THRUST_200600_302600_NS6detail15normal_iteratorINSB_10device_ptrIjEEEENSD_INSE_IS6_EEEESI_S6_NSB_4plusIvEENSB_8equal_toIvEES6_EE10hipError_tPvRmT2_T3_T4_T5_mT6_T7_P12ihipStream_tbENKUlT_T0_E_clISt17integral_constantIbLb1EES13_EEDaSY_SZ_EUlSY_E_NS1_11comp_targetILNS1_3genE2ELNS1_11target_archE906ELNS1_3gpuE6ELNS1_3repE0EEENS1_30default_config_static_selectorELNS0_4arch9wavefront6targetE0EEEvT1_
	.globl	_ZN7rocprim17ROCPRIM_400000_NS6detail17trampoline_kernelINS0_14default_configENS1_27scan_by_key_config_selectorIj11FixedVectorIiLj4EEEEZZNS1_16scan_by_key_implILNS1_25lookback_scan_determinismE0ELb1ES3_N6thrust23THRUST_200600_302600_NS6detail15normal_iteratorINSB_10device_ptrIjEEEENSD_INSE_IS6_EEEESI_S6_NSB_4plusIvEENSB_8equal_toIvEES6_EE10hipError_tPvRmT2_T3_T4_T5_mT6_T7_P12ihipStream_tbENKUlT_T0_E_clISt17integral_constantIbLb1EES13_EEDaSY_SZ_EUlSY_E_NS1_11comp_targetILNS1_3genE2ELNS1_11target_archE906ELNS1_3gpuE6ELNS1_3repE0EEENS1_30default_config_static_selectorELNS0_4arch9wavefront6targetE0EEEvT1_
	.p2align	8
	.type	_ZN7rocprim17ROCPRIM_400000_NS6detail17trampoline_kernelINS0_14default_configENS1_27scan_by_key_config_selectorIj11FixedVectorIiLj4EEEEZZNS1_16scan_by_key_implILNS1_25lookback_scan_determinismE0ELb1ES3_N6thrust23THRUST_200600_302600_NS6detail15normal_iteratorINSB_10device_ptrIjEEEENSD_INSE_IS6_EEEESI_S6_NSB_4plusIvEENSB_8equal_toIvEES6_EE10hipError_tPvRmT2_T3_T4_T5_mT6_T7_P12ihipStream_tbENKUlT_T0_E_clISt17integral_constantIbLb1EES13_EEDaSY_SZ_EUlSY_E_NS1_11comp_targetILNS1_3genE2ELNS1_11target_archE906ELNS1_3gpuE6ELNS1_3repE0EEENS1_30default_config_static_selectorELNS0_4arch9wavefront6targetE0EEEvT1_,@function
_ZN7rocprim17ROCPRIM_400000_NS6detail17trampoline_kernelINS0_14default_configENS1_27scan_by_key_config_selectorIj11FixedVectorIiLj4EEEEZZNS1_16scan_by_key_implILNS1_25lookback_scan_determinismE0ELb1ES3_N6thrust23THRUST_200600_302600_NS6detail15normal_iteratorINSB_10device_ptrIjEEEENSD_INSE_IS6_EEEESI_S6_NSB_4plusIvEENSB_8equal_toIvEES6_EE10hipError_tPvRmT2_T3_T4_T5_mT6_T7_P12ihipStream_tbENKUlT_T0_E_clISt17integral_constantIbLb1EES13_EEDaSY_SZ_EUlSY_E_NS1_11comp_targetILNS1_3genE2ELNS1_11target_archE906ELNS1_3gpuE6ELNS1_3repE0EEENS1_30default_config_static_selectorELNS0_4arch9wavefront6targetE0EEEvT1_: ; @_ZN7rocprim17ROCPRIM_400000_NS6detail17trampoline_kernelINS0_14default_configENS1_27scan_by_key_config_selectorIj11FixedVectorIiLj4EEEEZZNS1_16scan_by_key_implILNS1_25lookback_scan_determinismE0ELb1ES3_N6thrust23THRUST_200600_302600_NS6detail15normal_iteratorINSB_10device_ptrIjEEEENSD_INSE_IS6_EEEESI_S6_NSB_4plusIvEENSB_8equal_toIvEES6_EE10hipError_tPvRmT2_T3_T4_T5_mT6_T7_P12ihipStream_tbENKUlT_T0_E_clISt17integral_constantIbLb1EES13_EEDaSY_SZ_EUlSY_E_NS1_11comp_targetILNS1_3genE2ELNS1_11target_archE906ELNS1_3gpuE6ELNS1_3repE0EEENS1_30default_config_static_selectorELNS0_4arch9wavefront6targetE0EEEvT1_
; %bb.0:
	.section	.rodata,"a",@progbits
	.p2align	6, 0x0
	.amdhsa_kernel _ZN7rocprim17ROCPRIM_400000_NS6detail17trampoline_kernelINS0_14default_configENS1_27scan_by_key_config_selectorIj11FixedVectorIiLj4EEEEZZNS1_16scan_by_key_implILNS1_25lookback_scan_determinismE0ELb1ES3_N6thrust23THRUST_200600_302600_NS6detail15normal_iteratorINSB_10device_ptrIjEEEENSD_INSE_IS6_EEEESI_S6_NSB_4plusIvEENSB_8equal_toIvEES6_EE10hipError_tPvRmT2_T3_T4_T5_mT6_T7_P12ihipStream_tbENKUlT_T0_E_clISt17integral_constantIbLb1EES13_EEDaSY_SZ_EUlSY_E_NS1_11comp_targetILNS1_3genE2ELNS1_11target_archE906ELNS1_3gpuE6ELNS1_3repE0EEENS1_30default_config_static_selectorELNS0_4arch9wavefront6targetE0EEEvT1_
		.amdhsa_group_segment_fixed_size 0
		.amdhsa_private_segment_fixed_size 0
		.amdhsa_kernarg_size 144
		.amdhsa_user_sgpr_count 2
		.amdhsa_user_sgpr_dispatch_ptr 0
		.amdhsa_user_sgpr_queue_ptr 0
		.amdhsa_user_sgpr_kernarg_segment_ptr 1
		.amdhsa_user_sgpr_dispatch_id 0
		.amdhsa_user_sgpr_kernarg_preload_length 0
		.amdhsa_user_sgpr_kernarg_preload_offset 0
		.amdhsa_user_sgpr_private_segment_size 0
		.amdhsa_wavefront_size32 1
		.amdhsa_uses_dynamic_stack 0
		.amdhsa_enable_private_segment 0
		.amdhsa_system_sgpr_workgroup_id_x 1
		.amdhsa_system_sgpr_workgroup_id_y 0
		.amdhsa_system_sgpr_workgroup_id_z 0
		.amdhsa_system_sgpr_workgroup_info 0
		.amdhsa_system_vgpr_workitem_id 0
		.amdhsa_next_free_vgpr 1
		.amdhsa_next_free_sgpr 1
		.amdhsa_named_barrier_count 0
		.amdhsa_reserve_vcc 0
		.amdhsa_float_round_mode_32 0
		.amdhsa_float_round_mode_16_64 0
		.amdhsa_float_denorm_mode_32 3
		.amdhsa_float_denorm_mode_16_64 3
		.amdhsa_fp16_overflow 0
		.amdhsa_memory_ordered 1
		.amdhsa_forward_progress 1
		.amdhsa_inst_pref_size 0
		.amdhsa_round_robin_scheduling 0
		.amdhsa_exception_fp_ieee_invalid_op 0
		.amdhsa_exception_fp_denorm_src 0
		.amdhsa_exception_fp_ieee_div_zero 0
		.amdhsa_exception_fp_ieee_overflow 0
		.amdhsa_exception_fp_ieee_underflow 0
		.amdhsa_exception_fp_ieee_inexact 0
		.amdhsa_exception_int_div_zero 0
	.end_amdhsa_kernel
	.section	.text._ZN7rocprim17ROCPRIM_400000_NS6detail17trampoline_kernelINS0_14default_configENS1_27scan_by_key_config_selectorIj11FixedVectorIiLj4EEEEZZNS1_16scan_by_key_implILNS1_25lookback_scan_determinismE0ELb1ES3_N6thrust23THRUST_200600_302600_NS6detail15normal_iteratorINSB_10device_ptrIjEEEENSD_INSE_IS6_EEEESI_S6_NSB_4plusIvEENSB_8equal_toIvEES6_EE10hipError_tPvRmT2_T3_T4_T5_mT6_T7_P12ihipStream_tbENKUlT_T0_E_clISt17integral_constantIbLb1EES13_EEDaSY_SZ_EUlSY_E_NS1_11comp_targetILNS1_3genE2ELNS1_11target_archE906ELNS1_3gpuE6ELNS1_3repE0EEENS1_30default_config_static_selectorELNS0_4arch9wavefront6targetE0EEEvT1_,"axG",@progbits,_ZN7rocprim17ROCPRIM_400000_NS6detail17trampoline_kernelINS0_14default_configENS1_27scan_by_key_config_selectorIj11FixedVectorIiLj4EEEEZZNS1_16scan_by_key_implILNS1_25lookback_scan_determinismE0ELb1ES3_N6thrust23THRUST_200600_302600_NS6detail15normal_iteratorINSB_10device_ptrIjEEEENSD_INSE_IS6_EEEESI_S6_NSB_4plusIvEENSB_8equal_toIvEES6_EE10hipError_tPvRmT2_T3_T4_T5_mT6_T7_P12ihipStream_tbENKUlT_T0_E_clISt17integral_constantIbLb1EES13_EEDaSY_SZ_EUlSY_E_NS1_11comp_targetILNS1_3genE2ELNS1_11target_archE906ELNS1_3gpuE6ELNS1_3repE0EEENS1_30default_config_static_selectorELNS0_4arch9wavefront6targetE0EEEvT1_,comdat
.Lfunc_end2089:
	.size	_ZN7rocprim17ROCPRIM_400000_NS6detail17trampoline_kernelINS0_14default_configENS1_27scan_by_key_config_selectorIj11FixedVectorIiLj4EEEEZZNS1_16scan_by_key_implILNS1_25lookback_scan_determinismE0ELb1ES3_N6thrust23THRUST_200600_302600_NS6detail15normal_iteratorINSB_10device_ptrIjEEEENSD_INSE_IS6_EEEESI_S6_NSB_4plusIvEENSB_8equal_toIvEES6_EE10hipError_tPvRmT2_T3_T4_T5_mT6_T7_P12ihipStream_tbENKUlT_T0_E_clISt17integral_constantIbLb1EES13_EEDaSY_SZ_EUlSY_E_NS1_11comp_targetILNS1_3genE2ELNS1_11target_archE906ELNS1_3gpuE6ELNS1_3repE0EEENS1_30default_config_static_selectorELNS0_4arch9wavefront6targetE0EEEvT1_, .Lfunc_end2089-_ZN7rocprim17ROCPRIM_400000_NS6detail17trampoline_kernelINS0_14default_configENS1_27scan_by_key_config_selectorIj11FixedVectorIiLj4EEEEZZNS1_16scan_by_key_implILNS1_25lookback_scan_determinismE0ELb1ES3_N6thrust23THRUST_200600_302600_NS6detail15normal_iteratorINSB_10device_ptrIjEEEENSD_INSE_IS6_EEEESI_S6_NSB_4plusIvEENSB_8equal_toIvEES6_EE10hipError_tPvRmT2_T3_T4_T5_mT6_T7_P12ihipStream_tbENKUlT_T0_E_clISt17integral_constantIbLb1EES13_EEDaSY_SZ_EUlSY_E_NS1_11comp_targetILNS1_3genE2ELNS1_11target_archE906ELNS1_3gpuE6ELNS1_3repE0EEENS1_30default_config_static_selectorELNS0_4arch9wavefront6targetE0EEEvT1_
                                        ; -- End function
	.set _ZN7rocprim17ROCPRIM_400000_NS6detail17trampoline_kernelINS0_14default_configENS1_27scan_by_key_config_selectorIj11FixedVectorIiLj4EEEEZZNS1_16scan_by_key_implILNS1_25lookback_scan_determinismE0ELb1ES3_N6thrust23THRUST_200600_302600_NS6detail15normal_iteratorINSB_10device_ptrIjEEEENSD_INSE_IS6_EEEESI_S6_NSB_4plusIvEENSB_8equal_toIvEES6_EE10hipError_tPvRmT2_T3_T4_T5_mT6_T7_P12ihipStream_tbENKUlT_T0_E_clISt17integral_constantIbLb1EES13_EEDaSY_SZ_EUlSY_E_NS1_11comp_targetILNS1_3genE2ELNS1_11target_archE906ELNS1_3gpuE6ELNS1_3repE0EEENS1_30default_config_static_selectorELNS0_4arch9wavefront6targetE0EEEvT1_.num_vgpr, 0
	.set _ZN7rocprim17ROCPRIM_400000_NS6detail17trampoline_kernelINS0_14default_configENS1_27scan_by_key_config_selectorIj11FixedVectorIiLj4EEEEZZNS1_16scan_by_key_implILNS1_25lookback_scan_determinismE0ELb1ES3_N6thrust23THRUST_200600_302600_NS6detail15normal_iteratorINSB_10device_ptrIjEEEENSD_INSE_IS6_EEEESI_S6_NSB_4plusIvEENSB_8equal_toIvEES6_EE10hipError_tPvRmT2_T3_T4_T5_mT6_T7_P12ihipStream_tbENKUlT_T0_E_clISt17integral_constantIbLb1EES13_EEDaSY_SZ_EUlSY_E_NS1_11comp_targetILNS1_3genE2ELNS1_11target_archE906ELNS1_3gpuE6ELNS1_3repE0EEENS1_30default_config_static_selectorELNS0_4arch9wavefront6targetE0EEEvT1_.num_agpr, 0
	.set _ZN7rocprim17ROCPRIM_400000_NS6detail17trampoline_kernelINS0_14default_configENS1_27scan_by_key_config_selectorIj11FixedVectorIiLj4EEEEZZNS1_16scan_by_key_implILNS1_25lookback_scan_determinismE0ELb1ES3_N6thrust23THRUST_200600_302600_NS6detail15normal_iteratorINSB_10device_ptrIjEEEENSD_INSE_IS6_EEEESI_S6_NSB_4plusIvEENSB_8equal_toIvEES6_EE10hipError_tPvRmT2_T3_T4_T5_mT6_T7_P12ihipStream_tbENKUlT_T0_E_clISt17integral_constantIbLb1EES13_EEDaSY_SZ_EUlSY_E_NS1_11comp_targetILNS1_3genE2ELNS1_11target_archE906ELNS1_3gpuE6ELNS1_3repE0EEENS1_30default_config_static_selectorELNS0_4arch9wavefront6targetE0EEEvT1_.numbered_sgpr, 0
	.set _ZN7rocprim17ROCPRIM_400000_NS6detail17trampoline_kernelINS0_14default_configENS1_27scan_by_key_config_selectorIj11FixedVectorIiLj4EEEEZZNS1_16scan_by_key_implILNS1_25lookback_scan_determinismE0ELb1ES3_N6thrust23THRUST_200600_302600_NS6detail15normal_iteratorINSB_10device_ptrIjEEEENSD_INSE_IS6_EEEESI_S6_NSB_4plusIvEENSB_8equal_toIvEES6_EE10hipError_tPvRmT2_T3_T4_T5_mT6_T7_P12ihipStream_tbENKUlT_T0_E_clISt17integral_constantIbLb1EES13_EEDaSY_SZ_EUlSY_E_NS1_11comp_targetILNS1_3genE2ELNS1_11target_archE906ELNS1_3gpuE6ELNS1_3repE0EEENS1_30default_config_static_selectorELNS0_4arch9wavefront6targetE0EEEvT1_.num_named_barrier, 0
	.set _ZN7rocprim17ROCPRIM_400000_NS6detail17trampoline_kernelINS0_14default_configENS1_27scan_by_key_config_selectorIj11FixedVectorIiLj4EEEEZZNS1_16scan_by_key_implILNS1_25lookback_scan_determinismE0ELb1ES3_N6thrust23THRUST_200600_302600_NS6detail15normal_iteratorINSB_10device_ptrIjEEEENSD_INSE_IS6_EEEESI_S6_NSB_4plusIvEENSB_8equal_toIvEES6_EE10hipError_tPvRmT2_T3_T4_T5_mT6_T7_P12ihipStream_tbENKUlT_T0_E_clISt17integral_constantIbLb1EES13_EEDaSY_SZ_EUlSY_E_NS1_11comp_targetILNS1_3genE2ELNS1_11target_archE906ELNS1_3gpuE6ELNS1_3repE0EEENS1_30default_config_static_selectorELNS0_4arch9wavefront6targetE0EEEvT1_.private_seg_size, 0
	.set _ZN7rocprim17ROCPRIM_400000_NS6detail17trampoline_kernelINS0_14default_configENS1_27scan_by_key_config_selectorIj11FixedVectorIiLj4EEEEZZNS1_16scan_by_key_implILNS1_25lookback_scan_determinismE0ELb1ES3_N6thrust23THRUST_200600_302600_NS6detail15normal_iteratorINSB_10device_ptrIjEEEENSD_INSE_IS6_EEEESI_S6_NSB_4plusIvEENSB_8equal_toIvEES6_EE10hipError_tPvRmT2_T3_T4_T5_mT6_T7_P12ihipStream_tbENKUlT_T0_E_clISt17integral_constantIbLb1EES13_EEDaSY_SZ_EUlSY_E_NS1_11comp_targetILNS1_3genE2ELNS1_11target_archE906ELNS1_3gpuE6ELNS1_3repE0EEENS1_30default_config_static_selectorELNS0_4arch9wavefront6targetE0EEEvT1_.uses_vcc, 0
	.set _ZN7rocprim17ROCPRIM_400000_NS6detail17trampoline_kernelINS0_14default_configENS1_27scan_by_key_config_selectorIj11FixedVectorIiLj4EEEEZZNS1_16scan_by_key_implILNS1_25lookback_scan_determinismE0ELb1ES3_N6thrust23THRUST_200600_302600_NS6detail15normal_iteratorINSB_10device_ptrIjEEEENSD_INSE_IS6_EEEESI_S6_NSB_4plusIvEENSB_8equal_toIvEES6_EE10hipError_tPvRmT2_T3_T4_T5_mT6_T7_P12ihipStream_tbENKUlT_T0_E_clISt17integral_constantIbLb1EES13_EEDaSY_SZ_EUlSY_E_NS1_11comp_targetILNS1_3genE2ELNS1_11target_archE906ELNS1_3gpuE6ELNS1_3repE0EEENS1_30default_config_static_selectorELNS0_4arch9wavefront6targetE0EEEvT1_.uses_flat_scratch, 0
	.set _ZN7rocprim17ROCPRIM_400000_NS6detail17trampoline_kernelINS0_14default_configENS1_27scan_by_key_config_selectorIj11FixedVectorIiLj4EEEEZZNS1_16scan_by_key_implILNS1_25lookback_scan_determinismE0ELb1ES3_N6thrust23THRUST_200600_302600_NS6detail15normal_iteratorINSB_10device_ptrIjEEEENSD_INSE_IS6_EEEESI_S6_NSB_4plusIvEENSB_8equal_toIvEES6_EE10hipError_tPvRmT2_T3_T4_T5_mT6_T7_P12ihipStream_tbENKUlT_T0_E_clISt17integral_constantIbLb1EES13_EEDaSY_SZ_EUlSY_E_NS1_11comp_targetILNS1_3genE2ELNS1_11target_archE906ELNS1_3gpuE6ELNS1_3repE0EEENS1_30default_config_static_selectorELNS0_4arch9wavefront6targetE0EEEvT1_.has_dyn_sized_stack, 0
	.set _ZN7rocprim17ROCPRIM_400000_NS6detail17trampoline_kernelINS0_14default_configENS1_27scan_by_key_config_selectorIj11FixedVectorIiLj4EEEEZZNS1_16scan_by_key_implILNS1_25lookback_scan_determinismE0ELb1ES3_N6thrust23THRUST_200600_302600_NS6detail15normal_iteratorINSB_10device_ptrIjEEEENSD_INSE_IS6_EEEESI_S6_NSB_4plusIvEENSB_8equal_toIvEES6_EE10hipError_tPvRmT2_T3_T4_T5_mT6_T7_P12ihipStream_tbENKUlT_T0_E_clISt17integral_constantIbLb1EES13_EEDaSY_SZ_EUlSY_E_NS1_11comp_targetILNS1_3genE2ELNS1_11target_archE906ELNS1_3gpuE6ELNS1_3repE0EEENS1_30default_config_static_selectorELNS0_4arch9wavefront6targetE0EEEvT1_.has_recursion, 0
	.set _ZN7rocprim17ROCPRIM_400000_NS6detail17trampoline_kernelINS0_14default_configENS1_27scan_by_key_config_selectorIj11FixedVectorIiLj4EEEEZZNS1_16scan_by_key_implILNS1_25lookback_scan_determinismE0ELb1ES3_N6thrust23THRUST_200600_302600_NS6detail15normal_iteratorINSB_10device_ptrIjEEEENSD_INSE_IS6_EEEESI_S6_NSB_4plusIvEENSB_8equal_toIvEES6_EE10hipError_tPvRmT2_T3_T4_T5_mT6_T7_P12ihipStream_tbENKUlT_T0_E_clISt17integral_constantIbLb1EES13_EEDaSY_SZ_EUlSY_E_NS1_11comp_targetILNS1_3genE2ELNS1_11target_archE906ELNS1_3gpuE6ELNS1_3repE0EEENS1_30default_config_static_selectorELNS0_4arch9wavefront6targetE0EEEvT1_.has_indirect_call, 0
	.section	.AMDGPU.csdata,"",@progbits
; Kernel info:
; codeLenInByte = 0
; TotalNumSgprs: 0
; NumVgprs: 0
; ScratchSize: 0
; MemoryBound: 0
; FloatMode: 240
; IeeeMode: 1
; LDSByteSize: 0 bytes/workgroup (compile time only)
; SGPRBlocks: 0
; VGPRBlocks: 0
; NumSGPRsForWavesPerEU: 1
; NumVGPRsForWavesPerEU: 1
; NamedBarCnt: 0
; Occupancy: 16
; WaveLimiterHint : 0
; COMPUTE_PGM_RSRC2:SCRATCH_EN: 0
; COMPUTE_PGM_RSRC2:USER_SGPR: 2
; COMPUTE_PGM_RSRC2:TRAP_HANDLER: 0
; COMPUTE_PGM_RSRC2:TGID_X_EN: 1
; COMPUTE_PGM_RSRC2:TGID_Y_EN: 0
; COMPUTE_PGM_RSRC2:TGID_Z_EN: 0
; COMPUTE_PGM_RSRC2:TIDIG_COMP_CNT: 0
	.section	.text._ZN7rocprim17ROCPRIM_400000_NS6detail17trampoline_kernelINS0_14default_configENS1_27scan_by_key_config_selectorIj11FixedVectorIiLj4EEEEZZNS1_16scan_by_key_implILNS1_25lookback_scan_determinismE0ELb1ES3_N6thrust23THRUST_200600_302600_NS6detail15normal_iteratorINSB_10device_ptrIjEEEENSD_INSE_IS6_EEEESI_S6_NSB_4plusIvEENSB_8equal_toIvEES6_EE10hipError_tPvRmT2_T3_T4_T5_mT6_T7_P12ihipStream_tbENKUlT_T0_E_clISt17integral_constantIbLb1EES13_EEDaSY_SZ_EUlSY_E_NS1_11comp_targetILNS1_3genE10ELNS1_11target_archE1200ELNS1_3gpuE4ELNS1_3repE0EEENS1_30default_config_static_selectorELNS0_4arch9wavefront6targetE0EEEvT1_,"axG",@progbits,_ZN7rocprim17ROCPRIM_400000_NS6detail17trampoline_kernelINS0_14default_configENS1_27scan_by_key_config_selectorIj11FixedVectorIiLj4EEEEZZNS1_16scan_by_key_implILNS1_25lookback_scan_determinismE0ELb1ES3_N6thrust23THRUST_200600_302600_NS6detail15normal_iteratorINSB_10device_ptrIjEEEENSD_INSE_IS6_EEEESI_S6_NSB_4plusIvEENSB_8equal_toIvEES6_EE10hipError_tPvRmT2_T3_T4_T5_mT6_T7_P12ihipStream_tbENKUlT_T0_E_clISt17integral_constantIbLb1EES13_EEDaSY_SZ_EUlSY_E_NS1_11comp_targetILNS1_3genE10ELNS1_11target_archE1200ELNS1_3gpuE4ELNS1_3repE0EEENS1_30default_config_static_selectorELNS0_4arch9wavefront6targetE0EEEvT1_,comdat
	.protected	_ZN7rocprim17ROCPRIM_400000_NS6detail17trampoline_kernelINS0_14default_configENS1_27scan_by_key_config_selectorIj11FixedVectorIiLj4EEEEZZNS1_16scan_by_key_implILNS1_25lookback_scan_determinismE0ELb1ES3_N6thrust23THRUST_200600_302600_NS6detail15normal_iteratorINSB_10device_ptrIjEEEENSD_INSE_IS6_EEEESI_S6_NSB_4plusIvEENSB_8equal_toIvEES6_EE10hipError_tPvRmT2_T3_T4_T5_mT6_T7_P12ihipStream_tbENKUlT_T0_E_clISt17integral_constantIbLb1EES13_EEDaSY_SZ_EUlSY_E_NS1_11comp_targetILNS1_3genE10ELNS1_11target_archE1200ELNS1_3gpuE4ELNS1_3repE0EEENS1_30default_config_static_selectorELNS0_4arch9wavefront6targetE0EEEvT1_ ; -- Begin function _ZN7rocprim17ROCPRIM_400000_NS6detail17trampoline_kernelINS0_14default_configENS1_27scan_by_key_config_selectorIj11FixedVectorIiLj4EEEEZZNS1_16scan_by_key_implILNS1_25lookback_scan_determinismE0ELb1ES3_N6thrust23THRUST_200600_302600_NS6detail15normal_iteratorINSB_10device_ptrIjEEEENSD_INSE_IS6_EEEESI_S6_NSB_4plusIvEENSB_8equal_toIvEES6_EE10hipError_tPvRmT2_T3_T4_T5_mT6_T7_P12ihipStream_tbENKUlT_T0_E_clISt17integral_constantIbLb1EES13_EEDaSY_SZ_EUlSY_E_NS1_11comp_targetILNS1_3genE10ELNS1_11target_archE1200ELNS1_3gpuE4ELNS1_3repE0EEENS1_30default_config_static_selectorELNS0_4arch9wavefront6targetE0EEEvT1_
	.globl	_ZN7rocprim17ROCPRIM_400000_NS6detail17trampoline_kernelINS0_14default_configENS1_27scan_by_key_config_selectorIj11FixedVectorIiLj4EEEEZZNS1_16scan_by_key_implILNS1_25lookback_scan_determinismE0ELb1ES3_N6thrust23THRUST_200600_302600_NS6detail15normal_iteratorINSB_10device_ptrIjEEEENSD_INSE_IS6_EEEESI_S6_NSB_4plusIvEENSB_8equal_toIvEES6_EE10hipError_tPvRmT2_T3_T4_T5_mT6_T7_P12ihipStream_tbENKUlT_T0_E_clISt17integral_constantIbLb1EES13_EEDaSY_SZ_EUlSY_E_NS1_11comp_targetILNS1_3genE10ELNS1_11target_archE1200ELNS1_3gpuE4ELNS1_3repE0EEENS1_30default_config_static_selectorELNS0_4arch9wavefront6targetE0EEEvT1_
	.p2align	8
	.type	_ZN7rocprim17ROCPRIM_400000_NS6detail17trampoline_kernelINS0_14default_configENS1_27scan_by_key_config_selectorIj11FixedVectorIiLj4EEEEZZNS1_16scan_by_key_implILNS1_25lookback_scan_determinismE0ELb1ES3_N6thrust23THRUST_200600_302600_NS6detail15normal_iteratorINSB_10device_ptrIjEEEENSD_INSE_IS6_EEEESI_S6_NSB_4plusIvEENSB_8equal_toIvEES6_EE10hipError_tPvRmT2_T3_T4_T5_mT6_T7_P12ihipStream_tbENKUlT_T0_E_clISt17integral_constantIbLb1EES13_EEDaSY_SZ_EUlSY_E_NS1_11comp_targetILNS1_3genE10ELNS1_11target_archE1200ELNS1_3gpuE4ELNS1_3repE0EEENS1_30default_config_static_selectorELNS0_4arch9wavefront6targetE0EEEvT1_,@function
_ZN7rocprim17ROCPRIM_400000_NS6detail17trampoline_kernelINS0_14default_configENS1_27scan_by_key_config_selectorIj11FixedVectorIiLj4EEEEZZNS1_16scan_by_key_implILNS1_25lookback_scan_determinismE0ELb1ES3_N6thrust23THRUST_200600_302600_NS6detail15normal_iteratorINSB_10device_ptrIjEEEENSD_INSE_IS6_EEEESI_S6_NSB_4plusIvEENSB_8equal_toIvEES6_EE10hipError_tPvRmT2_T3_T4_T5_mT6_T7_P12ihipStream_tbENKUlT_T0_E_clISt17integral_constantIbLb1EES13_EEDaSY_SZ_EUlSY_E_NS1_11comp_targetILNS1_3genE10ELNS1_11target_archE1200ELNS1_3gpuE4ELNS1_3repE0EEENS1_30default_config_static_selectorELNS0_4arch9wavefront6targetE0EEEvT1_: ; @_ZN7rocprim17ROCPRIM_400000_NS6detail17trampoline_kernelINS0_14default_configENS1_27scan_by_key_config_selectorIj11FixedVectorIiLj4EEEEZZNS1_16scan_by_key_implILNS1_25lookback_scan_determinismE0ELb1ES3_N6thrust23THRUST_200600_302600_NS6detail15normal_iteratorINSB_10device_ptrIjEEEENSD_INSE_IS6_EEEESI_S6_NSB_4plusIvEENSB_8equal_toIvEES6_EE10hipError_tPvRmT2_T3_T4_T5_mT6_T7_P12ihipStream_tbENKUlT_T0_E_clISt17integral_constantIbLb1EES13_EEDaSY_SZ_EUlSY_E_NS1_11comp_targetILNS1_3genE10ELNS1_11target_archE1200ELNS1_3gpuE4ELNS1_3repE0EEENS1_30default_config_static_selectorELNS0_4arch9wavefront6targetE0EEEvT1_
; %bb.0:
	.section	.rodata,"a",@progbits
	.p2align	6, 0x0
	.amdhsa_kernel _ZN7rocprim17ROCPRIM_400000_NS6detail17trampoline_kernelINS0_14default_configENS1_27scan_by_key_config_selectorIj11FixedVectorIiLj4EEEEZZNS1_16scan_by_key_implILNS1_25lookback_scan_determinismE0ELb1ES3_N6thrust23THRUST_200600_302600_NS6detail15normal_iteratorINSB_10device_ptrIjEEEENSD_INSE_IS6_EEEESI_S6_NSB_4plusIvEENSB_8equal_toIvEES6_EE10hipError_tPvRmT2_T3_T4_T5_mT6_T7_P12ihipStream_tbENKUlT_T0_E_clISt17integral_constantIbLb1EES13_EEDaSY_SZ_EUlSY_E_NS1_11comp_targetILNS1_3genE10ELNS1_11target_archE1200ELNS1_3gpuE4ELNS1_3repE0EEENS1_30default_config_static_selectorELNS0_4arch9wavefront6targetE0EEEvT1_
		.amdhsa_group_segment_fixed_size 0
		.amdhsa_private_segment_fixed_size 0
		.amdhsa_kernarg_size 144
		.amdhsa_user_sgpr_count 2
		.amdhsa_user_sgpr_dispatch_ptr 0
		.amdhsa_user_sgpr_queue_ptr 0
		.amdhsa_user_sgpr_kernarg_segment_ptr 1
		.amdhsa_user_sgpr_dispatch_id 0
		.amdhsa_user_sgpr_kernarg_preload_length 0
		.amdhsa_user_sgpr_kernarg_preload_offset 0
		.amdhsa_user_sgpr_private_segment_size 0
		.amdhsa_wavefront_size32 1
		.amdhsa_uses_dynamic_stack 0
		.amdhsa_enable_private_segment 0
		.amdhsa_system_sgpr_workgroup_id_x 1
		.amdhsa_system_sgpr_workgroup_id_y 0
		.amdhsa_system_sgpr_workgroup_id_z 0
		.amdhsa_system_sgpr_workgroup_info 0
		.amdhsa_system_vgpr_workitem_id 0
		.amdhsa_next_free_vgpr 1
		.amdhsa_next_free_sgpr 1
		.amdhsa_named_barrier_count 0
		.amdhsa_reserve_vcc 0
		.amdhsa_float_round_mode_32 0
		.amdhsa_float_round_mode_16_64 0
		.amdhsa_float_denorm_mode_32 3
		.amdhsa_float_denorm_mode_16_64 3
		.amdhsa_fp16_overflow 0
		.amdhsa_memory_ordered 1
		.amdhsa_forward_progress 1
		.amdhsa_inst_pref_size 0
		.amdhsa_round_robin_scheduling 0
		.amdhsa_exception_fp_ieee_invalid_op 0
		.amdhsa_exception_fp_denorm_src 0
		.amdhsa_exception_fp_ieee_div_zero 0
		.amdhsa_exception_fp_ieee_overflow 0
		.amdhsa_exception_fp_ieee_underflow 0
		.amdhsa_exception_fp_ieee_inexact 0
		.amdhsa_exception_int_div_zero 0
	.end_amdhsa_kernel
	.section	.text._ZN7rocprim17ROCPRIM_400000_NS6detail17trampoline_kernelINS0_14default_configENS1_27scan_by_key_config_selectorIj11FixedVectorIiLj4EEEEZZNS1_16scan_by_key_implILNS1_25lookback_scan_determinismE0ELb1ES3_N6thrust23THRUST_200600_302600_NS6detail15normal_iteratorINSB_10device_ptrIjEEEENSD_INSE_IS6_EEEESI_S6_NSB_4plusIvEENSB_8equal_toIvEES6_EE10hipError_tPvRmT2_T3_T4_T5_mT6_T7_P12ihipStream_tbENKUlT_T0_E_clISt17integral_constantIbLb1EES13_EEDaSY_SZ_EUlSY_E_NS1_11comp_targetILNS1_3genE10ELNS1_11target_archE1200ELNS1_3gpuE4ELNS1_3repE0EEENS1_30default_config_static_selectorELNS0_4arch9wavefront6targetE0EEEvT1_,"axG",@progbits,_ZN7rocprim17ROCPRIM_400000_NS6detail17trampoline_kernelINS0_14default_configENS1_27scan_by_key_config_selectorIj11FixedVectorIiLj4EEEEZZNS1_16scan_by_key_implILNS1_25lookback_scan_determinismE0ELb1ES3_N6thrust23THRUST_200600_302600_NS6detail15normal_iteratorINSB_10device_ptrIjEEEENSD_INSE_IS6_EEEESI_S6_NSB_4plusIvEENSB_8equal_toIvEES6_EE10hipError_tPvRmT2_T3_T4_T5_mT6_T7_P12ihipStream_tbENKUlT_T0_E_clISt17integral_constantIbLb1EES13_EEDaSY_SZ_EUlSY_E_NS1_11comp_targetILNS1_3genE10ELNS1_11target_archE1200ELNS1_3gpuE4ELNS1_3repE0EEENS1_30default_config_static_selectorELNS0_4arch9wavefront6targetE0EEEvT1_,comdat
.Lfunc_end2090:
	.size	_ZN7rocprim17ROCPRIM_400000_NS6detail17trampoline_kernelINS0_14default_configENS1_27scan_by_key_config_selectorIj11FixedVectorIiLj4EEEEZZNS1_16scan_by_key_implILNS1_25lookback_scan_determinismE0ELb1ES3_N6thrust23THRUST_200600_302600_NS6detail15normal_iteratorINSB_10device_ptrIjEEEENSD_INSE_IS6_EEEESI_S6_NSB_4plusIvEENSB_8equal_toIvEES6_EE10hipError_tPvRmT2_T3_T4_T5_mT6_T7_P12ihipStream_tbENKUlT_T0_E_clISt17integral_constantIbLb1EES13_EEDaSY_SZ_EUlSY_E_NS1_11comp_targetILNS1_3genE10ELNS1_11target_archE1200ELNS1_3gpuE4ELNS1_3repE0EEENS1_30default_config_static_selectorELNS0_4arch9wavefront6targetE0EEEvT1_, .Lfunc_end2090-_ZN7rocprim17ROCPRIM_400000_NS6detail17trampoline_kernelINS0_14default_configENS1_27scan_by_key_config_selectorIj11FixedVectorIiLj4EEEEZZNS1_16scan_by_key_implILNS1_25lookback_scan_determinismE0ELb1ES3_N6thrust23THRUST_200600_302600_NS6detail15normal_iteratorINSB_10device_ptrIjEEEENSD_INSE_IS6_EEEESI_S6_NSB_4plusIvEENSB_8equal_toIvEES6_EE10hipError_tPvRmT2_T3_T4_T5_mT6_T7_P12ihipStream_tbENKUlT_T0_E_clISt17integral_constantIbLb1EES13_EEDaSY_SZ_EUlSY_E_NS1_11comp_targetILNS1_3genE10ELNS1_11target_archE1200ELNS1_3gpuE4ELNS1_3repE0EEENS1_30default_config_static_selectorELNS0_4arch9wavefront6targetE0EEEvT1_
                                        ; -- End function
	.set _ZN7rocprim17ROCPRIM_400000_NS6detail17trampoline_kernelINS0_14default_configENS1_27scan_by_key_config_selectorIj11FixedVectorIiLj4EEEEZZNS1_16scan_by_key_implILNS1_25lookback_scan_determinismE0ELb1ES3_N6thrust23THRUST_200600_302600_NS6detail15normal_iteratorINSB_10device_ptrIjEEEENSD_INSE_IS6_EEEESI_S6_NSB_4plusIvEENSB_8equal_toIvEES6_EE10hipError_tPvRmT2_T3_T4_T5_mT6_T7_P12ihipStream_tbENKUlT_T0_E_clISt17integral_constantIbLb1EES13_EEDaSY_SZ_EUlSY_E_NS1_11comp_targetILNS1_3genE10ELNS1_11target_archE1200ELNS1_3gpuE4ELNS1_3repE0EEENS1_30default_config_static_selectorELNS0_4arch9wavefront6targetE0EEEvT1_.num_vgpr, 0
	.set _ZN7rocprim17ROCPRIM_400000_NS6detail17trampoline_kernelINS0_14default_configENS1_27scan_by_key_config_selectorIj11FixedVectorIiLj4EEEEZZNS1_16scan_by_key_implILNS1_25lookback_scan_determinismE0ELb1ES3_N6thrust23THRUST_200600_302600_NS6detail15normal_iteratorINSB_10device_ptrIjEEEENSD_INSE_IS6_EEEESI_S6_NSB_4plusIvEENSB_8equal_toIvEES6_EE10hipError_tPvRmT2_T3_T4_T5_mT6_T7_P12ihipStream_tbENKUlT_T0_E_clISt17integral_constantIbLb1EES13_EEDaSY_SZ_EUlSY_E_NS1_11comp_targetILNS1_3genE10ELNS1_11target_archE1200ELNS1_3gpuE4ELNS1_3repE0EEENS1_30default_config_static_selectorELNS0_4arch9wavefront6targetE0EEEvT1_.num_agpr, 0
	.set _ZN7rocprim17ROCPRIM_400000_NS6detail17trampoline_kernelINS0_14default_configENS1_27scan_by_key_config_selectorIj11FixedVectorIiLj4EEEEZZNS1_16scan_by_key_implILNS1_25lookback_scan_determinismE0ELb1ES3_N6thrust23THRUST_200600_302600_NS6detail15normal_iteratorINSB_10device_ptrIjEEEENSD_INSE_IS6_EEEESI_S6_NSB_4plusIvEENSB_8equal_toIvEES6_EE10hipError_tPvRmT2_T3_T4_T5_mT6_T7_P12ihipStream_tbENKUlT_T0_E_clISt17integral_constantIbLb1EES13_EEDaSY_SZ_EUlSY_E_NS1_11comp_targetILNS1_3genE10ELNS1_11target_archE1200ELNS1_3gpuE4ELNS1_3repE0EEENS1_30default_config_static_selectorELNS0_4arch9wavefront6targetE0EEEvT1_.numbered_sgpr, 0
	.set _ZN7rocprim17ROCPRIM_400000_NS6detail17trampoline_kernelINS0_14default_configENS1_27scan_by_key_config_selectorIj11FixedVectorIiLj4EEEEZZNS1_16scan_by_key_implILNS1_25lookback_scan_determinismE0ELb1ES3_N6thrust23THRUST_200600_302600_NS6detail15normal_iteratorINSB_10device_ptrIjEEEENSD_INSE_IS6_EEEESI_S6_NSB_4plusIvEENSB_8equal_toIvEES6_EE10hipError_tPvRmT2_T3_T4_T5_mT6_T7_P12ihipStream_tbENKUlT_T0_E_clISt17integral_constantIbLb1EES13_EEDaSY_SZ_EUlSY_E_NS1_11comp_targetILNS1_3genE10ELNS1_11target_archE1200ELNS1_3gpuE4ELNS1_3repE0EEENS1_30default_config_static_selectorELNS0_4arch9wavefront6targetE0EEEvT1_.num_named_barrier, 0
	.set _ZN7rocprim17ROCPRIM_400000_NS6detail17trampoline_kernelINS0_14default_configENS1_27scan_by_key_config_selectorIj11FixedVectorIiLj4EEEEZZNS1_16scan_by_key_implILNS1_25lookback_scan_determinismE0ELb1ES3_N6thrust23THRUST_200600_302600_NS6detail15normal_iteratorINSB_10device_ptrIjEEEENSD_INSE_IS6_EEEESI_S6_NSB_4plusIvEENSB_8equal_toIvEES6_EE10hipError_tPvRmT2_T3_T4_T5_mT6_T7_P12ihipStream_tbENKUlT_T0_E_clISt17integral_constantIbLb1EES13_EEDaSY_SZ_EUlSY_E_NS1_11comp_targetILNS1_3genE10ELNS1_11target_archE1200ELNS1_3gpuE4ELNS1_3repE0EEENS1_30default_config_static_selectorELNS0_4arch9wavefront6targetE0EEEvT1_.private_seg_size, 0
	.set _ZN7rocprim17ROCPRIM_400000_NS6detail17trampoline_kernelINS0_14default_configENS1_27scan_by_key_config_selectorIj11FixedVectorIiLj4EEEEZZNS1_16scan_by_key_implILNS1_25lookback_scan_determinismE0ELb1ES3_N6thrust23THRUST_200600_302600_NS6detail15normal_iteratorINSB_10device_ptrIjEEEENSD_INSE_IS6_EEEESI_S6_NSB_4plusIvEENSB_8equal_toIvEES6_EE10hipError_tPvRmT2_T3_T4_T5_mT6_T7_P12ihipStream_tbENKUlT_T0_E_clISt17integral_constantIbLb1EES13_EEDaSY_SZ_EUlSY_E_NS1_11comp_targetILNS1_3genE10ELNS1_11target_archE1200ELNS1_3gpuE4ELNS1_3repE0EEENS1_30default_config_static_selectorELNS0_4arch9wavefront6targetE0EEEvT1_.uses_vcc, 0
	.set _ZN7rocprim17ROCPRIM_400000_NS6detail17trampoline_kernelINS0_14default_configENS1_27scan_by_key_config_selectorIj11FixedVectorIiLj4EEEEZZNS1_16scan_by_key_implILNS1_25lookback_scan_determinismE0ELb1ES3_N6thrust23THRUST_200600_302600_NS6detail15normal_iteratorINSB_10device_ptrIjEEEENSD_INSE_IS6_EEEESI_S6_NSB_4plusIvEENSB_8equal_toIvEES6_EE10hipError_tPvRmT2_T3_T4_T5_mT6_T7_P12ihipStream_tbENKUlT_T0_E_clISt17integral_constantIbLb1EES13_EEDaSY_SZ_EUlSY_E_NS1_11comp_targetILNS1_3genE10ELNS1_11target_archE1200ELNS1_3gpuE4ELNS1_3repE0EEENS1_30default_config_static_selectorELNS0_4arch9wavefront6targetE0EEEvT1_.uses_flat_scratch, 0
	.set _ZN7rocprim17ROCPRIM_400000_NS6detail17trampoline_kernelINS0_14default_configENS1_27scan_by_key_config_selectorIj11FixedVectorIiLj4EEEEZZNS1_16scan_by_key_implILNS1_25lookback_scan_determinismE0ELb1ES3_N6thrust23THRUST_200600_302600_NS6detail15normal_iteratorINSB_10device_ptrIjEEEENSD_INSE_IS6_EEEESI_S6_NSB_4plusIvEENSB_8equal_toIvEES6_EE10hipError_tPvRmT2_T3_T4_T5_mT6_T7_P12ihipStream_tbENKUlT_T0_E_clISt17integral_constantIbLb1EES13_EEDaSY_SZ_EUlSY_E_NS1_11comp_targetILNS1_3genE10ELNS1_11target_archE1200ELNS1_3gpuE4ELNS1_3repE0EEENS1_30default_config_static_selectorELNS0_4arch9wavefront6targetE0EEEvT1_.has_dyn_sized_stack, 0
	.set _ZN7rocprim17ROCPRIM_400000_NS6detail17trampoline_kernelINS0_14default_configENS1_27scan_by_key_config_selectorIj11FixedVectorIiLj4EEEEZZNS1_16scan_by_key_implILNS1_25lookback_scan_determinismE0ELb1ES3_N6thrust23THRUST_200600_302600_NS6detail15normal_iteratorINSB_10device_ptrIjEEEENSD_INSE_IS6_EEEESI_S6_NSB_4plusIvEENSB_8equal_toIvEES6_EE10hipError_tPvRmT2_T3_T4_T5_mT6_T7_P12ihipStream_tbENKUlT_T0_E_clISt17integral_constantIbLb1EES13_EEDaSY_SZ_EUlSY_E_NS1_11comp_targetILNS1_3genE10ELNS1_11target_archE1200ELNS1_3gpuE4ELNS1_3repE0EEENS1_30default_config_static_selectorELNS0_4arch9wavefront6targetE0EEEvT1_.has_recursion, 0
	.set _ZN7rocprim17ROCPRIM_400000_NS6detail17trampoline_kernelINS0_14default_configENS1_27scan_by_key_config_selectorIj11FixedVectorIiLj4EEEEZZNS1_16scan_by_key_implILNS1_25lookback_scan_determinismE0ELb1ES3_N6thrust23THRUST_200600_302600_NS6detail15normal_iteratorINSB_10device_ptrIjEEEENSD_INSE_IS6_EEEESI_S6_NSB_4plusIvEENSB_8equal_toIvEES6_EE10hipError_tPvRmT2_T3_T4_T5_mT6_T7_P12ihipStream_tbENKUlT_T0_E_clISt17integral_constantIbLb1EES13_EEDaSY_SZ_EUlSY_E_NS1_11comp_targetILNS1_3genE10ELNS1_11target_archE1200ELNS1_3gpuE4ELNS1_3repE0EEENS1_30default_config_static_selectorELNS0_4arch9wavefront6targetE0EEEvT1_.has_indirect_call, 0
	.section	.AMDGPU.csdata,"",@progbits
; Kernel info:
; codeLenInByte = 0
; TotalNumSgprs: 0
; NumVgprs: 0
; ScratchSize: 0
; MemoryBound: 0
; FloatMode: 240
; IeeeMode: 1
; LDSByteSize: 0 bytes/workgroup (compile time only)
; SGPRBlocks: 0
; VGPRBlocks: 0
; NumSGPRsForWavesPerEU: 1
; NumVGPRsForWavesPerEU: 1
; NamedBarCnt: 0
; Occupancy: 16
; WaveLimiterHint : 0
; COMPUTE_PGM_RSRC2:SCRATCH_EN: 0
; COMPUTE_PGM_RSRC2:USER_SGPR: 2
; COMPUTE_PGM_RSRC2:TRAP_HANDLER: 0
; COMPUTE_PGM_RSRC2:TGID_X_EN: 1
; COMPUTE_PGM_RSRC2:TGID_Y_EN: 0
; COMPUTE_PGM_RSRC2:TGID_Z_EN: 0
; COMPUTE_PGM_RSRC2:TIDIG_COMP_CNT: 0
	.section	.text._ZN7rocprim17ROCPRIM_400000_NS6detail17trampoline_kernelINS0_14default_configENS1_27scan_by_key_config_selectorIj11FixedVectorIiLj4EEEEZZNS1_16scan_by_key_implILNS1_25lookback_scan_determinismE0ELb1ES3_N6thrust23THRUST_200600_302600_NS6detail15normal_iteratorINSB_10device_ptrIjEEEENSD_INSE_IS6_EEEESI_S6_NSB_4plusIvEENSB_8equal_toIvEES6_EE10hipError_tPvRmT2_T3_T4_T5_mT6_T7_P12ihipStream_tbENKUlT_T0_E_clISt17integral_constantIbLb1EES13_EEDaSY_SZ_EUlSY_E_NS1_11comp_targetILNS1_3genE9ELNS1_11target_archE1100ELNS1_3gpuE3ELNS1_3repE0EEENS1_30default_config_static_selectorELNS0_4arch9wavefront6targetE0EEEvT1_,"axG",@progbits,_ZN7rocprim17ROCPRIM_400000_NS6detail17trampoline_kernelINS0_14default_configENS1_27scan_by_key_config_selectorIj11FixedVectorIiLj4EEEEZZNS1_16scan_by_key_implILNS1_25lookback_scan_determinismE0ELb1ES3_N6thrust23THRUST_200600_302600_NS6detail15normal_iteratorINSB_10device_ptrIjEEEENSD_INSE_IS6_EEEESI_S6_NSB_4plusIvEENSB_8equal_toIvEES6_EE10hipError_tPvRmT2_T3_T4_T5_mT6_T7_P12ihipStream_tbENKUlT_T0_E_clISt17integral_constantIbLb1EES13_EEDaSY_SZ_EUlSY_E_NS1_11comp_targetILNS1_3genE9ELNS1_11target_archE1100ELNS1_3gpuE3ELNS1_3repE0EEENS1_30default_config_static_selectorELNS0_4arch9wavefront6targetE0EEEvT1_,comdat
	.protected	_ZN7rocprim17ROCPRIM_400000_NS6detail17trampoline_kernelINS0_14default_configENS1_27scan_by_key_config_selectorIj11FixedVectorIiLj4EEEEZZNS1_16scan_by_key_implILNS1_25lookback_scan_determinismE0ELb1ES3_N6thrust23THRUST_200600_302600_NS6detail15normal_iteratorINSB_10device_ptrIjEEEENSD_INSE_IS6_EEEESI_S6_NSB_4plusIvEENSB_8equal_toIvEES6_EE10hipError_tPvRmT2_T3_T4_T5_mT6_T7_P12ihipStream_tbENKUlT_T0_E_clISt17integral_constantIbLb1EES13_EEDaSY_SZ_EUlSY_E_NS1_11comp_targetILNS1_3genE9ELNS1_11target_archE1100ELNS1_3gpuE3ELNS1_3repE0EEENS1_30default_config_static_selectorELNS0_4arch9wavefront6targetE0EEEvT1_ ; -- Begin function _ZN7rocprim17ROCPRIM_400000_NS6detail17trampoline_kernelINS0_14default_configENS1_27scan_by_key_config_selectorIj11FixedVectorIiLj4EEEEZZNS1_16scan_by_key_implILNS1_25lookback_scan_determinismE0ELb1ES3_N6thrust23THRUST_200600_302600_NS6detail15normal_iteratorINSB_10device_ptrIjEEEENSD_INSE_IS6_EEEESI_S6_NSB_4plusIvEENSB_8equal_toIvEES6_EE10hipError_tPvRmT2_T3_T4_T5_mT6_T7_P12ihipStream_tbENKUlT_T0_E_clISt17integral_constantIbLb1EES13_EEDaSY_SZ_EUlSY_E_NS1_11comp_targetILNS1_3genE9ELNS1_11target_archE1100ELNS1_3gpuE3ELNS1_3repE0EEENS1_30default_config_static_selectorELNS0_4arch9wavefront6targetE0EEEvT1_
	.globl	_ZN7rocprim17ROCPRIM_400000_NS6detail17trampoline_kernelINS0_14default_configENS1_27scan_by_key_config_selectorIj11FixedVectorIiLj4EEEEZZNS1_16scan_by_key_implILNS1_25lookback_scan_determinismE0ELb1ES3_N6thrust23THRUST_200600_302600_NS6detail15normal_iteratorINSB_10device_ptrIjEEEENSD_INSE_IS6_EEEESI_S6_NSB_4plusIvEENSB_8equal_toIvEES6_EE10hipError_tPvRmT2_T3_T4_T5_mT6_T7_P12ihipStream_tbENKUlT_T0_E_clISt17integral_constantIbLb1EES13_EEDaSY_SZ_EUlSY_E_NS1_11comp_targetILNS1_3genE9ELNS1_11target_archE1100ELNS1_3gpuE3ELNS1_3repE0EEENS1_30default_config_static_selectorELNS0_4arch9wavefront6targetE0EEEvT1_
	.p2align	8
	.type	_ZN7rocprim17ROCPRIM_400000_NS6detail17trampoline_kernelINS0_14default_configENS1_27scan_by_key_config_selectorIj11FixedVectorIiLj4EEEEZZNS1_16scan_by_key_implILNS1_25lookback_scan_determinismE0ELb1ES3_N6thrust23THRUST_200600_302600_NS6detail15normal_iteratorINSB_10device_ptrIjEEEENSD_INSE_IS6_EEEESI_S6_NSB_4plusIvEENSB_8equal_toIvEES6_EE10hipError_tPvRmT2_T3_T4_T5_mT6_T7_P12ihipStream_tbENKUlT_T0_E_clISt17integral_constantIbLb1EES13_EEDaSY_SZ_EUlSY_E_NS1_11comp_targetILNS1_3genE9ELNS1_11target_archE1100ELNS1_3gpuE3ELNS1_3repE0EEENS1_30default_config_static_selectorELNS0_4arch9wavefront6targetE0EEEvT1_,@function
_ZN7rocprim17ROCPRIM_400000_NS6detail17trampoline_kernelINS0_14default_configENS1_27scan_by_key_config_selectorIj11FixedVectorIiLj4EEEEZZNS1_16scan_by_key_implILNS1_25lookback_scan_determinismE0ELb1ES3_N6thrust23THRUST_200600_302600_NS6detail15normal_iteratorINSB_10device_ptrIjEEEENSD_INSE_IS6_EEEESI_S6_NSB_4plusIvEENSB_8equal_toIvEES6_EE10hipError_tPvRmT2_T3_T4_T5_mT6_T7_P12ihipStream_tbENKUlT_T0_E_clISt17integral_constantIbLb1EES13_EEDaSY_SZ_EUlSY_E_NS1_11comp_targetILNS1_3genE9ELNS1_11target_archE1100ELNS1_3gpuE3ELNS1_3repE0EEENS1_30default_config_static_selectorELNS0_4arch9wavefront6targetE0EEEvT1_: ; @_ZN7rocprim17ROCPRIM_400000_NS6detail17trampoline_kernelINS0_14default_configENS1_27scan_by_key_config_selectorIj11FixedVectorIiLj4EEEEZZNS1_16scan_by_key_implILNS1_25lookback_scan_determinismE0ELb1ES3_N6thrust23THRUST_200600_302600_NS6detail15normal_iteratorINSB_10device_ptrIjEEEENSD_INSE_IS6_EEEESI_S6_NSB_4plusIvEENSB_8equal_toIvEES6_EE10hipError_tPvRmT2_T3_T4_T5_mT6_T7_P12ihipStream_tbENKUlT_T0_E_clISt17integral_constantIbLb1EES13_EEDaSY_SZ_EUlSY_E_NS1_11comp_targetILNS1_3genE9ELNS1_11target_archE1100ELNS1_3gpuE3ELNS1_3repE0EEENS1_30default_config_static_selectorELNS0_4arch9wavefront6targetE0EEEvT1_
; %bb.0:
	.section	.rodata,"a",@progbits
	.p2align	6, 0x0
	.amdhsa_kernel _ZN7rocprim17ROCPRIM_400000_NS6detail17trampoline_kernelINS0_14default_configENS1_27scan_by_key_config_selectorIj11FixedVectorIiLj4EEEEZZNS1_16scan_by_key_implILNS1_25lookback_scan_determinismE0ELb1ES3_N6thrust23THRUST_200600_302600_NS6detail15normal_iteratorINSB_10device_ptrIjEEEENSD_INSE_IS6_EEEESI_S6_NSB_4plusIvEENSB_8equal_toIvEES6_EE10hipError_tPvRmT2_T3_T4_T5_mT6_T7_P12ihipStream_tbENKUlT_T0_E_clISt17integral_constantIbLb1EES13_EEDaSY_SZ_EUlSY_E_NS1_11comp_targetILNS1_3genE9ELNS1_11target_archE1100ELNS1_3gpuE3ELNS1_3repE0EEENS1_30default_config_static_selectorELNS0_4arch9wavefront6targetE0EEEvT1_
		.amdhsa_group_segment_fixed_size 0
		.amdhsa_private_segment_fixed_size 0
		.amdhsa_kernarg_size 144
		.amdhsa_user_sgpr_count 2
		.amdhsa_user_sgpr_dispatch_ptr 0
		.amdhsa_user_sgpr_queue_ptr 0
		.amdhsa_user_sgpr_kernarg_segment_ptr 1
		.amdhsa_user_sgpr_dispatch_id 0
		.amdhsa_user_sgpr_kernarg_preload_length 0
		.amdhsa_user_sgpr_kernarg_preload_offset 0
		.amdhsa_user_sgpr_private_segment_size 0
		.amdhsa_wavefront_size32 1
		.amdhsa_uses_dynamic_stack 0
		.amdhsa_enable_private_segment 0
		.amdhsa_system_sgpr_workgroup_id_x 1
		.amdhsa_system_sgpr_workgroup_id_y 0
		.amdhsa_system_sgpr_workgroup_id_z 0
		.amdhsa_system_sgpr_workgroup_info 0
		.amdhsa_system_vgpr_workitem_id 0
		.amdhsa_next_free_vgpr 1
		.amdhsa_next_free_sgpr 1
		.amdhsa_named_barrier_count 0
		.amdhsa_reserve_vcc 0
		.amdhsa_float_round_mode_32 0
		.amdhsa_float_round_mode_16_64 0
		.amdhsa_float_denorm_mode_32 3
		.amdhsa_float_denorm_mode_16_64 3
		.amdhsa_fp16_overflow 0
		.amdhsa_memory_ordered 1
		.amdhsa_forward_progress 1
		.amdhsa_inst_pref_size 0
		.amdhsa_round_robin_scheduling 0
		.amdhsa_exception_fp_ieee_invalid_op 0
		.amdhsa_exception_fp_denorm_src 0
		.amdhsa_exception_fp_ieee_div_zero 0
		.amdhsa_exception_fp_ieee_overflow 0
		.amdhsa_exception_fp_ieee_underflow 0
		.amdhsa_exception_fp_ieee_inexact 0
		.amdhsa_exception_int_div_zero 0
	.end_amdhsa_kernel
	.section	.text._ZN7rocprim17ROCPRIM_400000_NS6detail17trampoline_kernelINS0_14default_configENS1_27scan_by_key_config_selectorIj11FixedVectorIiLj4EEEEZZNS1_16scan_by_key_implILNS1_25lookback_scan_determinismE0ELb1ES3_N6thrust23THRUST_200600_302600_NS6detail15normal_iteratorINSB_10device_ptrIjEEEENSD_INSE_IS6_EEEESI_S6_NSB_4plusIvEENSB_8equal_toIvEES6_EE10hipError_tPvRmT2_T3_T4_T5_mT6_T7_P12ihipStream_tbENKUlT_T0_E_clISt17integral_constantIbLb1EES13_EEDaSY_SZ_EUlSY_E_NS1_11comp_targetILNS1_3genE9ELNS1_11target_archE1100ELNS1_3gpuE3ELNS1_3repE0EEENS1_30default_config_static_selectorELNS0_4arch9wavefront6targetE0EEEvT1_,"axG",@progbits,_ZN7rocprim17ROCPRIM_400000_NS6detail17trampoline_kernelINS0_14default_configENS1_27scan_by_key_config_selectorIj11FixedVectorIiLj4EEEEZZNS1_16scan_by_key_implILNS1_25lookback_scan_determinismE0ELb1ES3_N6thrust23THRUST_200600_302600_NS6detail15normal_iteratorINSB_10device_ptrIjEEEENSD_INSE_IS6_EEEESI_S6_NSB_4plusIvEENSB_8equal_toIvEES6_EE10hipError_tPvRmT2_T3_T4_T5_mT6_T7_P12ihipStream_tbENKUlT_T0_E_clISt17integral_constantIbLb1EES13_EEDaSY_SZ_EUlSY_E_NS1_11comp_targetILNS1_3genE9ELNS1_11target_archE1100ELNS1_3gpuE3ELNS1_3repE0EEENS1_30default_config_static_selectorELNS0_4arch9wavefront6targetE0EEEvT1_,comdat
.Lfunc_end2091:
	.size	_ZN7rocprim17ROCPRIM_400000_NS6detail17trampoline_kernelINS0_14default_configENS1_27scan_by_key_config_selectorIj11FixedVectorIiLj4EEEEZZNS1_16scan_by_key_implILNS1_25lookback_scan_determinismE0ELb1ES3_N6thrust23THRUST_200600_302600_NS6detail15normal_iteratorINSB_10device_ptrIjEEEENSD_INSE_IS6_EEEESI_S6_NSB_4plusIvEENSB_8equal_toIvEES6_EE10hipError_tPvRmT2_T3_T4_T5_mT6_T7_P12ihipStream_tbENKUlT_T0_E_clISt17integral_constantIbLb1EES13_EEDaSY_SZ_EUlSY_E_NS1_11comp_targetILNS1_3genE9ELNS1_11target_archE1100ELNS1_3gpuE3ELNS1_3repE0EEENS1_30default_config_static_selectorELNS0_4arch9wavefront6targetE0EEEvT1_, .Lfunc_end2091-_ZN7rocprim17ROCPRIM_400000_NS6detail17trampoline_kernelINS0_14default_configENS1_27scan_by_key_config_selectorIj11FixedVectorIiLj4EEEEZZNS1_16scan_by_key_implILNS1_25lookback_scan_determinismE0ELb1ES3_N6thrust23THRUST_200600_302600_NS6detail15normal_iteratorINSB_10device_ptrIjEEEENSD_INSE_IS6_EEEESI_S6_NSB_4plusIvEENSB_8equal_toIvEES6_EE10hipError_tPvRmT2_T3_T4_T5_mT6_T7_P12ihipStream_tbENKUlT_T0_E_clISt17integral_constantIbLb1EES13_EEDaSY_SZ_EUlSY_E_NS1_11comp_targetILNS1_3genE9ELNS1_11target_archE1100ELNS1_3gpuE3ELNS1_3repE0EEENS1_30default_config_static_selectorELNS0_4arch9wavefront6targetE0EEEvT1_
                                        ; -- End function
	.set _ZN7rocprim17ROCPRIM_400000_NS6detail17trampoline_kernelINS0_14default_configENS1_27scan_by_key_config_selectorIj11FixedVectorIiLj4EEEEZZNS1_16scan_by_key_implILNS1_25lookback_scan_determinismE0ELb1ES3_N6thrust23THRUST_200600_302600_NS6detail15normal_iteratorINSB_10device_ptrIjEEEENSD_INSE_IS6_EEEESI_S6_NSB_4plusIvEENSB_8equal_toIvEES6_EE10hipError_tPvRmT2_T3_T4_T5_mT6_T7_P12ihipStream_tbENKUlT_T0_E_clISt17integral_constantIbLb1EES13_EEDaSY_SZ_EUlSY_E_NS1_11comp_targetILNS1_3genE9ELNS1_11target_archE1100ELNS1_3gpuE3ELNS1_3repE0EEENS1_30default_config_static_selectorELNS0_4arch9wavefront6targetE0EEEvT1_.num_vgpr, 0
	.set _ZN7rocprim17ROCPRIM_400000_NS6detail17trampoline_kernelINS0_14default_configENS1_27scan_by_key_config_selectorIj11FixedVectorIiLj4EEEEZZNS1_16scan_by_key_implILNS1_25lookback_scan_determinismE0ELb1ES3_N6thrust23THRUST_200600_302600_NS6detail15normal_iteratorINSB_10device_ptrIjEEEENSD_INSE_IS6_EEEESI_S6_NSB_4plusIvEENSB_8equal_toIvEES6_EE10hipError_tPvRmT2_T3_T4_T5_mT6_T7_P12ihipStream_tbENKUlT_T0_E_clISt17integral_constantIbLb1EES13_EEDaSY_SZ_EUlSY_E_NS1_11comp_targetILNS1_3genE9ELNS1_11target_archE1100ELNS1_3gpuE3ELNS1_3repE0EEENS1_30default_config_static_selectorELNS0_4arch9wavefront6targetE0EEEvT1_.num_agpr, 0
	.set _ZN7rocprim17ROCPRIM_400000_NS6detail17trampoline_kernelINS0_14default_configENS1_27scan_by_key_config_selectorIj11FixedVectorIiLj4EEEEZZNS1_16scan_by_key_implILNS1_25lookback_scan_determinismE0ELb1ES3_N6thrust23THRUST_200600_302600_NS6detail15normal_iteratorINSB_10device_ptrIjEEEENSD_INSE_IS6_EEEESI_S6_NSB_4plusIvEENSB_8equal_toIvEES6_EE10hipError_tPvRmT2_T3_T4_T5_mT6_T7_P12ihipStream_tbENKUlT_T0_E_clISt17integral_constantIbLb1EES13_EEDaSY_SZ_EUlSY_E_NS1_11comp_targetILNS1_3genE9ELNS1_11target_archE1100ELNS1_3gpuE3ELNS1_3repE0EEENS1_30default_config_static_selectorELNS0_4arch9wavefront6targetE0EEEvT1_.numbered_sgpr, 0
	.set _ZN7rocprim17ROCPRIM_400000_NS6detail17trampoline_kernelINS0_14default_configENS1_27scan_by_key_config_selectorIj11FixedVectorIiLj4EEEEZZNS1_16scan_by_key_implILNS1_25lookback_scan_determinismE0ELb1ES3_N6thrust23THRUST_200600_302600_NS6detail15normal_iteratorINSB_10device_ptrIjEEEENSD_INSE_IS6_EEEESI_S6_NSB_4plusIvEENSB_8equal_toIvEES6_EE10hipError_tPvRmT2_T3_T4_T5_mT6_T7_P12ihipStream_tbENKUlT_T0_E_clISt17integral_constantIbLb1EES13_EEDaSY_SZ_EUlSY_E_NS1_11comp_targetILNS1_3genE9ELNS1_11target_archE1100ELNS1_3gpuE3ELNS1_3repE0EEENS1_30default_config_static_selectorELNS0_4arch9wavefront6targetE0EEEvT1_.num_named_barrier, 0
	.set _ZN7rocprim17ROCPRIM_400000_NS6detail17trampoline_kernelINS0_14default_configENS1_27scan_by_key_config_selectorIj11FixedVectorIiLj4EEEEZZNS1_16scan_by_key_implILNS1_25lookback_scan_determinismE0ELb1ES3_N6thrust23THRUST_200600_302600_NS6detail15normal_iteratorINSB_10device_ptrIjEEEENSD_INSE_IS6_EEEESI_S6_NSB_4plusIvEENSB_8equal_toIvEES6_EE10hipError_tPvRmT2_T3_T4_T5_mT6_T7_P12ihipStream_tbENKUlT_T0_E_clISt17integral_constantIbLb1EES13_EEDaSY_SZ_EUlSY_E_NS1_11comp_targetILNS1_3genE9ELNS1_11target_archE1100ELNS1_3gpuE3ELNS1_3repE0EEENS1_30default_config_static_selectorELNS0_4arch9wavefront6targetE0EEEvT1_.private_seg_size, 0
	.set _ZN7rocprim17ROCPRIM_400000_NS6detail17trampoline_kernelINS0_14default_configENS1_27scan_by_key_config_selectorIj11FixedVectorIiLj4EEEEZZNS1_16scan_by_key_implILNS1_25lookback_scan_determinismE0ELb1ES3_N6thrust23THRUST_200600_302600_NS6detail15normal_iteratorINSB_10device_ptrIjEEEENSD_INSE_IS6_EEEESI_S6_NSB_4plusIvEENSB_8equal_toIvEES6_EE10hipError_tPvRmT2_T3_T4_T5_mT6_T7_P12ihipStream_tbENKUlT_T0_E_clISt17integral_constantIbLb1EES13_EEDaSY_SZ_EUlSY_E_NS1_11comp_targetILNS1_3genE9ELNS1_11target_archE1100ELNS1_3gpuE3ELNS1_3repE0EEENS1_30default_config_static_selectorELNS0_4arch9wavefront6targetE0EEEvT1_.uses_vcc, 0
	.set _ZN7rocprim17ROCPRIM_400000_NS6detail17trampoline_kernelINS0_14default_configENS1_27scan_by_key_config_selectorIj11FixedVectorIiLj4EEEEZZNS1_16scan_by_key_implILNS1_25lookback_scan_determinismE0ELb1ES3_N6thrust23THRUST_200600_302600_NS6detail15normal_iteratorINSB_10device_ptrIjEEEENSD_INSE_IS6_EEEESI_S6_NSB_4plusIvEENSB_8equal_toIvEES6_EE10hipError_tPvRmT2_T3_T4_T5_mT6_T7_P12ihipStream_tbENKUlT_T0_E_clISt17integral_constantIbLb1EES13_EEDaSY_SZ_EUlSY_E_NS1_11comp_targetILNS1_3genE9ELNS1_11target_archE1100ELNS1_3gpuE3ELNS1_3repE0EEENS1_30default_config_static_selectorELNS0_4arch9wavefront6targetE0EEEvT1_.uses_flat_scratch, 0
	.set _ZN7rocprim17ROCPRIM_400000_NS6detail17trampoline_kernelINS0_14default_configENS1_27scan_by_key_config_selectorIj11FixedVectorIiLj4EEEEZZNS1_16scan_by_key_implILNS1_25lookback_scan_determinismE0ELb1ES3_N6thrust23THRUST_200600_302600_NS6detail15normal_iteratorINSB_10device_ptrIjEEEENSD_INSE_IS6_EEEESI_S6_NSB_4plusIvEENSB_8equal_toIvEES6_EE10hipError_tPvRmT2_T3_T4_T5_mT6_T7_P12ihipStream_tbENKUlT_T0_E_clISt17integral_constantIbLb1EES13_EEDaSY_SZ_EUlSY_E_NS1_11comp_targetILNS1_3genE9ELNS1_11target_archE1100ELNS1_3gpuE3ELNS1_3repE0EEENS1_30default_config_static_selectorELNS0_4arch9wavefront6targetE0EEEvT1_.has_dyn_sized_stack, 0
	.set _ZN7rocprim17ROCPRIM_400000_NS6detail17trampoline_kernelINS0_14default_configENS1_27scan_by_key_config_selectorIj11FixedVectorIiLj4EEEEZZNS1_16scan_by_key_implILNS1_25lookback_scan_determinismE0ELb1ES3_N6thrust23THRUST_200600_302600_NS6detail15normal_iteratorINSB_10device_ptrIjEEEENSD_INSE_IS6_EEEESI_S6_NSB_4plusIvEENSB_8equal_toIvEES6_EE10hipError_tPvRmT2_T3_T4_T5_mT6_T7_P12ihipStream_tbENKUlT_T0_E_clISt17integral_constantIbLb1EES13_EEDaSY_SZ_EUlSY_E_NS1_11comp_targetILNS1_3genE9ELNS1_11target_archE1100ELNS1_3gpuE3ELNS1_3repE0EEENS1_30default_config_static_selectorELNS0_4arch9wavefront6targetE0EEEvT1_.has_recursion, 0
	.set _ZN7rocprim17ROCPRIM_400000_NS6detail17trampoline_kernelINS0_14default_configENS1_27scan_by_key_config_selectorIj11FixedVectorIiLj4EEEEZZNS1_16scan_by_key_implILNS1_25lookback_scan_determinismE0ELb1ES3_N6thrust23THRUST_200600_302600_NS6detail15normal_iteratorINSB_10device_ptrIjEEEENSD_INSE_IS6_EEEESI_S6_NSB_4plusIvEENSB_8equal_toIvEES6_EE10hipError_tPvRmT2_T3_T4_T5_mT6_T7_P12ihipStream_tbENKUlT_T0_E_clISt17integral_constantIbLb1EES13_EEDaSY_SZ_EUlSY_E_NS1_11comp_targetILNS1_3genE9ELNS1_11target_archE1100ELNS1_3gpuE3ELNS1_3repE0EEENS1_30default_config_static_selectorELNS0_4arch9wavefront6targetE0EEEvT1_.has_indirect_call, 0
	.section	.AMDGPU.csdata,"",@progbits
; Kernel info:
; codeLenInByte = 0
; TotalNumSgprs: 0
; NumVgprs: 0
; ScratchSize: 0
; MemoryBound: 0
; FloatMode: 240
; IeeeMode: 1
; LDSByteSize: 0 bytes/workgroup (compile time only)
; SGPRBlocks: 0
; VGPRBlocks: 0
; NumSGPRsForWavesPerEU: 1
; NumVGPRsForWavesPerEU: 1
; NamedBarCnt: 0
; Occupancy: 16
; WaveLimiterHint : 0
; COMPUTE_PGM_RSRC2:SCRATCH_EN: 0
; COMPUTE_PGM_RSRC2:USER_SGPR: 2
; COMPUTE_PGM_RSRC2:TRAP_HANDLER: 0
; COMPUTE_PGM_RSRC2:TGID_X_EN: 1
; COMPUTE_PGM_RSRC2:TGID_Y_EN: 0
; COMPUTE_PGM_RSRC2:TGID_Z_EN: 0
; COMPUTE_PGM_RSRC2:TIDIG_COMP_CNT: 0
	.section	.text._ZN7rocprim17ROCPRIM_400000_NS6detail17trampoline_kernelINS0_14default_configENS1_27scan_by_key_config_selectorIj11FixedVectorIiLj4EEEEZZNS1_16scan_by_key_implILNS1_25lookback_scan_determinismE0ELb1ES3_N6thrust23THRUST_200600_302600_NS6detail15normal_iteratorINSB_10device_ptrIjEEEENSD_INSE_IS6_EEEESI_S6_NSB_4plusIvEENSB_8equal_toIvEES6_EE10hipError_tPvRmT2_T3_T4_T5_mT6_T7_P12ihipStream_tbENKUlT_T0_E_clISt17integral_constantIbLb1EES13_EEDaSY_SZ_EUlSY_E_NS1_11comp_targetILNS1_3genE8ELNS1_11target_archE1030ELNS1_3gpuE2ELNS1_3repE0EEENS1_30default_config_static_selectorELNS0_4arch9wavefront6targetE0EEEvT1_,"axG",@progbits,_ZN7rocprim17ROCPRIM_400000_NS6detail17trampoline_kernelINS0_14default_configENS1_27scan_by_key_config_selectorIj11FixedVectorIiLj4EEEEZZNS1_16scan_by_key_implILNS1_25lookback_scan_determinismE0ELb1ES3_N6thrust23THRUST_200600_302600_NS6detail15normal_iteratorINSB_10device_ptrIjEEEENSD_INSE_IS6_EEEESI_S6_NSB_4plusIvEENSB_8equal_toIvEES6_EE10hipError_tPvRmT2_T3_T4_T5_mT6_T7_P12ihipStream_tbENKUlT_T0_E_clISt17integral_constantIbLb1EES13_EEDaSY_SZ_EUlSY_E_NS1_11comp_targetILNS1_3genE8ELNS1_11target_archE1030ELNS1_3gpuE2ELNS1_3repE0EEENS1_30default_config_static_selectorELNS0_4arch9wavefront6targetE0EEEvT1_,comdat
	.protected	_ZN7rocprim17ROCPRIM_400000_NS6detail17trampoline_kernelINS0_14default_configENS1_27scan_by_key_config_selectorIj11FixedVectorIiLj4EEEEZZNS1_16scan_by_key_implILNS1_25lookback_scan_determinismE0ELb1ES3_N6thrust23THRUST_200600_302600_NS6detail15normal_iteratorINSB_10device_ptrIjEEEENSD_INSE_IS6_EEEESI_S6_NSB_4plusIvEENSB_8equal_toIvEES6_EE10hipError_tPvRmT2_T3_T4_T5_mT6_T7_P12ihipStream_tbENKUlT_T0_E_clISt17integral_constantIbLb1EES13_EEDaSY_SZ_EUlSY_E_NS1_11comp_targetILNS1_3genE8ELNS1_11target_archE1030ELNS1_3gpuE2ELNS1_3repE0EEENS1_30default_config_static_selectorELNS0_4arch9wavefront6targetE0EEEvT1_ ; -- Begin function _ZN7rocprim17ROCPRIM_400000_NS6detail17trampoline_kernelINS0_14default_configENS1_27scan_by_key_config_selectorIj11FixedVectorIiLj4EEEEZZNS1_16scan_by_key_implILNS1_25lookback_scan_determinismE0ELb1ES3_N6thrust23THRUST_200600_302600_NS6detail15normal_iteratorINSB_10device_ptrIjEEEENSD_INSE_IS6_EEEESI_S6_NSB_4plusIvEENSB_8equal_toIvEES6_EE10hipError_tPvRmT2_T3_T4_T5_mT6_T7_P12ihipStream_tbENKUlT_T0_E_clISt17integral_constantIbLb1EES13_EEDaSY_SZ_EUlSY_E_NS1_11comp_targetILNS1_3genE8ELNS1_11target_archE1030ELNS1_3gpuE2ELNS1_3repE0EEENS1_30default_config_static_selectorELNS0_4arch9wavefront6targetE0EEEvT1_
	.globl	_ZN7rocprim17ROCPRIM_400000_NS6detail17trampoline_kernelINS0_14default_configENS1_27scan_by_key_config_selectorIj11FixedVectorIiLj4EEEEZZNS1_16scan_by_key_implILNS1_25lookback_scan_determinismE0ELb1ES3_N6thrust23THRUST_200600_302600_NS6detail15normal_iteratorINSB_10device_ptrIjEEEENSD_INSE_IS6_EEEESI_S6_NSB_4plusIvEENSB_8equal_toIvEES6_EE10hipError_tPvRmT2_T3_T4_T5_mT6_T7_P12ihipStream_tbENKUlT_T0_E_clISt17integral_constantIbLb1EES13_EEDaSY_SZ_EUlSY_E_NS1_11comp_targetILNS1_3genE8ELNS1_11target_archE1030ELNS1_3gpuE2ELNS1_3repE0EEENS1_30default_config_static_selectorELNS0_4arch9wavefront6targetE0EEEvT1_
	.p2align	8
	.type	_ZN7rocprim17ROCPRIM_400000_NS6detail17trampoline_kernelINS0_14default_configENS1_27scan_by_key_config_selectorIj11FixedVectorIiLj4EEEEZZNS1_16scan_by_key_implILNS1_25lookback_scan_determinismE0ELb1ES3_N6thrust23THRUST_200600_302600_NS6detail15normal_iteratorINSB_10device_ptrIjEEEENSD_INSE_IS6_EEEESI_S6_NSB_4plusIvEENSB_8equal_toIvEES6_EE10hipError_tPvRmT2_T3_T4_T5_mT6_T7_P12ihipStream_tbENKUlT_T0_E_clISt17integral_constantIbLb1EES13_EEDaSY_SZ_EUlSY_E_NS1_11comp_targetILNS1_3genE8ELNS1_11target_archE1030ELNS1_3gpuE2ELNS1_3repE0EEENS1_30default_config_static_selectorELNS0_4arch9wavefront6targetE0EEEvT1_,@function
_ZN7rocprim17ROCPRIM_400000_NS6detail17trampoline_kernelINS0_14default_configENS1_27scan_by_key_config_selectorIj11FixedVectorIiLj4EEEEZZNS1_16scan_by_key_implILNS1_25lookback_scan_determinismE0ELb1ES3_N6thrust23THRUST_200600_302600_NS6detail15normal_iteratorINSB_10device_ptrIjEEEENSD_INSE_IS6_EEEESI_S6_NSB_4plusIvEENSB_8equal_toIvEES6_EE10hipError_tPvRmT2_T3_T4_T5_mT6_T7_P12ihipStream_tbENKUlT_T0_E_clISt17integral_constantIbLb1EES13_EEDaSY_SZ_EUlSY_E_NS1_11comp_targetILNS1_3genE8ELNS1_11target_archE1030ELNS1_3gpuE2ELNS1_3repE0EEENS1_30default_config_static_selectorELNS0_4arch9wavefront6targetE0EEEvT1_: ; @_ZN7rocprim17ROCPRIM_400000_NS6detail17trampoline_kernelINS0_14default_configENS1_27scan_by_key_config_selectorIj11FixedVectorIiLj4EEEEZZNS1_16scan_by_key_implILNS1_25lookback_scan_determinismE0ELb1ES3_N6thrust23THRUST_200600_302600_NS6detail15normal_iteratorINSB_10device_ptrIjEEEENSD_INSE_IS6_EEEESI_S6_NSB_4plusIvEENSB_8equal_toIvEES6_EE10hipError_tPvRmT2_T3_T4_T5_mT6_T7_P12ihipStream_tbENKUlT_T0_E_clISt17integral_constantIbLb1EES13_EEDaSY_SZ_EUlSY_E_NS1_11comp_targetILNS1_3genE8ELNS1_11target_archE1030ELNS1_3gpuE2ELNS1_3repE0EEENS1_30default_config_static_selectorELNS0_4arch9wavefront6targetE0EEEvT1_
; %bb.0:
	.section	.rodata,"a",@progbits
	.p2align	6, 0x0
	.amdhsa_kernel _ZN7rocprim17ROCPRIM_400000_NS6detail17trampoline_kernelINS0_14default_configENS1_27scan_by_key_config_selectorIj11FixedVectorIiLj4EEEEZZNS1_16scan_by_key_implILNS1_25lookback_scan_determinismE0ELb1ES3_N6thrust23THRUST_200600_302600_NS6detail15normal_iteratorINSB_10device_ptrIjEEEENSD_INSE_IS6_EEEESI_S6_NSB_4plusIvEENSB_8equal_toIvEES6_EE10hipError_tPvRmT2_T3_T4_T5_mT6_T7_P12ihipStream_tbENKUlT_T0_E_clISt17integral_constantIbLb1EES13_EEDaSY_SZ_EUlSY_E_NS1_11comp_targetILNS1_3genE8ELNS1_11target_archE1030ELNS1_3gpuE2ELNS1_3repE0EEENS1_30default_config_static_selectorELNS0_4arch9wavefront6targetE0EEEvT1_
		.amdhsa_group_segment_fixed_size 0
		.amdhsa_private_segment_fixed_size 0
		.amdhsa_kernarg_size 144
		.amdhsa_user_sgpr_count 2
		.amdhsa_user_sgpr_dispatch_ptr 0
		.amdhsa_user_sgpr_queue_ptr 0
		.amdhsa_user_sgpr_kernarg_segment_ptr 1
		.amdhsa_user_sgpr_dispatch_id 0
		.amdhsa_user_sgpr_kernarg_preload_length 0
		.amdhsa_user_sgpr_kernarg_preload_offset 0
		.amdhsa_user_sgpr_private_segment_size 0
		.amdhsa_wavefront_size32 1
		.amdhsa_uses_dynamic_stack 0
		.amdhsa_enable_private_segment 0
		.amdhsa_system_sgpr_workgroup_id_x 1
		.amdhsa_system_sgpr_workgroup_id_y 0
		.amdhsa_system_sgpr_workgroup_id_z 0
		.amdhsa_system_sgpr_workgroup_info 0
		.amdhsa_system_vgpr_workitem_id 0
		.amdhsa_next_free_vgpr 1
		.amdhsa_next_free_sgpr 1
		.amdhsa_named_barrier_count 0
		.amdhsa_reserve_vcc 0
		.amdhsa_float_round_mode_32 0
		.amdhsa_float_round_mode_16_64 0
		.amdhsa_float_denorm_mode_32 3
		.amdhsa_float_denorm_mode_16_64 3
		.amdhsa_fp16_overflow 0
		.amdhsa_memory_ordered 1
		.amdhsa_forward_progress 1
		.amdhsa_inst_pref_size 0
		.amdhsa_round_robin_scheduling 0
		.amdhsa_exception_fp_ieee_invalid_op 0
		.amdhsa_exception_fp_denorm_src 0
		.amdhsa_exception_fp_ieee_div_zero 0
		.amdhsa_exception_fp_ieee_overflow 0
		.amdhsa_exception_fp_ieee_underflow 0
		.amdhsa_exception_fp_ieee_inexact 0
		.amdhsa_exception_int_div_zero 0
	.end_amdhsa_kernel
	.section	.text._ZN7rocprim17ROCPRIM_400000_NS6detail17trampoline_kernelINS0_14default_configENS1_27scan_by_key_config_selectorIj11FixedVectorIiLj4EEEEZZNS1_16scan_by_key_implILNS1_25lookback_scan_determinismE0ELb1ES3_N6thrust23THRUST_200600_302600_NS6detail15normal_iteratorINSB_10device_ptrIjEEEENSD_INSE_IS6_EEEESI_S6_NSB_4plusIvEENSB_8equal_toIvEES6_EE10hipError_tPvRmT2_T3_T4_T5_mT6_T7_P12ihipStream_tbENKUlT_T0_E_clISt17integral_constantIbLb1EES13_EEDaSY_SZ_EUlSY_E_NS1_11comp_targetILNS1_3genE8ELNS1_11target_archE1030ELNS1_3gpuE2ELNS1_3repE0EEENS1_30default_config_static_selectorELNS0_4arch9wavefront6targetE0EEEvT1_,"axG",@progbits,_ZN7rocprim17ROCPRIM_400000_NS6detail17trampoline_kernelINS0_14default_configENS1_27scan_by_key_config_selectorIj11FixedVectorIiLj4EEEEZZNS1_16scan_by_key_implILNS1_25lookback_scan_determinismE0ELb1ES3_N6thrust23THRUST_200600_302600_NS6detail15normal_iteratorINSB_10device_ptrIjEEEENSD_INSE_IS6_EEEESI_S6_NSB_4plusIvEENSB_8equal_toIvEES6_EE10hipError_tPvRmT2_T3_T4_T5_mT6_T7_P12ihipStream_tbENKUlT_T0_E_clISt17integral_constantIbLb1EES13_EEDaSY_SZ_EUlSY_E_NS1_11comp_targetILNS1_3genE8ELNS1_11target_archE1030ELNS1_3gpuE2ELNS1_3repE0EEENS1_30default_config_static_selectorELNS0_4arch9wavefront6targetE0EEEvT1_,comdat
.Lfunc_end2092:
	.size	_ZN7rocprim17ROCPRIM_400000_NS6detail17trampoline_kernelINS0_14default_configENS1_27scan_by_key_config_selectorIj11FixedVectorIiLj4EEEEZZNS1_16scan_by_key_implILNS1_25lookback_scan_determinismE0ELb1ES3_N6thrust23THRUST_200600_302600_NS6detail15normal_iteratorINSB_10device_ptrIjEEEENSD_INSE_IS6_EEEESI_S6_NSB_4plusIvEENSB_8equal_toIvEES6_EE10hipError_tPvRmT2_T3_T4_T5_mT6_T7_P12ihipStream_tbENKUlT_T0_E_clISt17integral_constantIbLb1EES13_EEDaSY_SZ_EUlSY_E_NS1_11comp_targetILNS1_3genE8ELNS1_11target_archE1030ELNS1_3gpuE2ELNS1_3repE0EEENS1_30default_config_static_selectorELNS0_4arch9wavefront6targetE0EEEvT1_, .Lfunc_end2092-_ZN7rocprim17ROCPRIM_400000_NS6detail17trampoline_kernelINS0_14default_configENS1_27scan_by_key_config_selectorIj11FixedVectorIiLj4EEEEZZNS1_16scan_by_key_implILNS1_25lookback_scan_determinismE0ELb1ES3_N6thrust23THRUST_200600_302600_NS6detail15normal_iteratorINSB_10device_ptrIjEEEENSD_INSE_IS6_EEEESI_S6_NSB_4plusIvEENSB_8equal_toIvEES6_EE10hipError_tPvRmT2_T3_T4_T5_mT6_T7_P12ihipStream_tbENKUlT_T0_E_clISt17integral_constantIbLb1EES13_EEDaSY_SZ_EUlSY_E_NS1_11comp_targetILNS1_3genE8ELNS1_11target_archE1030ELNS1_3gpuE2ELNS1_3repE0EEENS1_30default_config_static_selectorELNS0_4arch9wavefront6targetE0EEEvT1_
                                        ; -- End function
	.set _ZN7rocprim17ROCPRIM_400000_NS6detail17trampoline_kernelINS0_14default_configENS1_27scan_by_key_config_selectorIj11FixedVectorIiLj4EEEEZZNS1_16scan_by_key_implILNS1_25lookback_scan_determinismE0ELb1ES3_N6thrust23THRUST_200600_302600_NS6detail15normal_iteratorINSB_10device_ptrIjEEEENSD_INSE_IS6_EEEESI_S6_NSB_4plusIvEENSB_8equal_toIvEES6_EE10hipError_tPvRmT2_T3_T4_T5_mT6_T7_P12ihipStream_tbENKUlT_T0_E_clISt17integral_constantIbLb1EES13_EEDaSY_SZ_EUlSY_E_NS1_11comp_targetILNS1_3genE8ELNS1_11target_archE1030ELNS1_3gpuE2ELNS1_3repE0EEENS1_30default_config_static_selectorELNS0_4arch9wavefront6targetE0EEEvT1_.num_vgpr, 0
	.set _ZN7rocprim17ROCPRIM_400000_NS6detail17trampoline_kernelINS0_14default_configENS1_27scan_by_key_config_selectorIj11FixedVectorIiLj4EEEEZZNS1_16scan_by_key_implILNS1_25lookback_scan_determinismE0ELb1ES3_N6thrust23THRUST_200600_302600_NS6detail15normal_iteratorINSB_10device_ptrIjEEEENSD_INSE_IS6_EEEESI_S6_NSB_4plusIvEENSB_8equal_toIvEES6_EE10hipError_tPvRmT2_T3_T4_T5_mT6_T7_P12ihipStream_tbENKUlT_T0_E_clISt17integral_constantIbLb1EES13_EEDaSY_SZ_EUlSY_E_NS1_11comp_targetILNS1_3genE8ELNS1_11target_archE1030ELNS1_3gpuE2ELNS1_3repE0EEENS1_30default_config_static_selectorELNS0_4arch9wavefront6targetE0EEEvT1_.num_agpr, 0
	.set _ZN7rocprim17ROCPRIM_400000_NS6detail17trampoline_kernelINS0_14default_configENS1_27scan_by_key_config_selectorIj11FixedVectorIiLj4EEEEZZNS1_16scan_by_key_implILNS1_25lookback_scan_determinismE0ELb1ES3_N6thrust23THRUST_200600_302600_NS6detail15normal_iteratorINSB_10device_ptrIjEEEENSD_INSE_IS6_EEEESI_S6_NSB_4plusIvEENSB_8equal_toIvEES6_EE10hipError_tPvRmT2_T3_T4_T5_mT6_T7_P12ihipStream_tbENKUlT_T0_E_clISt17integral_constantIbLb1EES13_EEDaSY_SZ_EUlSY_E_NS1_11comp_targetILNS1_3genE8ELNS1_11target_archE1030ELNS1_3gpuE2ELNS1_3repE0EEENS1_30default_config_static_selectorELNS0_4arch9wavefront6targetE0EEEvT1_.numbered_sgpr, 0
	.set _ZN7rocprim17ROCPRIM_400000_NS6detail17trampoline_kernelINS0_14default_configENS1_27scan_by_key_config_selectorIj11FixedVectorIiLj4EEEEZZNS1_16scan_by_key_implILNS1_25lookback_scan_determinismE0ELb1ES3_N6thrust23THRUST_200600_302600_NS6detail15normal_iteratorINSB_10device_ptrIjEEEENSD_INSE_IS6_EEEESI_S6_NSB_4plusIvEENSB_8equal_toIvEES6_EE10hipError_tPvRmT2_T3_T4_T5_mT6_T7_P12ihipStream_tbENKUlT_T0_E_clISt17integral_constantIbLb1EES13_EEDaSY_SZ_EUlSY_E_NS1_11comp_targetILNS1_3genE8ELNS1_11target_archE1030ELNS1_3gpuE2ELNS1_3repE0EEENS1_30default_config_static_selectorELNS0_4arch9wavefront6targetE0EEEvT1_.num_named_barrier, 0
	.set _ZN7rocprim17ROCPRIM_400000_NS6detail17trampoline_kernelINS0_14default_configENS1_27scan_by_key_config_selectorIj11FixedVectorIiLj4EEEEZZNS1_16scan_by_key_implILNS1_25lookback_scan_determinismE0ELb1ES3_N6thrust23THRUST_200600_302600_NS6detail15normal_iteratorINSB_10device_ptrIjEEEENSD_INSE_IS6_EEEESI_S6_NSB_4plusIvEENSB_8equal_toIvEES6_EE10hipError_tPvRmT2_T3_T4_T5_mT6_T7_P12ihipStream_tbENKUlT_T0_E_clISt17integral_constantIbLb1EES13_EEDaSY_SZ_EUlSY_E_NS1_11comp_targetILNS1_3genE8ELNS1_11target_archE1030ELNS1_3gpuE2ELNS1_3repE0EEENS1_30default_config_static_selectorELNS0_4arch9wavefront6targetE0EEEvT1_.private_seg_size, 0
	.set _ZN7rocprim17ROCPRIM_400000_NS6detail17trampoline_kernelINS0_14default_configENS1_27scan_by_key_config_selectorIj11FixedVectorIiLj4EEEEZZNS1_16scan_by_key_implILNS1_25lookback_scan_determinismE0ELb1ES3_N6thrust23THRUST_200600_302600_NS6detail15normal_iteratorINSB_10device_ptrIjEEEENSD_INSE_IS6_EEEESI_S6_NSB_4plusIvEENSB_8equal_toIvEES6_EE10hipError_tPvRmT2_T3_T4_T5_mT6_T7_P12ihipStream_tbENKUlT_T0_E_clISt17integral_constantIbLb1EES13_EEDaSY_SZ_EUlSY_E_NS1_11comp_targetILNS1_3genE8ELNS1_11target_archE1030ELNS1_3gpuE2ELNS1_3repE0EEENS1_30default_config_static_selectorELNS0_4arch9wavefront6targetE0EEEvT1_.uses_vcc, 0
	.set _ZN7rocprim17ROCPRIM_400000_NS6detail17trampoline_kernelINS0_14default_configENS1_27scan_by_key_config_selectorIj11FixedVectorIiLj4EEEEZZNS1_16scan_by_key_implILNS1_25lookback_scan_determinismE0ELb1ES3_N6thrust23THRUST_200600_302600_NS6detail15normal_iteratorINSB_10device_ptrIjEEEENSD_INSE_IS6_EEEESI_S6_NSB_4plusIvEENSB_8equal_toIvEES6_EE10hipError_tPvRmT2_T3_T4_T5_mT6_T7_P12ihipStream_tbENKUlT_T0_E_clISt17integral_constantIbLb1EES13_EEDaSY_SZ_EUlSY_E_NS1_11comp_targetILNS1_3genE8ELNS1_11target_archE1030ELNS1_3gpuE2ELNS1_3repE0EEENS1_30default_config_static_selectorELNS0_4arch9wavefront6targetE0EEEvT1_.uses_flat_scratch, 0
	.set _ZN7rocprim17ROCPRIM_400000_NS6detail17trampoline_kernelINS0_14default_configENS1_27scan_by_key_config_selectorIj11FixedVectorIiLj4EEEEZZNS1_16scan_by_key_implILNS1_25lookback_scan_determinismE0ELb1ES3_N6thrust23THRUST_200600_302600_NS6detail15normal_iteratorINSB_10device_ptrIjEEEENSD_INSE_IS6_EEEESI_S6_NSB_4plusIvEENSB_8equal_toIvEES6_EE10hipError_tPvRmT2_T3_T4_T5_mT6_T7_P12ihipStream_tbENKUlT_T0_E_clISt17integral_constantIbLb1EES13_EEDaSY_SZ_EUlSY_E_NS1_11comp_targetILNS1_3genE8ELNS1_11target_archE1030ELNS1_3gpuE2ELNS1_3repE0EEENS1_30default_config_static_selectorELNS0_4arch9wavefront6targetE0EEEvT1_.has_dyn_sized_stack, 0
	.set _ZN7rocprim17ROCPRIM_400000_NS6detail17trampoline_kernelINS0_14default_configENS1_27scan_by_key_config_selectorIj11FixedVectorIiLj4EEEEZZNS1_16scan_by_key_implILNS1_25lookback_scan_determinismE0ELb1ES3_N6thrust23THRUST_200600_302600_NS6detail15normal_iteratorINSB_10device_ptrIjEEEENSD_INSE_IS6_EEEESI_S6_NSB_4plusIvEENSB_8equal_toIvEES6_EE10hipError_tPvRmT2_T3_T4_T5_mT6_T7_P12ihipStream_tbENKUlT_T0_E_clISt17integral_constantIbLb1EES13_EEDaSY_SZ_EUlSY_E_NS1_11comp_targetILNS1_3genE8ELNS1_11target_archE1030ELNS1_3gpuE2ELNS1_3repE0EEENS1_30default_config_static_selectorELNS0_4arch9wavefront6targetE0EEEvT1_.has_recursion, 0
	.set _ZN7rocprim17ROCPRIM_400000_NS6detail17trampoline_kernelINS0_14default_configENS1_27scan_by_key_config_selectorIj11FixedVectorIiLj4EEEEZZNS1_16scan_by_key_implILNS1_25lookback_scan_determinismE0ELb1ES3_N6thrust23THRUST_200600_302600_NS6detail15normal_iteratorINSB_10device_ptrIjEEEENSD_INSE_IS6_EEEESI_S6_NSB_4plusIvEENSB_8equal_toIvEES6_EE10hipError_tPvRmT2_T3_T4_T5_mT6_T7_P12ihipStream_tbENKUlT_T0_E_clISt17integral_constantIbLb1EES13_EEDaSY_SZ_EUlSY_E_NS1_11comp_targetILNS1_3genE8ELNS1_11target_archE1030ELNS1_3gpuE2ELNS1_3repE0EEENS1_30default_config_static_selectorELNS0_4arch9wavefront6targetE0EEEvT1_.has_indirect_call, 0
	.section	.AMDGPU.csdata,"",@progbits
; Kernel info:
; codeLenInByte = 0
; TotalNumSgprs: 0
; NumVgprs: 0
; ScratchSize: 0
; MemoryBound: 0
; FloatMode: 240
; IeeeMode: 1
; LDSByteSize: 0 bytes/workgroup (compile time only)
; SGPRBlocks: 0
; VGPRBlocks: 0
; NumSGPRsForWavesPerEU: 1
; NumVGPRsForWavesPerEU: 1
; NamedBarCnt: 0
; Occupancy: 16
; WaveLimiterHint : 0
; COMPUTE_PGM_RSRC2:SCRATCH_EN: 0
; COMPUTE_PGM_RSRC2:USER_SGPR: 2
; COMPUTE_PGM_RSRC2:TRAP_HANDLER: 0
; COMPUTE_PGM_RSRC2:TGID_X_EN: 1
; COMPUTE_PGM_RSRC2:TGID_Y_EN: 0
; COMPUTE_PGM_RSRC2:TGID_Z_EN: 0
; COMPUTE_PGM_RSRC2:TIDIG_COMP_CNT: 0
	.section	.text._ZN7rocprim17ROCPRIM_400000_NS6detail17trampoline_kernelINS0_14default_configENS1_27scan_by_key_config_selectorIj11FixedVectorIiLj4EEEEZZNS1_16scan_by_key_implILNS1_25lookback_scan_determinismE0ELb1ES3_N6thrust23THRUST_200600_302600_NS6detail15normal_iteratorINSB_10device_ptrIjEEEENSD_INSE_IS6_EEEESI_S6_NSB_4plusIvEENSB_8equal_toIvEES6_EE10hipError_tPvRmT2_T3_T4_T5_mT6_T7_P12ihipStream_tbENKUlT_T0_E_clISt17integral_constantIbLb1EES12_IbLb0EEEEDaSY_SZ_EUlSY_E_NS1_11comp_targetILNS1_3genE0ELNS1_11target_archE4294967295ELNS1_3gpuE0ELNS1_3repE0EEENS1_30default_config_static_selectorELNS0_4arch9wavefront6targetE0EEEvT1_,"axG",@progbits,_ZN7rocprim17ROCPRIM_400000_NS6detail17trampoline_kernelINS0_14default_configENS1_27scan_by_key_config_selectorIj11FixedVectorIiLj4EEEEZZNS1_16scan_by_key_implILNS1_25lookback_scan_determinismE0ELb1ES3_N6thrust23THRUST_200600_302600_NS6detail15normal_iteratorINSB_10device_ptrIjEEEENSD_INSE_IS6_EEEESI_S6_NSB_4plusIvEENSB_8equal_toIvEES6_EE10hipError_tPvRmT2_T3_T4_T5_mT6_T7_P12ihipStream_tbENKUlT_T0_E_clISt17integral_constantIbLb1EES12_IbLb0EEEEDaSY_SZ_EUlSY_E_NS1_11comp_targetILNS1_3genE0ELNS1_11target_archE4294967295ELNS1_3gpuE0ELNS1_3repE0EEENS1_30default_config_static_selectorELNS0_4arch9wavefront6targetE0EEEvT1_,comdat
	.protected	_ZN7rocprim17ROCPRIM_400000_NS6detail17trampoline_kernelINS0_14default_configENS1_27scan_by_key_config_selectorIj11FixedVectorIiLj4EEEEZZNS1_16scan_by_key_implILNS1_25lookback_scan_determinismE0ELb1ES3_N6thrust23THRUST_200600_302600_NS6detail15normal_iteratorINSB_10device_ptrIjEEEENSD_INSE_IS6_EEEESI_S6_NSB_4plusIvEENSB_8equal_toIvEES6_EE10hipError_tPvRmT2_T3_T4_T5_mT6_T7_P12ihipStream_tbENKUlT_T0_E_clISt17integral_constantIbLb1EES12_IbLb0EEEEDaSY_SZ_EUlSY_E_NS1_11comp_targetILNS1_3genE0ELNS1_11target_archE4294967295ELNS1_3gpuE0ELNS1_3repE0EEENS1_30default_config_static_selectorELNS0_4arch9wavefront6targetE0EEEvT1_ ; -- Begin function _ZN7rocprim17ROCPRIM_400000_NS6detail17trampoline_kernelINS0_14default_configENS1_27scan_by_key_config_selectorIj11FixedVectorIiLj4EEEEZZNS1_16scan_by_key_implILNS1_25lookback_scan_determinismE0ELb1ES3_N6thrust23THRUST_200600_302600_NS6detail15normal_iteratorINSB_10device_ptrIjEEEENSD_INSE_IS6_EEEESI_S6_NSB_4plusIvEENSB_8equal_toIvEES6_EE10hipError_tPvRmT2_T3_T4_T5_mT6_T7_P12ihipStream_tbENKUlT_T0_E_clISt17integral_constantIbLb1EES12_IbLb0EEEEDaSY_SZ_EUlSY_E_NS1_11comp_targetILNS1_3genE0ELNS1_11target_archE4294967295ELNS1_3gpuE0ELNS1_3repE0EEENS1_30default_config_static_selectorELNS0_4arch9wavefront6targetE0EEEvT1_
	.globl	_ZN7rocprim17ROCPRIM_400000_NS6detail17trampoline_kernelINS0_14default_configENS1_27scan_by_key_config_selectorIj11FixedVectorIiLj4EEEEZZNS1_16scan_by_key_implILNS1_25lookback_scan_determinismE0ELb1ES3_N6thrust23THRUST_200600_302600_NS6detail15normal_iteratorINSB_10device_ptrIjEEEENSD_INSE_IS6_EEEESI_S6_NSB_4plusIvEENSB_8equal_toIvEES6_EE10hipError_tPvRmT2_T3_T4_T5_mT6_T7_P12ihipStream_tbENKUlT_T0_E_clISt17integral_constantIbLb1EES12_IbLb0EEEEDaSY_SZ_EUlSY_E_NS1_11comp_targetILNS1_3genE0ELNS1_11target_archE4294967295ELNS1_3gpuE0ELNS1_3repE0EEENS1_30default_config_static_selectorELNS0_4arch9wavefront6targetE0EEEvT1_
	.p2align	8
	.type	_ZN7rocprim17ROCPRIM_400000_NS6detail17trampoline_kernelINS0_14default_configENS1_27scan_by_key_config_selectorIj11FixedVectorIiLj4EEEEZZNS1_16scan_by_key_implILNS1_25lookback_scan_determinismE0ELb1ES3_N6thrust23THRUST_200600_302600_NS6detail15normal_iteratorINSB_10device_ptrIjEEEENSD_INSE_IS6_EEEESI_S6_NSB_4plusIvEENSB_8equal_toIvEES6_EE10hipError_tPvRmT2_T3_T4_T5_mT6_T7_P12ihipStream_tbENKUlT_T0_E_clISt17integral_constantIbLb1EES12_IbLb0EEEEDaSY_SZ_EUlSY_E_NS1_11comp_targetILNS1_3genE0ELNS1_11target_archE4294967295ELNS1_3gpuE0ELNS1_3repE0EEENS1_30default_config_static_selectorELNS0_4arch9wavefront6targetE0EEEvT1_,@function
_ZN7rocprim17ROCPRIM_400000_NS6detail17trampoline_kernelINS0_14default_configENS1_27scan_by_key_config_selectorIj11FixedVectorIiLj4EEEEZZNS1_16scan_by_key_implILNS1_25lookback_scan_determinismE0ELb1ES3_N6thrust23THRUST_200600_302600_NS6detail15normal_iteratorINSB_10device_ptrIjEEEENSD_INSE_IS6_EEEESI_S6_NSB_4plusIvEENSB_8equal_toIvEES6_EE10hipError_tPvRmT2_T3_T4_T5_mT6_T7_P12ihipStream_tbENKUlT_T0_E_clISt17integral_constantIbLb1EES12_IbLb0EEEEDaSY_SZ_EUlSY_E_NS1_11comp_targetILNS1_3genE0ELNS1_11target_archE4294967295ELNS1_3gpuE0ELNS1_3repE0EEENS1_30default_config_static_selectorELNS0_4arch9wavefront6targetE0EEEvT1_: ; @_ZN7rocprim17ROCPRIM_400000_NS6detail17trampoline_kernelINS0_14default_configENS1_27scan_by_key_config_selectorIj11FixedVectorIiLj4EEEEZZNS1_16scan_by_key_implILNS1_25lookback_scan_determinismE0ELb1ES3_N6thrust23THRUST_200600_302600_NS6detail15normal_iteratorINSB_10device_ptrIjEEEENSD_INSE_IS6_EEEESI_S6_NSB_4plusIvEENSB_8equal_toIvEES6_EE10hipError_tPvRmT2_T3_T4_T5_mT6_T7_P12ihipStream_tbENKUlT_T0_E_clISt17integral_constantIbLb1EES12_IbLb0EEEEDaSY_SZ_EUlSY_E_NS1_11comp_targetILNS1_3genE0ELNS1_11target_archE4294967295ELNS1_3gpuE0ELNS1_3repE0EEENS1_30default_config_static_selectorELNS0_4arch9wavefront6targetE0EEEvT1_
; %bb.0:
	s_endpgm
	.section	.rodata,"a",@progbits
	.p2align	6, 0x0
	.amdhsa_kernel _ZN7rocprim17ROCPRIM_400000_NS6detail17trampoline_kernelINS0_14default_configENS1_27scan_by_key_config_selectorIj11FixedVectorIiLj4EEEEZZNS1_16scan_by_key_implILNS1_25lookback_scan_determinismE0ELb1ES3_N6thrust23THRUST_200600_302600_NS6detail15normal_iteratorINSB_10device_ptrIjEEEENSD_INSE_IS6_EEEESI_S6_NSB_4plusIvEENSB_8equal_toIvEES6_EE10hipError_tPvRmT2_T3_T4_T5_mT6_T7_P12ihipStream_tbENKUlT_T0_E_clISt17integral_constantIbLb1EES12_IbLb0EEEEDaSY_SZ_EUlSY_E_NS1_11comp_targetILNS1_3genE0ELNS1_11target_archE4294967295ELNS1_3gpuE0ELNS1_3repE0EEENS1_30default_config_static_selectorELNS0_4arch9wavefront6targetE0EEEvT1_
		.amdhsa_group_segment_fixed_size 0
		.amdhsa_private_segment_fixed_size 0
		.amdhsa_kernarg_size 144
		.amdhsa_user_sgpr_count 2
		.amdhsa_user_sgpr_dispatch_ptr 0
		.amdhsa_user_sgpr_queue_ptr 0
		.amdhsa_user_sgpr_kernarg_segment_ptr 1
		.amdhsa_user_sgpr_dispatch_id 0
		.amdhsa_user_sgpr_kernarg_preload_length 0
		.amdhsa_user_sgpr_kernarg_preload_offset 0
		.amdhsa_user_sgpr_private_segment_size 0
		.amdhsa_wavefront_size32 1
		.amdhsa_uses_dynamic_stack 0
		.amdhsa_enable_private_segment 0
		.amdhsa_system_sgpr_workgroup_id_x 1
		.amdhsa_system_sgpr_workgroup_id_y 0
		.amdhsa_system_sgpr_workgroup_id_z 0
		.amdhsa_system_sgpr_workgroup_info 0
		.amdhsa_system_vgpr_workitem_id 0
		.amdhsa_next_free_vgpr 1
		.amdhsa_next_free_sgpr 1
		.amdhsa_named_barrier_count 0
		.amdhsa_reserve_vcc 0
		.amdhsa_float_round_mode_32 0
		.amdhsa_float_round_mode_16_64 0
		.amdhsa_float_denorm_mode_32 3
		.amdhsa_float_denorm_mode_16_64 3
		.amdhsa_fp16_overflow 0
		.amdhsa_memory_ordered 1
		.amdhsa_forward_progress 1
		.amdhsa_inst_pref_size 1
		.amdhsa_round_robin_scheduling 0
		.amdhsa_exception_fp_ieee_invalid_op 0
		.amdhsa_exception_fp_denorm_src 0
		.amdhsa_exception_fp_ieee_div_zero 0
		.amdhsa_exception_fp_ieee_overflow 0
		.amdhsa_exception_fp_ieee_underflow 0
		.amdhsa_exception_fp_ieee_inexact 0
		.amdhsa_exception_int_div_zero 0
	.end_amdhsa_kernel
	.section	.text._ZN7rocprim17ROCPRIM_400000_NS6detail17trampoline_kernelINS0_14default_configENS1_27scan_by_key_config_selectorIj11FixedVectorIiLj4EEEEZZNS1_16scan_by_key_implILNS1_25lookback_scan_determinismE0ELb1ES3_N6thrust23THRUST_200600_302600_NS6detail15normal_iteratorINSB_10device_ptrIjEEEENSD_INSE_IS6_EEEESI_S6_NSB_4plusIvEENSB_8equal_toIvEES6_EE10hipError_tPvRmT2_T3_T4_T5_mT6_T7_P12ihipStream_tbENKUlT_T0_E_clISt17integral_constantIbLb1EES12_IbLb0EEEEDaSY_SZ_EUlSY_E_NS1_11comp_targetILNS1_3genE0ELNS1_11target_archE4294967295ELNS1_3gpuE0ELNS1_3repE0EEENS1_30default_config_static_selectorELNS0_4arch9wavefront6targetE0EEEvT1_,"axG",@progbits,_ZN7rocprim17ROCPRIM_400000_NS6detail17trampoline_kernelINS0_14default_configENS1_27scan_by_key_config_selectorIj11FixedVectorIiLj4EEEEZZNS1_16scan_by_key_implILNS1_25lookback_scan_determinismE0ELb1ES3_N6thrust23THRUST_200600_302600_NS6detail15normal_iteratorINSB_10device_ptrIjEEEENSD_INSE_IS6_EEEESI_S6_NSB_4plusIvEENSB_8equal_toIvEES6_EE10hipError_tPvRmT2_T3_T4_T5_mT6_T7_P12ihipStream_tbENKUlT_T0_E_clISt17integral_constantIbLb1EES12_IbLb0EEEEDaSY_SZ_EUlSY_E_NS1_11comp_targetILNS1_3genE0ELNS1_11target_archE4294967295ELNS1_3gpuE0ELNS1_3repE0EEENS1_30default_config_static_selectorELNS0_4arch9wavefront6targetE0EEEvT1_,comdat
.Lfunc_end2093:
	.size	_ZN7rocprim17ROCPRIM_400000_NS6detail17trampoline_kernelINS0_14default_configENS1_27scan_by_key_config_selectorIj11FixedVectorIiLj4EEEEZZNS1_16scan_by_key_implILNS1_25lookback_scan_determinismE0ELb1ES3_N6thrust23THRUST_200600_302600_NS6detail15normal_iteratorINSB_10device_ptrIjEEEENSD_INSE_IS6_EEEESI_S6_NSB_4plusIvEENSB_8equal_toIvEES6_EE10hipError_tPvRmT2_T3_T4_T5_mT6_T7_P12ihipStream_tbENKUlT_T0_E_clISt17integral_constantIbLb1EES12_IbLb0EEEEDaSY_SZ_EUlSY_E_NS1_11comp_targetILNS1_3genE0ELNS1_11target_archE4294967295ELNS1_3gpuE0ELNS1_3repE0EEENS1_30default_config_static_selectorELNS0_4arch9wavefront6targetE0EEEvT1_, .Lfunc_end2093-_ZN7rocprim17ROCPRIM_400000_NS6detail17trampoline_kernelINS0_14default_configENS1_27scan_by_key_config_selectorIj11FixedVectorIiLj4EEEEZZNS1_16scan_by_key_implILNS1_25lookback_scan_determinismE0ELb1ES3_N6thrust23THRUST_200600_302600_NS6detail15normal_iteratorINSB_10device_ptrIjEEEENSD_INSE_IS6_EEEESI_S6_NSB_4plusIvEENSB_8equal_toIvEES6_EE10hipError_tPvRmT2_T3_T4_T5_mT6_T7_P12ihipStream_tbENKUlT_T0_E_clISt17integral_constantIbLb1EES12_IbLb0EEEEDaSY_SZ_EUlSY_E_NS1_11comp_targetILNS1_3genE0ELNS1_11target_archE4294967295ELNS1_3gpuE0ELNS1_3repE0EEENS1_30default_config_static_selectorELNS0_4arch9wavefront6targetE0EEEvT1_
                                        ; -- End function
	.set _ZN7rocprim17ROCPRIM_400000_NS6detail17trampoline_kernelINS0_14default_configENS1_27scan_by_key_config_selectorIj11FixedVectorIiLj4EEEEZZNS1_16scan_by_key_implILNS1_25lookback_scan_determinismE0ELb1ES3_N6thrust23THRUST_200600_302600_NS6detail15normal_iteratorINSB_10device_ptrIjEEEENSD_INSE_IS6_EEEESI_S6_NSB_4plusIvEENSB_8equal_toIvEES6_EE10hipError_tPvRmT2_T3_T4_T5_mT6_T7_P12ihipStream_tbENKUlT_T0_E_clISt17integral_constantIbLb1EES12_IbLb0EEEEDaSY_SZ_EUlSY_E_NS1_11comp_targetILNS1_3genE0ELNS1_11target_archE4294967295ELNS1_3gpuE0ELNS1_3repE0EEENS1_30default_config_static_selectorELNS0_4arch9wavefront6targetE0EEEvT1_.num_vgpr, 0
	.set _ZN7rocprim17ROCPRIM_400000_NS6detail17trampoline_kernelINS0_14default_configENS1_27scan_by_key_config_selectorIj11FixedVectorIiLj4EEEEZZNS1_16scan_by_key_implILNS1_25lookback_scan_determinismE0ELb1ES3_N6thrust23THRUST_200600_302600_NS6detail15normal_iteratorINSB_10device_ptrIjEEEENSD_INSE_IS6_EEEESI_S6_NSB_4plusIvEENSB_8equal_toIvEES6_EE10hipError_tPvRmT2_T3_T4_T5_mT6_T7_P12ihipStream_tbENKUlT_T0_E_clISt17integral_constantIbLb1EES12_IbLb0EEEEDaSY_SZ_EUlSY_E_NS1_11comp_targetILNS1_3genE0ELNS1_11target_archE4294967295ELNS1_3gpuE0ELNS1_3repE0EEENS1_30default_config_static_selectorELNS0_4arch9wavefront6targetE0EEEvT1_.num_agpr, 0
	.set _ZN7rocprim17ROCPRIM_400000_NS6detail17trampoline_kernelINS0_14default_configENS1_27scan_by_key_config_selectorIj11FixedVectorIiLj4EEEEZZNS1_16scan_by_key_implILNS1_25lookback_scan_determinismE0ELb1ES3_N6thrust23THRUST_200600_302600_NS6detail15normal_iteratorINSB_10device_ptrIjEEEENSD_INSE_IS6_EEEESI_S6_NSB_4plusIvEENSB_8equal_toIvEES6_EE10hipError_tPvRmT2_T3_T4_T5_mT6_T7_P12ihipStream_tbENKUlT_T0_E_clISt17integral_constantIbLb1EES12_IbLb0EEEEDaSY_SZ_EUlSY_E_NS1_11comp_targetILNS1_3genE0ELNS1_11target_archE4294967295ELNS1_3gpuE0ELNS1_3repE0EEENS1_30default_config_static_selectorELNS0_4arch9wavefront6targetE0EEEvT1_.numbered_sgpr, 0
	.set _ZN7rocprim17ROCPRIM_400000_NS6detail17trampoline_kernelINS0_14default_configENS1_27scan_by_key_config_selectorIj11FixedVectorIiLj4EEEEZZNS1_16scan_by_key_implILNS1_25lookback_scan_determinismE0ELb1ES3_N6thrust23THRUST_200600_302600_NS6detail15normal_iteratorINSB_10device_ptrIjEEEENSD_INSE_IS6_EEEESI_S6_NSB_4plusIvEENSB_8equal_toIvEES6_EE10hipError_tPvRmT2_T3_T4_T5_mT6_T7_P12ihipStream_tbENKUlT_T0_E_clISt17integral_constantIbLb1EES12_IbLb0EEEEDaSY_SZ_EUlSY_E_NS1_11comp_targetILNS1_3genE0ELNS1_11target_archE4294967295ELNS1_3gpuE0ELNS1_3repE0EEENS1_30default_config_static_selectorELNS0_4arch9wavefront6targetE0EEEvT1_.num_named_barrier, 0
	.set _ZN7rocprim17ROCPRIM_400000_NS6detail17trampoline_kernelINS0_14default_configENS1_27scan_by_key_config_selectorIj11FixedVectorIiLj4EEEEZZNS1_16scan_by_key_implILNS1_25lookback_scan_determinismE0ELb1ES3_N6thrust23THRUST_200600_302600_NS6detail15normal_iteratorINSB_10device_ptrIjEEEENSD_INSE_IS6_EEEESI_S6_NSB_4plusIvEENSB_8equal_toIvEES6_EE10hipError_tPvRmT2_T3_T4_T5_mT6_T7_P12ihipStream_tbENKUlT_T0_E_clISt17integral_constantIbLb1EES12_IbLb0EEEEDaSY_SZ_EUlSY_E_NS1_11comp_targetILNS1_3genE0ELNS1_11target_archE4294967295ELNS1_3gpuE0ELNS1_3repE0EEENS1_30default_config_static_selectorELNS0_4arch9wavefront6targetE0EEEvT1_.private_seg_size, 0
	.set _ZN7rocprim17ROCPRIM_400000_NS6detail17trampoline_kernelINS0_14default_configENS1_27scan_by_key_config_selectorIj11FixedVectorIiLj4EEEEZZNS1_16scan_by_key_implILNS1_25lookback_scan_determinismE0ELb1ES3_N6thrust23THRUST_200600_302600_NS6detail15normal_iteratorINSB_10device_ptrIjEEEENSD_INSE_IS6_EEEESI_S6_NSB_4plusIvEENSB_8equal_toIvEES6_EE10hipError_tPvRmT2_T3_T4_T5_mT6_T7_P12ihipStream_tbENKUlT_T0_E_clISt17integral_constantIbLb1EES12_IbLb0EEEEDaSY_SZ_EUlSY_E_NS1_11comp_targetILNS1_3genE0ELNS1_11target_archE4294967295ELNS1_3gpuE0ELNS1_3repE0EEENS1_30default_config_static_selectorELNS0_4arch9wavefront6targetE0EEEvT1_.uses_vcc, 0
	.set _ZN7rocprim17ROCPRIM_400000_NS6detail17trampoline_kernelINS0_14default_configENS1_27scan_by_key_config_selectorIj11FixedVectorIiLj4EEEEZZNS1_16scan_by_key_implILNS1_25lookback_scan_determinismE0ELb1ES3_N6thrust23THRUST_200600_302600_NS6detail15normal_iteratorINSB_10device_ptrIjEEEENSD_INSE_IS6_EEEESI_S6_NSB_4plusIvEENSB_8equal_toIvEES6_EE10hipError_tPvRmT2_T3_T4_T5_mT6_T7_P12ihipStream_tbENKUlT_T0_E_clISt17integral_constantIbLb1EES12_IbLb0EEEEDaSY_SZ_EUlSY_E_NS1_11comp_targetILNS1_3genE0ELNS1_11target_archE4294967295ELNS1_3gpuE0ELNS1_3repE0EEENS1_30default_config_static_selectorELNS0_4arch9wavefront6targetE0EEEvT1_.uses_flat_scratch, 0
	.set _ZN7rocprim17ROCPRIM_400000_NS6detail17trampoline_kernelINS0_14default_configENS1_27scan_by_key_config_selectorIj11FixedVectorIiLj4EEEEZZNS1_16scan_by_key_implILNS1_25lookback_scan_determinismE0ELb1ES3_N6thrust23THRUST_200600_302600_NS6detail15normal_iteratorINSB_10device_ptrIjEEEENSD_INSE_IS6_EEEESI_S6_NSB_4plusIvEENSB_8equal_toIvEES6_EE10hipError_tPvRmT2_T3_T4_T5_mT6_T7_P12ihipStream_tbENKUlT_T0_E_clISt17integral_constantIbLb1EES12_IbLb0EEEEDaSY_SZ_EUlSY_E_NS1_11comp_targetILNS1_3genE0ELNS1_11target_archE4294967295ELNS1_3gpuE0ELNS1_3repE0EEENS1_30default_config_static_selectorELNS0_4arch9wavefront6targetE0EEEvT1_.has_dyn_sized_stack, 0
	.set _ZN7rocprim17ROCPRIM_400000_NS6detail17trampoline_kernelINS0_14default_configENS1_27scan_by_key_config_selectorIj11FixedVectorIiLj4EEEEZZNS1_16scan_by_key_implILNS1_25lookback_scan_determinismE0ELb1ES3_N6thrust23THRUST_200600_302600_NS6detail15normal_iteratorINSB_10device_ptrIjEEEENSD_INSE_IS6_EEEESI_S6_NSB_4plusIvEENSB_8equal_toIvEES6_EE10hipError_tPvRmT2_T3_T4_T5_mT6_T7_P12ihipStream_tbENKUlT_T0_E_clISt17integral_constantIbLb1EES12_IbLb0EEEEDaSY_SZ_EUlSY_E_NS1_11comp_targetILNS1_3genE0ELNS1_11target_archE4294967295ELNS1_3gpuE0ELNS1_3repE0EEENS1_30default_config_static_selectorELNS0_4arch9wavefront6targetE0EEEvT1_.has_recursion, 0
	.set _ZN7rocprim17ROCPRIM_400000_NS6detail17trampoline_kernelINS0_14default_configENS1_27scan_by_key_config_selectorIj11FixedVectorIiLj4EEEEZZNS1_16scan_by_key_implILNS1_25lookback_scan_determinismE0ELb1ES3_N6thrust23THRUST_200600_302600_NS6detail15normal_iteratorINSB_10device_ptrIjEEEENSD_INSE_IS6_EEEESI_S6_NSB_4plusIvEENSB_8equal_toIvEES6_EE10hipError_tPvRmT2_T3_T4_T5_mT6_T7_P12ihipStream_tbENKUlT_T0_E_clISt17integral_constantIbLb1EES12_IbLb0EEEEDaSY_SZ_EUlSY_E_NS1_11comp_targetILNS1_3genE0ELNS1_11target_archE4294967295ELNS1_3gpuE0ELNS1_3repE0EEENS1_30default_config_static_selectorELNS0_4arch9wavefront6targetE0EEEvT1_.has_indirect_call, 0
	.section	.AMDGPU.csdata,"",@progbits
; Kernel info:
; codeLenInByte = 4
; TotalNumSgprs: 0
; NumVgprs: 0
; ScratchSize: 0
; MemoryBound: 0
; FloatMode: 240
; IeeeMode: 1
; LDSByteSize: 0 bytes/workgroup (compile time only)
; SGPRBlocks: 0
; VGPRBlocks: 0
; NumSGPRsForWavesPerEU: 1
; NumVGPRsForWavesPerEU: 1
; NamedBarCnt: 0
; Occupancy: 16
; WaveLimiterHint : 0
; COMPUTE_PGM_RSRC2:SCRATCH_EN: 0
; COMPUTE_PGM_RSRC2:USER_SGPR: 2
; COMPUTE_PGM_RSRC2:TRAP_HANDLER: 0
; COMPUTE_PGM_RSRC2:TGID_X_EN: 1
; COMPUTE_PGM_RSRC2:TGID_Y_EN: 0
; COMPUTE_PGM_RSRC2:TGID_Z_EN: 0
; COMPUTE_PGM_RSRC2:TIDIG_COMP_CNT: 0
	.section	.text._ZN7rocprim17ROCPRIM_400000_NS6detail17trampoline_kernelINS0_14default_configENS1_27scan_by_key_config_selectorIj11FixedVectorIiLj4EEEEZZNS1_16scan_by_key_implILNS1_25lookback_scan_determinismE0ELb1ES3_N6thrust23THRUST_200600_302600_NS6detail15normal_iteratorINSB_10device_ptrIjEEEENSD_INSE_IS6_EEEESI_S6_NSB_4plusIvEENSB_8equal_toIvEES6_EE10hipError_tPvRmT2_T3_T4_T5_mT6_T7_P12ihipStream_tbENKUlT_T0_E_clISt17integral_constantIbLb1EES12_IbLb0EEEEDaSY_SZ_EUlSY_E_NS1_11comp_targetILNS1_3genE10ELNS1_11target_archE1201ELNS1_3gpuE5ELNS1_3repE0EEENS1_30default_config_static_selectorELNS0_4arch9wavefront6targetE0EEEvT1_,"axG",@progbits,_ZN7rocprim17ROCPRIM_400000_NS6detail17trampoline_kernelINS0_14default_configENS1_27scan_by_key_config_selectorIj11FixedVectorIiLj4EEEEZZNS1_16scan_by_key_implILNS1_25lookback_scan_determinismE0ELb1ES3_N6thrust23THRUST_200600_302600_NS6detail15normal_iteratorINSB_10device_ptrIjEEEENSD_INSE_IS6_EEEESI_S6_NSB_4plusIvEENSB_8equal_toIvEES6_EE10hipError_tPvRmT2_T3_T4_T5_mT6_T7_P12ihipStream_tbENKUlT_T0_E_clISt17integral_constantIbLb1EES12_IbLb0EEEEDaSY_SZ_EUlSY_E_NS1_11comp_targetILNS1_3genE10ELNS1_11target_archE1201ELNS1_3gpuE5ELNS1_3repE0EEENS1_30default_config_static_selectorELNS0_4arch9wavefront6targetE0EEEvT1_,comdat
	.protected	_ZN7rocprim17ROCPRIM_400000_NS6detail17trampoline_kernelINS0_14default_configENS1_27scan_by_key_config_selectorIj11FixedVectorIiLj4EEEEZZNS1_16scan_by_key_implILNS1_25lookback_scan_determinismE0ELb1ES3_N6thrust23THRUST_200600_302600_NS6detail15normal_iteratorINSB_10device_ptrIjEEEENSD_INSE_IS6_EEEESI_S6_NSB_4plusIvEENSB_8equal_toIvEES6_EE10hipError_tPvRmT2_T3_T4_T5_mT6_T7_P12ihipStream_tbENKUlT_T0_E_clISt17integral_constantIbLb1EES12_IbLb0EEEEDaSY_SZ_EUlSY_E_NS1_11comp_targetILNS1_3genE10ELNS1_11target_archE1201ELNS1_3gpuE5ELNS1_3repE0EEENS1_30default_config_static_selectorELNS0_4arch9wavefront6targetE0EEEvT1_ ; -- Begin function _ZN7rocprim17ROCPRIM_400000_NS6detail17trampoline_kernelINS0_14default_configENS1_27scan_by_key_config_selectorIj11FixedVectorIiLj4EEEEZZNS1_16scan_by_key_implILNS1_25lookback_scan_determinismE0ELb1ES3_N6thrust23THRUST_200600_302600_NS6detail15normal_iteratorINSB_10device_ptrIjEEEENSD_INSE_IS6_EEEESI_S6_NSB_4plusIvEENSB_8equal_toIvEES6_EE10hipError_tPvRmT2_T3_T4_T5_mT6_T7_P12ihipStream_tbENKUlT_T0_E_clISt17integral_constantIbLb1EES12_IbLb0EEEEDaSY_SZ_EUlSY_E_NS1_11comp_targetILNS1_3genE10ELNS1_11target_archE1201ELNS1_3gpuE5ELNS1_3repE0EEENS1_30default_config_static_selectorELNS0_4arch9wavefront6targetE0EEEvT1_
	.globl	_ZN7rocprim17ROCPRIM_400000_NS6detail17trampoline_kernelINS0_14default_configENS1_27scan_by_key_config_selectorIj11FixedVectorIiLj4EEEEZZNS1_16scan_by_key_implILNS1_25lookback_scan_determinismE0ELb1ES3_N6thrust23THRUST_200600_302600_NS6detail15normal_iteratorINSB_10device_ptrIjEEEENSD_INSE_IS6_EEEESI_S6_NSB_4plusIvEENSB_8equal_toIvEES6_EE10hipError_tPvRmT2_T3_T4_T5_mT6_T7_P12ihipStream_tbENKUlT_T0_E_clISt17integral_constantIbLb1EES12_IbLb0EEEEDaSY_SZ_EUlSY_E_NS1_11comp_targetILNS1_3genE10ELNS1_11target_archE1201ELNS1_3gpuE5ELNS1_3repE0EEENS1_30default_config_static_selectorELNS0_4arch9wavefront6targetE0EEEvT1_
	.p2align	8
	.type	_ZN7rocprim17ROCPRIM_400000_NS6detail17trampoline_kernelINS0_14default_configENS1_27scan_by_key_config_selectorIj11FixedVectorIiLj4EEEEZZNS1_16scan_by_key_implILNS1_25lookback_scan_determinismE0ELb1ES3_N6thrust23THRUST_200600_302600_NS6detail15normal_iteratorINSB_10device_ptrIjEEEENSD_INSE_IS6_EEEESI_S6_NSB_4plusIvEENSB_8equal_toIvEES6_EE10hipError_tPvRmT2_T3_T4_T5_mT6_T7_P12ihipStream_tbENKUlT_T0_E_clISt17integral_constantIbLb1EES12_IbLb0EEEEDaSY_SZ_EUlSY_E_NS1_11comp_targetILNS1_3genE10ELNS1_11target_archE1201ELNS1_3gpuE5ELNS1_3repE0EEENS1_30default_config_static_selectorELNS0_4arch9wavefront6targetE0EEEvT1_,@function
_ZN7rocprim17ROCPRIM_400000_NS6detail17trampoline_kernelINS0_14default_configENS1_27scan_by_key_config_selectorIj11FixedVectorIiLj4EEEEZZNS1_16scan_by_key_implILNS1_25lookback_scan_determinismE0ELb1ES3_N6thrust23THRUST_200600_302600_NS6detail15normal_iteratorINSB_10device_ptrIjEEEENSD_INSE_IS6_EEEESI_S6_NSB_4plusIvEENSB_8equal_toIvEES6_EE10hipError_tPvRmT2_T3_T4_T5_mT6_T7_P12ihipStream_tbENKUlT_T0_E_clISt17integral_constantIbLb1EES12_IbLb0EEEEDaSY_SZ_EUlSY_E_NS1_11comp_targetILNS1_3genE10ELNS1_11target_archE1201ELNS1_3gpuE5ELNS1_3repE0EEENS1_30default_config_static_selectorELNS0_4arch9wavefront6targetE0EEEvT1_: ; @_ZN7rocprim17ROCPRIM_400000_NS6detail17trampoline_kernelINS0_14default_configENS1_27scan_by_key_config_selectorIj11FixedVectorIiLj4EEEEZZNS1_16scan_by_key_implILNS1_25lookback_scan_determinismE0ELb1ES3_N6thrust23THRUST_200600_302600_NS6detail15normal_iteratorINSB_10device_ptrIjEEEENSD_INSE_IS6_EEEESI_S6_NSB_4plusIvEENSB_8equal_toIvEES6_EE10hipError_tPvRmT2_T3_T4_T5_mT6_T7_P12ihipStream_tbENKUlT_T0_E_clISt17integral_constantIbLb1EES12_IbLb0EEEEDaSY_SZ_EUlSY_E_NS1_11comp_targetILNS1_3genE10ELNS1_11target_archE1201ELNS1_3gpuE5ELNS1_3repE0EEENS1_30default_config_static_selectorELNS0_4arch9wavefront6targetE0EEEvT1_
; %bb.0:
	.section	.rodata,"a",@progbits
	.p2align	6, 0x0
	.amdhsa_kernel _ZN7rocprim17ROCPRIM_400000_NS6detail17trampoline_kernelINS0_14default_configENS1_27scan_by_key_config_selectorIj11FixedVectorIiLj4EEEEZZNS1_16scan_by_key_implILNS1_25lookback_scan_determinismE0ELb1ES3_N6thrust23THRUST_200600_302600_NS6detail15normal_iteratorINSB_10device_ptrIjEEEENSD_INSE_IS6_EEEESI_S6_NSB_4plusIvEENSB_8equal_toIvEES6_EE10hipError_tPvRmT2_T3_T4_T5_mT6_T7_P12ihipStream_tbENKUlT_T0_E_clISt17integral_constantIbLb1EES12_IbLb0EEEEDaSY_SZ_EUlSY_E_NS1_11comp_targetILNS1_3genE10ELNS1_11target_archE1201ELNS1_3gpuE5ELNS1_3repE0EEENS1_30default_config_static_selectorELNS0_4arch9wavefront6targetE0EEEvT1_
		.amdhsa_group_segment_fixed_size 0
		.amdhsa_private_segment_fixed_size 0
		.amdhsa_kernarg_size 144
		.amdhsa_user_sgpr_count 2
		.amdhsa_user_sgpr_dispatch_ptr 0
		.amdhsa_user_sgpr_queue_ptr 0
		.amdhsa_user_sgpr_kernarg_segment_ptr 1
		.amdhsa_user_sgpr_dispatch_id 0
		.amdhsa_user_sgpr_kernarg_preload_length 0
		.amdhsa_user_sgpr_kernarg_preload_offset 0
		.amdhsa_user_sgpr_private_segment_size 0
		.amdhsa_wavefront_size32 1
		.amdhsa_uses_dynamic_stack 0
		.amdhsa_enable_private_segment 0
		.amdhsa_system_sgpr_workgroup_id_x 1
		.amdhsa_system_sgpr_workgroup_id_y 0
		.amdhsa_system_sgpr_workgroup_id_z 0
		.amdhsa_system_sgpr_workgroup_info 0
		.amdhsa_system_vgpr_workitem_id 0
		.amdhsa_next_free_vgpr 1
		.amdhsa_next_free_sgpr 1
		.amdhsa_named_barrier_count 0
		.amdhsa_reserve_vcc 0
		.amdhsa_float_round_mode_32 0
		.amdhsa_float_round_mode_16_64 0
		.amdhsa_float_denorm_mode_32 3
		.amdhsa_float_denorm_mode_16_64 3
		.amdhsa_fp16_overflow 0
		.amdhsa_memory_ordered 1
		.amdhsa_forward_progress 1
		.amdhsa_inst_pref_size 0
		.amdhsa_round_robin_scheduling 0
		.amdhsa_exception_fp_ieee_invalid_op 0
		.amdhsa_exception_fp_denorm_src 0
		.amdhsa_exception_fp_ieee_div_zero 0
		.amdhsa_exception_fp_ieee_overflow 0
		.amdhsa_exception_fp_ieee_underflow 0
		.amdhsa_exception_fp_ieee_inexact 0
		.amdhsa_exception_int_div_zero 0
	.end_amdhsa_kernel
	.section	.text._ZN7rocprim17ROCPRIM_400000_NS6detail17trampoline_kernelINS0_14default_configENS1_27scan_by_key_config_selectorIj11FixedVectorIiLj4EEEEZZNS1_16scan_by_key_implILNS1_25lookback_scan_determinismE0ELb1ES3_N6thrust23THRUST_200600_302600_NS6detail15normal_iteratorINSB_10device_ptrIjEEEENSD_INSE_IS6_EEEESI_S6_NSB_4plusIvEENSB_8equal_toIvEES6_EE10hipError_tPvRmT2_T3_T4_T5_mT6_T7_P12ihipStream_tbENKUlT_T0_E_clISt17integral_constantIbLb1EES12_IbLb0EEEEDaSY_SZ_EUlSY_E_NS1_11comp_targetILNS1_3genE10ELNS1_11target_archE1201ELNS1_3gpuE5ELNS1_3repE0EEENS1_30default_config_static_selectorELNS0_4arch9wavefront6targetE0EEEvT1_,"axG",@progbits,_ZN7rocprim17ROCPRIM_400000_NS6detail17trampoline_kernelINS0_14default_configENS1_27scan_by_key_config_selectorIj11FixedVectorIiLj4EEEEZZNS1_16scan_by_key_implILNS1_25lookback_scan_determinismE0ELb1ES3_N6thrust23THRUST_200600_302600_NS6detail15normal_iteratorINSB_10device_ptrIjEEEENSD_INSE_IS6_EEEESI_S6_NSB_4plusIvEENSB_8equal_toIvEES6_EE10hipError_tPvRmT2_T3_T4_T5_mT6_T7_P12ihipStream_tbENKUlT_T0_E_clISt17integral_constantIbLb1EES12_IbLb0EEEEDaSY_SZ_EUlSY_E_NS1_11comp_targetILNS1_3genE10ELNS1_11target_archE1201ELNS1_3gpuE5ELNS1_3repE0EEENS1_30default_config_static_selectorELNS0_4arch9wavefront6targetE0EEEvT1_,comdat
.Lfunc_end2094:
	.size	_ZN7rocprim17ROCPRIM_400000_NS6detail17trampoline_kernelINS0_14default_configENS1_27scan_by_key_config_selectorIj11FixedVectorIiLj4EEEEZZNS1_16scan_by_key_implILNS1_25lookback_scan_determinismE0ELb1ES3_N6thrust23THRUST_200600_302600_NS6detail15normal_iteratorINSB_10device_ptrIjEEEENSD_INSE_IS6_EEEESI_S6_NSB_4plusIvEENSB_8equal_toIvEES6_EE10hipError_tPvRmT2_T3_T4_T5_mT6_T7_P12ihipStream_tbENKUlT_T0_E_clISt17integral_constantIbLb1EES12_IbLb0EEEEDaSY_SZ_EUlSY_E_NS1_11comp_targetILNS1_3genE10ELNS1_11target_archE1201ELNS1_3gpuE5ELNS1_3repE0EEENS1_30default_config_static_selectorELNS0_4arch9wavefront6targetE0EEEvT1_, .Lfunc_end2094-_ZN7rocprim17ROCPRIM_400000_NS6detail17trampoline_kernelINS0_14default_configENS1_27scan_by_key_config_selectorIj11FixedVectorIiLj4EEEEZZNS1_16scan_by_key_implILNS1_25lookback_scan_determinismE0ELb1ES3_N6thrust23THRUST_200600_302600_NS6detail15normal_iteratorINSB_10device_ptrIjEEEENSD_INSE_IS6_EEEESI_S6_NSB_4plusIvEENSB_8equal_toIvEES6_EE10hipError_tPvRmT2_T3_T4_T5_mT6_T7_P12ihipStream_tbENKUlT_T0_E_clISt17integral_constantIbLb1EES12_IbLb0EEEEDaSY_SZ_EUlSY_E_NS1_11comp_targetILNS1_3genE10ELNS1_11target_archE1201ELNS1_3gpuE5ELNS1_3repE0EEENS1_30default_config_static_selectorELNS0_4arch9wavefront6targetE0EEEvT1_
                                        ; -- End function
	.set _ZN7rocprim17ROCPRIM_400000_NS6detail17trampoline_kernelINS0_14default_configENS1_27scan_by_key_config_selectorIj11FixedVectorIiLj4EEEEZZNS1_16scan_by_key_implILNS1_25lookback_scan_determinismE0ELb1ES3_N6thrust23THRUST_200600_302600_NS6detail15normal_iteratorINSB_10device_ptrIjEEEENSD_INSE_IS6_EEEESI_S6_NSB_4plusIvEENSB_8equal_toIvEES6_EE10hipError_tPvRmT2_T3_T4_T5_mT6_T7_P12ihipStream_tbENKUlT_T0_E_clISt17integral_constantIbLb1EES12_IbLb0EEEEDaSY_SZ_EUlSY_E_NS1_11comp_targetILNS1_3genE10ELNS1_11target_archE1201ELNS1_3gpuE5ELNS1_3repE0EEENS1_30default_config_static_selectorELNS0_4arch9wavefront6targetE0EEEvT1_.num_vgpr, 0
	.set _ZN7rocprim17ROCPRIM_400000_NS6detail17trampoline_kernelINS0_14default_configENS1_27scan_by_key_config_selectorIj11FixedVectorIiLj4EEEEZZNS1_16scan_by_key_implILNS1_25lookback_scan_determinismE0ELb1ES3_N6thrust23THRUST_200600_302600_NS6detail15normal_iteratorINSB_10device_ptrIjEEEENSD_INSE_IS6_EEEESI_S6_NSB_4plusIvEENSB_8equal_toIvEES6_EE10hipError_tPvRmT2_T3_T4_T5_mT6_T7_P12ihipStream_tbENKUlT_T0_E_clISt17integral_constantIbLb1EES12_IbLb0EEEEDaSY_SZ_EUlSY_E_NS1_11comp_targetILNS1_3genE10ELNS1_11target_archE1201ELNS1_3gpuE5ELNS1_3repE0EEENS1_30default_config_static_selectorELNS0_4arch9wavefront6targetE0EEEvT1_.num_agpr, 0
	.set _ZN7rocprim17ROCPRIM_400000_NS6detail17trampoline_kernelINS0_14default_configENS1_27scan_by_key_config_selectorIj11FixedVectorIiLj4EEEEZZNS1_16scan_by_key_implILNS1_25lookback_scan_determinismE0ELb1ES3_N6thrust23THRUST_200600_302600_NS6detail15normal_iteratorINSB_10device_ptrIjEEEENSD_INSE_IS6_EEEESI_S6_NSB_4plusIvEENSB_8equal_toIvEES6_EE10hipError_tPvRmT2_T3_T4_T5_mT6_T7_P12ihipStream_tbENKUlT_T0_E_clISt17integral_constantIbLb1EES12_IbLb0EEEEDaSY_SZ_EUlSY_E_NS1_11comp_targetILNS1_3genE10ELNS1_11target_archE1201ELNS1_3gpuE5ELNS1_3repE0EEENS1_30default_config_static_selectorELNS0_4arch9wavefront6targetE0EEEvT1_.numbered_sgpr, 0
	.set _ZN7rocprim17ROCPRIM_400000_NS6detail17trampoline_kernelINS0_14default_configENS1_27scan_by_key_config_selectorIj11FixedVectorIiLj4EEEEZZNS1_16scan_by_key_implILNS1_25lookback_scan_determinismE0ELb1ES3_N6thrust23THRUST_200600_302600_NS6detail15normal_iteratorINSB_10device_ptrIjEEEENSD_INSE_IS6_EEEESI_S6_NSB_4plusIvEENSB_8equal_toIvEES6_EE10hipError_tPvRmT2_T3_T4_T5_mT6_T7_P12ihipStream_tbENKUlT_T0_E_clISt17integral_constantIbLb1EES12_IbLb0EEEEDaSY_SZ_EUlSY_E_NS1_11comp_targetILNS1_3genE10ELNS1_11target_archE1201ELNS1_3gpuE5ELNS1_3repE0EEENS1_30default_config_static_selectorELNS0_4arch9wavefront6targetE0EEEvT1_.num_named_barrier, 0
	.set _ZN7rocprim17ROCPRIM_400000_NS6detail17trampoline_kernelINS0_14default_configENS1_27scan_by_key_config_selectorIj11FixedVectorIiLj4EEEEZZNS1_16scan_by_key_implILNS1_25lookback_scan_determinismE0ELb1ES3_N6thrust23THRUST_200600_302600_NS6detail15normal_iteratorINSB_10device_ptrIjEEEENSD_INSE_IS6_EEEESI_S6_NSB_4plusIvEENSB_8equal_toIvEES6_EE10hipError_tPvRmT2_T3_T4_T5_mT6_T7_P12ihipStream_tbENKUlT_T0_E_clISt17integral_constantIbLb1EES12_IbLb0EEEEDaSY_SZ_EUlSY_E_NS1_11comp_targetILNS1_3genE10ELNS1_11target_archE1201ELNS1_3gpuE5ELNS1_3repE0EEENS1_30default_config_static_selectorELNS0_4arch9wavefront6targetE0EEEvT1_.private_seg_size, 0
	.set _ZN7rocprim17ROCPRIM_400000_NS6detail17trampoline_kernelINS0_14default_configENS1_27scan_by_key_config_selectorIj11FixedVectorIiLj4EEEEZZNS1_16scan_by_key_implILNS1_25lookback_scan_determinismE0ELb1ES3_N6thrust23THRUST_200600_302600_NS6detail15normal_iteratorINSB_10device_ptrIjEEEENSD_INSE_IS6_EEEESI_S6_NSB_4plusIvEENSB_8equal_toIvEES6_EE10hipError_tPvRmT2_T3_T4_T5_mT6_T7_P12ihipStream_tbENKUlT_T0_E_clISt17integral_constantIbLb1EES12_IbLb0EEEEDaSY_SZ_EUlSY_E_NS1_11comp_targetILNS1_3genE10ELNS1_11target_archE1201ELNS1_3gpuE5ELNS1_3repE0EEENS1_30default_config_static_selectorELNS0_4arch9wavefront6targetE0EEEvT1_.uses_vcc, 0
	.set _ZN7rocprim17ROCPRIM_400000_NS6detail17trampoline_kernelINS0_14default_configENS1_27scan_by_key_config_selectorIj11FixedVectorIiLj4EEEEZZNS1_16scan_by_key_implILNS1_25lookback_scan_determinismE0ELb1ES3_N6thrust23THRUST_200600_302600_NS6detail15normal_iteratorINSB_10device_ptrIjEEEENSD_INSE_IS6_EEEESI_S6_NSB_4plusIvEENSB_8equal_toIvEES6_EE10hipError_tPvRmT2_T3_T4_T5_mT6_T7_P12ihipStream_tbENKUlT_T0_E_clISt17integral_constantIbLb1EES12_IbLb0EEEEDaSY_SZ_EUlSY_E_NS1_11comp_targetILNS1_3genE10ELNS1_11target_archE1201ELNS1_3gpuE5ELNS1_3repE0EEENS1_30default_config_static_selectorELNS0_4arch9wavefront6targetE0EEEvT1_.uses_flat_scratch, 0
	.set _ZN7rocprim17ROCPRIM_400000_NS6detail17trampoline_kernelINS0_14default_configENS1_27scan_by_key_config_selectorIj11FixedVectorIiLj4EEEEZZNS1_16scan_by_key_implILNS1_25lookback_scan_determinismE0ELb1ES3_N6thrust23THRUST_200600_302600_NS6detail15normal_iteratorINSB_10device_ptrIjEEEENSD_INSE_IS6_EEEESI_S6_NSB_4plusIvEENSB_8equal_toIvEES6_EE10hipError_tPvRmT2_T3_T4_T5_mT6_T7_P12ihipStream_tbENKUlT_T0_E_clISt17integral_constantIbLb1EES12_IbLb0EEEEDaSY_SZ_EUlSY_E_NS1_11comp_targetILNS1_3genE10ELNS1_11target_archE1201ELNS1_3gpuE5ELNS1_3repE0EEENS1_30default_config_static_selectorELNS0_4arch9wavefront6targetE0EEEvT1_.has_dyn_sized_stack, 0
	.set _ZN7rocprim17ROCPRIM_400000_NS6detail17trampoline_kernelINS0_14default_configENS1_27scan_by_key_config_selectorIj11FixedVectorIiLj4EEEEZZNS1_16scan_by_key_implILNS1_25lookback_scan_determinismE0ELb1ES3_N6thrust23THRUST_200600_302600_NS6detail15normal_iteratorINSB_10device_ptrIjEEEENSD_INSE_IS6_EEEESI_S6_NSB_4plusIvEENSB_8equal_toIvEES6_EE10hipError_tPvRmT2_T3_T4_T5_mT6_T7_P12ihipStream_tbENKUlT_T0_E_clISt17integral_constantIbLb1EES12_IbLb0EEEEDaSY_SZ_EUlSY_E_NS1_11comp_targetILNS1_3genE10ELNS1_11target_archE1201ELNS1_3gpuE5ELNS1_3repE0EEENS1_30default_config_static_selectorELNS0_4arch9wavefront6targetE0EEEvT1_.has_recursion, 0
	.set _ZN7rocprim17ROCPRIM_400000_NS6detail17trampoline_kernelINS0_14default_configENS1_27scan_by_key_config_selectorIj11FixedVectorIiLj4EEEEZZNS1_16scan_by_key_implILNS1_25lookback_scan_determinismE0ELb1ES3_N6thrust23THRUST_200600_302600_NS6detail15normal_iteratorINSB_10device_ptrIjEEEENSD_INSE_IS6_EEEESI_S6_NSB_4plusIvEENSB_8equal_toIvEES6_EE10hipError_tPvRmT2_T3_T4_T5_mT6_T7_P12ihipStream_tbENKUlT_T0_E_clISt17integral_constantIbLb1EES12_IbLb0EEEEDaSY_SZ_EUlSY_E_NS1_11comp_targetILNS1_3genE10ELNS1_11target_archE1201ELNS1_3gpuE5ELNS1_3repE0EEENS1_30default_config_static_selectorELNS0_4arch9wavefront6targetE0EEEvT1_.has_indirect_call, 0
	.section	.AMDGPU.csdata,"",@progbits
; Kernel info:
; codeLenInByte = 0
; TotalNumSgprs: 0
; NumVgprs: 0
; ScratchSize: 0
; MemoryBound: 0
; FloatMode: 240
; IeeeMode: 1
; LDSByteSize: 0 bytes/workgroup (compile time only)
; SGPRBlocks: 0
; VGPRBlocks: 0
; NumSGPRsForWavesPerEU: 1
; NumVGPRsForWavesPerEU: 1
; NamedBarCnt: 0
; Occupancy: 16
; WaveLimiterHint : 0
; COMPUTE_PGM_RSRC2:SCRATCH_EN: 0
; COMPUTE_PGM_RSRC2:USER_SGPR: 2
; COMPUTE_PGM_RSRC2:TRAP_HANDLER: 0
; COMPUTE_PGM_RSRC2:TGID_X_EN: 1
; COMPUTE_PGM_RSRC2:TGID_Y_EN: 0
; COMPUTE_PGM_RSRC2:TGID_Z_EN: 0
; COMPUTE_PGM_RSRC2:TIDIG_COMP_CNT: 0
	.section	.text._ZN7rocprim17ROCPRIM_400000_NS6detail17trampoline_kernelINS0_14default_configENS1_27scan_by_key_config_selectorIj11FixedVectorIiLj4EEEEZZNS1_16scan_by_key_implILNS1_25lookback_scan_determinismE0ELb1ES3_N6thrust23THRUST_200600_302600_NS6detail15normal_iteratorINSB_10device_ptrIjEEEENSD_INSE_IS6_EEEESI_S6_NSB_4plusIvEENSB_8equal_toIvEES6_EE10hipError_tPvRmT2_T3_T4_T5_mT6_T7_P12ihipStream_tbENKUlT_T0_E_clISt17integral_constantIbLb1EES12_IbLb0EEEEDaSY_SZ_EUlSY_E_NS1_11comp_targetILNS1_3genE5ELNS1_11target_archE942ELNS1_3gpuE9ELNS1_3repE0EEENS1_30default_config_static_selectorELNS0_4arch9wavefront6targetE0EEEvT1_,"axG",@progbits,_ZN7rocprim17ROCPRIM_400000_NS6detail17trampoline_kernelINS0_14default_configENS1_27scan_by_key_config_selectorIj11FixedVectorIiLj4EEEEZZNS1_16scan_by_key_implILNS1_25lookback_scan_determinismE0ELb1ES3_N6thrust23THRUST_200600_302600_NS6detail15normal_iteratorINSB_10device_ptrIjEEEENSD_INSE_IS6_EEEESI_S6_NSB_4plusIvEENSB_8equal_toIvEES6_EE10hipError_tPvRmT2_T3_T4_T5_mT6_T7_P12ihipStream_tbENKUlT_T0_E_clISt17integral_constantIbLb1EES12_IbLb0EEEEDaSY_SZ_EUlSY_E_NS1_11comp_targetILNS1_3genE5ELNS1_11target_archE942ELNS1_3gpuE9ELNS1_3repE0EEENS1_30default_config_static_selectorELNS0_4arch9wavefront6targetE0EEEvT1_,comdat
	.protected	_ZN7rocprim17ROCPRIM_400000_NS6detail17trampoline_kernelINS0_14default_configENS1_27scan_by_key_config_selectorIj11FixedVectorIiLj4EEEEZZNS1_16scan_by_key_implILNS1_25lookback_scan_determinismE0ELb1ES3_N6thrust23THRUST_200600_302600_NS6detail15normal_iteratorINSB_10device_ptrIjEEEENSD_INSE_IS6_EEEESI_S6_NSB_4plusIvEENSB_8equal_toIvEES6_EE10hipError_tPvRmT2_T3_T4_T5_mT6_T7_P12ihipStream_tbENKUlT_T0_E_clISt17integral_constantIbLb1EES12_IbLb0EEEEDaSY_SZ_EUlSY_E_NS1_11comp_targetILNS1_3genE5ELNS1_11target_archE942ELNS1_3gpuE9ELNS1_3repE0EEENS1_30default_config_static_selectorELNS0_4arch9wavefront6targetE0EEEvT1_ ; -- Begin function _ZN7rocprim17ROCPRIM_400000_NS6detail17trampoline_kernelINS0_14default_configENS1_27scan_by_key_config_selectorIj11FixedVectorIiLj4EEEEZZNS1_16scan_by_key_implILNS1_25lookback_scan_determinismE0ELb1ES3_N6thrust23THRUST_200600_302600_NS6detail15normal_iteratorINSB_10device_ptrIjEEEENSD_INSE_IS6_EEEESI_S6_NSB_4plusIvEENSB_8equal_toIvEES6_EE10hipError_tPvRmT2_T3_T4_T5_mT6_T7_P12ihipStream_tbENKUlT_T0_E_clISt17integral_constantIbLb1EES12_IbLb0EEEEDaSY_SZ_EUlSY_E_NS1_11comp_targetILNS1_3genE5ELNS1_11target_archE942ELNS1_3gpuE9ELNS1_3repE0EEENS1_30default_config_static_selectorELNS0_4arch9wavefront6targetE0EEEvT1_
	.globl	_ZN7rocprim17ROCPRIM_400000_NS6detail17trampoline_kernelINS0_14default_configENS1_27scan_by_key_config_selectorIj11FixedVectorIiLj4EEEEZZNS1_16scan_by_key_implILNS1_25lookback_scan_determinismE0ELb1ES3_N6thrust23THRUST_200600_302600_NS6detail15normal_iteratorINSB_10device_ptrIjEEEENSD_INSE_IS6_EEEESI_S6_NSB_4plusIvEENSB_8equal_toIvEES6_EE10hipError_tPvRmT2_T3_T4_T5_mT6_T7_P12ihipStream_tbENKUlT_T0_E_clISt17integral_constantIbLb1EES12_IbLb0EEEEDaSY_SZ_EUlSY_E_NS1_11comp_targetILNS1_3genE5ELNS1_11target_archE942ELNS1_3gpuE9ELNS1_3repE0EEENS1_30default_config_static_selectorELNS0_4arch9wavefront6targetE0EEEvT1_
	.p2align	8
	.type	_ZN7rocprim17ROCPRIM_400000_NS6detail17trampoline_kernelINS0_14default_configENS1_27scan_by_key_config_selectorIj11FixedVectorIiLj4EEEEZZNS1_16scan_by_key_implILNS1_25lookback_scan_determinismE0ELb1ES3_N6thrust23THRUST_200600_302600_NS6detail15normal_iteratorINSB_10device_ptrIjEEEENSD_INSE_IS6_EEEESI_S6_NSB_4plusIvEENSB_8equal_toIvEES6_EE10hipError_tPvRmT2_T3_T4_T5_mT6_T7_P12ihipStream_tbENKUlT_T0_E_clISt17integral_constantIbLb1EES12_IbLb0EEEEDaSY_SZ_EUlSY_E_NS1_11comp_targetILNS1_3genE5ELNS1_11target_archE942ELNS1_3gpuE9ELNS1_3repE0EEENS1_30default_config_static_selectorELNS0_4arch9wavefront6targetE0EEEvT1_,@function
_ZN7rocprim17ROCPRIM_400000_NS6detail17trampoline_kernelINS0_14default_configENS1_27scan_by_key_config_selectorIj11FixedVectorIiLj4EEEEZZNS1_16scan_by_key_implILNS1_25lookback_scan_determinismE0ELb1ES3_N6thrust23THRUST_200600_302600_NS6detail15normal_iteratorINSB_10device_ptrIjEEEENSD_INSE_IS6_EEEESI_S6_NSB_4plusIvEENSB_8equal_toIvEES6_EE10hipError_tPvRmT2_T3_T4_T5_mT6_T7_P12ihipStream_tbENKUlT_T0_E_clISt17integral_constantIbLb1EES12_IbLb0EEEEDaSY_SZ_EUlSY_E_NS1_11comp_targetILNS1_3genE5ELNS1_11target_archE942ELNS1_3gpuE9ELNS1_3repE0EEENS1_30default_config_static_selectorELNS0_4arch9wavefront6targetE0EEEvT1_: ; @_ZN7rocprim17ROCPRIM_400000_NS6detail17trampoline_kernelINS0_14default_configENS1_27scan_by_key_config_selectorIj11FixedVectorIiLj4EEEEZZNS1_16scan_by_key_implILNS1_25lookback_scan_determinismE0ELb1ES3_N6thrust23THRUST_200600_302600_NS6detail15normal_iteratorINSB_10device_ptrIjEEEENSD_INSE_IS6_EEEESI_S6_NSB_4plusIvEENSB_8equal_toIvEES6_EE10hipError_tPvRmT2_T3_T4_T5_mT6_T7_P12ihipStream_tbENKUlT_T0_E_clISt17integral_constantIbLb1EES12_IbLb0EEEEDaSY_SZ_EUlSY_E_NS1_11comp_targetILNS1_3genE5ELNS1_11target_archE942ELNS1_3gpuE9ELNS1_3repE0EEENS1_30default_config_static_selectorELNS0_4arch9wavefront6targetE0EEEvT1_
; %bb.0:
	.section	.rodata,"a",@progbits
	.p2align	6, 0x0
	.amdhsa_kernel _ZN7rocprim17ROCPRIM_400000_NS6detail17trampoline_kernelINS0_14default_configENS1_27scan_by_key_config_selectorIj11FixedVectorIiLj4EEEEZZNS1_16scan_by_key_implILNS1_25lookback_scan_determinismE0ELb1ES3_N6thrust23THRUST_200600_302600_NS6detail15normal_iteratorINSB_10device_ptrIjEEEENSD_INSE_IS6_EEEESI_S6_NSB_4plusIvEENSB_8equal_toIvEES6_EE10hipError_tPvRmT2_T3_T4_T5_mT6_T7_P12ihipStream_tbENKUlT_T0_E_clISt17integral_constantIbLb1EES12_IbLb0EEEEDaSY_SZ_EUlSY_E_NS1_11comp_targetILNS1_3genE5ELNS1_11target_archE942ELNS1_3gpuE9ELNS1_3repE0EEENS1_30default_config_static_selectorELNS0_4arch9wavefront6targetE0EEEvT1_
		.amdhsa_group_segment_fixed_size 0
		.amdhsa_private_segment_fixed_size 0
		.amdhsa_kernarg_size 144
		.amdhsa_user_sgpr_count 2
		.amdhsa_user_sgpr_dispatch_ptr 0
		.amdhsa_user_sgpr_queue_ptr 0
		.amdhsa_user_sgpr_kernarg_segment_ptr 1
		.amdhsa_user_sgpr_dispatch_id 0
		.amdhsa_user_sgpr_kernarg_preload_length 0
		.amdhsa_user_sgpr_kernarg_preload_offset 0
		.amdhsa_user_sgpr_private_segment_size 0
		.amdhsa_wavefront_size32 1
		.amdhsa_uses_dynamic_stack 0
		.amdhsa_enable_private_segment 0
		.amdhsa_system_sgpr_workgroup_id_x 1
		.amdhsa_system_sgpr_workgroup_id_y 0
		.amdhsa_system_sgpr_workgroup_id_z 0
		.amdhsa_system_sgpr_workgroup_info 0
		.amdhsa_system_vgpr_workitem_id 0
		.amdhsa_next_free_vgpr 1
		.amdhsa_next_free_sgpr 1
		.amdhsa_named_barrier_count 0
		.amdhsa_reserve_vcc 0
		.amdhsa_float_round_mode_32 0
		.amdhsa_float_round_mode_16_64 0
		.amdhsa_float_denorm_mode_32 3
		.amdhsa_float_denorm_mode_16_64 3
		.amdhsa_fp16_overflow 0
		.amdhsa_memory_ordered 1
		.amdhsa_forward_progress 1
		.amdhsa_inst_pref_size 0
		.amdhsa_round_robin_scheduling 0
		.amdhsa_exception_fp_ieee_invalid_op 0
		.amdhsa_exception_fp_denorm_src 0
		.amdhsa_exception_fp_ieee_div_zero 0
		.amdhsa_exception_fp_ieee_overflow 0
		.amdhsa_exception_fp_ieee_underflow 0
		.amdhsa_exception_fp_ieee_inexact 0
		.amdhsa_exception_int_div_zero 0
	.end_amdhsa_kernel
	.section	.text._ZN7rocprim17ROCPRIM_400000_NS6detail17trampoline_kernelINS0_14default_configENS1_27scan_by_key_config_selectorIj11FixedVectorIiLj4EEEEZZNS1_16scan_by_key_implILNS1_25lookback_scan_determinismE0ELb1ES3_N6thrust23THRUST_200600_302600_NS6detail15normal_iteratorINSB_10device_ptrIjEEEENSD_INSE_IS6_EEEESI_S6_NSB_4plusIvEENSB_8equal_toIvEES6_EE10hipError_tPvRmT2_T3_T4_T5_mT6_T7_P12ihipStream_tbENKUlT_T0_E_clISt17integral_constantIbLb1EES12_IbLb0EEEEDaSY_SZ_EUlSY_E_NS1_11comp_targetILNS1_3genE5ELNS1_11target_archE942ELNS1_3gpuE9ELNS1_3repE0EEENS1_30default_config_static_selectorELNS0_4arch9wavefront6targetE0EEEvT1_,"axG",@progbits,_ZN7rocprim17ROCPRIM_400000_NS6detail17trampoline_kernelINS0_14default_configENS1_27scan_by_key_config_selectorIj11FixedVectorIiLj4EEEEZZNS1_16scan_by_key_implILNS1_25lookback_scan_determinismE0ELb1ES3_N6thrust23THRUST_200600_302600_NS6detail15normal_iteratorINSB_10device_ptrIjEEEENSD_INSE_IS6_EEEESI_S6_NSB_4plusIvEENSB_8equal_toIvEES6_EE10hipError_tPvRmT2_T3_T4_T5_mT6_T7_P12ihipStream_tbENKUlT_T0_E_clISt17integral_constantIbLb1EES12_IbLb0EEEEDaSY_SZ_EUlSY_E_NS1_11comp_targetILNS1_3genE5ELNS1_11target_archE942ELNS1_3gpuE9ELNS1_3repE0EEENS1_30default_config_static_selectorELNS0_4arch9wavefront6targetE0EEEvT1_,comdat
.Lfunc_end2095:
	.size	_ZN7rocprim17ROCPRIM_400000_NS6detail17trampoline_kernelINS0_14default_configENS1_27scan_by_key_config_selectorIj11FixedVectorIiLj4EEEEZZNS1_16scan_by_key_implILNS1_25lookback_scan_determinismE0ELb1ES3_N6thrust23THRUST_200600_302600_NS6detail15normal_iteratorINSB_10device_ptrIjEEEENSD_INSE_IS6_EEEESI_S6_NSB_4plusIvEENSB_8equal_toIvEES6_EE10hipError_tPvRmT2_T3_T4_T5_mT6_T7_P12ihipStream_tbENKUlT_T0_E_clISt17integral_constantIbLb1EES12_IbLb0EEEEDaSY_SZ_EUlSY_E_NS1_11comp_targetILNS1_3genE5ELNS1_11target_archE942ELNS1_3gpuE9ELNS1_3repE0EEENS1_30default_config_static_selectorELNS0_4arch9wavefront6targetE0EEEvT1_, .Lfunc_end2095-_ZN7rocprim17ROCPRIM_400000_NS6detail17trampoline_kernelINS0_14default_configENS1_27scan_by_key_config_selectorIj11FixedVectorIiLj4EEEEZZNS1_16scan_by_key_implILNS1_25lookback_scan_determinismE0ELb1ES3_N6thrust23THRUST_200600_302600_NS6detail15normal_iteratorINSB_10device_ptrIjEEEENSD_INSE_IS6_EEEESI_S6_NSB_4plusIvEENSB_8equal_toIvEES6_EE10hipError_tPvRmT2_T3_T4_T5_mT6_T7_P12ihipStream_tbENKUlT_T0_E_clISt17integral_constantIbLb1EES12_IbLb0EEEEDaSY_SZ_EUlSY_E_NS1_11comp_targetILNS1_3genE5ELNS1_11target_archE942ELNS1_3gpuE9ELNS1_3repE0EEENS1_30default_config_static_selectorELNS0_4arch9wavefront6targetE0EEEvT1_
                                        ; -- End function
	.set _ZN7rocprim17ROCPRIM_400000_NS6detail17trampoline_kernelINS0_14default_configENS1_27scan_by_key_config_selectorIj11FixedVectorIiLj4EEEEZZNS1_16scan_by_key_implILNS1_25lookback_scan_determinismE0ELb1ES3_N6thrust23THRUST_200600_302600_NS6detail15normal_iteratorINSB_10device_ptrIjEEEENSD_INSE_IS6_EEEESI_S6_NSB_4plusIvEENSB_8equal_toIvEES6_EE10hipError_tPvRmT2_T3_T4_T5_mT6_T7_P12ihipStream_tbENKUlT_T0_E_clISt17integral_constantIbLb1EES12_IbLb0EEEEDaSY_SZ_EUlSY_E_NS1_11comp_targetILNS1_3genE5ELNS1_11target_archE942ELNS1_3gpuE9ELNS1_3repE0EEENS1_30default_config_static_selectorELNS0_4arch9wavefront6targetE0EEEvT1_.num_vgpr, 0
	.set _ZN7rocprim17ROCPRIM_400000_NS6detail17trampoline_kernelINS0_14default_configENS1_27scan_by_key_config_selectorIj11FixedVectorIiLj4EEEEZZNS1_16scan_by_key_implILNS1_25lookback_scan_determinismE0ELb1ES3_N6thrust23THRUST_200600_302600_NS6detail15normal_iteratorINSB_10device_ptrIjEEEENSD_INSE_IS6_EEEESI_S6_NSB_4plusIvEENSB_8equal_toIvEES6_EE10hipError_tPvRmT2_T3_T4_T5_mT6_T7_P12ihipStream_tbENKUlT_T0_E_clISt17integral_constantIbLb1EES12_IbLb0EEEEDaSY_SZ_EUlSY_E_NS1_11comp_targetILNS1_3genE5ELNS1_11target_archE942ELNS1_3gpuE9ELNS1_3repE0EEENS1_30default_config_static_selectorELNS0_4arch9wavefront6targetE0EEEvT1_.num_agpr, 0
	.set _ZN7rocprim17ROCPRIM_400000_NS6detail17trampoline_kernelINS0_14default_configENS1_27scan_by_key_config_selectorIj11FixedVectorIiLj4EEEEZZNS1_16scan_by_key_implILNS1_25lookback_scan_determinismE0ELb1ES3_N6thrust23THRUST_200600_302600_NS6detail15normal_iteratorINSB_10device_ptrIjEEEENSD_INSE_IS6_EEEESI_S6_NSB_4plusIvEENSB_8equal_toIvEES6_EE10hipError_tPvRmT2_T3_T4_T5_mT6_T7_P12ihipStream_tbENKUlT_T0_E_clISt17integral_constantIbLb1EES12_IbLb0EEEEDaSY_SZ_EUlSY_E_NS1_11comp_targetILNS1_3genE5ELNS1_11target_archE942ELNS1_3gpuE9ELNS1_3repE0EEENS1_30default_config_static_selectorELNS0_4arch9wavefront6targetE0EEEvT1_.numbered_sgpr, 0
	.set _ZN7rocprim17ROCPRIM_400000_NS6detail17trampoline_kernelINS0_14default_configENS1_27scan_by_key_config_selectorIj11FixedVectorIiLj4EEEEZZNS1_16scan_by_key_implILNS1_25lookback_scan_determinismE0ELb1ES3_N6thrust23THRUST_200600_302600_NS6detail15normal_iteratorINSB_10device_ptrIjEEEENSD_INSE_IS6_EEEESI_S6_NSB_4plusIvEENSB_8equal_toIvEES6_EE10hipError_tPvRmT2_T3_T4_T5_mT6_T7_P12ihipStream_tbENKUlT_T0_E_clISt17integral_constantIbLb1EES12_IbLb0EEEEDaSY_SZ_EUlSY_E_NS1_11comp_targetILNS1_3genE5ELNS1_11target_archE942ELNS1_3gpuE9ELNS1_3repE0EEENS1_30default_config_static_selectorELNS0_4arch9wavefront6targetE0EEEvT1_.num_named_barrier, 0
	.set _ZN7rocprim17ROCPRIM_400000_NS6detail17trampoline_kernelINS0_14default_configENS1_27scan_by_key_config_selectorIj11FixedVectorIiLj4EEEEZZNS1_16scan_by_key_implILNS1_25lookback_scan_determinismE0ELb1ES3_N6thrust23THRUST_200600_302600_NS6detail15normal_iteratorINSB_10device_ptrIjEEEENSD_INSE_IS6_EEEESI_S6_NSB_4plusIvEENSB_8equal_toIvEES6_EE10hipError_tPvRmT2_T3_T4_T5_mT6_T7_P12ihipStream_tbENKUlT_T0_E_clISt17integral_constantIbLb1EES12_IbLb0EEEEDaSY_SZ_EUlSY_E_NS1_11comp_targetILNS1_3genE5ELNS1_11target_archE942ELNS1_3gpuE9ELNS1_3repE0EEENS1_30default_config_static_selectorELNS0_4arch9wavefront6targetE0EEEvT1_.private_seg_size, 0
	.set _ZN7rocprim17ROCPRIM_400000_NS6detail17trampoline_kernelINS0_14default_configENS1_27scan_by_key_config_selectorIj11FixedVectorIiLj4EEEEZZNS1_16scan_by_key_implILNS1_25lookback_scan_determinismE0ELb1ES3_N6thrust23THRUST_200600_302600_NS6detail15normal_iteratorINSB_10device_ptrIjEEEENSD_INSE_IS6_EEEESI_S6_NSB_4plusIvEENSB_8equal_toIvEES6_EE10hipError_tPvRmT2_T3_T4_T5_mT6_T7_P12ihipStream_tbENKUlT_T0_E_clISt17integral_constantIbLb1EES12_IbLb0EEEEDaSY_SZ_EUlSY_E_NS1_11comp_targetILNS1_3genE5ELNS1_11target_archE942ELNS1_3gpuE9ELNS1_3repE0EEENS1_30default_config_static_selectorELNS0_4arch9wavefront6targetE0EEEvT1_.uses_vcc, 0
	.set _ZN7rocprim17ROCPRIM_400000_NS6detail17trampoline_kernelINS0_14default_configENS1_27scan_by_key_config_selectorIj11FixedVectorIiLj4EEEEZZNS1_16scan_by_key_implILNS1_25lookback_scan_determinismE0ELb1ES3_N6thrust23THRUST_200600_302600_NS6detail15normal_iteratorINSB_10device_ptrIjEEEENSD_INSE_IS6_EEEESI_S6_NSB_4plusIvEENSB_8equal_toIvEES6_EE10hipError_tPvRmT2_T3_T4_T5_mT6_T7_P12ihipStream_tbENKUlT_T0_E_clISt17integral_constantIbLb1EES12_IbLb0EEEEDaSY_SZ_EUlSY_E_NS1_11comp_targetILNS1_3genE5ELNS1_11target_archE942ELNS1_3gpuE9ELNS1_3repE0EEENS1_30default_config_static_selectorELNS0_4arch9wavefront6targetE0EEEvT1_.uses_flat_scratch, 0
	.set _ZN7rocprim17ROCPRIM_400000_NS6detail17trampoline_kernelINS0_14default_configENS1_27scan_by_key_config_selectorIj11FixedVectorIiLj4EEEEZZNS1_16scan_by_key_implILNS1_25lookback_scan_determinismE0ELb1ES3_N6thrust23THRUST_200600_302600_NS6detail15normal_iteratorINSB_10device_ptrIjEEEENSD_INSE_IS6_EEEESI_S6_NSB_4plusIvEENSB_8equal_toIvEES6_EE10hipError_tPvRmT2_T3_T4_T5_mT6_T7_P12ihipStream_tbENKUlT_T0_E_clISt17integral_constantIbLb1EES12_IbLb0EEEEDaSY_SZ_EUlSY_E_NS1_11comp_targetILNS1_3genE5ELNS1_11target_archE942ELNS1_3gpuE9ELNS1_3repE0EEENS1_30default_config_static_selectorELNS0_4arch9wavefront6targetE0EEEvT1_.has_dyn_sized_stack, 0
	.set _ZN7rocprim17ROCPRIM_400000_NS6detail17trampoline_kernelINS0_14default_configENS1_27scan_by_key_config_selectorIj11FixedVectorIiLj4EEEEZZNS1_16scan_by_key_implILNS1_25lookback_scan_determinismE0ELb1ES3_N6thrust23THRUST_200600_302600_NS6detail15normal_iteratorINSB_10device_ptrIjEEEENSD_INSE_IS6_EEEESI_S6_NSB_4plusIvEENSB_8equal_toIvEES6_EE10hipError_tPvRmT2_T3_T4_T5_mT6_T7_P12ihipStream_tbENKUlT_T0_E_clISt17integral_constantIbLb1EES12_IbLb0EEEEDaSY_SZ_EUlSY_E_NS1_11comp_targetILNS1_3genE5ELNS1_11target_archE942ELNS1_3gpuE9ELNS1_3repE0EEENS1_30default_config_static_selectorELNS0_4arch9wavefront6targetE0EEEvT1_.has_recursion, 0
	.set _ZN7rocprim17ROCPRIM_400000_NS6detail17trampoline_kernelINS0_14default_configENS1_27scan_by_key_config_selectorIj11FixedVectorIiLj4EEEEZZNS1_16scan_by_key_implILNS1_25lookback_scan_determinismE0ELb1ES3_N6thrust23THRUST_200600_302600_NS6detail15normal_iteratorINSB_10device_ptrIjEEEENSD_INSE_IS6_EEEESI_S6_NSB_4plusIvEENSB_8equal_toIvEES6_EE10hipError_tPvRmT2_T3_T4_T5_mT6_T7_P12ihipStream_tbENKUlT_T0_E_clISt17integral_constantIbLb1EES12_IbLb0EEEEDaSY_SZ_EUlSY_E_NS1_11comp_targetILNS1_3genE5ELNS1_11target_archE942ELNS1_3gpuE9ELNS1_3repE0EEENS1_30default_config_static_selectorELNS0_4arch9wavefront6targetE0EEEvT1_.has_indirect_call, 0
	.section	.AMDGPU.csdata,"",@progbits
; Kernel info:
; codeLenInByte = 0
; TotalNumSgprs: 0
; NumVgprs: 0
; ScratchSize: 0
; MemoryBound: 0
; FloatMode: 240
; IeeeMode: 1
; LDSByteSize: 0 bytes/workgroup (compile time only)
; SGPRBlocks: 0
; VGPRBlocks: 0
; NumSGPRsForWavesPerEU: 1
; NumVGPRsForWavesPerEU: 1
; NamedBarCnt: 0
; Occupancy: 16
; WaveLimiterHint : 0
; COMPUTE_PGM_RSRC2:SCRATCH_EN: 0
; COMPUTE_PGM_RSRC2:USER_SGPR: 2
; COMPUTE_PGM_RSRC2:TRAP_HANDLER: 0
; COMPUTE_PGM_RSRC2:TGID_X_EN: 1
; COMPUTE_PGM_RSRC2:TGID_Y_EN: 0
; COMPUTE_PGM_RSRC2:TGID_Z_EN: 0
; COMPUTE_PGM_RSRC2:TIDIG_COMP_CNT: 0
	.section	.text._ZN7rocprim17ROCPRIM_400000_NS6detail17trampoline_kernelINS0_14default_configENS1_27scan_by_key_config_selectorIj11FixedVectorIiLj4EEEEZZNS1_16scan_by_key_implILNS1_25lookback_scan_determinismE0ELb1ES3_N6thrust23THRUST_200600_302600_NS6detail15normal_iteratorINSB_10device_ptrIjEEEENSD_INSE_IS6_EEEESI_S6_NSB_4plusIvEENSB_8equal_toIvEES6_EE10hipError_tPvRmT2_T3_T4_T5_mT6_T7_P12ihipStream_tbENKUlT_T0_E_clISt17integral_constantIbLb1EES12_IbLb0EEEEDaSY_SZ_EUlSY_E_NS1_11comp_targetILNS1_3genE4ELNS1_11target_archE910ELNS1_3gpuE8ELNS1_3repE0EEENS1_30default_config_static_selectorELNS0_4arch9wavefront6targetE0EEEvT1_,"axG",@progbits,_ZN7rocprim17ROCPRIM_400000_NS6detail17trampoline_kernelINS0_14default_configENS1_27scan_by_key_config_selectorIj11FixedVectorIiLj4EEEEZZNS1_16scan_by_key_implILNS1_25lookback_scan_determinismE0ELb1ES3_N6thrust23THRUST_200600_302600_NS6detail15normal_iteratorINSB_10device_ptrIjEEEENSD_INSE_IS6_EEEESI_S6_NSB_4plusIvEENSB_8equal_toIvEES6_EE10hipError_tPvRmT2_T3_T4_T5_mT6_T7_P12ihipStream_tbENKUlT_T0_E_clISt17integral_constantIbLb1EES12_IbLb0EEEEDaSY_SZ_EUlSY_E_NS1_11comp_targetILNS1_3genE4ELNS1_11target_archE910ELNS1_3gpuE8ELNS1_3repE0EEENS1_30default_config_static_selectorELNS0_4arch9wavefront6targetE0EEEvT1_,comdat
	.protected	_ZN7rocprim17ROCPRIM_400000_NS6detail17trampoline_kernelINS0_14default_configENS1_27scan_by_key_config_selectorIj11FixedVectorIiLj4EEEEZZNS1_16scan_by_key_implILNS1_25lookback_scan_determinismE0ELb1ES3_N6thrust23THRUST_200600_302600_NS6detail15normal_iteratorINSB_10device_ptrIjEEEENSD_INSE_IS6_EEEESI_S6_NSB_4plusIvEENSB_8equal_toIvEES6_EE10hipError_tPvRmT2_T3_T4_T5_mT6_T7_P12ihipStream_tbENKUlT_T0_E_clISt17integral_constantIbLb1EES12_IbLb0EEEEDaSY_SZ_EUlSY_E_NS1_11comp_targetILNS1_3genE4ELNS1_11target_archE910ELNS1_3gpuE8ELNS1_3repE0EEENS1_30default_config_static_selectorELNS0_4arch9wavefront6targetE0EEEvT1_ ; -- Begin function _ZN7rocprim17ROCPRIM_400000_NS6detail17trampoline_kernelINS0_14default_configENS1_27scan_by_key_config_selectorIj11FixedVectorIiLj4EEEEZZNS1_16scan_by_key_implILNS1_25lookback_scan_determinismE0ELb1ES3_N6thrust23THRUST_200600_302600_NS6detail15normal_iteratorINSB_10device_ptrIjEEEENSD_INSE_IS6_EEEESI_S6_NSB_4plusIvEENSB_8equal_toIvEES6_EE10hipError_tPvRmT2_T3_T4_T5_mT6_T7_P12ihipStream_tbENKUlT_T0_E_clISt17integral_constantIbLb1EES12_IbLb0EEEEDaSY_SZ_EUlSY_E_NS1_11comp_targetILNS1_3genE4ELNS1_11target_archE910ELNS1_3gpuE8ELNS1_3repE0EEENS1_30default_config_static_selectorELNS0_4arch9wavefront6targetE0EEEvT1_
	.globl	_ZN7rocprim17ROCPRIM_400000_NS6detail17trampoline_kernelINS0_14default_configENS1_27scan_by_key_config_selectorIj11FixedVectorIiLj4EEEEZZNS1_16scan_by_key_implILNS1_25lookback_scan_determinismE0ELb1ES3_N6thrust23THRUST_200600_302600_NS6detail15normal_iteratorINSB_10device_ptrIjEEEENSD_INSE_IS6_EEEESI_S6_NSB_4plusIvEENSB_8equal_toIvEES6_EE10hipError_tPvRmT2_T3_T4_T5_mT6_T7_P12ihipStream_tbENKUlT_T0_E_clISt17integral_constantIbLb1EES12_IbLb0EEEEDaSY_SZ_EUlSY_E_NS1_11comp_targetILNS1_3genE4ELNS1_11target_archE910ELNS1_3gpuE8ELNS1_3repE0EEENS1_30default_config_static_selectorELNS0_4arch9wavefront6targetE0EEEvT1_
	.p2align	8
	.type	_ZN7rocprim17ROCPRIM_400000_NS6detail17trampoline_kernelINS0_14default_configENS1_27scan_by_key_config_selectorIj11FixedVectorIiLj4EEEEZZNS1_16scan_by_key_implILNS1_25lookback_scan_determinismE0ELb1ES3_N6thrust23THRUST_200600_302600_NS6detail15normal_iteratorINSB_10device_ptrIjEEEENSD_INSE_IS6_EEEESI_S6_NSB_4plusIvEENSB_8equal_toIvEES6_EE10hipError_tPvRmT2_T3_T4_T5_mT6_T7_P12ihipStream_tbENKUlT_T0_E_clISt17integral_constantIbLb1EES12_IbLb0EEEEDaSY_SZ_EUlSY_E_NS1_11comp_targetILNS1_3genE4ELNS1_11target_archE910ELNS1_3gpuE8ELNS1_3repE0EEENS1_30default_config_static_selectorELNS0_4arch9wavefront6targetE0EEEvT1_,@function
_ZN7rocprim17ROCPRIM_400000_NS6detail17trampoline_kernelINS0_14default_configENS1_27scan_by_key_config_selectorIj11FixedVectorIiLj4EEEEZZNS1_16scan_by_key_implILNS1_25lookback_scan_determinismE0ELb1ES3_N6thrust23THRUST_200600_302600_NS6detail15normal_iteratorINSB_10device_ptrIjEEEENSD_INSE_IS6_EEEESI_S6_NSB_4plusIvEENSB_8equal_toIvEES6_EE10hipError_tPvRmT2_T3_T4_T5_mT6_T7_P12ihipStream_tbENKUlT_T0_E_clISt17integral_constantIbLb1EES12_IbLb0EEEEDaSY_SZ_EUlSY_E_NS1_11comp_targetILNS1_3genE4ELNS1_11target_archE910ELNS1_3gpuE8ELNS1_3repE0EEENS1_30default_config_static_selectorELNS0_4arch9wavefront6targetE0EEEvT1_: ; @_ZN7rocprim17ROCPRIM_400000_NS6detail17trampoline_kernelINS0_14default_configENS1_27scan_by_key_config_selectorIj11FixedVectorIiLj4EEEEZZNS1_16scan_by_key_implILNS1_25lookback_scan_determinismE0ELb1ES3_N6thrust23THRUST_200600_302600_NS6detail15normal_iteratorINSB_10device_ptrIjEEEENSD_INSE_IS6_EEEESI_S6_NSB_4plusIvEENSB_8equal_toIvEES6_EE10hipError_tPvRmT2_T3_T4_T5_mT6_T7_P12ihipStream_tbENKUlT_T0_E_clISt17integral_constantIbLb1EES12_IbLb0EEEEDaSY_SZ_EUlSY_E_NS1_11comp_targetILNS1_3genE4ELNS1_11target_archE910ELNS1_3gpuE8ELNS1_3repE0EEENS1_30default_config_static_selectorELNS0_4arch9wavefront6targetE0EEEvT1_
; %bb.0:
	.section	.rodata,"a",@progbits
	.p2align	6, 0x0
	.amdhsa_kernel _ZN7rocprim17ROCPRIM_400000_NS6detail17trampoline_kernelINS0_14default_configENS1_27scan_by_key_config_selectorIj11FixedVectorIiLj4EEEEZZNS1_16scan_by_key_implILNS1_25lookback_scan_determinismE0ELb1ES3_N6thrust23THRUST_200600_302600_NS6detail15normal_iteratorINSB_10device_ptrIjEEEENSD_INSE_IS6_EEEESI_S6_NSB_4plusIvEENSB_8equal_toIvEES6_EE10hipError_tPvRmT2_T3_T4_T5_mT6_T7_P12ihipStream_tbENKUlT_T0_E_clISt17integral_constantIbLb1EES12_IbLb0EEEEDaSY_SZ_EUlSY_E_NS1_11comp_targetILNS1_3genE4ELNS1_11target_archE910ELNS1_3gpuE8ELNS1_3repE0EEENS1_30default_config_static_selectorELNS0_4arch9wavefront6targetE0EEEvT1_
		.amdhsa_group_segment_fixed_size 0
		.amdhsa_private_segment_fixed_size 0
		.amdhsa_kernarg_size 144
		.amdhsa_user_sgpr_count 2
		.amdhsa_user_sgpr_dispatch_ptr 0
		.amdhsa_user_sgpr_queue_ptr 0
		.amdhsa_user_sgpr_kernarg_segment_ptr 1
		.amdhsa_user_sgpr_dispatch_id 0
		.amdhsa_user_sgpr_kernarg_preload_length 0
		.amdhsa_user_sgpr_kernarg_preload_offset 0
		.amdhsa_user_sgpr_private_segment_size 0
		.amdhsa_wavefront_size32 1
		.amdhsa_uses_dynamic_stack 0
		.amdhsa_enable_private_segment 0
		.amdhsa_system_sgpr_workgroup_id_x 1
		.amdhsa_system_sgpr_workgroup_id_y 0
		.amdhsa_system_sgpr_workgroup_id_z 0
		.amdhsa_system_sgpr_workgroup_info 0
		.amdhsa_system_vgpr_workitem_id 0
		.amdhsa_next_free_vgpr 1
		.amdhsa_next_free_sgpr 1
		.amdhsa_named_barrier_count 0
		.amdhsa_reserve_vcc 0
		.amdhsa_float_round_mode_32 0
		.amdhsa_float_round_mode_16_64 0
		.amdhsa_float_denorm_mode_32 3
		.amdhsa_float_denorm_mode_16_64 3
		.amdhsa_fp16_overflow 0
		.amdhsa_memory_ordered 1
		.amdhsa_forward_progress 1
		.amdhsa_inst_pref_size 0
		.amdhsa_round_robin_scheduling 0
		.amdhsa_exception_fp_ieee_invalid_op 0
		.amdhsa_exception_fp_denorm_src 0
		.amdhsa_exception_fp_ieee_div_zero 0
		.amdhsa_exception_fp_ieee_overflow 0
		.amdhsa_exception_fp_ieee_underflow 0
		.amdhsa_exception_fp_ieee_inexact 0
		.amdhsa_exception_int_div_zero 0
	.end_amdhsa_kernel
	.section	.text._ZN7rocprim17ROCPRIM_400000_NS6detail17trampoline_kernelINS0_14default_configENS1_27scan_by_key_config_selectorIj11FixedVectorIiLj4EEEEZZNS1_16scan_by_key_implILNS1_25lookback_scan_determinismE0ELb1ES3_N6thrust23THRUST_200600_302600_NS6detail15normal_iteratorINSB_10device_ptrIjEEEENSD_INSE_IS6_EEEESI_S6_NSB_4plusIvEENSB_8equal_toIvEES6_EE10hipError_tPvRmT2_T3_T4_T5_mT6_T7_P12ihipStream_tbENKUlT_T0_E_clISt17integral_constantIbLb1EES12_IbLb0EEEEDaSY_SZ_EUlSY_E_NS1_11comp_targetILNS1_3genE4ELNS1_11target_archE910ELNS1_3gpuE8ELNS1_3repE0EEENS1_30default_config_static_selectorELNS0_4arch9wavefront6targetE0EEEvT1_,"axG",@progbits,_ZN7rocprim17ROCPRIM_400000_NS6detail17trampoline_kernelINS0_14default_configENS1_27scan_by_key_config_selectorIj11FixedVectorIiLj4EEEEZZNS1_16scan_by_key_implILNS1_25lookback_scan_determinismE0ELb1ES3_N6thrust23THRUST_200600_302600_NS6detail15normal_iteratorINSB_10device_ptrIjEEEENSD_INSE_IS6_EEEESI_S6_NSB_4plusIvEENSB_8equal_toIvEES6_EE10hipError_tPvRmT2_T3_T4_T5_mT6_T7_P12ihipStream_tbENKUlT_T0_E_clISt17integral_constantIbLb1EES12_IbLb0EEEEDaSY_SZ_EUlSY_E_NS1_11comp_targetILNS1_3genE4ELNS1_11target_archE910ELNS1_3gpuE8ELNS1_3repE0EEENS1_30default_config_static_selectorELNS0_4arch9wavefront6targetE0EEEvT1_,comdat
.Lfunc_end2096:
	.size	_ZN7rocprim17ROCPRIM_400000_NS6detail17trampoline_kernelINS0_14default_configENS1_27scan_by_key_config_selectorIj11FixedVectorIiLj4EEEEZZNS1_16scan_by_key_implILNS1_25lookback_scan_determinismE0ELb1ES3_N6thrust23THRUST_200600_302600_NS6detail15normal_iteratorINSB_10device_ptrIjEEEENSD_INSE_IS6_EEEESI_S6_NSB_4plusIvEENSB_8equal_toIvEES6_EE10hipError_tPvRmT2_T3_T4_T5_mT6_T7_P12ihipStream_tbENKUlT_T0_E_clISt17integral_constantIbLb1EES12_IbLb0EEEEDaSY_SZ_EUlSY_E_NS1_11comp_targetILNS1_3genE4ELNS1_11target_archE910ELNS1_3gpuE8ELNS1_3repE0EEENS1_30default_config_static_selectorELNS0_4arch9wavefront6targetE0EEEvT1_, .Lfunc_end2096-_ZN7rocprim17ROCPRIM_400000_NS6detail17trampoline_kernelINS0_14default_configENS1_27scan_by_key_config_selectorIj11FixedVectorIiLj4EEEEZZNS1_16scan_by_key_implILNS1_25lookback_scan_determinismE0ELb1ES3_N6thrust23THRUST_200600_302600_NS6detail15normal_iteratorINSB_10device_ptrIjEEEENSD_INSE_IS6_EEEESI_S6_NSB_4plusIvEENSB_8equal_toIvEES6_EE10hipError_tPvRmT2_T3_T4_T5_mT6_T7_P12ihipStream_tbENKUlT_T0_E_clISt17integral_constantIbLb1EES12_IbLb0EEEEDaSY_SZ_EUlSY_E_NS1_11comp_targetILNS1_3genE4ELNS1_11target_archE910ELNS1_3gpuE8ELNS1_3repE0EEENS1_30default_config_static_selectorELNS0_4arch9wavefront6targetE0EEEvT1_
                                        ; -- End function
	.set _ZN7rocprim17ROCPRIM_400000_NS6detail17trampoline_kernelINS0_14default_configENS1_27scan_by_key_config_selectorIj11FixedVectorIiLj4EEEEZZNS1_16scan_by_key_implILNS1_25lookback_scan_determinismE0ELb1ES3_N6thrust23THRUST_200600_302600_NS6detail15normal_iteratorINSB_10device_ptrIjEEEENSD_INSE_IS6_EEEESI_S6_NSB_4plusIvEENSB_8equal_toIvEES6_EE10hipError_tPvRmT2_T3_T4_T5_mT6_T7_P12ihipStream_tbENKUlT_T0_E_clISt17integral_constantIbLb1EES12_IbLb0EEEEDaSY_SZ_EUlSY_E_NS1_11comp_targetILNS1_3genE4ELNS1_11target_archE910ELNS1_3gpuE8ELNS1_3repE0EEENS1_30default_config_static_selectorELNS0_4arch9wavefront6targetE0EEEvT1_.num_vgpr, 0
	.set _ZN7rocprim17ROCPRIM_400000_NS6detail17trampoline_kernelINS0_14default_configENS1_27scan_by_key_config_selectorIj11FixedVectorIiLj4EEEEZZNS1_16scan_by_key_implILNS1_25lookback_scan_determinismE0ELb1ES3_N6thrust23THRUST_200600_302600_NS6detail15normal_iteratorINSB_10device_ptrIjEEEENSD_INSE_IS6_EEEESI_S6_NSB_4plusIvEENSB_8equal_toIvEES6_EE10hipError_tPvRmT2_T3_T4_T5_mT6_T7_P12ihipStream_tbENKUlT_T0_E_clISt17integral_constantIbLb1EES12_IbLb0EEEEDaSY_SZ_EUlSY_E_NS1_11comp_targetILNS1_3genE4ELNS1_11target_archE910ELNS1_3gpuE8ELNS1_3repE0EEENS1_30default_config_static_selectorELNS0_4arch9wavefront6targetE0EEEvT1_.num_agpr, 0
	.set _ZN7rocprim17ROCPRIM_400000_NS6detail17trampoline_kernelINS0_14default_configENS1_27scan_by_key_config_selectorIj11FixedVectorIiLj4EEEEZZNS1_16scan_by_key_implILNS1_25lookback_scan_determinismE0ELb1ES3_N6thrust23THRUST_200600_302600_NS6detail15normal_iteratorINSB_10device_ptrIjEEEENSD_INSE_IS6_EEEESI_S6_NSB_4plusIvEENSB_8equal_toIvEES6_EE10hipError_tPvRmT2_T3_T4_T5_mT6_T7_P12ihipStream_tbENKUlT_T0_E_clISt17integral_constantIbLb1EES12_IbLb0EEEEDaSY_SZ_EUlSY_E_NS1_11comp_targetILNS1_3genE4ELNS1_11target_archE910ELNS1_3gpuE8ELNS1_3repE0EEENS1_30default_config_static_selectorELNS0_4arch9wavefront6targetE0EEEvT1_.numbered_sgpr, 0
	.set _ZN7rocprim17ROCPRIM_400000_NS6detail17trampoline_kernelINS0_14default_configENS1_27scan_by_key_config_selectorIj11FixedVectorIiLj4EEEEZZNS1_16scan_by_key_implILNS1_25lookback_scan_determinismE0ELb1ES3_N6thrust23THRUST_200600_302600_NS6detail15normal_iteratorINSB_10device_ptrIjEEEENSD_INSE_IS6_EEEESI_S6_NSB_4plusIvEENSB_8equal_toIvEES6_EE10hipError_tPvRmT2_T3_T4_T5_mT6_T7_P12ihipStream_tbENKUlT_T0_E_clISt17integral_constantIbLb1EES12_IbLb0EEEEDaSY_SZ_EUlSY_E_NS1_11comp_targetILNS1_3genE4ELNS1_11target_archE910ELNS1_3gpuE8ELNS1_3repE0EEENS1_30default_config_static_selectorELNS0_4arch9wavefront6targetE0EEEvT1_.num_named_barrier, 0
	.set _ZN7rocprim17ROCPRIM_400000_NS6detail17trampoline_kernelINS0_14default_configENS1_27scan_by_key_config_selectorIj11FixedVectorIiLj4EEEEZZNS1_16scan_by_key_implILNS1_25lookback_scan_determinismE0ELb1ES3_N6thrust23THRUST_200600_302600_NS6detail15normal_iteratorINSB_10device_ptrIjEEEENSD_INSE_IS6_EEEESI_S6_NSB_4plusIvEENSB_8equal_toIvEES6_EE10hipError_tPvRmT2_T3_T4_T5_mT6_T7_P12ihipStream_tbENKUlT_T0_E_clISt17integral_constantIbLb1EES12_IbLb0EEEEDaSY_SZ_EUlSY_E_NS1_11comp_targetILNS1_3genE4ELNS1_11target_archE910ELNS1_3gpuE8ELNS1_3repE0EEENS1_30default_config_static_selectorELNS0_4arch9wavefront6targetE0EEEvT1_.private_seg_size, 0
	.set _ZN7rocprim17ROCPRIM_400000_NS6detail17trampoline_kernelINS0_14default_configENS1_27scan_by_key_config_selectorIj11FixedVectorIiLj4EEEEZZNS1_16scan_by_key_implILNS1_25lookback_scan_determinismE0ELb1ES3_N6thrust23THRUST_200600_302600_NS6detail15normal_iteratorINSB_10device_ptrIjEEEENSD_INSE_IS6_EEEESI_S6_NSB_4plusIvEENSB_8equal_toIvEES6_EE10hipError_tPvRmT2_T3_T4_T5_mT6_T7_P12ihipStream_tbENKUlT_T0_E_clISt17integral_constantIbLb1EES12_IbLb0EEEEDaSY_SZ_EUlSY_E_NS1_11comp_targetILNS1_3genE4ELNS1_11target_archE910ELNS1_3gpuE8ELNS1_3repE0EEENS1_30default_config_static_selectorELNS0_4arch9wavefront6targetE0EEEvT1_.uses_vcc, 0
	.set _ZN7rocprim17ROCPRIM_400000_NS6detail17trampoline_kernelINS0_14default_configENS1_27scan_by_key_config_selectorIj11FixedVectorIiLj4EEEEZZNS1_16scan_by_key_implILNS1_25lookback_scan_determinismE0ELb1ES3_N6thrust23THRUST_200600_302600_NS6detail15normal_iteratorINSB_10device_ptrIjEEEENSD_INSE_IS6_EEEESI_S6_NSB_4plusIvEENSB_8equal_toIvEES6_EE10hipError_tPvRmT2_T3_T4_T5_mT6_T7_P12ihipStream_tbENKUlT_T0_E_clISt17integral_constantIbLb1EES12_IbLb0EEEEDaSY_SZ_EUlSY_E_NS1_11comp_targetILNS1_3genE4ELNS1_11target_archE910ELNS1_3gpuE8ELNS1_3repE0EEENS1_30default_config_static_selectorELNS0_4arch9wavefront6targetE0EEEvT1_.uses_flat_scratch, 0
	.set _ZN7rocprim17ROCPRIM_400000_NS6detail17trampoline_kernelINS0_14default_configENS1_27scan_by_key_config_selectorIj11FixedVectorIiLj4EEEEZZNS1_16scan_by_key_implILNS1_25lookback_scan_determinismE0ELb1ES3_N6thrust23THRUST_200600_302600_NS6detail15normal_iteratorINSB_10device_ptrIjEEEENSD_INSE_IS6_EEEESI_S6_NSB_4plusIvEENSB_8equal_toIvEES6_EE10hipError_tPvRmT2_T3_T4_T5_mT6_T7_P12ihipStream_tbENKUlT_T0_E_clISt17integral_constantIbLb1EES12_IbLb0EEEEDaSY_SZ_EUlSY_E_NS1_11comp_targetILNS1_3genE4ELNS1_11target_archE910ELNS1_3gpuE8ELNS1_3repE0EEENS1_30default_config_static_selectorELNS0_4arch9wavefront6targetE0EEEvT1_.has_dyn_sized_stack, 0
	.set _ZN7rocprim17ROCPRIM_400000_NS6detail17trampoline_kernelINS0_14default_configENS1_27scan_by_key_config_selectorIj11FixedVectorIiLj4EEEEZZNS1_16scan_by_key_implILNS1_25lookback_scan_determinismE0ELb1ES3_N6thrust23THRUST_200600_302600_NS6detail15normal_iteratorINSB_10device_ptrIjEEEENSD_INSE_IS6_EEEESI_S6_NSB_4plusIvEENSB_8equal_toIvEES6_EE10hipError_tPvRmT2_T3_T4_T5_mT6_T7_P12ihipStream_tbENKUlT_T0_E_clISt17integral_constantIbLb1EES12_IbLb0EEEEDaSY_SZ_EUlSY_E_NS1_11comp_targetILNS1_3genE4ELNS1_11target_archE910ELNS1_3gpuE8ELNS1_3repE0EEENS1_30default_config_static_selectorELNS0_4arch9wavefront6targetE0EEEvT1_.has_recursion, 0
	.set _ZN7rocprim17ROCPRIM_400000_NS6detail17trampoline_kernelINS0_14default_configENS1_27scan_by_key_config_selectorIj11FixedVectorIiLj4EEEEZZNS1_16scan_by_key_implILNS1_25lookback_scan_determinismE0ELb1ES3_N6thrust23THRUST_200600_302600_NS6detail15normal_iteratorINSB_10device_ptrIjEEEENSD_INSE_IS6_EEEESI_S6_NSB_4plusIvEENSB_8equal_toIvEES6_EE10hipError_tPvRmT2_T3_T4_T5_mT6_T7_P12ihipStream_tbENKUlT_T0_E_clISt17integral_constantIbLb1EES12_IbLb0EEEEDaSY_SZ_EUlSY_E_NS1_11comp_targetILNS1_3genE4ELNS1_11target_archE910ELNS1_3gpuE8ELNS1_3repE0EEENS1_30default_config_static_selectorELNS0_4arch9wavefront6targetE0EEEvT1_.has_indirect_call, 0
	.section	.AMDGPU.csdata,"",@progbits
; Kernel info:
; codeLenInByte = 0
; TotalNumSgprs: 0
; NumVgprs: 0
; ScratchSize: 0
; MemoryBound: 0
; FloatMode: 240
; IeeeMode: 1
; LDSByteSize: 0 bytes/workgroup (compile time only)
; SGPRBlocks: 0
; VGPRBlocks: 0
; NumSGPRsForWavesPerEU: 1
; NumVGPRsForWavesPerEU: 1
; NamedBarCnt: 0
; Occupancy: 16
; WaveLimiterHint : 0
; COMPUTE_PGM_RSRC2:SCRATCH_EN: 0
; COMPUTE_PGM_RSRC2:USER_SGPR: 2
; COMPUTE_PGM_RSRC2:TRAP_HANDLER: 0
; COMPUTE_PGM_RSRC2:TGID_X_EN: 1
; COMPUTE_PGM_RSRC2:TGID_Y_EN: 0
; COMPUTE_PGM_RSRC2:TGID_Z_EN: 0
; COMPUTE_PGM_RSRC2:TIDIG_COMP_CNT: 0
	.section	.text._ZN7rocprim17ROCPRIM_400000_NS6detail17trampoline_kernelINS0_14default_configENS1_27scan_by_key_config_selectorIj11FixedVectorIiLj4EEEEZZNS1_16scan_by_key_implILNS1_25lookback_scan_determinismE0ELb1ES3_N6thrust23THRUST_200600_302600_NS6detail15normal_iteratorINSB_10device_ptrIjEEEENSD_INSE_IS6_EEEESI_S6_NSB_4plusIvEENSB_8equal_toIvEES6_EE10hipError_tPvRmT2_T3_T4_T5_mT6_T7_P12ihipStream_tbENKUlT_T0_E_clISt17integral_constantIbLb1EES12_IbLb0EEEEDaSY_SZ_EUlSY_E_NS1_11comp_targetILNS1_3genE3ELNS1_11target_archE908ELNS1_3gpuE7ELNS1_3repE0EEENS1_30default_config_static_selectorELNS0_4arch9wavefront6targetE0EEEvT1_,"axG",@progbits,_ZN7rocprim17ROCPRIM_400000_NS6detail17trampoline_kernelINS0_14default_configENS1_27scan_by_key_config_selectorIj11FixedVectorIiLj4EEEEZZNS1_16scan_by_key_implILNS1_25lookback_scan_determinismE0ELb1ES3_N6thrust23THRUST_200600_302600_NS6detail15normal_iteratorINSB_10device_ptrIjEEEENSD_INSE_IS6_EEEESI_S6_NSB_4plusIvEENSB_8equal_toIvEES6_EE10hipError_tPvRmT2_T3_T4_T5_mT6_T7_P12ihipStream_tbENKUlT_T0_E_clISt17integral_constantIbLb1EES12_IbLb0EEEEDaSY_SZ_EUlSY_E_NS1_11comp_targetILNS1_3genE3ELNS1_11target_archE908ELNS1_3gpuE7ELNS1_3repE0EEENS1_30default_config_static_selectorELNS0_4arch9wavefront6targetE0EEEvT1_,comdat
	.protected	_ZN7rocprim17ROCPRIM_400000_NS6detail17trampoline_kernelINS0_14default_configENS1_27scan_by_key_config_selectorIj11FixedVectorIiLj4EEEEZZNS1_16scan_by_key_implILNS1_25lookback_scan_determinismE0ELb1ES3_N6thrust23THRUST_200600_302600_NS6detail15normal_iteratorINSB_10device_ptrIjEEEENSD_INSE_IS6_EEEESI_S6_NSB_4plusIvEENSB_8equal_toIvEES6_EE10hipError_tPvRmT2_T3_T4_T5_mT6_T7_P12ihipStream_tbENKUlT_T0_E_clISt17integral_constantIbLb1EES12_IbLb0EEEEDaSY_SZ_EUlSY_E_NS1_11comp_targetILNS1_3genE3ELNS1_11target_archE908ELNS1_3gpuE7ELNS1_3repE0EEENS1_30default_config_static_selectorELNS0_4arch9wavefront6targetE0EEEvT1_ ; -- Begin function _ZN7rocprim17ROCPRIM_400000_NS6detail17trampoline_kernelINS0_14default_configENS1_27scan_by_key_config_selectorIj11FixedVectorIiLj4EEEEZZNS1_16scan_by_key_implILNS1_25lookback_scan_determinismE0ELb1ES3_N6thrust23THRUST_200600_302600_NS6detail15normal_iteratorINSB_10device_ptrIjEEEENSD_INSE_IS6_EEEESI_S6_NSB_4plusIvEENSB_8equal_toIvEES6_EE10hipError_tPvRmT2_T3_T4_T5_mT6_T7_P12ihipStream_tbENKUlT_T0_E_clISt17integral_constantIbLb1EES12_IbLb0EEEEDaSY_SZ_EUlSY_E_NS1_11comp_targetILNS1_3genE3ELNS1_11target_archE908ELNS1_3gpuE7ELNS1_3repE0EEENS1_30default_config_static_selectorELNS0_4arch9wavefront6targetE0EEEvT1_
	.globl	_ZN7rocprim17ROCPRIM_400000_NS6detail17trampoline_kernelINS0_14default_configENS1_27scan_by_key_config_selectorIj11FixedVectorIiLj4EEEEZZNS1_16scan_by_key_implILNS1_25lookback_scan_determinismE0ELb1ES3_N6thrust23THRUST_200600_302600_NS6detail15normal_iteratorINSB_10device_ptrIjEEEENSD_INSE_IS6_EEEESI_S6_NSB_4plusIvEENSB_8equal_toIvEES6_EE10hipError_tPvRmT2_T3_T4_T5_mT6_T7_P12ihipStream_tbENKUlT_T0_E_clISt17integral_constantIbLb1EES12_IbLb0EEEEDaSY_SZ_EUlSY_E_NS1_11comp_targetILNS1_3genE3ELNS1_11target_archE908ELNS1_3gpuE7ELNS1_3repE0EEENS1_30default_config_static_selectorELNS0_4arch9wavefront6targetE0EEEvT1_
	.p2align	8
	.type	_ZN7rocprim17ROCPRIM_400000_NS6detail17trampoline_kernelINS0_14default_configENS1_27scan_by_key_config_selectorIj11FixedVectorIiLj4EEEEZZNS1_16scan_by_key_implILNS1_25lookback_scan_determinismE0ELb1ES3_N6thrust23THRUST_200600_302600_NS6detail15normal_iteratorINSB_10device_ptrIjEEEENSD_INSE_IS6_EEEESI_S6_NSB_4plusIvEENSB_8equal_toIvEES6_EE10hipError_tPvRmT2_T3_T4_T5_mT6_T7_P12ihipStream_tbENKUlT_T0_E_clISt17integral_constantIbLb1EES12_IbLb0EEEEDaSY_SZ_EUlSY_E_NS1_11comp_targetILNS1_3genE3ELNS1_11target_archE908ELNS1_3gpuE7ELNS1_3repE0EEENS1_30default_config_static_selectorELNS0_4arch9wavefront6targetE0EEEvT1_,@function
_ZN7rocprim17ROCPRIM_400000_NS6detail17trampoline_kernelINS0_14default_configENS1_27scan_by_key_config_selectorIj11FixedVectorIiLj4EEEEZZNS1_16scan_by_key_implILNS1_25lookback_scan_determinismE0ELb1ES3_N6thrust23THRUST_200600_302600_NS6detail15normal_iteratorINSB_10device_ptrIjEEEENSD_INSE_IS6_EEEESI_S6_NSB_4plusIvEENSB_8equal_toIvEES6_EE10hipError_tPvRmT2_T3_T4_T5_mT6_T7_P12ihipStream_tbENKUlT_T0_E_clISt17integral_constantIbLb1EES12_IbLb0EEEEDaSY_SZ_EUlSY_E_NS1_11comp_targetILNS1_3genE3ELNS1_11target_archE908ELNS1_3gpuE7ELNS1_3repE0EEENS1_30default_config_static_selectorELNS0_4arch9wavefront6targetE0EEEvT1_: ; @_ZN7rocprim17ROCPRIM_400000_NS6detail17trampoline_kernelINS0_14default_configENS1_27scan_by_key_config_selectorIj11FixedVectorIiLj4EEEEZZNS1_16scan_by_key_implILNS1_25lookback_scan_determinismE0ELb1ES3_N6thrust23THRUST_200600_302600_NS6detail15normal_iteratorINSB_10device_ptrIjEEEENSD_INSE_IS6_EEEESI_S6_NSB_4plusIvEENSB_8equal_toIvEES6_EE10hipError_tPvRmT2_T3_T4_T5_mT6_T7_P12ihipStream_tbENKUlT_T0_E_clISt17integral_constantIbLb1EES12_IbLb0EEEEDaSY_SZ_EUlSY_E_NS1_11comp_targetILNS1_3genE3ELNS1_11target_archE908ELNS1_3gpuE7ELNS1_3repE0EEENS1_30default_config_static_selectorELNS0_4arch9wavefront6targetE0EEEvT1_
; %bb.0:
	.section	.rodata,"a",@progbits
	.p2align	6, 0x0
	.amdhsa_kernel _ZN7rocprim17ROCPRIM_400000_NS6detail17trampoline_kernelINS0_14default_configENS1_27scan_by_key_config_selectorIj11FixedVectorIiLj4EEEEZZNS1_16scan_by_key_implILNS1_25lookback_scan_determinismE0ELb1ES3_N6thrust23THRUST_200600_302600_NS6detail15normal_iteratorINSB_10device_ptrIjEEEENSD_INSE_IS6_EEEESI_S6_NSB_4plusIvEENSB_8equal_toIvEES6_EE10hipError_tPvRmT2_T3_T4_T5_mT6_T7_P12ihipStream_tbENKUlT_T0_E_clISt17integral_constantIbLb1EES12_IbLb0EEEEDaSY_SZ_EUlSY_E_NS1_11comp_targetILNS1_3genE3ELNS1_11target_archE908ELNS1_3gpuE7ELNS1_3repE0EEENS1_30default_config_static_selectorELNS0_4arch9wavefront6targetE0EEEvT1_
		.amdhsa_group_segment_fixed_size 0
		.amdhsa_private_segment_fixed_size 0
		.amdhsa_kernarg_size 144
		.amdhsa_user_sgpr_count 2
		.amdhsa_user_sgpr_dispatch_ptr 0
		.amdhsa_user_sgpr_queue_ptr 0
		.amdhsa_user_sgpr_kernarg_segment_ptr 1
		.amdhsa_user_sgpr_dispatch_id 0
		.amdhsa_user_sgpr_kernarg_preload_length 0
		.amdhsa_user_sgpr_kernarg_preload_offset 0
		.amdhsa_user_sgpr_private_segment_size 0
		.amdhsa_wavefront_size32 1
		.amdhsa_uses_dynamic_stack 0
		.amdhsa_enable_private_segment 0
		.amdhsa_system_sgpr_workgroup_id_x 1
		.amdhsa_system_sgpr_workgroup_id_y 0
		.amdhsa_system_sgpr_workgroup_id_z 0
		.amdhsa_system_sgpr_workgroup_info 0
		.amdhsa_system_vgpr_workitem_id 0
		.amdhsa_next_free_vgpr 1
		.amdhsa_next_free_sgpr 1
		.amdhsa_named_barrier_count 0
		.amdhsa_reserve_vcc 0
		.amdhsa_float_round_mode_32 0
		.amdhsa_float_round_mode_16_64 0
		.amdhsa_float_denorm_mode_32 3
		.amdhsa_float_denorm_mode_16_64 3
		.amdhsa_fp16_overflow 0
		.amdhsa_memory_ordered 1
		.amdhsa_forward_progress 1
		.amdhsa_inst_pref_size 0
		.amdhsa_round_robin_scheduling 0
		.amdhsa_exception_fp_ieee_invalid_op 0
		.amdhsa_exception_fp_denorm_src 0
		.amdhsa_exception_fp_ieee_div_zero 0
		.amdhsa_exception_fp_ieee_overflow 0
		.amdhsa_exception_fp_ieee_underflow 0
		.amdhsa_exception_fp_ieee_inexact 0
		.amdhsa_exception_int_div_zero 0
	.end_amdhsa_kernel
	.section	.text._ZN7rocprim17ROCPRIM_400000_NS6detail17trampoline_kernelINS0_14default_configENS1_27scan_by_key_config_selectorIj11FixedVectorIiLj4EEEEZZNS1_16scan_by_key_implILNS1_25lookback_scan_determinismE0ELb1ES3_N6thrust23THRUST_200600_302600_NS6detail15normal_iteratorINSB_10device_ptrIjEEEENSD_INSE_IS6_EEEESI_S6_NSB_4plusIvEENSB_8equal_toIvEES6_EE10hipError_tPvRmT2_T3_T4_T5_mT6_T7_P12ihipStream_tbENKUlT_T0_E_clISt17integral_constantIbLb1EES12_IbLb0EEEEDaSY_SZ_EUlSY_E_NS1_11comp_targetILNS1_3genE3ELNS1_11target_archE908ELNS1_3gpuE7ELNS1_3repE0EEENS1_30default_config_static_selectorELNS0_4arch9wavefront6targetE0EEEvT1_,"axG",@progbits,_ZN7rocprim17ROCPRIM_400000_NS6detail17trampoline_kernelINS0_14default_configENS1_27scan_by_key_config_selectorIj11FixedVectorIiLj4EEEEZZNS1_16scan_by_key_implILNS1_25lookback_scan_determinismE0ELb1ES3_N6thrust23THRUST_200600_302600_NS6detail15normal_iteratorINSB_10device_ptrIjEEEENSD_INSE_IS6_EEEESI_S6_NSB_4plusIvEENSB_8equal_toIvEES6_EE10hipError_tPvRmT2_T3_T4_T5_mT6_T7_P12ihipStream_tbENKUlT_T0_E_clISt17integral_constantIbLb1EES12_IbLb0EEEEDaSY_SZ_EUlSY_E_NS1_11comp_targetILNS1_3genE3ELNS1_11target_archE908ELNS1_3gpuE7ELNS1_3repE0EEENS1_30default_config_static_selectorELNS0_4arch9wavefront6targetE0EEEvT1_,comdat
.Lfunc_end2097:
	.size	_ZN7rocprim17ROCPRIM_400000_NS6detail17trampoline_kernelINS0_14default_configENS1_27scan_by_key_config_selectorIj11FixedVectorIiLj4EEEEZZNS1_16scan_by_key_implILNS1_25lookback_scan_determinismE0ELb1ES3_N6thrust23THRUST_200600_302600_NS6detail15normal_iteratorINSB_10device_ptrIjEEEENSD_INSE_IS6_EEEESI_S6_NSB_4plusIvEENSB_8equal_toIvEES6_EE10hipError_tPvRmT2_T3_T4_T5_mT6_T7_P12ihipStream_tbENKUlT_T0_E_clISt17integral_constantIbLb1EES12_IbLb0EEEEDaSY_SZ_EUlSY_E_NS1_11comp_targetILNS1_3genE3ELNS1_11target_archE908ELNS1_3gpuE7ELNS1_3repE0EEENS1_30default_config_static_selectorELNS0_4arch9wavefront6targetE0EEEvT1_, .Lfunc_end2097-_ZN7rocprim17ROCPRIM_400000_NS6detail17trampoline_kernelINS0_14default_configENS1_27scan_by_key_config_selectorIj11FixedVectorIiLj4EEEEZZNS1_16scan_by_key_implILNS1_25lookback_scan_determinismE0ELb1ES3_N6thrust23THRUST_200600_302600_NS6detail15normal_iteratorINSB_10device_ptrIjEEEENSD_INSE_IS6_EEEESI_S6_NSB_4plusIvEENSB_8equal_toIvEES6_EE10hipError_tPvRmT2_T3_T4_T5_mT6_T7_P12ihipStream_tbENKUlT_T0_E_clISt17integral_constantIbLb1EES12_IbLb0EEEEDaSY_SZ_EUlSY_E_NS1_11comp_targetILNS1_3genE3ELNS1_11target_archE908ELNS1_3gpuE7ELNS1_3repE0EEENS1_30default_config_static_selectorELNS0_4arch9wavefront6targetE0EEEvT1_
                                        ; -- End function
	.set _ZN7rocprim17ROCPRIM_400000_NS6detail17trampoline_kernelINS0_14default_configENS1_27scan_by_key_config_selectorIj11FixedVectorIiLj4EEEEZZNS1_16scan_by_key_implILNS1_25lookback_scan_determinismE0ELb1ES3_N6thrust23THRUST_200600_302600_NS6detail15normal_iteratorINSB_10device_ptrIjEEEENSD_INSE_IS6_EEEESI_S6_NSB_4plusIvEENSB_8equal_toIvEES6_EE10hipError_tPvRmT2_T3_T4_T5_mT6_T7_P12ihipStream_tbENKUlT_T0_E_clISt17integral_constantIbLb1EES12_IbLb0EEEEDaSY_SZ_EUlSY_E_NS1_11comp_targetILNS1_3genE3ELNS1_11target_archE908ELNS1_3gpuE7ELNS1_3repE0EEENS1_30default_config_static_selectorELNS0_4arch9wavefront6targetE0EEEvT1_.num_vgpr, 0
	.set _ZN7rocprim17ROCPRIM_400000_NS6detail17trampoline_kernelINS0_14default_configENS1_27scan_by_key_config_selectorIj11FixedVectorIiLj4EEEEZZNS1_16scan_by_key_implILNS1_25lookback_scan_determinismE0ELb1ES3_N6thrust23THRUST_200600_302600_NS6detail15normal_iteratorINSB_10device_ptrIjEEEENSD_INSE_IS6_EEEESI_S6_NSB_4plusIvEENSB_8equal_toIvEES6_EE10hipError_tPvRmT2_T3_T4_T5_mT6_T7_P12ihipStream_tbENKUlT_T0_E_clISt17integral_constantIbLb1EES12_IbLb0EEEEDaSY_SZ_EUlSY_E_NS1_11comp_targetILNS1_3genE3ELNS1_11target_archE908ELNS1_3gpuE7ELNS1_3repE0EEENS1_30default_config_static_selectorELNS0_4arch9wavefront6targetE0EEEvT1_.num_agpr, 0
	.set _ZN7rocprim17ROCPRIM_400000_NS6detail17trampoline_kernelINS0_14default_configENS1_27scan_by_key_config_selectorIj11FixedVectorIiLj4EEEEZZNS1_16scan_by_key_implILNS1_25lookback_scan_determinismE0ELb1ES3_N6thrust23THRUST_200600_302600_NS6detail15normal_iteratorINSB_10device_ptrIjEEEENSD_INSE_IS6_EEEESI_S6_NSB_4plusIvEENSB_8equal_toIvEES6_EE10hipError_tPvRmT2_T3_T4_T5_mT6_T7_P12ihipStream_tbENKUlT_T0_E_clISt17integral_constantIbLb1EES12_IbLb0EEEEDaSY_SZ_EUlSY_E_NS1_11comp_targetILNS1_3genE3ELNS1_11target_archE908ELNS1_3gpuE7ELNS1_3repE0EEENS1_30default_config_static_selectorELNS0_4arch9wavefront6targetE0EEEvT1_.numbered_sgpr, 0
	.set _ZN7rocprim17ROCPRIM_400000_NS6detail17trampoline_kernelINS0_14default_configENS1_27scan_by_key_config_selectorIj11FixedVectorIiLj4EEEEZZNS1_16scan_by_key_implILNS1_25lookback_scan_determinismE0ELb1ES3_N6thrust23THRUST_200600_302600_NS6detail15normal_iteratorINSB_10device_ptrIjEEEENSD_INSE_IS6_EEEESI_S6_NSB_4plusIvEENSB_8equal_toIvEES6_EE10hipError_tPvRmT2_T3_T4_T5_mT6_T7_P12ihipStream_tbENKUlT_T0_E_clISt17integral_constantIbLb1EES12_IbLb0EEEEDaSY_SZ_EUlSY_E_NS1_11comp_targetILNS1_3genE3ELNS1_11target_archE908ELNS1_3gpuE7ELNS1_3repE0EEENS1_30default_config_static_selectorELNS0_4arch9wavefront6targetE0EEEvT1_.num_named_barrier, 0
	.set _ZN7rocprim17ROCPRIM_400000_NS6detail17trampoline_kernelINS0_14default_configENS1_27scan_by_key_config_selectorIj11FixedVectorIiLj4EEEEZZNS1_16scan_by_key_implILNS1_25lookback_scan_determinismE0ELb1ES3_N6thrust23THRUST_200600_302600_NS6detail15normal_iteratorINSB_10device_ptrIjEEEENSD_INSE_IS6_EEEESI_S6_NSB_4plusIvEENSB_8equal_toIvEES6_EE10hipError_tPvRmT2_T3_T4_T5_mT6_T7_P12ihipStream_tbENKUlT_T0_E_clISt17integral_constantIbLb1EES12_IbLb0EEEEDaSY_SZ_EUlSY_E_NS1_11comp_targetILNS1_3genE3ELNS1_11target_archE908ELNS1_3gpuE7ELNS1_3repE0EEENS1_30default_config_static_selectorELNS0_4arch9wavefront6targetE0EEEvT1_.private_seg_size, 0
	.set _ZN7rocprim17ROCPRIM_400000_NS6detail17trampoline_kernelINS0_14default_configENS1_27scan_by_key_config_selectorIj11FixedVectorIiLj4EEEEZZNS1_16scan_by_key_implILNS1_25lookback_scan_determinismE0ELb1ES3_N6thrust23THRUST_200600_302600_NS6detail15normal_iteratorINSB_10device_ptrIjEEEENSD_INSE_IS6_EEEESI_S6_NSB_4plusIvEENSB_8equal_toIvEES6_EE10hipError_tPvRmT2_T3_T4_T5_mT6_T7_P12ihipStream_tbENKUlT_T0_E_clISt17integral_constantIbLb1EES12_IbLb0EEEEDaSY_SZ_EUlSY_E_NS1_11comp_targetILNS1_3genE3ELNS1_11target_archE908ELNS1_3gpuE7ELNS1_3repE0EEENS1_30default_config_static_selectorELNS0_4arch9wavefront6targetE0EEEvT1_.uses_vcc, 0
	.set _ZN7rocprim17ROCPRIM_400000_NS6detail17trampoline_kernelINS0_14default_configENS1_27scan_by_key_config_selectorIj11FixedVectorIiLj4EEEEZZNS1_16scan_by_key_implILNS1_25lookback_scan_determinismE0ELb1ES3_N6thrust23THRUST_200600_302600_NS6detail15normal_iteratorINSB_10device_ptrIjEEEENSD_INSE_IS6_EEEESI_S6_NSB_4plusIvEENSB_8equal_toIvEES6_EE10hipError_tPvRmT2_T3_T4_T5_mT6_T7_P12ihipStream_tbENKUlT_T0_E_clISt17integral_constantIbLb1EES12_IbLb0EEEEDaSY_SZ_EUlSY_E_NS1_11comp_targetILNS1_3genE3ELNS1_11target_archE908ELNS1_3gpuE7ELNS1_3repE0EEENS1_30default_config_static_selectorELNS0_4arch9wavefront6targetE0EEEvT1_.uses_flat_scratch, 0
	.set _ZN7rocprim17ROCPRIM_400000_NS6detail17trampoline_kernelINS0_14default_configENS1_27scan_by_key_config_selectorIj11FixedVectorIiLj4EEEEZZNS1_16scan_by_key_implILNS1_25lookback_scan_determinismE0ELb1ES3_N6thrust23THRUST_200600_302600_NS6detail15normal_iteratorINSB_10device_ptrIjEEEENSD_INSE_IS6_EEEESI_S6_NSB_4plusIvEENSB_8equal_toIvEES6_EE10hipError_tPvRmT2_T3_T4_T5_mT6_T7_P12ihipStream_tbENKUlT_T0_E_clISt17integral_constantIbLb1EES12_IbLb0EEEEDaSY_SZ_EUlSY_E_NS1_11comp_targetILNS1_3genE3ELNS1_11target_archE908ELNS1_3gpuE7ELNS1_3repE0EEENS1_30default_config_static_selectorELNS0_4arch9wavefront6targetE0EEEvT1_.has_dyn_sized_stack, 0
	.set _ZN7rocprim17ROCPRIM_400000_NS6detail17trampoline_kernelINS0_14default_configENS1_27scan_by_key_config_selectorIj11FixedVectorIiLj4EEEEZZNS1_16scan_by_key_implILNS1_25lookback_scan_determinismE0ELb1ES3_N6thrust23THRUST_200600_302600_NS6detail15normal_iteratorINSB_10device_ptrIjEEEENSD_INSE_IS6_EEEESI_S6_NSB_4plusIvEENSB_8equal_toIvEES6_EE10hipError_tPvRmT2_T3_T4_T5_mT6_T7_P12ihipStream_tbENKUlT_T0_E_clISt17integral_constantIbLb1EES12_IbLb0EEEEDaSY_SZ_EUlSY_E_NS1_11comp_targetILNS1_3genE3ELNS1_11target_archE908ELNS1_3gpuE7ELNS1_3repE0EEENS1_30default_config_static_selectorELNS0_4arch9wavefront6targetE0EEEvT1_.has_recursion, 0
	.set _ZN7rocprim17ROCPRIM_400000_NS6detail17trampoline_kernelINS0_14default_configENS1_27scan_by_key_config_selectorIj11FixedVectorIiLj4EEEEZZNS1_16scan_by_key_implILNS1_25lookback_scan_determinismE0ELb1ES3_N6thrust23THRUST_200600_302600_NS6detail15normal_iteratorINSB_10device_ptrIjEEEENSD_INSE_IS6_EEEESI_S6_NSB_4plusIvEENSB_8equal_toIvEES6_EE10hipError_tPvRmT2_T3_T4_T5_mT6_T7_P12ihipStream_tbENKUlT_T0_E_clISt17integral_constantIbLb1EES12_IbLb0EEEEDaSY_SZ_EUlSY_E_NS1_11comp_targetILNS1_3genE3ELNS1_11target_archE908ELNS1_3gpuE7ELNS1_3repE0EEENS1_30default_config_static_selectorELNS0_4arch9wavefront6targetE0EEEvT1_.has_indirect_call, 0
	.section	.AMDGPU.csdata,"",@progbits
; Kernel info:
; codeLenInByte = 0
; TotalNumSgprs: 0
; NumVgprs: 0
; ScratchSize: 0
; MemoryBound: 0
; FloatMode: 240
; IeeeMode: 1
; LDSByteSize: 0 bytes/workgroup (compile time only)
; SGPRBlocks: 0
; VGPRBlocks: 0
; NumSGPRsForWavesPerEU: 1
; NumVGPRsForWavesPerEU: 1
; NamedBarCnt: 0
; Occupancy: 16
; WaveLimiterHint : 0
; COMPUTE_PGM_RSRC2:SCRATCH_EN: 0
; COMPUTE_PGM_RSRC2:USER_SGPR: 2
; COMPUTE_PGM_RSRC2:TRAP_HANDLER: 0
; COMPUTE_PGM_RSRC2:TGID_X_EN: 1
; COMPUTE_PGM_RSRC2:TGID_Y_EN: 0
; COMPUTE_PGM_RSRC2:TGID_Z_EN: 0
; COMPUTE_PGM_RSRC2:TIDIG_COMP_CNT: 0
	.section	.text._ZN7rocprim17ROCPRIM_400000_NS6detail17trampoline_kernelINS0_14default_configENS1_27scan_by_key_config_selectorIj11FixedVectorIiLj4EEEEZZNS1_16scan_by_key_implILNS1_25lookback_scan_determinismE0ELb1ES3_N6thrust23THRUST_200600_302600_NS6detail15normal_iteratorINSB_10device_ptrIjEEEENSD_INSE_IS6_EEEESI_S6_NSB_4plusIvEENSB_8equal_toIvEES6_EE10hipError_tPvRmT2_T3_T4_T5_mT6_T7_P12ihipStream_tbENKUlT_T0_E_clISt17integral_constantIbLb1EES12_IbLb0EEEEDaSY_SZ_EUlSY_E_NS1_11comp_targetILNS1_3genE2ELNS1_11target_archE906ELNS1_3gpuE6ELNS1_3repE0EEENS1_30default_config_static_selectorELNS0_4arch9wavefront6targetE0EEEvT1_,"axG",@progbits,_ZN7rocprim17ROCPRIM_400000_NS6detail17trampoline_kernelINS0_14default_configENS1_27scan_by_key_config_selectorIj11FixedVectorIiLj4EEEEZZNS1_16scan_by_key_implILNS1_25lookback_scan_determinismE0ELb1ES3_N6thrust23THRUST_200600_302600_NS6detail15normal_iteratorINSB_10device_ptrIjEEEENSD_INSE_IS6_EEEESI_S6_NSB_4plusIvEENSB_8equal_toIvEES6_EE10hipError_tPvRmT2_T3_T4_T5_mT6_T7_P12ihipStream_tbENKUlT_T0_E_clISt17integral_constantIbLb1EES12_IbLb0EEEEDaSY_SZ_EUlSY_E_NS1_11comp_targetILNS1_3genE2ELNS1_11target_archE906ELNS1_3gpuE6ELNS1_3repE0EEENS1_30default_config_static_selectorELNS0_4arch9wavefront6targetE0EEEvT1_,comdat
	.protected	_ZN7rocprim17ROCPRIM_400000_NS6detail17trampoline_kernelINS0_14default_configENS1_27scan_by_key_config_selectorIj11FixedVectorIiLj4EEEEZZNS1_16scan_by_key_implILNS1_25lookback_scan_determinismE0ELb1ES3_N6thrust23THRUST_200600_302600_NS6detail15normal_iteratorINSB_10device_ptrIjEEEENSD_INSE_IS6_EEEESI_S6_NSB_4plusIvEENSB_8equal_toIvEES6_EE10hipError_tPvRmT2_T3_T4_T5_mT6_T7_P12ihipStream_tbENKUlT_T0_E_clISt17integral_constantIbLb1EES12_IbLb0EEEEDaSY_SZ_EUlSY_E_NS1_11comp_targetILNS1_3genE2ELNS1_11target_archE906ELNS1_3gpuE6ELNS1_3repE0EEENS1_30default_config_static_selectorELNS0_4arch9wavefront6targetE0EEEvT1_ ; -- Begin function _ZN7rocprim17ROCPRIM_400000_NS6detail17trampoline_kernelINS0_14default_configENS1_27scan_by_key_config_selectorIj11FixedVectorIiLj4EEEEZZNS1_16scan_by_key_implILNS1_25lookback_scan_determinismE0ELb1ES3_N6thrust23THRUST_200600_302600_NS6detail15normal_iteratorINSB_10device_ptrIjEEEENSD_INSE_IS6_EEEESI_S6_NSB_4plusIvEENSB_8equal_toIvEES6_EE10hipError_tPvRmT2_T3_T4_T5_mT6_T7_P12ihipStream_tbENKUlT_T0_E_clISt17integral_constantIbLb1EES12_IbLb0EEEEDaSY_SZ_EUlSY_E_NS1_11comp_targetILNS1_3genE2ELNS1_11target_archE906ELNS1_3gpuE6ELNS1_3repE0EEENS1_30default_config_static_selectorELNS0_4arch9wavefront6targetE0EEEvT1_
	.globl	_ZN7rocprim17ROCPRIM_400000_NS6detail17trampoline_kernelINS0_14default_configENS1_27scan_by_key_config_selectorIj11FixedVectorIiLj4EEEEZZNS1_16scan_by_key_implILNS1_25lookback_scan_determinismE0ELb1ES3_N6thrust23THRUST_200600_302600_NS6detail15normal_iteratorINSB_10device_ptrIjEEEENSD_INSE_IS6_EEEESI_S6_NSB_4plusIvEENSB_8equal_toIvEES6_EE10hipError_tPvRmT2_T3_T4_T5_mT6_T7_P12ihipStream_tbENKUlT_T0_E_clISt17integral_constantIbLb1EES12_IbLb0EEEEDaSY_SZ_EUlSY_E_NS1_11comp_targetILNS1_3genE2ELNS1_11target_archE906ELNS1_3gpuE6ELNS1_3repE0EEENS1_30default_config_static_selectorELNS0_4arch9wavefront6targetE0EEEvT1_
	.p2align	8
	.type	_ZN7rocprim17ROCPRIM_400000_NS6detail17trampoline_kernelINS0_14default_configENS1_27scan_by_key_config_selectorIj11FixedVectorIiLj4EEEEZZNS1_16scan_by_key_implILNS1_25lookback_scan_determinismE0ELb1ES3_N6thrust23THRUST_200600_302600_NS6detail15normal_iteratorINSB_10device_ptrIjEEEENSD_INSE_IS6_EEEESI_S6_NSB_4plusIvEENSB_8equal_toIvEES6_EE10hipError_tPvRmT2_T3_T4_T5_mT6_T7_P12ihipStream_tbENKUlT_T0_E_clISt17integral_constantIbLb1EES12_IbLb0EEEEDaSY_SZ_EUlSY_E_NS1_11comp_targetILNS1_3genE2ELNS1_11target_archE906ELNS1_3gpuE6ELNS1_3repE0EEENS1_30default_config_static_selectorELNS0_4arch9wavefront6targetE0EEEvT1_,@function
_ZN7rocprim17ROCPRIM_400000_NS6detail17trampoline_kernelINS0_14default_configENS1_27scan_by_key_config_selectorIj11FixedVectorIiLj4EEEEZZNS1_16scan_by_key_implILNS1_25lookback_scan_determinismE0ELb1ES3_N6thrust23THRUST_200600_302600_NS6detail15normal_iteratorINSB_10device_ptrIjEEEENSD_INSE_IS6_EEEESI_S6_NSB_4plusIvEENSB_8equal_toIvEES6_EE10hipError_tPvRmT2_T3_T4_T5_mT6_T7_P12ihipStream_tbENKUlT_T0_E_clISt17integral_constantIbLb1EES12_IbLb0EEEEDaSY_SZ_EUlSY_E_NS1_11comp_targetILNS1_3genE2ELNS1_11target_archE906ELNS1_3gpuE6ELNS1_3repE0EEENS1_30default_config_static_selectorELNS0_4arch9wavefront6targetE0EEEvT1_: ; @_ZN7rocprim17ROCPRIM_400000_NS6detail17trampoline_kernelINS0_14default_configENS1_27scan_by_key_config_selectorIj11FixedVectorIiLj4EEEEZZNS1_16scan_by_key_implILNS1_25lookback_scan_determinismE0ELb1ES3_N6thrust23THRUST_200600_302600_NS6detail15normal_iteratorINSB_10device_ptrIjEEEENSD_INSE_IS6_EEEESI_S6_NSB_4plusIvEENSB_8equal_toIvEES6_EE10hipError_tPvRmT2_T3_T4_T5_mT6_T7_P12ihipStream_tbENKUlT_T0_E_clISt17integral_constantIbLb1EES12_IbLb0EEEEDaSY_SZ_EUlSY_E_NS1_11comp_targetILNS1_3genE2ELNS1_11target_archE906ELNS1_3gpuE6ELNS1_3repE0EEENS1_30default_config_static_selectorELNS0_4arch9wavefront6targetE0EEEvT1_
; %bb.0:
	.section	.rodata,"a",@progbits
	.p2align	6, 0x0
	.amdhsa_kernel _ZN7rocprim17ROCPRIM_400000_NS6detail17trampoline_kernelINS0_14default_configENS1_27scan_by_key_config_selectorIj11FixedVectorIiLj4EEEEZZNS1_16scan_by_key_implILNS1_25lookback_scan_determinismE0ELb1ES3_N6thrust23THRUST_200600_302600_NS6detail15normal_iteratorINSB_10device_ptrIjEEEENSD_INSE_IS6_EEEESI_S6_NSB_4plusIvEENSB_8equal_toIvEES6_EE10hipError_tPvRmT2_T3_T4_T5_mT6_T7_P12ihipStream_tbENKUlT_T0_E_clISt17integral_constantIbLb1EES12_IbLb0EEEEDaSY_SZ_EUlSY_E_NS1_11comp_targetILNS1_3genE2ELNS1_11target_archE906ELNS1_3gpuE6ELNS1_3repE0EEENS1_30default_config_static_selectorELNS0_4arch9wavefront6targetE0EEEvT1_
		.amdhsa_group_segment_fixed_size 0
		.amdhsa_private_segment_fixed_size 0
		.amdhsa_kernarg_size 144
		.amdhsa_user_sgpr_count 2
		.amdhsa_user_sgpr_dispatch_ptr 0
		.amdhsa_user_sgpr_queue_ptr 0
		.amdhsa_user_sgpr_kernarg_segment_ptr 1
		.amdhsa_user_sgpr_dispatch_id 0
		.amdhsa_user_sgpr_kernarg_preload_length 0
		.amdhsa_user_sgpr_kernarg_preload_offset 0
		.amdhsa_user_sgpr_private_segment_size 0
		.amdhsa_wavefront_size32 1
		.amdhsa_uses_dynamic_stack 0
		.amdhsa_enable_private_segment 0
		.amdhsa_system_sgpr_workgroup_id_x 1
		.amdhsa_system_sgpr_workgroup_id_y 0
		.amdhsa_system_sgpr_workgroup_id_z 0
		.amdhsa_system_sgpr_workgroup_info 0
		.amdhsa_system_vgpr_workitem_id 0
		.amdhsa_next_free_vgpr 1
		.amdhsa_next_free_sgpr 1
		.amdhsa_named_barrier_count 0
		.amdhsa_reserve_vcc 0
		.amdhsa_float_round_mode_32 0
		.amdhsa_float_round_mode_16_64 0
		.amdhsa_float_denorm_mode_32 3
		.amdhsa_float_denorm_mode_16_64 3
		.amdhsa_fp16_overflow 0
		.amdhsa_memory_ordered 1
		.amdhsa_forward_progress 1
		.amdhsa_inst_pref_size 0
		.amdhsa_round_robin_scheduling 0
		.amdhsa_exception_fp_ieee_invalid_op 0
		.amdhsa_exception_fp_denorm_src 0
		.amdhsa_exception_fp_ieee_div_zero 0
		.amdhsa_exception_fp_ieee_overflow 0
		.amdhsa_exception_fp_ieee_underflow 0
		.amdhsa_exception_fp_ieee_inexact 0
		.amdhsa_exception_int_div_zero 0
	.end_amdhsa_kernel
	.section	.text._ZN7rocprim17ROCPRIM_400000_NS6detail17trampoline_kernelINS0_14default_configENS1_27scan_by_key_config_selectorIj11FixedVectorIiLj4EEEEZZNS1_16scan_by_key_implILNS1_25lookback_scan_determinismE0ELb1ES3_N6thrust23THRUST_200600_302600_NS6detail15normal_iteratorINSB_10device_ptrIjEEEENSD_INSE_IS6_EEEESI_S6_NSB_4plusIvEENSB_8equal_toIvEES6_EE10hipError_tPvRmT2_T3_T4_T5_mT6_T7_P12ihipStream_tbENKUlT_T0_E_clISt17integral_constantIbLb1EES12_IbLb0EEEEDaSY_SZ_EUlSY_E_NS1_11comp_targetILNS1_3genE2ELNS1_11target_archE906ELNS1_3gpuE6ELNS1_3repE0EEENS1_30default_config_static_selectorELNS0_4arch9wavefront6targetE0EEEvT1_,"axG",@progbits,_ZN7rocprim17ROCPRIM_400000_NS6detail17trampoline_kernelINS0_14default_configENS1_27scan_by_key_config_selectorIj11FixedVectorIiLj4EEEEZZNS1_16scan_by_key_implILNS1_25lookback_scan_determinismE0ELb1ES3_N6thrust23THRUST_200600_302600_NS6detail15normal_iteratorINSB_10device_ptrIjEEEENSD_INSE_IS6_EEEESI_S6_NSB_4plusIvEENSB_8equal_toIvEES6_EE10hipError_tPvRmT2_T3_T4_T5_mT6_T7_P12ihipStream_tbENKUlT_T0_E_clISt17integral_constantIbLb1EES12_IbLb0EEEEDaSY_SZ_EUlSY_E_NS1_11comp_targetILNS1_3genE2ELNS1_11target_archE906ELNS1_3gpuE6ELNS1_3repE0EEENS1_30default_config_static_selectorELNS0_4arch9wavefront6targetE0EEEvT1_,comdat
.Lfunc_end2098:
	.size	_ZN7rocprim17ROCPRIM_400000_NS6detail17trampoline_kernelINS0_14default_configENS1_27scan_by_key_config_selectorIj11FixedVectorIiLj4EEEEZZNS1_16scan_by_key_implILNS1_25lookback_scan_determinismE0ELb1ES3_N6thrust23THRUST_200600_302600_NS6detail15normal_iteratorINSB_10device_ptrIjEEEENSD_INSE_IS6_EEEESI_S6_NSB_4plusIvEENSB_8equal_toIvEES6_EE10hipError_tPvRmT2_T3_T4_T5_mT6_T7_P12ihipStream_tbENKUlT_T0_E_clISt17integral_constantIbLb1EES12_IbLb0EEEEDaSY_SZ_EUlSY_E_NS1_11comp_targetILNS1_3genE2ELNS1_11target_archE906ELNS1_3gpuE6ELNS1_3repE0EEENS1_30default_config_static_selectorELNS0_4arch9wavefront6targetE0EEEvT1_, .Lfunc_end2098-_ZN7rocprim17ROCPRIM_400000_NS6detail17trampoline_kernelINS0_14default_configENS1_27scan_by_key_config_selectorIj11FixedVectorIiLj4EEEEZZNS1_16scan_by_key_implILNS1_25lookback_scan_determinismE0ELb1ES3_N6thrust23THRUST_200600_302600_NS6detail15normal_iteratorINSB_10device_ptrIjEEEENSD_INSE_IS6_EEEESI_S6_NSB_4plusIvEENSB_8equal_toIvEES6_EE10hipError_tPvRmT2_T3_T4_T5_mT6_T7_P12ihipStream_tbENKUlT_T0_E_clISt17integral_constantIbLb1EES12_IbLb0EEEEDaSY_SZ_EUlSY_E_NS1_11comp_targetILNS1_3genE2ELNS1_11target_archE906ELNS1_3gpuE6ELNS1_3repE0EEENS1_30default_config_static_selectorELNS0_4arch9wavefront6targetE0EEEvT1_
                                        ; -- End function
	.set _ZN7rocprim17ROCPRIM_400000_NS6detail17trampoline_kernelINS0_14default_configENS1_27scan_by_key_config_selectorIj11FixedVectorIiLj4EEEEZZNS1_16scan_by_key_implILNS1_25lookback_scan_determinismE0ELb1ES3_N6thrust23THRUST_200600_302600_NS6detail15normal_iteratorINSB_10device_ptrIjEEEENSD_INSE_IS6_EEEESI_S6_NSB_4plusIvEENSB_8equal_toIvEES6_EE10hipError_tPvRmT2_T3_T4_T5_mT6_T7_P12ihipStream_tbENKUlT_T0_E_clISt17integral_constantIbLb1EES12_IbLb0EEEEDaSY_SZ_EUlSY_E_NS1_11comp_targetILNS1_3genE2ELNS1_11target_archE906ELNS1_3gpuE6ELNS1_3repE0EEENS1_30default_config_static_selectorELNS0_4arch9wavefront6targetE0EEEvT1_.num_vgpr, 0
	.set _ZN7rocprim17ROCPRIM_400000_NS6detail17trampoline_kernelINS0_14default_configENS1_27scan_by_key_config_selectorIj11FixedVectorIiLj4EEEEZZNS1_16scan_by_key_implILNS1_25lookback_scan_determinismE0ELb1ES3_N6thrust23THRUST_200600_302600_NS6detail15normal_iteratorINSB_10device_ptrIjEEEENSD_INSE_IS6_EEEESI_S6_NSB_4plusIvEENSB_8equal_toIvEES6_EE10hipError_tPvRmT2_T3_T4_T5_mT6_T7_P12ihipStream_tbENKUlT_T0_E_clISt17integral_constantIbLb1EES12_IbLb0EEEEDaSY_SZ_EUlSY_E_NS1_11comp_targetILNS1_3genE2ELNS1_11target_archE906ELNS1_3gpuE6ELNS1_3repE0EEENS1_30default_config_static_selectorELNS0_4arch9wavefront6targetE0EEEvT1_.num_agpr, 0
	.set _ZN7rocprim17ROCPRIM_400000_NS6detail17trampoline_kernelINS0_14default_configENS1_27scan_by_key_config_selectorIj11FixedVectorIiLj4EEEEZZNS1_16scan_by_key_implILNS1_25lookback_scan_determinismE0ELb1ES3_N6thrust23THRUST_200600_302600_NS6detail15normal_iteratorINSB_10device_ptrIjEEEENSD_INSE_IS6_EEEESI_S6_NSB_4plusIvEENSB_8equal_toIvEES6_EE10hipError_tPvRmT2_T3_T4_T5_mT6_T7_P12ihipStream_tbENKUlT_T0_E_clISt17integral_constantIbLb1EES12_IbLb0EEEEDaSY_SZ_EUlSY_E_NS1_11comp_targetILNS1_3genE2ELNS1_11target_archE906ELNS1_3gpuE6ELNS1_3repE0EEENS1_30default_config_static_selectorELNS0_4arch9wavefront6targetE0EEEvT1_.numbered_sgpr, 0
	.set _ZN7rocprim17ROCPRIM_400000_NS6detail17trampoline_kernelINS0_14default_configENS1_27scan_by_key_config_selectorIj11FixedVectorIiLj4EEEEZZNS1_16scan_by_key_implILNS1_25lookback_scan_determinismE0ELb1ES3_N6thrust23THRUST_200600_302600_NS6detail15normal_iteratorINSB_10device_ptrIjEEEENSD_INSE_IS6_EEEESI_S6_NSB_4plusIvEENSB_8equal_toIvEES6_EE10hipError_tPvRmT2_T3_T4_T5_mT6_T7_P12ihipStream_tbENKUlT_T0_E_clISt17integral_constantIbLb1EES12_IbLb0EEEEDaSY_SZ_EUlSY_E_NS1_11comp_targetILNS1_3genE2ELNS1_11target_archE906ELNS1_3gpuE6ELNS1_3repE0EEENS1_30default_config_static_selectorELNS0_4arch9wavefront6targetE0EEEvT1_.num_named_barrier, 0
	.set _ZN7rocprim17ROCPRIM_400000_NS6detail17trampoline_kernelINS0_14default_configENS1_27scan_by_key_config_selectorIj11FixedVectorIiLj4EEEEZZNS1_16scan_by_key_implILNS1_25lookback_scan_determinismE0ELb1ES3_N6thrust23THRUST_200600_302600_NS6detail15normal_iteratorINSB_10device_ptrIjEEEENSD_INSE_IS6_EEEESI_S6_NSB_4plusIvEENSB_8equal_toIvEES6_EE10hipError_tPvRmT2_T3_T4_T5_mT6_T7_P12ihipStream_tbENKUlT_T0_E_clISt17integral_constantIbLb1EES12_IbLb0EEEEDaSY_SZ_EUlSY_E_NS1_11comp_targetILNS1_3genE2ELNS1_11target_archE906ELNS1_3gpuE6ELNS1_3repE0EEENS1_30default_config_static_selectorELNS0_4arch9wavefront6targetE0EEEvT1_.private_seg_size, 0
	.set _ZN7rocprim17ROCPRIM_400000_NS6detail17trampoline_kernelINS0_14default_configENS1_27scan_by_key_config_selectorIj11FixedVectorIiLj4EEEEZZNS1_16scan_by_key_implILNS1_25lookback_scan_determinismE0ELb1ES3_N6thrust23THRUST_200600_302600_NS6detail15normal_iteratorINSB_10device_ptrIjEEEENSD_INSE_IS6_EEEESI_S6_NSB_4plusIvEENSB_8equal_toIvEES6_EE10hipError_tPvRmT2_T3_T4_T5_mT6_T7_P12ihipStream_tbENKUlT_T0_E_clISt17integral_constantIbLb1EES12_IbLb0EEEEDaSY_SZ_EUlSY_E_NS1_11comp_targetILNS1_3genE2ELNS1_11target_archE906ELNS1_3gpuE6ELNS1_3repE0EEENS1_30default_config_static_selectorELNS0_4arch9wavefront6targetE0EEEvT1_.uses_vcc, 0
	.set _ZN7rocprim17ROCPRIM_400000_NS6detail17trampoline_kernelINS0_14default_configENS1_27scan_by_key_config_selectorIj11FixedVectorIiLj4EEEEZZNS1_16scan_by_key_implILNS1_25lookback_scan_determinismE0ELb1ES3_N6thrust23THRUST_200600_302600_NS6detail15normal_iteratorINSB_10device_ptrIjEEEENSD_INSE_IS6_EEEESI_S6_NSB_4plusIvEENSB_8equal_toIvEES6_EE10hipError_tPvRmT2_T3_T4_T5_mT6_T7_P12ihipStream_tbENKUlT_T0_E_clISt17integral_constantIbLb1EES12_IbLb0EEEEDaSY_SZ_EUlSY_E_NS1_11comp_targetILNS1_3genE2ELNS1_11target_archE906ELNS1_3gpuE6ELNS1_3repE0EEENS1_30default_config_static_selectorELNS0_4arch9wavefront6targetE0EEEvT1_.uses_flat_scratch, 0
	.set _ZN7rocprim17ROCPRIM_400000_NS6detail17trampoline_kernelINS0_14default_configENS1_27scan_by_key_config_selectorIj11FixedVectorIiLj4EEEEZZNS1_16scan_by_key_implILNS1_25lookback_scan_determinismE0ELb1ES3_N6thrust23THRUST_200600_302600_NS6detail15normal_iteratorINSB_10device_ptrIjEEEENSD_INSE_IS6_EEEESI_S6_NSB_4plusIvEENSB_8equal_toIvEES6_EE10hipError_tPvRmT2_T3_T4_T5_mT6_T7_P12ihipStream_tbENKUlT_T0_E_clISt17integral_constantIbLb1EES12_IbLb0EEEEDaSY_SZ_EUlSY_E_NS1_11comp_targetILNS1_3genE2ELNS1_11target_archE906ELNS1_3gpuE6ELNS1_3repE0EEENS1_30default_config_static_selectorELNS0_4arch9wavefront6targetE0EEEvT1_.has_dyn_sized_stack, 0
	.set _ZN7rocprim17ROCPRIM_400000_NS6detail17trampoline_kernelINS0_14default_configENS1_27scan_by_key_config_selectorIj11FixedVectorIiLj4EEEEZZNS1_16scan_by_key_implILNS1_25lookback_scan_determinismE0ELb1ES3_N6thrust23THRUST_200600_302600_NS6detail15normal_iteratorINSB_10device_ptrIjEEEENSD_INSE_IS6_EEEESI_S6_NSB_4plusIvEENSB_8equal_toIvEES6_EE10hipError_tPvRmT2_T3_T4_T5_mT6_T7_P12ihipStream_tbENKUlT_T0_E_clISt17integral_constantIbLb1EES12_IbLb0EEEEDaSY_SZ_EUlSY_E_NS1_11comp_targetILNS1_3genE2ELNS1_11target_archE906ELNS1_3gpuE6ELNS1_3repE0EEENS1_30default_config_static_selectorELNS0_4arch9wavefront6targetE0EEEvT1_.has_recursion, 0
	.set _ZN7rocprim17ROCPRIM_400000_NS6detail17trampoline_kernelINS0_14default_configENS1_27scan_by_key_config_selectorIj11FixedVectorIiLj4EEEEZZNS1_16scan_by_key_implILNS1_25lookback_scan_determinismE0ELb1ES3_N6thrust23THRUST_200600_302600_NS6detail15normal_iteratorINSB_10device_ptrIjEEEENSD_INSE_IS6_EEEESI_S6_NSB_4plusIvEENSB_8equal_toIvEES6_EE10hipError_tPvRmT2_T3_T4_T5_mT6_T7_P12ihipStream_tbENKUlT_T0_E_clISt17integral_constantIbLb1EES12_IbLb0EEEEDaSY_SZ_EUlSY_E_NS1_11comp_targetILNS1_3genE2ELNS1_11target_archE906ELNS1_3gpuE6ELNS1_3repE0EEENS1_30default_config_static_selectorELNS0_4arch9wavefront6targetE0EEEvT1_.has_indirect_call, 0
	.section	.AMDGPU.csdata,"",@progbits
; Kernel info:
; codeLenInByte = 0
; TotalNumSgprs: 0
; NumVgprs: 0
; ScratchSize: 0
; MemoryBound: 0
; FloatMode: 240
; IeeeMode: 1
; LDSByteSize: 0 bytes/workgroup (compile time only)
; SGPRBlocks: 0
; VGPRBlocks: 0
; NumSGPRsForWavesPerEU: 1
; NumVGPRsForWavesPerEU: 1
; NamedBarCnt: 0
; Occupancy: 16
; WaveLimiterHint : 0
; COMPUTE_PGM_RSRC2:SCRATCH_EN: 0
; COMPUTE_PGM_RSRC2:USER_SGPR: 2
; COMPUTE_PGM_RSRC2:TRAP_HANDLER: 0
; COMPUTE_PGM_RSRC2:TGID_X_EN: 1
; COMPUTE_PGM_RSRC2:TGID_Y_EN: 0
; COMPUTE_PGM_RSRC2:TGID_Z_EN: 0
; COMPUTE_PGM_RSRC2:TIDIG_COMP_CNT: 0
	.section	.text._ZN7rocprim17ROCPRIM_400000_NS6detail17trampoline_kernelINS0_14default_configENS1_27scan_by_key_config_selectorIj11FixedVectorIiLj4EEEEZZNS1_16scan_by_key_implILNS1_25lookback_scan_determinismE0ELb1ES3_N6thrust23THRUST_200600_302600_NS6detail15normal_iteratorINSB_10device_ptrIjEEEENSD_INSE_IS6_EEEESI_S6_NSB_4plusIvEENSB_8equal_toIvEES6_EE10hipError_tPvRmT2_T3_T4_T5_mT6_T7_P12ihipStream_tbENKUlT_T0_E_clISt17integral_constantIbLb1EES12_IbLb0EEEEDaSY_SZ_EUlSY_E_NS1_11comp_targetILNS1_3genE10ELNS1_11target_archE1200ELNS1_3gpuE4ELNS1_3repE0EEENS1_30default_config_static_selectorELNS0_4arch9wavefront6targetE0EEEvT1_,"axG",@progbits,_ZN7rocprim17ROCPRIM_400000_NS6detail17trampoline_kernelINS0_14default_configENS1_27scan_by_key_config_selectorIj11FixedVectorIiLj4EEEEZZNS1_16scan_by_key_implILNS1_25lookback_scan_determinismE0ELb1ES3_N6thrust23THRUST_200600_302600_NS6detail15normal_iteratorINSB_10device_ptrIjEEEENSD_INSE_IS6_EEEESI_S6_NSB_4plusIvEENSB_8equal_toIvEES6_EE10hipError_tPvRmT2_T3_T4_T5_mT6_T7_P12ihipStream_tbENKUlT_T0_E_clISt17integral_constantIbLb1EES12_IbLb0EEEEDaSY_SZ_EUlSY_E_NS1_11comp_targetILNS1_3genE10ELNS1_11target_archE1200ELNS1_3gpuE4ELNS1_3repE0EEENS1_30default_config_static_selectorELNS0_4arch9wavefront6targetE0EEEvT1_,comdat
	.protected	_ZN7rocprim17ROCPRIM_400000_NS6detail17trampoline_kernelINS0_14default_configENS1_27scan_by_key_config_selectorIj11FixedVectorIiLj4EEEEZZNS1_16scan_by_key_implILNS1_25lookback_scan_determinismE0ELb1ES3_N6thrust23THRUST_200600_302600_NS6detail15normal_iteratorINSB_10device_ptrIjEEEENSD_INSE_IS6_EEEESI_S6_NSB_4plusIvEENSB_8equal_toIvEES6_EE10hipError_tPvRmT2_T3_T4_T5_mT6_T7_P12ihipStream_tbENKUlT_T0_E_clISt17integral_constantIbLb1EES12_IbLb0EEEEDaSY_SZ_EUlSY_E_NS1_11comp_targetILNS1_3genE10ELNS1_11target_archE1200ELNS1_3gpuE4ELNS1_3repE0EEENS1_30default_config_static_selectorELNS0_4arch9wavefront6targetE0EEEvT1_ ; -- Begin function _ZN7rocprim17ROCPRIM_400000_NS6detail17trampoline_kernelINS0_14default_configENS1_27scan_by_key_config_selectorIj11FixedVectorIiLj4EEEEZZNS1_16scan_by_key_implILNS1_25lookback_scan_determinismE0ELb1ES3_N6thrust23THRUST_200600_302600_NS6detail15normal_iteratorINSB_10device_ptrIjEEEENSD_INSE_IS6_EEEESI_S6_NSB_4plusIvEENSB_8equal_toIvEES6_EE10hipError_tPvRmT2_T3_T4_T5_mT6_T7_P12ihipStream_tbENKUlT_T0_E_clISt17integral_constantIbLb1EES12_IbLb0EEEEDaSY_SZ_EUlSY_E_NS1_11comp_targetILNS1_3genE10ELNS1_11target_archE1200ELNS1_3gpuE4ELNS1_3repE0EEENS1_30default_config_static_selectorELNS0_4arch9wavefront6targetE0EEEvT1_
	.globl	_ZN7rocprim17ROCPRIM_400000_NS6detail17trampoline_kernelINS0_14default_configENS1_27scan_by_key_config_selectorIj11FixedVectorIiLj4EEEEZZNS1_16scan_by_key_implILNS1_25lookback_scan_determinismE0ELb1ES3_N6thrust23THRUST_200600_302600_NS6detail15normal_iteratorINSB_10device_ptrIjEEEENSD_INSE_IS6_EEEESI_S6_NSB_4plusIvEENSB_8equal_toIvEES6_EE10hipError_tPvRmT2_T3_T4_T5_mT6_T7_P12ihipStream_tbENKUlT_T0_E_clISt17integral_constantIbLb1EES12_IbLb0EEEEDaSY_SZ_EUlSY_E_NS1_11comp_targetILNS1_3genE10ELNS1_11target_archE1200ELNS1_3gpuE4ELNS1_3repE0EEENS1_30default_config_static_selectorELNS0_4arch9wavefront6targetE0EEEvT1_
	.p2align	8
	.type	_ZN7rocprim17ROCPRIM_400000_NS6detail17trampoline_kernelINS0_14default_configENS1_27scan_by_key_config_selectorIj11FixedVectorIiLj4EEEEZZNS1_16scan_by_key_implILNS1_25lookback_scan_determinismE0ELb1ES3_N6thrust23THRUST_200600_302600_NS6detail15normal_iteratorINSB_10device_ptrIjEEEENSD_INSE_IS6_EEEESI_S6_NSB_4plusIvEENSB_8equal_toIvEES6_EE10hipError_tPvRmT2_T3_T4_T5_mT6_T7_P12ihipStream_tbENKUlT_T0_E_clISt17integral_constantIbLb1EES12_IbLb0EEEEDaSY_SZ_EUlSY_E_NS1_11comp_targetILNS1_3genE10ELNS1_11target_archE1200ELNS1_3gpuE4ELNS1_3repE0EEENS1_30default_config_static_selectorELNS0_4arch9wavefront6targetE0EEEvT1_,@function
_ZN7rocprim17ROCPRIM_400000_NS6detail17trampoline_kernelINS0_14default_configENS1_27scan_by_key_config_selectorIj11FixedVectorIiLj4EEEEZZNS1_16scan_by_key_implILNS1_25lookback_scan_determinismE0ELb1ES3_N6thrust23THRUST_200600_302600_NS6detail15normal_iteratorINSB_10device_ptrIjEEEENSD_INSE_IS6_EEEESI_S6_NSB_4plusIvEENSB_8equal_toIvEES6_EE10hipError_tPvRmT2_T3_T4_T5_mT6_T7_P12ihipStream_tbENKUlT_T0_E_clISt17integral_constantIbLb1EES12_IbLb0EEEEDaSY_SZ_EUlSY_E_NS1_11comp_targetILNS1_3genE10ELNS1_11target_archE1200ELNS1_3gpuE4ELNS1_3repE0EEENS1_30default_config_static_selectorELNS0_4arch9wavefront6targetE0EEEvT1_: ; @_ZN7rocprim17ROCPRIM_400000_NS6detail17trampoline_kernelINS0_14default_configENS1_27scan_by_key_config_selectorIj11FixedVectorIiLj4EEEEZZNS1_16scan_by_key_implILNS1_25lookback_scan_determinismE0ELb1ES3_N6thrust23THRUST_200600_302600_NS6detail15normal_iteratorINSB_10device_ptrIjEEEENSD_INSE_IS6_EEEESI_S6_NSB_4plusIvEENSB_8equal_toIvEES6_EE10hipError_tPvRmT2_T3_T4_T5_mT6_T7_P12ihipStream_tbENKUlT_T0_E_clISt17integral_constantIbLb1EES12_IbLb0EEEEDaSY_SZ_EUlSY_E_NS1_11comp_targetILNS1_3genE10ELNS1_11target_archE1200ELNS1_3gpuE4ELNS1_3repE0EEENS1_30default_config_static_selectorELNS0_4arch9wavefront6targetE0EEEvT1_
; %bb.0:
	.section	.rodata,"a",@progbits
	.p2align	6, 0x0
	.amdhsa_kernel _ZN7rocprim17ROCPRIM_400000_NS6detail17trampoline_kernelINS0_14default_configENS1_27scan_by_key_config_selectorIj11FixedVectorIiLj4EEEEZZNS1_16scan_by_key_implILNS1_25lookback_scan_determinismE0ELb1ES3_N6thrust23THRUST_200600_302600_NS6detail15normal_iteratorINSB_10device_ptrIjEEEENSD_INSE_IS6_EEEESI_S6_NSB_4plusIvEENSB_8equal_toIvEES6_EE10hipError_tPvRmT2_T3_T4_T5_mT6_T7_P12ihipStream_tbENKUlT_T0_E_clISt17integral_constantIbLb1EES12_IbLb0EEEEDaSY_SZ_EUlSY_E_NS1_11comp_targetILNS1_3genE10ELNS1_11target_archE1200ELNS1_3gpuE4ELNS1_3repE0EEENS1_30default_config_static_selectorELNS0_4arch9wavefront6targetE0EEEvT1_
		.amdhsa_group_segment_fixed_size 0
		.amdhsa_private_segment_fixed_size 0
		.amdhsa_kernarg_size 144
		.amdhsa_user_sgpr_count 2
		.amdhsa_user_sgpr_dispatch_ptr 0
		.amdhsa_user_sgpr_queue_ptr 0
		.amdhsa_user_sgpr_kernarg_segment_ptr 1
		.amdhsa_user_sgpr_dispatch_id 0
		.amdhsa_user_sgpr_kernarg_preload_length 0
		.amdhsa_user_sgpr_kernarg_preload_offset 0
		.amdhsa_user_sgpr_private_segment_size 0
		.amdhsa_wavefront_size32 1
		.amdhsa_uses_dynamic_stack 0
		.amdhsa_enable_private_segment 0
		.amdhsa_system_sgpr_workgroup_id_x 1
		.amdhsa_system_sgpr_workgroup_id_y 0
		.amdhsa_system_sgpr_workgroup_id_z 0
		.amdhsa_system_sgpr_workgroup_info 0
		.amdhsa_system_vgpr_workitem_id 0
		.amdhsa_next_free_vgpr 1
		.amdhsa_next_free_sgpr 1
		.amdhsa_named_barrier_count 0
		.amdhsa_reserve_vcc 0
		.amdhsa_float_round_mode_32 0
		.amdhsa_float_round_mode_16_64 0
		.amdhsa_float_denorm_mode_32 3
		.amdhsa_float_denorm_mode_16_64 3
		.amdhsa_fp16_overflow 0
		.amdhsa_memory_ordered 1
		.amdhsa_forward_progress 1
		.amdhsa_inst_pref_size 0
		.amdhsa_round_robin_scheduling 0
		.amdhsa_exception_fp_ieee_invalid_op 0
		.amdhsa_exception_fp_denorm_src 0
		.amdhsa_exception_fp_ieee_div_zero 0
		.amdhsa_exception_fp_ieee_overflow 0
		.amdhsa_exception_fp_ieee_underflow 0
		.amdhsa_exception_fp_ieee_inexact 0
		.amdhsa_exception_int_div_zero 0
	.end_amdhsa_kernel
	.section	.text._ZN7rocprim17ROCPRIM_400000_NS6detail17trampoline_kernelINS0_14default_configENS1_27scan_by_key_config_selectorIj11FixedVectorIiLj4EEEEZZNS1_16scan_by_key_implILNS1_25lookback_scan_determinismE0ELb1ES3_N6thrust23THRUST_200600_302600_NS6detail15normal_iteratorINSB_10device_ptrIjEEEENSD_INSE_IS6_EEEESI_S6_NSB_4plusIvEENSB_8equal_toIvEES6_EE10hipError_tPvRmT2_T3_T4_T5_mT6_T7_P12ihipStream_tbENKUlT_T0_E_clISt17integral_constantIbLb1EES12_IbLb0EEEEDaSY_SZ_EUlSY_E_NS1_11comp_targetILNS1_3genE10ELNS1_11target_archE1200ELNS1_3gpuE4ELNS1_3repE0EEENS1_30default_config_static_selectorELNS0_4arch9wavefront6targetE0EEEvT1_,"axG",@progbits,_ZN7rocprim17ROCPRIM_400000_NS6detail17trampoline_kernelINS0_14default_configENS1_27scan_by_key_config_selectorIj11FixedVectorIiLj4EEEEZZNS1_16scan_by_key_implILNS1_25lookback_scan_determinismE0ELb1ES3_N6thrust23THRUST_200600_302600_NS6detail15normal_iteratorINSB_10device_ptrIjEEEENSD_INSE_IS6_EEEESI_S6_NSB_4plusIvEENSB_8equal_toIvEES6_EE10hipError_tPvRmT2_T3_T4_T5_mT6_T7_P12ihipStream_tbENKUlT_T0_E_clISt17integral_constantIbLb1EES12_IbLb0EEEEDaSY_SZ_EUlSY_E_NS1_11comp_targetILNS1_3genE10ELNS1_11target_archE1200ELNS1_3gpuE4ELNS1_3repE0EEENS1_30default_config_static_selectorELNS0_4arch9wavefront6targetE0EEEvT1_,comdat
.Lfunc_end2099:
	.size	_ZN7rocprim17ROCPRIM_400000_NS6detail17trampoline_kernelINS0_14default_configENS1_27scan_by_key_config_selectorIj11FixedVectorIiLj4EEEEZZNS1_16scan_by_key_implILNS1_25lookback_scan_determinismE0ELb1ES3_N6thrust23THRUST_200600_302600_NS6detail15normal_iteratorINSB_10device_ptrIjEEEENSD_INSE_IS6_EEEESI_S6_NSB_4plusIvEENSB_8equal_toIvEES6_EE10hipError_tPvRmT2_T3_T4_T5_mT6_T7_P12ihipStream_tbENKUlT_T0_E_clISt17integral_constantIbLb1EES12_IbLb0EEEEDaSY_SZ_EUlSY_E_NS1_11comp_targetILNS1_3genE10ELNS1_11target_archE1200ELNS1_3gpuE4ELNS1_3repE0EEENS1_30default_config_static_selectorELNS0_4arch9wavefront6targetE0EEEvT1_, .Lfunc_end2099-_ZN7rocprim17ROCPRIM_400000_NS6detail17trampoline_kernelINS0_14default_configENS1_27scan_by_key_config_selectorIj11FixedVectorIiLj4EEEEZZNS1_16scan_by_key_implILNS1_25lookback_scan_determinismE0ELb1ES3_N6thrust23THRUST_200600_302600_NS6detail15normal_iteratorINSB_10device_ptrIjEEEENSD_INSE_IS6_EEEESI_S6_NSB_4plusIvEENSB_8equal_toIvEES6_EE10hipError_tPvRmT2_T3_T4_T5_mT6_T7_P12ihipStream_tbENKUlT_T0_E_clISt17integral_constantIbLb1EES12_IbLb0EEEEDaSY_SZ_EUlSY_E_NS1_11comp_targetILNS1_3genE10ELNS1_11target_archE1200ELNS1_3gpuE4ELNS1_3repE0EEENS1_30default_config_static_selectorELNS0_4arch9wavefront6targetE0EEEvT1_
                                        ; -- End function
	.set _ZN7rocprim17ROCPRIM_400000_NS6detail17trampoline_kernelINS0_14default_configENS1_27scan_by_key_config_selectorIj11FixedVectorIiLj4EEEEZZNS1_16scan_by_key_implILNS1_25lookback_scan_determinismE0ELb1ES3_N6thrust23THRUST_200600_302600_NS6detail15normal_iteratorINSB_10device_ptrIjEEEENSD_INSE_IS6_EEEESI_S6_NSB_4plusIvEENSB_8equal_toIvEES6_EE10hipError_tPvRmT2_T3_T4_T5_mT6_T7_P12ihipStream_tbENKUlT_T0_E_clISt17integral_constantIbLb1EES12_IbLb0EEEEDaSY_SZ_EUlSY_E_NS1_11comp_targetILNS1_3genE10ELNS1_11target_archE1200ELNS1_3gpuE4ELNS1_3repE0EEENS1_30default_config_static_selectorELNS0_4arch9wavefront6targetE0EEEvT1_.num_vgpr, 0
	.set _ZN7rocprim17ROCPRIM_400000_NS6detail17trampoline_kernelINS0_14default_configENS1_27scan_by_key_config_selectorIj11FixedVectorIiLj4EEEEZZNS1_16scan_by_key_implILNS1_25lookback_scan_determinismE0ELb1ES3_N6thrust23THRUST_200600_302600_NS6detail15normal_iteratorINSB_10device_ptrIjEEEENSD_INSE_IS6_EEEESI_S6_NSB_4plusIvEENSB_8equal_toIvEES6_EE10hipError_tPvRmT2_T3_T4_T5_mT6_T7_P12ihipStream_tbENKUlT_T0_E_clISt17integral_constantIbLb1EES12_IbLb0EEEEDaSY_SZ_EUlSY_E_NS1_11comp_targetILNS1_3genE10ELNS1_11target_archE1200ELNS1_3gpuE4ELNS1_3repE0EEENS1_30default_config_static_selectorELNS0_4arch9wavefront6targetE0EEEvT1_.num_agpr, 0
	.set _ZN7rocprim17ROCPRIM_400000_NS6detail17trampoline_kernelINS0_14default_configENS1_27scan_by_key_config_selectorIj11FixedVectorIiLj4EEEEZZNS1_16scan_by_key_implILNS1_25lookback_scan_determinismE0ELb1ES3_N6thrust23THRUST_200600_302600_NS6detail15normal_iteratorINSB_10device_ptrIjEEEENSD_INSE_IS6_EEEESI_S6_NSB_4plusIvEENSB_8equal_toIvEES6_EE10hipError_tPvRmT2_T3_T4_T5_mT6_T7_P12ihipStream_tbENKUlT_T0_E_clISt17integral_constantIbLb1EES12_IbLb0EEEEDaSY_SZ_EUlSY_E_NS1_11comp_targetILNS1_3genE10ELNS1_11target_archE1200ELNS1_3gpuE4ELNS1_3repE0EEENS1_30default_config_static_selectorELNS0_4arch9wavefront6targetE0EEEvT1_.numbered_sgpr, 0
	.set _ZN7rocprim17ROCPRIM_400000_NS6detail17trampoline_kernelINS0_14default_configENS1_27scan_by_key_config_selectorIj11FixedVectorIiLj4EEEEZZNS1_16scan_by_key_implILNS1_25lookback_scan_determinismE0ELb1ES3_N6thrust23THRUST_200600_302600_NS6detail15normal_iteratorINSB_10device_ptrIjEEEENSD_INSE_IS6_EEEESI_S6_NSB_4plusIvEENSB_8equal_toIvEES6_EE10hipError_tPvRmT2_T3_T4_T5_mT6_T7_P12ihipStream_tbENKUlT_T0_E_clISt17integral_constantIbLb1EES12_IbLb0EEEEDaSY_SZ_EUlSY_E_NS1_11comp_targetILNS1_3genE10ELNS1_11target_archE1200ELNS1_3gpuE4ELNS1_3repE0EEENS1_30default_config_static_selectorELNS0_4arch9wavefront6targetE0EEEvT1_.num_named_barrier, 0
	.set _ZN7rocprim17ROCPRIM_400000_NS6detail17trampoline_kernelINS0_14default_configENS1_27scan_by_key_config_selectorIj11FixedVectorIiLj4EEEEZZNS1_16scan_by_key_implILNS1_25lookback_scan_determinismE0ELb1ES3_N6thrust23THRUST_200600_302600_NS6detail15normal_iteratorINSB_10device_ptrIjEEEENSD_INSE_IS6_EEEESI_S6_NSB_4plusIvEENSB_8equal_toIvEES6_EE10hipError_tPvRmT2_T3_T4_T5_mT6_T7_P12ihipStream_tbENKUlT_T0_E_clISt17integral_constantIbLb1EES12_IbLb0EEEEDaSY_SZ_EUlSY_E_NS1_11comp_targetILNS1_3genE10ELNS1_11target_archE1200ELNS1_3gpuE4ELNS1_3repE0EEENS1_30default_config_static_selectorELNS0_4arch9wavefront6targetE0EEEvT1_.private_seg_size, 0
	.set _ZN7rocprim17ROCPRIM_400000_NS6detail17trampoline_kernelINS0_14default_configENS1_27scan_by_key_config_selectorIj11FixedVectorIiLj4EEEEZZNS1_16scan_by_key_implILNS1_25lookback_scan_determinismE0ELb1ES3_N6thrust23THRUST_200600_302600_NS6detail15normal_iteratorINSB_10device_ptrIjEEEENSD_INSE_IS6_EEEESI_S6_NSB_4plusIvEENSB_8equal_toIvEES6_EE10hipError_tPvRmT2_T3_T4_T5_mT6_T7_P12ihipStream_tbENKUlT_T0_E_clISt17integral_constantIbLb1EES12_IbLb0EEEEDaSY_SZ_EUlSY_E_NS1_11comp_targetILNS1_3genE10ELNS1_11target_archE1200ELNS1_3gpuE4ELNS1_3repE0EEENS1_30default_config_static_selectorELNS0_4arch9wavefront6targetE0EEEvT1_.uses_vcc, 0
	.set _ZN7rocprim17ROCPRIM_400000_NS6detail17trampoline_kernelINS0_14default_configENS1_27scan_by_key_config_selectorIj11FixedVectorIiLj4EEEEZZNS1_16scan_by_key_implILNS1_25lookback_scan_determinismE0ELb1ES3_N6thrust23THRUST_200600_302600_NS6detail15normal_iteratorINSB_10device_ptrIjEEEENSD_INSE_IS6_EEEESI_S6_NSB_4plusIvEENSB_8equal_toIvEES6_EE10hipError_tPvRmT2_T3_T4_T5_mT6_T7_P12ihipStream_tbENKUlT_T0_E_clISt17integral_constantIbLb1EES12_IbLb0EEEEDaSY_SZ_EUlSY_E_NS1_11comp_targetILNS1_3genE10ELNS1_11target_archE1200ELNS1_3gpuE4ELNS1_3repE0EEENS1_30default_config_static_selectorELNS0_4arch9wavefront6targetE0EEEvT1_.uses_flat_scratch, 0
	.set _ZN7rocprim17ROCPRIM_400000_NS6detail17trampoline_kernelINS0_14default_configENS1_27scan_by_key_config_selectorIj11FixedVectorIiLj4EEEEZZNS1_16scan_by_key_implILNS1_25lookback_scan_determinismE0ELb1ES3_N6thrust23THRUST_200600_302600_NS6detail15normal_iteratorINSB_10device_ptrIjEEEENSD_INSE_IS6_EEEESI_S6_NSB_4plusIvEENSB_8equal_toIvEES6_EE10hipError_tPvRmT2_T3_T4_T5_mT6_T7_P12ihipStream_tbENKUlT_T0_E_clISt17integral_constantIbLb1EES12_IbLb0EEEEDaSY_SZ_EUlSY_E_NS1_11comp_targetILNS1_3genE10ELNS1_11target_archE1200ELNS1_3gpuE4ELNS1_3repE0EEENS1_30default_config_static_selectorELNS0_4arch9wavefront6targetE0EEEvT1_.has_dyn_sized_stack, 0
	.set _ZN7rocprim17ROCPRIM_400000_NS6detail17trampoline_kernelINS0_14default_configENS1_27scan_by_key_config_selectorIj11FixedVectorIiLj4EEEEZZNS1_16scan_by_key_implILNS1_25lookback_scan_determinismE0ELb1ES3_N6thrust23THRUST_200600_302600_NS6detail15normal_iteratorINSB_10device_ptrIjEEEENSD_INSE_IS6_EEEESI_S6_NSB_4plusIvEENSB_8equal_toIvEES6_EE10hipError_tPvRmT2_T3_T4_T5_mT6_T7_P12ihipStream_tbENKUlT_T0_E_clISt17integral_constantIbLb1EES12_IbLb0EEEEDaSY_SZ_EUlSY_E_NS1_11comp_targetILNS1_3genE10ELNS1_11target_archE1200ELNS1_3gpuE4ELNS1_3repE0EEENS1_30default_config_static_selectorELNS0_4arch9wavefront6targetE0EEEvT1_.has_recursion, 0
	.set _ZN7rocprim17ROCPRIM_400000_NS6detail17trampoline_kernelINS0_14default_configENS1_27scan_by_key_config_selectorIj11FixedVectorIiLj4EEEEZZNS1_16scan_by_key_implILNS1_25lookback_scan_determinismE0ELb1ES3_N6thrust23THRUST_200600_302600_NS6detail15normal_iteratorINSB_10device_ptrIjEEEENSD_INSE_IS6_EEEESI_S6_NSB_4plusIvEENSB_8equal_toIvEES6_EE10hipError_tPvRmT2_T3_T4_T5_mT6_T7_P12ihipStream_tbENKUlT_T0_E_clISt17integral_constantIbLb1EES12_IbLb0EEEEDaSY_SZ_EUlSY_E_NS1_11comp_targetILNS1_3genE10ELNS1_11target_archE1200ELNS1_3gpuE4ELNS1_3repE0EEENS1_30default_config_static_selectorELNS0_4arch9wavefront6targetE0EEEvT1_.has_indirect_call, 0
	.section	.AMDGPU.csdata,"",@progbits
; Kernel info:
; codeLenInByte = 0
; TotalNumSgprs: 0
; NumVgprs: 0
; ScratchSize: 0
; MemoryBound: 0
; FloatMode: 240
; IeeeMode: 1
; LDSByteSize: 0 bytes/workgroup (compile time only)
; SGPRBlocks: 0
; VGPRBlocks: 0
; NumSGPRsForWavesPerEU: 1
; NumVGPRsForWavesPerEU: 1
; NamedBarCnt: 0
; Occupancy: 16
; WaveLimiterHint : 0
; COMPUTE_PGM_RSRC2:SCRATCH_EN: 0
; COMPUTE_PGM_RSRC2:USER_SGPR: 2
; COMPUTE_PGM_RSRC2:TRAP_HANDLER: 0
; COMPUTE_PGM_RSRC2:TGID_X_EN: 1
; COMPUTE_PGM_RSRC2:TGID_Y_EN: 0
; COMPUTE_PGM_RSRC2:TGID_Z_EN: 0
; COMPUTE_PGM_RSRC2:TIDIG_COMP_CNT: 0
	.section	.text._ZN7rocprim17ROCPRIM_400000_NS6detail17trampoline_kernelINS0_14default_configENS1_27scan_by_key_config_selectorIj11FixedVectorIiLj4EEEEZZNS1_16scan_by_key_implILNS1_25lookback_scan_determinismE0ELb1ES3_N6thrust23THRUST_200600_302600_NS6detail15normal_iteratorINSB_10device_ptrIjEEEENSD_INSE_IS6_EEEESI_S6_NSB_4plusIvEENSB_8equal_toIvEES6_EE10hipError_tPvRmT2_T3_T4_T5_mT6_T7_P12ihipStream_tbENKUlT_T0_E_clISt17integral_constantIbLb1EES12_IbLb0EEEEDaSY_SZ_EUlSY_E_NS1_11comp_targetILNS1_3genE9ELNS1_11target_archE1100ELNS1_3gpuE3ELNS1_3repE0EEENS1_30default_config_static_selectorELNS0_4arch9wavefront6targetE0EEEvT1_,"axG",@progbits,_ZN7rocprim17ROCPRIM_400000_NS6detail17trampoline_kernelINS0_14default_configENS1_27scan_by_key_config_selectorIj11FixedVectorIiLj4EEEEZZNS1_16scan_by_key_implILNS1_25lookback_scan_determinismE0ELb1ES3_N6thrust23THRUST_200600_302600_NS6detail15normal_iteratorINSB_10device_ptrIjEEEENSD_INSE_IS6_EEEESI_S6_NSB_4plusIvEENSB_8equal_toIvEES6_EE10hipError_tPvRmT2_T3_T4_T5_mT6_T7_P12ihipStream_tbENKUlT_T0_E_clISt17integral_constantIbLb1EES12_IbLb0EEEEDaSY_SZ_EUlSY_E_NS1_11comp_targetILNS1_3genE9ELNS1_11target_archE1100ELNS1_3gpuE3ELNS1_3repE0EEENS1_30default_config_static_selectorELNS0_4arch9wavefront6targetE0EEEvT1_,comdat
	.protected	_ZN7rocprim17ROCPRIM_400000_NS6detail17trampoline_kernelINS0_14default_configENS1_27scan_by_key_config_selectorIj11FixedVectorIiLj4EEEEZZNS1_16scan_by_key_implILNS1_25lookback_scan_determinismE0ELb1ES3_N6thrust23THRUST_200600_302600_NS6detail15normal_iteratorINSB_10device_ptrIjEEEENSD_INSE_IS6_EEEESI_S6_NSB_4plusIvEENSB_8equal_toIvEES6_EE10hipError_tPvRmT2_T3_T4_T5_mT6_T7_P12ihipStream_tbENKUlT_T0_E_clISt17integral_constantIbLb1EES12_IbLb0EEEEDaSY_SZ_EUlSY_E_NS1_11comp_targetILNS1_3genE9ELNS1_11target_archE1100ELNS1_3gpuE3ELNS1_3repE0EEENS1_30default_config_static_selectorELNS0_4arch9wavefront6targetE0EEEvT1_ ; -- Begin function _ZN7rocprim17ROCPRIM_400000_NS6detail17trampoline_kernelINS0_14default_configENS1_27scan_by_key_config_selectorIj11FixedVectorIiLj4EEEEZZNS1_16scan_by_key_implILNS1_25lookback_scan_determinismE0ELb1ES3_N6thrust23THRUST_200600_302600_NS6detail15normal_iteratorINSB_10device_ptrIjEEEENSD_INSE_IS6_EEEESI_S6_NSB_4plusIvEENSB_8equal_toIvEES6_EE10hipError_tPvRmT2_T3_T4_T5_mT6_T7_P12ihipStream_tbENKUlT_T0_E_clISt17integral_constantIbLb1EES12_IbLb0EEEEDaSY_SZ_EUlSY_E_NS1_11comp_targetILNS1_3genE9ELNS1_11target_archE1100ELNS1_3gpuE3ELNS1_3repE0EEENS1_30default_config_static_selectorELNS0_4arch9wavefront6targetE0EEEvT1_
	.globl	_ZN7rocprim17ROCPRIM_400000_NS6detail17trampoline_kernelINS0_14default_configENS1_27scan_by_key_config_selectorIj11FixedVectorIiLj4EEEEZZNS1_16scan_by_key_implILNS1_25lookback_scan_determinismE0ELb1ES3_N6thrust23THRUST_200600_302600_NS6detail15normal_iteratorINSB_10device_ptrIjEEEENSD_INSE_IS6_EEEESI_S6_NSB_4plusIvEENSB_8equal_toIvEES6_EE10hipError_tPvRmT2_T3_T4_T5_mT6_T7_P12ihipStream_tbENKUlT_T0_E_clISt17integral_constantIbLb1EES12_IbLb0EEEEDaSY_SZ_EUlSY_E_NS1_11comp_targetILNS1_3genE9ELNS1_11target_archE1100ELNS1_3gpuE3ELNS1_3repE0EEENS1_30default_config_static_selectorELNS0_4arch9wavefront6targetE0EEEvT1_
	.p2align	8
	.type	_ZN7rocprim17ROCPRIM_400000_NS6detail17trampoline_kernelINS0_14default_configENS1_27scan_by_key_config_selectorIj11FixedVectorIiLj4EEEEZZNS1_16scan_by_key_implILNS1_25lookback_scan_determinismE0ELb1ES3_N6thrust23THRUST_200600_302600_NS6detail15normal_iteratorINSB_10device_ptrIjEEEENSD_INSE_IS6_EEEESI_S6_NSB_4plusIvEENSB_8equal_toIvEES6_EE10hipError_tPvRmT2_T3_T4_T5_mT6_T7_P12ihipStream_tbENKUlT_T0_E_clISt17integral_constantIbLb1EES12_IbLb0EEEEDaSY_SZ_EUlSY_E_NS1_11comp_targetILNS1_3genE9ELNS1_11target_archE1100ELNS1_3gpuE3ELNS1_3repE0EEENS1_30default_config_static_selectorELNS0_4arch9wavefront6targetE0EEEvT1_,@function
_ZN7rocprim17ROCPRIM_400000_NS6detail17trampoline_kernelINS0_14default_configENS1_27scan_by_key_config_selectorIj11FixedVectorIiLj4EEEEZZNS1_16scan_by_key_implILNS1_25lookback_scan_determinismE0ELb1ES3_N6thrust23THRUST_200600_302600_NS6detail15normal_iteratorINSB_10device_ptrIjEEEENSD_INSE_IS6_EEEESI_S6_NSB_4plusIvEENSB_8equal_toIvEES6_EE10hipError_tPvRmT2_T3_T4_T5_mT6_T7_P12ihipStream_tbENKUlT_T0_E_clISt17integral_constantIbLb1EES12_IbLb0EEEEDaSY_SZ_EUlSY_E_NS1_11comp_targetILNS1_3genE9ELNS1_11target_archE1100ELNS1_3gpuE3ELNS1_3repE0EEENS1_30default_config_static_selectorELNS0_4arch9wavefront6targetE0EEEvT1_: ; @_ZN7rocprim17ROCPRIM_400000_NS6detail17trampoline_kernelINS0_14default_configENS1_27scan_by_key_config_selectorIj11FixedVectorIiLj4EEEEZZNS1_16scan_by_key_implILNS1_25lookback_scan_determinismE0ELb1ES3_N6thrust23THRUST_200600_302600_NS6detail15normal_iteratorINSB_10device_ptrIjEEEENSD_INSE_IS6_EEEESI_S6_NSB_4plusIvEENSB_8equal_toIvEES6_EE10hipError_tPvRmT2_T3_T4_T5_mT6_T7_P12ihipStream_tbENKUlT_T0_E_clISt17integral_constantIbLb1EES12_IbLb0EEEEDaSY_SZ_EUlSY_E_NS1_11comp_targetILNS1_3genE9ELNS1_11target_archE1100ELNS1_3gpuE3ELNS1_3repE0EEENS1_30default_config_static_selectorELNS0_4arch9wavefront6targetE0EEEvT1_
; %bb.0:
	.section	.rodata,"a",@progbits
	.p2align	6, 0x0
	.amdhsa_kernel _ZN7rocprim17ROCPRIM_400000_NS6detail17trampoline_kernelINS0_14default_configENS1_27scan_by_key_config_selectorIj11FixedVectorIiLj4EEEEZZNS1_16scan_by_key_implILNS1_25lookback_scan_determinismE0ELb1ES3_N6thrust23THRUST_200600_302600_NS6detail15normal_iteratorINSB_10device_ptrIjEEEENSD_INSE_IS6_EEEESI_S6_NSB_4plusIvEENSB_8equal_toIvEES6_EE10hipError_tPvRmT2_T3_T4_T5_mT6_T7_P12ihipStream_tbENKUlT_T0_E_clISt17integral_constantIbLb1EES12_IbLb0EEEEDaSY_SZ_EUlSY_E_NS1_11comp_targetILNS1_3genE9ELNS1_11target_archE1100ELNS1_3gpuE3ELNS1_3repE0EEENS1_30default_config_static_selectorELNS0_4arch9wavefront6targetE0EEEvT1_
		.amdhsa_group_segment_fixed_size 0
		.amdhsa_private_segment_fixed_size 0
		.amdhsa_kernarg_size 144
		.amdhsa_user_sgpr_count 2
		.amdhsa_user_sgpr_dispatch_ptr 0
		.amdhsa_user_sgpr_queue_ptr 0
		.amdhsa_user_sgpr_kernarg_segment_ptr 1
		.amdhsa_user_sgpr_dispatch_id 0
		.amdhsa_user_sgpr_kernarg_preload_length 0
		.amdhsa_user_sgpr_kernarg_preload_offset 0
		.amdhsa_user_sgpr_private_segment_size 0
		.amdhsa_wavefront_size32 1
		.amdhsa_uses_dynamic_stack 0
		.amdhsa_enable_private_segment 0
		.amdhsa_system_sgpr_workgroup_id_x 1
		.amdhsa_system_sgpr_workgroup_id_y 0
		.amdhsa_system_sgpr_workgroup_id_z 0
		.amdhsa_system_sgpr_workgroup_info 0
		.amdhsa_system_vgpr_workitem_id 0
		.amdhsa_next_free_vgpr 1
		.amdhsa_next_free_sgpr 1
		.amdhsa_named_barrier_count 0
		.amdhsa_reserve_vcc 0
		.amdhsa_float_round_mode_32 0
		.amdhsa_float_round_mode_16_64 0
		.amdhsa_float_denorm_mode_32 3
		.amdhsa_float_denorm_mode_16_64 3
		.amdhsa_fp16_overflow 0
		.amdhsa_memory_ordered 1
		.amdhsa_forward_progress 1
		.amdhsa_inst_pref_size 0
		.amdhsa_round_robin_scheduling 0
		.amdhsa_exception_fp_ieee_invalid_op 0
		.amdhsa_exception_fp_denorm_src 0
		.amdhsa_exception_fp_ieee_div_zero 0
		.amdhsa_exception_fp_ieee_overflow 0
		.amdhsa_exception_fp_ieee_underflow 0
		.amdhsa_exception_fp_ieee_inexact 0
		.amdhsa_exception_int_div_zero 0
	.end_amdhsa_kernel
	.section	.text._ZN7rocprim17ROCPRIM_400000_NS6detail17trampoline_kernelINS0_14default_configENS1_27scan_by_key_config_selectorIj11FixedVectorIiLj4EEEEZZNS1_16scan_by_key_implILNS1_25lookback_scan_determinismE0ELb1ES3_N6thrust23THRUST_200600_302600_NS6detail15normal_iteratorINSB_10device_ptrIjEEEENSD_INSE_IS6_EEEESI_S6_NSB_4plusIvEENSB_8equal_toIvEES6_EE10hipError_tPvRmT2_T3_T4_T5_mT6_T7_P12ihipStream_tbENKUlT_T0_E_clISt17integral_constantIbLb1EES12_IbLb0EEEEDaSY_SZ_EUlSY_E_NS1_11comp_targetILNS1_3genE9ELNS1_11target_archE1100ELNS1_3gpuE3ELNS1_3repE0EEENS1_30default_config_static_selectorELNS0_4arch9wavefront6targetE0EEEvT1_,"axG",@progbits,_ZN7rocprim17ROCPRIM_400000_NS6detail17trampoline_kernelINS0_14default_configENS1_27scan_by_key_config_selectorIj11FixedVectorIiLj4EEEEZZNS1_16scan_by_key_implILNS1_25lookback_scan_determinismE0ELb1ES3_N6thrust23THRUST_200600_302600_NS6detail15normal_iteratorINSB_10device_ptrIjEEEENSD_INSE_IS6_EEEESI_S6_NSB_4plusIvEENSB_8equal_toIvEES6_EE10hipError_tPvRmT2_T3_T4_T5_mT6_T7_P12ihipStream_tbENKUlT_T0_E_clISt17integral_constantIbLb1EES12_IbLb0EEEEDaSY_SZ_EUlSY_E_NS1_11comp_targetILNS1_3genE9ELNS1_11target_archE1100ELNS1_3gpuE3ELNS1_3repE0EEENS1_30default_config_static_selectorELNS0_4arch9wavefront6targetE0EEEvT1_,comdat
.Lfunc_end2100:
	.size	_ZN7rocprim17ROCPRIM_400000_NS6detail17trampoline_kernelINS0_14default_configENS1_27scan_by_key_config_selectorIj11FixedVectorIiLj4EEEEZZNS1_16scan_by_key_implILNS1_25lookback_scan_determinismE0ELb1ES3_N6thrust23THRUST_200600_302600_NS6detail15normal_iteratorINSB_10device_ptrIjEEEENSD_INSE_IS6_EEEESI_S6_NSB_4plusIvEENSB_8equal_toIvEES6_EE10hipError_tPvRmT2_T3_T4_T5_mT6_T7_P12ihipStream_tbENKUlT_T0_E_clISt17integral_constantIbLb1EES12_IbLb0EEEEDaSY_SZ_EUlSY_E_NS1_11comp_targetILNS1_3genE9ELNS1_11target_archE1100ELNS1_3gpuE3ELNS1_3repE0EEENS1_30default_config_static_selectorELNS0_4arch9wavefront6targetE0EEEvT1_, .Lfunc_end2100-_ZN7rocprim17ROCPRIM_400000_NS6detail17trampoline_kernelINS0_14default_configENS1_27scan_by_key_config_selectorIj11FixedVectorIiLj4EEEEZZNS1_16scan_by_key_implILNS1_25lookback_scan_determinismE0ELb1ES3_N6thrust23THRUST_200600_302600_NS6detail15normal_iteratorINSB_10device_ptrIjEEEENSD_INSE_IS6_EEEESI_S6_NSB_4plusIvEENSB_8equal_toIvEES6_EE10hipError_tPvRmT2_T3_T4_T5_mT6_T7_P12ihipStream_tbENKUlT_T0_E_clISt17integral_constantIbLb1EES12_IbLb0EEEEDaSY_SZ_EUlSY_E_NS1_11comp_targetILNS1_3genE9ELNS1_11target_archE1100ELNS1_3gpuE3ELNS1_3repE0EEENS1_30default_config_static_selectorELNS0_4arch9wavefront6targetE0EEEvT1_
                                        ; -- End function
	.set _ZN7rocprim17ROCPRIM_400000_NS6detail17trampoline_kernelINS0_14default_configENS1_27scan_by_key_config_selectorIj11FixedVectorIiLj4EEEEZZNS1_16scan_by_key_implILNS1_25lookback_scan_determinismE0ELb1ES3_N6thrust23THRUST_200600_302600_NS6detail15normal_iteratorINSB_10device_ptrIjEEEENSD_INSE_IS6_EEEESI_S6_NSB_4plusIvEENSB_8equal_toIvEES6_EE10hipError_tPvRmT2_T3_T4_T5_mT6_T7_P12ihipStream_tbENKUlT_T0_E_clISt17integral_constantIbLb1EES12_IbLb0EEEEDaSY_SZ_EUlSY_E_NS1_11comp_targetILNS1_3genE9ELNS1_11target_archE1100ELNS1_3gpuE3ELNS1_3repE0EEENS1_30default_config_static_selectorELNS0_4arch9wavefront6targetE0EEEvT1_.num_vgpr, 0
	.set _ZN7rocprim17ROCPRIM_400000_NS6detail17trampoline_kernelINS0_14default_configENS1_27scan_by_key_config_selectorIj11FixedVectorIiLj4EEEEZZNS1_16scan_by_key_implILNS1_25lookback_scan_determinismE0ELb1ES3_N6thrust23THRUST_200600_302600_NS6detail15normal_iteratorINSB_10device_ptrIjEEEENSD_INSE_IS6_EEEESI_S6_NSB_4plusIvEENSB_8equal_toIvEES6_EE10hipError_tPvRmT2_T3_T4_T5_mT6_T7_P12ihipStream_tbENKUlT_T0_E_clISt17integral_constantIbLb1EES12_IbLb0EEEEDaSY_SZ_EUlSY_E_NS1_11comp_targetILNS1_3genE9ELNS1_11target_archE1100ELNS1_3gpuE3ELNS1_3repE0EEENS1_30default_config_static_selectorELNS0_4arch9wavefront6targetE0EEEvT1_.num_agpr, 0
	.set _ZN7rocprim17ROCPRIM_400000_NS6detail17trampoline_kernelINS0_14default_configENS1_27scan_by_key_config_selectorIj11FixedVectorIiLj4EEEEZZNS1_16scan_by_key_implILNS1_25lookback_scan_determinismE0ELb1ES3_N6thrust23THRUST_200600_302600_NS6detail15normal_iteratorINSB_10device_ptrIjEEEENSD_INSE_IS6_EEEESI_S6_NSB_4plusIvEENSB_8equal_toIvEES6_EE10hipError_tPvRmT2_T3_T4_T5_mT6_T7_P12ihipStream_tbENKUlT_T0_E_clISt17integral_constantIbLb1EES12_IbLb0EEEEDaSY_SZ_EUlSY_E_NS1_11comp_targetILNS1_3genE9ELNS1_11target_archE1100ELNS1_3gpuE3ELNS1_3repE0EEENS1_30default_config_static_selectorELNS0_4arch9wavefront6targetE0EEEvT1_.numbered_sgpr, 0
	.set _ZN7rocprim17ROCPRIM_400000_NS6detail17trampoline_kernelINS0_14default_configENS1_27scan_by_key_config_selectorIj11FixedVectorIiLj4EEEEZZNS1_16scan_by_key_implILNS1_25lookback_scan_determinismE0ELb1ES3_N6thrust23THRUST_200600_302600_NS6detail15normal_iteratorINSB_10device_ptrIjEEEENSD_INSE_IS6_EEEESI_S6_NSB_4plusIvEENSB_8equal_toIvEES6_EE10hipError_tPvRmT2_T3_T4_T5_mT6_T7_P12ihipStream_tbENKUlT_T0_E_clISt17integral_constantIbLb1EES12_IbLb0EEEEDaSY_SZ_EUlSY_E_NS1_11comp_targetILNS1_3genE9ELNS1_11target_archE1100ELNS1_3gpuE3ELNS1_3repE0EEENS1_30default_config_static_selectorELNS0_4arch9wavefront6targetE0EEEvT1_.num_named_barrier, 0
	.set _ZN7rocprim17ROCPRIM_400000_NS6detail17trampoline_kernelINS0_14default_configENS1_27scan_by_key_config_selectorIj11FixedVectorIiLj4EEEEZZNS1_16scan_by_key_implILNS1_25lookback_scan_determinismE0ELb1ES3_N6thrust23THRUST_200600_302600_NS6detail15normal_iteratorINSB_10device_ptrIjEEEENSD_INSE_IS6_EEEESI_S6_NSB_4plusIvEENSB_8equal_toIvEES6_EE10hipError_tPvRmT2_T3_T4_T5_mT6_T7_P12ihipStream_tbENKUlT_T0_E_clISt17integral_constantIbLb1EES12_IbLb0EEEEDaSY_SZ_EUlSY_E_NS1_11comp_targetILNS1_3genE9ELNS1_11target_archE1100ELNS1_3gpuE3ELNS1_3repE0EEENS1_30default_config_static_selectorELNS0_4arch9wavefront6targetE0EEEvT1_.private_seg_size, 0
	.set _ZN7rocprim17ROCPRIM_400000_NS6detail17trampoline_kernelINS0_14default_configENS1_27scan_by_key_config_selectorIj11FixedVectorIiLj4EEEEZZNS1_16scan_by_key_implILNS1_25lookback_scan_determinismE0ELb1ES3_N6thrust23THRUST_200600_302600_NS6detail15normal_iteratorINSB_10device_ptrIjEEEENSD_INSE_IS6_EEEESI_S6_NSB_4plusIvEENSB_8equal_toIvEES6_EE10hipError_tPvRmT2_T3_T4_T5_mT6_T7_P12ihipStream_tbENKUlT_T0_E_clISt17integral_constantIbLb1EES12_IbLb0EEEEDaSY_SZ_EUlSY_E_NS1_11comp_targetILNS1_3genE9ELNS1_11target_archE1100ELNS1_3gpuE3ELNS1_3repE0EEENS1_30default_config_static_selectorELNS0_4arch9wavefront6targetE0EEEvT1_.uses_vcc, 0
	.set _ZN7rocprim17ROCPRIM_400000_NS6detail17trampoline_kernelINS0_14default_configENS1_27scan_by_key_config_selectorIj11FixedVectorIiLj4EEEEZZNS1_16scan_by_key_implILNS1_25lookback_scan_determinismE0ELb1ES3_N6thrust23THRUST_200600_302600_NS6detail15normal_iteratorINSB_10device_ptrIjEEEENSD_INSE_IS6_EEEESI_S6_NSB_4plusIvEENSB_8equal_toIvEES6_EE10hipError_tPvRmT2_T3_T4_T5_mT6_T7_P12ihipStream_tbENKUlT_T0_E_clISt17integral_constantIbLb1EES12_IbLb0EEEEDaSY_SZ_EUlSY_E_NS1_11comp_targetILNS1_3genE9ELNS1_11target_archE1100ELNS1_3gpuE3ELNS1_3repE0EEENS1_30default_config_static_selectorELNS0_4arch9wavefront6targetE0EEEvT1_.uses_flat_scratch, 0
	.set _ZN7rocprim17ROCPRIM_400000_NS6detail17trampoline_kernelINS0_14default_configENS1_27scan_by_key_config_selectorIj11FixedVectorIiLj4EEEEZZNS1_16scan_by_key_implILNS1_25lookback_scan_determinismE0ELb1ES3_N6thrust23THRUST_200600_302600_NS6detail15normal_iteratorINSB_10device_ptrIjEEEENSD_INSE_IS6_EEEESI_S6_NSB_4plusIvEENSB_8equal_toIvEES6_EE10hipError_tPvRmT2_T3_T4_T5_mT6_T7_P12ihipStream_tbENKUlT_T0_E_clISt17integral_constantIbLb1EES12_IbLb0EEEEDaSY_SZ_EUlSY_E_NS1_11comp_targetILNS1_3genE9ELNS1_11target_archE1100ELNS1_3gpuE3ELNS1_3repE0EEENS1_30default_config_static_selectorELNS0_4arch9wavefront6targetE0EEEvT1_.has_dyn_sized_stack, 0
	.set _ZN7rocprim17ROCPRIM_400000_NS6detail17trampoline_kernelINS0_14default_configENS1_27scan_by_key_config_selectorIj11FixedVectorIiLj4EEEEZZNS1_16scan_by_key_implILNS1_25lookback_scan_determinismE0ELb1ES3_N6thrust23THRUST_200600_302600_NS6detail15normal_iteratorINSB_10device_ptrIjEEEENSD_INSE_IS6_EEEESI_S6_NSB_4plusIvEENSB_8equal_toIvEES6_EE10hipError_tPvRmT2_T3_T4_T5_mT6_T7_P12ihipStream_tbENKUlT_T0_E_clISt17integral_constantIbLb1EES12_IbLb0EEEEDaSY_SZ_EUlSY_E_NS1_11comp_targetILNS1_3genE9ELNS1_11target_archE1100ELNS1_3gpuE3ELNS1_3repE0EEENS1_30default_config_static_selectorELNS0_4arch9wavefront6targetE0EEEvT1_.has_recursion, 0
	.set _ZN7rocprim17ROCPRIM_400000_NS6detail17trampoline_kernelINS0_14default_configENS1_27scan_by_key_config_selectorIj11FixedVectorIiLj4EEEEZZNS1_16scan_by_key_implILNS1_25lookback_scan_determinismE0ELb1ES3_N6thrust23THRUST_200600_302600_NS6detail15normal_iteratorINSB_10device_ptrIjEEEENSD_INSE_IS6_EEEESI_S6_NSB_4plusIvEENSB_8equal_toIvEES6_EE10hipError_tPvRmT2_T3_T4_T5_mT6_T7_P12ihipStream_tbENKUlT_T0_E_clISt17integral_constantIbLb1EES12_IbLb0EEEEDaSY_SZ_EUlSY_E_NS1_11comp_targetILNS1_3genE9ELNS1_11target_archE1100ELNS1_3gpuE3ELNS1_3repE0EEENS1_30default_config_static_selectorELNS0_4arch9wavefront6targetE0EEEvT1_.has_indirect_call, 0
	.section	.AMDGPU.csdata,"",@progbits
; Kernel info:
; codeLenInByte = 0
; TotalNumSgprs: 0
; NumVgprs: 0
; ScratchSize: 0
; MemoryBound: 0
; FloatMode: 240
; IeeeMode: 1
; LDSByteSize: 0 bytes/workgroup (compile time only)
; SGPRBlocks: 0
; VGPRBlocks: 0
; NumSGPRsForWavesPerEU: 1
; NumVGPRsForWavesPerEU: 1
; NamedBarCnt: 0
; Occupancy: 16
; WaveLimiterHint : 0
; COMPUTE_PGM_RSRC2:SCRATCH_EN: 0
; COMPUTE_PGM_RSRC2:USER_SGPR: 2
; COMPUTE_PGM_RSRC2:TRAP_HANDLER: 0
; COMPUTE_PGM_RSRC2:TGID_X_EN: 1
; COMPUTE_PGM_RSRC2:TGID_Y_EN: 0
; COMPUTE_PGM_RSRC2:TGID_Z_EN: 0
; COMPUTE_PGM_RSRC2:TIDIG_COMP_CNT: 0
	.section	.text._ZN7rocprim17ROCPRIM_400000_NS6detail17trampoline_kernelINS0_14default_configENS1_27scan_by_key_config_selectorIj11FixedVectorIiLj4EEEEZZNS1_16scan_by_key_implILNS1_25lookback_scan_determinismE0ELb1ES3_N6thrust23THRUST_200600_302600_NS6detail15normal_iteratorINSB_10device_ptrIjEEEENSD_INSE_IS6_EEEESI_S6_NSB_4plusIvEENSB_8equal_toIvEES6_EE10hipError_tPvRmT2_T3_T4_T5_mT6_T7_P12ihipStream_tbENKUlT_T0_E_clISt17integral_constantIbLb1EES12_IbLb0EEEEDaSY_SZ_EUlSY_E_NS1_11comp_targetILNS1_3genE8ELNS1_11target_archE1030ELNS1_3gpuE2ELNS1_3repE0EEENS1_30default_config_static_selectorELNS0_4arch9wavefront6targetE0EEEvT1_,"axG",@progbits,_ZN7rocprim17ROCPRIM_400000_NS6detail17trampoline_kernelINS0_14default_configENS1_27scan_by_key_config_selectorIj11FixedVectorIiLj4EEEEZZNS1_16scan_by_key_implILNS1_25lookback_scan_determinismE0ELb1ES3_N6thrust23THRUST_200600_302600_NS6detail15normal_iteratorINSB_10device_ptrIjEEEENSD_INSE_IS6_EEEESI_S6_NSB_4plusIvEENSB_8equal_toIvEES6_EE10hipError_tPvRmT2_T3_T4_T5_mT6_T7_P12ihipStream_tbENKUlT_T0_E_clISt17integral_constantIbLb1EES12_IbLb0EEEEDaSY_SZ_EUlSY_E_NS1_11comp_targetILNS1_3genE8ELNS1_11target_archE1030ELNS1_3gpuE2ELNS1_3repE0EEENS1_30default_config_static_selectorELNS0_4arch9wavefront6targetE0EEEvT1_,comdat
	.protected	_ZN7rocprim17ROCPRIM_400000_NS6detail17trampoline_kernelINS0_14default_configENS1_27scan_by_key_config_selectorIj11FixedVectorIiLj4EEEEZZNS1_16scan_by_key_implILNS1_25lookback_scan_determinismE0ELb1ES3_N6thrust23THRUST_200600_302600_NS6detail15normal_iteratorINSB_10device_ptrIjEEEENSD_INSE_IS6_EEEESI_S6_NSB_4plusIvEENSB_8equal_toIvEES6_EE10hipError_tPvRmT2_T3_T4_T5_mT6_T7_P12ihipStream_tbENKUlT_T0_E_clISt17integral_constantIbLb1EES12_IbLb0EEEEDaSY_SZ_EUlSY_E_NS1_11comp_targetILNS1_3genE8ELNS1_11target_archE1030ELNS1_3gpuE2ELNS1_3repE0EEENS1_30default_config_static_selectorELNS0_4arch9wavefront6targetE0EEEvT1_ ; -- Begin function _ZN7rocprim17ROCPRIM_400000_NS6detail17trampoline_kernelINS0_14default_configENS1_27scan_by_key_config_selectorIj11FixedVectorIiLj4EEEEZZNS1_16scan_by_key_implILNS1_25lookback_scan_determinismE0ELb1ES3_N6thrust23THRUST_200600_302600_NS6detail15normal_iteratorINSB_10device_ptrIjEEEENSD_INSE_IS6_EEEESI_S6_NSB_4plusIvEENSB_8equal_toIvEES6_EE10hipError_tPvRmT2_T3_T4_T5_mT6_T7_P12ihipStream_tbENKUlT_T0_E_clISt17integral_constantIbLb1EES12_IbLb0EEEEDaSY_SZ_EUlSY_E_NS1_11comp_targetILNS1_3genE8ELNS1_11target_archE1030ELNS1_3gpuE2ELNS1_3repE0EEENS1_30default_config_static_selectorELNS0_4arch9wavefront6targetE0EEEvT1_
	.globl	_ZN7rocprim17ROCPRIM_400000_NS6detail17trampoline_kernelINS0_14default_configENS1_27scan_by_key_config_selectorIj11FixedVectorIiLj4EEEEZZNS1_16scan_by_key_implILNS1_25lookback_scan_determinismE0ELb1ES3_N6thrust23THRUST_200600_302600_NS6detail15normal_iteratorINSB_10device_ptrIjEEEENSD_INSE_IS6_EEEESI_S6_NSB_4plusIvEENSB_8equal_toIvEES6_EE10hipError_tPvRmT2_T3_T4_T5_mT6_T7_P12ihipStream_tbENKUlT_T0_E_clISt17integral_constantIbLb1EES12_IbLb0EEEEDaSY_SZ_EUlSY_E_NS1_11comp_targetILNS1_3genE8ELNS1_11target_archE1030ELNS1_3gpuE2ELNS1_3repE0EEENS1_30default_config_static_selectorELNS0_4arch9wavefront6targetE0EEEvT1_
	.p2align	8
	.type	_ZN7rocprim17ROCPRIM_400000_NS6detail17trampoline_kernelINS0_14default_configENS1_27scan_by_key_config_selectorIj11FixedVectorIiLj4EEEEZZNS1_16scan_by_key_implILNS1_25lookback_scan_determinismE0ELb1ES3_N6thrust23THRUST_200600_302600_NS6detail15normal_iteratorINSB_10device_ptrIjEEEENSD_INSE_IS6_EEEESI_S6_NSB_4plusIvEENSB_8equal_toIvEES6_EE10hipError_tPvRmT2_T3_T4_T5_mT6_T7_P12ihipStream_tbENKUlT_T0_E_clISt17integral_constantIbLb1EES12_IbLb0EEEEDaSY_SZ_EUlSY_E_NS1_11comp_targetILNS1_3genE8ELNS1_11target_archE1030ELNS1_3gpuE2ELNS1_3repE0EEENS1_30default_config_static_selectorELNS0_4arch9wavefront6targetE0EEEvT1_,@function
_ZN7rocprim17ROCPRIM_400000_NS6detail17trampoline_kernelINS0_14default_configENS1_27scan_by_key_config_selectorIj11FixedVectorIiLj4EEEEZZNS1_16scan_by_key_implILNS1_25lookback_scan_determinismE0ELb1ES3_N6thrust23THRUST_200600_302600_NS6detail15normal_iteratorINSB_10device_ptrIjEEEENSD_INSE_IS6_EEEESI_S6_NSB_4plusIvEENSB_8equal_toIvEES6_EE10hipError_tPvRmT2_T3_T4_T5_mT6_T7_P12ihipStream_tbENKUlT_T0_E_clISt17integral_constantIbLb1EES12_IbLb0EEEEDaSY_SZ_EUlSY_E_NS1_11comp_targetILNS1_3genE8ELNS1_11target_archE1030ELNS1_3gpuE2ELNS1_3repE0EEENS1_30default_config_static_selectorELNS0_4arch9wavefront6targetE0EEEvT1_: ; @_ZN7rocprim17ROCPRIM_400000_NS6detail17trampoline_kernelINS0_14default_configENS1_27scan_by_key_config_selectorIj11FixedVectorIiLj4EEEEZZNS1_16scan_by_key_implILNS1_25lookback_scan_determinismE0ELb1ES3_N6thrust23THRUST_200600_302600_NS6detail15normal_iteratorINSB_10device_ptrIjEEEENSD_INSE_IS6_EEEESI_S6_NSB_4plusIvEENSB_8equal_toIvEES6_EE10hipError_tPvRmT2_T3_T4_T5_mT6_T7_P12ihipStream_tbENKUlT_T0_E_clISt17integral_constantIbLb1EES12_IbLb0EEEEDaSY_SZ_EUlSY_E_NS1_11comp_targetILNS1_3genE8ELNS1_11target_archE1030ELNS1_3gpuE2ELNS1_3repE0EEENS1_30default_config_static_selectorELNS0_4arch9wavefront6targetE0EEEvT1_
; %bb.0:
	.section	.rodata,"a",@progbits
	.p2align	6, 0x0
	.amdhsa_kernel _ZN7rocprim17ROCPRIM_400000_NS6detail17trampoline_kernelINS0_14default_configENS1_27scan_by_key_config_selectorIj11FixedVectorIiLj4EEEEZZNS1_16scan_by_key_implILNS1_25lookback_scan_determinismE0ELb1ES3_N6thrust23THRUST_200600_302600_NS6detail15normal_iteratorINSB_10device_ptrIjEEEENSD_INSE_IS6_EEEESI_S6_NSB_4plusIvEENSB_8equal_toIvEES6_EE10hipError_tPvRmT2_T3_T4_T5_mT6_T7_P12ihipStream_tbENKUlT_T0_E_clISt17integral_constantIbLb1EES12_IbLb0EEEEDaSY_SZ_EUlSY_E_NS1_11comp_targetILNS1_3genE8ELNS1_11target_archE1030ELNS1_3gpuE2ELNS1_3repE0EEENS1_30default_config_static_selectorELNS0_4arch9wavefront6targetE0EEEvT1_
		.amdhsa_group_segment_fixed_size 0
		.amdhsa_private_segment_fixed_size 0
		.amdhsa_kernarg_size 144
		.amdhsa_user_sgpr_count 2
		.amdhsa_user_sgpr_dispatch_ptr 0
		.amdhsa_user_sgpr_queue_ptr 0
		.amdhsa_user_sgpr_kernarg_segment_ptr 1
		.amdhsa_user_sgpr_dispatch_id 0
		.amdhsa_user_sgpr_kernarg_preload_length 0
		.amdhsa_user_sgpr_kernarg_preload_offset 0
		.amdhsa_user_sgpr_private_segment_size 0
		.amdhsa_wavefront_size32 1
		.amdhsa_uses_dynamic_stack 0
		.amdhsa_enable_private_segment 0
		.amdhsa_system_sgpr_workgroup_id_x 1
		.amdhsa_system_sgpr_workgroup_id_y 0
		.amdhsa_system_sgpr_workgroup_id_z 0
		.amdhsa_system_sgpr_workgroup_info 0
		.amdhsa_system_vgpr_workitem_id 0
		.amdhsa_next_free_vgpr 1
		.amdhsa_next_free_sgpr 1
		.amdhsa_named_barrier_count 0
		.amdhsa_reserve_vcc 0
		.amdhsa_float_round_mode_32 0
		.amdhsa_float_round_mode_16_64 0
		.amdhsa_float_denorm_mode_32 3
		.amdhsa_float_denorm_mode_16_64 3
		.amdhsa_fp16_overflow 0
		.amdhsa_memory_ordered 1
		.amdhsa_forward_progress 1
		.amdhsa_inst_pref_size 0
		.amdhsa_round_robin_scheduling 0
		.amdhsa_exception_fp_ieee_invalid_op 0
		.amdhsa_exception_fp_denorm_src 0
		.amdhsa_exception_fp_ieee_div_zero 0
		.amdhsa_exception_fp_ieee_overflow 0
		.amdhsa_exception_fp_ieee_underflow 0
		.amdhsa_exception_fp_ieee_inexact 0
		.amdhsa_exception_int_div_zero 0
	.end_amdhsa_kernel
	.section	.text._ZN7rocprim17ROCPRIM_400000_NS6detail17trampoline_kernelINS0_14default_configENS1_27scan_by_key_config_selectorIj11FixedVectorIiLj4EEEEZZNS1_16scan_by_key_implILNS1_25lookback_scan_determinismE0ELb1ES3_N6thrust23THRUST_200600_302600_NS6detail15normal_iteratorINSB_10device_ptrIjEEEENSD_INSE_IS6_EEEESI_S6_NSB_4plusIvEENSB_8equal_toIvEES6_EE10hipError_tPvRmT2_T3_T4_T5_mT6_T7_P12ihipStream_tbENKUlT_T0_E_clISt17integral_constantIbLb1EES12_IbLb0EEEEDaSY_SZ_EUlSY_E_NS1_11comp_targetILNS1_3genE8ELNS1_11target_archE1030ELNS1_3gpuE2ELNS1_3repE0EEENS1_30default_config_static_selectorELNS0_4arch9wavefront6targetE0EEEvT1_,"axG",@progbits,_ZN7rocprim17ROCPRIM_400000_NS6detail17trampoline_kernelINS0_14default_configENS1_27scan_by_key_config_selectorIj11FixedVectorIiLj4EEEEZZNS1_16scan_by_key_implILNS1_25lookback_scan_determinismE0ELb1ES3_N6thrust23THRUST_200600_302600_NS6detail15normal_iteratorINSB_10device_ptrIjEEEENSD_INSE_IS6_EEEESI_S6_NSB_4plusIvEENSB_8equal_toIvEES6_EE10hipError_tPvRmT2_T3_T4_T5_mT6_T7_P12ihipStream_tbENKUlT_T0_E_clISt17integral_constantIbLb1EES12_IbLb0EEEEDaSY_SZ_EUlSY_E_NS1_11comp_targetILNS1_3genE8ELNS1_11target_archE1030ELNS1_3gpuE2ELNS1_3repE0EEENS1_30default_config_static_selectorELNS0_4arch9wavefront6targetE0EEEvT1_,comdat
.Lfunc_end2101:
	.size	_ZN7rocprim17ROCPRIM_400000_NS6detail17trampoline_kernelINS0_14default_configENS1_27scan_by_key_config_selectorIj11FixedVectorIiLj4EEEEZZNS1_16scan_by_key_implILNS1_25lookback_scan_determinismE0ELb1ES3_N6thrust23THRUST_200600_302600_NS6detail15normal_iteratorINSB_10device_ptrIjEEEENSD_INSE_IS6_EEEESI_S6_NSB_4plusIvEENSB_8equal_toIvEES6_EE10hipError_tPvRmT2_T3_T4_T5_mT6_T7_P12ihipStream_tbENKUlT_T0_E_clISt17integral_constantIbLb1EES12_IbLb0EEEEDaSY_SZ_EUlSY_E_NS1_11comp_targetILNS1_3genE8ELNS1_11target_archE1030ELNS1_3gpuE2ELNS1_3repE0EEENS1_30default_config_static_selectorELNS0_4arch9wavefront6targetE0EEEvT1_, .Lfunc_end2101-_ZN7rocprim17ROCPRIM_400000_NS6detail17trampoline_kernelINS0_14default_configENS1_27scan_by_key_config_selectorIj11FixedVectorIiLj4EEEEZZNS1_16scan_by_key_implILNS1_25lookback_scan_determinismE0ELb1ES3_N6thrust23THRUST_200600_302600_NS6detail15normal_iteratorINSB_10device_ptrIjEEEENSD_INSE_IS6_EEEESI_S6_NSB_4plusIvEENSB_8equal_toIvEES6_EE10hipError_tPvRmT2_T3_T4_T5_mT6_T7_P12ihipStream_tbENKUlT_T0_E_clISt17integral_constantIbLb1EES12_IbLb0EEEEDaSY_SZ_EUlSY_E_NS1_11comp_targetILNS1_3genE8ELNS1_11target_archE1030ELNS1_3gpuE2ELNS1_3repE0EEENS1_30default_config_static_selectorELNS0_4arch9wavefront6targetE0EEEvT1_
                                        ; -- End function
	.set _ZN7rocprim17ROCPRIM_400000_NS6detail17trampoline_kernelINS0_14default_configENS1_27scan_by_key_config_selectorIj11FixedVectorIiLj4EEEEZZNS1_16scan_by_key_implILNS1_25lookback_scan_determinismE0ELb1ES3_N6thrust23THRUST_200600_302600_NS6detail15normal_iteratorINSB_10device_ptrIjEEEENSD_INSE_IS6_EEEESI_S6_NSB_4plusIvEENSB_8equal_toIvEES6_EE10hipError_tPvRmT2_T3_T4_T5_mT6_T7_P12ihipStream_tbENKUlT_T0_E_clISt17integral_constantIbLb1EES12_IbLb0EEEEDaSY_SZ_EUlSY_E_NS1_11comp_targetILNS1_3genE8ELNS1_11target_archE1030ELNS1_3gpuE2ELNS1_3repE0EEENS1_30default_config_static_selectorELNS0_4arch9wavefront6targetE0EEEvT1_.num_vgpr, 0
	.set _ZN7rocprim17ROCPRIM_400000_NS6detail17trampoline_kernelINS0_14default_configENS1_27scan_by_key_config_selectorIj11FixedVectorIiLj4EEEEZZNS1_16scan_by_key_implILNS1_25lookback_scan_determinismE0ELb1ES3_N6thrust23THRUST_200600_302600_NS6detail15normal_iteratorINSB_10device_ptrIjEEEENSD_INSE_IS6_EEEESI_S6_NSB_4plusIvEENSB_8equal_toIvEES6_EE10hipError_tPvRmT2_T3_T4_T5_mT6_T7_P12ihipStream_tbENKUlT_T0_E_clISt17integral_constantIbLb1EES12_IbLb0EEEEDaSY_SZ_EUlSY_E_NS1_11comp_targetILNS1_3genE8ELNS1_11target_archE1030ELNS1_3gpuE2ELNS1_3repE0EEENS1_30default_config_static_selectorELNS0_4arch9wavefront6targetE0EEEvT1_.num_agpr, 0
	.set _ZN7rocprim17ROCPRIM_400000_NS6detail17trampoline_kernelINS0_14default_configENS1_27scan_by_key_config_selectorIj11FixedVectorIiLj4EEEEZZNS1_16scan_by_key_implILNS1_25lookback_scan_determinismE0ELb1ES3_N6thrust23THRUST_200600_302600_NS6detail15normal_iteratorINSB_10device_ptrIjEEEENSD_INSE_IS6_EEEESI_S6_NSB_4plusIvEENSB_8equal_toIvEES6_EE10hipError_tPvRmT2_T3_T4_T5_mT6_T7_P12ihipStream_tbENKUlT_T0_E_clISt17integral_constantIbLb1EES12_IbLb0EEEEDaSY_SZ_EUlSY_E_NS1_11comp_targetILNS1_3genE8ELNS1_11target_archE1030ELNS1_3gpuE2ELNS1_3repE0EEENS1_30default_config_static_selectorELNS0_4arch9wavefront6targetE0EEEvT1_.numbered_sgpr, 0
	.set _ZN7rocprim17ROCPRIM_400000_NS6detail17trampoline_kernelINS0_14default_configENS1_27scan_by_key_config_selectorIj11FixedVectorIiLj4EEEEZZNS1_16scan_by_key_implILNS1_25lookback_scan_determinismE0ELb1ES3_N6thrust23THRUST_200600_302600_NS6detail15normal_iteratorINSB_10device_ptrIjEEEENSD_INSE_IS6_EEEESI_S6_NSB_4plusIvEENSB_8equal_toIvEES6_EE10hipError_tPvRmT2_T3_T4_T5_mT6_T7_P12ihipStream_tbENKUlT_T0_E_clISt17integral_constantIbLb1EES12_IbLb0EEEEDaSY_SZ_EUlSY_E_NS1_11comp_targetILNS1_3genE8ELNS1_11target_archE1030ELNS1_3gpuE2ELNS1_3repE0EEENS1_30default_config_static_selectorELNS0_4arch9wavefront6targetE0EEEvT1_.num_named_barrier, 0
	.set _ZN7rocprim17ROCPRIM_400000_NS6detail17trampoline_kernelINS0_14default_configENS1_27scan_by_key_config_selectorIj11FixedVectorIiLj4EEEEZZNS1_16scan_by_key_implILNS1_25lookback_scan_determinismE0ELb1ES3_N6thrust23THRUST_200600_302600_NS6detail15normal_iteratorINSB_10device_ptrIjEEEENSD_INSE_IS6_EEEESI_S6_NSB_4plusIvEENSB_8equal_toIvEES6_EE10hipError_tPvRmT2_T3_T4_T5_mT6_T7_P12ihipStream_tbENKUlT_T0_E_clISt17integral_constantIbLb1EES12_IbLb0EEEEDaSY_SZ_EUlSY_E_NS1_11comp_targetILNS1_3genE8ELNS1_11target_archE1030ELNS1_3gpuE2ELNS1_3repE0EEENS1_30default_config_static_selectorELNS0_4arch9wavefront6targetE0EEEvT1_.private_seg_size, 0
	.set _ZN7rocprim17ROCPRIM_400000_NS6detail17trampoline_kernelINS0_14default_configENS1_27scan_by_key_config_selectorIj11FixedVectorIiLj4EEEEZZNS1_16scan_by_key_implILNS1_25lookback_scan_determinismE0ELb1ES3_N6thrust23THRUST_200600_302600_NS6detail15normal_iteratorINSB_10device_ptrIjEEEENSD_INSE_IS6_EEEESI_S6_NSB_4plusIvEENSB_8equal_toIvEES6_EE10hipError_tPvRmT2_T3_T4_T5_mT6_T7_P12ihipStream_tbENKUlT_T0_E_clISt17integral_constantIbLb1EES12_IbLb0EEEEDaSY_SZ_EUlSY_E_NS1_11comp_targetILNS1_3genE8ELNS1_11target_archE1030ELNS1_3gpuE2ELNS1_3repE0EEENS1_30default_config_static_selectorELNS0_4arch9wavefront6targetE0EEEvT1_.uses_vcc, 0
	.set _ZN7rocprim17ROCPRIM_400000_NS6detail17trampoline_kernelINS0_14default_configENS1_27scan_by_key_config_selectorIj11FixedVectorIiLj4EEEEZZNS1_16scan_by_key_implILNS1_25lookback_scan_determinismE0ELb1ES3_N6thrust23THRUST_200600_302600_NS6detail15normal_iteratorINSB_10device_ptrIjEEEENSD_INSE_IS6_EEEESI_S6_NSB_4plusIvEENSB_8equal_toIvEES6_EE10hipError_tPvRmT2_T3_T4_T5_mT6_T7_P12ihipStream_tbENKUlT_T0_E_clISt17integral_constantIbLb1EES12_IbLb0EEEEDaSY_SZ_EUlSY_E_NS1_11comp_targetILNS1_3genE8ELNS1_11target_archE1030ELNS1_3gpuE2ELNS1_3repE0EEENS1_30default_config_static_selectorELNS0_4arch9wavefront6targetE0EEEvT1_.uses_flat_scratch, 0
	.set _ZN7rocprim17ROCPRIM_400000_NS6detail17trampoline_kernelINS0_14default_configENS1_27scan_by_key_config_selectorIj11FixedVectorIiLj4EEEEZZNS1_16scan_by_key_implILNS1_25lookback_scan_determinismE0ELb1ES3_N6thrust23THRUST_200600_302600_NS6detail15normal_iteratorINSB_10device_ptrIjEEEENSD_INSE_IS6_EEEESI_S6_NSB_4plusIvEENSB_8equal_toIvEES6_EE10hipError_tPvRmT2_T3_T4_T5_mT6_T7_P12ihipStream_tbENKUlT_T0_E_clISt17integral_constantIbLb1EES12_IbLb0EEEEDaSY_SZ_EUlSY_E_NS1_11comp_targetILNS1_3genE8ELNS1_11target_archE1030ELNS1_3gpuE2ELNS1_3repE0EEENS1_30default_config_static_selectorELNS0_4arch9wavefront6targetE0EEEvT1_.has_dyn_sized_stack, 0
	.set _ZN7rocprim17ROCPRIM_400000_NS6detail17trampoline_kernelINS0_14default_configENS1_27scan_by_key_config_selectorIj11FixedVectorIiLj4EEEEZZNS1_16scan_by_key_implILNS1_25lookback_scan_determinismE0ELb1ES3_N6thrust23THRUST_200600_302600_NS6detail15normal_iteratorINSB_10device_ptrIjEEEENSD_INSE_IS6_EEEESI_S6_NSB_4plusIvEENSB_8equal_toIvEES6_EE10hipError_tPvRmT2_T3_T4_T5_mT6_T7_P12ihipStream_tbENKUlT_T0_E_clISt17integral_constantIbLb1EES12_IbLb0EEEEDaSY_SZ_EUlSY_E_NS1_11comp_targetILNS1_3genE8ELNS1_11target_archE1030ELNS1_3gpuE2ELNS1_3repE0EEENS1_30default_config_static_selectorELNS0_4arch9wavefront6targetE0EEEvT1_.has_recursion, 0
	.set _ZN7rocprim17ROCPRIM_400000_NS6detail17trampoline_kernelINS0_14default_configENS1_27scan_by_key_config_selectorIj11FixedVectorIiLj4EEEEZZNS1_16scan_by_key_implILNS1_25lookback_scan_determinismE0ELb1ES3_N6thrust23THRUST_200600_302600_NS6detail15normal_iteratorINSB_10device_ptrIjEEEENSD_INSE_IS6_EEEESI_S6_NSB_4plusIvEENSB_8equal_toIvEES6_EE10hipError_tPvRmT2_T3_T4_T5_mT6_T7_P12ihipStream_tbENKUlT_T0_E_clISt17integral_constantIbLb1EES12_IbLb0EEEEDaSY_SZ_EUlSY_E_NS1_11comp_targetILNS1_3genE8ELNS1_11target_archE1030ELNS1_3gpuE2ELNS1_3repE0EEENS1_30default_config_static_selectorELNS0_4arch9wavefront6targetE0EEEvT1_.has_indirect_call, 0
	.section	.AMDGPU.csdata,"",@progbits
; Kernel info:
; codeLenInByte = 0
; TotalNumSgprs: 0
; NumVgprs: 0
; ScratchSize: 0
; MemoryBound: 0
; FloatMode: 240
; IeeeMode: 1
; LDSByteSize: 0 bytes/workgroup (compile time only)
; SGPRBlocks: 0
; VGPRBlocks: 0
; NumSGPRsForWavesPerEU: 1
; NumVGPRsForWavesPerEU: 1
; NamedBarCnt: 0
; Occupancy: 16
; WaveLimiterHint : 0
; COMPUTE_PGM_RSRC2:SCRATCH_EN: 0
; COMPUTE_PGM_RSRC2:USER_SGPR: 2
; COMPUTE_PGM_RSRC2:TRAP_HANDLER: 0
; COMPUTE_PGM_RSRC2:TGID_X_EN: 1
; COMPUTE_PGM_RSRC2:TGID_Y_EN: 0
; COMPUTE_PGM_RSRC2:TGID_Z_EN: 0
; COMPUTE_PGM_RSRC2:TIDIG_COMP_CNT: 0
	.section	.text._ZN7rocprim17ROCPRIM_400000_NS6detail17trampoline_kernelINS0_14default_configENS1_27scan_by_key_config_selectorIj11FixedVectorIiLj4EEEEZZNS1_16scan_by_key_implILNS1_25lookback_scan_determinismE0ELb1ES3_N6thrust23THRUST_200600_302600_NS6detail15normal_iteratorINSB_10device_ptrIjEEEENSD_INSE_IS6_EEEESI_S6_NSB_4plusIvEENSB_8equal_toIvEES6_EE10hipError_tPvRmT2_T3_T4_T5_mT6_T7_P12ihipStream_tbENKUlT_T0_E_clISt17integral_constantIbLb0EES12_IbLb1EEEEDaSY_SZ_EUlSY_E_NS1_11comp_targetILNS1_3genE0ELNS1_11target_archE4294967295ELNS1_3gpuE0ELNS1_3repE0EEENS1_30default_config_static_selectorELNS0_4arch9wavefront6targetE0EEEvT1_,"axG",@progbits,_ZN7rocprim17ROCPRIM_400000_NS6detail17trampoline_kernelINS0_14default_configENS1_27scan_by_key_config_selectorIj11FixedVectorIiLj4EEEEZZNS1_16scan_by_key_implILNS1_25lookback_scan_determinismE0ELb1ES3_N6thrust23THRUST_200600_302600_NS6detail15normal_iteratorINSB_10device_ptrIjEEEENSD_INSE_IS6_EEEESI_S6_NSB_4plusIvEENSB_8equal_toIvEES6_EE10hipError_tPvRmT2_T3_T4_T5_mT6_T7_P12ihipStream_tbENKUlT_T0_E_clISt17integral_constantIbLb0EES12_IbLb1EEEEDaSY_SZ_EUlSY_E_NS1_11comp_targetILNS1_3genE0ELNS1_11target_archE4294967295ELNS1_3gpuE0ELNS1_3repE0EEENS1_30default_config_static_selectorELNS0_4arch9wavefront6targetE0EEEvT1_,comdat
	.protected	_ZN7rocprim17ROCPRIM_400000_NS6detail17trampoline_kernelINS0_14default_configENS1_27scan_by_key_config_selectorIj11FixedVectorIiLj4EEEEZZNS1_16scan_by_key_implILNS1_25lookback_scan_determinismE0ELb1ES3_N6thrust23THRUST_200600_302600_NS6detail15normal_iteratorINSB_10device_ptrIjEEEENSD_INSE_IS6_EEEESI_S6_NSB_4plusIvEENSB_8equal_toIvEES6_EE10hipError_tPvRmT2_T3_T4_T5_mT6_T7_P12ihipStream_tbENKUlT_T0_E_clISt17integral_constantIbLb0EES12_IbLb1EEEEDaSY_SZ_EUlSY_E_NS1_11comp_targetILNS1_3genE0ELNS1_11target_archE4294967295ELNS1_3gpuE0ELNS1_3repE0EEENS1_30default_config_static_selectorELNS0_4arch9wavefront6targetE0EEEvT1_ ; -- Begin function _ZN7rocprim17ROCPRIM_400000_NS6detail17trampoline_kernelINS0_14default_configENS1_27scan_by_key_config_selectorIj11FixedVectorIiLj4EEEEZZNS1_16scan_by_key_implILNS1_25lookback_scan_determinismE0ELb1ES3_N6thrust23THRUST_200600_302600_NS6detail15normal_iteratorINSB_10device_ptrIjEEEENSD_INSE_IS6_EEEESI_S6_NSB_4plusIvEENSB_8equal_toIvEES6_EE10hipError_tPvRmT2_T3_T4_T5_mT6_T7_P12ihipStream_tbENKUlT_T0_E_clISt17integral_constantIbLb0EES12_IbLb1EEEEDaSY_SZ_EUlSY_E_NS1_11comp_targetILNS1_3genE0ELNS1_11target_archE4294967295ELNS1_3gpuE0ELNS1_3repE0EEENS1_30default_config_static_selectorELNS0_4arch9wavefront6targetE0EEEvT1_
	.globl	_ZN7rocprim17ROCPRIM_400000_NS6detail17trampoline_kernelINS0_14default_configENS1_27scan_by_key_config_selectorIj11FixedVectorIiLj4EEEEZZNS1_16scan_by_key_implILNS1_25lookback_scan_determinismE0ELb1ES3_N6thrust23THRUST_200600_302600_NS6detail15normal_iteratorINSB_10device_ptrIjEEEENSD_INSE_IS6_EEEESI_S6_NSB_4plusIvEENSB_8equal_toIvEES6_EE10hipError_tPvRmT2_T3_T4_T5_mT6_T7_P12ihipStream_tbENKUlT_T0_E_clISt17integral_constantIbLb0EES12_IbLb1EEEEDaSY_SZ_EUlSY_E_NS1_11comp_targetILNS1_3genE0ELNS1_11target_archE4294967295ELNS1_3gpuE0ELNS1_3repE0EEENS1_30default_config_static_selectorELNS0_4arch9wavefront6targetE0EEEvT1_
	.p2align	8
	.type	_ZN7rocprim17ROCPRIM_400000_NS6detail17trampoline_kernelINS0_14default_configENS1_27scan_by_key_config_selectorIj11FixedVectorIiLj4EEEEZZNS1_16scan_by_key_implILNS1_25lookback_scan_determinismE0ELb1ES3_N6thrust23THRUST_200600_302600_NS6detail15normal_iteratorINSB_10device_ptrIjEEEENSD_INSE_IS6_EEEESI_S6_NSB_4plusIvEENSB_8equal_toIvEES6_EE10hipError_tPvRmT2_T3_T4_T5_mT6_T7_P12ihipStream_tbENKUlT_T0_E_clISt17integral_constantIbLb0EES12_IbLb1EEEEDaSY_SZ_EUlSY_E_NS1_11comp_targetILNS1_3genE0ELNS1_11target_archE4294967295ELNS1_3gpuE0ELNS1_3repE0EEENS1_30default_config_static_selectorELNS0_4arch9wavefront6targetE0EEEvT1_,@function
_ZN7rocprim17ROCPRIM_400000_NS6detail17trampoline_kernelINS0_14default_configENS1_27scan_by_key_config_selectorIj11FixedVectorIiLj4EEEEZZNS1_16scan_by_key_implILNS1_25lookback_scan_determinismE0ELb1ES3_N6thrust23THRUST_200600_302600_NS6detail15normal_iteratorINSB_10device_ptrIjEEEENSD_INSE_IS6_EEEESI_S6_NSB_4plusIvEENSB_8equal_toIvEES6_EE10hipError_tPvRmT2_T3_T4_T5_mT6_T7_P12ihipStream_tbENKUlT_T0_E_clISt17integral_constantIbLb0EES12_IbLb1EEEEDaSY_SZ_EUlSY_E_NS1_11comp_targetILNS1_3genE0ELNS1_11target_archE4294967295ELNS1_3gpuE0ELNS1_3repE0EEENS1_30default_config_static_selectorELNS0_4arch9wavefront6targetE0EEEvT1_: ; @_ZN7rocprim17ROCPRIM_400000_NS6detail17trampoline_kernelINS0_14default_configENS1_27scan_by_key_config_selectorIj11FixedVectorIiLj4EEEEZZNS1_16scan_by_key_implILNS1_25lookback_scan_determinismE0ELb1ES3_N6thrust23THRUST_200600_302600_NS6detail15normal_iteratorINSB_10device_ptrIjEEEENSD_INSE_IS6_EEEESI_S6_NSB_4plusIvEENSB_8equal_toIvEES6_EE10hipError_tPvRmT2_T3_T4_T5_mT6_T7_P12ihipStream_tbENKUlT_T0_E_clISt17integral_constantIbLb0EES12_IbLb1EEEEDaSY_SZ_EUlSY_E_NS1_11comp_targetILNS1_3genE0ELNS1_11target_archE4294967295ELNS1_3gpuE0ELNS1_3repE0EEENS1_30default_config_static_selectorELNS0_4arch9wavefront6targetE0EEEvT1_
; %bb.0:
	s_clause 0x1
	s_load_b256 s[16:23], s[2:3], 0x38
	s_load_b64 s[36:37], s[2:3], 0x58
	v_and_b32_e32 v12, 0x3ff, v0
	s_delay_alu instid0(VALU_DEP_1)
	v_cmp_ne_u32_e64 s5, 0, v12
	v_cmp_eq_u32_e64 s4, 0, v12
	s_and_saveexec_b32 s6, s4
	s_cbranch_execz .LBB2102_4
; %bb.1:
	s_mov_b32 s8, exec_lo
	s_mov_b32 s7, exec_lo
	v_mbcnt_lo_u32_b32 v1, s8, 0
                                        ; implicit-def: $vgpr2
	s_delay_alu instid0(VALU_DEP_1)
	v_cmpx_eq_u32_e32 0, v1
	s_cbranch_execz .LBB2102_3
; %bb.2:
	s_load_b64 s[10:11], s[2:3], 0x88
	s_bcnt1_i32_b32 s8, s8
	s_delay_alu instid0(SALU_CYCLE_1)
	v_dual_mov_b32 v2, 0 :: v_dual_mov_b32 v3, s8
	s_wait_xcnt 0x0
	s_wait_kmcnt 0x0
	global_atomic_add_u32 v2, v2, v3, s[10:11] th:TH_ATOMIC_RETURN scope:SCOPE_DEV
.LBB2102_3:
	s_wait_xcnt 0x0
	s_or_b32 exec_lo, exec_lo, s7
	s_wait_loadcnt 0x0
	v_readfirstlane_b32 s7, v2
	s_delay_alu instid0(VALU_DEP_1)
	v_dual_mov_b32 v2, 0 :: v_dual_add_nc_u32 v1, s7, v1
	ds_store_b32 v2, v1
.LBB2102_4:
	s_or_b32 exec_lo, exec_lo, s6
	v_mov_b32_e32 v4, 0
	s_clause 0x3
	s_load_b256 s[8:15], s[2:3], 0x0
	s_load_b128 s[28:31], s[2:3], 0x20
	s_load_b32 s6, s[2:3], 0x60
	s_load_b128 s[24:27], s[2:3], 0x68
	s_wait_dscnt 0x0
	s_barrier_signal -1
	s_barrier_wait -1
	ds_load_b32 v1, v4
	v_mov_b64_e32 v[2:3], 0
	v_dual_mov_b32 v5, v4 :: v_dual_mov_b32 v6, v4
	v_mov_b32_e32 v7, v4
	s_wait_xcnt 0x0
	s_mov_b32 s2, 0
	s_wait_dscnt 0x0
	s_barrier_signal -1
	s_barrier_wait -1
	s_barrier_signal -1
	s_barrier_wait -1
	s_clause 0x1
	scratch_store_b32 off, v4, off offset:256
	scratch_store_b128 off, v[4:7], off offset:240
	v_readfirstlane_b32 s38, v1
.LBB2102_5:                             ; =>This Inner Loop Header: Depth=1
	s_wait_xcnt 0x0
	s_add_co_i32 s3, s2, 0xf0
	s_add_co_i32 s2, s2, 8
	scratch_store_b64 off, v[2:3], s3
	s_cmp_lg_u32 s2, 16
	s_cbranch_scc1 .LBB2102_5
; %bb.6:
	s_wait_xcnt 0x1
	v_mov_b32_e32 v4, 0
	s_wait_xcnt 0x0
	v_mov_b64_e32 v[2:3], 0
	s_mov_b32 s2, 20
	s_wait_kmcnt 0x0
	s_movk_i32 s23, 0x104
	v_dual_mov_b32 v5, v4 :: v_dual_mov_b32 v6, v4
	v_mov_b32_e32 v7, v4
	s_clause 0x2
	scratch_store_b8 off, v4, off offset:256
	scratch_store_b32 off, v4, off offset:276
	scratch_store_b128 off, v[4:7], off offset:260
.LBB2102_7:                             ; =>This Inner Loop Header: Depth=1
	s_wait_xcnt 0x0
	s_add_co_i32 s3, s2, 0xf0
	s_add_co_i32 s2, s2, 8
	scratch_store_b64 off, v[2:3], s3
	s_cmp_lg_u32 s2, 36
	s_cbranch_scc1 .LBB2102_7
; %bb.8:
	s_wait_xcnt 0x1
	v_mov_b32_e32 v4, 0
	s_wait_xcnt 0x0
	v_mov_b64_e32 v[2:3], 0
	s_mov_b32 s2, 40
	s_movk_i32 s33, 0x118
	v_dual_mov_b32 v5, v4 :: v_dual_mov_b32 v6, v4
	v_mov_b32_e32 v7, v4
	s_clause 0x2
	scratch_store_b8 off, v4, off offset:276
	scratch_store_b32 off, v4, off offset:296
	scratch_store_b128 off, v[4:7], off offset:280
.LBB2102_9:                             ; =>This Inner Loop Header: Depth=1
	s_wait_xcnt 0x0
	s_add_co_i32 s3, s2, 0xf0
	s_add_co_i32 s2, s2, 8
	scratch_store_b64 off, v[2:3], s3
	s_cmp_lg_u32 s2, 56
	s_cbranch_scc1 .LBB2102_9
; %bb.10:
	s_wait_xcnt 0x1
	v_mov_b32_e32 v4, 0
	s_wait_xcnt 0x0
	v_mov_b64_e32 v[2:3], 0
	s_mov_b32 s2, 60
	s_movk_i32 s44, 0x12c
	v_dual_mov_b32 v5, v4 :: v_dual_mov_b32 v6, v4
	v_mov_b32_e32 v7, v4
	s_clause 0x2
	scratch_store_b8 off, v4, off offset:296
	scratch_store_b32 off, v4, off offset:316
	scratch_store_b128 off, v[4:7], off offset:300
.LBB2102_11:                            ; =>This Inner Loop Header: Depth=1
	s_wait_xcnt 0x0
	s_add_co_i32 s3, s2, 0xf0
	s_add_co_i32 s2, s2, 8
	scratch_store_b64 off, v[2:3], s3
	s_cmp_lg_u32 s2, 0x4c
	s_cbranch_scc1 .LBB2102_11
; %bb.12:
	s_wait_xcnt 0x1
	v_mov_b32_e32 v4, 0
	s_wait_xcnt 0x0
	v_mov_b64_e32 v[2:3], 0
	s_movk_i32 s2, 0x50
	s_movk_i32 s45, 0x140
	v_dual_mov_b32 v5, v4 :: v_dual_mov_b32 v6, v4
	v_mov_b32_e32 v7, v4
	s_clause 0x2
	scratch_store_b8 off, v4, off offset:316
	scratch_store_b32 off, v4, off offset:336
	scratch_store_b128 off, v[4:7], off offset:320
.LBB2102_13:                            ; =>This Inner Loop Header: Depth=1
	s_wait_xcnt 0x0
	s_add_co_i32 s3, s2, 0xf0
	s_add_co_i32 s2, s2, 8
	scratch_store_b64 off, v[2:3], s3
	s_cmp_lg_u32 s2, 0x60
	s_cbranch_scc1 .LBB2102_13
; %bb.14:
	s_wait_xcnt 0x1
	v_mov_b32_e32 v4, 0
	s_wait_xcnt 0x0
	v_mov_b64_e32 v[2:3], 0
	s_movk_i32 s2, 0x64
	;; [unrolled: 20-line block ×6, first 2 shown]
	s_movk_i32 s50, 0x1a4
	v_dual_mov_b32 v5, v4 :: v_dual_mov_b32 v6, v4
	v_mov_b32_e32 v7, v4
	s_clause 0x2
	scratch_store_b8 off, v4, off offset:416
	scratch_store_b32 off, v4, off offset:436
	scratch_store_b128 off, v[4:7], off offset:420
.LBB2102_23:                            ; =>This Inner Loop Header: Depth=1
	s_wait_xcnt 0x0
	s_add_co_i32 s3, s2, 0xf0
	s_add_co_i32 s2, s2, 8
	scratch_store_b64 off, v[2:3], s3
	s_cmp_lg_u32 s2, 0xc4
	s_cbranch_scc1 .LBB2102_23
; %bb.24:
	s_wait_xcnt 0x1
	v_mov_b64_e32 v[4:5], s[28:29]
	s_wait_xcnt 0x0
	v_mov_b64_e32 v[2:3], 0
	v_mov_b64_e32 v[6:7], s[30:31]
	v_mov_b32_e32 v1, 0
	s_mov_b32 s2, 0
	s_clause 0x1
	scratch_store_b8 off, v1, off offset:436
	scratch_store_b128 off, v[4:7], off offset:160
.LBB2102_25:                            ; =>This Inner Loop Header: Depth=1
	s_wait_xcnt 0x0
	s_mov_b32 s3, s2
	s_add_co_i32 s2, s2, 8
	scratch_store_b64 off, v[2:3], s3
	s_cmp_lg_u32 s2, 16
	s_cbranch_scc1 .LBB2102_25
; %bb.26:
	s_wait_xcnt 0x0
	v_mov_b64_e32 v[2:3], 0
	s_mov_b32 s2, 16
.LBB2102_27:                            ; =>This Inner Loop Header: Depth=1
	s_wait_xcnt 0x0
	s_mov_b32 s3, s2
	s_add_co_i32 s2, s2, 8
	scratch_store_b64 off, v[2:3], s3
	s_cmp_lg_u32 s2, 32
	s_cbranch_scc1 .LBB2102_27
; %bb.28:
	s_wait_xcnt 0x0
	v_mov_b64_e32 v[2:3], 0
	s_mov_b32 s2, 32
	;; [unrolled: 11-line block ×4, first 2 shown]
.LBB2102_33:                            ; =>This Inner Loop Header: Depth=1
	s_wait_xcnt 0x0
	s_mov_b32 s3, s2
	s_add_co_i32 s2, s2, 8
	scratch_store_b64 off, v[2:3], s3
	s_cmp_lg_u32 s2, 0x50
	s_cbranch_scc1 .LBB2102_33
; %bb.34:
	s_wait_xcnt 0x0
	v_mov_b64_e32 v[2:3], 0
	s_movk_i32 s2, 0x50
.LBB2102_35:                            ; =>This Inner Loop Header: Depth=1
	s_wait_xcnt 0x0
	s_mov_b32 s3, s2
	s_add_co_i32 s2, s2, 8
	scratch_store_b64 off, v[2:3], s3
	s_cmp_lg_u32 s2, 0x60
	s_cbranch_scc1 .LBB2102_35
; %bb.36:
	s_wait_xcnt 0x0
	v_mov_b64_e32 v[2:3], 0
	s_movk_i32 s2, 0x60
.LBB2102_37:                            ; =>This Inner Loop Header: Depth=1
	s_wait_xcnt 0x0
	s_mov_b32 s3, s2
	s_add_co_i32 s2, s2, 8
	scratch_store_b64 off, v[2:3], s3
	s_cmp_lg_u32 s2, 0x70
	s_cbranch_scc1 .LBB2102_37
; %bb.38:
	s_wait_xcnt 0x0
	v_mov_b64_e32 v[2:3], 0
	s_movk_i32 s2, 0x70
.LBB2102_39:                            ; =>This Inner Loop Header: Depth=1
	s_wait_xcnt 0x0
	s_mov_b32 s3, s2
	s_add_co_i32 s2, s2, 8
	scratch_store_b64 off, v[2:3], s3
	s_cmp_lg_u32 s2, 0x80
	s_cbranch_scc1 .LBB2102_39
; %bb.40:
	s_wait_xcnt 0x0
	v_mov_b64_e32 v[2:3], 0
	s_movk_i32 s2, 0x80
.LBB2102_41:                            ; =>This Inner Loop Header: Depth=1
	s_wait_xcnt 0x0
	s_mov_b32 s3, s2
	s_add_co_i32 s2, s2, 8
	scratch_store_b64 off, v[2:3], s3
	s_cmp_lg_u32 s2, 0x90
	s_cbranch_scc1 .LBB2102_41
; %bb.42:
	s_wait_xcnt 0x0
	v_mov_b64_e32 v[2:3], 0
	s_movk_i32 s2, 0x90
.LBB2102_43:                            ; =>This Inner Loop Header: Depth=1
	s_wait_xcnt 0x0
	s_mov_b32 s3, s2
	s_add_co_i32 s2, s2, 8
	scratch_store_b64 off, v[2:3], s3
	s_cmp_lg_u32 s2, 0xa0
	s_cbranch_scc1 .LBB2102_43
; %bb.44:
	s_mov_b32 s7, 0
	s_wait_xcnt 0x0
	s_lshl_b64 s[2:3], s[10:11], 2
	s_mul_u64 s[34:35], s[36:37], s[6:7]
	s_mov_b32 s39, s7
	s_add_nc_u64 s[2:3], s[8:9], s[2:3]
	s_add_nc_u64 s[8:9], s[34:35], s[38:39]
	s_add_nc_u64 s[62:63], s[24:25], -1
	s_lshl_b64 s[24:25], s[10:11], 4
	v_cmp_ge_u64_e64 s39, s[8:9], s[62:63]
	s_mul_i32 s6, s38, 0x280
	s_add_nc_u64 s[8:9], s[12:13], s[24:25]
	s_lshl_b64 s[10:11], s[6:7], 2
	s_lshl_b64 s[34:35], s[6:7], 4
	s_movk_i32 s56, 0x90
	s_movk_i32 s57, 0x80
	;; [unrolled: 1-line block ×5, first 2 shown]
	s_mov_b32 s51, 64
	s_mov_b32 s52, 48
	;; [unrolled: 1-line block ×4, first 2 shown]
	s_add_nc_u64 s[42:43], s[2:3], s[10:11]
	s_add_nc_u64 s[40:41], s[8:9], s[34:35]
	s_and_b32 vcc_lo, exec_lo, s39
	s_mul_i32 s55, s62, 0xfffffd80
	s_cbranch_vccz .LBB2102_97
; %bb.45:
	v_mov_b32_e32 v1, 0
	s_add_co_i32 s61, s55, s22
	s_delay_alu instid0(SALU_CYCLE_1)
	v_cmp_gt_u32_e32 vcc_lo, s61, v12
	flat_load_b32 v1, v1, s[42:43]
	s_wait_loadcnt_dscnt 0x0
	v_mov_b32_e32 v2, v1
	s_wait_xcnt 0x0
	s_and_saveexec_b32 s2, vcc_lo
	s_cbranch_execz .LBB2102_47
; %bb.46:
	flat_load_b32 v2, v12, s[42:43] scale_offset
.LBB2102_47:
	s_wait_xcnt 0x0
	s_or_b32 exec_lo, exec_lo, s2
	v_add_nc_u32_e32 v3, 64, v12
	s_delay_alu instid0(VALU_DEP_1)
	v_cmp_gt_u32_e64 s2, s61, v3
	v_mov_b32_e32 v3, v1
	s_and_saveexec_b32 s3, s2
	s_cbranch_execz .LBB2102_49
; %bb.48:
	flat_load_b32 v3, v12, s[42:43] offset:256 scale_offset
.LBB2102_49:
	s_wait_xcnt 0x0
	s_or_b32 exec_lo, exec_lo, s3
	v_add_nc_u32_e32 v4, 0x80, v12
	s_delay_alu instid0(VALU_DEP_1)
	v_cmp_gt_u32_e64 s3, s61, v4
	v_mov_b32_e32 v4, v1
	s_and_saveexec_b32 s6, s3
	s_cbranch_execz .LBB2102_51
; %bb.50:
	flat_load_b32 v4, v12, s[42:43] offset:512 scale_offset
.LBB2102_51:
	;; [unrolled: 11-line block ×8, first 2 shown]
	s_wait_xcnt 0x0
	s_or_b32 exec_lo, exec_lo, s12
	v_add_nc_u32_e32 v11, 0x240, v12
	s_delay_alu instid0(VALU_DEP_1) | instskip(SKIP_2) | instid1(SALU_CYCLE_1)
	v_cmp_gt_u32_e64 s12, s61, v11
	v_cmp_le_u32_e64 s13, s61, v11
	s_and_saveexec_b32 s62, s13
	s_xor_b32 s13, exec_lo, s62
	s_delay_alu instid0(SALU_CYCLE_1)
	s_and_not1_saveexec_b32 s13, s13
	s_cbranch_execz .LBB2102_65
; %bb.64:
	flat_load_b32 v1, v12, s[42:43] offset:2304 scale_offset
.LBB2102_65:
	s_wait_xcnt 0x0
	s_or_b32 exec_lo, exec_lo, s13
	v_lshlrev_b32_e32 v11, 2, v12
	s_mov_b32 s62, exec_lo
	s_wait_loadcnt_dscnt 0x0
	ds_store_2addr_stride64_b32 v11, v2, v3 offset1:1
	ds_store_2addr_stride64_b32 v11, v4, v5 offset0:2 offset1:3
	ds_store_2addr_stride64_b32 v11, v6, v7 offset0:4 offset1:5
	ds_store_2addr_stride64_b32 v11, v8, v9 offset0:6 offset1:7
	ds_store_2addr_stride64_b32 v11, v10, v1 offset0:8 offset1:9
	v_mov_b32_e32 v1, 0
	s_wait_storecnt_dscnt 0x0
	s_barrier_signal -1
	s_barrier_wait -1
	flat_load_b32 v1, v1, s[42:43]
	v_mad_u32_u24 v13, v12, 36, v11
	ds_load_2addr_b64 v[6:9], v13 offset1:1
	ds_load_2addr_b64 v[2:5], v13 offset0:2 offset1:3
	ds_load_b64 v[10:11], v13 offset:32
	v_mad_i32_i24 v14, 0xffffffdc, v12, v13
	s_wait_dscnt 0x2
	ds_store_b32 v14, v6 offset:2816
	s_wait_loadcnt_dscnt 0x0
	s_barrier_signal -1
	s_barrier_wait -1
	v_cmpx_ne_u32_e32 63, v12
; %bb.66:
	ds_load_b32 v1, v14 offset:2820
; %bb.67:
	s_or_b32 exec_lo, exec_lo, s62
	s_wait_dscnt 0x0
	s_barrier_signal -1
	s_barrier_wait -1
	s_and_saveexec_b32 s13, vcc_lo
	s_cbranch_execnz .LBB2102_744
; %bb.68:
	s_or_b32 exec_lo, exec_lo, s13
	s_and_saveexec_b32 s13, s2
	s_cbranch_execnz .LBB2102_745
.LBB2102_69:
	s_or_b32 exec_lo, exec_lo, s13
	s_and_saveexec_b32 s2, s3
	s_cbranch_execnz .LBB2102_746
.LBB2102_70:
	s_or_b32 exec_lo, exec_lo, s2
	s_and_saveexec_b32 s2, s6
	s_cbranch_execnz .LBB2102_747
.LBB2102_71:
	s_or_b32 exec_lo, exec_lo, s2
	s_and_saveexec_b32 s2, s7
	s_cbranch_execnz .LBB2102_748
.LBB2102_72:
	s_or_b32 exec_lo, exec_lo, s2
	s_and_saveexec_b32 s2, s8
	s_cbranch_execnz .LBB2102_749
.LBB2102_73:
	s_or_b32 exec_lo, exec_lo, s2
	s_and_saveexec_b32 s2, s9
	s_cbranch_execnz .LBB2102_750
.LBB2102_74:
	s_or_b32 exec_lo, exec_lo, s2
	s_and_saveexec_b32 s2, s10
	s_cbranch_execnz .LBB2102_751
.LBB2102_75:
	s_or_b32 exec_lo, exec_lo, s2
	s_and_saveexec_b32 s2, s11
	s_cbranch_execnz .LBB2102_752
.LBB2102_76:
	s_or_b32 exec_lo, exec_lo, s2
	v_mul_u32_u24_e32 v13, 10, v12
	s_and_saveexec_b32 s2, s12
	s_cbranch_execz .LBB2102_78
.LBB2102_77:
	flat_load_b128 v[16:19], v12, s[40:41] offset:9216 scale_offset
	s_wait_loadcnt_dscnt 0x0
	scratch_store_b128 off, v[16:19], off offset:144
.LBB2102_78:
	s_wait_xcnt 0x0
	s_or_b32 exec_lo, exec_lo, s2
	scratch_load_b128 v[16:19], off, off
	s_clause 0x8
	scratch_load_b128 v[20:23], off, s54
	scratch_load_b128 v[24:27], off, s53
	;; [unrolled: 1-line block ×9, first 2 shown]
	v_mad_u32_u24 v14, v12, 12, v14
	s_mov_b32 s2, 0
	s_mov_b32 s7, 0
	s_mov_b32 s3, exec_lo
                                        ; implicit-def: $sgpr8
	s_wait_loadcnt 0x9
	ds_store_b128 v14, v[16:19]
	s_wait_loadcnt 0x8
	ds_store_b128 v14, v[20:23] offset:1024
	s_wait_loadcnt 0x7
	ds_store_b128 v14, v[24:27] offset:2048
	;; [unrolled: 2-line block ×9, first 2 shown]
	v_mad_u32_u24 v56, 0x90, v12, v14
	s_wait_storecnt_dscnt 0x0
	s_barrier_signal -1
	s_barrier_wait -1
	ds_load_b128 v[14:17], v56
	ds_load_b128 v[18:21], v56 offset:16
	ds_load_b128 v[22:25], v56 offset:32
	;; [unrolled: 1-line block ×9, first 2 shown]
	s_wait_dscnt 0x9
	scratch_store_b128 off, v[14:17], off
	s_wait_dscnt 0x8
	scratch_store_b128 off, v[18:21], s54
	s_wait_dscnt 0x7
	scratch_store_b128 off, v[22:25], s53
	;; [unrolled: 2-line block ×9, first 2 shown]
	s_wait_xcnt 0x0
	v_cmpx_gt_u32_e64 s61, v13
	s_cbranch_execz .LBB2102_96
; %bb.79:
	v_mov_b32_e32 v14, 0xa0
	v_cmp_ne_u32_e32 vcc_lo, v6, v7
	s_mov_b32 s6, exec_lo
                                        ; implicit-def: $sgpr8
	s_delay_alu instid0(VALU_DEP_2)
	v_cndmask_b32_e32 v15, 0, v14, vcc_lo
	v_cndmask_b32_e64 v6, 0, 1, vcc_lo
	scratch_load_b128 v[16:19], v15, off
	s_wait_xcnt 0x0
	v_or_b32_e32 v15, 1, v13
	s_wait_loadcnt 0x0
	s_clause 0x1
	scratch_store_b128 off, v[16:19], off offset:240
	scratch_store_b8 off, v6, off offset:256
	s_wait_xcnt 0x0
	v_cmpx_gt_u32_e64 s61, v15
	s_cbranch_execz .LBB2102_95
; %bb.80:
	v_cmp_ne_u32_e32 vcc_lo, v7, v8
	s_mov_b32 s9, 0
	s_mov_b32 s7, exec_lo
                                        ; implicit-def: $sgpr8
	v_cndmask_b32_e32 v7, s54, v14, vcc_lo
	v_cndmask_b32_e64 v6, 0, 1, vcc_lo
	scratch_load_b128 v[14:17], v7, off
	s_wait_xcnt 0x0
	v_add_nc_u32_e32 v7, 2, v13
	s_wait_loadcnt 0x0
	scratch_store_b128 off, v[14:17], s23
	scratch_store_b8 off, v6, off offset:276
	s_wait_xcnt 0x0
	v_cmpx_gt_u32_e64 s61, v7
	s_cbranch_execz .LBB2102_94
; %bb.81:
	v_mov_b32_e32 v6, 0xa0
	v_cmp_ne_u32_e32 vcc_lo, v8, v9
	s_mov_b32 s10, 0
	s_mov_b32 s9, exec_lo
                                        ; implicit-def: $sgpr8
	s_delay_alu instid0(VALU_DEP_2)
	v_cndmask_b32_e32 v8, s53, v6, vcc_lo
	v_cndmask_b32_e64 v7, 0, 1, vcc_lo
	scratch_load_b128 v[14:17], v8, off
	s_wait_xcnt 0x0
	v_add_nc_u32_e32 v8, 3, v13
	s_wait_loadcnt 0x0
	scratch_store_b128 off, v[14:17], s33
	scratch_store_b8 off, v7, off offset:296
	s_wait_xcnt 0x0
	v_cmpx_gt_u32_e64 s61, v8
	s_cbranch_execz .LBB2102_93
; %bb.82:
	v_cmp_ne_u32_e32 vcc_lo, v9, v2
	s_mov_b32 s11, 0
	s_mov_b32 s10, exec_lo
                                        ; implicit-def: $sgpr8
	v_dual_cndmask_b32 v6, s52, v6 :: v_dual_add_nc_u32 v15, 4, v13
	v_cndmask_b32_e64 v14, 0, 1, vcc_lo
	scratch_load_b128 v[6:9], v6, off
	s_wait_loadcnt 0x0
	scratch_store_b128 off, v[6:9], s44
	scratch_store_b8 off, v14, off offset:316
	s_wait_xcnt 0x0
	v_cmpx_gt_u32_e64 s61, v15
	s_cbranch_execz .LBB2102_92
; %bb.83:
	v_mov_b32_e32 v6, 0xa0
	v_cmp_ne_u32_e32 vcc_lo, v2, v3
	s_mov_b32 s12, 0
	s_mov_b32 s11, exec_lo
                                        ; implicit-def: $sgpr8
	s_delay_alu instid0(VALU_DEP_2)
	v_cndmask_b32_e32 v7, s51, v6, vcc_lo
	v_cndmask_b32_e64 v2, 0, 1, vcc_lo
	scratch_load_b128 v[14:17], v7, off
	s_wait_xcnt 0x0
	v_add_nc_u32_e32 v7, 5, v13
	s_wait_loadcnt 0x0
	scratch_store_b128 off, v[14:17], s45
	scratch_store_b8 off, v2, off offset:336
	s_wait_xcnt 0x0
	v_cmpx_gt_u32_e64 s61, v7
	s_cbranch_execz .LBB2102_91
; %bb.84:
	v_cmp_ne_u32_e32 vcc_lo, v3, v4
	s_mov_b32 s13, 0
	s_mov_b32 s12, exec_lo
                                        ; implicit-def: $sgpr8
	v_cndmask_b32_e32 v3, s60, v6, vcc_lo
	v_cndmask_b32_e64 v2, 0, 1, vcc_lo
	scratch_load_b128 v[6:9], v3, off
	s_wait_xcnt 0x0
	v_add_nc_u32_e32 v3, 6, v13
	s_wait_loadcnt 0x0
	scratch_store_b128 off, v[6:9], s46
	scratch_store_b8 off, v2, off offset:356
	s_wait_xcnt 0x0
	v_cmpx_gt_u32_e64 s61, v3
	s_cbranch_execz .LBB2102_90
; %bb.85:
	v_mov_b32_e32 v2, 0xa0
	v_cmp_ne_u32_e32 vcc_lo, v4, v5
	s_mov_b32 s62, 0
	s_mov_b32 s13, exec_lo
                                        ; implicit-def: $sgpr8
	s_delay_alu instid0(VALU_DEP_2)
	v_cndmask_b32_e32 v4, s59, v2, vcc_lo
	v_cndmask_b32_e64 v3, 0, 1, vcc_lo
	scratch_load_b128 v[6:9], v4, off
	s_wait_xcnt 0x0
	v_add_nc_u32_e32 v4, 7, v13
	s_wait_loadcnt 0x0
	scratch_store_b128 off, v[6:9], s47
	scratch_store_b8 off, v3, off offset:376
	s_wait_xcnt 0x0
	v_cmpx_gt_u32_e64 s61, v4
	s_cbranch_execz .LBB2102_89
; %bb.86:
	v_cmp_ne_u32_e32 vcc_lo, v5, v10
	s_mov_b32 s63, 0
	s_mov_b32 s62, exec_lo
                                        ; implicit-def: $sgpr8
	v_dual_cndmask_b32 v2, s58, v2 :: v_dual_add_nc_u32 v7, 8, v13
	v_cndmask_b32_e64 v6, 0, 1, vcc_lo
	scratch_load_b128 v[2:5], v2, off
	s_wait_loadcnt 0x0
	scratch_store_b128 off, v[2:5], s48
	scratch_store_b8 off, v6, off offset:396
	s_wait_xcnt 0x0
	v_cmpx_gt_u32_e64 s61, v7
	s_xor_b32 s62, exec_lo, s62
	s_cbranch_execz .LBB2102_88
; %bb.87:
	v_dual_mov_b32 v2, 0xa0 :: v_dual_add_nc_u32 v7, 9, v13
	v_cmp_ne_u32_e32 vcc_lo, v10, v11
	v_cmp_ne_u32_e64 s8, v11, v1
	s_delay_alu instid0(VALU_DEP_3)
	v_cndmask_b32_e32 v2, s57, v2, vcc_lo
	v_cndmask_b32_e64 v6, 0, 1, vcc_lo
	v_cmp_gt_u32_e32 vcc_lo, s61, v7
	scratch_load_b128 v[2:5], v2, off
	s_wait_loadcnt 0x0
	scratch_store_b128 off, v[2:5], s49
	scratch_store_b8 off, v6, off offset:416
	s_and_b32 s63, vcc_lo, exec_lo
.LBB2102_88:
	s_wait_xcnt 0x0
	s_or_b32 exec_lo, exec_lo, s62
	s_delay_alu instid0(SALU_CYCLE_1)
	s_and_b32 s62, s63, exec_lo
.LBB2102_89:
	s_or_b32 exec_lo, exec_lo, s13
	s_delay_alu instid0(SALU_CYCLE_1)
	s_and_b32 s13, s62, exec_lo
.LBB2102_90:
	s_or_b32 exec_lo, exec_lo, s12
	s_delay_alu instid0(SALU_CYCLE_1)
	s_and_b32 s12, s13, exec_lo
.LBB2102_91:
	s_or_b32 exec_lo, exec_lo, s11
	s_delay_alu instid0(SALU_CYCLE_1)
	s_and_b32 s11, s12, exec_lo
.LBB2102_92:
	s_or_b32 exec_lo, exec_lo, s10
	s_delay_alu instid0(SALU_CYCLE_1)
	s_and_b32 s10, s11, exec_lo
.LBB2102_93:
	s_or_b32 exec_lo, exec_lo, s9
	s_delay_alu instid0(SALU_CYCLE_1)
	s_and_b32 s9, s10, exec_lo
.LBB2102_94:
	s_or_b32 exec_lo, exec_lo, s7
	s_delay_alu instid0(SALU_CYCLE_1)
	s_and_b32 s7, s9, exec_lo
.LBB2102_95:
	s_or_b32 exec_lo, exec_lo, s6
	s_delay_alu instid0(SALU_CYCLE_1)
	s_and_b32 s7, s7, exec_lo
.LBB2102_96:
	s_or_b32 exec_lo, exec_lo, s3
	s_delay_alu instid0(SALU_CYCLE_1)
	s_and_b32 vcc_lo, exec_lo, s2
	s_cbranch_vccnz .LBB2102_98
	s_branch .LBB2102_101
.LBB2102_97:
                                        ; implicit-def: $sgpr8
	s_cbranch_execz .LBB2102_101
.LBB2102_98:
	s_clause 0x9
	flat_load_b32 v1, v12, s[42:43] scale_offset
	flat_load_b32 v2, v12, s[42:43] offset:256 scale_offset
	flat_load_b32 v3, v12, s[42:43] offset:512 scale_offset
	flat_load_b32 v4, v12, s[42:43] offset:768 scale_offset
	flat_load_b32 v5, v12, s[42:43] offset:1024 scale_offset
	flat_load_b32 v6, v12, s[42:43] offset:1280 scale_offset
	flat_load_b32 v7, v12, s[42:43] offset:1536 scale_offset
	flat_load_b32 v8, v12, s[42:43] offset:1792 scale_offset
	flat_load_b32 v9, v12, s[42:43] offset:2048 scale_offset
	flat_load_b32 v10, v12, s[42:43] offset:2304 scale_offset
	v_dual_lshlrev_b32 v11, 2, v12 :: v_dual_mov_b32 v13, 0
	s_mov_b32 s2, exec_lo
	s_wait_loadcnt_dscnt 0x808
	ds_store_2addr_stride64_b32 v11, v1, v2 offset1:1
	s_wait_loadcnt_dscnt 0x607
	ds_store_2addr_stride64_b32 v11, v3, v4 offset0:2 offset1:3
	s_wait_loadcnt_dscnt 0x406
	ds_store_2addr_stride64_b32 v11, v5, v6 offset0:4 offset1:5
	;; [unrolled: 2-line block ×4, first 2 shown]
	s_wait_storecnt_dscnt 0x0
	s_barrier_signal -1
	s_barrier_wait -1
	flat_load_b32 v1, v13, s[42:43] offset:2560
	s_wait_xcnt 0x0
	v_mad_u32_u24 v13, v12, 36, v11
	ds_load_2addr_b64 v[6:9], v13 offset1:1
	ds_load_2addr_b64 v[2:5], v13 offset0:2 offset1:3
	ds_load_b64 v[10:11], v13 offset:32
	v_mad_i32_i24 v13, 0xffffffdc, v12, v13
	s_wait_dscnt 0x2
	ds_store_b32 v13, v6 offset:2816
	s_wait_loadcnt_dscnt 0x0
	s_barrier_signal -1
	s_barrier_wait -1
	v_cmpx_ne_u32_e32 63, v12
; %bb.99:
	ds_load_b32 v1, v13 offset:2820
; %bb.100:
	s_or_b32 exec_lo, exec_lo, s2
	s_wait_dscnt 0x0
	s_barrier_signal -1
	s_barrier_wait -1
	flat_load_b128 v[14:17], v12, s[40:41] scale_offset
	v_cmp_ne_u32_e64 s6, v9, v2
	v_cmp_ne_u32_e64 s7, v2, v3
	v_mad_u32_u24 v2, v12, 12, v13
	v_cmp_ne_u32_e32 vcc_lo, v6, v7
	v_cmp_ne_u32_e64 s2, v7, v8
	v_cmp_ne_u32_e64 s3, v8, v9
	v_cmp_ne_u32_e64 s8, v3, v4
	v_mad_u32_u24 v62, 0x90, v12, v2
	v_cmp_ne_u32_e64 s9, v4, v5
	v_cmp_ne_u32_e64 s10, v5, v10
	v_mov_b32_e32 v61, 0xa0
	v_cmp_ne_u32_e64 s11, v10, v11
	v_cndmask_b32_e64 v59, 0, 1, s8
	v_cndmask_b32_e64 v58, 0, 1, s7
	v_cndmask_b32_e64 v54, 0, 1, vcc_lo
	v_cndmask_b32_e64 v55, 0, 1, s2
	v_cndmask_b32_e64 v56, 0, 1, s3
	;; [unrolled: 1-line block ×6, first 2 shown]
	s_wait_loadcnt_dscnt 0x0
	scratch_store_b128 off, v[14:17], off
	flat_load_b128 v[14:17], v12, s[40:41] offset:1024 scale_offset
	s_wait_loadcnt_dscnt 0x0
	scratch_store_b128 off, v[14:17], off offset:16
	flat_load_b128 v[14:17], v12, s[40:41] offset:2048 scale_offset
	s_wait_loadcnt_dscnt 0x0
	scratch_store_b128 off, v[14:17], off offset:32
	;; [unrolled: 3-line block ×8, first 2 shown]
	flat_load_b128 v[14:17], v12, s[40:41] offset:9216 scale_offset
	scratch_load_b128 v[18:21], off, off
	s_clause 0x6
	scratch_load_b128 v[22:25], off, s54
	scratch_load_b128 v[26:29], off, s53
	;; [unrolled: 1-line block ×7, first 2 shown]
	s_wait_loadcnt_dscnt 0x800
	scratch_store_b128 off, v[14:17], off offset:144
	s_clause 0x1
	scratch_load_b128 v[14:17], off, s57
	scratch_load_b128 v[50:53], off, s56
	s_wait_loadcnt 0x9
	ds_store_b128 v2, v[18:21]
	s_wait_loadcnt 0x8
	ds_store_b128 v2, v[22:25] offset:1024
	s_wait_loadcnt 0x7
	ds_store_b128 v2, v[26:29] offset:2048
	;; [unrolled: 2-line block ×9, first 2 shown]
	s_wait_storecnt_dscnt 0x0
	s_barrier_signal -1
	s_barrier_wait -1
	ds_load_b128 v[2:5], v62
	ds_load_b128 v[6:9], v62 offset:16
	ds_load_b128 v[14:17], v62 offset:32
	;; [unrolled: 1-line block ×8, first 2 shown]
	v_cndmask_b32_e64 v47, s54, v61, s2
	v_cndmask_b32_e64 v48, s53, v61, s3
	;; [unrolled: 1-line block ×3, first 2 shown]
	v_cndmask_b32_e32 v46, 0, v61, vcc_lo
	v_cndmask_b32_e64 v50, s51, v61, s7
	v_cndmask_b32_e64 v51, s60, v61, s8
	;; [unrolled: 1-line block ×3, first 2 shown]
	ds_load_b128 v[42:45], v62 offset:144
	v_cndmask_b32_e64 v53, s58, v61, s10
	s_wait_dscnt 0x9
	scratch_store_b128 off, v[2:5], off
	s_wait_dscnt 0x8
	scratch_store_b128 off, v[6:9], s54
	s_wait_dscnt 0x7
	scratch_store_b128 off, v[14:17], s53
	;; [unrolled: 2-line block ×5, first 2 shown]
	scratch_load_b128 v[2:5], v47, off
	scratch_load_b128 v[6:9], v48, off
	;; [unrolled: 1-line block ×3, first 2 shown]
	s_wait_dscnt 0x3
	scratch_store_b128 off, v[30:33], s59
	s_wait_dscnt 0x2
	scratch_store_b128 off, v[34:37], s58
	;; [unrolled: 2-line block ×3, first 2 shown]
	v_cndmask_b32_e64 v61, s57, v61, s11
	scratch_load_b128 v[18:21], v49, off
	scratch_load_b128 v[22:25], v50, off
	;; [unrolled: 1-line block ×6, first 2 shown]
	v_cmp_ne_u32_e64 s8, v11, v1
	s_mov_b32 s7, -1
	s_wait_dscnt 0x0
	scratch_store_b128 off, v[42:45], s56
	s_wait_loadcnt 0x8
	scratch_store_b128 off, v[2:5], s23
	s_wait_loadcnt 0x7
	;; [unrolled: 2-line block ×3, first 2 shown]
	s_clause 0x3
	scratch_store_b128 off, v[14:17], off offset:240
	scratch_store_b8 off, v54, off offset:256
	scratch_store_b8 off, v55, off offset:276
	;; [unrolled: 1-line block ×3, first 2 shown]
	s_wait_loadcnt 0x5
	scratch_store_b128 off, v[18:21], s44
	s_wait_loadcnt 0x4
	scratch_store_b128 off, v[22:25], s45
	;; [unrolled: 2-line block ×6, first 2 shown]
	s_clause 0x5
	scratch_store_b8 off, v57, off offset:316
	scratch_store_b8 off, v58, off offset:336
	;; [unrolled: 1-line block ×6, first 2 shown]
.LBB2102_101:
	s_wait_xcnt 0x0
	s_and_saveexec_b32 s2, s7
	s_cbranch_execz .LBB2102_103
; %bb.102:
	v_mov_b32_e32 v1, 0xa0
	s_delay_alu instid0(VALU_DEP_1)
	v_cndmask_b32_e64 v1, s56, v1, s8
	scratch_load_b128 v[2:5], v1, off
	s_wait_xcnt 0x0
	v_cndmask_b32_e64 v1, 0, 1, s8
	s_wait_loadcnt 0x0
	scratch_store_b128 off, v[2:5], s50
	scratch_store_b8 off, v1, off offset:436
.LBB2102_103:
	s_wait_xcnt 0x0
	s_or_b32 exec_lo, exec_lo, s2
	s_load_b64 s[2:3], s[0:1], 0x4
	v_bfe_u32 v1, v0, 10, 10
	v_bfe_u32 v0, v0, 20, 10
	s_wait_storecnt 0x0
	s_barrier_signal -1
	s_barrier_wait -1
	s_wait_kmcnt 0x0
	s_lshr_b32 s0, s2, 16
	v_mul_u32_u24_e32 v1, s3, v1
	s_mul_i32 s0, s0, s3
	s_cmp_lg_u32 s38, 0
	v_mul_u32_u24_e32 v2, s0, v12
	s_delay_alu instid0(VALU_DEP_1)
	v_add3_u32 v13, v2, v1, v0
	s_cbranch_scc0 .LBB2102_359
; %bb.104:
	s_clause 0x2
	scratch_load_u8 v5, off, off offset:276
	scratch_load_b128 v[0:3], off, off offset:240
	scratch_load_b32 v4, off, off offset:256
	s_mov_b32 s0, exec_lo
	s_wait_loadcnt 0x1
	scratch_store_b128 off, v[0:3], off offset:200
	s_wait_loadcnt 0x0
	scratch_store_b32 off, v4, off offset:216
                                        ; implicit-def: $vgpr2_vgpr3
	s_wait_xcnt 0x0
	v_cmpx_ne_u16_e32 0, v5
	s_xor_b32 s0, exec_lo, s0
	s_cbranch_execz .LBB2102_106
; %bb.105:
	scratch_load_b128 v[0:3], off, off offset:260
.LBB2102_106:
	s_wait_xcnt 0x0
	s_or_saveexec_b32 s0, s0
	v_lshl_add_u32 v6, v13, 4, 0x2800
	s_xor_b32 exec_lo, exec_lo, s0
	s_cbranch_execz .LBB2102_112
; %bb.107:
	s_wait_loadcnt 0x0
	v_mov_b32_e32 v0, 0
	s_mov_b32 s1, 0
.LBB2102_108:                           ; =>This Inner Loop Header: Depth=1
	s_delay_alu instid0(SALU_CYCLE_1) | instskip(SKIP_1) | instid1(SALU_CYCLE_1)
	v_add_nc_u32_e32 v1, s1, v6
	s_add_co_i32 s1, s1, 8
	s_cmp_lg_u32 s1, 16
	ds_store_2addr_b32 v1, v0, v0 offset1:1
	s_cbranch_scc1 .LBB2102_108
; %bb.109:
	s_mov_b32 s1, 0
.LBB2102_110:                           ; =>This Inner Loop Header: Depth=1
	s_wait_xcnt 0x1
	s_add_co_i32 s2, s1, 0xc8
	s_wait_xcnt 0x0
	s_add_co_i32 s3, s23, s1
	scratch_load_b64 v[0:1], off, s2
	scratch_load_b64 v[2:3], off, s3
	v_add_nc_u32_e32 v7, s1, v6
	s_add_co_i32 s1, s1, 8
                                        ; kill: killed $sgpr3
                                        ; kill: killed $sgpr2
	s_delay_alu instid0(SALU_CYCLE_1)
	s_cmp_lg_u32 s1, 16
	s_wait_loadcnt 0x0
	v_dual_add_nc_u32 v1, v3, v1 :: v_dual_add_nc_u32 v0, v2, v0
	ds_store_2addr_b32 v7, v0, v1 offset1:1
	s_cbranch_scc1 .LBB2102_110
; %bb.111:
	ds_load_2addr_b32 v[0:1], v6 offset1:1
	ds_load_2addr_b32 v[2:3], v6 offset0:2 offset1:3
.LBB2102_112:
	s_wait_xcnt 0x0
	s_or_b32 exec_lo, exec_lo, s0
	scratch_load_u8 v7, off, off offset:296
	s_mov_b32 s0, exec_lo
	s_wait_loadcnt_dscnt 0x100
	scratch_store_b128 off, v[0:3], off offset:200
                                        ; implicit-def: $vgpr2_vgpr3
	s_wait_loadcnt 0x0
	v_cmpx_ne_u16_e32 0, v7
	s_xor_b32 s0, exec_lo, s0
	s_cbranch_execz .LBB2102_114
; %bb.113:
	scratch_load_b128 v[0:3], off, off offset:280
.LBB2102_114:
	s_wait_xcnt 0x0
	s_and_not1_saveexec_b32 s0, s0
	s_cbranch_execz .LBB2102_120
; %bb.115:
	s_wait_loadcnt 0x0
	v_mov_b32_e32 v0, 0
	s_mov_b32 s1, 0
.LBB2102_116:                           ; =>This Inner Loop Header: Depth=1
	s_delay_alu instid0(SALU_CYCLE_1) | instskip(SKIP_1) | instid1(SALU_CYCLE_1)
	v_add_nc_u32_e32 v1, s1, v6
	s_add_co_i32 s1, s1, 8
	s_cmp_lg_u32 s1, 16
	ds_store_2addr_b32 v1, v0, v0 offset1:1
	s_cbranch_scc1 .LBB2102_116
; %bb.117:
	s_mov_b32 s1, 0
.LBB2102_118:                           ; =>This Inner Loop Header: Depth=1
	s_wait_xcnt 0x1
	s_add_co_i32 s2, s1, 0xc8
	s_wait_xcnt 0x0
	s_add_co_i32 s3, s33, s1
	scratch_load_b64 v[0:1], off, s2
	scratch_load_b64 v[2:3], off, s3
	v_add_nc_u32_e32 v8, s1, v6
	s_add_co_i32 s1, s1, 8
                                        ; kill: killed $sgpr3
                                        ; kill: killed $sgpr2
	s_delay_alu instid0(SALU_CYCLE_1)
	s_cmp_lg_u32 s1, 16
	s_wait_loadcnt 0x0
	v_dual_add_nc_u32 v1, v3, v1 :: v_dual_add_nc_u32 v0, v2, v0
	ds_store_2addr_b32 v8, v0, v1 offset1:1
	s_cbranch_scc1 .LBB2102_118
; %bb.119:
	ds_load_2addr_b32 v[0:1], v6 offset1:1
	ds_load_2addr_b32 v[2:3], v6 offset0:2 offset1:3
.LBB2102_120:
	s_wait_xcnt 0x0
	s_or_b32 exec_lo, exec_lo, s0
	scratch_load_u8 v8, off, off offset:316
	s_mov_b32 s0, exec_lo
	s_wait_loadcnt_dscnt 0x100
	scratch_store_b128 off, v[0:3], off offset:200
                                        ; implicit-def: $vgpr2_vgpr3
	s_wait_loadcnt 0x0
	v_cmpx_ne_u16_e32 0, v8
	s_xor_b32 s0, exec_lo, s0
	s_cbranch_execz .LBB2102_122
; %bb.121:
	scratch_load_b128 v[0:3], off, off offset:300
.LBB2102_122:
	s_wait_xcnt 0x0
	s_and_not1_saveexec_b32 s0, s0
	s_cbranch_execz .LBB2102_128
; %bb.123:
	s_wait_loadcnt 0x0
	v_mov_b32_e32 v0, 0
	s_mov_b32 s1, 0
.LBB2102_124:                           ; =>This Inner Loop Header: Depth=1
	s_delay_alu instid0(SALU_CYCLE_1) | instskip(SKIP_1) | instid1(SALU_CYCLE_1)
	v_add_nc_u32_e32 v1, s1, v6
	s_add_co_i32 s1, s1, 8
	s_cmp_lg_u32 s1, 16
	ds_store_2addr_b32 v1, v0, v0 offset1:1
	s_cbranch_scc1 .LBB2102_124
; %bb.125:
	s_mov_b32 s1, 0
.LBB2102_126:                           ; =>This Inner Loop Header: Depth=1
	s_wait_xcnt 0x1
	s_add_co_i32 s2, s1, 0xc8
	s_wait_xcnt 0x0
	s_add_co_i32 s3, s44, s1
	scratch_load_b64 v[0:1], off, s2
	scratch_load_b64 v[2:3], off, s3
	v_add_nc_u32_e32 v9, s1, v6
	s_add_co_i32 s1, s1, 8
                                        ; kill: killed $sgpr3
                                        ; kill: killed $sgpr2
	s_delay_alu instid0(SALU_CYCLE_1)
	s_cmp_lg_u32 s1, 16
	s_wait_loadcnt 0x0
	v_dual_add_nc_u32 v1, v3, v1 :: v_dual_add_nc_u32 v0, v2, v0
	ds_store_2addr_b32 v9, v0, v1 offset1:1
	s_cbranch_scc1 .LBB2102_126
; %bb.127:
	ds_load_2addr_b32 v[0:1], v6 offset1:1
	ds_load_2addr_b32 v[2:3], v6 offset0:2 offset1:3
.LBB2102_128:
	s_wait_xcnt 0x0
	s_or_b32 exec_lo, exec_lo, s0
	scratch_load_u8 v9, off, off offset:336
	s_mov_b32 s0, exec_lo
	s_wait_loadcnt_dscnt 0x100
	scratch_store_b128 off, v[0:3], off offset:200
                                        ; implicit-def: $vgpr2_vgpr3
	s_wait_loadcnt 0x0
	v_cmpx_ne_u16_e32 0, v9
	s_xor_b32 s0, exec_lo, s0
	s_cbranch_execz .LBB2102_130
; %bb.129:
	scratch_load_b128 v[0:3], off, off offset:320
.LBB2102_130:
	s_wait_xcnt 0x0
	s_and_not1_saveexec_b32 s0, s0
	s_cbranch_execz .LBB2102_136
; %bb.131:
	s_wait_loadcnt 0x0
	v_mov_b32_e32 v0, 0
	s_mov_b32 s1, 0
.LBB2102_132:                           ; =>This Inner Loop Header: Depth=1
	s_delay_alu instid0(SALU_CYCLE_1) | instskip(SKIP_1) | instid1(SALU_CYCLE_1)
	v_add_nc_u32_e32 v1, s1, v6
	s_add_co_i32 s1, s1, 8
	s_cmp_lg_u32 s1, 16
	ds_store_2addr_b32 v1, v0, v0 offset1:1
	s_cbranch_scc1 .LBB2102_132
; %bb.133:
	s_mov_b32 s1, 0
.LBB2102_134:                           ; =>This Inner Loop Header: Depth=1
	s_wait_xcnt 0x1
	s_add_co_i32 s2, s1, 0xc8
	s_wait_xcnt 0x0
	s_add_co_i32 s3, s45, s1
	scratch_load_b64 v[0:1], off, s2
	scratch_load_b64 v[2:3], off, s3
	v_add_nc_u32_e32 v10, s1, v6
	s_add_co_i32 s1, s1, 8
                                        ; kill: killed $sgpr3
                                        ; kill: killed $sgpr2
	s_delay_alu instid0(SALU_CYCLE_1)
	s_cmp_lg_u32 s1, 16
	s_wait_loadcnt 0x0
	v_dual_add_nc_u32 v1, v3, v1 :: v_dual_add_nc_u32 v0, v2, v0
	ds_store_2addr_b32 v10, v0, v1 offset1:1
	s_cbranch_scc1 .LBB2102_134
; %bb.135:
	ds_load_2addr_b32 v[0:1], v6 offset1:1
	ds_load_2addr_b32 v[2:3], v6 offset0:2 offset1:3
.LBB2102_136:
	s_wait_xcnt 0x0
	s_or_b32 exec_lo, exec_lo, s0
	scratch_load_u8 v10, off, off offset:356
	s_mov_b32 s0, exec_lo
	s_wait_loadcnt_dscnt 0x100
	scratch_store_b128 off, v[0:3], off offset:200
                                        ; implicit-def: $vgpr2_vgpr3
	s_wait_loadcnt 0x0
	v_cmpx_ne_u16_e32 0, v10
	s_xor_b32 s0, exec_lo, s0
	s_cbranch_execz .LBB2102_138
; %bb.137:
	scratch_load_b128 v[0:3], off, off offset:340
.LBB2102_138:
	s_wait_xcnt 0x0
	s_and_not1_saveexec_b32 s0, s0
	s_cbranch_execz .LBB2102_144
; %bb.139:
	s_wait_loadcnt 0x0
	v_mov_b32_e32 v0, 0
	s_mov_b32 s1, 0
.LBB2102_140:                           ; =>This Inner Loop Header: Depth=1
	s_delay_alu instid0(SALU_CYCLE_1) | instskip(SKIP_1) | instid1(SALU_CYCLE_1)
	v_add_nc_u32_e32 v1, s1, v6
	s_add_co_i32 s1, s1, 8
	s_cmp_lg_u32 s1, 16
	ds_store_2addr_b32 v1, v0, v0 offset1:1
	s_cbranch_scc1 .LBB2102_140
; %bb.141:
	s_mov_b32 s1, 0
.LBB2102_142:                           ; =>This Inner Loop Header: Depth=1
	s_wait_xcnt 0x1
	s_add_co_i32 s2, s1, 0xc8
	s_wait_xcnt 0x0
	s_add_co_i32 s3, s46, s1
	scratch_load_b64 v[0:1], off, s2
	scratch_load_b64 v[2:3], off, s3
	v_add_nc_u32_e32 v11, s1, v6
	s_add_co_i32 s1, s1, 8
                                        ; kill: killed $sgpr3
                                        ; kill: killed $sgpr2
	s_delay_alu instid0(SALU_CYCLE_1)
	s_cmp_lg_u32 s1, 16
	s_wait_loadcnt 0x0
	v_dual_add_nc_u32 v1, v3, v1 :: v_dual_add_nc_u32 v0, v2, v0
	ds_store_2addr_b32 v11, v0, v1 offset1:1
	s_cbranch_scc1 .LBB2102_142
; %bb.143:
	ds_load_2addr_b32 v[0:1], v6 offset1:1
	ds_load_2addr_b32 v[2:3], v6 offset0:2 offset1:3
.LBB2102_144:
	s_wait_xcnt 0x0
	s_or_b32 exec_lo, exec_lo, s0
	scratch_load_u8 v11, off, off offset:376
	s_mov_b32 s0, exec_lo
	s_wait_loadcnt_dscnt 0x100
	scratch_store_b128 off, v[0:3], off offset:200
                                        ; implicit-def: $vgpr2_vgpr3
	s_wait_loadcnt 0x0
	v_cmpx_ne_u16_e32 0, v11
	s_xor_b32 s0, exec_lo, s0
	s_cbranch_execz .LBB2102_146
; %bb.145:
	scratch_load_b128 v[0:3], off, off offset:360
.LBB2102_146:
	s_wait_xcnt 0x0
	s_and_not1_saveexec_b32 s0, s0
	s_cbranch_execz .LBB2102_152
; %bb.147:
	s_wait_loadcnt 0x0
	v_mov_b32_e32 v0, 0
	s_mov_b32 s1, 0
.LBB2102_148:                           ; =>This Inner Loop Header: Depth=1
	s_delay_alu instid0(SALU_CYCLE_1) | instskip(SKIP_1) | instid1(SALU_CYCLE_1)
	v_add_nc_u32_e32 v1, s1, v6
	s_add_co_i32 s1, s1, 8
	s_cmp_lg_u32 s1, 16
	ds_store_2addr_b32 v1, v0, v0 offset1:1
	s_cbranch_scc1 .LBB2102_148
; %bb.149:
	s_mov_b32 s1, 0
.LBB2102_150:                           ; =>This Inner Loop Header: Depth=1
	s_wait_xcnt 0x1
	s_add_co_i32 s2, s1, 0xc8
	s_wait_xcnt 0x0
	s_add_co_i32 s3, s47, s1
	scratch_load_b64 v[0:1], off, s2
	scratch_load_b64 v[2:3], off, s3
	v_add_nc_u32_e32 v14, s1, v6
	s_add_co_i32 s1, s1, 8
                                        ; kill: killed $sgpr3
                                        ; kill: killed $sgpr2
	s_delay_alu instid0(SALU_CYCLE_1)
	s_cmp_lg_u32 s1, 16
	s_wait_loadcnt 0x0
	v_dual_add_nc_u32 v1, v3, v1 :: v_dual_add_nc_u32 v0, v2, v0
	ds_store_2addr_b32 v14, v0, v1 offset1:1
	s_cbranch_scc1 .LBB2102_150
; %bb.151:
	ds_load_2addr_b32 v[0:1], v6 offset1:1
	ds_load_2addr_b32 v[2:3], v6 offset0:2 offset1:3
.LBB2102_152:
	s_wait_xcnt 0x0
	s_or_b32 exec_lo, exec_lo, s0
	scratch_load_u8 v14, off, off offset:396
	s_mov_b32 s0, exec_lo
	s_wait_loadcnt_dscnt 0x100
	scratch_store_b128 off, v[0:3], off offset:200
                                        ; implicit-def: $vgpr2_vgpr3
	s_wait_loadcnt 0x0
	v_cmpx_ne_u16_e32 0, v14
	s_xor_b32 s0, exec_lo, s0
	s_cbranch_execz .LBB2102_154
; %bb.153:
	scratch_load_b128 v[0:3], off, off offset:380
.LBB2102_154:
	s_wait_xcnt 0x0
	s_and_not1_saveexec_b32 s0, s0
	s_cbranch_execz .LBB2102_160
; %bb.155:
	s_wait_loadcnt 0x0
	v_mov_b32_e32 v0, 0
	s_mov_b32 s1, 0
.LBB2102_156:                           ; =>This Inner Loop Header: Depth=1
	s_delay_alu instid0(SALU_CYCLE_1) | instskip(SKIP_1) | instid1(SALU_CYCLE_1)
	v_add_nc_u32_e32 v1, s1, v6
	s_add_co_i32 s1, s1, 8
	s_cmp_lg_u32 s1, 16
	ds_store_2addr_b32 v1, v0, v0 offset1:1
	s_cbranch_scc1 .LBB2102_156
; %bb.157:
	s_mov_b32 s1, 0
.LBB2102_158:                           ; =>This Inner Loop Header: Depth=1
	s_wait_xcnt 0x1
	s_add_co_i32 s2, s1, 0xc8
	s_wait_xcnt 0x0
	s_add_co_i32 s3, s48, s1
	scratch_load_b64 v[0:1], off, s2
	scratch_load_b64 v[2:3], off, s3
	v_add_nc_u32_e32 v15, s1, v6
	s_add_co_i32 s1, s1, 8
                                        ; kill: killed $sgpr2
                                        ; kill: killed $sgpr3
	s_delay_alu instid0(SALU_CYCLE_1)
	s_cmp_lg_u32 s1, 16
	s_wait_loadcnt 0x0
	v_dual_add_nc_u32 v1, v3, v1 :: v_dual_add_nc_u32 v0, v2, v0
	ds_store_2addr_b32 v15, v0, v1 offset1:1
	s_cbranch_scc1 .LBB2102_158
; %bb.159:
	ds_load_2addr_b32 v[0:1], v6 offset1:1
	ds_load_2addr_b32 v[2:3], v6 offset0:2 offset1:3
.LBB2102_160:
	s_wait_xcnt 0x0
	s_or_b32 exec_lo, exec_lo, s0
	scratch_load_u8 v15, off, off offset:416
	s_mov_b32 s0, exec_lo
	s_wait_loadcnt_dscnt 0x100
	scratch_store_b128 off, v[0:3], off offset:200
                                        ; implicit-def: $vgpr2_vgpr3
	s_wait_loadcnt 0x0
	v_cmpx_ne_u16_e32 0, v15
	s_xor_b32 s0, exec_lo, s0
	s_cbranch_execz .LBB2102_162
; %bb.161:
	scratch_load_b128 v[0:3], off, off offset:400
.LBB2102_162:
	s_wait_xcnt 0x0
	s_and_not1_saveexec_b32 s0, s0
	s_cbranch_execz .LBB2102_168
; %bb.163:
	s_wait_loadcnt 0x0
	v_mov_b32_e32 v0, 0
	s_mov_b32 s1, 0
.LBB2102_164:                           ; =>This Inner Loop Header: Depth=1
	s_delay_alu instid0(SALU_CYCLE_1) | instskip(SKIP_1) | instid1(SALU_CYCLE_1)
	v_add_nc_u32_e32 v1, s1, v6
	s_add_co_i32 s1, s1, 8
	s_cmp_lg_u32 s1, 16
	ds_store_2addr_b32 v1, v0, v0 offset1:1
	s_cbranch_scc1 .LBB2102_164
; %bb.165:
	s_mov_b32 s1, 0
.LBB2102_166:                           ; =>This Inner Loop Header: Depth=1
	s_wait_xcnt 0x1
	s_add_co_i32 s2, s1, 0xc8
	s_wait_xcnt 0x0
	s_add_co_i32 s3, s49, s1
	scratch_load_b64 v[0:1], off, s2
	scratch_load_b64 v[2:3], off, s3
	v_add_nc_u32_e32 v16, s1, v6
	s_add_co_i32 s1, s1, 8
                                        ; kill: killed $sgpr3
                                        ; kill: killed $sgpr2
	s_delay_alu instid0(SALU_CYCLE_1)
	s_cmp_lg_u32 s1, 16
	s_wait_loadcnt 0x0
	v_dual_add_nc_u32 v1, v3, v1 :: v_dual_add_nc_u32 v0, v2, v0
	ds_store_2addr_b32 v16, v0, v1 offset1:1
	s_cbranch_scc1 .LBB2102_166
; %bb.167:
	ds_load_2addr_b32 v[0:1], v6 offset1:1
	ds_load_2addr_b32 v[2:3], v6 offset0:2 offset1:3
.LBB2102_168:
	s_wait_xcnt 0x0
	s_or_b32 exec_lo, exec_lo, s0
	scratch_load_u8 v16, off, off offset:436
	s_mov_b32 s0, exec_lo
	s_wait_loadcnt_dscnt 0x100
	scratch_store_b128 off, v[0:3], off offset:200
                                        ; implicit-def: $vgpr2_vgpr3
	s_wait_loadcnt 0x0
	v_cmpx_ne_u16_e32 0, v16
	s_xor_b32 s0, exec_lo, s0
	s_cbranch_execz .LBB2102_170
; %bb.169:
	scratch_load_b128 v[0:3], off, off offset:420
                                        ; implicit-def: $vgpr6
.LBB2102_170:
	s_wait_xcnt 0x0
	s_and_not1_saveexec_b32 s0, s0
	s_cbranch_execz .LBB2102_176
; %bb.171:
	s_wait_loadcnt 0x0
	v_mov_b32_e32 v0, 0
	s_mov_b32 s1, 0
.LBB2102_172:                           ; =>This Inner Loop Header: Depth=1
	s_delay_alu instid0(SALU_CYCLE_1) | instskip(SKIP_1) | instid1(SALU_CYCLE_1)
	v_add_nc_u32_e32 v1, s1, v6
	s_add_co_i32 s1, s1, 8
	s_cmp_lg_u32 s1, 16
	ds_store_2addr_b32 v1, v0, v0 offset1:1
	s_cbranch_scc1 .LBB2102_172
; %bb.173:
	s_mov_b32 s1, 0
.LBB2102_174:                           ; =>This Inner Loop Header: Depth=1
	s_wait_xcnt 0x1
	s_add_co_i32 s2, s1, 0xc8
	s_wait_xcnt 0x0
	s_add_co_i32 s3, s50, s1
	scratch_load_b64 v[0:1], off, s2
	scratch_load_b64 v[2:3], off, s3
	v_add_nc_u32_e32 v17, s1, v6
	s_add_co_i32 s1, s1, 8
                                        ; kill: killed $sgpr3
                                        ; kill: killed $sgpr2
	s_delay_alu instid0(SALU_CYCLE_1)
	s_cmp_lg_u32 s1, 16
	s_wait_loadcnt 0x0
	v_dual_add_nc_u32 v1, v3, v1 :: v_dual_add_nc_u32 v0, v2, v0
	ds_store_2addr_b32 v17, v0, v1 offset1:1
	s_cbranch_scc1 .LBB2102_174
; %bb.175:
	ds_load_2addr_b32 v[0:1], v6 offset1:1
	ds_load_2addr_b32 v[2:3], v6 offset0:2 offset1:3
.LBB2102_176:
	s_wait_xcnt 0x0
	s_or_b32 exec_lo, exec_lo, s0
	v_or_b32_e32 v6, v15, v14
	v_or_b32_e32 v9, v10, v9
	v_and_b32_e32 v10, 1, v11
	v_or_b32_e32 v5, v7, v5
	v_and_b32_e32 v7, 1, v8
	v_cmp_ne_u16_e32 vcc_lo, 0, v6
	v_and_b32_e32 v6, 1, v16
	v_cmp_ne_u16_e64 s0, 0, v9
	v_cmp_eq_u32_e64 s1, 1, v10
	v_cmp_ne_u16_e64 s2, 0, v5
	v_cmp_eq_u32_e64 s3, 1, v7
	v_cmp_eq_u32_e64 s6, 1, v6
	v_and_b32_e32 v4, 1, v4
	s_or_b32 s0, s0, s1
	v_mul_u32_u24_e32 v5, 20, v12
	s_or_b32 s1, s2, s3
	s_or_b32 s2, vcc_lo, s6
	v_cmp_eq_u32_e32 vcc_lo, 1, v4
	s_or_b32 s0, s2, s0
	v_lshrrev_b32_e32 v4, 5, v12
	s_or_b32 s0, s0, s1
	s_delay_alu instid0(SALU_CYCLE_1)
	s_or_b32 s0, s0, vcc_lo
	v_cmp_gt_u32_e32 vcc_lo, 32, v12
	v_cndmask_b32_e64 v14, 0, 1, s0
	v_mad_u32_u24 v4, v4, 20, v5
	s_wait_loadcnt_dscnt 0x0
	s_clause 0x1
	scratch_store_b128 off, v[0:3], off offset:200
	scratch_store_b8 off, v14, off offset:216
	ds_store_2addr_b32 v4, v0, v1 offset1:1
	ds_store_2addr_b32 v4, v2, v3 offset0:2 offset1:3
	ds_store_b8 v4, v14 offset:16
	s_wait_storecnt_dscnt 0x0
	s_barrier_signal -1
	s_barrier_wait -1
	s_wait_xcnt 0x0
	s_and_saveexec_b32 s0, vcc_lo
	s_delay_alu instid0(SALU_CYCLE_1)
	s_xor_b32 s2, exec_lo, s0
	s_cbranch_execz .LBB2102_244
; %bb.177:
	v_lshrrev_b32_e32 v10, 4, v12
	v_mul_u32_u24_e32 v11, 40, v12
	v_mul_lo_u32 v17, v13, 20
	s_delay_alu instid0(VALU_DEP_2)
	v_mad_u32_u24 v8, v10, 20, v11
	ds_load_u8 v15, v8 offset:36
	ds_load_b32 v16, v8 offset:16
	ds_load_2addr_b32 v[4:5], v8 offset1:1
	ds_load_2addr_b32 v[6:7], v8 offset0:2 offset1:3
	v_add_nc_u32_e32 v9, 0x2c00, v17
	v_add_nc_u32_e32 v18, 0x2c08, v17
	s_wait_dscnt 0x1
	ds_store_2addr_b32 v9, v4, v5 offset1:1
	s_wait_dscnt 0x1
	ds_store_2addr_b32 v18, v6, v7 offset1:1
	ds_store_b32 v17, v16 offset:11280
	v_cmp_ne_u16_e64 s0, 0, v15
                                        ; implicit-def: $vgpr4_vgpr5
	s_and_saveexec_b32 s1, s0
	s_delay_alu instid0(SALU_CYCLE_1)
	s_xor_b32 s0, exec_lo, s1
	s_cbranch_execz .LBB2102_179
; %bb.178:
	ds_load_2addr_b32 v[4:5], v8 offset0:5 offset1:6
	ds_load_2addr_b32 v[6:7], v8 offset0:7 offset1:8
.LBB2102_179:
	s_and_not1_saveexec_b32 s0, s0
	s_cbranch_execz .LBB2102_185
; %bb.180:
	s_wait_dscnt 0x1
	v_mov_b64_e32 v[4:5], 0
	s_mov_b32 s1, 0
.LBB2102_181:                           ; =>This Inner Loop Header: Depth=1
	s_wait_xcnt 0x0
	s_mov_b32 s3, s1
	s_add_co_i32 s1, s1, 8
	scratch_store_b64 off, v[4:5], s3
	s_cmp_lg_u32 s1, 16
	s_cbranch_scc1 .LBB2102_181
; %bb.182:
	s_wait_xcnt 0x0
	v_mul_u32_u24_e32 v4, 20, v10
	s_mov_b32 s1, 0
	s_delay_alu instid0(VALU_DEP_1)
	v_add3_u32 v4, v11, v4, 20
.LBB2102_183:                           ; =>This Inner Loop Header: Depth=1
	s_delay_alu instid0(VALU_DEP_1)
	v_dual_add_nc_u32 v5, s1, v9 :: v_dual_add_nc_u32 v17, s1, v4
	s_wait_xcnt 0x0
	s_mov_b32 s3, s1
	s_add_co_i32 s1, s1, 8
	s_wait_dscnt 0x0
	ds_load_2addr_b32 v[6:7], v5 offset1:1
	ds_load_2addr_b32 v[18:19], v17 offset1:1
	s_cmp_lg_u32 s1, 16
	s_wait_dscnt 0x0
	v_dual_add_nc_u32 v7, v19, v7 :: v_dual_add_nc_u32 v6, v18, v6
	scratch_store_b64 off, v[6:7], s3
	s_cbranch_scc1 .LBB2102_183
; %bb.184:
	scratch_load_b128 v[4:7], off, off
.LBB2102_185:
	s_wait_xcnt 0x0
	s_or_b32 exec_lo, exec_lo, s0
	v_bitop3_b16 v15, v15, 1, v16 bitop3:0xc8
	s_wait_loadcnt_dscnt 0x1
	v_mov_b32_dpp v20, v4 row_shr:1 row_mask:0xf bank_mask:0xf
	v_mov_b32_dpp v21, v5 row_shr:1 row_mask:0xf bank_mask:0xf
	s_wait_dscnt 0x0
	v_mov_b32_dpp v22, v6 row_shr:1 row_mask:0xf bank_mask:0xf
	v_mov_b32_dpp v23, v7 row_shr:1 row_mask:0xf bank_mask:0xf
	ds_store_b8 v9, v15 offset:16
	ds_load_b32 v16, v9 offset:16
	v_mbcnt_lo_u32_b32 v15, -1, 0
	s_mov_b32 s1, exec_lo
	ds_store_2addr_b32 v9, v4, v5 offset1:1
	ds_store_2addr_b32 v9, v6, v7 offset0:2 offset1:3
	v_and_b32_e32 v17, 15, v15
	s_wait_dscnt 0x2
	v_mov_b32_dpp v18, v16 row_shr:1 row_mask:0xf bank_mask:0xf
	s_clause 0x1
	scratch_store_b128 off, v[20:23], off
	scratch_store_b32 off, v18, off offset:16
	s_wait_xcnt 0x0
	v_cmpx_ne_u32_e32 0, v17
	s_xor_b32 s1, exec_lo, s1
	s_cbranch_execz .LBB2102_193
; %bb.186:
	v_and_b32_e32 v19, 0xff, v16
	s_mov_b32 s3, exec_lo
	s_delay_alu instid0(VALU_DEP_1)
	v_cmpx_eq_u16_e32 0, v19
	s_cbranch_execz .LBB2102_192
; %bb.187:
	v_mov_b64_e32 v[4:5], 0
	s_mov_b32 s0, 0
.LBB2102_188:                           ; =>This Inner Loop Header: Depth=1
	s_wait_xcnt 0x0
	s_add_co_i32 s6, s0, 0xa0
	s_add_co_i32 s0, s0, 8
	scratch_store_b64 off, v[4:5], s6
	s_cmp_lg_u32 s0, 16
	s_cbranch_scc1 .LBB2102_188
; %bb.189:
	s_mov_b32 s0, 0
.LBB2102_190:                           ; =>This Inner Loop Header: Depth=1
	scratch_load_b64 v[4:5], off, s0
	v_add_nc_u32_e32 v6, s0, v9
	s_add_co_i32 s6, s0, 0xa0
	s_wait_xcnt 0x0
	s_add_co_i32 s0, s0, 8
	s_delay_alu instid0(SALU_CYCLE_1)
	s_cmp_lg_u32 s0, 16
	ds_load_2addr_b32 v[6:7], v6 offset1:1
	s_wait_loadcnt_dscnt 0x0
	v_dual_add_nc_u32 v5, v7, v5 :: v_dual_add_nc_u32 v4, v6, v4
	scratch_store_b64 off, v[4:5], s6
	s_cbranch_scc1 .LBB2102_190
; %bb.191:
	scratch_load_b128 v[4:7], off, off offset:160
.LBB2102_192:
	s_wait_xcnt 0x0
	s_or_b32 exec_lo, exec_lo, s3
	v_or_b32_e32 v16, v18, v16
	s_delay_alu instid0(VALU_DEP_1)
	v_and_b32_e32 v16, 1, v16
	ds_store_b8 v9, v16 offset:16
	ds_load_b32 v16, v9 offset:16
	s_wait_loadcnt 0x0
	ds_store_2addr_b32 v9, v4, v5 offset1:1
	ds_store_2addr_b32 v9, v6, v7 offset0:2 offset1:3
.LBB2102_193:
	s_or_b32 exec_lo, exec_lo, s1
	v_mov_b32_dpp v20, v4 row_shr:2 row_mask:0xf bank_mask:0xf
	v_mov_b32_dpp v21, v5 row_shr:2 row_mask:0xf bank_mask:0xf
	;; [unrolled: 1-line block ×4, first 2 shown]
	s_wait_dscnt 0x2
	v_mov_b32_dpp v18, v16 row_shr:2 row_mask:0xf bank_mask:0xf
	s_mov_b32 s3, exec_lo
	s_clause 0x1
	scratch_store_b128 off, v[20:23], off
	scratch_store_b32 off, v18, off offset:16
	s_wait_xcnt 0x0
	v_cmpx_lt_u32_e32 1, v17
	s_cbranch_execz .LBB2102_201
; %bb.194:
	v_and_b32_e32 v19, 0xff, v16
	s_mov_b32 s6, 0
	s_mov_b32 s1, exec_lo
	s_delay_alu instid0(VALU_DEP_1)
	v_cmpx_eq_u16_e32 0, v19
	s_cbranch_execz .LBB2102_200
; %bb.195:
	v_mov_b64_e32 v[4:5], 0
.LBB2102_196:                           ; =>This Inner Loop Header: Depth=1
	s_wait_xcnt 0x0
	s_add_co_i32 s0, s6, 0xa0
	s_add_co_i32 s6, s6, 8
	scratch_store_b64 off, v[4:5], s0
	s_cmp_lg_u32 s6, 16
	s_cbranch_scc1 .LBB2102_196
; %bb.197:
	s_wait_xcnt 0x0
	s_mov_b32 s0, 0
.LBB2102_198:                           ; =>This Inner Loop Header: Depth=1
	scratch_load_b64 v[4:5], off, s0
	v_add_nc_u32_e32 v6, s0, v9
	s_add_co_i32 s6, s0, 0xa0
	s_wait_xcnt 0x0
	s_add_co_i32 s0, s0, 8
	s_delay_alu instid0(SALU_CYCLE_1)
	s_cmp_lg_u32 s0, 16
	ds_load_2addr_b32 v[6:7], v6 offset1:1
	s_wait_loadcnt_dscnt 0x0
	v_dual_add_nc_u32 v5, v7, v5 :: v_dual_add_nc_u32 v4, v6, v4
	scratch_store_b64 off, v[4:5], s6
	s_cbranch_scc1 .LBB2102_198
; %bb.199:
	scratch_load_b128 v[4:7], off, off offset:160
.LBB2102_200:
	s_wait_xcnt 0x0
	s_or_b32 exec_lo, exec_lo, s1
	v_and_b32_e32 v16, 1, v16
	v_and_b32_e32 v18, 1, v18
	s_delay_alu instid0(VALU_DEP_2) | instskip(NEXT) | instid1(VALU_DEP_2)
	v_cmp_eq_u32_e64 s0, 1, v16
	v_cmp_eq_u32_e64 s1, 1, v18
	s_or_b32 s0, s0, s1
	s_delay_alu instid0(SALU_CYCLE_1)
	v_cndmask_b32_e64 v16, 0, 1, s0
	ds_store_b8 v9, v16 offset:16
	ds_load_b32 v16, v9 offset:16
	s_wait_loadcnt 0x0
	ds_store_2addr_b32 v9, v4, v5 offset1:1
	ds_store_2addr_b32 v9, v6, v7 offset0:2 offset1:3
.LBB2102_201:
	s_or_b32 exec_lo, exec_lo, s3
	v_mov_b32_dpp v20, v4 row_shr:4 row_mask:0xf bank_mask:0xf
	v_mov_b32_dpp v21, v5 row_shr:4 row_mask:0xf bank_mask:0xf
	;; [unrolled: 1-line block ×4, first 2 shown]
	s_wait_dscnt 0x2
	v_mov_b32_dpp v18, v16 row_shr:4 row_mask:0xf bank_mask:0xf
	s_mov_b32 s3, exec_lo
	s_clause 0x1
	scratch_store_b128 off, v[20:23], off
	scratch_store_b32 off, v18, off offset:16
	s_wait_xcnt 0x0
	v_cmpx_lt_u32_e32 3, v17
	s_cbranch_execz .LBB2102_209
; %bb.202:
	v_and_b32_e32 v19, 0xff, v16
	s_mov_b32 s6, 0
	s_mov_b32 s1, exec_lo
	s_delay_alu instid0(VALU_DEP_1)
	v_cmpx_eq_u16_e32 0, v19
	s_cbranch_execz .LBB2102_208
; %bb.203:
	v_mov_b64_e32 v[4:5], 0
.LBB2102_204:                           ; =>This Inner Loop Header: Depth=1
	s_wait_xcnt 0x0
	s_add_co_i32 s0, s6, 0xa0
	s_add_co_i32 s6, s6, 8
	scratch_store_b64 off, v[4:5], s0
	s_cmp_lg_u32 s6, 16
	s_cbranch_scc1 .LBB2102_204
; %bb.205:
	s_wait_xcnt 0x0
	s_mov_b32 s0, 0
.LBB2102_206:                           ; =>This Inner Loop Header: Depth=1
	scratch_load_b64 v[4:5], off, s0
	v_add_nc_u32_e32 v6, s0, v9
	s_add_co_i32 s6, s0, 0xa0
	s_wait_xcnt 0x0
	s_add_co_i32 s0, s0, 8
	s_delay_alu instid0(SALU_CYCLE_1)
	s_cmp_lg_u32 s0, 16
	ds_load_2addr_b32 v[6:7], v6 offset1:1
	s_wait_loadcnt_dscnt 0x0
	v_dual_add_nc_u32 v5, v7, v5 :: v_dual_add_nc_u32 v4, v6, v4
	scratch_store_b64 off, v[4:5], s6
	s_cbranch_scc1 .LBB2102_206
; %bb.207:
	scratch_load_b128 v[4:7], off, off offset:160
.LBB2102_208:
	s_wait_xcnt 0x0
	s_or_b32 exec_lo, exec_lo, s1
	v_and_b32_e32 v16, 1, v16
	v_and_b32_e32 v18, 1, v18
	s_delay_alu instid0(VALU_DEP_2) | instskip(NEXT) | instid1(VALU_DEP_2)
	v_cmp_eq_u32_e64 s0, 1, v16
	v_cmp_eq_u32_e64 s1, 1, v18
	s_or_b32 s0, s0, s1
	s_delay_alu instid0(SALU_CYCLE_1)
	v_cndmask_b32_e64 v16, 0, 1, s0
	ds_store_b8 v9, v16 offset:16
	ds_load_b32 v16, v9 offset:16
	s_wait_loadcnt 0x0
	ds_store_2addr_b32 v9, v4, v5 offset1:1
	ds_store_2addr_b32 v9, v6, v7 offset0:2 offset1:3
.LBB2102_209:
	s_or_b32 exec_lo, exec_lo, s3
	v_mov_b32_dpp v20, v4 row_shr:8 row_mask:0xf bank_mask:0xf
	v_mov_b32_dpp v21, v5 row_shr:8 row_mask:0xf bank_mask:0xf
	;; [unrolled: 1-line block ×4, first 2 shown]
	s_wait_dscnt 0x2
	v_mov_b32_dpp v18, v16 row_shr:8 row_mask:0xf bank_mask:0xf
	s_mov_b32 s3, exec_lo
	s_clause 0x1
	scratch_store_b128 off, v[20:23], off
	scratch_store_b32 off, v18, off offset:16
	s_wait_xcnt 0x0
	v_cmpx_lt_u32_e32 7, v17
	s_cbranch_execz .LBB2102_217
; %bb.210:
	v_and_b32_e32 v17, 0xff, v16
	s_mov_b32 s6, 0
	s_mov_b32 s1, exec_lo
	s_delay_alu instid0(VALU_DEP_1)
	v_cmpx_eq_u16_e32 0, v17
	s_cbranch_execz .LBB2102_216
; %bb.211:
	v_mov_b64_e32 v[4:5], 0
.LBB2102_212:                           ; =>This Inner Loop Header: Depth=1
	s_wait_xcnt 0x0
	s_add_co_i32 s0, s6, 0xa0
	s_add_co_i32 s6, s6, 8
	scratch_store_b64 off, v[4:5], s0
	s_cmp_lg_u32 s6, 16
	s_cbranch_scc1 .LBB2102_212
; %bb.213:
	s_wait_xcnt 0x0
	s_mov_b32 s0, 0
.LBB2102_214:                           ; =>This Inner Loop Header: Depth=1
	scratch_load_b64 v[4:5], off, s0
	v_add_nc_u32_e32 v6, s0, v9
	s_add_co_i32 s6, s0, 0xa0
	s_wait_xcnt 0x0
	s_add_co_i32 s0, s0, 8
	s_delay_alu instid0(SALU_CYCLE_1)
	s_cmp_lg_u32 s0, 16
	ds_load_2addr_b32 v[6:7], v6 offset1:1
	s_wait_loadcnt_dscnt 0x0
	v_dual_add_nc_u32 v5, v7, v5 :: v_dual_add_nc_u32 v4, v6, v4
	scratch_store_b64 off, v[4:5], s6
	s_cbranch_scc1 .LBB2102_214
; %bb.215:
	scratch_load_b128 v[4:7], off, off offset:160
.LBB2102_216:
	s_wait_xcnt 0x0
	s_or_b32 exec_lo, exec_lo, s1
	v_and_b32_e32 v16, 1, v16
	v_and_b32_e32 v17, 1, v18
	s_delay_alu instid0(VALU_DEP_2) | instskip(NEXT) | instid1(VALU_DEP_2)
	v_cmp_eq_u32_e64 s0, 1, v16
	v_cmp_eq_u32_e64 s1, 1, v17
	s_or_b32 s0, s0, s1
	s_delay_alu instid0(SALU_CYCLE_1)
	v_cndmask_b32_e64 v16, 0, 1, s0
	ds_store_b8 v9, v16 offset:16
	ds_load_b32 v16, v9 offset:16
	s_wait_loadcnt 0x0
	ds_store_2addr_b32 v9, v4, v5 offset1:1
	ds_store_2addr_b32 v9, v6, v7 offset0:2 offset1:3
.LBB2102_217:
	s_or_b32 exec_lo, exec_lo, s3
	ds_swizzle_b32 v18, v4 offset:swizzle(BROADCAST,32,15)
	ds_swizzle_b32 v19, v5 offset:swizzle(BROADCAST,32,15)
	;; [unrolled: 1-line block ×4, first 2 shown]
	s_wait_dscnt 0x6
	ds_swizzle_b32 v17, v16 offset:swizzle(BROADCAST,32,15)
	v_and_b32_e32 v22, 16, v15
	s_mov_b32 s3, exec_lo
	s_wait_dscnt 0x1
	scratch_store_b128 off, v[18:21], off
	s_wait_dscnt 0x0
	scratch_store_b32 off, v17, off offset:16
	s_wait_xcnt 0x0
	v_cmpx_ne_u32_e32 0, v22
	s_cbranch_execz .LBB2102_225
; %bb.218:
	v_and_b32_e32 v18, 0xff, v16
	s_mov_b32 s6, 0
	s_mov_b32 s1, exec_lo
	s_delay_alu instid0(VALU_DEP_1)
	v_cmpx_eq_u16_e32 0, v18
	s_cbranch_execz .LBB2102_224
; %bb.219:
	v_mov_b64_e32 v[4:5], 0
.LBB2102_220:                           ; =>This Inner Loop Header: Depth=1
	s_wait_xcnt 0x0
	s_add_co_i32 s0, s6, 0xa0
	s_add_co_i32 s6, s6, 8
	scratch_store_b64 off, v[4:5], s0
	s_cmp_lg_u32 s6, 16
	s_cbranch_scc1 .LBB2102_220
; %bb.221:
	s_wait_xcnt 0x0
	s_mov_b32 s0, 0
.LBB2102_222:                           ; =>This Inner Loop Header: Depth=1
	scratch_load_b64 v[4:5], off, s0
	v_add_nc_u32_e32 v6, s0, v9
	s_add_co_i32 s6, s0, 0xa0
	s_wait_xcnt 0x0
	s_add_co_i32 s0, s0, 8
	s_delay_alu instid0(SALU_CYCLE_1)
	s_cmp_lg_u32 s0, 16
	ds_load_2addr_b32 v[6:7], v6 offset1:1
	s_wait_loadcnt_dscnt 0x0
	v_dual_add_nc_u32 v5, v7, v5 :: v_dual_add_nc_u32 v4, v6, v4
	scratch_store_b64 off, v[4:5], s6
	s_cbranch_scc1 .LBB2102_222
; %bb.223:
	scratch_load_b128 v[4:7], off, off offset:160
.LBB2102_224:
	s_wait_xcnt 0x0
	s_or_b32 exec_lo, exec_lo, s1
	v_and_b32_e32 v16, 1, v16
	v_and_b32_e32 v17, 1, v17
	s_delay_alu instid0(VALU_DEP_2) | instskip(NEXT) | instid1(VALU_DEP_2)
	v_cmp_eq_u32_e64 s0, 1, v16
	v_cmp_eq_u32_e64 s1, 1, v17
	s_or_b32 s0, s0, s1
	s_delay_alu instid0(SALU_CYCLE_1)
	v_cndmask_b32_e64 v16, 0, 1, s0
	ds_store_b8 v9, v16 offset:16
	ds_load_b32 v16, v9 offset:16
.LBB2102_225:
	s_or_b32 exec_lo, exec_lo, s3
	v_add_nc_u32_e32 v17, -1, v15
	s_delay_alu instid0(VALU_DEP_1) | instskip(NEXT) | instid1(VALU_DEP_1)
	v_cmp_gt_i32_e64 s0, 0, v17
	v_cndmask_b32_e64 v15, v17, v15, s0
	s_delay_alu instid0(VALU_DEP_1)
	v_lshlrev_b32_e32 v17, 2, v15
	ds_load_u8 v15, v8 offset:16
	s_wait_loadcnt 0x0
	ds_bpermute_b32 v4, v17, v4
	ds_bpermute_b32 v5, v17, v5
	s_wait_dscnt 0x3
	ds_bpermute_b32 v16, v17, v16
	ds_bpermute_b32 v6, v17, v6
	;; [unrolled: 1-line block ×3, first 2 shown]
	s_wait_dscnt 0x3
	ds_store_2addr_b32 v9, v4, v5 offset1:1
	s_wait_dscnt 0x1
	ds_store_2addr_b32 v9, v6, v7 offset0:2 offset1:3
	v_cmp_ne_u16_e64 s0, 0, v15
                                        ; implicit-def: $vgpr6_vgpr7
	s_and_saveexec_b32 s1, s0
	s_delay_alu instid0(SALU_CYCLE_1)
	s_xor_b32 s0, exec_lo, s1
	s_cbranch_execz .LBB2102_227
; %bb.226:
	ds_load_2addr_b32 v[4:5], v8 offset1:1
	ds_load_2addr_b32 v[6:7], v8 offset0:2 offset1:3
.LBB2102_227:
	s_and_not1_saveexec_b32 s0, s0
	s_cbranch_execz .LBB2102_233
; %bb.228:
	s_wait_dscnt 0x1
	v_mov_b64_e32 v[4:5], 0
	s_mov_b32 s1, 0
.LBB2102_229:                           ; =>This Inner Loop Header: Depth=1
	s_wait_xcnt 0x0
	s_mov_b32 s3, s1
	s_add_co_i32 s1, s1, 8
	scratch_store_b64 off, v[4:5], s3
	s_cmp_lg_u32 s1, 16
	s_cbranch_scc1 .LBB2102_229
; %bb.230:
	s_mov_b32 s1, 0
.LBB2102_231:                           ; =>This Inner Loop Header: Depth=1
	s_wait_dscnt 0x0
	s_wait_xcnt 0x0
	v_dual_add_nc_u32 v4, s1, v9 :: v_dual_add_nc_u32 v6, s1, v8
	s_mov_b32 s3, s1
	s_add_co_i32 s1, s1, 8
	ds_load_2addr_b32 v[4:5], v4 offset1:1
	ds_load_2addr_b32 v[6:7], v6 offset1:1
	s_cmp_lg_u32 s1, 16
	s_wait_dscnt 0x0
	v_dual_add_nc_u32 v5, v7, v5 :: v_dual_add_nc_u32 v4, v6, v4
	scratch_store_b64 off, v[4:5], s3
	s_cbranch_scc1 .LBB2102_231
; %bb.232:
	scratch_load_b128 v[4:7], off, off
.LBB2102_233:
	s_wait_xcnt 0x0
	s_or_b32 exec_lo, exec_lo, s0
	v_and_b32_e32 v15, 1, v15
	v_and_b32_e32 v16, 1, v16
	s_delay_alu instid0(VALU_DEP_2) | instskip(NEXT) | instid1(VALU_DEP_2)
	v_cmp_eq_u32_e64 s0, 1, v15
	v_cmp_eq_u32_e64 s1, 1, v16
	s_or_b32 s0, s1, s0
	s_delay_alu instid0(SALU_CYCLE_1)
	v_cndmask_b32_e64 v15, 0, 1, s0
	s_wait_loadcnt_dscnt 0x1
	ds_store_2addr_b32 v9, v4, v5 offset1:1
	s_wait_dscnt 0x1
	ds_store_2addr_b32 v9, v6, v7 offset0:2 offset1:3
	ds_store_b8 v9, v15 offset:16
	s_and_saveexec_b32 s0, s4
	s_cbranch_execz .LBB2102_235
; %bb.234:
	ds_store_2addr_b32 v9, v0, v1 offset1:1
	ds_store_2addr_b32 v9, v2, v3 offset0:2 offset1:3
	ds_store_b8 v9, v14 offset:16
.LBB2102_235:
	s_or_b32 exec_lo, exec_lo, s0
	; wave barrier
	ds_load_2addr_b32 v[0:1], v9 offset0:2 offset1:3
	ds_load_u8 v4, v9 offset:16
	ds_load_2addr_b32 v[2:3], v9 offset1:1
	s_wait_dscnt 0x2
	ds_store_2addr_b32 v8, v0, v1 offset0:2 offset1:3
	s_wait_dscnt 0x1
	ds_store_2addr_b32 v8, v2, v3 offset1:1
	ds_store_b8 v8, v4 offset:16
	; wave barrier
	ds_load_u8 v4, v8 offset:36
	ds_load_u8 v5, v9 offset:16
                                        ; implicit-def: $vgpr2_vgpr3
	s_wait_dscnt 0x1
	v_cmp_ne_u16_e64 s0, 0, v4
	s_and_saveexec_b32 s1, s0
	s_delay_alu instid0(SALU_CYCLE_1)
	s_xor_b32 s0, exec_lo, s1
	s_cbranch_execz .LBB2102_237
; %bb.236:
	ds_load_2addr_b32 v[0:1], v8 offset0:5 offset1:6
	ds_load_2addr_b32 v[2:3], v8 offset0:7 offset1:8
                                        ; implicit-def: $vgpr10
                                        ; implicit-def: $vgpr11
.LBB2102_237:
	s_and_not1_saveexec_b32 s0, s0
	s_cbranch_execz .LBB2102_243
; %bb.238:
	s_wait_dscnt 0x1
	v_mov_b64_e32 v[0:1], 0
	s_mov_b32 s1, 0
.LBB2102_239:                           ; =>This Inner Loop Header: Depth=1
	s_wait_xcnt 0x0
	s_mov_b32 s3, s1
	s_add_co_i32 s1, s1, 8
	scratch_store_b64 off, v[0:1], s3
	s_cmp_lg_u32 s1, 16
	s_cbranch_scc1 .LBB2102_239
; %bb.240:
	s_wait_xcnt 0x0
	v_mul_u32_u24_e32 v0, 20, v10
	s_mov_b32 s1, 0
	s_delay_alu instid0(VALU_DEP_1)
	v_add3_u32 v0, v11, v0, 20
.LBB2102_241:                           ; =>This Inner Loop Header: Depth=1
	s_delay_alu instid0(VALU_DEP_1)
	v_dual_add_nc_u32 v1, s1, v9 :: v_dual_add_nc_u32 v6, s1, v0
	s_wait_xcnt 0x0
	s_mov_b32 s3, s1
	s_add_co_i32 s1, s1, 8
	s_wait_dscnt 0x0
	ds_load_2addr_b32 v[2:3], v1 offset1:1
	ds_load_2addr_b32 v[6:7], v6 offset1:1
	s_cmp_lg_u32 s1, 16
	s_wait_dscnt 0x0
	v_dual_add_nc_u32 v3, v7, v3 :: v_dual_add_nc_u32 v2, v6, v2
	scratch_store_b64 off, v[2:3], s3
	s_cbranch_scc1 .LBB2102_241
; %bb.242:
	scratch_load_b128 v[0:3], off, off
.LBB2102_243:
	s_wait_xcnt 0x0
	s_or_b32 exec_lo, exec_lo, s0
	s_wait_dscnt 0x0
	v_bitop3_b16 v4, v4, 1, v5 bitop3:0xc8
	s_wait_loadcnt 0x0
	ds_store_2addr_b32 v9, v0, v1 offset1:1
	ds_store_2addr_b32 v9, v2, v3 offset0:2 offset1:3
	ds_store_2addr_b32 v8, v2, v3 offset0:7 offset1:8
	;; [unrolled: 1-line block ×3, first 2 shown]
	ds_store_b8 v8, v4 offset:36
.LBB2102_244:
	s_or_b32 exec_lo, exec_lo, s2
	s_wait_storecnt_dscnt 0x0
	s_barrier_signal -1
	s_barrier_wait -1
	s_and_saveexec_b32 s0, s5
	s_cbranch_execz .LBB2102_246
; %bb.245:
	v_add_nc_u32_e32 v0, -1, v12
	s_delay_alu instid0(VALU_DEP_1) | instskip(SKIP_1) | instid1(VALU_DEP_1)
	v_lshrrev_b32_e32 v1, 5, v0
	v_mul_i32_i24_e32 v0, 20, v0
	v_mad_u32 v0, v1, 20, v0
	ds_load_2addr_b32 v[2:3], v0 offset0:2 offset1:3
	ds_load_u8 v4, v0 offset:16
	ds_load_2addr_b32 v[0:1], v0 offset1:1
	s_wait_dscnt 0x0
	s_clause 0x1
	scratch_store_b128 off, v[0:3], off offset:200
	scratch_store_b8 off, v4, off offset:216
.LBB2102_246:
	s_wait_xcnt 0x0
	s_or_b32 exec_lo, exec_lo, s0
	s_and_saveexec_b32 s2, vcc_lo
	s_cbranch_execz .LBB2102_370
; %bb.247:
	v_mov_b32_e32 v4, 0
	v_mbcnt_lo_u32_b32 v15, -1, 0
	s_mov_b32 s1, 0
	ds_load_b128 v[0:3], v4 offset:1280
	ds_load_b32 v14, v4 offset:1296
	v_cmp_eq_u32_e64 s0, 0, v15
	s_wait_dscnt 0x1
	scratch_store_b128 off, v[0:3], off offset:180
	s_wait_dscnt 0x0
	scratch_store_b32 off, v14, off offset:196
	s_wait_xcnt 0x0
	s_and_saveexec_b32 s3, s0
	s_cbranch_execz .LBB2102_249
; %bb.248:
	s_add_co_i32 s6, s38, 32
	s_mov_b32 s7, 0
	v_dual_mov_b32 v5, 1 :: v_dual_mov_b32 v6, s6
	s_mul_u64 s[8:9], s[6:7], 20
	s_delay_alu instid0(SALU_CYCLE_1)
	s_add_nc_u64 s[6:7], s[16:17], s[8:9]
	s_clause 0x1
	global_store_b128 v4, v[0:3], s[6:7]
	global_store_b8 v4, v14, s[6:7] offset:16
	global_wb scope:SCOPE_DEV
	s_wait_storecnt 0x0
	global_inv scope:SCOPE_DEV
	s_wait_xcnt 0x0
	global_store_b8 v6, v5, s[20:21] scope:SCOPE_DEV
.LBB2102_249:
	s_wait_xcnt 0x0
	s_or_b32 exec_lo, exec_lo, s3
	v_mul_lo_u32 v5, v13, 20
	s_delay_alu instid0(VALU_DEP_1)
	v_add_nc_u32_e32 v16, 0x3100, v5
	v_add_nc_u32_e32 v6, 0x3108, v5
	ds_store_2addr_b32 v16, v4, v4 offset1:1
	ds_store_2addr_b32 v6, v4, v4 offset1:1
	ds_store_b32 v5, v4 offset:12560
.LBB2102_250:                           ; =>This Inner Loop Header: Depth=1
	v_add_nc_u32_e32 v5, s1, v16
	s_add_co_i32 s1, s1, 8
	s_delay_alu instid0(SALU_CYCLE_1)
	s_cmp_lg_u32 s1, 16
	ds_store_2addr_b32 v5, v4, v4 offset1:1
	s_cbranch_scc1 .LBB2102_250
; %bb.251:
	v_mov_b32_e32 v6, 0
	v_mov_b64_e32 v[4:5], 0
	s_mov_b32 s1, 0
	s_delay_alu instid0(VALU_DEP_2)
	v_dual_mov_b32 v7, v6 :: v_dual_mov_b32 v8, v6
	v_mov_b32_e32 v9, v6
	ds_store_b8 v16, v6 offset:16
	s_clause 0x1
	scratch_store_b32 off, v6, off offset:176
	scratch_store_b128 off, v[6:9], off offset:160
.LBB2102_252:                           ; =>This Inner Loop Header: Depth=1
	s_wait_xcnt 0x0
	s_add_co_i32 s3, s1, 0xa0
	s_add_co_i32 s1, s1, 8
	scratch_store_b64 off, v[4:5], s3
	s_cmp_lg_u32 s1, 16
	s_cbranch_scc1 .LBB2102_252
; %bb.253:
	s_wait_xcnt 0x1
	v_xad_u32 v8, v15, -1, s38
	s_wait_xcnt 0x0
	v_mov_b32_e32 v5, 0
	s_mov_b32 s1, exec_lo
	s_delay_alu instid0(VALU_DEP_2)
	v_add_nc_u32_e32 v4, 32, v8
	scratch_store_b8 off, v5, off offset:176
	global_load_u8 v17, v4, s[20:21] scope:SCOPE_DEV
	s_wait_loadcnt 0x0
	v_cmpx_eq_u16_e32 0, v17
	s_cbranch_execz .LBB2102_257
; %bb.254:
	v_add_nc_u64_e32 v[6:7], s[20:21], v[4:5]
	s_mov_b32 s3, 0
.LBB2102_255:                           ; =>This Inner Loop Header: Depth=1
	global_load_u8 v17, v[6:7], off scope:SCOPE_DEV
	s_wait_loadcnt 0x0
	v_cmp_ne_u16_e32 vcc_lo, 0, v17
	s_or_b32 s3, vcc_lo, s3
	s_wait_xcnt 0x0
	s_and_not1_b32 exec_lo, exec_lo, s3
	s_cbranch_execnz .LBB2102_255
; %bb.256:
	s_or_b32 exec_lo, exec_lo, s3
.LBB2102_257:
	s_delay_alu instid0(SALU_CYCLE_1)
	s_or_b32 exec_lo, exec_lo, s1
	v_dual_mov_b32 v5, s17 :: v_dual_mov_b32 v6, s16
	v_cmp_eq_u16_e32 vcc_lo, 1, v17
	global_wb scope:SCOPE_DEV
	s_wait_storecnt_dscnt 0x0
	global_inv scope:SCOPE_DEV
	s_mov_b32 s1, 0
	v_dual_mov_b32 v18, 0 :: v_dual_cndmask_b32 v7, s19, v5
	v_cndmask_b32_e32 v6, s18, v6, vcc_lo
	s_delay_alu instid0(VALU_DEP_1)
	v_mad_nc_u64_u32 v[10:11], v4, 20, v[6:7]
                                        ; kill: killed $vgpr10_vgpr11
	s_clause 0x1
	global_load_b128 v[4:7], v[10:11], off
	global_load_u8 v9, v[10:11], off offset:16
	s_wait_xcnt 0x0
	v_mov_b64_e32 v[10:11], 0
	s_wait_loadcnt 0x1
	scratch_store_b128 off, v[4:7], off offset:160
	ds_store_2addr_b32 v16, v4, v5 offset1:1
	ds_store_2addr_b32 v16, v6, v7 offset0:2 offset1:3
	s_wait_loadcnt 0x0
	ds_store_b8 v16, v9 offset:16
	scratch_store_b32 off, v18, off offset:16
.LBB2102_258:                           ; =>This Inner Loop Header: Depth=1
	s_wait_xcnt 0x0
	s_mov_b32 s3, s1
	s_add_co_i32 s1, s1, 8
	scratch_store_b64 off, v[10:11], s3
	s_cmp_lg_u32 s1, 16
	s_cbranch_scc1 .LBB2102_258
; %bb.259:
	ds_load_b32 v9, v16 offset:16
	v_cmp_ne_u32_e32 vcc_lo, 31, v15
	v_lshlrev_b32_e64 v19, v15, -1
	s_mov_b32 s1, exec_lo
	s_wait_xcnt 0x0
	v_add_co_ci_u32_e64 v10, null, 0, v15, vcc_lo
	v_cmp_eq_u16_e32 vcc_lo, 2, v17
	s_delay_alu instid0(VALU_DEP_2)
	v_lshlrev_b32_e32 v18, 2, v10
	v_and_or_b32 v10, vcc_lo, v19, 0x80000000
	ds_bpermute_b32 v20, v18, v4
	ds_bpermute_b32 v21, v18, v5
	;; [unrolled: 1-line block ×4, first 2 shown]
	s_wait_dscnt 0x4
	ds_bpermute_b32 v11, v18, v9
	v_ctz_i32_b32_e32 v10, v10
	s_wait_dscnt 0x1
	scratch_store_b128 off, v[20:23], off
	s_wait_xcnt 0x0
	v_cmpx_lt_u32_e64 v15, v10
	s_cbranch_execz .LBB2102_267
; %bb.260:
	v_and_b32_e32 v20, 0xff, v9
	s_mov_b32 s3, exec_lo
	s_delay_alu instid0(VALU_DEP_1)
	v_cmpx_eq_u16_e32 0, v20
	s_cbranch_execz .LBB2102_266
; %bb.261:
	v_mov_b64_e32 v[4:5], 0
	s_mov_b32 s6, 0
.LBB2102_262:                           ; =>This Inner Loop Header: Depth=1
	s_wait_xcnt 0x0
	s_add_co_i32 s7, s6, 0x1b8
	s_add_co_i32 s6, s6, 8
	scratch_store_b64 off, v[4:5], s7
	s_cmp_lg_u32 s6, 16
	s_cbranch_scc1 .LBB2102_262
; %bb.263:
	s_mov_b32 s6, 0
.LBB2102_264:                           ; =>This Inner Loop Header: Depth=1
	scratch_load_b64 v[4:5], off, s6
	v_add_nc_u32_e32 v6, s6, v16
	s_add_co_i32 s7, s6, 0x1b8
	s_wait_xcnt 0x0
	s_add_co_i32 s6, s6, 8
	s_delay_alu instid0(SALU_CYCLE_1)
	s_cmp_lg_u32 s6, 16
	ds_load_2addr_b32 v[6:7], v6 offset1:1
	s_wait_loadcnt_dscnt 0x0
	v_dual_add_nc_u32 v5, v7, v5 :: v_dual_add_nc_u32 v4, v6, v4
	scratch_store_b64 off, v[4:5], s7
	s_cbranch_scc1 .LBB2102_264
; %bb.265:
	scratch_load_b128 v[4:7], off, off offset:440
.LBB2102_266:
	s_wait_xcnt 0x0
	s_or_b32 exec_lo, exec_lo, s3
	s_wait_dscnt 0x0
	v_or_b32_e32 v9, v11, v9
	s_delay_alu instid0(VALU_DEP_1)
	v_and_b32_e32 v9, 1, v9
	ds_store_b8 v16, v9 offset:16
	ds_load_b32 v9, v16 offset:16
	s_wait_loadcnt 0x0
	ds_store_2addr_b32 v16, v4, v5 offset1:1
	ds_store_2addr_b32 v16, v6, v7 offset0:2 offset1:3
.LBB2102_267:
	s_or_b32 exec_lo, exec_lo, s1
	v_cmp_gt_u32_e32 vcc_lo, 30, v15
	v_add_nc_u32_e32 v21, 2, v15
	s_mov_b32 s3, exec_lo
	s_wait_dscnt 0x0
	v_cndmask_b32_e64 v11, 0, 2, vcc_lo
	s_delay_alu instid0(VALU_DEP_1)
	v_add_lshl_u32 v20, v11, v15, 2
	ds_bpermute_b32 v22, v20, v4
	ds_bpermute_b32 v23, v20, v5
	;; [unrolled: 1-line block ×5, first 2 shown]
	s_wait_dscnt 0x1
	scratch_store_b128 off, v[22:25], off
	s_wait_xcnt 0x0
	v_cmpx_le_u32_e64 v21, v10
	s_cbranch_execz .LBB2102_275
; %bb.268:
	v_and_b32_e32 v22, 0xff, v9
	s_mov_b32 s1, exec_lo
	s_delay_alu instid0(VALU_DEP_1)
	v_cmpx_eq_u16_e32 0, v22
	s_cbranch_execz .LBB2102_274
; %bb.269:
	v_mov_b64_e32 v[4:5], 0
	s_mov_b32 s6, 0
.LBB2102_270:                           ; =>This Inner Loop Header: Depth=1
	s_wait_xcnt 0x0
	s_add_co_i32 s7, s6, 0x1b8
	s_add_co_i32 s6, s6, 8
	scratch_store_b64 off, v[4:5], s7
	s_cmp_lg_u32 s6, 16
	s_cbranch_scc1 .LBB2102_270
; %bb.271:
	s_mov_b32 s6, 0
.LBB2102_272:                           ; =>This Inner Loop Header: Depth=1
	scratch_load_b64 v[4:5], off, s6
	v_add_nc_u32_e32 v6, s6, v16
	s_add_co_i32 s7, s6, 0x1b8
	s_wait_xcnt 0x0
	s_add_co_i32 s6, s6, 8
	s_delay_alu instid0(SALU_CYCLE_1)
	s_cmp_lg_u32 s6, 16
	ds_load_2addr_b32 v[6:7], v6 offset1:1
	s_wait_loadcnt_dscnt 0x0
	v_dual_add_nc_u32 v5, v7, v5 :: v_dual_add_nc_u32 v4, v6, v4
	scratch_store_b64 off, v[4:5], s7
	s_cbranch_scc1 .LBB2102_272
; %bb.273:
	scratch_load_b128 v[4:7], off, off offset:440
.LBB2102_274:
	s_wait_xcnt 0x0
	s_or_b32 exec_lo, exec_lo, s1
	v_and_b32_e32 v9, 1, v9
	s_wait_dscnt 0x0
	v_and_b32_e32 v11, 1, v11
	s_delay_alu instid0(VALU_DEP_2) | instskip(NEXT) | instid1(VALU_DEP_2)
	v_cmp_eq_u32_e32 vcc_lo, 1, v9
	v_cmp_eq_u32_e64 s1, 1, v11
	s_or_b32 s1, vcc_lo, s1
	s_delay_alu instid0(SALU_CYCLE_1)
	v_cndmask_b32_e64 v9, 0, 1, s1
	ds_store_b8 v16, v9 offset:16
	ds_load_b32 v9, v16 offset:16
	s_wait_loadcnt 0x0
	ds_store_2addr_b32 v16, v4, v5 offset1:1
	ds_store_2addr_b32 v16, v6, v7 offset0:2 offset1:3
.LBB2102_275:
	s_or_b32 exec_lo, exec_lo, s3
	v_cmp_gt_u32_e32 vcc_lo, 28, v15
	v_add_nc_u32_e32 v23, 4, v15
	s_mov_b32 s3, exec_lo
	s_wait_dscnt 0x0
	v_cndmask_b32_e64 v11, 0, 4, vcc_lo
	s_delay_alu instid0(VALU_DEP_1)
	v_add_lshl_u32 v22, v11, v15, 2
	ds_bpermute_b32 v24, v22, v4
	ds_bpermute_b32 v25, v22, v5
	;; [unrolled: 1-line block ×5, first 2 shown]
	s_wait_dscnt 0x1
	scratch_store_b128 off, v[24:27], off
	s_wait_xcnt 0x0
	v_cmpx_le_u32_e64 v23, v10
	s_cbranch_execz .LBB2102_283
; %bb.276:
	v_and_b32_e32 v24, 0xff, v9
	s_mov_b32 s1, exec_lo
	s_delay_alu instid0(VALU_DEP_1)
	v_cmpx_eq_u16_e32 0, v24
	s_cbranch_execz .LBB2102_282
; %bb.277:
	v_mov_b64_e32 v[4:5], 0
	s_mov_b32 s6, 0
.LBB2102_278:                           ; =>This Inner Loop Header: Depth=1
	s_wait_xcnt 0x0
	s_add_co_i32 s7, s6, 0x1b8
	s_add_co_i32 s6, s6, 8
	scratch_store_b64 off, v[4:5], s7
	s_cmp_lg_u32 s6, 16
	s_cbranch_scc1 .LBB2102_278
; %bb.279:
	s_mov_b32 s6, 0
.LBB2102_280:                           ; =>This Inner Loop Header: Depth=1
	scratch_load_b64 v[4:5], off, s6
	v_add_nc_u32_e32 v6, s6, v16
	s_add_co_i32 s7, s6, 0x1b8
	s_wait_xcnt 0x0
	s_add_co_i32 s6, s6, 8
	s_delay_alu instid0(SALU_CYCLE_1)
	s_cmp_lg_u32 s6, 16
	ds_load_2addr_b32 v[6:7], v6 offset1:1
	s_wait_loadcnt_dscnt 0x0
	v_dual_add_nc_u32 v5, v7, v5 :: v_dual_add_nc_u32 v4, v6, v4
	scratch_store_b64 off, v[4:5], s7
	s_cbranch_scc1 .LBB2102_280
; %bb.281:
	scratch_load_b128 v[4:7], off, off offset:440
.LBB2102_282:
	s_wait_xcnt 0x0
	s_or_b32 exec_lo, exec_lo, s1
	v_and_b32_e32 v9, 1, v9
	s_wait_dscnt 0x0
	v_and_b32_e32 v11, 1, v11
	s_delay_alu instid0(VALU_DEP_2) | instskip(NEXT) | instid1(VALU_DEP_2)
	v_cmp_eq_u32_e32 vcc_lo, 1, v9
	v_cmp_eq_u32_e64 s1, 1, v11
	s_or_b32 s1, vcc_lo, s1
	s_delay_alu instid0(SALU_CYCLE_1)
	v_cndmask_b32_e64 v9, 0, 1, s1
	ds_store_b8 v16, v9 offset:16
	ds_load_b32 v9, v16 offset:16
	s_wait_loadcnt 0x0
	ds_store_2addr_b32 v16, v4, v5 offset1:1
	ds_store_2addr_b32 v16, v6, v7 offset0:2 offset1:3
.LBB2102_283:
	s_or_b32 exec_lo, exec_lo, s3
	v_cmp_gt_u32_e32 vcc_lo, 24, v15
	v_add_nc_u32_e32 v25, 8, v15
	s_mov_b32 s3, exec_lo
	s_wait_dscnt 0x0
	v_cndmask_b32_e64 v11, 0, 8, vcc_lo
	s_delay_alu instid0(VALU_DEP_1)
	v_add_lshl_u32 v24, v11, v15, 2
	ds_bpermute_b32 v26, v24, v4
	ds_bpermute_b32 v27, v24, v5
	;; [unrolled: 1-line block ×5, first 2 shown]
	s_wait_dscnt 0x1
	scratch_store_b128 off, v[26:29], off
	s_wait_xcnt 0x0
	v_cmpx_le_u32_e64 v25, v10
	s_cbranch_execz .LBB2102_291
; %bb.284:
	v_and_b32_e32 v26, 0xff, v9
	s_mov_b32 s1, exec_lo
	s_delay_alu instid0(VALU_DEP_1)
	v_cmpx_eq_u16_e32 0, v26
	s_cbranch_execz .LBB2102_290
; %bb.285:
	v_mov_b64_e32 v[4:5], 0
	s_mov_b32 s6, 0
.LBB2102_286:                           ; =>This Inner Loop Header: Depth=1
	s_wait_xcnt 0x0
	s_add_co_i32 s7, s6, 0x1b8
	s_add_co_i32 s6, s6, 8
	scratch_store_b64 off, v[4:5], s7
	s_cmp_lg_u32 s6, 16
	s_cbranch_scc1 .LBB2102_286
; %bb.287:
	s_mov_b32 s6, 0
.LBB2102_288:                           ; =>This Inner Loop Header: Depth=1
	scratch_load_b64 v[4:5], off, s6
	v_add_nc_u32_e32 v6, s6, v16
	s_add_co_i32 s7, s6, 0x1b8
	s_wait_xcnt 0x0
	s_add_co_i32 s6, s6, 8
	s_delay_alu instid0(SALU_CYCLE_1)
	s_cmp_lg_u32 s6, 16
	ds_load_2addr_b32 v[6:7], v6 offset1:1
	s_wait_loadcnt_dscnt 0x0
	v_dual_add_nc_u32 v5, v7, v5 :: v_dual_add_nc_u32 v4, v6, v4
	scratch_store_b64 off, v[4:5], s7
	s_cbranch_scc1 .LBB2102_288
; %bb.289:
	scratch_load_b128 v[4:7], off, off offset:440
.LBB2102_290:
	s_wait_xcnt 0x0
	s_or_b32 exec_lo, exec_lo, s1
	v_and_b32_e32 v9, 1, v9
	s_wait_dscnt 0x0
	v_and_b32_e32 v11, 1, v11
	s_delay_alu instid0(VALU_DEP_2) | instskip(NEXT) | instid1(VALU_DEP_2)
	v_cmp_eq_u32_e32 vcc_lo, 1, v9
	v_cmp_eq_u32_e64 s1, 1, v11
	s_or_b32 s1, vcc_lo, s1
	s_delay_alu instid0(SALU_CYCLE_1)
	v_cndmask_b32_e64 v9, 0, 1, s1
	ds_store_b8 v16, v9 offset:16
	ds_load_b32 v9, v16 offset:16
	s_wait_loadcnt 0x0
	ds_store_2addr_b32 v16, v4, v5 offset1:1
	ds_store_2addr_b32 v16, v6, v7 offset0:2 offset1:3
.LBB2102_291:
	s_or_b32 exec_lo, exec_lo, s3
	v_lshl_or_b32 v26, v15, 2, 64
	v_add_nc_u32_e32 v27, 16, v15
	s_mov_b32 s3, exec_lo
	ds_bpermute_b32 v28, v26, v4
	ds_bpermute_b32 v29, v26, v5
	;; [unrolled: 1-line block ×4, first 2 shown]
	s_wait_dscnt 0x4
	ds_bpermute_b32 v11, v26, v9
	s_wait_dscnt 0x1
	scratch_store_b128 off, v[28:31], off
	s_wait_xcnt 0x0
	v_cmpx_le_u32_e64 v27, v10
	s_cbranch_execz .LBB2102_299
; %bb.292:
	v_and_b32_e32 v10, 0xff, v9
	s_mov_b32 s6, 0
	s_mov_b32 s1, exec_lo
	s_delay_alu instid0(VALU_DEP_1)
	v_cmpx_eq_u16_e32 0, v10
	s_cbranch_execz .LBB2102_298
; %bb.293:
	v_mov_b64_e32 v[4:5], 0
.LBB2102_294:                           ; =>This Inner Loop Header: Depth=1
	s_wait_xcnt 0x0
	s_add_co_i32 s7, s6, 0x1b8
	s_add_co_i32 s6, s6, 8
	scratch_store_b64 off, v[4:5], s7
	s_cmp_lg_u32 s6, 16
	s_cbranch_scc1 .LBB2102_294
; %bb.295:
	s_mov_b32 s6, 0
.LBB2102_296:                           ; =>This Inner Loop Header: Depth=1
	scratch_load_b64 v[4:5], off, s6
	v_add_nc_u32_e32 v6, s6, v16
	s_add_co_i32 s7, s6, 0x1b8
	s_wait_xcnt 0x0
	s_add_co_i32 s6, s6, 8
	s_delay_alu instid0(SALU_CYCLE_1)
	s_cmp_lg_u32 s6, 16
	ds_load_2addr_b32 v[6:7], v6 offset1:1
	s_wait_loadcnt_dscnt 0x0
	v_dual_add_nc_u32 v5, v7, v5 :: v_dual_add_nc_u32 v4, v6, v4
	scratch_store_b64 off, v[4:5], s7
	s_cbranch_scc1 .LBB2102_296
; %bb.297:
	scratch_load_b128 v[4:7], off, off offset:440
.LBB2102_298:
	s_wait_xcnt 0x0
	s_or_b32 exec_lo, exec_lo, s1
	v_and_b32_e32 v9, 1, v9
	s_wait_dscnt 0x0
	v_and_b32_e32 v10, 1, v11
	s_delay_alu instid0(VALU_DEP_2) | instskip(NEXT) | instid1(VALU_DEP_2)
	v_cmp_eq_u32_e32 vcc_lo, 1, v9
	v_cmp_eq_u32_e64 s1, 1, v10
	s_or_b32 s1, vcc_lo, s1
	s_delay_alu instid0(SALU_CYCLE_1)
	v_cndmask_b32_e64 v9, 0, 1, s1
	s_wait_loadcnt 0x0
	ds_store_2addr_b32 v16, v4, v5 offset1:1
	ds_store_2addr_b32 v16, v6, v7 offset0:2 offset1:3
	ds_store_b8 v16, v9 offset:16
.LBB2102_299:
	s_or_b32 exec_lo, exec_lo, s3
	ds_load_b32 v30, v16 offset:16
	ds_load_2addr_b32 v[6:7], v16 offset0:2 offset1:3
	ds_load_2addr_b32 v[4:5], v16 offset1:1
	v_mad_u32 v28, v13, 20, 0x3600
	s_wait_dscnt 0x3
	v_mov_b64_e32 v[10:11], 0
	v_lshl_add_u32 v29, v13, 4, 0x3b00
	v_mov_b32_e32 v9, 0
	s_wait_dscnt 0x2
	scratch_store_b32 off, v30, off offset:176
	s_wait_dscnt 0x0
	scratch_store_b128 off, v[4:7], off offset:160
	s_branch .LBB2102_303
.LBB2102_300:                           ;   in Loop: Header=BB2102_303 Depth=1
	scratch_load_b128 v[4:7], off, off
.LBB2102_301:                           ;   in Loop: Header=BB2102_303 Depth=1
	s_wait_xcnt 0x0
	s_or_b32 exec_lo, exec_lo, s3
	v_and_b32_e32 v30, 1, v30
	v_subrev_nc_u32_e32 v8, 32, v8
	s_delay_alu instid0(VALU_DEP_2) | instskip(SKIP_1) | instid1(SALU_CYCLE_1)
	v_cmp_eq_u32_e32 vcc_lo, 1, v30
	s_or_b32 s1, vcc_lo, s1
	v_cndmask_b32_e64 v30, 0, 1, s1
	s_mov_b32 s1, 0
	s_wait_loadcnt 0x0
	s_clause 0x1
	scratch_store_b128 off, v[4:7], off offset:160
	scratch_store_b8 off, v30, off offset:176
.LBB2102_302:                           ;   in Loop: Header=BB2102_303 Depth=1
	s_and_b32 vcc_lo, exec_lo, s1
	s_cbranch_vccnz .LBB2102_360
.LBB2102_303:                           ; =>This Loop Header: Depth=1
                                        ;     Child Loop BB2102_305 Depth 2
                                        ;     Child Loop BB2102_308 Depth 2
                                        ;     Child Loop BB2102_311 Depth 2
                                        ;     Child Loop BB2102_315 Depth 2
                                        ;     Child Loop BB2102_317 Depth 2
                                        ;     Child Loop BB2102_323 Depth 2
                                        ;     Child Loop BB2102_325 Depth 2
                                        ;     Child Loop BB2102_331 Depth 2
                                        ;     Child Loop BB2102_333 Depth 2
                                        ;     Child Loop BB2102_339 Depth 2
                                        ;     Child Loop BB2102_341 Depth 2
                                        ;     Child Loop BB2102_347 Depth 2
                                        ;     Child Loop BB2102_349 Depth 2
                                        ;     Child Loop BB2102_356 Depth 2
                                        ;     Child Loop BB2102_358 Depth 2
	s_wait_xcnt 0x0
	v_and_b32_e32 v4, 0xff, v17
	s_mov_b32 s1, -1
                                        ; implicit-def: $vgpr17
	s_delay_alu instid0(VALU_DEP_1)
	v_cmp_ne_u16_e32 vcc_lo, 2, v4
	s_cmp_lg_u32 vcc_lo, exec_lo
	s_cbranch_scc1 .LBB2102_302
; %bb.304:                              ;   in Loop: Header=BB2102_303 Depth=1
	v_dual_mov_b32 v4, v9 :: v_dual_mov_b32 v5, v9
	v_dual_mov_b32 v6, v9 :: v_dual_mov_b32 v7, v9
	s_mov_b32 s1, 0
	s_clause 0x1
	scratch_store_b32 off, v9, off offset:16
	scratch_store_b128 off, v[4:7], off
.LBB2102_305:                           ;   Parent Loop BB2102_303 Depth=1
                                        ; =>  This Inner Loop Header: Depth=2
	s_wait_xcnt 0x0
	s_mov_b32 s3, s1
	s_add_co_i32 s1, s1, 8
	scratch_store_b64 off, v[10:11], s3
	s_cmp_lg_u32 s1, 16
	s_cbranch_scc1 .LBB2102_305
; %bb.306:                              ;   in Loop: Header=BB2102_303 Depth=1
	scratch_store_b8 off, v9, off offset:16
	global_load_u8 v17, v8, s[20:21] scope:SCOPE_DEV
	s_mov_b32 s1, exec_lo
	s_wait_loadcnt 0x0
	s_wait_xcnt 0x0
	v_cmpx_eq_u16_e32 0, v17
	s_cbranch_execz .LBB2102_310
; %bb.307:                              ;   in Loop: Header=BB2102_303 Depth=1
	v_add_nc_u64_e32 v[4:5], s[20:21], v[8:9]
	s_mov_b32 s3, 0
.LBB2102_308:                           ;   Parent Loop BB2102_303 Depth=1
                                        ; =>  This Inner Loop Header: Depth=2
	global_load_u8 v17, v[4:5], off scope:SCOPE_DEV
	s_wait_loadcnt 0x0
	v_cmp_ne_u16_e32 vcc_lo, 0, v17
	s_or_b32 s3, vcc_lo, s3
	s_wait_xcnt 0x0
	s_and_not1_b32 exec_lo, exec_lo, s3
	s_cbranch_execnz .LBB2102_308
; %bb.309:                              ;   in Loop: Header=BB2102_303 Depth=1
	s_or_b32 exec_lo, exec_lo, s3
.LBB2102_310:                           ;   in Loop: Header=BB2102_303 Depth=1
	s_delay_alu instid0(SALU_CYCLE_1)
	s_or_b32 exec_lo, exec_lo, s1
	v_dual_mov_b32 v4, s17 :: v_dual_mov_b32 v6, s16
	v_cmp_eq_u16_e32 vcc_lo, 1, v17
	global_wb scope:SCOPE_DEV
	s_wait_storecnt 0x0
	global_inv scope:SCOPE_DEV
	s_mov_b32 s1, 0
	v_cndmask_b32_e32 v5, s19, v4, vcc_lo
	v_cndmask_b32_e32 v4, s18, v6, vcc_lo
	s_delay_alu instid0(VALU_DEP_1)
	v_mad_nc_u64_u32 v[30:31], v8, 20, v[4:5]
                                        ; kill: killed $vgpr30_vgpr31
	s_clause 0x1
	global_load_b128 v[4:7], v[30:31], off
	global_load_u8 v32, v[30:31], off offset:16
	s_wait_loadcnt 0x1
	scratch_store_b128 off, v[4:7], off
	ds_store_2addr_b32 v16, v4, v5 offset1:1
	ds_store_2addr_b32 v16, v6, v7 offset0:2 offset1:3
	s_wait_loadcnt 0x0
	ds_store_b8 v16, v32 offset:16
	ds_store_b32 v28, v9 offset:16
.LBB2102_311:                           ;   Parent Loop BB2102_303 Depth=1
                                        ; =>  This Inner Loop Header: Depth=2
	s_wait_xcnt 0x1
	v_add_nc_u32_e32 v30, s1, v28
	s_add_co_i32 s1, s1, 8
	s_delay_alu instid0(SALU_CYCLE_1)
	s_cmp_lg_u32 s1, 16
	ds_store_2addr_b32 v30, v9, v9 offset1:1
	s_cbranch_scc1 .LBB2102_311
; %bb.312:                              ;   in Loop: Header=BB2102_303 Depth=1
	ds_load_b32 v31, v16 offset:16
	ds_bpermute_b32 v33, v18, v4
	ds_bpermute_b32 v34, v18, v5
	;; [unrolled: 1-line block ×4, first 2 shown]
	v_cmp_eq_u16_e32 vcc_lo, 2, v17
	s_mov_b32 s1, exec_lo
	s_wait_dscnt 0x2
	ds_store_2addr_b32 v28, v33, v34 offset1:1
	s_wait_dscnt 0x1
	ds_store_2addr_b32 v28, v35, v36 offset0:2 offset1:3
	ds_bpermute_b32 v32, v18, v31
	v_and_or_b32 v30, vcc_lo, v19, 0x80000000
	s_delay_alu instid0(VALU_DEP_1) | instskip(SKIP_1) | instid1(VALU_DEP_1)
	v_ctz_i32_b32_e32 v30, v30
	s_wait_xcnt 0x0
	v_cmpx_lt_u32_e64 v15, v30
	s_cbranch_execz .LBB2102_320
; %bb.313:                              ;   in Loop: Header=BB2102_303 Depth=1
	v_and_b32_e32 v33, 0xff, v31
	s_mov_b32 s3, exec_lo
	s_delay_alu instid0(VALU_DEP_1)
	v_cmpx_eq_u16_e32 0, v33
	s_cbranch_execz .LBB2102_319
; %bb.314:                              ;   in Loop: Header=BB2102_303 Depth=1
	s_mov_b32 s6, 0
.LBB2102_315:                           ;   Parent Loop BB2102_303 Depth=1
                                        ; =>  This Inner Loop Header: Depth=2
	s_delay_alu instid0(SALU_CYCLE_1) | instskip(SKIP_1) | instid1(SALU_CYCLE_1)
	v_add_nc_u32_e32 v4, s6, v29
	s_add_co_i32 s6, s6, 8
	s_cmp_lg_u32 s6, 16
	ds_store_2addr_b32 v4, v9, v9 offset1:1
	s_cbranch_scc1 .LBB2102_315
; %bb.316:                              ;   in Loop: Header=BB2102_303 Depth=1
	s_mov_b32 s6, 0
.LBB2102_317:                           ;   Parent Loop BB2102_303 Depth=1
                                        ; =>  This Inner Loop Header: Depth=2
	s_delay_alu instid0(SALU_CYCLE_1)
	v_dual_add_nc_u32 v4, s6, v28 :: v_dual_add_nc_u32 v33, s6, v29
	v_add_nc_u32_e32 v6, s6, v16
	s_add_co_i32 s6, s6, 8
	ds_load_2addr_b32 v[4:5], v4 offset1:1
	ds_load_2addr_b32 v[6:7], v6 offset1:1
	s_cmp_lg_u32 s6, 16
	s_wait_dscnt 0x0
	v_dual_add_nc_u32 v5, v7, v5 :: v_dual_add_nc_u32 v4, v6, v4
	ds_store_2addr_b32 v33, v4, v5 offset1:1
	s_cbranch_scc1 .LBB2102_317
; %bb.318:                              ;   in Loop: Header=BB2102_303 Depth=1
	ds_load_2addr_b32 v[4:5], v29 offset1:1
	ds_load_2addr_b32 v[6:7], v29 offset0:2 offset1:3
.LBB2102_319:                           ;   in Loop: Header=BB2102_303 Depth=1
	s_or_b32 exec_lo, exec_lo, s3
	s_wait_dscnt 0x0
	v_or_b32_e32 v31, v32, v31
	s_delay_alu instid0(VALU_DEP_1)
	v_and_b32_e32 v31, 1, v31
	ds_store_b8 v16, v31 offset:16
	ds_load_b32 v31, v16 offset:16
	ds_store_2addr_b32 v16, v4, v5 offset1:1
	ds_store_2addr_b32 v16, v6, v7 offset0:2 offset1:3
.LBB2102_320:                           ;   in Loop: Header=BB2102_303 Depth=1
	s_or_b32 exec_lo, exec_lo, s1
	ds_bpermute_b32 v33, v20, v4
	ds_bpermute_b32 v34, v20, v5
	s_wait_dscnt 0x2
	ds_bpermute_b32 v32, v20, v31
	ds_bpermute_b32 v35, v20, v6
	;; [unrolled: 1-line block ×3, first 2 shown]
	s_mov_b32 s3, exec_lo
	s_wait_dscnt 0x3
	ds_store_2addr_b32 v28, v33, v34 offset1:1
	s_wait_dscnt 0x1
	ds_store_2addr_b32 v28, v35, v36 offset0:2 offset1:3
	v_cmpx_le_u32_e64 v21, v30
	s_cbranch_execz .LBB2102_328
; %bb.321:                              ;   in Loop: Header=BB2102_303 Depth=1
	v_and_b32_e32 v33, 0xff, v31
	s_mov_b32 s1, exec_lo
	s_delay_alu instid0(VALU_DEP_1)
	v_cmpx_eq_u16_e32 0, v33
	s_cbranch_execz .LBB2102_327
; %bb.322:                              ;   in Loop: Header=BB2102_303 Depth=1
	s_mov_b32 s6, 0
.LBB2102_323:                           ;   Parent Loop BB2102_303 Depth=1
                                        ; =>  This Inner Loop Header: Depth=2
	s_delay_alu instid0(SALU_CYCLE_1) | instskip(SKIP_1) | instid1(SALU_CYCLE_1)
	v_add_nc_u32_e32 v4, s6, v29
	s_add_co_i32 s6, s6, 8
	s_cmp_lg_u32 s6, 16
	ds_store_2addr_b32 v4, v9, v9 offset1:1
	s_cbranch_scc1 .LBB2102_323
; %bb.324:                              ;   in Loop: Header=BB2102_303 Depth=1
	s_mov_b32 s6, 0
.LBB2102_325:                           ;   Parent Loop BB2102_303 Depth=1
                                        ; =>  This Inner Loop Header: Depth=2
	s_delay_alu instid0(SALU_CYCLE_1)
	v_dual_add_nc_u32 v4, s6, v28 :: v_dual_add_nc_u32 v33, s6, v29
	v_add_nc_u32_e32 v6, s6, v16
	s_add_co_i32 s6, s6, 8
	ds_load_2addr_b32 v[4:5], v4 offset1:1
	ds_load_2addr_b32 v[6:7], v6 offset1:1
	s_cmp_lg_u32 s6, 16
	s_wait_dscnt 0x0
	v_dual_add_nc_u32 v5, v7, v5 :: v_dual_add_nc_u32 v4, v6, v4
	ds_store_2addr_b32 v33, v4, v5 offset1:1
	s_cbranch_scc1 .LBB2102_325
; %bb.326:                              ;   in Loop: Header=BB2102_303 Depth=1
	ds_load_2addr_b32 v[4:5], v29 offset1:1
	ds_load_2addr_b32 v[6:7], v29 offset0:2 offset1:3
.LBB2102_327:                           ;   in Loop: Header=BB2102_303 Depth=1
	s_or_b32 exec_lo, exec_lo, s1
	v_and_b32_e32 v31, 1, v31
	v_and_b32_e32 v32, 1, v32
	s_delay_alu instid0(VALU_DEP_2) | instskip(NEXT) | instid1(VALU_DEP_2)
	v_cmp_eq_u32_e32 vcc_lo, 1, v31
	v_cmp_eq_u32_e64 s1, 1, v32
	s_or_b32 s1, vcc_lo, s1
	s_delay_alu instid0(SALU_CYCLE_1)
	v_cndmask_b32_e64 v31, 0, 1, s1
	ds_store_b8 v16, v31 offset:16
	ds_load_b32 v31, v16 offset:16
	s_wait_dscnt 0x3
	ds_store_2addr_b32 v16, v4, v5 offset1:1
	s_wait_dscnt 0x3
	ds_store_2addr_b32 v16, v6, v7 offset0:2 offset1:3
.LBB2102_328:                           ;   in Loop: Header=BB2102_303 Depth=1
	s_or_b32 exec_lo, exec_lo, s3
	ds_bpermute_b32 v33, v22, v4
	ds_bpermute_b32 v34, v22, v5
	s_wait_dscnt 0x4
	ds_bpermute_b32 v32, v22, v31
	ds_bpermute_b32 v35, v22, v6
	;; [unrolled: 1-line block ×3, first 2 shown]
	s_mov_b32 s3, exec_lo
	s_wait_dscnt 0x3
	ds_store_2addr_b32 v28, v33, v34 offset1:1
	s_wait_dscnt 0x1
	ds_store_2addr_b32 v28, v35, v36 offset0:2 offset1:3
	v_cmpx_le_u32_e64 v23, v30
	s_cbranch_execz .LBB2102_336
; %bb.329:                              ;   in Loop: Header=BB2102_303 Depth=1
	v_and_b32_e32 v33, 0xff, v31
	s_mov_b32 s1, exec_lo
	s_delay_alu instid0(VALU_DEP_1)
	v_cmpx_eq_u16_e32 0, v33
	s_cbranch_execz .LBB2102_335
; %bb.330:                              ;   in Loop: Header=BB2102_303 Depth=1
	s_mov_b32 s6, 0
.LBB2102_331:                           ;   Parent Loop BB2102_303 Depth=1
                                        ; =>  This Inner Loop Header: Depth=2
	s_delay_alu instid0(SALU_CYCLE_1) | instskip(SKIP_1) | instid1(SALU_CYCLE_1)
	v_add_nc_u32_e32 v4, s6, v29
	s_add_co_i32 s6, s6, 8
	s_cmp_lg_u32 s6, 16
	ds_store_2addr_b32 v4, v9, v9 offset1:1
	s_cbranch_scc1 .LBB2102_331
; %bb.332:                              ;   in Loop: Header=BB2102_303 Depth=1
	s_mov_b32 s6, 0
.LBB2102_333:                           ;   Parent Loop BB2102_303 Depth=1
                                        ; =>  This Inner Loop Header: Depth=2
	s_delay_alu instid0(SALU_CYCLE_1)
	v_dual_add_nc_u32 v4, s6, v28 :: v_dual_add_nc_u32 v33, s6, v29
	v_add_nc_u32_e32 v6, s6, v16
	s_add_co_i32 s6, s6, 8
	ds_load_2addr_b32 v[4:5], v4 offset1:1
	ds_load_2addr_b32 v[6:7], v6 offset1:1
	s_cmp_lg_u32 s6, 16
	s_wait_dscnt 0x0
	v_dual_add_nc_u32 v5, v7, v5 :: v_dual_add_nc_u32 v4, v6, v4
	ds_store_2addr_b32 v33, v4, v5 offset1:1
	s_cbranch_scc1 .LBB2102_333
; %bb.334:                              ;   in Loop: Header=BB2102_303 Depth=1
	ds_load_2addr_b32 v[4:5], v29 offset1:1
	ds_load_2addr_b32 v[6:7], v29 offset0:2 offset1:3
.LBB2102_335:                           ;   in Loop: Header=BB2102_303 Depth=1
	s_or_b32 exec_lo, exec_lo, s1
	v_and_b32_e32 v31, 1, v31
	v_and_b32_e32 v32, 1, v32
	s_delay_alu instid0(VALU_DEP_2) | instskip(NEXT) | instid1(VALU_DEP_2)
	v_cmp_eq_u32_e32 vcc_lo, 1, v31
	v_cmp_eq_u32_e64 s1, 1, v32
	s_or_b32 s1, vcc_lo, s1
	s_delay_alu instid0(SALU_CYCLE_1)
	v_cndmask_b32_e64 v31, 0, 1, s1
	ds_store_b8 v16, v31 offset:16
	ds_load_b32 v31, v16 offset:16
	s_wait_dscnt 0x3
	ds_store_2addr_b32 v16, v4, v5 offset1:1
	s_wait_dscnt 0x3
	ds_store_2addr_b32 v16, v6, v7 offset0:2 offset1:3
.LBB2102_336:                           ;   in Loop: Header=BB2102_303 Depth=1
	s_or_b32 exec_lo, exec_lo, s3
	ds_bpermute_b32 v33, v24, v4
	ds_bpermute_b32 v34, v24, v5
	s_wait_dscnt 0x4
	ds_bpermute_b32 v32, v24, v31
	ds_bpermute_b32 v35, v24, v6
	;; [unrolled: 1-line block ×3, first 2 shown]
	s_mov_b32 s3, exec_lo
	s_wait_dscnt 0x3
	ds_store_2addr_b32 v28, v33, v34 offset1:1
	s_wait_dscnt 0x1
	ds_store_2addr_b32 v28, v35, v36 offset0:2 offset1:3
	v_cmpx_le_u32_e64 v25, v30
	s_cbranch_execz .LBB2102_344
; %bb.337:                              ;   in Loop: Header=BB2102_303 Depth=1
	v_and_b32_e32 v33, 0xff, v31
	s_mov_b32 s1, exec_lo
	s_delay_alu instid0(VALU_DEP_1)
	v_cmpx_eq_u16_e32 0, v33
	s_cbranch_execz .LBB2102_343
; %bb.338:                              ;   in Loop: Header=BB2102_303 Depth=1
	s_mov_b32 s6, 0
.LBB2102_339:                           ;   Parent Loop BB2102_303 Depth=1
                                        ; =>  This Inner Loop Header: Depth=2
	s_delay_alu instid0(SALU_CYCLE_1) | instskip(SKIP_1) | instid1(SALU_CYCLE_1)
	v_add_nc_u32_e32 v4, s6, v29
	s_add_co_i32 s6, s6, 8
	s_cmp_lg_u32 s6, 16
	ds_store_2addr_b32 v4, v9, v9 offset1:1
	s_cbranch_scc1 .LBB2102_339
; %bb.340:                              ;   in Loop: Header=BB2102_303 Depth=1
	s_mov_b32 s6, 0
.LBB2102_341:                           ;   Parent Loop BB2102_303 Depth=1
                                        ; =>  This Inner Loop Header: Depth=2
	s_delay_alu instid0(SALU_CYCLE_1)
	v_dual_add_nc_u32 v4, s6, v28 :: v_dual_add_nc_u32 v33, s6, v29
	v_add_nc_u32_e32 v6, s6, v16
	s_add_co_i32 s6, s6, 8
	ds_load_2addr_b32 v[4:5], v4 offset1:1
	ds_load_2addr_b32 v[6:7], v6 offset1:1
	s_cmp_lg_u32 s6, 16
	s_wait_dscnt 0x0
	v_dual_add_nc_u32 v5, v7, v5 :: v_dual_add_nc_u32 v4, v6, v4
	ds_store_2addr_b32 v33, v4, v5 offset1:1
	s_cbranch_scc1 .LBB2102_341
; %bb.342:                              ;   in Loop: Header=BB2102_303 Depth=1
	ds_load_2addr_b32 v[4:5], v29 offset1:1
	ds_load_2addr_b32 v[6:7], v29 offset0:2 offset1:3
.LBB2102_343:                           ;   in Loop: Header=BB2102_303 Depth=1
	s_or_b32 exec_lo, exec_lo, s1
	v_and_b32_e32 v31, 1, v31
	v_and_b32_e32 v32, 1, v32
	s_delay_alu instid0(VALU_DEP_2) | instskip(NEXT) | instid1(VALU_DEP_2)
	v_cmp_eq_u32_e32 vcc_lo, 1, v31
	v_cmp_eq_u32_e64 s1, 1, v32
	s_or_b32 s1, vcc_lo, s1
	s_delay_alu instid0(SALU_CYCLE_1)
	v_cndmask_b32_e64 v31, 0, 1, s1
	ds_store_b8 v16, v31 offset:16
	ds_load_b32 v31, v16 offset:16
	s_wait_dscnt 0x3
	ds_store_2addr_b32 v16, v4, v5 offset1:1
	s_wait_dscnt 0x3
	ds_store_2addr_b32 v16, v6, v7 offset0:2 offset1:3
.LBB2102_344:                           ;   in Loop: Header=BB2102_303 Depth=1
	s_or_b32 exec_lo, exec_lo, s3
	ds_bpermute_b32 v33, v26, v4
	ds_bpermute_b32 v34, v26, v5
	s_wait_dscnt 0x4
	ds_bpermute_b32 v32, v26, v31
	ds_bpermute_b32 v35, v26, v6
	;; [unrolled: 1-line block ×3, first 2 shown]
	v_and_b32_e32 v37, 1, v31
	s_mov_b32 s3, exec_lo
	s_wait_dscnt 0x3
	ds_store_2addr_b32 v28, v33, v34 offset1:1
	s_wait_dscnt 0x1
	ds_store_2addr_b32 v28, v35, v36 offset0:2 offset1:3
	v_cmp_eq_u32_e64 s1, 1, v37
	v_cmpx_le_u32_e64 v27, v30
	s_cbranch_execz .LBB2102_352
; %bb.345:                              ;   in Loop: Header=BB2102_303 Depth=1
	v_and_b32_e32 v30, 0xff, v31
	s_mov_b32 s6, exec_lo
	s_delay_alu instid0(VALU_DEP_1)
	v_cmpx_eq_u16_e32 0, v30
	s_cbranch_execz .LBB2102_351
; %bb.346:                              ;   in Loop: Header=BB2102_303 Depth=1
	s_mov_b32 s7, 0
.LBB2102_347:                           ;   Parent Loop BB2102_303 Depth=1
                                        ; =>  This Inner Loop Header: Depth=2
	s_delay_alu instid0(SALU_CYCLE_1) | instskip(SKIP_1) | instid1(SALU_CYCLE_1)
	v_add_nc_u32_e32 v4, s7, v29
	s_add_co_i32 s7, s7, 8
	s_cmp_lg_u32 s7, 16
	ds_store_2addr_b32 v4, v9, v9 offset1:1
	s_cbranch_scc1 .LBB2102_347
; %bb.348:                              ;   in Loop: Header=BB2102_303 Depth=1
	s_mov_b32 s7, 0
.LBB2102_349:                           ;   Parent Loop BB2102_303 Depth=1
                                        ; =>  This Inner Loop Header: Depth=2
	s_delay_alu instid0(SALU_CYCLE_1)
	v_dual_add_nc_u32 v4, s7, v28 :: v_dual_add_nc_u32 v30, s7, v29
	v_add_nc_u32_e32 v6, s7, v16
	s_add_co_i32 s7, s7, 8
	ds_load_2addr_b32 v[4:5], v4 offset1:1
	ds_load_2addr_b32 v[6:7], v6 offset1:1
	s_cmp_lg_u32 s7, 16
	s_wait_dscnt 0x0
	v_dual_add_nc_u32 v5, v7, v5 :: v_dual_add_nc_u32 v4, v6, v4
	ds_store_2addr_b32 v30, v4, v5 offset1:1
	s_cbranch_scc1 .LBB2102_349
; %bb.350:                              ;   in Loop: Header=BB2102_303 Depth=1
	ds_load_2addr_b32 v[4:5], v29 offset1:1
	ds_load_2addr_b32 v[6:7], v29 offset0:2 offset1:3
.LBB2102_351:                           ;   in Loop: Header=BB2102_303 Depth=1
	s_or_b32 exec_lo, exec_lo, s6
	v_and_b32_e32 v30, 1, v32
	s_and_not1_b32 s6, s1, exec_lo
	s_delay_alu instid0(VALU_DEP_1) | instskip(SKIP_1) | instid1(SALU_CYCLE_1)
	v_cmp_eq_u32_e32 vcc_lo, 1, v30
	s_or_b32 s1, s1, vcc_lo
	v_cndmask_b32_e64 v30, 0, 1, s1
	s_and_b32 s1, s1, exec_lo
	s_wait_dscnt 0x1
	ds_store_2addr_b32 v16, v4, v5 offset1:1
	s_wait_dscnt 0x1
	ds_store_2addr_b32 v16, v6, v7 offset0:2 offset1:3
	ds_store_b8 v16, v30 offset:16
	s_or_b32 s1, s6, s1
.LBB2102_352:                           ;   in Loop: Header=BB2102_303 Depth=1
	s_or_b32 exec_lo, exec_lo, s3
	scratch_load_u8 v30, off, off offset:176
	s_mov_b32 s3, exec_lo
                                        ; implicit-def: $vgpr6_vgpr7
	s_wait_loadcnt 0x0
	v_cmpx_ne_u16_e32 0, v30
	s_xor_b32 s3, exec_lo, s3
	s_cbranch_execz .LBB2102_354
; %bb.353:                              ;   in Loop: Header=BB2102_303 Depth=1
	scratch_load_b128 v[4:7], off, off offset:160
.LBB2102_354:                           ;   in Loop: Header=BB2102_303 Depth=1
	s_wait_xcnt 0x0
	s_and_not1_saveexec_b32 s3, s3
	s_cbranch_execz .LBB2102_301
; %bb.355:                              ;   in Loop: Header=BB2102_303 Depth=1
	s_mov_b32 s6, 0
.LBB2102_356:                           ;   Parent Loop BB2102_303 Depth=1
                                        ; =>  This Inner Loop Header: Depth=2
	s_wait_xcnt 0x0
	s_mov_b32 s7, s6
	s_add_co_i32 s6, s6, 8
	scratch_store_b64 off, v[10:11], s7
	s_cmp_lg_u32 s6, 16
	s_cbranch_scc1 .LBB2102_356
; %bb.357:                              ;   in Loop: Header=BB2102_303 Depth=1
	s_mov_b32 s6, 0
.LBB2102_358:                           ;   Parent Loop BB2102_303 Depth=1
                                        ; =>  This Inner Loop Header: Depth=2
	s_wait_xcnt 0x0
	s_add_co_i32 s7, s6, 0xa0
	s_wait_loadcnt 0x0
	scratch_load_b64 v[4:5], off, s7
	v_add_nc_u32_e32 v6, s6, v16
	s_wait_xcnt 0x0
	s_mov_b32 s7, s6
	s_add_co_i32 s6, s6, 8
	s_delay_alu instid0(SALU_CYCLE_1)
	s_cmp_lg_u32 s6, 16
	ds_load_2addr_b32 v[6:7], v6 offset1:1
	s_wait_loadcnt_dscnt 0x0
	v_dual_add_nc_u32 v5, v5, v7 :: v_dual_add_nc_u32 v4, v4, v6
	scratch_store_b64 off, v[4:5], s7
	s_cbranch_scc1 .LBB2102_358
	s_branch .LBB2102_300
.LBB2102_359:
	s_cbranch_execnz .LBB2102_455
	s_branch .LBB2102_688
.LBB2102_360:
	s_clause 0x1
	scratch_load_b128 v[4:7], off, off offset:160
	scratch_load_b32 v8, off, off offset:176
	s_wait_loadcnt 0x1
	scratch_store_b128 off, v[4:7], off
	s_wait_loadcnt 0x0
	scratch_store_b32 off, v8, off offset:16
	s_wait_xcnt 0x0
	s_and_saveexec_b32 s1, s0
	s_cbranch_execz .LBB2102_368
; %bb.361:
	v_and_b32_e32 v9, 0xff, v14
	s_mov_b32 s0, 0
	s_delay_alu instid0(VALU_DEP_1)
	v_cmp_ne_u32_e32 vcc_lo, 0, v9
	s_cbranch_vccnz .LBB2102_367
; %bb.362:
	v_mov_b64_e32 v[0:1], 0
.LBB2102_363:                           ; =>This Inner Loop Header: Depth=1
	s_wait_xcnt 0x0
	s_add_co_i32 s3, s0, 0xa0
	s_add_co_i32 s0, s0, 8
	scratch_store_b64 off, v[0:1], s3
	s_cmp_lg_u32 s0, 16
	s_cbranch_scc1 .LBB2102_363
; %bb.364:
	s_mov_b32 s0, 0
.LBB2102_365:                           ; =>This Inner Loop Header: Depth=1
	s_wait_xcnt 0x1
	s_add_co_i32 s6, s0, 0xb4
	scratch_load_b64 v[0:1], off, s0
	scratch_load_b64 v[2:3], off, s6
	s_mov_b32 s3, s0
                                        ; kill: killed $sgpr3
	s_add_co_i32 s3, s0, 0xa0
	s_wait_xcnt 0x1
	s_add_co_i32 s0, s0, 8
                                        ; kill: killed $sgpr6
	s_delay_alu instid0(SALU_CYCLE_1)
	s_cmp_lg_u32 s0, 16
	s_wait_loadcnt 0x0
	v_dual_add_nc_u32 v1, v3, v1 :: v_dual_add_nc_u32 v0, v2, v0
	scratch_store_b64 off, v[0:1], s3
	s_cbranch_scc1 .LBB2102_365
; %bb.366:
	scratch_load_b128 v[0:3], off, off offset:160
.LBB2102_367:
	s_add_co_i32 s6, s38, 32
	s_mov_b32 s7, 0
	v_bitop3_b16 v9, v14, 1, v8 bitop3:0xc8
	v_dual_mov_b32 v10, 0 :: v_dual_mov_b32 v11, 2
	v_mov_b32_e32 v14, s6
	s_mul_u64 s[8:9], s[6:7], 20
	s_delay_alu instid0(SALU_CYCLE_1)
	s_add_nc_u64 s[8:9], s[18:19], s[8:9]
	s_wait_loadcnt 0x0
	s_clause 0x1
	global_store_b128 v10, v[0:3], s[8:9]
	global_store_b8 v10, v9, s[8:9] offset:16
	global_wb scope:SCOPE_DEV
	s_wait_storecnt_dscnt 0x0
	global_inv scope:SCOPE_DEV
	s_wait_xcnt 0x0
	global_store_b8 v14, v11, s[20:21] scope:SCOPE_DEV
.LBB2102_368:
	s_wait_xcnt 0x0
	s_or_b32 exec_lo, exec_lo, s1
	s_delay_alu instid0(SALU_CYCLE_1)
	s_and_b32 exec_lo, exec_lo, s4
	s_cbranch_execz .LBB2102_370
; %bb.369:
	v_mov_b32_e32 v0, 0
	ds_store_b128 v0, v[4:7]
	ds_store_b8 v0, v8 offset:16
.LBB2102_370:
	s_or_b32 exec_lo, exec_lo, s2
	s_wait_storecnt 0x0
	s_wait_loadcnt_dscnt 0x0
	s_barrier_signal -1
	s_barrier_wait -1
	s_clause 0x1
	scratch_load_b128 v[0:3], off, off offset:240
	scratch_load_b32 v5, off, off offset:256
	v_mov_b32_e32 v4, 0
	ds_load_b128 v[6:9], v4
	ds_load_b32 v4, v4 offset:16
	s_wait_dscnt 0x1
	scratch_store_b128 off, v[6:9], off
	s_wait_dscnt 0x0
	scratch_store_b32 off, v4, off offset:16
	s_wait_loadcnt 0x1
	scratch_store_b128 off, v[0:3], off offset:160
	s_wait_loadcnt 0x0
	s_clause 0x2
	scratch_store_b32 off, v5, off offset:176
	scratch_store_b128 off, v[6:9], off offset:180
	scratch_store_b32 off, v4, off offset:196
                                        ; implicit-def: $vgpr5
	s_wait_xcnt 0x0
	s_and_saveexec_b32 s0, s5
	s_delay_alu instid0(SALU_CYCLE_1)
	s_xor_b32 s0, exec_lo, s0
	s_cbranch_execz .LBB2102_380
; %bb.371:
	scratch_load_u8 v5, off, off offset:216
	s_mov_b32 s1, exec_lo
                                        ; implicit-def: $vgpr2_vgpr3
	s_wait_loadcnt 0x0
	v_cmpx_ne_u16_e32 0, v5
	s_xor_b32 s1, exec_lo, s1
	s_cbranch_execz .LBB2102_373
; %bb.372:
	scratch_load_b128 v[0:3], off, off offset:200
.LBB2102_373:
	s_wait_xcnt 0x0
	s_and_not1_saveexec_b32 s1, s1
	s_cbranch_execz .LBB2102_379
; %bb.374:
	s_wait_loadcnt 0x0
	v_mov_b64_e32 v[0:1], 0
	s_mov_b32 s2, 0
.LBB2102_375:                           ; =>This Inner Loop Header: Depth=1
	s_wait_xcnt 0x0
	s_add_co_i32 s3, s2, 0x1b8
	s_add_co_i32 s2, s2, 8
	scratch_store_b64 off, v[0:1], s3
	s_cmp_lg_u32 s2, 16
	s_cbranch_scc1 .LBB2102_375
; %bb.376:
	s_mov_b32 s2, 0
.LBB2102_377:                           ; =>This Inner Loop Header: Depth=1
	s_wait_xcnt 0x1
	s_add_co_i32 s6, s2, 0xc8
	scratch_load_b64 v[0:1], off, s2
	scratch_load_b64 v[2:3], off, s6
	s_mov_b32 s3, s2
                                        ; kill: killed $sgpr3
	s_add_co_i32 s3, s2, 0x1b8
	s_wait_xcnt 0x1
	s_add_co_i32 s2, s2, 8
                                        ; kill: killed $sgpr6
	s_delay_alu instid0(SALU_CYCLE_1)
	s_cmp_lg_u32 s2, 16
	s_wait_loadcnt 0x0
	v_dual_add_nc_u32 v1, v3, v1 :: v_dual_add_nc_u32 v0, v2, v0
	scratch_store_b64 off, v[0:1], s3
	s_cbranch_scc1 .LBB2102_377
; %bb.378:
	scratch_load_b128 v[0:3], off, off offset:440
.LBB2102_379:
	s_wait_xcnt 0x0
	s_or_b32 exec_lo, exec_lo, s1
	v_bitop3_b16 v5, v5, 1, v4 bitop3:0xc8
	s_wait_loadcnt 0x0
	s_clause 0x1
	scratch_store_b128 off, v[0:3], off offset:180
	scratch_store_b8 off, v5, off offset:196
.LBB2102_380:
	s_wait_xcnt 0x0
	s_and_not1_saveexec_b32 s0, s0
	s_cbranch_execz .LBB2102_382
; %bb.381:
	scratch_load_u8 v5, off, off offset:196
.LBB2102_382:
	s_wait_xcnt 0x0
	s_or_b32 exec_lo, exec_lo, s0
	s_clause 0x1
	scratch_load_u8 v7, off, off offset:176
	scratch_load_b128 v[0:3], off, off offset:180
	s_mov_b32 s0, exec_lo
	s_wait_loadcnt 0x0
	s_clause 0x1
	scratch_store_b128 off, v[0:3], off offset:240
	scratch_store_b8 off, v5, off offset:256
                                        ; implicit-def: $vgpr2_vgpr3
	s_wait_xcnt 0x0
	v_cmpx_ne_u16_e32 0, v7
	s_xor_b32 s0, exec_lo, s0
	s_cbranch_execz .LBB2102_384
; %bb.383:
	scratch_load_b128 v[0:3], off, off offset:160
.LBB2102_384:
	s_wait_xcnt 0x0
	s_or_saveexec_b32 s0, s0
	v_lshl_add_u32 v4, v13, 4, 0x3f00
	s_xor_b32 exec_lo, exec_lo, s0
	s_cbranch_execz .LBB2102_390
; %bb.385:
	s_wait_loadcnt 0x0
	v_mov_b32_e32 v0, 0
	s_mov_b32 s1, 0
.LBB2102_386:                           ; =>This Inner Loop Header: Depth=1
	s_delay_alu instid0(SALU_CYCLE_1) | instskip(SKIP_1) | instid1(SALU_CYCLE_1)
	v_add_nc_u32_e32 v1, s1, v4
	s_add_co_i32 s1, s1, 8
	s_cmp_lg_u32 s1, 16
	ds_store_2addr_b32 v1, v0, v0 offset1:1
	s_cbranch_scc1 .LBB2102_386
; %bb.387:
	s_mov_b32 s1, 0
.LBB2102_388:                           ; =>This Inner Loop Header: Depth=1
	s_wait_xcnt 0x1
	s_add_co_i32 s2, s1, 0xb4
	s_wait_xcnt 0x0
	s_add_co_i32 s3, s1, 0xa0
	scratch_load_b64 v[0:1], off, s2
	scratch_load_b64 v[2:3], off, s3
	v_add_nc_u32_e32 v6, s1, v4
	s_add_co_i32 s1, s1, 8
                                        ; kill: killed $sgpr3
                                        ; kill: killed $sgpr2
	s_delay_alu instid0(SALU_CYCLE_1)
	s_cmp_lg_u32 s1, 16
	s_wait_loadcnt 0x0
	v_dual_add_nc_u32 v1, v3, v1 :: v_dual_add_nc_u32 v0, v2, v0
	ds_store_2addr_b32 v6, v0, v1 offset1:1
	s_cbranch_scc1 .LBB2102_388
; %bb.389:
	ds_load_2addr_b32 v[0:1], v4 offset1:1
	ds_load_2addr_b32 v[2:3], v4 offset0:2 offset1:3
.LBB2102_390:
	s_wait_xcnt 0x0
	s_or_b32 exec_lo, exec_lo, s0
	scratch_load_u8 v6, off, off offset:276
	scratch_load_b128 v[8:11], off, s23
	v_or_b32_e32 v14, v7, v5
	v_bitop3_b16 v5, v7, 1, v5 bitop3:0xc8
	s_wait_loadcnt_dscnt 0x200
	scratch_store_b128 off, v[0:3], off offset:180
	s_wait_loadcnt 0x0
	scratch_store_b128 off, v[8:11], off offset:160
	scratch_store_b128 off, v[0:3], s23
	scratch_store_b8 off, v5, off offset:276
	v_and_b32_e32 v14, 1, v14
	v_cmp_ne_u16_e64 s0, 0, v6
                                        ; implicit-def: $vgpr2_vgpr3
	s_delay_alu instid0(VALU_DEP_2) | instskip(SKIP_2) | instid1(SALU_CYCLE_1)
	v_cmp_eq_u32_e32 vcc_lo, 1, v14
	s_wait_xcnt 0x0
	s_and_saveexec_b32 s1, s0
	s_xor_b32 s0, exec_lo, s1
	s_cbranch_execz .LBB2102_392
; %bb.391:
	scratch_load_b128 v[0:3], off, off offset:160
.LBB2102_392:
	s_wait_xcnt 0x0
	s_and_not1_saveexec_b32 s0, s0
	s_cbranch_execz .LBB2102_398
; %bb.393:
	s_wait_loadcnt 0x0
	v_mov_b32_e32 v0, 0
	s_mov_b32 s1, 0
.LBB2102_394:                           ; =>This Inner Loop Header: Depth=1
	s_delay_alu instid0(SALU_CYCLE_1) | instskip(SKIP_1) | instid1(SALU_CYCLE_1)
	v_add_nc_u32_e32 v1, s1, v4
	s_add_co_i32 s1, s1, 8
	s_cmp_lg_u32 s1, 16
	ds_store_2addr_b32 v1, v0, v0 offset1:1
	s_cbranch_scc1 .LBB2102_394
; %bb.395:
	s_mov_b32 s1, 0
.LBB2102_396:                           ; =>This Inner Loop Header: Depth=1
	s_wait_xcnt 0x1
	s_add_co_i32 s2, s1, 0xb4
	s_wait_xcnt 0x0
	s_add_co_i32 s3, s1, 0xa0
	scratch_load_b64 v[0:1], off, s2
	scratch_load_b64 v[2:3], off, s3
	v_add_nc_u32_e32 v5, s1, v4
	s_add_co_i32 s1, s1, 8
                                        ; kill: killed $sgpr3
                                        ; kill: killed $sgpr2
	s_delay_alu instid0(SALU_CYCLE_1)
	s_cmp_lg_u32 s1, 16
	s_wait_loadcnt 0x0
	v_dual_add_nc_u32 v1, v3, v1 :: v_dual_add_nc_u32 v0, v2, v0
	ds_store_2addr_b32 v5, v0, v1 offset1:1
	s_cbranch_scc1 .LBB2102_396
; %bb.397:
	ds_load_2addr_b32 v[0:1], v4 offset1:1
	ds_load_2addr_b32 v[2:3], v4 offset0:2 offset1:3
.LBB2102_398:
	s_wait_xcnt 0x0
	s_or_b32 exec_lo, exec_lo, s0
	scratch_load_u8 v5, off, off offset:296
	scratch_load_b128 v[8:11], off, s33
	v_and_b32_e32 v6, 1, v6
	s_mov_b32 s1, exec_lo
	s_delay_alu instid0(VALU_DEP_1) | instskip(SKIP_1) | instid1(SALU_CYCLE_1)
	v_cmp_eq_u32_e64 s0, 1, v6
	s_or_b32 s0, s0, vcc_lo
	v_cndmask_b32_e64 v6, 0, 1, s0
	s_wait_loadcnt_dscnt 0x200
	scratch_store_b128 off, v[0:3], off offset:180
	s_wait_loadcnt 0x0
	scratch_store_b128 off, v[8:11], off offset:160
	scratch_store_b128 off, v[0:3], s33
	scratch_store_b8 off, v6, off offset:296
                                        ; implicit-def: $vgpr2_vgpr3
	s_wait_xcnt 0x0
	v_cmpx_ne_u16_e32 0, v5
	s_xor_b32 s1, exec_lo, s1
	s_cbranch_execz .LBB2102_400
; %bb.399:
	scratch_load_b128 v[0:3], off, off offset:160
.LBB2102_400:
	s_wait_xcnt 0x0
	s_and_not1_saveexec_b32 s1, s1
	s_cbranch_execz .LBB2102_406
; %bb.401:
	s_wait_loadcnt 0x0
	v_mov_b32_e32 v0, 0
	s_mov_b32 s2, 0
.LBB2102_402:                           ; =>This Inner Loop Header: Depth=1
	s_delay_alu instid0(SALU_CYCLE_1) | instskip(SKIP_1) | instid1(SALU_CYCLE_1)
	v_add_nc_u32_e32 v1, s2, v4
	s_add_co_i32 s2, s2, 8
	s_cmp_lg_u32 s2, 16
	ds_store_2addr_b32 v1, v0, v0 offset1:1
	s_cbranch_scc1 .LBB2102_402
; %bb.403:
	s_mov_b32 s2, 0
.LBB2102_404:                           ; =>This Inner Loop Header: Depth=1
	s_wait_xcnt 0x1
	s_add_co_i32 s3, s2, 0xb4
	s_wait_xcnt 0x0
	s_add_co_i32 s6, s2, 0xa0
	scratch_load_b64 v[0:1], off, s3
	scratch_load_b64 v[2:3], off, s6
	v_add_nc_u32_e32 v6, s2, v4
	s_add_co_i32 s2, s2, 8
                                        ; kill: killed $sgpr6
                                        ; kill: killed $sgpr3
	s_delay_alu instid0(SALU_CYCLE_1)
	s_cmp_lg_u32 s2, 16
	s_wait_loadcnt 0x0
	v_dual_add_nc_u32 v1, v3, v1 :: v_dual_add_nc_u32 v0, v2, v0
	ds_store_2addr_b32 v6, v0, v1 offset1:1
	s_cbranch_scc1 .LBB2102_404
; %bb.405:
	ds_load_2addr_b32 v[0:1], v4 offset1:1
	ds_load_2addr_b32 v[2:3], v4 offset0:2 offset1:3
.LBB2102_406:
	s_wait_xcnt 0x0
	s_or_b32 exec_lo, exec_lo, s1
	scratch_load_u8 v6, off, off offset:316
	scratch_load_b128 v[8:11], off, s44
	v_and_b32_e32 v5, 1, v5
	s_mov_b32 s1, exec_lo
	s_delay_alu instid0(VALU_DEP_1) | instskip(SKIP_1) | instid1(SALU_CYCLE_1)
	v_cmp_eq_u32_e32 vcc_lo, 1, v5
	s_or_b32 s0, vcc_lo, s0
	v_cndmask_b32_e64 v5, 0, 1, s0
	s_wait_loadcnt_dscnt 0x200
	scratch_store_b128 off, v[0:3], off offset:180
	s_wait_loadcnt 0x0
	scratch_store_b128 off, v[8:11], off offset:160
	scratch_store_b128 off, v[0:3], s44
	scratch_store_b8 off, v5, off offset:316
                                        ; implicit-def: $vgpr2_vgpr3
	s_wait_xcnt 0x0
	v_cmpx_ne_u16_e32 0, v6
	s_xor_b32 s1, exec_lo, s1
	s_cbranch_execz .LBB2102_408
; %bb.407:
	scratch_load_b128 v[0:3], off, off offset:160
.LBB2102_408:
	s_wait_xcnt 0x0
	s_and_not1_saveexec_b32 s1, s1
	s_cbranch_execz .LBB2102_414
; %bb.409:
	s_wait_loadcnt 0x0
	v_mov_b32_e32 v0, 0
	s_mov_b32 s2, 0
.LBB2102_410:                           ; =>This Inner Loop Header: Depth=1
	s_delay_alu instid0(SALU_CYCLE_1) | instskip(SKIP_1) | instid1(SALU_CYCLE_1)
	v_add_nc_u32_e32 v1, s2, v4
	s_add_co_i32 s2, s2, 8
	s_cmp_lg_u32 s2, 16
	ds_store_2addr_b32 v1, v0, v0 offset1:1
	s_cbranch_scc1 .LBB2102_410
; %bb.411:
	s_mov_b32 s2, 0
.LBB2102_412:                           ; =>This Inner Loop Header: Depth=1
	s_wait_xcnt 0x1
	s_add_co_i32 s3, s2, 0xb4
	s_wait_xcnt 0x0
	s_add_co_i32 s6, s2, 0xa0
	scratch_load_b64 v[0:1], off, s3
	scratch_load_b64 v[2:3], off, s6
	v_add_nc_u32_e32 v5, s2, v4
	s_add_co_i32 s2, s2, 8
                                        ; kill: killed $sgpr6
                                        ; kill: killed $sgpr3
	s_delay_alu instid0(SALU_CYCLE_1)
	s_cmp_lg_u32 s2, 16
	s_wait_loadcnt 0x0
	v_dual_add_nc_u32 v1, v3, v1 :: v_dual_add_nc_u32 v0, v2, v0
	ds_store_2addr_b32 v5, v0, v1 offset1:1
	s_cbranch_scc1 .LBB2102_412
; %bb.413:
	ds_load_2addr_b32 v[0:1], v4 offset1:1
	ds_load_2addr_b32 v[2:3], v4 offset0:2 offset1:3
.LBB2102_414:
	s_wait_xcnt 0x0
	s_or_b32 exec_lo, exec_lo, s1
	scratch_load_u8 v5, off, off offset:336
	scratch_load_b128 v[8:11], off, s45
	v_and_b32_e32 v6, 1, v6
	s_mov_b32 s1, exec_lo
	s_delay_alu instid0(VALU_DEP_1) | instskip(SKIP_1) | instid1(SALU_CYCLE_1)
	v_cmp_eq_u32_e32 vcc_lo, 1, v6
	s_or_b32 s0, vcc_lo, s0
	;; [unrolled: 61-line block ×5, first 2 shown]
	v_cndmask_b32_e64 v5, 0, 1, s0
	s_wait_loadcnt_dscnt 0x200
	scratch_store_b128 off, v[0:3], off offset:180
	s_wait_loadcnt 0x0
	scratch_store_b128 off, v[8:11], off offset:160
	scratch_store_b128 off, v[0:3], s48
	scratch_store_b8 off, v5, off offset:396
                                        ; implicit-def: $vgpr2_vgpr3
	s_wait_xcnt 0x0
	v_cmpx_ne_u16_e32 0, v6
	s_xor_b32 s1, exec_lo, s1
	s_cbranch_execz .LBB2102_440
; %bb.439:
	scratch_load_b128 v[0:3], off, off offset:160
.LBB2102_440:
	s_wait_xcnt 0x0
	s_and_not1_saveexec_b32 s1, s1
	s_cbranch_execz .LBB2102_446
; %bb.441:
	s_wait_loadcnt 0x0
	v_mov_b32_e32 v0, 0
	s_mov_b32 s2, 0
.LBB2102_442:                           ; =>This Inner Loop Header: Depth=1
	s_delay_alu instid0(SALU_CYCLE_1) | instskip(SKIP_1) | instid1(SALU_CYCLE_1)
	v_add_nc_u32_e32 v1, s2, v4
	s_add_co_i32 s2, s2, 8
	s_cmp_lg_u32 s2, 16
	ds_store_2addr_b32 v1, v0, v0 offset1:1
	s_cbranch_scc1 .LBB2102_442
; %bb.443:
	s_mov_b32 s2, 0
.LBB2102_444:                           ; =>This Inner Loop Header: Depth=1
	s_wait_xcnt 0x1
	s_add_co_i32 s3, s2, 0xb4
	s_wait_xcnt 0x0
	s_add_co_i32 s6, s2, 0xa0
	scratch_load_b64 v[0:1], off, s3
	scratch_load_b64 v[2:3], off, s6
	v_add_nc_u32_e32 v5, s2, v4
	s_add_co_i32 s2, s2, 8
                                        ; kill: killed $sgpr3
                                        ; kill: killed $sgpr6
	s_delay_alu instid0(SALU_CYCLE_1)
	s_cmp_lg_u32 s2, 16
	s_wait_loadcnt 0x0
	v_dual_add_nc_u32 v1, v3, v1 :: v_dual_add_nc_u32 v0, v2, v0
	ds_store_2addr_b32 v5, v0, v1 offset1:1
	s_cbranch_scc1 .LBB2102_444
; %bb.445:
	ds_load_2addr_b32 v[0:1], v4 offset1:1
	ds_load_2addr_b32 v[2:3], v4 offset0:2 offset1:3
.LBB2102_446:
	s_wait_xcnt 0x0
	s_or_b32 exec_lo, exec_lo, s1
	scratch_load_u8 v5, off, off offset:416
	scratch_load_b128 v[8:11], off, s49
	v_and_b32_e32 v6, 1, v6
	s_mov_b32 s1, exec_lo
	s_delay_alu instid0(VALU_DEP_1) | instskip(SKIP_1) | instid1(SALU_CYCLE_1)
	v_cmp_eq_u32_e32 vcc_lo, 1, v6
	s_or_b32 s0, vcc_lo, s0
	v_cndmask_b32_e64 v6, 0, 1, s0
	s_wait_loadcnt_dscnt 0x200
	scratch_store_b128 off, v[0:3], off offset:180
	s_wait_loadcnt 0x0
	scratch_store_b128 off, v[8:11], off offset:160
	scratch_store_b128 off, v[0:3], s49
	scratch_store_b8 off, v6, off offset:416
                                        ; implicit-def: $vgpr2_vgpr3
	s_wait_xcnt 0x0
	v_cmpx_ne_u16_e32 0, v5
	s_xor_b32 s1, exec_lo, s1
	s_cbranch_execz .LBB2102_448
; %bb.447:
	scratch_load_b128 v[0:3], off, off offset:160
                                        ; implicit-def: $vgpr4
.LBB2102_448:
	s_wait_xcnt 0x0
	s_and_not1_saveexec_b32 s1, s1
	s_cbranch_execz .LBB2102_454
; %bb.449:
	s_wait_loadcnt 0x0
	v_mov_b32_e32 v0, 0
	s_mov_b32 s2, 0
.LBB2102_450:                           ; =>This Inner Loop Header: Depth=1
	s_delay_alu instid0(SALU_CYCLE_1) | instskip(SKIP_1) | instid1(SALU_CYCLE_1)
	v_add_nc_u32_e32 v1, s2, v4
	s_add_co_i32 s2, s2, 8
	s_cmp_lg_u32 s2, 16
	ds_store_2addr_b32 v1, v0, v0 offset1:1
	s_cbranch_scc1 .LBB2102_450
; %bb.451:
	s_mov_b32 s2, 0
.LBB2102_452:                           ; =>This Inner Loop Header: Depth=1
	s_wait_xcnt 0x1
	s_add_co_i32 s3, s2, 0xb4
	s_wait_xcnt 0x0
	s_add_co_i32 s6, s2, 0xa0
	scratch_load_b64 v[0:1], off, s3
	scratch_load_b64 v[2:3], off, s6
	v_add_nc_u32_e32 v6, s2, v4
	s_add_co_i32 s2, s2, 8
                                        ; kill: killed $sgpr3
                                        ; kill: killed $sgpr6
	s_delay_alu instid0(SALU_CYCLE_1)
	s_cmp_lg_u32 s2, 16
	s_wait_loadcnt 0x0
	v_dual_add_nc_u32 v1, v3, v1 :: v_dual_add_nc_u32 v0, v2, v0
	ds_store_2addr_b32 v6, v0, v1 offset1:1
	s_cbranch_scc1 .LBB2102_452
; %bb.453:
	ds_load_2addr_b32 v[0:1], v4 offset1:1
	ds_load_2addr_b32 v[2:3], v4 offset0:2 offset1:3
.LBB2102_454:
	s_wait_xcnt 0x0
	s_or_b32 exec_lo, exec_lo, s1
	v_and_b32_e32 v4, 1, v5
	s_delay_alu instid0(VALU_DEP_1) | instskip(SKIP_1) | instid1(SALU_CYCLE_1)
	v_cmp_eq_u32_e32 vcc_lo, 1, v4
	s_or_b32 s0, vcc_lo, s0
	v_cndmask_b32_e64 v4, 0, 1, s0
	s_wait_loadcnt_dscnt 0x0
	scratch_store_b128 off, v[0:3], s50
	scratch_store_b8 off, v4, off offset:436
	s_branch .LBB2102_688
.LBB2102_455:
	s_cmp_eq_u64 s[36:37], 0
	s_wait_xcnt 0x1
	v_mov_b64_e32 v[0:1], s[28:29]
	s_cselect_b32 s0, -1, 0
	s_cmp_eq_u64 s[26:27], 0
	v_mov_b64_e32 v[2:3], s[30:31]
	s_cselect_b32 s1, -1, 0
	s_delay_alu instid0(SALU_CYCLE_1) | instskip(NEXT) | instid1(SALU_CYCLE_1)
	s_or_b32 s0, s0, s1
	s_and_b32 vcc_lo, exec_lo, s0
	s_cbranch_vccnz .LBB2102_457
; %bb.456:
	v_mov_b32_e32 v0, 0
	global_load_b128 v[0:3], v0, s[26:27]
.LBB2102_457:
	v_mov_b32_e32 v6, 0
	s_wait_xcnt 0x0
	v_mov_b64_e32 v[4:5], 0
	s_mov_b32 s0, 0
	s_delay_alu instid0(VALU_DEP_2)
	v_dual_mov_b32 v7, v6 :: v_dual_mov_b32 v8, v6
	v_mov_b32_e32 v9, v6
	s_clause 0x1
	scratch_store_b32 off, v6, off offset:456
	scratch_store_b128 off, v[6:9], off offset:440
.LBB2102_458:                           ; =>This Inner Loop Header: Depth=1
	s_wait_xcnt 0x0
	s_add_co_i32 s1, s0, 0x1b8
	s_add_co_i32 s0, s0, 8
	scratch_store_b64 off, v[4:5], s1
	s_cmp_lg_u32 s0, 16
	s_cbranch_scc1 .LBB2102_458
; %bb.459:
	s_clause 0x2
	scratch_load_u8 v9, off, off offset:276
	scratch_load_b128 v[4:7], off, off offset:240
	scratch_load_b32 v8, off, off offset:256
	v_mov_b32_e32 v10, 0
	s_mov_b32 s0, exec_lo
	scratch_store_b8 off, v10, off offset:456
	s_wait_loadcnt 0x3
	s_clause 0x1
	scratch_store_b128 off, v[0:3], off offset:200
	scratch_store_b8 off, v10, off offset:216
	s_wait_loadcnt 0x1
	scratch_store_b128 off, v[4:7], off offset:180
	s_wait_loadcnt 0x0
	scratch_store_b32 off, v8, off offset:196
                                        ; implicit-def: $vgpr6_vgpr7
	s_wait_xcnt 0x0
	v_cmpx_ne_u16_e32 0, v9
	s_xor_b32 s0, exec_lo, s0
	s_cbranch_execz .LBB2102_461
; %bb.460:
	scratch_load_b128 v[4:7], off, off offset:260
.LBB2102_461:
	s_wait_xcnt 0x0
	s_or_saveexec_b32 s0, s0
	v_lshl_add_u32 v10, v13, 4, 0x4300
	s_xor_b32 exec_lo, exec_lo, s0
	s_cbranch_execz .LBB2102_467
; %bb.462:
	s_wait_loadcnt 0x0
	v_mov_b32_e32 v4, 0
	s_mov_b32 s1, 0
.LBB2102_463:                           ; =>This Inner Loop Header: Depth=1
	s_delay_alu instid0(SALU_CYCLE_1) | instskip(SKIP_1) | instid1(SALU_CYCLE_1)
	v_add_nc_u32_e32 v5, s1, v10
	s_add_co_i32 s1, s1, 8
	s_cmp_lg_u32 s1, 16
	ds_store_2addr_b32 v5, v4, v4 offset1:1
	s_cbranch_scc1 .LBB2102_463
; %bb.464:
	s_mov_b32 s1, 0
.LBB2102_465:                           ; =>This Inner Loop Header: Depth=1
	s_wait_xcnt 0x1
	s_add_co_i32 s2, s1, 0xb4
	s_wait_xcnt 0x0
	s_add_co_i32 s3, s23, s1
	scratch_load_b64 v[4:5], off, s2
	scratch_load_b64 v[6:7], off, s3
	v_add_nc_u32_e32 v11, s1, v10
	s_add_co_i32 s1, s1, 8
	s_delay_alu instid0(SALU_CYCLE_1)
	s_cmp_lg_u32 s1, 16
	s_wait_loadcnt 0x0
	v_dual_add_nc_u32 v5, v7, v5 :: v_dual_add_nc_u32 v4, v6, v4
	ds_store_2addr_b32 v11, v4, v5 offset1:1
	s_cbranch_scc1 .LBB2102_465
; %bb.466:
	ds_load_2addr_b32 v[4:5], v10 offset1:1
	ds_load_2addr_b32 v[6:7], v10 offset0:2 offset1:3
.LBB2102_467:
	s_wait_xcnt 0x0
	s_or_b32 exec_lo, exec_lo, s0
	scratch_load_u8 v11, off, off offset:296
	s_mov_b32 s0, exec_lo
	s_wait_loadcnt_dscnt 0x100
	scratch_store_b128 off, v[4:7], off offset:180
                                        ; implicit-def: $vgpr6_vgpr7
	s_wait_loadcnt 0x0
	v_cmpx_ne_u16_e32 0, v11
	s_xor_b32 s0, exec_lo, s0
	s_cbranch_execz .LBB2102_469
; %bb.468:
	scratch_load_b128 v[4:7], off, off offset:280
.LBB2102_469:
	s_wait_xcnt 0x0
	s_and_not1_saveexec_b32 s0, s0
	s_cbranch_execz .LBB2102_475
; %bb.470:
	s_wait_loadcnt 0x0
	v_mov_b32_e32 v4, 0
	s_mov_b32 s1, 0
.LBB2102_471:                           ; =>This Inner Loop Header: Depth=1
	s_delay_alu instid0(SALU_CYCLE_1) | instskip(SKIP_1) | instid1(SALU_CYCLE_1)
	v_add_nc_u32_e32 v5, s1, v10
	s_add_co_i32 s1, s1, 8
	s_cmp_lg_u32 s1, 16
	ds_store_2addr_b32 v5, v4, v4 offset1:1
	s_cbranch_scc1 .LBB2102_471
; %bb.472:
	s_mov_b32 s1, 0
.LBB2102_473:                           ; =>This Inner Loop Header: Depth=1
	s_wait_xcnt 0x1
	s_add_co_i32 s2, s1, 0xb4
	s_wait_xcnt 0x0
	s_add_co_i32 s3, s33, s1
	scratch_load_b64 v[4:5], off, s2
	scratch_load_b64 v[6:7], off, s3
	v_add_nc_u32_e32 v14, s1, v10
	s_add_co_i32 s1, s1, 8
	s_delay_alu instid0(SALU_CYCLE_1)
	s_cmp_lg_u32 s1, 16
	s_wait_loadcnt 0x0
	v_dual_add_nc_u32 v5, v7, v5 :: v_dual_add_nc_u32 v4, v6, v4
	ds_store_2addr_b32 v14, v4, v5 offset1:1
	s_cbranch_scc1 .LBB2102_473
; %bb.474:
	ds_load_2addr_b32 v[4:5], v10 offset1:1
	ds_load_2addr_b32 v[6:7], v10 offset0:2 offset1:3
.LBB2102_475:
	s_wait_xcnt 0x0
	s_or_b32 exec_lo, exec_lo, s0
	scratch_load_u8 v14, off, off offset:316
	s_mov_b32 s0, exec_lo
	s_wait_loadcnt_dscnt 0x100
	scratch_store_b128 off, v[4:7], off offset:180
                                        ; implicit-def: $vgpr6_vgpr7
	s_wait_loadcnt 0x0
	v_cmpx_ne_u16_e32 0, v14
	s_xor_b32 s0, exec_lo, s0
	s_cbranch_execz .LBB2102_477
; %bb.476:
	scratch_load_b128 v[4:7], off, off offset:300
.LBB2102_477:
	s_wait_xcnt 0x0
	s_and_not1_saveexec_b32 s0, s0
	;; [unrolled: 49-line block ×7, first 2 shown]
	s_cbranch_execz .LBB2102_523
; %bb.518:
	s_wait_loadcnt 0x0
	v_mov_b32_e32 v4, 0
	s_mov_b32 s1, 0
.LBB2102_519:                           ; =>This Inner Loop Header: Depth=1
	s_delay_alu instid0(SALU_CYCLE_1) | instskip(SKIP_1) | instid1(SALU_CYCLE_1)
	v_add_nc_u32_e32 v5, s1, v10
	s_add_co_i32 s1, s1, 8
	s_cmp_lg_u32 s1, 16
	ds_store_2addr_b32 v5, v4, v4 offset1:1
	s_cbranch_scc1 .LBB2102_519
; %bb.520:
	s_mov_b32 s1, 0
.LBB2102_521:                           ; =>This Inner Loop Header: Depth=1
	s_wait_xcnt 0x1
	s_add_co_i32 s2, s1, 0xb4
	s_wait_xcnt 0x0
	s_add_co_i32 s3, s49, s1
	scratch_load_b64 v[4:5], off, s2
	scratch_load_b64 v[6:7], off, s3
	v_add_nc_u32_e32 v20, s1, v10
	s_add_co_i32 s1, s1, 8
	s_delay_alu instid0(SALU_CYCLE_1)
	s_cmp_lg_u32 s1, 16
	s_wait_loadcnt 0x0
	v_dual_add_nc_u32 v5, v7, v5 :: v_dual_add_nc_u32 v4, v6, v4
	ds_store_2addr_b32 v20, v4, v5 offset1:1
	s_cbranch_scc1 .LBB2102_521
; %bb.522:
	ds_load_2addr_b32 v[4:5], v10 offset1:1
	ds_load_2addr_b32 v[6:7], v10 offset0:2 offset1:3
.LBB2102_523:
	s_wait_xcnt 0x0
	s_or_b32 exec_lo, exec_lo, s0
	scratch_load_u8 v20, off, off offset:436
	s_mov_b32 s0, exec_lo
	s_wait_loadcnt_dscnt 0x100
	scratch_store_b128 off, v[4:7], off offset:180
                                        ; implicit-def: $vgpr6_vgpr7
	s_wait_loadcnt 0x0
	v_cmpx_ne_u16_e32 0, v20
	s_xor_b32 s0, exec_lo, s0
	s_cbranch_execz .LBB2102_525
; %bb.524:
	scratch_load_b128 v[4:7], off, off offset:420
                                        ; implicit-def: $vgpr10
.LBB2102_525:
	s_wait_xcnt 0x0
	s_and_not1_saveexec_b32 s0, s0
	s_cbranch_execz .LBB2102_531
; %bb.526:
	s_wait_loadcnt 0x0
	v_mov_b32_e32 v4, 0
	s_mov_b32 s1, 0
.LBB2102_527:                           ; =>This Inner Loop Header: Depth=1
	s_delay_alu instid0(SALU_CYCLE_1) | instskip(SKIP_1) | instid1(SALU_CYCLE_1)
	v_add_nc_u32_e32 v5, s1, v10
	s_add_co_i32 s1, s1, 8
	s_cmp_lg_u32 s1, 16
	ds_store_2addr_b32 v5, v4, v4 offset1:1
	s_cbranch_scc1 .LBB2102_527
; %bb.528:
	s_mov_b32 s1, 0
.LBB2102_529:                           ; =>This Inner Loop Header: Depth=1
	s_wait_xcnt 0x1
	s_add_co_i32 s2, s1, 0xb4
	s_wait_xcnt 0x0
	s_add_co_i32 s3, s50, s1
	scratch_load_b64 v[4:5], off, s2
	scratch_load_b64 v[6:7], off, s3
	v_add_nc_u32_e32 v21, s1, v10
	s_add_co_i32 s1, s1, 8
	s_delay_alu instid0(SALU_CYCLE_1)
	s_cmp_lg_u32 s1, 16
	s_wait_loadcnt 0x0
	v_dual_add_nc_u32 v5, v7, v5 :: v_dual_add_nc_u32 v4, v6, v4
	ds_store_2addr_b32 v21, v4, v5 offset1:1
	s_cbranch_scc1 .LBB2102_529
; %bb.530:
	ds_load_2addr_b32 v[4:5], v10 offset1:1
	ds_load_2addr_b32 v[6:7], v10 offset0:2 offset1:3
.LBB2102_531:
	s_wait_xcnt 0x0
	s_or_b32 exec_lo, exec_lo, s0
	v_or_b32_e32 v10, v19, v18
	v_or_b32_e32 v15, v16, v15
	v_and_b32_e32 v16, 1, v17
	v_or_b32_e32 v9, v11, v9
	v_and_b32_e32 v11, 1, v14
	v_cmp_ne_u16_e32 vcc_lo, 0, v10
	v_and_b32_e32 v10, 1, v20
	v_cmp_eq_u32_e64 s1, 1, v16
	v_cmp_ne_u16_e64 s2, 0, v9
	v_cmp_eq_u32_e64 s3, 1, v11
	v_and_b32_e32 v8, 1, v8
	v_cmp_eq_u32_e64 s6, 1, v10
	v_mov_b32_e32 v10, 0
	v_cmp_ne_u16_e64 s0, 0, v15
	v_mul_u32_u24_e32 v9, 20, v12
	s_or_b32 s0, s0, s1
	s_or_b32 s1, s2, s3
	s_or_b32 s2, vcc_lo, s6
	v_cmp_eq_u32_e32 vcc_lo, 1, v8
	s_or_b32 s0, s2, s0
	v_lshrrev_b32_e32 v8, 5, v12
	s_or_b32 s0, s0, s1
	s_delay_alu instid0(SALU_CYCLE_1) | instskip(NEXT) | instid1(SALU_CYCLE_1)
	s_or_b32 s0, s0, vcc_lo
	v_cndmask_b32_e64 v18, 0, 1, s0
	s_delay_alu instid0(VALU_DEP_2)
	v_mad_u32_u24 v8, v8, 20, v9
	s_wait_loadcnt_dscnt 0x0
	s_clause 0x3
	scratch_store_b128 off, v[4:7], off offset:180
	scratch_store_b8 off, v18, off offset:196
	scratch_store_b128 off, v[0:3], off offset:160
	scratch_store_b8 off, v10, off offset:176
	ds_store_2addr_b32 v8, v4, v5 offset1:1
	ds_store_2addr_b32 v8, v6, v7 offset0:2 offset1:3
	ds_store_b8 v8, v18 offset:16
	s_wait_storecnt_dscnt 0x0
	s_barrier_signal -1
	s_barrier_wait -1
	s_mov_b32 s0, exec_lo
	s_wait_xcnt 0x0
	v_cmpx_gt_u32_e32 32, v12
	s_xor_b32 s1, exec_lo, s0
	s_cbranch_execz .LBB2102_599
; %bb.532:
	v_lshrrev_b32_e32 v16, 4, v12
	v_mul_u32_u24_e32 v17, 40, v12
	v_mul_lo_u32 v21, v13, 20
	s_mov_b32 s0, exec_lo
	s_delay_alu instid0(VALU_DEP_2)
	v_mad_u32_u24 v14, v16, 20, v17
	ds_load_u8 v19, v14 offset:36
	ds_load_b32 v20, v14 offset:16
	ds_load_2addr_b32 v[8:9], v14 offset1:1
	ds_load_2addr_b32 v[10:11], v14 offset0:2 offset1:3
	v_add_nc_u32_e32 v15, 0x4700, v21
	v_add_nc_u32_e32 v22, 0x4708, v21
	s_wait_dscnt 0x1
	ds_store_2addr_b32 v15, v8, v9 offset1:1
	s_wait_dscnt 0x1
	ds_store_2addr_b32 v22, v10, v11 offset1:1
	ds_store_b32 v21, v20 offset:18192
                                        ; implicit-def: $vgpr8_vgpr9
	v_cmpx_ne_u16_e32 0, v19
	s_xor_b32 s0, exec_lo, s0
	s_cbranch_execz .LBB2102_534
; %bb.533:
	ds_load_2addr_b32 v[8:9], v14 offset0:5 offset1:6
	ds_load_2addr_b32 v[10:11], v14 offset0:7 offset1:8
.LBB2102_534:
	s_and_not1_saveexec_b32 s0, s0
	s_cbranch_execz .LBB2102_540
; %bb.535:
	s_wait_dscnt 0x1
	v_mov_b64_e32 v[8:9], 0
	s_mov_b32 s2, 0
.LBB2102_536:                           ; =>This Inner Loop Header: Depth=1
	s_wait_xcnt 0x0
	s_mov_b32 s3, s2
	s_add_co_i32 s2, s2, 8
	scratch_store_b64 off, v[8:9], s3
	s_cmp_lg_u32 s2, 16
	s_cbranch_scc1 .LBB2102_536
; %bb.537:
	s_wait_xcnt 0x0
	v_mul_u32_u24_e32 v8, 20, v16
	s_mov_b32 s2, 0
	s_delay_alu instid0(VALU_DEP_1)
	v_add3_u32 v8, v17, v8, 20
.LBB2102_538:                           ; =>This Inner Loop Header: Depth=1
	s_delay_alu instid0(VALU_DEP_1)
	v_dual_add_nc_u32 v9, s2, v15 :: v_dual_add_nc_u32 v21, s2, v8
	s_wait_xcnt 0x0
	s_mov_b32 s3, s2
	s_add_co_i32 s2, s2, 8
	s_wait_dscnt 0x0
	ds_load_2addr_b32 v[10:11], v9 offset1:1
	ds_load_2addr_b32 v[22:23], v21 offset1:1
	s_cmp_lg_u32 s2, 16
	s_wait_dscnt 0x0
	v_dual_add_nc_u32 v11, v23, v11 :: v_dual_add_nc_u32 v10, v22, v10
	scratch_store_b64 off, v[10:11], s3
	s_cbranch_scc1 .LBB2102_538
; %bb.539:
	scratch_load_b128 v[8:11], off, off
.LBB2102_540:
	s_wait_xcnt 0x0
	s_or_b32 exec_lo, exec_lo, s0
	v_bitop3_b16 v19, v19, 1, v20 bitop3:0xc8
	s_wait_loadcnt_dscnt 0x1
	v_mov_b32_dpp v24, v8 row_shr:1 row_mask:0xf bank_mask:0xf
	v_mov_b32_dpp v25, v9 row_shr:1 row_mask:0xf bank_mask:0xf
	s_wait_dscnt 0x0
	v_mov_b32_dpp v26, v10 row_shr:1 row_mask:0xf bank_mask:0xf
	v_mov_b32_dpp v27, v11 row_shr:1 row_mask:0xf bank_mask:0xf
	ds_store_b8 v15, v19 offset:16
	ds_load_b32 v20, v15 offset:16
	v_mbcnt_lo_u32_b32 v19, -1, 0
	s_mov_b32 s0, exec_lo
	ds_store_2addr_b32 v15, v8, v9 offset1:1
	ds_store_2addr_b32 v15, v10, v11 offset0:2 offset1:3
	v_and_b32_e32 v21, 15, v19
	s_wait_dscnt 0x2
	v_mov_b32_dpp v22, v20 row_shr:1 row_mask:0xf bank_mask:0xf
	s_clause 0x1
	scratch_store_b128 off, v[24:27], off
	scratch_store_b32 off, v22, off offset:16
	s_wait_xcnt 0x0
	v_cmpx_ne_u32_e32 0, v21
	s_xor_b32 s0, exec_lo, s0
	s_cbranch_execz .LBB2102_548
; %bb.541:
	v_and_b32_e32 v23, 0xff, v20
	s_mov_b32 s2, exec_lo
	s_delay_alu instid0(VALU_DEP_1)
	v_cmpx_eq_u16_e32 0, v23
	s_cbranch_execz .LBB2102_547
; %bb.542:
	v_mov_b64_e32 v[8:9], 0
	s_mov_b32 s3, 0
.LBB2102_543:                           ; =>This Inner Loop Header: Depth=1
	s_wait_xcnt 0x0
	s_add_co_i32 s6, s3, 0xdc
	s_add_co_i32 s3, s3, 8
	scratch_store_b64 off, v[8:9], s6
	s_cmp_lg_u32 s3, 16
	s_cbranch_scc1 .LBB2102_543
; %bb.544:
	s_mov_b32 s3, 0
.LBB2102_545:                           ; =>This Inner Loop Header: Depth=1
	scratch_load_b64 v[8:9], off, s3
	v_add_nc_u32_e32 v10, s3, v15
	s_add_co_i32 s6, s3, 0xdc
	s_wait_xcnt 0x0
	s_add_co_i32 s3, s3, 8
	s_delay_alu instid0(SALU_CYCLE_1)
	s_cmp_lg_u32 s3, 16
	ds_load_2addr_b32 v[10:11], v10 offset1:1
	s_wait_loadcnt_dscnt 0x0
	v_dual_add_nc_u32 v9, v11, v9 :: v_dual_add_nc_u32 v8, v10, v8
	scratch_store_b64 off, v[8:9], s6
	s_cbranch_scc1 .LBB2102_545
; %bb.546:
	scratch_load_b128 v[8:11], off, off offset:220
.LBB2102_547:
	s_wait_xcnt 0x0
	s_or_b32 exec_lo, exec_lo, s2
	v_or_b32_e32 v20, v22, v20
	s_delay_alu instid0(VALU_DEP_1)
	v_and_b32_e32 v20, 1, v20
	ds_store_b8 v15, v20 offset:16
	ds_load_b32 v20, v15 offset:16
	s_wait_loadcnt 0x0
	ds_store_2addr_b32 v15, v8, v9 offset1:1
	ds_store_2addr_b32 v15, v10, v11 offset0:2 offset1:3
.LBB2102_548:
	s_or_b32 exec_lo, exec_lo, s0
	v_mov_b32_dpp v24, v8 row_shr:2 row_mask:0xf bank_mask:0xf
	v_mov_b32_dpp v25, v9 row_shr:2 row_mask:0xf bank_mask:0xf
	v_mov_b32_dpp v26, v10 row_shr:2 row_mask:0xf bank_mask:0xf
	v_mov_b32_dpp v27, v11 row_shr:2 row_mask:0xf bank_mask:0xf
	s_wait_dscnt 0x2
	v_mov_b32_dpp v22, v20 row_shr:2 row_mask:0xf bank_mask:0xf
	s_mov_b32 s2, exec_lo
	s_clause 0x1
	scratch_store_b128 off, v[24:27], off
	scratch_store_b32 off, v22, off offset:16
	s_wait_xcnt 0x0
	v_cmpx_lt_u32_e32 1, v21
	s_cbranch_execz .LBB2102_556
; %bb.549:
	v_and_b32_e32 v23, 0xff, v20
	s_mov_b32 s3, 0
	s_mov_b32 s0, exec_lo
	s_delay_alu instid0(VALU_DEP_1)
	v_cmpx_eq_u16_e32 0, v23
	s_cbranch_execz .LBB2102_555
; %bb.550:
	v_mov_b64_e32 v[8:9], 0
.LBB2102_551:                           ; =>This Inner Loop Header: Depth=1
	s_wait_xcnt 0x0
	s_add_co_i32 s6, s3, 0xdc
	s_add_co_i32 s3, s3, 8
	scratch_store_b64 off, v[8:9], s6
	s_cmp_lg_u32 s3, 16
	s_cbranch_scc1 .LBB2102_551
; %bb.552:
	s_mov_b32 s3, 0
.LBB2102_553:                           ; =>This Inner Loop Header: Depth=1
	scratch_load_b64 v[8:9], off, s3
	v_add_nc_u32_e32 v10, s3, v15
	s_add_co_i32 s6, s3, 0xdc
	s_wait_xcnt 0x0
	s_add_co_i32 s3, s3, 8
	s_delay_alu instid0(SALU_CYCLE_1)
	s_cmp_lg_u32 s3, 16
	ds_load_2addr_b32 v[10:11], v10 offset1:1
	s_wait_loadcnt_dscnt 0x0
	v_dual_add_nc_u32 v9, v11, v9 :: v_dual_add_nc_u32 v8, v10, v8
	scratch_store_b64 off, v[8:9], s6
	s_cbranch_scc1 .LBB2102_553
; %bb.554:
	scratch_load_b128 v[8:11], off, off offset:220
.LBB2102_555:
	s_wait_xcnt 0x0
	s_or_b32 exec_lo, exec_lo, s0
	v_and_b32_e32 v20, 1, v20
	v_and_b32_e32 v22, 1, v22
	s_delay_alu instid0(VALU_DEP_2) | instskip(NEXT) | instid1(VALU_DEP_2)
	v_cmp_eq_u32_e32 vcc_lo, 1, v20
	v_cmp_eq_u32_e64 s0, 1, v22
	s_or_b32 s0, vcc_lo, s0
	s_delay_alu instid0(SALU_CYCLE_1)
	v_cndmask_b32_e64 v20, 0, 1, s0
	ds_store_b8 v15, v20 offset:16
	ds_load_b32 v20, v15 offset:16
	s_wait_loadcnt 0x0
	ds_store_2addr_b32 v15, v8, v9 offset1:1
	ds_store_2addr_b32 v15, v10, v11 offset0:2 offset1:3
.LBB2102_556:
	s_or_b32 exec_lo, exec_lo, s2
	v_mov_b32_dpp v24, v8 row_shr:4 row_mask:0xf bank_mask:0xf
	v_mov_b32_dpp v25, v9 row_shr:4 row_mask:0xf bank_mask:0xf
	v_mov_b32_dpp v26, v10 row_shr:4 row_mask:0xf bank_mask:0xf
	v_mov_b32_dpp v27, v11 row_shr:4 row_mask:0xf bank_mask:0xf
	s_wait_dscnt 0x2
	v_mov_b32_dpp v22, v20 row_shr:4 row_mask:0xf bank_mask:0xf
	s_mov_b32 s2, exec_lo
	s_clause 0x1
	scratch_store_b128 off, v[24:27], off
	scratch_store_b32 off, v22, off offset:16
	s_wait_xcnt 0x0
	v_cmpx_lt_u32_e32 3, v21
	s_cbranch_execz .LBB2102_564
; %bb.557:
	v_and_b32_e32 v23, 0xff, v20
	s_mov_b32 s3, 0
	s_mov_b32 s0, exec_lo
	s_delay_alu instid0(VALU_DEP_1)
	v_cmpx_eq_u16_e32 0, v23
	s_cbranch_execz .LBB2102_563
; %bb.558:
	v_mov_b64_e32 v[8:9], 0
.LBB2102_559:                           ; =>This Inner Loop Header: Depth=1
	s_wait_xcnt 0x0
	s_add_co_i32 s6, s3, 0xdc
	s_add_co_i32 s3, s3, 8
	scratch_store_b64 off, v[8:9], s6
	s_cmp_lg_u32 s3, 16
	s_cbranch_scc1 .LBB2102_559
; %bb.560:
	s_mov_b32 s3, 0
.LBB2102_561:                           ; =>This Inner Loop Header: Depth=1
	scratch_load_b64 v[8:9], off, s3
	v_add_nc_u32_e32 v10, s3, v15
	s_add_co_i32 s6, s3, 0xdc
	s_wait_xcnt 0x0
	s_add_co_i32 s3, s3, 8
	s_delay_alu instid0(SALU_CYCLE_1)
	s_cmp_lg_u32 s3, 16
	ds_load_2addr_b32 v[10:11], v10 offset1:1
	s_wait_loadcnt_dscnt 0x0
	v_dual_add_nc_u32 v9, v11, v9 :: v_dual_add_nc_u32 v8, v10, v8
	scratch_store_b64 off, v[8:9], s6
	s_cbranch_scc1 .LBB2102_561
; %bb.562:
	scratch_load_b128 v[8:11], off, off offset:220
.LBB2102_563:
	s_wait_xcnt 0x0
	s_or_b32 exec_lo, exec_lo, s0
	v_and_b32_e32 v20, 1, v20
	v_and_b32_e32 v22, 1, v22
	s_delay_alu instid0(VALU_DEP_2) | instskip(NEXT) | instid1(VALU_DEP_2)
	v_cmp_eq_u32_e32 vcc_lo, 1, v20
	v_cmp_eq_u32_e64 s0, 1, v22
	s_or_b32 s0, vcc_lo, s0
	s_delay_alu instid0(SALU_CYCLE_1)
	v_cndmask_b32_e64 v20, 0, 1, s0
	ds_store_b8 v15, v20 offset:16
	ds_load_b32 v20, v15 offset:16
	s_wait_loadcnt 0x0
	ds_store_2addr_b32 v15, v8, v9 offset1:1
	ds_store_2addr_b32 v15, v10, v11 offset0:2 offset1:3
.LBB2102_564:
	;; [unrolled: 64-line block ×3, first 2 shown]
	s_or_b32 exec_lo, exec_lo, s2
	ds_swizzle_b32 v22, v8 offset:swizzle(BROADCAST,32,15)
	ds_swizzle_b32 v23, v9 offset:swizzle(BROADCAST,32,15)
	;; [unrolled: 1-line block ×4, first 2 shown]
	s_wait_dscnt 0x6
	ds_swizzle_b32 v21, v20 offset:swizzle(BROADCAST,32,15)
	v_and_b32_e32 v26, 16, v19
	s_mov_b32 s2, exec_lo
	s_wait_dscnt 0x1
	scratch_store_b128 off, v[22:25], off
	s_wait_dscnt 0x0
	scratch_store_b32 off, v21, off offset:16
	s_wait_xcnt 0x0
	v_cmpx_ne_u32_e32 0, v26
	s_cbranch_execz .LBB2102_580
; %bb.573:
	v_and_b32_e32 v22, 0xff, v20
	s_mov_b32 s3, 0
	s_mov_b32 s0, exec_lo
	s_delay_alu instid0(VALU_DEP_1)
	v_cmpx_eq_u16_e32 0, v22
	s_cbranch_execz .LBB2102_579
; %bb.574:
	v_mov_b64_e32 v[8:9], 0
.LBB2102_575:                           ; =>This Inner Loop Header: Depth=1
	s_wait_xcnt 0x0
	s_add_co_i32 s6, s3, 0xdc
	s_add_co_i32 s3, s3, 8
	scratch_store_b64 off, v[8:9], s6
	s_cmp_lg_u32 s3, 16
	s_cbranch_scc1 .LBB2102_575
; %bb.576:
	s_mov_b32 s3, 0
.LBB2102_577:                           ; =>This Inner Loop Header: Depth=1
	scratch_load_b64 v[8:9], off, s3
	v_add_nc_u32_e32 v10, s3, v15
	s_add_co_i32 s6, s3, 0xdc
	s_wait_xcnt 0x0
	s_add_co_i32 s3, s3, 8
	s_delay_alu instid0(SALU_CYCLE_1)
	s_cmp_lg_u32 s3, 16
	ds_load_2addr_b32 v[10:11], v10 offset1:1
	s_wait_loadcnt_dscnt 0x0
	v_dual_add_nc_u32 v9, v11, v9 :: v_dual_add_nc_u32 v8, v10, v8
	scratch_store_b64 off, v[8:9], s6
	s_cbranch_scc1 .LBB2102_577
; %bb.578:
	scratch_load_b128 v[8:11], off, off offset:220
.LBB2102_579:
	s_wait_xcnt 0x0
	s_or_b32 exec_lo, exec_lo, s0
	v_and_b32_e32 v20, 1, v20
	v_and_b32_e32 v21, 1, v21
	s_delay_alu instid0(VALU_DEP_2) | instskip(NEXT) | instid1(VALU_DEP_2)
	v_cmp_eq_u32_e32 vcc_lo, 1, v20
	v_cmp_eq_u32_e64 s0, 1, v21
	s_or_b32 s0, vcc_lo, s0
	s_delay_alu instid0(SALU_CYCLE_1)
	v_cndmask_b32_e64 v20, 0, 1, s0
	ds_store_b8 v15, v20 offset:16
	ds_load_b32 v20, v15 offset:16
.LBB2102_580:
	s_or_b32 exec_lo, exec_lo, s2
	v_add_nc_u32_e32 v21, -1, v19
	s_mov_b32 s0, exec_lo
	s_delay_alu instid0(VALU_DEP_1) | instskip(SKIP_1) | instid1(VALU_DEP_1)
	v_cmp_gt_i32_e32 vcc_lo, 0, v21
	v_cndmask_b32_e32 v19, v21, v19, vcc_lo
	v_lshlrev_b32_e32 v21, 2, v19
	ds_load_u8 v19, v14 offset:16
	s_wait_loadcnt 0x0
	ds_bpermute_b32 v8, v21, v8
	ds_bpermute_b32 v9, v21, v9
	s_wait_dscnt 0x3
	ds_bpermute_b32 v20, v21, v20
	ds_bpermute_b32 v10, v21, v10
	ds_bpermute_b32 v11, v21, v11
	s_wait_dscnt 0x3
	ds_store_2addr_b32 v15, v8, v9 offset1:1
	s_wait_dscnt 0x1
	ds_store_2addr_b32 v15, v10, v11 offset0:2 offset1:3
                                        ; implicit-def: $vgpr10_vgpr11
	v_cmpx_ne_u16_e32 0, v19
	s_xor_b32 s0, exec_lo, s0
	s_cbranch_execz .LBB2102_582
; %bb.581:
	ds_load_2addr_b32 v[8:9], v14 offset1:1
	ds_load_2addr_b32 v[10:11], v14 offset0:2 offset1:3
.LBB2102_582:
	s_and_not1_saveexec_b32 s0, s0
	s_cbranch_execz .LBB2102_588
; %bb.583:
	s_wait_dscnt 0x1
	v_mov_b64_e32 v[8:9], 0
	s_mov_b32 s2, 0
.LBB2102_584:                           ; =>This Inner Loop Header: Depth=1
	s_wait_xcnt 0x0
	s_mov_b32 s3, s2
	s_add_co_i32 s2, s2, 8
	scratch_store_b64 off, v[8:9], s3
	s_cmp_lg_u32 s2, 16
	s_cbranch_scc1 .LBB2102_584
; %bb.585:
	s_mov_b32 s2, 0
.LBB2102_586:                           ; =>This Inner Loop Header: Depth=1
	s_wait_dscnt 0x0
	s_wait_xcnt 0x0
	v_dual_add_nc_u32 v8, s2, v15 :: v_dual_add_nc_u32 v10, s2, v14
	s_mov_b32 s3, s2
	s_add_co_i32 s2, s2, 8
	ds_load_2addr_b32 v[8:9], v8 offset1:1
	ds_load_2addr_b32 v[10:11], v10 offset1:1
	s_cmp_lg_u32 s2, 16
	s_wait_dscnt 0x0
	v_dual_add_nc_u32 v9, v11, v9 :: v_dual_add_nc_u32 v8, v10, v8
	scratch_store_b64 off, v[8:9], s3
	s_cbranch_scc1 .LBB2102_586
; %bb.587:
	scratch_load_b128 v[8:11], off, off
.LBB2102_588:
	s_wait_xcnt 0x0
	s_or_b32 exec_lo, exec_lo, s0
	v_and_b32_e32 v19, 1, v19
	v_and_b32_e32 v20, 1, v20
	s_delay_alu instid0(VALU_DEP_2) | instskip(NEXT) | instid1(VALU_DEP_2)
	v_cmp_eq_u32_e32 vcc_lo, 1, v19
	v_cmp_eq_u32_e64 s0, 1, v20
	s_or_b32 s0, s0, vcc_lo
	s_delay_alu instid0(SALU_CYCLE_1)
	v_cndmask_b32_e64 v19, 0, 1, s0
	s_wait_loadcnt_dscnt 0x1
	ds_store_2addr_b32 v15, v8, v9 offset1:1
	s_wait_dscnt 0x1
	ds_store_2addr_b32 v15, v10, v11 offset0:2 offset1:3
	ds_store_b8 v15, v19 offset:16
	s_and_saveexec_b32 s0, s4
	s_cbranch_execz .LBB2102_590
; %bb.589:
	ds_store_2addr_b32 v15, v4, v5 offset1:1
	ds_store_2addr_b32 v15, v6, v7 offset0:2 offset1:3
	ds_store_b8 v15, v18 offset:16
.LBB2102_590:
	s_or_b32 exec_lo, exec_lo, s0
	; wave barrier
	ds_load_2addr_b32 v[4:5], v15 offset0:2 offset1:3
	ds_load_u8 v8, v15 offset:16
	ds_load_2addr_b32 v[6:7], v15 offset1:1
	s_mov_b32 s0, exec_lo
	s_wait_dscnt 0x2
	ds_store_2addr_b32 v14, v4, v5 offset0:2 offset1:3
	s_wait_dscnt 0x1
	ds_store_2addr_b32 v14, v6, v7 offset1:1
	ds_store_b8 v14, v8 offset:16
	; wave barrier
	ds_load_u8 v8, v14 offset:36
	ds_load_u8 v9, v15 offset:16
                                        ; implicit-def: $vgpr6_vgpr7
	s_wait_dscnt 0x1
	v_cmpx_ne_u16_e32 0, v8
	s_xor_b32 s0, exec_lo, s0
	s_cbranch_execz .LBB2102_592
; %bb.591:
	ds_load_2addr_b32 v[4:5], v14 offset0:5 offset1:6
	ds_load_2addr_b32 v[6:7], v14 offset0:7 offset1:8
                                        ; implicit-def: $vgpr16
                                        ; implicit-def: $vgpr17
.LBB2102_592:
	s_and_not1_saveexec_b32 s0, s0
	s_cbranch_execz .LBB2102_598
; %bb.593:
	s_wait_dscnt 0x1
	v_mov_b64_e32 v[4:5], 0
	s_mov_b32 s2, 0
.LBB2102_594:                           ; =>This Inner Loop Header: Depth=1
	s_wait_xcnt 0x0
	s_mov_b32 s3, s2
	s_add_co_i32 s2, s2, 8
	scratch_store_b64 off, v[4:5], s3
	s_cmp_lg_u32 s2, 16
	s_cbranch_scc1 .LBB2102_594
; %bb.595:
	s_wait_xcnt 0x0
	v_mul_u32_u24_e32 v4, 20, v16
	s_mov_b32 s2, 0
	s_delay_alu instid0(VALU_DEP_1)
	v_add3_u32 v4, v17, v4, 20
.LBB2102_596:                           ; =>This Inner Loop Header: Depth=1
	s_delay_alu instid0(VALU_DEP_1)
	v_dual_add_nc_u32 v5, s2, v15 :: v_dual_add_nc_u32 v10, s2, v4
	s_wait_xcnt 0x0
	s_mov_b32 s3, s2
	s_add_co_i32 s2, s2, 8
	s_wait_dscnt 0x0
	ds_load_2addr_b32 v[6:7], v5 offset1:1
	ds_load_2addr_b32 v[10:11], v10 offset1:1
	s_cmp_lg_u32 s2, 16
	s_wait_dscnt 0x0
	v_dual_add_nc_u32 v7, v11, v7 :: v_dual_add_nc_u32 v6, v10, v6
	scratch_store_b64 off, v[6:7], s3
	s_cbranch_scc1 .LBB2102_596
; %bb.597:
	scratch_load_b128 v[4:7], off, off
.LBB2102_598:
	s_wait_xcnt 0x0
	s_or_b32 exec_lo, exec_lo, s0
	s_wait_dscnt 0x0
	v_bitop3_b16 v8, v8, 1, v9 bitop3:0xc8
	s_wait_loadcnt 0x0
	ds_store_2addr_b32 v15, v4, v5 offset1:1
	ds_store_2addr_b32 v15, v6, v7 offset0:2 offset1:3
	ds_store_2addr_b32 v14, v6, v7 offset0:7 offset1:8
	;; [unrolled: 1-line block ×3, first 2 shown]
	ds_store_b8 v14, v8 offset:36
.LBB2102_599:
	s_or_b32 exec_lo, exec_lo, s1
	s_wait_storecnt_dscnt 0x0
	s_barrier_signal -1
	s_barrier_wait -1
	scratch_load_b128 v[4:7], off, off offset:160
	v_mov_b32_e32 v8, 0
	s_wait_loadcnt 0x0
	s_clause 0x1
	scratch_store_b128 off, v[4:7], off offset:180
	scratch_store_b8 off, v8, off offset:196
	s_wait_xcnt 0x0
	s_and_saveexec_b32 s0, s5
	s_cbranch_execz .LBB2102_609
; %bb.600:
	v_add_nc_u32_e32 v4, -1, v12
	s_mov_b32 s1, exec_lo
	s_delay_alu instid0(VALU_DEP_1) | instskip(SKIP_1) | instid1(VALU_DEP_1)
	v_lshrrev_b32_e32 v5, 5, v4
	v_mul_i32_i24_e32 v4, 20, v4
	v_mad_u32 v9, v5, 20, v4
                                        ; implicit-def: $vgpr6_vgpr7
	ds_load_u8 v8, v9 offset:16
	s_wait_dscnt 0x0
	v_cmpx_ne_u16_e32 0, v8
	s_xor_b32 s1, exec_lo, s1
	s_cbranch_execz .LBB2102_602
; %bb.601:
	ds_load_2addr_b32 v[4:5], v9 offset1:1
	ds_load_2addr_b32 v[6:7], v9 offset0:2 offset1:3
                                        ; implicit-def: $vgpr9
.LBB2102_602:
	s_and_not1_saveexec_b32 s1, s1
	s_cbranch_execz .LBB2102_608
; %bb.603:
	s_wait_dscnt 0x1
	v_mov_b64_e32 v[4:5], 0
	s_mov_b32 s2, 0
.LBB2102_604:                           ; =>This Inner Loop Header: Depth=1
	s_wait_xcnt 0x0
	s_mov_b32 s3, s2
	s_add_co_i32 s2, s2, 8
	scratch_store_b64 off, v[4:5], s3
	s_cmp_lg_u32 s2, 16
	s_cbranch_scc1 .LBB2102_604
; %bb.605:
	s_mov_b32 s2, 0
.LBB2102_606:                           ; =>This Inner Loop Header: Depth=1
	s_wait_xcnt 0x0
	s_add_co_i32 s3, s2, 0xa0
	s_wait_dscnt 0x0
	v_add_nc_u32_e32 v6, s2, v9
	scratch_load_b64 v[4:5], off, s3
	s_wait_xcnt 0x0
	s_mov_b32 s3, s2
	s_add_co_i32 s2, s2, 8
	ds_load_2addr_b32 v[6:7], v6 offset1:1
	s_cmp_lg_u32 s2, 16
	s_wait_loadcnt_dscnt 0x0
	v_dual_add_nc_u32 v5, v7, v5 :: v_dual_add_nc_u32 v4, v6, v4
	scratch_store_b64 off, v[4:5], s3
	s_cbranch_scc1 .LBB2102_606
; %bb.607:
	scratch_load_b128 v[4:7], off, off
.LBB2102_608:
	s_wait_xcnt 0x0
	s_or_b32 exec_lo, exec_lo, s1
	s_wait_loadcnt_dscnt 0x0
	s_clause 0x1
	scratch_store_b128 off, v[4:7], off offset:180
	scratch_store_b8 off, v8, off offset:196
.LBB2102_609:
	s_wait_xcnt 0x0
	s_or_b32 exec_lo, exec_lo, s0
	s_clause 0x1
	scratch_load_b128 v[14:17], off, off offset:240
	scratch_load_b32 v4, off, off offset:256
	v_mov_b32_e32 v5, 0
	s_wait_loadcnt 0x1
	scratch_store_b128 off, v[14:17], off
	s_wait_loadcnt 0x0
	s_clause 0x2
	scratch_store_b32 off, v4, off offset:16
	scratch_store_b128 off, v[0:3], off offset:160
	scratch_store_b8 off, v5, off offset:176
	s_wait_xcnt 0x0
	s_and_saveexec_b32 s0, s5
	s_cbranch_execz .LBB2102_611
; %bb.610:
	scratch_load_b128 v[0:3], off, off offset:180
	v_mov_b32_e32 v5, v8
	s_wait_loadcnt 0x0
	s_clause 0x1
	scratch_store_b128 off, v[0:3], off offset:160
	scratch_store_b8 off, v8, off offset:176
.LBB2102_611:
	s_wait_xcnt 0x0
	s_or_b32 exec_lo, exec_lo, s0
	s_clause 0x1
	scratch_load_u8 v6, off, off offset:16
	scratch_load_b128 v[0:3], off, off offset:160
	s_mov_b32 s0, exec_lo
	s_wait_loadcnt 0x0
	s_clause 0x1
	scratch_store_b128 off, v[0:3], off offset:240
	scratch_store_b8 off, v5, off offset:256
                                        ; implicit-def: $vgpr2_vgpr3
	s_wait_xcnt 0x0
	v_cmpx_ne_u16_e32 0, v6
	s_xor_b32 s0, exec_lo, s0
	s_cbranch_execz .LBB2102_613
; %bb.612:
	scratch_load_b128 v[0:3], off, off
.LBB2102_613:
	s_wait_xcnt 0x0
	s_or_saveexec_b32 s0, s0
	v_lshl_add_u32 v4, v13, 4, 0x4c00
	s_xor_b32 exec_lo, exec_lo, s0
	s_cbranch_execz .LBB2102_619
; %bb.614:
	s_wait_loadcnt 0x0
	v_mov_b32_e32 v0, 0
	s_mov_b32 s1, 0
.LBB2102_615:                           ; =>This Inner Loop Header: Depth=1
	s_delay_alu instid0(SALU_CYCLE_1) | instskip(SKIP_1) | instid1(SALU_CYCLE_1)
	v_add_nc_u32_e32 v1, s1, v4
	s_add_co_i32 s1, s1, 8
	s_cmp_lg_u32 s1, 16
	ds_store_2addr_b32 v1, v0, v0 offset1:1
	s_cbranch_scc1 .LBB2102_615
; %bb.616:
	s_mov_b32 s1, 0
.LBB2102_617:                           ; =>This Inner Loop Header: Depth=1
	s_delay_alu instid0(SALU_CYCLE_1)
	s_add_co_i32 s2, s1, 0xa0
	s_mov_b32 s3, s1
	scratch_load_b64 v[0:1], off, s2
	scratch_load_b64 v[2:3], off, s1
	v_add_nc_u32_e32 v7, s1, v4
	s_wait_xcnt 0x0
	s_add_co_i32 s1, s1, 8
                                        ; kill: killed $sgpr3
	s_delay_alu instid0(SALU_CYCLE_1)
	s_cmp_lg_u32 s1, 16
	s_wait_loadcnt 0x0
	v_dual_add_nc_u32 v1, v3, v1 :: v_dual_add_nc_u32 v0, v2, v0
	ds_store_2addr_b32 v7, v0, v1 offset1:1
	s_cbranch_scc1 .LBB2102_617
; %bb.618:
	ds_load_2addr_b32 v[0:1], v4 offset1:1
	ds_load_2addr_b32 v[2:3], v4 offset0:2 offset1:3
.LBB2102_619:
	s_or_b32 exec_lo, exec_lo, s0
	scratch_load_u8 v7, off, off offset:276
	scratch_load_b128 v[8:11], off, s23
	v_bitop3_b16 v5, v6, 1, v5 bitop3:0xc8
	s_mov_b32 s0, exec_lo
	s_wait_loadcnt_dscnt 0x200
	scratch_store_b128 off, v[0:3], off offset:160
	s_wait_loadcnt 0x0
	scratch_store_b128 off, v[8:11], off
	scratch_store_b128 off, v[0:3], s23
	scratch_store_b8 off, v5, off offset:276
                                        ; implicit-def: $vgpr2_vgpr3
	s_wait_xcnt 0x0
	v_cmpx_ne_u16_e32 0, v7
	s_xor_b32 s0, exec_lo, s0
	s_cbranch_execz .LBB2102_621
; %bb.620:
	scratch_load_b128 v[0:3], off, off
.LBB2102_621:
	s_wait_xcnt 0x0
	s_and_not1_saveexec_b32 s0, s0
	s_cbranch_execz .LBB2102_627
; %bb.622:
	s_wait_loadcnt 0x0
	v_mov_b32_e32 v0, 0
	s_mov_b32 s1, 0
.LBB2102_623:                           ; =>This Inner Loop Header: Depth=1
	s_delay_alu instid0(SALU_CYCLE_1) | instskip(SKIP_1) | instid1(SALU_CYCLE_1)
	v_add_nc_u32_e32 v1, s1, v4
	s_add_co_i32 s1, s1, 8
	s_cmp_lg_u32 s1, 16
	ds_store_2addr_b32 v1, v0, v0 offset1:1
	s_cbranch_scc1 .LBB2102_623
; %bb.624:
	s_mov_b32 s1, 0
.LBB2102_625:                           ; =>This Inner Loop Header: Depth=1
	s_delay_alu instid0(SALU_CYCLE_1)
	s_add_co_i32 s2, s1, 0xa0
	s_mov_b32 s3, s1
	scratch_load_b64 v[0:1], off, s2
	scratch_load_b64 v[2:3], off, s1
	v_add_nc_u32_e32 v6, s1, v4
	s_wait_xcnt 0x0
	s_add_co_i32 s1, s1, 8
                                        ; kill: killed $sgpr3
                                        ; kill: killed $sgpr2
	s_delay_alu instid0(SALU_CYCLE_1)
	s_cmp_lg_u32 s1, 16
	s_wait_loadcnt 0x0
	v_dual_add_nc_u32 v1, v3, v1 :: v_dual_add_nc_u32 v0, v2, v0
	ds_store_2addr_b32 v6, v0, v1 offset1:1
	s_cbranch_scc1 .LBB2102_625
; %bb.626:
	ds_load_2addr_b32 v[0:1], v4 offset1:1
	ds_load_2addr_b32 v[2:3], v4 offset0:2 offset1:3
.LBB2102_627:
	s_or_b32 exec_lo, exec_lo, s0
	scratch_load_u8 v6, off, off offset:296
	scratch_load_b128 v[8:11], off, s33
	v_or_b32_e32 v7, v7, v5
	s_mov_b32 s0, exec_lo
	s_wait_loadcnt_dscnt 0x200
	scratch_store_b128 off, v[0:3], off offset:160
	s_wait_loadcnt 0x0
	scratch_store_b128 off, v[8:11], off
	scratch_store_b128 off, v[0:3], s33
	scratch_store_b8 off, v7, off offset:296
                                        ; implicit-def: $vgpr2_vgpr3
	s_wait_xcnt 0x0
	v_cmpx_ne_u16_e32 0, v6
	s_xor_b32 s0, exec_lo, s0
	s_cbranch_execz .LBB2102_629
; %bb.628:
	scratch_load_b128 v[0:3], off, off
.LBB2102_629:
	s_wait_xcnt 0x0
	s_and_not1_saveexec_b32 s0, s0
	s_cbranch_execz .LBB2102_635
; %bb.630:
	s_wait_loadcnt 0x0
	v_mov_b32_e32 v0, 0
	s_mov_b32 s1, 0
.LBB2102_631:                           ; =>This Inner Loop Header: Depth=1
	s_delay_alu instid0(SALU_CYCLE_1) | instskip(SKIP_1) | instid1(SALU_CYCLE_1)
	v_add_nc_u32_e32 v1, s1, v4
	s_add_co_i32 s1, s1, 8
	s_cmp_lg_u32 s1, 16
	ds_store_2addr_b32 v1, v0, v0 offset1:1
	s_cbranch_scc1 .LBB2102_631
; %bb.632:
	s_mov_b32 s1, 0
.LBB2102_633:                           ; =>This Inner Loop Header: Depth=1
	s_delay_alu instid0(SALU_CYCLE_1)
	s_add_co_i32 s2, s1, 0xa0
	s_mov_b32 s3, s1
	scratch_load_b64 v[0:1], off, s2
	scratch_load_b64 v[2:3], off, s1
	v_add_nc_u32_e32 v5, s1, v4
	s_wait_xcnt 0x0
	s_add_co_i32 s1, s1, 8
                                        ; kill: killed $sgpr3
                                        ; kill: killed $sgpr2
	s_delay_alu instid0(SALU_CYCLE_1)
	s_cmp_lg_u32 s1, 16
	s_wait_loadcnt 0x0
	v_dual_add_nc_u32 v1, v3, v1 :: v_dual_add_nc_u32 v0, v2, v0
	ds_store_2addr_b32 v5, v0, v1 offset1:1
	s_cbranch_scc1 .LBB2102_633
; %bb.634:
	ds_load_2addr_b32 v[0:1], v4 offset1:1
	ds_load_2addr_b32 v[2:3], v4 offset0:2 offset1:3
.LBB2102_635:
	s_or_b32 exec_lo, exec_lo, s0
	scratch_load_u8 v5, off, off offset:316
	scratch_load_b128 v[8:11], off, s44
	v_and_b32_e32 v6, 1, v6
	v_cmp_ne_u16_e32 vcc_lo, 0, v7
	s_mov_b32 s1, exec_lo
	s_delay_alu instid0(VALU_DEP_2) | instskip(SKIP_1) | instid1(SALU_CYCLE_1)
	v_cmp_eq_u32_e64 s0, 1, v6
	s_or_b32 s0, vcc_lo, s0
	v_cndmask_b32_e64 v6, 0, 1, s0
	s_wait_loadcnt_dscnt 0x200
	scratch_store_b128 off, v[0:3], off offset:160
	s_wait_loadcnt 0x0
	scratch_store_b128 off, v[8:11], off
	scratch_store_b128 off, v[0:3], s44
	scratch_store_b8 off, v6, off offset:316
                                        ; implicit-def: $vgpr2_vgpr3
	s_wait_xcnt 0x0
	v_cmpx_ne_u16_e32 0, v5
	s_xor_b32 s1, exec_lo, s1
	s_cbranch_execz .LBB2102_637
; %bb.636:
	scratch_load_b128 v[0:3], off, off
.LBB2102_637:
	s_wait_xcnt 0x0
	s_and_not1_saveexec_b32 s1, s1
	s_cbranch_execz .LBB2102_643
; %bb.638:
	s_wait_loadcnt 0x0
	v_mov_b32_e32 v0, 0
	s_mov_b32 s2, 0
.LBB2102_639:                           ; =>This Inner Loop Header: Depth=1
	s_delay_alu instid0(SALU_CYCLE_1) | instskip(SKIP_1) | instid1(SALU_CYCLE_1)
	v_add_nc_u32_e32 v1, s2, v4
	s_add_co_i32 s2, s2, 8
	s_cmp_lg_u32 s2, 16
	ds_store_2addr_b32 v1, v0, v0 offset1:1
	s_cbranch_scc1 .LBB2102_639
; %bb.640:
	s_mov_b32 s2, 0
.LBB2102_641:                           ; =>This Inner Loop Header: Depth=1
	s_delay_alu instid0(SALU_CYCLE_1)
	s_add_co_i32 s3, s2, 0xa0
	s_mov_b32 s5, s2
	scratch_load_b64 v[0:1], off, s3
	scratch_load_b64 v[2:3], off, s2
	v_add_nc_u32_e32 v6, s2, v4
	s_wait_xcnt 0x0
	s_add_co_i32 s2, s2, 8
                                        ; kill: killed $sgpr5
                                        ; kill: killed $sgpr3
	s_delay_alu instid0(SALU_CYCLE_1)
	s_cmp_lg_u32 s2, 16
	s_wait_loadcnt 0x0
	v_dual_add_nc_u32 v1, v3, v1 :: v_dual_add_nc_u32 v0, v2, v0
	ds_store_2addr_b32 v6, v0, v1 offset1:1
	s_cbranch_scc1 .LBB2102_641
; %bb.642:
	ds_load_2addr_b32 v[0:1], v4 offset1:1
	ds_load_2addr_b32 v[2:3], v4 offset0:2 offset1:3
.LBB2102_643:
	s_or_b32 exec_lo, exec_lo, s1
	scratch_load_u8 v6, off, off offset:336
	scratch_load_b128 v[8:11], off, s45
	v_and_b32_e32 v5, 1, v5
	s_mov_b32 s1, exec_lo
	s_delay_alu instid0(VALU_DEP_1) | instskip(SKIP_1) | instid1(SALU_CYCLE_1)
	v_cmp_eq_u32_e32 vcc_lo, 1, v5
	s_or_b32 s0, vcc_lo, s0
	v_cndmask_b32_e64 v5, 0, 1, s0
	s_wait_loadcnt_dscnt 0x200
	scratch_store_b128 off, v[0:3], off offset:160
	s_wait_loadcnt 0x0
	scratch_store_b128 off, v[8:11], off
	scratch_store_b128 off, v[0:3], s45
	scratch_store_b8 off, v5, off offset:336
                                        ; implicit-def: $vgpr2_vgpr3
	s_wait_xcnt 0x0
	v_cmpx_ne_u16_e32 0, v6
	s_xor_b32 s1, exec_lo, s1
	s_cbranch_execz .LBB2102_645
; %bb.644:
	scratch_load_b128 v[0:3], off, off
.LBB2102_645:
	s_wait_xcnt 0x0
	s_and_not1_saveexec_b32 s1, s1
	s_cbranch_execz .LBB2102_651
; %bb.646:
	s_wait_loadcnt 0x0
	v_mov_b32_e32 v0, 0
	s_mov_b32 s2, 0
.LBB2102_647:                           ; =>This Inner Loop Header: Depth=1
	s_delay_alu instid0(SALU_CYCLE_1) | instskip(SKIP_1) | instid1(SALU_CYCLE_1)
	v_add_nc_u32_e32 v1, s2, v4
	s_add_co_i32 s2, s2, 8
	s_cmp_lg_u32 s2, 16
	ds_store_2addr_b32 v1, v0, v0 offset1:1
	s_cbranch_scc1 .LBB2102_647
; %bb.648:
	s_mov_b32 s2, 0
.LBB2102_649:                           ; =>This Inner Loop Header: Depth=1
	s_delay_alu instid0(SALU_CYCLE_1)
	s_add_co_i32 s3, s2, 0xa0
	s_mov_b32 s5, s2
	scratch_load_b64 v[0:1], off, s3
	scratch_load_b64 v[2:3], off, s2
	v_add_nc_u32_e32 v5, s2, v4
	s_wait_xcnt 0x0
	s_add_co_i32 s2, s2, 8
                                        ; kill: killed $sgpr5
                                        ; kill: killed $sgpr3
	s_delay_alu instid0(SALU_CYCLE_1)
	s_cmp_lg_u32 s2, 16
	s_wait_loadcnt 0x0
	v_dual_add_nc_u32 v1, v3, v1 :: v_dual_add_nc_u32 v0, v2, v0
	ds_store_2addr_b32 v5, v0, v1 offset1:1
	s_cbranch_scc1 .LBB2102_649
; %bb.650:
	ds_load_2addr_b32 v[0:1], v4 offset1:1
	ds_load_2addr_b32 v[2:3], v4 offset0:2 offset1:3
.LBB2102_651:
	s_or_b32 exec_lo, exec_lo, s1
	scratch_load_u8 v5, off, off offset:356
	scratch_load_b128 v[8:11], off, s46
	v_and_b32_e32 v6, 1, v6
	s_mov_b32 s1, exec_lo
	s_delay_alu instid0(VALU_DEP_1) | instskip(SKIP_1) | instid1(SALU_CYCLE_1)
	v_cmp_eq_u32_e32 vcc_lo, 1, v6
	;; [unrolled: 60-line block ×5, first 2 shown]
	s_or_b32 s0, vcc_lo, s0
	v_cndmask_b32_e64 v6, 0, 1, s0
	s_wait_loadcnt_dscnt 0x200
	scratch_store_b128 off, v[0:3], off offset:160
	s_wait_loadcnt 0x0
	scratch_store_b128 off, v[8:11], off
	scratch_store_b128 off, v[0:3], s49
	scratch_store_b8 off, v6, off offset:416
                                        ; implicit-def: $vgpr2_vgpr3
	s_wait_xcnt 0x0
	v_cmpx_ne_u16_e32 0, v5
	s_xor_b32 s1, exec_lo, s1
	s_cbranch_execz .LBB2102_677
; %bb.676:
	scratch_load_b128 v[0:3], off, off
                                        ; implicit-def: $vgpr4
.LBB2102_677:
	s_wait_xcnt 0x0
	s_and_not1_saveexec_b32 s1, s1
	s_cbranch_execz .LBB2102_683
; %bb.678:
	s_wait_loadcnt 0x0
	v_mov_b32_e32 v0, 0
	s_mov_b32 s2, 0
.LBB2102_679:                           ; =>This Inner Loop Header: Depth=1
	s_delay_alu instid0(SALU_CYCLE_1) | instskip(SKIP_1) | instid1(SALU_CYCLE_1)
	v_add_nc_u32_e32 v1, s2, v4
	s_add_co_i32 s2, s2, 8
	s_cmp_lg_u32 s2, 16
	ds_store_2addr_b32 v1, v0, v0 offset1:1
	s_cbranch_scc1 .LBB2102_679
; %bb.680:
	s_mov_b32 s2, 0
.LBB2102_681:                           ; =>This Inner Loop Header: Depth=1
	s_delay_alu instid0(SALU_CYCLE_1)
	s_add_co_i32 s3, s2, 0xa0
	s_mov_b32 s5, s2
	scratch_load_b64 v[0:1], off, s3
	scratch_load_b64 v[2:3], off, s2
	v_add_nc_u32_e32 v6, s2, v4
	s_wait_xcnt 0x0
	s_add_co_i32 s2, s2, 8
                                        ; kill: killed $sgpr5
                                        ; kill: killed $sgpr3
	s_delay_alu instid0(SALU_CYCLE_1)
	s_cmp_lg_u32 s2, 16
	s_wait_loadcnt 0x0
	v_dual_add_nc_u32 v1, v3, v1 :: v_dual_add_nc_u32 v0, v2, v0
	ds_store_2addr_b32 v6, v0, v1 offset1:1
	s_cbranch_scc1 .LBB2102_681
; %bb.682:
	ds_load_2addr_b32 v[0:1], v4 offset1:1
	ds_load_2addr_b32 v[2:3], v4 offset0:2 offset1:3
.LBB2102_683:
	s_or_b32 exec_lo, exec_lo, s1
	v_dual_mov_b32 v6, 0 :: v_dual_bitop2_b32 v5, 1, v5 bitop3:0x40
	ds_load_u8 v4, v6 offset:1296
	ds_load_b128 v[6:9], v6 offset:1280
	v_cmp_eq_u32_e32 vcc_lo, 1, v5
	s_or_b32 s0, vcc_lo, s0
	s_delay_alu instid0(SALU_CYCLE_1)
	v_cndmask_b32_e64 v10, 0, 1, s0
	s_mov_b32 s0, 0
	s_wait_loadcnt_dscnt 0x2
	scratch_store_b128 off, v[0:3], s50
	scratch_store_b8 off, v10, off offset:436
	s_wait_dscnt 0x1
	v_and_b32_e32 v5, 0xffff, v4
	s_wait_dscnt 0x0
	scratch_store_b128 off, v[6:9], off offset:440
	v_cmp_ne_u32_e32 vcc_lo, 0, v5
	s_cbranch_vccz .LBB2102_753
; %bb.684:
	scratch_load_b128 v[0:3], off, off offset:440
	s_and_not1_b32 vcc_lo, exec_lo, s0
	s_cbranch_vccz .LBB2102_754
; %bb.685:
	s_wait_loadcnt 0x0
	s_clause 0x1
	scratch_store_b128 off, v[0:3], off offset:440
	scratch_store_b8 off, v4, off offset:456
	s_wait_xcnt 0x0
	s_and_saveexec_b32 s0, s4
	s_cbranch_execz .LBB2102_687
.LBB2102_686:
	v_dual_mov_b32 v5, 0 :: v_dual_mov_b32 v6, 2
	s_clause 0x1
	global_store_b128 v5, v[0:3], s[18:19] offset:640
	global_store_b8 v5, v4, s[18:19] offset:656
	global_wb scope:SCOPE_DEV
	s_wait_storecnt 0x0
	global_inv scope:SCOPE_DEV
	s_wait_xcnt 0x0
	global_store_b8 v5, v6, s[20:21] offset:32 scope:SCOPE_DEV
.LBB2102_687:
	s_wait_xcnt 0x0
	s_or_b32 exec_lo, exec_lo, s0
.LBB2102_688:
	s_wait_xcnt 0x1
	v_mov_b64_e32 v[0:1], 0
	s_mov_b32 s0, 0
.LBB2102_689:                           ; =>This Inner Loop Header: Depth=1
	s_wait_xcnt 0x0
	s_mov_b32 s1, s0
	s_add_co_i32 s0, s0, 8
	scratch_store_b64 off, v[0:1], s1
	s_cmp_lg_u32 s0, 16
	s_cbranch_scc1 .LBB2102_689
; %bb.690:
	s_wait_xcnt 0x0
	v_mov_b64_e32 v[0:1], 0
	s_mov_b32 s0, 16
.LBB2102_691:                           ; =>This Inner Loop Header: Depth=1
	s_wait_xcnt 0x0
	s_mov_b32 s1, s0
	s_add_co_i32 s0, s0, 8
	scratch_store_b64 off, v[0:1], s1
	s_cmp_lg_u32 s0, 32
	s_cbranch_scc1 .LBB2102_691
; %bb.692:
	;; [unrolled: 11-line block ×5, first 2 shown]
	s_wait_xcnt 0x0
	v_mov_b64_e32 v[0:1], 0
	s_movk_i32 s0, 0x50
.LBB2102_699:                           ; =>This Inner Loop Header: Depth=1
	s_wait_xcnt 0x0
	s_mov_b32 s1, s0
	s_add_co_i32 s0, s0, 8
	scratch_store_b64 off, v[0:1], s1
	s_cmp_lg_u32 s0, 0x60
	s_cbranch_scc1 .LBB2102_699
; %bb.700:
	s_wait_xcnt 0x0
	v_mov_b64_e32 v[0:1], 0
	s_movk_i32 s0, 0x60
.LBB2102_701:                           ; =>This Inner Loop Header: Depth=1
	s_wait_xcnt 0x0
	s_mov_b32 s1, s0
	s_add_co_i32 s0, s0, 8
	scratch_store_b64 off, v[0:1], s1
	s_cmp_lg_u32 s0, 0x70
	s_cbranch_scc1 .LBB2102_701
; %bb.702:
	;; [unrolled: 11-line block ×5, first 2 shown]
	s_wait_xcnt 0x0
	s_add_nc_u64 s[0:1], s[14:15], s[24:25]
	s_movk_i32 s2, 0x90
	s_movk_i32 s3, 0x80
	;; [unrolled: 1-line block ×5, first 2 shown]
	s_and_b32 vcc_lo, exec_lo, s39
	s_add_nc_u64 s[0:1], s[0:1], s[34:35]
	s_cbranch_vccz .LBB2102_739
; %bb.709:
	v_mul_u32_u24_e32 v0, 10, v12
	s_add_co_i32 s55, s55, s22
	s_mov_b32 s7, exec_lo
	s_delay_alu instid0(VALU_DEP_1)
	v_cmpx_gt_u32_e64 s55, v0
	s_cbranch_execz .LBB2102_720
; %bb.710:
	scratch_load_b128 v[2:5], off, off offset:240
	v_or_b32_e32 v1, 1, v0
	s_delay_alu instid0(VALU_DEP_1)
	v_cmp_gt_u32_e32 vcc_lo, s55, v1
	s_wait_loadcnt 0x0
	scratch_store_b128 off, v[2:5], off
	s_wait_xcnt 0x0
	s_and_b32 exec_lo, exec_lo, vcc_lo
	s_cbranch_execz .LBB2102_720
; %bb.711:
	scratch_load_b128 v[2:5], off, s23
	v_add_nc_u32_e32 v1, 2, v0
	s_delay_alu instid0(VALU_DEP_1)
	v_cmp_gt_u32_e32 vcc_lo, s55, v1
	s_wait_loadcnt 0x0
	scratch_store_b128 off, v[2:5], s54
	s_wait_xcnt 0x0
	s_and_b32 exec_lo, exec_lo, vcc_lo
	s_cbranch_execz .LBB2102_720
; %bb.712:
	scratch_load_b128 v[2:5], off, s33
	v_add_nc_u32_e32 v1, 3, v0
	s_delay_alu instid0(VALU_DEP_1)
	v_cmp_gt_u32_e32 vcc_lo, s55, v1
	s_wait_loadcnt 0x0
	scratch_store_b128 off, v[2:5], s53
	;; [unrolled: 10-line block ×8, first 2 shown]
	s_wait_xcnt 0x0
	s_and_b32 exec_lo, exec_lo, vcc_lo
	s_cbranch_execz .LBB2102_720
; %bb.719:
	scratch_load_b128 v[2:5], off, s50
	s_wait_loadcnt 0x0
	scratch_store_b128 off, v[2:5], s2
.LBB2102_720:
	s_wait_xcnt 0x0
	s_or_b32 exec_lo, exec_lo, s7
	s_wait_loadcnt 0x0
	s_wait_storecnt 0x0
	s_barrier_signal -1
	s_barrier_wait -1
	scratch_load_b128 v[4:7], off, off
	s_clause 0x8
	scratch_load_b128 v[8:11], off, s54
	scratch_load_b128 v[14:17], off, s53
	;; [unrolled: 1-line block ×9, first 2 shown]
	v_dual_mov_b32 v1, 0 :: v_dual_lshlrev_b32 v0, 4, v0
	s_mov_b32 s7, exec_lo
	s_wait_loadcnt 0x9
	ds_store_b128 v0, v[4:7]
	s_wait_loadcnt 0x8
	ds_store_b128 v0, v[8:11] offset:16
	s_wait_loadcnt 0x7
	ds_store_b128 v0, v[14:17] offset:32
	;; [unrolled: 2-line block ×9, first 2 shown]
	v_mad_i32_i24 v2, 0xffffff70, v12, v0
	s_wait_dscnt 0x0
	s_barrier_signal -1
	s_barrier_wait -1
	ds_load_b128 v[4:7], v2 offset:1024
	ds_load_b128 v[8:11], v2 offset:2048
	;; [unrolled: 1-line block ×9, first 2 shown]
	v_lshlrev_b32_e32 v0, 4, v12
	s_wait_dscnt 0x8
	scratch_store_b128 off, v[4:7], s54
	s_wait_dscnt 0x7
	scratch_store_b128 off, v[8:11], s53
	;; [unrolled: 2-line block ×9, first 2 shown]
	v_add_nc_u64_e32 v[0:1], s[0:1], v[0:1]
	s_wait_xcnt 0x0
	v_cmpx_gt_u32_e64 s55, v12
	s_cbranch_execz .LBB2102_722
; %bb.721:
	ds_load_2addr_b32 v[4:5], v2 offset0:2 offset1:3
	ds_load_2addr_b32 v[2:3], v2 offset1:1
	s_wait_dscnt 0x0
	flat_store_b128 v[0:1], v[2:5]
.LBB2102_722:
	s_wait_xcnt 0x0
	s_or_b32 exec_lo, exec_lo, s7
	v_add_nc_u32_e32 v2, 64, v12
	s_mov_b32 s7, exec_lo
	s_delay_alu instid0(VALU_DEP_1)
	v_cmpx_gt_u32_e64 s55, v2
	s_cbranch_execz .LBB2102_724
; %bb.723:
	scratch_load_b128 v[2:5], off, s54
	s_wait_loadcnt 0x0
	flat_store_b128 v[0:1], v[2:5] offset:1024
.LBB2102_724:
	s_wait_xcnt 0x0
	s_or_b32 exec_lo, exec_lo, s7
	v_add_nc_u32_e32 v2, 0x80, v12
	s_mov_b32 s7, exec_lo
	s_delay_alu instid0(VALU_DEP_1)
	v_cmpx_gt_u32_e64 s55, v2
	s_cbranch_execz .LBB2102_726
; %bb.725:
	scratch_load_b128 v[2:5], off, s53
	s_wait_loadcnt 0x0
	flat_store_b128 v[0:1], v[2:5] offset:2048
.LBB2102_726:
	;; [unrolled: 12-line block ×8, first 2 shown]
	s_wait_xcnt 0x0
	s_or_b32 exec_lo, exec_lo, s7
	v_add_nc_u32_e32 v0, 0x240, v12
	s_delay_alu instid0(VALU_DEP_1)
	v_cmp_gt_u32_e64 s7, s55, v0
	s_branch .LBB2102_741
.LBB2102_739:
	s_mov_b32 s7, 0
	s_cbranch_execz .LBB2102_741
; %bb.740:
	s_clause 0x3
	scratch_load_b128 v[0:3], off, s23
	scratch_load_b128 v[4:7], off, s33
	;; [unrolled: 1-line block ×4, first 2 shown]
                                        ; kill: killed $sgpr44
                                        ; kill: killed $sgpr45
                                        ; kill: killed $sgpr23
                                        ; kill: killed $sgpr33
	scratch_load_b128 v[18:21], off, off offset:240
	s_clause 0x4
	scratch_load_b128 v[22:25], off, s46
	scratch_load_b128 v[26:29], off, s47
	;; [unrolled: 1-line block ×5, first 2 shown]
	v_mul_i32_i24_e32 v13, 0xffffff70, v12
	v_mul_u32_u24_e32 v42, 0xa0, v12
	s_or_b32 s7, s7, exec_lo
                                        ; kill: killed $sgpr48
                                        ; kill: killed $sgpr49
                                        ; kill: killed $sgpr46
                                        ; kill: killed $sgpr50
                                        ; kill: killed $sgpr47
	s_wait_loadcnt 0x9
	scratch_store_b128 off, v[0:3], s54
	s_wait_loadcnt 0x8
	scratch_store_b128 off, v[4:7], s53
	s_wait_loadcnt 0x7
	scratch_store_b128 off, v[8:11], s52
	s_wait_loadcnt 0x6
	scratch_store_b128 off, v[14:17], s51
	s_wait_loadcnt 0x5
	scratch_store_b128 off, v[18:21], off
	s_wait_loadcnt 0x4
	scratch_store_b128 off, v[22:25], s6
	s_wait_loadcnt 0x3
	scratch_store_b128 off, v[26:29], s5
	;; [unrolled: 2-line block ×5, first 2 shown]
	s_wait_storecnt_dscnt 0x0
	s_barrier_signal -1
	s_barrier_wait -1
	scratch_load_b128 v[0:3], off, off
	s_clause 0x8
	scratch_load_b128 v[4:7], off, s54
	scratch_load_b128 v[8:11], off, s53
	;; [unrolled: 1-line block ×9, first 2 shown]
	v_mad_u32_u24 v13, 0xa0, v12, v13
	s_wait_loadcnt 0x9
	ds_store_b128 v42, v[0:3]
	s_wait_loadcnt 0x8
	ds_store_b128 v42, v[4:7] offset:16
	s_wait_loadcnt 0x7
	ds_store_b128 v42, v[8:11] offset:32
	;; [unrolled: 2-line block ×9, first 2 shown]
	s_wait_dscnt 0x0
	s_barrier_signal -1
	s_barrier_wait -1
	ds_load_b128 v[0:3], v13 offset:1024
	ds_load_b128 v[4:7], v13 offset:2048
	;; [unrolled: 1-line block ×9, first 2 shown]
	ds_load_2addr_b32 v[40:41], v13 offset0:2 offset1:3
	ds_load_2addr_b32 v[38:39], v13 offset1:1
	s_wait_dscnt 0xa
	scratch_store_b128 off, v[0:3], s54
	s_wait_dscnt 0x9
	scratch_store_b128 off, v[4:7], s53
	;; [unrolled: 2-line block ×9, first 2 shown]
	s_wait_dscnt 0x0
	flat_store_b128 v12, v[38:41], s[0:1] scale_offset
	scratch_load_b128 v[0:3], off, s54
	s_wait_loadcnt 0x0
	flat_store_b128 v12, v[0:3], s[0:1] offset:1024 scale_offset
	scratch_load_b128 v[0:3], off, s53
	s_wait_loadcnt 0x0
	flat_store_b128 v12, v[0:3], s[0:1] offset:2048 scale_offset
	;; [unrolled: 3-line block ×8, first 2 shown]
.LBB2102_741:
	s_wait_xcnt 0x0
	s_delay_alu instid0(VALU_DEP_1)
	s_and_saveexec_b32 s3, s7
	s_cbranch_execnz .LBB2102_743
; %bb.742:
	s_endpgm
.LBB2102_743:
	scratch_load_b128 v[0:3], off, s2
	s_wait_loadcnt 0x0
	flat_store_b128 v12, v[0:3], s[0:1] offset:9216 scale_offset
	s_endpgm
.LBB2102_744:
	flat_load_b128 v[16:19], v12, s[40:41] scale_offset
	s_wait_loadcnt_dscnt 0x0
	scratch_store_b128 off, v[16:19], off
	s_wait_xcnt 0x0
	s_or_b32 exec_lo, exec_lo, s13
	s_and_saveexec_b32 s13, s2
	s_cbranch_execz .LBB2102_69
.LBB2102_745:
	flat_load_b128 v[16:19], v12, s[40:41] offset:1024 scale_offset
	s_wait_loadcnt_dscnt 0x0
	scratch_store_b128 off, v[16:19], off offset:16
	s_wait_xcnt 0x0
	s_or_b32 exec_lo, exec_lo, s13
	s_and_saveexec_b32 s2, s3
	s_cbranch_execz .LBB2102_70
.LBB2102_746:
	flat_load_b128 v[16:19], v12, s[40:41] offset:2048 scale_offset
	s_wait_loadcnt_dscnt 0x0
	scratch_store_b128 off, v[16:19], off offset:32
	s_wait_xcnt 0x0
	s_or_b32 exec_lo, exec_lo, s2
	s_and_saveexec_b32 s2, s6
	s_cbranch_execz .LBB2102_71
.LBB2102_747:
	flat_load_b128 v[16:19], v12, s[40:41] offset:3072 scale_offset
	s_wait_loadcnt_dscnt 0x0
	scratch_store_b128 off, v[16:19], off offset:48
	s_wait_xcnt 0x0
	s_or_b32 exec_lo, exec_lo, s2
	s_and_saveexec_b32 s2, s7
	s_cbranch_execz .LBB2102_72
.LBB2102_748:
	flat_load_b128 v[16:19], v12, s[40:41] offset:4096 scale_offset
	s_wait_loadcnt_dscnt 0x0
	scratch_store_b128 off, v[16:19], off offset:64
	s_wait_xcnt 0x0
	s_or_b32 exec_lo, exec_lo, s2
	s_and_saveexec_b32 s2, s8
	s_cbranch_execz .LBB2102_73
.LBB2102_749:
	flat_load_b128 v[16:19], v12, s[40:41] offset:5120 scale_offset
	s_wait_loadcnt_dscnt 0x0
	scratch_store_b128 off, v[16:19], off offset:80
	s_wait_xcnt 0x0
	s_or_b32 exec_lo, exec_lo, s2
	s_and_saveexec_b32 s2, s9
	s_cbranch_execz .LBB2102_74
.LBB2102_750:
	flat_load_b128 v[16:19], v12, s[40:41] offset:6144 scale_offset
	s_wait_loadcnt_dscnt 0x0
	scratch_store_b128 off, v[16:19], off offset:96
	s_wait_xcnt 0x0
	s_or_b32 exec_lo, exec_lo, s2
	s_and_saveexec_b32 s2, s10
	s_cbranch_execz .LBB2102_75
.LBB2102_751:
	flat_load_b128 v[16:19], v12, s[40:41] offset:7168 scale_offset
	s_wait_loadcnt_dscnt 0x0
	scratch_store_b128 off, v[16:19], off offset:112
	s_wait_xcnt 0x0
	s_or_b32 exec_lo, exec_lo, s2
	s_and_saveexec_b32 s2, s11
	s_cbranch_execz .LBB2102_76
.LBB2102_752:
	flat_load_b128 v[16:19], v12, s[40:41] offset:8192 scale_offset
	s_wait_loadcnt_dscnt 0x0
	scratch_store_b128 off, v[16:19], off offset:128
	s_wait_xcnt 0x0
	s_or_b32 exec_lo, exec_lo, s2
	v_mul_u32_u24_e32 v13, 10, v12
	s_and_saveexec_b32 s2, s12
	s_cbranch_execnz .LBB2102_77
	s_branch .LBB2102_78
.LBB2102_753:
                                        ; implicit-def: $vgpr2_vgpr3
.LBB2102_754:
	s_wait_loadcnt 0x0
	s_wait_xcnt 0x2
	v_mov_b64_e32 v[0:1], 0
	s_mov_b32 s0, 0
.LBB2102_755:                           ; =>This Inner Loop Header: Depth=1
	s_wait_xcnt 0x0
	s_mov_b32 s1, s0
	s_add_co_i32 s0, s0, 8
	scratch_store_b64 off, v[0:1], s1
	s_cmp_lg_u32 s0, 16
	s_cbranch_scc1 .LBB2102_755
; %bb.756:
	s_mov_b32 s0, 0
.LBB2102_757:                           ; =>This Inner Loop Header: Depth=1
	s_wait_xcnt 0x0
	s_add_co_i32 s1, s0, 0xc8
	s_add_co_i32 s2, s0, 0x1b8
	scratch_load_b64 v[0:1], off, s1
	scratch_load_b64 v[2:3], off, s2
                                        ; kill: killed $sgpr1
	s_wait_xcnt 0x1
	s_mov_b32 s1, s0
	s_add_co_i32 s0, s0, 8
                                        ; kill: killed $sgpr2
	s_delay_alu instid0(SALU_CYCLE_1)
	s_cmp_lg_u32 s0, 16
	s_wait_loadcnt 0x0
	v_dual_add_nc_u32 v1, v3, v1 :: v_dual_add_nc_u32 v0, v2, v0
	scratch_store_b64 off, v[0:1], s1
	s_cbranch_scc1 .LBB2102_757
; %bb.758:
	scratch_load_b128 v[0:3], off, off
	s_wait_loadcnt 0x0
	s_clause 0x1
	scratch_store_b128 off, v[0:3], off offset:440
	scratch_store_b8 off, v4, off offset:456
	s_wait_xcnt 0x0
	s_and_saveexec_b32 s0, s4
	s_cbranch_execnz .LBB2102_686
	s_branch .LBB2102_687
	.section	.rodata,"a",@progbits
	.p2align	6, 0x0
	.amdhsa_kernel _ZN7rocprim17ROCPRIM_400000_NS6detail17trampoline_kernelINS0_14default_configENS1_27scan_by_key_config_selectorIj11FixedVectorIiLj4EEEEZZNS1_16scan_by_key_implILNS1_25lookback_scan_determinismE0ELb1ES3_N6thrust23THRUST_200600_302600_NS6detail15normal_iteratorINSB_10device_ptrIjEEEENSD_INSE_IS6_EEEESI_S6_NSB_4plusIvEENSB_8equal_toIvEES6_EE10hipError_tPvRmT2_T3_T4_T5_mT6_T7_P12ihipStream_tbENKUlT_T0_E_clISt17integral_constantIbLb0EES12_IbLb1EEEEDaSY_SZ_EUlSY_E_NS1_11comp_targetILNS1_3genE0ELNS1_11target_archE4294967295ELNS1_3gpuE0ELNS1_3repE0EEENS1_30default_config_static_selectorELNS0_4arch9wavefront6targetE0EEEvT1_
		.amdhsa_group_segment_fixed_size 20480
		.amdhsa_private_segment_fixed_size 464
		.amdhsa_kernarg_size 144
		.amdhsa_user_sgpr_count 4
		.amdhsa_user_sgpr_dispatch_ptr 1
		.amdhsa_user_sgpr_queue_ptr 0
		.amdhsa_user_sgpr_kernarg_segment_ptr 1
		.amdhsa_user_sgpr_dispatch_id 0
		.amdhsa_user_sgpr_kernarg_preload_length 0
		.amdhsa_user_sgpr_kernarg_preload_offset 0
		.amdhsa_user_sgpr_private_segment_size 0
		.amdhsa_wavefront_size32 1
		.amdhsa_uses_dynamic_stack 0
		.amdhsa_enable_private_segment 1
		.amdhsa_system_sgpr_workgroup_id_x 1
		.amdhsa_system_sgpr_workgroup_id_y 0
		.amdhsa_system_sgpr_workgroup_id_z 0
		.amdhsa_system_sgpr_workgroup_info 0
		.amdhsa_system_vgpr_workitem_id 2
		.amdhsa_next_free_vgpr 113
		.amdhsa_next_free_sgpr 64
		.amdhsa_named_barrier_count 0
		.amdhsa_reserve_vcc 1
		.amdhsa_float_round_mode_32 0
		.amdhsa_float_round_mode_16_64 0
		.amdhsa_float_denorm_mode_32 3
		.amdhsa_float_denorm_mode_16_64 3
		.amdhsa_fp16_overflow 0
		.amdhsa_memory_ordered 1
		.amdhsa_forward_progress 1
		.amdhsa_inst_pref_size 255
		.amdhsa_round_robin_scheduling 0
		.amdhsa_exception_fp_ieee_invalid_op 0
		.amdhsa_exception_fp_denorm_src 0
		.amdhsa_exception_fp_ieee_div_zero 0
		.amdhsa_exception_fp_ieee_overflow 0
		.amdhsa_exception_fp_ieee_underflow 0
		.amdhsa_exception_fp_ieee_inexact 0
		.amdhsa_exception_int_div_zero 0
	.end_amdhsa_kernel
	.section	.text._ZN7rocprim17ROCPRIM_400000_NS6detail17trampoline_kernelINS0_14default_configENS1_27scan_by_key_config_selectorIj11FixedVectorIiLj4EEEEZZNS1_16scan_by_key_implILNS1_25lookback_scan_determinismE0ELb1ES3_N6thrust23THRUST_200600_302600_NS6detail15normal_iteratorINSB_10device_ptrIjEEEENSD_INSE_IS6_EEEESI_S6_NSB_4plusIvEENSB_8equal_toIvEES6_EE10hipError_tPvRmT2_T3_T4_T5_mT6_T7_P12ihipStream_tbENKUlT_T0_E_clISt17integral_constantIbLb0EES12_IbLb1EEEEDaSY_SZ_EUlSY_E_NS1_11comp_targetILNS1_3genE0ELNS1_11target_archE4294967295ELNS1_3gpuE0ELNS1_3repE0EEENS1_30default_config_static_selectorELNS0_4arch9wavefront6targetE0EEEvT1_,"axG",@progbits,_ZN7rocprim17ROCPRIM_400000_NS6detail17trampoline_kernelINS0_14default_configENS1_27scan_by_key_config_selectorIj11FixedVectorIiLj4EEEEZZNS1_16scan_by_key_implILNS1_25lookback_scan_determinismE0ELb1ES3_N6thrust23THRUST_200600_302600_NS6detail15normal_iteratorINSB_10device_ptrIjEEEENSD_INSE_IS6_EEEESI_S6_NSB_4plusIvEENSB_8equal_toIvEES6_EE10hipError_tPvRmT2_T3_T4_T5_mT6_T7_P12ihipStream_tbENKUlT_T0_E_clISt17integral_constantIbLb0EES12_IbLb1EEEEDaSY_SZ_EUlSY_E_NS1_11comp_targetILNS1_3genE0ELNS1_11target_archE4294967295ELNS1_3gpuE0ELNS1_3repE0EEENS1_30default_config_static_selectorELNS0_4arch9wavefront6targetE0EEEvT1_,comdat
.Lfunc_end2102:
	.size	_ZN7rocprim17ROCPRIM_400000_NS6detail17trampoline_kernelINS0_14default_configENS1_27scan_by_key_config_selectorIj11FixedVectorIiLj4EEEEZZNS1_16scan_by_key_implILNS1_25lookback_scan_determinismE0ELb1ES3_N6thrust23THRUST_200600_302600_NS6detail15normal_iteratorINSB_10device_ptrIjEEEENSD_INSE_IS6_EEEESI_S6_NSB_4plusIvEENSB_8equal_toIvEES6_EE10hipError_tPvRmT2_T3_T4_T5_mT6_T7_P12ihipStream_tbENKUlT_T0_E_clISt17integral_constantIbLb0EES12_IbLb1EEEEDaSY_SZ_EUlSY_E_NS1_11comp_targetILNS1_3genE0ELNS1_11target_archE4294967295ELNS1_3gpuE0ELNS1_3repE0EEENS1_30default_config_static_selectorELNS0_4arch9wavefront6targetE0EEEvT1_, .Lfunc_end2102-_ZN7rocprim17ROCPRIM_400000_NS6detail17trampoline_kernelINS0_14default_configENS1_27scan_by_key_config_selectorIj11FixedVectorIiLj4EEEEZZNS1_16scan_by_key_implILNS1_25lookback_scan_determinismE0ELb1ES3_N6thrust23THRUST_200600_302600_NS6detail15normal_iteratorINSB_10device_ptrIjEEEENSD_INSE_IS6_EEEESI_S6_NSB_4plusIvEENSB_8equal_toIvEES6_EE10hipError_tPvRmT2_T3_T4_T5_mT6_T7_P12ihipStream_tbENKUlT_T0_E_clISt17integral_constantIbLb0EES12_IbLb1EEEEDaSY_SZ_EUlSY_E_NS1_11comp_targetILNS1_3genE0ELNS1_11target_archE4294967295ELNS1_3gpuE0ELNS1_3repE0EEENS1_30default_config_static_selectorELNS0_4arch9wavefront6targetE0EEEvT1_
                                        ; -- End function
	.set _ZN7rocprim17ROCPRIM_400000_NS6detail17trampoline_kernelINS0_14default_configENS1_27scan_by_key_config_selectorIj11FixedVectorIiLj4EEEEZZNS1_16scan_by_key_implILNS1_25lookback_scan_determinismE0ELb1ES3_N6thrust23THRUST_200600_302600_NS6detail15normal_iteratorINSB_10device_ptrIjEEEENSD_INSE_IS6_EEEESI_S6_NSB_4plusIvEENSB_8equal_toIvEES6_EE10hipError_tPvRmT2_T3_T4_T5_mT6_T7_P12ihipStream_tbENKUlT_T0_E_clISt17integral_constantIbLb0EES12_IbLb1EEEEDaSY_SZ_EUlSY_E_NS1_11comp_targetILNS1_3genE0ELNS1_11target_archE4294967295ELNS1_3gpuE0ELNS1_3repE0EEENS1_30default_config_static_selectorELNS0_4arch9wavefront6targetE0EEEvT1_.num_vgpr, 63
	.set _ZN7rocprim17ROCPRIM_400000_NS6detail17trampoline_kernelINS0_14default_configENS1_27scan_by_key_config_selectorIj11FixedVectorIiLj4EEEEZZNS1_16scan_by_key_implILNS1_25lookback_scan_determinismE0ELb1ES3_N6thrust23THRUST_200600_302600_NS6detail15normal_iteratorINSB_10device_ptrIjEEEENSD_INSE_IS6_EEEESI_S6_NSB_4plusIvEENSB_8equal_toIvEES6_EE10hipError_tPvRmT2_T3_T4_T5_mT6_T7_P12ihipStream_tbENKUlT_T0_E_clISt17integral_constantIbLb0EES12_IbLb1EEEEDaSY_SZ_EUlSY_E_NS1_11comp_targetILNS1_3genE0ELNS1_11target_archE4294967295ELNS1_3gpuE0ELNS1_3repE0EEENS1_30default_config_static_selectorELNS0_4arch9wavefront6targetE0EEEvT1_.num_agpr, 0
	.set _ZN7rocprim17ROCPRIM_400000_NS6detail17trampoline_kernelINS0_14default_configENS1_27scan_by_key_config_selectorIj11FixedVectorIiLj4EEEEZZNS1_16scan_by_key_implILNS1_25lookback_scan_determinismE0ELb1ES3_N6thrust23THRUST_200600_302600_NS6detail15normal_iteratorINSB_10device_ptrIjEEEENSD_INSE_IS6_EEEESI_S6_NSB_4plusIvEENSB_8equal_toIvEES6_EE10hipError_tPvRmT2_T3_T4_T5_mT6_T7_P12ihipStream_tbENKUlT_T0_E_clISt17integral_constantIbLb0EES12_IbLb1EEEEDaSY_SZ_EUlSY_E_NS1_11comp_targetILNS1_3genE0ELNS1_11target_archE4294967295ELNS1_3gpuE0ELNS1_3repE0EEENS1_30default_config_static_selectorELNS0_4arch9wavefront6targetE0EEEvT1_.numbered_sgpr, 64
	.set _ZN7rocprim17ROCPRIM_400000_NS6detail17trampoline_kernelINS0_14default_configENS1_27scan_by_key_config_selectorIj11FixedVectorIiLj4EEEEZZNS1_16scan_by_key_implILNS1_25lookback_scan_determinismE0ELb1ES3_N6thrust23THRUST_200600_302600_NS6detail15normal_iteratorINSB_10device_ptrIjEEEENSD_INSE_IS6_EEEESI_S6_NSB_4plusIvEENSB_8equal_toIvEES6_EE10hipError_tPvRmT2_T3_T4_T5_mT6_T7_P12ihipStream_tbENKUlT_T0_E_clISt17integral_constantIbLb0EES12_IbLb1EEEEDaSY_SZ_EUlSY_E_NS1_11comp_targetILNS1_3genE0ELNS1_11target_archE4294967295ELNS1_3gpuE0ELNS1_3repE0EEENS1_30default_config_static_selectorELNS0_4arch9wavefront6targetE0EEEvT1_.num_named_barrier, 0
	.set _ZN7rocprim17ROCPRIM_400000_NS6detail17trampoline_kernelINS0_14default_configENS1_27scan_by_key_config_selectorIj11FixedVectorIiLj4EEEEZZNS1_16scan_by_key_implILNS1_25lookback_scan_determinismE0ELb1ES3_N6thrust23THRUST_200600_302600_NS6detail15normal_iteratorINSB_10device_ptrIjEEEENSD_INSE_IS6_EEEESI_S6_NSB_4plusIvEENSB_8equal_toIvEES6_EE10hipError_tPvRmT2_T3_T4_T5_mT6_T7_P12ihipStream_tbENKUlT_T0_E_clISt17integral_constantIbLb0EES12_IbLb1EEEEDaSY_SZ_EUlSY_E_NS1_11comp_targetILNS1_3genE0ELNS1_11target_archE4294967295ELNS1_3gpuE0ELNS1_3repE0EEENS1_30default_config_static_selectorELNS0_4arch9wavefront6targetE0EEEvT1_.private_seg_size, 464
	.set _ZN7rocprim17ROCPRIM_400000_NS6detail17trampoline_kernelINS0_14default_configENS1_27scan_by_key_config_selectorIj11FixedVectorIiLj4EEEEZZNS1_16scan_by_key_implILNS1_25lookback_scan_determinismE0ELb1ES3_N6thrust23THRUST_200600_302600_NS6detail15normal_iteratorINSB_10device_ptrIjEEEENSD_INSE_IS6_EEEESI_S6_NSB_4plusIvEENSB_8equal_toIvEES6_EE10hipError_tPvRmT2_T3_T4_T5_mT6_T7_P12ihipStream_tbENKUlT_T0_E_clISt17integral_constantIbLb0EES12_IbLb1EEEEDaSY_SZ_EUlSY_E_NS1_11comp_targetILNS1_3genE0ELNS1_11target_archE4294967295ELNS1_3gpuE0ELNS1_3repE0EEENS1_30default_config_static_selectorELNS0_4arch9wavefront6targetE0EEEvT1_.uses_vcc, 1
	.set _ZN7rocprim17ROCPRIM_400000_NS6detail17trampoline_kernelINS0_14default_configENS1_27scan_by_key_config_selectorIj11FixedVectorIiLj4EEEEZZNS1_16scan_by_key_implILNS1_25lookback_scan_determinismE0ELb1ES3_N6thrust23THRUST_200600_302600_NS6detail15normal_iteratorINSB_10device_ptrIjEEEENSD_INSE_IS6_EEEESI_S6_NSB_4plusIvEENSB_8equal_toIvEES6_EE10hipError_tPvRmT2_T3_T4_T5_mT6_T7_P12ihipStream_tbENKUlT_T0_E_clISt17integral_constantIbLb0EES12_IbLb1EEEEDaSY_SZ_EUlSY_E_NS1_11comp_targetILNS1_3genE0ELNS1_11target_archE4294967295ELNS1_3gpuE0ELNS1_3repE0EEENS1_30default_config_static_selectorELNS0_4arch9wavefront6targetE0EEEvT1_.uses_flat_scratch, 1
	.set _ZN7rocprim17ROCPRIM_400000_NS6detail17trampoline_kernelINS0_14default_configENS1_27scan_by_key_config_selectorIj11FixedVectorIiLj4EEEEZZNS1_16scan_by_key_implILNS1_25lookback_scan_determinismE0ELb1ES3_N6thrust23THRUST_200600_302600_NS6detail15normal_iteratorINSB_10device_ptrIjEEEENSD_INSE_IS6_EEEESI_S6_NSB_4plusIvEENSB_8equal_toIvEES6_EE10hipError_tPvRmT2_T3_T4_T5_mT6_T7_P12ihipStream_tbENKUlT_T0_E_clISt17integral_constantIbLb0EES12_IbLb1EEEEDaSY_SZ_EUlSY_E_NS1_11comp_targetILNS1_3genE0ELNS1_11target_archE4294967295ELNS1_3gpuE0ELNS1_3repE0EEENS1_30default_config_static_selectorELNS0_4arch9wavefront6targetE0EEEvT1_.has_dyn_sized_stack, 0
	.set _ZN7rocprim17ROCPRIM_400000_NS6detail17trampoline_kernelINS0_14default_configENS1_27scan_by_key_config_selectorIj11FixedVectorIiLj4EEEEZZNS1_16scan_by_key_implILNS1_25lookback_scan_determinismE0ELb1ES3_N6thrust23THRUST_200600_302600_NS6detail15normal_iteratorINSB_10device_ptrIjEEEENSD_INSE_IS6_EEEESI_S6_NSB_4plusIvEENSB_8equal_toIvEES6_EE10hipError_tPvRmT2_T3_T4_T5_mT6_T7_P12ihipStream_tbENKUlT_T0_E_clISt17integral_constantIbLb0EES12_IbLb1EEEEDaSY_SZ_EUlSY_E_NS1_11comp_targetILNS1_3genE0ELNS1_11target_archE4294967295ELNS1_3gpuE0ELNS1_3repE0EEENS1_30default_config_static_selectorELNS0_4arch9wavefront6targetE0EEEvT1_.has_recursion, 0
	.set _ZN7rocprim17ROCPRIM_400000_NS6detail17trampoline_kernelINS0_14default_configENS1_27scan_by_key_config_selectorIj11FixedVectorIiLj4EEEEZZNS1_16scan_by_key_implILNS1_25lookback_scan_determinismE0ELb1ES3_N6thrust23THRUST_200600_302600_NS6detail15normal_iteratorINSB_10device_ptrIjEEEENSD_INSE_IS6_EEEESI_S6_NSB_4plusIvEENSB_8equal_toIvEES6_EE10hipError_tPvRmT2_T3_T4_T5_mT6_T7_P12ihipStream_tbENKUlT_T0_E_clISt17integral_constantIbLb0EES12_IbLb1EEEEDaSY_SZ_EUlSY_E_NS1_11comp_targetILNS1_3genE0ELNS1_11target_archE4294967295ELNS1_3gpuE0ELNS1_3repE0EEENS1_30default_config_static_selectorELNS0_4arch9wavefront6targetE0EEEvT1_.has_indirect_call, 0
	.section	.AMDGPU.csdata,"",@progbits
; Kernel info:
; codeLenInByte = 32792
; TotalNumSgprs: 66
; NumVgprs: 63
; ScratchSize: 464
; MemoryBound: 1
; FloatMode: 240
; IeeeMode: 1
; LDSByteSize: 20480 bytes/workgroup (compile time only)
; SGPRBlocks: 0
; VGPRBlocks: 7
; NumSGPRsForWavesPerEU: 66
; NumVGPRsForWavesPerEU: 113
; NamedBarCnt: 0
; Occupancy: 8
; WaveLimiterHint : 1
; COMPUTE_PGM_RSRC2:SCRATCH_EN: 1
; COMPUTE_PGM_RSRC2:USER_SGPR: 4
; COMPUTE_PGM_RSRC2:TRAP_HANDLER: 0
; COMPUTE_PGM_RSRC2:TGID_X_EN: 1
; COMPUTE_PGM_RSRC2:TGID_Y_EN: 0
; COMPUTE_PGM_RSRC2:TGID_Z_EN: 0
; COMPUTE_PGM_RSRC2:TIDIG_COMP_CNT: 2
	.section	.text._ZN7rocprim17ROCPRIM_400000_NS6detail17trampoline_kernelINS0_14default_configENS1_27scan_by_key_config_selectorIj11FixedVectorIiLj4EEEEZZNS1_16scan_by_key_implILNS1_25lookback_scan_determinismE0ELb1ES3_N6thrust23THRUST_200600_302600_NS6detail15normal_iteratorINSB_10device_ptrIjEEEENSD_INSE_IS6_EEEESI_S6_NSB_4plusIvEENSB_8equal_toIvEES6_EE10hipError_tPvRmT2_T3_T4_T5_mT6_T7_P12ihipStream_tbENKUlT_T0_E_clISt17integral_constantIbLb0EES12_IbLb1EEEEDaSY_SZ_EUlSY_E_NS1_11comp_targetILNS1_3genE10ELNS1_11target_archE1201ELNS1_3gpuE5ELNS1_3repE0EEENS1_30default_config_static_selectorELNS0_4arch9wavefront6targetE0EEEvT1_,"axG",@progbits,_ZN7rocprim17ROCPRIM_400000_NS6detail17trampoline_kernelINS0_14default_configENS1_27scan_by_key_config_selectorIj11FixedVectorIiLj4EEEEZZNS1_16scan_by_key_implILNS1_25lookback_scan_determinismE0ELb1ES3_N6thrust23THRUST_200600_302600_NS6detail15normal_iteratorINSB_10device_ptrIjEEEENSD_INSE_IS6_EEEESI_S6_NSB_4plusIvEENSB_8equal_toIvEES6_EE10hipError_tPvRmT2_T3_T4_T5_mT6_T7_P12ihipStream_tbENKUlT_T0_E_clISt17integral_constantIbLb0EES12_IbLb1EEEEDaSY_SZ_EUlSY_E_NS1_11comp_targetILNS1_3genE10ELNS1_11target_archE1201ELNS1_3gpuE5ELNS1_3repE0EEENS1_30default_config_static_selectorELNS0_4arch9wavefront6targetE0EEEvT1_,comdat
	.protected	_ZN7rocprim17ROCPRIM_400000_NS6detail17trampoline_kernelINS0_14default_configENS1_27scan_by_key_config_selectorIj11FixedVectorIiLj4EEEEZZNS1_16scan_by_key_implILNS1_25lookback_scan_determinismE0ELb1ES3_N6thrust23THRUST_200600_302600_NS6detail15normal_iteratorINSB_10device_ptrIjEEEENSD_INSE_IS6_EEEESI_S6_NSB_4plusIvEENSB_8equal_toIvEES6_EE10hipError_tPvRmT2_T3_T4_T5_mT6_T7_P12ihipStream_tbENKUlT_T0_E_clISt17integral_constantIbLb0EES12_IbLb1EEEEDaSY_SZ_EUlSY_E_NS1_11comp_targetILNS1_3genE10ELNS1_11target_archE1201ELNS1_3gpuE5ELNS1_3repE0EEENS1_30default_config_static_selectorELNS0_4arch9wavefront6targetE0EEEvT1_ ; -- Begin function _ZN7rocprim17ROCPRIM_400000_NS6detail17trampoline_kernelINS0_14default_configENS1_27scan_by_key_config_selectorIj11FixedVectorIiLj4EEEEZZNS1_16scan_by_key_implILNS1_25lookback_scan_determinismE0ELb1ES3_N6thrust23THRUST_200600_302600_NS6detail15normal_iteratorINSB_10device_ptrIjEEEENSD_INSE_IS6_EEEESI_S6_NSB_4plusIvEENSB_8equal_toIvEES6_EE10hipError_tPvRmT2_T3_T4_T5_mT6_T7_P12ihipStream_tbENKUlT_T0_E_clISt17integral_constantIbLb0EES12_IbLb1EEEEDaSY_SZ_EUlSY_E_NS1_11comp_targetILNS1_3genE10ELNS1_11target_archE1201ELNS1_3gpuE5ELNS1_3repE0EEENS1_30default_config_static_selectorELNS0_4arch9wavefront6targetE0EEEvT1_
	.globl	_ZN7rocprim17ROCPRIM_400000_NS6detail17trampoline_kernelINS0_14default_configENS1_27scan_by_key_config_selectorIj11FixedVectorIiLj4EEEEZZNS1_16scan_by_key_implILNS1_25lookback_scan_determinismE0ELb1ES3_N6thrust23THRUST_200600_302600_NS6detail15normal_iteratorINSB_10device_ptrIjEEEENSD_INSE_IS6_EEEESI_S6_NSB_4plusIvEENSB_8equal_toIvEES6_EE10hipError_tPvRmT2_T3_T4_T5_mT6_T7_P12ihipStream_tbENKUlT_T0_E_clISt17integral_constantIbLb0EES12_IbLb1EEEEDaSY_SZ_EUlSY_E_NS1_11comp_targetILNS1_3genE10ELNS1_11target_archE1201ELNS1_3gpuE5ELNS1_3repE0EEENS1_30default_config_static_selectorELNS0_4arch9wavefront6targetE0EEEvT1_
	.p2align	8
	.type	_ZN7rocprim17ROCPRIM_400000_NS6detail17trampoline_kernelINS0_14default_configENS1_27scan_by_key_config_selectorIj11FixedVectorIiLj4EEEEZZNS1_16scan_by_key_implILNS1_25lookback_scan_determinismE0ELb1ES3_N6thrust23THRUST_200600_302600_NS6detail15normal_iteratorINSB_10device_ptrIjEEEENSD_INSE_IS6_EEEESI_S6_NSB_4plusIvEENSB_8equal_toIvEES6_EE10hipError_tPvRmT2_T3_T4_T5_mT6_T7_P12ihipStream_tbENKUlT_T0_E_clISt17integral_constantIbLb0EES12_IbLb1EEEEDaSY_SZ_EUlSY_E_NS1_11comp_targetILNS1_3genE10ELNS1_11target_archE1201ELNS1_3gpuE5ELNS1_3repE0EEENS1_30default_config_static_selectorELNS0_4arch9wavefront6targetE0EEEvT1_,@function
_ZN7rocprim17ROCPRIM_400000_NS6detail17trampoline_kernelINS0_14default_configENS1_27scan_by_key_config_selectorIj11FixedVectorIiLj4EEEEZZNS1_16scan_by_key_implILNS1_25lookback_scan_determinismE0ELb1ES3_N6thrust23THRUST_200600_302600_NS6detail15normal_iteratorINSB_10device_ptrIjEEEENSD_INSE_IS6_EEEESI_S6_NSB_4plusIvEENSB_8equal_toIvEES6_EE10hipError_tPvRmT2_T3_T4_T5_mT6_T7_P12ihipStream_tbENKUlT_T0_E_clISt17integral_constantIbLb0EES12_IbLb1EEEEDaSY_SZ_EUlSY_E_NS1_11comp_targetILNS1_3genE10ELNS1_11target_archE1201ELNS1_3gpuE5ELNS1_3repE0EEENS1_30default_config_static_selectorELNS0_4arch9wavefront6targetE0EEEvT1_: ; @_ZN7rocprim17ROCPRIM_400000_NS6detail17trampoline_kernelINS0_14default_configENS1_27scan_by_key_config_selectorIj11FixedVectorIiLj4EEEEZZNS1_16scan_by_key_implILNS1_25lookback_scan_determinismE0ELb1ES3_N6thrust23THRUST_200600_302600_NS6detail15normal_iteratorINSB_10device_ptrIjEEEENSD_INSE_IS6_EEEESI_S6_NSB_4plusIvEENSB_8equal_toIvEES6_EE10hipError_tPvRmT2_T3_T4_T5_mT6_T7_P12ihipStream_tbENKUlT_T0_E_clISt17integral_constantIbLb0EES12_IbLb1EEEEDaSY_SZ_EUlSY_E_NS1_11comp_targetILNS1_3genE10ELNS1_11target_archE1201ELNS1_3gpuE5ELNS1_3repE0EEENS1_30default_config_static_selectorELNS0_4arch9wavefront6targetE0EEEvT1_
; %bb.0:
	.section	.rodata,"a",@progbits
	.p2align	6, 0x0
	.amdhsa_kernel _ZN7rocprim17ROCPRIM_400000_NS6detail17trampoline_kernelINS0_14default_configENS1_27scan_by_key_config_selectorIj11FixedVectorIiLj4EEEEZZNS1_16scan_by_key_implILNS1_25lookback_scan_determinismE0ELb1ES3_N6thrust23THRUST_200600_302600_NS6detail15normal_iteratorINSB_10device_ptrIjEEEENSD_INSE_IS6_EEEESI_S6_NSB_4plusIvEENSB_8equal_toIvEES6_EE10hipError_tPvRmT2_T3_T4_T5_mT6_T7_P12ihipStream_tbENKUlT_T0_E_clISt17integral_constantIbLb0EES12_IbLb1EEEEDaSY_SZ_EUlSY_E_NS1_11comp_targetILNS1_3genE10ELNS1_11target_archE1201ELNS1_3gpuE5ELNS1_3repE0EEENS1_30default_config_static_selectorELNS0_4arch9wavefront6targetE0EEEvT1_
		.amdhsa_group_segment_fixed_size 0
		.amdhsa_private_segment_fixed_size 0
		.amdhsa_kernarg_size 144
		.amdhsa_user_sgpr_count 2
		.amdhsa_user_sgpr_dispatch_ptr 0
		.amdhsa_user_sgpr_queue_ptr 0
		.amdhsa_user_sgpr_kernarg_segment_ptr 1
		.amdhsa_user_sgpr_dispatch_id 0
		.amdhsa_user_sgpr_kernarg_preload_length 0
		.amdhsa_user_sgpr_kernarg_preload_offset 0
		.amdhsa_user_sgpr_private_segment_size 0
		.amdhsa_wavefront_size32 1
		.amdhsa_uses_dynamic_stack 0
		.amdhsa_enable_private_segment 0
		.amdhsa_system_sgpr_workgroup_id_x 1
		.amdhsa_system_sgpr_workgroup_id_y 0
		.amdhsa_system_sgpr_workgroup_id_z 0
		.amdhsa_system_sgpr_workgroup_info 0
		.amdhsa_system_vgpr_workitem_id 0
		.amdhsa_next_free_vgpr 1
		.amdhsa_next_free_sgpr 1
		.amdhsa_named_barrier_count 0
		.amdhsa_reserve_vcc 0
		.amdhsa_float_round_mode_32 0
		.amdhsa_float_round_mode_16_64 0
		.amdhsa_float_denorm_mode_32 3
		.amdhsa_float_denorm_mode_16_64 3
		.amdhsa_fp16_overflow 0
		.amdhsa_memory_ordered 1
		.amdhsa_forward_progress 1
		.amdhsa_inst_pref_size 0
		.amdhsa_round_robin_scheduling 0
		.amdhsa_exception_fp_ieee_invalid_op 0
		.amdhsa_exception_fp_denorm_src 0
		.amdhsa_exception_fp_ieee_div_zero 0
		.amdhsa_exception_fp_ieee_overflow 0
		.amdhsa_exception_fp_ieee_underflow 0
		.amdhsa_exception_fp_ieee_inexact 0
		.amdhsa_exception_int_div_zero 0
	.end_amdhsa_kernel
	.section	.text._ZN7rocprim17ROCPRIM_400000_NS6detail17trampoline_kernelINS0_14default_configENS1_27scan_by_key_config_selectorIj11FixedVectorIiLj4EEEEZZNS1_16scan_by_key_implILNS1_25lookback_scan_determinismE0ELb1ES3_N6thrust23THRUST_200600_302600_NS6detail15normal_iteratorINSB_10device_ptrIjEEEENSD_INSE_IS6_EEEESI_S6_NSB_4plusIvEENSB_8equal_toIvEES6_EE10hipError_tPvRmT2_T3_T4_T5_mT6_T7_P12ihipStream_tbENKUlT_T0_E_clISt17integral_constantIbLb0EES12_IbLb1EEEEDaSY_SZ_EUlSY_E_NS1_11comp_targetILNS1_3genE10ELNS1_11target_archE1201ELNS1_3gpuE5ELNS1_3repE0EEENS1_30default_config_static_selectorELNS0_4arch9wavefront6targetE0EEEvT1_,"axG",@progbits,_ZN7rocprim17ROCPRIM_400000_NS6detail17trampoline_kernelINS0_14default_configENS1_27scan_by_key_config_selectorIj11FixedVectorIiLj4EEEEZZNS1_16scan_by_key_implILNS1_25lookback_scan_determinismE0ELb1ES3_N6thrust23THRUST_200600_302600_NS6detail15normal_iteratorINSB_10device_ptrIjEEEENSD_INSE_IS6_EEEESI_S6_NSB_4plusIvEENSB_8equal_toIvEES6_EE10hipError_tPvRmT2_T3_T4_T5_mT6_T7_P12ihipStream_tbENKUlT_T0_E_clISt17integral_constantIbLb0EES12_IbLb1EEEEDaSY_SZ_EUlSY_E_NS1_11comp_targetILNS1_3genE10ELNS1_11target_archE1201ELNS1_3gpuE5ELNS1_3repE0EEENS1_30default_config_static_selectorELNS0_4arch9wavefront6targetE0EEEvT1_,comdat
.Lfunc_end2103:
	.size	_ZN7rocprim17ROCPRIM_400000_NS6detail17trampoline_kernelINS0_14default_configENS1_27scan_by_key_config_selectorIj11FixedVectorIiLj4EEEEZZNS1_16scan_by_key_implILNS1_25lookback_scan_determinismE0ELb1ES3_N6thrust23THRUST_200600_302600_NS6detail15normal_iteratorINSB_10device_ptrIjEEEENSD_INSE_IS6_EEEESI_S6_NSB_4plusIvEENSB_8equal_toIvEES6_EE10hipError_tPvRmT2_T3_T4_T5_mT6_T7_P12ihipStream_tbENKUlT_T0_E_clISt17integral_constantIbLb0EES12_IbLb1EEEEDaSY_SZ_EUlSY_E_NS1_11comp_targetILNS1_3genE10ELNS1_11target_archE1201ELNS1_3gpuE5ELNS1_3repE0EEENS1_30default_config_static_selectorELNS0_4arch9wavefront6targetE0EEEvT1_, .Lfunc_end2103-_ZN7rocprim17ROCPRIM_400000_NS6detail17trampoline_kernelINS0_14default_configENS1_27scan_by_key_config_selectorIj11FixedVectorIiLj4EEEEZZNS1_16scan_by_key_implILNS1_25lookback_scan_determinismE0ELb1ES3_N6thrust23THRUST_200600_302600_NS6detail15normal_iteratorINSB_10device_ptrIjEEEENSD_INSE_IS6_EEEESI_S6_NSB_4plusIvEENSB_8equal_toIvEES6_EE10hipError_tPvRmT2_T3_T4_T5_mT6_T7_P12ihipStream_tbENKUlT_T0_E_clISt17integral_constantIbLb0EES12_IbLb1EEEEDaSY_SZ_EUlSY_E_NS1_11comp_targetILNS1_3genE10ELNS1_11target_archE1201ELNS1_3gpuE5ELNS1_3repE0EEENS1_30default_config_static_selectorELNS0_4arch9wavefront6targetE0EEEvT1_
                                        ; -- End function
	.set _ZN7rocprim17ROCPRIM_400000_NS6detail17trampoline_kernelINS0_14default_configENS1_27scan_by_key_config_selectorIj11FixedVectorIiLj4EEEEZZNS1_16scan_by_key_implILNS1_25lookback_scan_determinismE0ELb1ES3_N6thrust23THRUST_200600_302600_NS6detail15normal_iteratorINSB_10device_ptrIjEEEENSD_INSE_IS6_EEEESI_S6_NSB_4plusIvEENSB_8equal_toIvEES6_EE10hipError_tPvRmT2_T3_T4_T5_mT6_T7_P12ihipStream_tbENKUlT_T0_E_clISt17integral_constantIbLb0EES12_IbLb1EEEEDaSY_SZ_EUlSY_E_NS1_11comp_targetILNS1_3genE10ELNS1_11target_archE1201ELNS1_3gpuE5ELNS1_3repE0EEENS1_30default_config_static_selectorELNS0_4arch9wavefront6targetE0EEEvT1_.num_vgpr, 0
	.set _ZN7rocprim17ROCPRIM_400000_NS6detail17trampoline_kernelINS0_14default_configENS1_27scan_by_key_config_selectorIj11FixedVectorIiLj4EEEEZZNS1_16scan_by_key_implILNS1_25lookback_scan_determinismE0ELb1ES3_N6thrust23THRUST_200600_302600_NS6detail15normal_iteratorINSB_10device_ptrIjEEEENSD_INSE_IS6_EEEESI_S6_NSB_4plusIvEENSB_8equal_toIvEES6_EE10hipError_tPvRmT2_T3_T4_T5_mT6_T7_P12ihipStream_tbENKUlT_T0_E_clISt17integral_constantIbLb0EES12_IbLb1EEEEDaSY_SZ_EUlSY_E_NS1_11comp_targetILNS1_3genE10ELNS1_11target_archE1201ELNS1_3gpuE5ELNS1_3repE0EEENS1_30default_config_static_selectorELNS0_4arch9wavefront6targetE0EEEvT1_.num_agpr, 0
	.set _ZN7rocprim17ROCPRIM_400000_NS6detail17trampoline_kernelINS0_14default_configENS1_27scan_by_key_config_selectorIj11FixedVectorIiLj4EEEEZZNS1_16scan_by_key_implILNS1_25lookback_scan_determinismE0ELb1ES3_N6thrust23THRUST_200600_302600_NS6detail15normal_iteratorINSB_10device_ptrIjEEEENSD_INSE_IS6_EEEESI_S6_NSB_4plusIvEENSB_8equal_toIvEES6_EE10hipError_tPvRmT2_T3_T4_T5_mT6_T7_P12ihipStream_tbENKUlT_T0_E_clISt17integral_constantIbLb0EES12_IbLb1EEEEDaSY_SZ_EUlSY_E_NS1_11comp_targetILNS1_3genE10ELNS1_11target_archE1201ELNS1_3gpuE5ELNS1_3repE0EEENS1_30default_config_static_selectorELNS0_4arch9wavefront6targetE0EEEvT1_.numbered_sgpr, 0
	.set _ZN7rocprim17ROCPRIM_400000_NS6detail17trampoline_kernelINS0_14default_configENS1_27scan_by_key_config_selectorIj11FixedVectorIiLj4EEEEZZNS1_16scan_by_key_implILNS1_25lookback_scan_determinismE0ELb1ES3_N6thrust23THRUST_200600_302600_NS6detail15normal_iteratorINSB_10device_ptrIjEEEENSD_INSE_IS6_EEEESI_S6_NSB_4plusIvEENSB_8equal_toIvEES6_EE10hipError_tPvRmT2_T3_T4_T5_mT6_T7_P12ihipStream_tbENKUlT_T0_E_clISt17integral_constantIbLb0EES12_IbLb1EEEEDaSY_SZ_EUlSY_E_NS1_11comp_targetILNS1_3genE10ELNS1_11target_archE1201ELNS1_3gpuE5ELNS1_3repE0EEENS1_30default_config_static_selectorELNS0_4arch9wavefront6targetE0EEEvT1_.num_named_barrier, 0
	.set _ZN7rocprim17ROCPRIM_400000_NS6detail17trampoline_kernelINS0_14default_configENS1_27scan_by_key_config_selectorIj11FixedVectorIiLj4EEEEZZNS1_16scan_by_key_implILNS1_25lookback_scan_determinismE0ELb1ES3_N6thrust23THRUST_200600_302600_NS6detail15normal_iteratorINSB_10device_ptrIjEEEENSD_INSE_IS6_EEEESI_S6_NSB_4plusIvEENSB_8equal_toIvEES6_EE10hipError_tPvRmT2_T3_T4_T5_mT6_T7_P12ihipStream_tbENKUlT_T0_E_clISt17integral_constantIbLb0EES12_IbLb1EEEEDaSY_SZ_EUlSY_E_NS1_11comp_targetILNS1_3genE10ELNS1_11target_archE1201ELNS1_3gpuE5ELNS1_3repE0EEENS1_30default_config_static_selectorELNS0_4arch9wavefront6targetE0EEEvT1_.private_seg_size, 0
	.set _ZN7rocprim17ROCPRIM_400000_NS6detail17trampoline_kernelINS0_14default_configENS1_27scan_by_key_config_selectorIj11FixedVectorIiLj4EEEEZZNS1_16scan_by_key_implILNS1_25lookback_scan_determinismE0ELb1ES3_N6thrust23THRUST_200600_302600_NS6detail15normal_iteratorINSB_10device_ptrIjEEEENSD_INSE_IS6_EEEESI_S6_NSB_4plusIvEENSB_8equal_toIvEES6_EE10hipError_tPvRmT2_T3_T4_T5_mT6_T7_P12ihipStream_tbENKUlT_T0_E_clISt17integral_constantIbLb0EES12_IbLb1EEEEDaSY_SZ_EUlSY_E_NS1_11comp_targetILNS1_3genE10ELNS1_11target_archE1201ELNS1_3gpuE5ELNS1_3repE0EEENS1_30default_config_static_selectorELNS0_4arch9wavefront6targetE0EEEvT1_.uses_vcc, 0
	.set _ZN7rocprim17ROCPRIM_400000_NS6detail17trampoline_kernelINS0_14default_configENS1_27scan_by_key_config_selectorIj11FixedVectorIiLj4EEEEZZNS1_16scan_by_key_implILNS1_25lookback_scan_determinismE0ELb1ES3_N6thrust23THRUST_200600_302600_NS6detail15normal_iteratorINSB_10device_ptrIjEEEENSD_INSE_IS6_EEEESI_S6_NSB_4plusIvEENSB_8equal_toIvEES6_EE10hipError_tPvRmT2_T3_T4_T5_mT6_T7_P12ihipStream_tbENKUlT_T0_E_clISt17integral_constantIbLb0EES12_IbLb1EEEEDaSY_SZ_EUlSY_E_NS1_11comp_targetILNS1_3genE10ELNS1_11target_archE1201ELNS1_3gpuE5ELNS1_3repE0EEENS1_30default_config_static_selectorELNS0_4arch9wavefront6targetE0EEEvT1_.uses_flat_scratch, 0
	.set _ZN7rocprim17ROCPRIM_400000_NS6detail17trampoline_kernelINS0_14default_configENS1_27scan_by_key_config_selectorIj11FixedVectorIiLj4EEEEZZNS1_16scan_by_key_implILNS1_25lookback_scan_determinismE0ELb1ES3_N6thrust23THRUST_200600_302600_NS6detail15normal_iteratorINSB_10device_ptrIjEEEENSD_INSE_IS6_EEEESI_S6_NSB_4plusIvEENSB_8equal_toIvEES6_EE10hipError_tPvRmT2_T3_T4_T5_mT6_T7_P12ihipStream_tbENKUlT_T0_E_clISt17integral_constantIbLb0EES12_IbLb1EEEEDaSY_SZ_EUlSY_E_NS1_11comp_targetILNS1_3genE10ELNS1_11target_archE1201ELNS1_3gpuE5ELNS1_3repE0EEENS1_30default_config_static_selectorELNS0_4arch9wavefront6targetE0EEEvT1_.has_dyn_sized_stack, 0
	.set _ZN7rocprim17ROCPRIM_400000_NS6detail17trampoline_kernelINS0_14default_configENS1_27scan_by_key_config_selectorIj11FixedVectorIiLj4EEEEZZNS1_16scan_by_key_implILNS1_25lookback_scan_determinismE0ELb1ES3_N6thrust23THRUST_200600_302600_NS6detail15normal_iteratorINSB_10device_ptrIjEEEENSD_INSE_IS6_EEEESI_S6_NSB_4plusIvEENSB_8equal_toIvEES6_EE10hipError_tPvRmT2_T3_T4_T5_mT6_T7_P12ihipStream_tbENKUlT_T0_E_clISt17integral_constantIbLb0EES12_IbLb1EEEEDaSY_SZ_EUlSY_E_NS1_11comp_targetILNS1_3genE10ELNS1_11target_archE1201ELNS1_3gpuE5ELNS1_3repE0EEENS1_30default_config_static_selectorELNS0_4arch9wavefront6targetE0EEEvT1_.has_recursion, 0
	.set _ZN7rocprim17ROCPRIM_400000_NS6detail17trampoline_kernelINS0_14default_configENS1_27scan_by_key_config_selectorIj11FixedVectorIiLj4EEEEZZNS1_16scan_by_key_implILNS1_25lookback_scan_determinismE0ELb1ES3_N6thrust23THRUST_200600_302600_NS6detail15normal_iteratorINSB_10device_ptrIjEEEENSD_INSE_IS6_EEEESI_S6_NSB_4plusIvEENSB_8equal_toIvEES6_EE10hipError_tPvRmT2_T3_T4_T5_mT6_T7_P12ihipStream_tbENKUlT_T0_E_clISt17integral_constantIbLb0EES12_IbLb1EEEEDaSY_SZ_EUlSY_E_NS1_11comp_targetILNS1_3genE10ELNS1_11target_archE1201ELNS1_3gpuE5ELNS1_3repE0EEENS1_30default_config_static_selectorELNS0_4arch9wavefront6targetE0EEEvT1_.has_indirect_call, 0
	.section	.AMDGPU.csdata,"",@progbits
; Kernel info:
; codeLenInByte = 0
; TotalNumSgprs: 0
; NumVgprs: 0
; ScratchSize: 0
; MemoryBound: 0
; FloatMode: 240
; IeeeMode: 1
; LDSByteSize: 0 bytes/workgroup (compile time only)
; SGPRBlocks: 0
; VGPRBlocks: 0
; NumSGPRsForWavesPerEU: 1
; NumVGPRsForWavesPerEU: 1
; NamedBarCnt: 0
; Occupancy: 16
; WaveLimiterHint : 0
; COMPUTE_PGM_RSRC2:SCRATCH_EN: 0
; COMPUTE_PGM_RSRC2:USER_SGPR: 2
; COMPUTE_PGM_RSRC2:TRAP_HANDLER: 0
; COMPUTE_PGM_RSRC2:TGID_X_EN: 1
; COMPUTE_PGM_RSRC2:TGID_Y_EN: 0
; COMPUTE_PGM_RSRC2:TGID_Z_EN: 0
; COMPUTE_PGM_RSRC2:TIDIG_COMP_CNT: 0
	.section	.text._ZN7rocprim17ROCPRIM_400000_NS6detail17trampoline_kernelINS0_14default_configENS1_27scan_by_key_config_selectorIj11FixedVectorIiLj4EEEEZZNS1_16scan_by_key_implILNS1_25lookback_scan_determinismE0ELb1ES3_N6thrust23THRUST_200600_302600_NS6detail15normal_iteratorINSB_10device_ptrIjEEEENSD_INSE_IS6_EEEESI_S6_NSB_4plusIvEENSB_8equal_toIvEES6_EE10hipError_tPvRmT2_T3_T4_T5_mT6_T7_P12ihipStream_tbENKUlT_T0_E_clISt17integral_constantIbLb0EES12_IbLb1EEEEDaSY_SZ_EUlSY_E_NS1_11comp_targetILNS1_3genE5ELNS1_11target_archE942ELNS1_3gpuE9ELNS1_3repE0EEENS1_30default_config_static_selectorELNS0_4arch9wavefront6targetE0EEEvT1_,"axG",@progbits,_ZN7rocprim17ROCPRIM_400000_NS6detail17trampoline_kernelINS0_14default_configENS1_27scan_by_key_config_selectorIj11FixedVectorIiLj4EEEEZZNS1_16scan_by_key_implILNS1_25lookback_scan_determinismE0ELb1ES3_N6thrust23THRUST_200600_302600_NS6detail15normal_iteratorINSB_10device_ptrIjEEEENSD_INSE_IS6_EEEESI_S6_NSB_4plusIvEENSB_8equal_toIvEES6_EE10hipError_tPvRmT2_T3_T4_T5_mT6_T7_P12ihipStream_tbENKUlT_T0_E_clISt17integral_constantIbLb0EES12_IbLb1EEEEDaSY_SZ_EUlSY_E_NS1_11comp_targetILNS1_3genE5ELNS1_11target_archE942ELNS1_3gpuE9ELNS1_3repE0EEENS1_30default_config_static_selectorELNS0_4arch9wavefront6targetE0EEEvT1_,comdat
	.protected	_ZN7rocprim17ROCPRIM_400000_NS6detail17trampoline_kernelINS0_14default_configENS1_27scan_by_key_config_selectorIj11FixedVectorIiLj4EEEEZZNS1_16scan_by_key_implILNS1_25lookback_scan_determinismE0ELb1ES3_N6thrust23THRUST_200600_302600_NS6detail15normal_iteratorINSB_10device_ptrIjEEEENSD_INSE_IS6_EEEESI_S6_NSB_4plusIvEENSB_8equal_toIvEES6_EE10hipError_tPvRmT2_T3_T4_T5_mT6_T7_P12ihipStream_tbENKUlT_T0_E_clISt17integral_constantIbLb0EES12_IbLb1EEEEDaSY_SZ_EUlSY_E_NS1_11comp_targetILNS1_3genE5ELNS1_11target_archE942ELNS1_3gpuE9ELNS1_3repE0EEENS1_30default_config_static_selectorELNS0_4arch9wavefront6targetE0EEEvT1_ ; -- Begin function _ZN7rocprim17ROCPRIM_400000_NS6detail17trampoline_kernelINS0_14default_configENS1_27scan_by_key_config_selectorIj11FixedVectorIiLj4EEEEZZNS1_16scan_by_key_implILNS1_25lookback_scan_determinismE0ELb1ES3_N6thrust23THRUST_200600_302600_NS6detail15normal_iteratorINSB_10device_ptrIjEEEENSD_INSE_IS6_EEEESI_S6_NSB_4plusIvEENSB_8equal_toIvEES6_EE10hipError_tPvRmT2_T3_T4_T5_mT6_T7_P12ihipStream_tbENKUlT_T0_E_clISt17integral_constantIbLb0EES12_IbLb1EEEEDaSY_SZ_EUlSY_E_NS1_11comp_targetILNS1_3genE5ELNS1_11target_archE942ELNS1_3gpuE9ELNS1_3repE0EEENS1_30default_config_static_selectorELNS0_4arch9wavefront6targetE0EEEvT1_
	.globl	_ZN7rocprim17ROCPRIM_400000_NS6detail17trampoline_kernelINS0_14default_configENS1_27scan_by_key_config_selectorIj11FixedVectorIiLj4EEEEZZNS1_16scan_by_key_implILNS1_25lookback_scan_determinismE0ELb1ES3_N6thrust23THRUST_200600_302600_NS6detail15normal_iteratorINSB_10device_ptrIjEEEENSD_INSE_IS6_EEEESI_S6_NSB_4plusIvEENSB_8equal_toIvEES6_EE10hipError_tPvRmT2_T3_T4_T5_mT6_T7_P12ihipStream_tbENKUlT_T0_E_clISt17integral_constantIbLb0EES12_IbLb1EEEEDaSY_SZ_EUlSY_E_NS1_11comp_targetILNS1_3genE5ELNS1_11target_archE942ELNS1_3gpuE9ELNS1_3repE0EEENS1_30default_config_static_selectorELNS0_4arch9wavefront6targetE0EEEvT1_
	.p2align	8
	.type	_ZN7rocprim17ROCPRIM_400000_NS6detail17trampoline_kernelINS0_14default_configENS1_27scan_by_key_config_selectorIj11FixedVectorIiLj4EEEEZZNS1_16scan_by_key_implILNS1_25lookback_scan_determinismE0ELb1ES3_N6thrust23THRUST_200600_302600_NS6detail15normal_iteratorINSB_10device_ptrIjEEEENSD_INSE_IS6_EEEESI_S6_NSB_4plusIvEENSB_8equal_toIvEES6_EE10hipError_tPvRmT2_T3_T4_T5_mT6_T7_P12ihipStream_tbENKUlT_T0_E_clISt17integral_constantIbLb0EES12_IbLb1EEEEDaSY_SZ_EUlSY_E_NS1_11comp_targetILNS1_3genE5ELNS1_11target_archE942ELNS1_3gpuE9ELNS1_3repE0EEENS1_30default_config_static_selectorELNS0_4arch9wavefront6targetE0EEEvT1_,@function
_ZN7rocprim17ROCPRIM_400000_NS6detail17trampoline_kernelINS0_14default_configENS1_27scan_by_key_config_selectorIj11FixedVectorIiLj4EEEEZZNS1_16scan_by_key_implILNS1_25lookback_scan_determinismE0ELb1ES3_N6thrust23THRUST_200600_302600_NS6detail15normal_iteratorINSB_10device_ptrIjEEEENSD_INSE_IS6_EEEESI_S6_NSB_4plusIvEENSB_8equal_toIvEES6_EE10hipError_tPvRmT2_T3_T4_T5_mT6_T7_P12ihipStream_tbENKUlT_T0_E_clISt17integral_constantIbLb0EES12_IbLb1EEEEDaSY_SZ_EUlSY_E_NS1_11comp_targetILNS1_3genE5ELNS1_11target_archE942ELNS1_3gpuE9ELNS1_3repE0EEENS1_30default_config_static_selectorELNS0_4arch9wavefront6targetE0EEEvT1_: ; @_ZN7rocprim17ROCPRIM_400000_NS6detail17trampoline_kernelINS0_14default_configENS1_27scan_by_key_config_selectorIj11FixedVectorIiLj4EEEEZZNS1_16scan_by_key_implILNS1_25lookback_scan_determinismE0ELb1ES3_N6thrust23THRUST_200600_302600_NS6detail15normal_iteratorINSB_10device_ptrIjEEEENSD_INSE_IS6_EEEESI_S6_NSB_4plusIvEENSB_8equal_toIvEES6_EE10hipError_tPvRmT2_T3_T4_T5_mT6_T7_P12ihipStream_tbENKUlT_T0_E_clISt17integral_constantIbLb0EES12_IbLb1EEEEDaSY_SZ_EUlSY_E_NS1_11comp_targetILNS1_3genE5ELNS1_11target_archE942ELNS1_3gpuE9ELNS1_3repE0EEENS1_30default_config_static_selectorELNS0_4arch9wavefront6targetE0EEEvT1_
; %bb.0:
	.section	.rodata,"a",@progbits
	.p2align	6, 0x0
	.amdhsa_kernel _ZN7rocprim17ROCPRIM_400000_NS6detail17trampoline_kernelINS0_14default_configENS1_27scan_by_key_config_selectorIj11FixedVectorIiLj4EEEEZZNS1_16scan_by_key_implILNS1_25lookback_scan_determinismE0ELb1ES3_N6thrust23THRUST_200600_302600_NS6detail15normal_iteratorINSB_10device_ptrIjEEEENSD_INSE_IS6_EEEESI_S6_NSB_4plusIvEENSB_8equal_toIvEES6_EE10hipError_tPvRmT2_T3_T4_T5_mT6_T7_P12ihipStream_tbENKUlT_T0_E_clISt17integral_constantIbLb0EES12_IbLb1EEEEDaSY_SZ_EUlSY_E_NS1_11comp_targetILNS1_3genE5ELNS1_11target_archE942ELNS1_3gpuE9ELNS1_3repE0EEENS1_30default_config_static_selectorELNS0_4arch9wavefront6targetE0EEEvT1_
		.amdhsa_group_segment_fixed_size 0
		.amdhsa_private_segment_fixed_size 0
		.amdhsa_kernarg_size 144
		.amdhsa_user_sgpr_count 2
		.amdhsa_user_sgpr_dispatch_ptr 0
		.amdhsa_user_sgpr_queue_ptr 0
		.amdhsa_user_sgpr_kernarg_segment_ptr 1
		.amdhsa_user_sgpr_dispatch_id 0
		.amdhsa_user_sgpr_kernarg_preload_length 0
		.amdhsa_user_sgpr_kernarg_preload_offset 0
		.amdhsa_user_sgpr_private_segment_size 0
		.amdhsa_wavefront_size32 1
		.amdhsa_uses_dynamic_stack 0
		.amdhsa_enable_private_segment 0
		.amdhsa_system_sgpr_workgroup_id_x 1
		.amdhsa_system_sgpr_workgroup_id_y 0
		.amdhsa_system_sgpr_workgroup_id_z 0
		.amdhsa_system_sgpr_workgroup_info 0
		.amdhsa_system_vgpr_workitem_id 0
		.amdhsa_next_free_vgpr 1
		.amdhsa_next_free_sgpr 1
		.amdhsa_named_barrier_count 0
		.amdhsa_reserve_vcc 0
		.amdhsa_float_round_mode_32 0
		.amdhsa_float_round_mode_16_64 0
		.amdhsa_float_denorm_mode_32 3
		.amdhsa_float_denorm_mode_16_64 3
		.amdhsa_fp16_overflow 0
		.amdhsa_memory_ordered 1
		.amdhsa_forward_progress 1
		.amdhsa_inst_pref_size 0
		.amdhsa_round_robin_scheduling 0
		.amdhsa_exception_fp_ieee_invalid_op 0
		.amdhsa_exception_fp_denorm_src 0
		.amdhsa_exception_fp_ieee_div_zero 0
		.amdhsa_exception_fp_ieee_overflow 0
		.amdhsa_exception_fp_ieee_underflow 0
		.amdhsa_exception_fp_ieee_inexact 0
		.amdhsa_exception_int_div_zero 0
	.end_amdhsa_kernel
	.section	.text._ZN7rocprim17ROCPRIM_400000_NS6detail17trampoline_kernelINS0_14default_configENS1_27scan_by_key_config_selectorIj11FixedVectorIiLj4EEEEZZNS1_16scan_by_key_implILNS1_25lookback_scan_determinismE0ELb1ES3_N6thrust23THRUST_200600_302600_NS6detail15normal_iteratorINSB_10device_ptrIjEEEENSD_INSE_IS6_EEEESI_S6_NSB_4plusIvEENSB_8equal_toIvEES6_EE10hipError_tPvRmT2_T3_T4_T5_mT6_T7_P12ihipStream_tbENKUlT_T0_E_clISt17integral_constantIbLb0EES12_IbLb1EEEEDaSY_SZ_EUlSY_E_NS1_11comp_targetILNS1_3genE5ELNS1_11target_archE942ELNS1_3gpuE9ELNS1_3repE0EEENS1_30default_config_static_selectorELNS0_4arch9wavefront6targetE0EEEvT1_,"axG",@progbits,_ZN7rocprim17ROCPRIM_400000_NS6detail17trampoline_kernelINS0_14default_configENS1_27scan_by_key_config_selectorIj11FixedVectorIiLj4EEEEZZNS1_16scan_by_key_implILNS1_25lookback_scan_determinismE0ELb1ES3_N6thrust23THRUST_200600_302600_NS6detail15normal_iteratorINSB_10device_ptrIjEEEENSD_INSE_IS6_EEEESI_S6_NSB_4plusIvEENSB_8equal_toIvEES6_EE10hipError_tPvRmT2_T3_T4_T5_mT6_T7_P12ihipStream_tbENKUlT_T0_E_clISt17integral_constantIbLb0EES12_IbLb1EEEEDaSY_SZ_EUlSY_E_NS1_11comp_targetILNS1_3genE5ELNS1_11target_archE942ELNS1_3gpuE9ELNS1_3repE0EEENS1_30default_config_static_selectorELNS0_4arch9wavefront6targetE0EEEvT1_,comdat
.Lfunc_end2104:
	.size	_ZN7rocprim17ROCPRIM_400000_NS6detail17trampoline_kernelINS0_14default_configENS1_27scan_by_key_config_selectorIj11FixedVectorIiLj4EEEEZZNS1_16scan_by_key_implILNS1_25lookback_scan_determinismE0ELb1ES3_N6thrust23THRUST_200600_302600_NS6detail15normal_iteratorINSB_10device_ptrIjEEEENSD_INSE_IS6_EEEESI_S6_NSB_4plusIvEENSB_8equal_toIvEES6_EE10hipError_tPvRmT2_T3_T4_T5_mT6_T7_P12ihipStream_tbENKUlT_T0_E_clISt17integral_constantIbLb0EES12_IbLb1EEEEDaSY_SZ_EUlSY_E_NS1_11comp_targetILNS1_3genE5ELNS1_11target_archE942ELNS1_3gpuE9ELNS1_3repE0EEENS1_30default_config_static_selectorELNS0_4arch9wavefront6targetE0EEEvT1_, .Lfunc_end2104-_ZN7rocprim17ROCPRIM_400000_NS6detail17trampoline_kernelINS0_14default_configENS1_27scan_by_key_config_selectorIj11FixedVectorIiLj4EEEEZZNS1_16scan_by_key_implILNS1_25lookback_scan_determinismE0ELb1ES3_N6thrust23THRUST_200600_302600_NS6detail15normal_iteratorINSB_10device_ptrIjEEEENSD_INSE_IS6_EEEESI_S6_NSB_4plusIvEENSB_8equal_toIvEES6_EE10hipError_tPvRmT2_T3_T4_T5_mT6_T7_P12ihipStream_tbENKUlT_T0_E_clISt17integral_constantIbLb0EES12_IbLb1EEEEDaSY_SZ_EUlSY_E_NS1_11comp_targetILNS1_3genE5ELNS1_11target_archE942ELNS1_3gpuE9ELNS1_3repE0EEENS1_30default_config_static_selectorELNS0_4arch9wavefront6targetE0EEEvT1_
                                        ; -- End function
	.set _ZN7rocprim17ROCPRIM_400000_NS6detail17trampoline_kernelINS0_14default_configENS1_27scan_by_key_config_selectorIj11FixedVectorIiLj4EEEEZZNS1_16scan_by_key_implILNS1_25lookback_scan_determinismE0ELb1ES3_N6thrust23THRUST_200600_302600_NS6detail15normal_iteratorINSB_10device_ptrIjEEEENSD_INSE_IS6_EEEESI_S6_NSB_4plusIvEENSB_8equal_toIvEES6_EE10hipError_tPvRmT2_T3_T4_T5_mT6_T7_P12ihipStream_tbENKUlT_T0_E_clISt17integral_constantIbLb0EES12_IbLb1EEEEDaSY_SZ_EUlSY_E_NS1_11comp_targetILNS1_3genE5ELNS1_11target_archE942ELNS1_3gpuE9ELNS1_3repE0EEENS1_30default_config_static_selectorELNS0_4arch9wavefront6targetE0EEEvT1_.num_vgpr, 0
	.set _ZN7rocprim17ROCPRIM_400000_NS6detail17trampoline_kernelINS0_14default_configENS1_27scan_by_key_config_selectorIj11FixedVectorIiLj4EEEEZZNS1_16scan_by_key_implILNS1_25lookback_scan_determinismE0ELb1ES3_N6thrust23THRUST_200600_302600_NS6detail15normal_iteratorINSB_10device_ptrIjEEEENSD_INSE_IS6_EEEESI_S6_NSB_4plusIvEENSB_8equal_toIvEES6_EE10hipError_tPvRmT2_T3_T4_T5_mT6_T7_P12ihipStream_tbENKUlT_T0_E_clISt17integral_constantIbLb0EES12_IbLb1EEEEDaSY_SZ_EUlSY_E_NS1_11comp_targetILNS1_3genE5ELNS1_11target_archE942ELNS1_3gpuE9ELNS1_3repE0EEENS1_30default_config_static_selectorELNS0_4arch9wavefront6targetE0EEEvT1_.num_agpr, 0
	.set _ZN7rocprim17ROCPRIM_400000_NS6detail17trampoline_kernelINS0_14default_configENS1_27scan_by_key_config_selectorIj11FixedVectorIiLj4EEEEZZNS1_16scan_by_key_implILNS1_25lookback_scan_determinismE0ELb1ES3_N6thrust23THRUST_200600_302600_NS6detail15normal_iteratorINSB_10device_ptrIjEEEENSD_INSE_IS6_EEEESI_S6_NSB_4plusIvEENSB_8equal_toIvEES6_EE10hipError_tPvRmT2_T3_T4_T5_mT6_T7_P12ihipStream_tbENKUlT_T0_E_clISt17integral_constantIbLb0EES12_IbLb1EEEEDaSY_SZ_EUlSY_E_NS1_11comp_targetILNS1_3genE5ELNS1_11target_archE942ELNS1_3gpuE9ELNS1_3repE0EEENS1_30default_config_static_selectorELNS0_4arch9wavefront6targetE0EEEvT1_.numbered_sgpr, 0
	.set _ZN7rocprim17ROCPRIM_400000_NS6detail17trampoline_kernelINS0_14default_configENS1_27scan_by_key_config_selectorIj11FixedVectorIiLj4EEEEZZNS1_16scan_by_key_implILNS1_25lookback_scan_determinismE0ELb1ES3_N6thrust23THRUST_200600_302600_NS6detail15normal_iteratorINSB_10device_ptrIjEEEENSD_INSE_IS6_EEEESI_S6_NSB_4plusIvEENSB_8equal_toIvEES6_EE10hipError_tPvRmT2_T3_T4_T5_mT6_T7_P12ihipStream_tbENKUlT_T0_E_clISt17integral_constantIbLb0EES12_IbLb1EEEEDaSY_SZ_EUlSY_E_NS1_11comp_targetILNS1_3genE5ELNS1_11target_archE942ELNS1_3gpuE9ELNS1_3repE0EEENS1_30default_config_static_selectorELNS0_4arch9wavefront6targetE0EEEvT1_.num_named_barrier, 0
	.set _ZN7rocprim17ROCPRIM_400000_NS6detail17trampoline_kernelINS0_14default_configENS1_27scan_by_key_config_selectorIj11FixedVectorIiLj4EEEEZZNS1_16scan_by_key_implILNS1_25lookback_scan_determinismE0ELb1ES3_N6thrust23THRUST_200600_302600_NS6detail15normal_iteratorINSB_10device_ptrIjEEEENSD_INSE_IS6_EEEESI_S6_NSB_4plusIvEENSB_8equal_toIvEES6_EE10hipError_tPvRmT2_T3_T4_T5_mT6_T7_P12ihipStream_tbENKUlT_T0_E_clISt17integral_constantIbLb0EES12_IbLb1EEEEDaSY_SZ_EUlSY_E_NS1_11comp_targetILNS1_3genE5ELNS1_11target_archE942ELNS1_3gpuE9ELNS1_3repE0EEENS1_30default_config_static_selectorELNS0_4arch9wavefront6targetE0EEEvT1_.private_seg_size, 0
	.set _ZN7rocprim17ROCPRIM_400000_NS6detail17trampoline_kernelINS0_14default_configENS1_27scan_by_key_config_selectorIj11FixedVectorIiLj4EEEEZZNS1_16scan_by_key_implILNS1_25lookback_scan_determinismE0ELb1ES3_N6thrust23THRUST_200600_302600_NS6detail15normal_iteratorINSB_10device_ptrIjEEEENSD_INSE_IS6_EEEESI_S6_NSB_4plusIvEENSB_8equal_toIvEES6_EE10hipError_tPvRmT2_T3_T4_T5_mT6_T7_P12ihipStream_tbENKUlT_T0_E_clISt17integral_constantIbLb0EES12_IbLb1EEEEDaSY_SZ_EUlSY_E_NS1_11comp_targetILNS1_3genE5ELNS1_11target_archE942ELNS1_3gpuE9ELNS1_3repE0EEENS1_30default_config_static_selectorELNS0_4arch9wavefront6targetE0EEEvT1_.uses_vcc, 0
	.set _ZN7rocprim17ROCPRIM_400000_NS6detail17trampoline_kernelINS0_14default_configENS1_27scan_by_key_config_selectorIj11FixedVectorIiLj4EEEEZZNS1_16scan_by_key_implILNS1_25lookback_scan_determinismE0ELb1ES3_N6thrust23THRUST_200600_302600_NS6detail15normal_iteratorINSB_10device_ptrIjEEEENSD_INSE_IS6_EEEESI_S6_NSB_4plusIvEENSB_8equal_toIvEES6_EE10hipError_tPvRmT2_T3_T4_T5_mT6_T7_P12ihipStream_tbENKUlT_T0_E_clISt17integral_constantIbLb0EES12_IbLb1EEEEDaSY_SZ_EUlSY_E_NS1_11comp_targetILNS1_3genE5ELNS1_11target_archE942ELNS1_3gpuE9ELNS1_3repE0EEENS1_30default_config_static_selectorELNS0_4arch9wavefront6targetE0EEEvT1_.uses_flat_scratch, 0
	.set _ZN7rocprim17ROCPRIM_400000_NS6detail17trampoline_kernelINS0_14default_configENS1_27scan_by_key_config_selectorIj11FixedVectorIiLj4EEEEZZNS1_16scan_by_key_implILNS1_25lookback_scan_determinismE0ELb1ES3_N6thrust23THRUST_200600_302600_NS6detail15normal_iteratorINSB_10device_ptrIjEEEENSD_INSE_IS6_EEEESI_S6_NSB_4plusIvEENSB_8equal_toIvEES6_EE10hipError_tPvRmT2_T3_T4_T5_mT6_T7_P12ihipStream_tbENKUlT_T0_E_clISt17integral_constantIbLb0EES12_IbLb1EEEEDaSY_SZ_EUlSY_E_NS1_11comp_targetILNS1_3genE5ELNS1_11target_archE942ELNS1_3gpuE9ELNS1_3repE0EEENS1_30default_config_static_selectorELNS0_4arch9wavefront6targetE0EEEvT1_.has_dyn_sized_stack, 0
	.set _ZN7rocprim17ROCPRIM_400000_NS6detail17trampoline_kernelINS0_14default_configENS1_27scan_by_key_config_selectorIj11FixedVectorIiLj4EEEEZZNS1_16scan_by_key_implILNS1_25lookback_scan_determinismE0ELb1ES3_N6thrust23THRUST_200600_302600_NS6detail15normal_iteratorINSB_10device_ptrIjEEEENSD_INSE_IS6_EEEESI_S6_NSB_4plusIvEENSB_8equal_toIvEES6_EE10hipError_tPvRmT2_T3_T4_T5_mT6_T7_P12ihipStream_tbENKUlT_T0_E_clISt17integral_constantIbLb0EES12_IbLb1EEEEDaSY_SZ_EUlSY_E_NS1_11comp_targetILNS1_3genE5ELNS1_11target_archE942ELNS1_3gpuE9ELNS1_3repE0EEENS1_30default_config_static_selectorELNS0_4arch9wavefront6targetE0EEEvT1_.has_recursion, 0
	.set _ZN7rocprim17ROCPRIM_400000_NS6detail17trampoline_kernelINS0_14default_configENS1_27scan_by_key_config_selectorIj11FixedVectorIiLj4EEEEZZNS1_16scan_by_key_implILNS1_25lookback_scan_determinismE0ELb1ES3_N6thrust23THRUST_200600_302600_NS6detail15normal_iteratorINSB_10device_ptrIjEEEENSD_INSE_IS6_EEEESI_S6_NSB_4plusIvEENSB_8equal_toIvEES6_EE10hipError_tPvRmT2_T3_T4_T5_mT6_T7_P12ihipStream_tbENKUlT_T0_E_clISt17integral_constantIbLb0EES12_IbLb1EEEEDaSY_SZ_EUlSY_E_NS1_11comp_targetILNS1_3genE5ELNS1_11target_archE942ELNS1_3gpuE9ELNS1_3repE0EEENS1_30default_config_static_selectorELNS0_4arch9wavefront6targetE0EEEvT1_.has_indirect_call, 0
	.section	.AMDGPU.csdata,"",@progbits
; Kernel info:
; codeLenInByte = 0
; TotalNumSgprs: 0
; NumVgprs: 0
; ScratchSize: 0
; MemoryBound: 0
; FloatMode: 240
; IeeeMode: 1
; LDSByteSize: 0 bytes/workgroup (compile time only)
; SGPRBlocks: 0
; VGPRBlocks: 0
; NumSGPRsForWavesPerEU: 1
; NumVGPRsForWavesPerEU: 1
; NamedBarCnt: 0
; Occupancy: 16
; WaveLimiterHint : 0
; COMPUTE_PGM_RSRC2:SCRATCH_EN: 0
; COMPUTE_PGM_RSRC2:USER_SGPR: 2
; COMPUTE_PGM_RSRC2:TRAP_HANDLER: 0
; COMPUTE_PGM_RSRC2:TGID_X_EN: 1
; COMPUTE_PGM_RSRC2:TGID_Y_EN: 0
; COMPUTE_PGM_RSRC2:TGID_Z_EN: 0
; COMPUTE_PGM_RSRC2:TIDIG_COMP_CNT: 0
	.section	.text._ZN7rocprim17ROCPRIM_400000_NS6detail17trampoline_kernelINS0_14default_configENS1_27scan_by_key_config_selectorIj11FixedVectorIiLj4EEEEZZNS1_16scan_by_key_implILNS1_25lookback_scan_determinismE0ELb1ES3_N6thrust23THRUST_200600_302600_NS6detail15normal_iteratorINSB_10device_ptrIjEEEENSD_INSE_IS6_EEEESI_S6_NSB_4plusIvEENSB_8equal_toIvEES6_EE10hipError_tPvRmT2_T3_T4_T5_mT6_T7_P12ihipStream_tbENKUlT_T0_E_clISt17integral_constantIbLb0EES12_IbLb1EEEEDaSY_SZ_EUlSY_E_NS1_11comp_targetILNS1_3genE4ELNS1_11target_archE910ELNS1_3gpuE8ELNS1_3repE0EEENS1_30default_config_static_selectorELNS0_4arch9wavefront6targetE0EEEvT1_,"axG",@progbits,_ZN7rocprim17ROCPRIM_400000_NS6detail17trampoline_kernelINS0_14default_configENS1_27scan_by_key_config_selectorIj11FixedVectorIiLj4EEEEZZNS1_16scan_by_key_implILNS1_25lookback_scan_determinismE0ELb1ES3_N6thrust23THRUST_200600_302600_NS6detail15normal_iteratorINSB_10device_ptrIjEEEENSD_INSE_IS6_EEEESI_S6_NSB_4plusIvEENSB_8equal_toIvEES6_EE10hipError_tPvRmT2_T3_T4_T5_mT6_T7_P12ihipStream_tbENKUlT_T0_E_clISt17integral_constantIbLb0EES12_IbLb1EEEEDaSY_SZ_EUlSY_E_NS1_11comp_targetILNS1_3genE4ELNS1_11target_archE910ELNS1_3gpuE8ELNS1_3repE0EEENS1_30default_config_static_selectorELNS0_4arch9wavefront6targetE0EEEvT1_,comdat
	.protected	_ZN7rocprim17ROCPRIM_400000_NS6detail17trampoline_kernelINS0_14default_configENS1_27scan_by_key_config_selectorIj11FixedVectorIiLj4EEEEZZNS1_16scan_by_key_implILNS1_25lookback_scan_determinismE0ELb1ES3_N6thrust23THRUST_200600_302600_NS6detail15normal_iteratorINSB_10device_ptrIjEEEENSD_INSE_IS6_EEEESI_S6_NSB_4plusIvEENSB_8equal_toIvEES6_EE10hipError_tPvRmT2_T3_T4_T5_mT6_T7_P12ihipStream_tbENKUlT_T0_E_clISt17integral_constantIbLb0EES12_IbLb1EEEEDaSY_SZ_EUlSY_E_NS1_11comp_targetILNS1_3genE4ELNS1_11target_archE910ELNS1_3gpuE8ELNS1_3repE0EEENS1_30default_config_static_selectorELNS0_4arch9wavefront6targetE0EEEvT1_ ; -- Begin function _ZN7rocprim17ROCPRIM_400000_NS6detail17trampoline_kernelINS0_14default_configENS1_27scan_by_key_config_selectorIj11FixedVectorIiLj4EEEEZZNS1_16scan_by_key_implILNS1_25lookback_scan_determinismE0ELb1ES3_N6thrust23THRUST_200600_302600_NS6detail15normal_iteratorINSB_10device_ptrIjEEEENSD_INSE_IS6_EEEESI_S6_NSB_4plusIvEENSB_8equal_toIvEES6_EE10hipError_tPvRmT2_T3_T4_T5_mT6_T7_P12ihipStream_tbENKUlT_T0_E_clISt17integral_constantIbLb0EES12_IbLb1EEEEDaSY_SZ_EUlSY_E_NS1_11comp_targetILNS1_3genE4ELNS1_11target_archE910ELNS1_3gpuE8ELNS1_3repE0EEENS1_30default_config_static_selectorELNS0_4arch9wavefront6targetE0EEEvT1_
	.globl	_ZN7rocprim17ROCPRIM_400000_NS6detail17trampoline_kernelINS0_14default_configENS1_27scan_by_key_config_selectorIj11FixedVectorIiLj4EEEEZZNS1_16scan_by_key_implILNS1_25lookback_scan_determinismE0ELb1ES3_N6thrust23THRUST_200600_302600_NS6detail15normal_iteratorINSB_10device_ptrIjEEEENSD_INSE_IS6_EEEESI_S6_NSB_4plusIvEENSB_8equal_toIvEES6_EE10hipError_tPvRmT2_T3_T4_T5_mT6_T7_P12ihipStream_tbENKUlT_T0_E_clISt17integral_constantIbLb0EES12_IbLb1EEEEDaSY_SZ_EUlSY_E_NS1_11comp_targetILNS1_3genE4ELNS1_11target_archE910ELNS1_3gpuE8ELNS1_3repE0EEENS1_30default_config_static_selectorELNS0_4arch9wavefront6targetE0EEEvT1_
	.p2align	8
	.type	_ZN7rocprim17ROCPRIM_400000_NS6detail17trampoline_kernelINS0_14default_configENS1_27scan_by_key_config_selectorIj11FixedVectorIiLj4EEEEZZNS1_16scan_by_key_implILNS1_25lookback_scan_determinismE0ELb1ES3_N6thrust23THRUST_200600_302600_NS6detail15normal_iteratorINSB_10device_ptrIjEEEENSD_INSE_IS6_EEEESI_S6_NSB_4plusIvEENSB_8equal_toIvEES6_EE10hipError_tPvRmT2_T3_T4_T5_mT6_T7_P12ihipStream_tbENKUlT_T0_E_clISt17integral_constantIbLb0EES12_IbLb1EEEEDaSY_SZ_EUlSY_E_NS1_11comp_targetILNS1_3genE4ELNS1_11target_archE910ELNS1_3gpuE8ELNS1_3repE0EEENS1_30default_config_static_selectorELNS0_4arch9wavefront6targetE0EEEvT1_,@function
_ZN7rocprim17ROCPRIM_400000_NS6detail17trampoline_kernelINS0_14default_configENS1_27scan_by_key_config_selectorIj11FixedVectorIiLj4EEEEZZNS1_16scan_by_key_implILNS1_25lookback_scan_determinismE0ELb1ES3_N6thrust23THRUST_200600_302600_NS6detail15normal_iteratorINSB_10device_ptrIjEEEENSD_INSE_IS6_EEEESI_S6_NSB_4plusIvEENSB_8equal_toIvEES6_EE10hipError_tPvRmT2_T3_T4_T5_mT6_T7_P12ihipStream_tbENKUlT_T0_E_clISt17integral_constantIbLb0EES12_IbLb1EEEEDaSY_SZ_EUlSY_E_NS1_11comp_targetILNS1_3genE4ELNS1_11target_archE910ELNS1_3gpuE8ELNS1_3repE0EEENS1_30default_config_static_selectorELNS0_4arch9wavefront6targetE0EEEvT1_: ; @_ZN7rocprim17ROCPRIM_400000_NS6detail17trampoline_kernelINS0_14default_configENS1_27scan_by_key_config_selectorIj11FixedVectorIiLj4EEEEZZNS1_16scan_by_key_implILNS1_25lookback_scan_determinismE0ELb1ES3_N6thrust23THRUST_200600_302600_NS6detail15normal_iteratorINSB_10device_ptrIjEEEENSD_INSE_IS6_EEEESI_S6_NSB_4plusIvEENSB_8equal_toIvEES6_EE10hipError_tPvRmT2_T3_T4_T5_mT6_T7_P12ihipStream_tbENKUlT_T0_E_clISt17integral_constantIbLb0EES12_IbLb1EEEEDaSY_SZ_EUlSY_E_NS1_11comp_targetILNS1_3genE4ELNS1_11target_archE910ELNS1_3gpuE8ELNS1_3repE0EEENS1_30default_config_static_selectorELNS0_4arch9wavefront6targetE0EEEvT1_
; %bb.0:
	.section	.rodata,"a",@progbits
	.p2align	6, 0x0
	.amdhsa_kernel _ZN7rocprim17ROCPRIM_400000_NS6detail17trampoline_kernelINS0_14default_configENS1_27scan_by_key_config_selectorIj11FixedVectorIiLj4EEEEZZNS1_16scan_by_key_implILNS1_25lookback_scan_determinismE0ELb1ES3_N6thrust23THRUST_200600_302600_NS6detail15normal_iteratorINSB_10device_ptrIjEEEENSD_INSE_IS6_EEEESI_S6_NSB_4plusIvEENSB_8equal_toIvEES6_EE10hipError_tPvRmT2_T3_T4_T5_mT6_T7_P12ihipStream_tbENKUlT_T0_E_clISt17integral_constantIbLb0EES12_IbLb1EEEEDaSY_SZ_EUlSY_E_NS1_11comp_targetILNS1_3genE4ELNS1_11target_archE910ELNS1_3gpuE8ELNS1_3repE0EEENS1_30default_config_static_selectorELNS0_4arch9wavefront6targetE0EEEvT1_
		.amdhsa_group_segment_fixed_size 0
		.amdhsa_private_segment_fixed_size 0
		.amdhsa_kernarg_size 144
		.amdhsa_user_sgpr_count 2
		.amdhsa_user_sgpr_dispatch_ptr 0
		.amdhsa_user_sgpr_queue_ptr 0
		.amdhsa_user_sgpr_kernarg_segment_ptr 1
		.amdhsa_user_sgpr_dispatch_id 0
		.amdhsa_user_sgpr_kernarg_preload_length 0
		.amdhsa_user_sgpr_kernarg_preload_offset 0
		.amdhsa_user_sgpr_private_segment_size 0
		.amdhsa_wavefront_size32 1
		.amdhsa_uses_dynamic_stack 0
		.amdhsa_enable_private_segment 0
		.amdhsa_system_sgpr_workgroup_id_x 1
		.amdhsa_system_sgpr_workgroup_id_y 0
		.amdhsa_system_sgpr_workgroup_id_z 0
		.amdhsa_system_sgpr_workgroup_info 0
		.amdhsa_system_vgpr_workitem_id 0
		.amdhsa_next_free_vgpr 1
		.amdhsa_next_free_sgpr 1
		.amdhsa_named_barrier_count 0
		.amdhsa_reserve_vcc 0
		.amdhsa_float_round_mode_32 0
		.amdhsa_float_round_mode_16_64 0
		.amdhsa_float_denorm_mode_32 3
		.amdhsa_float_denorm_mode_16_64 3
		.amdhsa_fp16_overflow 0
		.amdhsa_memory_ordered 1
		.amdhsa_forward_progress 1
		.amdhsa_inst_pref_size 0
		.amdhsa_round_robin_scheduling 0
		.amdhsa_exception_fp_ieee_invalid_op 0
		.amdhsa_exception_fp_denorm_src 0
		.amdhsa_exception_fp_ieee_div_zero 0
		.amdhsa_exception_fp_ieee_overflow 0
		.amdhsa_exception_fp_ieee_underflow 0
		.amdhsa_exception_fp_ieee_inexact 0
		.amdhsa_exception_int_div_zero 0
	.end_amdhsa_kernel
	.section	.text._ZN7rocprim17ROCPRIM_400000_NS6detail17trampoline_kernelINS0_14default_configENS1_27scan_by_key_config_selectorIj11FixedVectorIiLj4EEEEZZNS1_16scan_by_key_implILNS1_25lookback_scan_determinismE0ELb1ES3_N6thrust23THRUST_200600_302600_NS6detail15normal_iteratorINSB_10device_ptrIjEEEENSD_INSE_IS6_EEEESI_S6_NSB_4plusIvEENSB_8equal_toIvEES6_EE10hipError_tPvRmT2_T3_T4_T5_mT6_T7_P12ihipStream_tbENKUlT_T0_E_clISt17integral_constantIbLb0EES12_IbLb1EEEEDaSY_SZ_EUlSY_E_NS1_11comp_targetILNS1_3genE4ELNS1_11target_archE910ELNS1_3gpuE8ELNS1_3repE0EEENS1_30default_config_static_selectorELNS0_4arch9wavefront6targetE0EEEvT1_,"axG",@progbits,_ZN7rocprim17ROCPRIM_400000_NS6detail17trampoline_kernelINS0_14default_configENS1_27scan_by_key_config_selectorIj11FixedVectorIiLj4EEEEZZNS1_16scan_by_key_implILNS1_25lookback_scan_determinismE0ELb1ES3_N6thrust23THRUST_200600_302600_NS6detail15normal_iteratorINSB_10device_ptrIjEEEENSD_INSE_IS6_EEEESI_S6_NSB_4plusIvEENSB_8equal_toIvEES6_EE10hipError_tPvRmT2_T3_T4_T5_mT6_T7_P12ihipStream_tbENKUlT_T0_E_clISt17integral_constantIbLb0EES12_IbLb1EEEEDaSY_SZ_EUlSY_E_NS1_11comp_targetILNS1_3genE4ELNS1_11target_archE910ELNS1_3gpuE8ELNS1_3repE0EEENS1_30default_config_static_selectorELNS0_4arch9wavefront6targetE0EEEvT1_,comdat
.Lfunc_end2105:
	.size	_ZN7rocprim17ROCPRIM_400000_NS6detail17trampoline_kernelINS0_14default_configENS1_27scan_by_key_config_selectorIj11FixedVectorIiLj4EEEEZZNS1_16scan_by_key_implILNS1_25lookback_scan_determinismE0ELb1ES3_N6thrust23THRUST_200600_302600_NS6detail15normal_iteratorINSB_10device_ptrIjEEEENSD_INSE_IS6_EEEESI_S6_NSB_4plusIvEENSB_8equal_toIvEES6_EE10hipError_tPvRmT2_T3_T4_T5_mT6_T7_P12ihipStream_tbENKUlT_T0_E_clISt17integral_constantIbLb0EES12_IbLb1EEEEDaSY_SZ_EUlSY_E_NS1_11comp_targetILNS1_3genE4ELNS1_11target_archE910ELNS1_3gpuE8ELNS1_3repE0EEENS1_30default_config_static_selectorELNS0_4arch9wavefront6targetE0EEEvT1_, .Lfunc_end2105-_ZN7rocprim17ROCPRIM_400000_NS6detail17trampoline_kernelINS0_14default_configENS1_27scan_by_key_config_selectorIj11FixedVectorIiLj4EEEEZZNS1_16scan_by_key_implILNS1_25lookback_scan_determinismE0ELb1ES3_N6thrust23THRUST_200600_302600_NS6detail15normal_iteratorINSB_10device_ptrIjEEEENSD_INSE_IS6_EEEESI_S6_NSB_4plusIvEENSB_8equal_toIvEES6_EE10hipError_tPvRmT2_T3_T4_T5_mT6_T7_P12ihipStream_tbENKUlT_T0_E_clISt17integral_constantIbLb0EES12_IbLb1EEEEDaSY_SZ_EUlSY_E_NS1_11comp_targetILNS1_3genE4ELNS1_11target_archE910ELNS1_3gpuE8ELNS1_3repE0EEENS1_30default_config_static_selectorELNS0_4arch9wavefront6targetE0EEEvT1_
                                        ; -- End function
	.set _ZN7rocprim17ROCPRIM_400000_NS6detail17trampoline_kernelINS0_14default_configENS1_27scan_by_key_config_selectorIj11FixedVectorIiLj4EEEEZZNS1_16scan_by_key_implILNS1_25lookback_scan_determinismE0ELb1ES3_N6thrust23THRUST_200600_302600_NS6detail15normal_iteratorINSB_10device_ptrIjEEEENSD_INSE_IS6_EEEESI_S6_NSB_4plusIvEENSB_8equal_toIvEES6_EE10hipError_tPvRmT2_T3_T4_T5_mT6_T7_P12ihipStream_tbENKUlT_T0_E_clISt17integral_constantIbLb0EES12_IbLb1EEEEDaSY_SZ_EUlSY_E_NS1_11comp_targetILNS1_3genE4ELNS1_11target_archE910ELNS1_3gpuE8ELNS1_3repE0EEENS1_30default_config_static_selectorELNS0_4arch9wavefront6targetE0EEEvT1_.num_vgpr, 0
	.set _ZN7rocprim17ROCPRIM_400000_NS6detail17trampoline_kernelINS0_14default_configENS1_27scan_by_key_config_selectorIj11FixedVectorIiLj4EEEEZZNS1_16scan_by_key_implILNS1_25lookback_scan_determinismE0ELb1ES3_N6thrust23THRUST_200600_302600_NS6detail15normal_iteratorINSB_10device_ptrIjEEEENSD_INSE_IS6_EEEESI_S6_NSB_4plusIvEENSB_8equal_toIvEES6_EE10hipError_tPvRmT2_T3_T4_T5_mT6_T7_P12ihipStream_tbENKUlT_T0_E_clISt17integral_constantIbLb0EES12_IbLb1EEEEDaSY_SZ_EUlSY_E_NS1_11comp_targetILNS1_3genE4ELNS1_11target_archE910ELNS1_3gpuE8ELNS1_3repE0EEENS1_30default_config_static_selectorELNS0_4arch9wavefront6targetE0EEEvT1_.num_agpr, 0
	.set _ZN7rocprim17ROCPRIM_400000_NS6detail17trampoline_kernelINS0_14default_configENS1_27scan_by_key_config_selectorIj11FixedVectorIiLj4EEEEZZNS1_16scan_by_key_implILNS1_25lookback_scan_determinismE0ELb1ES3_N6thrust23THRUST_200600_302600_NS6detail15normal_iteratorINSB_10device_ptrIjEEEENSD_INSE_IS6_EEEESI_S6_NSB_4plusIvEENSB_8equal_toIvEES6_EE10hipError_tPvRmT2_T3_T4_T5_mT6_T7_P12ihipStream_tbENKUlT_T0_E_clISt17integral_constantIbLb0EES12_IbLb1EEEEDaSY_SZ_EUlSY_E_NS1_11comp_targetILNS1_3genE4ELNS1_11target_archE910ELNS1_3gpuE8ELNS1_3repE0EEENS1_30default_config_static_selectorELNS0_4arch9wavefront6targetE0EEEvT1_.numbered_sgpr, 0
	.set _ZN7rocprim17ROCPRIM_400000_NS6detail17trampoline_kernelINS0_14default_configENS1_27scan_by_key_config_selectorIj11FixedVectorIiLj4EEEEZZNS1_16scan_by_key_implILNS1_25lookback_scan_determinismE0ELb1ES3_N6thrust23THRUST_200600_302600_NS6detail15normal_iteratorINSB_10device_ptrIjEEEENSD_INSE_IS6_EEEESI_S6_NSB_4plusIvEENSB_8equal_toIvEES6_EE10hipError_tPvRmT2_T3_T4_T5_mT6_T7_P12ihipStream_tbENKUlT_T0_E_clISt17integral_constantIbLb0EES12_IbLb1EEEEDaSY_SZ_EUlSY_E_NS1_11comp_targetILNS1_3genE4ELNS1_11target_archE910ELNS1_3gpuE8ELNS1_3repE0EEENS1_30default_config_static_selectorELNS0_4arch9wavefront6targetE0EEEvT1_.num_named_barrier, 0
	.set _ZN7rocprim17ROCPRIM_400000_NS6detail17trampoline_kernelINS0_14default_configENS1_27scan_by_key_config_selectorIj11FixedVectorIiLj4EEEEZZNS1_16scan_by_key_implILNS1_25lookback_scan_determinismE0ELb1ES3_N6thrust23THRUST_200600_302600_NS6detail15normal_iteratorINSB_10device_ptrIjEEEENSD_INSE_IS6_EEEESI_S6_NSB_4plusIvEENSB_8equal_toIvEES6_EE10hipError_tPvRmT2_T3_T4_T5_mT6_T7_P12ihipStream_tbENKUlT_T0_E_clISt17integral_constantIbLb0EES12_IbLb1EEEEDaSY_SZ_EUlSY_E_NS1_11comp_targetILNS1_3genE4ELNS1_11target_archE910ELNS1_3gpuE8ELNS1_3repE0EEENS1_30default_config_static_selectorELNS0_4arch9wavefront6targetE0EEEvT1_.private_seg_size, 0
	.set _ZN7rocprim17ROCPRIM_400000_NS6detail17trampoline_kernelINS0_14default_configENS1_27scan_by_key_config_selectorIj11FixedVectorIiLj4EEEEZZNS1_16scan_by_key_implILNS1_25lookback_scan_determinismE0ELb1ES3_N6thrust23THRUST_200600_302600_NS6detail15normal_iteratorINSB_10device_ptrIjEEEENSD_INSE_IS6_EEEESI_S6_NSB_4plusIvEENSB_8equal_toIvEES6_EE10hipError_tPvRmT2_T3_T4_T5_mT6_T7_P12ihipStream_tbENKUlT_T0_E_clISt17integral_constantIbLb0EES12_IbLb1EEEEDaSY_SZ_EUlSY_E_NS1_11comp_targetILNS1_3genE4ELNS1_11target_archE910ELNS1_3gpuE8ELNS1_3repE0EEENS1_30default_config_static_selectorELNS0_4arch9wavefront6targetE0EEEvT1_.uses_vcc, 0
	.set _ZN7rocprim17ROCPRIM_400000_NS6detail17trampoline_kernelINS0_14default_configENS1_27scan_by_key_config_selectorIj11FixedVectorIiLj4EEEEZZNS1_16scan_by_key_implILNS1_25lookback_scan_determinismE0ELb1ES3_N6thrust23THRUST_200600_302600_NS6detail15normal_iteratorINSB_10device_ptrIjEEEENSD_INSE_IS6_EEEESI_S6_NSB_4plusIvEENSB_8equal_toIvEES6_EE10hipError_tPvRmT2_T3_T4_T5_mT6_T7_P12ihipStream_tbENKUlT_T0_E_clISt17integral_constantIbLb0EES12_IbLb1EEEEDaSY_SZ_EUlSY_E_NS1_11comp_targetILNS1_3genE4ELNS1_11target_archE910ELNS1_3gpuE8ELNS1_3repE0EEENS1_30default_config_static_selectorELNS0_4arch9wavefront6targetE0EEEvT1_.uses_flat_scratch, 0
	.set _ZN7rocprim17ROCPRIM_400000_NS6detail17trampoline_kernelINS0_14default_configENS1_27scan_by_key_config_selectorIj11FixedVectorIiLj4EEEEZZNS1_16scan_by_key_implILNS1_25lookback_scan_determinismE0ELb1ES3_N6thrust23THRUST_200600_302600_NS6detail15normal_iteratorINSB_10device_ptrIjEEEENSD_INSE_IS6_EEEESI_S6_NSB_4plusIvEENSB_8equal_toIvEES6_EE10hipError_tPvRmT2_T3_T4_T5_mT6_T7_P12ihipStream_tbENKUlT_T0_E_clISt17integral_constantIbLb0EES12_IbLb1EEEEDaSY_SZ_EUlSY_E_NS1_11comp_targetILNS1_3genE4ELNS1_11target_archE910ELNS1_3gpuE8ELNS1_3repE0EEENS1_30default_config_static_selectorELNS0_4arch9wavefront6targetE0EEEvT1_.has_dyn_sized_stack, 0
	.set _ZN7rocprim17ROCPRIM_400000_NS6detail17trampoline_kernelINS0_14default_configENS1_27scan_by_key_config_selectorIj11FixedVectorIiLj4EEEEZZNS1_16scan_by_key_implILNS1_25lookback_scan_determinismE0ELb1ES3_N6thrust23THRUST_200600_302600_NS6detail15normal_iteratorINSB_10device_ptrIjEEEENSD_INSE_IS6_EEEESI_S6_NSB_4plusIvEENSB_8equal_toIvEES6_EE10hipError_tPvRmT2_T3_T4_T5_mT6_T7_P12ihipStream_tbENKUlT_T0_E_clISt17integral_constantIbLb0EES12_IbLb1EEEEDaSY_SZ_EUlSY_E_NS1_11comp_targetILNS1_3genE4ELNS1_11target_archE910ELNS1_3gpuE8ELNS1_3repE0EEENS1_30default_config_static_selectorELNS0_4arch9wavefront6targetE0EEEvT1_.has_recursion, 0
	.set _ZN7rocprim17ROCPRIM_400000_NS6detail17trampoline_kernelINS0_14default_configENS1_27scan_by_key_config_selectorIj11FixedVectorIiLj4EEEEZZNS1_16scan_by_key_implILNS1_25lookback_scan_determinismE0ELb1ES3_N6thrust23THRUST_200600_302600_NS6detail15normal_iteratorINSB_10device_ptrIjEEEENSD_INSE_IS6_EEEESI_S6_NSB_4plusIvEENSB_8equal_toIvEES6_EE10hipError_tPvRmT2_T3_T4_T5_mT6_T7_P12ihipStream_tbENKUlT_T0_E_clISt17integral_constantIbLb0EES12_IbLb1EEEEDaSY_SZ_EUlSY_E_NS1_11comp_targetILNS1_3genE4ELNS1_11target_archE910ELNS1_3gpuE8ELNS1_3repE0EEENS1_30default_config_static_selectorELNS0_4arch9wavefront6targetE0EEEvT1_.has_indirect_call, 0
	.section	.AMDGPU.csdata,"",@progbits
; Kernel info:
; codeLenInByte = 0
; TotalNumSgprs: 0
; NumVgprs: 0
; ScratchSize: 0
; MemoryBound: 0
; FloatMode: 240
; IeeeMode: 1
; LDSByteSize: 0 bytes/workgroup (compile time only)
; SGPRBlocks: 0
; VGPRBlocks: 0
; NumSGPRsForWavesPerEU: 1
; NumVGPRsForWavesPerEU: 1
; NamedBarCnt: 0
; Occupancy: 16
; WaveLimiterHint : 0
; COMPUTE_PGM_RSRC2:SCRATCH_EN: 0
; COMPUTE_PGM_RSRC2:USER_SGPR: 2
; COMPUTE_PGM_RSRC2:TRAP_HANDLER: 0
; COMPUTE_PGM_RSRC2:TGID_X_EN: 1
; COMPUTE_PGM_RSRC2:TGID_Y_EN: 0
; COMPUTE_PGM_RSRC2:TGID_Z_EN: 0
; COMPUTE_PGM_RSRC2:TIDIG_COMP_CNT: 0
	.section	.text._ZN7rocprim17ROCPRIM_400000_NS6detail17trampoline_kernelINS0_14default_configENS1_27scan_by_key_config_selectorIj11FixedVectorIiLj4EEEEZZNS1_16scan_by_key_implILNS1_25lookback_scan_determinismE0ELb1ES3_N6thrust23THRUST_200600_302600_NS6detail15normal_iteratorINSB_10device_ptrIjEEEENSD_INSE_IS6_EEEESI_S6_NSB_4plusIvEENSB_8equal_toIvEES6_EE10hipError_tPvRmT2_T3_T4_T5_mT6_T7_P12ihipStream_tbENKUlT_T0_E_clISt17integral_constantIbLb0EES12_IbLb1EEEEDaSY_SZ_EUlSY_E_NS1_11comp_targetILNS1_3genE3ELNS1_11target_archE908ELNS1_3gpuE7ELNS1_3repE0EEENS1_30default_config_static_selectorELNS0_4arch9wavefront6targetE0EEEvT1_,"axG",@progbits,_ZN7rocprim17ROCPRIM_400000_NS6detail17trampoline_kernelINS0_14default_configENS1_27scan_by_key_config_selectorIj11FixedVectorIiLj4EEEEZZNS1_16scan_by_key_implILNS1_25lookback_scan_determinismE0ELb1ES3_N6thrust23THRUST_200600_302600_NS6detail15normal_iteratorINSB_10device_ptrIjEEEENSD_INSE_IS6_EEEESI_S6_NSB_4plusIvEENSB_8equal_toIvEES6_EE10hipError_tPvRmT2_T3_T4_T5_mT6_T7_P12ihipStream_tbENKUlT_T0_E_clISt17integral_constantIbLb0EES12_IbLb1EEEEDaSY_SZ_EUlSY_E_NS1_11comp_targetILNS1_3genE3ELNS1_11target_archE908ELNS1_3gpuE7ELNS1_3repE0EEENS1_30default_config_static_selectorELNS0_4arch9wavefront6targetE0EEEvT1_,comdat
	.protected	_ZN7rocprim17ROCPRIM_400000_NS6detail17trampoline_kernelINS0_14default_configENS1_27scan_by_key_config_selectorIj11FixedVectorIiLj4EEEEZZNS1_16scan_by_key_implILNS1_25lookback_scan_determinismE0ELb1ES3_N6thrust23THRUST_200600_302600_NS6detail15normal_iteratorINSB_10device_ptrIjEEEENSD_INSE_IS6_EEEESI_S6_NSB_4plusIvEENSB_8equal_toIvEES6_EE10hipError_tPvRmT2_T3_T4_T5_mT6_T7_P12ihipStream_tbENKUlT_T0_E_clISt17integral_constantIbLb0EES12_IbLb1EEEEDaSY_SZ_EUlSY_E_NS1_11comp_targetILNS1_3genE3ELNS1_11target_archE908ELNS1_3gpuE7ELNS1_3repE0EEENS1_30default_config_static_selectorELNS0_4arch9wavefront6targetE0EEEvT1_ ; -- Begin function _ZN7rocprim17ROCPRIM_400000_NS6detail17trampoline_kernelINS0_14default_configENS1_27scan_by_key_config_selectorIj11FixedVectorIiLj4EEEEZZNS1_16scan_by_key_implILNS1_25lookback_scan_determinismE0ELb1ES3_N6thrust23THRUST_200600_302600_NS6detail15normal_iteratorINSB_10device_ptrIjEEEENSD_INSE_IS6_EEEESI_S6_NSB_4plusIvEENSB_8equal_toIvEES6_EE10hipError_tPvRmT2_T3_T4_T5_mT6_T7_P12ihipStream_tbENKUlT_T0_E_clISt17integral_constantIbLb0EES12_IbLb1EEEEDaSY_SZ_EUlSY_E_NS1_11comp_targetILNS1_3genE3ELNS1_11target_archE908ELNS1_3gpuE7ELNS1_3repE0EEENS1_30default_config_static_selectorELNS0_4arch9wavefront6targetE0EEEvT1_
	.globl	_ZN7rocprim17ROCPRIM_400000_NS6detail17trampoline_kernelINS0_14default_configENS1_27scan_by_key_config_selectorIj11FixedVectorIiLj4EEEEZZNS1_16scan_by_key_implILNS1_25lookback_scan_determinismE0ELb1ES3_N6thrust23THRUST_200600_302600_NS6detail15normal_iteratorINSB_10device_ptrIjEEEENSD_INSE_IS6_EEEESI_S6_NSB_4plusIvEENSB_8equal_toIvEES6_EE10hipError_tPvRmT2_T3_T4_T5_mT6_T7_P12ihipStream_tbENKUlT_T0_E_clISt17integral_constantIbLb0EES12_IbLb1EEEEDaSY_SZ_EUlSY_E_NS1_11comp_targetILNS1_3genE3ELNS1_11target_archE908ELNS1_3gpuE7ELNS1_3repE0EEENS1_30default_config_static_selectorELNS0_4arch9wavefront6targetE0EEEvT1_
	.p2align	8
	.type	_ZN7rocprim17ROCPRIM_400000_NS6detail17trampoline_kernelINS0_14default_configENS1_27scan_by_key_config_selectorIj11FixedVectorIiLj4EEEEZZNS1_16scan_by_key_implILNS1_25lookback_scan_determinismE0ELb1ES3_N6thrust23THRUST_200600_302600_NS6detail15normal_iteratorINSB_10device_ptrIjEEEENSD_INSE_IS6_EEEESI_S6_NSB_4plusIvEENSB_8equal_toIvEES6_EE10hipError_tPvRmT2_T3_T4_T5_mT6_T7_P12ihipStream_tbENKUlT_T0_E_clISt17integral_constantIbLb0EES12_IbLb1EEEEDaSY_SZ_EUlSY_E_NS1_11comp_targetILNS1_3genE3ELNS1_11target_archE908ELNS1_3gpuE7ELNS1_3repE0EEENS1_30default_config_static_selectorELNS0_4arch9wavefront6targetE0EEEvT1_,@function
_ZN7rocprim17ROCPRIM_400000_NS6detail17trampoline_kernelINS0_14default_configENS1_27scan_by_key_config_selectorIj11FixedVectorIiLj4EEEEZZNS1_16scan_by_key_implILNS1_25lookback_scan_determinismE0ELb1ES3_N6thrust23THRUST_200600_302600_NS6detail15normal_iteratorINSB_10device_ptrIjEEEENSD_INSE_IS6_EEEESI_S6_NSB_4plusIvEENSB_8equal_toIvEES6_EE10hipError_tPvRmT2_T3_T4_T5_mT6_T7_P12ihipStream_tbENKUlT_T0_E_clISt17integral_constantIbLb0EES12_IbLb1EEEEDaSY_SZ_EUlSY_E_NS1_11comp_targetILNS1_3genE3ELNS1_11target_archE908ELNS1_3gpuE7ELNS1_3repE0EEENS1_30default_config_static_selectorELNS0_4arch9wavefront6targetE0EEEvT1_: ; @_ZN7rocprim17ROCPRIM_400000_NS6detail17trampoline_kernelINS0_14default_configENS1_27scan_by_key_config_selectorIj11FixedVectorIiLj4EEEEZZNS1_16scan_by_key_implILNS1_25lookback_scan_determinismE0ELb1ES3_N6thrust23THRUST_200600_302600_NS6detail15normal_iteratorINSB_10device_ptrIjEEEENSD_INSE_IS6_EEEESI_S6_NSB_4plusIvEENSB_8equal_toIvEES6_EE10hipError_tPvRmT2_T3_T4_T5_mT6_T7_P12ihipStream_tbENKUlT_T0_E_clISt17integral_constantIbLb0EES12_IbLb1EEEEDaSY_SZ_EUlSY_E_NS1_11comp_targetILNS1_3genE3ELNS1_11target_archE908ELNS1_3gpuE7ELNS1_3repE0EEENS1_30default_config_static_selectorELNS0_4arch9wavefront6targetE0EEEvT1_
; %bb.0:
	.section	.rodata,"a",@progbits
	.p2align	6, 0x0
	.amdhsa_kernel _ZN7rocprim17ROCPRIM_400000_NS6detail17trampoline_kernelINS0_14default_configENS1_27scan_by_key_config_selectorIj11FixedVectorIiLj4EEEEZZNS1_16scan_by_key_implILNS1_25lookback_scan_determinismE0ELb1ES3_N6thrust23THRUST_200600_302600_NS6detail15normal_iteratorINSB_10device_ptrIjEEEENSD_INSE_IS6_EEEESI_S6_NSB_4plusIvEENSB_8equal_toIvEES6_EE10hipError_tPvRmT2_T3_T4_T5_mT6_T7_P12ihipStream_tbENKUlT_T0_E_clISt17integral_constantIbLb0EES12_IbLb1EEEEDaSY_SZ_EUlSY_E_NS1_11comp_targetILNS1_3genE3ELNS1_11target_archE908ELNS1_3gpuE7ELNS1_3repE0EEENS1_30default_config_static_selectorELNS0_4arch9wavefront6targetE0EEEvT1_
		.amdhsa_group_segment_fixed_size 0
		.amdhsa_private_segment_fixed_size 0
		.amdhsa_kernarg_size 144
		.amdhsa_user_sgpr_count 2
		.amdhsa_user_sgpr_dispatch_ptr 0
		.amdhsa_user_sgpr_queue_ptr 0
		.amdhsa_user_sgpr_kernarg_segment_ptr 1
		.amdhsa_user_sgpr_dispatch_id 0
		.amdhsa_user_sgpr_kernarg_preload_length 0
		.amdhsa_user_sgpr_kernarg_preload_offset 0
		.amdhsa_user_sgpr_private_segment_size 0
		.amdhsa_wavefront_size32 1
		.amdhsa_uses_dynamic_stack 0
		.amdhsa_enable_private_segment 0
		.amdhsa_system_sgpr_workgroup_id_x 1
		.amdhsa_system_sgpr_workgroup_id_y 0
		.amdhsa_system_sgpr_workgroup_id_z 0
		.amdhsa_system_sgpr_workgroup_info 0
		.amdhsa_system_vgpr_workitem_id 0
		.amdhsa_next_free_vgpr 1
		.amdhsa_next_free_sgpr 1
		.amdhsa_named_barrier_count 0
		.amdhsa_reserve_vcc 0
		.amdhsa_float_round_mode_32 0
		.amdhsa_float_round_mode_16_64 0
		.amdhsa_float_denorm_mode_32 3
		.amdhsa_float_denorm_mode_16_64 3
		.amdhsa_fp16_overflow 0
		.amdhsa_memory_ordered 1
		.amdhsa_forward_progress 1
		.amdhsa_inst_pref_size 0
		.amdhsa_round_robin_scheduling 0
		.amdhsa_exception_fp_ieee_invalid_op 0
		.amdhsa_exception_fp_denorm_src 0
		.amdhsa_exception_fp_ieee_div_zero 0
		.amdhsa_exception_fp_ieee_overflow 0
		.amdhsa_exception_fp_ieee_underflow 0
		.amdhsa_exception_fp_ieee_inexact 0
		.amdhsa_exception_int_div_zero 0
	.end_amdhsa_kernel
	.section	.text._ZN7rocprim17ROCPRIM_400000_NS6detail17trampoline_kernelINS0_14default_configENS1_27scan_by_key_config_selectorIj11FixedVectorIiLj4EEEEZZNS1_16scan_by_key_implILNS1_25lookback_scan_determinismE0ELb1ES3_N6thrust23THRUST_200600_302600_NS6detail15normal_iteratorINSB_10device_ptrIjEEEENSD_INSE_IS6_EEEESI_S6_NSB_4plusIvEENSB_8equal_toIvEES6_EE10hipError_tPvRmT2_T3_T4_T5_mT6_T7_P12ihipStream_tbENKUlT_T0_E_clISt17integral_constantIbLb0EES12_IbLb1EEEEDaSY_SZ_EUlSY_E_NS1_11comp_targetILNS1_3genE3ELNS1_11target_archE908ELNS1_3gpuE7ELNS1_3repE0EEENS1_30default_config_static_selectorELNS0_4arch9wavefront6targetE0EEEvT1_,"axG",@progbits,_ZN7rocprim17ROCPRIM_400000_NS6detail17trampoline_kernelINS0_14default_configENS1_27scan_by_key_config_selectorIj11FixedVectorIiLj4EEEEZZNS1_16scan_by_key_implILNS1_25lookback_scan_determinismE0ELb1ES3_N6thrust23THRUST_200600_302600_NS6detail15normal_iteratorINSB_10device_ptrIjEEEENSD_INSE_IS6_EEEESI_S6_NSB_4plusIvEENSB_8equal_toIvEES6_EE10hipError_tPvRmT2_T3_T4_T5_mT6_T7_P12ihipStream_tbENKUlT_T0_E_clISt17integral_constantIbLb0EES12_IbLb1EEEEDaSY_SZ_EUlSY_E_NS1_11comp_targetILNS1_3genE3ELNS1_11target_archE908ELNS1_3gpuE7ELNS1_3repE0EEENS1_30default_config_static_selectorELNS0_4arch9wavefront6targetE0EEEvT1_,comdat
.Lfunc_end2106:
	.size	_ZN7rocprim17ROCPRIM_400000_NS6detail17trampoline_kernelINS0_14default_configENS1_27scan_by_key_config_selectorIj11FixedVectorIiLj4EEEEZZNS1_16scan_by_key_implILNS1_25lookback_scan_determinismE0ELb1ES3_N6thrust23THRUST_200600_302600_NS6detail15normal_iteratorINSB_10device_ptrIjEEEENSD_INSE_IS6_EEEESI_S6_NSB_4plusIvEENSB_8equal_toIvEES6_EE10hipError_tPvRmT2_T3_T4_T5_mT6_T7_P12ihipStream_tbENKUlT_T0_E_clISt17integral_constantIbLb0EES12_IbLb1EEEEDaSY_SZ_EUlSY_E_NS1_11comp_targetILNS1_3genE3ELNS1_11target_archE908ELNS1_3gpuE7ELNS1_3repE0EEENS1_30default_config_static_selectorELNS0_4arch9wavefront6targetE0EEEvT1_, .Lfunc_end2106-_ZN7rocprim17ROCPRIM_400000_NS6detail17trampoline_kernelINS0_14default_configENS1_27scan_by_key_config_selectorIj11FixedVectorIiLj4EEEEZZNS1_16scan_by_key_implILNS1_25lookback_scan_determinismE0ELb1ES3_N6thrust23THRUST_200600_302600_NS6detail15normal_iteratorINSB_10device_ptrIjEEEENSD_INSE_IS6_EEEESI_S6_NSB_4plusIvEENSB_8equal_toIvEES6_EE10hipError_tPvRmT2_T3_T4_T5_mT6_T7_P12ihipStream_tbENKUlT_T0_E_clISt17integral_constantIbLb0EES12_IbLb1EEEEDaSY_SZ_EUlSY_E_NS1_11comp_targetILNS1_3genE3ELNS1_11target_archE908ELNS1_3gpuE7ELNS1_3repE0EEENS1_30default_config_static_selectorELNS0_4arch9wavefront6targetE0EEEvT1_
                                        ; -- End function
	.set _ZN7rocprim17ROCPRIM_400000_NS6detail17trampoline_kernelINS0_14default_configENS1_27scan_by_key_config_selectorIj11FixedVectorIiLj4EEEEZZNS1_16scan_by_key_implILNS1_25lookback_scan_determinismE0ELb1ES3_N6thrust23THRUST_200600_302600_NS6detail15normal_iteratorINSB_10device_ptrIjEEEENSD_INSE_IS6_EEEESI_S6_NSB_4plusIvEENSB_8equal_toIvEES6_EE10hipError_tPvRmT2_T3_T4_T5_mT6_T7_P12ihipStream_tbENKUlT_T0_E_clISt17integral_constantIbLb0EES12_IbLb1EEEEDaSY_SZ_EUlSY_E_NS1_11comp_targetILNS1_3genE3ELNS1_11target_archE908ELNS1_3gpuE7ELNS1_3repE0EEENS1_30default_config_static_selectorELNS0_4arch9wavefront6targetE0EEEvT1_.num_vgpr, 0
	.set _ZN7rocprim17ROCPRIM_400000_NS6detail17trampoline_kernelINS0_14default_configENS1_27scan_by_key_config_selectorIj11FixedVectorIiLj4EEEEZZNS1_16scan_by_key_implILNS1_25lookback_scan_determinismE0ELb1ES3_N6thrust23THRUST_200600_302600_NS6detail15normal_iteratorINSB_10device_ptrIjEEEENSD_INSE_IS6_EEEESI_S6_NSB_4plusIvEENSB_8equal_toIvEES6_EE10hipError_tPvRmT2_T3_T4_T5_mT6_T7_P12ihipStream_tbENKUlT_T0_E_clISt17integral_constantIbLb0EES12_IbLb1EEEEDaSY_SZ_EUlSY_E_NS1_11comp_targetILNS1_3genE3ELNS1_11target_archE908ELNS1_3gpuE7ELNS1_3repE0EEENS1_30default_config_static_selectorELNS0_4arch9wavefront6targetE0EEEvT1_.num_agpr, 0
	.set _ZN7rocprim17ROCPRIM_400000_NS6detail17trampoline_kernelINS0_14default_configENS1_27scan_by_key_config_selectorIj11FixedVectorIiLj4EEEEZZNS1_16scan_by_key_implILNS1_25lookback_scan_determinismE0ELb1ES3_N6thrust23THRUST_200600_302600_NS6detail15normal_iteratorINSB_10device_ptrIjEEEENSD_INSE_IS6_EEEESI_S6_NSB_4plusIvEENSB_8equal_toIvEES6_EE10hipError_tPvRmT2_T3_T4_T5_mT6_T7_P12ihipStream_tbENKUlT_T0_E_clISt17integral_constantIbLb0EES12_IbLb1EEEEDaSY_SZ_EUlSY_E_NS1_11comp_targetILNS1_3genE3ELNS1_11target_archE908ELNS1_3gpuE7ELNS1_3repE0EEENS1_30default_config_static_selectorELNS0_4arch9wavefront6targetE0EEEvT1_.numbered_sgpr, 0
	.set _ZN7rocprim17ROCPRIM_400000_NS6detail17trampoline_kernelINS0_14default_configENS1_27scan_by_key_config_selectorIj11FixedVectorIiLj4EEEEZZNS1_16scan_by_key_implILNS1_25lookback_scan_determinismE0ELb1ES3_N6thrust23THRUST_200600_302600_NS6detail15normal_iteratorINSB_10device_ptrIjEEEENSD_INSE_IS6_EEEESI_S6_NSB_4plusIvEENSB_8equal_toIvEES6_EE10hipError_tPvRmT2_T3_T4_T5_mT6_T7_P12ihipStream_tbENKUlT_T0_E_clISt17integral_constantIbLb0EES12_IbLb1EEEEDaSY_SZ_EUlSY_E_NS1_11comp_targetILNS1_3genE3ELNS1_11target_archE908ELNS1_3gpuE7ELNS1_3repE0EEENS1_30default_config_static_selectorELNS0_4arch9wavefront6targetE0EEEvT1_.num_named_barrier, 0
	.set _ZN7rocprim17ROCPRIM_400000_NS6detail17trampoline_kernelINS0_14default_configENS1_27scan_by_key_config_selectorIj11FixedVectorIiLj4EEEEZZNS1_16scan_by_key_implILNS1_25lookback_scan_determinismE0ELb1ES3_N6thrust23THRUST_200600_302600_NS6detail15normal_iteratorINSB_10device_ptrIjEEEENSD_INSE_IS6_EEEESI_S6_NSB_4plusIvEENSB_8equal_toIvEES6_EE10hipError_tPvRmT2_T3_T4_T5_mT6_T7_P12ihipStream_tbENKUlT_T0_E_clISt17integral_constantIbLb0EES12_IbLb1EEEEDaSY_SZ_EUlSY_E_NS1_11comp_targetILNS1_3genE3ELNS1_11target_archE908ELNS1_3gpuE7ELNS1_3repE0EEENS1_30default_config_static_selectorELNS0_4arch9wavefront6targetE0EEEvT1_.private_seg_size, 0
	.set _ZN7rocprim17ROCPRIM_400000_NS6detail17trampoline_kernelINS0_14default_configENS1_27scan_by_key_config_selectorIj11FixedVectorIiLj4EEEEZZNS1_16scan_by_key_implILNS1_25lookback_scan_determinismE0ELb1ES3_N6thrust23THRUST_200600_302600_NS6detail15normal_iteratorINSB_10device_ptrIjEEEENSD_INSE_IS6_EEEESI_S6_NSB_4plusIvEENSB_8equal_toIvEES6_EE10hipError_tPvRmT2_T3_T4_T5_mT6_T7_P12ihipStream_tbENKUlT_T0_E_clISt17integral_constantIbLb0EES12_IbLb1EEEEDaSY_SZ_EUlSY_E_NS1_11comp_targetILNS1_3genE3ELNS1_11target_archE908ELNS1_3gpuE7ELNS1_3repE0EEENS1_30default_config_static_selectorELNS0_4arch9wavefront6targetE0EEEvT1_.uses_vcc, 0
	.set _ZN7rocprim17ROCPRIM_400000_NS6detail17trampoline_kernelINS0_14default_configENS1_27scan_by_key_config_selectorIj11FixedVectorIiLj4EEEEZZNS1_16scan_by_key_implILNS1_25lookback_scan_determinismE0ELb1ES3_N6thrust23THRUST_200600_302600_NS6detail15normal_iteratorINSB_10device_ptrIjEEEENSD_INSE_IS6_EEEESI_S6_NSB_4plusIvEENSB_8equal_toIvEES6_EE10hipError_tPvRmT2_T3_T4_T5_mT6_T7_P12ihipStream_tbENKUlT_T0_E_clISt17integral_constantIbLb0EES12_IbLb1EEEEDaSY_SZ_EUlSY_E_NS1_11comp_targetILNS1_3genE3ELNS1_11target_archE908ELNS1_3gpuE7ELNS1_3repE0EEENS1_30default_config_static_selectorELNS0_4arch9wavefront6targetE0EEEvT1_.uses_flat_scratch, 0
	.set _ZN7rocprim17ROCPRIM_400000_NS6detail17trampoline_kernelINS0_14default_configENS1_27scan_by_key_config_selectorIj11FixedVectorIiLj4EEEEZZNS1_16scan_by_key_implILNS1_25lookback_scan_determinismE0ELb1ES3_N6thrust23THRUST_200600_302600_NS6detail15normal_iteratorINSB_10device_ptrIjEEEENSD_INSE_IS6_EEEESI_S6_NSB_4plusIvEENSB_8equal_toIvEES6_EE10hipError_tPvRmT2_T3_T4_T5_mT6_T7_P12ihipStream_tbENKUlT_T0_E_clISt17integral_constantIbLb0EES12_IbLb1EEEEDaSY_SZ_EUlSY_E_NS1_11comp_targetILNS1_3genE3ELNS1_11target_archE908ELNS1_3gpuE7ELNS1_3repE0EEENS1_30default_config_static_selectorELNS0_4arch9wavefront6targetE0EEEvT1_.has_dyn_sized_stack, 0
	.set _ZN7rocprim17ROCPRIM_400000_NS6detail17trampoline_kernelINS0_14default_configENS1_27scan_by_key_config_selectorIj11FixedVectorIiLj4EEEEZZNS1_16scan_by_key_implILNS1_25lookback_scan_determinismE0ELb1ES3_N6thrust23THRUST_200600_302600_NS6detail15normal_iteratorINSB_10device_ptrIjEEEENSD_INSE_IS6_EEEESI_S6_NSB_4plusIvEENSB_8equal_toIvEES6_EE10hipError_tPvRmT2_T3_T4_T5_mT6_T7_P12ihipStream_tbENKUlT_T0_E_clISt17integral_constantIbLb0EES12_IbLb1EEEEDaSY_SZ_EUlSY_E_NS1_11comp_targetILNS1_3genE3ELNS1_11target_archE908ELNS1_3gpuE7ELNS1_3repE0EEENS1_30default_config_static_selectorELNS0_4arch9wavefront6targetE0EEEvT1_.has_recursion, 0
	.set _ZN7rocprim17ROCPRIM_400000_NS6detail17trampoline_kernelINS0_14default_configENS1_27scan_by_key_config_selectorIj11FixedVectorIiLj4EEEEZZNS1_16scan_by_key_implILNS1_25lookback_scan_determinismE0ELb1ES3_N6thrust23THRUST_200600_302600_NS6detail15normal_iteratorINSB_10device_ptrIjEEEENSD_INSE_IS6_EEEESI_S6_NSB_4plusIvEENSB_8equal_toIvEES6_EE10hipError_tPvRmT2_T3_T4_T5_mT6_T7_P12ihipStream_tbENKUlT_T0_E_clISt17integral_constantIbLb0EES12_IbLb1EEEEDaSY_SZ_EUlSY_E_NS1_11comp_targetILNS1_3genE3ELNS1_11target_archE908ELNS1_3gpuE7ELNS1_3repE0EEENS1_30default_config_static_selectorELNS0_4arch9wavefront6targetE0EEEvT1_.has_indirect_call, 0
	.section	.AMDGPU.csdata,"",@progbits
; Kernel info:
; codeLenInByte = 0
; TotalNumSgprs: 0
; NumVgprs: 0
; ScratchSize: 0
; MemoryBound: 0
; FloatMode: 240
; IeeeMode: 1
; LDSByteSize: 0 bytes/workgroup (compile time only)
; SGPRBlocks: 0
; VGPRBlocks: 0
; NumSGPRsForWavesPerEU: 1
; NumVGPRsForWavesPerEU: 1
; NamedBarCnt: 0
; Occupancy: 16
; WaveLimiterHint : 0
; COMPUTE_PGM_RSRC2:SCRATCH_EN: 0
; COMPUTE_PGM_RSRC2:USER_SGPR: 2
; COMPUTE_PGM_RSRC2:TRAP_HANDLER: 0
; COMPUTE_PGM_RSRC2:TGID_X_EN: 1
; COMPUTE_PGM_RSRC2:TGID_Y_EN: 0
; COMPUTE_PGM_RSRC2:TGID_Z_EN: 0
; COMPUTE_PGM_RSRC2:TIDIG_COMP_CNT: 0
	.section	.text._ZN7rocprim17ROCPRIM_400000_NS6detail17trampoline_kernelINS0_14default_configENS1_27scan_by_key_config_selectorIj11FixedVectorIiLj4EEEEZZNS1_16scan_by_key_implILNS1_25lookback_scan_determinismE0ELb1ES3_N6thrust23THRUST_200600_302600_NS6detail15normal_iteratorINSB_10device_ptrIjEEEENSD_INSE_IS6_EEEESI_S6_NSB_4plusIvEENSB_8equal_toIvEES6_EE10hipError_tPvRmT2_T3_T4_T5_mT6_T7_P12ihipStream_tbENKUlT_T0_E_clISt17integral_constantIbLb0EES12_IbLb1EEEEDaSY_SZ_EUlSY_E_NS1_11comp_targetILNS1_3genE2ELNS1_11target_archE906ELNS1_3gpuE6ELNS1_3repE0EEENS1_30default_config_static_selectorELNS0_4arch9wavefront6targetE0EEEvT1_,"axG",@progbits,_ZN7rocprim17ROCPRIM_400000_NS6detail17trampoline_kernelINS0_14default_configENS1_27scan_by_key_config_selectorIj11FixedVectorIiLj4EEEEZZNS1_16scan_by_key_implILNS1_25lookback_scan_determinismE0ELb1ES3_N6thrust23THRUST_200600_302600_NS6detail15normal_iteratorINSB_10device_ptrIjEEEENSD_INSE_IS6_EEEESI_S6_NSB_4plusIvEENSB_8equal_toIvEES6_EE10hipError_tPvRmT2_T3_T4_T5_mT6_T7_P12ihipStream_tbENKUlT_T0_E_clISt17integral_constantIbLb0EES12_IbLb1EEEEDaSY_SZ_EUlSY_E_NS1_11comp_targetILNS1_3genE2ELNS1_11target_archE906ELNS1_3gpuE6ELNS1_3repE0EEENS1_30default_config_static_selectorELNS0_4arch9wavefront6targetE0EEEvT1_,comdat
	.protected	_ZN7rocprim17ROCPRIM_400000_NS6detail17trampoline_kernelINS0_14default_configENS1_27scan_by_key_config_selectorIj11FixedVectorIiLj4EEEEZZNS1_16scan_by_key_implILNS1_25lookback_scan_determinismE0ELb1ES3_N6thrust23THRUST_200600_302600_NS6detail15normal_iteratorINSB_10device_ptrIjEEEENSD_INSE_IS6_EEEESI_S6_NSB_4plusIvEENSB_8equal_toIvEES6_EE10hipError_tPvRmT2_T3_T4_T5_mT6_T7_P12ihipStream_tbENKUlT_T0_E_clISt17integral_constantIbLb0EES12_IbLb1EEEEDaSY_SZ_EUlSY_E_NS1_11comp_targetILNS1_3genE2ELNS1_11target_archE906ELNS1_3gpuE6ELNS1_3repE0EEENS1_30default_config_static_selectorELNS0_4arch9wavefront6targetE0EEEvT1_ ; -- Begin function _ZN7rocprim17ROCPRIM_400000_NS6detail17trampoline_kernelINS0_14default_configENS1_27scan_by_key_config_selectorIj11FixedVectorIiLj4EEEEZZNS1_16scan_by_key_implILNS1_25lookback_scan_determinismE0ELb1ES3_N6thrust23THRUST_200600_302600_NS6detail15normal_iteratorINSB_10device_ptrIjEEEENSD_INSE_IS6_EEEESI_S6_NSB_4plusIvEENSB_8equal_toIvEES6_EE10hipError_tPvRmT2_T3_T4_T5_mT6_T7_P12ihipStream_tbENKUlT_T0_E_clISt17integral_constantIbLb0EES12_IbLb1EEEEDaSY_SZ_EUlSY_E_NS1_11comp_targetILNS1_3genE2ELNS1_11target_archE906ELNS1_3gpuE6ELNS1_3repE0EEENS1_30default_config_static_selectorELNS0_4arch9wavefront6targetE0EEEvT1_
	.globl	_ZN7rocprim17ROCPRIM_400000_NS6detail17trampoline_kernelINS0_14default_configENS1_27scan_by_key_config_selectorIj11FixedVectorIiLj4EEEEZZNS1_16scan_by_key_implILNS1_25lookback_scan_determinismE0ELb1ES3_N6thrust23THRUST_200600_302600_NS6detail15normal_iteratorINSB_10device_ptrIjEEEENSD_INSE_IS6_EEEESI_S6_NSB_4plusIvEENSB_8equal_toIvEES6_EE10hipError_tPvRmT2_T3_T4_T5_mT6_T7_P12ihipStream_tbENKUlT_T0_E_clISt17integral_constantIbLb0EES12_IbLb1EEEEDaSY_SZ_EUlSY_E_NS1_11comp_targetILNS1_3genE2ELNS1_11target_archE906ELNS1_3gpuE6ELNS1_3repE0EEENS1_30default_config_static_selectorELNS0_4arch9wavefront6targetE0EEEvT1_
	.p2align	8
	.type	_ZN7rocprim17ROCPRIM_400000_NS6detail17trampoline_kernelINS0_14default_configENS1_27scan_by_key_config_selectorIj11FixedVectorIiLj4EEEEZZNS1_16scan_by_key_implILNS1_25lookback_scan_determinismE0ELb1ES3_N6thrust23THRUST_200600_302600_NS6detail15normal_iteratorINSB_10device_ptrIjEEEENSD_INSE_IS6_EEEESI_S6_NSB_4plusIvEENSB_8equal_toIvEES6_EE10hipError_tPvRmT2_T3_T4_T5_mT6_T7_P12ihipStream_tbENKUlT_T0_E_clISt17integral_constantIbLb0EES12_IbLb1EEEEDaSY_SZ_EUlSY_E_NS1_11comp_targetILNS1_3genE2ELNS1_11target_archE906ELNS1_3gpuE6ELNS1_3repE0EEENS1_30default_config_static_selectorELNS0_4arch9wavefront6targetE0EEEvT1_,@function
_ZN7rocprim17ROCPRIM_400000_NS6detail17trampoline_kernelINS0_14default_configENS1_27scan_by_key_config_selectorIj11FixedVectorIiLj4EEEEZZNS1_16scan_by_key_implILNS1_25lookback_scan_determinismE0ELb1ES3_N6thrust23THRUST_200600_302600_NS6detail15normal_iteratorINSB_10device_ptrIjEEEENSD_INSE_IS6_EEEESI_S6_NSB_4plusIvEENSB_8equal_toIvEES6_EE10hipError_tPvRmT2_T3_T4_T5_mT6_T7_P12ihipStream_tbENKUlT_T0_E_clISt17integral_constantIbLb0EES12_IbLb1EEEEDaSY_SZ_EUlSY_E_NS1_11comp_targetILNS1_3genE2ELNS1_11target_archE906ELNS1_3gpuE6ELNS1_3repE0EEENS1_30default_config_static_selectorELNS0_4arch9wavefront6targetE0EEEvT1_: ; @_ZN7rocprim17ROCPRIM_400000_NS6detail17trampoline_kernelINS0_14default_configENS1_27scan_by_key_config_selectorIj11FixedVectorIiLj4EEEEZZNS1_16scan_by_key_implILNS1_25lookback_scan_determinismE0ELb1ES3_N6thrust23THRUST_200600_302600_NS6detail15normal_iteratorINSB_10device_ptrIjEEEENSD_INSE_IS6_EEEESI_S6_NSB_4plusIvEENSB_8equal_toIvEES6_EE10hipError_tPvRmT2_T3_T4_T5_mT6_T7_P12ihipStream_tbENKUlT_T0_E_clISt17integral_constantIbLb0EES12_IbLb1EEEEDaSY_SZ_EUlSY_E_NS1_11comp_targetILNS1_3genE2ELNS1_11target_archE906ELNS1_3gpuE6ELNS1_3repE0EEENS1_30default_config_static_selectorELNS0_4arch9wavefront6targetE0EEEvT1_
; %bb.0:
	.section	.rodata,"a",@progbits
	.p2align	6, 0x0
	.amdhsa_kernel _ZN7rocprim17ROCPRIM_400000_NS6detail17trampoline_kernelINS0_14default_configENS1_27scan_by_key_config_selectorIj11FixedVectorIiLj4EEEEZZNS1_16scan_by_key_implILNS1_25lookback_scan_determinismE0ELb1ES3_N6thrust23THRUST_200600_302600_NS6detail15normal_iteratorINSB_10device_ptrIjEEEENSD_INSE_IS6_EEEESI_S6_NSB_4plusIvEENSB_8equal_toIvEES6_EE10hipError_tPvRmT2_T3_T4_T5_mT6_T7_P12ihipStream_tbENKUlT_T0_E_clISt17integral_constantIbLb0EES12_IbLb1EEEEDaSY_SZ_EUlSY_E_NS1_11comp_targetILNS1_3genE2ELNS1_11target_archE906ELNS1_3gpuE6ELNS1_3repE0EEENS1_30default_config_static_selectorELNS0_4arch9wavefront6targetE0EEEvT1_
		.amdhsa_group_segment_fixed_size 0
		.amdhsa_private_segment_fixed_size 0
		.amdhsa_kernarg_size 144
		.amdhsa_user_sgpr_count 2
		.amdhsa_user_sgpr_dispatch_ptr 0
		.amdhsa_user_sgpr_queue_ptr 0
		.amdhsa_user_sgpr_kernarg_segment_ptr 1
		.amdhsa_user_sgpr_dispatch_id 0
		.amdhsa_user_sgpr_kernarg_preload_length 0
		.amdhsa_user_sgpr_kernarg_preload_offset 0
		.amdhsa_user_sgpr_private_segment_size 0
		.amdhsa_wavefront_size32 1
		.amdhsa_uses_dynamic_stack 0
		.amdhsa_enable_private_segment 0
		.amdhsa_system_sgpr_workgroup_id_x 1
		.amdhsa_system_sgpr_workgroup_id_y 0
		.amdhsa_system_sgpr_workgroup_id_z 0
		.amdhsa_system_sgpr_workgroup_info 0
		.amdhsa_system_vgpr_workitem_id 0
		.amdhsa_next_free_vgpr 1
		.amdhsa_next_free_sgpr 1
		.amdhsa_named_barrier_count 0
		.amdhsa_reserve_vcc 0
		.amdhsa_float_round_mode_32 0
		.amdhsa_float_round_mode_16_64 0
		.amdhsa_float_denorm_mode_32 3
		.amdhsa_float_denorm_mode_16_64 3
		.amdhsa_fp16_overflow 0
		.amdhsa_memory_ordered 1
		.amdhsa_forward_progress 1
		.amdhsa_inst_pref_size 0
		.amdhsa_round_robin_scheduling 0
		.amdhsa_exception_fp_ieee_invalid_op 0
		.amdhsa_exception_fp_denorm_src 0
		.amdhsa_exception_fp_ieee_div_zero 0
		.amdhsa_exception_fp_ieee_overflow 0
		.amdhsa_exception_fp_ieee_underflow 0
		.amdhsa_exception_fp_ieee_inexact 0
		.amdhsa_exception_int_div_zero 0
	.end_amdhsa_kernel
	.section	.text._ZN7rocprim17ROCPRIM_400000_NS6detail17trampoline_kernelINS0_14default_configENS1_27scan_by_key_config_selectorIj11FixedVectorIiLj4EEEEZZNS1_16scan_by_key_implILNS1_25lookback_scan_determinismE0ELb1ES3_N6thrust23THRUST_200600_302600_NS6detail15normal_iteratorINSB_10device_ptrIjEEEENSD_INSE_IS6_EEEESI_S6_NSB_4plusIvEENSB_8equal_toIvEES6_EE10hipError_tPvRmT2_T3_T4_T5_mT6_T7_P12ihipStream_tbENKUlT_T0_E_clISt17integral_constantIbLb0EES12_IbLb1EEEEDaSY_SZ_EUlSY_E_NS1_11comp_targetILNS1_3genE2ELNS1_11target_archE906ELNS1_3gpuE6ELNS1_3repE0EEENS1_30default_config_static_selectorELNS0_4arch9wavefront6targetE0EEEvT1_,"axG",@progbits,_ZN7rocprim17ROCPRIM_400000_NS6detail17trampoline_kernelINS0_14default_configENS1_27scan_by_key_config_selectorIj11FixedVectorIiLj4EEEEZZNS1_16scan_by_key_implILNS1_25lookback_scan_determinismE0ELb1ES3_N6thrust23THRUST_200600_302600_NS6detail15normal_iteratorINSB_10device_ptrIjEEEENSD_INSE_IS6_EEEESI_S6_NSB_4plusIvEENSB_8equal_toIvEES6_EE10hipError_tPvRmT2_T3_T4_T5_mT6_T7_P12ihipStream_tbENKUlT_T0_E_clISt17integral_constantIbLb0EES12_IbLb1EEEEDaSY_SZ_EUlSY_E_NS1_11comp_targetILNS1_3genE2ELNS1_11target_archE906ELNS1_3gpuE6ELNS1_3repE0EEENS1_30default_config_static_selectorELNS0_4arch9wavefront6targetE0EEEvT1_,comdat
.Lfunc_end2107:
	.size	_ZN7rocprim17ROCPRIM_400000_NS6detail17trampoline_kernelINS0_14default_configENS1_27scan_by_key_config_selectorIj11FixedVectorIiLj4EEEEZZNS1_16scan_by_key_implILNS1_25lookback_scan_determinismE0ELb1ES3_N6thrust23THRUST_200600_302600_NS6detail15normal_iteratorINSB_10device_ptrIjEEEENSD_INSE_IS6_EEEESI_S6_NSB_4plusIvEENSB_8equal_toIvEES6_EE10hipError_tPvRmT2_T3_T4_T5_mT6_T7_P12ihipStream_tbENKUlT_T0_E_clISt17integral_constantIbLb0EES12_IbLb1EEEEDaSY_SZ_EUlSY_E_NS1_11comp_targetILNS1_3genE2ELNS1_11target_archE906ELNS1_3gpuE6ELNS1_3repE0EEENS1_30default_config_static_selectorELNS0_4arch9wavefront6targetE0EEEvT1_, .Lfunc_end2107-_ZN7rocprim17ROCPRIM_400000_NS6detail17trampoline_kernelINS0_14default_configENS1_27scan_by_key_config_selectorIj11FixedVectorIiLj4EEEEZZNS1_16scan_by_key_implILNS1_25lookback_scan_determinismE0ELb1ES3_N6thrust23THRUST_200600_302600_NS6detail15normal_iteratorINSB_10device_ptrIjEEEENSD_INSE_IS6_EEEESI_S6_NSB_4plusIvEENSB_8equal_toIvEES6_EE10hipError_tPvRmT2_T3_T4_T5_mT6_T7_P12ihipStream_tbENKUlT_T0_E_clISt17integral_constantIbLb0EES12_IbLb1EEEEDaSY_SZ_EUlSY_E_NS1_11comp_targetILNS1_3genE2ELNS1_11target_archE906ELNS1_3gpuE6ELNS1_3repE0EEENS1_30default_config_static_selectorELNS0_4arch9wavefront6targetE0EEEvT1_
                                        ; -- End function
	.set _ZN7rocprim17ROCPRIM_400000_NS6detail17trampoline_kernelINS0_14default_configENS1_27scan_by_key_config_selectorIj11FixedVectorIiLj4EEEEZZNS1_16scan_by_key_implILNS1_25lookback_scan_determinismE0ELb1ES3_N6thrust23THRUST_200600_302600_NS6detail15normal_iteratorINSB_10device_ptrIjEEEENSD_INSE_IS6_EEEESI_S6_NSB_4plusIvEENSB_8equal_toIvEES6_EE10hipError_tPvRmT2_T3_T4_T5_mT6_T7_P12ihipStream_tbENKUlT_T0_E_clISt17integral_constantIbLb0EES12_IbLb1EEEEDaSY_SZ_EUlSY_E_NS1_11comp_targetILNS1_3genE2ELNS1_11target_archE906ELNS1_3gpuE6ELNS1_3repE0EEENS1_30default_config_static_selectorELNS0_4arch9wavefront6targetE0EEEvT1_.num_vgpr, 0
	.set _ZN7rocprim17ROCPRIM_400000_NS6detail17trampoline_kernelINS0_14default_configENS1_27scan_by_key_config_selectorIj11FixedVectorIiLj4EEEEZZNS1_16scan_by_key_implILNS1_25lookback_scan_determinismE0ELb1ES3_N6thrust23THRUST_200600_302600_NS6detail15normal_iteratorINSB_10device_ptrIjEEEENSD_INSE_IS6_EEEESI_S6_NSB_4plusIvEENSB_8equal_toIvEES6_EE10hipError_tPvRmT2_T3_T4_T5_mT6_T7_P12ihipStream_tbENKUlT_T0_E_clISt17integral_constantIbLb0EES12_IbLb1EEEEDaSY_SZ_EUlSY_E_NS1_11comp_targetILNS1_3genE2ELNS1_11target_archE906ELNS1_3gpuE6ELNS1_3repE0EEENS1_30default_config_static_selectorELNS0_4arch9wavefront6targetE0EEEvT1_.num_agpr, 0
	.set _ZN7rocprim17ROCPRIM_400000_NS6detail17trampoline_kernelINS0_14default_configENS1_27scan_by_key_config_selectorIj11FixedVectorIiLj4EEEEZZNS1_16scan_by_key_implILNS1_25lookback_scan_determinismE0ELb1ES3_N6thrust23THRUST_200600_302600_NS6detail15normal_iteratorINSB_10device_ptrIjEEEENSD_INSE_IS6_EEEESI_S6_NSB_4plusIvEENSB_8equal_toIvEES6_EE10hipError_tPvRmT2_T3_T4_T5_mT6_T7_P12ihipStream_tbENKUlT_T0_E_clISt17integral_constantIbLb0EES12_IbLb1EEEEDaSY_SZ_EUlSY_E_NS1_11comp_targetILNS1_3genE2ELNS1_11target_archE906ELNS1_3gpuE6ELNS1_3repE0EEENS1_30default_config_static_selectorELNS0_4arch9wavefront6targetE0EEEvT1_.numbered_sgpr, 0
	.set _ZN7rocprim17ROCPRIM_400000_NS6detail17trampoline_kernelINS0_14default_configENS1_27scan_by_key_config_selectorIj11FixedVectorIiLj4EEEEZZNS1_16scan_by_key_implILNS1_25lookback_scan_determinismE0ELb1ES3_N6thrust23THRUST_200600_302600_NS6detail15normal_iteratorINSB_10device_ptrIjEEEENSD_INSE_IS6_EEEESI_S6_NSB_4plusIvEENSB_8equal_toIvEES6_EE10hipError_tPvRmT2_T3_T4_T5_mT6_T7_P12ihipStream_tbENKUlT_T0_E_clISt17integral_constantIbLb0EES12_IbLb1EEEEDaSY_SZ_EUlSY_E_NS1_11comp_targetILNS1_3genE2ELNS1_11target_archE906ELNS1_3gpuE6ELNS1_3repE0EEENS1_30default_config_static_selectorELNS0_4arch9wavefront6targetE0EEEvT1_.num_named_barrier, 0
	.set _ZN7rocprim17ROCPRIM_400000_NS6detail17trampoline_kernelINS0_14default_configENS1_27scan_by_key_config_selectorIj11FixedVectorIiLj4EEEEZZNS1_16scan_by_key_implILNS1_25lookback_scan_determinismE0ELb1ES3_N6thrust23THRUST_200600_302600_NS6detail15normal_iteratorINSB_10device_ptrIjEEEENSD_INSE_IS6_EEEESI_S6_NSB_4plusIvEENSB_8equal_toIvEES6_EE10hipError_tPvRmT2_T3_T4_T5_mT6_T7_P12ihipStream_tbENKUlT_T0_E_clISt17integral_constantIbLb0EES12_IbLb1EEEEDaSY_SZ_EUlSY_E_NS1_11comp_targetILNS1_3genE2ELNS1_11target_archE906ELNS1_3gpuE6ELNS1_3repE0EEENS1_30default_config_static_selectorELNS0_4arch9wavefront6targetE0EEEvT1_.private_seg_size, 0
	.set _ZN7rocprim17ROCPRIM_400000_NS6detail17trampoline_kernelINS0_14default_configENS1_27scan_by_key_config_selectorIj11FixedVectorIiLj4EEEEZZNS1_16scan_by_key_implILNS1_25lookback_scan_determinismE0ELb1ES3_N6thrust23THRUST_200600_302600_NS6detail15normal_iteratorINSB_10device_ptrIjEEEENSD_INSE_IS6_EEEESI_S6_NSB_4plusIvEENSB_8equal_toIvEES6_EE10hipError_tPvRmT2_T3_T4_T5_mT6_T7_P12ihipStream_tbENKUlT_T0_E_clISt17integral_constantIbLb0EES12_IbLb1EEEEDaSY_SZ_EUlSY_E_NS1_11comp_targetILNS1_3genE2ELNS1_11target_archE906ELNS1_3gpuE6ELNS1_3repE0EEENS1_30default_config_static_selectorELNS0_4arch9wavefront6targetE0EEEvT1_.uses_vcc, 0
	.set _ZN7rocprim17ROCPRIM_400000_NS6detail17trampoline_kernelINS0_14default_configENS1_27scan_by_key_config_selectorIj11FixedVectorIiLj4EEEEZZNS1_16scan_by_key_implILNS1_25lookback_scan_determinismE0ELb1ES3_N6thrust23THRUST_200600_302600_NS6detail15normal_iteratorINSB_10device_ptrIjEEEENSD_INSE_IS6_EEEESI_S6_NSB_4plusIvEENSB_8equal_toIvEES6_EE10hipError_tPvRmT2_T3_T4_T5_mT6_T7_P12ihipStream_tbENKUlT_T0_E_clISt17integral_constantIbLb0EES12_IbLb1EEEEDaSY_SZ_EUlSY_E_NS1_11comp_targetILNS1_3genE2ELNS1_11target_archE906ELNS1_3gpuE6ELNS1_3repE0EEENS1_30default_config_static_selectorELNS0_4arch9wavefront6targetE0EEEvT1_.uses_flat_scratch, 0
	.set _ZN7rocprim17ROCPRIM_400000_NS6detail17trampoline_kernelINS0_14default_configENS1_27scan_by_key_config_selectorIj11FixedVectorIiLj4EEEEZZNS1_16scan_by_key_implILNS1_25lookback_scan_determinismE0ELb1ES3_N6thrust23THRUST_200600_302600_NS6detail15normal_iteratorINSB_10device_ptrIjEEEENSD_INSE_IS6_EEEESI_S6_NSB_4plusIvEENSB_8equal_toIvEES6_EE10hipError_tPvRmT2_T3_T4_T5_mT6_T7_P12ihipStream_tbENKUlT_T0_E_clISt17integral_constantIbLb0EES12_IbLb1EEEEDaSY_SZ_EUlSY_E_NS1_11comp_targetILNS1_3genE2ELNS1_11target_archE906ELNS1_3gpuE6ELNS1_3repE0EEENS1_30default_config_static_selectorELNS0_4arch9wavefront6targetE0EEEvT1_.has_dyn_sized_stack, 0
	.set _ZN7rocprim17ROCPRIM_400000_NS6detail17trampoline_kernelINS0_14default_configENS1_27scan_by_key_config_selectorIj11FixedVectorIiLj4EEEEZZNS1_16scan_by_key_implILNS1_25lookback_scan_determinismE0ELb1ES3_N6thrust23THRUST_200600_302600_NS6detail15normal_iteratorINSB_10device_ptrIjEEEENSD_INSE_IS6_EEEESI_S6_NSB_4plusIvEENSB_8equal_toIvEES6_EE10hipError_tPvRmT2_T3_T4_T5_mT6_T7_P12ihipStream_tbENKUlT_T0_E_clISt17integral_constantIbLb0EES12_IbLb1EEEEDaSY_SZ_EUlSY_E_NS1_11comp_targetILNS1_3genE2ELNS1_11target_archE906ELNS1_3gpuE6ELNS1_3repE0EEENS1_30default_config_static_selectorELNS0_4arch9wavefront6targetE0EEEvT1_.has_recursion, 0
	.set _ZN7rocprim17ROCPRIM_400000_NS6detail17trampoline_kernelINS0_14default_configENS1_27scan_by_key_config_selectorIj11FixedVectorIiLj4EEEEZZNS1_16scan_by_key_implILNS1_25lookback_scan_determinismE0ELb1ES3_N6thrust23THRUST_200600_302600_NS6detail15normal_iteratorINSB_10device_ptrIjEEEENSD_INSE_IS6_EEEESI_S6_NSB_4plusIvEENSB_8equal_toIvEES6_EE10hipError_tPvRmT2_T3_T4_T5_mT6_T7_P12ihipStream_tbENKUlT_T0_E_clISt17integral_constantIbLb0EES12_IbLb1EEEEDaSY_SZ_EUlSY_E_NS1_11comp_targetILNS1_3genE2ELNS1_11target_archE906ELNS1_3gpuE6ELNS1_3repE0EEENS1_30default_config_static_selectorELNS0_4arch9wavefront6targetE0EEEvT1_.has_indirect_call, 0
	.section	.AMDGPU.csdata,"",@progbits
; Kernel info:
; codeLenInByte = 0
; TotalNumSgprs: 0
; NumVgprs: 0
; ScratchSize: 0
; MemoryBound: 0
; FloatMode: 240
; IeeeMode: 1
; LDSByteSize: 0 bytes/workgroup (compile time only)
; SGPRBlocks: 0
; VGPRBlocks: 0
; NumSGPRsForWavesPerEU: 1
; NumVGPRsForWavesPerEU: 1
; NamedBarCnt: 0
; Occupancy: 16
; WaveLimiterHint : 0
; COMPUTE_PGM_RSRC2:SCRATCH_EN: 0
; COMPUTE_PGM_RSRC2:USER_SGPR: 2
; COMPUTE_PGM_RSRC2:TRAP_HANDLER: 0
; COMPUTE_PGM_RSRC2:TGID_X_EN: 1
; COMPUTE_PGM_RSRC2:TGID_Y_EN: 0
; COMPUTE_PGM_RSRC2:TGID_Z_EN: 0
; COMPUTE_PGM_RSRC2:TIDIG_COMP_CNT: 0
	.section	.text._ZN7rocprim17ROCPRIM_400000_NS6detail17trampoline_kernelINS0_14default_configENS1_27scan_by_key_config_selectorIj11FixedVectorIiLj4EEEEZZNS1_16scan_by_key_implILNS1_25lookback_scan_determinismE0ELb1ES3_N6thrust23THRUST_200600_302600_NS6detail15normal_iteratorINSB_10device_ptrIjEEEENSD_INSE_IS6_EEEESI_S6_NSB_4plusIvEENSB_8equal_toIvEES6_EE10hipError_tPvRmT2_T3_T4_T5_mT6_T7_P12ihipStream_tbENKUlT_T0_E_clISt17integral_constantIbLb0EES12_IbLb1EEEEDaSY_SZ_EUlSY_E_NS1_11comp_targetILNS1_3genE10ELNS1_11target_archE1200ELNS1_3gpuE4ELNS1_3repE0EEENS1_30default_config_static_selectorELNS0_4arch9wavefront6targetE0EEEvT1_,"axG",@progbits,_ZN7rocprim17ROCPRIM_400000_NS6detail17trampoline_kernelINS0_14default_configENS1_27scan_by_key_config_selectorIj11FixedVectorIiLj4EEEEZZNS1_16scan_by_key_implILNS1_25lookback_scan_determinismE0ELb1ES3_N6thrust23THRUST_200600_302600_NS6detail15normal_iteratorINSB_10device_ptrIjEEEENSD_INSE_IS6_EEEESI_S6_NSB_4plusIvEENSB_8equal_toIvEES6_EE10hipError_tPvRmT2_T3_T4_T5_mT6_T7_P12ihipStream_tbENKUlT_T0_E_clISt17integral_constantIbLb0EES12_IbLb1EEEEDaSY_SZ_EUlSY_E_NS1_11comp_targetILNS1_3genE10ELNS1_11target_archE1200ELNS1_3gpuE4ELNS1_3repE0EEENS1_30default_config_static_selectorELNS0_4arch9wavefront6targetE0EEEvT1_,comdat
	.protected	_ZN7rocprim17ROCPRIM_400000_NS6detail17trampoline_kernelINS0_14default_configENS1_27scan_by_key_config_selectorIj11FixedVectorIiLj4EEEEZZNS1_16scan_by_key_implILNS1_25lookback_scan_determinismE0ELb1ES3_N6thrust23THRUST_200600_302600_NS6detail15normal_iteratorINSB_10device_ptrIjEEEENSD_INSE_IS6_EEEESI_S6_NSB_4plusIvEENSB_8equal_toIvEES6_EE10hipError_tPvRmT2_T3_T4_T5_mT6_T7_P12ihipStream_tbENKUlT_T0_E_clISt17integral_constantIbLb0EES12_IbLb1EEEEDaSY_SZ_EUlSY_E_NS1_11comp_targetILNS1_3genE10ELNS1_11target_archE1200ELNS1_3gpuE4ELNS1_3repE0EEENS1_30default_config_static_selectorELNS0_4arch9wavefront6targetE0EEEvT1_ ; -- Begin function _ZN7rocprim17ROCPRIM_400000_NS6detail17trampoline_kernelINS0_14default_configENS1_27scan_by_key_config_selectorIj11FixedVectorIiLj4EEEEZZNS1_16scan_by_key_implILNS1_25lookback_scan_determinismE0ELb1ES3_N6thrust23THRUST_200600_302600_NS6detail15normal_iteratorINSB_10device_ptrIjEEEENSD_INSE_IS6_EEEESI_S6_NSB_4plusIvEENSB_8equal_toIvEES6_EE10hipError_tPvRmT2_T3_T4_T5_mT6_T7_P12ihipStream_tbENKUlT_T0_E_clISt17integral_constantIbLb0EES12_IbLb1EEEEDaSY_SZ_EUlSY_E_NS1_11comp_targetILNS1_3genE10ELNS1_11target_archE1200ELNS1_3gpuE4ELNS1_3repE0EEENS1_30default_config_static_selectorELNS0_4arch9wavefront6targetE0EEEvT1_
	.globl	_ZN7rocprim17ROCPRIM_400000_NS6detail17trampoline_kernelINS0_14default_configENS1_27scan_by_key_config_selectorIj11FixedVectorIiLj4EEEEZZNS1_16scan_by_key_implILNS1_25lookback_scan_determinismE0ELb1ES3_N6thrust23THRUST_200600_302600_NS6detail15normal_iteratorINSB_10device_ptrIjEEEENSD_INSE_IS6_EEEESI_S6_NSB_4plusIvEENSB_8equal_toIvEES6_EE10hipError_tPvRmT2_T3_T4_T5_mT6_T7_P12ihipStream_tbENKUlT_T0_E_clISt17integral_constantIbLb0EES12_IbLb1EEEEDaSY_SZ_EUlSY_E_NS1_11comp_targetILNS1_3genE10ELNS1_11target_archE1200ELNS1_3gpuE4ELNS1_3repE0EEENS1_30default_config_static_selectorELNS0_4arch9wavefront6targetE0EEEvT1_
	.p2align	8
	.type	_ZN7rocprim17ROCPRIM_400000_NS6detail17trampoline_kernelINS0_14default_configENS1_27scan_by_key_config_selectorIj11FixedVectorIiLj4EEEEZZNS1_16scan_by_key_implILNS1_25lookback_scan_determinismE0ELb1ES3_N6thrust23THRUST_200600_302600_NS6detail15normal_iteratorINSB_10device_ptrIjEEEENSD_INSE_IS6_EEEESI_S6_NSB_4plusIvEENSB_8equal_toIvEES6_EE10hipError_tPvRmT2_T3_T4_T5_mT6_T7_P12ihipStream_tbENKUlT_T0_E_clISt17integral_constantIbLb0EES12_IbLb1EEEEDaSY_SZ_EUlSY_E_NS1_11comp_targetILNS1_3genE10ELNS1_11target_archE1200ELNS1_3gpuE4ELNS1_3repE0EEENS1_30default_config_static_selectorELNS0_4arch9wavefront6targetE0EEEvT1_,@function
_ZN7rocprim17ROCPRIM_400000_NS6detail17trampoline_kernelINS0_14default_configENS1_27scan_by_key_config_selectorIj11FixedVectorIiLj4EEEEZZNS1_16scan_by_key_implILNS1_25lookback_scan_determinismE0ELb1ES3_N6thrust23THRUST_200600_302600_NS6detail15normal_iteratorINSB_10device_ptrIjEEEENSD_INSE_IS6_EEEESI_S6_NSB_4plusIvEENSB_8equal_toIvEES6_EE10hipError_tPvRmT2_T3_T4_T5_mT6_T7_P12ihipStream_tbENKUlT_T0_E_clISt17integral_constantIbLb0EES12_IbLb1EEEEDaSY_SZ_EUlSY_E_NS1_11comp_targetILNS1_3genE10ELNS1_11target_archE1200ELNS1_3gpuE4ELNS1_3repE0EEENS1_30default_config_static_selectorELNS0_4arch9wavefront6targetE0EEEvT1_: ; @_ZN7rocprim17ROCPRIM_400000_NS6detail17trampoline_kernelINS0_14default_configENS1_27scan_by_key_config_selectorIj11FixedVectorIiLj4EEEEZZNS1_16scan_by_key_implILNS1_25lookback_scan_determinismE0ELb1ES3_N6thrust23THRUST_200600_302600_NS6detail15normal_iteratorINSB_10device_ptrIjEEEENSD_INSE_IS6_EEEESI_S6_NSB_4plusIvEENSB_8equal_toIvEES6_EE10hipError_tPvRmT2_T3_T4_T5_mT6_T7_P12ihipStream_tbENKUlT_T0_E_clISt17integral_constantIbLb0EES12_IbLb1EEEEDaSY_SZ_EUlSY_E_NS1_11comp_targetILNS1_3genE10ELNS1_11target_archE1200ELNS1_3gpuE4ELNS1_3repE0EEENS1_30default_config_static_selectorELNS0_4arch9wavefront6targetE0EEEvT1_
; %bb.0:
	.section	.rodata,"a",@progbits
	.p2align	6, 0x0
	.amdhsa_kernel _ZN7rocprim17ROCPRIM_400000_NS6detail17trampoline_kernelINS0_14default_configENS1_27scan_by_key_config_selectorIj11FixedVectorIiLj4EEEEZZNS1_16scan_by_key_implILNS1_25lookback_scan_determinismE0ELb1ES3_N6thrust23THRUST_200600_302600_NS6detail15normal_iteratorINSB_10device_ptrIjEEEENSD_INSE_IS6_EEEESI_S6_NSB_4plusIvEENSB_8equal_toIvEES6_EE10hipError_tPvRmT2_T3_T4_T5_mT6_T7_P12ihipStream_tbENKUlT_T0_E_clISt17integral_constantIbLb0EES12_IbLb1EEEEDaSY_SZ_EUlSY_E_NS1_11comp_targetILNS1_3genE10ELNS1_11target_archE1200ELNS1_3gpuE4ELNS1_3repE0EEENS1_30default_config_static_selectorELNS0_4arch9wavefront6targetE0EEEvT1_
		.amdhsa_group_segment_fixed_size 0
		.amdhsa_private_segment_fixed_size 0
		.amdhsa_kernarg_size 144
		.amdhsa_user_sgpr_count 2
		.amdhsa_user_sgpr_dispatch_ptr 0
		.amdhsa_user_sgpr_queue_ptr 0
		.amdhsa_user_sgpr_kernarg_segment_ptr 1
		.amdhsa_user_sgpr_dispatch_id 0
		.amdhsa_user_sgpr_kernarg_preload_length 0
		.amdhsa_user_sgpr_kernarg_preload_offset 0
		.amdhsa_user_sgpr_private_segment_size 0
		.amdhsa_wavefront_size32 1
		.amdhsa_uses_dynamic_stack 0
		.amdhsa_enable_private_segment 0
		.amdhsa_system_sgpr_workgroup_id_x 1
		.amdhsa_system_sgpr_workgroup_id_y 0
		.amdhsa_system_sgpr_workgroup_id_z 0
		.amdhsa_system_sgpr_workgroup_info 0
		.amdhsa_system_vgpr_workitem_id 0
		.amdhsa_next_free_vgpr 1
		.amdhsa_next_free_sgpr 1
		.amdhsa_named_barrier_count 0
		.amdhsa_reserve_vcc 0
		.amdhsa_float_round_mode_32 0
		.amdhsa_float_round_mode_16_64 0
		.amdhsa_float_denorm_mode_32 3
		.amdhsa_float_denorm_mode_16_64 3
		.amdhsa_fp16_overflow 0
		.amdhsa_memory_ordered 1
		.amdhsa_forward_progress 1
		.amdhsa_inst_pref_size 0
		.amdhsa_round_robin_scheduling 0
		.amdhsa_exception_fp_ieee_invalid_op 0
		.amdhsa_exception_fp_denorm_src 0
		.amdhsa_exception_fp_ieee_div_zero 0
		.amdhsa_exception_fp_ieee_overflow 0
		.amdhsa_exception_fp_ieee_underflow 0
		.amdhsa_exception_fp_ieee_inexact 0
		.amdhsa_exception_int_div_zero 0
	.end_amdhsa_kernel
	.section	.text._ZN7rocprim17ROCPRIM_400000_NS6detail17trampoline_kernelINS0_14default_configENS1_27scan_by_key_config_selectorIj11FixedVectorIiLj4EEEEZZNS1_16scan_by_key_implILNS1_25lookback_scan_determinismE0ELb1ES3_N6thrust23THRUST_200600_302600_NS6detail15normal_iteratorINSB_10device_ptrIjEEEENSD_INSE_IS6_EEEESI_S6_NSB_4plusIvEENSB_8equal_toIvEES6_EE10hipError_tPvRmT2_T3_T4_T5_mT6_T7_P12ihipStream_tbENKUlT_T0_E_clISt17integral_constantIbLb0EES12_IbLb1EEEEDaSY_SZ_EUlSY_E_NS1_11comp_targetILNS1_3genE10ELNS1_11target_archE1200ELNS1_3gpuE4ELNS1_3repE0EEENS1_30default_config_static_selectorELNS0_4arch9wavefront6targetE0EEEvT1_,"axG",@progbits,_ZN7rocprim17ROCPRIM_400000_NS6detail17trampoline_kernelINS0_14default_configENS1_27scan_by_key_config_selectorIj11FixedVectorIiLj4EEEEZZNS1_16scan_by_key_implILNS1_25lookback_scan_determinismE0ELb1ES3_N6thrust23THRUST_200600_302600_NS6detail15normal_iteratorINSB_10device_ptrIjEEEENSD_INSE_IS6_EEEESI_S6_NSB_4plusIvEENSB_8equal_toIvEES6_EE10hipError_tPvRmT2_T3_T4_T5_mT6_T7_P12ihipStream_tbENKUlT_T0_E_clISt17integral_constantIbLb0EES12_IbLb1EEEEDaSY_SZ_EUlSY_E_NS1_11comp_targetILNS1_3genE10ELNS1_11target_archE1200ELNS1_3gpuE4ELNS1_3repE0EEENS1_30default_config_static_selectorELNS0_4arch9wavefront6targetE0EEEvT1_,comdat
.Lfunc_end2108:
	.size	_ZN7rocprim17ROCPRIM_400000_NS6detail17trampoline_kernelINS0_14default_configENS1_27scan_by_key_config_selectorIj11FixedVectorIiLj4EEEEZZNS1_16scan_by_key_implILNS1_25lookback_scan_determinismE0ELb1ES3_N6thrust23THRUST_200600_302600_NS6detail15normal_iteratorINSB_10device_ptrIjEEEENSD_INSE_IS6_EEEESI_S6_NSB_4plusIvEENSB_8equal_toIvEES6_EE10hipError_tPvRmT2_T3_T4_T5_mT6_T7_P12ihipStream_tbENKUlT_T0_E_clISt17integral_constantIbLb0EES12_IbLb1EEEEDaSY_SZ_EUlSY_E_NS1_11comp_targetILNS1_3genE10ELNS1_11target_archE1200ELNS1_3gpuE4ELNS1_3repE0EEENS1_30default_config_static_selectorELNS0_4arch9wavefront6targetE0EEEvT1_, .Lfunc_end2108-_ZN7rocprim17ROCPRIM_400000_NS6detail17trampoline_kernelINS0_14default_configENS1_27scan_by_key_config_selectorIj11FixedVectorIiLj4EEEEZZNS1_16scan_by_key_implILNS1_25lookback_scan_determinismE0ELb1ES3_N6thrust23THRUST_200600_302600_NS6detail15normal_iteratorINSB_10device_ptrIjEEEENSD_INSE_IS6_EEEESI_S6_NSB_4plusIvEENSB_8equal_toIvEES6_EE10hipError_tPvRmT2_T3_T4_T5_mT6_T7_P12ihipStream_tbENKUlT_T0_E_clISt17integral_constantIbLb0EES12_IbLb1EEEEDaSY_SZ_EUlSY_E_NS1_11comp_targetILNS1_3genE10ELNS1_11target_archE1200ELNS1_3gpuE4ELNS1_3repE0EEENS1_30default_config_static_selectorELNS0_4arch9wavefront6targetE0EEEvT1_
                                        ; -- End function
	.set _ZN7rocprim17ROCPRIM_400000_NS6detail17trampoline_kernelINS0_14default_configENS1_27scan_by_key_config_selectorIj11FixedVectorIiLj4EEEEZZNS1_16scan_by_key_implILNS1_25lookback_scan_determinismE0ELb1ES3_N6thrust23THRUST_200600_302600_NS6detail15normal_iteratorINSB_10device_ptrIjEEEENSD_INSE_IS6_EEEESI_S6_NSB_4plusIvEENSB_8equal_toIvEES6_EE10hipError_tPvRmT2_T3_T4_T5_mT6_T7_P12ihipStream_tbENKUlT_T0_E_clISt17integral_constantIbLb0EES12_IbLb1EEEEDaSY_SZ_EUlSY_E_NS1_11comp_targetILNS1_3genE10ELNS1_11target_archE1200ELNS1_3gpuE4ELNS1_3repE0EEENS1_30default_config_static_selectorELNS0_4arch9wavefront6targetE0EEEvT1_.num_vgpr, 0
	.set _ZN7rocprim17ROCPRIM_400000_NS6detail17trampoline_kernelINS0_14default_configENS1_27scan_by_key_config_selectorIj11FixedVectorIiLj4EEEEZZNS1_16scan_by_key_implILNS1_25lookback_scan_determinismE0ELb1ES3_N6thrust23THRUST_200600_302600_NS6detail15normal_iteratorINSB_10device_ptrIjEEEENSD_INSE_IS6_EEEESI_S6_NSB_4plusIvEENSB_8equal_toIvEES6_EE10hipError_tPvRmT2_T3_T4_T5_mT6_T7_P12ihipStream_tbENKUlT_T0_E_clISt17integral_constantIbLb0EES12_IbLb1EEEEDaSY_SZ_EUlSY_E_NS1_11comp_targetILNS1_3genE10ELNS1_11target_archE1200ELNS1_3gpuE4ELNS1_3repE0EEENS1_30default_config_static_selectorELNS0_4arch9wavefront6targetE0EEEvT1_.num_agpr, 0
	.set _ZN7rocprim17ROCPRIM_400000_NS6detail17trampoline_kernelINS0_14default_configENS1_27scan_by_key_config_selectorIj11FixedVectorIiLj4EEEEZZNS1_16scan_by_key_implILNS1_25lookback_scan_determinismE0ELb1ES3_N6thrust23THRUST_200600_302600_NS6detail15normal_iteratorINSB_10device_ptrIjEEEENSD_INSE_IS6_EEEESI_S6_NSB_4plusIvEENSB_8equal_toIvEES6_EE10hipError_tPvRmT2_T3_T4_T5_mT6_T7_P12ihipStream_tbENKUlT_T0_E_clISt17integral_constantIbLb0EES12_IbLb1EEEEDaSY_SZ_EUlSY_E_NS1_11comp_targetILNS1_3genE10ELNS1_11target_archE1200ELNS1_3gpuE4ELNS1_3repE0EEENS1_30default_config_static_selectorELNS0_4arch9wavefront6targetE0EEEvT1_.numbered_sgpr, 0
	.set _ZN7rocprim17ROCPRIM_400000_NS6detail17trampoline_kernelINS0_14default_configENS1_27scan_by_key_config_selectorIj11FixedVectorIiLj4EEEEZZNS1_16scan_by_key_implILNS1_25lookback_scan_determinismE0ELb1ES3_N6thrust23THRUST_200600_302600_NS6detail15normal_iteratorINSB_10device_ptrIjEEEENSD_INSE_IS6_EEEESI_S6_NSB_4plusIvEENSB_8equal_toIvEES6_EE10hipError_tPvRmT2_T3_T4_T5_mT6_T7_P12ihipStream_tbENKUlT_T0_E_clISt17integral_constantIbLb0EES12_IbLb1EEEEDaSY_SZ_EUlSY_E_NS1_11comp_targetILNS1_3genE10ELNS1_11target_archE1200ELNS1_3gpuE4ELNS1_3repE0EEENS1_30default_config_static_selectorELNS0_4arch9wavefront6targetE0EEEvT1_.num_named_barrier, 0
	.set _ZN7rocprim17ROCPRIM_400000_NS6detail17trampoline_kernelINS0_14default_configENS1_27scan_by_key_config_selectorIj11FixedVectorIiLj4EEEEZZNS1_16scan_by_key_implILNS1_25lookback_scan_determinismE0ELb1ES3_N6thrust23THRUST_200600_302600_NS6detail15normal_iteratorINSB_10device_ptrIjEEEENSD_INSE_IS6_EEEESI_S6_NSB_4plusIvEENSB_8equal_toIvEES6_EE10hipError_tPvRmT2_T3_T4_T5_mT6_T7_P12ihipStream_tbENKUlT_T0_E_clISt17integral_constantIbLb0EES12_IbLb1EEEEDaSY_SZ_EUlSY_E_NS1_11comp_targetILNS1_3genE10ELNS1_11target_archE1200ELNS1_3gpuE4ELNS1_3repE0EEENS1_30default_config_static_selectorELNS0_4arch9wavefront6targetE0EEEvT1_.private_seg_size, 0
	.set _ZN7rocprim17ROCPRIM_400000_NS6detail17trampoline_kernelINS0_14default_configENS1_27scan_by_key_config_selectorIj11FixedVectorIiLj4EEEEZZNS1_16scan_by_key_implILNS1_25lookback_scan_determinismE0ELb1ES3_N6thrust23THRUST_200600_302600_NS6detail15normal_iteratorINSB_10device_ptrIjEEEENSD_INSE_IS6_EEEESI_S6_NSB_4plusIvEENSB_8equal_toIvEES6_EE10hipError_tPvRmT2_T3_T4_T5_mT6_T7_P12ihipStream_tbENKUlT_T0_E_clISt17integral_constantIbLb0EES12_IbLb1EEEEDaSY_SZ_EUlSY_E_NS1_11comp_targetILNS1_3genE10ELNS1_11target_archE1200ELNS1_3gpuE4ELNS1_3repE0EEENS1_30default_config_static_selectorELNS0_4arch9wavefront6targetE0EEEvT1_.uses_vcc, 0
	.set _ZN7rocprim17ROCPRIM_400000_NS6detail17trampoline_kernelINS0_14default_configENS1_27scan_by_key_config_selectorIj11FixedVectorIiLj4EEEEZZNS1_16scan_by_key_implILNS1_25lookback_scan_determinismE0ELb1ES3_N6thrust23THRUST_200600_302600_NS6detail15normal_iteratorINSB_10device_ptrIjEEEENSD_INSE_IS6_EEEESI_S6_NSB_4plusIvEENSB_8equal_toIvEES6_EE10hipError_tPvRmT2_T3_T4_T5_mT6_T7_P12ihipStream_tbENKUlT_T0_E_clISt17integral_constantIbLb0EES12_IbLb1EEEEDaSY_SZ_EUlSY_E_NS1_11comp_targetILNS1_3genE10ELNS1_11target_archE1200ELNS1_3gpuE4ELNS1_3repE0EEENS1_30default_config_static_selectorELNS0_4arch9wavefront6targetE0EEEvT1_.uses_flat_scratch, 0
	.set _ZN7rocprim17ROCPRIM_400000_NS6detail17trampoline_kernelINS0_14default_configENS1_27scan_by_key_config_selectorIj11FixedVectorIiLj4EEEEZZNS1_16scan_by_key_implILNS1_25lookback_scan_determinismE0ELb1ES3_N6thrust23THRUST_200600_302600_NS6detail15normal_iteratorINSB_10device_ptrIjEEEENSD_INSE_IS6_EEEESI_S6_NSB_4plusIvEENSB_8equal_toIvEES6_EE10hipError_tPvRmT2_T3_T4_T5_mT6_T7_P12ihipStream_tbENKUlT_T0_E_clISt17integral_constantIbLb0EES12_IbLb1EEEEDaSY_SZ_EUlSY_E_NS1_11comp_targetILNS1_3genE10ELNS1_11target_archE1200ELNS1_3gpuE4ELNS1_3repE0EEENS1_30default_config_static_selectorELNS0_4arch9wavefront6targetE0EEEvT1_.has_dyn_sized_stack, 0
	.set _ZN7rocprim17ROCPRIM_400000_NS6detail17trampoline_kernelINS0_14default_configENS1_27scan_by_key_config_selectorIj11FixedVectorIiLj4EEEEZZNS1_16scan_by_key_implILNS1_25lookback_scan_determinismE0ELb1ES3_N6thrust23THRUST_200600_302600_NS6detail15normal_iteratorINSB_10device_ptrIjEEEENSD_INSE_IS6_EEEESI_S6_NSB_4plusIvEENSB_8equal_toIvEES6_EE10hipError_tPvRmT2_T3_T4_T5_mT6_T7_P12ihipStream_tbENKUlT_T0_E_clISt17integral_constantIbLb0EES12_IbLb1EEEEDaSY_SZ_EUlSY_E_NS1_11comp_targetILNS1_3genE10ELNS1_11target_archE1200ELNS1_3gpuE4ELNS1_3repE0EEENS1_30default_config_static_selectorELNS0_4arch9wavefront6targetE0EEEvT1_.has_recursion, 0
	.set _ZN7rocprim17ROCPRIM_400000_NS6detail17trampoline_kernelINS0_14default_configENS1_27scan_by_key_config_selectorIj11FixedVectorIiLj4EEEEZZNS1_16scan_by_key_implILNS1_25lookback_scan_determinismE0ELb1ES3_N6thrust23THRUST_200600_302600_NS6detail15normal_iteratorINSB_10device_ptrIjEEEENSD_INSE_IS6_EEEESI_S6_NSB_4plusIvEENSB_8equal_toIvEES6_EE10hipError_tPvRmT2_T3_T4_T5_mT6_T7_P12ihipStream_tbENKUlT_T0_E_clISt17integral_constantIbLb0EES12_IbLb1EEEEDaSY_SZ_EUlSY_E_NS1_11comp_targetILNS1_3genE10ELNS1_11target_archE1200ELNS1_3gpuE4ELNS1_3repE0EEENS1_30default_config_static_selectorELNS0_4arch9wavefront6targetE0EEEvT1_.has_indirect_call, 0
	.section	.AMDGPU.csdata,"",@progbits
; Kernel info:
; codeLenInByte = 0
; TotalNumSgprs: 0
; NumVgprs: 0
; ScratchSize: 0
; MemoryBound: 0
; FloatMode: 240
; IeeeMode: 1
; LDSByteSize: 0 bytes/workgroup (compile time only)
; SGPRBlocks: 0
; VGPRBlocks: 0
; NumSGPRsForWavesPerEU: 1
; NumVGPRsForWavesPerEU: 1
; NamedBarCnt: 0
; Occupancy: 16
; WaveLimiterHint : 0
; COMPUTE_PGM_RSRC2:SCRATCH_EN: 0
; COMPUTE_PGM_RSRC2:USER_SGPR: 2
; COMPUTE_PGM_RSRC2:TRAP_HANDLER: 0
; COMPUTE_PGM_RSRC2:TGID_X_EN: 1
; COMPUTE_PGM_RSRC2:TGID_Y_EN: 0
; COMPUTE_PGM_RSRC2:TGID_Z_EN: 0
; COMPUTE_PGM_RSRC2:TIDIG_COMP_CNT: 0
	.section	.text._ZN7rocprim17ROCPRIM_400000_NS6detail17trampoline_kernelINS0_14default_configENS1_27scan_by_key_config_selectorIj11FixedVectorIiLj4EEEEZZNS1_16scan_by_key_implILNS1_25lookback_scan_determinismE0ELb1ES3_N6thrust23THRUST_200600_302600_NS6detail15normal_iteratorINSB_10device_ptrIjEEEENSD_INSE_IS6_EEEESI_S6_NSB_4plusIvEENSB_8equal_toIvEES6_EE10hipError_tPvRmT2_T3_T4_T5_mT6_T7_P12ihipStream_tbENKUlT_T0_E_clISt17integral_constantIbLb0EES12_IbLb1EEEEDaSY_SZ_EUlSY_E_NS1_11comp_targetILNS1_3genE9ELNS1_11target_archE1100ELNS1_3gpuE3ELNS1_3repE0EEENS1_30default_config_static_selectorELNS0_4arch9wavefront6targetE0EEEvT1_,"axG",@progbits,_ZN7rocprim17ROCPRIM_400000_NS6detail17trampoline_kernelINS0_14default_configENS1_27scan_by_key_config_selectorIj11FixedVectorIiLj4EEEEZZNS1_16scan_by_key_implILNS1_25lookback_scan_determinismE0ELb1ES3_N6thrust23THRUST_200600_302600_NS6detail15normal_iteratorINSB_10device_ptrIjEEEENSD_INSE_IS6_EEEESI_S6_NSB_4plusIvEENSB_8equal_toIvEES6_EE10hipError_tPvRmT2_T3_T4_T5_mT6_T7_P12ihipStream_tbENKUlT_T0_E_clISt17integral_constantIbLb0EES12_IbLb1EEEEDaSY_SZ_EUlSY_E_NS1_11comp_targetILNS1_3genE9ELNS1_11target_archE1100ELNS1_3gpuE3ELNS1_3repE0EEENS1_30default_config_static_selectorELNS0_4arch9wavefront6targetE0EEEvT1_,comdat
	.protected	_ZN7rocprim17ROCPRIM_400000_NS6detail17trampoline_kernelINS0_14default_configENS1_27scan_by_key_config_selectorIj11FixedVectorIiLj4EEEEZZNS1_16scan_by_key_implILNS1_25lookback_scan_determinismE0ELb1ES3_N6thrust23THRUST_200600_302600_NS6detail15normal_iteratorINSB_10device_ptrIjEEEENSD_INSE_IS6_EEEESI_S6_NSB_4plusIvEENSB_8equal_toIvEES6_EE10hipError_tPvRmT2_T3_T4_T5_mT6_T7_P12ihipStream_tbENKUlT_T0_E_clISt17integral_constantIbLb0EES12_IbLb1EEEEDaSY_SZ_EUlSY_E_NS1_11comp_targetILNS1_3genE9ELNS1_11target_archE1100ELNS1_3gpuE3ELNS1_3repE0EEENS1_30default_config_static_selectorELNS0_4arch9wavefront6targetE0EEEvT1_ ; -- Begin function _ZN7rocprim17ROCPRIM_400000_NS6detail17trampoline_kernelINS0_14default_configENS1_27scan_by_key_config_selectorIj11FixedVectorIiLj4EEEEZZNS1_16scan_by_key_implILNS1_25lookback_scan_determinismE0ELb1ES3_N6thrust23THRUST_200600_302600_NS6detail15normal_iteratorINSB_10device_ptrIjEEEENSD_INSE_IS6_EEEESI_S6_NSB_4plusIvEENSB_8equal_toIvEES6_EE10hipError_tPvRmT2_T3_T4_T5_mT6_T7_P12ihipStream_tbENKUlT_T0_E_clISt17integral_constantIbLb0EES12_IbLb1EEEEDaSY_SZ_EUlSY_E_NS1_11comp_targetILNS1_3genE9ELNS1_11target_archE1100ELNS1_3gpuE3ELNS1_3repE0EEENS1_30default_config_static_selectorELNS0_4arch9wavefront6targetE0EEEvT1_
	.globl	_ZN7rocprim17ROCPRIM_400000_NS6detail17trampoline_kernelINS0_14default_configENS1_27scan_by_key_config_selectorIj11FixedVectorIiLj4EEEEZZNS1_16scan_by_key_implILNS1_25lookback_scan_determinismE0ELb1ES3_N6thrust23THRUST_200600_302600_NS6detail15normal_iteratorINSB_10device_ptrIjEEEENSD_INSE_IS6_EEEESI_S6_NSB_4plusIvEENSB_8equal_toIvEES6_EE10hipError_tPvRmT2_T3_T4_T5_mT6_T7_P12ihipStream_tbENKUlT_T0_E_clISt17integral_constantIbLb0EES12_IbLb1EEEEDaSY_SZ_EUlSY_E_NS1_11comp_targetILNS1_3genE9ELNS1_11target_archE1100ELNS1_3gpuE3ELNS1_3repE0EEENS1_30default_config_static_selectorELNS0_4arch9wavefront6targetE0EEEvT1_
	.p2align	8
	.type	_ZN7rocprim17ROCPRIM_400000_NS6detail17trampoline_kernelINS0_14default_configENS1_27scan_by_key_config_selectorIj11FixedVectorIiLj4EEEEZZNS1_16scan_by_key_implILNS1_25lookback_scan_determinismE0ELb1ES3_N6thrust23THRUST_200600_302600_NS6detail15normal_iteratorINSB_10device_ptrIjEEEENSD_INSE_IS6_EEEESI_S6_NSB_4plusIvEENSB_8equal_toIvEES6_EE10hipError_tPvRmT2_T3_T4_T5_mT6_T7_P12ihipStream_tbENKUlT_T0_E_clISt17integral_constantIbLb0EES12_IbLb1EEEEDaSY_SZ_EUlSY_E_NS1_11comp_targetILNS1_3genE9ELNS1_11target_archE1100ELNS1_3gpuE3ELNS1_3repE0EEENS1_30default_config_static_selectorELNS0_4arch9wavefront6targetE0EEEvT1_,@function
_ZN7rocprim17ROCPRIM_400000_NS6detail17trampoline_kernelINS0_14default_configENS1_27scan_by_key_config_selectorIj11FixedVectorIiLj4EEEEZZNS1_16scan_by_key_implILNS1_25lookback_scan_determinismE0ELb1ES3_N6thrust23THRUST_200600_302600_NS6detail15normal_iteratorINSB_10device_ptrIjEEEENSD_INSE_IS6_EEEESI_S6_NSB_4plusIvEENSB_8equal_toIvEES6_EE10hipError_tPvRmT2_T3_T4_T5_mT6_T7_P12ihipStream_tbENKUlT_T0_E_clISt17integral_constantIbLb0EES12_IbLb1EEEEDaSY_SZ_EUlSY_E_NS1_11comp_targetILNS1_3genE9ELNS1_11target_archE1100ELNS1_3gpuE3ELNS1_3repE0EEENS1_30default_config_static_selectorELNS0_4arch9wavefront6targetE0EEEvT1_: ; @_ZN7rocprim17ROCPRIM_400000_NS6detail17trampoline_kernelINS0_14default_configENS1_27scan_by_key_config_selectorIj11FixedVectorIiLj4EEEEZZNS1_16scan_by_key_implILNS1_25lookback_scan_determinismE0ELb1ES3_N6thrust23THRUST_200600_302600_NS6detail15normal_iteratorINSB_10device_ptrIjEEEENSD_INSE_IS6_EEEESI_S6_NSB_4plusIvEENSB_8equal_toIvEES6_EE10hipError_tPvRmT2_T3_T4_T5_mT6_T7_P12ihipStream_tbENKUlT_T0_E_clISt17integral_constantIbLb0EES12_IbLb1EEEEDaSY_SZ_EUlSY_E_NS1_11comp_targetILNS1_3genE9ELNS1_11target_archE1100ELNS1_3gpuE3ELNS1_3repE0EEENS1_30default_config_static_selectorELNS0_4arch9wavefront6targetE0EEEvT1_
; %bb.0:
	.section	.rodata,"a",@progbits
	.p2align	6, 0x0
	.amdhsa_kernel _ZN7rocprim17ROCPRIM_400000_NS6detail17trampoline_kernelINS0_14default_configENS1_27scan_by_key_config_selectorIj11FixedVectorIiLj4EEEEZZNS1_16scan_by_key_implILNS1_25lookback_scan_determinismE0ELb1ES3_N6thrust23THRUST_200600_302600_NS6detail15normal_iteratorINSB_10device_ptrIjEEEENSD_INSE_IS6_EEEESI_S6_NSB_4plusIvEENSB_8equal_toIvEES6_EE10hipError_tPvRmT2_T3_T4_T5_mT6_T7_P12ihipStream_tbENKUlT_T0_E_clISt17integral_constantIbLb0EES12_IbLb1EEEEDaSY_SZ_EUlSY_E_NS1_11comp_targetILNS1_3genE9ELNS1_11target_archE1100ELNS1_3gpuE3ELNS1_3repE0EEENS1_30default_config_static_selectorELNS0_4arch9wavefront6targetE0EEEvT1_
		.amdhsa_group_segment_fixed_size 0
		.amdhsa_private_segment_fixed_size 0
		.amdhsa_kernarg_size 144
		.amdhsa_user_sgpr_count 2
		.amdhsa_user_sgpr_dispatch_ptr 0
		.amdhsa_user_sgpr_queue_ptr 0
		.amdhsa_user_sgpr_kernarg_segment_ptr 1
		.amdhsa_user_sgpr_dispatch_id 0
		.amdhsa_user_sgpr_kernarg_preload_length 0
		.amdhsa_user_sgpr_kernarg_preload_offset 0
		.amdhsa_user_sgpr_private_segment_size 0
		.amdhsa_wavefront_size32 1
		.amdhsa_uses_dynamic_stack 0
		.amdhsa_enable_private_segment 0
		.amdhsa_system_sgpr_workgroup_id_x 1
		.amdhsa_system_sgpr_workgroup_id_y 0
		.amdhsa_system_sgpr_workgroup_id_z 0
		.amdhsa_system_sgpr_workgroup_info 0
		.amdhsa_system_vgpr_workitem_id 0
		.amdhsa_next_free_vgpr 1
		.amdhsa_next_free_sgpr 1
		.amdhsa_named_barrier_count 0
		.amdhsa_reserve_vcc 0
		.amdhsa_float_round_mode_32 0
		.amdhsa_float_round_mode_16_64 0
		.amdhsa_float_denorm_mode_32 3
		.amdhsa_float_denorm_mode_16_64 3
		.amdhsa_fp16_overflow 0
		.amdhsa_memory_ordered 1
		.amdhsa_forward_progress 1
		.amdhsa_inst_pref_size 0
		.amdhsa_round_robin_scheduling 0
		.amdhsa_exception_fp_ieee_invalid_op 0
		.amdhsa_exception_fp_denorm_src 0
		.amdhsa_exception_fp_ieee_div_zero 0
		.amdhsa_exception_fp_ieee_overflow 0
		.amdhsa_exception_fp_ieee_underflow 0
		.amdhsa_exception_fp_ieee_inexact 0
		.amdhsa_exception_int_div_zero 0
	.end_amdhsa_kernel
	.section	.text._ZN7rocprim17ROCPRIM_400000_NS6detail17trampoline_kernelINS0_14default_configENS1_27scan_by_key_config_selectorIj11FixedVectorIiLj4EEEEZZNS1_16scan_by_key_implILNS1_25lookback_scan_determinismE0ELb1ES3_N6thrust23THRUST_200600_302600_NS6detail15normal_iteratorINSB_10device_ptrIjEEEENSD_INSE_IS6_EEEESI_S6_NSB_4plusIvEENSB_8equal_toIvEES6_EE10hipError_tPvRmT2_T3_T4_T5_mT6_T7_P12ihipStream_tbENKUlT_T0_E_clISt17integral_constantIbLb0EES12_IbLb1EEEEDaSY_SZ_EUlSY_E_NS1_11comp_targetILNS1_3genE9ELNS1_11target_archE1100ELNS1_3gpuE3ELNS1_3repE0EEENS1_30default_config_static_selectorELNS0_4arch9wavefront6targetE0EEEvT1_,"axG",@progbits,_ZN7rocprim17ROCPRIM_400000_NS6detail17trampoline_kernelINS0_14default_configENS1_27scan_by_key_config_selectorIj11FixedVectorIiLj4EEEEZZNS1_16scan_by_key_implILNS1_25lookback_scan_determinismE0ELb1ES3_N6thrust23THRUST_200600_302600_NS6detail15normal_iteratorINSB_10device_ptrIjEEEENSD_INSE_IS6_EEEESI_S6_NSB_4plusIvEENSB_8equal_toIvEES6_EE10hipError_tPvRmT2_T3_T4_T5_mT6_T7_P12ihipStream_tbENKUlT_T0_E_clISt17integral_constantIbLb0EES12_IbLb1EEEEDaSY_SZ_EUlSY_E_NS1_11comp_targetILNS1_3genE9ELNS1_11target_archE1100ELNS1_3gpuE3ELNS1_3repE0EEENS1_30default_config_static_selectorELNS0_4arch9wavefront6targetE0EEEvT1_,comdat
.Lfunc_end2109:
	.size	_ZN7rocprim17ROCPRIM_400000_NS6detail17trampoline_kernelINS0_14default_configENS1_27scan_by_key_config_selectorIj11FixedVectorIiLj4EEEEZZNS1_16scan_by_key_implILNS1_25lookback_scan_determinismE0ELb1ES3_N6thrust23THRUST_200600_302600_NS6detail15normal_iteratorINSB_10device_ptrIjEEEENSD_INSE_IS6_EEEESI_S6_NSB_4plusIvEENSB_8equal_toIvEES6_EE10hipError_tPvRmT2_T3_T4_T5_mT6_T7_P12ihipStream_tbENKUlT_T0_E_clISt17integral_constantIbLb0EES12_IbLb1EEEEDaSY_SZ_EUlSY_E_NS1_11comp_targetILNS1_3genE9ELNS1_11target_archE1100ELNS1_3gpuE3ELNS1_3repE0EEENS1_30default_config_static_selectorELNS0_4arch9wavefront6targetE0EEEvT1_, .Lfunc_end2109-_ZN7rocprim17ROCPRIM_400000_NS6detail17trampoline_kernelINS0_14default_configENS1_27scan_by_key_config_selectorIj11FixedVectorIiLj4EEEEZZNS1_16scan_by_key_implILNS1_25lookback_scan_determinismE0ELb1ES3_N6thrust23THRUST_200600_302600_NS6detail15normal_iteratorINSB_10device_ptrIjEEEENSD_INSE_IS6_EEEESI_S6_NSB_4plusIvEENSB_8equal_toIvEES6_EE10hipError_tPvRmT2_T3_T4_T5_mT6_T7_P12ihipStream_tbENKUlT_T0_E_clISt17integral_constantIbLb0EES12_IbLb1EEEEDaSY_SZ_EUlSY_E_NS1_11comp_targetILNS1_3genE9ELNS1_11target_archE1100ELNS1_3gpuE3ELNS1_3repE0EEENS1_30default_config_static_selectorELNS0_4arch9wavefront6targetE0EEEvT1_
                                        ; -- End function
	.set _ZN7rocprim17ROCPRIM_400000_NS6detail17trampoline_kernelINS0_14default_configENS1_27scan_by_key_config_selectorIj11FixedVectorIiLj4EEEEZZNS1_16scan_by_key_implILNS1_25lookback_scan_determinismE0ELb1ES3_N6thrust23THRUST_200600_302600_NS6detail15normal_iteratorINSB_10device_ptrIjEEEENSD_INSE_IS6_EEEESI_S6_NSB_4plusIvEENSB_8equal_toIvEES6_EE10hipError_tPvRmT2_T3_T4_T5_mT6_T7_P12ihipStream_tbENKUlT_T0_E_clISt17integral_constantIbLb0EES12_IbLb1EEEEDaSY_SZ_EUlSY_E_NS1_11comp_targetILNS1_3genE9ELNS1_11target_archE1100ELNS1_3gpuE3ELNS1_3repE0EEENS1_30default_config_static_selectorELNS0_4arch9wavefront6targetE0EEEvT1_.num_vgpr, 0
	.set _ZN7rocprim17ROCPRIM_400000_NS6detail17trampoline_kernelINS0_14default_configENS1_27scan_by_key_config_selectorIj11FixedVectorIiLj4EEEEZZNS1_16scan_by_key_implILNS1_25lookback_scan_determinismE0ELb1ES3_N6thrust23THRUST_200600_302600_NS6detail15normal_iteratorINSB_10device_ptrIjEEEENSD_INSE_IS6_EEEESI_S6_NSB_4plusIvEENSB_8equal_toIvEES6_EE10hipError_tPvRmT2_T3_T4_T5_mT6_T7_P12ihipStream_tbENKUlT_T0_E_clISt17integral_constantIbLb0EES12_IbLb1EEEEDaSY_SZ_EUlSY_E_NS1_11comp_targetILNS1_3genE9ELNS1_11target_archE1100ELNS1_3gpuE3ELNS1_3repE0EEENS1_30default_config_static_selectorELNS0_4arch9wavefront6targetE0EEEvT1_.num_agpr, 0
	.set _ZN7rocprim17ROCPRIM_400000_NS6detail17trampoline_kernelINS0_14default_configENS1_27scan_by_key_config_selectorIj11FixedVectorIiLj4EEEEZZNS1_16scan_by_key_implILNS1_25lookback_scan_determinismE0ELb1ES3_N6thrust23THRUST_200600_302600_NS6detail15normal_iteratorINSB_10device_ptrIjEEEENSD_INSE_IS6_EEEESI_S6_NSB_4plusIvEENSB_8equal_toIvEES6_EE10hipError_tPvRmT2_T3_T4_T5_mT6_T7_P12ihipStream_tbENKUlT_T0_E_clISt17integral_constantIbLb0EES12_IbLb1EEEEDaSY_SZ_EUlSY_E_NS1_11comp_targetILNS1_3genE9ELNS1_11target_archE1100ELNS1_3gpuE3ELNS1_3repE0EEENS1_30default_config_static_selectorELNS0_4arch9wavefront6targetE0EEEvT1_.numbered_sgpr, 0
	.set _ZN7rocprim17ROCPRIM_400000_NS6detail17trampoline_kernelINS0_14default_configENS1_27scan_by_key_config_selectorIj11FixedVectorIiLj4EEEEZZNS1_16scan_by_key_implILNS1_25lookback_scan_determinismE0ELb1ES3_N6thrust23THRUST_200600_302600_NS6detail15normal_iteratorINSB_10device_ptrIjEEEENSD_INSE_IS6_EEEESI_S6_NSB_4plusIvEENSB_8equal_toIvEES6_EE10hipError_tPvRmT2_T3_T4_T5_mT6_T7_P12ihipStream_tbENKUlT_T0_E_clISt17integral_constantIbLb0EES12_IbLb1EEEEDaSY_SZ_EUlSY_E_NS1_11comp_targetILNS1_3genE9ELNS1_11target_archE1100ELNS1_3gpuE3ELNS1_3repE0EEENS1_30default_config_static_selectorELNS0_4arch9wavefront6targetE0EEEvT1_.num_named_barrier, 0
	.set _ZN7rocprim17ROCPRIM_400000_NS6detail17trampoline_kernelINS0_14default_configENS1_27scan_by_key_config_selectorIj11FixedVectorIiLj4EEEEZZNS1_16scan_by_key_implILNS1_25lookback_scan_determinismE0ELb1ES3_N6thrust23THRUST_200600_302600_NS6detail15normal_iteratorINSB_10device_ptrIjEEEENSD_INSE_IS6_EEEESI_S6_NSB_4plusIvEENSB_8equal_toIvEES6_EE10hipError_tPvRmT2_T3_T4_T5_mT6_T7_P12ihipStream_tbENKUlT_T0_E_clISt17integral_constantIbLb0EES12_IbLb1EEEEDaSY_SZ_EUlSY_E_NS1_11comp_targetILNS1_3genE9ELNS1_11target_archE1100ELNS1_3gpuE3ELNS1_3repE0EEENS1_30default_config_static_selectorELNS0_4arch9wavefront6targetE0EEEvT1_.private_seg_size, 0
	.set _ZN7rocprim17ROCPRIM_400000_NS6detail17trampoline_kernelINS0_14default_configENS1_27scan_by_key_config_selectorIj11FixedVectorIiLj4EEEEZZNS1_16scan_by_key_implILNS1_25lookback_scan_determinismE0ELb1ES3_N6thrust23THRUST_200600_302600_NS6detail15normal_iteratorINSB_10device_ptrIjEEEENSD_INSE_IS6_EEEESI_S6_NSB_4plusIvEENSB_8equal_toIvEES6_EE10hipError_tPvRmT2_T3_T4_T5_mT6_T7_P12ihipStream_tbENKUlT_T0_E_clISt17integral_constantIbLb0EES12_IbLb1EEEEDaSY_SZ_EUlSY_E_NS1_11comp_targetILNS1_3genE9ELNS1_11target_archE1100ELNS1_3gpuE3ELNS1_3repE0EEENS1_30default_config_static_selectorELNS0_4arch9wavefront6targetE0EEEvT1_.uses_vcc, 0
	.set _ZN7rocprim17ROCPRIM_400000_NS6detail17trampoline_kernelINS0_14default_configENS1_27scan_by_key_config_selectorIj11FixedVectorIiLj4EEEEZZNS1_16scan_by_key_implILNS1_25lookback_scan_determinismE0ELb1ES3_N6thrust23THRUST_200600_302600_NS6detail15normal_iteratorINSB_10device_ptrIjEEEENSD_INSE_IS6_EEEESI_S6_NSB_4plusIvEENSB_8equal_toIvEES6_EE10hipError_tPvRmT2_T3_T4_T5_mT6_T7_P12ihipStream_tbENKUlT_T0_E_clISt17integral_constantIbLb0EES12_IbLb1EEEEDaSY_SZ_EUlSY_E_NS1_11comp_targetILNS1_3genE9ELNS1_11target_archE1100ELNS1_3gpuE3ELNS1_3repE0EEENS1_30default_config_static_selectorELNS0_4arch9wavefront6targetE0EEEvT1_.uses_flat_scratch, 0
	.set _ZN7rocprim17ROCPRIM_400000_NS6detail17trampoline_kernelINS0_14default_configENS1_27scan_by_key_config_selectorIj11FixedVectorIiLj4EEEEZZNS1_16scan_by_key_implILNS1_25lookback_scan_determinismE0ELb1ES3_N6thrust23THRUST_200600_302600_NS6detail15normal_iteratorINSB_10device_ptrIjEEEENSD_INSE_IS6_EEEESI_S6_NSB_4plusIvEENSB_8equal_toIvEES6_EE10hipError_tPvRmT2_T3_T4_T5_mT6_T7_P12ihipStream_tbENKUlT_T0_E_clISt17integral_constantIbLb0EES12_IbLb1EEEEDaSY_SZ_EUlSY_E_NS1_11comp_targetILNS1_3genE9ELNS1_11target_archE1100ELNS1_3gpuE3ELNS1_3repE0EEENS1_30default_config_static_selectorELNS0_4arch9wavefront6targetE0EEEvT1_.has_dyn_sized_stack, 0
	.set _ZN7rocprim17ROCPRIM_400000_NS6detail17trampoline_kernelINS0_14default_configENS1_27scan_by_key_config_selectorIj11FixedVectorIiLj4EEEEZZNS1_16scan_by_key_implILNS1_25lookback_scan_determinismE0ELb1ES3_N6thrust23THRUST_200600_302600_NS6detail15normal_iteratorINSB_10device_ptrIjEEEENSD_INSE_IS6_EEEESI_S6_NSB_4plusIvEENSB_8equal_toIvEES6_EE10hipError_tPvRmT2_T3_T4_T5_mT6_T7_P12ihipStream_tbENKUlT_T0_E_clISt17integral_constantIbLb0EES12_IbLb1EEEEDaSY_SZ_EUlSY_E_NS1_11comp_targetILNS1_3genE9ELNS1_11target_archE1100ELNS1_3gpuE3ELNS1_3repE0EEENS1_30default_config_static_selectorELNS0_4arch9wavefront6targetE0EEEvT1_.has_recursion, 0
	.set _ZN7rocprim17ROCPRIM_400000_NS6detail17trampoline_kernelINS0_14default_configENS1_27scan_by_key_config_selectorIj11FixedVectorIiLj4EEEEZZNS1_16scan_by_key_implILNS1_25lookback_scan_determinismE0ELb1ES3_N6thrust23THRUST_200600_302600_NS6detail15normal_iteratorINSB_10device_ptrIjEEEENSD_INSE_IS6_EEEESI_S6_NSB_4plusIvEENSB_8equal_toIvEES6_EE10hipError_tPvRmT2_T3_T4_T5_mT6_T7_P12ihipStream_tbENKUlT_T0_E_clISt17integral_constantIbLb0EES12_IbLb1EEEEDaSY_SZ_EUlSY_E_NS1_11comp_targetILNS1_3genE9ELNS1_11target_archE1100ELNS1_3gpuE3ELNS1_3repE0EEENS1_30default_config_static_selectorELNS0_4arch9wavefront6targetE0EEEvT1_.has_indirect_call, 0
	.section	.AMDGPU.csdata,"",@progbits
; Kernel info:
; codeLenInByte = 0
; TotalNumSgprs: 0
; NumVgprs: 0
; ScratchSize: 0
; MemoryBound: 0
; FloatMode: 240
; IeeeMode: 1
; LDSByteSize: 0 bytes/workgroup (compile time only)
; SGPRBlocks: 0
; VGPRBlocks: 0
; NumSGPRsForWavesPerEU: 1
; NumVGPRsForWavesPerEU: 1
; NamedBarCnt: 0
; Occupancy: 16
; WaveLimiterHint : 0
; COMPUTE_PGM_RSRC2:SCRATCH_EN: 0
; COMPUTE_PGM_RSRC2:USER_SGPR: 2
; COMPUTE_PGM_RSRC2:TRAP_HANDLER: 0
; COMPUTE_PGM_RSRC2:TGID_X_EN: 1
; COMPUTE_PGM_RSRC2:TGID_Y_EN: 0
; COMPUTE_PGM_RSRC2:TGID_Z_EN: 0
; COMPUTE_PGM_RSRC2:TIDIG_COMP_CNT: 0
	.section	.text._ZN7rocprim17ROCPRIM_400000_NS6detail17trampoline_kernelINS0_14default_configENS1_27scan_by_key_config_selectorIj11FixedVectorIiLj4EEEEZZNS1_16scan_by_key_implILNS1_25lookback_scan_determinismE0ELb1ES3_N6thrust23THRUST_200600_302600_NS6detail15normal_iteratorINSB_10device_ptrIjEEEENSD_INSE_IS6_EEEESI_S6_NSB_4plusIvEENSB_8equal_toIvEES6_EE10hipError_tPvRmT2_T3_T4_T5_mT6_T7_P12ihipStream_tbENKUlT_T0_E_clISt17integral_constantIbLb0EES12_IbLb1EEEEDaSY_SZ_EUlSY_E_NS1_11comp_targetILNS1_3genE8ELNS1_11target_archE1030ELNS1_3gpuE2ELNS1_3repE0EEENS1_30default_config_static_selectorELNS0_4arch9wavefront6targetE0EEEvT1_,"axG",@progbits,_ZN7rocprim17ROCPRIM_400000_NS6detail17trampoline_kernelINS0_14default_configENS1_27scan_by_key_config_selectorIj11FixedVectorIiLj4EEEEZZNS1_16scan_by_key_implILNS1_25lookback_scan_determinismE0ELb1ES3_N6thrust23THRUST_200600_302600_NS6detail15normal_iteratorINSB_10device_ptrIjEEEENSD_INSE_IS6_EEEESI_S6_NSB_4plusIvEENSB_8equal_toIvEES6_EE10hipError_tPvRmT2_T3_T4_T5_mT6_T7_P12ihipStream_tbENKUlT_T0_E_clISt17integral_constantIbLb0EES12_IbLb1EEEEDaSY_SZ_EUlSY_E_NS1_11comp_targetILNS1_3genE8ELNS1_11target_archE1030ELNS1_3gpuE2ELNS1_3repE0EEENS1_30default_config_static_selectorELNS0_4arch9wavefront6targetE0EEEvT1_,comdat
	.protected	_ZN7rocprim17ROCPRIM_400000_NS6detail17trampoline_kernelINS0_14default_configENS1_27scan_by_key_config_selectorIj11FixedVectorIiLj4EEEEZZNS1_16scan_by_key_implILNS1_25lookback_scan_determinismE0ELb1ES3_N6thrust23THRUST_200600_302600_NS6detail15normal_iteratorINSB_10device_ptrIjEEEENSD_INSE_IS6_EEEESI_S6_NSB_4plusIvEENSB_8equal_toIvEES6_EE10hipError_tPvRmT2_T3_T4_T5_mT6_T7_P12ihipStream_tbENKUlT_T0_E_clISt17integral_constantIbLb0EES12_IbLb1EEEEDaSY_SZ_EUlSY_E_NS1_11comp_targetILNS1_3genE8ELNS1_11target_archE1030ELNS1_3gpuE2ELNS1_3repE0EEENS1_30default_config_static_selectorELNS0_4arch9wavefront6targetE0EEEvT1_ ; -- Begin function _ZN7rocprim17ROCPRIM_400000_NS6detail17trampoline_kernelINS0_14default_configENS1_27scan_by_key_config_selectorIj11FixedVectorIiLj4EEEEZZNS1_16scan_by_key_implILNS1_25lookback_scan_determinismE0ELb1ES3_N6thrust23THRUST_200600_302600_NS6detail15normal_iteratorINSB_10device_ptrIjEEEENSD_INSE_IS6_EEEESI_S6_NSB_4plusIvEENSB_8equal_toIvEES6_EE10hipError_tPvRmT2_T3_T4_T5_mT6_T7_P12ihipStream_tbENKUlT_T0_E_clISt17integral_constantIbLb0EES12_IbLb1EEEEDaSY_SZ_EUlSY_E_NS1_11comp_targetILNS1_3genE8ELNS1_11target_archE1030ELNS1_3gpuE2ELNS1_3repE0EEENS1_30default_config_static_selectorELNS0_4arch9wavefront6targetE0EEEvT1_
	.globl	_ZN7rocprim17ROCPRIM_400000_NS6detail17trampoline_kernelINS0_14default_configENS1_27scan_by_key_config_selectorIj11FixedVectorIiLj4EEEEZZNS1_16scan_by_key_implILNS1_25lookback_scan_determinismE0ELb1ES3_N6thrust23THRUST_200600_302600_NS6detail15normal_iteratorINSB_10device_ptrIjEEEENSD_INSE_IS6_EEEESI_S6_NSB_4plusIvEENSB_8equal_toIvEES6_EE10hipError_tPvRmT2_T3_T4_T5_mT6_T7_P12ihipStream_tbENKUlT_T0_E_clISt17integral_constantIbLb0EES12_IbLb1EEEEDaSY_SZ_EUlSY_E_NS1_11comp_targetILNS1_3genE8ELNS1_11target_archE1030ELNS1_3gpuE2ELNS1_3repE0EEENS1_30default_config_static_selectorELNS0_4arch9wavefront6targetE0EEEvT1_
	.p2align	8
	.type	_ZN7rocprim17ROCPRIM_400000_NS6detail17trampoline_kernelINS0_14default_configENS1_27scan_by_key_config_selectorIj11FixedVectorIiLj4EEEEZZNS1_16scan_by_key_implILNS1_25lookback_scan_determinismE0ELb1ES3_N6thrust23THRUST_200600_302600_NS6detail15normal_iteratorINSB_10device_ptrIjEEEENSD_INSE_IS6_EEEESI_S6_NSB_4plusIvEENSB_8equal_toIvEES6_EE10hipError_tPvRmT2_T3_T4_T5_mT6_T7_P12ihipStream_tbENKUlT_T0_E_clISt17integral_constantIbLb0EES12_IbLb1EEEEDaSY_SZ_EUlSY_E_NS1_11comp_targetILNS1_3genE8ELNS1_11target_archE1030ELNS1_3gpuE2ELNS1_3repE0EEENS1_30default_config_static_selectorELNS0_4arch9wavefront6targetE0EEEvT1_,@function
_ZN7rocprim17ROCPRIM_400000_NS6detail17trampoline_kernelINS0_14default_configENS1_27scan_by_key_config_selectorIj11FixedVectorIiLj4EEEEZZNS1_16scan_by_key_implILNS1_25lookback_scan_determinismE0ELb1ES3_N6thrust23THRUST_200600_302600_NS6detail15normal_iteratorINSB_10device_ptrIjEEEENSD_INSE_IS6_EEEESI_S6_NSB_4plusIvEENSB_8equal_toIvEES6_EE10hipError_tPvRmT2_T3_T4_T5_mT6_T7_P12ihipStream_tbENKUlT_T0_E_clISt17integral_constantIbLb0EES12_IbLb1EEEEDaSY_SZ_EUlSY_E_NS1_11comp_targetILNS1_3genE8ELNS1_11target_archE1030ELNS1_3gpuE2ELNS1_3repE0EEENS1_30default_config_static_selectorELNS0_4arch9wavefront6targetE0EEEvT1_: ; @_ZN7rocprim17ROCPRIM_400000_NS6detail17trampoline_kernelINS0_14default_configENS1_27scan_by_key_config_selectorIj11FixedVectorIiLj4EEEEZZNS1_16scan_by_key_implILNS1_25lookback_scan_determinismE0ELb1ES3_N6thrust23THRUST_200600_302600_NS6detail15normal_iteratorINSB_10device_ptrIjEEEENSD_INSE_IS6_EEEESI_S6_NSB_4plusIvEENSB_8equal_toIvEES6_EE10hipError_tPvRmT2_T3_T4_T5_mT6_T7_P12ihipStream_tbENKUlT_T0_E_clISt17integral_constantIbLb0EES12_IbLb1EEEEDaSY_SZ_EUlSY_E_NS1_11comp_targetILNS1_3genE8ELNS1_11target_archE1030ELNS1_3gpuE2ELNS1_3repE0EEENS1_30default_config_static_selectorELNS0_4arch9wavefront6targetE0EEEvT1_
; %bb.0:
	.section	.rodata,"a",@progbits
	.p2align	6, 0x0
	.amdhsa_kernel _ZN7rocprim17ROCPRIM_400000_NS6detail17trampoline_kernelINS0_14default_configENS1_27scan_by_key_config_selectorIj11FixedVectorIiLj4EEEEZZNS1_16scan_by_key_implILNS1_25lookback_scan_determinismE0ELb1ES3_N6thrust23THRUST_200600_302600_NS6detail15normal_iteratorINSB_10device_ptrIjEEEENSD_INSE_IS6_EEEESI_S6_NSB_4plusIvEENSB_8equal_toIvEES6_EE10hipError_tPvRmT2_T3_T4_T5_mT6_T7_P12ihipStream_tbENKUlT_T0_E_clISt17integral_constantIbLb0EES12_IbLb1EEEEDaSY_SZ_EUlSY_E_NS1_11comp_targetILNS1_3genE8ELNS1_11target_archE1030ELNS1_3gpuE2ELNS1_3repE0EEENS1_30default_config_static_selectorELNS0_4arch9wavefront6targetE0EEEvT1_
		.amdhsa_group_segment_fixed_size 0
		.amdhsa_private_segment_fixed_size 0
		.amdhsa_kernarg_size 144
		.amdhsa_user_sgpr_count 2
		.amdhsa_user_sgpr_dispatch_ptr 0
		.amdhsa_user_sgpr_queue_ptr 0
		.amdhsa_user_sgpr_kernarg_segment_ptr 1
		.amdhsa_user_sgpr_dispatch_id 0
		.amdhsa_user_sgpr_kernarg_preload_length 0
		.amdhsa_user_sgpr_kernarg_preload_offset 0
		.amdhsa_user_sgpr_private_segment_size 0
		.amdhsa_wavefront_size32 1
		.amdhsa_uses_dynamic_stack 0
		.amdhsa_enable_private_segment 0
		.amdhsa_system_sgpr_workgroup_id_x 1
		.amdhsa_system_sgpr_workgroup_id_y 0
		.amdhsa_system_sgpr_workgroup_id_z 0
		.amdhsa_system_sgpr_workgroup_info 0
		.amdhsa_system_vgpr_workitem_id 0
		.amdhsa_next_free_vgpr 1
		.amdhsa_next_free_sgpr 1
		.amdhsa_named_barrier_count 0
		.amdhsa_reserve_vcc 0
		.amdhsa_float_round_mode_32 0
		.amdhsa_float_round_mode_16_64 0
		.amdhsa_float_denorm_mode_32 3
		.amdhsa_float_denorm_mode_16_64 3
		.amdhsa_fp16_overflow 0
		.amdhsa_memory_ordered 1
		.amdhsa_forward_progress 1
		.amdhsa_inst_pref_size 0
		.amdhsa_round_robin_scheduling 0
		.amdhsa_exception_fp_ieee_invalid_op 0
		.amdhsa_exception_fp_denorm_src 0
		.amdhsa_exception_fp_ieee_div_zero 0
		.amdhsa_exception_fp_ieee_overflow 0
		.amdhsa_exception_fp_ieee_underflow 0
		.amdhsa_exception_fp_ieee_inexact 0
		.amdhsa_exception_int_div_zero 0
	.end_amdhsa_kernel
	.section	.text._ZN7rocprim17ROCPRIM_400000_NS6detail17trampoline_kernelINS0_14default_configENS1_27scan_by_key_config_selectorIj11FixedVectorIiLj4EEEEZZNS1_16scan_by_key_implILNS1_25lookback_scan_determinismE0ELb1ES3_N6thrust23THRUST_200600_302600_NS6detail15normal_iteratorINSB_10device_ptrIjEEEENSD_INSE_IS6_EEEESI_S6_NSB_4plusIvEENSB_8equal_toIvEES6_EE10hipError_tPvRmT2_T3_T4_T5_mT6_T7_P12ihipStream_tbENKUlT_T0_E_clISt17integral_constantIbLb0EES12_IbLb1EEEEDaSY_SZ_EUlSY_E_NS1_11comp_targetILNS1_3genE8ELNS1_11target_archE1030ELNS1_3gpuE2ELNS1_3repE0EEENS1_30default_config_static_selectorELNS0_4arch9wavefront6targetE0EEEvT1_,"axG",@progbits,_ZN7rocprim17ROCPRIM_400000_NS6detail17trampoline_kernelINS0_14default_configENS1_27scan_by_key_config_selectorIj11FixedVectorIiLj4EEEEZZNS1_16scan_by_key_implILNS1_25lookback_scan_determinismE0ELb1ES3_N6thrust23THRUST_200600_302600_NS6detail15normal_iteratorINSB_10device_ptrIjEEEENSD_INSE_IS6_EEEESI_S6_NSB_4plusIvEENSB_8equal_toIvEES6_EE10hipError_tPvRmT2_T3_T4_T5_mT6_T7_P12ihipStream_tbENKUlT_T0_E_clISt17integral_constantIbLb0EES12_IbLb1EEEEDaSY_SZ_EUlSY_E_NS1_11comp_targetILNS1_3genE8ELNS1_11target_archE1030ELNS1_3gpuE2ELNS1_3repE0EEENS1_30default_config_static_selectorELNS0_4arch9wavefront6targetE0EEEvT1_,comdat
.Lfunc_end2110:
	.size	_ZN7rocprim17ROCPRIM_400000_NS6detail17trampoline_kernelINS0_14default_configENS1_27scan_by_key_config_selectorIj11FixedVectorIiLj4EEEEZZNS1_16scan_by_key_implILNS1_25lookback_scan_determinismE0ELb1ES3_N6thrust23THRUST_200600_302600_NS6detail15normal_iteratorINSB_10device_ptrIjEEEENSD_INSE_IS6_EEEESI_S6_NSB_4plusIvEENSB_8equal_toIvEES6_EE10hipError_tPvRmT2_T3_T4_T5_mT6_T7_P12ihipStream_tbENKUlT_T0_E_clISt17integral_constantIbLb0EES12_IbLb1EEEEDaSY_SZ_EUlSY_E_NS1_11comp_targetILNS1_3genE8ELNS1_11target_archE1030ELNS1_3gpuE2ELNS1_3repE0EEENS1_30default_config_static_selectorELNS0_4arch9wavefront6targetE0EEEvT1_, .Lfunc_end2110-_ZN7rocprim17ROCPRIM_400000_NS6detail17trampoline_kernelINS0_14default_configENS1_27scan_by_key_config_selectorIj11FixedVectorIiLj4EEEEZZNS1_16scan_by_key_implILNS1_25lookback_scan_determinismE0ELb1ES3_N6thrust23THRUST_200600_302600_NS6detail15normal_iteratorINSB_10device_ptrIjEEEENSD_INSE_IS6_EEEESI_S6_NSB_4plusIvEENSB_8equal_toIvEES6_EE10hipError_tPvRmT2_T3_T4_T5_mT6_T7_P12ihipStream_tbENKUlT_T0_E_clISt17integral_constantIbLb0EES12_IbLb1EEEEDaSY_SZ_EUlSY_E_NS1_11comp_targetILNS1_3genE8ELNS1_11target_archE1030ELNS1_3gpuE2ELNS1_3repE0EEENS1_30default_config_static_selectorELNS0_4arch9wavefront6targetE0EEEvT1_
                                        ; -- End function
	.set _ZN7rocprim17ROCPRIM_400000_NS6detail17trampoline_kernelINS0_14default_configENS1_27scan_by_key_config_selectorIj11FixedVectorIiLj4EEEEZZNS1_16scan_by_key_implILNS1_25lookback_scan_determinismE0ELb1ES3_N6thrust23THRUST_200600_302600_NS6detail15normal_iteratorINSB_10device_ptrIjEEEENSD_INSE_IS6_EEEESI_S6_NSB_4plusIvEENSB_8equal_toIvEES6_EE10hipError_tPvRmT2_T3_T4_T5_mT6_T7_P12ihipStream_tbENKUlT_T0_E_clISt17integral_constantIbLb0EES12_IbLb1EEEEDaSY_SZ_EUlSY_E_NS1_11comp_targetILNS1_3genE8ELNS1_11target_archE1030ELNS1_3gpuE2ELNS1_3repE0EEENS1_30default_config_static_selectorELNS0_4arch9wavefront6targetE0EEEvT1_.num_vgpr, 0
	.set _ZN7rocprim17ROCPRIM_400000_NS6detail17trampoline_kernelINS0_14default_configENS1_27scan_by_key_config_selectorIj11FixedVectorIiLj4EEEEZZNS1_16scan_by_key_implILNS1_25lookback_scan_determinismE0ELb1ES3_N6thrust23THRUST_200600_302600_NS6detail15normal_iteratorINSB_10device_ptrIjEEEENSD_INSE_IS6_EEEESI_S6_NSB_4plusIvEENSB_8equal_toIvEES6_EE10hipError_tPvRmT2_T3_T4_T5_mT6_T7_P12ihipStream_tbENKUlT_T0_E_clISt17integral_constantIbLb0EES12_IbLb1EEEEDaSY_SZ_EUlSY_E_NS1_11comp_targetILNS1_3genE8ELNS1_11target_archE1030ELNS1_3gpuE2ELNS1_3repE0EEENS1_30default_config_static_selectorELNS0_4arch9wavefront6targetE0EEEvT1_.num_agpr, 0
	.set _ZN7rocprim17ROCPRIM_400000_NS6detail17trampoline_kernelINS0_14default_configENS1_27scan_by_key_config_selectorIj11FixedVectorIiLj4EEEEZZNS1_16scan_by_key_implILNS1_25lookback_scan_determinismE0ELb1ES3_N6thrust23THRUST_200600_302600_NS6detail15normal_iteratorINSB_10device_ptrIjEEEENSD_INSE_IS6_EEEESI_S6_NSB_4plusIvEENSB_8equal_toIvEES6_EE10hipError_tPvRmT2_T3_T4_T5_mT6_T7_P12ihipStream_tbENKUlT_T0_E_clISt17integral_constantIbLb0EES12_IbLb1EEEEDaSY_SZ_EUlSY_E_NS1_11comp_targetILNS1_3genE8ELNS1_11target_archE1030ELNS1_3gpuE2ELNS1_3repE0EEENS1_30default_config_static_selectorELNS0_4arch9wavefront6targetE0EEEvT1_.numbered_sgpr, 0
	.set _ZN7rocprim17ROCPRIM_400000_NS6detail17trampoline_kernelINS0_14default_configENS1_27scan_by_key_config_selectorIj11FixedVectorIiLj4EEEEZZNS1_16scan_by_key_implILNS1_25lookback_scan_determinismE0ELb1ES3_N6thrust23THRUST_200600_302600_NS6detail15normal_iteratorINSB_10device_ptrIjEEEENSD_INSE_IS6_EEEESI_S6_NSB_4plusIvEENSB_8equal_toIvEES6_EE10hipError_tPvRmT2_T3_T4_T5_mT6_T7_P12ihipStream_tbENKUlT_T0_E_clISt17integral_constantIbLb0EES12_IbLb1EEEEDaSY_SZ_EUlSY_E_NS1_11comp_targetILNS1_3genE8ELNS1_11target_archE1030ELNS1_3gpuE2ELNS1_3repE0EEENS1_30default_config_static_selectorELNS0_4arch9wavefront6targetE0EEEvT1_.num_named_barrier, 0
	.set _ZN7rocprim17ROCPRIM_400000_NS6detail17trampoline_kernelINS0_14default_configENS1_27scan_by_key_config_selectorIj11FixedVectorIiLj4EEEEZZNS1_16scan_by_key_implILNS1_25lookback_scan_determinismE0ELb1ES3_N6thrust23THRUST_200600_302600_NS6detail15normal_iteratorINSB_10device_ptrIjEEEENSD_INSE_IS6_EEEESI_S6_NSB_4plusIvEENSB_8equal_toIvEES6_EE10hipError_tPvRmT2_T3_T4_T5_mT6_T7_P12ihipStream_tbENKUlT_T0_E_clISt17integral_constantIbLb0EES12_IbLb1EEEEDaSY_SZ_EUlSY_E_NS1_11comp_targetILNS1_3genE8ELNS1_11target_archE1030ELNS1_3gpuE2ELNS1_3repE0EEENS1_30default_config_static_selectorELNS0_4arch9wavefront6targetE0EEEvT1_.private_seg_size, 0
	.set _ZN7rocprim17ROCPRIM_400000_NS6detail17trampoline_kernelINS0_14default_configENS1_27scan_by_key_config_selectorIj11FixedVectorIiLj4EEEEZZNS1_16scan_by_key_implILNS1_25lookback_scan_determinismE0ELb1ES3_N6thrust23THRUST_200600_302600_NS6detail15normal_iteratorINSB_10device_ptrIjEEEENSD_INSE_IS6_EEEESI_S6_NSB_4plusIvEENSB_8equal_toIvEES6_EE10hipError_tPvRmT2_T3_T4_T5_mT6_T7_P12ihipStream_tbENKUlT_T0_E_clISt17integral_constantIbLb0EES12_IbLb1EEEEDaSY_SZ_EUlSY_E_NS1_11comp_targetILNS1_3genE8ELNS1_11target_archE1030ELNS1_3gpuE2ELNS1_3repE0EEENS1_30default_config_static_selectorELNS0_4arch9wavefront6targetE0EEEvT1_.uses_vcc, 0
	.set _ZN7rocprim17ROCPRIM_400000_NS6detail17trampoline_kernelINS0_14default_configENS1_27scan_by_key_config_selectorIj11FixedVectorIiLj4EEEEZZNS1_16scan_by_key_implILNS1_25lookback_scan_determinismE0ELb1ES3_N6thrust23THRUST_200600_302600_NS6detail15normal_iteratorINSB_10device_ptrIjEEEENSD_INSE_IS6_EEEESI_S6_NSB_4plusIvEENSB_8equal_toIvEES6_EE10hipError_tPvRmT2_T3_T4_T5_mT6_T7_P12ihipStream_tbENKUlT_T0_E_clISt17integral_constantIbLb0EES12_IbLb1EEEEDaSY_SZ_EUlSY_E_NS1_11comp_targetILNS1_3genE8ELNS1_11target_archE1030ELNS1_3gpuE2ELNS1_3repE0EEENS1_30default_config_static_selectorELNS0_4arch9wavefront6targetE0EEEvT1_.uses_flat_scratch, 0
	.set _ZN7rocprim17ROCPRIM_400000_NS6detail17trampoline_kernelINS0_14default_configENS1_27scan_by_key_config_selectorIj11FixedVectorIiLj4EEEEZZNS1_16scan_by_key_implILNS1_25lookback_scan_determinismE0ELb1ES3_N6thrust23THRUST_200600_302600_NS6detail15normal_iteratorINSB_10device_ptrIjEEEENSD_INSE_IS6_EEEESI_S6_NSB_4plusIvEENSB_8equal_toIvEES6_EE10hipError_tPvRmT2_T3_T4_T5_mT6_T7_P12ihipStream_tbENKUlT_T0_E_clISt17integral_constantIbLb0EES12_IbLb1EEEEDaSY_SZ_EUlSY_E_NS1_11comp_targetILNS1_3genE8ELNS1_11target_archE1030ELNS1_3gpuE2ELNS1_3repE0EEENS1_30default_config_static_selectorELNS0_4arch9wavefront6targetE0EEEvT1_.has_dyn_sized_stack, 0
	.set _ZN7rocprim17ROCPRIM_400000_NS6detail17trampoline_kernelINS0_14default_configENS1_27scan_by_key_config_selectorIj11FixedVectorIiLj4EEEEZZNS1_16scan_by_key_implILNS1_25lookback_scan_determinismE0ELb1ES3_N6thrust23THRUST_200600_302600_NS6detail15normal_iteratorINSB_10device_ptrIjEEEENSD_INSE_IS6_EEEESI_S6_NSB_4plusIvEENSB_8equal_toIvEES6_EE10hipError_tPvRmT2_T3_T4_T5_mT6_T7_P12ihipStream_tbENKUlT_T0_E_clISt17integral_constantIbLb0EES12_IbLb1EEEEDaSY_SZ_EUlSY_E_NS1_11comp_targetILNS1_3genE8ELNS1_11target_archE1030ELNS1_3gpuE2ELNS1_3repE0EEENS1_30default_config_static_selectorELNS0_4arch9wavefront6targetE0EEEvT1_.has_recursion, 0
	.set _ZN7rocprim17ROCPRIM_400000_NS6detail17trampoline_kernelINS0_14default_configENS1_27scan_by_key_config_selectorIj11FixedVectorIiLj4EEEEZZNS1_16scan_by_key_implILNS1_25lookback_scan_determinismE0ELb1ES3_N6thrust23THRUST_200600_302600_NS6detail15normal_iteratorINSB_10device_ptrIjEEEENSD_INSE_IS6_EEEESI_S6_NSB_4plusIvEENSB_8equal_toIvEES6_EE10hipError_tPvRmT2_T3_T4_T5_mT6_T7_P12ihipStream_tbENKUlT_T0_E_clISt17integral_constantIbLb0EES12_IbLb1EEEEDaSY_SZ_EUlSY_E_NS1_11comp_targetILNS1_3genE8ELNS1_11target_archE1030ELNS1_3gpuE2ELNS1_3repE0EEENS1_30default_config_static_selectorELNS0_4arch9wavefront6targetE0EEEvT1_.has_indirect_call, 0
	.section	.AMDGPU.csdata,"",@progbits
; Kernel info:
; codeLenInByte = 0
; TotalNumSgprs: 0
; NumVgprs: 0
; ScratchSize: 0
; MemoryBound: 0
; FloatMode: 240
; IeeeMode: 1
; LDSByteSize: 0 bytes/workgroup (compile time only)
; SGPRBlocks: 0
; VGPRBlocks: 0
; NumSGPRsForWavesPerEU: 1
; NumVGPRsForWavesPerEU: 1
; NamedBarCnt: 0
; Occupancy: 16
; WaveLimiterHint : 0
; COMPUTE_PGM_RSRC2:SCRATCH_EN: 0
; COMPUTE_PGM_RSRC2:USER_SGPR: 2
; COMPUTE_PGM_RSRC2:TRAP_HANDLER: 0
; COMPUTE_PGM_RSRC2:TGID_X_EN: 1
; COMPUTE_PGM_RSRC2:TGID_Y_EN: 0
; COMPUTE_PGM_RSRC2:TGID_Z_EN: 0
; COMPUTE_PGM_RSRC2:TIDIG_COMP_CNT: 0
	.section	.text._ZN6thrust23THRUST_200600_302600_NS11hip_rocprim14__parallel_for6kernelILj256ENS1_10for_each_fINS0_10device_ptrI11FixedVectorIiLj8EEEENS0_6detail16wrapped_functionINS9_23allocator_traits_detail5gozerEvEEEElLj1EEEvT0_T1_SG_,"axG",@progbits,_ZN6thrust23THRUST_200600_302600_NS11hip_rocprim14__parallel_for6kernelILj256ENS1_10for_each_fINS0_10device_ptrI11FixedVectorIiLj8EEEENS0_6detail16wrapped_functionINS9_23allocator_traits_detail5gozerEvEEEElLj1EEEvT0_T1_SG_,comdat
	.protected	_ZN6thrust23THRUST_200600_302600_NS11hip_rocprim14__parallel_for6kernelILj256ENS1_10for_each_fINS0_10device_ptrI11FixedVectorIiLj8EEEENS0_6detail16wrapped_functionINS9_23allocator_traits_detail5gozerEvEEEElLj1EEEvT0_T1_SG_ ; -- Begin function _ZN6thrust23THRUST_200600_302600_NS11hip_rocprim14__parallel_for6kernelILj256ENS1_10for_each_fINS0_10device_ptrI11FixedVectorIiLj8EEEENS0_6detail16wrapped_functionINS9_23allocator_traits_detail5gozerEvEEEElLj1EEEvT0_T1_SG_
	.globl	_ZN6thrust23THRUST_200600_302600_NS11hip_rocprim14__parallel_for6kernelILj256ENS1_10for_each_fINS0_10device_ptrI11FixedVectorIiLj8EEEENS0_6detail16wrapped_functionINS9_23allocator_traits_detail5gozerEvEEEElLj1EEEvT0_T1_SG_
	.p2align	8
	.type	_ZN6thrust23THRUST_200600_302600_NS11hip_rocprim14__parallel_for6kernelILj256ENS1_10for_each_fINS0_10device_ptrI11FixedVectorIiLj8EEEENS0_6detail16wrapped_functionINS9_23allocator_traits_detail5gozerEvEEEElLj1EEEvT0_T1_SG_,@function
_ZN6thrust23THRUST_200600_302600_NS11hip_rocprim14__parallel_for6kernelILj256ENS1_10for_each_fINS0_10device_ptrI11FixedVectorIiLj8EEEENS0_6detail16wrapped_functionINS9_23allocator_traits_detail5gozerEvEEEElLj1EEEvT0_T1_SG_: ; @_ZN6thrust23THRUST_200600_302600_NS11hip_rocprim14__parallel_for6kernelILj256ENS1_10for_each_fINS0_10device_ptrI11FixedVectorIiLj8EEEENS0_6detail16wrapped_functionINS9_23allocator_traits_detail5gozerEvEEEElLj1EEEvT0_T1_SG_
; %bb.0:
	s_endpgm
	.section	.rodata,"a",@progbits
	.p2align	6, 0x0
	.amdhsa_kernel _ZN6thrust23THRUST_200600_302600_NS11hip_rocprim14__parallel_for6kernelILj256ENS1_10for_each_fINS0_10device_ptrI11FixedVectorIiLj8EEEENS0_6detail16wrapped_functionINS9_23allocator_traits_detail5gozerEvEEEElLj1EEEvT0_T1_SG_
		.amdhsa_group_segment_fixed_size 0
		.amdhsa_private_segment_fixed_size 0
		.amdhsa_kernarg_size 32
		.amdhsa_user_sgpr_count 2
		.amdhsa_user_sgpr_dispatch_ptr 0
		.amdhsa_user_sgpr_queue_ptr 0
		.amdhsa_user_sgpr_kernarg_segment_ptr 1
		.amdhsa_user_sgpr_dispatch_id 0
		.amdhsa_user_sgpr_kernarg_preload_length 0
		.amdhsa_user_sgpr_kernarg_preload_offset 0
		.amdhsa_user_sgpr_private_segment_size 0
		.amdhsa_wavefront_size32 1
		.amdhsa_uses_dynamic_stack 0
		.amdhsa_enable_private_segment 0
		.amdhsa_system_sgpr_workgroup_id_x 1
		.amdhsa_system_sgpr_workgroup_id_y 0
		.amdhsa_system_sgpr_workgroup_id_z 0
		.amdhsa_system_sgpr_workgroup_info 0
		.amdhsa_system_vgpr_workitem_id 0
		.amdhsa_next_free_vgpr 1
		.amdhsa_next_free_sgpr 1
		.amdhsa_named_barrier_count 0
		.amdhsa_reserve_vcc 0
		.amdhsa_float_round_mode_32 0
		.amdhsa_float_round_mode_16_64 0
		.amdhsa_float_denorm_mode_32 3
		.amdhsa_float_denorm_mode_16_64 3
		.amdhsa_fp16_overflow 0
		.amdhsa_memory_ordered 1
		.amdhsa_forward_progress 1
		.amdhsa_inst_pref_size 1
		.amdhsa_round_robin_scheduling 0
		.amdhsa_exception_fp_ieee_invalid_op 0
		.amdhsa_exception_fp_denorm_src 0
		.amdhsa_exception_fp_ieee_div_zero 0
		.amdhsa_exception_fp_ieee_overflow 0
		.amdhsa_exception_fp_ieee_underflow 0
		.amdhsa_exception_fp_ieee_inexact 0
		.amdhsa_exception_int_div_zero 0
	.end_amdhsa_kernel
	.section	.text._ZN6thrust23THRUST_200600_302600_NS11hip_rocprim14__parallel_for6kernelILj256ENS1_10for_each_fINS0_10device_ptrI11FixedVectorIiLj8EEEENS0_6detail16wrapped_functionINS9_23allocator_traits_detail5gozerEvEEEElLj1EEEvT0_T1_SG_,"axG",@progbits,_ZN6thrust23THRUST_200600_302600_NS11hip_rocprim14__parallel_for6kernelILj256ENS1_10for_each_fINS0_10device_ptrI11FixedVectorIiLj8EEEENS0_6detail16wrapped_functionINS9_23allocator_traits_detail5gozerEvEEEElLj1EEEvT0_T1_SG_,comdat
.Lfunc_end2111:
	.size	_ZN6thrust23THRUST_200600_302600_NS11hip_rocprim14__parallel_for6kernelILj256ENS1_10for_each_fINS0_10device_ptrI11FixedVectorIiLj8EEEENS0_6detail16wrapped_functionINS9_23allocator_traits_detail5gozerEvEEEElLj1EEEvT0_T1_SG_, .Lfunc_end2111-_ZN6thrust23THRUST_200600_302600_NS11hip_rocprim14__parallel_for6kernelILj256ENS1_10for_each_fINS0_10device_ptrI11FixedVectorIiLj8EEEENS0_6detail16wrapped_functionINS9_23allocator_traits_detail5gozerEvEEEElLj1EEEvT0_T1_SG_
                                        ; -- End function
	.set _ZN6thrust23THRUST_200600_302600_NS11hip_rocprim14__parallel_for6kernelILj256ENS1_10for_each_fINS0_10device_ptrI11FixedVectorIiLj8EEEENS0_6detail16wrapped_functionINS9_23allocator_traits_detail5gozerEvEEEElLj1EEEvT0_T1_SG_.num_vgpr, 0
	.set _ZN6thrust23THRUST_200600_302600_NS11hip_rocprim14__parallel_for6kernelILj256ENS1_10for_each_fINS0_10device_ptrI11FixedVectorIiLj8EEEENS0_6detail16wrapped_functionINS9_23allocator_traits_detail5gozerEvEEEElLj1EEEvT0_T1_SG_.num_agpr, 0
	.set _ZN6thrust23THRUST_200600_302600_NS11hip_rocprim14__parallel_for6kernelILj256ENS1_10for_each_fINS0_10device_ptrI11FixedVectorIiLj8EEEENS0_6detail16wrapped_functionINS9_23allocator_traits_detail5gozerEvEEEElLj1EEEvT0_T1_SG_.numbered_sgpr, 0
	.set _ZN6thrust23THRUST_200600_302600_NS11hip_rocprim14__parallel_for6kernelILj256ENS1_10for_each_fINS0_10device_ptrI11FixedVectorIiLj8EEEENS0_6detail16wrapped_functionINS9_23allocator_traits_detail5gozerEvEEEElLj1EEEvT0_T1_SG_.num_named_barrier, 0
	.set _ZN6thrust23THRUST_200600_302600_NS11hip_rocprim14__parallel_for6kernelILj256ENS1_10for_each_fINS0_10device_ptrI11FixedVectorIiLj8EEEENS0_6detail16wrapped_functionINS9_23allocator_traits_detail5gozerEvEEEElLj1EEEvT0_T1_SG_.private_seg_size, 0
	.set _ZN6thrust23THRUST_200600_302600_NS11hip_rocprim14__parallel_for6kernelILj256ENS1_10for_each_fINS0_10device_ptrI11FixedVectorIiLj8EEEENS0_6detail16wrapped_functionINS9_23allocator_traits_detail5gozerEvEEEElLj1EEEvT0_T1_SG_.uses_vcc, 0
	.set _ZN6thrust23THRUST_200600_302600_NS11hip_rocprim14__parallel_for6kernelILj256ENS1_10for_each_fINS0_10device_ptrI11FixedVectorIiLj8EEEENS0_6detail16wrapped_functionINS9_23allocator_traits_detail5gozerEvEEEElLj1EEEvT0_T1_SG_.uses_flat_scratch, 0
	.set _ZN6thrust23THRUST_200600_302600_NS11hip_rocprim14__parallel_for6kernelILj256ENS1_10for_each_fINS0_10device_ptrI11FixedVectorIiLj8EEEENS0_6detail16wrapped_functionINS9_23allocator_traits_detail5gozerEvEEEElLj1EEEvT0_T1_SG_.has_dyn_sized_stack, 0
	.set _ZN6thrust23THRUST_200600_302600_NS11hip_rocprim14__parallel_for6kernelILj256ENS1_10for_each_fINS0_10device_ptrI11FixedVectorIiLj8EEEENS0_6detail16wrapped_functionINS9_23allocator_traits_detail5gozerEvEEEElLj1EEEvT0_T1_SG_.has_recursion, 0
	.set _ZN6thrust23THRUST_200600_302600_NS11hip_rocprim14__parallel_for6kernelILj256ENS1_10for_each_fINS0_10device_ptrI11FixedVectorIiLj8EEEENS0_6detail16wrapped_functionINS9_23allocator_traits_detail5gozerEvEEEElLj1EEEvT0_T1_SG_.has_indirect_call, 0
	.section	.AMDGPU.csdata,"",@progbits
; Kernel info:
; codeLenInByte = 4
; TotalNumSgprs: 0
; NumVgprs: 0
; ScratchSize: 0
; MemoryBound: 0
; FloatMode: 240
; IeeeMode: 1
; LDSByteSize: 0 bytes/workgroup (compile time only)
; SGPRBlocks: 0
; VGPRBlocks: 0
; NumSGPRsForWavesPerEU: 1
; NumVGPRsForWavesPerEU: 1
; NamedBarCnt: 0
; Occupancy: 16
; WaveLimiterHint : 0
; COMPUTE_PGM_RSRC2:SCRATCH_EN: 0
; COMPUTE_PGM_RSRC2:USER_SGPR: 2
; COMPUTE_PGM_RSRC2:TRAP_HANDLER: 0
; COMPUTE_PGM_RSRC2:TGID_X_EN: 1
; COMPUTE_PGM_RSRC2:TGID_Y_EN: 0
; COMPUTE_PGM_RSRC2:TGID_Z_EN: 0
; COMPUTE_PGM_RSRC2:TIDIG_COMP_CNT: 0
	.section	.text._ZN6thrust23THRUST_200600_302600_NS11hip_rocprim14__parallel_for6kernelILj256ENS1_10for_each_fINS0_10device_ptrI11FixedVectorIiLj8EEEENS0_6detail16wrapped_functionINS9_23allocator_traits_detail24construct1_via_allocatorINS0_16device_allocatorIS7_EEEEvEEEEmLj1EEEvT0_T1_SJ_,"axG",@progbits,_ZN6thrust23THRUST_200600_302600_NS11hip_rocprim14__parallel_for6kernelILj256ENS1_10for_each_fINS0_10device_ptrI11FixedVectorIiLj8EEEENS0_6detail16wrapped_functionINS9_23allocator_traits_detail24construct1_via_allocatorINS0_16device_allocatorIS7_EEEEvEEEEmLj1EEEvT0_T1_SJ_,comdat
	.protected	_ZN6thrust23THRUST_200600_302600_NS11hip_rocprim14__parallel_for6kernelILj256ENS1_10for_each_fINS0_10device_ptrI11FixedVectorIiLj8EEEENS0_6detail16wrapped_functionINS9_23allocator_traits_detail24construct1_via_allocatorINS0_16device_allocatorIS7_EEEEvEEEEmLj1EEEvT0_T1_SJ_ ; -- Begin function _ZN6thrust23THRUST_200600_302600_NS11hip_rocprim14__parallel_for6kernelILj256ENS1_10for_each_fINS0_10device_ptrI11FixedVectorIiLj8EEEENS0_6detail16wrapped_functionINS9_23allocator_traits_detail24construct1_via_allocatorINS0_16device_allocatorIS7_EEEEvEEEEmLj1EEEvT0_T1_SJ_
	.globl	_ZN6thrust23THRUST_200600_302600_NS11hip_rocprim14__parallel_for6kernelILj256ENS1_10for_each_fINS0_10device_ptrI11FixedVectorIiLj8EEEENS0_6detail16wrapped_functionINS9_23allocator_traits_detail24construct1_via_allocatorINS0_16device_allocatorIS7_EEEEvEEEEmLj1EEEvT0_T1_SJ_
	.p2align	8
	.type	_ZN6thrust23THRUST_200600_302600_NS11hip_rocprim14__parallel_for6kernelILj256ENS1_10for_each_fINS0_10device_ptrI11FixedVectorIiLj8EEEENS0_6detail16wrapped_functionINS9_23allocator_traits_detail24construct1_via_allocatorINS0_16device_allocatorIS7_EEEEvEEEEmLj1EEEvT0_T1_SJ_,@function
_ZN6thrust23THRUST_200600_302600_NS11hip_rocprim14__parallel_for6kernelILj256ENS1_10for_each_fINS0_10device_ptrI11FixedVectorIiLj8EEEENS0_6detail16wrapped_functionINS9_23allocator_traits_detail24construct1_via_allocatorINS0_16device_allocatorIS7_EEEEvEEEEmLj1EEEvT0_T1_SJ_: ; @_ZN6thrust23THRUST_200600_302600_NS11hip_rocprim14__parallel_for6kernelILj256ENS1_10for_each_fINS0_10device_ptrI11FixedVectorIiLj8EEEENS0_6detail16wrapped_functionINS9_23allocator_traits_detail24construct1_via_allocatorINS0_16device_allocatorIS7_EEEEvEEEEmLj1EEEvT0_T1_SJ_
; %bb.0:
	s_load_b128 s[4:7], s[0:1], 0x10
	s_bfe_u32 s2, ttmp6, 0x4000c
	s_and_b32 s3, ttmp6, 15
	s_add_co_i32 s2, s2, 1
	s_getreg_b32 s8, hwreg(HW_REG_IB_STS2, 6, 4)
	s_mul_i32 s2, ttmp9, s2
	s_wait_xcnt 0x0
	s_load_b64 s[0:1], s[0:1], 0x0
	s_add_co_i32 s3, s3, s2
	s_cmp_eq_u32 s8, 0
	s_cselect_b32 s2, ttmp9, s3
	s_mov_b32 s3, 0
	s_lshl_b32 s2, s2, 8
	s_wait_kmcnt 0x0
	s_add_nc_u64 s[2:3], s[6:7], s[2:3]
	s_delay_alu instid0(SALU_CYCLE_1) | instskip(NEXT) | instid1(SALU_CYCLE_1)
	s_sub_nc_u64 s[4:5], s[4:5], s[2:3]
	v_cmp_lt_u64_e64 s5, 0xff, s[4:5]
	s_and_b32 vcc_lo, exec_lo, s5
	s_mov_b32 s5, -1
	s_cbranch_vccnz .LBB2112_5
; %bb.1:
	s_mov_b32 s6, exec_lo
	v_cmpx_gt_u32_e64 s4, v0
	s_cbranch_execz .LBB2112_4
; %bb.2:
	v_dual_mov_b32 v3, 0 :: v_dual_lshlrev_b32 v2, 5, v0
	s_lshl_b64 s[4:5], s[2:3], 5
	v_mov_b64_e32 v[4:5], 0
	s_add_nc_u64 s[4:5], s[0:1], s[4:5]
	s_delay_alu instid0(VALU_DEP_2) | instid1(SALU_CYCLE_1)
	v_add_nc_u64_e32 v[2:3], s[4:5], v[2:3]
	s_mov_b64 s[4:5], 0
.LBB2112_3:                             ; =>This Inner Loop Header: Depth=1
	s_wait_xcnt 0x0
	s_delay_alu instid0(VALU_DEP_1) | instskip(SKIP_1) | instid1(SALU_CYCLE_1)
	v_add_nc_u64_e32 v[6:7], s[4:5], v[2:3]
	s_add_nc_u64 s[4:5], s[4:5], 8
	s_cmp_eq_u32 s4, 32
	flat_store_b64 v[6:7], v[4:5]
	s_cbranch_scc0 .LBB2112_3
.LBB2112_4:
	s_wait_xcnt 0x0
	s_or_b32 exec_lo, exec_lo, s6
	s_mov_b32 s5, 0
.LBB2112_5:
	s_delay_alu instid0(SALU_CYCLE_1)
	s_and_not1_b32 vcc_lo, exec_lo, s5
	s_cbranch_vccnz .LBB2112_8
; %bb.6:
	v_dual_mov_b32 v1, 0 :: v_dual_lshlrev_b32 v0, 5, v0
	s_lshl_b64 s[2:3], s[2:3], 5
	v_mov_b64_e32 v[2:3], 0
	s_add_nc_u64 s[0:1], s[0:1], s[2:3]
	s_delay_alu instid0(VALU_DEP_2) | instid1(SALU_CYCLE_1)
	v_add_nc_u64_e32 v[0:1], s[0:1], v[0:1]
	s_mov_b64 s[0:1], 0
.LBB2112_7:                             ; =>This Inner Loop Header: Depth=1
	s_wait_xcnt 0x0
	s_delay_alu instid0(VALU_DEP_1) | instskip(SKIP_1) | instid1(SALU_CYCLE_1)
	v_add_nc_u64_e32 v[4:5], s[0:1], v[0:1]
	s_add_nc_u64 s[0:1], s[0:1], 8
	s_cmp_eq_u32 s0, 32
	flat_store_b64 v[4:5], v[2:3]
	s_cbranch_scc0 .LBB2112_7
.LBB2112_8:
	s_endpgm
	.section	.rodata,"a",@progbits
	.p2align	6, 0x0
	.amdhsa_kernel _ZN6thrust23THRUST_200600_302600_NS11hip_rocprim14__parallel_for6kernelILj256ENS1_10for_each_fINS0_10device_ptrI11FixedVectorIiLj8EEEENS0_6detail16wrapped_functionINS9_23allocator_traits_detail24construct1_via_allocatorINS0_16device_allocatorIS7_EEEEvEEEEmLj1EEEvT0_T1_SJ_
		.amdhsa_group_segment_fixed_size 0
		.amdhsa_private_segment_fixed_size 0
		.amdhsa_kernarg_size 32
		.amdhsa_user_sgpr_count 2
		.amdhsa_user_sgpr_dispatch_ptr 0
		.amdhsa_user_sgpr_queue_ptr 0
		.amdhsa_user_sgpr_kernarg_segment_ptr 1
		.amdhsa_user_sgpr_dispatch_id 0
		.amdhsa_user_sgpr_kernarg_preload_length 0
		.amdhsa_user_sgpr_kernarg_preload_offset 0
		.amdhsa_user_sgpr_private_segment_size 0
		.amdhsa_wavefront_size32 1
		.amdhsa_uses_dynamic_stack 0
		.amdhsa_enable_private_segment 0
		.amdhsa_system_sgpr_workgroup_id_x 1
		.amdhsa_system_sgpr_workgroup_id_y 0
		.amdhsa_system_sgpr_workgroup_id_z 0
		.amdhsa_system_sgpr_workgroup_info 0
		.amdhsa_system_vgpr_workitem_id 0
		.amdhsa_next_free_vgpr 8
		.amdhsa_next_free_sgpr 9
		.amdhsa_named_barrier_count 0
		.amdhsa_reserve_vcc 1
		.amdhsa_float_round_mode_32 0
		.amdhsa_float_round_mode_16_64 0
		.amdhsa_float_denorm_mode_32 3
		.amdhsa_float_denorm_mode_16_64 3
		.amdhsa_fp16_overflow 0
		.amdhsa_memory_ordered 1
		.amdhsa_forward_progress 1
		.amdhsa_inst_pref_size 3
		.amdhsa_round_robin_scheduling 0
		.amdhsa_exception_fp_ieee_invalid_op 0
		.amdhsa_exception_fp_denorm_src 0
		.amdhsa_exception_fp_ieee_div_zero 0
		.amdhsa_exception_fp_ieee_overflow 0
		.amdhsa_exception_fp_ieee_underflow 0
		.amdhsa_exception_fp_ieee_inexact 0
		.amdhsa_exception_int_div_zero 0
	.end_amdhsa_kernel
	.section	.text._ZN6thrust23THRUST_200600_302600_NS11hip_rocprim14__parallel_for6kernelILj256ENS1_10for_each_fINS0_10device_ptrI11FixedVectorIiLj8EEEENS0_6detail16wrapped_functionINS9_23allocator_traits_detail24construct1_via_allocatorINS0_16device_allocatorIS7_EEEEvEEEEmLj1EEEvT0_T1_SJ_,"axG",@progbits,_ZN6thrust23THRUST_200600_302600_NS11hip_rocprim14__parallel_for6kernelILj256ENS1_10for_each_fINS0_10device_ptrI11FixedVectorIiLj8EEEENS0_6detail16wrapped_functionINS9_23allocator_traits_detail24construct1_via_allocatorINS0_16device_allocatorIS7_EEEEvEEEEmLj1EEEvT0_T1_SJ_,comdat
.Lfunc_end2112:
	.size	_ZN6thrust23THRUST_200600_302600_NS11hip_rocprim14__parallel_for6kernelILj256ENS1_10for_each_fINS0_10device_ptrI11FixedVectorIiLj8EEEENS0_6detail16wrapped_functionINS9_23allocator_traits_detail24construct1_via_allocatorINS0_16device_allocatorIS7_EEEEvEEEEmLj1EEEvT0_T1_SJ_, .Lfunc_end2112-_ZN6thrust23THRUST_200600_302600_NS11hip_rocprim14__parallel_for6kernelILj256ENS1_10for_each_fINS0_10device_ptrI11FixedVectorIiLj8EEEENS0_6detail16wrapped_functionINS9_23allocator_traits_detail24construct1_via_allocatorINS0_16device_allocatorIS7_EEEEvEEEEmLj1EEEvT0_T1_SJ_
                                        ; -- End function
	.set _ZN6thrust23THRUST_200600_302600_NS11hip_rocprim14__parallel_for6kernelILj256ENS1_10for_each_fINS0_10device_ptrI11FixedVectorIiLj8EEEENS0_6detail16wrapped_functionINS9_23allocator_traits_detail24construct1_via_allocatorINS0_16device_allocatorIS7_EEEEvEEEEmLj1EEEvT0_T1_SJ_.num_vgpr, 8
	.set _ZN6thrust23THRUST_200600_302600_NS11hip_rocprim14__parallel_for6kernelILj256ENS1_10for_each_fINS0_10device_ptrI11FixedVectorIiLj8EEEENS0_6detail16wrapped_functionINS9_23allocator_traits_detail24construct1_via_allocatorINS0_16device_allocatorIS7_EEEEvEEEEmLj1EEEvT0_T1_SJ_.num_agpr, 0
	.set _ZN6thrust23THRUST_200600_302600_NS11hip_rocprim14__parallel_for6kernelILj256ENS1_10for_each_fINS0_10device_ptrI11FixedVectorIiLj8EEEENS0_6detail16wrapped_functionINS9_23allocator_traits_detail24construct1_via_allocatorINS0_16device_allocatorIS7_EEEEvEEEEmLj1EEEvT0_T1_SJ_.numbered_sgpr, 9
	.set _ZN6thrust23THRUST_200600_302600_NS11hip_rocprim14__parallel_for6kernelILj256ENS1_10for_each_fINS0_10device_ptrI11FixedVectorIiLj8EEEENS0_6detail16wrapped_functionINS9_23allocator_traits_detail24construct1_via_allocatorINS0_16device_allocatorIS7_EEEEvEEEEmLj1EEEvT0_T1_SJ_.num_named_barrier, 0
	.set _ZN6thrust23THRUST_200600_302600_NS11hip_rocprim14__parallel_for6kernelILj256ENS1_10for_each_fINS0_10device_ptrI11FixedVectorIiLj8EEEENS0_6detail16wrapped_functionINS9_23allocator_traits_detail24construct1_via_allocatorINS0_16device_allocatorIS7_EEEEvEEEEmLj1EEEvT0_T1_SJ_.private_seg_size, 0
	.set _ZN6thrust23THRUST_200600_302600_NS11hip_rocprim14__parallel_for6kernelILj256ENS1_10for_each_fINS0_10device_ptrI11FixedVectorIiLj8EEEENS0_6detail16wrapped_functionINS9_23allocator_traits_detail24construct1_via_allocatorINS0_16device_allocatorIS7_EEEEvEEEEmLj1EEEvT0_T1_SJ_.uses_vcc, 1
	.set _ZN6thrust23THRUST_200600_302600_NS11hip_rocprim14__parallel_for6kernelILj256ENS1_10for_each_fINS0_10device_ptrI11FixedVectorIiLj8EEEENS0_6detail16wrapped_functionINS9_23allocator_traits_detail24construct1_via_allocatorINS0_16device_allocatorIS7_EEEEvEEEEmLj1EEEvT0_T1_SJ_.uses_flat_scratch, 0
	.set _ZN6thrust23THRUST_200600_302600_NS11hip_rocprim14__parallel_for6kernelILj256ENS1_10for_each_fINS0_10device_ptrI11FixedVectorIiLj8EEEENS0_6detail16wrapped_functionINS9_23allocator_traits_detail24construct1_via_allocatorINS0_16device_allocatorIS7_EEEEvEEEEmLj1EEEvT0_T1_SJ_.has_dyn_sized_stack, 0
	.set _ZN6thrust23THRUST_200600_302600_NS11hip_rocprim14__parallel_for6kernelILj256ENS1_10for_each_fINS0_10device_ptrI11FixedVectorIiLj8EEEENS0_6detail16wrapped_functionINS9_23allocator_traits_detail24construct1_via_allocatorINS0_16device_allocatorIS7_EEEEvEEEEmLj1EEEvT0_T1_SJ_.has_recursion, 0
	.set _ZN6thrust23THRUST_200600_302600_NS11hip_rocprim14__parallel_for6kernelILj256ENS1_10for_each_fINS0_10device_ptrI11FixedVectorIiLj8EEEENS0_6detail16wrapped_functionINS9_23allocator_traits_detail24construct1_via_allocatorINS0_16device_allocatorIS7_EEEEvEEEEmLj1EEEvT0_T1_SJ_.has_indirect_call, 0
	.section	.AMDGPU.csdata,"",@progbits
; Kernel info:
; codeLenInByte = 284
; TotalNumSgprs: 11
; NumVgprs: 8
; ScratchSize: 0
; MemoryBound: 0
; FloatMode: 240
; IeeeMode: 1
; LDSByteSize: 0 bytes/workgroup (compile time only)
; SGPRBlocks: 0
; VGPRBlocks: 0
; NumSGPRsForWavesPerEU: 11
; NumVGPRsForWavesPerEU: 8
; NamedBarCnt: 0
; Occupancy: 16
; WaveLimiterHint : 0
; COMPUTE_PGM_RSRC2:SCRATCH_EN: 0
; COMPUTE_PGM_RSRC2:USER_SGPR: 2
; COMPUTE_PGM_RSRC2:TRAP_HANDLER: 0
; COMPUTE_PGM_RSRC2:TGID_X_EN: 1
; COMPUTE_PGM_RSRC2:TGID_Y_EN: 0
; COMPUTE_PGM_RSRC2:TGID_Z_EN: 0
; COMPUTE_PGM_RSRC2:TIDIG_COMP_CNT: 0
	.section	.text._ZN7rocprim17ROCPRIM_400000_NS6detail30init_device_scan_by_key_kernelINS1_19lookback_scan_stateINS0_5tupleIJ11FixedVectorIiLj8EEbEEELb0ELb0EEEN6thrust23THRUST_200600_302600_NS6detail15normal_iteratorINSA_10device_ptrIjEEEEjNS1_16block_id_wrapperIjLb0EEEEEvT_jjPNSI_10value_typeET0_PNSt15iterator_traitsISL_E10value_typeEmT1_T2_,"axG",@progbits,_ZN7rocprim17ROCPRIM_400000_NS6detail30init_device_scan_by_key_kernelINS1_19lookback_scan_stateINS0_5tupleIJ11FixedVectorIiLj8EEbEEELb0ELb0EEEN6thrust23THRUST_200600_302600_NS6detail15normal_iteratorINSA_10device_ptrIjEEEEjNS1_16block_id_wrapperIjLb0EEEEEvT_jjPNSI_10value_typeET0_PNSt15iterator_traitsISL_E10value_typeEmT1_T2_,comdat
	.protected	_ZN7rocprim17ROCPRIM_400000_NS6detail30init_device_scan_by_key_kernelINS1_19lookback_scan_stateINS0_5tupleIJ11FixedVectorIiLj8EEbEEELb0ELb0EEEN6thrust23THRUST_200600_302600_NS6detail15normal_iteratorINSA_10device_ptrIjEEEEjNS1_16block_id_wrapperIjLb0EEEEEvT_jjPNSI_10value_typeET0_PNSt15iterator_traitsISL_E10value_typeEmT1_T2_ ; -- Begin function _ZN7rocprim17ROCPRIM_400000_NS6detail30init_device_scan_by_key_kernelINS1_19lookback_scan_stateINS0_5tupleIJ11FixedVectorIiLj8EEbEEELb0ELb0EEEN6thrust23THRUST_200600_302600_NS6detail15normal_iteratorINSA_10device_ptrIjEEEEjNS1_16block_id_wrapperIjLb0EEEEEvT_jjPNSI_10value_typeET0_PNSt15iterator_traitsISL_E10value_typeEmT1_T2_
	.globl	_ZN7rocprim17ROCPRIM_400000_NS6detail30init_device_scan_by_key_kernelINS1_19lookback_scan_stateINS0_5tupleIJ11FixedVectorIiLj8EEbEEELb0ELb0EEEN6thrust23THRUST_200600_302600_NS6detail15normal_iteratorINSA_10device_ptrIjEEEEjNS1_16block_id_wrapperIjLb0EEEEEvT_jjPNSI_10value_typeET0_PNSt15iterator_traitsISL_E10value_typeEmT1_T2_
	.p2align	8
	.type	_ZN7rocprim17ROCPRIM_400000_NS6detail30init_device_scan_by_key_kernelINS1_19lookback_scan_stateINS0_5tupleIJ11FixedVectorIiLj8EEbEEELb0ELb0EEEN6thrust23THRUST_200600_302600_NS6detail15normal_iteratorINSA_10device_ptrIjEEEEjNS1_16block_id_wrapperIjLb0EEEEEvT_jjPNSI_10value_typeET0_PNSt15iterator_traitsISL_E10value_typeEmT1_T2_,@function
_ZN7rocprim17ROCPRIM_400000_NS6detail30init_device_scan_by_key_kernelINS1_19lookback_scan_stateINS0_5tupleIJ11FixedVectorIiLj8EEbEEELb0ELb0EEEN6thrust23THRUST_200600_302600_NS6detail15normal_iteratorINSA_10device_ptrIjEEEEjNS1_16block_id_wrapperIjLb0EEEEEvT_jjPNSI_10value_typeET0_PNSt15iterator_traitsISL_E10value_typeEmT1_T2_: ; @_ZN7rocprim17ROCPRIM_400000_NS6detail30init_device_scan_by_key_kernelINS1_19lookback_scan_stateINS0_5tupleIJ11FixedVectorIiLj8EEbEEELb0ELb0EEEN6thrust23THRUST_200600_302600_NS6detail15normal_iteratorINSA_10device_ptrIjEEEEjNS1_16block_id_wrapperIjLb0EEEEEvT_jjPNSI_10value_typeET0_PNSt15iterator_traitsISL_E10value_typeEmT1_T2_
; %bb.0:
	s_clause 0x1
	s_load_b32 s12, s[2:3], 0x54
	s_load_b32 s18, s[2:3], 0x48
	s_bfe_u32 s13, ttmp6, 0x4000c
	s_load_b256 s[4:11], s[2:3], 0x10
	s_add_co_i32 s13, s13, 1
	s_and_b32 s14, ttmp6, 15
	s_mul_i32 s13, ttmp9, s13
	s_getreg_b32 s15, hwreg(HW_REG_IB_STS2, 6, 4)
	v_and_b32_e32 v1, 0x3ff, v0
	s_add_co_i32 s14, s14, s13
	s_wait_kmcnt 0x0
	s_and_b32 s19, s12, 0xffff
	s_cmp_eq_u32 s15, 0
	s_cselect_b32 s12, ttmp9, s14
	s_cmp_eq_u64 s[8:9], 0
	v_mad_u32 v2, s12, s19, v1
	s_cbranch_scc1 .LBB2113_9
; %bb.1:
	s_cmp_lt_u32 s7, s6
	s_mov_b32 s20, exec_lo
	s_cselect_b32 s12, s7, 0
	s_delay_alu instid0(VALU_DEP_1) | instid1(SALU_CYCLE_1)
	v_cmpx_eq_u32_e64 s12, v2
	s_cbranch_execz .LBB2113_8
; %bb.2:
	s_load_b64 s[12:13], s[0:1], 0x4
	v_bfe_u32 v3, v0, 10, 10
	v_bfe_u32 v0, v0, 20, 10
	s_wait_kmcnt 0x0
	s_lshr_b32 s0, s12, 16
	s_delay_alu instid0(VALU_DEP_2) | instskip(SKIP_4) | instid1(VALU_DEP_1)
	v_mul_u32_u24_e32 v3, s13, v3
	s_mul_i32 s0, s0, s13
	s_load_b128 s[12:15], s[2:3], 0x0
	v_mul_lo_u32 v1, s0, v1
	s_mov_b32 s0, 0
	v_add3_u32 v0, v1, v3, v0
	v_mov_b32_e32 v1, 0
	s_delay_alu instid0(VALU_DEP_2)
	v_mul_lo_u32 v0, v0, 36
	ds_store_2addr_b32 v0, v1, v1 offset0:6 offset1:7
	ds_store_2addr_b32 v0, v1, v1 offset0:4 offset1:5
	;; [unrolled: 1-line block ×3, first 2 shown]
	ds_store_2addr_b32 v0, v1, v1 offset1:1
	ds_store_b32 v0, v1 offset:32
.LBB2113_3:                             ; =>This Inner Loop Header: Depth=1
	v_add_nc_u32_e32 v3, s0, v0
	s_add_co_i32 s0, s0, 8
	s_delay_alu instid0(SALU_CYCLE_1)
	s_cmp_lg_u32 s0, 32
	ds_store_2addr_b32 v3, v1, v1 offset1:1
	s_cbranch_scc1 .LBB2113_3
; %bb.4:
	s_add_co_i32 s0, s7, 32
	s_delay_alu instid0(SALU_CYCLE_1)
	v_dual_mov_b32 v1, 0 :: v_dual_mov_b32 v3, s0
	s_mov_b32 s1, 0
	ds_store_b8 v0, v1 offset:32
	global_load_u8 v3, v3, s[4:5] scope:SCOPE_DEV
	s_wait_loadcnt 0x0
	v_and_b32_e32 v4, 0xffff, v3
	v_readfirstlane_b32 s7, v3
	s_delay_alu instid0(VALU_DEP_2)
	v_cmp_ne_u32_e32 vcc_lo, 0, v4
	s_cbranch_vccnz .LBB2113_7
; %bb.5:
	s_add_nc_u64 s[16:17], s[4:5], s[0:1]
.LBB2113_6:                             ; =>This Inner Loop Header: Depth=1
	global_load_u8 v3, v1, s[16:17] scope:SCOPE_DEV
	s_wait_loadcnt 0x0
	v_and_b32_e32 v4, 0xffff, v3
	v_readfirstlane_b32 s7, v3
	s_delay_alu instid0(VALU_DEP_2)
	v_cmp_eq_u32_e32 vcc_lo, 0, v4
	s_cbranch_vccnz .LBB2113_6
.LBB2113_7:
	s_and_b32 s7, 0xffff, s7
	v_mov_b32_e32 v1, 0
	s_cmp_eq_u32 s7, 1
	s_mul_u64 s[0:1], s[0:1], 36
	s_wait_kmcnt 0x0
	s_cselect_b32 s13, s13, s15
	s_cselect_b32 s12, s12, s14
	global_wb scope:SCOPE_DEV
	s_wait_storecnt_dscnt 0x0
	global_inv scope:SCOPE_DEV
	s_add_nc_u64 s[0:1], s[12:13], s[0:1]
	s_clause 0x2
	global_load_b128 v[4:7], v1, s[0:1]
	global_load_b128 v[8:11], v1, s[0:1] offset:16
	global_load_u8 v3, v1, s[0:1] offset:32
	s_wait_loadcnt 0x2
	ds_store_2addr_b32 v0, v4, v5 offset1:1
	ds_store_2addr_b32 v0, v6, v7 offset0:2 offset1:3
	s_wait_loadcnt 0x1
	ds_store_2addr_b32 v0, v8, v9 offset0:4 offset1:5
	ds_store_2addr_b32 v0, v10, v11 offset0:6 offset1:7
	s_clause 0x1
	global_store_b128 v1, v[4:7], s[8:9]
	global_store_b128 v1, v[8:11], s[8:9] offset:16
	s_wait_loadcnt 0x0
	global_store_b8 v1, v3, s[8:9] offset:32
.LBB2113_8:
	s_wait_xcnt 0x0
	s_or_b32 exec_lo, exec_lo, s20
.LBB2113_9:
	s_delay_alu instid0(SALU_CYCLE_1) | instskip(NEXT) | instid1(VALU_DEP_1)
	s_mov_b32 s0, exec_lo
	v_cmpx_gt_u32_e64 s6, v2
	s_cbranch_execz .LBB2113_11
; %bb.10:
	v_dual_mov_b32 v1, 0 :: v_dual_add_nc_u32 v0, 32, v2
	global_store_b8 v0, v1, s[4:5]
.LBB2113_11:
	s_wait_xcnt 0x0
	s_or_b32 exec_lo, exec_lo, s0
	v_mov_b32_e32 v3, 0
	s_mov_b32 s0, exec_lo
	v_cmpx_gt_u32_e32 32, v2
	s_cbranch_execz .LBB2113_13
; %bb.12:
	s_delay_alu instid0(VALU_DEP_2)
	v_add_nc_u64_e32 v[0:1], s[4:5], v[2:3]
	v_mov_b32_e32 v4, 0xff
	global_store_b8 v[0:1], v4, off
.LBB2113_13:
	s_wait_xcnt 0x0
	s_or_b32 exec_lo, exec_lo, s0
	s_load_b64 s[0:1], s[2:3], 0x38
	s_mov_b32 s4, exec_lo
	s_wait_kmcnt 0x0
	v_cmpx_gt_u64_e64 s[0:1], v[2:3]
	s_cbranch_execz .LBB2113_16
; %bb.14:
	s_clause 0x1
	s_load_b32 s4, s[2:3], 0x40
	s_load_b64 s[6:7], s[2:3], 0x30
	s_mov_b32 s5, 0
	s_wait_xcnt 0x0
	s_mul_i32 s2, s18, s19
	s_mov_b32 s9, s5
	s_mov_b32 s3, s5
	s_wait_kmcnt 0x0
	v_mul_u64_e32 v[0:1], s[4:5], v[2:3]
	s_add_co_i32 s8, s4, -1
	v_lshl_add_u64 v[4:5], v[2:3], 2, s[6:7]
	s_lshl_b64 s[8:9], s[8:9], 2
	s_delay_alu instid0(SALU_CYCLE_1) | instskip(SKIP_1) | instid1(SALU_CYCLE_1)
	s_add_nc_u64 s[8:9], s[10:11], s[8:9]
	s_mul_u64 s[10:11], s[4:5], s[2:3]
	s_lshl_b64 s[6:7], s[10:11], 2
	s_delay_alu instid0(VALU_DEP_2)
	v_lshl_add_u64 v[0:1], v[0:1], 2, s[8:9]
	s_lshl_b64 s[8:9], s[2:3], 2
.LBB2113_15:                            ; =>This Inner Loop Header: Depth=1
	global_load_b32 v6, v[0:1], off
	v_add_nc_u64_e32 v[2:3], s[2:3], v[2:3]
	s_wait_xcnt 0x0
	v_add_nc_u64_e32 v[0:1], s[6:7], v[0:1]
	s_delay_alu instid0(VALU_DEP_2)
	v_cmp_le_u64_e32 vcc_lo, s[0:1], v[2:3]
	s_or_b32 s5, vcc_lo, s5
	s_wait_loadcnt 0x0
	global_store_b32 v[4:5], v6, off
	s_wait_xcnt 0x0
	v_add_nc_u64_e32 v[4:5], s[8:9], v[4:5]
	s_and_not1_b32 exec_lo, exec_lo, s5
	s_cbranch_execnz .LBB2113_15
.LBB2113_16:
	s_endpgm
	.section	.rodata,"a",@progbits
	.p2align	6, 0x0
	.amdhsa_kernel _ZN7rocprim17ROCPRIM_400000_NS6detail30init_device_scan_by_key_kernelINS1_19lookback_scan_stateINS0_5tupleIJ11FixedVectorIiLj8EEbEEELb0ELb0EEEN6thrust23THRUST_200600_302600_NS6detail15normal_iteratorINSA_10device_ptrIjEEEEjNS1_16block_id_wrapperIjLb0EEEEEvT_jjPNSI_10value_typeET0_PNSt15iterator_traitsISL_E10value_typeEmT1_T2_
		.amdhsa_group_segment_fixed_size 9216
		.amdhsa_private_segment_fixed_size 0
		.amdhsa_kernarg_size 328
		.amdhsa_user_sgpr_count 4
		.amdhsa_user_sgpr_dispatch_ptr 1
		.amdhsa_user_sgpr_queue_ptr 0
		.amdhsa_user_sgpr_kernarg_segment_ptr 1
		.amdhsa_user_sgpr_dispatch_id 0
		.amdhsa_user_sgpr_kernarg_preload_length 0
		.amdhsa_user_sgpr_kernarg_preload_offset 0
		.amdhsa_user_sgpr_private_segment_size 0
		.amdhsa_wavefront_size32 1
		.amdhsa_uses_dynamic_stack 0
		.amdhsa_enable_private_segment 0
		.amdhsa_system_sgpr_workgroup_id_x 1
		.amdhsa_system_sgpr_workgroup_id_y 0
		.amdhsa_system_sgpr_workgroup_id_z 0
		.amdhsa_system_sgpr_workgroup_info 0
		.amdhsa_system_vgpr_workitem_id 2
		.amdhsa_next_free_vgpr 12
		.amdhsa_next_free_sgpr 21
		.amdhsa_named_barrier_count 0
		.amdhsa_reserve_vcc 1
		.amdhsa_float_round_mode_32 0
		.amdhsa_float_round_mode_16_64 0
		.amdhsa_float_denorm_mode_32 3
		.amdhsa_float_denorm_mode_16_64 3
		.amdhsa_fp16_overflow 0
		.amdhsa_memory_ordered 1
		.amdhsa_forward_progress 1
		.amdhsa_inst_pref_size 7
		.amdhsa_round_robin_scheduling 0
		.amdhsa_exception_fp_ieee_invalid_op 0
		.amdhsa_exception_fp_denorm_src 0
		.amdhsa_exception_fp_ieee_div_zero 0
		.amdhsa_exception_fp_ieee_overflow 0
		.amdhsa_exception_fp_ieee_underflow 0
		.amdhsa_exception_fp_ieee_inexact 0
		.amdhsa_exception_int_div_zero 0
	.end_amdhsa_kernel
	.section	.text._ZN7rocprim17ROCPRIM_400000_NS6detail30init_device_scan_by_key_kernelINS1_19lookback_scan_stateINS0_5tupleIJ11FixedVectorIiLj8EEbEEELb0ELb0EEEN6thrust23THRUST_200600_302600_NS6detail15normal_iteratorINSA_10device_ptrIjEEEEjNS1_16block_id_wrapperIjLb0EEEEEvT_jjPNSI_10value_typeET0_PNSt15iterator_traitsISL_E10value_typeEmT1_T2_,"axG",@progbits,_ZN7rocprim17ROCPRIM_400000_NS6detail30init_device_scan_by_key_kernelINS1_19lookback_scan_stateINS0_5tupleIJ11FixedVectorIiLj8EEbEEELb0ELb0EEEN6thrust23THRUST_200600_302600_NS6detail15normal_iteratorINSA_10device_ptrIjEEEEjNS1_16block_id_wrapperIjLb0EEEEEvT_jjPNSI_10value_typeET0_PNSt15iterator_traitsISL_E10value_typeEmT1_T2_,comdat
.Lfunc_end2113:
	.size	_ZN7rocprim17ROCPRIM_400000_NS6detail30init_device_scan_by_key_kernelINS1_19lookback_scan_stateINS0_5tupleIJ11FixedVectorIiLj8EEbEEELb0ELb0EEEN6thrust23THRUST_200600_302600_NS6detail15normal_iteratorINSA_10device_ptrIjEEEEjNS1_16block_id_wrapperIjLb0EEEEEvT_jjPNSI_10value_typeET0_PNSt15iterator_traitsISL_E10value_typeEmT1_T2_, .Lfunc_end2113-_ZN7rocprim17ROCPRIM_400000_NS6detail30init_device_scan_by_key_kernelINS1_19lookback_scan_stateINS0_5tupleIJ11FixedVectorIiLj8EEbEEELb0ELb0EEEN6thrust23THRUST_200600_302600_NS6detail15normal_iteratorINSA_10device_ptrIjEEEEjNS1_16block_id_wrapperIjLb0EEEEEvT_jjPNSI_10value_typeET0_PNSt15iterator_traitsISL_E10value_typeEmT1_T2_
                                        ; -- End function
	.set _ZN7rocprim17ROCPRIM_400000_NS6detail30init_device_scan_by_key_kernelINS1_19lookback_scan_stateINS0_5tupleIJ11FixedVectorIiLj8EEbEEELb0ELb0EEEN6thrust23THRUST_200600_302600_NS6detail15normal_iteratorINSA_10device_ptrIjEEEEjNS1_16block_id_wrapperIjLb0EEEEEvT_jjPNSI_10value_typeET0_PNSt15iterator_traitsISL_E10value_typeEmT1_T2_.num_vgpr, 12
	.set _ZN7rocprim17ROCPRIM_400000_NS6detail30init_device_scan_by_key_kernelINS1_19lookback_scan_stateINS0_5tupleIJ11FixedVectorIiLj8EEbEEELb0ELb0EEEN6thrust23THRUST_200600_302600_NS6detail15normal_iteratorINSA_10device_ptrIjEEEEjNS1_16block_id_wrapperIjLb0EEEEEvT_jjPNSI_10value_typeET0_PNSt15iterator_traitsISL_E10value_typeEmT1_T2_.num_agpr, 0
	.set _ZN7rocprim17ROCPRIM_400000_NS6detail30init_device_scan_by_key_kernelINS1_19lookback_scan_stateINS0_5tupleIJ11FixedVectorIiLj8EEbEEELb0ELb0EEEN6thrust23THRUST_200600_302600_NS6detail15normal_iteratorINSA_10device_ptrIjEEEEjNS1_16block_id_wrapperIjLb0EEEEEvT_jjPNSI_10value_typeET0_PNSt15iterator_traitsISL_E10value_typeEmT1_T2_.numbered_sgpr, 21
	.set _ZN7rocprim17ROCPRIM_400000_NS6detail30init_device_scan_by_key_kernelINS1_19lookback_scan_stateINS0_5tupleIJ11FixedVectorIiLj8EEbEEELb0ELb0EEEN6thrust23THRUST_200600_302600_NS6detail15normal_iteratorINSA_10device_ptrIjEEEEjNS1_16block_id_wrapperIjLb0EEEEEvT_jjPNSI_10value_typeET0_PNSt15iterator_traitsISL_E10value_typeEmT1_T2_.num_named_barrier, 0
	.set _ZN7rocprim17ROCPRIM_400000_NS6detail30init_device_scan_by_key_kernelINS1_19lookback_scan_stateINS0_5tupleIJ11FixedVectorIiLj8EEbEEELb0ELb0EEEN6thrust23THRUST_200600_302600_NS6detail15normal_iteratorINSA_10device_ptrIjEEEEjNS1_16block_id_wrapperIjLb0EEEEEvT_jjPNSI_10value_typeET0_PNSt15iterator_traitsISL_E10value_typeEmT1_T2_.private_seg_size, 0
	.set _ZN7rocprim17ROCPRIM_400000_NS6detail30init_device_scan_by_key_kernelINS1_19lookback_scan_stateINS0_5tupleIJ11FixedVectorIiLj8EEbEEELb0ELb0EEEN6thrust23THRUST_200600_302600_NS6detail15normal_iteratorINSA_10device_ptrIjEEEEjNS1_16block_id_wrapperIjLb0EEEEEvT_jjPNSI_10value_typeET0_PNSt15iterator_traitsISL_E10value_typeEmT1_T2_.uses_vcc, 1
	.set _ZN7rocprim17ROCPRIM_400000_NS6detail30init_device_scan_by_key_kernelINS1_19lookback_scan_stateINS0_5tupleIJ11FixedVectorIiLj8EEbEEELb0ELb0EEEN6thrust23THRUST_200600_302600_NS6detail15normal_iteratorINSA_10device_ptrIjEEEEjNS1_16block_id_wrapperIjLb0EEEEEvT_jjPNSI_10value_typeET0_PNSt15iterator_traitsISL_E10value_typeEmT1_T2_.uses_flat_scratch, 0
	.set _ZN7rocprim17ROCPRIM_400000_NS6detail30init_device_scan_by_key_kernelINS1_19lookback_scan_stateINS0_5tupleIJ11FixedVectorIiLj8EEbEEELb0ELb0EEEN6thrust23THRUST_200600_302600_NS6detail15normal_iteratorINSA_10device_ptrIjEEEEjNS1_16block_id_wrapperIjLb0EEEEEvT_jjPNSI_10value_typeET0_PNSt15iterator_traitsISL_E10value_typeEmT1_T2_.has_dyn_sized_stack, 0
	.set _ZN7rocprim17ROCPRIM_400000_NS6detail30init_device_scan_by_key_kernelINS1_19lookback_scan_stateINS0_5tupleIJ11FixedVectorIiLj8EEbEEELb0ELb0EEEN6thrust23THRUST_200600_302600_NS6detail15normal_iteratorINSA_10device_ptrIjEEEEjNS1_16block_id_wrapperIjLb0EEEEEvT_jjPNSI_10value_typeET0_PNSt15iterator_traitsISL_E10value_typeEmT1_T2_.has_recursion, 0
	.set _ZN7rocprim17ROCPRIM_400000_NS6detail30init_device_scan_by_key_kernelINS1_19lookback_scan_stateINS0_5tupleIJ11FixedVectorIiLj8EEbEEELb0ELb0EEEN6thrust23THRUST_200600_302600_NS6detail15normal_iteratorINSA_10device_ptrIjEEEEjNS1_16block_id_wrapperIjLb0EEEEEvT_jjPNSI_10value_typeET0_PNSt15iterator_traitsISL_E10value_typeEmT1_T2_.has_indirect_call, 0
	.section	.AMDGPU.csdata,"",@progbits
; Kernel info:
; codeLenInByte = 892
; TotalNumSgprs: 23
; NumVgprs: 12
; ScratchSize: 0
; MemoryBound: 0
; FloatMode: 240
; IeeeMode: 1
; LDSByteSize: 9216 bytes/workgroup (compile time only)
; SGPRBlocks: 0
; VGPRBlocks: 0
; NumSGPRsForWavesPerEU: 23
; NumVGPRsForWavesPerEU: 12
; NamedBarCnt: 0
; Occupancy: 16
; WaveLimiterHint : 0
; COMPUTE_PGM_RSRC2:SCRATCH_EN: 0
; COMPUTE_PGM_RSRC2:USER_SGPR: 4
; COMPUTE_PGM_RSRC2:TRAP_HANDLER: 0
; COMPUTE_PGM_RSRC2:TGID_X_EN: 1
; COMPUTE_PGM_RSRC2:TGID_Y_EN: 0
; COMPUTE_PGM_RSRC2:TGID_Z_EN: 0
; COMPUTE_PGM_RSRC2:TIDIG_COMP_CNT: 2
	.section	.text._ZN7rocprim17ROCPRIM_400000_NS6detail30init_device_scan_by_key_kernelINS1_19lookback_scan_stateINS0_5tupleIJ11FixedVectorIiLj8EEbEEELb0ELb0EEENS1_16block_id_wrapperIjLb0EEEEEvT_jjPNSB_10value_typeET0_,"axG",@progbits,_ZN7rocprim17ROCPRIM_400000_NS6detail30init_device_scan_by_key_kernelINS1_19lookback_scan_stateINS0_5tupleIJ11FixedVectorIiLj8EEbEEELb0ELb0EEENS1_16block_id_wrapperIjLb0EEEEEvT_jjPNSB_10value_typeET0_,comdat
	.protected	_ZN7rocprim17ROCPRIM_400000_NS6detail30init_device_scan_by_key_kernelINS1_19lookback_scan_stateINS0_5tupleIJ11FixedVectorIiLj8EEbEEELb0ELb0EEENS1_16block_id_wrapperIjLb0EEEEEvT_jjPNSB_10value_typeET0_ ; -- Begin function _ZN7rocprim17ROCPRIM_400000_NS6detail30init_device_scan_by_key_kernelINS1_19lookback_scan_stateINS0_5tupleIJ11FixedVectorIiLj8EEbEEELb0ELb0EEENS1_16block_id_wrapperIjLb0EEEEEvT_jjPNSB_10value_typeET0_
	.globl	_ZN7rocprim17ROCPRIM_400000_NS6detail30init_device_scan_by_key_kernelINS1_19lookback_scan_stateINS0_5tupleIJ11FixedVectorIiLj8EEbEEELb0ELb0EEENS1_16block_id_wrapperIjLb0EEEEEvT_jjPNSB_10value_typeET0_
	.p2align	8
	.type	_ZN7rocprim17ROCPRIM_400000_NS6detail30init_device_scan_by_key_kernelINS1_19lookback_scan_stateINS0_5tupleIJ11FixedVectorIiLj8EEbEEELb0ELb0EEENS1_16block_id_wrapperIjLb0EEEEEvT_jjPNSB_10value_typeET0_,@function
_ZN7rocprim17ROCPRIM_400000_NS6detail30init_device_scan_by_key_kernelINS1_19lookback_scan_stateINS0_5tupleIJ11FixedVectorIiLj8EEbEEELb0ELb0EEENS1_16block_id_wrapperIjLb0EEEEEvT_jjPNSB_10value_typeET0_: ; @_ZN7rocprim17ROCPRIM_400000_NS6detail30init_device_scan_by_key_kernelINS1_19lookback_scan_stateINS0_5tupleIJ11FixedVectorIiLj8EEbEEELb0ELb0EEENS1_16block_id_wrapperIjLb0EEEEEvT_jjPNSB_10value_typeET0_
; %bb.0:
	s_load_b32 s8, s[2:3], 0x3c
	s_bfe_u32 s9, ttmp6, 0x4000c
	s_clause 0x1
	s_load_b128 s[4:7], s[2:3], 0x10
	s_load_b64 s[12:13], s[2:3], 0x20
	s_add_co_i32 s9, s9, 1
	s_and_b32 s10, ttmp6, 15
	s_mul_i32 s9, ttmp9, s9
	s_getreg_b32 s11, hwreg(HW_REG_IB_STS2, 6, 4)
	v_and_b32_e32 v2, 0x3ff, v0
	s_add_co_i32 s10, s10, s9
	s_wait_kmcnt 0x0
	s_and_b32 s8, s8, 0xffff
	s_cmp_eq_u32 s11, 0
	s_cselect_b32 s9, ttmp9, s10
	s_cmp_eq_u64 s[12:13], 0
	v_mad_u32 v1, s9, s8, v2
	s_cbranch_scc1 .LBB2114_9
; %bb.1:
	s_cmp_lt_u32 s7, s6
	s_mov_b32 s14, exec_lo
	s_cselect_b32 s8, s7, 0
	s_delay_alu instid0(VALU_DEP_1) | instid1(SALU_CYCLE_1)
	v_cmpx_eq_u32_e64 s8, v1
	s_cbranch_execz .LBB2114_8
; %bb.2:
	s_load_b64 s[8:9], s[0:1], 0x4
	v_bfe_u32 v3, v0, 10, 10
	v_bfe_u32 v0, v0, 20, 10
	s_wait_kmcnt 0x0
	s_lshr_b32 s0, s8, 16
	s_delay_alu instid0(VALU_DEP_2) | instskip(SKIP_4) | instid1(VALU_DEP_1)
	v_mul_u32_u24_e32 v3, s9, v3
	s_mul_i32 s0, s0, s9
	s_load_b128 s[8:11], s[2:3], 0x0
	v_mul_lo_u32 v2, s0, v2
	s_mov_b32 s0, 0
	v_add3_u32 v0, v2, v3, v0
	v_mov_b32_e32 v2, 0
	s_delay_alu instid0(VALU_DEP_2)
	v_mul_lo_u32 v0, v0, 36
	ds_store_2addr_b32 v0, v2, v2 offset0:6 offset1:7
	ds_store_2addr_b32 v0, v2, v2 offset0:4 offset1:5
	;; [unrolled: 1-line block ×3, first 2 shown]
	ds_store_2addr_b32 v0, v2, v2 offset1:1
	ds_store_b32 v0, v2 offset:32
.LBB2114_3:                             ; =>This Inner Loop Header: Depth=1
	v_add_nc_u32_e32 v3, s0, v0
	s_add_co_i32 s0, s0, 8
	s_delay_alu instid0(SALU_CYCLE_1)
	s_cmp_lg_u32 s0, 32
	ds_store_2addr_b32 v3, v2, v2 offset1:1
	s_cbranch_scc1 .LBB2114_3
; %bb.4:
	s_add_co_i32 s0, s7, 32
	s_delay_alu instid0(SALU_CYCLE_1)
	v_dual_mov_b32 v2, 0 :: v_dual_mov_b32 v3, s0
	s_mov_b32 s1, 0
	ds_store_b8 v0, v2 offset:32
	global_load_u8 v3, v3, s[4:5] scope:SCOPE_DEV
	s_wait_loadcnt 0x0
	v_and_b32_e32 v4, 0xffff, v3
	v_readfirstlane_b32 s7, v3
	s_delay_alu instid0(VALU_DEP_2)
	v_cmp_ne_u32_e32 vcc_lo, 0, v4
	s_cbranch_vccnz .LBB2114_7
; %bb.5:
	s_add_nc_u64 s[2:3], s[4:5], s[0:1]
.LBB2114_6:                             ; =>This Inner Loop Header: Depth=1
	global_load_u8 v3, v2, s[2:3] scope:SCOPE_DEV
	s_wait_loadcnt 0x0
	v_and_b32_e32 v4, 0xffff, v3
	v_readfirstlane_b32 s7, v3
	s_delay_alu instid0(VALU_DEP_2)
	v_cmp_eq_u32_e32 vcc_lo, 0, v4
	s_cbranch_vccnz .LBB2114_6
.LBB2114_7:
	s_and_b32 s2, 0xffff, s7
	v_mov_b32_e32 v10, 0
	s_cmp_eq_u32 s2, 1
	s_mul_u64 s[0:1], s[0:1], 36
	s_wait_kmcnt 0x0
	s_cselect_b32 s3, s9, s11
	s_cselect_b32 s2, s8, s10
	global_wb scope:SCOPE_DEV
	s_wait_storecnt_dscnt 0x0
	global_inv scope:SCOPE_DEV
	s_add_nc_u64 s[0:1], s[2:3], s[0:1]
	s_clause 0x2
	global_load_b128 v[2:5], v10, s[0:1]
	global_load_b128 v[6:9], v10, s[0:1] offset:16
	global_load_u8 v11, v10, s[0:1] offset:32
	s_wait_loadcnt 0x2
	ds_store_2addr_b32 v0, v2, v3 offset1:1
	ds_store_2addr_b32 v0, v4, v5 offset0:2 offset1:3
	s_wait_loadcnt 0x1
	ds_store_2addr_b32 v0, v6, v7 offset0:4 offset1:5
	ds_store_2addr_b32 v0, v8, v9 offset0:6 offset1:7
	s_clause 0x1
	global_store_b128 v10, v[2:5], s[12:13]
	global_store_b128 v10, v[6:9], s[12:13] offset:16
	s_wait_loadcnt 0x0
	global_store_b8 v10, v11, s[12:13] offset:32
.LBB2114_8:
	s_wait_xcnt 0x0
	s_or_b32 exec_lo, exec_lo, s14
.LBB2114_9:
	s_delay_alu instid0(SALU_CYCLE_1) | instskip(NEXT) | instid1(VALU_DEP_1)
	s_mov_b32 s0, exec_lo
	v_cmpx_gt_u32_e64 s6, v1
	s_cbranch_execz .LBB2114_11
; %bb.10:
	v_dual_add_nc_u32 v0, 32, v1 :: v_dual_mov_b32 v2, 0
	global_store_b8 v0, v2, s[4:5]
.LBB2114_11:
	s_wait_xcnt 0x0
	s_or_b32 exec_lo, exec_lo, s0
	s_delay_alu instid0(SALU_CYCLE_1)
	s_mov_b32 s0, exec_lo
	v_cmpx_gt_u32_e32 32, v1
	s_cbranch_execz .LBB2114_13
; %bb.12:
	v_mov_b32_e32 v0, 0xff
	global_store_b8 v1, v0, s[4:5]
.LBB2114_13:
	s_endpgm
	.section	.rodata,"a",@progbits
	.p2align	6, 0x0
	.amdhsa_kernel _ZN7rocprim17ROCPRIM_400000_NS6detail30init_device_scan_by_key_kernelINS1_19lookback_scan_stateINS0_5tupleIJ11FixedVectorIiLj8EEbEEELb0ELb0EEENS1_16block_id_wrapperIjLb0EEEEEvT_jjPNSB_10value_typeET0_
		.amdhsa_group_segment_fixed_size 9216
		.amdhsa_private_segment_fixed_size 0
		.amdhsa_kernarg_size 304
		.amdhsa_user_sgpr_count 4
		.amdhsa_user_sgpr_dispatch_ptr 1
		.amdhsa_user_sgpr_queue_ptr 0
		.amdhsa_user_sgpr_kernarg_segment_ptr 1
		.amdhsa_user_sgpr_dispatch_id 0
		.amdhsa_user_sgpr_kernarg_preload_length 0
		.amdhsa_user_sgpr_kernarg_preload_offset 0
		.amdhsa_user_sgpr_private_segment_size 0
		.amdhsa_wavefront_size32 1
		.amdhsa_uses_dynamic_stack 0
		.amdhsa_enable_private_segment 0
		.amdhsa_system_sgpr_workgroup_id_x 1
		.amdhsa_system_sgpr_workgroup_id_y 0
		.amdhsa_system_sgpr_workgroup_id_z 0
		.amdhsa_system_sgpr_workgroup_info 0
		.amdhsa_system_vgpr_workitem_id 2
		.amdhsa_next_free_vgpr 12
		.amdhsa_next_free_sgpr 15
		.amdhsa_named_barrier_count 0
		.amdhsa_reserve_vcc 1
		.amdhsa_float_round_mode_32 0
		.amdhsa_float_round_mode_16_64 0
		.amdhsa_float_denorm_mode_32 3
		.amdhsa_float_denorm_mode_16_64 3
		.amdhsa_fp16_overflow 0
		.amdhsa_memory_ordered 1
		.amdhsa_forward_progress 1
		.amdhsa_inst_pref_size 6
		.amdhsa_round_robin_scheduling 0
		.amdhsa_exception_fp_ieee_invalid_op 0
		.amdhsa_exception_fp_denorm_src 0
		.amdhsa_exception_fp_ieee_div_zero 0
		.amdhsa_exception_fp_ieee_overflow 0
		.amdhsa_exception_fp_ieee_underflow 0
		.amdhsa_exception_fp_ieee_inexact 0
		.amdhsa_exception_int_div_zero 0
	.end_amdhsa_kernel
	.section	.text._ZN7rocprim17ROCPRIM_400000_NS6detail30init_device_scan_by_key_kernelINS1_19lookback_scan_stateINS0_5tupleIJ11FixedVectorIiLj8EEbEEELb0ELb0EEENS1_16block_id_wrapperIjLb0EEEEEvT_jjPNSB_10value_typeET0_,"axG",@progbits,_ZN7rocprim17ROCPRIM_400000_NS6detail30init_device_scan_by_key_kernelINS1_19lookback_scan_stateINS0_5tupleIJ11FixedVectorIiLj8EEbEEELb0ELb0EEENS1_16block_id_wrapperIjLb0EEEEEvT_jjPNSB_10value_typeET0_,comdat
.Lfunc_end2114:
	.size	_ZN7rocprim17ROCPRIM_400000_NS6detail30init_device_scan_by_key_kernelINS1_19lookback_scan_stateINS0_5tupleIJ11FixedVectorIiLj8EEbEEELb0ELb0EEENS1_16block_id_wrapperIjLb0EEEEEvT_jjPNSB_10value_typeET0_, .Lfunc_end2114-_ZN7rocprim17ROCPRIM_400000_NS6detail30init_device_scan_by_key_kernelINS1_19lookback_scan_stateINS0_5tupleIJ11FixedVectorIiLj8EEbEEELb0ELb0EEENS1_16block_id_wrapperIjLb0EEEEEvT_jjPNSB_10value_typeET0_
                                        ; -- End function
	.set _ZN7rocprim17ROCPRIM_400000_NS6detail30init_device_scan_by_key_kernelINS1_19lookback_scan_stateINS0_5tupleIJ11FixedVectorIiLj8EEbEEELb0ELb0EEENS1_16block_id_wrapperIjLb0EEEEEvT_jjPNSB_10value_typeET0_.num_vgpr, 12
	.set _ZN7rocprim17ROCPRIM_400000_NS6detail30init_device_scan_by_key_kernelINS1_19lookback_scan_stateINS0_5tupleIJ11FixedVectorIiLj8EEbEEELb0ELb0EEENS1_16block_id_wrapperIjLb0EEEEEvT_jjPNSB_10value_typeET0_.num_agpr, 0
	.set _ZN7rocprim17ROCPRIM_400000_NS6detail30init_device_scan_by_key_kernelINS1_19lookback_scan_stateINS0_5tupleIJ11FixedVectorIiLj8EEbEEELb0ELb0EEENS1_16block_id_wrapperIjLb0EEEEEvT_jjPNSB_10value_typeET0_.numbered_sgpr, 15
	.set _ZN7rocprim17ROCPRIM_400000_NS6detail30init_device_scan_by_key_kernelINS1_19lookback_scan_stateINS0_5tupleIJ11FixedVectorIiLj8EEbEEELb0ELb0EEENS1_16block_id_wrapperIjLb0EEEEEvT_jjPNSB_10value_typeET0_.num_named_barrier, 0
	.set _ZN7rocprim17ROCPRIM_400000_NS6detail30init_device_scan_by_key_kernelINS1_19lookback_scan_stateINS0_5tupleIJ11FixedVectorIiLj8EEbEEELb0ELb0EEENS1_16block_id_wrapperIjLb0EEEEEvT_jjPNSB_10value_typeET0_.private_seg_size, 0
	.set _ZN7rocprim17ROCPRIM_400000_NS6detail30init_device_scan_by_key_kernelINS1_19lookback_scan_stateINS0_5tupleIJ11FixedVectorIiLj8EEbEEELb0ELb0EEENS1_16block_id_wrapperIjLb0EEEEEvT_jjPNSB_10value_typeET0_.uses_vcc, 1
	.set _ZN7rocprim17ROCPRIM_400000_NS6detail30init_device_scan_by_key_kernelINS1_19lookback_scan_stateINS0_5tupleIJ11FixedVectorIiLj8EEbEEELb0ELb0EEENS1_16block_id_wrapperIjLb0EEEEEvT_jjPNSB_10value_typeET0_.uses_flat_scratch, 0
	.set _ZN7rocprim17ROCPRIM_400000_NS6detail30init_device_scan_by_key_kernelINS1_19lookback_scan_stateINS0_5tupleIJ11FixedVectorIiLj8EEbEEELb0ELb0EEENS1_16block_id_wrapperIjLb0EEEEEvT_jjPNSB_10value_typeET0_.has_dyn_sized_stack, 0
	.set _ZN7rocprim17ROCPRIM_400000_NS6detail30init_device_scan_by_key_kernelINS1_19lookback_scan_stateINS0_5tupleIJ11FixedVectorIiLj8EEbEEELb0ELb0EEENS1_16block_id_wrapperIjLb0EEEEEvT_jjPNSB_10value_typeET0_.has_recursion, 0
	.set _ZN7rocprim17ROCPRIM_400000_NS6detail30init_device_scan_by_key_kernelINS1_19lookback_scan_stateINS0_5tupleIJ11FixedVectorIiLj8EEbEEELb0ELb0EEENS1_16block_id_wrapperIjLb0EEEEEvT_jjPNSB_10value_typeET0_.has_indirect_call, 0
	.section	.AMDGPU.csdata,"",@progbits
; Kernel info:
; codeLenInByte = 684
; TotalNumSgprs: 17
; NumVgprs: 12
; ScratchSize: 0
; MemoryBound: 0
; FloatMode: 240
; IeeeMode: 1
; LDSByteSize: 9216 bytes/workgroup (compile time only)
; SGPRBlocks: 0
; VGPRBlocks: 0
; NumSGPRsForWavesPerEU: 17
; NumVGPRsForWavesPerEU: 12
; NamedBarCnt: 0
; Occupancy: 16
; WaveLimiterHint : 0
; COMPUTE_PGM_RSRC2:SCRATCH_EN: 0
; COMPUTE_PGM_RSRC2:USER_SGPR: 4
; COMPUTE_PGM_RSRC2:TRAP_HANDLER: 0
; COMPUTE_PGM_RSRC2:TGID_X_EN: 1
; COMPUTE_PGM_RSRC2:TGID_Y_EN: 0
; COMPUTE_PGM_RSRC2:TGID_Z_EN: 0
; COMPUTE_PGM_RSRC2:TIDIG_COMP_CNT: 2
	.section	.text._ZN7rocprim17ROCPRIM_400000_NS6detail17trampoline_kernelINS0_14default_configENS1_27scan_by_key_config_selectorIj11FixedVectorIiLj8EEEEZZNS1_16scan_by_key_implILNS1_25lookback_scan_determinismE0ELb0ES3_N6thrust23THRUST_200600_302600_NS6detail15normal_iteratorINSB_10device_ptrIjEEEENSD_INSE_IS6_EEEESI_S6_NSB_4plusIvEENSB_8equal_toIvEES6_EE10hipError_tPvRmT2_T3_T4_T5_mT6_T7_P12ihipStream_tbENKUlT_T0_E_clISt17integral_constantIbLb0EES13_EEDaSY_SZ_EUlSY_E_NS1_11comp_targetILNS1_3genE0ELNS1_11target_archE4294967295ELNS1_3gpuE0ELNS1_3repE0EEENS1_30default_config_static_selectorELNS0_4arch9wavefront6targetE0EEEvT1_,"axG",@progbits,_ZN7rocprim17ROCPRIM_400000_NS6detail17trampoline_kernelINS0_14default_configENS1_27scan_by_key_config_selectorIj11FixedVectorIiLj8EEEEZZNS1_16scan_by_key_implILNS1_25lookback_scan_determinismE0ELb0ES3_N6thrust23THRUST_200600_302600_NS6detail15normal_iteratorINSB_10device_ptrIjEEEENSD_INSE_IS6_EEEESI_S6_NSB_4plusIvEENSB_8equal_toIvEES6_EE10hipError_tPvRmT2_T3_T4_T5_mT6_T7_P12ihipStream_tbENKUlT_T0_E_clISt17integral_constantIbLb0EES13_EEDaSY_SZ_EUlSY_E_NS1_11comp_targetILNS1_3genE0ELNS1_11target_archE4294967295ELNS1_3gpuE0ELNS1_3repE0EEENS1_30default_config_static_selectorELNS0_4arch9wavefront6targetE0EEEvT1_,comdat
	.protected	_ZN7rocprim17ROCPRIM_400000_NS6detail17trampoline_kernelINS0_14default_configENS1_27scan_by_key_config_selectorIj11FixedVectorIiLj8EEEEZZNS1_16scan_by_key_implILNS1_25lookback_scan_determinismE0ELb0ES3_N6thrust23THRUST_200600_302600_NS6detail15normal_iteratorINSB_10device_ptrIjEEEENSD_INSE_IS6_EEEESI_S6_NSB_4plusIvEENSB_8equal_toIvEES6_EE10hipError_tPvRmT2_T3_T4_T5_mT6_T7_P12ihipStream_tbENKUlT_T0_E_clISt17integral_constantIbLb0EES13_EEDaSY_SZ_EUlSY_E_NS1_11comp_targetILNS1_3genE0ELNS1_11target_archE4294967295ELNS1_3gpuE0ELNS1_3repE0EEENS1_30default_config_static_selectorELNS0_4arch9wavefront6targetE0EEEvT1_ ; -- Begin function _ZN7rocprim17ROCPRIM_400000_NS6detail17trampoline_kernelINS0_14default_configENS1_27scan_by_key_config_selectorIj11FixedVectorIiLj8EEEEZZNS1_16scan_by_key_implILNS1_25lookback_scan_determinismE0ELb0ES3_N6thrust23THRUST_200600_302600_NS6detail15normal_iteratorINSB_10device_ptrIjEEEENSD_INSE_IS6_EEEESI_S6_NSB_4plusIvEENSB_8equal_toIvEES6_EE10hipError_tPvRmT2_T3_T4_T5_mT6_T7_P12ihipStream_tbENKUlT_T0_E_clISt17integral_constantIbLb0EES13_EEDaSY_SZ_EUlSY_E_NS1_11comp_targetILNS1_3genE0ELNS1_11target_archE4294967295ELNS1_3gpuE0ELNS1_3repE0EEENS1_30default_config_static_selectorELNS0_4arch9wavefront6targetE0EEEvT1_
	.globl	_ZN7rocprim17ROCPRIM_400000_NS6detail17trampoline_kernelINS0_14default_configENS1_27scan_by_key_config_selectorIj11FixedVectorIiLj8EEEEZZNS1_16scan_by_key_implILNS1_25lookback_scan_determinismE0ELb0ES3_N6thrust23THRUST_200600_302600_NS6detail15normal_iteratorINSB_10device_ptrIjEEEENSD_INSE_IS6_EEEESI_S6_NSB_4plusIvEENSB_8equal_toIvEES6_EE10hipError_tPvRmT2_T3_T4_T5_mT6_T7_P12ihipStream_tbENKUlT_T0_E_clISt17integral_constantIbLb0EES13_EEDaSY_SZ_EUlSY_E_NS1_11comp_targetILNS1_3genE0ELNS1_11target_archE4294967295ELNS1_3gpuE0ELNS1_3repE0EEENS1_30default_config_static_selectorELNS0_4arch9wavefront6targetE0EEEvT1_
	.p2align	8
	.type	_ZN7rocprim17ROCPRIM_400000_NS6detail17trampoline_kernelINS0_14default_configENS1_27scan_by_key_config_selectorIj11FixedVectorIiLj8EEEEZZNS1_16scan_by_key_implILNS1_25lookback_scan_determinismE0ELb0ES3_N6thrust23THRUST_200600_302600_NS6detail15normal_iteratorINSB_10device_ptrIjEEEENSD_INSE_IS6_EEEESI_S6_NSB_4plusIvEENSB_8equal_toIvEES6_EE10hipError_tPvRmT2_T3_T4_T5_mT6_T7_P12ihipStream_tbENKUlT_T0_E_clISt17integral_constantIbLb0EES13_EEDaSY_SZ_EUlSY_E_NS1_11comp_targetILNS1_3genE0ELNS1_11target_archE4294967295ELNS1_3gpuE0ELNS1_3repE0EEENS1_30default_config_static_selectorELNS0_4arch9wavefront6targetE0EEEvT1_,@function
_ZN7rocprim17ROCPRIM_400000_NS6detail17trampoline_kernelINS0_14default_configENS1_27scan_by_key_config_selectorIj11FixedVectorIiLj8EEEEZZNS1_16scan_by_key_implILNS1_25lookback_scan_determinismE0ELb0ES3_N6thrust23THRUST_200600_302600_NS6detail15normal_iteratorINSB_10device_ptrIjEEEENSD_INSE_IS6_EEEESI_S6_NSB_4plusIvEENSB_8equal_toIvEES6_EE10hipError_tPvRmT2_T3_T4_T5_mT6_T7_P12ihipStream_tbENKUlT_T0_E_clISt17integral_constantIbLb0EES13_EEDaSY_SZ_EUlSY_E_NS1_11comp_targetILNS1_3genE0ELNS1_11target_archE4294967295ELNS1_3gpuE0ELNS1_3repE0EEENS1_30default_config_static_selectorELNS0_4arch9wavefront6targetE0EEEvT1_: ; @_ZN7rocprim17ROCPRIM_400000_NS6detail17trampoline_kernelINS0_14default_configENS1_27scan_by_key_config_selectorIj11FixedVectorIiLj8EEEEZZNS1_16scan_by_key_implILNS1_25lookback_scan_determinismE0ELb0ES3_N6thrust23THRUST_200600_302600_NS6detail15normal_iteratorINSB_10device_ptrIjEEEENSD_INSE_IS6_EEEESI_S6_NSB_4plusIvEENSB_8equal_toIvEES6_EE10hipError_tPvRmT2_T3_T4_T5_mT6_T7_P12ihipStream_tbENKUlT_T0_E_clISt17integral_constantIbLb0EES13_EEDaSY_SZ_EUlSY_E_NS1_11comp_targetILNS1_3genE0ELNS1_11target_archE4294967295ELNS1_3gpuE0ELNS1_3repE0EEENS1_30default_config_static_selectorELNS0_4arch9wavefront6targetE0EEEvT1_
; %bb.0:
	s_load_b64 s[34:35], s[0:1], 0x4
	s_clause 0x3
	s_load_b96 s[28:30], s[2:3], 0x68
	s_load_b256 s[12:19], s[2:3], 0x0
	s_load_b256 s[4:11], s[2:3], 0x48
	;; [unrolled: 1-line block ×3, first 2 shown]
	s_wait_xcnt 0x0
	s_mov_b32 s0, 0
	v_bfe_u32 v9, v0, 10, 10
	s_mov_b32 s2, s0
	s_mov_b32 s3, s0
	;; [unrolled: 1-line block ×3, first 2 shown]
	v_mov_b64_e32 v[2:3], 0
	v_mov_b64_e32 v[6:7], s[2:3]
	v_mov_b64_e32 v[4:5], s[0:1]
	v_mov_b32_e32 v1, 0
	v_and_b32_e32 v16, 0x3ff, v0
	v_bfe_u32 v8, v0, 20, 10
	s_barrier_signal -1
	s_barrier_wait -1
	s_wait_kmcnt 0x0
	v_mul_u32_u24_e32 v9, s35, v9
	s_mov_b32 s2, s30
	s_clause 0x2
	scratch_store_b32 off, v1, off offset:320
	scratch_store_b128 off, v[4:7], off offset:304
	scratch_store_b128 off, v[4:7], off offset:288
.LBB2115_1:                             ; =>This Inner Loop Header: Depth=1
	s_wait_xcnt 0x0
	s_add_co_i32 s1, s0, 0x120
	s_add_co_i32 s0, s0, 8
	scratch_store_b64 off, v[2:3], s1
	s_cmp_lg_u32 s0, 32
	s_cbranch_scc1 .LBB2115_1
; %bb.2:
	s_mov_b32 s36, 0
	s_wait_xcnt 0x3
	v_mov_b64_e32 v[0:1], 0
	s_mov_b32 s37, s36
	s_mov_b32 s38, s36
	;; [unrolled: 1-line block ×3, first 2 shown]
	s_wait_xcnt 0x0
	v_mov_b64_e32 v[2:3], s[36:37]
	v_mov_b64_e32 v[4:5], s[38:39]
	v_mov_b32_e32 v6, 0
	s_mov_b32 s0, 36
	s_movk_i32 s11, 0x144
	s_clause 0x3
	scratch_store_b8 off, v6, off offset:320
	scratch_store_b128 off, v[2:5], off offset:324
	scratch_store_b32 off, v6, off offset:356
	scratch_store_b128 off, v[2:5], off offset:340
.LBB2115_3:                             ; =>This Inner Loop Header: Depth=1
	s_wait_xcnt 0x0
	s_add_co_i32 s1, s0, 0x120
	s_add_co_i32 s0, s0, 8
	scratch_store_b64 off, v[0:1], s1
	s_cmp_lg_u32 s0, 0x44
	s_cbranch_scc1 .LBB2115_3
; %bb.4:
	s_mov_b32 s36, 0
	s_wait_xcnt 0x0
	v_mov_b64_e32 v[0:1], 0
	s_mov_b32 s37, s36
	s_mov_b32 s38, s36
	;; [unrolled: 1-line block ×3, first 2 shown]
	v_mov_b64_e32 v[2:3], s[36:37]
	v_mov_b64_e32 v[4:5], s[38:39]
	v_mov_b32_e32 v6, 0
	s_movk_i32 s0, 0x48
	s_movk_i32 s38, 0x168
	s_clause 0x3
	scratch_store_b8 off, v6, off offset:356
	scratch_store_b128 off, v[2:5], off offset:360
	scratch_store_b32 off, v6, off offset:392
	scratch_store_b128 off, v[2:5], off offset:376
.LBB2115_5:                             ; =>This Inner Loop Header: Depth=1
	s_wait_xcnt 0x0
	s_add_co_i32 s1, s0, 0x120
	s_add_co_i32 s0, s0, 8
	scratch_store_b64 off, v[0:1], s1
	s_cmp_lg_u32 s0, 0x68
	s_cbranch_scc1 .LBB2115_5
; %bb.6:
	s_wait_xcnt 0x0
	v_mov_b64_e32 v[0:1], 0
	v_mov_b32_e32 v2, 0
	s_mov_b32 s0, 0
	scratch_store_b8 off, v2, off offset:392
.LBB2115_7:                             ; =>This Inner Loop Header: Depth=1
	s_wait_xcnt 0x0
	s_add_co_i32 s1, s0, 0x90
	s_add_co_i32 s0, s0, 8
	scratch_store_b64 off, v[0:1], s1
	s_cmp_lg_u32 s0, 32
	s_cbranch_scc1 .LBB2115_7
; %bb.8:
	s_wait_xcnt 0x0
	v_mov_b64_e32 v[0:1], 0
	s_mov_b32 s0, 32
.LBB2115_9:                             ; =>This Inner Loop Header: Depth=1
	s_wait_xcnt 0x0
	s_add_co_i32 s1, s0, 0x90
	s_add_co_i32 s0, s0, 8
	scratch_store_b64 off, v[0:1], s1
	s_cmp_lg_u32 s0, 64
	s_cbranch_scc1 .LBB2115_9
; %bb.10:
	s_wait_xcnt 0x0
	v_mov_b64_e32 v[0:1], 0
	s_mov_b32 s0, 64
.LBB2115_11:                            ; =>This Inner Loop Header: Depth=1
	s_wait_xcnt 0x0
	s_add_co_i32 s1, s0, 0x90
	s_add_co_i32 s0, s0, 8
	scratch_store_b64 off, v[0:1], s1
	s_cmp_lg_u32 s0, 0x60
	s_cbranch_scc1 .LBB2115_11
; %bb.12:
	s_bfe_u32 s0, ttmp6, 0x4000c
	s_wait_xcnt 0x0
	s_and_b32 s1, ttmp6, 15
	s_add_co_i32 s0, s0, 1
	s_getreg_b32 s3, hwreg(HW_REG_IB_STS2, 6, 4)
	s_mul_i32 s0, ttmp9, s0
	s_add_nc_u64 s[20:21], s[20:21], -1
	s_add_co_i32 s1, s1, s0
	s_cmp_eq_u32 s3, 0
	s_mov_b32 s3, 0
	s_cselect_b32 s30, ttmp9, s1
	s_mul_u64 s[36:37], s[28:29], s[2:3]
	s_mov_b32 s31, s3
	s_cmp_lg_u64 s[24:25], 0
	s_add_nc_u64 s[36:37], s[36:37], s[30:31]
	s_cselect_b32 s41, -1, 0
	v_cmp_ge_u64_e64 s31, s[36:37], s[20:21]
	s_mul_i32 s0, s30, 0x300
	s_lshl_b64 s[24:25], s[14:15], 5
	s_lshl_b64 s[14:15], s[14:15], 2
	s_mov_b32 s1, s3
	s_add_nc_u64 s[42:43], s[16:17], s[24:25]
	s_add_nc_u64 s[12:13], s[12:13], s[14:15]
	s_lshl_b64 s[14:15], s[0:1], 2
	s_lshl_b64 s[16:17], s[0:1], 5
	s_movk_i32 s33, 0xd0
	s_movk_i32 s39, 0xb0
	s_add_nc_u64 s[14:15], s[12:13], s[14:15]
	s_add_nc_u64 s[12:13], s[42:43], s[16:17]
	s_and_b32 vcc_lo, exec_lo, s31
	s_mul_i32 s40, s20, 0xfffffd00
	s_cbranch_vccz .LBB2115_22
; %bb.13:
	v_mov_b32_e32 v0, 0
	s_add_co_i32 s42, s40, s10
	s_delay_alu instid0(SALU_CYCLE_1)
	v_cmp_gt_u32_e64 s0, s42, v16
	flat_load_b32 v0, v0, s[14:15]
	s_wait_loadcnt_dscnt 0x0
	v_mov_b32_e32 v1, v0
	s_wait_xcnt 0x0
	s_and_saveexec_b32 s1, s0
	s_cbranch_execz .LBB2115_15
; %bb.14:
	flat_load_b32 v1, v16, s[14:15] scale_offset
.LBB2115_15:
	s_wait_xcnt 0x0
	s_or_b32 exec_lo, exec_lo, s1
	v_add_nc_u32_e32 v2, 0x100, v16
	s_delay_alu instid0(VALU_DEP_1)
	v_cmp_gt_u32_e64 s1, s42, v2
	v_mov_b32_e32 v2, v0
	s_and_saveexec_b32 s2, s1
	s_cbranch_execz .LBB2115_17
; %bb.16:
	flat_load_b32 v2, v16, s[14:15] offset:1024 scale_offset
.LBB2115_17:
	s_wait_xcnt 0x0
	s_or_b32 exec_lo, exec_lo, s2
	v_add_nc_u32_e32 v3, 0x200, v16
	s_mov_b32 s3, exec_lo
	s_delay_alu instid0(VALU_DEP_1) | instskip(SKIP_2) | instid1(SALU_CYCLE_1)
	v_cmp_gt_u32_e64 s2, s42, v3
	v_cmpx_le_u32_e64 s42, v3
	s_xor_b32 s3, exec_lo, s3
	s_and_not1_saveexec_b32 s3, s3
	s_cbranch_execz .LBB2115_19
; %bb.18:
	flat_load_b32 v0, v16, s[14:15] offset:2048 scale_offset
.LBB2115_19:
	s_wait_xcnt 0x0
	s_or_b32 exec_lo, exec_lo, s3
	v_dual_lshlrev_b32 v3, 2, v16 :: v_dual_lshlrev_b32 v4, 3, v16
	s_cmp_eq_u64 s[36:37], 0
	s_mov_b64 s[20:21], s[14:15]
	s_wait_loadcnt_dscnt 0x0
	ds_store_2addr_stride64_b32 v3, v1, v2 offset1:4
	ds_store_b32 v3, v0 offset:2048
	v_add_nc_u32_e32 v5, v3, v4
	s_wait_storecnt_dscnt 0x0
	s_barrier_signal -1
	s_barrier_wait -1
	ds_load_2addr_b32 v[0:1], v5 offset1:1
	ds_load_b32 v2, v5 offset:8
	s_cbranch_scc1 .LBB2115_25
; %bb.20:
	s_and_not1_b32 vcc_lo, exec_lo, s41
	s_cbranch_vccnz .LBB2115_23
; %bb.21:
	s_lshl_b64 s[20:21], s[36:37], 2
	s_mov_b32 s3, 0
	s_add_nc_u64 s[20:21], s[26:27], s[20:21]
	s_delay_alu instid0(SALU_CYCLE_1)
	s_add_nc_u64 s[20:21], s[20:21], -4
	s_branch .LBB2115_24
.LBB2115_22:
                                        ; implicit-def: $sgpr0
	s_cbranch_execnz .LBB2115_36
	s_branch .LBB2115_46
.LBB2115_23:
	s_add_nc_u64 s[20:21], s[14:15], -4
	s_mov_b32 s3, -1
.LBB2115_24:
	s_delay_alu instid0(SALU_CYCLE_1)
	s_and_not1_b32 vcc_lo, exec_lo, s3
.LBB2115_25:
	v_dual_mov_b32 v3, 0 :: v_dual_sub_nc_u32 v4, v5, v4
	s_mov_b32 s3, exec_lo
	flat_load_b32 v3, v3, s[20:21]
	s_wait_dscnt 0x1
	ds_store_b32 v4, v2 offset:3072
	s_wait_loadcnt_dscnt 0x0
	s_barrier_signal -1
	s_barrier_wait -1
	v_cmpx_ne_u32_e32 0, v16
; %bb.26:
	ds_load_b32 v3, v4 offset:3068
; %bb.27:
	s_or_b32 exec_lo, exec_lo, s3
	s_wait_dscnt 0x0
	s_barrier_signal -1
	s_barrier_wait -1
	s_and_saveexec_b32 s3, s0
	s_cbranch_execnz .LBB2115_39
; %bb.28:
	s_or_b32 exec_lo, exec_lo, s3
	s_and_saveexec_b32 s0, s1
	s_cbranch_execnz .LBB2115_40
.LBB2115_29:
	s_or_b32 exec_lo, exec_lo, s0
	s_and_saveexec_b32 s0, s2
	s_cbranch_execz .LBB2115_31
.LBB2115_30:
	v_lshlrev_b32_e32 v5, 5, v16
	s_clause 0x1
	flat_load_b128 v[10:13], v5, s[12:13] offset:16384
	flat_load_b128 v[18:21], v5, s[12:13] offset:16400
	s_wait_loadcnt_dscnt 0x101
	scratch_store_b128 off, v[10:13], off offset:208
	s_wait_loadcnt_dscnt 0x0
	scratch_store_b128 off, v[18:21], off offset:224
.LBB2115_31:
	s_wait_xcnt 0x0
	s_or_b32 exec_lo, exec_lo, s0
	s_clause 0x1
	scratch_load_b128 v[10:13], off, off offset:144
	scratch_load_b128 v[18:21], off, off offset:160
	s_clause 0x3
	scratch_load_b128 v[22:25], off, s39
	scratch_load_b128 v[26:29], off, s39 offset:16
	scratch_load_b128 v[30:33], off, s33
	scratch_load_b128 v[34:37], off, s33 offset:16
	v_mad_u32_u24 v4, v16, 28, v4
	s_mov_b32 s1, 0
	s_mov_b32 s3, 0
	s_mov_b32 s2, exec_lo
                                        ; implicit-def: $sgpr0
	s_wait_loadcnt 0x5
	ds_store_b128 v4, v[10:13]
	s_wait_loadcnt 0x4
	ds_store_b128 v4, v[18:21] offset:16
	s_wait_loadcnt 0x3
	ds_store_b128 v4, v[22:25] offset:8192
	;; [unrolled: 2-line block ×5, first 2 shown]
	v_lshl_add_u32 v5, v16, 6, v4
	s_wait_storecnt_dscnt 0x0
	s_barrier_signal -1
	s_barrier_wait -1
	ds_load_b128 v[10:13], v5 offset:32
	ds_load_b128 v[18:21], v5 offset:48
	;; [unrolled: 1-line block ×4, first 2 shown]
	v_mul_u32_u24_e32 v4, 3, v16
	s_wait_dscnt 0x3
	scratch_store_b128 off, v[10:13], s39
	s_wait_dscnt 0x2
	scratch_store_b128 off, v[18:21], s39 offset:16
	s_wait_dscnt 0x1
	scratch_store_b128 off, v[22:25], s33
	s_wait_dscnt 0x0
	scratch_store_b128 off, v[26:29], s33 offset:16
	s_wait_xcnt 0x0
	v_cmpx_gt_u32_e64 s42, v4
	s_cbranch_execz .LBB2115_35
; %bb.32:
	ds_load_b128 v[10:13], v5
	ds_load_b128 v[18:21], v5 offset:16
	v_cmp_ne_u32_e32 vcc_lo, v3, v0
	v_add_nc_u32_e32 v6, 1, v4
	s_mov_b32 s20, 0
	s_mov_b32 s3, exec_lo
                                        ; implicit-def: $sgpr0
	v_cndmask_b32_e64 v3, 0, 1, vcc_lo
	s_wait_dscnt 0x1
	scratch_store_b128 off, v[10:13], off offset:288
	s_wait_dscnt 0x0
	s_clause 0x1
	scratch_store_b128 off, v[18:21], off offset:304
	scratch_store_b8 off, v3, off offset:320
	s_wait_xcnt 0x0
	v_cmpx_gt_u32_e64 s42, v6
	s_xor_b32 s3, exec_lo, s3
	s_cbranch_execz .LBB2115_34
; %bb.33:
	v_add_nc_u32_e32 v3, 32, v5
	v_cmp_ne_u32_e64 s0, v0, v1
	ds_load_2addr_b32 v[12:13], v3 offset0:2 offset1:3
	ds_load_2addr_b32 v[18:19], v3 offset0:4 offset1:5
	ds_load_2addr_b32 v[10:11], v3 offset1:1
	ds_load_2addr_b32 v[20:21], v3 offset0:6 offset1:7
	v_add_nc_u32_e32 v3, 2, v4
	v_cndmask_b32_e64 v0, 0, 1, s0
	v_cmp_ne_u32_e64 s0, v1, v2
	s_wait_dscnt 0x1
	scratch_store_b128 off, v[10:13], s11
	s_wait_dscnt 0x0
	scratch_store_b128 off, v[18:21], s11 offset:16
	scratch_store_b8 off, v0, off offset:356
	v_cmp_gt_u32_e32 vcc_lo, s42, v3
	s_and_b32 s20, vcc_lo, exec_lo
.LBB2115_34:
	s_wait_xcnt 0x0
	s_or_b32 exec_lo, exec_lo, s3
	s_delay_alu instid0(SALU_CYCLE_1)
	s_and_b32 s3, s20, exec_lo
.LBB2115_35:
	s_or_b32 exec_lo, exec_lo, s2
	s_delay_alu instid0(SALU_CYCLE_1)
	s_and_b32 vcc_lo, exec_lo, s1
	s_cbranch_vccz .LBB2115_46
.LBB2115_36:
	s_clause 0x2
	flat_load_b32 v0, v16, s[14:15] scale_offset
	flat_load_b32 v1, v16, s[14:15] offset:1024 scale_offset
	flat_load_b32 v2, v16, s[14:15] offset:2048 scale_offset
	v_dual_lshlrev_b32 v3, 2, v16 :: v_dual_lshlrev_b32 v4, 3, v16
	s_cmp_eq_u64 s[36:37], 0
	s_wait_loadcnt_dscnt 0x101
	ds_store_2addr_stride64_b32 v3, v0, v1 offset1:4
	s_wait_loadcnt_dscnt 0x1
	ds_store_b32 v3, v2 offset:2048
	v_dual_add_nc_u32 v5, v3, v4 :: v_dual_mov_b32 v3, 0
	s_wait_storecnt_dscnt 0x0
	s_barrier_signal -1
	s_barrier_wait -1
	ds_load_2addr_b32 v[0:1], v5 offset1:1
	ds_load_b32 v2, v5 offset:8
	s_cbranch_scc1 .LBB2115_43
; %bb.37:
	s_and_not1_b32 vcc_lo, exec_lo, s41
	s_cbranch_vccnz .LBB2115_41
; %bb.38:
	s_lshl_b64 s[0:1], s[36:37], 2
	s_delay_alu instid0(SALU_CYCLE_1)
	s_add_nc_u64 s[0:1], s[26:27], s[0:1]
	s_wait_xcnt 0x0
	s_add_nc_u64 s[14:15], s[0:1], -4
	s_mov_b32 s0, 0
	s_branch .LBB2115_42
.LBB2115_39:
	v_lshlrev_b32_e32 v5, 5, v16
	s_clause 0x1
	flat_load_b128 v[10:13], v5, s[12:13]
	flat_load_b128 v[18:21], v5, s[12:13] offset:16
	s_wait_loadcnt_dscnt 0x101
	scratch_store_b128 off, v[10:13], off offset:144
	s_wait_loadcnt_dscnt 0x0
	scratch_store_b128 off, v[18:21], off offset:160
	s_wait_xcnt 0x0
	s_or_b32 exec_lo, exec_lo, s3
	s_and_saveexec_b32 s0, s1
	s_cbranch_execz .LBB2115_29
.LBB2115_40:
	v_lshlrev_b32_e32 v5, 5, v16
	s_clause 0x1
	flat_load_b128 v[10:13], v5, s[12:13] offset:8192
	flat_load_b128 v[18:21], v5, s[12:13] offset:8208
	s_wait_loadcnt_dscnt 0x101
	scratch_store_b128 off, v[10:13], off offset:176
	s_wait_loadcnt_dscnt 0x0
	scratch_store_b128 off, v[18:21], off offset:192
	s_wait_xcnt 0x0
	s_or_b32 exec_lo, exec_lo, s0
	s_and_saveexec_b32 s0, s2
	s_cbranch_execnz .LBB2115_30
	s_branch .LBB2115_31
.LBB2115_41:
	s_wait_xcnt 0x0
	s_add_nc_u64 s[14:15], s[14:15], -4
	s_mov_b32 s0, -1
.LBB2115_42:
	s_delay_alu instid0(SALU_CYCLE_1)
	s_and_not1_b32 vcc_lo, exec_lo, s0
.LBB2115_43:
	flat_load_b32 v3, v3, s[14:15]
	v_sub_nc_u32_e32 v4, v5, v4
	s_mov_b32 s0, exec_lo
	s_wait_dscnt 0x1
	ds_store_b32 v4, v2 offset:3072
	s_wait_loadcnt_dscnt 0x0
	s_barrier_signal -1
	s_barrier_wait -1
	v_cmpx_ne_u32_e32 0, v16
; %bb.44:
	ds_load_b32 v3, v4 offset:3068
; %bb.45:
	s_or_b32 exec_lo, exec_lo, s0
	v_lshlrev_b32_e32 v5, 5, v16
	s_wait_dscnt 0x0
	s_barrier_signal -1
	s_barrier_wait -1
	s_clause 0x1
	flat_load_b128 v[10:13], v5, s[12:13]
	flat_load_b128 v[18:21], v5, s[12:13] offset:16
	v_mad_u32_u24 v4, v16, 28, v4
	v_cmp_ne_u32_e32 vcc_lo, v0, v1
	v_cmp_ne_u32_e64 s0, v1, v2
	s_mov_b32 s3, -1
	s_wait_loadcnt_dscnt 0x101
	scratch_store_b128 off, v[10:13], off offset:144
	s_wait_loadcnt_dscnt 0x0
	scratch_store_b128 off, v[18:21], off offset:160
	s_clause 0x1
	flat_load_b128 v[22:25], v5, s[12:13] offset:8192
	flat_load_b128 v[26:29], v5, s[12:13] offset:8208
	v_lshl_add_u32 v14, v16, 6, v4
	v_cndmask_b32_e64 v1, 0, 1, vcc_lo
	v_cmp_ne_u32_e32 vcc_lo, v3, v0
	s_wait_loadcnt_dscnt 0x101
	scratch_store_b128 off, v[22:25], off offset:176
	s_wait_loadcnt_dscnt 0x0
	scratch_store_b128 off, v[26:29], off offset:192
	s_clause 0x1
	flat_load_b128 v[22:25], v5, s[12:13] offset:16384
	flat_load_b128 v[26:29], v5, s[12:13] offset:16400
	s_clause 0x1
	scratch_load_b128 v[30:33], off, s39
	scratch_load_b128 v[34:37], off, s39 offset:16
	v_cndmask_b32_e64 v0, 0, 1, vcc_lo
	s_wait_loadcnt_dscnt 0x301
	scratch_store_b128 off, v[22:25], off offset:208
	s_wait_loadcnt_dscnt 0x200
	scratch_store_b128 off, v[26:29], off offset:224
	s_clause 0x1
	scratch_load_b128 v[22:25], off, s33
	scratch_load_b128 v[26:29], off, s33 offset:16
	ds_store_b128 v4, v[10:13]
	ds_store_b128 v4, v[18:21] offset:16
	s_wait_loadcnt 0x3
	ds_store_b128 v4, v[30:33] offset:8192
	s_wait_loadcnt 0x2
	;; [unrolled: 2-line block ×4, first 2 shown]
	ds_store_b128 v4, v[26:29] offset:16400
	s_wait_storecnt_dscnt 0x0
	s_barrier_signal -1
	s_barrier_wait -1
	ds_load_b128 v[4:7], v14 offset:32
	ds_load_b128 v[10:13], v14 offset:48
	;; [unrolled: 1-line block ×4, first 2 shown]
	ds_load_b128 v[26:29], v14
	ds_load_b128 v[30:33], v14 offset:16
	s_wait_dscnt 0x5
	scratch_store_b128 off, v[4:7], s39
	s_wait_dscnt 0x4
	scratch_store_b128 off, v[10:13], s39 offset:16
	s_wait_dscnt 0x3
	scratch_store_b128 off, v[18:21], s33
	s_wait_dscnt 0x2
	scratch_store_b128 off, v[22:25], s33 offset:16
	s_wait_dscnt 0x1
	scratch_store_b128 off, v[26:29], off offset:288
	s_wait_dscnt 0x0
	scratch_store_b128 off, v[30:33], off offset:304
	s_clause 0x1
	scratch_store_b128 off, v[10:13], s11 offset:16
	scratch_store_b128 off, v[4:7], s11
	s_clause 0x1
	scratch_store_b8 off, v0, off offset:320
	scratch_store_b8 off, v1, off offset:356
.LBB2115_46:
	s_wait_xcnt 0x0
	s_and_saveexec_b32 s1, s3
	s_cbranch_execz .LBB2115_48
; %bb.47:
	s_clause 0x1
	scratch_load_b128 v[0:3], off, s33
	scratch_load_b128 v[4:7], off, s33 offset:16
	v_cndmask_b32_e64 v10, 0, 1, s0
	s_wait_loadcnt 0x1
	scratch_store_b128 off, v[0:3], s38
	s_wait_loadcnt 0x0
	scratch_store_b128 off, v[4:7], s38 offset:16
	scratch_store_b8 off, v10, off offset:392
.LBB2115_48:
	s_wait_xcnt 0x0
	s_or_b32 exec_lo, exec_lo, s1
	s_cmp_lg_u32 s30, 0
	s_mov_b32 s0, 0
	s_wait_storecnt 0x0
	s_barrier_signal -1
	s_barrier_wait -1
	s_cbranch_scc0 .LBB2115_264
; %bb.49:
	v_mov_b64_e32 v[0:1], 0
	v_mov_b32_e32 v2, 0
	scratch_store_b32 off, v2, off offset:176
.LBB2115_50:                            ; =>This Inner Loop Header: Depth=1
	s_wait_xcnt 0x0
	s_add_co_i32 s1, s0, 0x90
	s_add_co_i32 s0, s0, 8
	scratch_store_b64 off, v[0:1], s1
	s_cmp_lg_u32 s0, 32
	s_cbranch_scc1 .LBB2115_50
; %bb.51:
	s_clause 0x3
	scratch_load_u8 v10, off, off offset:356
	scratch_load_b128 v[0:3], off, off offset:288
	scratch_load_b128 v[4:7], off, off offset:304
	scratch_load_u8 v11, off, off offset:320
	s_mov_b32 s0, exec_lo
	s_wait_loadcnt 0x2
	scratch_store_b128 off, v[0:3], off offset:144
	s_wait_loadcnt 0x1
	scratch_store_b128 off, v[4:7], off offset:160
                                        ; implicit-def: $vgpr6_vgpr7
                                        ; implicit-def: $vgpr2_vgpr3
	s_wait_xcnt 0x0
	v_cmpx_ne_u16_e32 0, v10
	s_xor_b32 s0, exec_lo, s0
	s_cbranch_execz .LBB2115_53
; %bb.52:
	s_clause 0x1
	scratch_load_b128 v[0:3], off, off offset:324
	scratch_load_b128 v[4:7], off, off offset:340
.LBB2115_53:
	s_wait_xcnt 0x0
	s_and_not1_saveexec_b32 s0, s0
	s_cbranch_execz .LBB2115_59
; %bb.54:
	s_wait_loadcnt 0x1
	v_mov_b64_e32 v[0:1], 0
	s_mov_b32 s1, 0
.LBB2115_55:                            ; =>This Inner Loop Header: Depth=1
	s_wait_xcnt 0x0
	s_add_co_i32 s2, s1, 32
	s_add_co_i32 s1, s1, 8
	scratch_store_b64 off, v[0:1], s2
	s_cmp_lg_u32 s1, 32
	s_cbranch_scc1 .LBB2115_55
; %bb.56:
	s_mov_b32 s1, 0
.LBB2115_57:                            ; =>This Inner Loop Header: Depth=1
	s_wait_xcnt 0x0
	s_add_co_i32 s2, s1, 0x90
	s_add_co_i32 s3, s11, s1
	scratch_load_b64 v[0:1], off, s2
	scratch_load_b64 v[2:3], off, s3
	s_wait_xcnt 0x1
	s_add_co_i32 s2, s1, 32
	s_add_co_i32 s1, s1, 8
	s_delay_alu instid0(SALU_CYCLE_1)
	s_cmp_lg_u32 s1, 32
	s_wait_loadcnt 0x0
	v_dual_add_nc_u32 v1, v3, v1 :: v_dual_add_nc_u32 v0, v2, v0
	scratch_store_b64 off, v[0:1], s2
	s_cbranch_scc1 .LBB2115_57
; %bb.58:
	s_clause 0x1
	scratch_load_b128 v[0:3], off, off offset:32
	scratch_load_b128 v[4:7], off, off offset:48
.LBB2115_59:
	s_wait_xcnt 0x0
	s_or_b32 exec_lo, exec_lo, s0
	scratch_load_u8 v12, off, off offset:392
	s_mov_b32 s0, exec_lo
	s_wait_loadcnt 0x2
	scratch_store_b128 off, v[0:3], off offset:144
	s_wait_loadcnt 0x1
	scratch_store_b128 off, v[4:7], off offset:160
                                        ; implicit-def: $vgpr6_vgpr7
                                        ; implicit-def: $vgpr2_vgpr3
	s_wait_loadcnt 0x0
	v_cmpx_ne_u16_e32 0, v12
	s_xor_b32 s0, exec_lo, s0
	s_cbranch_execz .LBB2115_61
; %bb.60:
	s_clause 0x1
	scratch_load_b128 v[0:3], off, off offset:360
	scratch_load_b128 v[4:7], off, off offset:376
.LBB2115_61:
	s_wait_xcnt 0x0
	s_and_not1_saveexec_b32 s0, s0
	s_cbranch_execz .LBB2115_67
; %bb.62:
	s_wait_loadcnt 0x1
	v_mov_b64_e32 v[0:1], 0
	s_mov_b32 s1, 0
.LBB2115_63:                            ; =>This Inner Loop Header: Depth=1
	s_wait_xcnt 0x0
	s_add_co_i32 s2, s1, 32
	s_add_co_i32 s1, s1, 8
	scratch_store_b64 off, v[0:1], s2
	s_cmp_lg_u32 s1, 32
	s_cbranch_scc1 .LBB2115_63
; %bb.64:
	s_mov_b32 s1, 0
.LBB2115_65:                            ; =>This Inner Loop Header: Depth=1
	s_wait_xcnt 0x0
	s_add_co_i32 s2, s1, 0x90
	s_add_co_i32 s3, s38, s1
	scratch_load_b64 v[0:1], off, s2
	scratch_load_b64 v[2:3], off, s3
	s_wait_xcnt 0x1
	s_add_co_i32 s2, s1, 32
	s_add_co_i32 s1, s1, 8
	s_delay_alu instid0(SALU_CYCLE_1)
	s_cmp_lg_u32 s1, 32
	s_wait_loadcnt 0x0
	v_dual_add_nc_u32 v1, v3, v1 :: v_dual_add_nc_u32 v0, v2, v0
	scratch_store_b64 off, v[0:1], s2
	s_cbranch_scc1 .LBB2115_65
; %bb.66:
	s_clause 0x1
	scratch_load_b128 v[0:3], off, off offset:32
	scratch_load_b128 v[4:7], off, off offset:48
.LBB2115_67:
	s_wait_xcnt 0x0
	s_or_b32 exec_lo, exec_lo, s0
	s_clause 0x1
	scratch_load_u16 v13, off, off offset:177
	scratch_load_i8 v14, off, off offset:179
	v_bitop3_b16 v10, v10, 0xff, v11 bitop3:0xc8
	v_and_b32_e32 v11, 1, v12
	v_mbcnt_lo_u32_b32 v17, -1, 0
	s_wait_loadcnt 0x3
	v_mov_b32_dpp v18, v0 row_shr:1 row_mask:0xf bank_mask:0xf
	v_mov_b32_dpp v19, v1 row_shr:1 row_mask:0xf bank_mask:0xf
	v_cmp_ne_u16_e32 vcc_lo, 0, v10
	v_cmp_eq_u32_e64 s0, 1, v11
	v_mov_b32_dpp v20, v2 row_shr:1 row_mask:0xf bank_mask:0xf
	v_mov_b32_dpp v21, v3 row_shr:1 row_mask:0xf bank_mask:0xf
	s_wait_loadcnt 0x2
	v_mov_b32_dpp v22, v4 row_shr:1 row_mask:0xf bank_mask:0xf
	v_mov_b32_dpp v23, v5 row_shr:1 row_mask:0xf bank_mask:0xf
	s_or_b32 s0, vcc_lo, s0
	v_mov_b32_dpp v24, v6 row_shr:1 row_mask:0xf bank_mask:0xf
	v_cndmask_b32_e64 v10, 0, 1, s0
	v_mov_b32_dpp v25, v7 row_shr:1 row_mask:0xf bank_mask:0xf
	s_mov_b32 s0, exec_lo
	s_clause 0x1
	scratch_store_b128 off, v[0:3], off offset:240
	scratch_store_b128 off, v[4:7], off offset:256
	s_wait_loadcnt 0x1
	v_lshlrev_b16 v11, 8, v13
	s_wait_loadcnt 0x0
	v_perm_b32 v12, v13, v14, 0xc0c0005
	s_delay_alu instid0(VALU_DEP_2) | instskip(SKIP_1) | instid1(VALU_DEP_2)
	v_or_b32_e32 v10, v10, v11
	v_and_b32_e32 v11, 15, v17
	v_and_b32_e32 v13, 0xffff, v10
	s_delay_alu instid0(VALU_DEP_1) | instskip(NEXT) | instid1(VALU_DEP_1)
	v_lshl_or_b32 v12, v12, 16, v13
	v_mov_b32_dpp v13, v12 row_shr:1 row_mask:0xf bank_mask:0xf
	s_clause 0x3
	scratch_store_b32 off, v12, off offset:272
	scratch_store_b128 off, v[18:21], off offset:144
	scratch_store_b128 off, v[22:25], off offset:160
	scratch_store_b32 off, v13, off offset:176
	s_wait_xcnt 0x0
	v_cmpx_ne_u32_e32 0, v11
	s_cbranch_execz .LBB2115_75
; %bb.68:
	v_and_b32_e32 v10, 0xff, v10
	s_mov_b32 s1, exec_lo
	s_delay_alu instid0(VALU_DEP_1)
	v_cmpx_eq_u16_e32 0, v10
	s_cbranch_execz .LBB2115_74
; %bb.69:
	v_mov_b64_e32 v[0:1], 0
	s_mov_b32 s2, 0
.LBB2115_70:                            ; =>This Inner Loop Header: Depth=1
	s_wait_xcnt 0x0
	s_add_co_i32 s3, s2, 32
	s_add_co_i32 s2, s2, 8
	scratch_store_b64 off, v[0:1], s3
	s_cmp_lg_u32 s2, 32
	s_cbranch_scc1 .LBB2115_70
; %bb.71:
	s_mov_b32 s2, 0
.LBB2115_72:                            ; =>This Inner Loop Header: Depth=1
	s_wait_xcnt 0x0
	s_add_co_i32 s3, s2, 0x90
	s_add_co_i32 s12, s2, 0xf0
	scratch_load_b64 v[0:1], off, s3
	scratch_load_b64 v[2:3], off, s12
	s_wait_xcnt 0x1
	s_add_co_i32 s3, s2, 32
	s_add_co_i32 s2, s2, 8
	s_delay_alu instid0(SALU_CYCLE_1)
	s_cmp_lg_u32 s2, 32
	s_wait_loadcnt 0x0
	v_dual_add_nc_u32 v1, v3, v1 :: v_dual_add_nc_u32 v0, v2, v0
	scratch_store_b64 off, v[0:1], s3
	s_cbranch_scc1 .LBB2115_72
; %bb.73:
	s_clause 0x1
	scratch_load_b128 v[0:3], off, off offset:32
	scratch_load_b128 v[4:7], off, off offset:48
.LBB2115_74:
	s_wait_xcnt 0x0
	s_or_b32 exec_lo, exec_lo, s1
	v_or_b32_e32 v10, v13, v12
	s_delay_alu instid0(VALU_DEP_1)
	v_and_b32_e32 v10, 1, v10
	s_clause 0x1
	scratch_store_b8 off, v10, off offset:272
	scratch_load_b32 v12, off, off offset:272
	s_wait_loadcnt 0x2
	scratch_store_b128 off, v[0:3], off offset:240
	s_wait_loadcnt 0x1
	scratch_store_b128 off, v[4:7], off offset:256
	s_wait_loadcnt 0x0
	s_wait_xcnt 0x3
	v_mov_b32_e32 v10, v12
.LBB2115_75:
	s_wait_xcnt 0x0
	s_or_b32 exec_lo, exec_lo, s0
	v_mov_b32_dpp v18, v0 row_shr:2 row_mask:0xf bank_mask:0xf
	v_mov_b32_dpp v19, v1 row_shr:2 row_mask:0xf bank_mask:0xf
	;; [unrolled: 1-line block ×9, first 2 shown]
	s_mov_b32 s1, exec_lo
	s_clause 0x2
	scratch_store_b128 off, v[18:21], off offset:144
	scratch_store_b128 off, v[22:25], off offset:160
	scratch_store_b32 off, v13, off offset:176
	s_wait_xcnt 0x0
	v_cmpx_lt_u32_e32 1, v11
	s_cbranch_execz .LBB2115_83
; %bb.76:
	v_and_b32_e32 v12, 0xff, v10
	s_mov_b32 s2, 0
	s_mov_b32 s0, exec_lo
	s_delay_alu instid0(VALU_DEP_1)
	v_cmpx_eq_u16_e32 0, v12
	s_cbranch_execz .LBB2115_82
; %bb.77:
	v_mov_b64_e32 v[0:1], 0
.LBB2115_78:                            ; =>This Inner Loop Header: Depth=1
	s_wait_xcnt 0x0
	s_add_co_i32 s3, s2, 32
	s_add_co_i32 s2, s2, 8
	scratch_store_b64 off, v[0:1], s3
	s_cmp_lg_u32 s2, 32
	s_cbranch_scc1 .LBB2115_78
; %bb.79:
	s_mov_b32 s2, 0
.LBB2115_80:                            ; =>This Inner Loop Header: Depth=1
	s_wait_xcnt 0x0
	s_add_co_i32 s3, s2, 0x90
	s_add_co_i32 s12, s2, 0xf0
	scratch_load_b64 v[0:1], off, s3
	scratch_load_b64 v[2:3], off, s12
	s_wait_xcnt 0x1
	s_add_co_i32 s3, s2, 32
	s_add_co_i32 s2, s2, 8
	s_delay_alu instid0(SALU_CYCLE_1)
	s_cmp_lg_u32 s2, 32
	s_wait_loadcnt 0x0
	v_dual_add_nc_u32 v1, v3, v1 :: v_dual_add_nc_u32 v0, v2, v0
	scratch_store_b64 off, v[0:1], s3
	s_cbranch_scc1 .LBB2115_80
; %bb.81:
	s_clause 0x1
	scratch_load_b128 v[0:3], off, off offset:32
	scratch_load_b128 v[4:7], off, off offset:48
.LBB2115_82:
	s_wait_xcnt 0x0
	s_or_b32 exec_lo, exec_lo, s0
	v_and_b32_e32 v10, 1, v10
	v_and_b32_e32 v12, 1, v13
	s_delay_alu instid0(VALU_DEP_2) | instskip(NEXT) | instid1(VALU_DEP_2)
	v_cmp_eq_u32_e32 vcc_lo, 1, v10
	v_cmp_eq_u32_e64 s0, 1, v12
	s_or_b32 s0, vcc_lo, s0
	s_delay_alu instid0(SALU_CYCLE_1)
	v_cndmask_b32_e64 v10, 0, 1, s0
	s_clause 0x1
	scratch_store_b8 off, v10, off offset:272
	scratch_load_b32 v12, off, off offset:272
	s_wait_loadcnt 0x2
	scratch_store_b128 off, v[0:3], off offset:240
	s_wait_loadcnt 0x1
	scratch_store_b128 off, v[4:7], off offset:256
	s_wait_loadcnt 0x0
	s_wait_xcnt 0x3
	v_mov_b32_e32 v10, v12
.LBB2115_83:
	s_wait_xcnt 0x0
	s_or_b32 exec_lo, exec_lo, s1
	v_mov_b32_dpp v18, v0 row_shr:4 row_mask:0xf bank_mask:0xf
	v_mov_b32_dpp v19, v1 row_shr:4 row_mask:0xf bank_mask:0xf
	;; [unrolled: 1-line block ×9, first 2 shown]
	s_mov_b32 s1, exec_lo
	s_clause 0x2
	scratch_store_b128 off, v[18:21], off offset:144
	scratch_store_b128 off, v[22:25], off offset:160
	scratch_store_b32 off, v13, off offset:176
	s_wait_xcnt 0x0
	v_cmpx_lt_u32_e32 3, v11
	s_cbranch_execz .LBB2115_91
; %bb.84:
	v_and_b32_e32 v12, 0xff, v10
	s_mov_b32 s2, 0
	s_mov_b32 s0, exec_lo
	s_delay_alu instid0(VALU_DEP_1)
	v_cmpx_eq_u16_e32 0, v12
	s_cbranch_execz .LBB2115_90
; %bb.85:
	v_mov_b64_e32 v[0:1], 0
.LBB2115_86:                            ; =>This Inner Loop Header: Depth=1
	s_wait_xcnt 0x0
	s_add_co_i32 s3, s2, 32
	s_add_co_i32 s2, s2, 8
	scratch_store_b64 off, v[0:1], s3
	s_cmp_lg_u32 s2, 32
	s_cbranch_scc1 .LBB2115_86
; %bb.87:
	s_mov_b32 s2, 0
.LBB2115_88:                            ; =>This Inner Loop Header: Depth=1
	s_wait_xcnt 0x0
	s_add_co_i32 s3, s2, 0x90
	s_add_co_i32 s12, s2, 0xf0
	scratch_load_b64 v[0:1], off, s3
	scratch_load_b64 v[2:3], off, s12
	s_wait_xcnt 0x1
	s_add_co_i32 s3, s2, 32
	s_add_co_i32 s2, s2, 8
	s_delay_alu instid0(SALU_CYCLE_1)
	s_cmp_lg_u32 s2, 32
	s_wait_loadcnt 0x0
	v_dual_add_nc_u32 v1, v3, v1 :: v_dual_add_nc_u32 v0, v2, v0
	scratch_store_b64 off, v[0:1], s3
	s_cbranch_scc1 .LBB2115_88
; %bb.89:
	s_clause 0x1
	scratch_load_b128 v[0:3], off, off offset:32
	scratch_load_b128 v[4:7], off, off offset:48
.LBB2115_90:
	s_wait_xcnt 0x0
	s_or_b32 exec_lo, exec_lo, s0
	v_and_b32_e32 v10, 1, v10
	v_and_b32_e32 v12, 1, v13
	s_delay_alu instid0(VALU_DEP_2) | instskip(NEXT) | instid1(VALU_DEP_2)
	v_cmp_eq_u32_e32 vcc_lo, 1, v10
	v_cmp_eq_u32_e64 s0, 1, v12
	s_or_b32 s0, vcc_lo, s0
	s_delay_alu instid0(SALU_CYCLE_1)
	v_cndmask_b32_e64 v10, 0, 1, s0
	s_clause 0x1
	scratch_store_b8 off, v10, off offset:272
	scratch_load_b32 v12, off, off offset:272
	s_wait_loadcnt 0x2
	scratch_store_b128 off, v[0:3], off offset:240
	s_wait_loadcnt 0x1
	scratch_store_b128 off, v[4:7], off offset:256
	s_wait_loadcnt 0x0
	s_wait_xcnt 0x3
	v_mov_b32_e32 v10, v12
.LBB2115_91:
	s_wait_xcnt 0x0
	s_or_b32 exec_lo, exec_lo, s1
	v_mov_b32_dpp v18, v0 row_shr:8 row_mask:0xf bank_mask:0xf
	v_mov_b32_dpp v19, v1 row_shr:8 row_mask:0xf bank_mask:0xf
	;; [unrolled: 1-line block ×9, first 2 shown]
	s_mov_b32 s1, exec_lo
	s_clause 0x2
	scratch_store_b128 off, v[18:21], off offset:144
	scratch_store_b128 off, v[22:25], off offset:160
	scratch_store_b32 off, v13, off offset:176
	s_wait_xcnt 0x0
	v_cmpx_lt_u32_e32 7, v11
	s_cbranch_execz .LBB2115_99
; %bb.92:
	v_and_b32_e32 v11, 0xff, v10
	s_mov_b32 s2, 0
	s_mov_b32 s0, exec_lo
	s_delay_alu instid0(VALU_DEP_1)
	v_cmpx_eq_u16_e32 0, v11
	s_cbranch_execz .LBB2115_98
; %bb.93:
	v_mov_b64_e32 v[0:1], 0
.LBB2115_94:                            ; =>This Inner Loop Header: Depth=1
	s_wait_xcnt 0x0
	s_add_co_i32 s3, s2, 32
	s_add_co_i32 s2, s2, 8
	scratch_store_b64 off, v[0:1], s3
	s_cmp_lg_u32 s2, 32
	s_cbranch_scc1 .LBB2115_94
; %bb.95:
	s_mov_b32 s2, 0
.LBB2115_96:                            ; =>This Inner Loop Header: Depth=1
	s_wait_xcnt 0x0
	s_add_co_i32 s3, s2, 0x90
	s_add_co_i32 s12, s2, 0xf0
	scratch_load_b64 v[0:1], off, s3
	scratch_load_b64 v[2:3], off, s12
	s_wait_xcnt 0x1
	s_add_co_i32 s3, s2, 32
	s_add_co_i32 s2, s2, 8
	s_delay_alu instid0(SALU_CYCLE_1)
	s_cmp_lg_u32 s2, 32
	s_wait_loadcnt 0x0
	v_dual_add_nc_u32 v1, v3, v1 :: v_dual_add_nc_u32 v0, v2, v0
	scratch_store_b64 off, v[0:1], s3
	s_cbranch_scc1 .LBB2115_96
; %bb.97:
	s_clause 0x1
	scratch_load_b128 v[0:3], off, off offset:32
	scratch_load_b128 v[4:7], off, off offset:48
.LBB2115_98:
	s_wait_xcnt 0x0
	s_or_b32 exec_lo, exec_lo, s0
	v_and_b32_e32 v10, 1, v10
	v_and_b32_e32 v11, 1, v13
	s_delay_alu instid0(VALU_DEP_2) | instskip(NEXT) | instid1(VALU_DEP_2)
	v_cmp_eq_u32_e32 vcc_lo, 1, v10
	v_cmp_eq_u32_e64 s0, 1, v11
	s_or_b32 s0, vcc_lo, s0
	s_delay_alu instid0(SALU_CYCLE_1)
	v_cndmask_b32_e64 v10, 0, 1, s0
	s_clause 0x1
	scratch_store_b8 off, v10, off offset:272
	scratch_load_b32 v12, off, off offset:272
	s_wait_loadcnt 0x2
	scratch_store_b128 off, v[0:3], off offset:240
	s_wait_loadcnt 0x1
	scratch_store_b128 off, v[4:7], off offset:256
	s_wait_loadcnt 0x0
	s_wait_xcnt 0x3
	v_mov_b32_e32 v10, v12
.LBB2115_99:
	s_wait_xcnt 0x0
	s_or_b32 exec_lo, exec_lo, s1
	ds_swizzle_b32 v18, v0 offset:swizzle(BROADCAST,32,15)
	ds_swizzle_b32 v19, v1 offset:swizzle(BROADCAST,32,15)
	;; [unrolled: 1-line block ×9, first 2 shown]
	v_and_b32_e32 v12, 16, v17
	s_mov_b32 s1, exec_lo
	s_wait_dscnt 0x5
	scratch_store_b128 off, v[18:21], off offset:144
	s_wait_dscnt 0x0
	s_clause 0x1
	scratch_store_b128 off, v[22:25], off offset:160
	scratch_store_b32 off, v11, off offset:176
	s_wait_xcnt 0x0
	v_cmpx_ne_u32_e32 0, v12
	s_cbranch_execz .LBB2115_107
; %bb.100:
	v_and_b32_e32 v12, 0xff, v10
	s_mov_b32 s2, 0
	s_mov_b32 s0, exec_lo
	s_delay_alu instid0(VALU_DEP_1)
	v_cmpx_eq_u16_e32 0, v12
	s_cbranch_execz .LBB2115_106
; %bb.101:
	v_mov_b64_e32 v[0:1], 0
.LBB2115_102:                           ; =>This Inner Loop Header: Depth=1
	s_wait_xcnt 0x0
	s_add_co_i32 s3, s2, 32
	s_add_co_i32 s2, s2, 8
	scratch_store_b64 off, v[0:1], s3
	s_cmp_lg_u32 s2, 32
	s_cbranch_scc1 .LBB2115_102
; %bb.103:
	s_mov_b32 s2, 0
.LBB2115_104:                           ; =>This Inner Loop Header: Depth=1
	s_wait_xcnt 0x0
	s_add_co_i32 s3, s2, 0x90
	s_add_co_i32 s12, s2, 0xf0
	scratch_load_b64 v[0:1], off, s3
	scratch_load_b64 v[2:3], off, s12
	s_wait_xcnt 0x1
	s_add_co_i32 s3, s2, 32
	s_add_co_i32 s2, s2, 8
	s_delay_alu instid0(SALU_CYCLE_1)
	s_cmp_lg_u32 s2, 32
	s_wait_loadcnt 0x0
	v_dual_add_nc_u32 v1, v3, v1 :: v_dual_add_nc_u32 v0, v2, v0
	scratch_store_b64 off, v[0:1], s3
	s_cbranch_scc1 .LBB2115_104
; %bb.105:
	s_clause 0x1
	scratch_load_b128 v[0:3], off, off offset:32
	scratch_load_b128 v[4:7], off, off offset:48
.LBB2115_106:
	s_wait_xcnt 0x0
	s_or_b32 exec_lo, exec_lo, s0
	v_and_b32_e32 v10, 1, v10
	v_and_b32_e32 v11, 1, v11
	s_delay_alu instid0(VALU_DEP_2) | instskip(NEXT) | instid1(VALU_DEP_2)
	v_cmp_eq_u32_e32 vcc_lo, 1, v10
	v_cmp_eq_u32_e64 s0, 1, v11
	s_or_b32 s0, vcc_lo, s0
	s_delay_alu instid0(SALU_CYCLE_1)
	v_cndmask_b32_e64 v10, 0, 1, s0
	s_wait_loadcnt 0x1
	scratch_store_b128 off, v[0:3], off offset:240
	s_wait_loadcnt 0x0
	s_clause 0x1
	scratch_store_b128 off, v[4:7], off offset:256
	scratch_store_b8 off, v10, off offset:272
.LBB2115_107:
	s_wait_xcnt 0x0
	s_or_b32 exec_lo, exec_lo, s1
	v_and_b32_e32 v11, 0x3e0, v16
	s_mov_b32 s0, exec_lo
	s_delay_alu instid0(VALU_DEP_1) | instskip(NEXT) | instid1(VALU_DEP_1)
	v_min_u32_e32 v11, 0xe0, v11
	v_dual_lshrrev_b32 v11, 5, v16 :: v_dual_bitop2_b32 v12, 31, v11 bitop3:0x54
	s_delay_alu instid0(VALU_DEP_1)
	v_cmpx_eq_u32_e64 v16, v12
	s_cbranch_execz .LBB2115_109
; %bb.108:
	s_delay_alu instid0(VALU_DEP_2)
	v_mul_u32_u24_e32 v12, 36, v11
	ds_store_2addr_b32 v12, v0, v1 offset1:1
	ds_store_2addr_b32 v12, v2, v3 offset0:2 offset1:3
	ds_store_2addr_b32 v12, v4, v5 offset0:4 offset1:5
	;; [unrolled: 1-line block ×3, first 2 shown]
	ds_store_b8 v12, v10 offset:32
.LBB2115_109:
	s_or_b32 exec_lo, exec_lo, s0
	s_delay_alu instid0(SALU_CYCLE_1)
	s_mov_b32 s1, exec_lo
	s_wait_storecnt_dscnt 0x0
	s_barrier_signal -1
	s_barrier_wait -1
	v_cmpx_gt_u32_e32 8, v16
	s_cbranch_execz .LBB2115_135
; %bb.110:
	v_mul_u32_u24_e32 v10, 36, v16
	v_and_b32_e32 v13, 7, v17
	s_mov_b32 s0, exec_lo
	ds_load_b32 v12, v10 offset:32
	ds_load_2addr_b32 v[4:5], v10 offset0:4 offset1:5
	ds_load_2addr_b32 v[0:1], v10 offset1:1
	ds_load_2addr_b32 v[2:3], v10 offset0:2 offset1:3
	ds_load_2addr_b32 v[6:7], v10 offset0:6 offset1:7
	s_wait_dscnt 0x4
	v_mov_b32_dpp v14, v12 row_shr:1 row_mask:0xf bank_mask:0xf
	s_wait_dscnt 0x3
	v_mov_b32_dpp v22, v4 row_shr:1 row_mask:0xf bank_mask:0xf
	s_wait_dscnt 0x2
	v_mov_b32_dpp v18, v0 row_shr:1 row_mask:0xf bank_mask:0xf
	v_mov_b32_dpp v19, v1 row_shr:1 row_mask:0xf bank_mask:0xf
	s_wait_dscnt 0x1
	v_mov_b32_dpp v20, v2 row_shr:1 row_mask:0xf bank_mask:0xf
	v_mov_b32_dpp v21, v3 row_shr:1 row_mask:0xf bank_mask:0xf
	;; [unrolled: 1-line block ×3, first 2 shown]
	s_wait_dscnt 0x0
	v_mov_b32_dpp v24, v6 row_shr:1 row_mask:0xf bank_mask:0xf
	v_mov_b32_dpp v25, v7 row_shr:1 row_mask:0xf bank_mask:0xf
	s_clause 0x5
	scratch_store_b32 off, v12, off offset:64
	scratch_store_b128 off, v[0:3], off offset:32
	scratch_store_b128 off, v[4:7], off offset:48
	;; [unrolled: 1-line block ×4, first 2 shown]
	scratch_store_b32 off, v14, off offset:176
	s_wait_xcnt 0x0
	v_cmpx_ne_u32_e32 0, v13
	s_cbranch_execz .LBB2115_118
; %bb.111:
	v_and_b32_e32 v15, 0xff, v12
	s_mov_b32 s2, exec_lo
	s_delay_alu instid0(VALU_DEP_1)
	v_cmpx_eq_u16_e32 0, v15
	s_cbranch_execz .LBB2115_117
; %bb.112:
	v_mov_b64_e32 v[0:1], 0
	s_mov_b32 s3, 0
.LBB2115_113:                           ; =>This Inner Loop Header: Depth=1
	s_wait_xcnt 0x0
	s_add_co_i32 s12, s3, 0x44
	s_add_co_i32 s3, s3, 8
	scratch_store_b64 off, v[0:1], s12
	s_cmp_lg_u32 s3, 32
	s_cbranch_scc1 .LBB2115_113
; %bb.114:
	s_mov_b32 s3, 0
.LBB2115_115:                           ; =>This Inner Loop Header: Depth=1
	s_wait_xcnt 0x0
	s_add_co_i32 s12, s3, 0x90
	s_add_co_i32 s13, s3, 32
	scratch_load_b64 v[0:1], off, s12
	scratch_load_b64 v[2:3], off, s13
	s_wait_xcnt 0x1
	s_add_co_i32 s12, s3, 0x44
	s_add_co_i32 s3, s3, 8
	s_delay_alu instid0(SALU_CYCLE_1)
	s_cmp_lg_u32 s3, 32
	s_wait_loadcnt 0x0
	v_dual_add_nc_u32 v1, v3, v1 :: v_dual_add_nc_u32 v0, v2, v0
	scratch_store_b64 off, v[0:1], s12
	s_cbranch_scc1 .LBB2115_115
; %bb.116:
	s_clause 0x1
	scratch_load_b128 v[0:3], off, off offset:68
	scratch_load_b128 v[4:7], off, off offset:84
.LBB2115_117:
	s_wait_xcnt 0x0
	s_or_b32 exec_lo, exec_lo, s2
	v_or_b32_e32 v12, v14, v12
	s_delay_alu instid0(VALU_DEP_1)
	v_and_b32_e32 v12, 1, v12
	s_clause 0x1
	scratch_store_b8 off, v12, off offset:64
	scratch_load_b32 v12, off, off offset:64
	s_wait_loadcnt 0x2
	scratch_store_b128 off, v[0:3], off offset:32
	s_wait_loadcnt 0x1
	scratch_store_b128 off, v[4:7], off offset:48
.LBB2115_118:
	s_wait_xcnt 0x0
	s_or_b32 exec_lo, exec_lo, s0
	v_mov_b32_dpp v18, v0 row_shr:2 row_mask:0xf bank_mask:0xf
	v_mov_b32_dpp v19, v1 row_shr:2 row_mask:0xf bank_mask:0xf
	;; [unrolled: 1-line block ×4, first 2 shown]
	s_wait_loadcnt 0x0
	v_mov_b32_dpp v14, v12 row_shr:2 row_mask:0xf bank_mask:0xf
	v_mov_b32_dpp v22, v4 row_shr:2 row_mask:0xf bank_mask:0xf
	;; [unrolled: 1-line block ×5, first 2 shown]
	s_mov_b32 s2, exec_lo
	s_clause 0x2
	scratch_store_b128 off, v[18:21], off offset:144
	scratch_store_b128 off, v[22:25], off offset:160
	scratch_store_b32 off, v14, off offset:176
	s_wait_xcnt 0x0
	v_cmpx_lt_u32_e32 1, v13
	s_cbranch_execz .LBB2115_126
; %bb.119:
	v_and_b32_e32 v15, 0xff, v12
	s_mov_b32 s3, 0
	s_mov_b32 s0, exec_lo
	s_delay_alu instid0(VALU_DEP_1)
	v_cmpx_eq_u16_e32 0, v15
	s_cbranch_execz .LBB2115_125
; %bb.120:
	v_mov_b64_e32 v[0:1], 0
.LBB2115_121:                           ; =>This Inner Loop Header: Depth=1
	s_wait_xcnt 0x0
	s_add_co_i32 s12, s3, 0x44
	s_add_co_i32 s3, s3, 8
	scratch_store_b64 off, v[0:1], s12
	s_cmp_lg_u32 s3, 32
	s_cbranch_scc1 .LBB2115_121
; %bb.122:
	s_mov_b32 s3, 0
.LBB2115_123:                           ; =>This Inner Loop Header: Depth=1
	s_wait_xcnt 0x0
	s_add_co_i32 s12, s3, 0x90
	s_add_co_i32 s13, s3, 32
	scratch_load_b64 v[0:1], off, s12
	scratch_load_b64 v[2:3], off, s13
	s_wait_xcnt 0x1
	s_add_co_i32 s12, s3, 0x44
	s_add_co_i32 s3, s3, 8
	s_delay_alu instid0(SALU_CYCLE_1)
	s_cmp_lg_u32 s3, 32
	s_wait_loadcnt 0x0
	v_dual_add_nc_u32 v1, v3, v1 :: v_dual_add_nc_u32 v0, v2, v0
	scratch_store_b64 off, v[0:1], s12
	s_cbranch_scc1 .LBB2115_123
; %bb.124:
	s_clause 0x1
	scratch_load_b128 v[0:3], off, off offset:68
	scratch_load_b128 v[4:7], off, off offset:84
.LBB2115_125:
	s_wait_xcnt 0x0
	s_or_b32 exec_lo, exec_lo, s0
	v_and_b32_e32 v12, 1, v12
	v_and_b32_e32 v14, 1, v14
	s_delay_alu instid0(VALU_DEP_2) | instskip(NEXT) | instid1(VALU_DEP_2)
	v_cmp_eq_u32_e32 vcc_lo, 1, v12
	v_cmp_eq_u32_e64 s0, 1, v14
	s_or_b32 s0, vcc_lo, s0
	s_delay_alu instid0(SALU_CYCLE_1)
	v_cndmask_b32_e64 v12, 0, 1, s0
	s_clause 0x1
	scratch_store_b8 off, v12, off offset:64
	scratch_load_b32 v12, off, off offset:64
	s_wait_loadcnt 0x2
	scratch_store_b128 off, v[0:3], off offset:32
	s_wait_loadcnt 0x1
	scratch_store_b128 off, v[4:7], off offset:48
.LBB2115_126:
	s_wait_xcnt 0x0
	s_or_b32 exec_lo, exec_lo, s2
	v_mov_b32_dpp v18, v0 row_shr:4 row_mask:0xf bank_mask:0xf
	v_mov_b32_dpp v19, v1 row_shr:4 row_mask:0xf bank_mask:0xf
	v_mov_b32_dpp v20, v2 row_shr:4 row_mask:0xf bank_mask:0xf
	v_mov_b32_dpp v21, v3 row_shr:4 row_mask:0xf bank_mask:0xf
	s_wait_loadcnt 0x0
	v_mov_b32_dpp v14, v12 row_shr:4 row_mask:0xf bank_mask:0xf
	v_mov_b32_dpp v22, v4 row_shr:4 row_mask:0xf bank_mask:0xf
	;; [unrolled: 1-line block ×5, first 2 shown]
	s_mov_b32 s2, exec_lo
	s_clause 0x2
	scratch_store_b128 off, v[18:21], off offset:144
	scratch_store_b128 off, v[22:25], off offset:160
	scratch_store_b32 off, v14, off offset:176
	s_wait_xcnt 0x0
	v_cmpx_lt_u32_e32 3, v13
	s_cbranch_execz .LBB2115_134
; %bb.127:
	v_and_b32_e32 v13, 0xff, v12
	s_mov_b32 s3, 0
	s_mov_b32 s0, exec_lo
	s_delay_alu instid0(VALU_DEP_1)
	v_cmpx_eq_u16_e32 0, v13
	s_cbranch_execz .LBB2115_133
; %bb.128:
	v_mov_b64_e32 v[0:1], 0
.LBB2115_129:                           ; =>This Inner Loop Header: Depth=1
	s_wait_xcnt 0x0
	s_add_co_i32 s12, s3, 0x44
	s_add_co_i32 s3, s3, 8
	scratch_store_b64 off, v[0:1], s12
	s_cmp_lg_u32 s3, 32
	s_cbranch_scc1 .LBB2115_129
; %bb.130:
	s_mov_b32 s3, 0
.LBB2115_131:                           ; =>This Inner Loop Header: Depth=1
	s_wait_xcnt 0x0
	s_add_co_i32 s12, s3, 0x90
	s_add_co_i32 s13, s3, 32
	scratch_load_b64 v[0:1], off, s12
	scratch_load_b64 v[2:3], off, s13
	s_wait_xcnt 0x1
	s_add_co_i32 s12, s3, 0x44
	s_add_co_i32 s3, s3, 8
	s_delay_alu instid0(SALU_CYCLE_1)
	s_cmp_lg_u32 s3, 32
	s_wait_loadcnt 0x0
	v_dual_add_nc_u32 v1, v3, v1 :: v_dual_add_nc_u32 v0, v2, v0
	scratch_store_b64 off, v[0:1], s12
	s_cbranch_scc1 .LBB2115_131
; %bb.132:
	s_clause 0x1
	scratch_load_b128 v[0:3], off, off offset:68
	scratch_load_b128 v[4:7], off, off offset:84
.LBB2115_133:
	s_wait_xcnt 0x0
	s_or_b32 exec_lo, exec_lo, s0
	v_and_b32_e32 v12, 1, v12
	v_and_b32_e32 v13, 1, v14
	s_wait_loadcnt 0x1
	scratch_store_b128 off, v[0:3], off offset:32
	s_wait_loadcnt 0x0
	scratch_store_b128 off, v[4:7], off offset:48
	v_cmp_eq_u32_e32 vcc_lo, 1, v12
	v_cmp_eq_u32_e64 s0, 1, v13
	s_or_b32 s0, vcc_lo, s0
	s_delay_alu instid0(SALU_CYCLE_1)
	v_cndmask_b32_e64 v12, 0, 1, s0
.LBB2115_134:
	s_wait_xcnt 0x0
	s_or_b32 exec_lo, exec_lo, s2
	s_clause 0x1
	scratch_load_b128 v[0:3], off, off offset:32
	scratch_load_b128 v[4:7], off, off offset:48
	s_wait_loadcnt 0x1
	ds_store_2addr_b32 v10, v2, v3 offset0:2 offset1:3
	ds_store_2addr_b32 v10, v0, v1 offset1:1
	s_wait_loadcnt 0x0
	ds_store_2addr_b32 v10, v6, v7 offset0:6 offset1:7
	ds_store_2addr_b32 v10, v4, v5 offset0:4 offset1:5
	ds_store_b8 v10, v12 offset:32
.LBB2115_135:
	s_wait_xcnt 0x0
	s_or_b32 exec_lo, exec_lo, s1
	s_mov_b32 s0, 0
	v_mov_b64_e32 v[0:1], 0
	s_mov_b32 s2, s0
	s_mov_b32 s3, s0
	;; [unrolled: 1-line block ×3, first 2 shown]
	v_mov_b64_e32 v[4:5], s[2:3]
	v_mov_b64_e32 v[2:3], s[0:1]
	v_mov_b32_e32 v6, 0
	s_wait_storecnt_dscnt 0x0
	s_barrier_signal -1
	s_barrier_wait -1
	s_clause 0x2
	scratch_store_b32 off, v6, off offset:176
	scratch_store_b128 off, v[2:5], off offset:160
	scratch_store_b128 off, v[2:5], off offset:144
.LBB2115_136:                           ; =>This Inner Loop Header: Depth=1
	s_wait_xcnt 0x0
	s_add_co_i32 s1, s0, 0x90
	s_add_co_i32 s0, s0, 8
	scratch_store_b64 off, v[0:1], s1
	s_cmp_lg_u32 s0, 32
	s_cbranch_scc1 .LBB2115_136
; %bb.137:
	s_wait_xcnt 0x0
	s_mov_b32 s1, exec_lo
	v_cmp_gt_u32_e32 vcc_lo, 32, v16
                                        ; implicit-def: $vgpr0_vgpr1
                                        ; implicit-def: $vgpr4_vgpr5
                                        ; implicit-def: $vgpr10
	v_cmpx_lt_u32_e32 31, v16
	s_xor_b32 s1, exec_lo, s1
	s_cbranch_execz .LBB2115_147
; %bb.138:
	scratch_load_u8 v12, off, off offset:272
	v_mad_u32_u24 v6, v11, 36, 0xffffffdc
	v_mad_u32_u24 v10, v11, 36, -4
	ds_load_2addr_b32 v[2:3], v6 offset0:2 offset1:3
	ds_load_2addr_b32 v[4:5], v6 offset0:4 offset1:5
	ds_load_2addr_b32 v[0:1], v6 offset1:1
	ds_load_2addr_b32 v[6:7], v6 offset0:6 offset1:7
	ds_load_u8 v10, v10
	s_wait_dscnt 0x2
	scratch_store_b128 off, v[0:3], off offset:144
	s_wait_dscnt 0x1
	scratch_store_b128 off, v[4:7], off offset:160
                                        ; implicit-def: $vgpr0_vgpr1
                                        ; implicit-def: $vgpr4_vgpr5
	s_wait_loadcnt 0x0
	v_cmp_ne_u16_e64 s0, 0, v12
	s_wait_xcnt 0x0
	s_and_saveexec_b32 s2, s0
	s_delay_alu instid0(SALU_CYCLE_1)
	s_xor_b32 s0, exec_lo, s2
	s_cbranch_execz .LBB2115_140
; %bb.139:
	s_clause 0x1
	scratch_load_b128 v[0:3], off, off offset:240
	scratch_load_b128 v[4:7], off, off offset:256
.LBB2115_140:
	s_wait_xcnt 0x0
	s_and_not1_saveexec_b32 s0, s0
	s_cbranch_execz .LBB2115_146
; %bb.141:
	s_wait_loadcnt 0x1
	v_mov_b64_e32 v[0:1], 0
	s_mov_b32 s2, 0
.LBB2115_142:                           ; =>This Inner Loop Header: Depth=1
	s_wait_xcnt 0x0
	s_add_co_i32 s3, s2, 32
	s_add_co_i32 s2, s2, 8
	scratch_store_b64 off, v[0:1], s3
	s_cmp_lg_u32 s2, 32
	s_cbranch_scc1 .LBB2115_142
; %bb.143:
	s_mov_b32 s2, 0
.LBB2115_144:                           ; =>This Inner Loop Header: Depth=1
	s_wait_xcnt 0x0
	s_add_co_i32 s3, s2, 0x90
	s_add_co_i32 s12, s2, 0xf0
	scratch_load_b64 v[0:1], off, s3
	scratch_load_b64 v[2:3], off, s12
	s_wait_xcnt 0x1
	s_add_co_i32 s3, s2, 32
	s_add_co_i32 s2, s2, 8
	s_delay_alu instid0(SALU_CYCLE_1)
	s_cmp_lg_u32 s2, 32
	s_wait_loadcnt 0x0
	v_dual_add_nc_u32 v1, v3, v1 :: v_dual_add_nc_u32 v0, v2, v0
	scratch_store_b64 off, v[0:1], s3
	s_cbranch_scc1 .LBB2115_144
; %bb.145:
	s_clause 0x1
	scratch_load_b128 v[0:3], off, off offset:32
	scratch_load_b128 v[4:7], off, off offset:48
.LBB2115_146:
	s_wait_xcnt 0x0
	s_or_b32 exec_lo, exec_lo, s0
	s_wait_dscnt 0x0
	v_or_b32_e32 v11, v12, v10
	scratch_store_b8 off, v11, off offset:272
.LBB2115_147:
	s_wait_xcnt 0x0
	s_and_not1_saveexec_b32 s0, s1
	s_cbranch_execz .LBB2115_149
; %bb.148:
	s_wait_loadcnt 0x1
	scratch_load_b128 v[0:3], off, off offset:240
	s_wait_loadcnt 0x1
	scratch_load_b128 v[4:7], off, off offset:256
	v_mov_b32_e32 v10, 0
.LBB2115_149:
	s_wait_xcnt 0x0
	s_or_b32 exec_lo, exec_lo, s0
	scratch_load_b32 v11, off, off offset:272
	v_sub_co_u32 v12, s26, v17, 1
	s_delay_alu instid0(VALU_DEP_1) | instskip(NEXT) | instid1(VALU_DEP_1)
	v_cmp_gt_i32_e64 s0, 0, v12
	v_cndmask_b32_e64 v12, v12, v17, s0
	s_delay_alu instid0(VALU_DEP_1)
	v_lshlrev_b32_e32 v12, 2, v12
	s_wait_loadcnt 0x2
	ds_bpermute_b32 v0, v12, v0
	ds_bpermute_b32 v1, v12, v1
	;; [unrolled: 1-line block ×4, first 2 shown]
	s_wait_loadcnt 0x1
	ds_bpermute_b32 v4, v12, v4
	ds_bpermute_b32 v5, v12, v5
	;; [unrolled: 1-line block ×4, first 2 shown]
	s_wait_loadcnt 0x0
	ds_bpermute_b32 v11, v12, v11
	s_wait_dscnt 0x5
	scratch_store_b128 off, v[0:3], off offset:240
	s_wait_dscnt 0x1
	scratch_store_b128 off, v[4:7], off offset:256
	s_wait_dscnt 0x0
	scratch_store_b8 off, v11, off offset:272
	v_and_b32_e32 v12, 1, v11
	s_delay_alu instid0(VALU_DEP_1)
	v_cmp_eq_u32_e64 s20, 1, v12
	s_wait_xcnt 0x0
	s_and_saveexec_b32 s1, s26
	s_cbranch_execz .LBB2115_151
; %bb.150:
	s_clause 0x1
	scratch_load_b128 v[0:3], off, off offset:144
	scratch_load_b128 v[4:7], off, off offset:160
	v_and_b32_e32 v11, 1, v10
	s_and_not1_b32 s2, s20, exec_lo
	s_wait_loadcnt 0x1
	scratch_store_b128 off, v[0:3], off offset:240
	s_wait_loadcnt 0x0
	s_clause 0x1
	scratch_store_b128 off, v[4:7], off offset:256
	scratch_store_b8 off, v10, off offset:272
	v_cmp_eq_u32_e64 s0, 1, v11
	s_and_b32 s0, s0, exec_lo
	s_delay_alu instid0(SALU_CYCLE_1)
	s_or_b32 s20, s2, s0
.LBB2115_151:
	s_wait_xcnt 0x0
	s_or_b32 exec_lo, exec_lo, s1
	s_and_saveexec_b32 s21, vcc_lo
	s_cbranch_execz .LBB2115_275
; %bb.152:
	v_mov_b32_e32 v10, 0
	ds_load_2addr_b32 v[0:1], v10 offset0:63 offset1:64
	ds_load_2addr_b32 v[2:3], v10 offset0:65 offset1:66
	;; [unrolled: 1-line block ×4, first 2 shown]
	ds_load_b32 v22, v10 offset:284
	s_wait_dscnt 0x3
	scratch_store_b128 off, v[0:3], off offset:104
	s_wait_dscnt 0x1
	scratch_store_b128 off, v[4:7], off offset:120
	s_wait_dscnt 0x0
	scratch_store_b32 off, v22, off offset:136
	s_wait_xcnt 0x0
	s_and_saveexec_b32 s0, s26
	s_cbranch_execz .LBB2115_154
; %bb.153:
	s_add_co_i32 s2, s30, 32
	s_mov_b32 s3, 0
	v_dual_mov_b32 v11, 1 :: v_dual_mov_b32 v12, s2
	s_mul_u64 s[12:13], s[2:3], 36
	s_delay_alu instid0(SALU_CYCLE_1)
	s_add_nc_u64 s[12:13], s[4:5], s[12:13]
	s_clause 0x2
	global_store_b128 v10, v[0:3], s[12:13]
	global_store_b128 v10, v[4:7], s[12:13] offset:16
	global_store_b8 v10, v22, s[12:13] offset:32
	global_wb scope:SCOPE_DEV
	s_wait_storecnt 0x0
	global_inv scope:SCOPE_DEV
	s_wait_xcnt 0x0
	global_store_b8 v12, v11, s[8:9] scope:SCOPE_DEV
.LBB2115_154:
	s_wait_xcnt 0x0
	s_or_b32 exec_lo, exec_lo, s0
	s_lshr_b32 s0, s34, 16
	s_delay_alu instid0(SALU_CYCLE_1) | instskip(NEXT) | instid1(SALU_CYCLE_1)
	s_mul_i32 s0, s0, s35
	v_mul_lo_u32 v11, s0, v16
	s_mov_b32 s0, 0
	s_delay_alu instid0(VALU_DEP_1) | instskip(NEXT) | instid1(VALU_DEP_1)
	v_add3_u32 v8, v11, v9, v8
	v_mul_lo_u32 v8, v8, 36
	s_delay_alu instid0(VALU_DEP_1)
	v_add_nc_u32_e32 v9, 0x6008, v8
	v_add_nc_u32_e32 v23, 0x6000, v8
	;; [unrolled: 1-line block ×4, first 2 shown]
	ds_store_2addr_b32 v9, v10, v10 offset1:1
	ds_store_2addr_b32 v23, v10, v10 offset1:1
	;; [unrolled: 1-line block ×4, first 2 shown]
	ds_store_b32 v8, v10 offset:24608
.LBB2115_155:                           ; =>This Inner Loop Header: Depth=1
	v_add_nc_u32_e32 v8, s0, v23
	s_add_co_i32 s0, s0, 8
	s_delay_alu instid0(SALU_CYCLE_1)
	s_cmp_lg_u32 s0, 32
	ds_store_2addr_b32 v8, v10, v10 offset1:1
	s_cbranch_scc1 .LBB2115_155
; %bb.156:
	s_mov_b32 s0, 0
	v_mov_b64_e32 v[8:9], 0
	s_mov_b32 s2, s0
	s_mov_b32 s3, s0
	;; [unrolled: 1-line block ×3, first 2 shown]
	v_mov_b64_e32 v[12:13], s[2:3]
	v_mov_b64_e32 v[10:11], s[0:1]
	v_mov_b32_e32 v14, 0
	ds_store_b8 v23, v14 offset:32
	s_clause 0x2
	scratch_store_b32 off, v14, off offset:64
	scratch_store_b128 off, v[10:13], off offset:48
	scratch_store_b128 off, v[10:13], off offset:32
.LBB2115_157:                           ; =>This Inner Loop Header: Depth=1
	s_wait_xcnt 0x0
	s_add_co_i32 s1, s0, 32
	s_add_co_i32 s0, s0, 8
	scratch_store_b64 off, v[8:9], s1
	s_cmp_lg_u32 s0, 32
	s_cbranch_scc1 .LBB2115_157
; %bb.158:
	v_xad_u32 v18, v17, -1, s30
	s_wait_xcnt 0x0
	v_mov_b32_e32 v9, 0
	s_mov_b32 s0, exec_lo
	s_delay_alu instid0(VALU_DEP_2)
	v_add_nc_u32_e32 v8, 32, v18
	scratch_store_b8 off, v9, off offset:64
	global_load_u8 v24, v8, s[8:9] scope:SCOPE_DEV
	s_wait_loadcnt 0x0
	v_cmpx_eq_u16_e32 0, v24
	s_cbranch_execz .LBB2115_162
; %bb.159:
	v_add_nc_u64_e32 v[10:11], s[8:9], v[8:9]
	s_mov_b32 s1, 0
.LBB2115_160:                           ; =>This Inner Loop Header: Depth=1
	global_load_u8 v24, v[10:11], off scope:SCOPE_DEV
	s_wait_loadcnt 0x0
	v_cmp_ne_u16_e32 vcc_lo, 0, v24
	s_or_b32 s1, vcc_lo, s1
	s_wait_xcnt 0x0
	s_and_not1_b32 exec_lo, exec_lo, s1
	s_cbranch_execnz .LBB2115_160
; %bb.161:
	s_or_b32 exec_lo, exec_lo, s1
.LBB2115_162:
	s_delay_alu instid0(SALU_CYCLE_1)
	s_or_b32 exec_lo, exec_lo, s0
	v_dual_mov_b32 v9, s5 :: v_dual_mov_b32 v10, s4
	v_cmp_eq_u16_e32 vcc_lo, 1, v24
	global_wb scope:SCOPE_DEV
	s_wait_storecnt_dscnt 0x0
	global_inv scope:SCOPE_DEV
	s_mov_b32 s0, 0
	v_dual_mov_b32 v25, 0 :: v_dual_cndmask_b32 v11, s7, v9, vcc_lo
	v_cndmask_b32_e32 v10, s6, v10, vcc_lo
	s_delay_alu instid0(VALU_DEP_1)
	v_mad_nc_u64_u32 v[20:21], v8, 36, v[10:11]
	s_clause 0x2
	global_load_b128 v[8:11], v[20:21], off
	global_load_b128 v[12:15], v[20:21], off offset:16
	global_load_u8 v19, v[20:21], off offset:32
	s_wait_xcnt 0x0
	v_mov_b64_e32 v[20:21], 0
	s_wait_loadcnt 0x2
	scratch_store_b128 off, v[8:11], off offset:32
	s_wait_loadcnt 0x1
	scratch_store_b128 off, v[12:15], off offset:48
	s_wait_loadcnt 0x0
	scratch_store_b8 off, v19, off offset:64
	ds_store_2addr_b32 v23, v8, v9 offset1:1
	ds_store_2addr_b32 v23, v10, v11 offset0:2 offset1:3
	ds_store_2addr_b32 v23, v12, v13 offset0:4 offset1:5
	;; [unrolled: 1-line block ×3, first 2 shown]
	ds_store_b8 v23, v19 offset:32
	scratch_store_b32 off, v25, off offset:176
.LBB2115_163:                           ; =>This Inner Loop Header: Depth=1
	s_wait_xcnt 0x0
	s_add_co_i32 s1, s0, 0x90
	s_add_co_i32 s0, s0, 8
	scratch_store_b64 off, v[20:21], s1
	s_cmp_lg_u32 s0, 32
	s_cbranch_scc1 .LBB2115_163
; %bb.164:
	s_wait_xcnt 0x2
	ds_load_b32 v19, v23 offset:32
	v_cmp_ne_u32_e32 vcc_lo, 31, v17
	v_lshlrev_b32_e64 v26, v17, -1
	s_mov_b32 s0, exec_lo
	s_wait_xcnt 0x0
	v_add_co_ci_u32_e64 v20, null, 0, v17, vcc_lo
	v_cmp_eq_u16_e32 vcc_lo, 2, v24
	s_delay_alu instid0(VALU_DEP_2)
	v_lshlrev_b32_e32 v25, 2, v20
	v_and_or_b32 v20, vcc_lo, v26, 0x80000000
	ds_bpermute_b32 v28, v25, v8
	ds_bpermute_b32 v29, v25, v9
	;; [unrolled: 1-line block ×4, first 2 shown]
	s_wait_dscnt 0x4
	ds_bpermute_b32 v21, v25, v19
	ds_bpermute_b32 v32, v25, v12
	;; [unrolled: 1-line block ×5, first 2 shown]
	v_ctz_i32_b32_e32 v20, v20
	s_wait_dscnt 0x5
	scratch_store_b128 off, v[28:31], off offset:144
	s_wait_dscnt 0x0
	scratch_store_b128 off, v[32:35], off offset:160
	s_wait_xcnt 0x0
	v_cmpx_lt_u32_e64 v17, v20
	s_cbranch_execz .LBB2115_172
; %bb.165:
	v_and_b32_e32 v27, 0xff, v19
	s_mov_b32 s1, exec_lo
	s_delay_alu instid0(VALU_DEP_1)
	v_cmpx_eq_u16_e32 0, v27
	s_cbranch_execz .LBB2115_171
; %bb.166:
	v_mov_b64_e32 v[8:9], 0
	s_mov_b32 s2, 0
.LBB2115_167:                           ; =>This Inner Loop Header: Depth=1
	s_wait_xcnt 0x0
	s_add_co_i32 s3, s2, 0x44
	s_add_co_i32 s2, s2, 8
	scratch_store_b64 off, v[8:9], s3
	s_cmp_lg_u32 s2, 32
	s_cbranch_scc1 .LBB2115_167
; %bb.168:
	s_mov_b32 s2, 0
.LBB2115_169:                           ; =>This Inner Loop Header: Depth=1
	s_wait_xcnt 0x0
	s_add_co_i32 s3, s2, 0x90
	scratch_load_b64 v[8:9], off, s3
	v_add_nc_u32_e32 v10, s2, v23
	s_wait_xcnt 0x0
	s_add_co_i32 s3, s2, 0x44
	s_add_co_i32 s2, s2, 8
	s_delay_alu instid0(SALU_CYCLE_1)
	s_cmp_lg_u32 s2, 32
	ds_load_2addr_b32 v[10:11], v10 offset1:1
	s_wait_loadcnt_dscnt 0x0
	v_dual_add_nc_u32 v9, v11, v9 :: v_dual_add_nc_u32 v8, v10, v8
	scratch_store_b64 off, v[8:9], s3
	s_cbranch_scc1 .LBB2115_169
; %bb.170:
	s_clause 0x1
	scratch_load_b128 v[8:11], off, off offset:68
	scratch_load_b128 v[12:15], off, off offset:84
.LBB2115_171:
	s_wait_xcnt 0x0
	s_or_b32 exec_lo, exec_lo, s1
	v_or_b32_e32 v19, v21, v19
	s_delay_alu instid0(VALU_DEP_1)
	v_and_b32_e32 v19, 1, v19
	ds_store_b8 v23, v19 offset:32
	ds_load_b32 v19, v23 offset:32
	s_wait_loadcnt 0x1
	ds_store_2addr_b32 v23, v8, v9 offset1:1
	ds_store_2addr_b32 v23, v10, v11 offset0:2 offset1:3
	s_wait_loadcnt 0x0
	ds_store_2addr_b32 v23, v12, v13 offset0:4 offset1:5
	ds_store_2addr_b32 v23, v14, v15 offset0:6 offset1:7
.LBB2115_172:
	s_or_b32 exec_lo, exec_lo, s0
	v_cmp_gt_u32_e32 vcc_lo, 30, v17
	v_add_nc_u32_e32 v28, 2, v17
	s_mov_b32 s1, exec_lo
	v_cndmask_b32_e64 v21, 0, 2, vcc_lo
	s_delay_alu instid0(VALU_DEP_1)
	v_add_lshl_u32 v27, v21, v17, 2
	ds_bpermute_b32 v30, v27, v8
	ds_bpermute_b32 v31, v27, v9
	;; [unrolled: 1-line block ×4, first 2 shown]
	s_wait_dscnt 0x8
	ds_bpermute_b32 v21, v27, v19
	ds_bpermute_b32 v34, v27, v12
	;; [unrolled: 1-line block ×5, first 2 shown]
	s_wait_dscnt 0x5
	scratch_store_b128 off, v[30:33], off offset:144
	s_wait_dscnt 0x0
	scratch_store_b128 off, v[34:37], off offset:160
	s_wait_xcnt 0x0
	v_cmpx_le_u32_e64 v28, v20
	s_cbranch_execz .LBB2115_180
; %bb.173:
	v_and_b32_e32 v29, 0xff, v19
	s_mov_b32 s0, exec_lo
	s_delay_alu instid0(VALU_DEP_1)
	v_cmpx_eq_u16_e32 0, v29
	s_cbranch_execz .LBB2115_179
; %bb.174:
	v_mov_b64_e32 v[8:9], 0
	s_mov_b32 s2, 0
.LBB2115_175:                           ; =>This Inner Loop Header: Depth=1
	s_wait_xcnt 0x0
	s_add_co_i32 s3, s2, 0x44
	s_add_co_i32 s2, s2, 8
	scratch_store_b64 off, v[8:9], s3
	s_cmp_lg_u32 s2, 32
	s_cbranch_scc1 .LBB2115_175
; %bb.176:
	s_mov_b32 s2, 0
.LBB2115_177:                           ; =>This Inner Loop Header: Depth=1
	s_wait_xcnt 0x0
	s_add_co_i32 s3, s2, 0x90
	scratch_load_b64 v[8:9], off, s3
	v_add_nc_u32_e32 v10, s2, v23
	s_wait_xcnt 0x0
	s_add_co_i32 s3, s2, 0x44
	s_add_co_i32 s2, s2, 8
	s_delay_alu instid0(SALU_CYCLE_1)
	s_cmp_lg_u32 s2, 32
	ds_load_2addr_b32 v[10:11], v10 offset1:1
	s_wait_loadcnt_dscnt 0x0
	v_dual_add_nc_u32 v9, v11, v9 :: v_dual_add_nc_u32 v8, v10, v8
	scratch_store_b64 off, v[8:9], s3
	s_cbranch_scc1 .LBB2115_177
; %bb.178:
	s_clause 0x1
	scratch_load_b128 v[8:11], off, off offset:68
	scratch_load_b128 v[12:15], off, off offset:84
.LBB2115_179:
	s_wait_xcnt 0x0
	s_or_b32 exec_lo, exec_lo, s0
	v_and_b32_e32 v19, 1, v19
	v_and_b32_e32 v21, 1, v21
	s_delay_alu instid0(VALU_DEP_2) | instskip(NEXT) | instid1(VALU_DEP_2)
	v_cmp_eq_u32_e32 vcc_lo, 1, v19
	v_cmp_eq_u32_e64 s0, 1, v21
	s_or_b32 s0, vcc_lo, s0
	s_delay_alu instid0(SALU_CYCLE_1)
	v_cndmask_b32_e64 v19, 0, 1, s0
	ds_store_b8 v23, v19 offset:32
	ds_load_b32 v19, v23 offset:32
	s_wait_loadcnt 0x1
	ds_store_2addr_b32 v23, v8, v9 offset1:1
	ds_store_2addr_b32 v23, v10, v11 offset0:2 offset1:3
	s_wait_loadcnt 0x0
	ds_store_2addr_b32 v23, v12, v13 offset0:4 offset1:5
	ds_store_2addr_b32 v23, v14, v15 offset0:6 offset1:7
.LBB2115_180:
	s_or_b32 exec_lo, exec_lo, s1
	v_cmp_gt_u32_e32 vcc_lo, 28, v17
	v_add_nc_u32_e32 v30, 4, v17
	s_mov_b32 s1, exec_lo
	v_cndmask_b32_e64 v21, 0, 4, vcc_lo
	s_delay_alu instid0(VALU_DEP_1)
	v_add_lshl_u32 v29, v21, v17, 2
	ds_bpermute_b32 v32, v29, v8
	ds_bpermute_b32 v33, v29, v9
	;; [unrolled: 1-line block ×4, first 2 shown]
	s_wait_dscnt 0x8
	ds_bpermute_b32 v21, v29, v19
	ds_bpermute_b32 v36, v29, v12
	;; [unrolled: 1-line block ×5, first 2 shown]
	s_wait_dscnt 0x5
	scratch_store_b128 off, v[32:35], off offset:144
	s_wait_dscnt 0x0
	scratch_store_b128 off, v[36:39], off offset:160
	s_wait_xcnt 0x0
	v_cmpx_le_u32_e64 v30, v20
	s_cbranch_execz .LBB2115_188
; %bb.181:
	v_and_b32_e32 v31, 0xff, v19
	s_mov_b32 s0, exec_lo
	s_delay_alu instid0(VALU_DEP_1)
	v_cmpx_eq_u16_e32 0, v31
	s_cbranch_execz .LBB2115_187
; %bb.182:
	v_mov_b64_e32 v[8:9], 0
	s_mov_b32 s2, 0
.LBB2115_183:                           ; =>This Inner Loop Header: Depth=1
	s_wait_xcnt 0x0
	s_add_co_i32 s3, s2, 0x44
	s_add_co_i32 s2, s2, 8
	scratch_store_b64 off, v[8:9], s3
	s_cmp_lg_u32 s2, 32
	s_cbranch_scc1 .LBB2115_183
; %bb.184:
	s_mov_b32 s2, 0
.LBB2115_185:                           ; =>This Inner Loop Header: Depth=1
	s_wait_xcnt 0x0
	s_add_co_i32 s3, s2, 0x90
	scratch_load_b64 v[8:9], off, s3
	v_add_nc_u32_e32 v10, s2, v23
	s_wait_xcnt 0x0
	s_add_co_i32 s3, s2, 0x44
	s_add_co_i32 s2, s2, 8
	s_delay_alu instid0(SALU_CYCLE_1)
	s_cmp_lg_u32 s2, 32
	ds_load_2addr_b32 v[10:11], v10 offset1:1
	s_wait_loadcnt_dscnt 0x0
	v_dual_add_nc_u32 v9, v11, v9 :: v_dual_add_nc_u32 v8, v10, v8
	scratch_store_b64 off, v[8:9], s3
	s_cbranch_scc1 .LBB2115_185
; %bb.186:
	s_clause 0x1
	scratch_load_b128 v[8:11], off, off offset:68
	scratch_load_b128 v[12:15], off, off offset:84
.LBB2115_187:
	s_wait_xcnt 0x0
	s_or_b32 exec_lo, exec_lo, s0
	v_and_b32_e32 v19, 1, v19
	v_and_b32_e32 v21, 1, v21
	s_delay_alu instid0(VALU_DEP_2) | instskip(NEXT) | instid1(VALU_DEP_2)
	v_cmp_eq_u32_e32 vcc_lo, 1, v19
	v_cmp_eq_u32_e64 s0, 1, v21
	s_or_b32 s0, vcc_lo, s0
	s_delay_alu instid0(SALU_CYCLE_1)
	v_cndmask_b32_e64 v19, 0, 1, s0
	ds_store_b8 v23, v19 offset:32
	ds_load_b32 v19, v23 offset:32
	s_wait_loadcnt 0x1
	ds_store_2addr_b32 v23, v8, v9 offset1:1
	ds_store_2addr_b32 v23, v10, v11 offset0:2 offset1:3
	s_wait_loadcnt 0x0
	ds_store_2addr_b32 v23, v12, v13 offset0:4 offset1:5
	ds_store_2addr_b32 v23, v14, v15 offset0:6 offset1:7
.LBB2115_188:
	s_or_b32 exec_lo, exec_lo, s1
	v_cmp_gt_u32_e32 vcc_lo, 24, v17
	v_add_nc_u32_e32 v32, 8, v17
	s_mov_b32 s1, exec_lo
	v_cndmask_b32_e64 v21, 0, 8, vcc_lo
	s_delay_alu instid0(VALU_DEP_1)
	v_add_lshl_u32 v31, v21, v17, 2
	ds_bpermute_b32 v34, v31, v8
	ds_bpermute_b32 v35, v31, v9
	;; [unrolled: 1-line block ×4, first 2 shown]
	s_wait_dscnt 0x8
	ds_bpermute_b32 v21, v31, v19
	ds_bpermute_b32 v38, v31, v12
	;; [unrolled: 1-line block ×5, first 2 shown]
	s_wait_dscnt 0x5
	scratch_store_b128 off, v[34:37], off offset:144
	s_wait_dscnt 0x0
	scratch_store_b128 off, v[38:41], off offset:160
	s_wait_xcnt 0x0
	v_cmpx_le_u32_e64 v32, v20
	s_cbranch_execz .LBB2115_196
; %bb.189:
	v_and_b32_e32 v33, 0xff, v19
	s_mov_b32 s0, exec_lo
	s_delay_alu instid0(VALU_DEP_1)
	v_cmpx_eq_u16_e32 0, v33
	s_cbranch_execz .LBB2115_195
; %bb.190:
	v_mov_b64_e32 v[8:9], 0
	s_mov_b32 s2, 0
.LBB2115_191:                           ; =>This Inner Loop Header: Depth=1
	s_wait_xcnt 0x0
	s_add_co_i32 s3, s2, 0x44
	s_add_co_i32 s2, s2, 8
	scratch_store_b64 off, v[8:9], s3
	s_cmp_lg_u32 s2, 32
	s_cbranch_scc1 .LBB2115_191
; %bb.192:
	s_mov_b32 s2, 0
.LBB2115_193:                           ; =>This Inner Loop Header: Depth=1
	s_wait_xcnt 0x0
	s_add_co_i32 s3, s2, 0x90
	scratch_load_b64 v[8:9], off, s3
	v_add_nc_u32_e32 v10, s2, v23
	s_wait_xcnt 0x0
	s_add_co_i32 s3, s2, 0x44
	s_add_co_i32 s2, s2, 8
	s_delay_alu instid0(SALU_CYCLE_1)
	s_cmp_lg_u32 s2, 32
	ds_load_2addr_b32 v[10:11], v10 offset1:1
	s_wait_loadcnt_dscnt 0x0
	v_dual_add_nc_u32 v9, v11, v9 :: v_dual_add_nc_u32 v8, v10, v8
	scratch_store_b64 off, v[8:9], s3
	s_cbranch_scc1 .LBB2115_193
; %bb.194:
	s_clause 0x1
	scratch_load_b128 v[8:11], off, off offset:68
	scratch_load_b128 v[12:15], off, off offset:84
.LBB2115_195:
	s_wait_xcnt 0x0
	s_or_b32 exec_lo, exec_lo, s0
	v_and_b32_e32 v19, 1, v19
	v_and_b32_e32 v21, 1, v21
	s_delay_alu instid0(VALU_DEP_2) | instskip(NEXT) | instid1(VALU_DEP_2)
	v_cmp_eq_u32_e32 vcc_lo, 1, v19
	v_cmp_eq_u32_e64 s0, 1, v21
	s_or_b32 s0, vcc_lo, s0
	s_delay_alu instid0(SALU_CYCLE_1)
	v_cndmask_b32_e64 v19, 0, 1, s0
	ds_store_b8 v23, v19 offset:32
	ds_load_b32 v19, v23 offset:32
	s_wait_loadcnt 0x1
	ds_store_2addr_b32 v23, v8, v9 offset1:1
	ds_store_2addr_b32 v23, v10, v11 offset0:2 offset1:3
	s_wait_loadcnt 0x0
	ds_store_2addr_b32 v23, v12, v13 offset0:4 offset1:5
	ds_store_2addr_b32 v23, v14, v15 offset0:6 offset1:7
.LBB2115_196:
	s_or_b32 exec_lo, exec_lo, s1
	v_lshl_or_b32 v33, v17, 2, 64
	v_add_nc_u32_e32 v34, 16, v17
	s_mov_b32 s1, exec_lo
	ds_bpermute_b32 v36, v33, v8
	ds_bpermute_b32 v37, v33, v9
	;; [unrolled: 1-line block ×4, first 2 shown]
	s_wait_dscnt 0x8
	ds_bpermute_b32 v21, v33, v19
	ds_bpermute_b32 v40, v33, v12
	;; [unrolled: 1-line block ×5, first 2 shown]
	s_wait_dscnt 0x5
	scratch_store_b128 off, v[36:39], off offset:144
	s_wait_dscnt 0x0
	scratch_store_b128 off, v[40:43], off offset:160
	s_wait_xcnt 0x0
	v_cmpx_le_u32_e64 v34, v20
	s_cbranch_execz .LBB2115_204
; %bb.197:
	v_and_b32_e32 v20, 0xff, v19
	s_mov_b32 s2, 0
	s_mov_b32 s0, exec_lo
	s_delay_alu instid0(VALU_DEP_1)
	v_cmpx_eq_u16_e32 0, v20
	s_cbranch_execz .LBB2115_203
; %bb.198:
	v_mov_b64_e32 v[8:9], 0
.LBB2115_199:                           ; =>This Inner Loop Header: Depth=1
	s_wait_xcnt 0x0
	s_add_co_i32 s3, s2, 0x44
	s_add_co_i32 s2, s2, 8
	scratch_store_b64 off, v[8:9], s3
	s_cmp_lg_u32 s2, 32
	s_cbranch_scc1 .LBB2115_199
; %bb.200:
	s_mov_b32 s2, 0
.LBB2115_201:                           ; =>This Inner Loop Header: Depth=1
	s_wait_xcnt 0x0
	s_add_co_i32 s3, s2, 0x90
	scratch_load_b64 v[8:9], off, s3
	v_add_nc_u32_e32 v10, s2, v23
	s_wait_xcnt 0x0
	s_add_co_i32 s3, s2, 0x44
	s_add_co_i32 s2, s2, 8
	s_delay_alu instid0(SALU_CYCLE_1)
	s_cmp_lg_u32 s2, 32
	ds_load_2addr_b32 v[10:11], v10 offset1:1
	s_wait_loadcnt_dscnt 0x0
	v_dual_add_nc_u32 v9, v11, v9 :: v_dual_add_nc_u32 v8, v10, v8
	scratch_store_b64 off, v[8:9], s3
	s_cbranch_scc1 .LBB2115_201
; %bb.202:
	s_clause 0x1
	scratch_load_b128 v[8:11], off, off offset:68
	scratch_load_b128 v[12:15], off, off offset:84
.LBB2115_203:
	s_wait_xcnt 0x0
	s_or_b32 exec_lo, exec_lo, s0
	v_and_b32_e32 v19, 1, v19
	v_and_b32_e32 v20, 1, v21
	s_delay_alu instid0(VALU_DEP_2) | instskip(NEXT) | instid1(VALU_DEP_2)
	v_cmp_eq_u32_e32 vcc_lo, 1, v19
	v_cmp_eq_u32_e64 s0, 1, v20
	s_or_b32 s0, vcc_lo, s0
	s_delay_alu instid0(SALU_CYCLE_1)
	v_cndmask_b32_e64 v19, 0, 1, s0
	s_wait_loadcnt 0x1
	ds_store_2addr_b32 v23, v8, v9 offset1:1
	ds_store_2addr_b32 v23, v10, v11 offset0:2 offset1:3
	s_wait_loadcnt 0x0
	ds_store_2addr_b32 v23, v12, v13 offset0:4 offset1:5
	ds_store_2addr_b32 v23, v14, v15 offset0:6 offset1:7
	ds_store_b8 v23, v19 offset:32
.LBB2115_204:
	s_or_b32 exec_lo, exec_lo, s1
	ds_load_b32 v35, v23 offset:32
	ds_load_2addr_b32 v[10:11], v23 offset0:2 offset1:3
	ds_load_2addr_b32 v[12:13], v23 offset0:4 offset1:5
	ds_load_2addr_b32 v[8:9], v23 offset1:1
	ds_load_2addr_b32 v[14:15], v23 offset0:6 offset1:7
	v_mov_b64_e32 v[20:21], 0
	v_mov_b32_e32 v19, 0
	s_mov_b32 s12, 0
	s_wait_dscnt 0x4
	scratch_store_b32 off, v35, off offset:100
	s_wait_dscnt 0x1
	scratch_store_b128 off, v[8:11], off offset:68
	s_wait_dscnt 0x0
	scratch_store_b128 off, v[12:15], off offset:84
	s_branch .LBB2115_208
.LBB2115_205:                           ;   in Loop: Header=BB2115_208 Depth=1
	s_clause 0x1
	scratch_load_b128 v[8:11], off, off offset:144
	scratch_load_b128 v[12:15], off, off offset:160
.LBB2115_206:                           ;   in Loop: Header=BB2115_208 Depth=1
	s_wait_xcnt 0x0
	s_or_b32 exec_lo, exec_lo, s1
	v_and_b32_e32 v35, 1, v35
	v_subrev_nc_u32_e32 v18, 32, v18
	s_wait_loadcnt 0x1
	scratch_store_b128 off, v[8:11], off offset:68
	s_wait_loadcnt 0x0
	scratch_store_b128 off, v[12:15], off offset:84
	v_cmp_eq_u32_e32 vcc_lo, 1, v35
	s_or_b32 s0, vcc_lo, s0
	s_delay_alu instid0(SALU_CYCLE_1)
	v_cndmask_b32_e64 v35, 0, 1, s0
	s_mov_b32 s0, 0
	scratch_store_b8 off, v35, off offset:100
.LBB2115_207:                           ;   in Loop: Header=BB2115_208 Depth=1
	s_and_b32 vcc_lo, exec_lo, s0
	s_cbranch_vccnz .LBB2115_265
.LBB2115_208:                           ; =>This Loop Header: Depth=1
                                        ;     Child Loop BB2115_210 Depth 2
                                        ;     Child Loop BB2115_213 Depth 2
	;; [unrolled: 1-line block ×15, first 2 shown]
	s_wait_xcnt 0x1
	v_and_b32_e32 v8, 0xff, v24
	s_mov_b32 s0, -1
                                        ; implicit-def: $vgpr24
	s_delay_alu instid0(VALU_DEP_1)
	v_cmp_ne_u16_e32 vcc_lo, 2, v8
	s_cmp_lg_u32 vcc_lo, exec_lo
	s_cbranch_scc1 .LBB2115_207
; %bb.209:                              ;   in Loop: Header=BB2115_208 Depth=1
	s_mov_b32 s13, s12
	s_mov_b32 s14, s12
	;; [unrolled: 1-line block ×3, first 2 shown]
	v_mov_b64_e32 v[8:9], s[12:13]
	v_mov_b64_e32 v[10:11], s[14:15]
	s_mov_b32 s0, 0
	s_clause 0x2
	scratch_store_b32 off, v19, off offset:64
	scratch_store_b128 off, v[8:11], off offset:48
	scratch_store_b128 off, v[8:11], off offset:32
.LBB2115_210:                           ;   Parent Loop BB2115_208 Depth=1
                                        ; =>  This Inner Loop Header: Depth=2
	s_wait_xcnt 0x0
	s_add_co_i32 s1, s0, 32
	s_add_co_i32 s0, s0, 8
	scratch_store_b64 off, v[20:21], s1
	s_cmp_lg_u32 s0, 32
	s_cbranch_scc1 .LBB2115_210
; %bb.211:                              ;   in Loop: Header=BB2115_208 Depth=1
	scratch_store_b8 off, v19, off offset:64
	global_load_u8 v24, v18, s[8:9] scope:SCOPE_DEV
	s_mov_b32 s0, exec_lo
	s_wait_loadcnt 0x0
	s_wait_xcnt 0x0
	v_cmpx_eq_u16_e32 0, v24
	s_cbranch_execz .LBB2115_215
; %bb.212:                              ;   in Loop: Header=BB2115_208 Depth=1
	v_add_nc_u64_e32 v[8:9], s[8:9], v[18:19]
	s_mov_b32 s1, 0
.LBB2115_213:                           ;   Parent Loop BB2115_208 Depth=1
                                        ; =>  This Inner Loop Header: Depth=2
	global_load_u8 v24, v[8:9], off scope:SCOPE_DEV
	s_wait_loadcnt 0x0
	v_cmp_ne_u16_e32 vcc_lo, 0, v24
	s_or_b32 s1, vcc_lo, s1
	s_wait_xcnt 0x0
	s_and_not1_b32 exec_lo, exec_lo, s1
	s_cbranch_execnz .LBB2115_213
; %bb.214:                              ;   in Loop: Header=BB2115_208 Depth=1
	s_or_b32 exec_lo, exec_lo, s1
.LBB2115_215:                           ;   in Loop: Header=BB2115_208 Depth=1
	s_delay_alu instid0(SALU_CYCLE_1)
	s_or_b32 exec_lo, exec_lo, s0
	v_dual_mov_b32 v8, s5 :: v_dual_mov_b32 v10, s4
	v_cmp_eq_u16_e32 vcc_lo, 1, v24
	global_wb scope:SCOPE_DEV
	s_wait_storecnt 0x0
	global_inv scope:SCOPE_DEV
	s_mov_b32 s0, 0
	v_cndmask_b32_e32 v9, s7, v8, vcc_lo
	v_cndmask_b32_e32 v8, s6, v10, vcc_lo
	s_delay_alu instid0(VALU_DEP_1)
	v_mad_nc_u64_u32 v[36:37], v18, 36, v[8:9]
	s_clause 0x2
	global_load_b128 v[8:11], v[36:37], off
	global_load_b128 v[12:15], v[36:37], off offset:16
	global_load_u8 v35, v[36:37], off offset:32
	s_wait_loadcnt 0x2
	scratch_store_b128 off, v[8:11], off offset:32
	s_wait_loadcnt 0x1
	scratch_store_b128 off, v[12:15], off offset:48
	s_wait_loadcnt 0x0
	scratch_store_b8 off, v35, off offset:64
	ds_store_2addr_b32 v23, v8, v9 offset1:1
	ds_store_2addr_b32 v23, v10, v11 offset0:2 offset1:3
	ds_store_2addr_b32 v23, v12, v13 offset0:4 offset1:5
	;; [unrolled: 1-line block ×3, first 2 shown]
	ds_store_b8 v23, v35 offset:32
	scratch_store_b32 off, v19, off offset:176
.LBB2115_216:                           ;   Parent Loop BB2115_208 Depth=1
                                        ; =>  This Inner Loop Header: Depth=2
	s_wait_xcnt 0x0
	s_add_co_i32 s1, s0, 0x90
	s_add_co_i32 s0, s0, 8
	scratch_store_b64 off, v[20:21], s1
	s_cmp_lg_u32 s0, 32
	s_cbranch_scc1 .LBB2115_216
; %bb.217:                              ;   in Loop: Header=BB2115_208 Depth=1
	s_wait_xcnt 0x5
	ds_load_b32 v36, v23 offset:32
	ds_bpermute_b32 v38, v25, v8
	ds_bpermute_b32 v39, v25, v9
	;; [unrolled: 1-line block ×8, first 2 shown]
	v_cmp_eq_u16_e32 vcc_lo, 2, v24
	s_mov_b32 s0, exec_lo
	s_wait_dscnt 0x4
	scratch_store_b128 off, v[38:41], off offset:144
	s_wait_dscnt 0x0
	scratch_store_b128 off, v[42:45], off offset:160
	ds_bpermute_b32 v37, v25, v36
	s_wait_xcnt 0x4
	v_and_or_b32 v35, vcc_lo, v26, 0x80000000
	s_delay_alu instid0(VALU_DEP_1) | instskip(SKIP_1) | instid1(VALU_DEP_1)
	v_ctz_i32_b32_e32 v35, v35
	s_wait_xcnt 0x0
	v_cmpx_lt_u32_e64 v17, v35
	s_cbranch_execz .LBB2115_225
; %bb.218:                              ;   in Loop: Header=BB2115_208 Depth=1
	v_and_b32_e32 v38, 0xff, v36
	s_mov_b32 s1, exec_lo
	s_delay_alu instid0(VALU_DEP_1)
	v_cmpx_eq_u16_e32 0, v38
	s_cbranch_execz .LBB2115_224
; %bb.219:                              ;   in Loop: Header=BB2115_208 Depth=1
	s_mov_b32 s2, 0
.LBB2115_220:                           ;   Parent Loop BB2115_208 Depth=1
                                        ; =>  This Inner Loop Header: Depth=2
	s_wait_xcnt 0x0
	s_mov_b32 s3, s2
	s_add_co_i32 s2, s2, 8
	scratch_store_b64 off, v[20:21], s3
	s_cmp_lg_u32 s2, 32
	s_cbranch_scc1 .LBB2115_220
; %bb.221:                              ;   in Loop: Header=BB2115_208 Depth=1
	s_mov_b32 s2, 0
.LBB2115_222:                           ;   Parent Loop BB2115_208 Depth=1
                                        ; =>  This Inner Loop Header: Depth=2
	s_wait_xcnt 0x0
	s_add_co_i32 s3, s2, 0x90
	scratch_load_b64 v[8:9], off, s3
	v_add_nc_u32_e32 v10, s2, v23
	s_wait_xcnt 0x0
	s_mov_b32 s3, s2
	s_add_co_i32 s2, s2, 8
	s_delay_alu instid0(SALU_CYCLE_1)
	s_cmp_lg_u32 s2, 32
	ds_load_2addr_b32 v[10:11], v10 offset1:1
	s_wait_loadcnt_dscnt 0x0
	v_dual_add_nc_u32 v9, v11, v9 :: v_dual_add_nc_u32 v8, v10, v8
	scratch_store_b64 off, v[8:9], s3
	s_cbranch_scc1 .LBB2115_222
; %bb.223:                              ;   in Loop: Header=BB2115_208 Depth=1
	s_clause 0x1
	scratch_load_b128 v[8:11], off, off
	scratch_load_b128 v[12:15], off, off offset:16
.LBB2115_224:                           ;   in Loop: Header=BB2115_208 Depth=1
	s_wait_xcnt 0x0
	s_or_b32 exec_lo, exec_lo, s1
	s_wait_dscnt 0x0
	v_or_b32_e32 v36, v37, v36
	s_delay_alu instid0(VALU_DEP_1)
	v_and_b32_e32 v36, 1, v36
	ds_store_b8 v23, v36 offset:32
	ds_load_b32 v36, v23 offset:32
	s_wait_loadcnt 0x1
	ds_store_2addr_b32 v23, v8, v9 offset1:1
	ds_store_2addr_b32 v23, v10, v11 offset0:2 offset1:3
	s_wait_loadcnt 0x0
	ds_store_2addr_b32 v23, v12, v13 offset0:4 offset1:5
	ds_store_2addr_b32 v23, v14, v15 offset0:6 offset1:7
.LBB2115_225:                           ;   in Loop: Header=BB2115_208 Depth=1
	s_or_b32 exec_lo, exec_lo, s0
	ds_bpermute_b32 v38, v27, v8
	ds_bpermute_b32 v39, v27, v9
	;; [unrolled: 1-line block ×4, first 2 shown]
	s_wait_dscnt 0x4
	ds_bpermute_b32 v37, v27, v36
	ds_bpermute_b32 v42, v27, v12
	;; [unrolled: 1-line block ×5, first 2 shown]
	s_mov_b32 s1, exec_lo
	s_wait_dscnt 0x5
	scratch_store_b128 off, v[38:41], off offset:144
	s_wait_dscnt 0x0
	scratch_store_b128 off, v[42:45], off offset:160
	s_wait_xcnt 0x0
	v_cmpx_le_u32_e64 v28, v35
	s_cbranch_execz .LBB2115_233
; %bb.226:                              ;   in Loop: Header=BB2115_208 Depth=1
	v_and_b32_e32 v38, 0xff, v36
	s_mov_b32 s0, exec_lo
	s_delay_alu instid0(VALU_DEP_1)
	v_cmpx_eq_u16_e32 0, v38
	s_cbranch_execz .LBB2115_232
; %bb.227:                              ;   in Loop: Header=BB2115_208 Depth=1
	s_mov_b32 s2, 0
.LBB2115_228:                           ;   Parent Loop BB2115_208 Depth=1
                                        ; =>  This Inner Loop Header: Depth=2
	s_wait_xcnt 0x0
	s_mov_b32 s3, s2
	s_add_co_i32 s2, s2, 8
	scratch_store_b64 off, v[20:21], s3
	s_cmp_lg_u32 s2, 32
	s_cbranch_scc1 .LBB2115_228
; %bb.229:                              ;   in Loop: Header=BB2115_208 Depth=1
	s_mov_b32 s2, 0
.LBB2115_230:                           ;   Parent Loop BB2115_208 Depth=1
                                        ; =>  This Inner Loop Header: Depth=2
	s_wait_xcnt 0x0
	s_add_co_i32 s3, s2, 0x90
	scratch_load_b64 v[8:9], off, s3
	v_add_nc_u32_e32 v10, s2, v23
	s_wait_xcnt 0x0
	s_mov_b32 s3, s2
	s_add_co_i32 s2, s2, 8
	s_delay_alu instid0(SALU_CYCLE_1)
	s_cmp_lg_u32 s2, 32
	ds_load_2addr_b32 v[10:11], v10 offset1:1
	s_wait_loadcnt_dscnt 0x0
	v_dual_add_nc_u32 v9, v11, v9 :: v_dual_add_nc_u32 v8, v10, v8
	scratch_store_b64 off, v[8:9], s3
	s_cbranch_scc1 .LBB2115_230
; %bb.231:                              ;   in Loop: Header=BB2115_208 Depth=1
	s_clause 0x1
	scratch_load_b128 v[8:11], off, off
	scratch_load_b128 v[12:15], off, off offset:16
.LBB2115_232:                           ;   in Loop: Header=BB2115_208 Depth=1
	s_wait_xcnt 0x0
	s_or_b32 exec_lo, exec_lo, s0
	v_and_b32_e32 v36, 1, v36
	v_and_b32_e32 v37, 1, v37
	s_delay_alu instid0(VALU_DEP_2) | instskip(NEXT) | instid1(VALU_DEP_2)
	v_cmp_eq_u32_e32 vcc_lo, 1, v36
	v_cmp_eq_u32_e64 s0, 1, v37
	s_or_b32 s0, vcc_lo, s0
	s_delay_alu instid0(SALU_CYCLE_1)
	v_cndmask_b32_e64 v36, 0, 1, s0
	ds_store_b8 v23, v36 offset:32
	ds_load_b32 v36, v23 offset:32
	s_wait_loadcnt 0x1
	ds_store_2addr_b32 v23, v8, v9 offset1:1
	ds_store_2addr_b32 v23, v10, v11 offset0:2 offset1:3
	s_wait_loadcnt 0x0
	ds_store_2addr_b32 v23, v12, v13 offset0:4 offset1:5
	ds_store_2addr_b32 v23, v14, v15 offset0:6 offset1:7
.LBB2115_233:                           ;   in Loop: Header=BB2115_208 Depth=1
	s_or_b32 exec_lo, exec_lo, s1
	ds_bpermute_b32 v38, v29, v8
	ds_bpermute_b32 v39, v29, v9
	;; [unrolled: 1-line block ×4, first 2 shown]
	s_wait_dscnt 0x8
	ds_bpermute_b32 v37, v29, v36
	ds_bpermute_b32 v42, v29, v12
	;; [unrolled: 1-line block ×5, first 2 shown]
	s_mov_b32 s1, exec_lo
	s_wait_dscnt 0x5
	scratch_store_b128 off, v[38:41], off offset:144
	s_wait_dscnt 0x0
	scratch_store_b128 off, v[42:45], off offset:160
	s_wait_xcnt 0x0
	v_cmpx_le_u32_e64 v30, v35
	s_cbranch_execz .LBB2115_241
; %bb.234:                              ;   in Loop: Header=BB2115_208 Depth=1
	v_and_b32_e32 v38, 0xff, v36
	s_mov_b32 s0, exec_lo
	s_delay_alu instid0(VALU_DEP_1)
	v_cmpx_eq_u16_e32 0, v38
	s_cbranch_execz .LBB2115_240
; %bb.235:                              ;   in Loop: Header=BB2115_208 Depth=1
	s_mov_b32 s2, 0
.LBB2115_236:                           ;   Parent Loop BB2115_208 Depth=1
                                        ; =>  This Inner Loop Header: Depth=2
	s_wait_xcnt 0x0
	s_mov_b32 s3, s2
	s_add_co_i32 s2, s2, 8
	scratch_store_b64 off, v[20:21], s3
	s_cmp_lg_u32 s2, 32
	s_cbranch_scc1 .LBB2115_236
; %bb.237:                              ;   in Loop: Header=BB2115_208 Depth=1
	s_mov_b32 s2, 0
.LBB2115_238:                           ;   Parent Loop BB2115_208 Depth=1
                                        ; =>  This Inner Loop Header: Depth=2
	s_wait_xcnt 0x0
	s_add_co_i32 s3, s2, 0x90
	scratch_load_b64 v[8:9], off, s3
	v_add_nc_u32_e32 v10, s2, v23
	s_wait_xcnt 0x0
	s_mov_b32 s3, s2
	s_add_co_i32 s2, s2, 8
	s_delay_alu instid0(SALU_CYCLE_1)
	s_cmp_lg_u32 s2, 32
	ds_load_2addr_b32 v[10:11], v10 offset1:1
	s_wait_loadcnt_dscnt 0x0
	v_dual_add_nc_u32 v9, v11, v9 :: v_dual_add_nc_u32 v8, v10, v8
	scratch_store_b64 off, v[8:9], s3
	s_cbranch_scc1 .LBB2115_238
; %bb.239:                              ;   in Loop: Header=BB2115_208 Depth=1
	s_clause 0x1
	scratch_load_b128 v[8:11], off, off
	scratch_load_b128 v[12:15], off, off offset:16
.LBB2115_240:                           ;   in Loop: Header=BB2115_208 Depth=1
	s_wait_xcnt 0x0
	s_or_b32 exec_lo, exec_lo, s0
	v_and_b32_e32 v36, 1, v36
	v_and_b32_e32 v37, 1, v37
	s_delay_alu instid0(VALU_DEP_2) | instskip(NEXT) | instid1(VALU_DEP_2)
	v_cmp_eq_u32_e32 vcc_lo, 1, v36
	v_cmp_eq_u32_e64 s0, 1, v37
	s_or_b32 s0, vcc_lo, s0
	s_delay_alu instid0(SALU_CYCLE_1)
	v_cndmask_b32_e64 v36, 0, 1, s0
	ds_store_b8 v23, v36 offset:32
	ds_load_b32 v36, v23 offset:32
	s_wait_loadcnt 0x1
	ds_store_2addr_b32 v23, v8, v9 offset1:1
	ds_store_2addr_b32 v23, v10, v11 offset0:2 offset1:3
	s_wait_loadcnt 0x0
	ds_store_2addr_b32 v23, v12, v13 offset0:4 offset1:5
	ds_store_2addr_b32 v23, v14, v15 offset0:6 offset1:7
.LBB2115_241:                           ;   in Loop: Header=BB2115_208 Depth=1
	s_or_b32 exec_lo, exec_lo, s1
	ds_bpermute_b32 v38, v31, v8
	ds_bpermute_b32 v39, v31, v9
	;; [unrolled: 1-line block ×4, first 2 shown]
	s_wait_dscnt 0x8
	ds_bpermute_b32 v37, v31, v36
	ds_bpermute_b32 v42, v31, v12
	;; [unrolled: 1-line block ×5, first 2 shown]
	s_mov_b32 s1, exec_lo
	s_wait_dscnt 0x5
	scratch_store_b128 off, v[38:41], off offset:144
	s_wait_dscnt 0x0
	scratch_store_b128 off, v[42:45], off offset:160
	s_wait_xcnt 0x0
	v_cmpx_le_u32_e64 v32, v35
	s_cbranch_execz .LBB2115_249
; %bb.242:                              ;   in Loop: Header=BB2115_208 Depth=1
	v_and_b32_e32 v38, 0xff, v36
	s_mov_b32 s0, exec_lo
	s_delay_alu instid0(VALU_DEP_1)
	v_cmpx_eq_u16_e32 0, v38
	s_cbranch_execz .LBB2115_248
; %bb.243:                              ;   in Loop: Header=BB2115_208 Depth=1
	s_mov_b32 s2, 0
.LBB2115_244:                           ;   Parent Loop BB2115_208 Depth=1
                                        ; =>  This Inner Loop Header: Depth=2
	s_wait_xcnt 0x0
	s_mov_b32 s3, s2
	s_add_co_i32 s2, s2, 8
	scratch_store_b64 off, v[20:21], s3
	s_cmp_lg_u32 s2, 32
	s_cbranch_scc1 .LBB2115_244
; %bb.245:                              ;   in Loop: Header=BB2115_208 Depth=1
	s_mov_b32 s2, 0
.LBB2115_246:                           ;   Parent Loop BB2115_208 Depth=1
                                        ; =>  This Inner Loop Header: Depth=2
	s_wait_xcnt 0x0
	s_add_co_i32 s3, s2, 0x90
	scratch_load_b64 v[8:9], off, s3
	v_add_nc_u32_e32 v10, s2, v23
	s_wait_xcnt 0x0
	s_mov_b32 s3, s2
	s_add_co_i32 s2, s2, 8
	s_delay_alu instid0(SALU_CYCLE_1)
	s_cmp_lg_u32 s2, 32
	ds_load_2addr_b32 v[10:11], v10 offset1:1
	s_wait_loadcnt_dscnt 0x0
	v_dual_add_nc_u32 v9, v11, v9 :: v_dual_add_nc_u32 v8, v10, v8
	scratch_store_b64 off, v[8:9], s3
	s_cbranch_scc1 .LBB2115_246
; %bb.247:                              ;   in Loop: Header=BB2115_208 Depth=1
	s_clause 0x1
	scratch_load_b128 v[8:11], off, off
	scratch_load_b128 v[12:15], off, off offset:16
.LBB2115_248:                           ;   in Loop: Header=BB2115_208 Depth=1
	s_wait_xcnt 0x0
	s_or_b32 exec_lo, exec_lo, s0
	v_and_b32_e32 v36, 1, v36
	v_and_b32_e32 v37, 1, v37
	s_delay_alu instid0(VALU_DEP_2) | instskip(NEXT) | instid1(VALU_DEP_2)
	v_cmp_eq_u32_e32 vcc_lo, 1, v36
	v_cmp_eq_u32_e64 s0, 1, v37
	s_or_b32 s0, vcc_lo, s0
	s_delay_alu instid0(SALU_CYCLE_1)
	v_cndmask_b32_e64 v36, 0, 1, s0
	ds_store_b8 v23, v36 offset:32
	ds_load_b32 v36, v23 offset:32
	s_wait_loadcnt 0x1
	ds_store_2addr_b32 v23, v8, v9 offset1:1
	ds_store_2addr_b32 v23, v10, v11 offset0:2 offset1:3
	s_wait_loadcnt 0x0
	ds_store_2addr_b32 v23, v12, v13 offset0:4 offset1:5
	ds_store_2addr_b32 v23, v14, v15 offset0:6 offset1:7
.LBB2115_249:                           ;   in Loop: Header=BB2115_208 Depth=1
	s_or_b32 exec_lo, exec_lo, s1
	ds_bpermute_b32 v38, v33, v8
	ds_bpermute_b32 v39, v33, v9
	;; [unrolled: 1-line block ×4, first 2 shown]
	s_wait_dscnt 0x8
	ds_bpermute_b32 v37, v33, v36
	ds_bpermute_b32 v42, v33, v12
	;; [unrolled: 1-line block ×5, first 2 shown]
	v_and_b32_e32 v46, 1, v36
	s_mov_b32 s1, exec_lo
	s_wait_dscnt 0x5
	scratch_store_b128 off, v[38:41], off offset:144
	s_wait_dscnt 0x0
	scratch_store_b128 off, v[42:45], off offset:160
	v_cmp_eq_u32_e64 s0, 1, v46
	s_wait_xcnt 0x0
	v_cmpx_le_u32_e64 v34, v35
	s_cbranch_execz .LBB2115_257
; %bb.250:                              ;   in Loop: Header=BB2115_208 Depth=1
	v_and_b32_e32 v35, 0xff, v36
	s_mov_b32 s2, exec_lo
	s_delay_alu instid0(VALU_DEP_1)
	v_cmpx_eq_u16_e32 0, v35
	s_cbranch_execz .LBB2115_256
; %bb.251:                              ;   in Loop: Header=BB2115_208 Depth=1
	s_mov_b32 s3, 0
.LBB2115_252:                           ;   Parent Loop BB2115_208 Depth=1
                                        ; =>  This Inner Loop Header: Depth=2
	s_wait_xcnt 0x0
	s_mov_b32 s13, s3
	s_add_co_i32 s3, s3, 8
	scratch_store_b64 off, v[20:21], s13
	s_cmp_lg_u32 s3, 32
	s_cbranch_scc1 .LBB2115_252
; %bb.253:                              ;   in Loop: Header=BB2115_208 Depth=1
	s_mov_b32 s3, 0
.LBB2115_254:                           ;   Parent Loop BB2115_208 Depth=1
                                        ; =>  This Inner Loop Header: Depth=2
	s_wait_xcnt 0x0
	s_add_co_i32 s13, s3, 0x90
	scratch_load_b64 v[8:9], off, s13
	v_add_nc_u32_e32 v10, s3, v23
	s_wait_xcnt 0x0
	s_mov_b32 s13, s3
	s_add_co_i32 s3, s3, 8
	s_delay_alu instid0(SALU_CYCLE_1)
	s_cmp_lg_u32 s3, 32
	ds_load_2addr_b32 v[10:11], v10 offset1:1
	s_wait_loadcnt_dscnt 0x0
	v_dual_add_nc_u32 v9, v11, v9 :: v_dual_add_nc_u32 v8, v10, v8
	scratch_store_b64 off, v[8:9], s13
	s_cbranch_scc1 .LBB2115_254
; %bb.255:                              ;   in Loop: Header=BB2115_208 Depth=1
	s_clause 0x1
	scratch_load_b128 v[8:11], off, off
	scratch_load_b128 v[12:15], off, off offset:16
.LBB2115_256:                           ;   in Loop: Header=BB2115_208 Depth=1
	s_wait_xcnt 0x0
	s_or_b32 exec_lo, exec_lo, s2
	v_and_b32_e32 v35, 1, v37
	s_and_not1_b32 s2, s0, exec_lo
	s_wait_loadcnt 0x1
	ds_store_2addr_b32 v23, v8, v9 offset1:1
	ds_store_2addr_b32 v23, v10, v11 offset0:2 offset1:3
	s_wait_loadcnt 0x0
	ds_store_2addr_b32 v23, v12, v13 offset0:4 offset1:5
	ds_store_2addr_b32 v23, v14, v15 offset0:6 offset1:7
	v_cmp_eq_u32_e32 vcc_lo, 1, v35
	s_or_b32 s0, s0, vcc_lo
	s_delay_alu instid0(SALU_CYCLE_1) | instskip(SKIP_1) | instid1(SALU_CYCLE_1)
	v_cndmask_b32_e64 v35, 0, 1, s0
	s_and_b32 s0, s0, exec_lo
	s_or_b32 s0, s2, s0
	ds_store_b8 v23, v35 offset:32
.LBB2115_257:                           ;   in Loop: Header=BB2115_208 Depth=1
	s_or_b32 exec_lo, exec_lo, s1
	scratch_load_u8 v35, off, off offset:100
	s_mov_b32 s1, exec_lo
                                        ; implicit-def: $vgpr14_vgpr15
                                        ; implicit-def: $vgpr10_vgpr11
	s_wait_loadcnt 0x0
	v_cmpx_ne_u16_e32 0, v35
	s_xor_b32 s1, exec_lo, s1
	s_cbranch_execz .LBB2115_259
; %bb.258:                              ;   in Loop: Header=BB2115_208 Depth=1
	s_clause 0x1
	scratch_load_b128 v[8:11], off, off offset:68
	scratch_load_b128 v[12:15], off, off offset:84
.LBB2115_259:                           ;   in Loop: Header=BB2115_208 Depth=1
	s_wait_xcnt 0x0
	s_and_not1_saveexec_b32 s1, s1
	s_cbranch_execz .LBB2115_206
; %bb.260:                              ;   in Loop: Header=BB2115_208 Depth=1
	s_mov_b32 s2, 0
.LBB2115_261:                           ;   Parent Loop BB2115_208 Depth=1
                                        ; =>  This Inner Loop Header: Depth=2
	s_wait_xcnt 0x0
	s_add_co_i32 s3, s2, 0x90
	s_add_co_i32 s2, s2, 8
	scratch_store_b64 off, v[20:21], s3
	s_cmp_lg_u32 s2, 32
	s_cbranch_scc1 .LBB2115_261
; %bb.262:                              ;   in Loop: Header=BB2115_208 Depth=1
	s_mov_b32 s2, 0
.LBB2115_263:                           ;   Parent Loop BB2115_208 Depth=1
                                        ; =>  This Inner Loop Header: Depth=2
	s_wait_xcnt 0x0
	s_add_co_i32 s3, s2, 0x44
	s_wait_loadcnt 0x1
	v_add_nc_u32_e32 v10, s2, v23
	scratch_load_b64 v[8:9], off, s3
	s_wait_xcnt 0x0
	s_add_co_i32 s3, s2, 0x90
	s_add_co_i32 s2, s2, 8
	ds_load_2addr_b32 v[10:11], v10 offset1:1
	s_cmp_lg_u32 s2, 32
	s_wait_loadcnt_dscnt 0x0
	v_dual_add_nc_u32 v9, v9, v11 :: v_dual_add_nc_u32 v8, v8, v10
	scratch_store_b64 off, v[8:9], s3
	s_cbranch_scc1 .LBB2115_263
	s_branch .LBB2115_205
.LBB2115_264:
	s_cbranch_execnz .LBB2115_310
	s_branch .LBB2115_455
.LBB2115_265:
	s_clause 0x2
	scratch_load_b128 v[12:15], off, off offset:68
	scratch_load_b128 v[8:11], off, off offset:84
	scratch_load_b32 v17, off, off offset:100
	s_wait_loadcnt 0x2
	scratch_store_b128 off, v[12:15], off offset:144
	s_wait_loadcnt 0x1
	scratch_store_b128 off, v[8:11], off offset:160
	s_wait_loadcnt 0x0
	scratch_store_b32 off, v17, off offset:176
	s_wait_xcnt 0x0
	s_and_saveexec_b32 s0, s26
	s_cbranch_execz .LBB2115_273
; %bb.266:
	v_and_b32_e32 v18, 0xff, v22
	s_mov_b32 s1, 0
	s_delay_alu instid0(VALU_DEP_1)
	v_cmp_ne_u32_e32 vcc_lo, 0, v18
	s_cbranch_vccnz .LBB2115_272
; %bb.267:
	v_mov_b64_e32 v[0:1], 0
.LBB2115_268:                           ; =>This Inner Loop Header: Depth=1
	s_wait_xcnt 0x0
	s_add_co_i32 s2, s1, 32
	s_add_co_i32 s1, s1, 8
	scratch_store_b64 off, v[0:1], s2
	s_cmp_lg_u32 s1, 32
	s_cbranch_scc1 .LBB2115_268
; %bb.269:
	s_mov_b32 s1, 0
.LBB2115_270:                           ; =>This Inner Loop Header: Depth=1
	s_wait_xcnt 0x0
	s_add_co_i32 s2, s1, 0x90
	s_add_co_i32 s3, s1, 0x68
	scratch_load_b64 v[0:1], off, s2
	scratch_load_b64 v[2:3], off, s3
	s_wait_xcnt 0x1
	s_add_co_i32 s2, s1, 32
	s_add_co_i32 s1, s1, 8
	s_delay_alu instid0(SALU_CYCLE_1)
	s_cmp_lg_u32 s1, 32
	s_wait_loadcnt 0x0
	v_dual_add_nc_u32 v1, v3, v1 :: v_dual_add_nc_u32 v0, v2, v0
	scratch_store_b64 off, v[0:1], s2
	s_cbranch_scc1 .LBB2115_270
; %bb.271:
	s_clause 0x1
	scratch_load_b128 v[0:3], off, off offset:32
	scratch_load_b128 v[4:7], off, off offset:48
.LBB2115_272:
	s_add_co_i32 s2, s30, 32
	s_mov_b32 s3, 0
	v_dual_mov_b32 v18, 0 :: v_dual_mov_b32 v20, 2
	v_mov_b32_e32 v21, s2
	s_mul_u64 s[4:5], s[2:3], 36
	v_bitop3_b16 v19, v22, 1, v17 bitop3:0xc8
	s_add_nc_u64 s[4:5], s[6:7], s[4:5]
	s_wait_loadcnt 0x1
	global_store_b128 v18, v[0:3], s[4:5]
	s_wait_loadcnt 0x0
	s_clause 0x1
	global_store_b128 v18, v[4:7], s[4:5] offset:16
	global_store_b8 v18, v19, s[4:5] offset:32
	global_wb scope:SCOPE_DEV
	s_wait_storecnt_dscnt 0x0
	global_inv scope:SCOPE_DEV
	s_wait_xcnt 0x0
	global_store_b8 v21, v20, s[8:9] scope:SCOPE_DEV
.LBB2115_273:
	s_wait_xcnt 0x0
	s_or_b32 exec_lo, exec_lo, s0
	v_cmp_eq_u32_e32 vcc_lo, 0, v16
	s_and_b32 exec_lo, exec_lo, vcc_lo
	s_cbranch_execz .LBB2115_275
; %bb.274:
	v_mov_b32_e32 v0, 0
	ds_store_2addr_b32 v0, v12, v13 offset0:63 offset1:64
	ds_store_2addr_b32 v0, v14, v15 offset0:65 offset1:66
	;; [unrolled: 1-line block ×4, first 2 shown]
	ds_store_b8 v0, v17 offset:284
.LBB2115_275:
	s_or_b32 exec_lo, exec_lo, s21
	s_wait_storecnt 0x0
	s_wait_loadcnt_dscnt 0x0
	s_barrier_signal -1
	s_barrier_wait -1
	scratch_load_u8 v8, off, off offset:320
	v_mov_b32_e32 v9, 0
	ds_load_2addr_b32 v[0:1], v9 offset0:63 offset1:64
	ds_load_2addr_b32 v[2:3], v9 offset0:65 offset1:66
	;; [unrolled: 1-line block ×4, first 2 shown]
	ds_load_b32 v9, v9 offset:284
	s_mov_b32 s0, exec_lo
	s_wait_dscnt 0x3
	scratch_store_b128 off, v[0:3], off offset:144
	s_wait_dscnt 0x1
	scratch_store_b128 off, v[4:7], off offset:160
	s_wait_dscnt 0x0
	scratch_store_b32 off, v9, off offset:176
	s_wait_xcnt 0x0
	v_cmpx_ne_u32_e32 0, v16
	s_cbranch_execz .LBB2115_285
; %bb.276:
	s_wait_loadcnt 0x0
	v_and_b32_e32 v0, 0xff, v8
                                        ; implicit-def: $vgpr6_vgpr7
	s_delay_alu instid0(VALU_DEP_1) | instskip(SKIP_1) | instid1(SALU_CYCLE_1)
	v_cmp_ne_u16_e32 vcc_lo, 0, v0
                                        ; implicit-def: $vgpr2_vgpr3
	s_and_saveexec_b32 s1, vcc_lo
	s_xor_b32 s1, exec_lo, s1
	s_cbranch_execz .LBB2115_278
; %bb.277:
	s_clause 0x1
	scratch_load_b128 v[0:3], off, off offset:288
	scratch_load_b128 v[4:7], off, off offset:304
.LBB2115_278:
	s_wait_xcnt 0x0
	s_and_not1_saveexec_b32 s1, s1
	s_cbranch_execz .LBB2115_284
; %bb.279:
	s_wait_loadcnt 0x1
	v_mov_b64_e32 v[0:1], 0
	s_mov_b32 s2, 0
.LBB2115_280:                           ; =>This Inner Loop Header: Depth=1
	s_wait_xcnt 0x0
	s_add_co_i32 s3, s2, 32
	s_add_co_i32 s2, s2, 8
	scratch_store_b64 off, v[0:1], s3
	s_cmp_lg_u32 s2, 32
	s_cbranch_scc1 .LBB2115_280
; %bb.281:
	s_mov_b32 s2, 0
.LBB2115_282:                           ; =>This Inner Loop Header: Depth=1
	s_wait_xcnt 0x0
	s_add_co_i32 s3, s2, 0xf0
	s_add_co_i32 s4, s2, 0x120
	scratch_load_b64 v[0:1], off, s3
	scratch_load_b64 v[2:3], off, s4
	s_wait_xcnt 0x1
	s_add_co_i32 s3, s2, 32
	s_add_co_i32 s2, s2, 8
	s_delay_alu instid0(SALU_CYCLE_1)
	s_cmp_lg_u32 s2, 32
	s_wait_loadcnt 0x0
	v_dual_add_nc_u32 v1, v3, v1 :: v_dual_add_nc_u32 v0, v2, v0
	scratch_store_b64 off, v[0:1], s3
	s_cbranch_scc1 .LBB2115_282
; %bb.283:
	s_clause 0x1
	scratch_load_b128 v[0:3], off, off offset:32
	scratch_load_b128 v[4:7], off, off offset:48
.LBB2115_284:
	s_wait_xcnt 0x0
	s_or_b32 exec_lo, exec_lo, s1
	v_and_b32_e32 v8, 1, v8
	s_wait_loadcnt 0x1
	scratch_store_b128 off, v[0:3], off offset:288
	s_wait_loadcnt 0x0
	scratch_store_b128 off, v[4:7], off offset:304
	v_cmp_eq_u32_e32 vcc_lo, 1, v8
	s_or_b32 s1, vcc_lo, s20
	s_delay_alu instid0(SALU_CYCLE_1)
	v_cndmask_b32_e64 v8, 0, 1, s1
.LBB2115_285:
	s_wait_xcnt 0x0
	s_or_b32 exec_lo, exec_lo, s0
	s_wait_loadcnt 0x0
	s_delay_alu instid0(VALU_DEP_1) | instskip(NEXT) | instid1(VALU_DEP_1)
	v_and_b32_e32 v0, 0xff, v8
                                        ; implicit-def: $vgpr6_vgpr7
	v_cmp_ne_u16_e32 vcc_lo, 0, v0
                                        ; implicit-def: $vgpr2_vgpr3
	s_and_saveexec_b32 s0, vcc_lo
	s_delay_alu instid0(SALU_CYCLE_1)
	s_xor_b32 s0, exec_lo, s0
	s_cbranch_execz .LBB2115_287
; %bb.286:
	s_clause 0x1
	scratch_load_b128 v[0:3], off, off offset:288
	scratch_load_b128 v[4:7], off, off offset:304
.LBB2115_287:
	s_wait_xcnt 0x0
	s_and_not1_saveexec_b32 s0, s0
	s_cbranch_execz .LBB2115_293
; %bb.288:
	s_wait_loadcnt 0x1
	v_mov_b64_e32 v[0:1], 0
	s_mov_b32 s1, 0
.LBB2115_289:                           ; =>This Inner Loop Header: Depth=1
	s_wait_xcnt 0x0
	s_add_co_i32 s2, s1, 32
	s_add_co_i32 s1, s1, 8
	scratch_store_b64 off, v[0:1], s2
	s_cmp_lg_u32 s1, 32
	s_cbranch_scc1 .LBB2115_289
; %bb.290:
	s_mov_b32 s1, 0
.LBB2115_291:                           ; =>This Inner Loop Header: Depth=1
	s_wait_xcnt 0x0
	s_add_co_i32 s2, s1, 0x90
	s_add_co_i32 s3, s1, 0x120
	scratch_load_b64 v[0:1], off, s2
	scratch_load_b64 v[2:3], off, s3
	s_wait_xcnt 0x1
	s_add_co_i32 s2, s1, 32
	s_add_co_i32 s1, s1, 8
	s_delay_alu instid0(SALU_CYCLE_1)
	s_cmp_lg_u32 s1, 32
	s_wait_loadcnt 0x0
	v_dual_add_nc_u32 v1, v3, v1 :: v_dual_add_nc_u32 v0, v2, v0
	scratch_store_b64 off, v[0:1], s2
	s_cbranch_scc1 .LBB2115_291
; %bb.292:
	s_clause 0x1
	scratch_load_b128 v[0:3], off, off offset:32
	scratch_load_b128 v[4:7], off, off offset:48
.LBB2115_293:
	s_wait_xcnt 0x0
	s_or_b32 exec_lo, exec_lo, s0
	scratch_load_u8 v10, off, off offset:356
	v_or_b32_e32 v11, v8, v9
	v_bitop3_b16 v8, v8, 1, v9 bitop3:0xc8
	s_wait_loadcnt 0x2
	scratch_store_b128 off, v[0:3], off offset:288
	s_wait_loadcnt 0x1
	s_clause 0x1
	scratch_store_b128 off, v[4:7], off offset:304
	scratch_store_b8 off, v8, off offset:320
	v_and_b32_e32 v11, 1, v11
                                        ; implicit-def: $vgpr6_vgpr7
                                        ; implicit-def: $vgpr2_vgpr3
	s_delay_alu instid0(VALU_DEP_1) | instskip(SKIP_4) | instid1(SALU_CYCLE_1)
	v_cmp_eq_u32_e32 vcc_lo, 1, v11
	s_wait_loadcnt 0x0
	v_cmp_ne_u16_e64 s0, 0, v10
	s_wait_xcnt 0x0
	s_and_saveexec_b32 s1, s0
	s_xor_b32 s0, exec_lo, s1
	s_cbranch_execz .LBB2115_295
; %bb.294:
	s_clause 0x1
	scratch_load_b128 v[0:3], off, off offset:324
	scratch_load_b128 v[4:7], off, off offset:340
.LBB2115_295:
	s_wait_xcnt 0x0
	s_and_not1_saveexec_b32 s0, s0
	s_cbranch_execz .LBB2115_301
; %bb.296:
	s_wait_loadcnt 0x1
	v_mov_b64_e32 v[0:1], 0
	s_mov_b32 s1, 0
.LBB2115_297:                           ; =>This Inner Loop Header: Depth=1
	s_wait_xcnt 0x0
	s_add_co_i32 s2, s1, 32
	s_add_co_i32 s1, s1, 8
	scratch_store_b64 off, v[0:1], s2
	s_cmp_lg_u32 s1, 32
	s_cbranch_scc1 .LBB2115_297
; %bb.298:
	s_mov_b32 s1, 0
.LBB2115_299:                           ; =>This Inner Loop Header: Depth=1
	s_wait_xcnt 0x0
	s_add_co_i32 s2, s1, 0x120
	s_clause 0x1
	scratch_load_b64 v[0:1], off, s2
	scratch_load_b64 v[2:3], off, s2 offset:36
	s_wait_xcnt 0x0
	s_add_co_i32 s2, s1, 32
	s_add_co_i32 s1, s1, 8
	s_delay_alu instid0(SALU_CYCLE_1)
	s_cmp_lg_u32 s1, 32
	s_wait_loadcnt 0x0
	v_dual_add_nc_u32 v1, v3, v1 :: v_dual_add_nc_u32 v0, v2, v0
	scratch_store_b64 off, v[0:1], s2
	s_cbranch_scc1 .LBB2115_299
; %bb.300:
	s_clause 0x1
	scratch_load_b128 v[0:3], off, off offset:32
	scratch_load_b128 v[4:7], off, off offset:48
.LBB2115_301:
	s_wait_xcnt 0x0
	s_or_b32 exec_lo, exec_lo, s0
	scratch_load_u8 v8, off, off offset:392
	v_and_b32_e32 v9, 1, v10
	s_mov_b32 s1, exec_lo
	s_delay_alu instid0(VALU_DEP_1) | instskip(SKIP_1) | instid1(SALU_CYCLE_1)
	v_cmp_eq_u32_e64 s0, 1, v9
	s_or_b32 s0, s0, vcc_lo
	v_cndmask_b32_e64 v9, 0, 1, s0
	s_wait_loadcnt 0x2
	scratch_store_b128 off, v[0:3], off offset:324
	s_wait_loadcnt 0x1
	s_clause 0x1
	scratch_store_b128 off, v[4:7], off offset:340
	scratch_store_b8 off, v9, off offset:356
                                        ; implicit-def: $vgpr6_vgpr7
                                        ; implicit-def: $vgpr2_vgpr3
	s_wait_loadcnt 0x0
	v_cmpx_ne_u16_e32 0, v8
	s_xor_b32 s1, exec_lo, s1
	s_cbranch_execz .LBB2115_303
; %bb.302:
	s_clause 0x1
	scratch_load_b128 v[0:3], off, off offset:360
	scratch_load_b128 v[4:7], off, off offset:376
.LBB2115_303:
	s_wait_xcnt 0x0
	s_and_not1_saveexec_b32 s1, s1
	s_cbranch_execz .LBB2115_309
; %bb.304:
	s_wait_loadcnt 0x1
	v_mov_b64_e32 v[0:1], 0
	s_mov_b32 s2, 0
.LBB2115_305:                           ; =>This Inner Loop Header: Depth=1
	s_wait_xcnt 0x0
	s_add_co_i32 s3, s2, 32
	s_add_co_i32 s2, s2, 8
	scratch_store_b64 off, v[0:1], s3
	s_cmp_lg_u32 s2, 32
	s_cbranch_scc1 .LBB2115_305
; %bb.306:
	s_mov_b32 s2, 0
.LBB2115_307:                           ; =>This Inner Loop Header: Depth=1
	s_wait_xcnt 0x0
	s_add_co_i32 s3, s2, 0x120
	s_clause 0x1
	scratch_load_b64 v[0:1], off, s3 offset:36
	scratch_load_b64 v[2:3], off, s3 offset:72
	s_wait_xcnt 0x0
	s_add_co_i32 s3, s2, 32
	s_add_co_i32 s2, s2, 8
	s_delay_alu instid0(SALU_CYCLE_1)
	s_cmp_lg_u32 s2, 32
	s_wait_loadcnt 0x0
	v_dual_add_nc_u32 v1, v3, v1 :: v_dual_add_nc_u32 v0, v2, v0
	scratch_store_b64 off, v[0:1], s3
	s_cbranch_scc1 .LBB2115_307
; %bb.308:
	s_clause 0x1
	scratch_load_b128 v[0:3], off, off offset:32
	scratch_load_b128 v[4:7], off, off offset:48
.LBB2115_309:
	s_wait_xcnt 0x0
	s_or_b32 exec_lo, exec_lo, s1
	v_and_b32_e32 v8, 1, v8
	s_wait_loadcnt 0x1
	scratch_store_b128 off, v[0:3], off offset:360
	s_wait_loadcnt 0x0
	scratch_store_b128 off, v[4:7], off offset:376
	v_cmp_eq_u32_e32 vcc_lo, 1, v8
	s_or_b32 s0, vcc_lo, s0
	s_delay_alu instid0(SALU_CYCLE_1)
	v_cndmask_b32_e64 v8, 0, 1, s0
	scratch_store_b8 off, v8, off offset:392
	s_branch .LBB2115_455
.LBB2115_310:
	s_cmp_lg_u64 s[28:29], 0
	v_cmp_eq_u32_e32 vcc_lo, 0, v16
	s_cselect_b32 s1, -1, 0
	s_cmp_lg_u64 s[22:23], 0
	v_cmp_ne_u32_e64 s0, 0, v16
	s_cselect_b32 s2, -1, 0
	s_delay_alu instid0(SALU_CYCLE_1) | instskip(NEXT) | instid1(SALU_CYCLE_1)
	s_and_b32 s1, s1, s2
	s_and_b32 s1, vcc_lo, s1
	s_wait_xcnt 0x0
	s_and_saveexec_b32 s4, s1
	s_cbranch_execz .LBB2115_320
; %bb.311:
	scratch_load_u8 v8, off, off offset:320
                                        ; implicit-def: $vgpr6_vgpr7
                                        ; implicit-def: $vgpr2_vgpr3
	s_wait_loadcnt 0x0
	v_cmp_ne_u16_e64 s1, 0, v8
	s_wait_xcnt 0x0
	s_and_saveexec_b32 s2, s1
	s_delay_alu instid0(SALU_CYCLE_1)
	s_xor_b32 s1, exec_lo, s2
	s_cbranch_execz .LBB2115_313
; %bb.312:
	s_clause 0x1
	scratch_load_b128 v[0:3], off, off offset:288
	scratch_load_b128 v[4:7], off, off offset:304
.LBB2115_313:
	s_wait_xcnt 0x0
	s_and_not1_saveexec_b32 s1, s1
	s_cbranch_execz .LBB2115_319
; %bb.314:
	s_wait_loadcnt 0x1
	v_mov_b64_e32 v[0:1], 0
	s_mov_b32 s2, 0
.LBB2115_315:                           ; =>This Inner Loop Header: Depth=1
	s_wait_xcnt 0x0
	s_add_co_i32 s3, s2, 0x90
	s_add_co_i32 s2, s2, 8
	scratch_store_b64 off, v[0:1], s3
	s_cmp_lg_u32 s2, 32
	s_cbranch_scc1 .LBB2115_315
; %bb.316:
	s_wait_xcnt 0x0
	v_mov_b32_e32 v0, 0
	s_mov_b32 s5, 0
	s_mov_b64 s[2:3], s[22:23]
.LBB2115_317:                           ; =>This Inner Loop Header: Depth=1
	s_wait_xcnt 0x0
	s_add_co_i32 s12, s5, 0x120
	global_load_b64 v[2:3], v0, s[2:3]
	s_wait_loadcnt 0x1
	scratch_load_b64 v[4:5], off, s12
	s_wait_xcnt 0x0
	s_add_co_i32 s12, s5, 0x90
	s_add_co_i32 s5, s5, 8
	s_add_nc_u64 s[2:3], s[2:3], 8
	s_cmp_lg_u32 s5, 32
	s_wait_loadcnt 0x0
	v_dual_add_nc_u32 v3, v5, v3 :: v_dual_add_nc_u32 v2, v4, v2
	scratch_store_b64 off, v[2:3], s12
	s_cbranch_scc1 .LBB2115_317
; %bb.318:
	s_clause 0x1
	scratch_load_b128 v[0:3], off, off offset:144
	scratch_load_b128 v[4:7], off, off offset:160
.LBB2115_319:
	s_wait_xcnt 0x0
	s_or_b32 exec_lo, exec_lo, s1
	v_mov_b32_e32 v9, 0
	global_load_u8 v9, v9, s[22:23] offset:32
	s_wait_loadcnt 0x0
	v_bitop3_b16 v8, v8, 1, v9 bitop3:0xc8
	s_clause 0x2
	scratch_store_b128 off, v[0:3], off offset:288
	scratch_store_b128 off, v[4:7], off offset:304
	scratch_store_b8 off, v8, off offset:320
.LBB2115_320:
	s_wait_xcnt 0x0
	s_or_b32 exec_lo, exec_lo, s4
	s_mov_b32 s12, 0
	v_mov_b64_e32 v[0:1], 0
	s_mov_b32 s13, s12
	s_mov_b32 s14, s12
	s_mov_b32 s15, s12
	v_mov_b64_e32 v[2:3], s[12:13]
	v_mov_b64_e32 v[4:5], s[14:15]
	v_mov_b32_e32 v6, 0
	s_clause 0x2
	scratch_store_b32 off, v6, off offset:272
	scratch_store_b128 off, v[2:5], off offset:256
	scratch_store_b128 off, v[2:5], off offset:240
.LBB2115_321:                           ; =>This Inner Loop Header: Depth=1
	s_wait_xcnt 0x0
	s_add_co_i32 s1, s12, 0xf0
	s_add_co_i32 s12, s12, 8
	scratch_store_b64 off, v[0:1], s1
	s_cmp_lg_u32 s12, 32
	s_cbranch_scc1 .LBB2115_321
; %bb.322:
	s_wait_xcnt 0x0
	v_mov_b64_e32 v[0:1], 0
	v_mov_b32_e32 v2, 0
	s_mov_b32 s1, 0
	s_clause 0x1
	scratch_store_b8 off, v2, off offset:272
	scratch_store_b32 off, v2, off offset:176
.LBB2115_323:                           ; =>This Inner Loop Header: Depth=1
	s_wait_xcnt 0x0
	s_add_co_i32 s2, s1, 0x90
	s_add_co_i32 s1, s1, 8
	scratch_store_b64 off, v[0:1], s2
	s_cmp_lg_u32 s1, 32
	s_cbranch_scc1 .LBB2115_323
; %bb.324:
	s_clause 0x3
	scratch_load_u8 v8, off, off offset:356
	scratch_load_b128 v[0:3], off, off offset:288
	scratch_load_b128 v[4:7], off, off offset:304
	scratch_load_u8 v9, off, off offset:320
	s_wait_loadcnt 0x2
	scratch_store_b128 off, v[0:3], off offset:144
	s_wait_loadcnt 0x1
	scratch_store_b128 off, v[4:7], off offset:160
	v_cmp_ne_u16_e64 s1, 0, v8
                                        ; implicit-def: $vgpr6_vgpr7
                                        ; implicit-def: $vgpr2_vgpr3
	s_wait_xcnt 0x0
	s_and_saveexec_b32 s2, s1
	s_delay_alu instid0(SALU_CYCLE_1)
	s_xor_b32 s1, exec_lo, s2
	s_cbranch_execz .LBB2115_326
; %bb.325:
	s_clause 0x1
	scratch_load_b128 v[0:3], off, off offset:324
	scratch_load_b128 v[4:7], off, off offset:340
.LBB2115_326:
	s_wait_xcnt 0x0
	s_and_not1_saveexec_b32 s1, s1
	s_cbranch_execz .LBB2115_332
; %bb.327:
	s_wait_loadcnt 0x1
	v_mov_b64_e32 v[0:1], 0
	s_mov_b32 s2, 0
.LBB2115_328:                           ; =>This Inner Loop Header: Depth=1
	s_wait_xcnt 0x0
	s_add_co_i32 s3, s2, 32
	s_add_co_i32 s2, s2, 8
	scratch_store_b64 off, v[0:1], s3
	s_cmp_lg_u32 s2, 32
	s_cbranch_scc1 .LBB2115_328
; %bb.329:
	s_mov_b32 s2, 0
.LBB2115_330:                           ; =>This Inner Loop Header: Depth=1
	s_wait_xcnt 0x0
	s_add_co_i32 s3, s2, 0x90
	s_add_co_i32 s4, s11, s2
	scratch_load_b64 v[0:1], off, s3
	scratch_load_b64 v[2:3], off, s4
	s_wait_xcnt 0x1
	s_add_co_i32 s3, s2, 32
	s_add_co_i32 s2, s2, 8
	s_delay_alu instid0(SALU_CYCLE_1)
	s_cmp_lg_u32 s2, 32
	s_wait_loadcnt 0x0
	v_dual_add_nc_u32 v1, v3, v1 :: v_dual_add_nc_u32 v0, v2, v0
	scratch_store_b64 off, v[0:1], s3
	s_cbranch_scc1 .LBB2115_330
; %bb.331:
	s_clause 0x1
	scratch_load_b128 v[0:3], off, off offset:32
	scratch_load_b128 v[4:7], off, off offset:48
.LBB2115_332:
	s_wait_xcnt 0x0
	s_or_b32 exec_lo, exec_lo, s1
	scratch_load_u8 v10, off, off offset:392
	s_wait_loadcnt 0x2
	scratch_store_b128 off, v[0:3], off offset:144
	s_wait_loadcnt 0x1
	scratch_store_b128 off, v[4:7], off offset:160
                                        ; implicit-def: $vgpr6_vgpr7
                                        ; implicit-def: $vgpr2_vgpr3
	s_wait_loadcnt 0x0
	v_cmp_ne_u16_e64 s1, 0, v10
	s_wait_xcnt 0x0
	s_and_saveexec_b32 s2, s1
	s_delay_alu instid0(SALU_CYCLE_1)
	s_xor_b32 s1, exec_lo, s2
	s_cbranch_execz .LBB2115_334
; %bb.333:
	s_clause 0x1
	scratch_load_b128 v[0:3], off, off offset:360
	scratch_load_b128 v[4:7], off, off offset:376
.LBB2115_334:
	s_wait_xcnt 0x0
	s_and_not1_saveexec_b32 s1, s1
	s_cbranch_execz .LBB2115_340
; %bb.335:
	s_wait_loadcnt 0x1
	v_mov_b64_e32 v[0:1], 0
	s_mov_b32 s2, 0
.LBB2115_336:                           ; =>This Inner Loop Header: Depth=1
	s_wait_xcnt 0x0
	s_add_co_i32 s3, s2, 32
	s_add_co_i32 s2, s2, 8
	scratch_store_b64 off, v[0:1], s3
	s_cmp_lg_u32 s2, 32
	s_cbranch_scc1 .LBB2115_336
; %bb.337:
	s_mov_b32 s2, 0
.LBB2115_338:                           ; =>This Inner Loop Header: Depth=1
	s_wait_xcnt 0x0
	s_add_co_i32 s3, s2, 0x90
	s_add_co_i32 s4, s38, s2
	scratch_load_b64 v[0:1], off, s3
	scratch_load_b64 v[2:3], off, s4
	s_wait_xcnt 0x1
	s_add_co_i32 s3, s2, 32
	s_add_co_i32 s2, s2, 8
	s_delay_alu instid0(SALU_CYCLE_1)
	s_cmp_lg_u32 s2, 32
	s_wait_loadcnt 0x0
	v_dual_add_nc_u32 v1, v3, v1 :: v_dual_add_nc_u32 v0, v2, v0
	scratch_store_b64 off, v[0:1], s3
	s_cbranch_scc1 .LBB2115_338
; %bb.339:
	s_clause 0x1
	scratch_load_b128 v[0:3], off, off offset:32
	scratch_load_b128 v[4:7], off, off offset:48
.LBB2115_340:
	s_wait_xcnt 0x0
	s_or_b32 exec_lo, exec_lo, s1
	s_clause 0x1
	scratch_load_u16 v11, off, off offset:177
	scratch_load_i8 v12, off, off offset:179
	v_bitop3_b16 v8, v8, 0xff, v9 bitop3:0xc8
	v_and_b32_e32 v9, 1, v10
	s_wait_loadcnt 0x3
	v_mov_b32_dpp v18, v0 row_shr:1 row_mask:0xf bank_mask:0xf
	v_mov_b32_dpp v19, v1 row_shr:1 row_mask:0xf bank_mask:0xf
	;; [unrolled: 1-line block ×3, first 2 shown]
	v_cmp_ne_u16_e64 s1, 0, v8
	v_cmp_eq_u32_e64 s2, 1, v9
	v_mov_b32_dpp v21, v3 row_shr:1 row_mask:0xf bank_mask:0xf
	s_wait_loadcnt 0x2
	v_mov_b32_dpp v22, v4 row_shr:1 row_mask:0xf bank_mask:0xf
	v_mov_b32_dpp v23, v5 row_shr:1 row_mask:0xf bank_mask:0xf
	;; [unrolled: 1-line block ×3, first 2 shown]
	s_or_b32 s1, s1, s2
	v_mov_b32_dpp v25, v7 row_shr:1 row_mask:0xf bank_mask:0xf
	v_cndmask_b32_e64 v8, 0, 1, s1
	s_mov_b32 s2, exec_lo
	s_clause 0x1
	scratch_store_b128 off, v[0:3], off offset:104
	scratch_store_b128 off, v[4:7], off offset:120
	s_wait_loadcnt 0x1
	v_lshlrev_b16 v9, 8, v11
	s_wait_loadcnt 0x0
	v_perm_b32 v11, v11, v12, 0xc0c0005
	s_delay_alu instid0(VALU_DEP_2) | instskip(SKIP_1) | instid1(VALU_DEP_2)
	v_or_b32_e32 v9, v8, v9
	v_mbcnt_lo_u32_b32 v8, -1, 0
	v_and_b32_e32 v12, 0xffff, v9
	s_delay_alu instid0(VALU_DEP_2) | instskip(NEXT) | instid1(VALU_DEP_2)
	v_and_b32_e32 v10, 15, v8
	v_lshl_or_b32 v11, v11, 16, v12
	s_delay_alu instid0(VALU_DEP_1)
	v_mov_b32_dpp v12, v11 row_shr:1 row_mask:0xf bank_mask:0xf
	s_clause 0x3
	scratch_store_b32 off, v11, off offset:136
	scratch_store_b128 off, v[18:21], off offset:144
	scratch_store_b128 off, v[22:25], off offset:160
	scratch_store_b32 off, v12, off offset:176
	s_wait_xcnt 0x0
	v_cmpx_ne_u32_e32 0, v10
	s_cbranch_execz .LBB2115_348
; %bb.341:
	v_and_b32_e32 v9, 0xff, v9
	s_mov_b32 s3, exec_lo
	s_delay_alu instid0(VALU_DEP_1)
	v_cmpx_eq_u16_e32 0, v9
	s_cbranch_execz .LBB2115_347
; %bb.342:
	v_mov_b64_e32 v[0:1], 0
	s_mov_b32 s1, 0
.LBB2115_343:                           ; =>This Inner Loop Header: Depth=1
	s_wait_xcnt 0x0
	s_add_co_i32 s4, s1, 32
	s_add_co_i32 s1, s1, 8
	scratch_store_b64 off, v[0:1], s4
	s_cmp_lg_u32 s1, 32
	s_cbranch_scc1 .LBB2115_343
; %bb.344:
	s_mov_b32 s1, 0
.LBB2115_345:                           ; =>This Inner Loop Header: Depth=1
	s_wait_xcnt 0x0
	s_add_co_i32 s4, s1, 0x90
	s_add_co_i32 s5, s1, 0x68
	scratch_load_b64 v[0:1], off, s4
	scratch_load_b64 v[2:3], off, s5
	s_wait_xcnt 0x1
	s_add_co_i32 s4, s1, 32
	s_add_co_i32 s1, s1, 8
	s_delay_alu instid0(SALU_CYCLE_1)
	s_cmp_lg_u32 s1, 32
	s_wait_loadcnt 0x0
	v_dual_add_nc_u32 v1, v3, v1 :: v_dual_add_nc_u32 v0, v2, v0
	scratch_store_b64 off, v[0:1], s4
	s_cbranch_scc1 .LBB2115_345
; %bb.346:
	s_clause 0x1
	scratch_load_b128 v[0:3], off, off offset:32
	scratch_load_b128 v[4:7], off, off offset:48
.LBB2115_347:
	s_wait_xcnt 0x0
	s_or_b32 exec_lo, exec_lo, s3
	v_or_b32_e32 v9, v12, v11
	s_delay_alu instid0(VALU_DEP_1)
	v_and_b32_e32 v9, 1, v9
	s_clause 0x1
	scratch_store_b8 off, v9, off offset:136
	scratch_load_b32 v11, off, off offset:136
	s_wait_loadcnt 0x2
	scratch_store_b128 off, v[0:3], off offset:104
	s_wait_loadcnt 0x1
	scratch_store_b128 off, v[4:7], off offset:120
	s_wait_loadcnt 0x0
	s_wait_xcnt 0x3
	v_mov_b32_e32 v9, v11
.LBB2115_348:
	s_wait_xcnt 0x0
	s_or_b32 exec_lo, exec_lo, s2
	v_mov_b32_dpp v18, v0 row_shr:2 row_mask:0xf bank_mask:0xf
	v_mov_b32_dpp v19, v1 row_shr:2 row_mask:0xf bank_mask:0xf
	;; [unrolled: 1-line block ×9, first 2 shown]
	s_mov_b32 s3, exec_lo
	s_clause 0x2
	scratch_store_b128 off, v[18:21], off offset:144
	scratch_store_b128 off, v[22:25], off offset:160
	scratch_store_b32 off, v12, off offset:176
	s_wait_xcnt 0x0
	v_cmpx_lt_u32_e32 1, v10
	s_cbranch_execz .LBB2115_356
; %bb.349:
	v_and_b32_e32 v11, 0xff, v9
	s_mov_b32 s4, 0
	s_mov_b32 s2, exec_lo
	s_delay_alu instid0(VALU_DEP_1)
	v_cmpx_eq_u16_e32 0, v11
	s_cbranch_execz .LBB2115_355
; %bb.350:
	v_mov_b64_e32 v[0:1], 0
.LBB2115_351:                           ; =>This Inner Loop Header: Depth=1
	s_wait_xcnt 0x0
	s_add_co_i32 s1, s4, 32
	s_add_co_i32 s4, s4, 8
	scratch_store_b64 off, v[0:1], s1
	s_cmp_lg_u32 s4, 32
	s_cbranch_scc1 .LBB2115_351
; %bb.352:
	s_wait_xcnt 0x0
	s_mov_b32 s1, 0
.LBB2115_353:                           ; =>This Inner Loop Header: Depth=1
	s_wait_xcnt 0x0
	s_add_co_i32 s4, s1, 0x90
	s_add_co_i32 s5, s1, 0x68
	scratch_load_b64 v[0:1], off, s4
	scratch_load_b64 v[2:3], off, s5
	s_wait_xcnt 0x1
	s_add_co_i32 s4, s1, 32
	s_add_co_i32 s1, s1, 8
	s_delay_alu instid0(SALU_CYCLE_1)
	s_cmp_lg_u32 s1, 32
	s_wait_loadcnt 0x0
	v_dual_add_nc_u32 v1, v3, v1 :: v_dual_add_nc_u32 v0, v2, v0
	scratch_store_b64 off, v[0:1], s4
	s_cbranch_scc1 .LBB2115_353
; %bb.354:
	s_clause 0x1
	scratch_load_b128 v[0:3], off, off offset:32
	scratch_load_b128 v[4:7], off, off offset:48
.LBB2115_355:
	s_wait_xcnt 0x0
	s_or_b32 exec_lo, exec_lo, s2
	v_and_b32_e32 v9, 1, v9
	v_and_b32_e32 v11, 1, v12
	s_delay_alu instid0(VALU_DEP_2) | instskip(NEXT) | instid1(VALU_DEP_2)
	v_cmp_eq_u32_e64 s1, 1, v9
	v_cmp_eq_u32_e64 s2, 1, v11
	s_or_b32 s1, s1, s2
	s_delay_alu instid0(SALU_CYCLE_1)
	v_cndmask_b32_e64 v9, 0, 1, s1
	s_clause 0x1
	scratch_store_b8 off, v9, off offset:136
	scratch_load_b32 v11, off, off offset:136
	s_wait_loadcnt 0x2
	scratch_store_b128 off, v[0:3], off offset:104
	s_wait_loadcnt 0x1
	scratch_store_b128 off, v[4:7], off offset:120
	s_wait_loadcnt 0x0
	s_wait_xcnt 0x3
	v_mov_b32_e32 v9, v11
.LBB2115_356:
	s_wait_xcnt 0x0
	s_or_b32 exec_lo, exec_lo, s3
	v_mov_b32_dpp v18, v0 row_shr:4 row_mask:0xf bank_mask:0xf
	v_mov_b32_dpp v19, v1 row_shr:4 row_mask:0xf bank_mask:0xf
	;; [unrolled: 1-line block ×9, first 2 shown]
	s_mov_b32 s3, exec_lo
	s_clause 0x2
	scratch_store_b128 off, v[18:21], off offset:144
	scratch_store_b128 off, v[22:25], off offset:160
	scratch_store_b32 off, v12, off offset:176
	s_wait_xcnt 0x0
	v_cmpx_lt_u32_e32 3, v10
	s_cbranch_execz .LBB2115_364
; %bb.357:
	v_and_b32_e32 v11, 0xff, v9
	s_mov_b32 s4, 0
	s_mov_b32 s2, exec_lo
	s_delay_alu instid0(VALU_DEP_1)
	v_cmpx_eq_u16_e32 0, v11
	s_cbranch_execz .LBB2115_363
; %bb.358:
	v_mov_b64_e32 v[0:1], 0
.LBB2115_359:                           ; =>This Inner Loop Header: Depth=1
	s_wait_xcnt 0x0
	s_add_co_i32 s1, s4, 32
	s_add_co_i32 s4, s4, 8
	scratch_store_b64 off, v[0:1], s1
	s_cmp_lg_u32 s4, 32
	s_cbranch_scc1 .LBB2115_359
; %bb.360:
	s_wait_xcnt 0x0
	s_mov_b32 s1, 0
.LBB2115_361:                           ; =>This Inner Loop Header: Depth=1
	s_wait_xcnt 0x0
	s_add_co_i32 s4, s1, 0x90
	s_add_co_i32 s5, s1, 0x68
	scratch_load_b64 v[0:1], off, s4
	scratch_load_b64 v[2:3], off, s5
	s_wait_xcnt 0x1
	s_add_co_i32 s4, s1, 32
	s_add_co_i32 s1, s1, 8
	s_delay_alu instid0(SALU_CYCLE_1)
	s_cmp_lg_u32 s1, 32
	s_wait_loadcnt 0x0
	v_dual_add_nc_u32 v1, v3, v1 :: v_dual_add_nc_u32 v0, v2, v0
	scratch_store_b64 off, v[0:1], s4
	s_cbranch_scc1 .LBB2115_361
; %bb.362:
	s_clause 0x1
	scratch_load_b128 v[0:3], off, off offset:32
	scratch_load_b128 v[4:7], off, off offset:48
.LBB2115_363:
	s_wait_xcnt 0x0
	s_or_b32 exec_lo, exec_lo, s2
	v_and_b32_e32 v9, 1, v9
	v_and_b32_e32 v11, 1, v12
	s_delay_alu instid0(VALU_DEP_2) | instskip(NEXT) | instid1(VALU_DEP_2)
	v_cmp_eq_u32_e64 s1, 1, v9
	v_cmp_eq_u32_e64 s2, 1, v11
	s_or_b32 s1, s1, s2
	s_delay_alu instid0(SALU_CYCLE_1)
	v_cndmask_b32_e64 v9, 0, 1, s1
	s_clause 0x1
	scratch_store_b8 off, v9, off offset:136
	scratch_load_b32 v11, off, off offset:136
	s_wait_loadcnt 0x2
	scratch_store_b128 off, v[0:3], off offset:104
	s_wait_loadcnt 0x1
	scratch_store_b128 off, v[4:7], off offset:120
	s_wait_loadcnt 0x0
	s_wait_xcnt 0x3
	v_mov_b32_e32 v9, v11
.LBB2115_364:
	s_wait_xcnt 0x0
	s_or_b32 exec_lo, exec_lo, s3
	v_mov_b32_dpp v18, v0 row_shr:8 row_mask:0xf bank_mask:0xf
	v_mov_b32_dpp v19, v1 row_shr:8 row_mask:0xf bank_mask:0xf
	v_mov_b32_dpp v20, v2 row_shr:8 row_mask:0xf bank_mask:0xf
	v_mov_b32_dpp v21, v3 row_shr:8 row_mask:0xf bank_mask:0xf
	v_mov_b32_dpp v12, v11 row_shr:8 row_mask:0xf bank_mask:0xf
	v_mov_b32_dpp v22, v4 row_shr:8 row_mask:0xf bank_mask:0xf
	v_mov_b32_dpp v23, v5 row_shr:8 row_mask:0xf bank_mask:0xf
	v_mov_b32_dpp v24, v6 row_shr:8 row_mask:0xf bank_mask:0xf
	v_mov_b32_dpp v25, v7 row_shr:8 row_mask:0xf bank_mask:0xf
	s_mov_b32 s3, exec_lo
	s_clause 0x2
	scratch_store_b128 off, v[18:21], off offset:144
	scratch_store_b128 off, v[22:25], off offset:160
	scratch_store_b32 off, v12, off offset:176
	s_wait_xcnt 0x0
	v_cmpx_lt_u32_e32 7, v10
	s_cbranch_execz .LBB2115_372
; %bb.365:
	v_and_b32_e32 v10, 0xff, v9
	s_mov_b32 s4, 0
	s_mov_b32 s2, exec_lo
	s_delay_alu instid0(VALU_DEP_1)
	v_cmpx_eq_u16_e32 0, v10
	s_cbranch_execz .LBB2115_371
; %bb.366:
	v_mov_b64_e32 v[0:1], 0
.LBB2115_367:                           ; =>This Inner Loop Header: Depth=1
	s_wait_xcnt 0x0
	s_add_co_i32 s1, s4, 32
	s_add_co_i32 s4, s4, 8
	scratch_store_b64 off, v[0:1], s1
	s_cmp_lg_u32 s4, 32
	s_cbranch_scc1 .LBB2115_367
; %bb.368:
	s_wait_xcnt 0x0
	s_mov_b32 s1, 0
.LBB2115_369:                           ; =>This Inner Loop Header: Depth=1
	s_wait_xcnt 0x0
	s_add_co_i32 s4, s1, 0x90
	s_add_co_i32 s5, s1, 0x68
	scratch_load_b64 v[0:1], off, s4
	scratch_load_b64 v[2:3], off, s5
	s_wait_xcnt 0x1
	s_add_co_i32 s4, s1, 32
	s_add_co_i32 s1, s1, 8
	s_delay_alu instid0(SALU_CYCLE_1)
	s_cmp_lg_u32 s1, 32
	s_wait_loadcnt 0x0
	v_dual_add_nc_u32 v1, v3, v1 :: v_dual_add_nc_u32 v0, v2, v0
	scratch_store_b64 off, v[0:1], s4
	s_cbranch_scc1 .LBB2115_369
; %bb.370:
	s_clause 0x1
	scratch_load_b128 v[0:3], off, off offset:32
	scratch_load_b128 v[4:7], off, off offset:48
.LBB2115_371:
	s_wait_xcnt 0x0
	s_or_b32 exec_lo, exec_lo, s2
	v_and_b32_e32 v9, 1, v9
	v_and_b32_e32 v10, 1, v12
	s_delay_alu instid0(VALU_DEP_2) | instskip(NEXT) | instid1(VALU_DEP_2)
	v_cmp_eq_u32_e64 s1, 1, v9
	v_cmp_eq_u32_e64 s2, 1, v10
	s_or_b32 s1, s1, s2
	s_delay_alu instid0(SALU_CYCLE_1)
	v_cndmask_b32_e64 v9, 0, 1, s1
	s_clause 0x1
	scratch_store_b8 off, v9, off offset:136
	scratch_load_b32 v11, off, off offset:136
	s_wait_loadcnt 0x2
	scratch_store_b128 off, v[0:3], off offset:104
	s_wait_loadcnt 0x1
	scratch_store_b128 off, v[4:7], off offset:120
	s_wait_loadcnt 0x0
	s_wait_xcnt 0x3
	v_mov_b32_e32 v9, v11
.LBB2115_372:
	s_wait_xcnt 0x0
	s_or_b32 exec_lo, exec_lo, s3
	ds_swizzle_b32 v12, v0 offset:swizzle(BROADCAST,32,15)
	ds_swizzle_b32 v13, v1 offset:swizzle(BROADCAST,32,15)
	;; [unrolled: 1-line block ×9, first 2 shown]
	v_and_b32_e32 v11, 16, v8
	s_mov_b32 s3, exec_lo
	s_wait_dscnt 0x5
	scratch_store_b128 off, v[12:15], off offset:144
	s_wait_dscnt 0x0
	s_clause 0x1
	scratch_store_b128 off, v[18:21], off offset:160
	scratch_store_b32 off, v10, off offset:176
	s_wait_xcnt 0x0
	v_cmpx_ne_u32_e32 0, v11
	s_cbranch_execz .LBB2115_380
; %bb.373:
	v_and_b32_e32 v11, 0xff, v9
	s_mov_b32 s4, 0
	s_mov_b32 s2, exec_lo
	s_delay_alu instid0(VALU_DEP_1)
	v_cmpx_eq_u16_e32 0, v11
	s_cbranch_execz .LBB2115_379
; %bb.374:
	v_mov_b64_e32 v[0:1], 0
.LBB2115_375:                           ; =>This Inner Loop Header: Depth=1
	s_wait_xcnt 0x0
	s_add_co_i32 s1, s4, 32
	s_add_co_i32 s4, s4, 8
	scratch_store_b64 off, v[0:1], s1
	s_cmp_lg_u32 s4, 32
	s_cbranch_scc1 .LBB2115_375
; %bb.376:
	s_wait_xcnt 0x0
	s_mov_b32 s1, 0
.LBB2115_377:                           ; =>This Inner Loop Header: Depth=1
	s_wait_xcnt 0x0
	s_add_co_i32 s4, s1, 0x90
	s_add_co_i32 s5, s1, 0x68
	scratch_load_b64 v[0:1], off, s4
	scratch_load_b64 v[2:3], off, s5
	s_wait_xcnt 0x1
	s_add_co_i32 s4, s1, 32
	s_add_co_i32 s1, s1, 8
	s_delay_alu instid0(SALU_CYCLE_1)
	s_cmp_lg_u32 s1, 32
	s_wait_loadcnt 0x0
	v_dual_add_nc_u32 v1, v3, v1 :: v_dual_add_nc_u32 v0, v2, v0
	scratch_store_b64 off, v[0:1], s4
	s_cbranch_scc1 .LBB2115_377
; %bb.378:
	s_clause 0x1
	scratch_load_b128 v[0:3], off, off offset:32
	scratch_load_b128 v[4:7], off, off offset:48
.LBB2115_379:
	s_wait_xcnt 0x0
	s_or_b32 exec_lo, exec_lo, s2
	v_and_b32_e32 v9, 1, v9
	v_and_b32_e32 v10, 1, v10
	s_delay_alu instid0(VALU_DEP_2) | instskip(NEXT) | instid1(VALU_DEP_2)
	v_cmp_eq_u32_e64 s1, 1, v9
	v_cmp_eq_u32_e64 s2, 1, v10
	s_or_b32 s1, s1, s2
	s_delay_alu instid0(SALU_CYCLE_1)
	v_cndmask_b32_e64 v9, 0, 1, s1
	s_wait_loadcnt 0x1
	scratch_store_b128 off, v[0:3], off offset:104
	s_wait_loadcnt 0x0
	s_clause 0x1
	scratch_store_b128 off, v[4:7], off offset:120
	scratch_store_b8 off, v9, off offset:136
.LBB2115_380:
	s_wait_xcnt 0x0
	s_or_b32 exec_lo, exec_lo, s3
	v_and_b32_e32 v10, 0x3e0, v16
	s_mov_b32 s2, exec_lo
	s_delay_alu instid0(VALU_DEP_1) | instskip(NEXT) | instid1(VALU_DEP_1)
	v_min_u32_e32 v10, 0xe0, v10
	v_dual_lshrrev_b32 v10, 5, v16 :: v_dual_bitop2_b32 v11, 31, v10 bitop3:0x54
	s_delay_alu instid0(VALU_DEP_1)
	v_cmpx_eq_u32_e64 v16, v11
	s_cbranch_execz .LBB2115_382
; %bb.381:
	s_delay_alu instid0(VALU_DEP_2)
	v_mul_u32_u24_e32 v11, 36, v10
	ds_store_2addr_b32 v11, v0, v1 offset1:1
	ds_store_2addr_b32 v11, v2, v3 offset0:2 offset1:3
	ds_store_2addr_b32 v11, v4, v5 offset0:4 offset1:5
	;; [unrolled: 1-line block ×3, first 2 shown]
	ds_store_b8 v11, v9 offset:32
.LBB2115_382:
	s_or_b32 exec_lo, exec_lo, s2
	s_delay_alu instid0(SALU_CYCLE_1)
	s_mov_b32 s3, exec_lo
	s_wait_storecnt_dscnt 0x0
	s_barrier_signal -1
	s_barrier_wait -1
	v_cmpx_gt_u32_e32 8, v16
	s_cbranch_execz .LBB2115_408
; %bb.383:
	v_mul_u32_u24_e32 v9, 36, v16
	v_and_b32_e32 v12, 7, v8
	s_mov_b32 s2, exec_lo
	ds_load_b32 v11, v9 offset:32
	ds_load_2addr_b32 v[4:5], v9 offset0:4 offset1:5
	ds_load_2addr_b32 v[0:1], v9 offset1:1
	ds_load_2addr_b32 v[2:3], v9 offset0:2 offset1:3
	ds_load_2addr_b32 v[6:7], v9 offset0:6 offset1:7
	s_wait_dscnt 0x4
	v_mov_b32_dpp v13, v11 row_shr:1 row_mask:0xf bank_mask:0xf
	s_wait_dscnt 0x3
	v_mov_b32_dpp v22, v4 row_shr:1 row_mask:0xf bank_mask:0xf
	;; [unrolled: 2-line block ×3, first 2 shown]
	v_mov_b32_dpp v19, v1 row_shr:1 row_mask:0xf bank_mask:0xf
	s_wait_dscnt 0x1
	v_mov_b32_dpp v20, v2 row_shr:1 row_mask:0xf bank_mask:0xf
	v_mov_b32_dpp v21, v3 row_shr:1 row_mask:0xf bank_mask:0xf
	;; [unrolled: 1-line block ×3, first 2 shown]
	s_wait_dscnt 0x0
	v_mov_b32_dpp v24, v6 row_shr:1 row_mask:0xf bank_mask:0xf
	v_mov_b32_dpp v25, v7 row_shr:1 row_mask:0xf bank_mask:0xf
	s_clause 0x5
	scratch_store_b32 off, v11, off offset:64
	scratch_store_b128 off, v[0:3], off offset:32
	scratch_store_b128 off, v[4:7], off offset:48
	scratch_store_b128 off, v[18:21], off offset:144
	scratch_store_b128 off, v[22:25], off offset:160
	scratch_store_b32 off, v13, off offset:176
	s_wait_xcnt 0x0
	v_cmpx_ne_u32_e32 0, v12
	s_cbranch_execz .LBB2115_391
; %bb.384:
	v_and_b32_e32 v14, 0xff, v11
	s_mov_b32 s4, exec_lo
	s_delay_alu instid0(VALU_DEP_1)
	v_cmpx_eq_u16_e32 0, v14
	s_cbranch_execz .LBB2115_390
; %bb.385:
	v_mov_b64_e32 v[0:1], 0
	s_mov_b32 s1, 0
.LBB2115_386:                           ; =>This Inner Loop Header: Depth=1
	s_wait_xcnt 0x0
	s_add_co_i32 s5, s1, 0x44
	s_add_co_i32 s1, s1, 8
	scratch_store_b64 off, v[0:1], s5
	s_cmp_lg_u32 s1, 32
	s_cbranch_scc1 .LBB2115_386
; %bb.387:
	s_mov_b32 s1, 0
.LBB2115_388:                           ; =>This Inner Loop Header: Depth=1
	s_wait_xcnt 0x0
	s_add_co_i32 s5, s1, 0x90
	s_add_co_i32 s12, s1, 32
	scratch_load_b64 v[0:1], off, s5
	scratch_load_b64 v[2:3], off, s12
	s_wait_xcnt 0x1
	s_add_co_i32 s5, s1, 0x44
	s_add_co_i32 s1, s1, 8
	s_delay_alu instid0(SALU_CYCLE_1)
	s_cmp_lg_u32 s1, 32
	s_wait_loadcnt 0x0
	v_dual_add_nc_u32 v1, v3, v1 :: v_dual_add_nc_u32 v0, v2, v0
	scratch_store_b64 off, v[0:1], s5
	s_cbranch_scc1 .LBB2115_388
; %bb.389:
	s_clause 0x1
	scratch_load_b128 v[0:3], off, off offset:68
	scratch_load_b128 v[4:7], off, off offset:84
.LBB2115_390:
	s_wait_xcnt 0x0
	s_or_b32 exec_lo, exec_lo, s4
	v_or_b32_e32 v11, v13, v11
	s_delay_alu instid0(VALU_DEP_1)
	v_and_b32_e32 v11, 1, v11
	s_clause 0x1
	scratch_store_b8 off, v11, off offset:64
	scratch_load_b32 v11, off, off offset:64
	s_wait_loadcnt 0x2
	scratch_store_b128 off, v[0:3], off offset:32
	s_wait_loadcnt 0x1
	scratch_store_b128 off, v[4:7], off offset:48
.LBB2115_391:
	s_wait_xcnt 0x0
	s_or_b32 exec_lo, exec_lo, s2
	v_mov_b32_dpp v18, v0 row_shr:2 row_mask:0xf bank_mask:0xf
	v_mov_b32_dpp v19, v1 row_shr:2 row_mask:0xf bank_mask:0xf
	;; [unrolled: 1-line block ×4, first 2 shown]
	s_wait_loadcnt 0x0
	v_mov_b32_dpp v13, v11 row_shr:2 row_mask:0xf bank_mask:0xf
	v_mov_b32_dpp v22, v4 row_shr:2 row_mask:0xf bank_mask:0xf
	;; [unrolled: 1-line block ×5, first 2 shown]
	s_mov_b32 s4, exec_lo
	s_clause 0x2
	scratch_store_b128 off, v[18:21], off offset:144
	scratch_store_b128 off, v[22:25], off offset:160
	scratch_store_b32 off, v13, off offset:176
	s_wait_xcnt 0x0
	v_cmpx_lt_u32_e32 1, v12
	s_cbranch_execz .LBB2115_399
; %bb.392:
	v_and_b32_e32 v14, 0xff, v11
	s_mov_b32 s5, 0
	s_mov_b32 s2, exec_lo
	s_delay_alu instid0(VALU_DEP_1)
	v_cmpx_eq_u16_e32 0, v14
	s_cbranch_execz .LBB2115_398
; %bb.393:
	v_mov_b64_e32 v[0:1], 0
.LBB2115_394:                           ; =>This Inner Loop Header: Depth=1
	s_wait_xcnt 0x0
	s_add_co_i32 s1, s5, 0x44
	s_add_co_i32 s5, s5, 8
	scratch_store_b64 off, v[0:1], s1
	s_cmp_lg_u32 s5, 32
	s_cbranch_scc1 .LBB2115_394
; %bb.395:
	s_wait_xcnt 0x0
	s_mov_b32 s1, 0
.LBB2115_396:                           ; =>This Inner Loop Header: Depth=1
	s_wait_xcnt 0x0
	s_add_co_i32 s5, s1, 0x90
	s_add_co_i32 s12, s1, 32
	scratch_load_b64 v[0:1], off, s5
	scratch_load_b64 v[2:3], off, s12
	s_wait_xcnt 0x1
	s_add_co_i32 s5, s1, 0x44
	s_add_co_i32 s1, s1, 8
	s_delay_alu instid0(SALU_CYCLE_1)
	s_cmp_lg_u32 s1, 32
	s_wait_loadcnt 0x0
	v_dual_add_nc_u32 v1, v3, v1 :: v_dual_add_nc_u32 v0, v2, v0
	scratch_store_b64 off, v[0:1], s5
	s_cbranch_scc1 .LBB2115_396
; %bb.397:
	s_clause 0x1
	scratch_load_b128 v[0:3], off, off offset:68
	scratch_load_b128 v[4:7], off, off offset:84
.LBB2115_398:
	s_wait_xcnt 0x0
	s_or_b32 exec_lo, exec_lo, s2
	v_and_b32_e32 v11, 1, v11
	v_and_b32_e32 v13, 1, v13
	s_delay_alu instid0(VALU_DEP_2) | instskip(NEXT) | instid1(VALU_DEP_2)
	v_cmp_eq_u32_e64 s1, 1, v11
	v_cmp_eq_u32_e64 s2, 1, v13
	s_or_b32 s1, s1, s2
	s_delay_alu instid0(SALU_CYCLE_1)
	v_cndmask_b32_e64 v11, 0, 1, s1
	s_clause 0x1
	scratch_store_b8 off, v11, off offset:64
	scratch_load_b32 v11, off, off offset:64
	s_wait_loadcnt 0x2
	scratch_store_b128 off, v[0:3], off offset:32
	s_wait_loadcnt 0x1
	scratch_store_b128 off, v[4:7], off offset:48
.LBB2115_399:
	s_wait_xcnt 0x0
	s_or_b32 exec_lo, exec_lo, s4
	v_mov_b32_dpp v18, v0 row_shr:4 row_mask:0xf bank_mask:0xf
	v_mov_b32_dpp v19, v1 row_shr:4 row_mask:0xf bank_mask:0xf
	;; [unrolled: 1-line block ×4, first 2 shown]
	s_wait_loadcnt 0x0
	v_mov_b32_dpp v13, v11 row_shr:4 row_mask:0xf bank_mask:0xf
	v_mov_b32_dpp v22, v4 row_shr:4 row_mask:0xf bank_mask:0xf
	v_mov_b32_dpp v23, v5 row_shr:4 row_mask:0xf bank_mask:0xf
	v_mov_b32_dpp v24, v6 row_shr:4 row_mask:0xf bank_mask:0xf
	v_mov_b32_dpp v25, v7 row_shr:4 row_mask:0xf bank_mask:0xf
	s_mov_b32 s4, exec_lo
	s_clause 0x2
	scratch_store_b128 off, v[18:21], off offset:144
	scratch_store_b128 off, v[22:25], off offset:160
	scratch_store_b32 off, v13, off offset:176
	s_wait_xcnt 0x0
	v_cmpx_lt_u32_e32 3, v12
	s_cbranch_execz .LBB2115_407
; %bb.400:
	v_and_b32_e32 v12, 0xff, v11
	s_mov_b32 s5, 0
	s_mov_b32 s2, exec_lo
	s_delay_alu instid0(VALU_DEP_1)
	v_cmpx_eq_u16_e32 0, v12
	s_cbranch_execz .LBB2115_406
; %bb.401:
	v_mov_b64_e32 v[0:1], 0
.LBB2115_402:                           ; =>This Inner Loop Header: Depth=1
	s_wait_xcnt 0x0
	s_add_co_i32 s1, s5, 0x44
	s_add_co_i32 s5, s5, 8
	scratch_store_b64 off, v[0:1], s1
	s_cmp_lg_u32 s5, 32
	s_cbranch_scc1 .LBB2115_402
; %bb.403:
	s_wait_xcnt 0x0
	s_mov_b32 s1, 0
.LBB2115_404:                           ; =>This Inner Loop Header: Depth=1
	s_wait_xcnt 0x0
	s_add_co_i32 s5, s1, 0x90
	s_add_co_i32 s12, s1, 32
	scratch_load_b64 v[0:1], off, s5
	scratch_load_b64 v[2:3], off, s12
	s_wait_xcnt 0x1
	s_add_co_i32 s5, s1, 0x44
	s_add_co_i32 s1, s1, 8
	s_delay_alu instid0(SALU_CYCLE_1)
	s_cmp_lg_u32 s1, 32
	s_wait_loadcnt 0x0
	v_dual_add_nc_u32 v1, v3, v1 :: v_dual_add_nc_u32 v0, v2, v0
	scratch_store_b64 off, v[0:1], s5
	s_cbranch_scc1 .LBB2115_404
; %bb.405:
	s_clause 0x1
	scratch_load_b128 v[0:3], off, off offset:68
	scratch_load_b128 v[4:7], off, off offset:84
.LBB2115_406:
	s_wait_xcnt 0x0
	s_or_b32 exec_lo, exec_lo, s2
	v_and_b32_e32 v11, 1, v11
	v_and_b32_e32 v12, 1, v13
	s_wait_loadcnt 0x1
	scratch_store_b128 off, v[0:3], off offset:32
	s_wait_loadcnt 0x0
	scratch_store_b128 off, v[4:7], off offset:48
	v_cmp_eq_u32_e64 s1, 1, v11
	v_cmp_eq_u32_e64 s2, 1, v12
	s_or_b32 s1, s1, s2
	s_delay_alu instid0(SALU_CYCLE_1)
	v_cndmask_b32_e64 v11, 0, 1, s1
.LBB2115_407:
	s_wait_xcnt 0x0
	s_or_b32 exec_lo, exec_lo, s4
	s_clause 0x1
	scratch_load_b128 v[0:3], off, off offset:32
	scratch_load_b128 v[4:7], off, off offset:48
	s_wait_loadcnt 0x1
	ds_store_2addr_b32 v9, v2, v3 offset0:2 offset1:3
	ds_store_2addr_b32 v9, v0, v1 offset1:1
	s_wait_loadcnt 0x0
	ds_store_2addr_b32 v9, v6, v7 offset0:6 offset1:7
	ds_store_2addr_b32 v9, v4, v5 offset0:4 offset1:5
	ds_store_b8 v9, v11 offset:32
.LBB2115_408:
	s_wait_xcnt 0x0
	s_or_b32 exec_lo, exec_lo, s3
	s_mov_b32 s12, 0
	v_mov_b64_e32 v[0:1], 0
	s_mov_b32 s13, s12
	s_mov_b32 s14, s12
	;; [unrolled: 1-line block ×3, first 2 shown]
	v_mov_b64_e32 v[2:3], s[12:13]
	v_mov_b64_e32 v[4:5], s[14:15]
	v_mov_b32_e32 v6, 0
	s_wait_storecnt_dscnt 0x0
	s_barrier_signal -1
	s_barrier_wait -1
	s_clause 0x2
	scratch_store_b32 off, v6, off offset:176
	scratch_store_b128 off, v[2:5], off offset:160
	scratch_store_b128 off, v[2:5], off offset:144
.LBB2115_409:                           ; =>This Inner Loop Header: Depth=1
	s_wait_xcnt 0x0
	s_add_co_i32 s1, s12, 0x90
	s_add_co_i32 s12, s12, 8
	scratch_store_b64 off, v[0:1], s1
	s_cmp_lg_u32 s12, 32
	s_cbranch_scc1 .LBB2115_409
; %bb.410:
	s_mov_b32 s2, exec_lo
                                        ; implicit-def: $vgpr0_vgpr1
                                        ; implicit-def: $vgpr4_vgpr5
                                        ; implicit-def: $vgpr9
	s_wait_xcnt 0x0
	v_cmpx_lt_u32_e32 31, v16
	s_xor_b32 s2, exec_lo, s2
	s_cbranch_execz .LBB2115_420
; %bb.411:
	scratch_load_u8 v11, off, off offset:136
	v_mad_u32_u24 v6, v10, 36, 0xffffffdc
	v_mad_u32_u24 v9, v10, 36, -4
	ds_load_2addr_b32 v[2:3], v6 offset0:2 offset1:3
	ds_load_2addr_b32 v[4:5], v6 offset0:4 offset1:5
	ds_load_2addr_b32 v[0:1], v6 offset1:1
	ds_load_2addr_b32 v[6:7], v6 offset0:6 offset1:7
	ds_load_u8 v9, v9
	s_wait_dscnt 0x2
	scratch_store_b128 off, v[0:3], off offset:144
	s_wait_dscnt 0x1
	scratch_store_b128 off, v[4:7], off offset:160
                                        ; implicit-def: $vgpr0_vgpr1
                                        ; implicit-def: $vgpr4_vgpr5
	s_wait_loadcnt 0x0
	v_cmp_ne_u16_e64 s1, 0, v11
	s_wait_xcnt 0x0
	s_and_saveexec_b32 s3, s1
	s_delay_alu instid0(SALU_CYCLE_1)
	s_xor_b32 s1, exec_lo, s3
	s_cbranch_execz .LBB2115_413
; %bb.412:
	s_clause 0x1
	scratch_load_b128 v[0:3], off, off offset:104
	scratch_load_b128 v[4:7], off, off offset:120
.LBB2115_413:
	s_wait_xcnt 0x0
	s_and_not1_saveexec_b32 s1, s1
	s_cbranch_execz .LBB2115_419
; %bb.414:
	s_wait_loadcnt 0x1
	v_mov_b64_e32 v[0:1], 0
	s_mov_b32 s3, 0
.LBB2115_415:                           ; =>This Inner Loop Header: Depth=1
	s_wait_xcnt 0x0
	s_add_co_i32 s4, s3, 32
	s_add_co_i32 s3, s3, 8
	scratch_store_b64 off, v[0:1], s4
	s_cmp_lg_u32 s3, 32
	s_cbranch_scc1 .LBB2115_415
; %bb.416:
	s_mov_b32 s3, 0
.LBB2115_417:                           ; =>This Inner Loop Header: Depth=1
	s_wait_xcnt 0x0
	s_add_co_i32 s4, s3, 0x90
	s_add_co_i32 s5, s3, 0x68
	scratch_load_b64 v[0:1], off, s4
	scratch_load_b64 v[2:3], off, s5
	s_wait_xcnt 0x1
	s_add_co_i32 s4, s3, 32
	s_add_co_i32 s3, s3, 8
	s_delay_alu instid0(SALU_CYCLE_1)
	s_cmp_lg_u32 s3, 32
	s_wait_loadcnt 0x0
	v_dual_add_nc_u32 v1, v3, v1 :: v_dual_add_nc_u32 v0, v2, v0
	scratch_store_b64 off, v[0:1], s4
	s_cbranch_scc1 .LBB2115_417
; %bb.418:
	s_clause 0x1
	scratch_load_b128 v[0:3], off, off offset:32
	scratch_load_b128 v[4:7], off, off offset:48
.LBB2115_419:
	s_wait_xcnt 0x0
	s_or_b32 exec_lo, exec_lo, s1
	s_wait_dscnt 0x0
	v_or_b32_e32 v10, v11, v9
	scratch_store_b8 off, v10, off offset:136
.LBB2115_420:
	s_wait_xcnt 0x0
	s_and_not1_saveexec_b32 s1, s2
	s_cbranch_execz .LBB2115_422
; %bb.421:
	s_wait_loadcnt 0x1
	scratch_load_b128 v[0:3], off, off offset:104
	s_wait_loadcnt 0x1
	scratch_load_b128 v[4:7], off, off offset:120
	v_mov_b32_e32 v9, 0
.LBB2115_422:
	s_wait_xcnt 0x0
	s_or_b32 exec_lo, exec_lo, s1
	scratch_load_b32 v11, off, off offset:136
	v_sub_co_u32 v10, s2, v8, 1
	s_delay_alu instid0(VALU_DEP_1) | instskip(NEXT) | instid1(VALU_DEP_1)
	v_cmp_gt_i32_e64 s1, 0, v10
	v_cndmask_b32_e64 v8, v10, v8, s1
	s_delay_alu instid0(VALU_DEP_1)
	v_lshlrev_b32_e32 v8, 2, v8
	s_wait_loadcnt 0x2
	ds_bpermute_b32 v0, v8, v0
	ds_bpermute_b32 v1, v8, v1
	ds_bpermute_b32 v2, v8, v2
	ds_bpermute_b32 v3, v8, v3
	s_wait_loadcnt 0x1
	ds_bpermute_b32 v4, v8, v4
	ds_bpermute_b32 v5, v8, v5
	;; [unrolled: 1-line block ×4, first 2 shown]
	s_wait_loadcnt 0x0
	ds_bpermute_b32 v10, v8, v11
	s_wait_dscnt 0x5
	scratch_store_b128 off, v[0:3], off offset:104
	s_wait_dscnt 0x1
	scratch_store_b128 off, v[4:7], off offset:120
	s_wait_dscnt 0x0
	scratch_store_b8 off, v10, off offset:136
	s_wait_xcnt 0x0
	s_and_saveexec_b32 s1, s2
	s_cbranch_execz .LBB2115_424
; %bb.423:
	s_clause 0x1
	scratch_load_b128 v[0:3], off, off offset:144
	scratch_load_b128 v[4:7], off, off offset:160
	v_mov_b32_e32 v10, v9
	s_wait_loadcnt 0x1
	scratch_store_b128 off, v[0:3], off offset:104
	s_wait_loadcnt 0x0
	s_clause 0x1
	scratch_store_b128 off, v[4:7], off offset:120
	scratch_store_b8 off, v9, off offset:136
.LBB2115_424:
	s_wait_xcnt 0x0
	s_or_b32 exec_lo, exec_lo, s1
	s_clause 0x2
	scratch_load_b128 v[12:15], off, off offset:288
	scratch_load_b128 v[18:21], off, off offset:304
	scratch_load_b32 v8, off, off offset:320
	v_perm_b32 v9, v10, v11, 0x3020104
	s_clause 0x2
	scratch_store_b128 off, v[0:3], off offset:32
	scratch_store_b128 off, v[4:7], off offset:48
	scratch_store_b32 off, v9, off offset:64
	s_wait_loadcnt 0x2
	scratch_store_b128 off, v[12:15], off offset:68
	s_wait_loadcnt 0x1
	scratch_store_b128 off, v[18:21], off offset:84
	s_wait_loadcnt 0x0
	scratch_store_b32 off, v8, off offset:100
                                        ; implicit-def: $vgpr6_vgpr7
                                        ; implicit-def: $vgpr2_vgpr3
	s_wait_xcnt 0x0
	s_and_saveexec_b32 s1, s0
	s_delay_alu instid0(SALU_CYCLE_1)
	s_xor_b32 s1, exec_lo, s1
	s_cbranch_execz .LBB2115_434
; %bb.425:
	v_and_b32_e32 v0, 0xff, v8
                                        ; implicit-def: $vgpr6_vgpr7
	s_delay_alu instid0(VALU_DEP_1) | instskip(SKIP_1) | instid1(SALU_CYCLE_1)
	v_cmp_ne_u16_e64 s0, 0, v0
                                        ; implicit-def: $vgpr2_vgpr3
	s_and_saveexec_b32 s2, s0
	s_xor_b32 s0, exec_lo, s2
	s_cbranch_execz .LBB2115_427
; %bb.426:
	s_clause 0x1
	scratch_load_b128 v[0:3], off, off offset:68
	scratch_load_b128 v[4:7], off, off offset:84
.LBB2115_427:
	s_wait_xcnt 0x0
	s_and_not1_saveexec_b32 s0, s0
	s_cbranch_execz .LBB2115_433
; %bb.428:
	s_wait_loadcnt 0x1
	v_mov_b64_e32 v[0:1], 0
	s_mov_b32 s2, 0
.LBB2115_429:                           ; =>This Inner Loop Header: Depth=1
	s_wait_xcnt 0x0
	s_add_co_i32 s3, s2, 0x90
	s_add_co_i32 s2, s2, 8
	scratch_store_b64 off, v[0:1], s3
	s_cmp_lg_u32 s2, 32
	s_cbranch_scc1 .LBB2115_429
; %bb.430:
	s_mov_b32 s2, 0
.LBB2115_431:                           ; =>This Inner Loop Header: Depth=1
	s_wait_xcnt 0x0
	s_add_co_i32 s3, s2, 32
	s_add_co_i32 s4, s2, 0x44
	scratch_load_b64 v[0:1], off, s3
	scratch_load_b64 v[2:3], off, s4
	s_wait_xcnt 0x1
	s_add_co_i32 s3, s2, 0x90
	s_add_co_i32 s2, s2, 8
	s_delay_alu instid0(SALU_CYCLE_1)
	s_cmp_lg_u32 s2, 32
	s_wait_loadcnt 0x0
	v_dual_add_nc_u32 v1, v3, v1 :: v_dual_add_nc_u32 v0, v2, v0
	scratch_store_b64 off, v[0:1], s3
	s_cbranch_scc1 .LBB2115_431
; %bb.432:
	s_clause 0x1
	scratch_load_b128 v[0:3], off, off offset:144
	scratch_load_b128 v[4:7], off, off offset:160
.LBB2115_433:
	s_wait_xcnt 0x0
	s_or_b32 exec_lo, exec_lo, s0
	v_bitop3_b16 v8, v8, v10, 1 bitop3:0xf8
	s_wait_loadcnt 0x1
	scratch_store_b128 off, v[0:3], off offset:68
	s_wait_loadcnt 0x0
	scratch_store_b128 off, v[4:7], off offset:84
	;;#ASMSTART
	;;#ASMEND
.LBB2115_434:
	s_wait_xcnt 0x0
	s_and_not1_saveexec_b32 s0, s1
	s_cbranch_execz .LBB2115_436
; %bb.435:
	s_clause 0x1
	scratch_load_b128 v[0:3], off, off offset:68
	scratch_load_b128 v[4:7], off, off offset:84
.LBB2115_436:
	s_wait_xcnt 0x0
	s_or_b32 exec_lo, exec_lo, s0
	s_clause 0x4
	scratch_load_u16 v9, off, off offset:101
	scratch_load_u8 v11, off, off offset:103
	scratch_load_b128 v[12:15], off, off offset:68
	scratch_load_b128 v[18:21], off, off offset:84
	scratch_load_u8 v10, off, off offset:356
	s_wait_loadcnt 0x2
	scratch_store_b128 off, v[12:15], off offset:288
	s_wait_loadcnt 0x1
	scratch_store_b128 off, v[18:21], off offset:304
	v_perm_b32 v17, v8, v9, 0xc0c0004
	v_perm_b32 v9, v9, v11, 0xc0c0005
	s_wait_loadcnt 0x0
	v_cmp_ne_u16_e64 s0, 0, v10
	s_delay_alu instid0(VALU_DEP_2)
	v_lshl_or_b32 v9, v9, 16, v17
	s_clause 0x3
	scratch_store_b8 off, v8, off offset:320
	scratch_store_b128 off, v[0:3], off offset:144
	scratch_store_b128 off, v[4:7], off offset:160
	scratch_store_b32 off, v9, off offset:176
                                        ; implicit-def: $vgpr6_vgpr7
                                        ; implicit-def: $vgpr2_vgpr3
	s_wait_xcnt 0x0
	s_and_saveexec_b32 s1, s0
	s_delay_alu instid0(SALU_CYCLE_1)
	s_xor_b32 s0, exec_lo, s1
	s_cbranch_execz .LBB2115_438
; %bb.437:
	s_clause 0x1
	scratch_load_b128 v[0:3], off, off offset:324
	scratch_load_b128 v[4:7], off, off offset:340
.LBB2115_438:
	s_wait_xcnt 0x0
	s_and_not1_saveexec_b32 s0, s0
	s_cbranch_execz .LBB2115_444
; %bb.439:
	s_wait_loadcnt 0x1
	v_mov_b64_e32 v[0:1], 0
	s_mov_b32 s1, 0
.LBB2115_440:                           ; =>This Inner Loop Header: Depth=1
	s_wait_xcnt 0x0
	s_mov_b32 s2, s1
	s_add_co_i32 s1, s1, 8
	scratch_store_b64 off, v[0:1], s2
	s_cmp_lg_u32 s1, 32
	s_cbranch_scc1 .LBB2115_440
; %bb.441:
	s_mov_b32 s1, 0
.LBB2115_442:                           ; =>This Inner Loop Header: Depth=1
	s_wait_xcnt 0x0
	s_add_co_i32 s2, s1, 0x90
	s_add_co_i32 s3, s11, s1
	scratch_load_b64 v[0:1], off, s2
	scratch_load_b64 v[2:3], off, s3
	s_wait_xcnt 0x1
	s_mov_b32 s2, s1
	s_add_co_i32 s1, s1, 8
	s_delay_alu instid0(SALU_CYCLE_1)
	s_cmp_lg_u32 s1, 32
	s_wait_loadcnt 0x0
	v_dual_add_nc_u32 v1, v3, v1 :: v_dual_add_nc_u32 v0, v2, v0
	scratch_store_b64 off, v[0:1], s2
	s_cbranch_scc1 .LBB2115_442
; %bb.443:
	s_clause 0x1
	scratch_load_b128 v[0:3], off, off
	scratch_load_b128 v[4:7], off, off offset:16
.LBB2115_444:
	s_wait_xcnt 0x0
	s_or_b32 exec_lo, exec_lo, s0
	scratch_load_u8 v9, off, off offset:392
	v_or_b32_e32 v8, v10, v8
	s_wait_loadcnt 0x2
	scratch_store_b128 off, v[0:3], off offset:144
	s_wait_loadcnt 0x1
	scratch_store_b128 off, v[4:7], off offset:160
	s_clause 0x1
	scratch_store_b128 off, v[0:3], s11
	scratch_store_b128 off, v[4:7], s11 offset:16
	scratch_store_b8 off, v8, off offset:356
                                        ; implicit-def: $vgpr6_vgpr7
                                        ; implicit-def: $vgpr2_vgpr3
	s_wait_loadcnt 0x0
	v_cmp_ne_u16_e64 s0, 0, v9
	s_wait_xcnt 0x0
	s_and_saveexec_b32 s1, s0
	s_delay_alu instid0(SALU_CYCLE_1)
	s_xor_b32 s0, exec_lo, s1
	s_cbranch_execz .LBB2115_446
; %bb.445:
	s_clause 0x1
	scratch_load_b128 v[0:3], off, off offset:360
	scratch_load_b128 v[4:7], off, off offset:376
.LBB2115_446:
	s_wait_xcnt 0x0
	s_and_not1_saveexec_b32 s0, s0
	s_cbranch_execz .LBB2115_452
; %bb.447:
	s_wait_loadcnt 0x1
	v_mov_b64_e32 v[0:1], 0
	s_mov_b32 s1, 0
.LBB2115_448:                           ; =>This Inner Loop Header: Depth=1
	s_wait_xcnt 0x0
	s_mov_b32 s2, s1
	s_add_co_i32 s1, s1, 8
	scratch_store_b64 off, v[0:1], s2
	s_cmp_lg_u32 s1, 32
	s_cbranch_scc1 .LBB2115_448
; %bb.449:
	s_mov_b32 s1, 0
.LBB2115_450:                           ; =>This Inner Loop Header: Depth=1
	s_wait_xcnt 0x0
	s_add_co_i32 s2, s1, 0x90
	s_add_co_i32 s3, s38, s1
	scratch_load_b64 v[0:1], off, s2
	scratch_load_b64 v[2:3], off, s3
	s_wait_xcnt 0x1
	s_mov_b32 s2, s1
	s_add_co_i32 s1, s1, 8
	s_delay_alu instid0(SALU_CYCLE_1)
	s_cmp_lg_u32 s1, 32
	s_wait_loadcnt 0x0
	v_dual_add_nc_u32 v1, v3, v1 :: v_dual_add_nc_u32 v0, v2, v0
	scratch_store_b64 off, v[0:1], s2
	s_cbranch_scc1 .LBB2115_450
; %bb.451:
	s_clause 0x1
	scratch_load_b128 v[0:3], off, off
	scratch_load_b128 v[4:7], off, off offset:16
.LBB2115_452:
	s_wait_xcnt 0x0
	s_or_b32 exec_lo, exec_lo, s0
	v_dual_mov_b32 v10, 0 :: v_dual_bitop2_b32 v9, 1, v9 bitop3:0x40
	v_and_b32_e32 v11, 0xff, v8
	ds_load_2addr_b32 v[14:15], v10 offset0:65 offset1:66
	ds_load_2addr_b32 v[20:21], v10 offset0:69 offset1:70
	;; [unrolled: 1-line block ×4, first 2 shown]
	ds_load_u8 v8, v10 offset:284
	v_cmp_ne_u16_e64 s0, 0, v11
	v_cmp_eq_u32_e64 s1, 1, v9
	s_or_b32 s0, s0, s1
	s_delay_alu instid0(SALU_CYCLE_1)
	v_cndmask_b32_e64 v9, 0, 1, s0
	s_wait_loadcnt 0x1
	scratch_store_b128 off, v[0:3], s38
	s_wait_loadcnt 0x0
	scratch_store_b128 off, v[4:7], s38 offset:16
	scratch_store_b8 off, v9, off offset:392
	s_wait_dscnt 0x1
	s_clause 0x1
	scratch_store_b128 off, v[12:15], off offset:240
	scratch_store_b128 off, v[18:21], off offset:256
	s_wait_dscnt 0x0
	scratch_store_b8 off, v8, off offset:272
	s_wait_xcnt 0x0
	s_and_saveexec_b32 s0, vcc_lo
	s_cbranch_execz .LBB2115_454
; %bb.453:
	s_clause 0x1
	scratch_load_b128 v[0:3], off, off offset:240
	scratch_load_b128 v[4:7], off, off offset:256
	v_mov_b32_e32 v9, 2
	global_store_b8 v10, v8, s[6:7] offset:1184
	s_wait_loadcnt 0x1
	global_store_b128 v10, v[0:3], s[6:7] offset:1152
	s_wait_loadcnt 0x0
	global_store_b128 v10, v[4:7], s[6:7] offset:1168
	global_wb scope:SCOPE_DEV
	s_wait_storecnt 0x0
	global_inv scope:SCOPE_DEV
	s_wait_xcnt 0x0
	global_store_b8 v10, v9, s[8:9] offset:32 scope:SCOPE_DEV
.LBB2115_454:
	s_wait_xcnt 0x0
	s_or_b32 exec_lo, exec_lo, s0
.LBB2115_455:
	s_wait_xcnt 0x2
	v_mov_b64_e32 v[0:1], 0
	s_mov_b32 s0, 0
.LBB2115_456:                           ; =>This Inner Loop Header: Depth=1
	s_wait_xcnt 0x0
	s_add_co_i32 s1, s0, 0x90
	s_add_co_i32 s0, s0, 8
	scratch_store_b64 off, v[0:1], s1
	s_cmp_lg_u32 s0, 32
	s_cbranch_scc1 .LBB2115_456
; %bb.457:
	s_wait_xcnt 0x0
	v_mov_b64_e32 v[0:1], 0
	s_mov_b32 s0, 32
.LBB2115_458:                           ; =>This Inner Loop Header: Depth=1
	s_wait_xcnt 0x0
	s_add_co_i32 s1, s0, 0x90
	s_add_co_i32 s0, s0, 8
	scratch_store_b64 off, v[0:1], s1
	s_cmp_lg_u32 s0, 64
	s_cbranch_scc1 .LBB2115_458
; %bb.459:
	;; [unrolled: 11-line block ×3, first 2 shown]
	s_wait_xcnt 0x0
	s_add_nc_u64 s[0:1], s[18:19], s[24:25]
	s_and_b32 vcc_lo, exec_lo, s31
	s_add_nc_u64 s[0:1], s[0:1], s[16:17]
	s_cbranch_vccz .LBB2115_471
; %bb.462:
	v_mul_u32_u24_e32 v0, 3, v16
	s_add_co_i32 s40, s40, s10
	s_mov_b32 s2, exec_lo
	s_delay_alu instid0(VALU_DEP_1)
	v_cmpx_gt_u32_e64 s40, v0
	s_cbranch_execz .LBB2115_466
; %bb.463:
	s_clause 0x1
	scratch_load_b128 v[2:5], off, off offset:288
	scratch_load_b128 v[6:9], off, off offset:304
	v_add_nc_u32_e32 v1, 1, v0
	s_wait_loadcnt 0x1
	scratch_store_b128 off, v[2:5], off offset:144
	s_wait_loadcnt 0x0
	scratch_store_b128 off, v[6:9], off offset:160
	v_cmp_gt_u32_e32 vcc_lo, s40, v1
	s_wait_xcnt 0x0
	s_and_b32 exec_lo, exec_lo, vcc_lo
	s_cbranch_execz .LBB2115_466
; %bb.464:
	s_clause 0x1
	scratch_load_b128 v[2:5], off, s11
	scratch_load_b128 v[6:9], off, s11 offset:16
	v_add_nc_u32_e32 v1, 2, v0
	s_wait_loadcnt 0x1
	scratch_store_b128 off, v[2:5], s39
	s_wait_loadcnt 0x0
	scratch_store_b128 off, v[6:9], s39 offset:16
	v_cmp_gt_u32_e32 vcc_lo, s40, v1
	s_wait_xcnt 0x0
	s_and_b32 exec_lo, exec_lo, vcc_lo
	s_cbranch_execz .LBB2115_466
; %bb.465:
	s_clause 0x1
	scratch_load_b128 v[2:5], off, s38
	scratch_load_b128 v[6:9], off, s38 offset:16
	s_wait_loadcnt 0x1
	scratch_store_b128 off, v[2:5], s33
	s_wait_loadcnt 0x0
	scratch_store_b128 off, v[6:9], s33 offset:16
.LBB2115_466:
	s_wait_xcnt 0x0
	s_or_b32 exec_lo, exec_lo, s2
	s_wait_loadcnt 0x0
	s_wait_storecnt 0x0
	s_barrier_signal -1
	s_barrier_wait -1
	s_clause 0x1
	scratch_load_b128 v[4:7], off, off offset:144
	scratch_load_b128 v[8:11], off, off offset:160
	s_clause 0x3
	scratch_load_b128 v[12:15], off, s39
	scratch_load_b128 v[18:21], off, s39 offset:16
	scratch_load_b128 v[22:25], off, s33
	scratch_load_b128 v[26:29], off, s33 offset:16
	v_lshlrev_b32_e32 v0, 5, v0
	v_lshlrev_b32_e32 v1, 6, v16
	s_mov_b32 s2, exec_lo
	s_delay_alu instid0(VALU_DEP_1)
	v_dual_mov_b32 v1, 0 :: v_dual_sub_nc_u32 v2, v0, v1
	s_wait_loadcnt 0x5
	ds_store_b128 v0, v[4:7]
	s_wait_loadcnt 0x4
	ds_store_b128 v0, v[8:11] offset:16
	s_wait_loadcnt 0x3
	ds_store_b128 v0, v[12:15] offset:32
	;; [unrolled: 2-line block ×5, first 2 shown]
	s_wait_dscnt 0x0
	s_barrier_signal -1
	s_barrier_wait -1
	ds_load_b128 v[4:7], v2 offset:8192
	ds_load_b128 v[8:11], v2 offset:8208
	;; [unrolled: 1-line block ×4, first 2 shown]
	v_lshlrev_b32_e32 v0, 5, v16
	s_wait_dscnt 0x3
	scratch_store_b128 off, v[4:7], s39
	s_wait_dscnt 0x2
	scratch_store_b128 off, v[8:11], s39 offset:16
	s_wait_dscnt 0x1
	scratch_store_b128 off, v[12:15], s33
	s_wait_dscnt 0x0
	scratch_store_b128 off, v[18:21], s33 offset:16
	v_add_nc_u64_e32 v[0:1], s[0:1], v[0:1]
	s_wait_xcnt 0x0
	v_cmpx_gt_u32_e64 s40, v16
	s_cbranch_execz .LBB2115_468
; %bb.467:
	ds_load_2addr_b32 v[4:5], v2 offset0:2 offset1:3
	ds_load_2addr_b32 v[6:7], v2 offset0:4 offset1:5
	;; [unrolled: 1-line block ×3, first 2 shown]
	ds_load_2addr_b32 v[2:3], v2 offset1:1
	s_wait_dscnt 0x0
	s_clause 0x1
	flat_store_b128 v[0:1], v[2:5]
	flat_store_b128 v[0:1], v[6:9] offset:16
.LBB2115_468:
	s_wait_xcnt 0x0
	s_or_b32 exec_lo, exec_lo, s2
	v_add_nc_u32_e32 v2, 0x100, v16
	s_mov_b32 s2, exec_lo
	s_delay_alu instid0(VALU_DEP_1)
	v_cmpx_gt_u32_e64 s40, v2
	s_cbranch_execz .LBB2115_470
; %bb.469:
	scratch_load_b128 v[2:5], off, s39
	s_wait_loadcnt 0x0
	flat_store_b128 v[0:1], v[2:5] offset:8192
	scratch_load_b128 v[2:5], off, s39 offset:16
	s_wait_loadcnt 0x0
	flat_store_b128 v[0:1], v[2:5] offset:8208
.LBB2115_470:
	s_wait_xcnt 0x0
	s_or_b32 exec_lo, exec_lo, s2
	v_add_nc_u32_e32 v0, 0x200, v16
	s_delay_alu instid0(VALU_DEP_1)
	v_cmp_gt_u32_e64 s2, s40, v0
	s_branch .LBB2115_473
.LBB2115_471:
	s_mov_b32 s2, 0
	s_cbranch_execz .LBB2115_473
; %bb.472:
	s_clause 0x1
	scratch_load_b128 v[0:3], off, off offset:288
	scratch_load_b128 v[4:7], off, off offset:304
	s_clause 0x3
	scratch_load_b128 v[8:11], off, s11
	scratch_load_b128 v[12:15], off, s11 offset:16
	scratch_load_b128 v[18:21], off, s38
	scratch_load_b128 v[22:25], off, s38 offset:16
	v_mul_u32_u24_e32 v17, 0x60, v16
	v_lshlrev_b32_e32 v26, 6, v16
	s_or_b32 s2, s2, exec_lo
	s_wait_loadcnt 0x5
	scratch_store_b128 off, v[0:3], off offset:144
	s_wait_loadcnt 0x4
	scratch_store_b128 off, v[4:7], off offset:160
	s_wait_loadcnt 0x3
	scratch_store_b128 off, v[8:11], s39
	s_wait_loadcnt 0x2
	scratch_store_b128 off, v[12:15], s39 offset:16
	s_wait_loadcnt 0x1
	scratch_store_b128 off, v[18:21], s33
	s_wait_loadcnt 0x0
	scratch_store_b128 off, v[22:25], s33 offset:16
	s_wait_storecnt_dscnt 0x0
	s_barrier_signal -1
	s_barrier_wait -1
	s_clause 0x1
	scratch_load_b128 v[0:3], off, off offset:144
	scratch_load_b128 v[4:7], off, off offset:160
	s_clause 0x3
	scratch_load_b128 v[8:11], off, s39
	scratch_load_b128 v[12:15], off, s39 offset:16
	scratch_load_b128 v[18:21], off, s33
	scratch_load_b128 v[22:25], off, s33 offset:16
	v_sub_nc_u32_e32 v26, v17, v26
	s_wait_loadcnt 0x5
	ds_store_b128 v17, v[0:3]
	s_wait_loadcnt 0x4
	ds_store_b128 v17, v[4:7] offset:16
	s_wait_loadcnt 0x3
	ds_store_b128 v17, v[8:11] offset:32
	;; [unrolled: 2-line block ×5, first 2 shown]
	s_wait_dscnt 0x0
	s_barrier_signal -1
	s_barrier_wait -1
	ds_load_b128 v[0:3], v26 offset:8192
	ds_load_b128 v[4:7], v26 offset:8208
	;; [unrolled: 1-line block ×4, first 2 shown]
	ds_load_2addr_b32 v[20:21], v26 offset0:6 offset1:7
	ds_load_2addr_b32 v[18:19], v26 offset0:4 offset1:5
	ds_load_2addr_b32 v[22:23], v26 offset1:1
	ds_load_2addr_b32 v[24:25], v26 offset0:2 offset1:3
	v_lshlrev_b32_e32 v17, 5, v16
	s_wait_dscnt 0x7
	scratch_store_b128 off, v[0:3], s39
	s_wait_dscnt 0x6
	scratch_store_b128 off, v[4:7], s39 offset:16
	s_wait_dscnt 0x5
	scratch_store_b128 off, v[8:11], s33
	s_wait_dscnt 0x4
	scratch_store_b128 off, v[12:15], s33 offset:16
	s_wait_dscnt 0x2
	flat_store_b128 v17, v[18:21], s[0:1] offset:16
	s_wait_dscnt 0x1
	s_clause 0x2
	flat_store_b128 v17, v[22:25], s[0:1]
	flat_store_b128 v17, v[0:3], s[0:1] offset:8192
	flat_store_b128 v17, v[4:7], s[0:1] offset:8208
.LBB2115_473:
	s_wait_xcnt 0x0
	s_delay_alu instid0(VALU_DEP_1)
	s_and_saveexec_b32 s3, s2
	s_cbranch_execnz .LBB2115_475
; %bb.474:
	s_endpgm
.LBB2115_475:
	scratch_load_b128 v[0:3], off, s33
	v_lshlrev_b32_e32 v4, 5, v16
	s_wait_loadcnt 0x0
	flat_store_b128 v4, v[0:3], s[0:1] offset:16384
	scratch_load_b128 v[0:3], off, s33 offset:16
	s_wait_loadcnt 0x0
	flat_store_b128 v4, v[0:3], s[0:1] offset:16400
	s_endpgm
	.section	.rodata,"a",@progbits
	.p2align	6, 0x0
	.amdhsa_kernel _ZN7rocprim17ROCPRIM_400000_NS6detail17trampoline_kernelINS0_14default_configENS1_27scan_by_key_config_selectorIj11FixedVectorIiLj8EEEEZZNS1_16scan_by_key_implILNS1_25lookback_scan_determinismE0ELb0ES3_N6thrust23THRUST_200600_302600_NS6detail15normal_iteratorINSB_10device_ptrIjEEEENSD_INSE_IS6_EEEESI_S6_NSB_4plusIvEENSB_8equal_toIvEES6_EE10hipError_tPvRmT2_T3_T4_T5_mT6_T7_P12ihipStream_tbENKUlT_T0_E_clISt17integral_constantIbLb0EES13_EEDaSY_SZ_EUlSY_E_NS1_11comp_targetILNS1_3genE0ELNS1_11target_archE4294967295ELNS1_3gpuE0ELNS1_3repE0EEENS1_30default_config_static_selectorELNS0_4arch9wavefront6targetE0EEEvT1_
		.amdhsa_group_segment_fixed_size 33792
		.amdhsa_private_segment_fixed_size 400
		.amdhsa_kernarg_size 160
		.amdhsa_user_sgpr_count 4
		.amdhsa_user_sgpr_dispatch_ptr 1
		.amdhsa_user_sgpr_queue_ptr 0
		.amdhsa_user_sgpr_kernarg_segment_ptr 1
		.amdhsa_user_sgpr_dispatch_id 0
		.amdhsa_user_sgpr_kernarg_preload_length 0
		.amdhsa_user_sgpr_kernarg_preload_offset 0
		.amdhsa_user_sgpr_private_segment_size 0
		.amdhsa_wavefront_size32 1
		.amdhsa_uses_dynamic_stack 0
		.amdhsa_enable_private_segment 1
		.amdhsa_system_sgpr_workgroup_id_x 1
		.amdhsa_system_sgpr_workgroup_id_y 0
		.amdhsa_system_sgpr_workgroup_id_z 0
		.amdhsa_system_sgpr_workgroup_info 0
		.amdhsa_system_vgpr_workitem_id 2
		.amdhsa_next_free_vgpr 47
		.amdhsa_next_free_sgpr 44
		.amdhsa_named_barrier_count 0
		.amdhsa_reserve_vcc 1
		.amdhsa_float_round_mode_32 0
		.amdhsa_float_round_mode_16_64 0
		.amdhsa_float_denorm_mode_32 3
		.amdhsa_float_denorm_mode_16_64 3
		.amdhsa_fp16_overflow 0
		.amdhsa_memory_ordered 1
		.amdhsa_forward_progress 1
		.amdhsa_inst_pref_size 202
		.amdhsa_round_robin_scheduling 0
		.amdhsa_exception_fp_ieee_invalid_op 0
		.amdhsa_exception_fp_denorm_src 0
		.amdhsa_exception_fp_ieee_div_zero 0
		.amdhsa_exception_fp_ieee_overflow 0
		.amdhsa_exception_fp_ieee_underflow 0
		.amdhsa_exception_fp_ieee_inexact 0
		.amdhsa_exception_int_div_zero 0
	.end_amdhsa_kernel
	.section	.text._ZN7rocprim17ROCPRIM_400000_NS6detail17trampoline_kernelINS0_14default_configENS1_27scan_by_key_config_selectorIj11FixedVectorIiLj8EEEEZZNS1_16scan_by_key_implILNS1_25lookback_scan_determinismE0ELb0ES3_N6thrust23THRUST_200600_302600_NS6detail15normal_iteratorINSB_10device_ptrIjEEEENSD_INSE_IS6_EEEESI_S6_NSB_4plusIvEENSB_8equal_toIvEES6_EE10hipError_tPvRmT2_T3_T4_T5_mT6_T7_P12ihipStream_tbENKUlT_T0_E_clISt17integral_constantIbLb0EES13_EEDaSY_SZ_EUlSY_E_NS1_11comp_targetILNS1_3genE0ELNS1_11target_archE4294967295ELNS1_3gpuE0ELNS1_3repE0EEENS1_30default_config_static_selectorELNS0_4arch9wavefront6targetE0EEEvT1_,"axG",@progbits,_ZN7rocprim17ROCPRIM_400000_NS6detail17trampoline_kernelINS0_14default_configENS1_27scan_by_key_config_selectorIj11FixedVectorIiLj8EEEEZZNS1_16scan_by_key_implILNS1_25lookback_scan_determinismE0ELb0ES3_N6thrust23THRUST_200600_302600_NS6detail15normal_iteratorINSB_10device_ptrIjEEEENSD_INSE_IS6_EEEESI_S6_NSB_4plusIvEENSB_8equal_toIvEES6_EE10hipError_tPvRmT2_T3_T4_T5_mT6_T7_P12ihipStream_tbENKUlT_T0_E_clISt17integral_constantIbLb0EES13_EEDaSY_SZ_EUlSY_E_NS1_11comp_targetILNS1_3genE0ELNS1_11target_archE4294967295ELNS1_3gpuE0ELNS1_3repE0EEENS1_30default_config_static_selectorELNS0_4arch9wavefront6targetE0EEEvT1_,comdat
.Lfunc_end2115:
	.size	_ZN7rocprim17ROCPRIM_400000_NS6detail17trampoline_kernelINS0_14default_configENS1_27scan_by_key_config_selectorIj11FixedVectorIiLj8EEEEZZNS1_16scan_by_key_implILNS1_25lookback_scan_determinismE0ELb0ES3_N6thrust23THRUST_200600_302600_NS6detail15normal_iteratorINSB_10device_ptrIjEEEENSD_INSE_IS6_EEEESI_S6_NSB_4plusIvEENSB_8equal_toIvEES6_EE10hipError_tPvRmT2_T3_T4_T5_mT6_T7_P12ihipStream_tbENKUlT_T0_E_clISt17integral_constantIbLb0EES13_EEDaSY_SZ_EUlSY_E_NS1_11comp_targetILNS1_3genE0ELNS1_11target_archE4294967295ELNS1_3gpuE0ELNS1_3repE0EEENS1_30default_config_static_selectorELNS0_4arch9wavefront6targetE0EEEvT1_, .Lfunc_end2115-_ZN7rocprim17ROCPRIM_400000_NS6detail17trampoline_kernelINS0_14default_configENS1_27scan_by_key_config_selectorIj11FixedVectorIiLj8EEEEZZNS1_16scan_by_key_implILNS1_25lookback_scan_determinismE0ELb0ES3_N6thrust23THRUST_200600_302600_NS6detail15normal_iteratorINSB_10device_ptrIjEEEENSD_INSE_IS6_EEEESI_S6_NSB_4plusIvEENSB_8equal_toIvEES6_EE10hipError_tPvRmT2_T3_T4_T5_mT6_T7_P12ihipStream_tbENKUlT_T0_E_clISt17integral_constantIbLb0EES13_EEDaSY_SZ_EUlSY_E_NS1_11comp_targetILNS1_3genE0ELNS1_11target_archE4294967295ELNS1_3gpuE0ELNS1_3repE0EEENS1_30default_config_static_selectorELNS0_4arch9wavefront6targetE0EEEvT1_
                                        ; -- End function
	.set _ZN7rocprim17ROCPRIM_400000_NS6detail17trampoline_kernelINS0_14default_configENS1_27scan_by_key_config_selectorIj11FixedVectorIiLj8EEEEZZNS1_16scan_by_key_implILNS1_25lookback_scan_determinismE0ELb0ES3_N6thrust23THRUST_200600_302600_NS6detail15normal_iteratorINSB_10device_ptrIjEEEENSD_INSE_IS6_EEEESI_S6_NSB_4plusIvEENSB_8equal_toIvEES6_EE10hipError_tPvRmT2_T3_T4_T5_mT6_T7_P12ihipStream_tbENKUlT_T0_E_clISt17integral_constantIbLb0EES13_EEDaSY_SZ_EUlSY_E_NS1_11comp_targetILNS1_3genE0ELNS1_11target_archE4294967295ELNS1_3gpuE0ELNS1_3repE0EEENS1_30default_config_static_selectorELNS0_4arch9wavefront6targetE0EEEvT1_.num_vgpr, 47
	.set _ZN7rocprim17ROCPRIM_400000_NS6detail17trampoline_kernelINS0_14default_configENS1_27scan_by_key_config_selectorIj11FixedVectorIiLj8EEEEZZNS1_16scan_by_key_implILNS1_25lookback_scan_determinismE0ELb0ES3_N6thrust23THRUST_200600_302600_NS6detail15normal_iteratorINSB_10device_ptrIjEEEENSD_INSE_IS6_EEEESI_S6_NSB_4plusIvEENSB_8equal_toIvEES6_EE10hipError_tPvRmT2_T3_T4_T5_mT6_T7_P12ihipStream_tbENKUlT_T0_E_clISt17integral_constantIbLb0EES13_EEDaSY_SZ_EUlSY_E_NS1_11comp_targetILNS1_3genE0ELNS1_11target_archE4294967295ELNS1_3gpuE0ELNS1_3repE0EEENS1_30default_config_static_selectorELNS0_4arch9wavefront6targetE0EEEvT1_.num_agpr, 0
	.set _ZN7rocprim17ROCPRIM_400000_NS6detail17trampoline_kernelINS0_14default_configENS1_27scan_by_key_config_selectorIj11FixedVectorIiLj8EEEEZZNS1_16scan_by_key_implILNS1_25lookback_scan_determinismE0ELb0ES3_N6thrust23THRUST_200600_302600_NS6detail15normal_iteratorINSB_10device_ptrIjEEEENSD_INSE_IS6_EEEESI_S6_NSB_4plusIvEENSB_8equal_toIvEES6_EE10hipError_tPvRmT2_T3_T4_T5_mT6_T7_P12ihipStream_tbENKUlT_T0_E_clISt17integral_constantIbLb0EES13_EEDaSY_SZ_EUlSY_E_NS1_11comp_targetILNS1_3genE0ELNS1_11target_archE4294967295ELNS1_3gpuE0ELNS1_3repE0EEENS1_30default_config_static_selectorELNS0_4arch9wavefront6targetE0EEEvT1_.numbered_sgpr, 44
	.set _ZN7rocprim17ROCPRIM_400000_NS6detail17trampoline_kernelINS0_14default_configENS1_27scan_by_key_config_selectorIj11FixedVectorIiLj8EEEEZZNS1_16scan_by_key_implILNS1_25lookback_scan_determinismE0ELb0ES3_N6thrust23THRUST_200600_302600_NS6detail15normal_iteratorINSB_10device_ptrIjEEEENSD_INSE_IS6_EEEESI_S6_NSB_4plusIvEENSB_8equal_toIvEES6_EE10hipError_tPvRmT2_T3_T4_T5_mT6_T7_P12ihipStream_tbENKUlT_T0_E_clISt17integral_constantIbLb0EES13_EEDaSY_SZ_EUlSY_E_NS1_11comp_targetILNS1_3genE0ELNS1_11target_archE4294967295ELNS1_3gpuE0ELNS1_3repE0EEENS1_30default_config_static_selectorELNS0_4arch9wavefront6targetE0EEEvT1_.num_named_barrier, 0
	.set _ZN7rocprim17ROCPRIM_400000_NS6detail17trampoline_kernelINS0_14default_configENS1_27scan_by_key_config_selectorIj11FixedVectorIiLj8EEEEZZNS1_16scan_by_key_implILNS1_25lookback_scan_determinismE0ELb0ES3_N6thrust23THRUST_200600_302600_NS6detail15normal_iteratorINSB_10device_ptrIjEEEENSD_INSE_IS6_EEEESI_S6_NSB_4plusIvEENSB_8equal_toIvEES6_EE10hipError_tPvRmT2_T3_T4_T5_mT6_T7_P12ihipStream_tbENKUlT_T0_E_clISt17integral_constantIbLb0EES13_EEDaSY_SZ_EUlSY_E_NS1_11comp_targetILNS1_3genE0ELNS1_11target_archE4294967295ELNS1_3gpuE0ELNS1_3repE0EEENS1_30default_config_static_selectorELNS0_4arch9wavefront6targetE0EEEvT1_.private_seg_size, 400
	.set _ZN7rocprim17ROCPRIM_400000_NS6detail17trampoline_kernelINS0_14default_configENS1_27scan_by_key_config_selectorIj11FixedVectorIiLj8EEEEZZNS1_16scan_by_key_implILNS1_25lookback_scan_determinismE0ELb0ES3_N6thrust23THRUST_200600_302600_NS6detail15normal_iteratorINSB_10device_ptrIjEEEENSD_INSE_IS6_EEEESI_S6_NSB_4plusIvEENSB_8equal_toIvEES6_EE10hipError_tPvRmT2_T3_T4_T5_mT6_T7_P12ihipStream_tbENKUlT_T0_E_clISt17integral_constantIbLb0EES13_EEDaSY_SZ_EUlSY_E_NS1_11comp_targetILNS1_3genE0ELNS1_11target_archE4294967295ELNS1_3gpuE0ELNS1_3repE0EEENS1_30default_config_static_selectorELNS0_4arch9wavefront6targetE0EEEvT1_.uses_vcc, 1
	.set _ZN7rocprim17ROCPRIM_400000_NS6detail17trampoline_kernelINS0_14default_configENS1_27scan_by_key_config_selectorIj11FixedVectorIiLj8EEEEZZNS1_16scan_by_key_implILNS1_25lookback_scan_determinismE0ELb0ES3_N6thrust23THRUST_200600_302600_NS6detail15normal_iteratorINSB_10device_ptrIjEEEENSD_INSE_IS6_EEEESI_S6_NSB_4plusIvEENSB_8equal_toIvEES6_EE10hipError_tPvRmT2_T3_T4_T5_mT6_T7_P12ihipStream_tbENKUlT_T0_E_clISt17integral_constantIbLb0EES13_EEDaSY_SZ_EUlSY_E_NS1_11comp_targetILNS1_3genE0ELNS1_11target_archE4294967295ELNS1_3gpuE0ELNS1_3repE0EEENS1_30default_config_static_selectorELNS0_4arch9wavefront6targetE0EEEvT1_.uses_flat_scratch, 1
	.set _ZN7rocprim17ROCPRIM_400000_NS6detail17trampoline_kernelINS0_14default_configENS1_27scan_by_key_config_selectorIj11FixedVectorIiLj8EEEEZZNS1_16scan_by_key_implILNS1_25lookback_scan_determinismE0ELb0ES3_N6thrust23THRUST_200600_302600_NS6detail15normal_iteratorINSB_10device_ptrIjEEEENSD_INSE_IS6_EEEESI_S6_NSB_4plusIvEENSB_8equal_toIvEES6_EE10hipError_tPvRmT2_T3_T4_T5_mT6_T7_P12ihipStream_tbENKUlT_T0_E_clISt17integral_constantIbLb0EES13_EEDaSY_SZ_EUlSY_E_NS1_11comp_targetILNS1_3genE0ELNS1_11target_archE4294967295ELNS1_3gpuE0ELNS1_3repE0EEENS1_30default_config_static_selectorELNS0_4arch9wavefront6targetE0EEEvT1_.has_dyn_sized_stack, 0
	.set _ZN7rocprim17ROCPRIM_400000_NS6detail17trampoline_kernelINS0_14default_configENS1_27scan_by_key_config_selectorIj11FixedVectorIiLj8EEEEZZNS1_16scan_by_key_implILNS1_25lookback_scan_determinismE0ELb0ES3_N6thrust23THRUST_200600_302600_NS6detail15normal_iteratorINSB_10device_ptrIjEEEENSD_INSE_IS6_EEEESI_S6_NSB_4plusIvEENSB_8equal_toIvEES6_EE10hipError_tPvRmT2_T3_T4_T5_mT6_T7_P12ihipStream_tbENKUlT_T0_E_clISt17integral_constantIbLb0EES13_EEDaSY_SZ_EUlSY_E_NS1_11comp_targetILNS1_3genE0ELNS1_11target_archE4294967295ELNS1_3gpuE0ELNS1_3repE0EEENS1_30default_config_static_selectorELNS0_4arch9wavefront6targetE0EEEvT1_.has_recursion, 0
	.set _ZN7rocprim17ROCPRIM_400000_NS6detail17trampoline_kernelINS0_14default_configENS1_27scan_by_key_config_selectorIj11FixedVectorIiLj8EEEEZZNS1_16scan_by_key_implILNS1_25lookback_scan_determinismE0ELb0ES3_N6thrust23THRUST_200600_302600_NS6detail15normal_iteratorINSB_10device_ptrIjEEEENSD_INSE_IS6_EEEESI_S6_NSB_4plusIvEENSB_8equal_toIvEES6_EE10hipError_tPvRmT2_T3_T4_T5_mT6_T7_P12ihipStream_tbENKUlT_T0_E_clISt17integral_constantIbLb0EES13_EEDaSY_SZ_EUlSY_E_NS1_11comp_targetILNS1_3genE0ELNS1_11target_archE4294967295ELNS1_3gpuE0ELNS1_3repE0EEENS1_30default_config_static_selectorELNS0_4arch9wavefront6targetE0EEEvT1_.has_indirect_call, 0
	.section	.AMDGPU.csdata,"",@progbits
; Kernel info:
; codeLenInByte = 25824
; TotalNumSgprs: 46
; NumVgprs: 47
; ScratchSize: 400
; MemoryBound: 0
; FloatMode: 240
; IeeeMode: 1
; LDSByteSize: 33792 bytes/workgroup (compile time only)
; SGPRBlocks: 0
; VGPRBlocks: 2
; NumSGPRsForWavesPerEU: 46
; NumVGPRsForWavesPerEU: 47
; NamedBarCnt: 0
; Occupancy: 16
; WaveLimiterHint : 1
; COMPUTE_PGM_RSRC2:SCRATCH_EN: 1
; COMPUTE_PGM_RSRC2:USER_SGPR: 4
; COMPUTE_PGM_RSRC2:TRAP_HANDLER: 0
; COMPUTE_PGM_RSRC2:TGID_X_EN: 1
; COMPUTE_PGM_RSRC2:TGID_Y_EN: 0
; COMPUTE_PGM_RSRC2:TGID_Z_EN: 0
; COMPUTE_PGM_RSRC2:TIDIG_COMP_CNT: 2
	.section	.text._ZN7rocprim17ROCPRIM_400000_NS6detail17trampoline_kernelINS0_14default_configENS1_27scan_by_key_config_selectorIj11FixedVectorIiLj8EEEEZZNS1_16scan_by_key_implILNS1_25lookback_scan_determinismE0ELb0ES3_N6thrust23THRUST_200600_302600_NS6detail15normal_iteratorINSB_10device_ptrIjEEEENSD_INSE_IS6_EEEESI_S6_NSB_4plusIvEENSB_8equal_toIvEES6_EE10hipError_tPvRmT2_T3_T4_T5_mT6_T7_P12ihipStream_tbENKUlT_T0_E_clISt17integral_constantIbLb0EES13_EEDaSY_SZ_EUlSY_E_NS1_11comp_targetILNS1_3genE10ELNS1_11target_archE1201ELNS1_3gpuE5ELNS1_3repE0EEENS1_30default_config_static_selectorELNS0_4arch9wavefront6targetE0EEEvT1_,"axG",@progbits,_ZN7rocprim17ROCPRIM_400000_NS6detail17trampoline_kernelINS0_14default_configENS1_27scan_by_key_config_selectorIj11FixedVectorIiLj8EEEEZZNS1_16scan_by_key_implILNS1_25lookback_scan_determinismE0ELb0ES3_N6thrust23THRUST_200600_302600_NS6detail15normal_iteratorINSB_10device_ptrIjEEEENSD_INSE_IS6_EEEESI_S6_NSB_4plusIvEENSB_8equal_toIvEES6_EE10hipError_tPvRmT2_T3_T4_T5_mT6_T7_P12ihipStream_tbENKUlT_T0_E_clISt17integral_constantIbLb0EES13_EEDaSY_SZ_EUlSY_E_NS1_11comp_targetILNS1_3genE10ELNS1_11target_archE1201ELNS1_3gpuE5ELNS1_3repE0EEENS1_30default_config_static_selectorELNS0_4arch9wavefront6targetE0EEEvT1_,comdat
	.protected	_ZN7rocprim17ROCPRIM_400000_NS6detail17trampoline_kernelINS0_14default_configENS1_27scan_by_key_config_selectorIj11FixedVectorIiLj8EEEEZZNS1_16scan_by_key_implILNS1_25lookback_scan_determinismE0ELb0ES3_N6thrust23THRUST_200600_302600_NS6detail15normal_iteratorINSB_10device_ptrIjEEEENSD_INSE_IS6_EEEESI_S6_NSB_4plusIvEENSB_8equal_toIvEES6_EE10hipError_tPvRmT2_T3_T4_T5_mT6_T7_P12ihipStream_tbENKUlT_T0_E_clISt17integral_constantIbLb0EES13_EEDaSY_SZ_EUlSY_E_NS1_11comp_targetILNS1_3genE10ELNS1_11target_archE1201ELNS1_3gpuE5ELNS1_3repE0EEENS1_30default_config_static_selectorELNS0_4arch9wavefront6targetE0EEEvT1_ ; -- Begin function _ZN7rocprim17ROCPRIM_400000_NS6detail17trampoline_kernelINS0_14default_configENS1_27scan_by_key_config_selectorIj11FixedVectorIiLj8EEEEZZNS1_16scan_by_key_implILNS1_25lookback_scan_determinismE0ELb0ES3_N6thrust23THRUST_200600_302600_NS6detail15normal_iteratorINSB_10device_ptrIjEEEENSD_INSE_IS6_EEEESI_S6_NSB_4plusIvEENSB_8equal_toIvEES6_EE10hipError_tPvRmT2_T3_T4_T5_mT6_T7_P12ihipStream_tbENKUlT_T0_E_clISt17integral_constantIbLb0EES13_EEDaSY_SZ_EUlSY_E_NS1_11comp_targetILNS1_3genE10ELNS1_11target_archE1201ELNS1_3gpuE5ELNS1_3repE0EEENS1_30default_config_static_selectorELNS0_4arch9wavefront6targetE0EEEvT1_
	.globl	_ZN7rocprim17ROCPRIM_400000_NS6detail17trampoline_kernelINS0_14default_configENS1_27scan_by_key_config_selectorIj11FixedVectorIiLj8EEEEZZNS1_16scan_by_key_implILNS1_25lookback_scan_determinismE0ELb0ES3_N6thrust23THRUST_200600_302600_NS6detail15normal_iteratorINSB_10device_ptrIjEEEENSD_INSE_IS6_EEEESI_S6_NSB_4plusIvEENSB_8equal_toIvEES6_EE10hipError_tPvRmT2_T3_T4_T5_mT6_T7_P12ihipStream_tbENKUlT_T0_E_clISt17integral_constantIbLb0EES13_EEDaSY_SZ_EUlSY_E_NS1_11comp_targetILNS1_3genE10ELNS1_11target_archE1201ELNS1_3gpuE5ELNS1_3repE0EEENS1_30default_config_static_selectorELNS0_4arch9wavefront6targetE0EEEvT1_
	.p2align	8
	.type	_ZN7rocprim17ROCPRIM_400000_NS6detail17trampoline_kernelINS0_14default_configENS1_27scan_by_key_config_selectorIj11FixedVectorIiLj8EEEEZZNS1_16scan_by_key_implILNS1_25lookback_scan_determinismE0ELb0ES3_N6thrust23THRUST_200600_302600_NS6detail15normal_iteratorINSB_10device_ptrIjEEEENSD_INSE_IS6_EEEESI_S6_NSB_4plusIvEENSB_8equal_toIvEES6_EE10hipError_tPvRmT2_T3_T4_T5_mT6_T7_P12ihipStream_tbENKUlT_T0_E_clISt17integral_constantIbLb0EES13_EEDaSY_SZ_EUlSY_E_NS1_11comp_targetILNS1_3genE10ELNS1_11target_archE1201ELNS1_3gpuE5ELNS1_3repE0EEENS1_30default_config_static_selectorELNS0_4arch9wavefront6targetE0EEEvT1_,@function
_ZN7rocprim17ROCPRIM_400000_NS6detail17trampoline_kernelINS0_14default_configENS1_27scan_by_key_config_selectorIj11FixedVectorIiLj8EEEEZZNS1_16scan_by_key_implILNS1_25lookback_scan_determinismE0ELb0ES3_N6thrust23THRUST_200600_302600_NS6detail15normal_iteratorINSB_10device_ptrIjEEEENSD_INSE_IS6_EEEESI_S6_NSB_4plusIvEENSB_8equal_toIvEES6_EE10hipError_tPvRmT2_T3_T4_T5_mT6_T7_P12ihipStream_tbENKUlT_T0_E_clISt17integral_constantIbLb0EES13_EEDaSY_SZ_EUlSY_E_NS1_11comp_targetILNS1_3genE10ELNS1_11target_archE1201ELNS1_3gpuE5ELNS1_3repE0EEENS1_30default_config_static_selectorELNS0_4arch9wavefront6targetE0EEEvT1_: ; @_ZN7rocprim17ROCPRIM_400000_NS6detail17trampoline_kernelINS0_14default_configENS1_27scan_by_key_config_selectorIj11FixedVectorIiLj8EEEEZZNS1_16scan_by_key_implILNS1_25lookback_scan_determinismE0ELb0ES3_N6thrust23THRUST_200600_302600_NS6detail15normal_iteratorINSB_10device_ptrIjEEEENSD_INSE_IS6_EEEESI_S6_NSB_4plusIvEENSB_8equal_toIvEES6_EE10hipError_tPvRmT2_T3_T4_T5_mT6_T7_P12ihipStream_tbENKUlT_T0_E_clISt17integral_constantIbLb0EES13_EEDaSY_SZ_EUlSY_E_NS1_11comp_targetILNS1_3genE10ELNS1_11target_archE1201ELNS1_3gpuE5ELNS1_3repE0EEENS1_30default_config_static_selectorELNS0_4arch9wavefront6targetE0EEEvT1_
; %bb.0:
	.section	.rodata,"a",@progbits
	.p2align	6, 0x0
	.amdhsa_kernel _ZN7rocprim17ROCPRIM_400000_NS6detail17trampoline_kernelINS0_14default_configENS1_27scan_by_key_config_selectorIj11FixedVectorIiLj8EEEEZZNS1_16scan_by_key_implILNS1_25lookback_scan_determinismE0ELb0ES3_N6thrust23THRUST_200600_302600_NS6detail15normal_iteratorINSB_10device_ptrIjEEEENSD_INSE_IS6_EEEESI_S6_NSB_4plusIvEENSB_8equal_toIvEES6_EE10hipError_tPvRmT2_T3_T4_T5_mT6_T7_P12ihipStream_tbENKUlT_T0_E_clISt17integral_constantIbLb0EES13_EEDaSY_SZ_EUlSY_E_NS1_11comp_targetILNS1_3genE10ELNS1_11target_archE1201ELNS1_3gpuE5ELNS1_3repE0EEENS1_30default_config_static_selectorELNS0_4arch9wavefront6targetE0EEEvT1_
		.amdhsa_group_segment_fixed_size 0
		.amdhsa_private_segment_fixed_size 0
		.amdhsa_kernarg_size 160
		.amdhsa_user_sgpr_count 2
		.amdhsa_user_sgpr_dispatch_ptr 0
		.amdhsa_user_sgpr_queue_ptr 0
		.amdhsa_user_sgpr_kernarg_segment_ptr 1
		.amdhsa_user_sgpr_dispatch_id 0
		.amdhsa_user_sgpr_kernarg_preload_length 0
		.amdhsa_user_sgpr_kernarg_preload_offset 0
		.amdhsa_user_sgpr_private_segment_size 0
		.amdhsa_wavefront_size32 1
		.amdhsa_uses_dynamic_stack 0
		.amdhsa_enable_private_segment 0
		.amdhsa_system_sgpr_workgroup_id_x 1
		.amdhsa_system_sgpr_workgroup_id_y 0
		.amdhsa_system_sgpr_workgroup_id_z 0
		.amdhsa_system_sgpr_workgroup_info 0
		.amdhsa_system_vgpr_workitem_id 0
		.amdhsa_next_free_vgpr 1
		.amdhsa_next_free_sgpr 1
		.amdhsa_named_barrier_count 0
		.amdhsa_reserve_vcc 0
		.amdhsa_float_round_mode_32 0
		.amdhsa_float_round_mode_16_64 0
		.amdhsa_float_denorm_mode_32 3
		.amdhsa_float_denorm_mode_16_64 3
		.amdhsa_fp16_overflow 0
		.amdhsa_memory_ordered 1
		.amdhsa_forward_progress 1
		.amdhsa_inst_pref_size 0
		.amdhsa_round_robin_scheduling 0
		.amdhsa_exception_fp_ieee_invalid_op 0
		.amdhsa_exception_fp_denorm_src 0
		.amdhsa_exception_fp_ieee_div_zero 0
		.amdhsa_exception_fp_ieee_overflow 0
		.amdhsa_exception_fp_ieee_underflow 0
		.amdhsa_exception_fp_ieee_inexact 0
		.amdhsa_exception_int_div_zero 0
	.end_amdhsa_kernel
	.section	.text._ZN7rocprim17ROCPRIM_400000_NS6detail17trampoline_kernelINS0_14default_configENS1_27scan_by_key_config_selectorIj11FixedVectorIiLj8EEEEZZNS1_16scan_by_key_implILNS1_25lookback_scan_determinismE0ELb0ES3_N6thrust23THRUST_200600_302600_NS6detail15normal_iteratorINSB_10device_ptrIjEEEENSD_INSE_IS6_EEEESI_S6_NSB_4plusIvEENSB_8equal_toIvEES6_EE10hipError_tPvRmT2_T3_T4_T5_mT6_T7_P12ihipStream_tbENKUlT_T0_E_clISt17integral_constantIbLb0EES13_EEDaSY_SZ_EUlSY_E_NS1_11comp_targetILNS1_3genE10ELNS1_11target_archE1201ELNS1_3gpuE5ELNS1_3repE0EEENS1_30default_config_static_selectorELNS0_4arch9wavefront6targetE0EEEvT1_,"axG",@progbits,_ZN7rocprim17ROCPRIM_400000_NS6detail17trampoline_kernelINS0_14default_configENS1_27scan_by_key_config_selectorIj11FixedVectorIiLj8EEEEZZNS1_16scan_by_key_implILNS1_25lookback_scan_determinismE0ELb0ES3_N6thrust23THRUST_200600_302600_NS6detail15normal_iteratorINSB_10device_ptrIjEEEENSD_INSE_IS6_EEEESI_S6_NSB_4plusIvEENSB_8equal_toIvEES6_EE10hipError_tPvRmT2_T3_T4_T5_mT6_T7_P12ihipStream_tbENKUlT_T0_E_clISt17integral_constantIbLb0EES13_EEDaSY_SZ_EUlSY_E_NS1_11comp_targetILNS1_3genE10ELNS1_11target_archE1201ELNS1_3gpuE5ELNS1_3repE0EEENS1_30default_config_static_selectorELNS0_4arch9wavefront6targetE0EEEvT1_,comdat
.Lfunc_end2116:
	.size	_ZN7rocprim17ROCPRIM_400000_NS6detail17trampoline_kernelINS0_14default_configENS1_27scan_by_key_config_selectorIj11FixedVectorIiLj8EEEEZZNS1_16scan_by_key_implILNS1_25lookback_scan_determinismE0ELb0ES3_N6thrust23THRUST_200600_302600_NS6detail15normal_iteratorINSB_10device_ptrIjEEEENSD_INSE_IS6_EEEESI_S6_NSB_4plusIvEENSB_8equal_toIvEES6_EE10hipError_tPvRmT2_T3_T4_T5_mT6_T7_P12ihipStream_tbENKUlT_T0_E_clISt17integral_constantIbLb0EES13_EEDaSY_SZ_EUlSY_E_NS1_11comp_targetILNS1_3genE10ELNS1_11target_archE1201ELNS1_3gpuE5ELNS1_3repE0EEENS1_30default_config_static_selectorELNS0_4arch9wavefront6targetE0EEEvT1_, .Lfunc_end2116-_ZN7rocprim17ROCPRIM_400000_NS6detail17trampoline_kernelINS0_14default_configENS1_27scan_by_key_config_selectorIj11FixedVectorIiLj8EEEEZZNS1_16scan_by_key_implILNS1_25lookback_scan_determinismE0ELb0ES3_N6thrust23THRUST_200600_302600_NS6detail15normal_iteratorINSB_10device_ptrIjEEEENSD_INSE_IS6_EEEESI_S6_NSB_4plusIvEENSB_8equal_toIvEES6_EE10hipError_tPvRmT2_T3_T4_T5_mT6_T7_P12ihipStream_tbENKUlT_T0_E_clISt17integral_constantIbLb0EES13_EEDaSY_SZ_EUlSY_E_NS1_11comp_targetILNS1_3genE10ELNS1_11target_archE1201ELNS1_3gpuE5ELNS1_3repE0EEENS1_30default_config_static_selectorELNS0_4arch9wavefront6targetE0EEEvT1_
                                        ; -- End function
	.set _ZN7rocprim17ROCPRIM_400000_NS6detail17trampoline_kernelINS0_14default_configENS1_27scan_by_key_config_selectorIj11FixedVectorIiLj8EEEEZZNS1_16scan_by_key_implILNS1_25lookback_scan_determinismE0ELb0ES3_N6thrust23THRUST_200600_302600_NS6detail15normal_iteratorINSB_10device_ptrIjEEEENSD_INSE_IS6_EEEESI_S6_NSB_4plusIvEENSB_8equal_toIvEES6_EE10hipError_tPvRmT2_T3_T4_T5_mT6_T7_P12ihipStream_tbENKUlT_T0_E_clISt17integral_constantIbLb0EES13_EEDaSY_SZ_EUlSY_E_NS1_11comp_targetILNS1_3genE10ELNS1_11target_archE1201ELNS1_3gpuE5ELNS1_3repE0EEENS1_30default_config_static_selectorELNS0_4arch9wavefront6targetE0EEEvT1_.num_vgpr, 0
	.set _ZN7rocprim17ROCPRIM_400000_NS6detail17trampoline_kernelINS0_14default_configENS1_27scan_by_key_config_selectorIj11FixedVectorIiLj8EEEEZZNS1_16scan_by_key_implILNS1_25lookback_scan_determinismE0ELb0ES3_N6thrust23THRUST_200600_302600_NS6detail15normal_iteratorINSB_10device_ptrIjEEEENSD_INSE_IS6_EEEESI_S6_NSB_4plusIvEENSB_8equal_toIvEES6_EE10hipError_tPvRmT2_T3_T4_T5_mT6_T7_P12ihipStream_tbENKUlT_T0_E_clISt17integral_constantIbLb0EES13_EEDaSY_SZ_EUlSY_E_NS1_11comp_targetILNS1_3genE10ELNS1_11target_archE1201ELNS1_3gpuE5ELNS1_3repE0EEENS1_30default_config_static_selectorELNS0_4arch9wavefront6targetE0EEEvT1_.num_agpr, 0
	.set _ZN7rocprim17ROCPRIM_400000_NS6detail17trampoline_kernelINS0_14default_configENS1_27scan_by_key_config_selectorIj11FixedVectorIiLj8EEEEZZNS1_16scan_by_key_implILNS1_25lookback_scan_determinismE0ELb0ES3_N6thrust23THRUST_200600_302600_NS6detail15normal_iteratorINSB_10device_ptrIjEEEENSD_INSE_IS6_EEEESI_S6_NSB_4plusIvEENSB_8equal_toIvEES6_EE10hipError_tPvRmT2_T3_T4_T5_mT6_T7_P12ihipStream_tbENKUlT_T0_E_clISt17integral_constantIbLb0EES13_EEDaSY_SZ_EUlSY_E_NS1_11comp_targetILNS1_3genE10ELNS1_11target_archE1201ELNS1_3gpuE5ELNS1_3repE0EEENS1_30default_config_static_selectorELNS0_4arch9wavefront6targetE0EEEvT1_.numbered_sgpr, 0
	.set _ZN7rocprim17ROCPRIM_400000_NS6detail17trampoline_kernelINS0_14default_configENS1_27scan_by_key_config_selectorIj11FixedVectorIiLj8EEEEZZNS1_16scan_by_key_implILNS1_25lookback_scan_determinismE0ELb0ES3_N6thrust23THRUST_200600_302600_NS6detail15normal_iteratorINSB_10device_ptrIjEEEENSD_INSE_IS6_EEEESI_S6_NSB_4plusIvEENSB_8equal_toIvEES6_EE10hipError_tPvRmT2_T3_T4_T5_mT6_T7_P12ihipStream_tbENKUlT_T0_E_clISt17integral_constantIbLb0EES13_EEDaSY_SZ_EUlSY_E_NS1_11comp_targetILNS1_3genE10ELNS1_11target_archE1201ELNS1_3gpuE5ELNS1_3repE0EEENS1_30default_config_static_selectorELNS0_4arch9wavefront6targetE0EEEvT1_.num_named_barrier, 0
	.set _ZN7rocprim17ROCPRIM_400000_NS6detail17trampoline_kernelINS0_14default_configENS1_27scan_by_key_config_selectorIj11FixedVectorIiLj8EEEEZZNS1_16scan_by_key_implILNS1_25lookback_scan_determinismE0ELb0ES3_N6thrust23THRUST_200600_302600_NS6detail15normal_iteratorINSB_10device_ptrIjEEEENSD_INSE_IS6_EEEESI_S6_NSB_4plusIvEENSB_8equal_toIvEES6_EE10hipError_tPvRmT2_T3_T4_T5_mT6_T7_P12ihipStream_tbENKUlT_T0_E_clISt17integral_constantIbLb0EES13_EEDaSY_SZ_EUlSY_E_NS1_11comp_targetILNS1_3genE10ELNS1_11target_archE1201ELNS1_3gpuE5ELNS1_3repE0EEENS1_30default_config_static_selectorELNS0_4arch9wavefront6targetE0EEEvT1_.private_seg_size, 0
	.set _ZN7rocprim17ROCPRIM_400000_NS6detail17trampoline_kernelINS0_14default_configENS1_27scan_by_key_config_selectorIj11FixedVectorIiLj8EEEEZZNS1_16scan_by_key_implILNS1_25lookback_scan_determinismE0ELb0ES3_N6thrust23THRUST_200600_302600_NS6detail15normal_iteratorINSB_10device_ptrIjEEEENSD_INSE_IS6_EEEESI_S6_NSB_4plusIvEENSB_8equal_toIvEES6_EE10hipError_tPvRmT2_T3_T4_T5_mT6_T7_P12ihipStream_tbENKUlT_T0_E_clISt17integral_constantIbLb0EES13_EEDaSY_SZ_EUlSY_E_NS1_11comp_targetILNS1_3genE10ELNS1_11target_archE1201ELNS1_3gpuE5ELNS1_3repE0EEENS1_30default_config_static_selectorELNS0_4arch9wavefront6targetE0EEEvT1_.uses_vcc, 0
	.set _ZN7rocprim17ROCPRIM_400000_NS6detail17trampoline_kernelINS0_14default_configENS1_27scan_by_key_config_selectorIj11FixedVectorIiLj8EEEEZZNS1_16scan_by_key_implILNS1_25lookback_scan_determinismE0ELb0ES3_N6thrust23THRUST_200600_302600_NS6detail15normal_iteratorINSB_10device_ptrIjEEEENSD_INSE_IS6_EEEESI_S6_NSB_4plusIvEENSB_8equal_toIvEES6_EE10hipError_tPvRmT2_T3_T4_T5_mT6_T7_P12ihipStream_tbENKUlT_T0_E_clISt17integral_constantIbLb0EES13_EEDaSY_SZ_EUlSY_E_NS1_11comp_targetILNS1_3genE10ELNS1_11target_archE1201ELNS1_3gpuE5ELNS1_3repE0EEENS1_30default_config_static_selectorELNS0_4arch9wavefront6targetE0EEEvT1_.uses_flat_scratch, 0
	.set _ZN7rocprim17ROCPRIM_400000_NS6detail17trampoline_kernelINS0_14default_configENS1_27scan_by_key_config_selectorIj11FixedVectorIiLj8EEEEZZNS1_16scan_by_key_implILNS1_25lookback_scan_determinismE0ELb0ES3_N6thrust23THRUST_200600_302600_NS6detail15normal_iteratorINSB_10device_ptrIjEEEENSD_INSE_IS6_EEEESI_S6_NSB_4plusIvEENSB_8equal_toIvEES6_EE10hipError_tPvRmT2_T3_T4_T5_mT6_T7_P12ihipStream_tbENKUlT_T0_E_clISt17integral_constantIbLb0EES13_EEDaSY_SZ_EUlSY_E_NS1_11comp_targetILNS1_3genE10ELNS1_11target_archE1201ELNS1_3gpuE5ELNS1_3repE0EEENS1_30default_config_static_selectorELNS0_4arch9wavefront6targetE0EEEvT1_.has_dyn_sized_stack, 0
	.set _ZN7rocprim17ROCPRIM_400000_NS6detail17trampoline_kernelINS0_14default_configENS1_27scan_by_key_config_selectorIj11FixedVectorIiLj8EEEEZZNS1_16scan_by_key_implILNS1_25lookback_scan_determinismE0ELb0ES3_N6thrust23THRUST_200600_302600_NS6detail15normal_iteratorINSB_10device_ptrIjEEEENSD_INSE_IS6_EEEESI_S6_NSB_4plusIvEENSB_8equal_toIvEES6_EE10hipError_tPvRmT2_T3_T4_T5_mT6_T7_P12ihipStream_tbENKUlT_T0_E_clISt17integral_constantIbLb0EES13_EEDaSY_SZ_EUlSY_E_NS1_11comp_targetILNS1_3genE10ELNS1_11target_archE1201ELNS1_3gpuE5ELNS1_3repE0EEENS1_30default_config_static_selectorELNS0_4arch9wavefront6targetE0EEEvT1_.has_recursion, 0
	.set _ZN7rocprim17ROCPRIM_400000_NS6detail17trampoline_kernelINS0_14default_configENS1_27scan_by_key_config_selectorIj11FixedVectorIiLj8EEEEZZNS1_16scan_by_key_implILNS1_25lookback_scan_determinismE0ELb0ES3_N6thrust23THRUST_200600_302600_NS6detail15normal_iteratorINSB_10device_ptrIjEEEENSD_INSE_IS6_EEEESI_S6_NSB_4plusIvEENSB_8equal_toIvEES6_EE10hipError_tPvRmT2_T3_T4_T5_mT6_T7_P12ihipStream_tbENKUlT_T0_E_clISt17integral_constantIbLb0EES13_EEDaSY_SZ_EUlSY_E_NS1_11comp_targetILNS1_3genE10ELNS1_11target_archE1201ELNS1_3gpuE5ELNS1_3repE0EEENS1_30default_config_static_selectorELNS0_4arch9wavefront6targetE0EEEvT1_.has_indirect_call, 0
	.section	.AMDGPU.csdata,"",@progbits
; Kernel info:
; codeLenInByte = 0
; TotalNumSgprs: 0
; NumVgprs: 0
; ScratchSize: 0
; MemoryBound: 0
; FloatMode: 240
; IeeeMode: 1
; LDSByteSize: 0 bytes/workgroup (compile time only)
; SGPRBlocks: 0
; VGPRBlocks: 0
; NumSGPRsForWavesPerEU: 1
; NumVGPRsForWavesPerEU: 1
; NamedBarCnt: 0
; Occupancy: 16
; WaveLimiterHint : 0
; COMPUTE_PGM_RSRC2:SCRATCH_EN: 0
; COMPUTE_PGM_RSRC2:USER_SGPR: 2
; COMPUTE_PGM_RSRC2:TRAP_HANDLER: 0
; COMPUTE_PGM_RSRC2:TGID_X_EN: 1
; COMPUTE_PGM_RSRC2:TGID_Y_EN: 0
; COMPUTE_PGM_RSRC2:TGID_Z_EN: 0
; COMPUTE_PGM_RSRC2:TIDIG_COMP_CNT: 0
	.section	.text._ZN7rocprim17ROCPRIM_400000_NS6detail17trampoline_kernelINS0_14default_configENS1_27scan_by_key_config_selectorIj11FixedVectorIiLj8EEEEZZNS1_16scan_by_key_implILNS1_25lookback_scan_determinismE0ELb0ES3_N6thrust23THRUST_200600_302600_NS6detail15normal_iteratorINSB_10device_ptrIjEEEENSD_INSE_IS6_EEEESI_S6_NSB_4plusIvEENSB_8equal_toIvEES6_EE10hipError_tPvRmT2_T3_T4_T5_mT6_T7_P12ihipStream_tbENKUlT_T0_E_clISt17integral_constantIbLb0EES13_EEDaSY_SZ_EUlSY_E_NS1_11comp_targetILNS1_3genE5ELNS1_11target_archE942ELNS1_3gpuE9ELNS1_3repE0EEENS1_30default_config_static_selectorELNS0_4arch9wavefront6targetE0EEEvT1_,"axG",@progbits,_ZN7rocprim17ROCPRIM_400000_NS6detail17trampoline_kernelINS0_14default_configENS1_27scan_by_key_config_selectorIj11FixedVectorIiLj8EEEEZZNS1_16scan_by_key_implILNS1_25lookback_scan_determinismE0ELb0ES3_N6thrust23THRUST_200600_302600_NS6detail15normal_iteratorINSB_10device_ptrIjEEEENSD_INSE_IS6_EEEESI_S6_NSB_4plusIvEENSB_8equal_toIvEES6_EE10hipError_tPvRmT2_T3_T4_T5_mT6_T7_P12ihipStream_tbENKUlT_T0_E_clISt17integral_constantIbLb0EES13_EEDaSY_SZ_EUlSY_E_NS1_11comp_targetILNS1_3genE5ELNS1_11target_archE942ELNS1_3gpuE9ELNS1_3repE0EEENS1_30default_config_static_selectorELNS0_4arch9wavefront6targetE0EEEvT1_,comdat
	.protected	_ZN7rocprim17ROCPRIM_400000_NS6detail17trampoline_kernelINS0_14default_configENS1_27scan_by_key_config_selectorIj11FixedVectorIiLj8EEEEZZNS1_16scan_by_key_implILNS1_25lookback_scan_determinismE0ELb0ES3_N6thrust23THRUST_200600_302600_NS6detail15normal_iteratorINSB_10device_ptrIjEEEENSD_INSE_IS6_EEEESI_S6_NSB_4plusIvEENSB_8equal_toIvEES6_EE10hipError_tPvRmT2_T3_T4_T5_mT6_T7_P12ihipStream_tbENKUlT_T0_E_clISt17integral_constantIbLb0EES13_EEDaSY_SZ_EUlSY_E_NS1_11comp_targetILNS1_3genE5ELNS1_11target_archE942ELNS1_3gpuE9ELNS1_3repE0EEENS1_30default_config_static_selectorELNS0_4arch9wavefront6targetE0EEEvT1_ ; -- Begin function _ZN7rocprim17ROCPRIM_400000_NS6detail17trampoline_kernelINS0_14default_configENS1_27scan_by_key_config_selectorIj11FixedVectorIiLj8EEEEZZNS1_16scan_by_key_implILNS1_25lookback_scan_determinismE0ELb0ES3_N6thrust23THRUST_200600_302600_NS6detail15normal_iteratorINSB_10device_ptrIjEEEENSD_INSE_IS6_EEEESI_S6_NSB_4plusIvEENSB_8equal_toIvEES6_EE10hipError_tPvRmT2_T3_T4_T5_mT6_T7_P12ihipStream_tbENKUlT_T0_E_clISt17integral_constantIbLb0EES13_EEDaSY_SZ_EUlSY_E_NS1_11comp_targetILNS1_3genE5ELNS1_11target_archE942ELNS1_3gpuE9ELNS1_3repE0EEENS1_30default_config_static_selectorELNS0_4arch9wavefront6targetE0EEEvT1_
	.globl	_ZN7rocprim17ROCPRIM_400000_NS6detail17trampoline_kernelINS0_14default_configENS1_27scan_by_key_config_selectorIj11FixedVectorIiLj8EEEEZZNS1_16scan_by_key_implILNS1_25lookback_scan_determinismE0ELb0ES3_N6thrust23THRUST_200600_302600_NS6detail15normal_iteratorINSB_10device_ptrIjEEEENSD_INSE_IS6_EEEESI_S6_NSB_4plusIvEENSB_8equal_toIvEES6_EE10hipError_tPvRmT2_T3_T4_T5_mT6_T7_P12ihipStream_tbENKUlT_T0_E_clISt17integral_constantIbLb0EES13_EEDaSY_SZ_EUlSY_E_NS1_11comp_targetILNS1_3genE5ELNS1_11target_archE942ELNS1_3gpuE9ELNS1_3repE0EEENS1_30default_config_static_selectorELNS0_4arch9wavefront6targetE0EEEvT1_
	.p2align	8
	.type	_ZN7rocprim17ROCPRIM_400000_NS6detail17trampoline_kernelINS0_14default_configENS1_27scan_by_key_config_selectorIj11FixedVectorIiLj8EEEEZZNS1_16scan_by_key_implILNS1_25lookback_scan_determinismE0ELb0ES3_N6thrust23THRUST_200600_302600_NS6detail15normal_iteratorINSB_10device_ptrIjEEEENSD_INSE_IS6_EEEESI_S6_NSB_4plusIvEENSB_8equal_toIvEES6_EE10hipError_tPvRmT2_T3_T4_T5_mT6_T7_P12ihipStream_tbENKUlT_T0_E_clISt17integral_constantIbLb0EES13_EEDaSY_SZ_EUlSY_E_NS1_11comp_targetILNS1_3genE5ELNS1_11target_archE942ELNS1_3gpuE9ELNS1_3repE0EEENS1_30default_config_static_selectorELNS0_4arch9wavefront6targetE0EEEvT1_,@function
_ZN7rocprim17ROCPRIM_400000_NS6detail17trampoline_kernelINS0_14default_configENS1_27scan_by_key_config_selectorIj11FixedVectorIiLj8EEEEZZNS1_16scan_by_key_implILNS1_25lookback_scan_determinismE0ELb0ES3_N6thrust23THRUST_200600_302600_NS6detail15normal_iteratorINSB_10device_ptrIjEEEENSD_INSE_IS6_EEEESI_S6_NSB_4plusIvEENSB_8equal_toIvEES6_EE10hipError_tPvRmT2_T3_T4_T5_mT6_T7_P12ihipStream_tbENKUlT_T0_E_clISt17integral_constantIbLb0EES13_EEDaSY_SZ_EUlSY_E_NS1_11comp_targetILNS1_3genE5ELNS1_11target_archE942ELNS1_3gpuE9ELNS1_3repE0EEENS1_30default_config_static_selectorELNS0_4arch9wavefront6targetE0EEEvT1_: ; @_ZN7rocprim17ROCPRIM_400000_NS6detail17trampoline_kernelINS0_14default_configENS1_27scan_by_key_config_selectorIj11FixedVectorIiLj8EEEEZZNS1_16scan_by_key_implILNS1_25lookback_scan_determinismE0ELb0ES3_N6thrust23THRUST_200600_302600_NS6detail15normal_iteratorINSB_10device_ptrIjEEEENSD_INSE_IS6_EEEESI_S6_NSB_4plusIvEENSB_8equal_toIvEES6_EE10hipError_tPvRmT2_T3_T4_T5_mT6_T7_P12ihipStream_tbENKUlT_T0_E_clISt17integral_constantIbLb0EES13_EEDaSY_SZ_EUlSY_E_NS1_11comp_targetILNS1_3genE5ELNS1_11target_archE942ELNS1_3gpuE9ELNS1_3repE0EEENS1_30default_config_static_selectorELNS0_4arch9wavefront6targetE0EEEvT1_
; %bb.0:
	.section	.rodata,"a",@progbits
	.p2align	6, 0x0
	.amdhsa_kernel _ZN7rocprim17ROCPRIM_400000_NS6detail17trampoline_kernelINS0_14default_configENS1_27scan_by_key_config_selectorIj11FixedVectorIiLj8EEEEZZNS1_16scan_by_key_implILNS1_25lookback_scan_determinismE0ELb0ES3_N6thrust23THRUST_200600_302600_NS6detail15normal_iteratorINSB_10device_ptrIjEEEENSD_INSE_IS6_EEEESI_S6_NSB_4plusIvEENSB_8equal_toIvEES6_EE10hipError_tPvRmT2_T3_T4_T5_mT6_T7_P12ihipStream_tbENKUlT_T0_E_clISt17integral_constantIbLb0EES13_EEDaSY_SZ_EUlSY_E_NS1_11comp_targetILNS1_3genE5ELNS1_11target_archE942ELNS1_3gpuE9ELNS1_3repE0EEENS1_30default_config_static_selectorELNS0_4arch9wavefront6targetE0EEEvT1_
		.amdhsa_group_segment_fixed_size 0
		.amdhsa_private_segment_fixed_size 0
		.amdhsa_kernarg_size 160
		.amdhsa_user_sgpr_count 2
		.amdhsa_user_sgpr_dispatch_ptr 0
		.amdhsa_user_sgpr_queue_ptr 0
		.amdhsa_user_sgpr_kernarg_segment_ptr 1
		.amdhsa_user_sgpr_dispatch_id 0
		.amdhsa_user_sgpr_kernarg_preload_length 0
		.amdhsa_user_sgpr_kernarg_preload_offset 0
		.amdhsa_user_sgpr_private_segment_size 0
		.amdhsa_wavefront_size32 1
		.amdhsa_uses_dynamic_stack 0
		.amdhsa_enable_private_segment 0
		.amdhsa_system_sgpr_workgroup_id_x 1
		.amdhsa_system_sgpr_workgroup_id_y 0
		.amdhsa_system_sgpr_workgroup_id_z 0
		.amdhsa_system_sgpr_workgroup_info 0
		.amdhsa_system_vgpr_workitem_id 0
		.amdhsa_next_free_vgpr 1
		.amdhsa_next_free_sgpr 1
		.amdhsa_named_barrier_count 0
		.amdhsa_reserve_vcc 0
		.amdhsa_float_round_mode_32 0
		.amdhsa_float_round_mode_16_64 0
		.amdhsa_float_denorm_mode_32 3
		.amdhsa_float_denorm_mode_16_64 3
		.amdhsa_fp16_overflow 0
		.amdhsa_memory_ordered 1
		.amdhsa_forward_progress 1
		.amdhsa_inst_pref_size 0
		.amdhsa_round_robin_scheduling 0
		.amdhsa_exception_fp_ieee_invalid_op 0
		.amdhsa_exception_fp_denorm_src 0
		.amdhsa_exception_fp_ieee_div_zero 0
		.amdhsa_exception_fp_ieee_overflow 0
		.amdhsa_exception_fp_ieee_underflow 0
		.amdhsa_exception_fp_ieee_inexact 0
		.amdhsa_exception_int_div_zero 0
	.end_amdhsa_kernel
	.section	.text._ZN7rocprim17ROCPRIM_400000_NS6detail17trampoline_kernelINS0_14default_configENS1_27scan_by_key_config_selectorIj11FixedVectorIiLj8EEEEZZNS1_16scan_by_key_implILNS1_25lookback_scan_determinismE0ELb0ES3_N6thrust23THRUST_200600_302600_NS6detail15normal_iteratorINSB_10device_ptrIjEEEENSD_INSE_IS6_EEEESI_S6_NSB_4plusIvEENSB_8equal_toIvEES6_EE10hipError_tPvRmT2_T3_T4_T5_mT6_T7_P12ihipStream_tbENKUlT_T0_E_clISt17integral_constantIbLb0EES13_EEDaSY_SZ_EUlSY_E_NS1_11comp_targetILNS1_3genE5ELNS1_11target_archE942ELNS1_3gpuE9ELNS1_3repE0EEENS1_30default_config_static_selectorELNS0_4arch9wavefront6targetE0EEEvT1_,"axG",@progbits,_ZN7rocprim17ROCPRIM_400000_NS6detail17trampoline_kernelINS0_14default_configENS1_27scan_by_key_config_selectorIj11FixedVectorIiLj8EEEEZZNS1_16scan_by_key_implILNS1_25lookback_scan_determinismE0ELb0ES3_N6thrust23THRUST_200600_302600_NS6detail15normal_iteratorINSB_10device_ptrIjEEEENSD_INSE_IS6_EEEESI_S6_NSB_4plusIvEENSB_8equal_toIvEES6_EE10hipError_tPvRmT2_T3_T4_T5_mT6_T7_P12ihipStream_tbENKUlT_T0_E_clISt17integral_constantIbLb0EES13_EEDaSY_SZ_EUlSY_E_NS1_11comp_targetILNS1_3genE5ELNS1_11target_archE942ELNS1_3gpuE9ELNS1_3repE0EEENS1_30default_config_static_selectorELNS0_4arch9wavefront6targetE0EEEvT1_,comdat
.Lfunc_end2117:
	.size	_ZN7rocprim17ROCPRIM_400000_NS6detail17trampoline_kernelINS0_14default_configENS1_27scan_by_key_config_selectorIj11FixedVectorIiLj8EEEEZZNS1_16scan_by_key_implILNS1_25lookback_scan_determinismE0ELb0ES3_N6thrust23THRUST_200600_302600_NS6detail15normal_iteratorINSB_10device_ptrIjEEEENSD_INSE_IS6_EEEESI_S6_NSB_4plusIvEENSB_8equal_toIvEES6_EE10hipError_tPvRmT2_T3_T4_T5_mT6_T7_P12ihipStream_tbENKUlT_T0_E_clISt17integral_constantIbLb0EES13_EEDaSY_SZ_EUlSY_E_NS1_11comp_targetILNS1_3genE5ELNS1_11target_archE942ELNS1_3gpuE9ELNS1_3repE0EEENS1_30default_config_static_selectorELNS0_4arch9wavefront6targetE0EEEvT1_, .Lfunc_end2117-_ZN7rocprim17ROCPRIM_400000_NS6detail17trampoline_kernelINS0_14default_configENS1_27scan_by_key_config_selectorIj11FixedVectorIiLj8EEEEZZNS1_16scan_by_key_implILNS1_25lookback_scan_determinismE0ELb0ES3_N6thrust23THRUST_200600_302600_NS6detail15normal_iteratorINSB_10device_ptrIjEEEENSD_INSE_IS6_EEEESI_S6_NSB_4plusIvEENSB_8equal_toIvEES6_EE10hipError_tPvRmT2_T3_T4_T5_mT6_T7_P12ihipStream_tbENKUlT_T0_E_clISt17integral_constantIbLb0EES13_EEDaSY_SZ_EUlSY_E_NS1_11comp_targetILNS1_3genE5ELNS1_11target_archE942ELNS1_3gpuE9ELNS1_3repE0EEENS1_30default_config_static_selectorELNS0_4arch9wavefront6targetE0EEEvT1_
                                        ; -- End function
	.set _ZN7rocprim17ROCPRIM_400000_NS6detail17trampoline_kernelINS0_14default_configENS1_27scan_by_key_config_selectorIj11FixedVectorIiLj8EEEEZZNS1_16scan_by_key_implILNS1_25lookback_scan_determinismE0ELb0ES3_N6thrust23THRUST_200600_302600_NS6detail15normal_iteratorINSB_10device_ptrIjEEEENSD_INSE_IS6_EEEESI_S6_NSB_4plusIvEENSB_8equal_toIvEES6_EE10hipError_tPvRmT2_T3_T4_T5_mT6_T7_P12ihipStream_tbENKUlT_T0_E_clISt17integral_constantIbLb0EES13_EEDaSY_SZ_EUlSY_E_NS1_11comp_targetILNS1_3genE5ELNS1_11target_archE942ELNS1_3gpuE9ELNS1_3repE0EEENS1_30default_config_static_selectorELNS0_4arch9wavefront6targetE0EEEvT1_.num_vgpr, 0
	.set _ZN7rocprim17ROCPRIM_400000_NS6detail17trampoline_kernelINS0_14default_configENS1_27scan_by_key_config_selectorIj11FixedVectorIiLj8EEEEZZNS1_16scan_by_key_implILNS1_25lookback_scan_determinismE0ELb0ES3_N6thrust23THRUST_200600_302600_NS6detail15normal_iteratorINSB_10device_ptrIjEEEENSD_INSE_IS6_EEEESI_S6_NSB_4plusIvEENSB_8equal_toIvEES6_EE10hipError_tPvRmT2_T3_T4_T5_mT6_T7_P12ihipStream_tbENKUlT_T0_E_clISt17integral_constantIbLb0EES13_EEDaSY_SZ_EUlSY_E_NS1_11comp_targetILNS1_3genE5ELNS1_11target_archE942ELNS1_3gpuE9ELNS1_3repE0EEENS1_30default_config_static_selectorELNS0_4arch9wavefront6targetE0EEEvT1_.num_agpr, 0
	.set _ZN7rocprim17ROCPRIM_400000_NS6detail17trampoline_kernelINS0_14default_configENS1_27scan_by_key_config_selectorIj11FixedVectorIiLj8EEEEZZNS1_16scan_by_key_implILNS1_25lookback_scan_determinismE0ELb0ES3_N6thrust23THRUST_200600_302600_NS6detail15normal_iteratorINSB_10device_ptrIjEEEENSD_INSE_IS6_EEEESI_S6_NSB_4plusIvEENSB_8equal_toIvEES6_EE10hipError_tPvRmT2_T3_T4_T5_mT6_T7_P12ihipStream_tbENKUlT_T0_E_clISt17integral_constantIbLb0EES13_EEDaSY_SZ_EUlSY_E_NS1_11comp_targetILNS1_3genE5ELNS1_11target_archE942ELNS1_3gpuE9ELNS1_3repE0EEENS1_30default_config_static_selectorELNS0_4arch9wavefront6targetE0EEEvT1_.numbered_sgpr, 0
	.set _ZN7rocprim17ROCPRIM_400000_NS6detail17trampoline_kernelINS0_14default_configENS1_27scan_by_key_config_selectorIj11FixedVectorIiLj8EEEEZZNS1_16scan_by_key_implILNS1_25lookback_scan_determinismE0ELb0ES3_N6thrust23THRUST_200600_302600_NS6detail15normal_iteratorINSB_10device_ptrIjEEEENSD_INSE_IS6_EEEESI_S6_NSB_4plusIvEENSB_8equal_toIvEES6_EE10hipError_tPvRmT2_T3_T4_T5_mT6_T7_P12ihipStream_tbENKUlT_T0_E_clISt17integral_constantIbLb0EES13_EEDaSY_SZ_EUlSY_E_NS1_11comp_targetILNS1_3genE5ELNS1_11target_archE942ELNS1_3gpuE9ELNS1_3repE0EEENS1_30default_config_static_selectorELNS0_4arch9wavefront6targetE0EEEvT1_.num_named_barrier, 0
	.set _ZN7rocprim17ROCPRIM_400000_NS6detail17trampoline_kernelINS0_14default_configENS1_27scan_by_key_config_selectorIj11FixedVectorIiLj8EEEEZZNS1_16scan_by_key_implILNS1_25lookback_scan_determinismE0ELb0ES3_N6thrust23THRUST_200600_302600_NS6detail15normal_iteratorINSB_10device_ptrIjEEEENSD_INSE_IS6_EEEESI_S6_NSB_4plusIvEENSB_8equal_toIvEES6_EE10hipError_tPvRmT2_T3_T4_T5_mT6_T7_P12ihipStream_tbENKUlT_T0_E_clISt17integral_constantIbLb0EES13_EEDaSY_SZ_EUlSY_E_NS1_11comp_targetILNS1_3genE5ELNS1_11target_archE942ELNS1_3gpuE9ELNS1_3repE0EEENS1_30default_config_static_selectorELNS0_4arch9wavefront6targetE0EEEvT1_.private_seg_size, 0
	.set _ZN7rocprim17ROCPRIM_400000_NS6detail17trampoline_kernelINS0_14default_configENS1_27scan_by_key_config_selectorIj11FixedVectorIiLj8EEEEZZNS1_16scan_by_key_implILNS1_25lookback_scan_determinismE0ELb0ES3_N6thrust23THRUST_200600_302600_NS6detail15normal_iteratorINSB_10device_ptrIjEEEENSD_INSE_IS6_EEEESI_S6_NSB_4plusIvEENSB_8equal_toIvEES6_EE10hipError_tPvRmT2_T3_T4_T5_mT6_T7_P12ihipStream_tbENKUlT_T0_E_clISt17integral_constantIbLb0EES13_EEDaSY_SZ_EUlSY_E_NS1_11comp_targetILNS1_3genE5ELNS1_11target_archE942ELNS1_3gpuE9ELNS1_3repE0EEENS1_30default_config_static_selectorELNS0_4arch9wavefront6targetE0EEEvT1_.uses_vcc, 0
	.set _ZN7rocprim17ROCPRIM_400000_NS6detail17trampoline_kernelINS0_14default_configENS1_27scan_by_key_config_selectorIj11FixedVectorIiLj8EEEEZZNS1_16scan_by_key_implILNS1_25lookback_scan_determinismE0ELb0ES3_N6thrust23THRUST_200600_302600_NS6detail15normal_iteratorINSB_10device_ptrIjEEEENSD_INSE_IS6_EEEESI_S6_NSB_4plusIvEENSB_8equal_toIvEES6_EE10hipError_tPvRmT2_T3_T4_T5_mT6_T7_P12ihipStream_tbENKUlT_T0_E_clISt17integral_constantIbLb0EES13_EEDaSY_SZ_EUlSY_E_NS1_11comp_targetILNS1_3genE5ELNS1_11target_archE942ELNS1_3gpuE9ELNS1_3repE0EEENS1_30default_config_static_selectorELNS0_4arch9wavefront6targetE0EEEvT1_.uses_flat_scratch, 0
	.set _ZN7rocprim17ROCPRIM_400000_NS6detail17trampoline_kernelINS0_14default_configENS1_27scan_by_key_config_selectorIj11FixedVectorIiLj8EEEEZZNS1_16scan_by_key_implILNS1_25lookback_scan_determinismE0ELb0ES3_N6thrust23THRUST_200600_302600_NS6detail15normal_iteratorINSB_10device_ptrIjEEEENSD_INSE_IS6_EEEESI_S6_NSB_4plusIvEENSB_8equal_toIvEES6_EE10hipError_tPvRmT2_T3_T4_T5_mT6_T7_P12ihipStream_tbENKUlT_T0_E_clISt17integral_constantIbLb0EES13_EEDaSY_SZ_EUlSY_E_NS1_11comp_targetILNS1_3genE5ELNS1_11target_archE942ELNS1_3gpuE9ELNS1_3repE0EEENS1_30default_config_static_selectorELNS0_4arch9wavefront6targetE0EEEvT1_.has_dyn_sized_stack, 0
	.set _ZN7rocprim17ROCPRIM_400000_NS6detail17trampoline_kernelINS0_14default_configENS1_27scan_by_key_config_selectorIj11FixedVectorIiLj8EEEEZZNS1_16scan_by_key_implILNS1_25lookback_scan_determinismE0ELb0ES3_N6thrust23THRUST_200600_302600_NS6detail15normal_iteratorINSB_10device_ptrIjEEEENSD_INSE_IS6_EEEESI_S6_NSB_4plusIvEENSB_8equal_toIvEES6_EE10hipError_tPvRmT2_T3_T4_T5_mT6_T7_P12ihipStream_tbENKUlT_T0_E_clISt17integral_constantIbLb0EES13_EEDaSY_SZ_EUlSY_E_NS1_11comp_targetILNS1_3genE5ELNS1_11target_archE942ELNS1_3gpuE9ELNS1_3repE0EEENS1_30default_config_static_selectorELNS0_4arch9wavefront6targetE0EEEvT1_.has_recursion, 0
	.set _ZN7rocprim17ROCPRIM_400000_NS6detail17trampoline_kernelINS0_14default_configENS1_27scan_by_key_config_selectorIj11FixedVectorIiLj8EEEEZZNS1_16scan_by_key_implILNS1_25lookback_scan_determinismE0ELb0ES3_N6thrust23THRUST_200600_302600_NS6detail15normal_iteratorINSB_10device_ptrIjEEEENSD_INSE_IS6_EEEESI_S6_NSB_4plusIvEENSB_8equal_toIvEES6_EE10hipError_tPvRmT2_T3_T4_T5_mT6_T7_P12ihipStream_tbENKUlT_T0_E_clISt17integral_constantIbLb0EES13_EEDaSY_SZ_EUlSY_E_NS1_11comp_targetILNS1_3genE5ELNS1_11target_archE942ELNS1_3gpuE9ELNS1_3repE0EEENS1_30default_config_static_selectorELNS0_4arch9wavefront6targetE0EEEvT1_.has_indirect_call, 0
	.section	.AMDGPU.csdata,"",@progbits
; Kernel info:
; codeLenInByte = 0
; TotalNumSgprs: 0
; NumVgprs: 0
; ScratchSize: 0
; MemoryBound: 0
; FloatMode: 240
; IeeeMode: 1
; LDSByteSize: 0 bytes/workgroup (compile time only)
; SGPRBlocks: 0
; VGPRBlocks: 0
; NumSGPRsForWavesPerEU: 1
; NumVGPRsForWavesPerEU: 1
; NamedBarCnt: 0
; Occupancy: 16
; WaveLimiterHint : 0
; COMPUTE_PGM_RSRC2:SCRATCH_EN: 0
; COMPUTE_PGM_RSRC2:USER_SGPR: 2
; COMPUTE_PGM_RSRC2:TRAP_HANDLER: 0
; COMPUTE_PGM_RSRC2:TGID_X_EN: 1
; COMPUTE_PGM_RSRC2:TGID_Y_EN: 0
; COMPUTE_PGM_RSRC2:TGID_Z_EN: 0
; COMPUTE_PGM_RSRC2:TIDIG_COMP_CNT: 0
	.section	.text._ZN7rocprim17ROCPRIM_400000_NS6detail17trampoline_kernelINS0_14default_configENS1_27scan_by_key_config_selectorIj11FixedVectorIiLj8EEEEZZNS1_16scan_by_key_implILNS1_25lookback_scan_determinismE0ELb0ES3_N6thrust23THRUST_200600_302600_NS6detail15normal_iteratorINSB_10device_ptrIjEEEENSD_INSE_IS6_EEEESI_S6_NSB_4plusIvEENSB_8equal_toIvEES6_EE10hipError_tPvRmT2_T3_T4_T5_mT6_T7_P12ihipStream_tbENKUlT_T0_E_clISt17integral_constantIbLb0EES13_EEDaSY_SZ_EUlSY_E_NS1_11comp_targetILNS1_3genE4ELNS1_11target_archE910ELNS1_3gpuE8ELNS1_3repE0EEENS1_30default_config_static_selectorELNS0_4arch9wavefront6targetE0EEEvT1_,"axG",@progbits,_ZN7rocprim17ROCPRIM_400000_NS6detail17trampoline_kernelINS0_14default_configENS1_27scan_by_key_config_selectorIj11FixedVectorIiLj8EEEEZZNS1_16scan_by_key_implILNS1_25lookback_scan_determinismE0ELb0ES3_N6thrust23THRUST_200600_302600_NS6detail15normal_iteratorINSB_10device_ptrIjEEEENSD_INSE_IS6_EEEESI_S6_NSB_4plusIvEENSB_8equal_toIvEES6_EE10hipError_tPvRmT2_T3_T4_T5_mT6_T7_P12ihipStream_tbENKUlT_T0_E_clISt17integral_constantIbLb0EES13_EEDaSY_SZ_EUlSY_E_NS1_11comp_targetILNS1_3genE4ELNS1_11target_archE910ELNS1_3gpuE8ELNS1_3repE0EEENS1_30default_config_static_selectorELNS0_4arch9wavefront6targetE0EEEvT1_,comdat
	.protected	_ZN7rocprim17ROCPRIM_400000_NS6detail17trampoline_kernelINS0_14default_configENS1_27scan_by_key_config_selectorIj11FixedVectorIiLj8EEEEZZNS1_16scan_by_key_implILNS1_25lookback_scan_determinismE0ELb0ES3_N6thrust23THRUST_200600_302600_NS6detail15normal_iteratorINSB_10device_ptrIjEEEENSD_INSE_IS6_EEEESI_S6_NSB_4plusIvEENSB_8equal_toIvEES6_EE10hipError_tPvRmT2_T3_T4_T5_mT6_T7_P12ihipStream_tbENKUlT_T0_E_clISt17integral_constantIbLb0EES13_EEDaSY_SZ_EUlSY_E_NS1_11comp_targetILNS1_3genE4ELNS1_11target_archE910ELNS1_3gpuE8ELNS1_3repE0EEENS1_30default_config_static_selectorELNS0_4arch9wavefront6targetE0EEEvT1_ ; -- Begin function _ZN7rocprim17ROCPRIM_400000_NS6detail17trampoline_kernelINS0_14default_configENS1_27scan_by_key_config_selectorIj11FixedVectorIiLj8EEEEZZNS1_16scan_by_key_implILNS1_25lookback_scan_determinismE0ELb0ES3_N6thrust23THRUST_200600_302600_NS6detail15normal_iteratorINSB_10device_ptrIjEEEENSD_INSE_IS6_EEEESI_S6_NSB_4plusIvEENSB_8equal_toIvEES6_EE10hipError_tPvRmT2_T3_T4_T5_mT6_T7_P12ihipStream_tbENKUlT_T0_E_clISt17integral_constantIbLb0EES13_EEDaSY_SZ_EUlSY_E_NS1_11comp_targetILNS1_3genE4ELNS1_11target_archE910ELNS1_3gpuE8ELNS1_3repE0EEENS1_30default_config_static_selectorELNS0_4arch9wavefront6targetE0EEEvT1_
	.globl	_ZN7rocprim17ROCPRIM_400000_NS6detail17trampoline_kernelINS0_14default_configENS1_27scan_by_key_config_selectorIj11FixedVectorIiLj8EEEEZZNS1_16scan_by_key_implILNS1_25lookback_scan_determinismE0ELb0ES3_N6thrust23THRUST_200600_302600_NS6detail15normal_iteratorINSB_10device_ptrIjEEEENSD_INSE_IS6_EEEESI_S6_NSB_4plusIvEENSB_8equal_toIvEES6_EE10hipError_tPvRmT2_T3_T4_T5_mT6_T7_P12ihipStream_tbENKUlT_T0_E_clISt17integral_constantIbLb0EES13_EEDaSY_SZ_EUlSY_E_NS1_11comp_targetILNS1_3genE4ELNS1_11target_archE910ELNS1_3gpuE8ELNS1_3repE0EEENS1_30default_config_static_selectorELNS0_4arch9wavefront6targetE0EEEvT1_
	.p2align	8
	.type	_ZN7rocprim17ROCPRIM_400000_NS6detail17trampoline_kernelINS0_14default_configENS1_27scan_by_key_config_selectorIj11FixedVectorIiLj8EEEEZZNS1_16scan_by_key_implILNS1_25lookback_scan_determinismE0ELb0ES3_N6thrust23THRUST_200600_302600_NS6detail15normal_iteratorINSB_10device_ptrIjEEEENSD_INSE_IS6_EEEESI_S6_NSB_4plusIvEENSB_8equal_toIvEES6_EE10hipError_tPvRmT2_T3_T4_T5_mT6_T7_P12ihipStream_tbENKUlT_T0_E_clISt17integral_constantIbLb0EES13_EEDaSY_SZ_EUlSY_E_NS1_11comp_targetILNS1_3genE4ELNS1_11target_archE910ELNS1_3gpuE8ELNS1_3repE0EEENS1_30default_config_static_selectorELNS0_4arch9wavefront6targetE0EEEvT1_,@function
_ZN7rocprim17ROCPRIM_400000_NS6detail17trampoline_kernelINS0_14default_configENS1_27scan_by_key_config_selectorIj11FixedVectorIiLj8EEEEZZNS1_16scan_by_key_implILNS1_25lookback_scan_determinismE0ELb0ES3_N6thrust23THRUST_200600_302600_NS6detail15normal_iteratorINSB_10device_ptrIjEEEENSD_INSE_IS6_EEEESI_S6_NSB_4plusIvEENSB_8equal_toIvEES6_EE10hipError_tPvRmT2_T3_T4_T5_mT6_T7_P12ihipStream_tbENKUlT_T0_E_clISt17integral_constantIbLb0EES13_EEDaSY_SZ_EUlSY_E_NS1_11comp_targetILNS1_3genE4ELNS1_11target_archE910ELNS1_3gpuE8ELNS1_3repE0EEENS1_30default_config_static_selectorELNS0_4arch9wavefront6targetE0EEEvT1_: ; @_ZN7rocprim17ROCPRIM_400000_NS6detail17trampoline_kernelINS0_14default_configENS1_27scan_by_key_config_selectorIj11FixedVectorIiLj8EEEEZZNS1_16scan_by_key_implILNS1_25lookback_scan_determinismE0ELb0ES3_N6thrust23THRUST_200600_302600_NS6detail15normal_iteratorINSB_10device_ptrIjEEEENSD_INSE_IS6_EEEESI_S6_NSB_4plusIvEENSB_8equal_toIvEES6_EE10hipError_tPvRmT2_T3_T4_T5_mT6_T7_P12ihipStream_tbENKUlT_T0_E_clISt17integral_constantIbLb0EES13_EEDaSY_SZ_EUlSY_E_NS1_11comp_targetILNS1_3genE4ELNS1_11target_archE910ELNS1_3gpuE8ELNS1_3repE0EEENS1_30default_config_static_selectorELNS0_4arch9wavefront6targetE0EEEvT1_
; %bb.0:
	.section	.rodata,"a",@progbits
	.p2align	6, 0x0
	.amdhsa_kernel _ZN7rocprim17ROCPRIM_400000_NS6detail17trampoline_kernelINS0_14default_configENS1_27scan_by_key_config_selectorIj11FixedVectorIiLj8EEEEZZNS1_16scan_by_key_implILNS1_25lookback_scan_determinismE0ELb0ES3_N6thrust23THRUST_200600_302600_NS6detail15normal_iteratorINSB_10device_ptrIjEEEENSD_INSE_IS6_EEEESI_S6_NSB_4plusIvEENSB_8equal_toIvEES6_EE10hipError_tPvRmT2_T3_T4_T5_mT6_T7_P12ihipStream_tbENKUlT_T0_E_clISt17integral_constantIbLb0EES13_EEDaSY_SZ_EUlSY_E_NS1_11comp_targetILNS1_3genE4ELNS1_11target_archE910ELNS1_3gpuE8ELNS1_3repE0EEENS1_30default_config_static_selectorELNS0_4arch9wavefront6targetE0EEEvT1_
		.amdhsa_group_segment_fixed_size 0
		.amdhsa_private_segment_fixed_size 0
		.amdhsa_kernarg_size 160
		.amdhsa_user_sgpr_count 2
		.amdhsa_user_sgpr_dispatch_ptr 0
		.amdhsa_user_sgpr_queue_ptr 0
		.amdhsa_user_sgpr_kernarg_segment_ptr 1
		.amdhsa_user_sgpr_dispatch_id 0
		.amdhsa_user_sgpr_kernarg_preload_length 0
		.amdhsa_user_sgpr_kernarg_preload_offset 0
		.amdhsa_user_sgpr_private_segment_size 0
		.amdhsa_wavefront_size32 1
		.amdhsa_uses_dynamic_stack 0
		.amdhsa_enable_private_segment 0
		.amdhsa_system_sgpr_workgroup_id_x 1
		.amdhsa_system_sgpr_workgroup_id_y 0
		.amdhsa_system_sgpr_workgroup_id_z 0
		.amdhsa_system_sgpr_workgroup_info 0
		.amdhsa_system_vgpr_workitem_id 0
		.amdhsa_next_free_vgpr 1
		.amdhsa_next_free_sgpr 1
		.amdhsa_named_barrier_count 0
		.amdhsa_reserve_vcc 0
		.amdhsa_float_round_mode_32 0
		.amdhsa_float_round_mode_16_64 0
		.amdhsa_float_denorm_mode_32 3
		.amdhsa_float_denorm_mode_16_64 3
		.amdhsa_fp16_overflow 0
		.amdhsa_memory_ordered 1
		.amdhsa_forward_progress 1
		.amdhsa_inst_pref_size 0
		.amdhsa_round_robin_scheduling 0
		.amdhsa_exception_fp_ieee_invalid_op 0
		.amdhsa_exception_fp_denorm_src 0
		.amdhsa_exception_fp_ieee_div_zero 0
		.amdhsa_exception_fp_ieee_overflow 0
		.amdhsa_exception_fp_ieee_underflow 0
		.amdhsa_exception_fp_ieee_inexact 0
		.amdhsa_exception_int_div_zero 0
	.end_amdhsa_kernel
	.section	.text._ZN7rocprim17ROCPRIM_400000_NS6detail17trampoline_kernelINS0_14default_configENS1_27scan_by_key_config_selectorIj11FixedVectorIiLj8EEEEZZNS1_16scan_by_key_implILNS1_25lookback_scan_determinismE0ELb0ES3_N6thrust23THRUST_200600_302600_NS6detail15normal_iteratorINSB_10device_ptrIjEEEENSD_INSE_IS6_EEEESI_S6_NSB_4plusIvEENSB_8equal_toIvEES6_EE10hipError_tPvRmT2_T3_T4_T5_mT6_T7_P12ihipStream_tbENKUlT_T0_E_clISt17integral_constantIbLb0EES13_EEDaSY_SZ_EUlSY_E_NS1_11comp_targetILNS1_3genE4ELNS1_11target_archE910ELNS1_3gpuE8ELNS1_3repE0EEENS1_30default_config_static_selectorELNS0_4arch9wavefront6targetE0EEEvT1_,"axG",@progbits,_ZN7rocprim17ROCPRIM_400000_NS6detail17trampoline_kernelINS0_14default_configENS1_27scan_by_key_config_selectorIj11FixedVectorIiLj8EEEEZZNS1_16scan_by_key_implILNS1_25lookback_scan_determinismE0ELb0ES3_N6thrust23THRUST_200600_302600_NS6detail15normal_iteratorINSB_10device_ptrIjEEEENSD_INSE_IS6_EEEESI_S6_NSB_4plusIvEENSB_8equal_toIvEES6_EE10hipError_tPvRmT2_T3_T4_T5_mT6_T7_P12ihipStream_tbENKUlT_T0_E_clISt17integral_constantIbLb0EES13_EEDaSY_SZ_EUlSY_E_NS1_11comp_targetILNS1_3genE4ELNS1_11target_archE910ELNS1_3gpuE8ELNS1_3repE0EEENS1_30default_config_static_selectorELNS0_4arch9wavefront6targetE0EEEvT1_,comdat
.Lfunc_end2118:
	.size	_ZN7rocprim17ROCPRIM_400000_NS6detail17trampoline_kernelINS0_14default_configENS1_27scan_by_key_config_selectorIj11FixedVectorIiLj8EEEEZZNS1_16scan_by_key_implILNS1_25lookback_scan_determinismE0ELb0ES3_N6thrust23THRUST_200600_302600_NS6detail15normal_iteratorINSB_10device_ptrIjEEEENSD_INSE_IS6_EEEESI_S6_NSB_4plusIvEENSB_8equal_toIvEES6_EE10hipError_tPvRmT2_T3_T4_T5_mT6_T7_P12ihipStream_tbENKUlT_T0_E_clISt17integral_constantIbLb0EES13_EEDaSY_SZ_EUlSY_E_NS1_11comp_targetILNS1_3genE4ELNS1_11target_archE910ELNS1_3gpuE8ELNS1_3repE0EEENS1_30default_config_static_selectorELNS0_4arch9wavefront6targetE0EEEvT1_, .Lfunc_end2118-_ZN7rocprim17ROCPRIM_400000_NS6detail17trampoline_kernelINS0_14default_configENS1_27scan_by_key_config_selectorIj11FixedVectorIiLj8EEEEZZNS1_16scan_by_key_implILNS1_25lookback_scan_determinismE0ELb0ES3_N6thrust23THRUST_200600_302600_NS6detail15normal_iteratorINSB_10device_ptrIjEEEENSD_INSE_IS6_EEEESI_S6_NSB_4plusIvEENSB_8equal_toIvEES6_EE10hipError_tPvRmT2_T3_T4_T5_mT6_T7_P12ihipStream_tbENKUlT_T0_E_clISt17integral_constantIbLb0EES13_EEDaSY_SZ_EUlSY_E_NS1_11comp_targetILNS1_3genE4ELNS1_11target_archE910ELNS1_3gpuE8ELNS1_3repE0EEENS1_30default_config_static_selectorELNS0_4arch9wavefront6targetE0EEEvT1_
                                        ; -- End function
	.set _ZN7rocprim17ROCPRIM_400000_NS6detail17trampoline_kernelINS0_14default_configENS1_27scan_by_key_config_selectorIj11FixedVectorIiLj8EEEEZZNS1_16scan_by_key_implILNS1_25lookback_scan_determinismE0ELb0ES3_N6thrust23THRUST_200600_302600_NS6detail15normal_iteratorINSB_10device_ptrIjEEEENSD_INSE_IS6_EEEESI_S6_NSB_4plusIvEENSB_8equal_toIvEES6_EE10hipError_tPvRmT2_T3_T4_T5_mT6_T7_P12ihipStream_tbENKUlT_T0_E_clISt17integral_constantIbLb0EES13_EEDaSY_SZ_EUlSY_E_NS1_11comp_targetILNS1_3genE4ELNS1_11target_archE910ELNS1_3gpuE8ELNS1_3repE0EEENS1_30default_config_static_selectorELNS0_4arch9wavefront6targetE0EEEvT1_.num_vgpr, 0
	.set _ZN7rocprim17ROCPRIM_400000_NS6detail17trampoline_kernelINS0_14default_configENS1_27scan_by_key_config_selectorIj11FixedVectorIiLj8EEEEZZNS1_16scan_by_key_implILNS1_25lookback_scan_determinismE0ELb0ES3_N6thrust23THRUST_200600_302600_NS6detail15normal_iteratorINSB_10device_ptrIjEEEENSD_INSE_IS6_EEEESI_S6_NSB_4plusIvEENSB_8equal_toIvEES6_EE10hipError_tPvRmT2_T3_T4_T5_mT6_T7_P12ihipStream_tbENKUlT_T0_E_clISt17integral_constantIbLb0EES13_EEDaSY_SZ_EUlSY_E_NS1_11comp_targetILNS1_3genE4ELNS1_11target_archE910ELNS1_3gpuE8ELNS1_3repE0EEENS1_30default_config_static_selectorELNS0_4arch9wavefront6targetE0EEEvT1_.num_agpr, 0
	.set _ZN7rocprim17ROCPRIM_400000_NS6detail17trampoline_kernelINS0_14default_configENS1_27scan_by_key_config_selectorIj11FixedVectorIiLj8EEEEZZNS1_16scan_by_key_implILNS1_25lookback_scan_determinismE0ELb0ES3_N6thrust23THRUST_200600_302600_NS6detail15normal_iteratorINSB_10device_ptrIjEEEENSD_INSE_IS6_EEEESI_S6_NSB_4plusIvEENSB_8equal_toIvEES6_EE10hipError_tPvRmT2_T3_T4_T5_mT6_T7_P12ihipStream_tbENKUlT_T0_E_clISt17integral_constantIbLb0EES13_EEDaSY_SZ_EUlSY_E_NS1_11comp_targetILNS1_3genE4ELNS1_11target_archE910ELNS1_3gpuE8ELNS1_3repE0EEENS1_30default_config_static_selectorELNS0_4arch9wavefront6targetE0EEEvT1_.numbered_sgpr, 0
	.set _ZN7rocprim17ROCPRIM_400000_NS6detail17trampoline_kernelINS0_14default_configENS1_27scan_by_key_config_selectorIj11FixedVectorIiLj8EEEEZZNS1_16scan_by_key_implILNS1_25lookback_scan_determinismE0ELb0ES3_N6thrust23THRUST_200600_302600_NS6detail15normal_iteratorINSB_10device_ptrIjEEEENSD_INSE_IS6_EEEESI_S6_NSB_4plusIvEENSB_8equal_toIvEES6_EE10hipError_tPvRmT2_T3_T4_T5_mT6_T7_P12ihipStream_tbENKUlT_T0_E_clISt17integral_constantIbLb0EES13_EEDaSY_SZ_EUlSY_E_NS1_11comp_targetILNS1_3genE4ELNS1_11target_archE910ELNS1_3gpuE8ELNS1_3repE0EEENS1_30default_config_static_selectorELNS0_4arch9wavefront6targetE0EEEvT1_.num_named_barrier, 0
	.set _ZN7rocprim17ROCPRIM_400000_NS6detail17trampoline_kernelINS0_14default_configENS1_27scan_by_key_config_selectorIj11FixedVectorIiLj8EEEEZZNS1_16scan_by_key_implILNS1_25lookback_scan_determinismE0ELb0ES3_N6thrust23THRUST_200600_302600_NS6detail15normal_iteratorINSB_10device_ptrIjEEEENSD_INSE_IS6_EEEESI_S6_NSB_4plusIvEENSB_8equal_toIvEES6_EE10hipError_tPvRmT2_T3_T4_T5_mT6_T7_P12ihipStream_tbENKUlT_T0_E_clISt17integral_constantIbLb0EES13_EEDaSY_SZ_EUlSY_E_NS1_11comp_targetILNS1_3genE4ELNS1_11target_archE910ELNS1_3gpuE8ELNS1_3repE0EEENS1_30default_config_static_selectorELNS0_4arch9wavefront6targetE0EEEvT1_.private_seg_size, 0
	.set _ZN7rocprim17ROCPRIM_400000_NS6detail17trampoline_kernelINS0_14default_configENS1_27scan_by_key_config_selectorIj11FixedVectorIiLj8EEEEZZNS1_16scan_by_key_implILNS1_25lookback_scan_determinismE0ELb0ES3_N6thrust23THRUST_200600_302600_NS6detail15normal_iteratorINSB_10device_ptrIjEEEENSD_INSE_IS6_EEEESI_S6_NSB_4plusIvEENSB_8equal_toIvEES6_EE10hipError_tPvRmT2_T3_T4_T5_mT6_T7_P12ihipStream_tbENKUlT_T0_E_clISt17integral_constantIbLb0EES13_EEDaSY_SZ_EUlSY_E_NS1_11comp_targetILNS1_3genE4ELNS1_11target_archE910ELNS1_3gpuE8ELNS1_3repE0EEENS1_30default_config_static_selectorELNS0_4arch9wavefront6targetE0EEEvT1_.uses_vcc, 0
	.set _ZN7rocprim17ROCPRIM_400000_NS6detail17trampoline_kernelINS0_14default_configENS1_27scan_by_key_config_selectorIj11FixedVectorIiLj8EEEEZZNS1_16scan_by_key_implILNS1_25lookback_scan_determinismE0ELb0ES3_N6thrust23THRUST_200600_302600_NS6detail15normal_iteratorINSB_10device_ptrIjEEEENSD_INSE_IS6_EEEESI_S6_NSB_4plusIvEENSB_8equal_toIvEES6_EE10hipError_tPvRmT2_T3_T4_T5_mT6_T7_P12ihipStream_tbENKUlT_T0_E_clISt17integral_constantIbLb0EES13_EEDaSY_SZ_EUlSY_E_NS1_11comp_targetILNS1_3genE4ELNS1_11target_archE910ELNS1_3gpuE8ELNS1_3repE0EEENS1_30default_config_static_selectorELNS0_4arch9wavefront6targetE0EEEvT1_.uses_flat_scratch, 0
	.set _ZN7rocprim17ROCPRIM_400000_NS6detail17trampoline_kernelINS0_14default_configENS1_27scan_by_key_config_selectorIj11FixedVectorIiLj8EEEEZZNS1_16scan_by_key_implILNS1_25lookback_scan_determinismE0ELb0ES3_N6thrust23THRUST_200600_302600_NS6detail15normal_iteratorINSB_10device_ptrIjEEEENSD_INSE_IS6_EEEESI_S6_NSB_4plusIvEENSB_8equal_toIvEES6_EE10hipError_tPvRmT2_T3_T4_T5_mT6_T7_P12ihipStream_tbENKUlT_T0_E_clISt17integral_constantIbLb0EES13_EEDaSY_SZ_EUlSY_E_NS1_11comp_targetILNS1_3genE4ELNS1_11target_archE910ELNS1_3gpuE8ELNS1_3repE0EEENS1_30default_config_static_selectorELNS0_4arch9wavefront6targetE0EEEvT1_.has_dyn_sized_stack, 0
	.set _ZN7rocprim17ROCPRIM_400000_NS6detail17trampoline_kernelINS0_14default_configENS1_27scan_by_key_config_selectorIj11FixedVectorIiLj8EEEEZZNS1_16scan_by_key_implILNS1_25lookback_scan_determinismE0ELb0ES3_N6thrust23THRUST_200600_302600_NS6detail15normal_iteratorINSB_10device_ptrIjEEEENSD_INSE_IS6_EEEESI_S6_NSB_4plusIvEENSB_8equal_toIvEES6_EE10hipError_tPvRmT2_T3_T4_T5_mT6_T7_P12ihipStream_tbENKUlT_T0_E_clISt17integral_constantIbLb0EES13_EEDaSY_SZ_EUlSY_E_NS1_11comp_targetILNS1_3genE4ELNS1_11target_archE910ELNS1_3gpuE8ELNS1_3repE0EEENS1_30default_config_static_selectorELNS0_4arch9wavefront6targetE0EEEvT1_.has_recursion, 0
	.set _ZN7rocprim17ROCPRIM_400000_NS6detail17trampoline_kernelINS0_14default_configENS1_27scan_by_key_config_selectorIj11FixedVectorIiLj8EEEEZZNS1_16scan_by_key_implILNS1_25lookback_scan_determinismE0ELb0ES3_N6thrust23THRUST_200600_302600_NS6detail15normal_iteratorINSB_10device_ptrIjEEEENSD_INSE_IS6_EEEESI_S6_NSB_4plusIvEENSB_8equal_toIvEES6_EE10hipError_tPvRmT2_T3_T4_T5_mT6_T7_P12ihipStream_tbENKUlT_T0_E_clISt17integral_constantIbLb0EES13_EEDaSY_SZ_EUlSY_E_NS1_11comp_targetILNS1_3genE4ELNS1_11target_archE910ELNS1_3gpuE8ELNS1_3repE0EEENS1_30default_config_static_selectorELNS0_4arch9wavefront6targetE0EEEvT1_.has_indirect_call, 0
	.section	.AMDGPU.csdata,"",@progbits
; Kernel info:
; codeLenInByte = 0
; TotalNumSgprs: 0
; NumVgprs: 0
; ScratchSize: 0
; MemoryBound: 0
; FloatMode: 240
; IeeeMode: 1
; LDSByteSize: 0 bytes/workgroup (compile time only)
; SGPRBlocks: 0
; VGPRBlocks: 0
; NumSGPRsForWavesPerEU: 1
; NumVGPRsForWavesPerEU: 1
; NamedBarCnt: 0
; Occupancy: 16
; WaveLimiterHint : 0
; COMPUTE_PGM_RSRC2:SCRATCH_EN: 0
; COMPUTE_PGM_RSRC2:USER_SGPR: 2
; COMPUTE_PGM_RSRC2:TRAP_HANDLER: 0
; COMPUTE_PGM_RSRC2:TGID_X_EN: 1
; COMPUTE_PGM_RSRC2:TGID_Y_EN: 0
; COMPUTE_PGM_RSRC2:TGID_Z_EN: 0
; COMPUTE_PGM_RSRC2:TIDIG_COMP_CNT: 0
	.section	.text._ZN7rocprim17ROCPRIM_400000_NS6detail17trampoline_kernelINS0_14default_configENS1_27scan_by_key_config_selectorIj11FixedVectorIiLj8EEEEZZNS1_16scan_by_key_implILNS1_25lookback_scan_determinismE0ELb0ES3_N6thrust23THRUST_200600_302600_NS6detail15normal_iteratorINSB_10device_ptrIjEEEENSD_INSE_IS6_EEEESI_S6_NSB_4plusIvEENSB_8equal_toIvEES6_EE10hipError_tPvRmT2_T3_T4_T5_mT6_T7_P12ihipStream_tbENKUlT_T0_E_clISt17integral_constantIbLb0EES13_EEDaSY_SZ_EUlSY_E_NS1_11comp_targetILNS1_3genE3ELNS1_11target_archE908ELNS1_3gpuE7ELNS1_3repE0EEENS1_30default_config_static_selectorELNS0_4arch9wavefront6targetE0EEEvT1_,"axG",@progbits,_ZN7rocprim17ROCPRIM_400000_NS6detail17trampoline_kernelINS0_14default_configENS1_27scan_by_key_config_selectorIj11FixedVectorIiLj8EEEEZZNS1_16scan_by_key_implILNS1_25lookback_scan_determinismE0ELb0ES3_N6thrust23THRUST_200600_302600_NS6detail15normal_iteratorINSB_10device_ptrIjEEEENSD_INSE_IS6_EEEESI_S6_NSB_4plusIvEENSB_8equal_toIvEES6_EE10hipError_tPvRmT2_T3_T4_T5_mT6_T7_P12ihipStream_tbENKUlT_T0_E_clISt17integral_constantIbLb0EES13_EEDaSY_SZ_EUlSY_E_NS1_11comp_targetILNS1_3genE3ELNS1_11target_archE908ELNS1_3gpuE7ELNS1_3repE0EEENS1_30default_config_static_selectorELNS0_4arch9wavefront6targetE0EEEvT1_,comdat
	.protected	_ZN7rocprim17ROCPRIM_400000_NS6detail17trampoline_kernelINS0_14default_configENS1_27scan_by_key_config_selectorIj11FixedVectorIiLj8EEEEZZNS1_16scan_by_key_implILNS1_25lookback_scan_determinismE0ELb0ES3_N6thrust23THRUST_200600_302600_NS6detail15normal_iteratorINSB_10device_ptrIjEEEENSD_INSE_IS6_EEEESI_S6_NSB_4plusIvEENSB_8equal_toIvEES6_EE10hipError_tPvRmT2_T3_T4_T5_mT6_T7_P12ihipStream_tbENKUlT_T0_E_clISt17integral_constantIbLb0EES13_EEDaSY_SZ_EUlSY_E_NS1_11comp_targetILNS1_3genE3ELNS1_11target_archE908ELNS1_3gpuE7ELNS1_3repE0EEENS1_30default_config_static_selectorELNS0_4arch9wavefront6targetE0EEEvT1_ ; -- Begin function _ZN7rocprim17ROCPRIM_400000_NS6detail17trampoline_kernelINS0_14default_configENS1_27scan_by_key_config_selectorIj11FixedVectorIiLj8EEEEZZNS1_16scan_by_key_implILNS1_25lookback_scan_determinismE0ELb0ES3_N6thrust23THRUST_200600_302600_NS6detail15normal_iteratorINSB_10device_ptrIjEEEENSD_INSE_IS6_EEEESI_S6_NSB_4plusIvEENSB_8equal_toIvEES6_EE10hipError_tPvRmT2_T3_T4_T5_mT6_T7_P12ihipStream_tbENKUlT_T0_E_clISt17integral_constantIbLb0EES13_EEDaSY_SZ_EUlSY_E_NS1_11comp_targetILNS1_3genE3ELNS1_11target_archE908ELNS1_3gpuE7ELNS1_3repE0EEENS1_30default_config_static_selectorELNS0_4arch9wavefront6targetE0EEEvT1_
	.globl	_ZN7rocprim17ROCPRIM_400000_NS6detail17trampoline_kernelINS0_14default_configENS1_27scan_by_key_config_selectorIj11FixedVectorIiLj8EEEEZZNS1_16scan_by_key_implILNS1_25lookback_scan_determinismE0ELb0ES3_N6thrust23THRUST_200600_302600_NS6detail15normal_iteratorINSB_10device_ptrIjEEEENSD_INSE_IS6_EEEESI_S6_NSB_4plusIvEENSB_8equal_toIvEES6_EE10hipError_tPvRmT2_T3_T4_T5_mT6_T7_P12ihipStream_tbENKUlT_T0_E_clISt17integral_constantIbLb0EES13_EEDaSY_SZ_EUlSY_E_NS1_11comp_targetILNS1_3genE3ELNS1_11target_archE908ELNS1_3gpuE7ELNS1_3repE0EEENS1_30default_config_static_selectorELNS0_4arch9wavefront6targetE0EEEvT1_
	.p2align	8
	.type	_ZN7rocprim17ROCPRIM_400000_NS6detail17trampoline_kernelINS0_14default_configENS1_27scan_by_key_config_selectorIj11FixedVectorIiLj8EEEEZZNS1_16scan_by_key_implILNS1_25lookback_scan_determinismE0ELb0ES3_N6thrust23THRUST_200600_302600_NS6detail15normal_iteratorINSB_10device_ptrIjEEEENSD_INSE_IS6_EEEESI_S6_NSB_4plusIvEENSB_8equal_toIvEES6_EE10hipError_tPvRmT2_T3_T4_T5_mT6_T7_P12ihipStream_tbENKUlT_T0_E_clISt17integral_constantIbLb0EES13_EEDaSY_SZ_EUlSY_E_NS1_11comp_targetILNS1_3genE3ELNS1_11target_archE908ELNS1_3gpuE7ELNS1_3repE0EEENS1_30default_config_static_selectorELNS0_4arch9wavefront6targetE0EEEvT1_,@function
_ZN7rocprim17ROCPRIM_400000_NS6detail17trampoline_kernelINS0_14default_configENS1_27scan_by_key_config_selectorIj11FixedVectorIiLj8EEEEZZNS1_16scan_by_key_implILNS1_25lookback_scan_determinismE0ELb0ES3_N6thrust23THRUST_200600_302600_NS6detail15normal_iteratorINSB_10device_ptrIjEEEENSD_INSE_IS6_EEEESI_S6_NSB_4plusIvEENSB_8equal_toIvEES6_EE10hipError_tPvRmT2_T3_T4_T5_mT6_T7_P12ihipStream_tbENKUlT_T0_E_clISt17integral_constantIbLb0EES13_EEDaSY_SZ_EUlSY_E_NS1_11comp_targetILNS1_3genE3ELNS1_11target_archE908ELNS1_3gpuE7ELNS1_3repE0EEENS1_30default_config_static_selectorELNS0_4arch9wavefront6targetE0EEEvT1_: ; @_ZN7rocprim17ROCPRIM_400000_NS6detail17trampoline_kernelINS0_14default_configENS1_27scan_by_key_config_selectorIj11FixedVectorIiLj8EEEEZZNS1_16scan_by_key_implILNS1_25lookback_scan_determinismE0ELb0ES3_N6thrust23THRUST_200600_302600_NS6detail15normal_iteratorINSB_10device_ptrIjEEEENSD_INSE_IS6_EEEESI_S6_NSB_4plusIvEENSB_8equal_toIvEES6_EE10hipError_tPvRmT2_T3_T4_T5_mT6_T7_P12ihipStream_tbENKUlT_T0_E_clISt17integral_constantIbLb0EES13_EEDaSY_SZ_EUlSY_E_NS1_11comp_targetILNS1_3genE3ELNS1_11target_archE908ELNS1_3gpuE7ELNS1_3repE0EEENS1_30default_config_static_selectorELNS0_4arch9wavefront6targetE0EEEvT1_
; %bb.0:
	.section	.rodata,"a",@progbits
	.p2align	6, 0x0
	.amdhsa_kernel _ZN7rocprim17ROCPRIM_400000_NS6detail17trampoline_kernelINS0_14default_configENS1_27scan_by_key_config_selectorIj11FixedVectorIiLj8EEEEZZNS1_16scan_by_key_implILNS1_25lookback_scan_determinismE0ELb0ES3_N6thrust23THRUST_200600_302600_NS6detail15normal_iteratorINSB_10device_ptrIjEEEENSD_INSE_IS6_EEEESI_S6_NSB_4plusIvEENSB_8equal_toIvEES6_EE10hipError_tPvRmT2_T3_T4_T5_mT6_T7_P12ihipStream_tbENKUlT_T0_E_clISt17integral_constantIbLb0EES13_EEDaSY_SZ_EUlSY_E_NS1_11comp_targetILNS1_3genE3ELNS1_11target_archE908ELNS1_3gpuE7ELNS1_3repE0EEENS1_30default_config_static_selectorELNS0_4arch9wavefront6targetE0EEEvT1_
		.amdhsa_group_segment_fixed_size 0
		.amdhsa_private_segment_fixed_size 0
		.amdhsa_kernarg_size 160
		.amdhsa_user_sgpr_count 2
		.amdhsa_user_sgpr_dispatch_ptr 0
		.amdhsa_user_sgpr_queue_ptr 0
		.amdhsa_user_sgpr_kernarg_segment_ptr 1
		.amdhsa_user_sgpr_dispatch_id 0
		.amdhsa_user_sgpr_kernarg_preload_length 0
		.amdhsa_user_sgpr_kernarg_preload_offset 0
		.amdhsa_user_sgpr_private_segment_size 0
		.amdhsa_wavefront_size32 1
		.amdhsa_uses_dynamic_stack 0
		.amdhsa_enable_private_segment 0
		.amdhsa_system_sgpr_workgroup_id_x 1
		.amdhsa_system_sgpr_workgroup_id_y 0
		.amdhsa_system_sgpr_workgroup_id_z 0
		.amdhsa_system_sgpr_workgroup_info 0
		.amdhsa_system_vgpr_workitem_id 0
		.amdhsa_next_free_vgpr 1
		.amdhsa_next_free_sgpr 1
		.amdhsa_named_barrier_count 0
		.amdhsa_reserve_vcc 0
		.amdhsa_float_round_mode_32 0
		.amdhsa_float_round_mode_16_64 0
		.amdhsa_float_denorm_mode_32 3
		.amdhsa_float_denorm_mode_16_64 3
		.amdhsa_fp16_overflow 0
		.amdhsa_memory_ordered 1
		.amdhsa_forward_progress 1
		.amdhsa_inst_pref_size 0
		.amdhsa_round_robin_scheduling 0
		.amdhsa_exception_fp_ieee_invalid_op 0
		.amdhsa_exception_fp_denorm_src 0
		.amdhsa_exception_fp_ieee_div_zero 0
		.amdhsa_exception_fp_ieee_overflow 0
		.amdhsa_exception_fp_ieee_underflow 0
		.amdhsa_exception_fp_ieee_inexact 0
		.amdhsa_exception_int_div_zero 0
	.end_amdhsa_kernel
	.section	.text._ZN7rocprim17ROCPRIM_400000_NS6detail17trampoline_kernelINS0_14default_configENS1_27scan_by_key_config_selectorIj11FixedVectorIiLj8EEEEZZNS1_16scan_by_key_implILNS1_25lookback_scan_determinismE0ELb0ES3_N6thrust23THRUST_200600_302600_NS6detail15normal_iteratorINSB_10device_ptrIjEEEENSD_INSE_IS6_EEEESI_S6_NSB_4plusIvEENSB_8equal_toIvEES6_EE10hipError_tPvRmT2_T3_T4_T5_mT6_T7_P12ihipStream_tbENKUlT_T0_E_clISt17integral_constantIbLb0EES13_EEDaSY_SZ_EUlSY_E_NS1_11comp_targetILNS1_3genE3ELNS1_11target_archE908ELNS1_3gpuE7ELNS1_3repE0EEENS1_30default_config_static_selectorELNS0_4arch9wavefront6targetE0EEEvT1_,"axG",@progbits,_ZN7rocprim17ROCPRIM_400000_NS6detail17trampoline_kernelINS0_14default_configENS1_27scan_by_key_config_selectorIj11FixedVectorIiLj8EEEEZZNS1_16scan_by_key_implILNS1_25lookback_scan_determinismE0ELb0ES3_N6thrust23THRUST_200600_302600_NS6detail15normal_iteratorINSB_10device_ptrIjEEEENSD_INSE_IS6_EEEESI_S6_NSB_4plusIvEENSB_8equal_toIvEES6_EE10hipError_tPvRmT2_T3_T4_T5_mT6_T7_P12ihipStream_tbENKUlT_T0_E_clISt17integral_constantIbLb0EES13_EEDaSY_SZ_EUlSY_E_NS1_11comp_targetILNS1_3genE3ELNS1_11target_archE908ELNS1_3gpuE7ELNS1_3repE0EEENS1_30default_config_static_selectorELNS0_4arch9wavefront6targetE0EEEvT1_,comdat
.Lfunc_end2119:
	.size	_ZN7rocprim17ROCPRIM_400000_NS6detail17trampoline_kernelINS0_14default_configENS1_27scan_by_key_config_selectorIj11FixedVectorIiLj8EEEEZZNS1_16scan_by_key_implILNS1_25lookback_scan_determinismE0ELb0ES3_N6thrust23THRUST_200600_302600_NS6detail15normal_iteratorINSB_10device_ptrIjEEEENSD_INSE_IS6_EEEESI_S6_NSB_4plusIvEENSB_8equal_toIvEES6_EE10hipError_tPvRmT2_T3_T4_T5_mT6_T7_P12ihipStream_tbENKUlT_T0_E_clISt17integral_constantIbLb0EES13_EEDaSY_SZ_EUlSY_E_NS1_11comp_targetILNS1_3genE3ELNS1_11target_archE908ELNS1_3gpuE7ELNS1_3repE0EEENS1_30default_config_static_selectorELNS0_4arch9wavefront6targetE0EEEvT1_, .Lfunc_end2119-_ZN7rocprim17ROCPRIM_400000_NS6detail17trampoline_kernelINS0_14default_configENS1_27scan_by_key_config_selectorIj11FixedVectorIiLj8EEEEZZNS1_16scan_by_key_implILNS1_25lookback_scan_determinismE0ELb0ES3_N6thrust23THRUST_200600_302600_NS6detail15normal_iteratorINSB_10device_ptrIjEEEENSD_INSE_IS6_EEEESI_S6_NSB_4plusIvEENSB_8equal_toIvEES6_EE10hipError_tPvRmT2_T3_T4_T5_mT6_T7_P12ihipStream_tbENKUlT_T0_E_clISt17integral_constantIbLb0EES13_EEDaSY_SZ_EUlSY_E_NS1_11comp_targetILNS1_3genE3ELNS1_11target_archE908ELNS1_3gpuE7ELNS1_3repE0EEENS1_30default_config_static_selectorELNS0_4arch9wavefront6targetE0EEEvT1_
                                        ; -- End function
	.set _ZN7rocprim17ROCPRIM_400000_NS6detail17trampoline_kernelINS0_14default_configENS1_27scan_by_key_config_selectorIj11FixedVectorIiLj8EEEEZZNS1_16scan_by_key_implILNS1_25lookback_scan_determinismE0ELb0ES3_N6thrust23THRUST_200600_302600_NS6detail15normal_iteratorINSB_10device_ptrIjEEEENSD_INSE_IS6_EEEESI_S6_NSB_4plusIvEENSB_8equal_toIvEES6_EE10hipError_tPvRmT2_T3_T4_T5_mT6_T7_P12ihipStream_tbENKUlT_T0_E_clISt17integral_constantIbLb0EES13_EEDaSY_SZ_EUlSY_E_NS1_11comp_targetILNS1_3genE3ELNS1_11target_archE908ELNS1_3gpuE7ELNS1_3repE0EEENS1_30default_config_static_selectorELNS0_4arch9wavefront6targetE0EEEvT1_.num_vgpr, 0
	.set _ZN7rocprim17ROCPRIM_400000_NS6detail17trampoline_kernelINS0_14default_configENS1_27scan_by_key_config_selectorIj11FixedVectorIiLj8EEEEZZNS1_16scan_by_key_implILNS1_25lookback_scan_determinismE0ELb0ES3_N6thrust23THRUST_200600_302600_NS6detail15normal_iteratorINSB_10device_ptrIjEEEENSD_INSE_IS6_EEEESI_S6_NSB_4plusIvEENSB_8equal_toIvEES6_EE10hipError_tPvRmT2_T3_T4_T5_mT6_T7_P12ihipStream_tbENKUlT_T0_E_clISt17integral_constantIbLb0EES13_EEDaSY_SZ_EUlSY_E_NS1_11comp_targetILNS1_3genE3ELNS1_11target_archE908ELNS1_3gpuE7ELNS1_3repE0EEENS1_30default_config_static_selectorELNS0_4arch9wavefront6targetE0EEEvT1_.num_agpr, 0
	.set _ZN7rocprim17ROCPRIM_400000_NS6detail17trampoline_kernelINS0_14default_configENS1_27scan_by_key_config_selectorIj11FixedVectorIiLj8EEEEZZNS1_16scan_by_key_implILNS1_25lookback_scan_determinismE0ELb0ES3_N6thrust23THRUST_200600_302600_NS6detail15normal_iteratorINSB_10device_ptrIjEEEENSD_INSE_IS6_EEEESI_S6_NSB_4plusIvEENSB_8equal_toIvEES6_EE10hipError_tPvRmT2_T3_T4_T5_mT6_T7_P12ihipStream_tbENKUlT_T0_E_clISt17integral_constantIbLb0EES13_EEDaSY_SZ_EUlSY_E_NS1_11comp_targetILNS1_3genE3ELNS1_11target_archE908ELNS1_3gpuE7ELNS1_3repE0EEENS1_30default_config_static_selectorELNS0_4arch9wavefront6targetE0EEEvT1_.numbered_sgpr, 0
	.set _ZN7rocprim17ROCPRIM_400000_NS6detail17trampoline_kernelINS0_14default_configENS1_27scan_by_key_config_selectorIj11FixedVectorIiLj8EEEEZZNS1_16scan_by_key_implILNS1_25lookback_scan_determinismE0ELb0ES3_N6thrust23THRUST_200600_302600_NS6detail15normal_iteratorINSB_10device_ptrIjEEEENSD_INSE_IS6_EEEESI_S6_NSB_4plusIvEENSB_8equal_toIvEES6_EE10hipError_tPvRmT2_T3_T4_T5_mT6_T7_P12ihipStream_tbENKUlT_T0_E_clISt17integral_constantIbLb0EES13_EEDaSY_SZ_EUlSY_E_NS1_11comp_targetILNS1_3genE3ELNS1_11target_archE908ELNS1_3gpuE7ELNS1_3repE0EEENS1_30default_config_static_selectorELNS0_4arch9wavefront6targetE0EEEvT1_.num_named_barrier, 0
	.set _ZN7rocprim17ROCPRIM_400000_NS6detail17trampoline_kernelINS0_14default_configENS1_27scan_by_key_config_selectorIj11FixedVectorIiLj8EEEEZZNS1_16scan_by_key_implILNS1_25lookback_scan_determinismE0ELb0ES3_N6thrust23THRUST_200600_302600_NS6detail15normal_iteratorINSB_10device_ptrIjEEEENSD_INSE_IS6_EEEESI_S6_NSB_4plusIvEENSB_8equal_toIvEES6_EE10hipError_tPvRmT2_T3_T4_T5_mT6_T7_P12ihipStream_tbENKUlT_T0_E_clISt17integral_constantIbLb0EES13_EEDaSY_SZ_EUlSY_E_NS1_11comp_targetILNS1_3genE3ELNS1_11target_archE908ELNS1_3gpuE7ELNS1_3repE0EEENS1_30default_config_static_selectorELNS0_4arch9wavefront6targetE0EEEvT1_.private_seg_size, 0
	.set _ZN7rocprim17ROCPRIM_400000_NS6detail17trampoline_kernelINS0_14default_configENS1_27scan_by_key_config_selectorIj11FixedVectorIiLj8EEEEZZNS1_16scan_by_key_implILNS1_25lookback_scan_determinismE0ELb0ES3_N6thrust23THRUST_200600_302600_NS6detail15normal_iteratorINSB_10device_ptrIjEEEENSD_INSE_IS6_EEEESI_S6_NSB_4plusIvEENSB_8equal_toIvEES6_EE10hipError_tPvRmT2_T3_T4_T5_mT6_T7_P12ihipStream_tbENKUlT_T0_E_clISt17integral_constantIbLb0EES13_EEDaSY_SZ_EUlSY_E_NS1_11comp_targetILNS1_3genE3ELNS1_11target_archE908ELNS1_3gpuE7ELNS1_3repE0EEENS1_30default_config_static_selectorELNS0_4arch9wavefront6targetE0EEEvT1_.uses_vcc, 0
	.set _ZN7rocprim17ROCPRIM_400000_NS6detail17trampoline_kernelINS0_14default_configENS1_27scan_by_key_config_selectorIj11FixedVectorIiLj8EEEEZZNS1_16scan_by_key_implILNS1_25lookback_scan_determinismE0ELb0ES3_N6thrust23THRUST_200600_302600_NS6detail15normal_iteratorINSB_10device_ptrIjEEEENSD_INSE_IS6_EEEESI_S6_NSB_4plusIvEENSB_8equal_toIvEES6_EE10hipError_tPvRmT2_T3_T4_T5_mT6_T7_P12ihipStream_tbENKUlT_T0_E_clISt17integral_constantIbLb0EES13_EEDaSY_SZ_EUlSY_E_NS1_11comp_targetILNS1_3genE3ELNS1_11target_archE908ELNS1_3gpuE7ELNS1_3repE0EEENS1_30default_config_static_selectorELNS0_4arch9wavefront6targetE0EEEvT1_.uses_flat_scratch, 0
	.set _ZN7rocprim17ROCPRIM_400000_NS6detail17trampoline_kernelINS0_14default_configENS1_27scan_by_key_config_selectorIj11FixedVectorIiLj8EEEEZZNS1_16scan_by_key_implILNS1_25lookback_scan_determinismE0ELb0ES3_N6thrust23THRUST_200600_302600_NS6detail15normal_iteratorINSB_10device_ptrIjEEEENSD_INSE_IS6_EEEESI_S6_NSB_4plusIvEENSB_8equal_toIvEES6_EE10hipError_tPvRmT2_T3_T4_T5_mT6_T7_P12ihipStream_tbENKUlT_T0_E_clISt17integral_constantIbLb0EES13_EEDaSY_SZ_EUlSY_E_NS1_11comp_targetILNS1_3genE3ELNS1_11target_archE908ELNS1_3gpuE7ELNS1_3repE0EEENS1_30default_config_static_selectorELNS0_4arch9wavefront6targetE0EEEvT1_.has_dyn_sized_stack, 0
	.set _ZN7rocprim17ROCPRIM_400000_NS6detail17trampoline_kernelINS0_14default_configENS1_27scan_by_key_config_selectorIj11FixedVectorIiLj8EEEEZZNS1_16scan_by_key_implILNS1_25lookback_scan_determinismE0ELb0ES3_N6thrust23THRUST_200600_302600_NS6detail15normal_iteratorINSB_10device_ptrIjEEEENSD_INSE_IS6_EEEESI_S6_NSB_4plusIvEENSB_8equal_toIvEES6_EE10hipError_tPvRmT2_T3_T4_T5_mT6_T7_P12ihipStream_tbENKUlT_T0_E_clISt17integral_constantIbLb0EES13_EEDaSY_SZ_EUlSY_E_NS1_11comp_targetILNS1_3genE3ELNS1_11target_archE908ELNS1_3gpuE7ELNS1_3repE0EEENS1_30default_config_static_selectorELNS0_4arch9wavefront6targetE0EEEvT1_.has_recursion, 0
	.set _ZN7rocprim17ROCPRIM_400000_NS6detail17trampoline_kernelINS0_14default_configENS1_27scan_by_key_config_selectorIj11FixedVectorIiLj8EEEEZZNS1_16scan_by_key_implILNS1_25lookback_scan_determinismE0ELb0ES3_N6thrust23THRUST_200600_302600_NS6detail15normal_iteratorINSB_10device_ptrIjEEEENSD_INSE_IS6_EEEESI_S6_NSB_4plusIvEENSB_8equal_toIvEES6_EE10hipError_tPvRmT2_T3_T4_T5_mT6_T7_P12ihipStream_tbENKUlT_T0_E_clISt17integral_constantIbLb0EES13_EEDaSY_SZ_EUlSY_E_NS1_11comp_targetILNS1_3genE3ELNS1_11target_archE908ELNS1_3gpuE7ELNS1_3repE0EEENS1_30default_config_static_selectorELNS0_4arch9wavefront6targetE0EEEvT1_.has_indirect_call, 0
	.section	.AMDGPU.csdata,"",@progbits
; Kernel info:
; codeLenInByte = 0
; TotalNumSgprs: 0
; NumVgprs: 0
; ScratchSize: 0
; MemoryBound: 0
; FloatMode: 240
; IeeeMode: 1
; LDSByteSize: 0 bytes/workgroup (compile time only)
; SGPRBlocks: 0
; VGPRBlocks: 0
; NumSGPRsForWavesPerEU: 1
; NumVGPRsForWavesPerEU: 1
; NamedBarCnt: 0
; Occupancy: 16
; WaveLimiterHint : 0
; COMPUTE_PGM_RSRC2:SCRATCH_EN: 0
; COMPUTE_PGM_RSRC2:USER_SGPR: 2
; COMPUTE_PGM_RSRC2:TRAP_HANDLER: 0
; COMPUTE_PGM_RSRC2:TGID_X_EN: 1
; COMPUTE_PGM_RSRC2:TGID_Y_EN: 0
; COMPUTE_PGM_RSRC2:TGID_Z_EN: 0
; COMPUTE_PGM_RSRC2:TIDIG_COMP_CNT: 0
	.section	.text._ZN7rocprim17ROCPRIM_400000_NS6detail17trampoline_kernelINS0_14default_configENS1_27scan_by_key_config_selectorIj11FixedVectorIiLj8EEEEZZNS1_16scan_by_key_implILNS1_25lookback_scan_determinismE0ELb0ES3_N6thrust23THRUST_200600_302600_NS6detail15normal_iteratorINSB_10device_ptrIjEEEENSD_INSE_IS6_EEEESI_S6_NSB_4plusIvEENSB_8equal_toIvEES6_EE10hipError_tPvRmT2_T3_T4_T5_mT6_T7_P12ihipStream_tbENKUlT_T0_E_clISt17integral_constantIbLb0EES13_EEDaSY_SZ_EUlSY_E_NS1_11comp_targetILNS1_3genE2ELNS1_11target_archE906ELNS1_3gpuE6ELNS1_3repE0EEENS1_30default_config_static_selectorELNS0_4arch9wavefront6targetE0EEEvT1_,"axG",@progbits,_ZN7rocprim17ROCPRIM_400000_NS6detail17trampoline_kernelINS0_14default_configENS1_27scan_by_key_config_selectorIj11FixedVectorIiLj8EEEEZZNS1_16scan_by_key_implILNS1_25lookback_scan_determinismE0ELb0ES3_N6thrust23THRUST_200600_302600_NS6detail15normal_iteratorINSB_10device_ptrIjEEEENSD_INSE_IS6_EEEESI_S6_NSB_4plusIvEENSB_8equal_toIvEES6_EE10hipError_tPvRmT2_T3_T4_T5_mT6_T7_P12ihipStream_tbENKUlT_T0_E_clISt17integral_constantIbLb0EES13_EEDaSY_SZ_EUlSY_E_NS1_11comp_targetILNS1_3genE2ELNS1_11target_archE906ELNS1_3gpuE6ELNS1_3repE0EEENS1_30default_config_static_selectorELNS0_4arch9wavefront6targetE0EEEvT1_,comdat
	.protected	_ZN7rocprim17ROCPRIM_400000_NS6detail17trampoline_kernelINS0_14default_configENS1_27scan_by_key_config_selectorIj11FixedVectorIiLj8EEEEZZNS1_16scan_by_key_implILNS1_25lookback_scan_determinismE0ELb0ES3_N6thrust23THRUST_200600_302600_NS6detail15normal_iteratorINSB_10device_ptrIjEEEENSD_INSE_IS6_EEEESI_S6_NSB_4plusIvEENSB_8equal_toIvEES6_EE10hipError_tPvRmT2_T3_T4_T5_mT6_T7_P12ihipStream_tbENKUlT_T0_E_clISt17integral_constantIbLb0EES13_EEDaSY_SZ_EUlSY_E_NS1_11comp_targetILNS1_3genE2ELNS1_11target_archE906ELNS1_3gpuE6ELNS1_3repE0EEENS1_30default_config_static_selectorELNS0_4arch9wavefront6targetE0EEEvT1_ ; -- Begin function _ZN7rocprim17ROCPRIM_400000_NS6detail17trampoline_kernelINS0_14default_configENS1_27scan_by_key_config_selectorIj11FixedVectorIiLj8EEEEZZNS1_16scan_by_key_implILNS1_25lookback_scan_determinismE0ELb0ES3_N6thrust23THRUST_200600_302600_NS6detail15normal_iteratorINSB_10device_ptrIjEEEENSD_INSE_IS6_EEEESI_S6_NSB_4plusIvEENSB_8equal_toIvEES6_EE10hipError_tPvRmT2_T3_T4_T5_mT6_T7_P12ihipStream_tbENKUlT_T0_E_clISt17integral_constantIbLb0EES13_EEDaSY_SZ_EUlSY_E_NS1_11comp_targetILNS1_3genE2ELNS1_11target_archE906ELNS1_3gpuE6ELNS1_3repE0EEENS1_30default_config_static_selectorELNS0_4arch9wavefront6targetE0EEEvT1_
	.globl	_ZN7rocprim17ROCPRIM_400000_NS6detail17trampoline_kernelINS0_14default_configENS1_27scan_by_key_config_selectorIj11FixedVectorIiLj8EEEEZZNS1_16scan_by_key_implILNS1_25lookback_scan_determinismE0ELb0ES3_N6thrust23THRUST_200600_302600_NS6detail15normal_iteratorINSB_10device_ptrIjEEEENSD_INSE_IS6_EEEESI_S6_NSB_4plusIvEENSB_8equal_toIvEES6_EE10hipError_tPvRmT2_T3_T4_T5_mT6_T7_P12ihipStream_tbENKUlT_T0_E_clISt17integral_constantIbLb0EES13_EEDaSY_SZ_EUlSY_E_NS1_11comp_targetILNS1_3genE2ELNS1_11target_archE906ELNS1_3gpuE6ELNS1_3repE0EEENS1_30default_config_static_selectorELNS0_4arch9wavefront6targetE0EEEvT1_
	.p2align	8
	.type	_ZN7rocprim17ROCPRIM_400000_NS6detail17trampoline_kernelINS0_14default_configENS1_27scan_by_key_config_selectorIj11FixedVectorIiLj8EEEEZZNS1_16scan_by_key_implILNS1_25lookback_scan_determinismE0ELb0ES3_N6thrust23THRUST_200600_302600_NS6detail15normal_iteratorINSB_10device_ptrIjEEEENSD_INSE_IS6_EEEESI_S6_NSB_4plusIvEENSB_8equal_toIvEES6_EE10hipError_tPvRmT2_T3_T4_T5_mT6_T7_P12ihipStream_tbENKUlT_T0_E_clISt17integral_constantIbLb0EES13_EEDaSY_SZ_EUlSY_E_NS1_11comp_targetILNS1_3genE2ELNS1_11target_archE906ELNS1_3gpuE6ELNS1_3repE0EEENS1_30default_config_static_selectorELNS0_4arch9wavefront6targetE0EEEvT1_,@function
_ZN7rocprim17ROCPRIM_400000_NS6detail17trampoline_kernelINS0_14default_configENS1_27scan_by_key_config_selectorIj11FixedVectorIiLj8EEEEZZNS1_16scan_by_key_implILNS1_25lookback_scan_determinismE0ELb0ES3_N6thrust23THRUST_200600_302600_NS6detail15normal_iteratorINSB_10device_ptrIjEEEENSD_INSE_IS6_EEEESI_S6_NSB_4plusIvEENSB_8equal_toIvEES6_EE10hipError_tPvRmT2_T3_T4_T5_mT6_T7_P12ihipStream_tbENKUlT_T0_E_clISt17integral_constantIbLb0EES13_EEDaSY_SZ_EUlSY_E_NS1_11comp_targetILNS1_3genE2ELNS1_11target_archE906ELNS1_3gpuE6ELNS1_3repE0EEENS1_30default_config_static_selectorELNS0_4arch9wavefront6targetE0EEEvT1_: ; @_ZN7rocprim17ROCPRIM_400000_NS6detail17trampoline_kernelINS0_14default_configENS1_27scan_by_key_config_selectorIj11FixedVectorIiLj8EEEEZZNS1_16scan_by_key_implILNS1_25lookback_scan_determinismE0ELb0ES3_N6thrust23THRUST_200600_302600_NS6detail15normal_iteratorINSB_10device_ptrIjEEEENSD_INSE_IS6_EEEESI_S6_NSB_4plusIvEENSB_8equal_toIvEES6_EE10hipError_tPvRmT2_T3_T4_T5_mT6_T7_P12ihipStream_tbENKUlT_T0_E_clISt17integral_constantIbLb0EES13_EEDaSY_SZ_EUlSY_E_NS1_11comp_targetILNS1_3genE2ELNS1_11target_archE906ELNS1_3gpuE6ELNS1_3repE0EEENS1_30default_config_static_selectorELNS0_4arch9wavefront6targetE0EEEvT1_
; %bb.0:
	.section	.rodata,"a",@progbits
	.p2align	6, 0x0
	.amdhsa_kernel _ZN7rocprim17ROCPRIM_400000_NS6detail17trampoline_kernelINS0_14default_configENS1_27scan_by_key_config_selectorIj11FixedVectorIiLj8EEEEZZNS1_16scan_by_key_implILNS1_25lookback_scan_determinismE0ELb0ES3_N6thrust23THRUST_200600_302600_NS6detail15normal_iteratorINSB_10device_ptrIjEEEENSD_INSE_IS6_EEEESI_S6_NSB_4plusIvEENSB_8equal_toIvEES6_EE10hipError_tPvRmT2_T3_T4_T5_mT6_T7_P12ihipStream_tbENKUlT_T0_E_clISt17integral_constantIbLb0EES13_EEDaSY_SZ_EUlSY_E_NS1_11comp_targetILNS1_3genE2ELNS1_11target_archE906ELNS1_3gpuE6ELNS1_3repE0EEENS1_30default_config_static_selectorELNS0_4arch9wavefront6targetE0EEEvT1_
		.amdhsa_group_segment_fixed_size 0
		.amdhsa_private_segment_fixed_size 0
		.amdhsa_kernarg_size 160
		.amdhsa_user_sgpr_count 2
		.amdhsa_user_sgpr_dispatch_ptr 0
		.amdhsa_user_sgpr_queue_ptr 0
		.amdhsa_user_sgpr_kernarg_segment_ptr 1
		.amdhsa_user_sgpr_dispatch_id 0
		.amdhsa_user_sgpr_kernarg_preload_length 0
		.amdhsa_user_sgpr_kernarg_preload_offset 0
		.amdhsa_user_sgpr_private_segment_size 0
		.amdhsa_wavefront_size32 1
		.amdhsa_uses_dynamic_stack 0
		.amdhsa_enable_private_segment 0
		.amdhsa_system_sgpr_workgroup_id_x 1
		.amdhsa_system_sgpr_workgroup_id_y 0
		.amdhsa_system_sgpr_workgroup_id_z 0
		.amdhsa_system_sgpr_workgroup_info 0
		.amdhsa_system_vgpr_workitem_id 0
		.amdhsa_next_free_vgpr 1
		.amdhsa_next_free_sgpr 1
		.amdhsa_named_barrier_count 0
		.amdhsa_reserve_vcc 0
		.amdhsa_float_round_mode_32 0
		.amdhsa_float_round_mode_16_64 0
		.amdhsa_float_denorm_mode_32 3
		.amdhsa_float_denorm_mode_16_64 3
		.amdhsa_fp16_overflow 0
		.amdhsa_memory_ordered 1
		.amdhsa_forward_progress 1
		.amdhsa_inst_pref_size 0
		.amdhsa_round_robin_scheduling 0
		.amdhsa_exception_fp_ieee_invalid_op 0
		.amdhsa_exception_fp_denorm_src 0
		.amdhsa_exception_fp_ieee_div_zero 0
		.amdhsa_exception_fp_ieee_overflow 0
		.amdhsa_exception_fp_ieee_underflow 0
		.amdhsa_exception_fp_ieee_inexact 0
		.amdhsa_exception_int_div_zero 0
	.end_amdhsa_kernel
	.section	.text._ZN7rocprim17ROCPRIM_400000_NS6detail17trampoline_kernelINS0_14default_configENS1_27scan_by_key_config_selectorIj11FixedVectorIiLj8EEEEZZNS1_16scan_by_key_implILNS1_25lookback_scan_determinismE0ELb0ES3_N6thrust23THRUST_200600_302600_NS6detail15normal_iteratorINSB_10device_ptrIjEEEENSD_INSE_IS6_EEEESI_S6_NSB_4plusIvEENSB_8equal_toIvEES6_EE10hipError_tPvRmT2_T3_T4_T5_mT6_T7_P12ihipStream_tbENKUlT_T0_E_clISt17integral_constantIbLb0EES13_EEDaSY_SZ_EUlSY_E_NS1_11comp_targetILNS1_3genE2ELNS1_11target_archE906ELNS1_3gpuE6ELNS1_3repE0EEENS1_30default_config_static_selectorELNS0_4arch9wavefront6targetE0EEEvT1_,"axG",@progbits,_ZN7rocprim17ROCPRIM_400000_NS6detail17trampoline_kernelINS0_14default_configENS1_27scan_by_key_config_selectorIj11FixedVectorIiLj8EEEEZZNS1_16scan_by_key_implILNS1_25lookback_scan_determinismE0ELb0ES3_N6thrust23THRUST_200600_302600_NS6detail15normal_iteratorINSB_10device_ptrIjEEEENSD_INSE_IS6_EEEESI_S6_NSB_4plusIvEENSB_8equal_toIvEES6_EE10hipError_tPvRmT2_T3_T4_T5_mT6_T7_P12ihipStream_tbENKUlT_T0_E_clISt17integral_constantIbLb0EES13_EEDaSY_SZ_EUlSY_E_NS1_11comp_targetILNS1_3genE2ELNS1_11target_archE906ELNS1_3gpuE6ELNS1_3repE0EEENS1_30default_config_static_selectorELNS0_4arch9wavefront6targetE0EEEvT1_,comdat
.Lfunc_end2120:
	.size	_ZN7rocprim17ROCPRIM_400000_NS6detail17trampoline_kernelINS0_14default_configENS1_27scan_by_key_config_selectorIj11FixedVectorIiLj8EEEEZZNS1_16scan_by_key_implILNS1_25lookback_scan_determinismE0ELb0ES3_N6thrust23THRUST_200600_302600_NS6detail15normal_iteratorINSB_10device_ptrIjEEEENSD_INSE_IS6_EEEESI_S6_NSB_4plusIvEENSB_8equal_toIvEES6_EE10hipError_tPvRmT2_T3_T4_T5_mT6_T7_P12ihipStream_tbENKUlT_T0_E_clISt17integral_constantIbLb0EES13_EEDaSY_SZ_EUlSY_E_NS1_11comp_targetILNS1_3genE2ELNS1_11target_archE906ELNS1_3gpuE6ELNS1_3repE0EEENS1_30default_config_static_selectorELNS0_4arch9wavefront6targetE0EEEvT1_, .Lfunc_end2120-_ZN7rocprim17ROCPRIM_400000_NS6detail17trampoline_kernelINS0_14default_configENS1_27scan_by_key_config_selectorIj11FixedVectorIiLj8EEEEZZNS1_16scan_by_key_implILNS1_25lookback_scan_determinismE0ELb0ES3_N6thrust23THRUST_200600_302600_NS6detail15normal_iteratorINSB_10device_ptrIjEEEENSD_INSE_IS6_EEEESI_S6_NSB_4plusIvEENSB_8equal_toIvEES6_EE10hipError_tPvRmT2_T3_T4_T5_mT6_T7_P12ihipStream_tbENKUlT_T0_E_clISt17integral_constantIbLb0EES13_EEDaSY_SZ_EUlSY_E_NS1_11comp_targetILNS1_3genE2ELNS1_11target_archE906ELNS1_3gpuE6ELNS1_3repE0EEENS1_30default_config_static_selectorELNS0_4arch9wavefront6targetE0EEEvT1_
                                        ; -- End function
	.set _ZN7rocprim17ROCPRIM_400000_NS6detail17trampoline_kernelINS0_14default_configENS1_27scan_by_key_config_selectorIj11FixedVectorIiLj8EEEEZZNS1_16scan_by_key_implILNS1_25lookback_scan_determinismE0ELb0ES3_N6thrust23THRUST_200600_302600_NS6detail15normal_iteratorINSB_10device_ptrIjEEEENSD_INSE_IS6_EEEESI_S6_NSB_4plusIvEENSB_8equal_toIvEES6_EE10hipError_tPvRmT2_T3_T4_T5_mT6_T7_P12ihipStream_tbENKUlT_T0_E_clISt17integral_constantIbLb0EES13_EEDaSY_SZ_EUlSY_E_NS1_11comp_targetILNS1_3genE2ELNS1_11target_archE906ELNS1_3gpuE6ELNS1_3repE0EEENS1_30default_config_static_selectorELNS0_4arch9wavefront6targetE0EEEvT1_.num_vgpr, 0
	.set _ZN7rocprim17ROCPRIM_400000_NS6detail17trampoline_kernelINS0_14default_configENS1_27scan_by_key_config_selectorIj11FixedVectorIiLj8EEEEZZNS1_16scan_by_key_implILNS1_25lookback_scan_determinismE0ELb0ES3_N6thrust23THRUST_200600_302600_NS6detail15normal_iteratorINSB_10device_ptrIjEEEENSD_INSE_IS6_EEEESI_S6_NSB_4plusIvEENSB_8equal_toIvEES6_EE10hipError_tPvRmT2_T3_T4_T5_mT6_T7_P12ihipStream_tbENKUlT_T0_E_clISt17integral_constantIbLb0EES13_EEDaSY_SZ_EUlSY_E_NS1_11comp_targetILNS1_3genE2ELNS1_11target_archE906ELNS1_3gpuE6ELNS1_3repE0EEENS1_30default_config_static_selectorELNS0_4arch9wavefront6targetE0EEEvT1_.num_agpr, 0
	.set _ZN7rocprim17ROCPRIM_400000_NS6detail17trampoline_kernelINS0_14default_configENS1_27scan_by_key_config_selectorIj11FixedVectorIiLj8EEEEZZNS1_16scan_by_key_implILNS1_25lookback_scan_determinismE0ELb0ES3_N6thrust23THRUST_200600_302600_NS6detail15normal_iteratorINSB_10device_ptrIjEEEENSD_INSE_IS6_EEEESI_S6_NSB_4plusIvEENSB_8equal_toIvEES6_EE10hipError_tPvRmT2_T3_T4_T5_mT6_T7_P12ihipStream_tbENKUlT_T0_E_clISt17integral_constantIbLb0EES13_EEDaSY_SZ_EUlSY_E_NS1_11comp_targetILNS1_3genE2ELNS1_11target_archE906ELNS1_3gpuE6ELNS1_3repE0EEENS1_30default_config_static_selectorELNS0_4arch9wavefront6targetE0EEEvT1_.numbered_sgpr, 0
	.set _ZN7rocprim17ROCPRIM_400000_NS6detail17trampoline_kernelINS0_14default_configENS1_27scan_by_key_config_selectorIj11FixedVectorIiLj8EEEEZZNS1_16scan_by_key_implILNS1_25lookback_scan_determinismE0ELb0ES3_N6thrust23THRUST_200600_302600_NS6detail15normal_iteratorINSB_10device_ptrIjEEEENSD_INSE_IS6_EEEESI_S6_NSB_4plusIvEENSB_8equal_toIvEES6_EE10hipError_tPvRmT2_T3_T4_T5_mT6_T7_P12ihipStream_tbENKUlT_T0_E_clISt17integral_constantIbLb0EES13_EEDaSY_SZ_EUlSY_E_NS1_11comp_targetILNS1_3genE2ELNS1_11target_archE906ELNS1_3gpuE6ELNS1_3repE0EEENS1_30default_config_static_selectorELNS0_4arch9wavefront6targetE0EEEvT1_.num_named_barrier, 0
	.set _ZN7rocprim17ROCPRIM_400000_NS6detail17trampoline_kernelINS0_14default_configENS1_27scan_by_key_config_selectorIj11FixedVectorIiLj8EEEEZZNS1_16scan_by_key_implILNS1_25lookback_scan_determinismE0ELb0ES3_N6thrust23THRUST_200600_302600_NS6detail15normal_iteratorINSB_10device_ptrIjEEEENSD_INSE_IS6_EEEESI_S6_NSB_4plusIvEENSB_8equal_toIvEES6_EE10hipError_tPvRmT2_T3_T4_T5_mT6_T7_P12ihipStream_tbENKUlT_T0_E_clISt17integral_constantIbLb0EES13_EEDaSY_SZ_EUlSY_E_NS1_11comp_targetILNS1_3genE2ELNS1_11target_archE906ELNS1_3gpuE6ELNS1_3repE0EEENS1_30default_config_static_selectorELNS0_4arch9wavefront6targetE0EEEvT1_.private_seg_size, 0
	.set _ZN7rocprim17ROCPRIM_400000_NS6detail17trampoline_kernelINS0_14default_configENS1_27scan_by_key_config_selectorIj11FixedVectorIiLj8EEEEZZNS1_16scan_by_key_implILNS1_25lookback_scan_determinismE0ELb0ES3_N6thrust23THRUST_200600_302600_NS6detail15normal_iteratorINSB_10device_ptrIjEEEENSD_INSE_IS6_EEEESI_S6_NSB_4plusIvEENSB_8equal_toIvEES6_EE10hipError_tPvRmT2_T3_T4_T5_mT6_T7_P12ihipStream_tbENKUlT_T0_E_clISt17integral_constantIbLb0EES13_EEDaSY_SZ_EUlSY_E_NS1_11comp_targetILNS1_3genE2ELNS1_11target_archE906ELNS1_3gpuE6ELNS1_3repE0EEENS1_30default_config_static_selectorELNS0_4arch9wavefront6targetE0EEEvT1_.uses_vcc, 0
	.set _ZN7rocprim17ROCPRIM_400000_NS6detail17trampoline_kernelINS0_14default_configENS1_27scan_by_key_config_selectorIj11FixedVectorIiLj8EEEEZZNS1_16scan_by_key_implILNS1_25lookback_scan_determinismE0ELb0ES3_N6thrust23THRUST_200600_302600_NS6detail15normal_iteratorINSB_10device_ptrIjEEEENSD_INSE_IS6_EEEESI_S6_NSB_4plusIvEENSB_8equal_toIvEES6_EE10hipError_tPvRmT2_T3_T4_T5_mT6_T7_P12ihipStream_tbENKUlT_T0_E_clISt17integral_constantIbLb0EES13_EEDaSY_SZ_EUlSY_E_NS1_11comp_targetILNS1_3genE2ELNS1_11target_archE906ELNS1_3gpuE6ELNS1_3repE0EEENS1_30default_config_static_selectorELNS0_4arch9wavefront6targetE0EEEvT1_.uses_flat_scratch, 0
	.set _ZN7rocprim17ROCPRIM_400000_NS6detail17trampoline_kernelINS0_14default_configENS1_27scan_by_key_config_selectorIj11FixedVectorIiLj8EEEEZZNS1_16scan_by_key_implILNS1_25lookback_scan_determinismE0ELb0ES3_N6thrust23THRUST_200600_302600_NS6detail15normal_iteratorINSB_10device_ptrIjEEEENSD_INSE_IS6_EEEESI_S6_NSB_4plusIvEENSB_8equal_toIvEES6_EE10hipError_tPvRmT2_T3_T4_T5_mT6_T7_P12ihipStream_tbENKUlT_T0_E_clISt17integral_constantIbLb0EES13_EEDaSY_SZ_EUlSY_E_NS1_11comp_targetILNS1_3genE2ELNS1_11target_archE906ELNS1_3gpuE6ELNS1_3repE0EEENS1_30default_config_static_selectorELNS0_4arch9wavefront6targetE0EEEvT1_.has_dyn_sized_stack, 0
	.set _ZN7rocprim17ROCPRIM_400000_NS6detail17trampoline_kernelINS0_14default_configENS1_27scan_by_key_config_selectorIj11FixedVectorIiLj8EEEEZZNS1_16scan_by_key_implILNS1_25lookback_scan_determinismE0ELb0ES3_N6thrust23THRUST_200600_302600_NS6detail15normal_iteratorINSB_10device_ptrIjEEEENSD_INSE_IS6_EEEESI_S6_NSB_4plusIvEENSB_8equal_toIvEES6_EE10hipError_tPvRmT2_T3_T4_T5_mT6_T7_P12ihipStream_tbENKUlT_T0_E_clISt17integral_constantIbLb0EES13_EEDaSY_SZ_EUlSY_E_NS1_11comp_targetILNS1_3genE2ELNS1_11target_archE906ELNS1_3gpuE6ELNS1_3repE0EEENS1_30default_config_static_selectorELNS0_4arch9wavefront6targetE0EEEvT1_.has_recursion, 0
	.set _ZN7rocprim17ROCPRIM_400000_NS6detail17trampoline_kernelINS0_14default_configENS1_27scan_by_key_config_selectorIj11FixedVectorIiLj8EEEEZZNS1_16scan_by_key_implILNS1_25lookback_scan_determinismE0ELb0ES3_N6thrust23THRUST_200600_302600_NS6detail15normal_iteratorINSB_10device_ptrIjEEEENSD_INSE_IS6_EEEESI_S6_NSB_4plusIvEENSB_8equal_toIvEES6_EE10hipError_tPvRmT2_T3_T4_T5_mT6_T7_P12ihipStream_tbENKUlT_T0_E_clISt17integral_constantIbLb0EES13_EEDaSY_SZ_EUlSY_E_NS1_11comp_targetILNS1_3genE2ELNS1_11target_archE906ELNS1_3gpuE6ELNS1_3repE0EEENS1_30default_config_static_selectorELNS0_4arch9wavefront6targetE0EEEvT1_.has_indirect_call, 0
	.section	.AMDGPU.csdata,"",@progbits
; Kernel info:
; codeLenInByte = 0
; TotalNumSgprs: 0
; NumVgprs: 0
; ScratchSize: 0
; MemoryBound: 0
; FloatMode: 240
; IeeeMode: 1
; LDSByteSize: 0 bytes/workgroup (compile time only)
; SGPRBlocks: 0
; VGPRBlocks: 0
; NumSGPRsForWavesPerEU: 1
; NumVGPRsForWavesPerEU: 1
; NamedBarCnt: 0
; Occupancy: 16
; WaveLimiterHint : 0
; COMPUTE_PGM_RSRC2:SCRATCH_EN: 0
; COMPUTE_PGM_RSRC2:USER_SGPR: 2
; COMPUTE_PGM_RSRC2:TRAP_HANDLER: 0
; COMPUTE_PGM_RSRC2:TGID_X_EN: 1
; COMPUTE_PGM_RSRC2:TGID_Y_EN: 0
; COMPUTE_PGM_RSRC2:TGID_Z_EN: 0
; COMPUTE_PGM_RSRC2:TIDIG_COMP_CNT: 0
	.section	.text._ZN7rocprim17ROCPRIM_400000_NS6detail17trampoline_kernelINS0_14default_configENS1_27scan_by_key_config_selectorIj11FixedVectorIiLj8EEEEZZNS1_16scan_by_key_implILNS1_25lookback_scan_determinismE0ELb0ES3_N6thrust23THRUST_200600_302600_NS6detail15normal_iteratorINSB_10device_ptrIjEEEENSD_INSE_IS6_EEEESI_S6_NSB_4plusIvEENSB_8equal_toIvEES6_EE10hipError_tPvRmT2_T3_T4_T5_mT6_T7_P12ihipStream_tbENKUlT_T0_E_clISt17integral_constantIbLb0EES13_EEDaSY_SZ_EUlSY_E_NS1_11comp_targetILNS1_3genE10ELNS1_11target_archE1200ELNS1_3gpuE4ELNS1_3repE0EEENS1_30default_config_static_selectorELNS0_4arch9wavefront6targetE0EEEvT1_,"axG",@progbits,_ZN7rocprim17ROCPRIM_400000_NS6detail17trampoline_kernelINS0_14default_configENS1_27scan_by_key_config_selectorIj11FixedVectorIiLj8EEEEZZNS1_16scan_by_key_implILNS1_25lookback_scan_determinismE0ELb0ES3_N6thrust23THRUST_200600_302600_NS6detail15normal_iteratorINSB_10device_ptrIjEEEENSD_INSE_IS6_EEEESI_S6_NSB_4plusIvEENSB_8equal_toIvEES6_EE10hipError_tPvRmT2_T3_T4_T5_mT6_T7_P12ihipStream_tbENKUlT_T0_E_clISt17integral_constantIbLb0EES13_EEDaSY_SZ_EUlSY_E_NS1_11comp_targetILNS1_3genE10ELNS1_11target_archE1200ELNS1_3gpuE4ELNS1_3repE0EEENS1_30default_config_static_selectorELNS0_4arch9wavefront6targetE0EEEvT1_,comdat
	.protected	_ZN7rocprim17ROCPRIM_400000_NS6detail17trampoline_kernelINS0_14default_configENS1_27scan_by_key_config_selectorIj11FixedVectorIiLj8EEEEZZNS1_16scan_by_key_implILNS1_25lookback_scan_determinismE0ELb0ES3_N6thrust23THRUST_200600_302600_NS6detail15normal_iteratorINSB_10device_ptrIjEEEENSD_INSE_IS6_EEEESI_S6_NSB_4plusIvEENSB_8equal_toIvEES6_EE10hipError_tPvRmT2_T3_T4_T5_mT6_T7_P12ihipStream_tbENKUlT_T0_E_clISt17integral_constantIbLb0EES13_EEDaSY_SZ_EUlSY_E_NS1_11comp_targetILNS1_3genE10ELNS1_11target_archE1200ELNS1_3gpuE4ELNS1_3repE0EEENS1_30default_config_static_selectorELNS0_4arch9wavefront6targetE0EEEvT1_ ; -- Begin function _ZN7rocprim17ROCPRIM_400000_NS6detail17trampoline_kernelINS0_14default_configENS1_27scan_by_key_config_selectorIj11FixedVectorIiLj8EEEEZZNS1_16scan_by_key_implILNS1_25lookback_scan_determinismE0ELb0ES3_N6thrust23THRUST_200600_302600_NS6detail15normal_iteratorINSB_10device_ptrIjEEEENSD_INSE_IS6_EEEESI_S6_NSB_4plusIvEENSB_8equal_toIvEES6_EE10hipError_tPvRmT2_T3_T4_T5_mT6_T7_P12ihipStream_tbENKUlT_T0_E_clISt17integral_constantIbLb0EES13_EEDaSY_SZ_EUlSY_E_NS1_11comp_targetILNS1_3genE10ELNS1_11target_archE1200ELNS1_3gpuE4ELNS1_3repE0EEENS1_30default_config_static_selectorELNS0_4arch9wavefront6targetE0EEEvT1_
	.globl	_ZN7rocprim17ROCPRIM_400000_NS6detail17trampoline_kernelINS0_14default_configENS1_27scan_by_key_config_selectorIj11FixedVectorIiLj8EEEEZZNS1_16scan_by_key_implILNS1_25lookback_scan_determinismE0ELb0ES3_N6thrust23THRUST_200600_302600_NS6detail15normal_iteratorINSB_10device_ptrIjEEEENSD_INSE_IS6_EEEESI_S6_NSB_4plusIvEENSB_8equal_toIvEES6_EE10hipError_tPvRmT2_T3_T4_T5_mT6_T7_P12ihipStream_tbENKUlT_T0_E_clISt17integral_constantIbLb0EES13_EEDaSY_SZ_EUlSY_E_NS1_11comp_targetILNS1_3genE10ELNS1_11target_archE1200ELNS1_3gpuE4ELNS1_3repE0EEENS1_30default_config_static_selectorELNS0_4arch9wavefront6targetE0EEEvT1_
	.p2align	8
	.type	_ZN7rocprim17ROCPRIM_400000_NS6detail17trampoline_kernelINS0_14default_configENS1_27scan_by_key_config_selectorIj11FixedVectorIiLj8EEEEZZNS1_16scan_by_key_implILNS1_25lookback_scan_determinismE0ELb0ES3_N6thrust23THRUST_200600_302600_NS6detail15normal_iteratorINSB_10device_ptrIjEEEENSD_INSE_IS6_EEEESI_S6_NSB_4plusIvEENSB_8equal_toIvEES6_EE10hipError_tPvRmT2_T3_T4_T5_mT6_T7_P12ihipStream_tbENKUlT_T0_E_clISt17integral_constantIbLb0EES13_EEDaSY_SZ_EUlSY_E_NS1_11comp_targetILNS1_3genE10ELNS1_11target_archE1200ELNS1_3gpuE4ELNS1_3repE0EEENS1_30default_config_static_selectorELNS0_4arch9wavefront6targetE0EEEvT1_,@function
_ZN7rocprim17ROCPRIM_400000_NS6detail17trampoline_kernelINS0_14default_configENS1_27scan_by_key_config_selectorIj11FixedVectorIiLj8EEEEZZNS1_16scan_by_key_implILNS1_25lookback_scan_determinismE0ELb0ES3_N6thrust23THRUST_200600_302600_NS6detail15normal_iteratorINSB_10device_ptrIjEEEENSD_INSE_IS6_EEEESI_S6_NSB_4plusIvEENSB_8equal_toIvEES6_EE10hipError_tPvRmT2_T3_T4_T5_mT6_T7_P12ihipStream_tbENKUlT_T0_E_clISt17integral_constantIbLb0EES13_EEDaSY_SZ_EUlSY_E_NS1_11comp_targetILNS1_3genE10ELNS1_11target_archE1200ELNS1_3gpuE4ELNS1_3repE0EEENS1_30default_config_static_selectorELNS0_4arch9wavefront6targetE0EEEvT1_: ; @_ZN7rocprim17ROCPRIM_400000_NS6detail17trampoline_kernelINS0_14default_configENS1_27scan_by_key_config_selectorIj11FixedVectorIiLj8EEEEZZNS1_16scan_by_key_implILNS1_25lookback_scan_determinismE0ELb0ES3_N6thrust23THRUST_200600_302600_NS6detail15normal_iteratorINSB_10device_ptrIjEEEENSD_INSE_IS6_EEEESI_S6_NSB_4plusIvEENSB_8equal_toIvEES6_EE10hipError_tPvRmT2_T3_T4_T5_mT6_T7_P12ihipStream_tbENKUlT_T0_E_clISt17integral_constantIbLb0EES13_EEDaSY_SZ_EUlSY_E_NS1_11comp_targetILNS1_3genE10ELNS1_11target_archE1200ELNS1_3gpuE4ELNS1_3repE0EEENS1_30default_config_static_selectorELNS0_4arch9wavefront6targetE0EEEvT1_
; %bb.0:
	.section	.rodata,"a",@progbits
	.p2align	6, 0x0
	.amdhsa_kernel _ZN7rocprim17ROCPRIM_400000_NS6detail17trampoline_kernelINS0_14default_configENS1_27scan_by_key_config_selectorIj11FixedVectorIiLj8EEEEZZNS1_16scan_by_key_implILNS1_25lookback_scan_determinismE0ELb0ES3_N6thrust23THRUST_200600_302600_NS6detail15normal_iteratorINSB_10device_ptrIjEEEENSD_INSE_IS6_EEEESI_S6_NSB_4plusIvEENSB_8equal_toIvEES6_EE10hipError_tPvRmT2_T3_T4_T5_mT6_T7_P12ihipStream_tbENKUlT_T0_E_clISt17integral_constantIbLb0EES13_EEDaSY_SZ_EUlSY_E_NS1_11comp_targetILNS1_3genE10ELNS1_11target_archE1200ELNS1_3gpuE4ELNS1_3repE0EEENS1_30default_config_static_selectorELNS0_4arch9wavefront6targetE0EEEvT1_
		.amdhsa_group_segment_fixed_size 0
		.amdhsa_private_segment_fixed_size 0
		.amdhsa_kernarg_size 160
		.amdhsa_user_sgpr_count 2
		.amdhsa_user_sgpr_dispatch_ptr 0
		.amdhsa_user_sgpr_queue_ptr 0
		.amdhsa_user_sgpr_kernarg_segment_ptr 1
		.amdhsa_user_sgpr_dispatch_id 0
		.amdhsa_user_sgpr_kernarg_preload_length 0
		.amdhsa_user_sgpr_kernarg_preload_offset 0
		.amdhsa_user_sgpr_private_segment_size 0
		.amdhsa_wavefront_size32 1
		.amdhsa_uses_dynamic_stack 0
		.amdhsa_enable_private_segment 0
		.amdhsa_system_sgpr_workgroup_id_x 1
		.amdhsa_system_sgpr_workgroup_id_y 0
		.amdhsa_system_sgpr_workgroup_id_z 0
		.amdhsa_system_sgpr_workgroup_info 0
		.amdhsa_system_vgpr_workitem_id 0
		.amdhsa_next_free_vgpr 1
		.amdhsa_next_free_sgpr 1
		.amdhsa_named_barrier_count 0
		.amdhsa_reserve_vcc 0
		.amdhsa_float_round_mode_32 0
		.amdhsa_float_round_mode_16_64 0
		.amdhsa_float_denorm_mode_32 3
		.amdhsa_float_denorm_mode_16_64 3
		.amdhsa_fp16_overflow 0
		.amdhsa_memory_ordered 1
		.amdhsa_forward_progress 1
		.amdhsa_inst_pref_size 0
		.amdhsa_round_robin_scheduling 0
		.amdhsa_exception_fp_ieee_invalid_op 0
		.amdhsa_exception_fp_denorm_src 0
		.amdhsa_exception_fp_ieee_div_zero 0
		.amdhsa_exception_fp_ieee_overflow 0
		.amdhsa_exception_fp_ieee_underflow 0
		.amdhsa_exception_fp_ieee_inexact 0
		.amdhsa_exception_int_div_zero 0
	.end_amdhsa_kernel
	.section	.text._ZN7rocprim17ROCPRIM_400000_NS6detail17trampoline_kernelINS0_14default_configENS1_27scan_by_key_config_selectorIj11FixedVectorIiLj8EEEEZZNS1_16scan_by_key_implILNS1_25lookback_scan_determinismE0ELb0ES3_N6thrust23THRUST_200600_302600_NS6detail15normal_iteratorINSB_10device_ptrIjEEEENSD_INSE_IS6_EEEESI_S6_NSB_4plusIvEENSB_8equal_toIvEES6_EE10hipError_tPvRmT2_T3_T4_T5_mT6_T7_P12ihipStream_tbENKUlT_T0_E_clISt17integral_constantIbLb0EES13_EEDaSY_SZ_EUlSY_E_NS1_11comp_targetILNS1_3genE10ELNS1_11target_archE1200ELNS1_3gpuE4ELNS1_3repE0EEENS1_30default_config_static_selectorELNS0_4arch9wavefront6targetE0EEEvT1_,"axG",@progbits,_ZN7rocprim17ROCPRIM_400000_NS6detail17trampoline_kernelINS0_14default_configENS1_27scan_by_key_config_selectorIj11FixedVectorIiLj8EEEEZZNS1_16scan_by_key_implILNS1_25lookback_scan_determinismE0ELb0ES3_N6thrust23THRUST_200600_302600_NS6detail15normal_iteratorINSB_10device_ptrIjEEEENSD_INSE_IS6_EEEESI_S6_NSB_4plusIvEENSB_8equal_toIvEES6_EE10hipError_tPvRmT2_T3_T4_T5_mT6_T7_P12ihipStream_tbENKUlT_T0_E_clISt17integral_constantIbLb0EES13_EEDaSY_SZ_EUlSY_E_NS1_11comp_targetILNS1_3genE10ELNS1_11target_archE1200ELNS1_3gpuE4ELNS1_3repE0EEENS1_30default_config_static_selectorELNS0_4arch9wavefront6targetE0EEEvT1_,comdat
.Lfunc_end2121:
	.size	_ZN7rocprim17ROCPRIM_400000_NS6detail17trampoline_kernelINS0_14default_configENS1_27scan_by_key_config_selectorIj11FixedVectorIiLj8EEEEZZNS1_16scan_by_key_implILNS1_25lookback_scan_determinismE0ELb0ES3_N6thrust23THRUST_200600_302600_NS6detail15normal_iteratorINSB_10device_ptrIjEEEENSD_INSE_IS6_EEEESI_S6_NSB_4plusIvEENSB_8equal_toIvEES6_EE10hipError_tPvRmT2_T3_T4_T5_mT6_T7_P12ihipStream_tbENKUlT_T0_E_clISt17integral_constantIbLb0EES13_EEDaSY_SZ_EUlSY_E_NS1_11comp_targetILNS1_3genE10ELNS1_11target_archE1200ELNS1_3gpuE4ELNS1_3repE0EEENS1_30default_config_static_selectorELNS0_4arch9wavefront6targetE0EEEvT1_, .Lfunc_end2121-_ZN7rocprim17ROCPRIM_400000_NS6detail17trampoline_kernelINS0_14default_configENS1_27scan_by_key_config_selectorIj11FixedVectorIiLj8EEEEZZNS1_16scan_by_key_implILNS1_25lookback_scan_determinismE0ELb0ES3_N6thrust23THRUST_200600_302600_NS6detail15normal_iteratorINSB_10device_ptrIjEEEENSD_INSE_IS6_EEEESI_S6_NSB_4plusIvEENSB_8equal_toIvEES6_EE10hipError_tPvRmT2_T3_T4_T5_mT6_T7_P12ihipStream_tbENKUlT_T0_E_clISt17integral_constantIbLb0EES13_EEDaSY_SZ_EUlSY_E_NS1_11comp_targetILNS1_3genE10ELNS1_11target_archE1200ELNS1_3gpuE4ELNS1_3repE0EEENS1_30default_config_static_selectorELNS0_4arch9wavefront6targetE0EEEvT1_
                                        ; -- End function
	.set _ZN7rocprim17ROCPRIM_400000_NS6detail17trampoline_kernelINS0_14default_configENS1_27scan_by_key_config_selectorIj11FixedVectorIiLj8EEEEZZNS1_16scan_by_key_implILNS1_25lookback_scan_determinismE0ELb0ES3_N6thrust23THRUST_200600_302600_NS6detail15normal_iteratorINSB_10device_ptrIjEEEENSD_INSE_IS6_EEEESI_S6_NSB_4plusIvEENSB_8equal_toIvEES6_EE10hipError_tPvRmT2_T3_T4_T5_mT6_T7_P12ihipStream_tbENKUlT_T0_E_clISt17integral_constantIbLb0EES13_EEDaSY_SZ_EUlSY_E_NS1_11comp_targetILNS1_3genE10ELNS1_11target_archE1200ELNS1_3gpuE4ELNS1_3repE0EEENS1_30default_config_static_selectorELNS0_4arch9wavefront6targetE0EEEvT1_.num_vgpr, 0
	.set _ZN7rocprim17ROCPRIM_400000_NS6detail17trampoline_kernelINS0_14default_configENS1_27scan_by_key_config_selectorIj11FixedVectorIiLj8EEEEZZNS1_16scan_by_key_implILNS1_25lookback_scan_determinismE0ELb0ES3_N6thrust23THRUST_200600_302600_NS6detail15normal_iteratorINSB_10device_ptrIjEEEENSD_INSE_IS6_EEEESI_S6_NSB_4plusIvEENSB_8equal_toIvEES6_EE10hipError_tPvRmT2_T3_T4_T5_mT6_T7_P12ihipStream_tbENKUlT_T0_E_clISt17integral_constantIbLb0EES13_EEDaSY_SZ_EUlSY_E_NS1_11comp_targetILNS1_3genE10ELNS1_11target_archE1200ELNS1_3gpuE4ELNS1_3repE0EEENS1_30default_config_static_selectorELNS0_4arch9wavefront6targetE0EEEvT1_.num_agpr, 0
	.set _ZN7rocprim17ROCPRIM_400000_NS6detail17trampoline_kernelINS0_14default_configENS1_27scan_by_key_config_selectorIj11FixedVectorIiLj8EEEEZZNS1_16scan_by_key_implILNS1_25lookback_scan_determinismE0ELb0ES3_N6thrust23THRUST_200600_302600_NS6detail15normal_iteratorINSB_10device_ptrIjEEEENSD_INSE_IS6_EEEESI_S6_NSB_4plusIvEENSB_8equal_toIvEES6_EE10hipError_tPvRmT2_T3_T4_T5_mT6_T7_P12ihipStream_tbENKUlT_T0_E_clISt17integral_constantIbLb0EES13_EEDaSY_SZ_EUlSY_E_NS1_11comp_targetILNS1_3genE10ELNS1_11target_archE1200ELNS1_3gpuE4ELNS1_3repE0EEENS1_30default_config_static_selectorELNS0_4arch9wavefront6targetE0EEEvT1_.numbered_sgpr, 0
	.set _ZN7rocprim17ROCPRIM_400000_NS6detail17trampoline_kernelINS0_14default_configENS1_27scan_by_key_config_selectorIj11FixedVectorIiLj8EEEEZZNS1_16scan_by_key_implILNS1_25lookback_scan_determinismE0ELb0ES3_N6thrust23THRUST_200600_302600_NS6detail15normal_iteratorINSB_10device_ptrIjEEEENSD_INSE_IS6_EEEESI_S6_NSB_4plusIvEENSB_8equal_toIvEES6_EE10hipError_tPvRmT2_T3_T4_T5_mT6_T7_P12ihipStream_tbENKUlT_T0_E_clISt17integral_constantIbLb0EES13_EEDaSY_SZ_EUlSY_E_NS1_11comp_targetILNS1_3genE10ELNS1_11target_archE1200ELNS1_3gpuE4ELNS1_3repE0EEENS1_30default_config_static_selectorELNS0_4arch9wavefront6targetE0EEEvT1_.num_named_barrier, 0
	.set _ZN7rocprim17ROCPRIM_400000_NS6detail17trampoline_kernelINS0_14default_configENS1_27scan_by_key_config_selectorIj11FixedVectorIiLj8EEEEZZNS1_16scan_by_key_implILNS1_25lookback_scan_determinismE0ELb0ES3_N6thrust23THRUST_200600_302600_NS6detail15normal_iteratorINSB_10device_ptrIjEEEENSD_INSE_IS6_EEEESI_S6_NSB_4plusIvEENSB_8equal_toIvEES6_EE10hipError_tPvRmT2_T3_T4_T5_mT6_T7_P12ihipStream_tbENKUlT_T0_E_clISt17integral_constantIbLb0EES13_EEDaSY_SZ_EUlSY_E_NS1_11comp_targetILNS1_3genE10ELNS1_11target_archE1200ELNS1_3gpuE4ELNS1_3repE0EEENS1_30default_config_static_selectorELNS0_4arch9wavefront6targetE0EEEvT1_.private_seg_size, 0
	.set _ZN7rocprim17ROCPRIM_400000_NS6detail17trampoline_kernelINS0_14default_configENS1_27scan_by_key_config_selectorIj11FixedVectorIiLj8EEEEZZNS1_16scan_by_key_implILNS1_25lookback_scan_determinismE0ELb0ES3_N6thrust23THRUST_200600_302600_NS6detail15normal_iteratorINSB_10device_ptrIjEEEENSD_INSE_IS6_EEEESI_S6_NSB_4plusIvEENSB_8equal_toIvEES6_EE10hipError_tPvRmT2_T3_T4_T5_mT6_T7_P12ihipStream_tbENKUlT_T0_E_clISt17integral_constantIbLb0EES13_EEDaSY_SZ_EUlSY_E_NS1_11comp_targetILNS1_3genE10ELNS1_11target_archE1200ELNS1_3gpuE4ELNS1_3repE0EEENS1_30default_config_static_selectorELNS0_4arch9wavefront6targetE0EEEvT1_.uses_vcc, 0
	.set _ZN7rocprim17ROCPRIM_400000_NS6detail17trampoline_kernelINS0_14default_configENS1_27scan_by_key_config_selectorIj11FixedVectorIiLj8EEEEZZNS1_16scan_by_key_implILNS1_25lookback_scan_determinismE0ELb0ES3_N6thrust23THRUST_200600_302600_NS6detail15normal_iteratorINSB_10device_ptrIjEEEENSD_INSE_IS6_EEEESI_S6_NSB_4plusIvEENSB_8equal_toIvEES6_EE10hipError_tPvRmT2_T3_T4_T5_mT6_T7_P12ihipStream_tbENKUlT_T0_E_clISt17integral_constantIbLb0EES13_EEDaSY_SZ_EUlSY_E_NS1_11comp_targetILNS1_3genE10ELNS1_11target_archE1200ELNS1_3gpuE4ELNS1_3repE0EEENS1_30default_config_static_selectorELNS0_4arch9wavefront6targetE0EEEvT1_.uses_flat_scratch, 0
	.set _ZN7rocprim17ROCPRIM_400000_NS6detail17trampoline_kernelINS0_14default_configENS1_27scan_by_key_config_selectorIj11FixedVectorIiLj8EEEEZZNS1_16scan_by_key_implILNS1_25lookback_scan_determinismE0ELb0ES3_N6thrust23THRUST_200600_302600_NS6detail15normal_iteratorINSB_10device_ptrIjEEEENSD_INSE_IS6_EEEESI_S6_NSB_4plusIvEENSB_8equal_toIvEES6_EE10hipError_tPvRmT2_T3_T4_T5_mT6_T7_P12ihipStream_tbENKUlT_T0_E_clISt17integral_constantIbLb0EES13_EEDaSY_SZ_EUlSY_E_NS1_11comp_targetILNS1_3genE10ELNS1_11target_archE1200ELNS1_3gpuE4ELNS1_3repE0EEENS1_30default_config_static_selectorELNS0_4arch9wavefront6targetE0EEEvT1_.has_dyn_sized_stack, 0
	.set _ZN7rocprim17ROCPRIM_400000_NS6detail17trampoline_kernelINS0_14default_configENS1_27scan_by_key_config_selectorIj11FixedVectorIiLj8EEEEZZNS1_16scan_by_key_implILNS1_25lookback_scan_determinismE0ELb0ES3_N6thrust23THRUST_200600_302600_NS6detail15normal_iteratorINSB_10device_ptrIjEEEENSD_INSE_IS6_EEEESI_S6_NSB_4plusIvEENSB_8equal_toIvEES6_EE10hipError_tPvRmT2_T3_T4_T5_mT6_T7_P12ihipStream_tbENKUlT_T0_E_clISt17integral_constantIbLb0EES13_EEDaSY_SZ_EUlSY_E_NS1_11comp_targetILNS1_3genE10ELNS1_11target_archE1200ELNS1_3gpuE4ELNS1_3repE0EEENS1_30default_config_static_selectorELNS0_4arch9wavefront6targetE0EEEvT1_.has_recursion, 0
	.set _ZN7rocprim17ROCPRIM_400000_NS6detail17trampoline_kernelINS0_14default_configENS1_27scan_by_key_config_selectorIj11FixedVectorIiLj8EEEEZZNS1_16scan_by_key_implILNS1_25lookback_scan_determinismE0ELb0ES3_N6thrust23THRUST_200600_302600_NS6detail15normal_iteratorINSB_10device_ptrIjEEEENSD_INSE_IS6_EEEESI_S6_NSB_4plusIvEENSB_8equal_toIvEES6_EE10hipError_tPvRmT2_T3_T4_T5_mT6_T7_P12ihipStream_tbENKUlT_T0_E_clISt17integral_constantIbLb0EES13_EEDaSY_SZ_EUlSY_E_NS1_11comp_targetILNS1_3genE10ELNS1_11target_archE1200ELNS1_3gpuE4ELNS1_3repE0EEENS1_30default_config_static_selectorELNS0_4arch9wavefront6targetE0EEEvT1_.has_indirect_call, 0
	.section	.AMDGPU.csdata,"",@progbits
; Kernel info:
; codeLenInByte = 0
; TotalNumSgprs: 0
; NumVgprs: 0
; ScratchSize: 0
; MemoryBound: 0
; FloatMode: 240
; IeeeMode: 1
; LDSByteSize: 0 bytes/workgroup (compile time only)
; SGPRBlocks: 0
; VGPRBlocks: 0
; NumSGPRsForWavesPerEU: 1
; NumVGPRsForWavesPerEU: 1
; NamedBarCnt: 0
; Occupancy: 16
; WaveLimiterHint : 0
; COMPUTE_PGM_RSRC2:SCRATCH_EN: 0
; COMPUTE_PGM_RSRC2:USER_SGPR: 2
; COMPUTE_PGM_RSRC2:TRAP_HANDLER: 0
; COMPUTE_PGM_RSRC2:TGID_X_EN: 1
; COMPUTE_PGM_RSRC2:TGID_Y_EN: 0
; COMPUTE_PGM_RSRC2:TGID_Z_EN: 0
; COMPUTE_PGM_RSRC2:TIDIG_COMP_CNT: 0
	.section	.text._ZN7rocprim17ROCPRIM_400000_NS6detail17trampoline_kernelINS0_14default_configENS1_27scan_by_key_config_selectorIj11FixedVectorIiLj8EEEEZZNS1_16scan_by_key_implILNS1_25lookback_scan_determinismE0ELb0ES3_N6thrust23THRUST_200600_302600_NS6detail15normal_iteratorINSB_10device_ptrIjEEEENSD_INSE_IS6_EEEESI_S6_NSB_4plusIvEENSB_8equal_toIvEES6_EE10hipError_tPvRmT2_T3_T4_T5_mT6_T7_P12ihipStream_tbENKUlT_T0_E_clISt17integral_constantIbLb0EES13_EEDaSY_SZ_EUlSY_E_NS1_11comp_targetILNS1_3genE9ELNS1_11target_archE1100ELNS1_3gpuE3ELNS1_3repE0EEENS1_30default_config_static_selectorELNS0_4arch9wavefront6targetE0EEEvT1_,"axG",@progbits,_ZN7rocprim17ROCPRIM_400000_NS6detail17trampoline_kernelINS0_14default_configENS1_27scan_by_key_config_selectorIj11FixedVectorIiLj8EEEEZZNS1_16scan_by_key_implILNS1_25lookback_scan_determinismE0ELb0ES3_N6thrust23THRUST_200600_302600_NS6detail15normal_iteratorINSB_10device_ptrIjEEEENSD_INSE_IS6_EEEESI_S6_NSB_4plusIvEENSB_8equal_toIvEES6_EE10hipError_tPvRmT2_T3_T4_T5_mT6_T7_P12ihipStream_tbENKUlT_T0_E_clISt17integral_constantIbLb0EES13_EEDaSY_SZ_EUlSY_E_NS1_11comp_targetILNS1_3genE9ELNS1_11target_archE1100ELNS1_3gpuE3ELNS1_3repE0EEENS1_30default_config_static_selectorELNS0_4arch9wavefront6targetE0EEEvT1_,comdat
	.protected	_ZN7rocprim17ROCPRIM_400000_NS6detail17trampoline_kernelINS0_14default_configENS1_27scan_by_key_config_selectorIj11FixedVectorIiLj8EEEEZZNS1_16scan_by_key_implILNS1_25lookback_scan_determinismE0ELb0ES3_N6thrust23THRUST_200600_302600_NS6detail15normal_iteratorINSB_10device_ptrIjEEEENSD_INSE_IS6_EEEESI_S6_NSB_4plusIvEENSB_8equal_toIvEES6_EE10hipError_tPvRmT2_T3_T4_T5_mT6_T7_P12ihipStream_tbENKUlT_T0_E_clISt17integral_constantIbLb0EES13_EEDaSY_SZ_EUlSY_E_NS1_11comp_targetILNS1_3genE9ELNS1_11target_archE1100ELNS1_3gpuE3ELNS1_3repE0EEENS1_30default_config_static_selectorELNS0_4arch9wavefront6targetE0EEEvT1_ ; -- Begin function _ZN7rocprim17ROCPRIM_400000_NS6detail17trampoline_kernelINS0_14default_configENS1_27scan_by_key_config_selectorIj11FixedVectorIiLj8EEEEZZNS1_16scan_by_key_implILNS1_25lookback_scan_determinismE0ELb0ES3_N6thrust23THRUST_200600_302600_NS6detail15normal_iteratorINSB_10device_ptrIjEEEENSD_INSE_IS6_EEEESI_S6_NSB_4plusIvEENSB_8equal_toIvEES6_EE10hipError_tPvRmT2_T3_T4_T5_mT6_T7_P12ihipStream_tbENKUlT_T0_E_clISt17integral_constantIbLb0EES13_EEDaSY_SZ_EUlSY_E_NS1_11comp_targetILNS1_3genE9ELNS1_11target_archE1100ELNS1_3gpuE3ELNS1_3repE0EEENS1_30default_config_static_selectorELNS0_4arch9wavefront6targetE0EEEvT1_
	.globl	_ZN7rocprim17ROCPRIM_400000_NS6detail17trampoline_kernelINS0_14default_configENS1_27scan_by_key_config_selectorIj11FixedVectorIiLj8EEEEZZNS1_16scan_by_key_implILNS1_25lookback_scan_determinismE0ELb0ES3_N6thrust23THRUST_200600_302600_NS6detail15normal_iteratorINSB_10device_ptrIjEEEENSD_INSE_IS6_EEEESI_S6_NSB_4plusIvEENSB_8equal_toIvEES6_EE10hipError_tPvRmT2_T3_T4_T5_mT6_T7_P12ihipStream_tbENKUlT_T0_E_clISt17integral_constantIbLb0EES13_EEDaSY_SZ_EUlSY_E_NS1_11comp_targetILNS1_3genE9ELNS1_11target_archE1100ELNS1_3gpuE3ELNS1_3repE0EEENS1_30default_config_static_selectorELNS0_4arch9wavefront6targetE0EEEvT1_
	.p2align	8
	.type	_ZN7rocprim17ROCPRIM_400000_NS6detail17trampoline_kernelINS0_14default_configENS1_27scan_by_key_config_selectorIj11FixedVectorIiLj8EEEEZZNS1_16scan_by_key_implILNS1_25lookback_scan_determinismE0ELb0ES3_N6thrust23THRUST_200600_302600_NS6detail15normal_iteratorINSB_10device_ptrIjEEEENSD_INSE_IS6_EEEESI_S6_NSB_4plusIvEENSB_8equal_toIvEES6_EE10hipError_tPvRmT2_T3_T4_T5_mT6_T7_P12ihipStream_tbENKUlT_T0_E_clISt17integral_constantIbLb0EES13_EEDaSY_SZ_EUlSY_E_NS1_11comp_targetILNS1_3genE9ELNS1_11target_archE1100ELNS1_3gpuE3ELNS1_3repE0EEENS1_30default_config_static_selectorELNS0_4arch9wavefront6targetE0EEEvT1_,@function
_ZN7rocprim17ROCPRIM_400000_NS6detail17trampoline_kernelINS0_14default_configENS1_27scan_by_key_config_selectorIj11FixedVectorIiLj8EEEEZZNS1_16scan_by_key_implILNS1_25lookback_scan_determinismE0ELb0ES3_N6thrust23THRUST_200600_302600_NS6detail15normal_iteratorINSB_10device_ptrIjEEEENSD_INSE_IS6_EEEESI_S6_NSB_4plusIvEENSB_8equal_toIvEES6_EE10hipError_tPvRmT2_T3_T4_T5_mT6_T7_P12ihipStream_tbENKUlT_T0_E_clISt17integral_constantIbLb0EES13_EEDaSY_SZ_EUlSY_E_NS1_11comp_targetILNS1_3genE9ELNS1_11target_archE1100ELNS1_3gpuE3ELNS1_3repE0EEENS1_30default_config_static_selectorELNS0_4arch9wavefront6targetE0EEEvT1_: ; @_ZN7rocprim17ROCPRIM_400000_NS6detail17trampoline_kernelINS0_14default_configENS1_27scan_by_key_config_selectorIj11FixedVectorIiLj8EEEEZZNS1_16scan_by_key_implILNS1_25lookback_scan_determinismE0ELb0ES3_N6thrust23THRUST_200600_302600_NS6detail15normal_iteratorINSB_10device_ptrIjEEEENSD_INSE_IS6_EEEESI_S6_NSB_4plusIvEENSB_8equal_toIvEES6_EE10hipError_tPvRmT2_T3_T4_T5_mT6_T7_P12ihipStream_tbENKUlT_T0_E_clISt17integral_constantIbLb0EES13_EEDaSY_SZ_EUlSY_E_NS1_11comp_targetILNS1_3genE9ELNS1_11target_archE1100ELNS1_3gpuE3ELNS1_3repE0EEENS1_30default_config_static_selectorELNS0_4arch9wavefront6targetE0EEEvT1_
; %bb.0:
	.section	.rodata,"a",@progbits
	.p2align	6, 0x0
	.amdhsa_kernel _ZN7rocprim17ROCPRIM_400000_NS6detail17trampoline_kernelINS0_14default_configENS1_27scan_by_key_config_selectorIj11FixedVectorIiLj8EEEEZZNS1_16scan_by_key_implILNS1_25lookback_scan_determinismE0ELb0ES3_N6thrust23THRUST_200600_302600_NS6detail15normal_iteratorINSB_10device_ptrIjEEEENSD_INSE_IS6_EEEESI_S6_NSB_4plusIvEENSB_8equal_toIvEES6_EE10hipError_tPvRmT2_T3_T4_T5_mT6_T7_P12ihipStream_tbENKUlT_T0_E_clISt17integral_constantIbLb0EES13_EEDaSY_SZ_EUlSY_E_NS1_11comp_targetILNS1_3genE9ELNS1_11target_archE1100ELNS1_3gpuE3ELNS1_3repE0EEENS1_30default_config_static_selectorELNS0_4arch9wavefront6targetE0EEEvT1_
		.amdhsa_group_segment_fixed_size 0
		.amdhsa_private_segment_fixed_size 0
		.amdhsa_kernarg_size 160
		.amdhsa_user_sgpr_count 2
		.amdhsa_user_sgpr_dispatch_ptr 0
		.amdhsa_user_sgpr_queue_ptr 0
		.amdhsa_user_sgpr_kernarg_segment_ptr 1
		.amdhsa_user_sgpr_dispatch_id 0
		.amdhsa_user_sgpr_kernarg_preload_length 0
		.amdhsa_user_sgpr_kernarg_preload_offset 0
		.amdhsa_user_sgpr_private_segment_size 0
		.amdhsa_wavefront_size32 1
		.amdhsa_uses_dynamic_stack 0
		.amdhsa_enable_private_segment 0
		.amdhsa_system_sgpr_workgroup_id_x 1
		.amdhsa_system_sgpr_workgroup_id_y 0
		.amdhsa_system_sgpr_workgroup_id_z 0
		.amdhsa_system_sgpr_workgroup_info 0
		.amdhsa_system_vgpr_workitem_id 0
		.amdhsa_next_free_vgpr 1
		.amdhsa_next_free_sgpr 1
		.amdhsa_named_barrier_count 0
		.amdhsa_reserve_vcc 0
		.amdhsa_float_round_mode_32 0
		.amdhsa_float_round_mode_16_64 0
		.amdhsa_float_denorm_mode_32 3
		.amdhsa_float_denorm_mode_16_64 3
		.amdhsa_fp16_overflow 0
		.amdhsa_memory_ordered 1
		.amdhsa_forward_progress 1
		.amdhsa_inst_pref_size 0
		.amdhsa_round_robin_scheduling 0
		.amdhsa_exception_fp_ieee_invalid_op 0
		.amdhsa_exception_fp_denorm_src 0
		.amdhsa_exception_fp_ieee_div_zero 0
		.amdhsa_exception_fp_ieee_overflow 0
		.amdhsa_exception_fp_ieee_underflow 0
		.amdhsa_exception_fp_ieee_inexact 0
		.amdhsa_exception_int_div_zero 0
	.end_amdhsa_kernel
	.section	.text._ZN7rocprim17ROCPRIM_400000_NS6detail17trampoline_kernelINS0_14default_configENS1_27scan_by_key_config_selectorIj11FixedVectorIiLj8EEEEZZNS1_16scan_by_key_implILNS1_25lookback_scan_determinismE0ELb0ES3_N6thrust23THRUST_200600_302600_NS6detail15normal_iteratorINSB_10device_ptrIjEEEENSD_INSE_IS6_EEEESI_S6_NSB_4plusIvEENSB_8equal_toIvEES6_EE10hipError_tPvRmT2_T3_T4_T5_mT6_T7_P12ihipStream_tbENKUlT_T0_E_clISt17integral_constantIbLb0EES13_EEDaSY_SZ_EUlSY_E_NS1_11comp_targetILNS1_3genE9ELNS1_11target_archE1100ELNS1_3gpuE3ELNS1_3repE0EEENS1_30default_config_static_selectorELNS0_4arch9wavefront6targetE0EEEvT1_,"axG",@progbits,_ZN7rocprim17ROCPRIM_400000_NS6detail17trampoline_kernelINS0_14default_configENS1_27scan_by_key_config_selectorIj11FixedVectorIiLj8EEEEZZNS1_16scan_by_key_implILNS1_25lookback_scan_determinismE0ELb0ES3_N6thrust23THRUST_200600_302600_NS6detail15normal_iteratorINSB_10device_ptrIjEEEENSD_INSE_IS6_EEEESI_S6_NSB_4plusIvEENSB_8equal_toIvEES6_EE10hipError_tPvRmT2_T3_T4_T5_mT6_T7_P12ihipStream_tbENKUlT_T0_E_clISt17integral_constantIbLb0EES13_EEDaSY_SZ_EUlSY_E_NS1_11comp_targetILNS1_3genE9ELNS1_11target_archE1100ELNS1_3gpuE3ELNS1_3repE0EEENS1_30default_config_static_selectorELNS0_4arch9wavefront6targetE0EEEvT1_,comdat
.Lfunc_end2122:
	.size	_ZN7rocprim17ROCPRIM_400000_NS6detail17trampoline_kernelINS0_14default_configENS1_27scan_by_key_config_selectorIj11FixedVectorIiLj8EEEEZZNS1_16scan_by_key_implILNS1_25lookback_scan_determinismE0ELb0ES3_N6thrust23THRUST_200600_302600_NS6detail15normal_iteratorINSB_10device_ptrIjEEEENSD_INSE_IS6_EEEESI_S6_NSB_4plusIvEENSB_8equal_toIvEES6_EE10hipError_tPvRmT2_T3_T4_T5_mT6_T7_P12ihipStream_tbENKUlT_T0_E_clISt17integral_constantIbLb0EES13_EEDaSY_SZ_EUlSY_E_NS1_11comp_targetILNS1_3genE9ELNS1_11target_archE1100ELNS1_3gpuE3ELNS1_3repE0EEENS1_30default_config_static_selectorELNS0_4arch9wavefront6targetE0EEEvT1_, .Lfunc_end2122-_ZN7rocprim17ROCPRIM_400000_NS6detail17trampoline_kernelINS0_14default_configENS1_27scan_by_key_config_selectorIj11FixedVectorIiLj8EEEEZZNS1_16scan_by_key_implILNS1_25lookback_scan_determinismE0ELb0ES3_N6thrust23THRUST_200600_302600_NS6detail15normal_iteratorINSB_10device_ptrIjEEEENSD_INSE_IS6_EEEESI_S6_NSB_4plusIvEENSB_8equal_toIvEES6_EE10hipError_tPvRmT2_T3_T4_T5_mT6_T7_P12ihipStream_tbENKUlT_T0_E_clISt17integral_constantIbLb0EES13_EEDaSY_SZ_EUlSY_E_NS1_11comp_targetILNS1_3genE9ELNS1_11target_archE1100ELNS1_3gpuE3ELNS1_3repE0EEENS1_30default_config_static_selectorELNS0_4arch9wavefront6targetE0EEEvT1_
                                        ; -- End function
	.set _ZN7rocprim17ROCPRIM_400000_NS6detail17trampoline_kernelINS0_14default_configENS1_27scan_by_key_config_selectorIj11FixedVectorIiLj8EEEEZZNS1_16scan_by_key_implILNS1_25lookback_scan_determinismE0ELb0ES3_N6thrust23THRUST_200600_302600_NS6detail15normal_iteratorINSB_10device_ptrIjEEEENSD_INSE_IS6_EEEESI_S6_NSB_4plusIvEENSB_8equal_toIvEES6_EE10hipError_tPvRmT2_T3_T4_T5_mT6_T7_P12ihipStream_tbENKUlT_T0_E_clISt17integral_constantIbLb0EES13_EEDaSY_SZ_EUlSY_E_NS1_11comp_targetILNS1_3genE9ELNS1_11target_archE1100ELNS1_3gpuE3ELNS1_3repE0EEENS1_30default_config_static_selectorELNS0_4arch9wavefront6targetE0EEEvT1_.num_vgpr, 0
	.set _ZN7rocprim17ROCPRIM_400000_NS6detail17trampoline_kernelINS0_14default_configENS1_27scan_by_key_config_selectorIj11FixedVectorIiLj8EEEEZZNS1_16scan_by_key_implILNS1_25lookback_scan_determinismE0ELb0ES3_N6thrust23THRUST_200600_302600_NS6detail15normal_iteratorINSB_10device_ptrIjEEEENSD_INSE_IS6_EEEESI_S6_NSB_4plusIvEENSB_8equal_toIvEES6_EE10hipError_tPvRmT2_T3_T4_T5_mT6_T7_P12ihipStream_tbENKUlT_T0_E_clISt17integral_constantIbLb0EES13_EEDaSY_SZ_EUlSY_E_NS1_11comp_targetILNS1_3genE9ELNS1_11target_archE1100ELNS1_3gpuE3ELNS1_3repE0EEENS1_30default_config_static_selectorELNS0_4arch9wavefront6targetE0EEEvT1_.num_agpr, 0
	.set _ZN7rocprim17ROCPRIM_400000_NS6detail17trampoline_kernelINS0_14default_configENS1_27scan_by_key_config_selectorIj11FixedVectorIiLj8EEEEZZNS1_16scan_by_key_implILNS1_25lookback_scan_determinismE0ELb0ES3_N6thrust23THRUST_200600_302600_NS6detail15normal_iteratorINSB_10device_ptrIjEEEENSD_INSE_IS6_EEEESI_S6_NSB_4plusIvEENSB_8equal_toIvEES6_EE10hipError_tPvRmT2_T3_T4_T5_mT6_T7_P12ihipStream_tbENKUlT_T0_E_clISt17integral_constantIbLb0EES13_EEDaSY_SZ_EUlSY_E_NS1_11comp_targetILNS1_3genE9ELNS1_11target_archE1100ELNS1_3gpuE3ELNS1_3repE0EEENS1_30default_config_static_selectorELNS0_4arch9wavefront6targetE0EEEvT1_.numbered_sgpr, 0
	.set _ZN7rocprim17ROCPRIM_400000_NS6detail17trampoline_kernelINS0_14default_configENS1_27scan_by_key_config_selectorIj11FixedVectorIiLj8EEEEZZNS1_16scan_by_key_implILNS1_25lookback_scan_determinismE0ELb0ES3_N6thrust23THRUST_200600_302600_NS6detail15normal_iteratorINSB_10device_ptrIjEEEENSD_INSE_IS6_EEEESI_S6_NSB_4plusIvEENSB_8equal_toIvEES6_EE10hipError_tPvRmT2_T3_T4_T5_mT6_T7_P12ihipStream_tbENKUlT_T0_E_clISt17integral_constantIbLb0EES13_EEDaSY_SZ_EUlSY_E_NS1_11comp_targetILNS1_3genE9ELNS1_11target_archE1100ELNS1_3gpuE3ELNS1_3repE0EEENS1_30default_config_static_selectorELNS0_4arch9wavefront6targetE0EEEvT1_.num_named_barrier, 0
	.set _ZN7rocprim17ROCPRIM_400000_NS6detail17trampoline_kernelINS0_14default_configENS1_27scan_by_key_config_selectorIj11FixedVectorIiLj8EEEEZZNS1_16scan_by_key_implILNS1_25lookback_scan_determinismE0ELb0ES3_N6thrust23THRUST_200600_302600_NS6detail15normal_iteratorINSB_10device_ptrIjEEEENSD_INSE_IS6_EEEESI_S6_NSB_4plusIvEENSB_8equal_toIvEES6_EE10hipError_tPvRmT2_T3_T4_T5_mT6_T7_P12ihipStream_tbENKUlT_T0_E_clISt17integral_constantIbLb0EES13_EEDaSY_SZ_EUlSY_E_NS1_11comp_targetILNS1_3genE9ELNS1_11target_archE1100ELNS1_3gpuE3ELNS1_3repE0EEENS1_30default_config_static_selectorELNS0_4arch9wavefront6targetE0EEEvT1_.private_seg_size, 0
	.set _ZN7rocprim17ROCPRIM_400000_NS6detail17trampoline_kernelINS0_14default_configENS1_27scan_by_key_config_selectorIj11FixedVectorIiLj8EEEEZZNS1_16scan_by_key_implILNS1_25lookback_scan_determinismE0ELb0ES3_N6thrust23THRUST_200600_302600_NS6detail15normal_iteratorINSB_10device_ptrIjEEEENSD_INSE_IS6_EEEESI_S6_NSB_4plusIvEENSB_8equal_toIvEES6_EE10hipError_tPvRmT2_T3_T4_T5_mT6_T7_P12ihipStream_tbENKUlT_T0_E_clISt17integral_constantIbLb0EES13_EEDaSY_SZ_EUlSY_E_NS1_11comp_targetILNS1_3genE9ELNS1_11target_archE1100ELNS1_3gpuE3ELNS1_3repE0EEENS1_30default_config_static_selectorELNS0_4arch9wavefront6targetE0EEEvT1_.uses_vcc, 0
	.set _ZN7rocprim17ROCPRIM_400000_NS6detail17trampoline_kernelINS0_14default_configENS1_27scan_by_key_config_selectorIj11FixedVectorIiLj8EEEEZZNS1_16scan_by_key_implILNS1_25lookback_scan_determinismE0ELb0ES3_N6thrust23THRUST_200600_302600_NS6detail15normal_iteratorINSB_10device_ptrIjEEEENSD_INSE_IS6_EEEESI_S6_NSB_4plusIvEENSB_8equal_toIvEES6_EE10hipError_tPvRmT2_T3_T4_T5_mT6_T7_P12ihipStream_tbENKUlT_T0_E_clISt17integral_constantIbLb0EES13_EEDaSY_SZ_EUlSY_E_NS1_11comp_targetILNS1_3genE9ELNS1_11target_archE1100ELNS1_3gpuE3ELNS1_3repE0EEENS1_30default_config_static_selectorELNS0_4arch9wavefront6targetE0EEEvT1_.uses_flat_scratch, 0
	.set _ZN7rocprim17ROCPRIM_400000_NS6detail17trampoline_kernelINS0_14default_configENS1_27scan_by_key_config_selectorIj11FixedVectorIiLj8EEEEZZNS1_16scan_by_key_implILNS1_25lookback_scan_determinismE0ELb0ES3_N6thrust23THRUST_200600_302600_NS6detail15normal_iteratorINSB_10device_ptrIjEEEENSD_INSE_IS6_EEEESI_S6_NSB_4plusIvEENSB_8equal_toIvEES6_EE10hipError_tPvRmT2_T3_T4_T5_mT6_T7_P12ihipStream_tbENKUlT_T0_E_clISt17integral_constantIbLb0EES13_EEDaSY_SZ_EUlSY_E_NS1_11comp_targetILNS1_3genE9ELNS1_11target_archE1100ELNS1_3gpuE3ELNS1_3repE0EEENS1_30default_config_static_selectorELNS0_4arch9wavefront6targetE0EEEvT1_.has_dyn_sized_stack, 0
	.set _ZN7rocprim17ROCPRIM_400000_NS6detail17trampoline_kernelINS0_14default_configENS1_27scan_by_key_config_selectorIj11FixedVectorIiLj8EEEEZZNS1_16scan_by_key_implILNS1_25lookback_scan_determinismE0ELb0ES3_N6thrust23THRUST_200600_302600_NS6detail15normal_iteratorINSB_10device_ptrIjEEEENSD_INSE_IS6_EEEESI_S6_NSB_4plusIvEENSB_8equal_toIvEES6_EE10hipError_tPvRmT2_T3_T4_T5_mT6_T7_P12ihipStream_tbENKUlT_T0_E_clISt17integral_constantIbLb0EES13_EEDaSY_SZ_EUlSY_E_NS1_11comp_targetILNS1_3genE9ELNS1_11target_archE1100ELNS1_3gpuE3ELNS1_3repE0EEENS1_30default_config_static_selectorELNS0_4arch9wavefront6targetE0EEEvT1_.has_recursion, 0
	.set _ZN7rocprim17ROCPRIM_400000_NS6detail17trampoline_kernelINS0_14default_configENS1_27scan_by_key_config_selectorIj11FixedVectorIiLj8EEEEZZNS1_16scan_by_key_implILNS1_25lookback_scan_determinismE0ELb0ES3_N6thrust23THRUST_200600_302600_NS6detail15normal_iteratorINSB_10device_ptrIjEEEENSD_INSE_IS6_EEEESI_S6_NSB_4plusIvEENSB_8equal_toIvEES6_EE10hipError_tPvRmT2_T3_T4_T5_mT6_T7_P12ihipStream_tbENKUlT_T0_E_clISt17integral_constantIbLb0EES13_EEDaSY_SZ_EUlSY_E_NS1_11comp_targetILNS1_3genE9ELNS1_11target_archE1100ELNS1_3gpuE3ELNS1_3repE0EEENS1_30default_config_static_selectorELNS0_4arch9wavefront6targetE0EEEvT1_.has_indirect_call, 0
	.section	.AMDGPU.csdata,"",@progbits
; Kernel info:
; codeLenInByte = 0
; TotalNumSgprs: 0
; NumVgprs: 0
; ScratchSize: 0
; MemoryBound: 0
; FloatMode: 240
; IeeeMode: 1
; LDSByteSize: 0 bytes/workgroup (compile time only)
; SGPRBlocks: 0
; VGPRBlocks: 0
; NumSGPRsForWavesPerEU: 1
; NumVGPRsForWavesPerEU: 1
; NamedBarCnt: 0
; Occupancy: 16
; WaveLimiterHint : 0
; COMPUTE_PGM_RSRC2:SCRATCH_EN: 0
; COMPUTE_PGM_RSRC2:USER_SGPR: 2
; COMPUTE_PGM_RSRC2:TRAP_HANDLER: 0
; COMPUTE_PGM_RSRC2:TGID_X_EN: 1
; COMPUTE_PGM_RSRC2:TGID_Y_EN: 0
; COMPUTE_PGM_RSRC2:TGID_Z_EN: 0
; COMPUTE_PGM_RSRC2:TIDIG_COMP_CNT: 0
	.section	.text._ZN7rocprim17ROCPRIM_400000_NS6detail17trampoline_kernelINS0_14default_configENS1_27scan_by_key_config_selectorIj11FixedVectorIiLj8EEEEZZNS1_16scan_by_key_implILNS1_25lookback_scan_determinismE0ELb0ES3_N6thrust23THRUST_200600_302600_NS6detail15normal_iteratorINSB_10device_ptrIjEEEENSD_INSE_IS6_EEEESI_S6_NSB_4plusIvEENSB_8equal_toIvEES6_EE10hipError_tPvRmT2_T3_T4_T5_mT6_T7_P12ihipStream_tbENKUlT_T0_E_clISt17integral_constantIbLb0EES13_EEDaSY_SZ_EUlSY_E_NS1_11comp_targetILNS1_3genE8ELNS1_11target_archE1030ELNS1_3gpuE2ELNS1_3repE0EEENS1_30default_config_static_selectorELNS0_4arch9wavefront6targetE0EEEvT1_,"axG",@progbits,_ZN7rocprim17ROCPRIM_400000_NS6detail17trampoline_kernelINS0_14default_configENS1_27scan_by_key_config_selectorIj11FixedVectorIiLj8EEEEZZNS1_16scan_by_key_implILNS1_25lookback_scan_determinismE0ELb0ES3_N6thrust23THRUST_200600_302600_NS6detail15normal_iteratorINSB_10device_ptrIjEEEENSD_INSE_IS6_EEEESI_S6_NSB_4plusIvEENSB_8equal_toIvEES6_EE10hipError_tPvRmT2_T3_T4_T5_mT6_T7_P12ihipStream_tbENKUlT_T0_E_clISt17integral_constantIbLb0EES13_EEDaSY_SZ_EUlSY_E_NS1_11comp_targetILNS1_3genE8ELNS1_11target_archE1030ELNS1_3gpuE2ELNS1_3repE0EEENS1_30default_config_static_selectorELNS0_4arch9wavefront6targetE0EEEvT1_,comdat
	.protected	_ZN7rocprim17ROCPRIM_400000_NS6detail17trampoline_kernelINS0_14default_configENS1_27scan_by_key_config_selectorIj11FixedVectorIiLj8EEEEZZNS1_16scan_by_key_implILNS1_25lookback_scan_determinismE0ELb0ES3_N6thrust23THRUST_200600_302600_NS6detail15normal_iteratorINSB_10device_ptrIjEEEENSD_INSE_IS6_EEEESI_S6_NSB_4plusIvEENSB_8equal_toIvEES6_EE10hipError_tPvRmT2_T3_T4_T5_mT6_T7_P12ihipStream_tbENKUlT_T0_E_clISt17integral_constantIbLb0EES13_EEDaSY_SZ_EUlSY_E_NS1_11comp_targetILNS1_3genE8ELNS1_11target_archE1030ELNS1_3gpuE2ELNS1_3repE0EEENS1_30default_config_static_selectorELNS0_4arch9wavefront6targetE0EEEvT1_ ; -- Begin function _ZN7rocprim17ROCPRIM_400000_NS6detail17trampoline_kernelINS0_14default_configENS1_27scan_by_key_config_selectorIj11FixedVectorIiLj8EEEEZZNS1_16scan_by_key_implILNS1_25lookback_scan_determinismE0ELb0ES3_N6thrust23THRUST_200600_302600_NS6detail15normal_iteratorINSB_10device_ptrIjEEEENSD_INSE_IS6_EEEESI_S6_NSB_4plusIvEENSB_8equal_toIvEES6_EE10hipError_tPvRmT2_T3_T4_T5_mT6_T7_P12ihipStream_tbENKUlT_T0_E_clISt17integral_constantIbLb0EES13_EEDaSY_SZ_EUlSY_E_NS1_11comp_targetILNS1_3genE8ELNS1_11target_archE1030ELNS1_3gpuE2ELNS1_3repE0EEENS1_30default_config_static_selectorELNS0_4arch9wavefront6targetE0EEEvT1_
	.globl	_ZN7rocprim17ROCPRIM_400000_NS6detail17trampoline_kernelINS0_14default_configENS1_27scan_by_key_config_selectorIj11FixedVectorIiLj8EEEEZZNS1_16scan_by_key_implILNS1_25lookback_scan_determinismE0ELb0ES3_N6thrust23THRUST_200600_302600_NS6detail15normal_iteratorINSB_10device_ptrIjEEEENSD_INSE_IS6_EEEESI_S6_NSB_4plusIvEENSB_8equal_toIvEES6_EE10hipError_tPvRmT2_T3_T4_T5_mT6_T7_P12ihipStream_tbENKUlT_T0_E_clISt17integral_constantIbLb0EES13_EEDaSY_SZ_EUlSY_E_NS1_11comp_targetILNS1_3genE8ELNS1_11target_archE1030ELNS1_3gpuE2ELNS1_3repE0EEENS1_30default_config_static_selectorELNS0_4arch9wavefront6targetE0EEEvT1_
	.p2align	8
	.type	_ZN7rocprim17ROCPRIM_400000_NS6detail17trampoline_kernelINS0_14default_configENS1_27scan_by_key_config_selectorIj11FixedVectorIiLj8EEEEZZNS1_16scan_by_key_implILNS1_25lookback_scan_determinismE0ELb0ES3_N6thrust23THRUST_200600_302600_NS6detail15normal_iteratorINSB_10device_ptrIjEEEENSD_INSE_IS6_EEEESI_S6_NSB_4plusIvEENSB_8equal_toIvEES6_EE10hipError_tPvRmT2_T3_T4_T5_mT6_T7_P12ihipStream_tbENKUlT_T0_E_clISt17integral_constantIbLb0EES13_EEDaSY_SZ_EUlSY_E_NS1_11comp_targetILNS1_3genE8ELNS1_11target_archE1030ELNS1_3gpuE2ELNS1_3repE0EEENS1_30default_config_static_selectorELNS0_4arch9wavefront6targetE0EEEvT1_,@function
_ZN7rocprim17ROCPRIM_400000_NS6detail17trampoline_kernelINS0_14default_configENS1_27scan_by_key_config_selectorIj11FixedVectorIiLj8EEEEZZNS1_16scan_by_key_implILNS1_25lookback_scan_determinismE0ELb0ES3_N6thrust23THRUST_200600_302600_NS6detail15normal_iteratorINSB_10device_ptrIjEEEENSD_INSE_IS6_EEEESI_S6_NSB_4plusIvEENSB_8equal_toIvEES6_EE10hipError_tPvRmT2_T3_T4_T5_mT6_T7_P12ihipStream_tbENKUlT_T0_E_clISt17integral_constantIbLb0EES13_EEDaSY_SZ_EUlSY_E_NS1_11comp_targetILNS1_3genE8ELNS1_11target_archE1030ELNS1_3gpuE2ELNS1_3repE0EEENS1_30default_config_static_selectorELNS0_4arch9wavefront6targetE0EEEvT1_: ; @_ZN7rocprim17ROCPRIM_400000_NS6detail17trampoline_kernelINS0_14default_configENS1_27scan_by_key_config_selectorIj11FixedVectorIiLj8EEEEZZNS1_16scan_by_key_implILNS1_25lookback_scan_determinismE0ELb0ES3_N6thrust23THRUST_200600_302600_NS6detail15normal_iteratorINSB_10device_ptrIjEEEENSD_INSE_IS6_EEEESI_S6_NSB_4plusIvEENSB_8equal_toIvEES6_EE10hipError_tPvRmT2_T3_T4_T5_mT6_T7_P12ihipStream_tbENKUlT_T0_E_clISt17integral_constantIbLb0EES13_EEDaSY_SZ_EUlSY_E_NS1_11comp_targetILNS1_3genE8ELNS1_11target_archE1030ELNS1_3gpuE2ELNS1_3repE0EEENS1_30default_config_static_selectorELNS0_4arch9wavefront6targetE0EEEvT1_
; %bb.0:
	.section	.rodata,"a",@progbits
	.p2align	6, 0x0
	.amdhsa_kernel _ZN7rocprim17ROCPRIM_400000_NS6detail17trampoline_kernelINS0_14default_configENS1_27scan_by_key_config_selectorIj11FixedVectorIiLj8EEEEZZNS1_16scan_by_key_implILNS1_25lookback_scan_determinismE0ELb0ES3_N6thrust23THRUST_200600_302600_NS6detail15normal_iteratorINSB_10device_ptrIjEEEENSD_INSE_IS6_EEEESI_S6_NSB_4plusIvEENSB_8equal_toIvEES6_EE10hipError_tPvRmT2_T3_T4_T5_mT6_T7_P12ihipStream_tbENKUlT_T0_E_clISt17integral_constantIbLb0EES13_EEDaSY_SZ_EUlSY_E_NS1_11comp_targetILNS1_3genE8ELNS1_11target_archE1030ELNS1_3gpuE2ELNS1_3repE0EEENS1_30default_config_static_selectorELNS0_4arch9wavefront6targetE0EEEvT1_
		.amdhsa_group_segment_fixed_size 0
		.amdhsa_private_segment_fixed_size 0
		.amdhsa_kernarg_size 160
		.amdhsa_user_sgpr_count 2
		.amdhsa_user_sgpr_dispatch_ptr 0
		.amdhsa_user_sgpr_queue_ptr 0
		.amdhsa_user_sgpr_kernarg_segment_ptr 1
		.amdhsa_user_sgpr_dispatch_id 0
		.amdhsa_user_sgpr_kernarg_preload_length 0
		.amdhsa_user_sgpr_kernarg_preload_offset 0
		.amdhsa_user_sgpr_private_segment_size 0
		.amdhsa_wavefront_size32 1
		.amdhsa_uses_dynamic_stack 0
		.amdhsa_enable_private_segment 0
		.amdhsa_system_sgpr_workgroup_id_x 1
		.amdhsa_system_sgpr_workgroup_id_y 0
		.amdhsa_system_sgpr_workgroup_id_z 0
		.amdhsa_system_sgpr_workgroup_info 0
		.amdhsa_system_vgpr_workitem_id 0
		.amdhsa_next_free_vgpr 1
		.amdhsa_next_free_sgpr 1
		.amdhsa_named_barrier_count 0
		.amdhsa_reserve_vcc 0
		.amdhsa_float_round_mode_32 0
		.amdhsa_float_round_mode_16_64 0
		.amdhsa_float_denorm_mode_32 3
		.amdhsa_float_denorm_mode_16_64 3
		.amdhsa_fp16_overflow 0
		.amdhsa_memory_ordered 1
		.amdhsa_forward_progress 1
		.amdhsa_inst_pref_size 0
		.amdhsa_round_robin_scheduling 0
		.amdhsa_exception_fp_ieee_invalid_op 0
		.amdhsa_exception_fp_denorm_src 0
		.amdhsa_exception_fp_ieee_div_zero 0
		.amdhsa_exception_fp_ieee_overflow 0
		.amdhsa_exception_fp_ieee_underflow 0
		.amdhsa_exception_fp_ieee_inexact 0
		.amdhsa_exception_int_div_zero 0
	.end_amdhsa_kernel
	.section	.text._ZN7rocprim17ROCPRIM_400000_NS6detail17trampoline_kernelINS0_14default_configENS1_27scan_by_key_config_selectorIj11FixedVectorIiLj8EEEEZZNS1_16scan_by_key_implILNS1_25lookback_scan_determinismE0ELb0ES3_N6thrust23THRUST_200600_302600_NS6detail15normal_iteratorINSB_10device_ptrIjEEEENSD_INSE_IS6_EEEESI_S6_NSB_4plusIvEENSB_8equal_toIvEES6_EE10hipError_tPvRmT2_T3_T4_T5_mT6_T7_P12ihipStream_tbENKUlT_T0_E_clISt17integral_constantIbLb0EES13_EEDaSY_SZ_EUlSY_E_NS1_11comp_targetILNS1_3genE8ELNS1_11target_archE1030ELNS1_3gpuE2ELNS1_3repE0EEENS1_30default_config_static_selectorELNS0_4arch9wavefront6targetE0EEEvT1_,"axG",@progbits,_ZN7rocprim17ROCPRIM_400000_NS6detail17trampoline_kernelINS0_14default_configENS1_27scan_by_key_config_selectorIj11FixedVectorIiLj8EEEEZZNS1_16scan_by_key_implILNS1_25lookback_scan_determinismE0ELb0ES3_N6thrust23THRUST_200600_302600_NS6detail15normal_iteratorINSB_10device_ptrIjEEEENSD_INSE_IS6_EEEESI_S6_NSB_4plusIvEENSB_8equal_toIvEES6_EE10hipError_tPvRmT2_T3_T4_T5_mT6_T7_P12ihipStream_tbENKUlT_T0_E_clISt17integral_constantIbLb0EES13_EEDaSY_SZ_EUlSY_E_NS1_11comp_targetILNS1_3genE8ELNS1_11target_archE1030ELNS1_3gpuE2ELNS1_3repE0EEENS1_30default_config_static_selectorELNS0_4arch9wavefront6targetE0EEEvT1_,comdat
.Lfunc_end2123:
	.size	_ZN7rocprim17ROCPRIM_400000_NS6detail17trampoline_kernelINS0_14default_configENS1_27scan_by_key_config_selectorIj11FixedVectorIiLj8EEEEZZNS1_16scan_by_key_implILNS1_25lookback_scan_determinismE0ELb0ES3_N6thrust23THRUST_200600_302600_NS6detail15normal_iteratorINSB_10device_ptrIjEEEENSD_INSE_IS6_EEEESI_S6_NSB_4plusIvEENSB_8equal_toIvEES6_EE10hipError_tPvRmT2_T3_T4_T5_mT6_T7_P12ihipStream_tbENKUlT_T0_E_clISt17integral_constantIbLb0EES13_EEDaSY_SZ_EUlSY_E_NS1_11comp_targetILNS1_3genE8ELNS1_11target_archE1030ELNS1_3gpuE2ELNS1_3repE0EEENS1_30default_config_static_selectorELNS0_4arch9wavefront6targetE0EEEvT1_, .Lfunc_end2123-_ZN7rocprim17ROCPRIM_400000_NS6detail17trampoline_kernelINS0_14default_configENS1_27scan_by_key_config_selectorIj11FixedVectorIiLj8EEEEZZNS1_16scan_by_key_implILNS1_25lookback_scan_determinismE0ELb0ES3_N6thrust23THRUST_200600_302600_NS6detail15normal_iteratorINSB_10device_ptrIjEEEENSD_INSE_IS6_EEEESI_S6_NSB_4plusIvEENSB_8equal_toIvEES6_EE10hipError_tPvRmT2_T3_T4_T5_mT6_T7_P12ihipStream_tbENKUlT_T0_E_clISt17integral_constantIbLb0EES13_EEDaSY_SZ_EUlSY_E_NS1_11comp_targetILNS1_3genE8ELNS1_11target_archE1030ELNS1_3gpuE2ELNS1_3repE0EEENS1_30default_config_static_selectorELNS0_4arch9wavefront6targetE0EEEvT1_
                                        ; -- End function
	.set _ZN7rocprim17ROCPRIM_400000_NS6detail17trampoline_kernelINS0_14default_configENS1_27scan_by_key_config_selectorIj11FixedVectorIiLj8EEEEZZNS1_16scan_by_key_implILNS1_25lookback_scan_determinismE0ELb0ES3_N6thrust23THRUST_200600_302600_NS6detail15normal_iteratorINSB_10device_ptrIjEEEENSD_INSE_IS6_EEEESI_S6_NSB_4plusIvEENSB_8equal_toIvEES6_EE10hipError_tPvRmT2_T3_T4_T5_mT6_T7_P12ihipStream_tbENKUlT_T0_E_clISt17integral_constantIbLb0EES13_EEDaSY_SZ_EUlSY_E_NS1_11comp_targetILNS1_3genE8ELNS1_11target_archE1030ELNS1_3gpuE2ELNS1_3repE0EEENS1_30default_config_static_selectorELNS0_4arch9wavefront6targetE0EEEvT1_.num_vgpr, 0
	.set _ZN7rocprim17ROCPRIM_400000_NS6detail17trampoline_kernelINS0_14default_configENS1_27scan_by_key_config_selectorIj11FixedVectorIiLj8EEEEZZNS1_16scan_by_key_implILNS1_25lookback_scan_determinismE0ELb0ES3_N6thrust23THRUST_200600_302600_NS6detail15normal_iteratorINSB_10device_ptrIjEEEENSD_INSE_IS6_EEEESI_S6_NSB_4plusIvEENSB_8equal_toIvEES6_EE10hipError_tPvRmT2_T3_T4_T5_mT6_T7_P12ihipStream_tbENKUlT_T0_E_clISt17integral_constantIbLb0EES13_EEDaSY_SZ_EUlSY_E_NS1_11comp_targetILNS1_3genE8ELNS1_11target_archE1030ELNS1_3gpuE2ELNS1_3repE0EEENS1_30default_config_static_selectorELNS0_4arch9wavefront6targetE0EEEvT1_.num_agpr, 0
	.set _ZN7rocprim17ROCPRIM_400000_NS6detail17trampoline_kernelINS0_14default_configENS1_27scan_by_key_config_selectorIj11FixedVectorIiLj8EEEEZZNS1_16scan_by_key_implILNS1_25lookback_scan_determinismE0ELb0ES3_N6thrust23THRUST_200600_302600_NS6detail15normal_iteratorINSB_10device_ptrIjEEEENSD_INSE_IS6_EEEESI_S6_NSB_4plusIvEENSB_8equal_toIvEES6_EE10hipError_tPvRmT2_T3_T4_T5_mT6_T7_P12ihipStream_tbENKUlT_T0_E_clISt17integral_constantIbLb0EES13_EEDaSY_SZ_EUlSY_E_NS1_11comp_targetILNS1_3genE8ELNS1_11target_archE1030ELNS1_3gpuE2ELNS1_3repE0EEENS1_30default_config_static_selectorELNS0_4arch9wavefront6targetE0EEEvT1_.numbered_sgpr, 0
	.set _ZN7rocprim17ROCPRIM_400000_NS6detail17trampoline_kernelINS0_14default_configENS1_27scan_by_key_config_selectorIj11FixedVectorIiLj8EEEEZZNS1_16scan_by_key_implILNS1_25lookback_scan_determinismE0ELb0ES3_N6thrust23THRUST_200600_302600_NS6detail15normal_iteratorINSB_10device_ptrIjEEEENSD_INSE_IS6_EEEESI_S6_NSB_4plusIvEENSB_8equal_toIvEES6_EE10hipError_tPvRmT2_T3_T4_T5_mT6_T7_P12ihipStream_tbENKUlT_T0_E_clISt17integral_constantIbLb0EES13_EEDaSY_SZ_EUlSY_E_NS1_11comp_targetILNS1_3genE8ELNS1_11target_archE1030ELNS1_3gpuE2ELNS1_3repE0EEENS1_30default_config_static_selectorELNS0_4arch9wavefront6targetE0EEEvT1_.num_named_barrier, 0
	.set _ZN7rocprim17ROCPRIM_400000_NS6detail17trampoline_kernelINS0_14default_configENS1_27scan_by_key_config_selectorIj11FixedVectorIiLj8EEEEZZNS1_16scan_by_key_implILNS1_25lookback_scan_determinismE0ELb0ES3_N6thrust23THRUST_200600_302600_NS6detail15normal_iteratorINSB_10device_ptrIjEEEENSD_INSE_IS6_EEEESI_S6_NSB_4plusIvEENSB_8equal_toIvEES6_EE10hipError_tPvRmT2_T3_T4_T5_mT6_T7_P12ihipStream_tbENKUlT_T0_E_clISt17integral_constantIbLb0EES13_EEDaSY_SZ_EUlSY_E_NS1_11comp_targetILNS1_3genE8ELNS1_11target_archE1030ELNS1_3gpuE2ELNS1_3repE0EEENS1_30default_config_static_selectorELNS0_4arch9wavefront6targetE0EEEvT1_.private_seg_size, 0
	.set _ZN7rocprim17ROCPRIM_400000_NS6detail17trampoline_kernelINS0_14default_configENS1_27scan_by_key_config_selectorIj11FixedVectorIiLj8EEEEZZNS1_16scan_by_key_implILNS1_25lookback_scan_determinismE0ELb0ES3_N6thrust23THRUST_200600_302600_NS6detail15normal_iteratorINSB_10device_ptrIjEEEENSD_INSE_IS6_EEEESI_S6_NSB_4plusIvEENSB_8equal_toIvEES6_EE10hipError_tPvRmT2_T3_T4_T5_mT6_T7_P12ihipStream_tbENKUlT_T0_E_clISt17integral_constantIbLb0EES13_EEDaSY_SZ_EUlSY_E_NS1_11comp_targetILNS1_3genE8ELNS1_11target_archE1030ELNS1_3gpuE2ELNS1_3repE0EEENS1_30default_config_static_selectorELNS0_4arch9wavefront6targetE0EEEvT1_.uses_vcc, 0
	.set _ZN7rocprim17ROCPRIM_400000_NS6detail17trampoline_kernelINS0_14default_configENS1_27scan_by_key_config_selectorIj11FixedVectorIiLj8EEEEZZNS1_16scan_by_key_implILNS1_25lookback_scan_determinismE0ELb0ES3_N6thrust23THRUST_200600_302600_NS6detail15normal_iteratorINSB_10device_ptrIjEEEENSD_INSE_IS6_EEEESI_S6_NSB_4plusIvEENSB_8equal_toIvEES6_EE10hipError_tPvRmT2_T3_T4_T5_mT6_T7_P12ihipStream_tbENKUlT_T0_E_clISt17integral_constantIbLb0EES13_EEDaSY_SZ_EUlSY_E_NS1_11comp_targetILNS1_3genE8ELNS1_11target_archE1030ELNS1_3gpuE2ELNS1_3repE0EEENS1_30default_config_static_selectorELNS0_4arch9wavefront6targetE0EEEvT1_.uses_flat_scratch, 0
	.set _ZN7rocprim17ROCPRIM_400000_NS6detail17trampoline_kernelINS0_14default_configENS1_27scan_by_key_config_selectorIj11FixedVectorIiLj8EEEEZZNS1_16scan_by_key_implILNS1_25lookback_scan_determinismE0ELb0ES3_N6thrust23THRUST_200600_302600_NS6detail15normal_iteratorINSB_10device_ptrIjEEEENSD_INSE_IS6_EEEESI_S6_NSB_4plusIvEENSB_8equal_toIvEES6_EE10hipError_tPvRmT2_T3_T4_T5_mT6_T7_P12ihipStream_tbENKUlT_T0_E_clISt17integral_constantIbLb0EES13_EEDaSY_SZ_EUlSY_E_NS1_11comp_targetILNS1_3genE8ELNS1_11target_archE1030ELNS1_3gpuE2ELNS1_3repE0EEENS1_30default_config_static_selectorELNS0_4arch9wavefront6targetE0EEEvT1_.has_dyn_sized_stack, 0
	.set _ZN7rocprim17ROCPRIM_400000_NS6detail17trampoline_kernelINS0_14default_configENS1_27scan_by_key_config_selectorIj11FixedVectorIiLj8EEEEZZNS1_16scan_by_key_implILNS1_25lookback_scan_determinismE0ELb0ES3_N6thrust23THRUST_200600_302600_NS6detail15normal_iteratorINSB_10device_ptrIjEEEENSD_INSE_IS6_EEEESI_S6_NSB_4plusIvEENSB_8equal_toIvEES6_EE10hipError_tPvRmT2_T3_T4_T5_mT6_T7_P12ihipStream_tbENKUlT_T0_E_clISt17integral_constantIbLb0EES13_EEDaSY_SZ_EUlSY_E_NS1_11comp_targetILNS1_3genE8ELNS1_11target_archE1030ELNS1_3gpuE2ELNS1_3repE0EEENS1_30default_config_static_selectorELNS0_4arch9wavefront6targetE0EEEvT1_.has_recursion, 0
	.set _ZN7rocprim17ROCPRIM_400000_NS6detail17trampoline_kernelINS0_14default_configENS1_27scan_by_key_config_selectorIj11FixedVectorIiLj8EEEEZZNS1_16scan_by_key_implILNS1_25lookback_scan_determinismE0ELb0ES3_N6thrust23THRUST_200600_302600_NS6detail15normal_iteratorINSB_10device_ptrIjEEEENSD_INSE_IS6_EEEESI_S6_NSB_4plusIvEENSB_8equal_toIvEES6_EE10hipError_tPvRmT2_T3_T4_T5_mT6_T7_P12ihipStream_tbENKUlT_T0_E_clISt17integral_constantIbLb0EES13_EEDaSY_SZ_EUlSY_E_NS1_11comp_targetILNS1_3genE8ELNS1_11target_archE1030ELNS1_3gpuE2ELNS1_3repE0EEENS1_30default_config_static_selectorELNS0_4arch9wavefront6targetE0EEEvT1_.has_indirect_call, 0
	.section	.AMDGPU.csdata,"",@progbits
; Kernel info:
; codeLenInByte = 0
; TotalNumSgprs: 0
; NumVgprs: 0
; ScratchSize: 0
; MemoryBound: 0
; FloatMode: 240
; IeeeMode: 1
; LDSByteSize: 0 bytes/workgroup (compile time only)
; SGPRBlocks: 0
; VGPRBlocks: 0
; NumSGPRsForWavesPerEU: 1
; NumVGPRsForWavesPerEU: 1
; NamedBarCnt: 0
; Occupancy: 16
; WaveLimiterHint : 0
; COMPUTE_PGM_RSRC2:SCRATCH_EN: 0
; COMPUTE_PGM_RSRC2:USER_SGPR: 2
; COMPUTE_PGM_RSRC2:TRAP_HANDLER: 0
; COMPUTE_PGM_RSRC2:TGID_X_EN: 1
; COMPUTE_PGM_RSRC2:TGID_Y_EN: 0
; COMPUTE_PGM_RSRC2:TGID_Z_EN: 0
; COMPUTE_PGM_RSRC2:TIDIG_COMP_CNT: 0
	.section	.text._ZN7rocprim17ROCPRIM_400000_NS6detail30init_device_scan_by_key_kernelINS1_19lookback_scan_stateINS0_5tupleIJ11FixedVectorIiLj8EEbEEELb1ELb0EEEN6thrust23THRUST_200600_302600_NS6detail15normal_iteratorINSA_10device_ptrIjEEEEjNS1_16block_id_wrapperIjLb1EEEEEvT_jjPNSI_10value_typeET0_PNSt15iterator_traitsISL_E10value_typeEmT1_T2_,"axG",@progbits,_ZN7rocprim17ROCPRIM_400000_NS6detail30init_device_scan_by_key_kernelINS1_19lookback_scan_stateINS0_5tupleIJ11FixedVectorIiLj8EEbEEELb1ELb0EEEN6thrust23THRUST_200600_302600_NS6detail15normal_iteratorINSA_10device_ptrIjEEEEjNS1_16block_id_wrapperIjLb1EEEEEvT_jjPNSI_10value_typeET0_PNSt15iterator_traitsISL_E10value_typeEmT1_T2_,comdat
	.protected	_ZN7rocprim17ROCPRIM_400000_NS6detail30init_device_scan_by_key_kernelINS1_19lookback_scan_stateINS0_5tupleIJ11FixedVectorIiLj8EEbEEELb1ELb0EEEN6thrust23THRUST_200600_302600_NS6detail15normal_iteratorINSA_10device_ptrIjEEEEjNS1_16block_id_wrapperIjLb1EEEEEvT_jjPNSI_10value_typeET0_PNSt15iterator_traitsISL_E10value_typeEmT1_T2_ ; -- Begin function _ZN7rocprim17ROCPRIM_400000_NS6detail30init_device_scan_by_key_kernelINS1_19lookback_scan_stateINS0_5tupleIJ11FixedVectorIiLj8EEbEEELb1ELb0EEEN6thrust23THRUST_200600_302600_NS6detail15normal_iteratorINSA_10device_ptrIjEEEEjNS1_16block_id_wrapperIjLb1EEEEEvT_jjPNSI_10value_typeET0_PNSt15iterator_traitsISL_E10value_typeEmT1_T2_
	.globl	_ZN7rocprim17ROCPRIM_400000_NS6detail30init_device_scan_by_key_kernelINS1_19lookback_scan_stateINS0_5tupleIJ11FixedVectorIiLj8EEbEEELb1ELb0EEEN6thrust23THRUST_200600_302600_NS6detail15normal_iteratorINSA_10device_ptrIjEEEEjNS1_16block_id_wrapperIjLb1EEEEEvT_jjPNSI_10value_typeET0_PNSt15iterator_traitsISL_E10value_typeEmT1_T2_
	.p2align	8
	.type	_ZN7rocprim17ROCPRIM_400000_NS6detail30init_device_scan_by_key_kernelINS1_19lookback_scan_stateINS0_5tupleIJ11FixedVectorIiLj8EEbEEELb1ELb0EEEN6thrust23THRUST_200600_302600_NS6detail15normal_iteratorINSA_10device_ptrIjEEEEjNS1_16block_id_wrapperIjLb1EEEEEvT_jjPNSI_10value_typeET0_PNSt15iterator_traitsISL_E10value_typeEmT1_T2_,@function
_ZN7rocprim17ROCPRIM_400000_NS6detail30init_device_scan_by_key_kernelINS1_19lookback_scan_stateINS0_5tupleIJ11FixedVectorIiLj8EEbEEELb1ELb0EEEN6thrust23THRUST_200600_302600_NS6detail15normal_iteratorINSA_10device_ptrIjEEEEjNS1_16block_id_wrapperIjLb1EEEEEvT_jjPNSI_10value_typeET0_PNSt15iterator_traitsISL_E10value_typeEmT1_T2_: ; @_ZN7rocprim17ROCPRIM_400000_NS6detail30init_device_scan_by_key_kernelINS1_19lookback_scan_stateINS0_5tupleIJ11FixedVectorIiLj8EEbEEELb1ELb0EEEN6thrust23THRUST_200600_302600_NS6detail15normal_iteratorINSA_10device_ptrIjEEEEjNS1_16block_id_wrapperIjLb1EEEEEvT_jjPNSI_10value_typeET0_PNSt15iterator_traitsISL_E10value_typeEmT1_T2_
; %bb.0:
	s_clause 0x1
	s_load_b32 s12, s[2:3], 0x5c
	s_load_b32 s18, s[2:3], 0x50
	s_bfe_u32 s13, ttmp6, 0x4000c
	s_load_b256 s[4:11], s[2:3], 0x10
	s_add_co_i32 s13, s13, 1
	s_and_b32 s14, ttmp6, 15
	s_mul_i32 s13, ttmp9, s13
	s_getreg_b32 s15, hwreg(HW_REG_IB_STS2, 6, 4)
	v_and_b32_e32 v1, 0x3ff, v0
	s_add_co_i32 s14, s14, s13
	s_wait_kmcnt 0x0
	s_and_b32 s19, s12, 0xffff
	s_cmp_eq_u32 s15, 0
	s_cselect_b32 s12, ttmp9, s14
	s_cmp_eq_u64 s[8:9], 0
	v_mad_u32 v2, s12, s19, v1
	s_cbranch_scc1 .LBB2124_11
; %bb.1:
	s_cmp_lt_u32 s7, s6
	s_mov_b32 s20, exec_lo
	s_cselect_b32 s12, s7, 0
	s_delay_alu instid0(VALU_DEP_1) | instid1(SALU_CYCLE_1)
	v_cmpx_eq_u32_e64 s12, v2
	s_cbranch_execz .LBB2124_10
; %bb.2:
	s_load_b64 s[12:13], s[0:1], 0x4
	v_bfe_u32 v3, v0, 10, 10
	v_bfe_u32 v0, v0, 20, 10
	s_wait_kmcnt 0x0
	s_lshr_b32 s0, s12, 16
	s_delay_alu instid0(VALU_DEP_2) | instskip(SKIP_4) | instid1(VALU_DEP_1)
	v_mul_u32_u24_e32 v3, s13, v3
	s_mul_i32 s0, s0, s13
	s_load_b128 s[12:15], s[2:3], 0x0
	v_mul_lo_u32 v1, s0, v1
	s_mov_b32 s0, 0
	v_add3_u32 v0, v1, v3, v0
	v_mov_b32_e32 v1, 0
	s_delay_alu instid0(VALU_DEP_2)
	v_mul_lo_u32 v0, v0, 36
	ds_store_2addr_b32 v0, v1, v1 offset0:6 offset1:7
	ds_store_2addr_b32 v0, v1, v1 offset0:4 offset1:5
	ds_store_2addr_b32 v0, v1, v1 offset0:2 offset1:3
	ds_store_2addr_b32 v0, v1, v1 offset1:1
	ds_store_b32 v0, v1 offset:32
.LBB2124_3:                             ; =>This Inner Loop Header: Depth=1
	v_add_nc_u32_e32 v3, s0, v0
	s_add_co_i32 s0, s0, 8
	s_delay_alu instid0(SALU_CYCLE_1)
	s_cmp_lg_u32 s0, 32
	ds_store_2addr_b32 v3, v1, v1 offset1:1
	s_cbranch_scc1 .LBB2124_3
; %bb.4:
	s_add_co_i32 s0, s7, 32
	s_delay_alu instid0(SALU_CYCLE_1)
	v_dual_mov_b32 v1, 0 :: v_dual_mov_b32 v3, s0
	s_mov_b32 s1, 0
	ds_store_b8 v0, v1 offset:32
	global_load_u8 v3, v3, s[4:5] scope:SCOPE_DEV
	s_wait_loadcnt 0x0
	v_and_b32_e32 v4, 0xffff, v3
	v_readfirstlane_b32 s21, v3
	s_delay_alu instid0(VALU_DEP_2)
	v_cmp_ne_u32_e32 vcc_lo, 0, v4
	s_cbranch_vccnz .LBB2124_9
; %bb.5:
	s_add_nc_u64 s[16:17], s[4:5], s[0:1]
	s_mov_b32 s7, 1
.LBB2124_6:                             ; =>This Loop Header: Depth=1
                                        ;     Child Loop BB2124_7 Depth 2
	s_delay_alu instid0(SALU_CYCLE_1)
	s_mov_b32 s21, s7
.LBB2124_7:                             ;   Parent Loop BB2124_6 Depth=1
                                        ; =>  This Inner Loop Header: Depth=2
	s_delay_alu instid0(SALU_CYCLE_1)
	s_add_co_i32 s21, s21, -1
	s_sleep 1
	s_cmp_eq_u32 s21, 0
	s_cbranch_scc0 .LBB2124_7
; %bb.8:                                ;   in Loop: Header=BB2124_6 Depth=1
	global_load_u8 v3, v1, s[16:17] scope:SCOPE_DEV
	s_cmp_lt_u32 s7, 32
	s_cselect_b32 s21, -1, 0
	s_delay_alu instid0(SALU_CYCLE_1) | instskip(SKIP_4) | instid1(VALU_DEP_2)
	s_cmp_lg_u32 s21, 0
	s_add_co_ci_u32 s7, s7, 0
	s_wait_loadcnt 0x0
	v_and_b32_e32 v4, 0xffff, v3
	v_readfirstlane_b32 s21, v3
	v_cmp_ne_u32_e32 vcc_lo, 0, v4
	s_cbranch_vccz .LBB2124_6
.LBB2124_9:
	s_and_b32 s7, 0xffff, s21
	v_mov_b32_e32 v1, 0
	s_cmp_eq_u32 s7, 1
	s_mul_u64 s[0:1], s[0:1], 36
	s_wait_kmcnt 0x0
	s_cselect_b32 s13, s13, s15
	s_cselect_b32 s12, s12, s14
	global_wb scope:SCOPE_DEV
	s_wait_storecnt_dscnt 0x0
	global_inv scope:SCOPE_DEV
	s_add_nc_u64 s[0:1], s[12:13], s[0:1]
	s_clause 0x2
	global_load_b128 v[4:7], v1, s[0:1]
	global_load_b128 v[8:11], v1, s[0:1] offset:16
	global_load_u8 v3, v1, s[0:1] offset:32
	s_wait_loadcnt 0x2
	ds_store_2addr_b32 v0, v4, v5 offset1:1
	ds_store_2addr_b32 v0, v6, v7 offset0:2 offset1:3
	s_wait_loadcnt 0x1
	ds_store_2addr_b32 v0, v8, v9 offset0:4 offset1:5
	ds_store_2addr_b32 v0, v10, v11 offset0:6 offset1:7
	s_clause 0x1
	global_store_b128 v1, v[4:7], s[8:9]
	global_store_b128 v1, v[8:11], s[8:9] offset:16
	s_wait_loadcnt 0x0
	global_store_b8 v1, v3, s[8:9] offset:32
.LBB2124_10:
	s_wait_xcnt 0x0
	s_or_b32 exec_lo, exec_lo, s20
.LBB2124_11:
	s_delay_alu instid0(SALU_CYCLE_1) | instskip(NEXT) | instid1(VALU_DEP_1)
	s_mov_b32 s0, exec_lo
	v_cmpx_eq_u32_e32 0, v2
	s_cbranch_execz .LBB2124_13
; %bb.12:
	s_load_b64 s[8:9], s[2:3], 0x48
	v_mov_b32_e32 v0, 0
	s_wait_kmcnt 0x0
	global_store_b32 v0, v0, s[8:9]
.LBB2124_13:
	s_wait_xcnt 0x0
	s_or_b32 exec_lo, exec_lo, s0
	s_delay_alu instid0(SALU_CYCLE_1)
	s_mov_b32 s0, exec_lo
	v_cmpx_gt_u32_e64 s6, v2
	s_cbranch_execz .LBB2124_15
; %bb.14:
	v_dual_mov_b32 v1, 0 :: v_dual_add_nc_u32 v0, 32, v2
	global_store_b8 v0, v1, s[4:5]
.LBB2124_15:
	s_wait_xcnt 0x0
	s_or_b32 exec_lo, exec_lo, s0
	v_mov_b32_e32 v3, 0
	s_mov_b32 s0, exec_lo
	v_cmpx_gt_u32_e32 32, v2
	s_cbranch_execz .LBB2124_17
; %bb.16:
	s_delay_alu instid0(VALU_DEP_2)
	v_add_nc_u64_e32 v[0:1], s[4:5], v[2:3]
	v_mov_b32_e32 v4, 0xff
	global_store_b8 v[0:1], v4, off
.LBB2124_17:
	s_wait_xcnt 0x0
	s_or_b32 exec_lo, exec_lo, s0
	s_load_b64 s[0:1], s[2:3], 0x38
	s_mov_b32 s4, exec_lo
	s_wait_kmcnt 0x0
	v_cmpx_gt_u64_e64 s[0:1], v[2:3]
	s_cbranch_execz .LBB2124_20
; %bb.18:
	s_clause 0x1
	s_load_b32 s4, s[2:3], 0x40
	s_load_b64 s[6:7], s[2:3], 0x30
	s_mov_b32 s5, 0
	s_wait_xcnt 0x0
	s_mul_i32 s2, s18, s19
	s_mov_b32 s9, s5
	s_mov_b32 s3, s5
	s_wait_kmcnt 0x0
	v_mul_u64_e32 v[0:1], s[4:5], v[2:3]
	s_add_co_i32 s8, s4, -1
	v_lshl_add_u64 v[4:5], v[2:3], 2, s[6:7]
	s_lshl_b64 s[8:9], s[8:9], 2
	s_delay_alu instid0(SALU_CYCLE_1) | instskip(SKIP_1) | instid1(SALU_CYCLE_1)
	s_add_nc_u64 s[8:9], s[10:11], s[8:9]
	s_mul_u64 s[10:11], s[4:5], s[2:3]
	s_lshl_b64 s[6:7], s[10:11], 2
	s_delay_alu instid0(VALU_DEP_2)
	v_lshl_add_u64 v[0:1], v[0:1], 2, s[8:9]
	s_lshl_b64 s[8:9], s[2:3], 2
.LBB2124_19:                            ; =>This Inner Loop Header: Depth=1
	global_load_b32 v6, v[0:1], off
	v_add_nc_u64_e32 v[2:3], s[2:3], v[2:3]
	s_wait_xcnt 0x0
	v_add_nc_u64_e32 v[0:1], s[6:7], v[0:1]
	s_delay_alu instid0(VALU_DEP_2)
	v_cmp_le_u64_e32 vcc_lo, s[0:1], v[2:3]
	s_or_b32 s5, vcc_lo, s5
	s_wait_loadcnt 0x0
	global_store_b32 v[4:5], v6, off
	s_wait_xcnt 0x0
	v_add_nc_u64_e32 v[4:5], s[8:9], v[4:5]
	s_and_not1_b32 exec_lo, exec_lo, s5
	s_cbranch_execnz .LBB2124_19
.LBB2124_20:
	s_endpgm
	.section	.rodata,"a",@progbits
	.p2align	6, 0x0
	.amdhsa_kernel _ZN7rocprim17ROCPRIM_400000_NS6detail30init_device_scan_by_key_kernelINS1_19lookback_scan_stateINS0_5tupleIJ11FixedVectorIiLj8EEbEEELb1ELb0EEEN6thrust23THRUST_200600_302600_NS6detail15normal_iteratorINSA_10device_ptrIjEEEEjNS1_16block_id_wrapperIjLb1EEEEEvT_jjPNSI_10value_typeET0_PNSt15iterator_traitsISL_E10value_typeEmT1_T2_
		.amdhsa_group_segment_fixed_size 9216
		.amdhsa_private_segment_fixed_size 0
		.amdhsa_kernarg_size 336
		.amdhsa_user_sgpr_count 4
		.amdhsa_user_sgpr_dispatch_ptr 1
		.amdhsa_user_sgpr_queue_ptr 0
		.amdhsa_user_sgpr_kernarg_segment_ptr 1
		.amdhsa_user_sgpr_dispatch_id 0
		.amdhsa_user_sgpr_kernarg_preload_length 0
		.amdhsa_user_sgpr_kernarg_preload_offset 0
		.amdhsa_user_sgpr_private_segment_size 0
		.amdhsa_wavefront_size32 1
		.amdhsa_uses_dynamic_stack 0
		.amdhsa_enable_private_segment 0
		.amdhsa_system_sgpr_workgroup_id_x 1
		.amdhsa_system_sgpr_workgroup_id_y 0
		.amdhsa_system_sgpr_workgroup_id_z 0
		.amdhsa_system_sgpr_workgroup_info 0
		.amdhsa_system_vgpr_workitem_id 2
		.amdhsa_next_free_vgpr 12
		.amdhsa_next_free_sgpr 22
		.amdhsa_named_barrier_count 0
		.amdhsa_reserve_vcc 1
		.amdhsa_float_round_mode_32 0
		.amdhsa_float_round_mode_16_64 0
		.amdhsa_float_denorm_mode_32 3
		.amdhsa_float_denorm_mode_16_64 3
		.amdhsa_fp16_overflow 0
		.amdhsa_memory_ordered 1
		.amdhsa_forward_progress 1
		.amdhsa_inst_pref_size 8
		.amdhsa_round_robin_scheduling 0
		.amdhsa_exception_fp_ieee_invalid_op 0
		.amdhsa_exception_fp_denorm_src 0
		.amdhsa_exception_fp_ieee_div_zero 0
		.amdhsa_exception_fp_ieee_overflow 0
		.amdhsa_exception_fp_ieee_underflow 0
		.amdhsa_exception_fp_ieee_inexact 0
		.amdhsa_exception_int_div_zero 0
	.end_amdhsa_kernel
	.section	.text._ZN7rocprim17ROCPRIM_400000_NS6detail30init_device_scan_by_key_kernelINS1_19lookback_scan_stateINS0_5tupleIJ11FixedVectorIiLj8EEbEEELb1ELb0EEEN6thrust23THRUST_200600_302600_NS6detail15normal_iteratorINSA_10device_ptrIjEEEEjNS1_16block_id_wrapperIjLb1EEEEEvT_jjPNSI_10value_typeET0_PNSt15iterator_traitsISL_E10value_typeEmT1_T2_,"axG",@progbits,_ZN7rocprim17ROCPRIM_400000_NS6detail30init_device_scan_by_key_kernelINS1_19lookback_scan_stateINS0_5tupleIJ11FixedVectorIiLj8EEbEEELb1ELb0EEEN6thrust23THRUST_200600_302600_NS6detail15normal_iteratorINSA_10device_ptrIjEEEEjNS1_16block_id_wrapperIjLb1EEEEEvT_jjPNSI_10value_typeET0_PNSt15iterator_traitsISL_E10value_typeEmT1_T2_,comdat
.Lfunc_end2124:
	.size	_ZN7rocprim17ROCPRIM_400000_NS6detail30init_device_scan_by_key_kernelINS1_19lookback_scan_stateINS0_5tupleIJ11FixedVectorIiLj8EEbEEELb1ELb0EEEN6thrust23THRUST_200600_302600_NS6detail15normal_iteratorINSA_10device_ptrIjEEEEjNS1_16block_id_wrapperIjLb1EEEEEvT_jjPNSI_10value_typeET0_PNSt15iterator_traitsISL_E10value_typeEmT1_T2_, .Lfunc_end2124-_ZN7rocprim17ROCPRIM_400000_NS6detail30init_device_scan_by_key_kernelINS1_19lookback_scan_stateINS0_5tupleIJ11FixedVectorIiLj8EEbEEELb1ELb0EEEN6thrust23THRUST_200600_302600_NS6detail15normal_iteratorINSA_10device_ptrIjEEEEjNS1_16block_id_wrapperIjLb1EEEEEvT_jjPNSI_10value_typeET0_PNSt15iterator_traitsISL_E10value_typeEmT1_T2_
                                        ; -- End function
	.set _ZN7rocprim17ROCPRIM_400000_NS6detail30init_device_scan_by_key_kernelINS1_19lookback_scan_stateINS0_5tupleIJ11FixedVectorIiLj8EEbEEELb1ELb0EEEN6thrust23THRUST_200600_302600_NS6detail15normal_iteratorINSA_10device_ptrIjEEEEjNS1_16block_id_wrapperIjLb1EEEEEvT_jjPNSI_10value_typeET0_PNSt15iterator_traitsISL_E10value_typeEmT1_T2_.num_vgpr, 12
	.set _ZN7rocprim17ROCPRIM_400000_NS6detail30init_device_scan_by_key_kernelINS1_19lookback_scan_stateINS0_5tupleIJ11FixedVectorIiLj8EEbEEELb1ELb0EEEN6thrust23THRUST_200600_302600_NS6detail15normal_iteratorINSA_10device_ptrIjEEEEjNS1_16block_id_wrapperIjLb1EEEEEvT_jjPNSI_10value_typeET0_PNSt15iterator_traitsISL_E10value_typeEmT1_T2_.num_agpr, 0
	.set _ZN7rocprim17ROCPRIM_400000_NS6detail30init_device_scan_by_key_kernelINS1_19lookback_scan_stateINS0_5tupleIJ11FixedVectorIiLj8EEbEEELb1ELb0EEEN6thrust23THRUST_200600_302600_NS6detail15normal_iteratorINSA_10device_ptrIjEEEEjNS1_16block_id_wrapperIjLb1EEEEEvT_jjPNSI_10value_typeET0_PNSt15iterator_traitsISL_E10value_typeEmT1_T2_.numbered_sgpr, 22
	.set _ZN7rocprim17ROCPRIM_400000_NS6detail30init_device_scan_by_key_kernelINS1_19lookback_scan_stateINS0_5tupleIJ11FixedVectorIiLj8EEbEEELb1ELb0EEEN6thrust23THRUST_200600_302600_NS6detail15normal_iteratorINSA_10device_ptrIjEEEEjNS1_16block_id_wrapperIjLb1EEEEEvT_jjPNSI_10value_typeET0_PNSt15iterator_traitsISL_E10value_typeEmT1_T2_.num_named_barrier, 0
	.set _ZN7rocprim17ROCPRIM_400000_NS6detail30init_device_scan_by_key_kernelINS1_19lookback_scan_stateINS0_5tupleIJ11FixedVectorIiLj8EEbEEELb1ELb0EEEN6thrust23THRUST_200600_302600_NS6detail15normal_iteratorINSA_10device_ptrIjEEEEjNS1_16block_id_wrapperIjLb1EEEEEvT_jjPNSI_10value_typeET0_PNSt15iterator_traitsISL_E10value_typeEmT1_T2_.private_seg_size, 0
	.set _ZN7rocprim17ROCPRIM_400000_NS6detail30init_device_scan_by_key_kernelINS1_19lookback_scan_stateINS0_5tupleIJ11FixedVectorIiLj8EEbEEELb1ELb0EEEN6thrust23THRUST_200600_302600_NS6detail15normal_iteratorINSA_10device_ptrIjEEEEjNS1_16block_id_wrapperIjLb1EEEEEvT_jjPNSI_10value_typeET0_PNSt15iterator_traitsISL_E10value_typeEmT1_T2_.uses_vcc, 1
	.set _ZN7rocprim17ROCPRIM_400000_NS6detail30init_device_scan_by_key_kernelINS1_19lookback_scan_stateINS0_5tupleIJ11FixedVectorIiLj8EEbEEELb1ELb0EEEN6thrust23THRUST_200600_302600_NS6detail15normal_iteratorINSA_10device_ptrIjEEEEjNS1_16block_id_wrapperIjLb1EEEEEvT_jjPNSI_10value_typeET0_PNSt15iterator_traitsISL_E10value_typeEmT1_T2_.uses_flat_scratch, 0
	.set _ZN7rocprim17ROCPRIM_400000_NS6detail30init_device_scan_by_key_kernelINS1_19lookback_scan_stateINS0_5tupleIJ11FixedVectorIiLj8EEbEEELb1ELb0EEEN6thrust23THRUST_200600_302600_NS6detail15normal_iteratorINSA_10device_ptrIjEEEEjNS1_16block_id_wrapperIjLb1EEEEEvT_jjPNSI_10value_typeET0_PNSt15iterator_traitsISL_E10value_typeEmT1_T2_.has_dyn_sized_stack, 0
	.set _ZN7rocprim17ROCPRIM_400000_NS6detail30init_device_scan_by_key_kernelINS1_19lookback_scan_stateINS0_5tupleIJ11FixedVectorIiLj8EEbEEELb1ELb0EEEN6thrust23THRUST_200600_302600_NS6detail15normal_iteratorINSA_10device_ptrIjEEEEjNS1_16block_id_wrapperIjLb1EEEEEvT_jjPNSI_10value_typeET0_PNSt15iterator_traitsISL_E10value_typeEmT1_T2_.has_recursion, 0
	.set _ZN7rocprim17ROCPRIM_400000_NS6detail30init_device_scan_by_key_kernelINS1_19lookback_scan_stateINS0_5tupleIJ11FixedVectorIiLj8EEbEEELb1ELb0EEEN6thrust23THRUST_200600_302600_NS6detail15normal_iteratorINSA_10device_ptrIjEEEEjNS1_16block_id_wrapperIjLb1EEEEEvT_jjPNSI_10value_typeET0_PNSt15iterator_traitsISL_E10value_typeEmT1_T2_.has_indirect_call, 0
	.section	.AMDGPU.csdata,"",@progbits
; Kernel info:
; codeLenInByte = 992
; TotalNumSgprs: 24
; NumVgprs: 12
; ScratchSize: 0
; MemoryBound: 0
; FloatMode: 240
; IeeeMode: 1
; LDSByteSize: 9216 bytes/workgroup (compile time only)
; SGPRBlocks: 0
; VGPRBlocks: 0
; NumSGPRsForWavesPerEU: 24
; NumVGPRsForWavesPerEU: 12
; NamedBarCnt: 0
; Occupancy: 16
; WaveLimiterHint : 0
; COMPUTE_PGM_RSRC2:SCRATCH_EN: 0
; COMPUTE_PGM_RSRC2:USER_SGPR: 4
; COMPUTE_PGM_RSRC2:TRAP_HANDLER: 0
; COMPUTE_PGM_RSRC2:TGID_X_EN: 1
; COMPUTE_PGM_RSRC2:TGID_Y_EN: 0
; COMPUTE_PGM_RSRC2:TGID_Z_EN: 0
; COMPUTE_PGM_RSRC2:TIDIG_COMP_CNT: 2
	.section	.text._ZN7rocprim17ROCPRIM_400000_NS6detail30init_device_scan_by_key_kernelINS1_19lookback_scan_stateINS0_5tupleIJ11FixedVectorIiLj8EEbEEELb1ELb0EEENS1_16block_id_wrapperIjLb1EEEEEvT_jjPNSB_10value_typeET0_,"axG",@progbits,_ZN7rocprim17ROCPRIM_400000_NS6detail30init_device_scan_by_key_kernelINS1_19lookback_scan_stateINS0_5tupleIJ11FixedVectorIiLj8EEbEEELb1ELb0EEENS1_16block_id_wrapperIjLb1EEEEEvT_jjPNSB_10value_typeET0_,comdat
	.protected	_ZN7rocprim17ROCPRIM_400000_NS6detail30init_device_scan_by_key_kernelINS1_19lookback_scan_stateINS0_5tupleIJ11FixedVectorIiLj8EEbEEELb1ELb0EEENS1_16block_id_wrapperIjLb1EEEEEvT_jjPNSB_10value_typeET0_ ; -- Begin function _ZN7rocprim17ROCPRIM_400000_NS6detail30init_device_scan_by_key_kernelINS1_19lookback_scan_stateINS0_5tupleIJ11FixedVectorIiLj8EEbEEELb1ELb0EEENS1_16block_id_wrapperIjLb1EEEEEvT_jjPNSB_10value_typeET0_
	.globl	_ZN7rocprim17ROCPRIM_400000_NS6detail30init_device_scan_by_key_kernelINS1_19lookback_scan_stateINS0_5tupleIJ11FixedVectorIiLj8EEbEEELb1ELb0EEENS1_16block_id_wrapperIjLb1EEEEEvT_jjPNSB_10value_typeET0_
	.p2align	8
	.type	_ZN7rocprim17ROCPRIM_400000_NS6detail30init_device_scan_by_key_kernelINS1_19lookback_scan_stateINS0_5tupleIJ11FixedVectorIiLj8EEbEEELb1ELb0EEENS1_16block_id_wrapperIjLb1EEEEEvT_jjPNSB_10value_typeET0_,@function
_ZN7rocprim17ROCPRIM_400000_NS6detail30init_device_scan_by_key_kernelINS1_19lookback_scan_stateINS0_5tupleIJ11FixedVectorIiLj8EEbEEELb1ELb0EEENS1_16block_id_wrapperIjLb1EEEEEvT_jjPNSB_10value_typeET0_: ; @_ZN7rocprim17ROCPRIM_400000_NS6detail30init_device_scan_by_key_kernelINS1_19lookback_scan_stateINS0_5tupleIJ11FixedVectorIiLj8EEbEEELb1ELb0EEENS1_16block_id_wrapperIjLb1EEEEEvT_jjPNSB_10value_typeET0_
; %bb.0:
	s_load_b32 s12, s[2:3], 0x3c
	s_bfe_u32 s13, ttmp6, 0x4000c
	s_load_b256 s[4:11], s[2:3], 0x10
	s_add_co_i32 s13, s13, 1
	s_and_b32 s14, ttmp6, 15
	s_mul_i32 s13, ttmp9, s13
	s_getreg_b32 s15, hwreg(HW_REG_IB_STS2, 6, 4)
	v_and_b32_e32 v2, 0x3ff, v0
	s_add_co_i32 s14, s14, s13
	s_wait_kmcnt 0x0
	s_and_b32 s12, s12, 0xffff
	s_cmp_eq_u32 s15, 0
	s_cselect_b32 s13, ttmp9, s14
	s_cmp_eq_u64 s[8:9], 0
	v_mad_u32 v1, s13, s12, v2
	s_cbranch_scc1 .LBB2125_11
; %bb.1:
	s_cmp_lt_u32 s7, s6
	s_mov_b32 s16, exec_lo
	s_cselect_b32 s12, s7, 0
	s_delay_alu instid0(VALU_DEP_1) | instid1(SALU_CYCLE_1)
	v_cmpx_eq_u32_e64 s12, v1
	s_cbranch_execz .LBB2125_10
; %bb.2:
	s_load_b64 s[12:13], s[0:1], 0x4
	v_bfe_u32 v3, v0, 10, 10
	v_bfe_u32 v0, v0, 20, 10
	s_wait_kmcnt 0x0
	s_lshr_b32 s0, s12, 16
	s_delay_alu instid0(VALU_DEP_2) | instskip(SKIP_4) | instid1(VALU_DEP_1)
	v_mul_u32_u24_e32 v3, s13, v3
	s_mul_i32 s0, s0, s13
	s_load_b128 s[12:15], s[2:3], 0x0
	v_mul_lo_u32 v2, s0, v2
	s_mov_b32 s0, 0
	v_add3_u32 v0, v2, v3, v0
	v_mov_b32_e32 v2, 0
	s_delay_alu instid0(VALU_DEP_2)
	v_mul_lo_u32 v0, v0, 36
	ds_store_2addr_b32 v0, v2, v2 offset0:6 offset1:7
	ds_store_2addr_b32 v0, v2, v2 offset0:4 offset1:5
	;; [unrolled: 1-line block ×3, first 2 shown]
	ds_store_2addr_b32 v0, v2, v2 offset1:1
	ds_store_b32 v0, v2 offset:32
.LBB2125_3:                             ; =>This Inner Loop Header: Depth=1
	v_add_nc_u32_e32 v3, s0, v0
	s_add_co_i32 s0, s0, 8
	s_delay_alu instid0(SALU_CYCLE_1)
	s_cmp_lg_u32 s0, 32
	ds_store_2addr_b32 v3, v2, v2 offset1:1
	s_cbranch_scc1 .LBB2125_3
; %bb.4:
	s_add_co_i32 s0, s7, 32
	s_delay_alu instid0(SALU_CYCLE_1)
	v_dual_mov_b32 v2, 0 :: v_dual_mov_b32 v3, s0
	s_mov_b32 s1, 0
	ds_store_b8 v0, v2 offset:32
	global_load_u8 v3, v3, s[4:5] scope:SCOPE_DEV
	s_wait_loadcnt 0x0
	v_and_b32_e32 v4, 0xffff, v3
	v_readfirstlane_b32 s17, v3
	s_delay_alu instid0(VALU_DEP_2)
	v_cmp_ne_u32_e32 vcc_lo, 0, v4
	s_cbranch_vccnz .LBB2125_9
; %bb.5:
	s_add_nc_u64 s[2:3], s[4:5], s[0:1]
	s_mov_b32 s7, 1
.LBB2125_6:                             ; =>This Loop Header: Depth=1
                                        ;     Child Loop BB2125_7 Depth 2
	s_delay_alu instid0(SALU_CYCLE_1)
	s_mov_b32 s17, s7
.LBB2125_7:                             ;   Parent Loop BB2125_6 Depth=1
                                        ; =>  This Inner Loop Header: Depth=2
	s_delay_alu instid0(SALU_CYCLE_1)
	s_add_co_i32 s17, s17, -1
	s_sleep 1
	s_cmp_eq_u32 s17, 0
	s_cbranch_scc0 .LBB2125_7
; %bb.8:                                ;   in Loop: Header=BB2125_6 Depth=1
	global_load_u8 v3, v2, s[2:3] scope:SCOPE_DEV
	s_cmp_lt_u32 s7, 32
	s_cselect_b32 s17, -1, 0
	s_delay_alu instid0(SALU_CYCLE_1) | instskip(SKIP_4) | instid1(VALU_DEP_2)
	s_cmp_lg_u32 s17, 0
	s_add_co_ci_u32 s7, s7, 0
	s_wait_loadcnt 0x0
	v_and_b32_e32 v4, 0xffff, v3
	v_readfirstlane_b32 s17, v3
	v_cmp_ne_u32_e32 vcc_lo, 0, v4
	s_cbranch_vccz .LBB2125_6
.LBB2125_9:
	s_and_b32 s2, 0xffff, s17
	v_mov_b32_e32 v10, 0
	s_cmp_eq_u32 s2, 1
	s_mul_u64 s[0:1], s[0:1], 36
	s_wait_kmcnt 0x0
	s_cselect_b32 s3, s13, s15
	s_cselect_b32 s2, s12, s14
	global_wb scope:SCOPE_DEV
	s_wait_storecnt_dscnt 0x0
	global_inv scope:SCOPE_DEV
	s_add_nc_u64 s[0:1], s[2:3], s[0:1]
	s_clause 0x2
	global_load_b128 v[2:5], v10, s[0:1]
	global_load_b128 v[6:9], v10, s[0:1] offset:16
	global_load_u8 v11, v10, s[0:1] offset:32
	s_wait_loadcnt 0x2
	ds_store_2addr_b32 v0, v2, v3 offset1:1
	ds_store_2addr_b32 v0, v4, v5 offset0:2 offset1:3
	s_wait_loadcnt 0x1
	ds_store_2addr_b32 v0, v6, v7 offset0:4 offset1:5
	ds_store_2addr_b32 v0, v8, v9 offset0:6 offset1:7
	s_clause 0x1
	global_store_b128 v10, v[2:5], s[8:9]
	global_store_b128 v10, v[6:9], s[8:9] offset:16
	s_wait_loadcnt 0x0
	global_store_b8 v10, v11, s[8:9] offset:32
.LBB2125_10:
	s_wait_xcnt 0x0
	s_or_b32 exec_lo, exec_lo, s16
.LBB2125_11:
	s_delay_alu instid0(SALU_CYCLE_1) | instskip(NEXT) | instid1(VALU_DEP_1)
	s_mov_b32 s0, exec_lo
	v_cmpx_eq_u32_e32 0, v1
	s_cbranch_execz .LBB2125_13
; %bb.12:
	v_mov_b32_e32 v0, 0
	global_store_b32 v0, v0, s[10:11]
.LBB2125_13:
	s_wait_xcnt 0x0
	s_or_b32 exec_lo, exec_lo, s0
	s_delay_alu instid0(SALU_CYCLE_1)
	s_mov_b32 s0, exec_lo
	v_cmpx_gt_u32_e64 s6, v1
	s_cbranch_execz .LBB2125_15
; %bb.14:
	v_dual_add_nc_u32 v0, 32, v1 :: v_dual_mov_b32 v2, 0
	global_store_b8 v0, v2, s[4:5]
.LBB2125_15:
	s_wait_xcnt 0x0
	s_or_b32 exec_lo, exec_lo, s0
	s_delay_alu instid0(SALU_CYCLE_1)
	s_mov_b32 s0, exec_lo
	v_cmpx_gt_u32_e32 32, v1
	s_cbranch_execz .LBB2125_17
; %bb.16:
	v_mov_b32_e32 v0, 0xff
	global_store_b8 v1, v0, s[4:5]
.LBB2125_17:
	s_endpgm
	.section	.rodata,"a",@progbits
	.p2align	6, 0x0
	.amdhsa_kernel _ZN7rocprim17ROCPRIM_400000_NS6detail30init_device_scan_by_key_kernelINS1_19lookback_scan_stateINS0_5tupleIJ11FixedVectorIiLj8EEbEEELb1ELb0EEENS1_16block_id_wrapperIjLb1EEEEEvT_jjPNSB_10value_typeET0_
		.amdhsa_group_segment_fixed_size 9216
		.amdhsa_private_segment_fixed_size 0
		.amdhsa_kernarg_size 304
		.amdhsa_user_sgpr_count 4
		.amdhsa_user_sgpr_dispatch_ptr 1
		.amdhsa_user_sgpr_queue_ptr 0
		.amdhsa_user_sgpr_kernarg_segment_ptr 1
		.amdhsa_user_sgpr_dispatch_id 0
		.amdhsa_user_sgpr_kernarg_preload_length 0
		.amdhsa_user_sgpr_kernarg_preload_offset 0
		.amdhsa_user_sgpr_private_segment_size 0
		.amdhsa_wavefront_size32 1
		.amdhsa_uses_dynamic_stack 0
		.amdhsa_enable_private_segment 0
		.amdhsa_system_sgpr_workgroup_id_x 1
		.amdhsa_system_sgpr_workgroup_id_y 0
		.amdhsa_system_sgpr_workgroup_id_z 0
		.amdhsa_system_sgpr_workgroup_info 0
		.amdhsa_system_vgpr_workitem_id 2
		.amdhsa_next_free_vgpr 12
		.amdhsa_next_free_sgpr 18
		.amdhsa_named_barrier_count 0
		.amdhsa_reserve_vcc 1
		.amdhsa_float_round_mode_32 0
		.amdhsa_float_round_mode_16_64 0
		.amdhsa_float_denorm_mode_32 3
		.amdhsa_float_denorm_mode_16_64 3
		.amdhsa_fp16_overflow 0
		.amdhsa_memory_ordered 1
		.amdhsa_forward_progress 1
		.amdhsa_inst_pref_size 6
		.amdhsa_round_robin_scheduling 0
		.amdhsa_exception_fp_ieee_invalid_op 0
		.amdhsa_exception_fp_denorm_src 0
		.amdhsa_exception_fp_ieee_div_zero 0
		.amdhsa_exception_fp_ieee_overflow 0
		.amdhsa_exception_fp_ieee_underflow 0
		.amdhsa_exception_fp_ieee_inexact 0
		.amdhsa_exception_int_div_zero 0
	.end_amdhsa_kernel
	.section	.text._ZN7rocprim17ROCPRIM_400000_NS6detail30init_device_scan_by_key_kernelINS1_19lookback_scan_stateINS0_5tupleIJ11FixedVectorIiLj8EEbEEELb1ELb0EEENS1_16block_id_wrapperIjLb1EEEEEvT_jjPNSB_10value_typeET0_,"axG",@progbits,_ZN7rocprim17ROCPRIM_400000_NS6detail30init_device_scan_by_key_kernelINS1_19lookback_scan_stateINS0_5tupleIJ11FixedVectorIiLj8EEbEEELb1ELb0EEENS1_16block_id_wrapperIjLb1EEEEEvT_jjPNSB_10value_typeET0_,comdat
.Lfunc_end2125:
	.size	_ZN7rocprim17ROCPRIM_400000_NS6detail30init_device_scan_by_key_kernelINS1_19lookback_scan_stateINS0_5tupleIJ11FixedVectorIiLj8EEbEEELb1ELb0EEENS1_16block_id_wrapperIjLb1EEEEEvT_jjPNSB_10value_typeET0_, .Lfunc_end2125-_ZN7rocprim17ROCPRIM_400000_NS6detail30init_device_scan_by_key_kernelINS1_19lookback_scan_stateINS0_5tupleIJ11FixedVectorIiLj8EEbEEELb1ELb0EEENS1_16block_id_wrapperIjLb1EEEEEvT_jjPNSB_10value_typeET0_
                                        ; -- End function
	.set _ZN7rocprim17ROCPRIM_400000_NS6detail30init_device_scan_by_key_kernelINS1_19lookback_scan_stateINS0_5tupleIJ11FixedVectorIiLj8EEbEEELb1ELb0EEENS1_16block_id_wrapperIjLb1EEEEEvT_jjPNSB_10value_typeET0_.num_vgpr, 12
	.set _ZN7rocprim17ROCPRIM_400000_NS6detail30init_device_scan_by_key_kernelINS1_19lookback_scan_stateINS0_5tupleIJ11FixedVectorIiLj8EEbEEELb1ELb0EEENS1_16block_id_wrapperIjLb1EEEEEvT_jjPNSB_10value_typeET0_.num_agpr, 0
	.set _ZN7rocprim17ROCPRIM_400000_NS6detail30init_device_scan_by_key_kernelINS1_19lookback_scan_stateINS0_5tupleIJ11FixedVectorIiLj8EEbEEELb1ELb0EEENS1_16block_id_wrapperIjLb1EEEEEvT_jjPNSB_10value_typeET0_.numbered_sgpr, 18
	.set _ZN7rocprim17ROCPRIM_400000_NS6detail30init_device_scan_by_key_kernelINS1_19lookback_scan_stateINS0_5tupleIJ11FixedVectorIiLj8EEbEEELb1ELb0EEENS1_16block_id_wrapperIjLb1EEEEEvT_jjPNSB_10value_typeET0_.num_named_barrier, 0
	.set _ZN7rocprim17ROCPRIM_400000_NS6detail30init_device_scan_by_key_kernelINS1_19lookback_scan_stateINS0_5tupleIJ11FixedVectorIiLj8EEbEEELb1ELb0EEENS1_16block_id_wrapperIjLb1EEEEEvT_jjPNSB_10value_typeET0_.private_seg_size, 0
	.set _ZN7rocprim17ROCPRIM_400000_NS6detail30init_device_scan_by_key_kernelINS1_19lookback_scan_stateINS0_5tupleIJ11FixedVectorIiLj8EEbEEELb1ELb0EEENS1_16block_id_wrapperIjLb1EEEEEvT_jjPNSB_10value_typeET0_.uses_vcc, 1
	.set _ZN7rocprim17ROCPRIM_400000_NS6detail30init_device_scan_by_key_kernelINS1_19lookback_scan_stateINS0_5tupleIJ11FixedVectorIiLj8EEbEEELb1ELb0EEENS1_16block_id_wrapperIjLb1EEEEEvT_jjPNSB_10value_typeET0_.uses_flat_scratch, 0
	.set _ZN7rocprim17ROCPRIM_400000_NS6detail30init_device_scan_by_key_kernelINS1_19lookback_scan_stateINS0_5tupleIJ11FixedVectorIiLj8EEbEEELb1ELb0EEENS1_16block_id_wrapperIjLb1EEEEEvT_jjPNSB_10value_typeET0_.has_dyn_sized_stack, 0
	.set _ZN7rocprim17ROCPRIM_400000_NS6detail30init_device_scan_by_key_kernelINS1_19lookback_scan_stateINS0_5tupleIJ11FixedVectorIiLj8EEbEEELb1ELb0EEENS1_16block_id_wrapperIjLb1EEEEEvT_jjPNSB_10value_typeET0_.has_recursion, 0
	.set _ZN7rocprim17ROCPRIM_400000_NS6detail30init_device_scan_by_key_kernelINS1_19lookback_scan_stateINS0_5tupleIJ11FixedVectorIiLj8EEbEEELb1ELb0EEENS1_16block_id_wrapperIjLb1EEEEEvT_jjPNSB_10value_typeET0_.has_indirect_call, 0
	.section	.AMDGPU.csdata,"",@progbits
; Kernel info:
; codeLenInByte = 760
; TotalNumSgprs: 20
; NumVgprs: 12
; ScratchSize: 0
; MemoryBound: 0
; FloatMode: 240
; IeeeMode: 1
; LDSByteSize: 9216 bytes/workgroup (compile time only)
; SGPRBlocks: 0
; VGPRBlocks: 0
; NumSGPRsForWavesPerEU: 20
; NumVGPRsForWavesPerEU: 12
; NamedBarCnt: 0
; Occupancy: 16
; WaveLimiterHint : 0
; COMPUTE_PGM_RSRC2:SCRATCH_EN: 0
; COMPUTE_PGM_RSRC2:USER_SGPR: 4
; COMPUTE_PGM_RSRC2:TRAP_HANDLER: 0
; COMPUTE_PGM_RSRC2:TGID_X_EN: 1
; COMPUTE_PGM_RSRC2:TGID_Y_EN: 0
; COMPUTE_PGM_RSRC2:TGID_Z_EN: 0
; COMPUTE_PGM_RSRC2:TIDIG_COMP_CNT: 2
	.section	.text._ZN7rocprim17ROCPRIM_400000_NS6detail17trampoline_kernelINS0_14default_configENS1_27scan_by_key_config_selectorIj11FixedVectorIiLj8EEEEZZNS1_16scan_by_key_implILNS1_25lookback_scan_determinismE0ELb0ES3_N6thrust23THRUST_200600_302600_NS6detail15normal_iteratorINSB_10device_ptrIjEEEENSD_INSE_IS6_EEEESI_S6_NSB_4plusIvEENSB_8equal_toIvEES6_EE10hipError_tPvRmT2_T3_T4_T5_mT6_T7_P12ihipStream_tbENKUlT_T0_E_clISt17integral_constantIbLb1EES13_EEDaSY_SZ_EUlSY_E_NS1_11comp_targetILNS1_3genE0ELNS1_11target_archE4294967295ELNS1_3gpuE0ELNS1_3repE0EEENS1_30default_config_static_selectorELNS0_4arch9wavefront6targetE0EEEvT1_,"axG",@progbits,_ZN7rocprim17ROCPRIM_400000_NS6detail17trampoline_kernelINS0_14default_configENS1_27scan_by_key_config_selectorIj11FixedVectorIiLj8EEEEZZNS1_16scan_by_key_implILNS1_25lookback_scan_determinismE0ELb0ES3_N6thrust23THRUST_200600_302600_NS6detail15normal_iteratorINSB_10device_ptrIjEEEENSD_INSE_IS6_EEEESI_S6_NSB_4plusIvEENSB_8equal_toIvEES6_EE10hipError_tPvRmT2_T3_T4_T5_mT6_T7_P12ihipStream_tbENKUlT_T0_E_clISt17integral_constantIbLb1EES13_EEDaSY_SZ_EUlSY_E_NS1_11comp_targetILNS1_3genE0ELNS1_11target_archE4294967295ELNS1_3gpuE0ELNS1_3repE0EEENS1_30default_config_static_selectorELNS0_4arch9wavefront6targetE0EEEvT1_,comdat
	.protected	_ZN7rocprim17ROCPRIM_400000_NS6detail17trampoline_kernelINS0_14default_configENS1_27scan_by_key_config_selectorIj11FixedVectorIiLj8EEEEZZNS1_16scan_by_key_implILNS1_25lookback_scan_determinismE0ELb0ES3_N6thrust23THRUST_200600_302600_NS6detail15normal_iteratorINSB_10device_ptrIjEEEENSD_INSE_IS6_EEEESI_S6_NSB_4plusIvEENSB_8equal_toIvEES6_EE10hipError_tPvRmT2_T3_T4_T5_mT6_T7_P12ihipStream_tbENKUlT_T0_E_clISt17integral_constantIbLb1EES13_EEDaSY_SZ_EUlSY_E_NS1_11comp_targetILNS1_3genE0ELNS1_11target_archE4294967295ELNS1_3gpuE0ELNS1_3repE0EEENS1_30default_config_static_selectorELNS0_4arch9wavefront6targetE0EEEvT1_ ; -- Begin function _ZN7rocprim17ROCPRIM_400000_NS6detail17trampoline_kernelINS0_14default_configENS1_27scan_by_key_config_selectorIj11FixedVectorIiLj8EEEEZZNS1_16scan_by_key_implILNS1_25lookback_scan_determinismE0ELb0ES3_N6thrust23THRUST_200600_302600_NS6detail15normal_iteratorINSB_10device_ptrIjEEEENSD_INSE_IS6_EEEESI_S6_NSB_4plusIvEENSB_8equal_toIvEES6_EE10hipError_tPvRmT2_T3_T4_T5_mT6_T7_P12ihipStream_tbENKUlT_T0_E_clISt17integral_constantIbLb1EES13_EEDaSY_SZ_EUlSY_E_NS1_11comp_targetILNS1_3genE0ELNS1_11target_archE4294967295ELNS1_3gpuE0ELNS1_3repE0EEENS1_30default_config_static_selectorELNS0_4arch9wavefront6targetE0EEEvT1_
	.globl	_ZN7rocprim17ROCPRIM_400000_NS6detail17trampoline_kernelINS0_14default_configENS1_27scan_by_key_config_selectorIj11FixedVectorIiLj8EEEEZZNS1_16scan_by_key_implILNS1_25lookback_scan_determinismE0ELb0ES3_N6thrust23THRUST_200600_302600_NS6detail15normal_iteratorINSB_10device_ptrIjEEEENSD_INSE_IS6_EEEESI_S6_NSB_4plusIvEENSB_8equal_toIvEES6_EE10hipError_tPvRmT2_T3_T4_T5_mT6_T7_P12ihipStream_tbENKUlT_T0_E_clISt17integral_constantIbLb1EES13_EEDaSY_SZ_EUlSY_E_NS1_11comp_targetILNS1_3genE0ELNS1_11target_archE4294967295ELNS1_3gpuE0ELNS1_3repE0EEENS1_30default_config_static_selectorELNS0_4arch9wavefront6targetE0EEEvT1_
	.p2align	8
	.type	_ZN7rocprim17ROCPRIM_400000_NS6detail17trampoline_kernelINS0_14default_configENS1_27scan_by_key_config_selectorIj11FixedVectorIiLj8EEEEZZNS1_16scan_by_key_implILNS1_25lookback_scan_determinismE0ELb0ES3_N6thrust23THRUST_200600_302600_NS6detail15normal_iteratorINSB_10device_ptrIjEEEENSD_INSE_IS6_EEEESI_S6_NSB_4plusIvEENSB_8equal_toIvEES6_EE10hipError_tPvRmT2_T3_T4_T5_mT6_T7_P12ihipStream_tbENKUlT_T0_E_clISt17integral_constantIbLb1EES13_EEDaSY_SZ_EUlSY_E_NS1_11comp_targetILNS1_3genE0ELNS1_11target_archE4294967295ELNS1_3gpuE0ELNS1_3repE0EEENS1_30default_config_static_selectorELNS0_4arch9wavefront6targetE0EEEvT1_,@function
_ZN7rocprim17ROCPRIM_400000_NS6detail17trampoline_kernelINS0_14default_configENS1_27scan_by_key_config_selectorIj11FixedVectorIiLj8EEEEZZNS1_16scan_by_key_implILNS1_25lookback_scan_determinismE0ELb0ES3_N6thrust23THRUST_200600_302600_NS6detail15normal_iteratorINSB_10device_ptrIjEEEENSD_INSE_IS6_EEEESI_S6_NSB_4plusIvEENSB_8equal_toIvEES6_EE10hipError_tPvRmT2_T3_T4_T5_mT6_T7_P12ihipStream_tbENKUlT_T0_E_clISt17integral_constantIbLb1EES13_EEDaSY_SZ_EUlSY_E_NS1_11comp_targetILNS1_3genE0ELNS1_11target_archE4294967295ELNS1_3gpuE0ELNS1_3repE0EEENS1_30default_config_static_selectorELNS0_4arch9wavefront6targetE0EEEvT1_: ; @_ZN7rocprim17ROCPRIM_400000_NS6detail17trampoline_kernelINS0_14default_configENS1_27scan_by_key_config_selectorIj11FixedVectorIiLj8EEEEZZNS1_16scan_by_key_implILNS1_25lookback_scan_determinismE0ELb0ES3_N6thrust23THRUST_200600_302600_NS6detail15normal_iteratorINSB_10device_ptrIjEEEENSD_INSE_IS6_EEEESI_S6_NSB_4plusIvEENSB_8equal_toIvEES6_EE10hipError_tPvRmT2_T3_T4_T5_mT6_T7_P12ihipStream_tbENKUlT_T0_E_clISt17integral_constantIbLb1EES13_EEDaSY_SZ_EUlSY_E_NS1_11comp_targetILNS1_3genE0ELNS1_11target_archE4294967295ELNS1_3gpuE0ELNS1_3repE0EEENS1_30default_config_static_selectorELNS0_4arch9wavefront6targetE0EEEvT1_
; %bb.0:
	s_endpgm
	.section	.rodata,"a",@progbits
	.p2align	6, 0x0
	.amdhsa_kernel _ZN7rocprim17ROCPRIM_400000_NS6detail17trampoline_kernelINS0_14default_configENS1_27scan_by_key_config_selectorIj11FixedVectorIiLj8EEEEZZNS1_16scan_by_key_implILNS1_25lookback_scan_determinismE0ELb0ES3_N6thrust23THRUST_200600_302600_NS6detail15normal_iteratorINSB_10device_ptrIjEEEENSD_INSE_IS6_EEEESI_S6_NSB_4plusIvEENSB_8equal_toIvEES6_EE10hipError_tPvRmT2_T3_T4_T5_mT6_T7_P12ihipStream_tbENKUlT_T0_E_clISt17integral_constantIbLb1EES13_EEDaSY_SZ_EUlSY_E_NS1_11comp_targetILNS1_3genE0ELNS1_11target_archE4294967295ELNS1_3gpuE0ELNS1_3repE0EEENS1_30default_config_static_selectorELNS0_4arch9wavefront6targetE0EEEvT1_
		.amdhsa_group_segment_fixed_size 0
		.amdhsa_private_segment_fixed_size 0
		.amdhsa_kernarg_size 160
		.amdhsa_user_sgpr_count 2
		.amdhsa_user_sgpr_dispatch_ptr 0
		.amdhsa_user_sgpr_queue_ptr 0
		.amdhsa_user_sgpr_kernarg_segment_ptr 1
		.amdhsa_user_sgpr_dispatch_id 0
		.amdhsa_user_sgpr_kernarg_preload_length 0
		.amdhsa_user_sgpr_kernarg_preload_offset 0
		.amdhsa_user_sgpr_private_segment_size 0
		.amdhsa_wavefront_size32 1
		.amdhsa_uses_dynamic_stack 0
		.amdhsa_enable_private_segment 0
		.amdhsa_system_sgpr_workgroup_id_x 1
		.amdhsa_system_sgpr_workgroup_id_y 0
		.amdhsa_system_sgpr_workgroup_id_z 0
		.amdhsa_system_sgpr_workgroup_info 0
		.amdhsa_system_vgpr_workitem_id 0
		.amdhsa_next_free_vgpr 1
		.amdhsa_next_free_sgpr 1
		.amdhsa_named_barrier_count 0
		.amdhsa_reserve_vcc 0
		.amdhsa_float_round_mode_32 0
		.amdhsa_float_round_mode_16_64 0
		.amdhsa_float_denorm_mode_32 3
		.amdhsa_float_denorm_mode_16_64 3
		.amdhsa_fp16_overflow 0
		.amdhsa_memory_ordered 1
		.amdhsa_forward_progress 1
		.amdhsa_inst_pref_size 1
		.amdhsa_round_robin_scheduling 0
		.amdhsa_exception_fp_ieee_invalid_op 0
		.amdhsa_exception_fp_denorm_src 0
		.amdhsa_exception_fp_ieee_div_zero 0
		.amdhsa_exception_fp_ieee_overflow 0
		.amdhsa_exception_fp_ieee_underflow 0
		.amdhsa_exception_fp_ieee_inexact 0
		.amdhsa_exception_int_div_zero 0
	.end_amdhsa_kernel
	.section	.text._ZN7rocprim17ROCPRIM_400000_NS6detail17trampoline_kernelINS0_14default_configENS1_27scan_by_key_config_selectorIj11FixedVectorIiLj8EEEEZZNS1_16scan_by_key_implILNS1_25lookback_scan_determinismE0ELb0ES3_N6thrust23THRUST_200600_302600_NS6detail15normal_iteratorINSB_10device_ptrIjEEEENSD_INSE_IS6_EEEESI_S6_NSB_4plusIvEENSB_8equal_toIvEES6_EE10hipError_tPvRmT2_T3_T4_T5_mT6_T7_P12ihipStream_tbENKUlT_T0_E_clISt17integral_constantIbLb1EES13_EEDaSY_SZ_EUlSY_E_NS1_11comp_targetILNS1_3genE0ELNS1_11target_archE4294967295ELNS1_3gpuE0ELNS1_3repE0EEENS1_30default_config_static_selectorELNS0_4arch9wavefront6targetE0EEEvT1_,"axG",@progbits,_ZN7rocprim17ROCPRIM_400000_NS6detail17trampoline_kernelINS0_14default_configENS1_27scan_by_key_config_selectorIj11FixedVectorIiLj8EEEEZZNS1_16scan_by_key_implILNS1_25lookback_scan_determinismE0ELb0ES3_N6thrust23THRUST_200600_302600_NS6detail15normal_iteratorINSB_10device_ptrIjEEEENSD_INSE_IS6_EEEESI_S6_NSB_4plusIvEENSB_8equal_toIvEES6_EE10hipError_tPvRmT2_T3_T4_T5_mT6_T7_P12ihipStream_tbENKUlT_T0_E_clISt17integral_constantIbLb1EES13_EEDaSY_SZ_EUlSY_E_NS1_11comp_targetILNS1_3genE0ELNS1_11target_archE4294967295ELNS1_3gpuE0ELNS1_3repE0EEENS1_30default_config_static_selectorELNS0_4arch9wavefront6targetE0EEEvT1_,comdat
.Lfunc_end2126:
	.size	_ZN7rocprim17ROCPRIM_400000_NS6detail17trampoline_kernelINS0_14default_configENS1_27scan_by_key_config_selectorIj11FixedVectorIiLj8EEEEZZNS1_16scan_by_key_implILNS1_25lookback_scan_determinismE0ELb0ES3_N6thrust23THRUST_200600_302600_NS6detail15normal_iteratorINSB_10device_ptrIjEEEENSD_INSE_IS6_EEEESI_S6_NSB_4plusIvEENSB_8equal_toIvEES6_EE10hipError_tPvRmT2_T3_T4_T5_mT6_T7_P12ihipStream_tbENKUlT_T0_E_clISt17integral_constantIbLb1EES13_EEDaSY_SZ_EUlSY_E_NS1_11comp_targetILNS1_3genE0ELNS1_11target_archE4294967295ELNS1_3gpuE0ELNS1_3repE0EEENS1_30default_config_static_selectorELNS0_4arch9wavefront6targetE0EEEvT1_, .Lfunc_end2126-_ZN7rocprim17ROCPRIM_400000_NS6detail17trampoline_kernelINS0_14default_configENS1_27scan_by_key_config_selectorIj11FixedVectorIiLj8EEEEZZNS1_16scan_by_key_implILNS1_25lookback_scan_determinismE0ELb0ES3_N6thrust23THRUST_200600_302600_NS6detail15normal_iteratorINSB_10device_ptrIjEEEENSD_INSE_IS6_EEEESI_S6_NSB_4plusIvEENSB_8equal_toIvEES6_EE10hipError_tPvRmT2_T3_T4_T5_mT6_T7_P12ihipStream_tbENKUlT_T0_E_clISt17integral_constantIbLb1EES13_EEDaSY_SZ_EUlSY_E_NS1_11comp_targetILNS1_3genE0ELNS1_11target_archE4294967295ELNS1_3gpuE0ELNS1_3repE0EEENS1_30default_config_static_selectorELNS0_4arch9wavefront6targetE0EEEvT1_
                                        ; -- End function
	.set _ZN7rocprim17ROCPRIM_400000_NS6detail17trampoline_kernelINS0_14default_configENS1_27scan_by_key_config_selectorIj11FixedVectorIiLj8EEEEZZNS1_16scan_by_key_implILNS1_25lookback_scan_determinismE0ELb0ES3_N6thrust23THRUST_200600_302600_NS6detail15normal_iteratorINSB_10device_ptrIjEEEENSD_INSE_IS6_EEEESI_S6_NSB_4plusIvEENSB_8equal_toIvEES6_EE10hipError_tPvRmT2_T3_T4_T5_mT6_T7_P12ihipStream_tbENKUlT_T0_E_clISt17integral_constantIbLb1EES13_EEDaSY_SZ_EUlSY_E_NS1_11comp_targetILNS1_3genE0ELNS1_11target_archE4294967295ELNS1_3gpuE0ELNS1_3repE0EEENS1_30default_config_static_selectorELNS0_4arch9wavefront6targetE0EEEvT1_.num_vgpr, 0
	.set _ZN7rocprim17ROCPRIM_400000_NS6detail17trampoline_kernelINS0_14default_configENS1_27scan_by_key_config_selectorIj11FixedVectorIiLj8EEEEZZNS1_16scan_by_key_implILNS1_25lookback_scan_determinismE0ELb0ES3_N6thrust23THRUST_200600_302600_NS6detail15normal_iteratorINSB_10device_ptrIjEEEENSD_INSE_IS6_EEEESI_S6_NSB_4plusIvEENSB_8equal_toIvEES6_EE10hipError_tPvRmT2_T3_T4_T5_mT6_T7_P12ihipStream_tbENKUlT_T0_E_clISt17integral_constantIbLb1EES13_EEDaSY_SZ_EUlSY_E_NS1_11comp_targetILNS1_3genE0ELNS1_11target_archE4294967295ELNS1_3gpuE0ELNS1_3repE0EEENS1_30default_config_static_selectorELNS0_4arch9wavefront6targetE0EEEvT1_.num_agpr, 0
	.set _ZN7rocprim17ROCPRIM_400000_NS6detail17trampoline_kernelINS0_14default_configENS1_27scan_by_key_config_selectorIj11FixedVectorIiLj8EEEEZZNS1_16scan_by_key_implILNS1_25lookback_scan_determinismE0ELb0ES3_N6thrust23THRUST_200600_302600_NS6detail15normal_iteratorINSB_10device_ptrIjEEEENSD_INSE_IS6_EEEESI_S6_NSB_4plusIvEENSB_8equal_toIvEES6_EE10hipError_tPvRmT2_T3_T4_T5_mT6_T7_P12ihipStream_tbENKUlT_T0_E_clISt17integral_constantIbLb1EES13_EEDaSY_SZ_EUlSY_E_NS1_11comp_targetILNS1_3genE0ELNS1_11target_archE4294967295ELNS1_3gpuE0ELNS1_3repE0EEENS1_30default_config_static_selectorELNS0_4arch9wavefront6targetE0EEEvT1_.numbered_sgpr, 0
	.set _ZN7rocprim17ROCPRIM_400000_NS6detail17trampoline_kernelINS0_14default_configENS1_27scan_by_key_config_selectorIj11FixedVectorIiLj8EEEEZZNS1_16scan_by_key_implILNS1_25lookback_scan_determinismE0ELb0ES3_N6thrust23THRUST_200600_302600_NS6detail15normal_iteratorINSB_10device_ptrIjEEEENSD_INSE_IS6_EEEESI_S6_NSB_4plusIvEENSB_8equal_toIvEES6_EE10hipError_tPvRmT2_T3_T4_T5_mT6_T7_P12ihipStream_tbENKUlT_T0_E_clISt17integral_constantIbLb1EES13_EEDaSY_SZ_EUlSY_E_NS1_11comp_targetILNS1_3genE0ELNS1_11target_archE4294967295ELNS1_3gpuE0ELNS1_3repE0EEENS1_30default_config_static_selectorELNS0_4arch9wavefront6targetE0EEEvT1_.num_named_barrier, 0
	.set _ZN7rocprim17ROCPRIM_400000_NS6detail17trampoline_kernelINS0_14default_configENS1_27scan_by_key_config_selectorIj11FixedVectorIiLj8EEEEZZNS1_16scan_by_key_implILNS1_25lookback_scan_determinismE0ELb0ES3_N6thrust23THRUST_200600_302600_NS6detail15normal_iteratorINSB_10device_ptrIjEEEENSD_INSE_IS6_EEEESI_S6_NSB_4plusIvEENSB_8equal_toIvEES6_EE10hipError_tPvRmT2_T3_T4_T5_mT6_T7_P12ihipStream_tbENKUlT_T0_E_clISt17integral_constantIbLb1EES13_EEDaSY_SZ_EUlSY_E_NS1_11comp_targetILNS1_3genE0ELNS1_11target_archE4294967295ELNS1_3gpuE0ELNS1_3repE0EEENS1_30default_config_static_selectorELNS0_4arch9wavefront6targetE0EEEvT1_.private_seg_size, 0
	.set _ZN7rocprim17ROCPRIM_400000_NS6detail17trampoline_kernelINS0_14default_configENS1_27scan_by_key_config_selectorIj11FixedVectorIiLj8EEEEZZNS1_16scan_by_key_implILNS1_25lookback_scan_determinismE0ELb0ES3_N6thrust23THRUST_200600_302600_NS6detail15normal_iteratorINSB_10device_ptrIjEEEENSD_INSE_IS6_EEEESI_S6_NSB_4plusIvEENSB_8equal_toIvEES6_EE10hipError_tPvRmT2_T3_T4_T5_mT6_T7_P12ihipStream_tbENKUlT_T0_E_clISt17integral_constantIbLb1EES13_EEDaSY_SZ_EUlSY_E_NS1_11comp_targetILNS1_3genE0ELNS1_11target_archE4294967295ELNS1_3gpuE0ELNS1_3repE0EEENS1_30default_config_static_selectorELNS0_4arch9wavefront6targetE0EEEvT1_.uses_vcc, 0
	.set _ZN7rocprim17ROCPRIM_400000_NS6detail17trampoline_kernelINS0_14default_configENS1_27scan_by_key_config_selectorIj11FixedVectorIiLj8EEEEZZNS1_16scan_by_key_implILNS1_25lookback_scan_determinismE0ELb0ES3_N6thrust23THRUST_200600_302600_NS6detail15normal_iteratorINSB_10device_ptrIjEEEENSD_INSE_IS6_EEEESI_S6_NSB_4plusIvEENSB_8equal_toIvEES6_EE10hipError_tPvRmT2_T3_T4_T5_mT6_T7_P12ihipStream_tbENKUlT_T0_E_clISt17integral_constantIbLb1EES13_EEDaSY_SZ_EUlSY_E_NS1_11comp_targetILNS1_3genE0ELNS1_11target_archE4294967295ELNS1_3gpuE0ELNS1_3repE0EEENS1_30default_config_static_selectorELNS0_4arch9wavefront6targetE0EEEvT1_.uses_flat_scratch, 0
	.set _ZN7rocprim17ROCPRIM_400000_NS6detail17trampoline_kernelINS0_14default_configENS1_27scan_by_key_config_selectorIj11FixedVectorIiLj8EEEEZZNS1_16scan_by_key_implILNS1_25lookback_scan_determinismE0ELb0ES3_N6thrust23THRUST_200600_302600_NS6detail15normal_iteratorINSB_10device_ptrIjEEEENSD_INSE_IS6_EEEESI_S6_NSB_4plusIvEENSB_8equal_toIvEES6_EE10hipError_tPvRmT2_T3_T4_T5_mT6_T7_P12ihipStream_tbENKUlT_T0_E_clISt17integral_constantIbLb1EES13_EEDaSY_SZ_EUlSY_E_NS1_11comp_targetILNS1_3genE0ELNS1_11target_archE4294967295ELNS1_3gpuE0ELNS1_3repE0EEENS1_30default_config_static_selectorELNS0_4arch9wavefront6targetE0EEEvT1_.has_dyn_sized_stack, 0
	.set _ZN7rocprim17ROCPRIM_400000_NS6detail17trampoline_kernelINS0_14default_configENS1_27scan_by_key_config_selectorIj11FixedVectorIiLj8EEEEZZNS1_16scan_by_key_implILNS1_25lookback_scan_determinismE0ELb0ES3_N6thrust23THRUST_200600_302600_NS6detail15normal_iteratorINSB_10device_ptrIjEEEENSD_INSE_IS6_EEEESI_S6_NSB_4plusIvEENSB_8equal_toIvEES6_EE10hipError_tPvRmT2_T3_T4_T5_mT6_T7_P12ihipStream_tbENKUlT_T0_E_clISt17integral_constantIbLb1EES13_EEDaSY_SZ_EUlSY_E_NS1_11comp_targetILNS1_3genE0ELNS1_11target_archE4294967295ELNS1_3gpuE0ELNS1_3repE0EEENS1_30default_config_static_selectorELNS0_4arch9wavefront6targetE0EEEvT1_.has_recursion, 0
	.set _ZN7rocprim17ROCPRIM_400000_NS6detail17trampoline_kernelINS0_14default_configENS1_27scan_by_key_config_selectorIj11FixedVectorIiLj8EEEEZZNS1_16scan_by_key_implILNS1_25lookback_scan_determinismE0ELb0ES3_N6thrust23THRUST_200600_302600_NS6detail15normal_iteratorINSB_10device_ptrIjEEEENSD_INSE_IS6_EEEESI_S6_NSB_4plusIvEENSB_8equal_toIvEES6_EE10hipError_tPvRmT2_T3_T4_T5_mT6_T7_P12ihipStream_tbENKUlT_T0_E_clISt17integral_constantIbLb1EES13_EEDaSY_SZ_EUlSY_E_NS1_11comp_targetILNS1_3genE0ELNS1_11target_archE4294967295ELNS1_3gpuE0ELNS1_3repE0EEENS1_30default_config_static_selectorELNS0_4arch9wavefront6targetE0EEEvT1_.has_indirect_call, 0
	.section	.AMDGPU.csdata,"",@progbits
; Kernel info:
; codeLenInByte = 4
; TotalNumSgprs: 0
; NumVgprs: 0
; ScratchSize: 0
; MemoryBound: 0
; FloatMode: 240
; IeeeMode: 1
; LDSByteSize: 0 bytes/workgroup (compile time only)
; SGPRBlocks: 0
; VGPRBlocks: 0
; NumSGPRsForWavesPerEU: 1
; NumVGPRsForWavesPerEU: 1
; NamedBarCnt: 0
; Occupancy: 16
; WaveLimiterHint : 0
; COMPUTE_PGM_RSRC2:SCRATCH_EN: 0
; COMPUTE_PGM_RSRC2:USER_SGPR: 2
; COMPUTE_PGM_RSRC2:TRAP_HANDLER: 0
; COMPUTE_PGM_RSRC2:TGID_X_EN: 1
; COMPUTE_PGM_RSRC2:TGID_Y_EN: 0
; COMPUTE_PGM_RSRC2:TGID_Z_EN: 0
; COMPUTE_PGM_RSRC2:TIDIG_COMP_CNT: 0
	.section	.text._ZN7rocprim17ROCPRIM_400000_NS6detail17trampoline_kernelINS0_14default_configENS1_27scan_by_key_config_selectorIj11FixedVectorIiLj8EEEEZZNS1_16scan_by_key_implILNS1_25lookback_scan_determinismE0ELb0ES3_N6thrust23THRUST_200600_302600_NS6detail15normal_iteratorINSB_10device_ptrIjEEEENSD_INSE_IS6_EEEESI_S6_NSB_4plusIvEENSB_8equal_toIvEES6_EE10hipError_tPvRmT2_T3_T4_T5_mT6_T7_P12ihipStream_tbENKUlT_T0_E_clISt17integral_constantIbLb1EES13_EEDaSY_SZ_EUlSY_E_NS1_11comp_targetILNS1_3genE10ELNS1_11target_archE1201ELNS1_3gpuE5ELNS1_3repE0EEENS1_30default_config_static_selectorELNS0_4arch9wavefront6targetE0EEEvT1_,"axG",@progbits,_ZN7rocprim17ROCPRIM_400000_NS6detail17trampoline_kernelINS0_14default_configENS1_27scan_by_key_config_selectorIj11FixedVectorIiLj8EEEEZZNS1_16scan_by_key_implILNS1_25lookback_scan_determinismE0ELb0ES3_N6thrust23THRUST_200600_302600_NS6detail15normal_iteratorINSB_10device_ptrIjEEEENSD_INSE_IS6_EEEESI_S6_NSB_4plusIvEENSB_8equal_toIvEES6_EE10hipError_tPvRmT2_T3_T4_T5_mT6_T7_P12ihipStream_tbENKUlT_T0_E_clISt17integral_constantIbLb1EES13_EEDaSY_SZ_EUlSY_E_NS1_11comp_targetILNS1_3genE10ELNS1_11target_archE1201ELNS1_3gpuE5ELNS1_3repE0EEENS1_30default_config_static_selectorELNS0_4arch9wavefront6targetE0EEEvT1_,comdat
	.protected	_ZN7rocprim17ROCPRIM_400000_NS6detail17trampoline_kernelINS0_14default_configENS1_27scan_by_key_config_selectorIj11FixedVectorIiLj8EEEEZZNS1_16scan_by_key_implILNS1_25lookback_scan_determinismE0ELb0ES3_N6thrust23THRUST_200600_302600_NS6detail15normal_iteratorINSB_10device_ptrIjEEEENSD_INSE_IS6_EEEESI_S6_NSB_4plusIvEENSB_8equal_toIvEES6_EE10hipError_tPvRmT2_T3_T4_T5_mT6_T7_P12ihipStream_tbENKUlT_T0_E_clISt17integral_constantIbLb1EES13_EEDaSY_SZ_EUlSY_E_NS1_11comp_targetILNS1_3genE10ELNS1_11target_archE1201ELNS1_3gpuE5ELNS1_3repE0EEENS1_30default_config_static_selectorELNS0_4arch9wavefront6targetE0EEEvT1_ ; -- Begin function _ZN7rocprim17ROCPRIM_400000_NS6detail17trampoline_kernelINS0_14default_configENS1_27scan_by_key_config_selectorIj11FixedVectorIiLj8EEEEZZNS1_16scan_by_key_implILNS1_25lookback_scan_determinismE0ELb0ES3_N6thrust23THRUST_200600_302600_NS6detail15normal_iteratorINSB_10device_ptrIjEEEENSD_INSE_IS6_EEEESI_S6_NSB_4plusIvEENSB_8equal_toIvEES6_EE10hipError_tPvRmT2_T3_T4_T5_mT6_T7_P12ihipStream_tbENKUlT_T0_E_clISt17integral_constantIbLb1EES13_EEDaSY_SZ_EUlSY_E_NS1_11comp_targetILNS1_3genE10ELNS1_11target_archE1201ELNS1_3gpuE5ELNS1_3repE0EEENS1_30default_config_static_selectorELNS0_4arch9wavefront6targetE0EEEvT1_
	.globl	_ZN7rocprim17ROCPRIM_400000_NS6detail17trampoline_kernelINS0_14default_configENS1_27scan_by_key_config_selectorIj11FixedVectorIiLj8EEEEZZNS1_16scan_by_key_implILNS1_25lookback_scan_determinismE0ELb0ES3_N6thrust23THRUST_200600_302600_NS6detail15normal_iteratorINSB_10device_ptrIjEEEENSD_INSE_IS6_EEEESI_S6_NSB_4plusIvEENSB_8equal_toIvEES6_EE10hipError_tPvRmT2_T3_T4_T5_mT6_T7_P12ihipStream_tbENKUlT_T0_E_clISt17integral_constantIbLb1EES13_EEDaSY_SZ_EUlSY_E_NS1_11comp_targetILNS1_3genE10ELNS1_11target_archE1201ELNS1_3gpuE5ELNS1_3repE0EEENS1_30default_config_static_selectorELNS0_4arch9wavefront6targetE0EEEvT1_
	.p2align	8
	.type	_ZN7rocprim17ROCPRIM_400000_NS6detail17trampoline_kernelINS0_14default_configENS1_27scan_by_key_config_selectorIj11FixedVectorIiLj8EEEEZZNS1_16scan_by_key_implILNS1_25lookback_scan_determinismE0ELb0ES3_N6thrust23THRUST_200600_302600_NS6detail15normal_iteratorINSB_10device_ptrIjEEEENSD_INSE_IS6_EEEESI_S6_NSB_4plusIvEENSB_8equal_toIvEES6_EE10hipError_tPvRmT2_T3_T4_T5_mT6_T7_P12ihipStream_tbENKUlT_T0_E_clISt17integral_constantIbLb1EES13_EEDaSY_SZ_EUlSY_E_NS1_11comp_targetILNS1_3genE10ELNS1_11target_archE1201ELNS1_3gpuE5ELNS1_3repE0EEENS1_30default_config_static_selectorELNS0_4arch9wavefront6targetE0EEEvT1_,@function
_ZN7rocprim17ROCPRIM_400000_NS6detail17trampoline_kernelINS0_14default_configENS1_27scan_by_key_config_selectorIj11FixedVectorIiLj8EEEEZZNS1_16scan_by_key_implILNS1_25lookback_scan_determinismE0ELb0ES3_N6thrust23THRUST_200600_302600_NS6detail15normal_iteratorINSB_10device_ptrIjEEEENSD_INSE_IS6_EEEESI_S6_NSB_4plusIvEENSB_8equal_toIvEES6_EE10hipError_tPvRmT2_T3_T4_T5_mT6_T7_P12ihipStream_tbENKUlT_T0_E_clISt17integral_constantIbLb1EES13_EEDaSY_SZ_EUlSY_E_NS1_11comp_targetILNS1_3genE10ELNS1_11target_archE1201ELNS1_3gpuE5ELNS1_3repE0EEENS1_30default_config_static_selectorELNS0_4arch9wavefront6targetE0EEEvT1_: ; @_ZN7rocprim17ROCPRIM_400000_NS6detail17trampoline_kernelINS0_14default_configENS1_27scan_by_key_config_selectorIj11FixedVectorIiLj8EEEEZZNS1_16scan_by_key_implILNS1_25lookback_scan_determinismE0ELb0ES3_N6thrust23THRUST_200600_302600_NS6detail15normal_iteratorINSB_10device_ptrIjEEEENSD_INSE_IS6_EEEESI_S6_NSB_4plusIvEENSB_8equal_toIvEES6_EE10hipError_tPvRmT2_T3_T4_T5_mT6_T7_P12ihipStream_tbENKUlT_T0_E_clISt17integral_constantIbLb1EES13_EEDaSY_SZ_EUlSY_E_NS1_11comp_targetILNS1_3genE10ELNS1_11target_archE1201ELNS1_3gpuE5ELNS1_3repE0EEENS1_30default_config_static_selectorELNS0_4arch9wavefront6targetE0EEEvT1_
; %bb.0:
	.section	.rodata,"a",@progbits
	.p2align	6, 0x0
	.amdhsa_kernel _ZN7rocprim17ROCPRIM_400000_NS6detail17trampoline_kernelINS0_14default_configENS1_27scan_by_key_config_selectorIj11FixedVectorIiLj8EEEEZZNS1_16scan_by_key_implILNS1_25lookback_scan_determinismE0ELb0ES3_N6thrust23THRUST_200600_302600_NS6detail15normal_iteratorINSB_10device_ptrIjEEEENSD_INSE_IS6_EEEESI_S6_NSB_4plusIvEENSB_8equal_toIvEES6_EE10hipError_tPvRmT2_T3_T4_T5_mT6_T7_P12ihipStream_tbENKUlT_T0_E_clISt17integral_constantIbLb1EES13_EEDaSY_SZ_EUlSY_E_NS1_11comp_targetILNS1_3genE10ELNS1_11target_archE1201ELNS1_3gpuE5ELNS1_3repE0EEENS1_30default_config_static_selectorELNS0_4arch9wavefront6targetE0EEEvT1_
		.amdhsa_group_segment_fixed_size 0
		.amdhsa_private_segment_fixed_size 0
		.amdhsa_kernarg_size 160
		.amdhsa_user_sgpr_count 2
		.amdhsa_user_sgpr_dispatch_ptr 0
		.amdhsa_user_sgpr_queue_ptr 0
		.amdhsa_user_sgpr_kernarg_segment_ptr 1
		.amdhsa_user_sgpr_dispatch_id 0
		.amdhsa_user_sgpr_kernarg_preload_length 0
		.amdhsa_user_sgpr_kernarg_preload_offset 0
		.amdhsa_user_sgpr_private_segment_size 0
		.amdhsa_wavefront_size32 1
		.amdhsa_uses_dynamic_stack 0
		.amdhsa_enable_private_segment 0
		.amdhsa_system_sgpr_workgroup_id_x 1
		.amdhsa_system_sgpr_workgroup_id_y 0
		.amdhsa_system_sgpr_workgroup_id_z 0
		.amdhsa_system_sgpr_workgroup_info 0
		.amdhsa_system_vgpr_workitem_id 0
		.amdhsa_next_free_vgpr 1
		.amdhsa_next_free_sgpr 1
		.amdhsa_named_barrier_count 0
		.amdhsa_reserve_vcc 0
		.amdhsa_float_round_mode_32 0
		.amdhsa_float_round_mode_16_64 0
		.amdhsa_float_denorm_mode_32 3
		.amdhsa_float_denorm_mode_16_64 3
		.amdhsa_fp16_overflow 0
		.amdhsa_memory_ordered 1
		.amdhsa_forward_progress 1
		.amdhsa_inst_pref_size 0
		.amdhsa_round_robin_scheduling 0
		.amdhsa_exception_fp_ieee_invalid_op 0
		.amdhsa_exception_fp_denorm_src 0
		.amdhsa_exception_fp_ieee_div_zero 0
		.amdhsa_exception_fp_ieee_overflow 0
		.amdhsa_exception_fp_ieee_underflow 0
		.amdhsa_exception_fp_ieee_inexact 0
		.amdhsa_exception_int_div_zero 0
	.end_amdhsa_kernel
	.section	.text._ZN7rocprim17ROCPRIM_400000_NS6detail17trampoline_kernelINS0_14default_configENS1_27scan_by_key_config_selectorIj11FixedVectorIiLj8EEEEZZNS1_16scan_by_key_implILNS1_25lookback_scan_determinismE0ELb0ES3_N6thrust23THRUST_200600_302600_NS6detail15normal_iteratorINSB_10device_ptrIjEEEENSD_INSE_IS6_EEEESI_S6_NSB_4plusIvEENSB_8equal_toIvEES6_EE10hipError_tPvRmT2_T3_T4_T5_mT6_T7_P12ihipStream_tbENKUlT_T0_E_clISt17integral_constantIbLb1EES13_EEDaSY_SZ_EUlSY_E_NS1_11comp_targetILNS1_3genE10ELNS1_11target_archE1201ELNS1_3gpuE5ELNS1_3repE0EEENS1_30default_config_static_selectorELNS0_4arch9wavefront6targetE0EEEvT1_,"axG",@progbits,_ZN7rocprim17ROCPRIM_400000_NS6detail17trampoline_kernelINS0_14default_configENS1_27scan_by_key_config_selectorIj11FixedVectorIiLj8EEEEZZNS1_16scan_by_key_implILNS1_25lookback_scan_determinismE0ELb0ES3_N6thrust23THRUST_200600_302600_NS6detail15normal_iteratorINSB_10device_ptrIjEEEENSD_INSE_IS6_EEEESI_S6_NSB_4plusIvEENSB_8equal_toIvEES6_EE10hipError_tPvRmT2_T3_T4_T5_mT6_T7_P12ihipStream_tbENKUlT_T0_E_clISt17integral_constantIbLb1EES13_EEDaSY_SZ_EUlSY_E_NS1_11comp_targetILNS1_3genE10ELNS1_11target_archE1201ELNS1_3gpuE5ELNS1_3repE0EEENS1_30default_config_static_selectorELNS0_4arch9wavefront6targetE0EEEvT1_,comdat
.Lfunc_end2127:
	.size	_ZN7rocprim17ROCPRIM_400000_NS6detail17trampoline_kernelINS0_14default_configENS1_27scan_by_key_config_selectorIj11FixedVectorIiLj8EEEEZZNS1_16scan_by_key_implILNS1_25lookback_scan_determinismE0ELb0ES3_N6thrust23THRUST_200600_302600_NS6detail15normal_iteratorINSB_10device_ptrIjEEEENSD_INSE_IS6_EEEESI_S6_NSB_4plusIvEENSB_8equal_toIvEES6_EE10hipError_tPvRmT2_T3_T4_T5_mT6_T7_P12ihipStream_tbENKUlT_T0_E_clISt17integral_constantIbLb1EES13_EEDaSY_SZ_EUlSY_E_NS1_11comp_targetILNS1_3genE10ELNS1_11target_archE1201ELNS1_3gpuE5ELNS1_3repE0EEENS1_30default_config_static_selectorELNS0_4arch9wavefront6targetE0EEEvT1_, .Lfunc_end2127-_ZN7rocprim17ROCPRIM_400000_NS6detail17trampoline_kernelINS0_14default_configENS1_27scan_by_key_config_selectorIj11FixedVectorIiLj8EEEEZZNS1_16scan_by_key_implILNS1_25lookback_scan_determinismE0ELb0ES3_N6thrust23THRUST_200600_302600_NS6detail15normal_iteratorINSB_10device_ptrIjEEEENSD_INSE_IS6_EEEESI_S6_NSB_4plusIvEENSB_8equal_toIvEES6_EE10hipError_tPvRmT2_T3_T4_T5_mT6_T7_P12ihipStream_tbENKUlT_T0_E_clISt17integral_constantIbLb1EES13_EEDaSY_SZ_EUlSY_E_NS1_11comp_targetILNS1_3genE10ELNS1_11target_archE1201ELNS1_3gpuE5ELNS1_3repE0EEENS1_30default_config_static_selectorELNS0_4arch9wavefront6targetE0EEEvT1_
                                        ; -- End function
	.set _ZN7rocprim17ROCPRIM_400000_NS6detail17trampoline_kernelINS0_14default_configENS1_27scan_by_key_config_selectorIj11FixedVectorIiLj8EEEEZZNS1_16scan_by_key_implILNS1_25lookback_scan_determinismE0ELb0ES3_N6thrust23THRUST_200600_302600_NS6detail15normal_iteratorINSB_10device_ptrIjEEEENSD_INSE_IS6_EEEESI_S6_NSB_4plusIvEENSB_8equal_toIvEES6_EE10hipError_tPvRmT2_T3_T4_T5_mT6_T7_P12ihipStream_tbENKUlT_T0_E_clISt17integral_constantIbLb1EES13_EEDaSY_SZ_EUlSY_E_NS1_11comp_targetILNS1_3genE10ELNS1_11target_archE1201ELNS1_3gpuE5ELNS1_3repE0EEENS1_30default_config_static_selectorELNS0_4arch9wavefront6targetE0EEEvT1_.num_vgpr, 0
	.set _ZN7rocprim17ROCPRIM_400000_NS6detail17trampoline_kernelINS0_14default_configENS1_27scan_by_key_config_selectorIj11FixedVectorIiLj8EEEEZZNS1_16scan_by_key_implILNS1_25lookback_scan_determinismE0ELb0ES3_N6thrust23THRUST_200600_302600_NS6detail15normal_iteratorINSB_10device_ptrIjEEEENSD_INSE_IS6_EEEESI_S6_NSB_4plusIvEENSB_8equal_toIvEES6_EE10hipError_tPvRmT2_T3_T4_T5_mT6_T7_P12ihipStream_tbENKUlT_T0_E_clISt17integral_constantIbLb1EES13_EEDaSY_SZ_EUlSY_E_NS1_11comp_targetILNS1_3genE10ELNS1_11target_archE1201ELNS1_3gpuE5ELNS1_3repE0EEENS1_30default_config_static_selectorELNS0_4arch9wavefront6targetE0EEEvT1_.num_agpr, 0
	.set _ZN7rocprim17ROCPRIM_400000_NS6detail17trampoline_kernelINS0_14default_configENS1_27scan_by_key_config_selectorIj11FixedVectorIiLj8EEEEZZNS1_16scan_by_key_implILNS1_25lookback_scan_determinismE0ELb0ES3_N6thrust23THRUST_200600_302600_NS6detail15normal_iteratorINSB_10device_ptrIjEEEENSD_INSE_IS6_EEEESI_S6_NSB_4plusIvEENSB_8equal_toIvEES6_EE10hipError_tPvRmT2_T3_T4_T5_mT6_T7_P12ihipStream_tbENKUlT_T0_E_clISt17integral_constantIbLb1EES13_EEDaSY_SZ_EUlSY_E_NS1_11comp_targetILNS1_3genE10ELNS1_11target_archE1201ELNS1_3gpuE5ELNS1_3repE0EEENS1_30default_config_static_selectorELNS0_4arch9wavefront6targetE0EEEvT1_.numbered_sgpr, 0
	.set _ZN7rocprim17ROCPRIM_400000_NS6detail17trampoline_kernelINS0_14default_configENS1_27scan_by_key_config_selectorIj11FixedVectorIiLj8EEEEZZNS1_16scan_by_key_implILNS1_25lookback_scan_determinismE0ELb0ES3_N6thrust23THRUST_200600_302600_NS6detail15normal_iteratorINSB_10device_ptrIjEEEENSD_INSE_IS6_EEEESI_S6_NSB_4plusIvEENSB_8equal_toIvEES6_EE10hipError_tPvRmT2_T3_T4_T5_mT6_T7_P12ihipStream_tbENKUlT_T0_E_clISt17integral_constantIbLb1EES13_EEDaSY_SZ_EUlSY_E_NS1_11comp_targetILNS1_3genE10ELNS1_11target_archE1201ELNS1_3gpuE5ELNS1_3repE0EEENS1_30default_config_static_selectorELNS0_4arch9wavefront6targetE0EEEvT1_.num_named_barrier, 0
	.set _ZN7rocprim17ROCPRIM_400000_NS6detail17trampoline_kernelINS0_14default_configENS1_27scan_by_key_config_selectorIj11FixedVectorIiLj8EEEEZZNS1_16scan_by_key_implILNS1_25lookback_scan_determinismE0ELb0ES3_N6thrust23THRUST_200600_302600_NS6detail15normal_iteratorINSB_10device_ptrIjEEEENSD_INSE_IS6_EEEESI_S6_NSB_4plusIvEENSB_8equal_toIvEES6_EE10hipError_tPvRmT2_T3_T4_T5_mT6_T7_P12ihipStream_tbENKUlT_T0_E_clISt17integral_constantIbLb1EES13_EEDaSY_SZ_EUlSY_E_NS1_11comp_targetILNS1_3genE10ELNS1_11target_archE1201ELNS1_3gpuE5ELNS1_3repE0EEENS1_30default_config_static_selectorELNS0_4arch9wavefront6targetE0EEEvT1_.private_seg_size, 0
	.set _ZN7rocprim17ROCPRIM_400000_NS6detail17trampoline_kernelINS0_14default_configENS1_27scan_by_key_config_selectorIj11FixedVectorIiLj8EEEEZZNS1_16scan_by_key_implILNS1_25lookback_scan_determinismE0ELb0ES3_N6thrust23THRUST_200600_302600_NS6detail15normal_iteratorINSB_10device_ptrIjEEEENSD_INSE_IS6_EEEESI_S6_NSB_4plusIvEENSB_8equal_toIvEES6_EE10hipError_tPvRmT2_T3_T4_T5_mT6_T7_P12ihipStream_tbENKUlT_T0_E_clISt17integral_constantIbLb1EES13_EEDaSY_SZ_EUlSY_E_NS1_11comp_targetILNS1_3genE10ELNS1_11target_archE1201ELNS1_3gpuE5ELNS1_3repE0EEENS1_30default_config_static_selectorELNS0_4arch9wavefront6targetE0EEEvT1_.uses_vcc, 0
	.set _ZN7rocprim17ROCPRIM_400000_NS6detail17trampoline_kernelINS0_14default_configENS1_27scan_by_key_config_selectorIj11FixedVectorIiLj8EEEEZZNS1_16scan_by_key_implILNS1_25lookback_scan_determinismE0ELb0ES3_N6thrust23THRUST_200600_302600_NS6detail15normal_iteratorINSB_10device_ptrIjEEEENSD_INSE_IS6_EEEESI_S6_NSB_4plusIvEENSB_8equal_toIvEES6_EE10hipError_tPvRmT2_T3_T4_T5_mT6_T7_P12ihipStream_tbENKUlT_T0_E_clISt17integral_constantIbLb1EES13_EEDaSY_SZ_EUlSY_E_NS1_11comp_targetILNS1_3genE10ELNS1_11target_archE1201ELNS1_3gpuE5ELNS1_3repE0EEENS1_30default_config_static_selectorELNS0_4arch9wavefront6targetE0EEEvT1_.uses_flat_scratch, 0
	.set _ZN7rocprim17ROCPRIM_400000_NS6detail17trampoline_kernelINS0_14default_configENS1_27scan_by_key_config_selectorIj11FixedVectorIiLj8EEEEZZNS1_16scan_by_key_implILNS1_25lookback_scan_determinismE0ELb0ES3_N6thrust23THRUST_200600_302600_NS6detail15normal_iteratorINSB_10device_ptrIjEEEENSD_INSE_IS6_EEEESI_S6_NSB_4plusIvEENSB_8equal_toIvEES6_EE10hipError_tPvRmT2_T3_T4_T5_mT6_T7_P12ihipStream_tbENKUlT_T0_E_clISt17integral_constantIbLb1EES13_EEDaSY_SZ_EUlSY_E_NS1_11comp_targetILNS1_3genE10ELNS1_11target_archE1201ELNS1_3gpuE5ELNS1_3repE0EEENS1_30default_config_static_selectorELNS0_4arch9wavefront6targetE0EEEvT1_.has_dyn_sized_stack, 0
	.set _ZN7rocprim17ROCPRIM_400000_NS6detail17trampoline_kernelINS0_14default_configENS1_27scan_by_key_config_selectorIj11FixedVectorIiLj8EEEEZZNS1_16scan_by_key_implILNS1_25lookback_scan_determinismE0ELb0ES3_N6thrust23THRUST_200600_302600_NS6detail15normal_iteratorINSB_10device_ptrIjEEEENSD_INSE_IS6_EEEESI_S6_NSB_4plusIvEENSB_8equal_toIvEES6_EE10hipError_tPvRmT2_T3_T4_T5_mT6_T7_P12ihipStream_tbENKUlT_T0_E_clISt17integral_constantIbLb1EES13_EEDaSY_SZ_EUlSY_E_NS1_11comp_targetILNS1_3genE10ELNS1_11target_archE1201ELNS1_3gpuE5ELNS1_3repE0EEENS1_30default_config_static_selectorELNS0_4arch9wavefront6targetE0EEEvT1_.has_recursion, 0
	.set _ZN7rocprim17ROCPRIM_400000_NS6detail17trampoline_kernelINS0_14default_configENS1_27scan_by_key_config_selectorIj11FixedVectorIiLj8EEEEZZNS1_16scan_by_key_implILNS1_25lookback_scan_determinismE0ELb0ES3_N6thrust23THRUST_200600_302600_NS6detail15normal_iteratorINSB_10device_ptrIjEEEENSD_INSE_IS6_EEEESI_S6_NSB_4plusIvEENSB_8equal_toIvEES6_EE10hipError_tPvRmT2_T3_T4_T5_mT6_T7_P12ihipStream_tbENKUlT_T0_E_clISt17integral_constantIbLb1EES13_EEDaSY_SZ_EUlSY_E_NS1_11comp_targetILNS1_3genE10ELNS1_11target_archE1201ELNS1_3gpuE5ELNS1_3repE0EEENS1_30default_config_static_selectorELNS0_4arch9wavefront6targetE0EEEvT1_.has_indirect_call, 0
	.section	.AMDGPU.csdata,"",@progbits
; Kernel info:
; codeLenInByte = 0
; TotalNumSgprs: 0
; NumVgprs: 0
; ScratchSize: 0
; MemoryBound: 0
; FloatMode: 240
; IeeeMode: 1
; LDSByteSize: 0 bytes/workgroup (compile time only)
; SGPRBlocks: 0
; VGPRBlocks: 0
; NumSGPRsForWavesPerEU: 1
; NumVGPRsForWavesPerEU: 1
; NamedBarCnt: 0
; Occupancy: 16
; WaveLimiterHint : 0
; COMPUTE_PGM_RSRC2:SCRATCH_EN: 0
; COMPUTE_PGM_RSRC2:USER_SGPR: 2
; COMPUTE_PGM_RSRC2:TRAP_HANDLER: 0
; COMPUTE_PGM_RSRC2:TGID_X_EN: 1
; COMPUTE_PGM_RSRC2:TGID_Y_EN: 0
; COMPUTE_PGM_RSRC2:TGID_Z_EN: 0
; COMPUTE_PGM_RSRC2:TIDIG_COMP_CNT: 0
	.section	.text._ZN7rocprim17ROCPRIM_400000_NS6detail17trampoline_kernelINS0_14default_configENS1_27scan_by_key_config_selectorIj11FixedVectorIiLj8EEEEZZNS1_16scan_by_key_implILNS1_25lookback_scan_determinismE0ELb0ES3_N6thrust23THRUST_200600_302600_NS6detail15normal_iteratorINSB_10device_ptrIjEEEENSD_INSE_IS6_EEEESI_S6_NSB_4plusIvEENSB_8equal_toIvEES6_EE10hipError_tPvRmT2_T3_T4_T5_mT6_T7_P12ihipStream_tbENKUlT_T0_E_clISt17integral_constantIbLb1EES13_EEDaSY_SZ_EUlSY_E_NS1_11comp_targetILNS1_3genE5ELNS1_11target_archE942ELNS1_3gpuE9ELNS1_3repE0EEENS1_30default_config_static_selectorELNS0_4arch9wavefront6targetE0EEEvT1_,"axG",@progbits,_ZN7rocprim17ROCPRIM_400000_NS6detail17trampoline_kernelINS0_14default_configENS1_27scan_by_key_config_selectorIj11FixedVectorIiLj8EEEEZZNS1_16scan_by_key_implILNS1_25lookback_scan_determinismE0ELb0ES3_N6thrust23THRUST_200600_302600_NS6detail15normal_iteratorINSB_10device_ptrIjEEEENSD_INSE_IS6_EEEESI_S6_NSB_4plusIvEENSB_8equal_toIvEES6_EE10hipError_tPvRmT2_T3_T4_T5_mT6_T7_P12ihipStream_tbENKUlT_T0_E_clISt17integral_constantIbLb1EES13_EEDaSY_SZ_EUlSY_E_NS1_11comp_targetILNS1_3genE5ELNS1_11target_archE942ELNS1_3gpuE9ELNS1_3repE0EEENS1_30default_config_static_selectorELNS0_4arch9wavefront6targetE0EEEvT1_,comdat
	.protected	_ZN7rocprim17ROCPRIM_400000_NS6detail17trampoline_kernelINS0_14default_configENS1_27scan_by_key_config_selectorIj11FixedVectorIiLj8EEEEZZNS1_16scan_by_key_implILNS1_25lookback_scan_determinismE0ELb0ES3_N6thrust23THRUST_200600_302600_NS6detail15normal_iteratorINSB_10device_ptrIjEEEENSD_INSE_IS6_EEEESI_S6_NSB_4plusIvEENSB_8equal_toIvEES6_EE10hipError_tPvRmT2_T3_T4_T5_mT6_T7_P12ihipStream_tbENKUlT_T0_E_clISt17integral_constantIbLb1EES13_EEDaSY_SZ_EUlSY_E_NS1_11comp_targetILNS1_3genE5ELNS1_11target_archE942ELNS1_3gpuE9ELNS1_3repE0EEENS1_30default_config_static_selectorELNS0_4arch9wavefront6targetE0EEEvT1_ ; -- Begin function _ZN7rocprim17ROCPRIM_400000_NS6detail17trampoline_kernelINS0_14default_configENS1_27scan_by_key_config_selectorIj11FixedVectorIiLj8EEEEZZNS1_16scan_by_key_implILNS1_25lookback_scan_determinismE0ELb0ES3_N6thrust23THRUST_200600_302600_NS6detail15normal_iteratorINSB_10device_ptrIjEEEENSD_INSE_IS6_EEEESI_S6_NSB_4plusIvEENSB_8equal_toIvEES6_EE10hipError_tPvRmT2_T3_T4_T5_mT6_T7_P12ihipStream_tbENKUlT_T0_E_clISt17integral_constantIbLb1EES13_EEDaSY_SZ_EUlSY_E_NS1_11comp_targetILNS1_3genE5ELNS1_11target_archE942ELNS1_3gpuE9ELNS1_3repE0EEENS1_30default_config_static_selectorELNS0_4arch9wavefront6targetE0EEEvT1_
	.globl	_ZN7rocprim17ROCPRIM_400000_NS6detail17trampoline_kernelINS0_14default_configENS1_27scan_by_key_config_selectorIj11FixedVectorIiLj8EEEEZZNS1_16scan_by_key_implILNS1_25lookback_scan_determinismE0ELb0ES3_N6thrust23THRUST_200600_302600_NS6detail15normal_iteratorINSB_10device_ptrIjEEEENSD_INSE_IS6_EEEESI_S6_NSB_4plusIvEENSB_8equal_toIvEES6_EE10hipError_tPvRmT2_T3_T4_T5_mT6_T7_P12ihipStream_tbENKUlT_T0_E_clISt17integral_constantIbLb1EES13_EEDaSY_SZ_EUlSY_E_NS1_11comp_targetILNS1_3genE5ELNS1_11target_archE942ELNS1_3gpuE9ELNS1_3repE0EEENS1_30default_config_static_selectorELNS0_4arch9wavefront6targetE0EEEvT1_
	.p2align	8
	.type	_ZN7rocprim17ROCPRIM_400000_NS6detail17trampoline_kernelINS0_14default_configENS1_27scan_by_key_config_selectorIj11FixedVectorIiLj8EEEEZZNS1_16scan_by_key_implILNS1_25lookback_scan_determinismE0ELb0ES3_N6thrust23THRUST_200600_302600_NS6detail15normal_iteratorINSB_10device_ptrIjEEEENSD_INSE_IS6_EEEESI_S6_NSB_4plusIvEENSB_8equal_toIvEES6_EE10hipError_tPvRmT2_T3_T4_T5_mT6_T7_P12ihipStream_tbENKUlT_T0_E_clISt17integral_constantIbLb1EES13_EEDaSY_SZ_EUlSY_E_NS1_11comp_targetILNS1_3genE5ELNS1_11target_archE942ELNS1_3gpuE9ELNS1_3repE0EEENS1_30default_config_static_selectorELNS0_4arch9wavefront6targetE0EEEvT1_,@function
_ZN7rocprim17ROCPRIM_400000_NS6detail17trampoline_kernelINS0_14default_configENS1_27scan_by_key_config_selectorIj11FixedVectorIiLj8EEEEZZNS1_16scan_by_key_implILNS1_25lookback_scan_determinismE0ELb0ES3_N6thrust23THRUST_200600_302600_NS6detail15normal_iteratorINSB_10device_ptrIjEEEENSD_INSE_IS6_EEEESI_S6_NSB_4plusIvEENSB_8equal_toIvEES6_EE10hipError_tPvRmT2_T3_T4_T5_mT6_T7_P12ihipStream_tbENKUlT_T0_E_clISt17integral_constantIbLb1EES13_EEDaSY_SZ_EUlSY_E_NS1_11comp_targetILNS1_3genE5ELNS1_11target_archE942ELNS1_3gpuE9ELNS1_3repE0EEENS1_30default_config_static_selectorELNS0_4arch9wavefront6targetE0EEEvT1_: ; @_ZN7rocprim17ROCPRIM_400000_NS6detail17trampoline_kernelINS0_14default_configENS1_27scan_by_key_config_selectorIj11FixedVectorIiLj8EEEEZZNS1_16scan_by_key_implILNS1_25lookback_scan_determinismE0ELb0ES3_N6thrust23THRUST_200600_302600_NS6detail15normal_iteratorINSB_10device_ptrIjEEEENSD_INSE_IS6_EEEESI_S6_NSB_4plusIvEENSB_8equal_toIvEES6_EE10hipError_tPvRmT2_T3_T4_T5_mT6_T7_P12ihipStream_tbENKUlT_T0_E_clISt17integral_constantIbLb1EES13_EEDaSY_SZ_EUlSY_E_NS1_11comp_targetILNS1_3genE5ELNS1_11target_archE942ELNS1_3gpuE9ELNS1_3repE0EEENS1_30default_config_static_selectorELNS0_4arch9wavefront6targetE0EEEvT1_
; %bb.0:
	.section	.rodata,"a",@progbits
	.p2align	6, 0x0
	.amdhsa_kernel _ZN7rocprim17ROCPRIM_400000_NS6detail17trampoline_kernelINS0_14default_configENS1_27scan_by_key_config_selectorIj11FixedVectorIiLj8EEEEZZNS1_16scan_by_key_implILNS1_25lookback_scan_determinismE0ELb0ES3_N6thrust23THRUST_200600_302600_NS6detail15normal_iteratorINSB_10device_ptrIjEEEENSD_INSE_IS6_EEEESI_S6_NSB_4plusIvEENSB_8equal_toIvEES6_EE10hipError_tPvRmT2_T3_T4_T5_mT6_T7_P12ihipStream_tbENKUlT_T0_E_clISt17integral_constantIbLb1EES13_EEDaSY_SZ_EUlSY_E_NS1_11comp_targetILNS1_3genE5ELNS1_11target_archE942ELNS1_3gpuE9ELNS1_3repE0EEENS1_30default_config_static_selectorELNS0_4arch9wavefront6targetE0EEEvT1_
		.amdhsa_group_segment_fixed_size 0
		.amdhsa_private_segment_fixed_size 0
		.amdhsa_kernarg_size 160
		.amdhsa_user_sgpr_count 2
		.amdhsa_user_sgpr_dispatch_ptr 0
		.amdhsa_user_sgpr_queue_ptr 0
		.amdhsa_user_sgpr_kernarg_segment_ptr 1
		.amdhsa_user_sgpr_dispatch_id 0
		.amdhsa_user_sgpr_kernarg_preload_length 0
		.amdhsa_user_sgpr_kernarg_preload_offset 0
		.amdhsa_user_sgpr_private_segment_size 0
		.amdhsa_wavefront_size32 1
		.amdhsa_uses_dynamic_stack 0
		.amdhsa_enable_private_segment 0
		.amdhsa_system_sgpr_workgroup_id_x 1
		.amdhsa_system_sgpr_workgroup_id_y 0
		.amdhsa_system_sgpr_workgroup_id_z 0
		.amdhsa_system_sgpr_workgroup_info 0
		.amdhsa_system_vgpr_workitem_id 0
		.amdhsa_next_free_vgpr 1
		.amdhsa_next_free_sgpr 1
		.amdhsa_named_barrier_count 0
		.amdhsa_reserve_vcc 0
		.amdhsa_float_round_mode_32 0
		.amdhsa_float_round_mode_16_64 0
		.amdhsa_float_denorm_mode_32 3
		.amdhsa_float_denorm_mode_16_64 3
		.amdhsa_fp16_overflow 0
		.amdhsa_memory_ordered 1
		.amdhsa_forward_progress 1
		.amdhsa_inst_pref_size 0
		.amdhsa_round_robin_scheduling 0
		.amdhsa_exception_fp_ieee_invalid_op 0
		.amdhsa_exception_fp_denorm_src 0
		.amdhsa_exception_fp_ieee_div_zero 0
		.amdhsa_exception_fp_ieee_overflow 0
		.amdhsa_exception_fp_ieee_underflow 0
		.amdhsa_exception_fp_ieee_inexact 0
		.amdhsa_exception_int_div_zero 0
	.end_amdhsa_kernel
	.section	.text._ZN7rocprim17ROCPRIM_400000_NS6detail17trampoline_kernelINS0_14default_configENS1_27scan_by_key_config_selectorIj11FixedVectorIiLj8EEEEZZNS1_16scan_by_key_implILNS1_25lookback_scan_determinismE0ELb0ES3_N6thrust23THRUST_200600_302600_NS6detail15normal_iteratorINSB_10device_ptrIjEEEENSD_INSE_IS6_EEEESI_S6_NSB_4plusIvEENSB_8equal_toIvEES6_EE10hipError_tPvRmT2_T3_T4_T5_mT6_T7_P12ihipStream_tbENKUlT_T0_E_clISt17integral_constantIbLb1EES13_EEDaSY_SZ_EUlSY_E_NS1_11comp_targetILNS1_3genE5ELNS1_11target_archE942ELNS1_3gpuE9ELNS1_3repE0EEENS1_30default_config_static_selectorELNS0_4arch9wavefront6targetE0EEEvT1_,"axG",@progbits,_ZN7rocprim17ROCPRIM_400000_NS6detail17trampoline_kernelINS0_14default_configENS1_27scan_by_key_config_selectorIj11FixedVectorIiLj8EEEEZZNS1_16scan_by_key_implILNS1_25lookback_scan_determinismE0ELb0ES3_N6thrust23THRUST_200600_302600_NS6detail15normal_iteratorINSB_10device_ptrIjEEEENSD_INSE_IS6_EEEESI_S6_NSB_4plusIvEENSB_8equal_toIvEES6_EE10hipError_tPvRmT2_T3_T4_T5_mT6_T7_P12ihipStream_tbENKUlT_T0_E_clISt17integral_constantIbLb1EES13_EEDaSY_SZ_EUlSY_E_NS1_11comp_targetILNS1_3genE5ELNS1_11target_archE942ELNS1_3gpuE9ELNS1_3repE0EEENS1_30default_config_static_selectorELNS0_4arch9wavefront6targetE0EEEvT1_,comdat
.Lfunc_end2128:
	.size	_ZN7rocprim17ROCPRIM_400000_NS6detail17trampoline_kernelINS0_14default_configENS1_27scan_by_key_config_selectorIj11FixedVectorIiLj8EEEEZZNS1_16scan_by_key_implILNS1_25lookback_scan_determinismE0ELb0ES3_N6thrust23THRUST_200600_302600_NS6detail15normal_iteratorINSB_10device_ptrIjEEEENSD_INSE_IS6_EEEESI_S6_NSB_4plusIvEENSB_8equal_toIvEES6_EE10hipError_tPvRmT2_T3_T4_T5_mT6_T7_P12ihipStream_tbENKUlT_T0_E_clISt17integral_constantIbLb1EES13_EEDaSY_SZ_EUlSY_E_NS1_11comp_targetILNS1_3genE5ELNS1_11target_archE942ELNS1_3gpuE9ELNS1_3repE0EEENS1_30default_config_static_selectorELNS0_4arch9wavefront6targetE0EEEvT1_, .Lfunc_end2128-_ZN7rocprim17ROCPRIM_400000_NS6detail17trampoline_kernelINS0_14default_configENS1_27scan_by_key_config_selectorIj11FixedVectorIiLj8EEEEZZNS1_16scan_by_key_implILNS1_25lookback_scan_determinismE0ELb0ES3_N6thrust23THRUST_200600_302600_NS6detail15normal_iteratorINSB_10device_ptrIjEEEENSD_INSE_IS6_EEEESI_S6_NSB_4plusIvEENSB_8equal_toIvEES6_EE10hipError_tPvRmT2_T3_T4_T5_mT6_T7_P12ihipStream_tbENKUlT_T0_E_clISt17integral_constantIbLb1EES13_EEDaSY_SZ_EUlSY_E_NS1_11comp_targetILNS1_3genE5ELNS1_11target_archE942ELNS1_3gpuE9ELNS1_3repE0EEENS1_30default_config_static_selectorELNS0_4arch9wavefront6targetE0EEEvT1_
                                        ; -- End function
	.set _ZN7rocprim17ROCPRIM_400000_NS6detail17trampoline_kernelINS0_14default_configENS1_27scan_by_key_config_selectorIj11FixedVectorIiLj8EEEEZZNS1_16scan_by_key_implILNS1_25lookback_scan_determinismE0ELb0ES3_N6thrust23THRUST_200600_302600_NS6detail15normal_iteratorINSB_10device_ptrIjEEEENSD_INSE_IS6_EEEESI_S6_NSB_4plusIvEENSB_8equal_toIvEES6_EE10hipError_tPvRmT2_T3_T4_T5_mT6_T7_P12ihipStream_tbENKUlT_T0_E_clISt17integral_constantIbLb1EES13_EEDaSY_SZ_EUlSY_E_NS1_11comp_targetILNS1_3genE5ELNS1_11target_archE942ELNS1_3gpuE9ELNS1_3repE0EEENS1_30default_config_static_selectorELNS0_4arch9wavefront6targetE0EEEvT1_.num_vgpr, 0
	.set _ZN7rocprim17ROCPRIM_400000_NS6detail17trampoline_kernelINS0_14default_configENS1_27scan_by_key_config_selectorIj11FixedVectorIiLj8EEEEZZNS1_16scan_by_key_implILNS1_25lookback_scan_determinismE0ELb0ES3_N6thrust23THRUST_200600_302600_NS6detail15normal_iteratorINSB_10device_ptrIjEEEENSD_INSE_IS6_EEEESI_S6_NSB_4plusIvEENSB_8equal_toIvEES6_EE10hipError_tPvRmT2_T3_T4_T5_mT6_T7_P12ihipStream_tbENKUlT_T0_E_clISt17integral_constantIbLb1EES13_EEDaSY_SZ_EUlSY_E_NS1_11comp_targetILNS1_3genE5ELNS1_11target_archE942ELNS1_3gpuE9ELNS1_3repE0EEENS1_30default_config_static_selectorELNS0_4arch9wavefront6targetE0EEEvT1_.num_agpr, 0
	.set _ZN7rocprim17ROCPRIM_400000_NS6detail17trampoline_kernelINS0_14default_configENS1_27scan_by_key_config_selectorIj11FixedVectorIiLj8EEEEZZNS1_16scan_by_key_implILNS1_25lookback_scan_determinismE0ELb0ES3_N6thrust23THRUST_200600_302600_NS6detail15normal_iteratorINSB_10device_ptrIjEEEENSD_INSE_IS6_EEEESI_S6_NSB_4plusIvEENSB_8equal_toIvEES6_EE10hipError_tPvRmT2_T3_T4_T5_mT6_T7_P12ihipStream_tbENKUlT_T0_E_clISt17integral_constantIbLb1EES13_EEDaSY_SZ_EUlSY_E_NS1_11comp_targetILNS1_3genE5ELNS1_11target_archE942ELNS1_3gpuE9ELNS1_3repE0EEENS1_30default_config_static_selectorELNS0_4arch9wavefront6targetE0EEEvT1_.numbered_sgpr, 0
	.set _ZN7rocprim17ROCPRIM_400000_NS6detail17trampoline_kernelINS0_14default_configENS1_27scan_by_key_config_selectorIj11FixedVectorIiLj8EEEEZZNS1_16scan_by_key_implILNS1_25lookback_scan_determinismE0ELb0ES3_N6thrust23THRUST_200600_302600_NS6detail15normal_iteratorINSB_10device_ptrIjEEEENSD_INSE_IS6_EEEESI_S6_NSB_4plusIvEENSB_8equal_toIvEES6_EE10hipError_tPvRmT2_T3_T4_T5_mT6_T7_P12ihipStream_tbENKUlT_T0_E_clISt17integral_constantIbLb1EES13_EEDaSY_SZ_EUlSY_E_NS1_11comp_targetILNS1_3genE5ELNS1_11target_archE942ELNS1_3gpuE9ELNS1_3repE0EEENS1_30default_config_static_selectorELNS0_4arch9wavefront6targetE0EEEvT1_.num_named_barrier, 0
	.set _ZN7rocprim17ROCPRIM_400000_NS6detail17trampoline_kernelINS0_14default_configENS1_27scan_by_key_config_selectorIj11FixedVectorIiLj8EEEEZZNS1_16scan_by_key_implILNS1_25lookback_scan_determinismE0ELb0ES3_N6thrust23THRUST_200600_302600_NS6detail15normal_iteratorINSB_10device_ptrIjEEEENSD_INSE_IS6_EEEESI_S6_NSB_4plusIvEENSB_8equal_toIvEES6_EE10hipError_tPvRmT2_T3_T4_T5_mT6_T7_P12ihipStream_tbENKUlT_T0_E_clISt17integral_constantIbLb1EES13_EEDaSY_SZ_EUlSY_E_NS1_11comp_targetILNS1_3genE5ELNS1_11target_archE942ELNS1_3gpuE9ELNS1_3repE0EEENS1_30default_config_static_selectorELNS0_4arch9wavefront6targetE0EEEvT1_.private_seg_size, 0
	.set _ZN7rocprim17ROCPRIM_400000_NS6detail17trampoline_kernelINS0_14default_configENS1_27scan_by_key_config_selectorIj11FixedVectorIiLj8EEEEZZNS1_16scan_by_key_implILNS1_25lookback_scan_determinismE0ELb0ES3_N6thrust23THRUST_200600_302600_NS6detail15normal_iteratorINSB_10device_ptrIjEEEENSD_INSE_IS6_EEEESI_S6_NSB_4plusIvEENSB_8equal_toIvEES6_EE10hipError_tPvRmT2_T3_T4_T5_mT6_T7_P12ihipStream_tbENKUlT_T0_E_clISt17integral_constantIbLb1EES13_EEDaSY_SZ_EUlSY_E_NS1_11comp_targetILNS1_3genE5ELNS1_11target_archE942ELNS1_3gpuE9ELNS1_3repE0EEENS1_30default_config_static_selectorELNS0_4arch9wavefront6targetE0EEEvT1_.uses_vcc, 0
	.set _ZN7rocprim17ROCPRIM_400000_NS6detail17trampoline_kernelINS0_14default_configENS1_27scan_by_key_config_selectorIj11FixedVectorIiLj8EEEEZZNS1_16scan_by_key_implILNS1_25lookback_scan_determinismE0ELb0ES3_N6thrust23THRUST_200600_302600_NS6detail15normal_iteratorINSB_10device_ptrIjEEEENSD_INSE_IS6_EEEESI_S6_NSB_4plusIvEENSB_8equal_toIvEES6_EE10hipError_tPvRmT2_T3_T4_T5_mT6_T7_P12ihipStream_tbENKUlT_T0_E_clISt17integral_constantIbLb1EES13_EEDaSY_SZ_EUlSY_E_NS1_11comp_targetILNS1_3genE5ELNS1_11target_archE942ELNS1_3gpuE9ELNS1_3repE0EEENS1_30default_config_static_selectorELNS0_4arch9wavefront6targetE0EEEvT1_.uses_flat_scratch, 0
	.set _ZN7rocprim17ROCPRIM_400000_NS6detail17trampoline_kernelINS0_14default_configENS1_27scan_by_key_config_selectorIj11FixedVectorIiLj8EEEEZZNS1_16scan_by_key_implILNS1_25lookback_scan_determinismE0ELb0ES3_N6thrust23THRUST_200600_302600_NS6detail15normal_iteratorINSB_10device_ptrIjEEEENSD_INSE_IS6_EEEESI_S6_NSB_4plusIvEENSB_8equal_toIvEES6_EE10hipError_tPvRmT2_T3_T4_T5_mT6_T7_P12ihipStream_tbENKUlT_T0_E_clISt17integral_constantIbLb1EES13_EEDaSY_SZ_EUlSY_E_NS1_11comp_targetILNS1_3genE5ELNS1_11target_archE942ELNS1_3gpuE9ELNS1_3repE0EEENS1_30default_config_static_selectorELNS0_4arch9wavefront6targetE0EEEvT1_.has_dyn_sized_stack, 0
	.set _ZN7rocprim17ROCPRIM_400000_NS6detail17trampoline_kernelINS0_14default_configENS1_27scan_by_key_config_selectorIj11FixedVectorIiLj8EEEEZZNS1_16scan_by_key_implILNS1_25lookback_scan_determinismE0ELb0ES3_N6thrust23THRUST_200600_302600_NS6detail15normal_iteratorINSB_10device_ptrIjEEEENSD_INSE_IS6_EEEESI_S6_NSB_4plusIvEENSB_8equal_toIvEES6_EE10hipError_tPvRmT2_T3_T4_T5_mT6_T7_P12ihipStream_tbENKUlT_T0_E_clISt17integral_constantIbLb1EES13_EEDaSY_SZ_EUlSY_E_NS1_11comp_targetILNS1_3genE5ELNS1_11target_archE942ELNS1_3gpuE9ELNS1_3repE0EEENS1_30default_config_static_selectorELNS0_4arch9wavefront6targetE0EEEvT1_.has_recursion, 0
	.set _ZN7rocprim17ROCPRIM_400000_NS6detail17trampoline_kernelINS0_14default_configENS1_27scan_by_key_config_selectorIj11FixedVectorIiLj8EEEEZZNS1_16scan_by_key_implILNS1_25lookback_scan_determinismE0ELb0ES3_N6thrust23THRUST_200600_302600_NS6detail15normal_iteratorINSB_10device_ptrIjEEEENSD_INSE_IS6_EEEESI_S6_NSB_4plusIvEENSB_8equal_toIvEES6_EE10hipError_tPvRmT2_T3_T4_T5_mT6_T7_P12ihipStream_tbENKUlT_T0_E_clISt17integral_constantIbLb1EES13_EEDaSY_SZ_EUlSY_E_NS1_11comp_targetILNS1_3genE5ELNS1_11target_archE942ELNS1_3gpuE9ELNS1_3repE0EEENS1_30default_config_static_selectorELNS0_4arch9wavefront6targetE0EEEvT1_.has_indirect_call, 0
	.section	.AMDGPU.csdata,"",@progbits
; Kernel info:
; codeLenInByte = 0
; TotalNumSgprs: 0
; NumVgprs: 0
; ScratchSize: 0
; MemoryBound: 0
; FloatMode: 240
; IeeeMode: 1
; LDSByteSize: 0 bytes/workgroup (compile time only)
; SGPRBlocks: 0
; VGPRBlocks: 0
; NumSGPRsForWavesPerEU: 1
; NumVGPRsForWavesPerEU: 1
; NamedBarCnt: 0
; Occupancy: 16
; WaveLimiterHint : 0
; COMPUTE_PGM_RSRC2:SCRATCH_EN: 0
; COMPUTE_PGM_RSRC2:USER_SGPR: 2
; COMPUTE_PGM_RSRC2:TRAP_HANDLER: 0
; COMPUTE_PGM_RSRC2:TGID_X_EN: 1
; COMPUTE_PGM_RSRC2:TGID_Y_EN: 0
; COMPUTE_PGM_RSRC2:TGID_Z_EN: 0
; COMPUTE_PGM_RSRC2:TIDIG_COMP_CNT: 0
	.section	.text._ZN7rocprim17ROCPRIM_400000_NS6detail17trampoline_kernelINS0_14default_configENS1_27scan_by_key_config_selectorIj11FixedVectorIiLj8EEEEZZNS1_16scan_by_key_implILNS1_25lookback_scan_determinismE0ELb0ES3_N6thrust23THRUST_200600_302600_NS6detail15normal_iteratorINSB_10device_ptrIjEEEENSD_INSE_IS6_EEEESI_S6_NSB_4plusIvEENSB_8equal_toIvEES6_EE10hipError_tPvRmT2_T3_T4_T5_mT6_T7_P12ihipStream_tbENKUlT_T0_E_clISt17integral_constantIbLb1EES13_EEDaSY_SZ_EUlSY_E_NS1_11comp_targetILNS1_3genE4ELNS1_11target_archE910ELNS1_3gpuE8ELNS1_3repE0EEENS1_30default_config_static_selectorELNS0_4arch9wavefront6targetE0EEEvT1_,"axG",@progbits,_ZN7rocprim17ROCPRIM_400000_NS6detail17trampoline_kernelINS0_14default_configENS1_27scan_by_key_config_selectorIj11FixedVectorIiLj8EEEEZZNS1_16scan_by_key_implILNS1_25lookback_scan_determinismE0ELb0ES3_N6thrust23THRUST_200600_302600_NS6detail15normal_iteratorINSB_10device_ptrIjEEEENSD_INSE_IS6_EEEESI_S6_NSB_4plusIvEENSB_8equal_toIvEES6_EE10hipError_tPvRmT2_T3_T4_T5_mT6_T7_P12ihipStream_tbENKUlT_T0_E_clISt17integral_constantIbLb1EES13_EEDaSY_SZ_EUlSY_E_NS1_11comp_targetILNS1_3genE4ELNS1_11target_archE910ELNS1_3gpuE8ELNS1_3repE0EEENS1_30default_config_static_selectorELNS0_4arch9wavefront6targetE0EEEvT1_,comdat
	.protected	_ZN7rocprim17ROCPRIM_400000_NS6detail17trampoline_kernelINS0_14default_configENS1_27scan_by_key_config_selectorIj11FixedVectorIiLj8EEEEZZNS1_16scan_by_key_implILNS1_25lookback_scan_determinismE0ELb0ES3_N6thrust23THRUST_200600_302600_NS6detail15normal_iteratorINSB_10device_ptrIjEEEENSD_INSE_IS6_EEEESI_S6_NSB_4plusIvEENSB_8equal_toIvEES6_EE10hipError_tPvRmT2_T3_T4_T5_mT6_T7_P12ihipStream_tbENKUlT_T0_E_clISt17integral_constantIbLb1EES13_EEDaSY_SZ_EUlSY_E_NS1_11comp_targetILNS1_3genE4ELNS1_11target_archE910ELNS1_3gpuE8ELNS1_3repE0EEENS1_30default_config_static_selectorELNS0_4arch9wavefront6targetE0EEEvT1_ ; -- Begin function _ZN7rocprim17ROCPRIM_400000_NS6detail17trampoline_kernelINS0_14default_configENS1_27scan_by_key_config_selectorIj11FixedVectorIiLj8EEEEZZNS1_16scan_by_key_implILNS1_25lookback_scan_determinismE0ELb0ES3_N6thrust23THRUST_200600_302600_NS6detail15normal_iteratorINSB_10device_ptrIjEEEENSD_INSE_IS6_EEEESI_S6_NSB_4plusIvEENSB_8equal_toIvEES6_EE10hipError_tPvRmT2_T3_T4_T5_mT6_T7_P12ihipStream_tbENKUlT_T0_E_clISt17integral_constantIbLb1EES13_EEDaSY_SZ_EUlSY_E_NS1_11comp_targetILNS1_3genE4ELNS1_11target_archE910ELNS1_3gpuE8ELNS1_3repE0EEENS1_30default_config_static_selectorELNS0_4arch9wavefront6targetE0EEEvT1_
	.globl	_ZN7rocprim17ROCPRIM_400000_NS6detail17trampoline_kernelINS0_14default_configENS1_27scan_by_key_config_selectorIj11FixedVectorIiLj8EEEEZZNS1_16scan_by_key_implILNS1_25lookback_scan_determinismE0ELb0ES3_N6thrust23THRUST_200600_302600_NS6detail15normal_iteratorINSB_10device_ptrIjEEEENSD_INSE_IS6_EEEESI_S6_NSB_4plusIvEENSB_8equal_toIvEES6_EE10hipError_tPvRmT2_T3_T4_T5_mT6_T7_P12ihipStream_tbENKUlT_T0_E_clISt17integral_constantIbLb1EES13_EEDaSY_SZ_EUlSY_E_NS1_11comp_targetILNS1_3genE4ELNS1_11target_archE910ELNS1_3gpuE8ELNS1_3repE0EEENS1_30default_config_static_selectorELNS0_4arch9wavefront6targetE0EEEvT1_
	.p2align	8
	.type	_ZN7rocprim17ROCPRIM_400000_NS6detail17trampoline_kernelINS0_14default_configENS1_27scan_by_key_config_selectorIj11FixedVectorIiLj8EEEEZZNS1_16scan_by_key_implILNS1_25lookback_scan_determinismE0ELb0ES3_N6thrust23THRUST_200600_302600_NS6detail15normal_iteratorINSB_10device_ptrIjEEEENSD_INSE_IS6_EEEESI_S6_NSB_4plusIvEENSB_8equal_toIvEES6_EE10hipError_tPvRmT2_T3_T4_T5_mT6_T7_P12ihipStream_tbENKUlT_T0_E_clISt17integral_constantIbLb1EES13_EEDaSY_SZ_EUlSY_E_NS1_11comp_targetILNS1_3genE4ELNS1_11target_archE910ELNS1_3gpuE8ELNS1_3repE0EEENS1_30default_config_static_selectorELNS0_4arch9wavefront6targetE0EEEvT1_,@function
_ZN7rocprim17ROCPRIM_400000_NS6detail17trampoline_kernelINS0_14default_configENS1_27scan_by_key_config_selectorIj11FixedVectorIiLj8EEEEZZNS1_16scan_by_key_implILNS1_25lookback_scan_determinismE0ELb0ES3_N6thrust23THRUST_200600_302600_NS6detail15normal_iteratorINSB_10device_ptrIjEEEENSD_INSE_IS6_EEEESI_S6_NSB_4plusIvEENSB_8equal_toIvEES6_EE10hipError_tPvRmT2_T3_T4_T5_mT6_T7_P12ihipStream_tbENKUlT_T0_E_clISt17integral_constantIbLb1EES13_EEDaSY_SZ_EUlSY_E_NS1_11comp_targetILNS1_3genE4ELNS1_11target_archE910ELNS1_3gpuE8ELNS1_3repE0EEENS1_30default_config_static_selectorELNS0_4arch9wavefront6targetE0EEEvT1_: ; @_ZN7rocprim17ROCPRIM_400000_NS6detail17trampoline_kernelINS0_14default_configENS1_27scan_by_key_config_selectorIj11FixedVectorIiLj8EEEEZZNS1_16scan_by_key_implILNS1_25lookback_scan_determinismE0ELb0ES3_N6thrust23THRUST_200600_302600_NS6detail15normal_iteratorINSB_10device_ptrIjEEEENSD_INSE_IS6_EEEESI_S6_NSB_4plusIvEENSB_8equal_toIvEES6_EE10hipError_tPvRmT2_T3_T4_T5_mT6_T7_P12ihipStream_tbENKUlT_T0_E_clISt17integral_constantIbLb1EES13_EEDaSY_SZ_EUlSY_E_NS1_11comp_targetILNS1_3genE4ELNS1_11target_archE910ELNS1_3gpuE8ELNS1_3repE0EEENS1_30default_config_static_selectorELNS0_4arch9wavefront6targetE0EEEvT1_
; %bb.0:
	.section	.rodata,"a",@progbits
	.p2align	6, 0x0
	.amdhsa_kernel _ZN7rocprim17ROCPRIM_400000_NS6detail17trampoline_kernelINS0_14default_configENS1_27scan_by_key_config_selectorIj11FixedVectorIiLj8EEEEZZNS1_16scan_by_key_implILNS1_25lookback_scan_determinismE0ELb0ES3_N6thrust23THRUST_200600_302600_NS6detail15normal_iteratorINSB_10device_ptrIjEEEENSD_INSE_IS6_EEEESI_S6_NSB_4plusIvEENSB_8equal_toIvEES6_EE10hipError_tPvRmT2_T3_T4_T5_mT6_T7_P12ihipStream_tbENKUlT_T0_E_clISt17integral_constantIbLb1EES13_EEDaSY_SZ_EUlSY_E_NS1_11comp_targetILNS1_3genE4ELNS1_11target_archE910ELNS1_3gpuE8ELNS1_3repE0EEENS1_30default_config_static_selectorELNS0_4arch9wavefront6targetE0EEEvT1_
		.amdhsa_group_segment_fixed_size 0
		.amdhsa_private_segment_fixed_size 0
		.amdhsa_kernarg_size 160
		.amdhsa_user_sgpr_count 2
		.amdhsa_user_sgpr_dispatch_ptr 0
		.amdhsa_user_sgpr_queue_ptr 0
		.amdhsa_user_sgpr_kernarg_segment_ptr 1
		.amdhsa_user_sgpr_dispatch_id 0
		.amdhsa_user_sgpr_kernarg_preload_length 0
		.amdhsa_user_sgpr_kernarg_preload_offset 0
		.amdhsa_user_sgpr_private_segment_size 0
		.amdhsa_wavefront_size32 1
		.amdhsa_uses_dynamic_stack 0
		.amdhsa_enable_private_segment 0
		.amdhsa_system_sgpr_workgroup_id_x 1
		.amdhsa_system_sgpr_workgroup_id_y 0
		.amdhsa_system_sgpr_workgroup_id_z 0
		.amdhsa_system_sgpr_workgroup_info 0
		.amdhsa_system_vgpr_workitem_id 0
		.amdhsa_next_free_vgpr 1
		.amdhsa_next_free_sgpr 1
		.amdhsa_named_barrier_count 0
		.amdhsa_reserve_vcc 0
		.amdhsa_float_round_mode_32 0
		.amdhsa_float_round_mode_16_64 0
		.amdhsa_float_denorm_mode_32 3
		.amdhsa_float_denorm_mode_16_64 3
		.amdhsa_fp16_overflow 0
		.amdhsa_memory_ordered 1
		.amdhsa_forward_progress 1
		.amdhsa_inst_pref_size 0
		.amdhsa_round_robin_scheduling 0
		.amdhsa_exception_fp_ieee_invalid_op 0
		.amdhsa_exception_fp_denorm_src 0
		.amdhsa_exception_fp_ieee_div_zero 0
		.amdhsa_exception_fp_ieee_overflow 0
		.amdhsa_exception_fp_ieee_underflow 0
		.amdhsa_exception_fp_ieee_inexact 0
		.amdhsa_exception_int_div_zero 0
	.end_amdhsa_kernel
	.section	.text._ZN7rocprim17ROCPRIM_400000_NS6detail17trampoline_kernelINS0_14default_configENS1_27scan_by_key_config_selectorIj11FixedVectorIiLj8EEEEZZNS1_16scan_by_key_implILNS1_25lookback_scan_determinismE0ELb0ES3_N6thrust23THRUST_200600_302600_NS6detail15normal_iteratorINSB_10device_ptrIjEEEENSD_INSE_IS6_EEEESI_S6_NSB_4plusIvEENSB_8equal_toIvEES6_EE10hipError_tPvRmT2_T3_T4_T5_mT6_T7_P12ihipStream_tbENKUlT_T0_E_clISt17integral_constantIbLb1EES13_EEDaSY_SZ_EUlSY_E_NS1_11comp_targetILNS1_3genE4ELNS1_11target_archE910ELNS1_3gpuE8ELNS1_3repE0EEENS1_30default_config_static_selectorELNS0_4arch9wavefront6targetE0EEEvT1_,"axG",@progbits,_ZN7rocprim17ROCPRIM_400000_NS6detail17trampoline_kernelINS0_14default_configENS1_27scan_by_key_config_selectorIj11FixedVectorIiLj8EEEEZZNS1_16scan_by_key_implILNS1_25lookback_scan_determinismE0ELb0ES3_N6thrust23THRUST_200600_302600_NS6detail15normal_iteratorINSB_10device_ptrIjEEEENSD_INSE_IS6_EEEESI_S6_NSB_4plusIvEENSB_8equal_toIvEES6_EE10hipError_tPvRmT2_T3_T4_T5_mT6_T7_P12ihipStream_tbENKUlT_T0_E_clISt17integral_constantIbLb1EES13_EEDaSY_SZ_EUlSY_E_NS1_11comp_targetILNS1_3genE4ELNS1_11target_archE910ELNS1_3gpuE8ELNS1_3repE0EEENS1_30default_config_static_selectorELNS0_4arch9wavefront6targetE0EEEvT1_,comdat
.Lfunc_end2129:
	.size	_ZN7rocprim17ROCPRIM_400000_NS6detail17trampoline_kernelINS0_14default_configENS1_27scan_by_key_config_selectorIj11FixedVectorIiLj8EEEEZZNS1_16scan_by_key_implILNS1_25lookback_scan_determinismE0ELb0ES3_N6thrust23THRUST_200600_302600_NS6detail15normal_iteratorINSB_10device_ptrIjEEEENSD_INSE_IS6_EEEESI_S6_NSB_4plusIvEENSB_8equal_toIvEES6_EE10hipError_tPvRmT2_T3_T4_T5_mT6_T7_P12ihipStream_tbENKUlT_T0_E_clISt17integral_constantIbLb1EES13_EEDaSY_SZ_EUlSY_E_NS1_11comp_targetILNS1_3genE4ELNS1_11target_archE910ELNS1_3gpuE8ELNS1_3repE0EEENS1_30default_config_static_selectorELNS0_4arch9wavefront6targetE0EEEvT1_, .Lfunc_end2129-_ZN7rocprim17ROCPRIM_400000_NS6detail17trampoline_kernelINS0_14default_configENS1_27scan_by_key_config_selectorIj11FixedVectorIiLj8EEEEZZNS1_16scan_by_key_implILNS1_25lookback_scan_determinismE0ELb0ES3_N6thrust23THRUST_200600_302600_NS6detail15normal_iteratorINSB_10device_ptrIjEEEENSD_INSE_IS6_EEEESI_S6_NSB_4plusIvEENSB_8equal_toIvEES6_EE10hipError_tPvRmT2_T3_T4_T5_mT6_T7_P12ihipStream_tbENKUlT_T0_E_clISt17integral_constantIbLb1EES13_EEDaSY_SZ_EUlSY_E_NS1_11comp_targetILNS1_3genE4ELNS1_11target_archE910ELNS1_3gpuE8ELNS1_3repE0EEENS1_30default_config_static_selectorELNS0_4arch9wavefront6targetE0EEEvT1_
                                        ; -- End function
	.set _ZN7rocprim17ROCPRIM_400000_NS6detail17trampoline_kernelINS0_14default_configENS1_27scan_by_key_config_selectorIj11FixedVectorIiLj8EEEEZZNS1_16scan_by_key_implILNS1_25lookback_scan_determinismE0ELb0ES3_N6thrust23THRUST_200600_302600_NS6detail15normal_iteratorINSB_10device_ptrIjEEEENSD_INSE_IS6_EEEESI_S6_NSB_4plusIvEENSB_8equal_toIvEES6_EE10hipError_tPvRmT2_T3_T4_T5_mT6_T7_P12ihipStream_tbENKUlT_T0_E_clISt17integral_constantIbLb1EES13_EEDaSY_SZ_EUlSY_E_NS1_11comp_targetILNS1_3genE4ELNS1_11target_archE910ELNS1_3gpuE8ELNS1_3repE0EEENS1_30default_config_static_selectorELNS0_4arch9wavefront6targetE0EEEvT1_.num_vgpr, 0
	.set _ZN7rocprim17ROCPRIM_400000_NS6detail17trampoline_kernelINS0_14default_configENS1_27scan_by_key_config_selectorIj11FixedVectorIiLj8EEEEZZNS1_16scan_by_key_implILNS1_25lookback_scan_determinismE0ELb0ES3_N6thrust23THRUST_200600_302600_NS6detail15normal_iteratorINSB_10device_ptrIjEEEENSD_INSE_IS6_EEEESI_S6_NSB_4plusIvEENSB_8equal_toIvEES6_EE10hipError_tPvRmT2_T3_T4_T5_mT6_T7_P12ihipStream_tbENKUlT_T0_E_clISt17integral_constantIbLb1EES13_EEDaSY_SZ_EUlSY_E_NS1_11comp_targetILNS1_3genE4ELNS1_11target_archE910ELNS1_3gpuE8ELNS1_3repE0EEENS1_30default_config_static_selectorELNS0_4arch9wavefront6targetE0EEEvT1_.num_agpr, 0
	.set _ZN7rocprim17ROCPRIM_400000_NS6detail17trampoline_kernelINS0_14default_configENS1_27scan_by_key_config_selectorIj11FixedVectorIiLj8EEEEZZNS1_16scan_by_key_implILNS1_25lookback_scan_determinismE0ELb0ES3_N6thrust23THRUST_200600_302600_NS6detail15normal_iteratorINSB_10device_ptrIjEEEENSD_INSE_IS6_EEEESI_S6_NSB_4plusIvEENSB_8equal_toIvEES6_EE10hipError_tPvRmT2_T3_T4_T5_mT6_T7_P12ihipStream_tbENKUlT_T0_E_clISt17integral_constantIbLb1EES13_EEDaSY_SZ_EUlSY_E_NS1_11comp_targetILNS1_3genE4ELNS1_11target_archE910ELNS1_3gpuE8ELNS1_3repE0EEENS1_30default_config_static_selectorELNS0_4arch9wavefront6targetE0EEEvT1_.numbered_sgpr, 0
	.set _ZN7rocprim17ROCPRIM_400000_NS6detail17trampoline_kernelINS0_14default_configENS1_27scan_by_key_config_selectorIj11FixedVectorIiLj8EEEEZZNS1_16scan_by_key_implILNS1_25lookback_scan_determinismE0ELb0ES3_N6thrust23THRUST_200600_302600_NS6detail15normal_iteratorINSB_10device_ptrIjEEEENSD_INSE_IS6_EEEESI_S6_NSB_4plusIvEENSB_8equal_toIvEES6_EE10hipError_tPvRmT2_T3_T4_T5_mT6_T7_P12ihipStream_tbENKUlT_T0_E_clISt17integral_constantIbLb1EES13_EEDaSY_SZ_EUlSY_E_NS1_11comp_targetILNS1_3genE4ELNS1_11target_archE910ELNS1_3gpuE8ELNS1_3repE0EEENS1_30default_config_static_selectorELNS0_4arch9wavefront6targetE0EEEvT1_.num_named_barrier, 0
	.set _ZN7rocprim17ROCPRIM_400000_NS6detail17trampoline_kernelINS0_14default_configENS1_27scan_by_key_config_selectorIj11FixedVectorIiLj8EEEEZZNS1_16scan_by_key_implILNS1_25lookback_scan_determinismE0ELb0ES3_N6thrust23THRUST_200600_302600_NS6detail15normal_iteratorINSB_10device_ptrIjEEEENSD_INSE_IS6_EEEESI_S6_NSB_4plusIvEENSB_8equal_toIvEES6_EE10hipError_tPvRmT2_T3_T4_T5_mT6_T7_P12ihipStream_tbENKUlT_T0_E_clISt17integral_constantIbLb1EES13_EEDaSY_SZ_EUlSY_E_NS1_11comp_targetILNS1_3genE4ELNS1_11target_archE910ELNS1_3gpuE8ELNS1_3repE0EEENS1_30default_config_static_selectorELNS0_4arch9wavefront6targetE0EEEvT1_.private_seg_size, 0
	.set _ZN7rocprim17ROCPRIM_400000_NS6detail17trampoline_kernelINS0_14default_configENS1_27scan_by_key_config_selectorIj11FixedVectorIiLj8EEEEZZNS1_16scan_by_key_implILNS1_25lookback_scan_determinismE0ELb0ES3_N6thrust23THRUST_200600_302600_NS6detail15normal_iteratorINSB_10device_ptrIjEEEENSD_INSE_IS6_EEEESI_S6_NSB_4plusIvEENSB_8equal_toIvEES6_EE10hipError_tPvRmT2_T3_T4_T5_mT6_T7_P12ihipStream_tbENKUlT_T0_E_clISt17integral_constantIbLb1EES13_EEDaSY_SZ_EUlSY_E_NS1_11comp_targetILNS1_3genE4ELNS1_11target_archE910ELNS1_3gpuE8ELNS1_3repE0EEENS1_30default_config_static_selectorELNS0_4arch9wavefront6targetE0EEEvT1_.uses_vcc, 0
	.set _ZN7rocprim17ROCPRIM_400000_NS6detail17trampoline_kernelINS0_14default_configENS1_27scan_by_key_config_selectorIj11FixedVectorIiLj8EEEEZZNS1_16scan_by_key_implILNS1_25lookback_scan_determinismE0ELb0ES3_N6thrust23THRUST_200600_302600_NS6detail15normal_iteratorINSB_10device_ptrIjEEEENSD_INSE_IS6_EEEESI_S6_NSB_4plusIvEENSB_8equal_toIvEES6_EE10hipError_tPvRmT2_T3_T4_T5_mT6_T7_P12ihipStream_tbENKUlT_T0_E_clISt17integral_constantIbLb1EES13_EEDaSY_SZ_EUlSY_E_NS1_11comp_targetILNS1_3genE4ELNS1_11target_archE910ELNS1_3gpuE8ELNS1_3repE0EEENS1_30default_config_static_selectorELNS0_4arch9wavefront6targetE0EEEvT1_.uses_flat_scratch, 0
	.set _ZN7rocprim17ROCPRIM_400000_NS6detail17trampoline_kernelINS0_14default_configENS1_27scan_by_key_config_selectorIj11FixedVectorIiLj8EEEEZZNS1_16scan_by_key_implILNS1_25lookback_scan_determinismE0ELb0ES3_N6thrust23THRUST_200600_302600_NS6detail15normal_iteratorINSB_10device_ptrIjEEEENSD_INSE_IS6_EEEESI_S6_NSB_4plusIvEENSB_8equal_toIvEES6_EE10hipError_tPvRmT2_T3_T4_T5_mT6_T7_P12ihipStream_tbENKUlT_T0_E_clISt17integral_constantIbLb1EES13_EEDaSY_SZ_EUlSY_E_NS1_11comp_targetILNS1_3genE4ELNS1_11target_archE910ELNS1_3gpuE8ELNS1_3repE0EEENS1_30default_config_static_selectorELNS0_4arch9wavefront6targetE0EEEvT1_.has_dyn_sized_stack, 0
	.set _ZN7rocprim17ROCPRIM_400000_NS6detail17trampoline_kernelINS0_14default_configENS1_27scan_by_key_config_selectorIj11FixedVectorIiLj8EEEEZZNS1_16scan_by_key_implILNS1_25lookback_scan_determinismE0ELb0ES3_N6thrust23THRUST_200600_302600_NS6detail15normal_iteratorINSB_10device_ptrIjEEEENSD_INSE_IS6_EEEESI_S6_NSB_4plusIvEENSB_8equal_toIvEES6_EE10hipError_tPvRmT2_T3_T4_T5_mT6_T7_P12ihipStream_tbENKUlT_T0_E_clISt17integral_constantIbLb1EES13_EEDaSY_SZ_EUlSY_E_NS1_11comp_targetILNS1_3genE4ELNS1_11target_archE910ELNS1_3gpuE8ELNS1_3repE0EEENS1_30default_config_static_selectorELNS0_4arch9wavefront6targetE0EEEvT1_.has_recursion, 0
	.set _ZN7rocprim17ROCPRIM_400000_NS6detail17trampoline_kernelINS0_14default_configENS1_27scan_by_key_config_selectorIj11FixedVectorIiLj8EEEEZZNS1_16scan_by_key_implILNS1_25lookback_scan_determinismE0ELb0ES3_N6thrust23THRUST_200600_302600_NS6detail15normal_iteratorINSB_10device_ptrIjEEEENSD_INSE_IS6_EEEESI_S6_NSB_4plusIvEENSB_8equal_toIvEES6_EE10hipError_tPvRmT2_T3_T4_T5_mT6_T7_P12ihipStream_tbENKUlT_T0_E_clISt17integral_constantIbLb1EES13_EEDaSY_SZ_EUlSY_E_NS1_11comp_targetILNS1_3genE4ELNS1_11target_archE910ELNS1_3gpuE8ELNS1_3repE0EEENS1_30default_config_static_selectorELNS0_4arch9wavefront6targetE0EEEvT1_.has_indirect_call, 0
	.section	.AMDGPU.csdata,"",@progbits
; Kernel info:
; codeLenInByte = 0
; TotalNumSgprs: 0
; NumVgprs: 0
; ScratchSize: 0
; MemoryBound: 0
; FloatMode: 240
; IeeeMode: 1
; LDSByteSize: 0 bytes/workgroup (compile time only)
; SGPRBlocks: 0
; VGPRBlocks: 0
; NumSGPRsForWavesPerEU: 1
; NumVGPRsForWavesPerEU: 1
; NamedBarCnt: 0
; Occupancy: 16
; WaveLimiterHint : 0
; COMPUTE_PGM_RSRC2:SCRATCH_EN: 0
; COMPUTE_PGM_RSRC2:USER_SGPR: 2
; COMPUTE_PGM_RSRC2:TRAP_HANDLER: 0
; COMPUTE_PGM_RSRC2:TGID_X_EN: 1
; COMPUTE_PGM_RSRC2:TGID_Y_EN: 0
; COMPUTE_PGM_RSRC2:TGID_Z_EN: 0
; COMPUTE_PGM_RSRC2:TIDIG_COMP_CNT: 0
	.section	.text._ZN7rocprim17ROCPRIM_400000_NS6detail17trampoline_kernelINS0_14default_configENS1_27scan_by_key_config_selectorIj11FixedVectorIiLj8EEEEZZNS1_16scan_by_key_implILNS1_25lookback_scan_determinismE0ELb0ES3_N6thrust23THRUST_200600_302600_NS6detail15normal_iteratorINSB_10device_ptrIjEEEENSD_INSE_IS6_EEEESI_S6_NSB_4plusIvEENSB_8equal_toIvEES6_EE10hipError_tPvRmT2_T3_T4_T5_mT6_T7_P12ihipStream_tbENKUlT_T0_E_clISt17integral_constantIbLb1EES13_EEDaSY_SZ_EUlSY_E_NS1_11comp_targetILNS1_3genE3ELNS1_11target_archE908ELNS1_3gpuE7ELNS1_3repE0EEENS1_30default_config_static_selectorELNS0_4arch9wavefront6targetE0EEEvT1_,"axG",@progbits,_ZN7rocprim17ROCPRIM_400000_NS6detail17trampoline_kernelINS0_14default_configENS1_27scan_by_key_config_selectorIj11FixedVectorIiLj8EEEEZZNS1_16scan_by_key_implILNS1_25lookback_scan_determinismE0ELb0ES3_N6thrust23THRUST_200600_302600_NS6detail15normal_iteratorINSB_10device_ptrIjEEEENSD_INSE_IS6_EEEESI_S6_NSB_4plusIvEENSB_8equal_toIvEES6_EE10hipError_tPvRmT2_T3_T4_T5_mT6_T7_P12ihipStream_tbENKUlT_T0_E_clISt17integral_constantIbLb1EES13_EEDaSY_SZ_EUlSY_E_NS1_11comp_targetILNS1_3genE3ELNS1_11target_archE908ELNS1_3gpuE7ELNS1_3repE0EEENS1_30default_config_static_selectorELNS0_4arch9wavefront6targetE0EEEvT1_,comdat
	.protected	_ZN7rocprim17ROCPRIM_400000_NS6detail17trampoline_kernelINS0_14default_configENS1_27scan_by_key_config_selectorIj11FixedVectorIiLj8EEEEZZNS1_16scan_by_key_implILNS1_25lookback_scan_determinismE0ELb0ES3_N6thrust23THRUST_200600_302600_NS6detail15normal_iteratorINSB_10device_ptrIjEEEENSD_INSE_IS6_EEEESI_S6_NSB_4plusIvEENSB_8equal_toIvEES6_EE10hipError_tPvRmT2_T3_T4_T5_mT6_T7_P12ihipStream_tbENKUlT_T0_E_clISt17integral_constantIbLb1EES13_EEDaSY_SZ_EUlSY_E_NS1_11comp_targetILNS1_3genE3ELNS1_11target_archE908ELNS1_3gpuE7ELNS1_3repE0EEENS1_30default_config_static_selectorELNS0_4arch9wavefront6targetE0EEEvT1_ ; -- Begin function _ZN7rocprim17ROCPRIM_400000_NS6detail17trampoline_kernelINS0_14default_configENS1_27scan_by_key_config_selectorIj11FixedVectorIiLj8EEEEZZNS1_16scan_by_key_implILNS1_25lookback_scan_determinismE0ELb0ES3_N6thrust23THRUST_200600_302600_NS6detail15normal_iteratorINSB_10device_ptrIjEEEENSD_INSE_IS6_EEEESI_S6_NSB_4plusIvEENSB_8equal_toIvEES6_EE10hipError_tPvRmT2_T3_T4_T5_mT6_T7_P12ihipStream_tbENKUlT_T0_E_clISt17integral_constantIbLb1EES13_EEDaSY_SZ_EUlSY_E_NS1_11comp_targetILNS1_3genE3ELNS1_11target_archE908ELNS1_3gpuE7ELNS1_3repE0EEENS1_30default_config_static_selectorELNS0_4arch9wavefront6targetE0EEEvT1_
	.globl	_ZN7rocprim17ROCPRIM_400000_NS6detail17trampoline_kernelINS0_14default_configENS1_27scan_by_key_config_selectorIj11FixedVectorIiLj8EEEEZZNS1_16scan_by_key_implILNS1_25lookback_scan_determinismE0ELb0ES3_N6thrust23THRUST_200600_302600_NS6detail15normal_iteratorINSB_10device_ptrIjEEEENSD_INSE_IS6_EEEESI_S6_NSB_4plusIvEENSB_8equal_toIvEES6_EE10hipError_tPvRmT2_T3_T4_T5_mT6_T7_P12ihipStream_tbENKUlT_T0_E_clISt17integral_constantIbLb1EES13_EEDaSY_SZ_EUlSY_E_NS1_11comp_targetILNS1_3genE3ELNS1_11target_archE908ELNS1_3gpuE7ELNS1_3repE0EEENS1_30default_config_static_selectorELNS0_4arch9wavefront6targetE0EEEvT1_
	.p2align	8
	.type	_ZN7rocprim17ROCPRIM_400000_NS6detail17trampoline_kernelINS0_14default_configENS1_27scan_by_key_config_selectorIj11FixedVectorIiLj8EEEEZZNS1_16scan_by_key_implILNS1_25lookback_scan_determinismE0ELb0ES3_N6thrust23THRUST_200600_302600_NS6detail15normal_iteratorINSB_10device_ptrIjEEEENSD_INSE_IS6_EEEESI_S6_NSB_4plusIvEENSB_8equal_toIvEES6_EE10hipError_tPvRmT2_T3_T4_T5_mT6_T7_P12ihipStream_tbENKUlT_T0_E_clISt17integral_constantIbLb1EES13_EEDaSY_SZ_EUlSY_E_NS1_11comp_targetILNS1_3genE3ELNS1_11target_archE908ELNS1_3gpuE7ELNS1_3repE0EEENS1_30default_config_static_selectorELNS0_4arch9wavefront6targetE0EEEvT1_,@function
_ZN7rocprim17ROCPRIM_400000_NS6detail17trampoline_kernelINS0_14default_configENS1_27scan_by_key_config_selectorIj11FixedVectorIiLj8EEEEZZNS1_16scan_by_key_implILNS1_25lookback_scan_determinismE0ELb0ES3_N6thrust23THRUST_200600_302600_NS6detail15normal_iteratorINSB_10device_ptrIjEEEENSD_INSE_IS6_EEEESI_S6_NSB_4plusIvEENSB_8equal_toIvEES6_EE10hipError_tPvRmT2_T3_T4_T5_mT6_T7_P12ihipStream_tbENKUlT_T0_E_clISt17integral_constantIbLb1EES13_EEDaSY_SZ_EUlSY_E_NS1_11comp_targetILNS1_3genE3ELNS1_11target_archE908ELNS1_3gpuE7ELNS1_3repE0EEENS1_30default_config_static_selectorELNS0_4arch9wavefront6targetE0EEEvT1_: ; @_ZN7rocprim17ROCPRIM_400000_NS6detail17trampoline_kernelINS0_14default_configENS1_27scan_by_key_config_selectorIj11FixedVectorIiLj8EEEEZZNS1_16scan_by_key_implILNS1_25lookback_scan_determinismE0ELb0ES3_N6thrust23THRUST_200600_302600_NS6detail15normal_iteratorINSB_10device_ptrIjEEEENSD_INSE_IS6_EEEESI_S6_NSB_4plusIvEENSB_8equal_toIvEES6_EE10hipError_tPvRmT2_T3_T4_T5_mT6_T7_P12ihipStream_tbENKUlT_T0_E_clISt17integral_constantIbLb1EES13_EEDaSY_SZ_EUlSY_E_NS1_11comp_targetILNS1_3genE3ELNS1_11target_archE908ELNS1_3gpuE7ELNS1_3repE0EEENS1_30default_config_static_selectorELNS0_4arch9wavefront6targetE0EEEvT1_
; %bb.0:
	.section	.rodata,"a",@progbits
	.p2align	6, 0x0
	.amdhsa_kernel _ZN7rocprim17ROCPRIM_400000_NS6detail17trampoline_kernelINS0_14default_configENS1_27scan_by_key_config_selectorIj11FixedVectorIiLj8EEEEZZNS1_16scan_by_key_implILNS1_25lookback_scan_determinismE0ELb0ES3_N6thrust23THRUST_200600_302600_NS6detail15normal_iteratorINSB_10device_ptrIjEEEENSD_INSE_IS6_EEEESI_S6_NSB_4plusIvEENSB_8equal_toIvEES6_EE10hipError_tPvRmT2_T3_T4_T5_mT6_T7_P12ihipStream_tbENKUlT_T0_E_clISt17integral_constantIbLb1EES13_EEDaSY_SZ_EUlSY_E_NS1_11comp_targetILNS1_3genE3ELNS1_11target_archE908ELNS1_3gpuE7ELNS1_3repE0EEENS1_30default_config_static_selectorELNS0_4arch9wavefront6targetE0EEEvT1_
		.amdhsa_group_segment_fixed_size 0
		.amdhsa_private_segment_fixed_size 0
		.amdhsa_kernarg_size 160
		.amdhsa_user_sgpr_count 2
		.amdhsa_user_sgpr_dispatch_ptr 0
		.amdhsa_user_sgpr_queue_ptr 0
		.amdhsa_user_sgpr_kernarg_segment_ptr 1
		.amdhsa_user_sgpr_dispatch_id 0
		.amdhsa_user_sgpr_kernarg_preload_length 0
		.amdhsa_user_sgpr_kernarg_preload_offset 0
		.amdhsa_user_sgpr_private_segment_size 0
		.amdhsa_wavefront_size32 1
		.amdhsa_uses_dynamic_stack 0
		.amdhsa_enable_private_segment 0
		.amdhsa_system_sgpr_workgroup_id_x 1
		.amdhsa_system_sgpr_workgroup_id_y 0
		.amdhsa_system_sgpr_workgroup_id_z 0
		.amdhsa_system_sgpr_workgroup_info 0
		.amdhsa_system_vgpr_workitem_id 0
		.amdhsa_next_free_vgpr 1
		.amdhsa_next_free_sgpr 1
		.amdhsa_named_barrier_count 0
		.amdhsa_reserve_vcc 0
		.amdhsa_float_round_mode_32 0
		.amdhsa_float_round_mode_16_64 0
		.amdhsa_float_denorm_mode_32 3
		.amdhsa_float_denorm_mode_16_64 3
		.amdhsa_fp16_overflow 0
		.amdhsa_memory_ordered 1
		.amdhsa_forward_progress 1
		.amdhsa_inst_pref_size 0
		.amdhsa_round_robin_scheduling 0
		.amdhsa_exception_fp_ieee_invalid_op 0
		.amdhsa_exception_fp_denorm_src 0
		.amdhsa_exception_fp_ieee_div_zero 0
		.amdhsa_exception_fp_ieee_overflow 0
		.amdhsa_exception_fp_ieee_underflow 0
		.amdhsa_exception_fp_ieee_inexact 0
		.amdhsa_exception_int_div_zero 0
	.end_amdhsa_kernel
	.section	.text._ZN7rocprim17ROCPRIM_400000_NS6detail17trampoline_kernelINS0_14default_configENS1_27scan_by_key_config_selectorIj11FixedVectorIiLj8EEEEZZNS1_16scan_by_key_implILNS1_25lookback_scan_determinismE0ELb0ES3_N6thrust23THRUST_200600_302600_NS6detail15normal_iteratorINSB_10device_ptrIjEEEENSD_INSE_IS6_EEEESI_S6_NSB_4plusIvEENSB_8equal_toIvEES6_EE10hipError_tPvRmT2_T3_T4_T5_mT6_T7_P12ihipStream_tbENKUlT_T0_E_clISt17integral_constantIbLb1EES13_EEDaSY_SZ_EUlSY_E_NS1_11comp_targetILNS1_3genE3ELNS1_11target_archE908ELNS1_3gpuE7ELNS1_3repE0EEENS1_30default_config_static_selectorELNS0_4arch9wavefront6targetE0EEEvT1_,"axG",@progbits,_ZN7rocprim17ROCPRIM_400000_NS6detail17trampoline_kernelINS0_14default_configENS1_27scan_by_key_config_selectorIj11FixedVectorIiLj8EEEEZZNS1_16scan_by_key_implILNS1_25lookback_scan_determinismE0ELb0ES3_N6thrust23THRUST_200600_302600_NS6detail15normal_iteratorINSB_10device_ptrIjEEEENSD_INSE_IS6_EEEESI_S6_NSB_4plusIvEENSB_8equal_toIvEES6_EE10hipError_tPvRmT2_T3_T4_T5_mT6_T7_P12ihipStream_tbENKUlT_T0_E_clISt17integral_constantIbLb1EES13_EEDaSY_SZ_EUlSY_E_NS1_11comp_targetILNS1_3genE3ELNS1_11target_archE908ELNS1_3gpuE7ELNS1_3repE0EEENS1_30default_config_static_selectorELNS0_4arch9wavefront6targetE0EEEvT1_,comdat
.Lfunc_end2130:
	.size	_ZN7rocprim17ROCPRIM_400000_NS6detail17trampoline_kernelINS0_14default_configENS1_27scan_by_key_config_selectorIj11FixedVectorIiLj8EEEEZZNS1_16scan_by_key_implILNS1_25lookback_scan_determinismE0ELb0ES3_N6thrust23THRUST_200600_302600_NS6detail15normal_iteratorINSB_10device_ptrIjEEEENSD_INSE_IS6_EEEESI_S6_NSB_4plusIvEENSB_8equal_toIvEES6_EE10hipError_tPvRmT2_T3_T4_T5_mT6_T7_P12ihipStream_tbENKUlT_T0_E_clISt17integral_constantIbLb1EES13_EEDaSY_SZ_EUlSY_E_NS1_11comp_targetILNS1_3genE3ELNS1_11target_archE908ELNS1_3gpuE7ELNS1_3repE0EEENS1_30default_config_static_selectorELNS0_4arch9wavefront6targetE0EEEvT1_, .Lfunc_end2130-_ZN7rocprim17ROCPRIM_400000_NS6detail17trampoline_kernelINS0_14default_configENS1_27scan_by_key_config_selectorIj11FixedVectorIiLj8EEEEZZNS1_16scan_by_key_implILNS1_25lookback_scan_determinismE0ELb0ES3_N6thrust23THRUST_200600_302600_NS6detail15normal_iteratorINSB_10device_ptrIjEEEENSD_INSE_IS6_EEEESI_S6_NSB_4plusIvEENSB_8equal_toIvEES6_EE10hipError_tPvRmT2_T3_T4_T5_mT6_T7_P12ihipStream_tbENKUlT_T0_E_clISt17integral_constantIbLb1EES13_EEDaSY_SZ_EUlSY_E_NS1_11comp_targetILNS1_3genE3ELNS1_11target_archE908ELNS1_3gpuE7ELNS1_3repE0EEENS1_30default_config_static_selectorELNS0_4arch9wavefront6targetE0EEEvT1_
                                        ; -- End function
	.set _ZN7rocprim17ROCPRIM_400000_NS6detail17trampoline_kernelINS0_14default_configENS1_27scan_by_key_config_selectorIj11FixedVectorIiLj8EEEEZZNS1_16scan_by_key_implILNS1_25lookback_scan_determinismE0ELb0ES3_N6thrust23THRUST_200600_302600_NS6detail15normal_iteratorINSB_10device_ptrIjEEEENSD_INSE_IS6_EEEESI_S6_NSB_4plusIvEENSB_8equal_toIvEES6_EE10hipError_tPvRmT2_T3_T4_T5_mT6_T7_P12ihipStream_tbENKUlT_T0_E_clISt17integral_constantIbLb1EES13_EEDaSY_SZ_EUlSY_E_NS1_11comp_targetILNS1_3genE3ELNS1_11target_archE908ELNS1_3gpuE7ELNS1_3repE0EEENS1_30default_config_static_selectorELNS0_4arch9wavefront6targetE0EEEvT1_.num_vgpr, 0
	.set _ZN7rocprim17ROCPRIM_400000_NS6detail17trampoline_kernelINS0_14default_configENS1_27scan_by_key_config_selectorIj11FixedVectorIiLj8EEEEZZNS1_16scan_by_key_implILNS1_25lookback_scan_determinismE0ELb0ES3_N6thrust23THRUST_200600_302600_NS6detail15normal_iteratorINSB_10device_ptrIjEEEENSD_INSE_IS6_EEEESI_S6_NSB_4plusIvEENSB_8equal_toIvEES6_EE10hipError_tPvRmT2_T3_T4_T5_mT6_T7_P12ihipStream_tbENKUlT_T0_E_clISt17integral_constantIbLb1EES13_EEDaSY_SZ_EUlSY_E_NS1_11comp_targetILNS1_3genE3ELNS1_11target_archE908ELNS1_3gpuE7ELNS1_3repE0EEENS1_30default_config_static_selectorELNS0_4arch9wavefront6targetE0EEEvT1_.num_agpr, 0
	.set _ZN7rocprim17ROCPRIM_400000_NS6detail17trampoline_kernelINS0_14default_configENS1_27scan_by_key_config_selectorIj11FixedVectorIiLj8EEEEZZNS1_16scan_by_key_implILNS1_25lookback_scan_determinismE0ELb0ES3_N6thrust23THRUST_200600_302600_NS6detail15normal_iteratorINSB_10device_ptrIjEEEENSD_INSE_IS6_EEEESI_S6_NSB_4plusIvEENSB_8equal_toIvEES6_EE10hipError_tPvRmT2_T3_T4_T5_mT6_T7_P12ihipStream_tbENKUlT_T0_E_clISt17integral_constantIbLb1EES13_EEDaSY_SZ_EUlSY_E_NS1_11comp_targetILNS1_3genE3ELNS1_11target_archE908ELNS1_3gpuE7ELNS1_3repE0EEENS1_30default_config_static_selectorELNS0_4arch9wavefront6targetE0EEEvT1_.numbered_sgpr, 0
	.set _ZN7rocprim17ROCPRIM_400000_NS6detail17trampoline_kernelINS0_14default_configENS1_27scan_by_key_config_selectorIj11FixedVectorIiLj8EEEEZZNS1_16scan_by_key_implILNS1_25lookback_scan_determinismE0ELb0ES3_N6thrust23THRUST_200600_302600_NS6detail15normal_iteratorINSB_10device_ptrIjEEEENSD_INSE_IS6_EEEESI_S6_NSB_4plusIvEENSB_8equal_toIvEES6_EE10hipError_tPvRmT2_T3_T4_T5_mT6_T7_P12ihipStream_tbENKUlT_T0_E_clISt17integral_constantIbLb1EES13_EEDaSY_SZ_EUlSY_E_NS1_11comp_targetILNS1_3genE3ELNS1_11target_archE908ELNS1_3gpuE7ELNS1_3repE0EEENS1_30default_config_static_selectorELNS0_4arch9wavefront6targetE0EEEvT1_.num_named_barrier, 0
	.set _ZN7rocprim17ROCPRIM_400000_NS6detail17trampoline_kernelINS0_14default_configENS1_27scan_by_key_config_selectorIj11FixedVectorIiLj8EEEEZZNS1_16scan_by_key_implILNS1_25lookback_scan_determinismE0ELb0ES3_N6thrust23THRUST_200600_302600_NS6detail15normal_iteratorINSB_10device_ptrIjEEEENSD_INSE_IS6_EEEESI_S6_NSB_4plusIvEENSB_8equal_toIvEES6_EE10hipError_tPvRmT2_T3_T4_T5_mT6_T7_P12ihipStream_tbENKUlT_T0_E_clISt17integral_constantIbLb1EES13_EEDaSY_SZ_EUlSY_E_NS1_11comp_targetILNS1_3genE3ELNS1_11target_archE908ELNS1_3gpuE7ELNS1_3repE0EEENS1_30default_config_static_selectorELNS0_4arch9wavefront6targetE0EEEvT1_.private_seg_size, 0
	.set _ZN7rocprim17ROCPRIM_400000_NS6detail17trampoline_kernelINS0_14default_configENS1_27scan_by_key_config_selectorIj11FixedVectorIiLj8EEEEZZNS1_16scan_by_key_implILNS1_25lookback_scan_determinismE0ELb0ES3_N6thrust23THRUST_200600_302600_NS6detail15normal_iteratorINSB_10device_ptrIjEEEENSD_INSE_IS6_EEEESI_S6_NSB_4plusIvEENSB_8equal_toIvEES6_EE10hipError_tPvRmT2_T3_T4_T5_mT6_T7_P12ihipStream_tbENKUlT_T0_E_clISt17integral_constantIbLb1EES13_EEDaSY_SZ_EUlSY_E_NS1_11comp_targetILNS1_3genE3ELNS1_11target_archE908ELNS1_3gpuE7ELNS1_3repE0EEENS1_30default_config_static_selectorELNS0_4arch9wavefront6targetE0EEEvT1_.uses_vcc, 0
	.set _ZN7rocprim17ROCPRIM_400000_NS6detail17trampoline_kernelINS0_14default_configENS1_27scan_by_key_config_selectorIj11FixedVectorIiLj8EEEEZZNS1_16scan_by_key_implILNS1_25lookback_scan_determinismE0ELb0ES3_N6thrust23THRUST_200600_302600_NS6detail15normal_iteratorINSB_10device_ptrIjEEEENSD_INSE_IS6_EEEESI_S6_NSB_4plusIvEENSB_8equal_toIvEES6_EE10hipError_tPvRmT2_T3_T4_T5_mT6_T7_P12ihipStream_tbENKUlT_T0_E_clISt17integral_constantIbLb1EES13_EEDaSY_SZ_EUlSY_E_NS1_11comp_targetILNS1_3genE3ELNS1_11target_archE908ELNS1_3gpuE7ELNS1_3repE0EEENS1_30default_config_static_selectorELNS0_4arch9wavefront6targetE0EEEvT1_.uses_flat_scratch, 0
	.set _ZN7rocprim17ROCPRIM_400000_NS6detail17trampoline_kernelINS0_14default_configENS1_27scan_by_key_config_selectorIj11FixedVectorIiLj8EEEEZZNS1_16scan_by_key_implILNS1_25lookback_scan_determinismE0ELb0ES3_N6thrust23THRUST_200600_302600_NS6detail15normal_iteratorINSB_10device_ptrIjEEEENSD_INSE_IS6_EEEESI_S6_NSB_4plusIvEENSB_8equal_toIvEES6_EE10hipError_tPvRmT2_T3_T4_T5_mT6_T7_P12ihipStream_tbENKUlT_T0_E_clISt17integral_constantIbLb1EES13_EEDaSY_SZ_EUlSY_E_NS1_11comp_targetILNS1_3genE3ELNS1_11target_archE908ELNS1_3gpuE7ELNS1_3repE0EEENS1_30default_config_static_selectorELNS0_4arch9wavefront6targetE0EEEvT1_.has_dyn_sized_stack, 0
	.set _ZN7rocprim17ROCPRIM_400000_NS6detail17trampoline_kernelINS0_14default_configENS1_27scan_by_key_config_selectorIj11FixedVectorIiLj8EEEEZZNS1_16scan_by_key_implILNS1_25lookback_scan_determinismE0ELb0ES3_N6thrust23THRUST_200600_302600_NS6detail15normal_iteratorINSB_10device_ptrIjEEEENSD_INSE_IS6_EEEESI_S6_NSB_4plusIvEENSB_8equal_toIvEES6_EE10hipError_tPvRmT2_T3_T4_T5_mT6_T7_P12ihipStream_tbENKUlT_T0_E_clISt17integral_constantIbLb1EES13_EEDaSY_SZ_EUlSY_E_NS1_11comp_targetILNS1_3genE3ELNS1_11target_archE908ELNS1_3gpuE7ELNS1_3repE0EEENS1_30default_config_static_selectorELNS0_4arch9wavefront6targetE0EEEvT1_.has_recursion, 0
	.set _ZN7rocprim17ROCPRIM_400000_NS6detail17trampoline_kernelINS0_14default_configENS1_27scan_by_key_config_selectorIj11FixedVectorIiLj8EEEEZZNS1_16scan_by_key_implILNS1_25lookback_scan_determinismE0ELb0ES3_N6thrust23THRUST_200600_302600_NS6detail15normal_iteratorINSB_10device_ptrIjEEEENSD_INSE_IS6_EEEESI_S6_NSB_4plusIvEENSB_8equal_toIvEES6_EE10hipError_tPvRmT2_T3_T4_T5_mT6_T7_P12ihipStream_tbENKUlT_T0_E_clISt17integral_constantIbLb1EES13_EEDaSY_SZ_EUlSY_E_NS1_11comp_targetILNS1_3genE3ELNS1_11target_archE908ELNS1_3gpuE7ELNS1_3repE0EEENS1_30default_config_static_selectorELNS0_4arch9wavefront6targetE0EEEvT1_.has_indirect_call, 0
	.section	.AMDGPU.csdata,"",@progbits
; Kernel info:
; codeLenInByte = 0
; TotalNumSgprs: 0
; NumVgprs: 0
; ScratchSize: 0
; MemoryBound: 0
; FloatMode: 240
; IeeeMode: 1
; LDSByteSize: 0 bytes/workgroup (compile time only)
; SGPRBlocks: 0
; VGPRBlocks: 0
; NumSGPRsForWavesPerEU: 1
; NumVGPRsForWavesPerEU: 1
; NamedBarCnt: 0
; Occupancy: 16
; WaveLimiterHint : 0
; COMPUTE_PGM_RSRC2:SCRATCH_EN: 0
; COMPUTE_PGM_RSRC2:USER_SGPR: 2
; COMPUTE_PGM_RSRC2:TRAP_HANDLER: 0
; COMPUTE_PGM_RSRC2:TGID_X_EN: 1
; COMPUTE_PGM_RSRC2:TGID_Y_EN: 0
; COMPUTE_PGM_RSRC2:TGID_Z_EN: 0
; COMPUTE_PGM_RSRC2:TIDIG_COMP_CNT: 0
	.section	.text._ZN7rocprim17ROCPRIM_400000_NS6detail17trampoline_kernelINS0_14default_configENS1_27scan_by_key_config_selectorIj11FixedVectorIiLj8EEEEZZNS1_16scan_by_key_implILNS1_25lookback_scan_determinismE0ELb0ES3_N6thrust23THRUST_200600_302600_NS6detail15normal_iteratorINSB_10device_ptrIjEEEENSD_INSE_IS6_EEEESI_S6_NSB_4plusIvEENSB_8equal_toIvEES6_EE10hipError_tPvRmT2_T3_T4_T5_mT6_T7_P12ihipStream_tbENKUlT_T0_E_clISt17integral_constantIbLb1EES13_EEDaSY_SZ_EUlSY_E_NS1_11comp_targetILNS1_3genE2ELNS1_11target_archE906ELNS1_3gpuE6ELNS1_3repE0EEENS1_30default_config_static_selectorELNS0_4arch9wavefront6targetE0EEEvT1_,"axG",@progbits,_ZN7rocprim17ROCPRIM_400000_NS6detail17trampoline_kernelINS0_14default_configENS1_27scan_by_key_config_selectorIj11FixedVectorIiLj8EEEEZZNS1_16scan_by_key_implILNS1_25lookback_scan_determinismE0ELb0ES3_N6thrust23THRUST_200600_302600_NS6detail15normal_iteratorINSB_10device_ptrIjEEEENSD_INSE_IS6_EEEESI_S6_NSB_4plusIvEENSB_8equal_toIvEES6_EE10hipError_tPvRmT2_T3_T4_T5_mT6_T7_P12ihipStream_tbENKUlT_T0_E_clISt17integral_constantIbLb1EES13_EEDaSY_SZ_EUlSY_E_NS1_11comp_targetILNS1_3genE2ELNS1_11target_archE906ELNS1_3gpuE6ELNS1_3repE0EEENS1_30default_config_static_selectorELNS0_4arch9wavefront6targetE0EEEvT1_,comdat
	.protected	_ZN7rocprim17ROCPRIM_400000_NS6detail17trampoline_kernelINS0_14default_configENS1_27scan_by_key_config_selectorIj11FixedVectorIiLj8EEEEZZNS1_16scan_by_key_implILNS1_25lookback_scan_determinismE0ELb0ES3_N6thrust23THRUST_200600_302600_NS6detail15normal_iteratorINSB_10device_ptrIjEEEENSD_INSE_IS6_EEEESI_S6_NSB_4plusIvEENSB_8equal_toIvEES6_EE10hipError_tPvRmT2_T3_T4_T5_mT6_T7_P12ihipStream_tbENKUlT_T0_E_clISt17integral_constantIbLb1EES13_EEDaSY_SZ_EUlSY_E_NS1_11comp_targetILNS1_3genE2ELNS1_11target_archE906ELNS1_3gpuE6ELNS1_3repE0EEENS1_30default_config_static_selectorELNS0_4arch9wavefront6targetE0EEEvT1_ ; -- Begin function _ZN7rocprim17ROCPRIM_400000_NS6detail17trampoline_kernelINS0_14default_configENS1_27scan_by_key_config_selectorIj11FixedVectorIiLj8EEEEZZNS1_16scan_by_key_implILNS1_25lookback_scan_determinismE0ELb0ES3_N6thrust23THRUST_200600_302600_NS6detail15normal_iteratorINSB_10device_ptrIjEEEENSD_INSE_IS6_EEEESI_S6_NSB_4plusIvEENSB_8equal_toIvEES6_EE10hipError_tPvRmT2_T3_T4_T5_mT6_T7_P12ihipStream_tbENKUlT_T0_E_clISt17integral_constantIbLb1EES13_EEDaSY_SZ_EUlSY_E_NS1_11comp_targetILNS1_3genE2ELNS1_11target_archE906ELNS1_3gpuE6ELNS1_3repE0EEENS1_30default_config_static_selectorELNS0_4arch9wavefront6targetE0EEEvT1_
	.globl	_ZN7rocprim17ROCPRIM_400000_NS6detail17trampoline_kernelINS0_14default_configENS1_27scan_by_key_config_selectorIj11FixedVectorIiLj8EEEEZZNS1_16scan_by_key_implILNS1_25lookback_scan_determinismE0ELb0ES3_N6thrust23THRUST_200600_302600_NS6detail15normal_iteratorINSB_10device_ptrIjEEEENSD_INSE_IS6_EEEESI_S6_NSB_4plusIvEENSB_8equal_toIvEES6_EE10hipError_tPvRmT2_T3_T4_T5_mT6_T7_P12ihipStream_tbENKUlT_T0_E_clISt17integral_constantIbLb1EES13_EEDaSY_SZ_EUlSY_E_NS1_11comp_targetILNS1_3genE2ELNS1_11target_archE906ELNS1_3gpuE6ELNS1_3repE0EEENS1_30default_config_static_selectorELNS0_4arch9wavefront6targetE0EEEvT1_
	.p2align	8
	.type	_ZN7rocprim17ROCPRIM_400000_NS6detail17trampoline_kernelINS0_14default_configENS1_27scan_by_key_config_selectorIj11FixedVectorIiLj8EEEEZZNS1_16scan_by_key_implILNS1_25lookback_scan_determinismE0ELb0ES3_N6thrust23THRUST_200600_302600_NS6detail15normal_iteratorINSB_10device_ptrIjEEEENSD_INSE_IS6_EEEESI_S6_NSB_4plusIvEENSB_8equal_toIvEES6_EE10hipError_tPvRmT2_T3_T4_T5_mT6_T7_P12ihipStream_tbENKUlT_T0_E_clISt17integral_constantIbLb1EES13_EEDaSY_SZ_EUlSY_E_NS1_11comp_targetILNS1_3genE2ELNS1_11target_archE906ELNS1_3gpuE6ELNS1_3repE0EEENS1_30default_config_static_selectorELNS0_4arch9wavefront6targetE0EEEvT1_,@function
_ZN7rocprim17ROCPRIM_400000_NS6detail17trampoline_kernelINS0_14default_configENS1_27scan_by_key_config_selectorIj11FixedVectorIiLj8EEEEZZNS1_16scan_by_key_implILNS1_25lookback_scan_determinismE0ELb0ES3_N6thrust23THRUST_200600_302600_NS6detail15normal_iteratorINSB_10device_ptrIjEEEENSD_INSE_IS6_EEEESI_S6_NSB_4plusIvEENSB_8equal_toIvEES6_EE10hipError_tPvRmT2_T3_T4_T5_mT6_T7_P12ihipStream_tbENKUlT_T0_E_clISt17integral_constantIbLb1EES13_EEDaSY_SZ_EUlSY_E_NS1_11comp_targetILNS1_3genE2ELNS1_11target_archE906ELNS1_3gpuE6ELNS1_3repE0EEENS1_30default_config_static_selectorELNS0_4arch9wavefront6targetE0EEEvT1_: ; @_ZN7rocprim17ROCPRIM_400000_NS6detail17trampoline_kernelINS0_14default_configENS1_27scan_by_key_config_selectorIj11FixedVectorIiLj8EEEEZZNS1_16scan_by_key_implILNS1_25lookback_scan_determinismE0ELb0ES3_N6thrust23THRUST_200600_302600_NS6detail15normal_iteratorINSB_10device_ptrIjEEEENSD_INSE_IS6_EEEESI_S6_NSB_4plusIvEENSB_8equal_toIvEES6_EE10hipError_tPvRmT2_T3_T4_T5_mT6_T7_P12ihipStream_tbENKUlT_T0_E_clISt17integral_constantIbLb1EES13_EEDaSY_SZ_EUlSY_E_NS1_11comp_targetILNS1_3genE2ELNS1_11target_archE906ELNS1_3gpuE6ELNS1_3repE0EEENS1_30default_config_static_selectorELNS0_4arch9wavefront6targetE0EEEvT1_
; %bb.0:
	.section	.rodata,"a",@progbits
	.p2align	6, 0x0
	.amdhsa_kernel _ZN7rocprim17ROCPRIM_400000_NS6detail17trampoline_kernelINS0_14default_configENS1_27scan_by_key_config_selectorIj11FixedVectorIiLj8EEEEZZNS1_16scan_by_key_implILNS1_25lookback_scan_determinismE0ELb0ES3_N6thrust23THRUST_200600_302600_NS6detail15normal_iteratorINSB_10device_ptrIjEEEENSD_INSE_IS6_EEEESI_S6_NSB_4plusIvEENSB_8equal_toIvEES6_EE10hipError_tPvRmT2_T3_T4_T5_mT6_T7_P12ihipStream_tbENKUlT_T0_E_clISt17integral_constantIbLb1EES13_EEDaSY_SZ_EUlSY_E_NS1_11comp_targetILNS1_3genE2ELNS1_11target_archE906ELNS1_3gpuE6ELNS1_3repE0EEENS1_30default_config_static_selectorELNS0_4arch9wavefront6targetE0EEEvT1_
		.amdhsa_group_segment_fixed_size 0
		.amdhsa_private_segment_fixed_size 0
		.amdhsa_kernarg_size 160
		.amdhsa_user_sgpr_count 2
		.amdhsa_user_sgpr_dispatch_ptr 0
		.amdhsa_user_sgpr_queue_ptr 0
		.amdhsa_user_sgpr_kernarg_segment_ptr 1
		.amdhsa_user_sgpr_dispatch_id 0
		.amdhsa_user_sgpr_kernarg_preload_length 0
		.amdhsa_user_sgpr_kernarg_preload_offset 0
		.amdhsa_user_sgpr_private_segment_size 0
		.amdhsa_wavefront_size32 1
		.amdhsa_uses_dynamic_stack 0
		.amdhsa_enable_private_segment 0
		.amdhsa_system_sgpr_workgroup_id_x 1
		.amdhsa_system_sgpr_workgroup_id_y 0
		.amdhsa_system_sgpr_workgroup_id_z 0
		.amdhsa_system_sgpr_workgroup_info 0
		.amdhsa_system_vgpr_workitem_id 0
		.amdhsa_next_free_vgpr 1
		.amdhsa_next_free_sgpr 1
		.amdhsa_named_barrier_count 0
		.amdhsa_reserve_vcc 0
		.amdhsa_float_round_mode_32 0
		.amdhsa_float_round_mode_16_64 0
		.amdhsa_float_denorm_mode_32 3
		.amdhsa_float_denorm_mode_16_64 3
		.amdhsa_fp16_overflow 0
		.amdhsa_memory_ordered 1
		.amdhsa_forward_progress 1
		.amdhsa_inst_pref_size 0
		.amdhsa_round_robin_scheduling 0
		.amdhsa_exception_fp_ieee_invalid_op 0
		.amdhsa_exception_fp_denorm_src 0
		.amdhsa_exception_fp_ieee_div_zero 0
		.amdhsa_exception_fp_ieee_overflow 0
		.amdhsa_exception_fp_ieee_underflow 0
		.amdhsa_exception_fp_ieee_inexact 0
		.amdhsa_exception_int_div_zero 0
	.end_amdhsa_kernel
	.section	.text._ZN7rocprim17ROCPRIM_400000_NS6detail17trampoline_kernelINS0_14default_configENS1_27scan_by_key_config_selectorIj11FixedVectorIiLj8EEEEZZNS1_16scan_by_key_implILNS1_25lookback_scan_determinismE0ELb0ES3_N6thrust23THRUST_200600_302600_NS6detail15normal_iteratorINSB_10device_ptrIjEEEENSD_INSE_IS6_EEEESI_S6_NSB_4plusIvEENSB_8equal_toIvEES6_EE10hipError_tPvRmT2_T3_T4_T5_mT6_T7_P12ihipStream_tbENKUlT_T0_E_clISt17integral_constantIbLb1EES13_EEDaSY_SZ_EUlSY_E_NS1_11comp_targetILNS1_3genE2ELNS1_11target_archE906ELNS1_3gpuE6ELNS1_3repE0EEENS1_30default_config_static_selectorELNS0_4arch9wavefront6targetE0EEEvT1_,"axG",@progbits,_ZN7rocprim17ROCPRIM_400000_NS6detail17trampoline_kernelINS0_14default_configENS1_27scan_by_key_config_selectorIj11FixedVectorIiLj8EEEEZZNS1_16scan_by_key_implILNS1_25lookback_scan_determinismE0ELb0ES3_N6thrust23THRUST_200600_302600_NS6detail15normal_iteratorINSB_10device_ptrIjEEEENSD_INSE_IS6_EEEESI_S6_NSB_4plusIvEENSB_8equal_toIvEES6_EE10hipError_tPvRmT2_T3_T4_T5_mT6_T7_P12ihipStream_tbENKUlT_T0_E_clISt17integral_constantIbLb1EES13_EEDaSY_SZ_EUlSY_E_NS1_11comp_targetILNS1_3genE2ELNS1_11target_archE906ELNS1_3gpuE6ELNS1_3repE0EEENS1_30default_config_static_selectorELNS0_4arch9wavefront6targetE0EEEvT1_,comdat
.Lfunc_end2131:
	.size	_ZN7rocprim17ROCPRIM_400000_NS6detail17trampoline_kernelINS0_14default_configENS1_27scan_by_key_config_selectorIj11FixedVectorIiLj8EEEEZZNS1_16scan_by_key_implILNS1_25lookback_scan_determinismE0ELb0ES3_N6thrust23THRUST_200600_302600_NS6detail15normal_iteratorINSB_10device_ptrIjEEEENSD_INSE_IS6_EEEESI_S6_NSB_4plusIvEENSB_8equal_toIvEES6_EE10hipError_tPvRmT2_T3_T4_T5_mT6_T7_P12ihipStream_tbENKUlT_T0_E_clISt17integral_constantIbLb1EES13_EEDaSY_SZ_EUlSY_E_NS1_11comp_targetILNS1_3genE2ELNS1_11target_archE906ELNS1_3gpuE6ELNS1_3repE0EEENS1_30default_config_static_selectorELNS0_4arch9wavefront6targetE0EEEvT1_, .Lfunc_end2131-_ZN7rocprim17ROCPRIM_400000_NS6detail17trampoline_kernelINS0_14default_configENS1_27scan_by_key_config_selectorIj11FixedVectorIiLj8EEEEZZNS1_16scan_by_key_implILNS1_25lookback_scan_determinismE0ELb0ES3_N6thrust23THRUST_200600_302600_NS6detail15normal_iteratorINSB_10device_ptrIjEEEENSD_INSE_IS6_EEEESI_S6_NSB_4plusIvEENSB_8equal_toIvEES6_EE10hipError_tPvRmT2_T3_T4_T5_mT6_T7_P12ihipStream_tbENKUlT_T0_E_clISt17integral_constantIbLb1EES13_EEDaSY_SZ_EUlSY_E_NS1_11comp_targetILNS1_3genE2ELNS1_11target_archE906ELNS1_3gpuE6ELNS1_3repE0EEENS1_30default_config_static_selectorELNS0_4arch9wavefront6targetE0EEEvT1_
                                        ; -- End function
	.set _ZN7rocprim17ROCPRIM_400000_NS6detail17trampoline_kernelINS0_14default_configENS1_27scan_by_key_config_selectorIj11FixedVectorIiLj8EEEEZZNS1_16scan_by_key_implILNS1_25lookback_scan_determinismE0ELb0ES3_N6thrust23THRUST_200600_302600_NS6detail15normal_iteratorINSB_10device_ptrIjEEEENSD_INSE_IS6_EEEESI_S6_NSB_4plusIvEENSB_8equal_toIvEES6_EE10hipError_tPvRmT2_T3_T4_T5_mT6_T7_P12ihipStream_tbENKUlT_T0_E_clISt17integral_constantIbLb1EES13_EEDaSY_SZ_EUlSY_E_NS1_11comp_targetILNS1_3genE2ELNS1_11target_archE906ELNS1_3gpuE6ELNS1_3repE0EEENS1_30default_config_static_selectorELNS0_4arch9wavefront6targetE0EEEvT1_.num_vgpr, 0
	.set _ZN7rocprim17ROCPRIM_400000_NS6detail17trampoline_kernelINS0_14default_configENS1_27scan_by_key_config_selectorIj11FixedVectorIiLj8EEEEZZNS1_16scan_by_key_implILNS1_25lookback_scan_determinismE0ELb0ES3_N6thrust23THRUST_200600_302600_NS6detail15normal_iteratorINSB_10device_ptrIjEEEENSD_INSE_IS6_EEEESI_S6_NSB_4plusIvEENSB_8equal_toIvEES6_EE10hipError_tPvRmT2_T3_T4_T5_mT6_T7_P12ihipStream_tbENKUlT_T0_E_clISt17integral_constantIbLb1EES13_EEDaSY_SZ_EUlSY_E_NS1_11comp_targetILNS1_3genE2ELNS1_11target_archE906ELNS1_3gpuE6ELNS1_3repE0EEENS1_30default_config_static_selectorELNS0_4arch9wavefront6targetE0EEEvT1_.num_agpr, 0
	.set _ZN7rocprim17ROCPRIM_400000_NS6detail17trampoline_kernelINS0_14default_configENS1_27scan_by_key_config_selectorIj11FixedVectorIiLj8EEEEZZNS1_16scan_by_key_implILNS1_25lookback_scan_determinismE0ELb0ES3_N6thrust23THRUST_200600_302600_NS6detail15normal_iteratorINSB_10device_ptrIjEEEENSD_INSE_IS6_EEEESI_S6_NSB_4plusIvEENSB_8equal_toIvEES6_EE10hipError_tPvRmT2_T3_T4_T5_mT6_T7_P12ihipStream_tbENKUlT_T0_E_clISt17integral_constantIbLb1EES13_EEDaSY_SZ_EUlSY_E_NS1_11comp_targetILNS1_3genE2ELNS1_11target_archE906ELNS1_3gpuE6ELNS1_3repE0EEENS1_30default_config_static_selectorELNS0_4arch9wavefront6targetE0EEEvT1_.numbered_sgpr, 0
	.set _ZN7rocprim17ROCPRIM_400000_NS6detail17trampoline_kernelINS0_14default_configENS1_27scan_by_key_config_selectorIj11FixedVectorIiLj8EEEEZZNS1_16scan_by_key_implILNS1_25lookback_scan_determinismE0ELb0ES3_N6thrust23THRUST_200600_302600_NS6detail15normal_iteratorINSB_10device_ptrIjEEEENSD_INSE_IS6_EEEESI_S6_NSB_4plusIvEENSB_8equal_toIvEES6_EE10hipError_tPvRmT2_T3_T4_T5_mT6_T7_P12ihipStream_tbENKUlT_T0_E_clISt17integral_constantIbLb1EES13_EEDaSY_SZ_EUlSY_E_NS1_11comp_targetILNS1_3genE2ELNS1_11target_archE906ELNS1_3gpuE6ELNS1_3repE0EEENS1_30default_config_static_selectorELNS0_4arch9wavefront6targetE0EEEvT1_.num_named_barrier, 0
	.set _ZN7rocprim17ROCPRIM_400000_NS6detail17trampoline_kernelINS0_14default_configENS1_27scan_by_key_config_selectorIj11FixedVectorIiLj8EEEEZZNS1_16scan_by_key_implILNS1_25lookback_scan_determinismE0ELb0ES3_N6thrust23THRUST_200600_302600_NS6detail15normal_iteratorINSB_10device_ptrIjEEEENSD_INSE_IS6_EEEESI_S6_NSB_4plusIvEENSB_8equal_toIvEES6_EE10hipError_tPvRmT2_T3_T4_T5_mT6_T7_P12ihipStream_tbENKUlT_T0_E_clISt17integral_constantIbLb1EES13_EEDaSY_SZ_EUlSY_E_NS1_11comp_targetILNS1_3genE2ELNS1_11target_archE906ELNS1_3gpuE6ELNS1_3repE0EEENS1_30default_config_static_selectorELNS0_4arch9wavefront6targetE0EEEvT1_.private_seg_size, 0
	.set _ZN7rocprim17ROCPRIM_400000_NS6detail17trampoline_kernelINS0_14default_configENS1_27scan_by_key_config_selectorIj11FixedVectorIiLj8EEEEZZNS1_16scan_by_key_implILNS1_25lookback_scan_determinismE0ELb0ES3_N6thrust23THRUST_200600_302600_NS6detail15normal_iteratorINSB_10device_ptrIjEEEENSD_INSE_IS6_EEEESI_S6_NSB_4plusIvEENSB_8equal_toIvEES6_EE10hipError_tPvRmT2_T3_T4_T5_mT6_T7_P12ihipStream_tbENKUlT_T0_E_clISt17integral_constantIbLb1EES13_EEDaSY_SZ_EUlSY_E_NS1_11comp_targetILNS1_3genE2ELNS1_11target_archE906ELNS1_3gpuE6ELNS1_3repE0EEENS1_30default_config_static_selectorELNS0_4arch9wavefront6targetE0EEEvT1_.uses_vcc, 0
	.set _ZN7rocprim17ROCPRIM_400000_NS6detail17trampoline_kernelINS0_14default_configENS1_27scan_by_key_config_selectorIj11FixedVectorIiLj8EEEEZZNS1_16scan_by_key_implILNS1_25lookback_scan_determinismE0ELb0ES3_N6thrust23THRUST_200600_302600_NS6detail15normal_iteratorINSB_10device_ptrIjEEEENSD_INSE_IS6_EEEESI_S6_NSB_4plusIvEENSB_8equal_toIvEES6_EE10hipError_tPvRmT2_T3_T4_T5_mT6_T7_P12ihipStream_tbENKUlT_T0_E_clISt17integral_constantIbLb1EES13_EEDaSY_SZ_EUlSY_E_NS1_11comp_targetILNS1_3genE2ELNS1_11target_archE906ELNS1_3gpuE6ELNS1_3repE0EEENS1_30default_config_static_selectorELNS0_4arch9wavefront6targetE0EEEvT1_.uses_flat_scratch, 0
	.set _ZN7rocprim17ROCPRIM_400000_NS6detail17trampoline_kernelINS0_14default_configENS1_27scan_by_key_config_selectorIj11FixedVectorIiLj8EEEEZZNS1_16scan_by_key_implILNS1_25lookback_scan_determinismE0ELb0ES3_N6thrust23THRUST_200600_302600_NS6detail15normal_iteratorINSB_10device_ptrIjEEEENSD_INSE_IS6_EEEESI_S6_NSB_4plusIvEENSB_8equal_toIvEES6_EE10hipError_tPvRmT2_T3_T4_T5_mT6_T7_P12ihipStream_tbENKUlT_T0_E_clISt17integral_constantIbLb1EES13_EEDaSY_SZ_EUlSY_E_NS1_11comp_targetILNS1_3genE2ELNS1_11target_archE906ELNS1_3gpuE6ELNS1_3repE0EEENS1_30default_config_static_selectorELNS0_4arch9wavefront6targetE0EEEvT1_.has_dyn_sized_stack, 0
	.set _ZN7rocprim17ROCPRIM_400000_NS6detail17trampoline_kernelINS0_14default_configENS1_27scan_by_key_config_selectorIj11FixedVectorIiLj8EEEEZZNS1_16scan_by_key_implILNS1_25lookback_scan_determinismE0ELb0ES3_N6thrust23THRUST_200600_302600_NS6detail15normal_iteratorINSB_10device_ptrIjEEEENSD_INSE_IS6_EEEESI_S6_NSB_4plusIvEENSB_8equal_toIvEES6_EE10hipError_tPvRmT2_T3_T4_T5_mT6_T7_P12ihipStream_tbENKUlT_T0_E_clISt17integral_constantIbLb1EES13_EEDaSY_SZ_EUlSY_E_NS1_11comp_targetILNS1_3genE2ELNS1_11target_archE906ELNS1_3gpuE6ELNS1_3repE0EEENS1_30default_config_static_selectorELNS0_4arch9wavefront6targetE0EEEvT1_.has_recursion, 0
	.set _ZN7rocprim17ROCPRIM_400000_NS6detail17trampoline_kernelINS0_14default_configENS1_27scan_by_key_config_selectorIj11FixedVectorIiLj8EEEEZZNS1_16scan_by_key_implILNS1_25lookback_scan_determinismE0ELb0ES3_N6thrust23THRUST_200600_302600_NS6detail15normal_iteratorINSB_10device_ptrIjEEEENSD_INSE_IS6_EEEESI_S6_NSB_4plusIvEENSB_8equal_toIvEES6_EE10hipError_tPvRmT2_T3_T4_T5_mT6_T7_P12ihipStream_tbENKUlT_T0_E_clISt17integral_constantIbLb1EES13_EEDaSY_SZ_EUlSY_E_NS1_11comp_targetILNS1_3genE2ELNS1_11target_archE906ELNS1_3gpuE6ELNS1_3repE0EEENS1_30default_config_static_selectorELNS0_4arch9wavefront6targetE0EEEvT1_.has_indirect_call, 0
	.section	.AMDGPU.csdata,"",@progbits
; Kernel info:
; codeLenInByte = 0
; TotalNumSgprs: 0
; NumVgprs: 0
; ScratchSize: 0
; MemoryBound: 0
; FloatMode: 240
; IeeeMode: 1
; LDSByteSize: 0 bytes/workgroup (compile time only)
; SGPRBlocks: 0
; VGPRBlocks: 0
; NumSGPRsForWavesPerEU: 1
; NumVGPRsForWavesPerEU: 1
; NamedBarCnt: 0
; Occupancy: 16
; WaveLimiterHint : 0
; COMPUTE_PGM_RSRC2:SCRATCH_EN: 0
; COMPUTE_PGM_RSRC2:USER_SGPR: 2
; COMPUTE_PGM_RSRC2:TRAP_HANDLER: 0
; COMPUTE_PGM_RSRC2:TGID_X_EN: 1
; COMPUTE_PGM_RSRC2:TGID_Y_EN: 0
; COMPUTE_PGM_RSRC2:TGID_Z_EN: 0
; COMPUTE_PGM_RSRC2:TIDIG_COMP_CNT: 0
	.section	.text._ZN7rocprim17ROCPRIM_400000_NS6detail17trampoline_kernelINS0_14default_configENS1_27scan_by_key_config_selectorIj11FixedVectorIiLj8EEEEZZNS1_16scan_by_key_implILNS1_25lookback_scan_determinismE0ELb0ES3_N6thrust23THRUST_200600_302600_NS6detail15normal_iteratorINSB_10device_ptrIjEEEENSD_INSE_IS6_EEEESI_S6_NSB_4plusIvEENSB_8equal_toIvEES6_EE10hipError_tPvRmT2_T3_T4_T5_mT6_T7_P12ihipStream_tbENKUlT_T0_E_clISt17integral_constantIbLb1EES13_EEDaSY_SZ_EUlSY_E_NS1_11comp_targetILNS1_3genE10ELNS1_11target_archE1200ELNS1_3gpuE4ELNS1_3repE0EEENS1_30default_config_static_selectorELNS0_4arch9wavefront6targetE0EEEvT1_,"axG",@progbits,_ZN7rocprim17ROCPRIM_400000_NS6detail17trampoline_kernelINS0_14default_configENS1_27scan_by_key_config_selectorIj11FixedVectorIiLj8EEEEZZNS1_16scan_by_key_implILNS1_25lookback_scan_determinismE0ELb0ES3_N6thrust23THRUST_200600_302600_NS6detail15normal_iteratorINSB_10device_ptrIjEEEENSD_INSE_IS6_EEEESI_S6_NSB_4plusIvEENSB_8equal_toIvEES6_EE10hipError_tPvRmT2_T3_T4_T5_mT6_T7_P12ihipStream_tbENKUlT_T0_E_clISt17integral_constantIbLb1EES13_EEDaSY_SZ_EUlSY_E_NS1_11comp_targetILNS1_3genE10ELNS1_11target_archE1200ELNS1_3gpuE4ELNS1_3repE0EEENS1_30default_config_static_selectorELNS0_4arch9wavefront6targetE0EEEvT1_,comdat
	.protected	_ZN7rocprim17ROCPRIM_400000_NS6detail17trampoline_kernelINS0_14default_configENS1_27scan_by_key_config_selectorIj11FixedVectorIiLj8EEEEZZNS1_16scan_by_key_implILNS1_25lookback_scan_determinismE0ELb0ES3_N6thrust23THRUST_200600_302600_NS6detail15normal_iteratorINSB_10device_ptrIjEEEENSD_INSE_IS6_EEEESI_S6_NSB_4plusIvEENSB_8equal_toIvEES6_EE10hipError_tPvRmT2_T3_T4_T5_mT6_T7_P12ihipStream_tbENKUlT_T0_E_clISt17integral_constantIbLb1EES13_EEDaSY_SZ_EUlSY_E_NS1_11comp_targetILNS1_3genE10ELNS1_11target_archE1200ELNS1_3gpuE4ELNS1_3repE0EEENS1_30default_config_static_selectorELNS0_4arch9wavefront6targetE0EEEvT1_ ; -- Begin function _ZN7rocprim17ROCPRIM_400000_NS6detail17trampoline_kernelINS0_14default_configENS1_27scan_by_key_config_selectorIj11FixedVectorIiLj8EEEEZZNS1_16scan_by_key_implILNS1_25lookback_scan_determinismE0ELb0ES3_N6thrust23THRUST_200600_302600_NS6detail15normal_iteratorINSB_10device_ptrIjEEEENSD_INSE_IS6_EEEESI_S6_NSB_4plusIvEENSB_8equal_toIvEES6_EE10hipError_tPvRmT2_T3_T4_T5_mT6_T7_P12ihipStream_tbENKUlT_T0_E_clISt17integral_constantIbLb1EES13_EEDaSY_SZ_EUlSY_E_NS1_11comp_targetILNS1_3genE10ELNS1_11target_archE1200ELNS1_3gpuE4ELNS1_3repE0EEENS1_30default_config_static_selectorELNS0_4arch9wavefront6targetE0EEEvT1_
	.globl	_ZN7rocprim17ROCPRIM_400000_NS6detail17trampoline_kernelINS0_14default_configENS1_27scan_by_key_config_selectorIj11FixedVectorIiLj8EEEEZZNS1_16scan_by_key_implILNS1_25lookback_scan_determinismE0ELb0ES3_N6thrust23THRUST_200600_302600_NS6detail15normal_iteratorINSB_10device_ptrIjEEEENSD_INSE_IS6_EEEESI_S6_NSB_4plusIvEENSB_8equal_toIvEES6_EE10hipError_tPvRmT2_T3_T4_T5_mT6_T7_P12ihipStream_tbENKUlT_T0_E_clISt17integral_constantIbLb1EES13_EEDaSY_SZ_EUlSY_E_NS1_11comp_targetILNS1_3genE10ELNS1_11target_archE1200ELNS1_3gpuE4ELNS1_3repE0EEENS1_30default_config_static_selectorELNS0_4arch9wavefront6targetE0EEEvT1_
	.p2align	8
	.type	_ZN7rocprim17ROCPRIM_400000_NS6detail17trampoline_kernelINS0_14default_configENS1_27scan_by_key_config_selectorIj11FixedVectorIiLj8EEEEZZNS1_16scan_by_key_implILNS1_25lookback_scan_determinismE0ELb0ES3_N6thrust23THRUST_200600_302600_NS6detail15normal_iteratorINSB_10device_ptrIjEEEENSD_INSE_IS6_EEEESI_S6_NSB_4plusIvEENSB_8equal_toIvEES6_EE10hipError_tPvRmT2_T3_T4_T5_mT6_T7_P12ihipStream_tbENKUlT_T0_E_clISt17integral_constantIbLb1EES13_EEDaSY_SZ_EUlSY_E_NS1_11comp_targetILNS1_3genE10ELNS1_11target_archE1200ELNS1_3gpuE4ELNS1_3repE0EEENS1_30default_config_static_selectorELNS0_4arch9wavefront6targetE0EEEvT1_,@function
_ZN7rocprim17ROCPRIM_400000_NS6detail17trampoline_kernelINS0_14default_configENS1_27scan_by_key_config_selectorIj11FixedVectorIiLj8EEEEZZNS1_16scan_by_key_implILNS1_25lookback_scan_determinismE0ELb0ES3_N6thrust23THRUST_200600_302600_NS6detail15normal_iteratorINSB_10device_ptrIjEEEENSD_INSE_IS6_EEEESI_S6_NSB_4plusIvEENSB_8equal_toIvEES6_EE10hipError_tPvRmT2_T3_T4_T5_mT6_T7_P12ihipStream_tbENKUlT_T0_E_clISt17integral_constantIbLb1EES13_EEDaSY_SZ_EUlSY_E_NS1_11comp_targetILNS1_3genE10ELNS1_11target_archE1200ELNS1_3gpuE4ELNS1_3repE0EEENS1_30default_config_static_selectorELNS0_4arch9wavefront6targetE0EEEvT1_: ; @_ZN7rocprim17ROCPRIM_400000_NS6detail17trampoline_kernelINS0_14default_configENS1_27scan_by_key_config_selectorIj11FixedVectorIiLj8EEEEZZNS1_16scan_by_key_implILNS1_25lookback_scan_determinismE0ELb0ES3_N6thrust23THRUST_200600_302600_NS6detail15normal_iteratorINSB_10device_ptrIjEEEENSD_INSE_IS6_EEEESI_S6_NSB_4plusIvEENSB_8equal_toIvEES6_EE10hipError_tPvRmT2_T3_T4_T5_mT6_T7_P12ihipStream_tbENKUlT_T0_E_clISt17integral_constantIbLb1EES13_EEDaSY_SZ_EUlSY_E_NS1_11comp_targetILNS1_3genE10ELNS1_11target_archE1200ELNS1_3gpuE4ELNS1_3repE0EEENS1_30default_config_static_selectorELNS0_4arch9wavefront6targetE0EEEvT1_
; %bb.0:
	.section	.rodata,"a",@progbits
	.p2align	6, 0x0
	.amdhsa_kernel _ZN7rocprim17ROCPRIM_400000_NS6detail17trampoline_kernelINS0_14default_configENS1_27scan_by_key_config_selectorIj11FixedVectorIiLj8EEEEZZNS1_16scan_by_key_implILNS1_25lookback_scan_determinismE0ELb0ES3_N6thrust23THRUST_200600_302600_NS6detail15normal_iteratorINSB_10device_ptrIjEEEENSD_INSE_IS6_EEEESI_S6_NSB_4plusIvEENSB_8equal_toIvEES6_EE10hipError_tPvRmT2_T3_T4_T5_mT6_T7_P12ihipStream_tbENKUlT_T0_E_clISt17integral_constantIbLb1EES13_EEDaSY_SZ_EUlSY_E_NS1_11comp_targetILNS1_3genE10ELNS1_11target_archE1200ELNS1_3gpuE4ELNS1_3repE0EEENS1_30default_config_static_selectorELNS0_4arch9wavefront6targetE0EEEvT1_
		.amdhsa_group_segment_fixed_size 0
		.amdhsa_private_segment_fixed_size 0
		.amdhsa_kernarg_size 160
		.amdhsa_user_sgpr_count 2
		.amdhsa_user_sgpr_dispatch_ptr 0
		.amdhsa_user_sgpr_queue_ptr 0
		.amdhsa_user_sgpr_kernarg_segment_ptr 1
		.amdhsa_user_sgpr_dispatch_id 0
		.amdhsa_user_sgpr_kernarg_preload_length 0
		.amdhsa_user_sgpr_kernarg_preload_offset 0
		.amdhsa_user_sgpr_private_segment_size 0
		.amdhsa_wavefront_size32 1
		.amdhsa_uses_dynamic_stack 0
		.amdhsa_enable_private_segment 0
		.amdhsa_system_sgpr_workgroup_id_x 1
		.amdhsa_system_sgpr_workgroup_id_y 0
		.amdhsa_system_sgpr_workgroup_id_z 0
		.amdhsa_system_sgpr_workgroup_info 0
		.amdhsa_system_vgpr_workitem_id 0
		.amdhsa_next_free_vgpr 1
		.amdhsa_next_free_sgpr 1
		.amdhsa_named_barrier_count 0
		.amdhsa_reserve_vcc 0
		.amdhsa_float_round_mode_32 0
		.amdhsa_float_round_mode_16_64 0
		.amdhsa_float_denorm_mode_32 3
		.amdhsa_float_denorm_mode_16_64 3
		.amdhsa_fp16_overflow 0
		.amdhsa_memory_ordered 1
		.amdhsa_forward_progress 1
		.amdhsa_inst_pref_size 0
		.amdhsa_round_robin_scheduling 0
		.amdhsa_exception_fp_ieee_invalid_op 0
		.amdhsa_exception_fp_denorm_src 0
		.amdhsa_exception_fp_ieee_div_zero 0
		.amdhsa_exception_fp_ieee_overflow 0
		.amdhsa_exception_fp_ieee_underflow 0
		.amdhsa_exception_fp_ieee_inexact 0
		.amdhsa_exception_int_div_zero 0
	.end_amdhsa_kernel
	.section	.text._ZN7rocprim17ROCPRIM_400000_NS6detail17trampoline_kernelINS0_14default_configENS1_27scan_by_key_config_selectorIj11FixedVectorIiLj8EEEEZZNS1_16scan_by_key_implILNS1_25lookback_scan_determinismE0ELb0ES3_N6thrust23THRUST_200600_302600_NS6detail15normal_iteratorINSB_10device_ptrIjEEEENSD_INSE_IS6_EEEESI_S6_NSB_4plusIvEENSB_8equal_toIvEES6_EE10hipError_tPvRmT2_T3_T4_T5_mT6_T7_P12ihipStream_tbENKUlT_T0_E_clISt17integral_constantIbLb1EES13_EEDaSY_SZ_EUlSY_E_NS1_11comp_targetILNS1_3genE10ELNS1_11target_archE1200ELNS1_3gpuE4ELNS1_3repE0EEENS1_30default_config_static_selectorELNS0_4arch9wavefront6targetE0EEEvT1_,"axG",@progbits,_ZN7rocprim17ROCPRIM_400000_NS6detail17trampoline_kernelINS0_14default_configENS1_27scan_by_key_config_selectorIj11FixedVectorIiLj8EEEEZZNS1_16scan_by_key_implILNS1_25lookback_scan_determinismE0ELb0ES3_N6thrust23THRUST_200600_302600_NS6detail15normal_iteratorINSB_10device_ptrIjEEEENSD_INSE_IS6_EEEESI_S6_NSB_4plusIvEENSB_8equal_toIvEES6_EE10hipError_tPvRmT2_T3_T4_T5_mT6_T7_P12ihipStream_tbENKUlT_T0_E_clISt17integral_constantIbLb1EES13_EEDaSY_SZ_EUlSY_E_NS1_11comp_targetILNS1_3genE10ELNS1_11target_archE1200ELNS1_3gpuE4ELNS1_3repE0EEENS1_30default_config_static_selectorELNS0_4arch9wavefront6targetE0EEEvT1_,comdat
.Lfunc_end2132:
	.size	_ZN7rocprim17ROCPRIM_400000_NS6detail17trampoline_kernelINS0_14default_configENS1_27scan_by_key_config_selectorIj11FixedVectorIiLj8EEEEZZNS1_16scan_by_key_implILNS1_25lookback_scan_determinismE0ELb0ES3_N6thrust23THRUST_200600_302600_NS6detail15normal_iteratorINSB_10device_ptrIjEEEENSD_INSE_IS6_EEEESI_S6_NSB_4plusIvEENSB_8equal_toIvEES6_EE10hipError_tPvRmT2_T3_T4_T5_mT6_T7_P12ihipStream_tbENKUlT_T0_E_clISt17integral_constantIbLb1EES13_EEDaSY_SZ_EUlSY_E_NS1_11comp_targetILNS1_3genE10ELNS1_11target_archE1200ELNS1_3gpuE4ELNS1_3repE0EEENS1_30default_config_static_selectorELNS0_4arch9wavefront6targetE0EEEvT1_, .Lfunc_end2132-_ZN7rocprim17ROCPRIM_400000_NS6detail17trampoline_kernelINS0_14default_configENS1_27scan_by_key_config_selectorIj11FixedVectorIiLj8EEEEZZNS1_16scan_by_key_implILNS1_25lookback_scan_determinismE0ELb0ES3_N6thrust23THRUST_200600_302600_NS6detail15normal_iteratorINSB_10device_ptrIjEEEENSD_INSE_IS6_EEEESI_S6_NSB_4plusIvEENSB_8equal_toIvEES6_EE10hipError_tPvRmT2_T3_T4_T5_mT6_T7_P12ihipStream_tbENKUlT_T0_E_clISt17integral_constantIbLb1EES13_EEDaSY_SZ_EUlSY_E_NS1_11comp_targetILNS1_3genE10ELNS1_11target_archE1200ELNS1_3gpuE4ELNS1_3repE0EEENS1_30default_config_static_selectorELNS0_4arch9wavefront6targetE0EEEvT1_
                                        ; -- End function
	.set _ZN7rocprim17ROCPRIM_400000_NS6detail17trampoline_kernelINS0_14default_configENS1_27scan_by_key_config_selectorIj11FixedVectorIiLj8EEEEZZNS1_16scan_by_key_implILNS1_25lookback_scan_determinismE0ELb0ES3_N6thrust23THRUST_200600_302600_NS6detail15normal_iteratorINSB_10device_ptrIjEEEENSD_INSE_IS6_EEEESI_S6_NSB_4plusIvEENSB_8equal_toIvEES6_EE10hipError_tPvRmT2_T3_T4_T5_mT6_T7_P12ihipStream_tbENKUlT_T0_E_clISt17integral_constantIbLb1EES13_EEDaSY_SZ_EUlSY_E_NS1_11comp_targetILNS1_3genE10ELNS1_11target_archE1200ELNS1_3gpuE4ELNS1_3repE0EEENS1_30default_config_static_selectorELNS0_4arch9wavefront6targetE0EEEvT1_.num_vgpr, 0
	.set _ZN7rocprim17ROCPRIM_400000_NS6detail17trampoline_kernelINS0_14default_configENS1_27scan_by_key_config_selectorIj11FixedVectorIiLj8EEEEZZNS1_16scan_by_key_implILNS1_25lookback_scan_determinismE0ELb0ES3_N6thrust23THRUST_200600_302600_NS6detail15normal_iteratorINSB_10device_ptrIjEEEENSD_INSE_IS6_EEEESI_S6_NSB_4plusIvEENSB_8equal_toIvEES6_EE10hipError_tPvRmT2_T3_T4_T5_mT6_T7_P12ihipStream_tbENKUlT_T0_E_clISt17integral_constantIbLb1EES13_EEDaSY_SZ_EUlSY_E_NS1_11comp_targetILNS1_3genE10ELNS1_11target_archE1200ELNS1_3gpuE4ELNS1_3repE0EEENS1_30default_config_static_selectorELNS0_4arch9wavefront6targetE0EEEvT1_.num_agpr, 0
	.set _ZN7rocprim17ROCPRIM_400000_NS6detail17trampoline_kernelINS0_14default_configENS1_27scan_by_key_config_selectorIj11FixedVectorIiLj8EEEEZZNS1_16scan_by_key_implILNS1_25lookback_scan_determinismE0ELb0ES3_N6thrust23THRUST_200600_302600_NS6detail15normal_iteratorINSB_10device_ptrIjEEEENSD_INSE_IS6_EEEESI_S6_NSB_4plusIvEENSB_8equal_toIvEES6_EE10hipError_tPvRmT2_T3_T4_T5_mT6_T7_P12ihipStream_tbENKUlT_T0_E_clISt17integral_constantIbLb1EES13_EEDaSY_SZ_EUlSY_E_NS1_11comp_targetILNS1_3genE10ELNS1_11target_archE1200ELNS1_3gpuE4ELNS1_3repE0EEENS1_30default_config_static_selectorELNS0_4arch9wavefront6targetE0EEEvT1_.numbered_sgpr, 0
	.set _ZN7rocprim17ROCPRIM_400000_NS6detail17trampoline_kernelINS0_14default_configENS1_27scan_by_key_config_selectorIj11FixedVectorIiLj8EEEEZZNS1_16scan_by_key_implILNS1_25lookback_scan_determinismE0ELb0ES3_N6thrust23THRUST_200600_302600_NS6detail15normal_iteratorINSB_10device_ptrIjEEEENSD_INSE_IS6_EEEESI_S6_NSB_4plusIvEENSB_8equal_toIvEES6_EE10hipError_tPvRmT2_T3_T4_T5_mT6_T7_P12ihipStream_tbENKUlT_T0_E_clISt17integral_constantIbLb1EES13_EEDaSY_SZ_EUlSY_E_NS1_11comp_targetILNS1_3genE10ELNS1_11target_archE1200ELNS1_3gpuE4ELNS1_3repE0EEENS1_30default_config_static_selectorELNS0_4arch9wavefront6targetE0EEEvT1_.num_named_barrier, 0
	.set _ZN7rocprim17ROCPRIM_400000_NS6detail17trampoline_kernelINS0_14default_configENS1_27scan_by_key_config_selectorIj11FixedVectorIiLj8EEEEZZNS1_16scan_by_key_implILNS1_25lookback_scan_determinismE0ELb0ES3_N6thrust23THRUST_200600_302600_NS6detail15normal_iteratorINSB_10device_ptrIjEEEENSD_INSE_IS6_EEEESI_S6_NSB_4plusIvEENSB_8equal_toIvEES6_EE10hipError_tPvRmT2_T3_T4_T5_mT6_T7_P12ihipStream_tbENKUlT_T0_E_clISt17integral_constantIbLb1EES13_EEDaSY_SZ_EUlSY_E_NS1_11comp_targetILNS1_3genE10ELNS1_11target_archE1200ELNS1_3gpuE4ELNS1_3repE0EEENS1_30default_config_static_selectorELNS0_4arch9wavefront6targetE0EEEvT1_.private_seg_size, 0
	.set _ZN7rocprim17ROCPRIM_400000_NS6detail17trampoline_kernelINS0_14default_configENS1_27scan_by_key_config_selectorIj11FixedVectorIiLj8EEEEZZNS1_16scan_by_key_implILNS1_25lookback_scan_determinismE0ELb0ES3_N6thrust23THRUST_200600_302600_NS6detail15normal_iteratorINSB_10device_ptrIjEEEENSD_INSE_IS6_EEEESI_S6_NSB_4plusIvEENSB_8equal_toIvEES6_EE10hipError_tPvRmT2_T3_T4_T5_mT6_T7_P12ihipStream_tbENKUlT_T0_E_clISt17integral_constantIbLb1EES13_EEDaSY_SZ_EUlSY_E_NS1_11comp_targetILNS1_3genE10ELNS1_11target_archE1200ELNS1_3gpuE4ELNS1_3repE0EEENS1_30default_config_static_selectorELNS0_4arch9wavefront6targetE0EEEvT1_.uses_vcc, 0
	.set _ZN7rocprim17ROCPRIM_400000_NS6detail17trampoline_kernelINS0_14default_configENS1_27scan_by_key_config_selectorIj11FixedVectorIiLj8EEEEZZNS1_16scan_by_key_implILNS1_25lookback_scan_determinismE0ELb0ES3_N6thrust23THRUST_200600_302600_NS6detail15normal_iteratorINSB_10device_ptrIjEEEENSD_INSE_IS6_EEEESI_S6_NSB_4plusIvEENSB_8equal_toIvEES6_EE10hipError_tPvRmT2_T3_T4_T5_mT6_T7_P12ihipStream_tbENKUlT_T0_E_clISt17integral_constantIbLb1EES13_EEDaSY_SZ_EUlSY_E_NS1_11comp_targetILNS1_3genE10ELNS1_11target_archE1200ELNS1_3gpuE4ELNS1_3repE0EEENS1_30default_config_static_selectorELNS0_4arch9wavefront6targetE0EEEvT1_.uses_flat_scratch, 0
	.set _ZN7rocprim17ROCPRIM_400000_NS6detail17trampoline_kernelINS0_14default_configENS1_27scan_by_key_config_selectorIj11FixedVectorIiLj8EEEEZZNS1_16scan_by_key_implILNS1_25lookback_scan_determinismE0ELb0ES3_N6thrust23THRUST_200600_302600_NS6detail15normal_iteratorINSB_10device_ptrIjEEEENSD_INSE_IS6_EEEESI_S6_NSB_4plusIvEENSB_8equal_toIvEES6_EE10hipError_tPvRmT2_T3_T4_T5_mT6_T7_P12ihipStream_tbENKUlT_T0_E_clISt17integral_constantIbLb1EES13_EEDaSY_SZ_EUlSY_E_NS1_11comp_targetILNS1_3genE10ELNS1_11target_archE1200ELNS1_3gpuE4ELNS1_3repE0EEENS1_30default_config_static_selectorELNS0_4arch9wavefront6targetE0EEEvT1_.has_dyn_sized_stack, 0
	.set _ZN7rocprim17ROCPRIM_400000_NS6detail17trampoline_kernelINS0_14default_configENS1_27scan_by_key_config_selectorIj11FixedVectorIiLj8EEEEZZNS1_16scan_by_key_implILNS1_25lookback_scan_determinismE0ELb0ES3_N6thrust23THRUST_200600_302600_NS6detail15normal_iteratorINSB_10device_ptrIjEEEENSD_INSE_IS6_EEEESI_S6_NSB_4plusIvEENSB_8equal_toIvEES6_EE10hipError_tPvRmT2_T3_T4_T5_mT6_T7_P12ihipStream_tbENKUlT_T0_E_clISt17integral_constantIbLb1EES13_EEDaSY_SZ_EUlSY_E_NS1_11comp_targetILNS1_3genE10ELNS1_11target_archE1200ELNS1_3gpuE4ELNS1_3repE0EEENS1_30default_config_static_selectorELNS0_4arch9wavefront6targetE0EEEvT1_.has_recursion, 0
	.set _ZN7rocprim17ROCPRIM_400000_NS6detail17trampoline_kernelINS0_14default_configENS1_27scan_by_key_config_selectorIj11FixedVectorIiLj8EEEEZZNS1_16scan_by_key_implILNS1_25lookback_scan_determinismE0ELb0ES3_N6thrust23THRUST_200600_302600_NS6detail15normal_iteratorINSB_10device_ptrIjEEEENSD_INSE_IS6_EEEESI_S6_NSB_4plusIvEENSB_8equal_toIvEES6_EE10hipError_tPvRmT2_T3_T4_T5_mT6_T7_P12ihipStream_tbENKUlT_T0_E_clISt17integral_constantIbLb1EES13_EEDaSY_SZ_EUlSY_E_NS1_11comp_targetILNS1_3genE10ELNS1_11target_archE1200ELNS1_3gpuE4ELNS1_3repE0EEENS1_30default_config_static_selectorELNS0_4arch9wavefront6targetE0EEEvT1_.has_indirect_call, 0
	.section	.AMDGPU.csdata,"",@progbits
; Kernel info:
; codeLenInByte = 0
; TotalNumSgprs: 0
; NumVgprs: 0
; ScratchSize: 0
; MemoryBound: 0
; FloatMode: 240
; IeeeMode: 1
; LDSByteSize: 0 bytes/workgroup (compile time only)
; SGPRBlocks: 0
; VGPRBlocks: 0
; NumSGPRsForWavesPerEU: 1
; NumVGPRsForWavesPerEU: 1
; NamedBarCnt: 0
; Occupancy: 16
; WaveLimiterHint : 0
; COMPUTE_PGM_RSRC2:SCRATCH_EN: 0
; COMPUTE_PGM_RSRC2:USER_SGPR: 2
; COMPUTE_PGM_RSRC2:TRAP_HANDLER: 0
; COMPUTE_PGM_RSRC2:TGID_X_EN: 1
; COMPUTE_PGM_RSRC2:TGID_Y_EN: 0
; COMPUTE_PGM_RSRC2:TGID_Z_EN: 0
; COMPUTE_PGM_RSRC2:TIDIG_COMP_CNT: 0
	.section	.text._ZN7rocprim17ROCPRIM_400000_NS6detail17trampoline_kernelINS0_14default_configENS1_27scan_by_key_config_selectorIj11FixedVectorIiLj8EEEEZZNS1_16scan_by_key_implILNS1_25lookback_scan_determinismE0ELb0ES3_N6thrust23THRUST_200600_302600_NS6detail15normal_iteratorINSB_10device_ptrIjEEEENSD_INSE_IS6_EEEESI_S6_NSB_4plusIvEENSB_8equal_toIvEES6_EE10hipError_tPvRmT2_T3_T4_T5_mT6_T7_P12ihipStream_tbENKUlT_T0_E_clISt17integral_constantIbLb1EES13_EEDaSY_SZ_EUlSY_E_NS1_11comp_targetILNS1_3genE9ELNS1_11target_archE1100ELNS1_3gpuE3ELNS1_3repE0EEENS1_30default_config_static_selectorELNS0_4arch9wavefront6targetE0EEEvT1_,"axG",@progbits,_ZN7rocprim17ROCPRIM_400000_NS6detail17trampoline_kernelINS0_14default_configENS1_27scan_by_key_config_selectorIj11FixedVectorIiLj8EEEEZZNS1_16scan_by_key_implILNS1_25lookback_scan_determinismE0ELb0ES3_N6thrust23THRUST_200600_302600_NS6detail15normal_iteratorINSB_10device_ptrIjEEEENSD_INSE_IS6_EEEESI_S6_NSB_4plusIvEENSB_8equal_toIvEES6_EE10hipError_tPvRmT2_T3_T4_T5_mT6_T7_P12ihipStream_tbENKUlT_T0_E_clISt17integral_constantIbLb1EES13_EEDaSY_SZ_EUlSY_E_NS1_11comp_targetILNS1_3genE9ELNS1_11target_archE1100ELNS1_3gpuE3ELNS1_3repE0EEENS1_30default_config_static_selectorELNS0_4arch9wavefront6targetE0EEEvT1_,comdat
	.protected	_ZN7rocprim17ROCPRIM_400000_NS6detail17trampoline_kernelINS0_14default_configENS1_27scan_by_key_config_selectorIj11FixedVectorIiLj8EEEEZZNS1_16scan_by_key_implILNS1_25lookback_scan_determinismE0ELb0ES3_N6thrust23THRUST_200600_302600_NS6detail15normal_iteratorINSB_10device_ptrIjEEEENSD_INSE_IS6_EEEESI_S6_NSB_4plusIvEENSB_8equal_toIvEES6_EE10hipError_tPvRmT2_T3_T4_T5_mT6_T7_P12ihipStream_tbENKUlT_T0_E_clISt17integral_constantIbLb1EES13_EEDaSY_SZ_EUlSY_E_NS1_11comp_targetILNS1_3genE9ELNS1_11target_archE1100ELNS1_3gpuE3ELNS1_3repE0EEENS1_30default_config_static_selectorELNS0_4arch9wavefront6targetE0EEEvT1_ ; -- Begin function _ZN7rocprim17ROCPRIM_400000_NS6detail17trampoline_kernelINS0_14default_configENS1_27scan_by_key_config_selectorIj11FixedVectorIiLj8EEEEZZNS1_16scan_by_key_implILNS1_25lookback_scan_determinismE0ELb0ES3_N6thrust23THRUST_200600_302600_NS6detail15normal_iteratorINSB_10device_ptrIjEEEENSD_INSE_IS6_EEEESI_S6_NSB_4plusIvEENSB_8equal_toIvEES6_EE10hipError_tPvRmT2_T3_T4_T5_mT6_T7_P12ihipStream_tbENKUlT_T0_E_clISt17integral_constantIbLb1EES13_EEDaSY_SZ_EUlSY_E_NS1_11comp_targetILNS1_3genE9ELNS1_11target_archE1100ELNS1_3gpuE3ELNS1_3repE0EEENS1_30default_config_static_selectorELNS0_4arch9wavefront6targetE0EEEvT1_
	.globl	_ZN7rocprim17ROCPRIM_400000_NS6detail17trampoline_kernelINS0_14default_configENS1_27scan_by_key_config_selectorIj11FixedVectorIiLj8EEEEZZNS1_16scan_by_key_implILNS1_25lookback_scan_determinismE0ELb0ES3_N6thrust23THRUST_200600_302600_NS6detail15normal_iteratorINSB_10device_ptrIjEEEENSD_INSE_IS6_EEEESI_S6_NSB_4plusIvEENSB_8equal_toIvEES6_EE10hipError_tPvRmT2_T3_T4_T5_mT6_T7_P12ihipStream_tbENKUlT_T0_E_clISt17integral_constantIbLb1EES13_EEDaSY_SZ_EUlSY_E_NS1_11comp_targetILNS1_3genE9ELNS1_11target_archE1100ELNS1_3gpuE3ELNS1_3repE0EEENS1_30default_config_static_selectorELNS0_4arch9wavefront6targetE0EEEvT1_
	.p2align	8
	.type	_ZN7rocprim17ROCPRIM_400000_NS6detail17trampoline_kernelINS0_14default_configENS1_27scan_by_key_config_selectorIj11FixedVectorIiLj8EEEEZZNS1_16scan_by_key_implILNS1_25lookback_scan_determinismE0ELb0ES3_N6thrust23THRUST_200600_302600_NS6detail15normal_iteratorINSB_10device_ptrIjEEEENSD_INSE_IS6_EEEESI_S6_NSB_4plusIvEENSB_8equal_toIvEES6_EE10hipError_tPvRmT2_T3_T4_T5_mT6_T7_P12ihipStream_tbENKUlT_T0_E_clISt17integral_constantIbLb1EES13_EEDaSY_SZ_EUlSY_E_NS1_11comp_targetILNS1_3genE9ELNS1_11target_archE1100ELNS1_3gpuE3ELNS1_3repE0EEENS1_30default_config_static_selectorELNS0_4arch9wavefront6targetE0EEEvT1_,@function
_ZN7rocprim17ROCPRIM_400000_NS6detail17trampoline_kernelINS0_14default_configENS1_27scan_by_key_config_selectorIj11FixedVectorIiLj8EEEEZZNS1_16scan_by_key_implILNS1_25lookback_scan_determinismE0ELb0ES3_N6thrust23THRUST_200600_302600_NS6detail15normal_iteratorINSB_10device_ptrIjEEEENSD_INSE_IS6_EEEESI_S6_NSB_4plusIvEENSB_8equal_toIvEES6_EE10hipError_tPvRmT2_T3_T4_T5_mT6_T7_P12ihipStream_tbENKUlT_T0_E_clISt17integral_constantIbLb1EES13_EEDaSY_SZ_EUlSY_E_NS1_11comp_targetILNS1_3genE9ELNS1_11target_archE1100ELNS1_3gpuE3ELNS1_3repE0EEENS1_30default_config_static_selectorELNS0_4arch9wavefront6targetE0EEEvT1_: ; @_ZN7rocprim17ROCPRIM_400000_NS6detail17trampoline_kernelINS0_14default_configENS1_27scan_by_key_config_selectorIj11FixedVectorIiLj8EEEEZZNS1_16scan_by_key_implILNS1_25lookback_scan_determinismE0ELb0ES3_N6thrust23THRUST_200600_302600_NS6detail15normal_iteratorINSB_10device_ptrIjEEEENSD_INSE_IS6_EEEESI_S6_NSB_4plusIvEENSB_8equal_toIvEES6_EE10hipError_tPvRmT2_T3_T4_T5_mT6_T7_P12ihipStream_tbENKUlT_T0_E_clISt17integral_constantIbLb1EES13_EEDaSY_SZ_EUlSY_E_NS1_11comp_targetILNS1_3genE9ELNS1_11target_archE1100ELNS1_3gpuE3ELNS1_3repE0EEENS1_30default_config_static_selectorELNS0_4arch9wavefront6targetE0EEEvT1_
; %bb.0:
	.section	.rodata,"a",@progbits
	.p2align	6, 0x0
	.amdhsa_kernel _ZN7rocprim17ROCPRIM_400000_NS6detail17trampoline_kernelINS0_14default_configENS1_27scan_by_key_config_selectorIj11FixedVectorIiLj8EEEEZZNS1_16scan_by_key_implILNS1_25lookback_scan_determinismE0ELb0ES3_N6thrust23THRUST_200600_302600_NS6detail15normal_iteratorINSB_10device_ptrIjEEEENSD_INSE_IS6_EEEESI_S6_NSB_4plusIvEENSB_8equal_toIvEES6_EE10hipError_tPvRmT2_T3_T4_T5_mT6_T7_P12ihipStream_tbENKUlT_T0_E_clISt17integral_constantIbLb1EES13_EEDaSY_SZ_EUlSY_E_NS1_11comp_targetILNS1_3genE9ELNS1_11target_archE1100ELNS1_3gpuE3ELNS1_3repE0EEENS1_30default_config_static_selectorELNS0_4arch9wavefront6targetE0EEEvT1_
		.amdhsa_group_segment_fixed_size 0
		.amdhsa_private_segment_fixed_size 0
		.amdhsa_kernarg_size 160
		.amdhsa_user_sgpr_count 2
		.amdhsa_user_sgpr_dispatch_ptr 0
		.amdhsa_user_sgpr_queue_ptr 0
		.amdhsa_user_sgpr_kernarg_segment_ptr 1
		.amdhsa_user_sgpr_dispatch_id 0
		.amdhsa_user_sgpr_kernarg_preload_length 0
		.amdhsa_user_sgpr_kernarg_preload_offset 0
		.amdhsa_user_sgpr_private_segment_size 0
		.amdhsa_wavefront_size32 1
		.amdhsa_uses_dynamic_stack 0
		.amdhsa_enable_private_segment 0
		.amdhsa_system_sgpr_workgroup_id_x 1
		.amdhsa_system_sgpr_workgroup_id_y 0
		.amdhsa_system_sgpr_workgroup_id_z 0
		.amdhsa_system_sgpr_workgroup_info 0
		.amdhsa_system_vgpr_workitem_id 0
		.amdhsa_next_free_vgpr 1
		.amdhsa_next_free_sgpr 1
		.amdhsa_named_barrier_count 0
		.amdhsa_reserve_vcc 0
		.amdhsa_float_round_mode_32 0
		.amdhsa_float_round_mode_16_64 0
		.amdhsa_float_denorm_mode_32 3
		.amdhsa_float_denorm_mode_16_64 3
		.amdhsa_fp16_overflow 0
		.amdhsa_memory_ordered 1
		.amdhsa_forward_progress 1
		.amdhsa_inst_pref_size 0
		.amdhsa_round_robin_scheduling 0
		.amdhsa_exception_fp_ieee_invalid_op 0
		.amdhsa_exception_fp_denorm_src 0
		.amdhsa_exception_fp_ieee_div_zero 0
		.amdhsa_exception_fp_ieee_overflow 0
		.amdhsa_exception_fp_ieee_underflow 0
		.amdhsa_exception_fp_ieee_inexact 0
		.amdhsa_exception_int_div_zero 0
	.end_amdhsa_kernel
	.section	.text._ZN7rocprim17ROCPRIM_400000_NS6detail17trampoline_kernelINS0_14default_configENS1_27scan_by_key_config_selectorIj11FixedVectorIiLj8EEEEZZNS1_16scan_by_key_implILNS1_25lookback_scan_determinismE0ELb0ES3_N6thrust23THRUST_200600_302600_NS6detail15normal_iteratorINSB_10device_ptrIjEEEENSD_INSE_IS6_EEEESI_S6_NSB_4plusIvEENSB_8equal_toIvEES6_EE10hipError_tPvRmT2_T3_T4_T5_mT6_T7_P12ihipStream_tbENKUlT_T0_E_clISt17integral_constantIbLb1EES13_EEDaSY_SZ_EUlSY_E_NS1_11comp_targetILNS1_3genE9ELNS1_11target_archE1100ELNS1_3gpuE3ELNS1_3repE0EEENS1_30default_config_static_selectorELNS0_4arch9wavefront6targetE0EEEvT1_,"axG",@progbits,_ZN7rocprim17ROCPRIM_400000_NS6detail17trampoline_kernelINS0_14default_configENS1_27scan_by_key_config_selectorIj11FixedVectorIiLj8EEEEZZNS1_16scan_by_key_implILNS1_25lookback_scan_determinismE0ELb0ES3_N6thrust23THRUST_200600_302600_NS6detail15normal_iteratorINSB_10device_ptrIjEEEENSD_INSE_IS6_EEEESI_S6_NSB_4plusIvEENSB_8equal_toIvEES6_EE10hipError_tPvRmT2_T3_T4_T5_mT6_T7_P12ihipStream_tbENKUlT_T0_E_clISt17integral_constantIbLb1EES13_EEDaSY_SZ_EUlSY_E_NS1_11comp_targetILNS1_3genE9ELNS1_11target_archE1100ELNS1_3gpuE3ELNS1_3repE0EEENS1_30default_config_static_selectorELNS0_4arch9wavefront6targetE0EEEvT1_,comdat
.Lfunc_end2133:
	.size	_ZN7rocprim17ROCPRIM_400000_NS6detail17trampoline_kernelINS0_14default_configENS1_27scan_by_key_config_selectorIj11FixedVectorIiLj8EEEEZZNS1_16scan_by_key_implILNS1_25lookback_scan_determinismE0ELb0ES3_N6thrust23THRUST_200600_302600_NS6detail15normal_iteratorINSB_10device_ptrIjEEEENSD_INSE_IS6_EEEESI_S6_NSB_4plusIvEENSB_8equal_toIvEES6_EE10hipError_tPvRmT2_T3_T4_T5_mT6_T7_P12ihipStream_tbENKUlT_T0_E_clISt17integral_constantIbLb1EES13_EEDaSY_SZ_EUlSY_E_NS1_11comp_targetILNS1_3genE9ELNS1_11target_archE1100ELNS1_3gpuE3ELNS1_3repE0EEENS1_30default_config_static_selectorELNS0_4arch9wavefront6targetE0EEEvT1_, .Lfunc_end2133-_ZN7rocprim17ROCPRIM_400000_NS6detail17trampoline_kernelINS0_14default_configENS1_27scan_by_key_config_selectorIj11FixedVectorIiLj8EEEEZZNS1_16scan_by_key_implILNS1_25lookback_scan_determinismE0ELb0ES3_N6thrust23THRUST_200600_302600_NS6detail15normal_iteratorINSB_10device_ptrIjEEEENSD_INSE_IS6_EEEESI_S6_NSB_4plusIvEENSB_8equal_toIvEES6_EE10hipError_tPvRmT2_T3_T4_T5_mT6_T7_P12ihipStream_tbENKUlT_T0_E_clISt17integral_constantIbLb1EES13_EEDaSY_SZ_EUlSY_E_NS1_11comp_targetILNS1_3genE9ELNS1_11target_archE1100ELNS1_3gpuE3ELNS1_3repE0EEENS1_30default_config_static_selectorELNS0_4arch9wavefront6targetE0EEEvT1_
                                        ; -- End function
	.set _ZN7rocprim17ROCPRIM_400000_NS6detail17trampoline_kernelINS0_14default_configENS1_27scan_by_key_config_selectorIj11FixedVectorIiLj8EEEEZZNS1_16scan_by_key_implILNS1_25lookback_scan_determinismE0ELb0ES3_N6thrust23THRUST_200600_302600_NS6detail15normal_iteratorINSB_10device_ptrIjEEEENSD_INSE_IS6_EEEESI_S6_NSB_4plusIvEENSB_8equal_toIvEES6_EE10hipError_tPvRmT2_T3_T4_T5_mT6_T7_P12ihipStream_tbENKUlT_T0_E_clISt17integral_constantIbLb1EES13_EEDaSY_SZ_EUlSY_E_NS1_11comp_targetILNS1_3genE9ELNS1_11target_archE1100ELNS1_3gpuE3ELNS1_3repE0EEENS1_30default_config_static_selectorELNS0_4arch9wavefront6targetE0EEEvT1_.num_vgpr, 0
	.set _ZN7rocprim17ROCPRIM_400000_NS6detail17trampoline_kernelINS0_14default_configENS1_27scan_by_key_config_selectorIj11FixedVectorIiLj8EEEEZZNS1_16scan_by_key_implILNS1_25lookback_scan_determinismE0ELb0ES3_N6thrust23THRUST_200600_302600_NS6detail15normal_iteratorINSB_10device_ptrIjEEEENSD_INSE_IS6_EEEESI_S6_NSB_4plusIvEENSB_8equal_toIvEES6_EE10hipError_tPvRmT2_T3_T4_T5_mT6_T7_P12ihipStream_tbENKUlT_T0_E_clISt17integral_constantIbLb1EES13_EEDaSY_SZ_EUlSY_E_NS1_11comp_targetILNS1_3genE9ELNS1_11target_archE1100ELNS1_3gpuE3ELNS1_3repE0EEENS1_30default_config_static_selectorELNS0_4arch9wavefront6targetE0EEEvT1_.num_agpr, 0
	.set _ZN7rocprim17ROCPRIM_400000_NS6detail17trampoline_kernelINS0_14default_configENS1_27scan_by_key_config_selectorIj11FixedVectorIiLj8EEEEZZNS1_16scan_by_key_implILNS1_25lookback_scan_determinismE0ELb0ES3_N6thrust23THRUST_200600_302600_NS6detail15normal_iteratorINSB_10device_ptrIjEEEENSD_INSE_IS6_EEEESI_S6_NSB_4plusIvEENSB_8equal_toIvEES6_EE10hipError_tPvRmT2_T3_T4_T5_mT6_T7_P12ihipStream_tbENKUlT_T0_E_clISt17integral_constantIbLb1EES13_EEDaSY_SZ_EUlSY_E_NS1_11comp_targetILNS1_3genE9ELNS1_11target_archE1100ELNS1_3gpuE3ELNS1_3repE0EEENS1_30default_config_static_selectorELNS0_4arch9wavefront6targetE0EEEvT1_.numbered_sgpr, 0
	.set _ZN7rocprim17ROCPRIM_400000_NS6detail17trampoline_kernelINS0_14default_configENS1_27scan_by_key_config_selectorIj11FixedVectorIiLj8EEEEZZNS1_16scan_by_key_implILNS1_25lookback_scan_determinismE0ELb0ES3_N6thrust23THRUST_200600_302600_NS6detail15normal_iteratorINSB_10device_ptrIjEEEENSD_INSE_IS6_EEEESI_S6_NSB_4plusIvEENSB_8equal_toIvEES6_EE10hipError_tPvRmT2_T3_T4_T5_mT6_T7_P12ihipStream_tbENKUlT_T0_E_clISt17integral_constantIbLb1EES13_EEDaSY_SZ_EUlSY_E_NS1_11comp_targetILNS1_3genE9ELNS1_11target_archE1100ELNS1_3gpuE3ELNS1_3repE0EEENS1_30default_config_static_selectorELNS0_4arch9wavefront6targetE0EEEvT1_.num_named_barrier, 0
	.set _ZN7rocprim17ROCPRIM_400000_NS6detail17trampoline_kernelINS0_14default_configENS1_27scan_by_key_config_selectorIj11FixedVectorIiLj8EEEEZZNS1_16scan_by_key_implILNS1_25lookback_scan_determinismE0ELb0ES3_N6thrust23THRUST_200600_302600_NS6detail15normal_iteratorINSB_10device_ptrIjEEEENSD_INSE_IS6_EEEESI_S6_NSB_4plusIvEENSB_8equal_toIvEES6_EE10hipError_tPvRmT2_T3_T4_T5_mT6_T7_P12ihipStream_tbENKUlT_T0_E_clISt17integral_constantIbLb1EES13_EEDaSY_SZ_EUlSY_E_NS1_11comp_targetILNS1_3genE9ELNS1_11target_archE1100ELNS1_3gpuE3ELNS1_3repE0EEENS1_30default_config_static_selectorELNS0_4arch9wavefront6targetE0EEEvT1_.private_seg_size, 0
	.set _ZN7rocprim17ROCPRIM_400000_NS6detail17trampoline_kernelINS0_14default_configENS1_27scan_by_key_config_selectorIj11FixedVectorIiLj8EEEEZZNS1_16scan_by_key_implILNS1_25lookback_scan_determinismE0ELb0ES3_N6thrust23THRUST_200600_302600_NS6detail15normal_iteratorINSB_10device_ptrIjEEEENSD_INSE_IS6_EEEESI_S6_NSB_4plusIvEENSB_8equal_toIvEES6_EE10hipError_tPvRmT2_T3_T4_T5_mT6_T7_P12ihipStream_tbENKUlT_T0_E_clISt17integral_constantIbLb1EES13_EEDaSY_SZ_EUlSY_E_NS1_11comp_targetILNS1_3genE9ELNS1_11target_archE1100ELNS1_3gpuE3ELNS1_3repE0EEENS1_30default_config_static_selectorELNS0_4arch9wavefront6targetE0EEEvT1_.uses_vcc, 0
	.set _ZN7rocprim17ROCPRIM_400000_NS6detail17trampoline_kernelINS0_14default_configENS1_27scan_by_key_config_selectorIj11FixedVectorIiLj8EEEEZZNS1_16scan_by_key_implILNS1_25lookback_scan_determinismE0ELb0ES3_N6thrust23THRUST_200600_302600_NS6detail15normal_iteratorINSB_10device_ptrIjEEEENSD_INSE_IS6_EEEESI_S6_NSB_4plusIvEENSB_8equal_toIvEES6_EE10hipError_tPvRmT2_T3_T4_T5_mT6_T7_P12ihipStream_tbENKUlT_T0_E_clISt17integral_constantIbLb1EES13_EEDaSY_SZ_EUlSY_E_NS1_11comp_targetILNS1_3genE9ELNS1_11target_archE1100ELNS1_3gpuE3ELNS1_3repE0EEENS1_30default_config_static_selectorELNS0_4arch9wavefront6targetE0EEEvT1_.uses_flat_scratch, 0
	.set _ZN7rocprim17ROCPRIM_400000_NS6detail17trampoline_kernelINS0_14default_configENS1_27scan_by_key_config_selectorIj11FixedVectorIiLj8EEEEZZNS1_16scan_by_key_implILNS1_25lookback_scan_determinismE0ELb0ES3_N6thrust23THRUST_200600_302600_NS6detail15normal_iteratorINSB_10device_ptrIjEEEENSD_INSE_IS6_EEEESI_S6_NSB_4plusIvEENSB_8equal_toIvEES6_EE10hipError_tPvRmT2_T3_T4_T5_mT6_T7_P12ihipStream_tbENKUlT_T0_E_clISt17integral_constantIbLb1EES13_EEDaSY_SZ_EUlSY_E_NS1_11comp_targetILNS1_3genE9ELNS1_11target_archE1100ELNS1_3gpuE3ELNS1_3repE0EEENS1_30default_config_static_selectorELNS0_4arch9wavefront6targetE0EEEvT1_.has_dyn_sized_stack, 0
	.set _ZN7rocprim17ROCPRIM_400000_NS6detail17trampoline_kernelINS0_14default_configENS1_27scan_by_key_config_selectorIj11FixedVectorIiLj8EEEEZZNS1_16scan_by_key_implILNS1_25lookback_scan_determinismE0ELb0ES3_N6thrust23THRUST_200600_302600_NS6detail15normal_iteratorINSB_10device_ptrIjEEEENSD_INSE_IS6_EEEESI_S6_NSB_4plusIvEENSB_8equal_toIvEES6_EE10hipError_tPvRmT2_T3_T4_T5_mT6_T7_P12ihipStream_tbENKUlT_T0_E_clISt17integral_constantIbLb1EES13_EEDaSY_SZ_EUlSY_E_NS1_11comp_targetILNS1_3genE9ELNS1_11target_archE1100ELNS1_3gpuE3ELNS1_3repE0EEENS1_30default_config_static_selectorELNS0_4arch9wavefront6targetE0EEEvT1_.has_recursion, 0
	.set _ZN7rocprim17ROCPRIM_400000_NS6detail17trampoline_kernelINS0_14default_configENS1_27scan_by_key_config_selectorIj11FixedVectorIiLj8EEEEZZNS1_16scan_by_key_implILNS1_25lookback_scan_determinismE0ELb0ES3_N6thrust23THRUST_200600_302600_NS6detail15normal_iteratorINSB_10device_ptrIjEEEENSD_INSE_IS6_EEEESI_S6_NSB_4plusIvEENSB_8equal_toIvEES6_EE10hipError_tPvRmT2_T3_T4_T5_mT6_T7_P12ihipStream_tbENKUlT_T0_E_clISt17integral_constantIbLb1EES13_EEDaSY_SZ_EUlSY_E_NS1_11comp_targetILNS1_3genE9ELNS1_11target_archE1100ELNS1_3gpuE3ELNS1_3repE0EEENS1_30default_config_static_selectorELNS0_4arch9wavefront6targetE0EEEvT1_.has_indirect_call, 0
	.section	.AMDGPU.csdata,"",@progbits
; Kernel info:
; codeLenInByte = 0
; TotalNumSgprs: 0
; NumVgprs: 0
; ScratchSize: 0
; MemoryBound: 0
; FloatMode: 240
; IeeeMode: 1
; LDSByteSize: 0 bytes/workgroup (compile time only)
; SGPRBlocks: 0
; VGPRBlocks: 0
; NumSGPRsForWavesPerEU: 1
; NumVGPRsForWavesPerEU: 1
; NamedBarCnt: 0
; Occupancy: 16
; WaveLimiterHint : 0
; COMPUTE_PGM_RSRC2:SCRATCH_EN: 0
; COMPUTE_PGM_RSRC2:USER_SGPR: 2
; COMPUTE_PGM_RSRC2:TRAP_HANDLER: 0
; COMPUTE_PGM_RSRC2:TGID_X_EN: 1
; COMPUTE_PGM_RSRC2:TGID_Y_EN: 0
; COMPUTE_PGM_RSRC2:TGID_Z_EN: 0
; COMPUTE_PGM_RSRC2:TIDIG_COMP_CNT: 0
	.section	.text._ZN7rocprim17ROCPRIM_400000_NS6detail17trampoline_kernelINS0_14default_configENS1_27scan_by_key_config_selectorIj11FixedVectorIiLj8EEEEZZNS1_16scan_by_key_implILNS1_25lookback_scan_determinismE0ELb0ES3_N6thrust23THRUST_200600_302600_NS6detail15normal_iteratorINSB_10device_ptrIjEEEENSD_INSE_IS6_EEEESI_S6_NSB_4plusIvEENSB_8equal_toIvEES6_EE10hipError_tPvRmT2_T3_T4_T5_mT6_T7_P12ihipStream_tbENKUlT_T0_E_clISt17integral_constantIbLb1EES13_EEDaSY_SZ_EUlSY_E_NS1_11comp_targetILNS1_3genE8ELNS1_11target_archE1030ELNS1_3gpuE2ELNS1_3repE0EEENS1_30default_config_static_selectorELNS0_4arch9wavefront6targetE0EEEvT1_,"axG",@progbits,_ZN7rocprim17ROCPRIM_400000_NS6detail17trampoline_kernelINS0_14default_configENS1_27scan_by_key_config_selectorIj11FixedVectorIiLj8EEEEZZNS1_16scan_by_key_implILNS1_25lookback_scan_determinismE0ELb0ES3_N6thrust23THRUST_200600_302600_NS6detail15normal_iteratorINSB_10device_ptrIjEEEENSD_INSE_IS6_EEEESI_S6_NSB_4plusIvEENSB_8equal_toIvEES6_EE10hipError_tPvRmT2_T3_T4_T5_mT6_T7_P12ihipStream_tbENKUlT_T0_E_clISt17integral_constantIbLb1EES13_EEDaSY_SZ_EUlSY_E_NS1_11comp_targetILNS1_3genE8ELNS1_11target_archE1030ELNS1_3gpuE2ELNS1_3repE0EEENS1_30default_config_static_selectorELNS0_4arch9wavefront6targetE0EEEvT1_,comdat
	.protected	_ZN7rocprim17ROCPRIM_400000_NS6detail17trampoline_kernelINS0_14default_configENS1_27scan_by_key_config_selectorIj11FixedVectorIiLj8EEEEZZNS1_16scan_by_key_implILNS1_25lookback_scan_determinismE0ELb0ES3_N6thrust23THRUST_200600_302600_NS6detail15normal_iteratorINSB_10device_ptrIjEEEENSD_INSE_IS6_EEEESI_S6_NSB_4plusIvEENSB_8equal_toIvEES6_EE10hipError_tPvRmT2_T3_T4_T5_mT6_T7_P12ihipStream_tbENKUlT_T0_E_clISt17integral_constantIbLb1EES13_EEDaSY_SZ_EUlSY_E_NS1_11comp_targetILNS1_3genE8ELNS1_11target_archE1030ELNS1_3gpuE2ELNS1_3repE0EEENS1_30default_config_static_selectorELNS0_4arch9wavefront6targetE0EEEvT1_ ; -- Begin function _ZN7rocprim17ROCPRIM_400000_NS6detail17trampoline_kernelINS0_14default_configENS1_27scan_by_key_config_selectorIj11FixedVectorIiLj8EEEEZZNS1_16scan_by_key_implILNS1_25lookback_scan_determinismE0ELb0ES3_N6thrust23THRUST_200600_302600_NS6detail15normal_iteratorINSB_10device_ptrIjEEEENSD_INSE_IS6_EEEESI_S6_NSB_4plusIvEENSB_8equal_toIvEES6_EE10hipError_tPvRmT2_T3_T4_T5_mT6_T7_P12ihipStream_tbENKUlT_T0_E_clISt17integral_constantIbLb1EES13_EEDaSY_SZ_EUlSY_E_NS1_11comp_targetILNS1_3genE8ELNS1_11target_archE1030ELNS1_3gpuE2ELNS1_3repE0EEENS1_30default_config_static_selectorELNS0_4arch9wavefront6targetE0EEEvT1_
	.globl	_ZN7rocprim17ROCPRIM_400000_NS6detail17trampoline_kernelINS0_14default_configENS1_27scan_by_key_config_selectorIj11FixedVectorIiLj8EEEEZZNS1_16scan_by_key_implILNS1_25lookback_scan_determinismE0ELb0ES3_N6thrust23THRUST_200600_302600_NS6detail15normal_iteratorINSB_10device_ptrIjEEEENSD_INSE_IS6_EEEESI_S6_NSB_4plusIvEENSB_8equal_toIvEES6_EE10hipError_tPvRmT2_T3_T4_T5_mT6_T7_P12ihipStream_tbENKUlT_T0_E_clISt17integral_constantIbLb1EES13_EEDaSY_SZ_EUlSY_E_NS1_11comp_targetILNS1_3genE8ELNS1_11target_archE1030ELNS1_3gpuE2ELNS1_3repE0EEENS1_30default_config_static_selectorELNS0_4arch9wavefront6targetE0EEEvT1_
	.p2align	8
	.type	_ZN7rocprim17ROCPRIM_400000_NS6detail17trampoline_kernelINS0_14default_configENS1_27scan_by_key_config_selectorIj11FixedVectorIiLj8EEEEZZNS1_16scan_by_key_implILNS1_25lookback_scan_determinismE0ELb0ES3_N6thrust23THRUST_200600_302600_NS6detail15normal_iteratorINSB_10device_ptrIjEEEENSD_INSE_IS6_EEEESI_S6_NSB_4plusIvEENSB_8equal_toIvEES6_EE10hipError_tPvRmT2_T3_T4_T5_mT6_T7_P12ihipStream_tbENKUlT_T0_E_clISt17integral_constantIbLb1EES13_EEDaSY_SZ_EUlSY_E_NS1_11comp_targetILNS1_3genE8ELNS1_11target_archE1030ELNS1_3gpuE2ELNS1_3repE0EEENS1_30default_config_static_selectorELNS0_4arch9wavefront6targetE0EEEvT1_,@function
_ZN7rocprim17ROCPRIM_400000_NS6detail17trampoline_kernelINS0_14default_configENS1_27scan_by_key_config_selectorIj11FixedVectorIiLj8EEEEZZNS1_16scan_by_key_implILNS1_25lookback_scan_determinismE0ELb0ES3_N6thrust23THRUST_200600_302600_NS6detail15normal_iteratorINSB_10device_ptrIjEEEENSD_INSE_IS6_EEEESI_S6_NSB_4plusIvEENSB_8equal_toIvEES6_EE10hipError_tPvRmT2_T3_T4_T5_mT6_T7_P12ihipStream_tbENKUlT_T0_E_clISt17integral_constantIbLb1EES13_EEDaSY_SZ_EUlSY_E_NS1_11comp_targetILNS1_3genE8ELNS1_11target_archE1030ELNS1_3gpuE2ELNS1_3repE0EEENS1_30default_config_static_selectorELNS0_4arch9wavefront6targetE0EEEvT1_: ; @_ZN7rocprim17ROCPRIM_400000_NS6detail17trampoline_kernelINS0_14default_configENS1_27scan_by_key_config_selectorIj11FixedVectorIiLj8EEEEZZNS1_16scan_by_key_implILNS1_25lookback_scan_determinismE0ELb0ES3_N6thrust23THRUST_200600_302600_NS6detail15normal_iteratorINSB_10device_ptrIjEEEENSD_INSE_IS6_EEEESI_S6_NSB_4plusIvEENSB_8equal_toIvEES6_EE10hipError_tPvRmT2_T3_T4_T5_mT6_T7_P12ihipStream_tbENKUlT_T0_E_clISt17integral_constantIbLb1EES13_EEDaSY_SZ_EUlSY_E_NS1_11comp_targetILNS1_3genE8ELNS1_11target_archE1030ELNS1_3gpuE2ELNS1_3repE0EEENS1_30default_config_static_selectorELNS0_4arch9wavefront6targetE0EEEvT1_
; %bb.0:
	.section	.rodata,"a",@progbits
	.p2align	6, 0x0
	.amdhsa_kernel _ZN7rocprim17ROCPRIM_400000_NS6detail17trampoline_kernelINS0_14default_configENS1_27scan_by_key_config_selectorIj11FixedVectorIiLj8EEEEZZNS1_16scan_by_key_implILNS1_25lookback_scan_determinismE0ELb0ES3_N6thrust23THRUST_200600_302600_NS6detail15normal_iteratorINSB_10device_ptrIjEEEENSD_INSE_IS6_EEEESI_S6_NSB_4plusIvEENSB_8equal_toIvEES6_EE10hipError_tPvRmT2_T3_T4_T5_mT6_T7_P12ihipStream_tbENKUlT_T0_E_clISt17integral_constantIbLb1EES13_EEDaSY_SZ_EUlSY_E_NS1_11comp_targetILNS1_3genE8ELNS1_11target_archE1030ELNS1_3gpuE2ELNS1_3repE0EEENS1_30default_config_static_selectorELNS0_4arch9wavefront6targetE0EEEvT1_
		.amdhsa_group_segment_fixed_size 0
		.amdhsa_private_segment_fixed_size 0
		.amdhsa_kernarg_size 160
		.amdhsa_user_sgpr_count 2
		.amdhsa_user_sgpr_dispatch_ptr 0
		.amdhsa_user_sgpr_queue_ptr 0
		.amdhsa_user_sgpr_kernarg_segment_ptr 1
		.amdhsa_user_sgpr_dispatch_id 0
		.amdhsa_user_sgpr_kernarg_preload_length 0
		.amdhsa_user_sgpr_kernarg_preload_offset 0
		.amdhsa_user_sgpr_private_segment_size 0
		.amdhsa_wavefront_size32 1
		.amdhsa_uses_dynamic_stack 0
		.amdhsa_enable_private_segment 0
		.amdhsa_system_sgpr_workgroup_id_x 1
		.amdhsa_system_sgpr_workgroup_id_y 0
		.amdhsa_system_sgpr_workgroup_id_z 0
		.amdhsa_system_sgpr_workgroup_info 0
		.amdhsa_system_vgpr_workitem_id 0
		.amdhsa_next_free_vgpr 1
		.amdhsa_next_free_sgpr 1
		.amdhsa_named_barrier_count 0
		.amdhsa_reserve_vcc 0
		.amdhsa_float_round_mode_32 0
		.amdhsa_float_round_mode_16_64 0
		.amdhsa_float_denorm_mode_32 3
		.amdhsa_float_denorm_mode_16_64 3
		.amdhsa_fp16_overflow 0
		.amdhsa_memory_ordered 1
		.amdhsa_forward_progress 1
		.amdhsa_inst_pref_size 0
		.amdhsa_round_robin_scheduling 0
		.amdhsa_exception_fp_ieee_invalid_op 0
		.amdhsa_exception_fp_denorm_src 0
		.amdhsa_exception_fp_ieee_div_zero 0
		.amdhsa_exception_fp_ieee_overflow 0
		.amdhsa_exception_fp_ieee_underflow 0
		.amdhsa_exception_fp_ieee_inexact 0
		.amdhsa_exception_int_div_zero 0
	.end_amdhsa_kernel
	.section	.text._ZN7rocprim17ROCPRIM_400000_NS6detail17trampoline_kernelINS0_14default_configENS1_27scan_by_key_config_selectorIj11FixedVectorIiLj8EEEEZZNS1_16scan_by_key_implILNS1_25lookback_scan_determinismE0ELb0ES3_N6thrust23THRUST_200600_302600_NS6detail15normal_iteratorINSB_10device_ptrIjEEEENSD_INSE_IS6_EEEESI_S6_NSB_4plusIvEENSB_8equal_toIvEES6_EE10hipError_tPvRmT2_T3_T4_T5_mT6_T7_P12ihipStream_tbENKUlT_T0_E_clISt17integral_constantIbLb1EES13_EEDaSY_SZ_EUlSY_E_NS1_11comp_targetILNS1_3genE8ELNS1_11target_archE1030ELNS1_3gpuE2ELNS1_3repE0EEENS1_30default_config_static_selectorELNS0_4arch9wavefront6targetE0EEEvT1_,"axG",@progbits,_ZN7rocprim17ROCPRIM_400000_NS6detail17trampoline_kernelINS0_14default_configENS1_27scan_by_key_config_selectorIj11FixedVectorIiLj8EEEEZZNS1_16scan_by_key_implILNS1_25lookback_scan_determinismE0ELb0ES3_N6thrust23THRUST_200600_302600_NS6detail15normal_iteratorINSB_10device_ptrIjEEEENSD_INSE_IS6_EEEESI_S6_NSB_4plusIvEENSB_8equal_toIvEES6_EE10hipError_tPvRmT2_T3_T4_T5_mT6_T7_P12ihipStream_tbENKUlT_T0_E_clISt17integral_constantIbLb1EES13_EEDaSY_SZ_EUlSY_E_NS1_11comp_targetILNS1_3genE8ELNS1_11target_archE1030ELNS1_3gpuE2ELNS1_3repE0EEENS1_30default_config_static_selectorELNS0_4arch9wavefront6targetE0EEEvT1_,comdat
.Lfunc_end2134:
	.size	_ZN7rocprim17ROCPRIM_400000_NS6detail17trampoline_kernelINS0_14default_configENS1_27scan_by_key_config_selectorIj11FixedVectorIiLj8EEEEZZNS1_16scan_by_key_implILNS1_25lookback_scan_determinismE0ELb0ES3_N6thrust23THRUST_200600_302600_NS6detail15normal_iteratorINSB_10device_ptrIjEEEENSD_INSE_IS6_EEEESI_S6_NSB_4plusIvEENSB_8equal_toIvEES6_EE10hipError_tPvRmT2_T3_T4_T5_mT6_T7_P12ihipStream_tbENKUlT_T0_E_clISt17integral_constantIbLb1EES13_EEDaSY_SZ_EUlSY_E_NS1_11comp_targetILNS1_3genE8ELNS1_11target_archE1030ELNS1_3gpuE2ELNS1_3repE0EEENS1_30default_config_static_selectorELNS0_4arch9wavefront6targetE0EEEvT1_, .Lfunc_end2134-_ZN7rocprim17ROCPRIM_400000_NS6detail17trampoline_kernelINS0_14default_configENS1_27scan_by_key_config_selectorIj11FixedVectorIiLj8EEEEZZNS1_16scan_by_key_implILNS1_25lookback_scan_determinismE0ELb0ES3_N6thrust23THRUST_200600_302600_NS6detail15normal_iteratorINSB_10device_ptrIjEEEENSD_INSE_IS6_EEEESI_S6_NSB_4plusIvEENSB_8equal_toIvEES6_EE10hipError_tPvRmT2_T3_T4_T5_mT6_T7_P12ihipStream_tbENKUlT_T0_E_clISt17integral_constantIbLb1EES13_EEDaSY_SZ_EUlSY_E_NS1_11comp_targetILNS1_3genE8ELNS1_11target_archE1030ELNS1_3gpuE2ELNS1_3repE0EEENS1_30default_config_static_selectorELNS0_4arch9wavefront6targetE0EEEvT1_
                                        ; -- End function
	.set _ZN7rocprim17ROCPRIM_400000_NS6detail17trampoline_kernelINS0_14default_configENS1_27scan_by_key_config_selectorIj11FixedVectorIiLj8EEEEZZNS1_16scan_by_key_implILNS1_25lookback_scan_determinismE0ELb0ES3_N6thrust23THRUST_200600_302600_NS6detail15normal_iteratorINSB_10device_ptrIjEEEENSD_INSE_IS6_EEEESI_S6_NSB_4plusIvEENSB_8equal_toIvEES6_EE10hipError_tPvRmT2_T3_T4_T5_mT6_T7_P12ihipStream_tbENKUlT_T0_E_clISt17integral_constantIbLb1EES13_EEDaSY_SZ_EUlSY_E_NS1_11comp_targetILNS1_3genE8ELNS1_11target_archE1030ELNS1_3gpuE2ELNS1_3repE0EEENS1_30default_config_static_selectorELNS0_4arch9wavefront6targetE0EEEvT1_.num_vgpr, 0
	.set _ZN7rocprim17ROCPRIM_400000_NS6detail17trampoline_kernelINS0_14default_configENS1_27scan_by_key_config_selectorIj11FixedVectorIiLj8EEEEZZNS1_16scan_by_key_implILNS1_25lookback_scan_determinismE0ELb0ES3_N6thrust23THRUST_200600_302600_NS6detail15normal_iteratorINSB_10device_ptrIjEEEENSD_INSE_IS6_EEEESI_S6_NSB_4plusIvEENSB_8equal_toIvEES6_EE10hipError_tPvRmT2_T3_T4_T5_mT6_T7_P12ihipStream_tbENKUlT_T0_E_clISt17integral_constantIbLb1EES13_EEDaSY_SZ_EUlSY_E_NS1_11comp_targetILNS1_3genE8ELNS1_11target_archE1030ELNS1_3gpuE2ELNS1_3repE0EEENS1_30default_config_static_selectorELNS0_4arch9wavefront6targetE0EEEvT1_.num_agpr, 0
	.set _ZN7rocprim17ROCPRIM_400000_NS6detail17trampoline_kernelINS0_14default_configENS1_27scan_by_key_config_selectorIj11FixedVectorIiLj8EEEEZZNS1_16scan_by_key_implILNS1_25lookback_scan_determinismE0ELb0ES3_N6thrust23THRUST_200600_302600_NS6detail15normal_iteratorINSB_10device_ptrIjEEEENSD_INSE_IS6_EEEESI_S6_NSB_4plusIvEENSB_8equal_toIvEES6_EE10hipError_tPvRmT2_T3_T4_T5_mT6_T7_P12ihipStream_tbENKUlT_T0_E_clISt17integral_constantIbLb1EES13_EEDaSY_SZ_EUlSY_E_NS1_11comp_targetILNS1_3genE8ELNS1_11target_archE1030ELNS1_3gpuE2ELNS1_3repE0EEENS1_30default_config_static_selectorELNS0_4arch9wavefront6targetE0EEEvT1_.numbered_sgpr, 0
	.set _ZN7rocprim17ROCPRIM_400000_NS6detail17trampoline_kernelINS0_14default_configENS1_27scan_by_key_config_selectorIj11FixedVectorIiLj8EEEEZZNS1_16scan_by_key_implILNS1_25lookback_scan_determinismE0ELb0ES3_N6thrust23THRUST_200600_302600_NS6detail15normal_iteratorINSB_10device_ptrIjEEEENSD_INSE_IS6_EEEESI_S6_NSB_4plusIvEENSB_8equal_toIvEES6_EE10hipError_tPvRmT2_T3_T4_T5_mT6_T7_P12ihipStream_tbENKUlT_T0_E_clISt17integral_constantIbLb1EES13_EEDaSY_SZ_EUlSY_E_NS1_11comp_targetILNS1_3genE8ELNS1_11target_archE1030ELNS1_3gpuE2ELNS1_3repE0EEENS1_30default_config_static_selectorELNS0_4arch9wavefront6targetE0EEEvT1_.num_named_barrier, 0
	.set _ZN7rocprim17ROCPRIM_400000_NS6detail17trampoline_kernelINS0_14default_configENS1_27scan_by_key_config_selectorIj11FixedVectorIiLj8EEEEZZNS1_16scan_by_key_implILNS1_25lookback_scan_determinismE0ELb0ES3_N6thrust23THRUST_200600_302600_NS6detail15normal_iteratorINSB_10device_ptrIjEEEENSD_INSE_IS6_EEEESI_S6_NSB_4plusIvEENSB_8equal_toIvEES6_EE10hipError_tPvRmT2_T3_T4_T5_mT6_T7_P12ihipStream_tbENKUlT_T0_E_clISt17integral_constantIbLb1EES13_EEDaSY_SZ_EUlSY_E_NS1_11comp_targetILNS1_3genE8ELNS1_11target_archE1030ELNS1_3gpuE2ELNS1_3repE0EEENS1_30default_config_static_selectorELNS0_4arch9wavefront6targetE0EEEvT1_.private_seg_size, 0
	.set _ZN7rocprim17ROCPRIM_400000_NS6detail17trampoline_kernelINS0_14default_configENS1_27scan_by_key_config_selectorIj11FixedVectorIiLj8EEEEZZNS1_16scan_by_key_implILNS1_25lookback_scan_determinismE0ELb0ES3_N6thrust23THRUST_200600_302600_NS6detail15normal_iteratorINSB_10device_ptrIjEEEENSD_INSE_IS6_EEEESI_S6_NSB_4plusIvEENSB_8equal_toIvEES6_EE10hipError_tPvRmT2_T3_T4_T5_mT6_T7_P12ihipStream_tbENKUlT_T0_E_clISt17integral_constantIbLb1EES13_EEDaSY_SZ_EUlSY_E_NS1_11comp_targetILNS1_3genE8ELNS1_11target_archE1030ELNS1_3gpuE2ELNS1_3repE0EEENS1_30default_config_static_selectorELNS0_4arch9wavefront6targetE0EEEvT1_.uses_vcc, 0
	.set _ZN7rocprim17ROCPRIM_400000_NS6detail17trampoline_kernelINS0_14default_configENS1_27scan_by_key_config_selectorIj11FixedVectorIiLj8EEEEZZNS1_16scan_by_key_implILNS1_25lookback_scan_determinismE0ELb0ES3_N6thrust23THRUST_200600_302600_NS6detail15normal_iteratorINSB_10device_ptrIjEEEENSD_INSE_IS6_EEEESI_S6_NSB_4plusIvEENSB_8equal_toIvEES6_EE10hipError_tPvRmT2_T3_T4_T5_mT6_T7_P12ihipStream_tbENKUlT_T0_E_clISt17integral_constantIbLb1EES13_EEDaSY_SZ_EUlSY_E_NS1_11comp_targetILNS1_3genE8ELNS1_11target_archE1030ELNS1_3gpuE2ELNS1_3repE0EEENS1_30default_config_static_selectorELNS0_4arch9wavefront6targetE0EEEvT1_.uses_flat_scratch, 0
	.set _ZN7rocprim17ROCPRIM_400000_NS6detail17trampoline_kernelINS0_14default_configENS1_27scan_by_key_config_selectorIj11FixedVectorIiLj8EEEEZZNS1_16scan_by_key_implILNS1_25lookback_scan_determinismE0ELb0ES3_N6thrust23THRUST_200600_302600_NS6detail15normal_iteratorINSB_10device_ptrIjEEEENSD_INSE_IS6_EEEESI_S6_NSB_4plusIvEENSB_8equal_toIvEES6_EE10hipError_tPvRmT2_T3_T4_T5_mT6_T7_P12ihipStream_tbENKUlT_T0_E_clISt17integral_constantIbLb1EES13_EEDaSY_SZ_EUlSY_E_NS1_11comp_targetILNS1_3genE8ELNS1_11target_archE1030ELNS1_3gpuE2ELNS1_3repE0EEENS1_30default_config_static_selectorELNS0_4arch9wavefront6targetE0EEEvT1_.has_dyn_sized_stack, 0
	.set _ZN7rocprim17ROCPRIM_400000_NS6detail17trampoline_kernelINS0_14default_configENS1_27scan_by_key_config_selectorIj11FixedVectorIiLj8EEEEZZNS1_16scan_by_key_implILNS1_25lookback_scan_determinismE0ELb0ES3_N6thrust23THRUST_200600_302600_NS6detail15normal_iteratorINSB_10device_ptrIjEEEENSD_INSE_IS6_EEEESI_S6_NSB_4plusIvEENSB_8equal_toIvEES6_EE10hipError_tPvRmT2_T3_T4_T5_mT6_T7_P12ihipStream_tbENKUlT_T0_E_clISt17integral_constantIbLb1EES13_EEDaSY_SZ_EUlSY_E_NS1_11comp_targetILNS1_3genE8ELNS1_11target_archE1030ELNS1_3gpuE2ELNS1_3repE0EEENS1_30default_config_static_selectorELNS0_4arch9wavefront6targetE0EEEvT1_.has_recursion, 0
	.set _ZN7rocprim17ROCPRIM_400000_NS6detail17trampoline_kernelINS0_14default_configENS1_27scan_by_key_config_selectorIj11FixedVectorIiLj8EEEEZZNS1_16scan_by_key_implILNS1_25lookback_scan_determinismE0ELb0ES3_N6thrust23THRUST_200600_302600_NS6detail15normal_iteratorINSB_10device_ptrIjEEEENSD_INSE_IS6_EEEESI_S6_NSB_4plusIvEENSB_8equal_toIvEES6_EE10hipError_tPvRmT2_T3_T4_T5_mT6_T7_P12ihipStream_tbENKUlT_T0_E_clISt17integral_constantIbLb1EES13_EEDaSY_SZ_EUlSY_E_NS1_11comp_targetILNS1_3genE8ELNS1_11target_archE1030ELNS1_3gpuE2ELNS1_3repE0EEENS1_30default_config_static_selectorELNS0_4arch9wavefront6targetE0EEEvT1_.has_indirect_call, 0
	.section	.AMDGPU.csdata,"",@progbits
; Kernel info:
; codeLenInByte = 0
; TotalNumSgprs: 0
; NumVgprs: 0
; ScratchSize: 0
; MemoryBound: 0
; FloatMode: 240
; IeeeMode: 1
; LDSByteSize: 0 bytes/workgroup (compile time only)
; SGPRBlocks: 0
; VGPRBlocks: 0
; NumSGPRsForWavesPerEU: 1
; NumVGPRsForWavesPerEU: 1
; NamedBarCnt: 0
; Occupancy: 16
; WaveLimiterHint : 0
; COMPUTE_PGM_RSRC2:SCRATCH_EN: 0
; COMPUTE_PGM_RSRC2:USER_SGPR: 2
; COMPUTE_PGM_RSRC2:TRAP_HANDLER: 0
; COMPUTE_PGM_RSRC2:TGID_X_EN: 1
; COMPUTE_PGM_RSRC2:TGID_Y_EN: 0
; COMPUTE_PGM_RSRC2:TGID_Z_EN: 0
; COMPUTE_PGM_RSRC2:TIDIG_COMP_CNT: 0
	.section	.text._ZN7rocprim17ROCPRIM_400000_NS6detail30init_device_scan_by_key_kernelINS1_19lookback_scan_stateINS0_5tupleIJ11FixedVectorIiLj8EEbEEELb1ELb0EEEN6thrust23THRUST_200600_302600_NS6detail15normal_iteratorINSA_10device_ptrIjEEEEjNS1_16block_id_wrapperIjLb0EEEEEvT_jjPNSI_10value_typeET0_PNSt15iterator_traitsISL_E10value_typeEmT1_T2_,"axG",@progbits,_ZN7rocprim17ROCPRIM_400000_NS6detail30init_device_scan_by_key_kernelINS1_19lookback_scan_stateINS0_5tupleIJ11FixedVectorIiLj8EEbEEELb1ELb0EEEN6thrust23THRUST_200600_302600_NS6detail15normal_iteratorINSA_10device_ptrIjEEEEjNS1_16block_id_wrapperIjLb0EEEEEvT_jjPNSI_10value_typeET0_PNSt15iterator_traitsISL_E10value_typeEmT1_T2_,comdat
	.protected	_ZN7rocprim17ROCPRIM_400000_NS6detail30init_device_scan_by_key_kernelINS1_19lookback_scan_stateINS0_5tupleIJ11FixedVectorIiLj8EEbEEELb1ELb0EEEN6thrust23THRUST_200600_302600_NS6detail15normal_iteratorINSA_10device_ptrIjEEEEjNS1_16block_id_wrapperIjLb0EEEEEvT_jjPNSI_10value_typeET0_PNSt15iterator_traitsISL_E10value_typeEmT1_T2_ ; -- Begin function _ZN7rocprim17ROCPRIM_400000_NS6detail30init_device_scan_by_key_kernelINS1_19lookback_scan_stateINS0_5tupleIJ11FixedVectorIiLj8EEbEEELb1ELb0EEEN6thrust23THRUST_200600_302600_NS6detail15normal_iteratorINSA_10device_ptrIjEEEEjNS1_16block_id_wrapperIjLb0EEEEEvT_jjPNSI_10value_typeET0_PNSt15iterator_traitsISL_E10value_typeEmT1_T2_
	.globl	_ZN7rocprim17ROCPRIM_400000_NS6detail30init_device_scan_by_key_kernelINS1_19lookback_scan_stateINS0_5tupleIJ11FixedVectorIiLj8EEbEEELb1ELb0EEEN6thrust23THRUST_200600_302600_NS6detail15normal_iteratorINSA_10device_ptrIjEEEEjNS1_16block_id_wrapperIjLb0EEEEEvT_jjPNSI_10value_typeET0_PNSt15iterator_traitsISL_E10value_typeEmT1_T2_
	.p2align	8
	.type	_ZN7rocprim17ROCPRIM_400000_NS6detail30init_device_scan_by_key_kernelINS1_19lookback_scan_stateINS0_5tupleIJ11FixedVectorIiLj8EEbEEELb1ELb0EEEN6thrust23THRUST_200600_302600_NS6detail15normal_iteratorINSA_10device_ptrIjEEEEjNS1_16block_id_wrapperIjLb0EEEEEvT_jjPNSI_10value_typeET0_PNSt15iterator_traitsISL_E10value_typeEmT1_T2_,@function
_ZN7rocprim17ROCPRIM_400000_NS6detail30init_device_scan_by_key_kernelINS1_19lookback_scan_stateINS0_5tupleIJ11FixedVectorIiLj8EEbEEELb1ELb0EEEN6thrust23THRUST_200600_302600_NS6detail15normal_iteratorINSA_10device_ptrIjEEEEjNS1_16block_id_wrapperIjLb0EEEEEvT_jjPNSI_10value_typeET0_PNSt15iterator_traitsISL_E10value_typeEmT1_T2_: ; @_ZN7rocprim17ROCPRIM_400000_NS6detail30init_device_scan_by_key_kernelINS1_19lookback_scan_stateINS0_5tupleIJ11FixedVectorIiLj8EEbEEELb1ELb0EEEN6thrust23THRUST_200600_302600_NS6detail15normal_iteratorINSA_10device_ptrIjEEEEjNS1_16block_id_wrapperIjLb0EEEEEvT_jjPNSI_10value_typeET0_PNSt15iterator_traitsISL_E10value_typeEmT1_T2_
; %bb.0:
	s_clause 0x1
	s_load_b32 s12, s[2:3], 0x54
	s_load_b32 s18, s[2:3], 0x48
	s_bfe_u32 s13, ttmp6, 0x4000c
	s_load_b256 s[4:11], s[2:3], 0x10
	s_add_co_i32 s13, s13, 1
	s_and_b32 s14, ttmp6, 15
	s_mul_i32 s13, ttmp9, s13
	s_getreg_b32 s15, hwreg(HW_REG_IB_STS2, 6, 4)
	v_and_b32_e32 v1, 0x3ff, v0
	s_add_co_i32 s14, s14, s13
	s_wait_kmcnt 0x0
	s_and_b32 s19, s12, 0xffff
	s_cmp_eq_u32 s15, 0
	s_cselect_b32 s12, ttmp9, s14
	s_cmp_eq_u64 s[8:9], 0
	v_mad_u32 v2, s12, s19, v1
	s_cbranch_scc1 .LBB2135_11
; %bb.1:
	s_cmp_lt_u32 s7, s6
	s_mov_b32 s20, exec_lo
	s_cselect_b32 s12, s7, 0
	s_delay_alu instid0(VALU_DEP_1) | instid1(SALU_CYCLE_1)
	v_cmpx_eq_u32_e64 s12, v2
	s_cbranch_execz .LBB2135_10
; %bb.2:
	s_load_b64 s[12:13], s[0:1], 0x4
	v_bfe_u32 v3, v0, 10, 10
	v_bfe_u32 v0, v0, 20, 10
	s_wait_kmcnt 0x0
	s_lshr_b32 s0, s12, 16
	s_delay_alu instid0(VALU_DEP_2) | instskip(SKIP_4) | instid1(VALU_DEP_1)
	v_mul_u32_u24_e32 v3, s13, v3
	s_mul_i32 s0, s0, s13
	s_load_b128 s[12:15], s[2:3], 0x0
	v_mul_lo_u32 v1, s0, v1
	s_mov_b32 s0, 0
	v_add3_u32 v0, v1, v3, v0
	v_mov_b32_e32 v1, 0
	s_delay_alu instid0(VALU_DEP_2)
	v_mul_lo_u32 v0, v0, 36
	ds_store_2addr_b32 v0, v1, v1 offset0:6 offset1:7
	ds_store_2addr_b32 v0, v1, v1 offset0:4 offset1:5
	;; [unrolled: 1-line block ×3, first 2 shown]
	ds_store_2addr_b32 v0, v1, v1 offset1:1
	ds_store_b32 v0, v1 offset:32
.LBB2135_3:                             ; =>This Inner Loop Header: Depth=1
	v_add_nc_u32_e32 v3, s0, v0
	s_add_co_i32 s0, s0, 8
	s_delay_alu instid0(SALU_CYCLE_1)
	s_cmp_lg_u32 s0, 32
	ds_store_2addr_b32 v3, v1, v1 offset1:1
	s_cbranch_scc1 .LBB2135_3
; %bb.4:
	s_add_co_i32 s0, s7, 32
	s_delay_alu instid0(SALU_CYCLE_1)
	v_dual_mov_b32 v1, 0 :: v_dual_mov_b32 v3, s0
	s_mov_b32 s1, 0
	ds_store_b8 v0, v1 offset:32
	global_load_u8 v3, v3, s[4:5] scope:SCOPE_DEV
	s_wait_loadcnt 0x0
	v_and_b32_e32 v4, 0xffff, v3
	v_readfirstlane_b32 s21, v3
	s_delay_alu instid0(VALU_DEP_2)
	v_cmp_ne_u32_e32 vcc_lo, 0, v4
	s_cbranch_vccnz .LBB2135_9
; %bb.5:
	s_add_nc_u64 s[16:17], s[4:5], s[0:1]
	s_mov_b32 s7, 1
.LBB2135_6:                             ; =>This Loop Header: Depth=1
                                        ;     Child Loop BB2135_7 Depth 2
	s_delay_alu instid0(SALU_CYCLE_1)
	s_mov_b32 s21, s7
.LBB2135_7:                             ;   Parent Loop BB2135_6 Depth=1
                                        ; =>  This Inner Loop Header: Depth=2
	s_delay_alu instid0(SALU_CYCLE_1)
	s_add_co_i32 s21, s21, -1
	s_sleep 1
	s_cmp_eq_u32 s21, 0
	s_cbranch_scc0 .LBB2135_7
; %bb.8:                                ;   in Loop: Header=BB2135_6 Depth=1
	global_load_u8 v3, v1, s[16:17] scope:SCOPE_DEV
	s_cmp_lt_u32 s7, 32
	s_cselect_b32 s21, -1, 0
	s_delay_alu instid0(SALU_CYCLE_1) | instskip(SKIP_4) | instid1(VALU_DEP_2)
	s_cmp_lg_u32 s21, 0
	s_add_co_ci_u32 s7, s7, 0
	s_wait_loadcnt 0x0
	v_and_b32_e32 v4, 0xffff, v3
	v_readfirstlane_b32 s21, v3
	v_cmp_ne_u32_e32 vcc_lo, 0, v4
	s_cbranch_vccz .LBB2135_6
.LBB2135_9:
	s_and_b32 s7, 0xffff, s21
	v_mov_b32_e32 v1, 0
	s_cmp_eq_u32 s7, 1
	s_mul_u64 s[0:1], s[0:1], 36
	s_wait_kmcnt 0x0
	s_cselect_b32 s13, s13, s15
	s_cselect_b32 s12, s12, s14
	global_wb scope:SCOPE_DEV
	s_wait_storecnt_dscnt 0x0
	global_inv scope:SCOPE_DEV
	s_add_nc_u64 s[0:1], s[12:13], s[0:1]
	s_clause 0x2
	global_load_b128 v[4:7], v1, s[0:1]
	global_load_b128 v[8:11], v1, s[0:1] offset:16
	global_load_u8 v3, v1, s[0:1] offset:32
	s_wait_loadcnt 0x2
	ds_store_2addr_b32 v0, v4, v5 offset1:1
	ds_store_2addr_b32 v0, v6, v7 offset0:2 offset1:3
	s_wait_loadcnt 0x1
	ds_store_2addr_b32 v0, v8, v9 offset0:4 offset1:5
	ds_store_2addr_b32 v0, v10, v11 offset0:6 offset1:7
	s_clause 0x1
	global_store_b128 v1, v[4:7], s[8:9]
	global_store_b128 v1, v[8:11], s[8:9] offset:16
	s_wait_loadcnt 0x0
	global_store_b8 v1, v3, s[8:9] offset:32
.LBB2135_10:
	s_wait_xcnt 0x0
	s_or_b32 exec_lo, exec_lo, s20
.LBB2135_11:
	s_delay_alu instid0(SALU_CYCLE_1) | instskip(NEXT) | instid1(VALU_DEP_1)
	s_mov_b32 s0, exec_lo
	v_cmpx_gt_u32_e64 s6, v2
	s_cbranch_execz .LBB2135_13
; %bb.12:
	v_dual_mov_b32 v1, 0 :: v_dual_add_nc_u32 v0, 32, v2
	global_store_b8 v0, v1, s[4:5]
.LBB2135_13:
	s_wait_xcnt 0x0
	s_or_b32 exec_lo, exec_lo, s0
	v_mov_b32_e32 v3, 0
	s_mov_b32 s0, exec_lo
	v_cmpx_gt_u32_e32 32, v2
	s_cbranch_execz .LBB2135_15
; %bb.14:
	s_delay_alu instid0(VALU_DEP_2)
	v_add_nc_u64_e32 v[0:1], s[4:5], v[2:3]
	v_mov_b32_e32 v4, 0xff
	global_store_b8 v[0:1], v4, off
.LBB2135_15:
	s_wait_xcnt 0x0
	s_or_b32 exec_lo, exec_lo, s0
	s_load_b64 s[0:1], s[2:3], 0x38
	s_mov_b32 s4, exec_lo
	s_wait_kmcnt 0x0
	v_cmpx_gt_u64_e64 s[0:1], v[2:3]
	s_cbranch_execz .LBB2135_18
; %bb.16:
	s_clause 0x1
	s_load_b32 s4, s[2:3], 0x40
	s_load_b64 s[6:7], s[2:3], 0x30
	s_mov_b32 s5, 0
	s_wait_xcnt 0x0
	s_mul_i32 s2, s18, s19
	s_mov_b32 s9, s5
	s_mov_b32 s3, s5
	s_wait_kmcnt 0x0
	v_mul_u64_e32 v[0:1], s[4:5], v[2:3]
	s_add_co_i32 s8, s4, -1
	v_lshl_add_u64 v[4:5], v[2:3], 2, s[6:7]
	s_lshl_b64 s[8:9], s[8:9], 2
	s_delay_alu instid0(SALU_CYCLE_1) | instskip(SKIP_1) | instid1(SALU_CYCLE_1)
	s_add_nc_u64 s[8:9], s[10:11], s[8:9]
	s_mul_u64 s[10:11], s[4:5], s[2:3]
	s_lshl_b64 s[6:7], s[10:11], 2
	s_delay_alu instid0(VALU_DEP_2)
	v_lshl_add_u64 v[0:1], v[0:1], 2, s[8:9]
	s_lshl_b64 s[8:9], s[2:3], 2
.LBB2135_17:                            ; =>This Inner Loop Header: Depth=1
	global_load_b32 v6, v[0:1], off
	v_add_nc_u64_e32 v[2:3], s[2:3], v[2:3]
	s_wait_xcnt 0x0
	v_add_nc_u64_e32 v[0:1], s[6:7], v[0:1]
	s_delay_alu instid0(VALU_DEP_2)
	v_cmp_le_u64_e32 vcc_lo, s[0:1], v[2:3]
	s_or_b32 s5, vcc_lo, s5
	s_wait_loadcnt 0x0
	global_store_b32 v[4:5], v6, off
	s_wait_xcnt 0x0
	v_add_nc_u64_e32 v[4:5], s[8:9], v[4:5]
	s_and_not1_b32 exec_lo, exec_lo, s5
	s_cbranch_execnz .LBB2135_17
.LBB2135_18:
	s_endpgm
	.section	.rodata,"a",@progbits
	.p2align	6, 0x0
	.amdhsa_kernel _ZN7rocprim17ROCPRIM_400000_NS6detail30init_device_scan_by_key_kernelINS1_19lookback_scan_stateINS0_5tupleIJ11FixedVectorIiLj8EEbEEELb1ELb0EEEN6thrust23THRUST_200600_302600_NS6detail15normal_iteratorINSA_10device_ptrIjEEEEjNS1_16block_id_wrapperIjLb0EEEEEvT_jjPNSI_10value_typeET0_PNSt15iterator_traitsISL_E10value_typeEmT1_T2_
		.amdhsa_group_segment_fixed_size 9216
		.amdhsa_private_segment_fixed_size 0
		.amdhsa_kernarg_size 328
		.amdhsa_user_sgpr_count 4
		.amdhsa_user_sgpr_dispatch_ptr 1
		.amdhsa_user_sgpr_queue_ptr 0
		.amdhsa_user_sgpr_kernarg_segment_ptr 1
		.amdhsa_user_sgpr_dispatch_id 0
		.amdhsa_user_sgpr_kernarg_preload_length 0
		.amdhsa_user_sgpr_kernarg_preload_offset 0
		.amdhsa_user_sgpr_private_segment_size 0
		.amdhsa_wavefront_size32 1
		.amdhsa_uses_dynamic_stack 0
		.amdhsa_enable_private_segment 0
		.amdhsa_system_sgpr_workgroup_id_x 1
		.amdhsa_system_sgpr_workgroup_id_y 0
		.amdhsa_system_sgpr_workgroup_id_z 0
		.amdhsa_system_sgpr_workgroup_info 0
		.amdhsa_system_vgpr_workitem_id 2
		.amdhsa_next_free_vgpr 12
		.amdhsa_next_free_sgpr 22
		.amdhsa_named_barrier_count 0
		.amdhsa_reserve_vcc 1
		.amdhsa_float_round_mode_32 0
		.amdhsa_float_round_mode_16_64 0
		.amdhsa_float_denorm_mode_32 3
		.amdhsa_float_denorm_mode_16_64 3
		.amdhsa_fp16_overflow 0
		.amdhsa_memory_ordered 1
		.amdhsa_forward_progress 1
		.amdhsa_inst_pref_size 8
		.amdhsa_round_robin_scheduling 0
		.amdhsa_exception_fp_ieee_invalid_op 0
		.amdhsa_exception_fp_denorm_src 0
		.amdhsa_exception_fp_ieee_div_zero 0
		.amdhsa_exception_fp_ieee_overflow 0
		.amdhsa_exception_fp_ieee_underflow 0
		.amdhsa_exception_fp_ieee_inexact 0
		.amdhsa_exception_int_div_zero 0
	.end_amdhsa_kernel
	.section	.text._ZN7rocprim17ROCPRIM_400000_NS6detail30init_device_scan_by_key_kernelINS1_19lookback_scan_stateINS0_5tupleIJ11FixedVectorIiLj8EEbEEELb1ELb0EEEN6thrust23THRUST_200600_302600_NS6detail15normal_iteratorINSA_10device_ptrIjEEEEjNS1_16block_id_wrapperIjLb0EEEEEvT_jjPNSI_10value_typeET0_PNSt15iterator_traitsISL_E10value_typeEmT1_T2_,"axG",@progbits,_ZN7rocprim17ROCPRIM_400000_NS6detail30init_device_scan_by_key_kernelINS1_19lookback_scan_stateINS0_5tupleIJ11FixedVectorIiLj8EEbEEELb1ELb0EEEN6thrust23THRUST_200600_302600_NS6detail15normal_iteratorINSA_10device_ptrIjEEEEjNS1_16block_id_wrapperIjLb0EEEEEvT_jjPNSI_10value_typeET0_PNSt15iterator_traitsISL_E10value_typeEmT1_T2_,comdat
.Lfunc_end2135:
	.size	_ZN7rocprim17ROCPRIM_400000_NS6detail30init_device_scan_by_key_kernelINS1_19lookback_scan_stateINS0_5tupleIJ11FixedVectorIiLj8EEbEEELb1ELb0EEEN6thrust23THRUST_200600_302600_NS6detail15normal_iteratorINSA_10device_ptrIjEEEEjNS1_16block_id_wrapperIjLb0EEEEEvT_jjPNSI_10value_typeET0_PNSt15iterator_traitsISL_E10value_typeEmT1_T2_, .Lfunc_end2135-_ZN7rocprim17ROCPRIM_400000_NS6detail30init_device_scan_by_key_kernelINS1_19lookback_scan_stateINS0_5tupleIJ11FixedVectorIiLj8EEbEEELb1ELb0EEEN6thrust23THRUST_200600_302600_NS6detail15normal_iteratorINSA_10device_ptrIjEEEEjNS1_16block_id_wrapperIjLb0EEEEEvT_jjPNSI_10value_typeET0_PNSt15iterator_traitsISL_E10value_typeEmT1_T2_
                                        ; -- End function
	.set _ZN7rocprim17ROCPRIM_400000_NS6detail30init_device_scan_by_key_kernelINS1_19lookback_scan_stateINS0_5tupleIJ11FixedVectorIiLj8EEbEEELb1ELb0EEEN6thrust23THRUST_200600_302600_NS6detail15normal_iteratorINSA_10device_ptrIjEEEEjNS1_16block_id_wrapperIjLb0EEEEEvT_jjPNSI_10value_typeET0_PNSt15iterator_traitsISL_E10value_typeEmT1_T2_.num_vgpr, 12
	.set _ZN7rocprim17ROCPRIM_400000_NS6detail30init_device_scan_by_key_kernelINS1_19lookback_scan_stateINS0_5tupleIJ11FixedVectorIiLj8EEbEEELb1ELb0EEEN6thrust23THRUST_200600_302600_NS6detail15normal_iteratorINSA_10device_ptrIjEEEEjNS1_16block_id_wrapperIjLb0EEEEEvT_jjPNSI_10value_typeET0_PNSt15iterator_traitsISL_E10value_typeEmT1_T2_.num_agpr, 0
	.set _ZN7rocprim17ROCPRIM_400000_NS6detail30init_device_scan_by_key_kernelINS1_19lookback_scan_stateINS0_5tupleIJ11FixedVectorIiLj8EEbEEELb1ELb0EEEN6thrust23THRUST_200600_302600_NS6detail15normal_iteratorINSA_10device_ptrIjEEEEjNS1_16block_id_wrapperIjLb0EEEEEvT_jjPNSI_10value_typeET0_PNSt15iterator_traitsISL_E10value_typeEmT1_T2_.numbered_sgpr, 22
	.set _ZN7rocprim17ROCPRIM_400000_NS6detail30init_device_scan_by_key_kernelINS1_19lookback_scan_stateINS0_5tupleIJ11FixedVectorIiLj8EEbEEELb1ELb0EEEN6thrust23THRUST_200600_302600_NS6detail15normal_iteratorINSA_10device_ptrIjEEEEjNS1_16block_id_wrapperIjLb0EEEEEvT_jjPNSI_10value_typeET0_PNSt15iterator_traitsISL_E10value_typeEmT1_T2_.num_named_barrier, 0
	.set _ZN7rocprim17ROCPRIM_400000_NS6detail30init_device_scan_by_key_kernelINS1_19lookback_scan_stateINS0_5tupleIJ11FixedVectorIiLj8EEbEEELb1ELb0EEEN6thrust23THRUST_200600_302600_NS6detail15normal_iteratorINSA_10device_ptrIjEEEEjNS1_16block_id_wrapperIjLb0EEEEEvT_jjPNSI_10value_typeET0_PNSt15iterator_traitsISL_E10value_typeEmT1_T2_.private_seg_size, 0
	.set _ZN7rocprim17ROCPRIM_400000_NS6detail30init_device_scan_by_key_kernelINS1_19lookback_scan_stateINS0_5tupleIJ11FixedVectorIiLj8EEbEEELb1ELb0EEEN6thrust23THRUST_200600_302600_NS6detail15normal_iteratorINSA_10device_ptrIjEEEEjNS1_16block_id_wrapperIjLb0EEEEEvT_jjPNSI_10value_typeET0_PNSt15iterator_traitsISL_E10value_typeEmT1_T2_.uses_vcc, 1
	.set _ZN7rocprim17ROCPRIM_400000_NS6detail30init_device_scan_by_key_kernelINS1_19lookback_scan_stateINS0_5tupleIJ11FixedVectorIiLj8EEbEEELb1ELb0EEEN6thrust23THRUST_200600_302600_NS6detail15normal_iteratorINSA_10device_ptrIjEEEEjNS1_16block_id_wrapperIjLb0EEEEEvT_jjPNSI_10value_typeET0_PNSt15iterator_traitsISL_E10value_typeEmT1_T2_.uses_flat_scratch, 0
	.set _ZN7rocprim17ROCPRIM_400000_NS6detail30init_device_scan_by_key_kernelINS1_19lookback_scan_stateINS0_5tupleIJ11FixedVectorIiLj8EEbEEELb1ELb0EEEN6thrust23THRUST_200600_302600_NS6detail15normal_iteratorINSA_10device_ptrIjEEEEjNS1_16block_id_wrapperIjLb0EEEEEvT_jjPNSI_10value_typeET0_PNSt15iterator_traitsISL_E10value_typeEmT1_T2_.has_dyn_sized_stack, 0
	.set _ZN7rocprim17ROCPRIM_400000_NS6detail30init_device_scan_by_key_kernelINS1_19lookback_scan_stateINS0_5tupleIJ11FixedVectorIiLj8EEbEEELb1ELb0EEEN6thrust23THRUST_200600_302600_NS6detail15normal_iteratorINSA_10device_ptrIjEEEEjNS1_16block_id_wrapperIjLb0EEEEEvT_jjPNSI_10value_typeET0_PNSt15iterator_traitsISL_E10value_typeEmT1_T2_.has_recursion, 0
	.set _ZN7rocprim17ROCPRIM_400000_NS6detail30init_device_scan_by_key_kernelINS1_19lookback_scan_stateINS0_5tupleIJ11FixedVectorIiLj8EEbEEELb1ELb0EEEN6thrust23THRUST_200600_302600_NS6detail15normal_iteratorINSA_10device_ptrIjEEEEjNS1_16block_id_wrapperIjLb0EEEEEvT_jjPNSI_10value_typeET0_PNSt15iterator_traitsISL_E10value_typeEmT1_T2_.has_indirect_call, 0
	.section	.AMDGPU.csdata,"",@progbits
; Kernel info:
; codeLenInByte = 940
; TotalNumSgprs: 24
; NumVgprs: 12
; ScratchSize: 0
; MemoryBound: 0
; FloatMode: 240
; IeeeMode: 1
; LDSByteSize: 9216 bytes/workgroup (compile time only)
; SGPRBlocks: 0
; VGPRBlocks: 0
; NumSGPRsForWavesPerEU: 24
; NumVGPRsForWavesPerEU: 12
; NamedBarCnt: 0
; Occupancy: 16
; WaveLimiterHint : 0
; COMPUTE_PGM_RSRC2:SCRATCH_EN: 0
; COMPUTE_PGM_RSRC2:USER_SGPR: 4
; COMPUTE_PGM_RSRC2:TRAP_HANDLER: 0
; COMPUTE_PGM_RSRC2:TGID_X_EN: 1
; COMPUTE_PGM_RSRC2:TGID_Y_EN: 0
; COMPUTE_PGM_RSRC2:TGID_Z_EN: 0
; COMPUTE_PGM_RSRC2:TIDIG_COMP_CNT: 2
	.section	.text._ZN7rocprim17ROCPRIM_400000_NS6detail30init_device_scan_by_key_kernelINS1_19lookback_scan_stateINS0_5tupleIJ11FixedVectorIiLj8EEbEEELb1ELb0EEENS1_16block_id_wrapperIjLb0EEEEEvT_jjPNSB_10value_typeET0_,"axG",@progbits,_ZN7rocprim17ROCPRIM_400000_NS6detail30init_device_scan_by_key_kernelINS1_19lookback_scan_stateINS0_5tupleIJ11FixedVectorIiLj8EEbEEELb1ELb0EEENS1_16block_id_wrapperIjLb0EEEEEvT_jjPNSB_10value_typeET0_,comdat
	.protected	_ZN7rocprim17ROCPRIM_400000_NS6detail30init_device_scan_by_key_kernelINS1_19lookback_scan_stateINS0_5tupleIJ11FixedVectorIiLj8EEbEEELb1ELb0EEENS1_16block_id_wrapperIjLb0EEEEEvT_jjPNSB_10value_typeET0_ ; -- Begin function _ZN7rocprim17ROCPRIM_400000_NS6detail30init_device_scan_by_key_kernelINS1_19lookback_scan_stateINS0_5tupleIJ11FixedVectorIiLj8EEbEEELb1ELb0EEENS1_16block_id_wrapperIjLb0EEEEEvT_jjPNSB_10value_typeET0_
	.globl	_ZN7rocprim17ROCPRIM_400000_NS6detail30init_device_scan_by_key_kernelINS1_19lookback_scan_stateINS0_5tupleIJ11FixedVectorIiLj8EEbEEELb1ELb0EEENS1_16block_id_wrapperIjLb0EEEEEvT_jjPNSB_10value_typeET0_
	.p2align	8
	.type	_ZN7rocprim17ROCPRIM_400000_NS6detail30init_device_scan_by_key_kernelINS1_19lookback_scan_stateINS0_5tupleIJ11FixedVectorIiLj8EEbEEELb1ELb0EEENS1_16block_id_wrapperIjLb0EEEEEvT_jjPNSB_10value_typeET0_,@function
_ZN7rocprim17ROCPRIM_400000_NS6detail30init_device_scan_by_key_kernelINS1_19lookback_scan_stateINS0_5tupleIJ11FixedVectorIiLj8EEbEEELb1ELb0EEENS1_16block_id_wrapperIjLb0EEEEEvT_jjPNSB_10value_typeET0_: ; @_ZN7rocprim17ROCPRIM_400000_NS6detail30init_device_scan_by_key_kernelINS1_19lookback_scan_stateINS0_5tupleIJ11FixedVectorIiLj8EEbEEELb1ELb0EEENS1_16block_id_wrapperIjLb0EEEEEvT_jjPNSB_10value_typeET0_
; %bb.0:
	s_load_b32 s8, s[2:3], 0x3c
	s_bfe_u32 s9, ttmp6, 0x4000c
	s_clause 0x1
	s_load_b128 s[4:7], s[2:3], 0x10
	s_load_b64 s[12:13], s[2:3], 0x20
	s_add_co_i32 s9, s9, 1
	s_and_b32 s10, ttmp6, 15
	s_mul_i32 s9, ttmp9, s9
	s_getreg_b32 s11, hwreg(HW_REG_IB_STS2, 6, 4)
	v_and_b32_e32 v2, 0x3ff, v0
	s_add_co_i32 s10, s10, s9
	s_wait_kmcnt 0x0
	s_and_b32 s8, s8, 0xffff
	s_cmp_eq_u32 s11, 0
	s_cselect_b32 s9, ttmp9, s10
	s_cmp_eq_u64 s[12:13], 0
	v_mad_u32 v1, s9, s8, v2
	s_cbranch_scc1 .LBB2136_11
; %bb.1:
	s_cmp_lt_u32 s7, s6
	s_mov_b32 s14, exec_lo
	s_cselect_b32 s8, s7, 0
	s_delay_alu instid0(VALU_DEP_1) | instid1(SALU_CYCLE_1)
	v_cmpx_eq_u32_e64 s8, v1
	s_cbranch_execz .LBB2136_10
; %bb.2:
	s_load_b64 s[8:9], s[0:1], 0x4
	v_bfe_u32 v3, v0, 10, 10
	v_bfe_u32 v0, v0, 20, 10
	s_wait_kmcnt 0x0
	s_lshr_b32 s0, s8, 16
	s_delay_alu instid0(VALU_DEP_2) | instskip(SKIP_4) | instid1(VALU_DEP_1)
	v_mul_u32_u24_e32 v3, s9, v3
	s_mul_i32 s0, s0, s9
	s_load_b128 s[8:11], s[2:3], 0x0
	v_mul_lo_u32 v2, s0, v2
	s_mov_b32 s0, 0
	v_add3_u32 v0, v2, v3, v0
	v_mov_b32_e32 v2, 0
	s_delay_alu instid0(VALU_DEP_2)
	v_mul_lo_u32 v0, v0, 36
	ds_store_2addr_b32 v0, v2, v2 offset0:6 offset1:7
	ds_store_2addr_b32 v0, v2, v2 offset0:4 offset1:5
	;; [unrolled: 1-line block ×3, first 2 shown]
	ds_store_2addr_b32 v0, v2, v2 offset1:1
	ds_store_b32 v0, v2 offset:32
.LBB2136_3:                             ; =>This Inner Loop Header: Depth=1
	v_add_nc_u32_e32 v3, s0, v0
	s_add_co_i32 s0, s0, 8
	s_delay_alu instid0(SALU_CYCLE_1)
	s_cmp_lg_u32 s0, 32
	ds_store_2addr_b32 v3, v2, v2 offset1:1
	s_cbranch_scc1 .LBB2136_3
; %bb.4:
	s_add_co_i32 s0, s7, 32
	s_delay_alu instid0(SALU_CYCLE_1)
	v_dual_mov_b32 v2, 0 :: v_dual_mov_b32 v3, s0
	s_mov_b32 s1, 0
	ds_store_b8 v0, v2 offset:32
	global_load_u8 v3, v3, s[4:5] scope:SCOPE_DEV
	s_wait_loadcnt 0x0
	v_and_b32_e32 v4, 0xffff, v3
	v_readfirstlane_b32 s15, v3
	s_delay_alu instid0(VALU_DEP_2)
	v_cmp_ne_u32_e32 vcc_lo, 0, v4
	s_cbranch_vccnz .LBB2136_9
; %bb.5:
	s_add_nc_u64 s[2:3], s[4:5], s[0:1]
	s_mov_b32 s7, 1
.LBB2136_6:                             ; =>This Loop Header: Depth=1
                                        ;     Child Loop BB2136_7 Depth 2
	s_delay_alu instid0(SALU_CYCLE_1)
	s_mov_b32 s15, s7
.LBB2136_7:                             ;   Parent Loop BB2136_6 Depth=1
                                        ; =>  This Inner Loop Header: Depth=2
	s_delay_alu instid0(SALU_CYCLE_1)
	s_add_co_i32 s15, s15, -1
	s_sleep 1
	s_cmp_eq_u32 s15, 0
	s_cbranch_scc0 .LBB2136_7
; %bb.8:                                ;   in Loop: Header=BB2136_6 Depth=1
	global_load_u8 v3, v2, s[2:3] scope:SCOPE_DEV
	s_cmp_lt_u32 s7, 32
	s_cselect_b32 s15, -1, 0
	s_delay_alu instid0(SALU_CYCLE_1) | instskip(SKIP_4) | instid1(VALU_DEP_2)
	s_cmp_lg_u32 s15, 0
	s_add_co_ci_u32 s7, s7, 0
	s_wait_loadcnt 0x0
	v_and_b32_e32 v4, 0xffff, v3
	v_readfirstlane_b32 s15, v3
	v_cmp_ne_u32_e32 vcc_lo, 0, v4
	s_cbranch_vccz .LBB2136_6
.LBB2136_9:
	s_and_b32 s2, 0xffff, s15
	v_mov_b32_e32 v10, 0
	s_cmp_eq_u32 s2, 1
	s_mul_u64 s[0:1], s[0:1], 36
	s_wait_kmcnt 0x0
	s_cselect_b32 s3, s9, s11
	s_cselect_b32 s2, s8, s10
	global_wb scope:SCOPE_DEV
	s_wait_storecnt_dscnt 0x0
	global_inv scope:SCOPE_DEV
	s_add_nc_u64 s[0:1], s[2:3], s[0:1]
	s_clause 0x2
	global_load_b128 v[2:5], v10, s[0:1]
	global_load_b128 v[6:9], v10, s[0:1] offset:16
	global_load_u8 v11, v10, s[0:1] offset:32
	s_wait_loadcnt 0x2
	ds_store_2addr_b32 v0, v2, v3 offset1:1
	ds_store_2addr_b32 v0, v4, v5 offset0:2 offset1:3
	s_wait_loadcnt 0x1
	ds_store_2addr_b32 v0, v6, v7 offset0:4 offset1:5
	ds_store_2addr_b32 v0, v8, v9 offset0:6 offset1:7
	s_clause 0x1
	global_store_b128 v10, v[2:5], s[12:13]
	global_store_b128 v10, v[6:9], s[12:13] offset:16
	s_wait_loadcnt 0x0
	global_store_b8 v10, v11, s[12:13] offset:32
.LBB2136_10:
	s_wait_xcnt 0x0
	s_or_b32 exec_lo, exec_lo, s14
.LBB2136_11:
	s_delay_alu instid0(SALU_CYCLE_1) | instskip(NEXT) | instid1(VALU_DEP_1)
	s_mov_b32 s0, exec_lo
	v_cmpx_gt_u32_e64 s6, v1
	s_cbranch_execz .LBB2136_13
; %bb.12:
	v_dual_add_nc_u32 v0, 32, v1 :: v_dual_mov_b32 v2, 0
	global_store_b8 v0, v2, s[4:5]
.LBB2136_13:
	s_wait_xcnt 0x0
	s_or_b32 exec_lo, exec_lo, s0
	s_delay_alu instid0(SALU_CYCLE_1)
	s_mov_b32 s0, exec_lo
	v_cmpx_gt_u32_e32 32, v1
	s_cbranch_execz .LBB2136_15
; %bb.14:
	v_mov_b32_e32 v0, 0xff
	global_store_b8 v1, v0, s[4:5]
.LBB2136_15:
	s_endpgm
	.section	.rodata,"a",@progbits
	.p2align	6, 0x0
	.amdhsa_kernel _ZN7rocprim17ROCPRIM_400000_NS6detail30init_device_scan_by_key_kernelINS1_19lookback_scan_stateINS0_5tupleIJ11FixedVectorIiLj8EEbEEELb1ELb0EEENS1_16block_id_wrapperIjLb0EEEEEvT_jjPNSB_10value_typeET0_
		.amdhsa_group_segment_fixed_size 9216
		.amdhsa_private_segment_fixed_size 0
		.amdhsa_kernarg_size 304
		.amdhsa_user_sgpr_count 4
		.amdhsa_user_sgpr_dispatch_ptr 1
		.amdhsa_user_sgpr_queue_ptr 0
		.amdhsa_user_sgpr_kernarg_segment_ptr 1
		.amdhsa_user_sgpr_dispatch_id 0
		.amdhsa_user_sgpr_kernarg_preload_length 0
		.amdhsa_user_sgpr_kernarg_preload_offset 0
		.amdhsa_user_sgpr_private_segment_size 0
		.amdhsa_wavefront_size32 1
		.amdhsa_uses_dynamic_stack 0
		.amdhsa_enable_private_segment 0
		.amdhsa_system_sgpr_workgroup_id_x 1
		.amdhsa_system_sgpr_workgroup_id_y 0
		.amdhsa_system_sgpr_workgroup_id_z 0
		.amdhsa_system_sgpr_workgroup_info 0
		.amdhsa_system_vgpr_workitem_id 2
		.amdhsa_next_free_vgpr 12
		.amdhsa_next_free_sgpr 16
		.amdhsa_named_barrier_count 0
		.amdhsa_reserve_vcc 1
		.amdhsa_float_round_mode_32 0
		.amdhsa_float_round_mode_16_64 0
		.amdhsa_float_denorm_mode_32 3
		.amdhsa_float_denorm_mode_16_64 3
		.amdhsa_fp16_overflow 0
		.amdhsa_memory_ordered 1
		.amdhsa_forward_progress 1
		.amdhsa_inst_pref_size 6
		.amdhsa_round_robin_scheduling 0
		.amdhsa_exception_fp_ieee_invalid_op 0
		.amdhsa_exception_fp_denorm_src 0
		.amdhsa_exception_fp_ieee_div_zero 0
		.amdhsa_exception_fp_ieee_overflow 0
		.amdhsa_exception_fp_ieee_underflow 0
		.amdhsa_exception_fp_ieee_inexact 0
		.amdhsa_exception_int_div_zero 0
	.end_amdhsa_kernel
	.section	.text._ZN7rocprim17ROCPRIM_400000_NS6detail30init_device_scan_by_key_kernelINS1_19lookback_scan_stateINS0_5tupleIJ11FixedVectorIiLj8EEbEEELb1ELb0EEENS1_16block_id_wrapperIjLb0EEEEEvT_jjPNSB_10value_typeET0_,"axG",@progbits,_ZN7rocprim17ROCPRIM_400000_NS6detail30init_device_scan_by_key_kernelINS1_19lookback_scan_stateINS0_5tupleIJ11FixedVectorIiLj8EEbEEELb1ELb0EEENS1_16block_id_wrapperIjLb0EEEEEvT_jjPNSB_10value_typeET0_,comdat
.Lfunc_end2136:
	.size	_ZN7rocprim17ROCPRIM_400000_NS6detail30init_device_scan_by_key_kernelINS1_19lookback_scan_stateINS0_5tupleIJ11FixedVectorIiLj8EEbEEELb1ELb0EEENS1_16block_id_wrapperIjLb0EEEEEvT_jjPNSB_10value_typeET0_, .Lfunc_end2136-_ZN7rocprim17ROCPRIM_400000_NS6detail30init_device_scan_by_key_kernelINS1_19lookback_scan_stateINS0_5tupleIJ11FixedVectorIiLj8EEbEEELb1ELb0EEENS1_16block_id_wrapperIjLb0EEEEEvT_jjPNSB_10value_typeET0_
                                        ; -- End function
	.set _ZN7rocprim17ROCPRIM_400000_NS6detail30init_device_scan_by_key_kernelINS1_19lookback_scan_stateINS0_5tupleIJ11FixedVectorIiLj8EEbEEELb1ELb0EEENS1_16block_id_wrapperIjLb0EEEEEvT_jjPNSB_10value_typeET0_.num_vgpr, 12
	.set _ZN7rocprim17ROCPRIM_400000_NS6detail30init_device_scan_by_key_kernelINS1_19lookback_scan_stateINS0_5tupleIJ11FixedVectorIiLj8EEbEEELb1ELb0EEENS1_16block_id_wrapperIjLb0EEEEEvT_jjPNSB_10value_typeET0_.num_agpr, 0
	.set _ZN7rocprim17ROCPRIM_400000_NS6detail30init_device_scan_by_key_kernelINS1_19lookback_scan_stateINS0_5tupleIJ11FixedVectorIiLj8EEbEEELb1ELb0EEENS1_16block_id_wrapperIjLb0EEEEEvT_jjPNSB_10value_typeET0_.numbered_sgpr, 16
	.set _ZN7rocprim17ROCPRIM_400000_NS6detail30init_device_scan_by_key_kernelINS1_19lookback_scan_stateINS0_5tupleIJ11FixedVectorIiLj8EEbEEELb1ELb0EEENS1_16block_id_wrapperIjLb0EEEEEvT_jjPNSB_10value_typeET0_.num_named_barrier, 0
	.set _ZN7rocprim17ROCPRIM_400000_NS6detail30init_device_scan_by_key_kernelINS1_19lookback_scan_stateINS0_5tupleIJ11FixedVectorIiLj8EEbEEELb1ELb0EEENS1_16block_id_wrapperIjLb0EEEEEvT_jjPNSB_10value_typeET0_.private_seg_size, 0
	.set _ZN7rocprim17ROCPRIM_400000_NS6detail30init_device_scan_by_key_kernelINS1_19lookback_scan_stateINS0_5tupleIJ11FixedVectorIiLj8EEbEEELb1ELb0EEENS1_16block_id_wrapperIjLb0EEEEEvT_jjPNSB_10value_typeET0_.uses_vcc, 1
	.set _ZN7rocprim17ROCPRIM_400000_NS6detail30init_device_scan_by_key_kernelINS1_19lookback_scan_stateINS0_5tupleIJ11FixedVectorIiLj8EEbEEELb1ELb0EEENS1_16block_id_wrapperIjLb0EEEEEvT_jjPNSB_10value_typeET0_.uses_flat_scratch, 0
	.set _ZN7rocprim17ROCPRIM_400000_NS6detail30init_device_scan_by_key_kernelINS1_19lookback_scan_stateINS0_5tupleIJ11FixedVectorIiLj8EEbEEELb1ELb0EEENS1_16block_id_wrapperIjLb0EEEEEvT_jjPNSB_10value_typeET0_.has_dyn_sized_stack, 0
	.set _ZN7rocprim17ROCPRIM_400000_NS6detail30init_device_scan_by_key_kernelINS1_19lookback_scan_stateINS0_5tupleIJ11FixedVectorIiLj8EEbEEELb1ELb0EEENS1_16block_id_wrapperIjLb0EEEEEvT_jjPNSB_10value_typeET0_.has_recursion, 0
	.set _ZN7rocprim17ROCPRIM_400000_NS6detail30init_device_scan_by_key_kernelINS1_19lookback_scan_stateINS0_5tupleIJ11FixedVectorIiLj8EEbEEELb1ELb0EEENS1_16block_id_wrapperIjLb0EEEEEvT_jjPNSB_10value_typeET0_.has_indirect_call, 0
	.section	.AMDGPU.csdata,"",@progbits
; Kernel info:
; codeLenInByte = 732
; TotalNumSgprs: 18
; NumVgprs: 12
; ScratchSize: 0
; MemoryBound: 0
; FloatMode: 240
; IeeeMode: 1
; LDSByteSize: 9216 bytes/workgroup (compile time only)
; SGPRBlocks: 0
; VGPRBlocks: 0
; NumSGPRsForWavesPerEU: 18
; NumVGPRsForWavesPerEU: 12
; NamedBarCnt: 0
; Occupancy: 16
; WaveLimiterHint : 0
; COMPUTE_PGM_RSRC2:SCRATCH_EN: 0
; COMPUTE_PGM_RSRC2:USER_SGPR: 4
; COMPUTE_PGM_RSRC2:TRAP_HANDLER: 0
; COMPUTE_PGM_RSRC2:TGID_X_EN: 1
; COMPUTE_PGM_RSRC2:TGID_Y_EN: 0
; COMPUTE_PGM_RSRC2:TGID_Z_EN: 0
; COMPUTE_PGM_RSRC2:TIDIG_COMP_CNT: 2
	.section	.text._ZN7rocprim17ROCPRIM_400000_NS6detail17trampoline_kernelINS0_14default_configENS1_27scan_by_key_config_selectorIj11FixedVectorIiLj8EEEEZZNS1_16scan_by_key_implILNS1_25lookback_scan_determinismE0ELb0ES3_N6thrust23THRUST_200600_302600_NS6detail15normal_iteratorINSB_10device_ptrIjEEEENSD_INSE_IS6_EEEESI_S6_NSB_4plusIvEENSB_8equal_toIvEES6_EE10hipError_tPvRmT2_T3_T4_T5_mT6_T7_P12ihipStream_tbENKUlT_T0_E_clISt17integral_constantIbLb1EES12_IbLb0EEEEDaSY_SZ_EUlSY_E_NS1_11comp_targetILNS1_3genE0ELNS1_11target_archE4294967295ELNS1_3gpuE0ELNS1_3repE0EEENS1_30default_config_static_selectorELNS0_4arch9wavefront6targetE0EEEvT1_,"axG",@progbits,_ZN7rocprim17ROCPRIM_400000_NS6detail17trampoline_kernelINS0_14default_configENS1_27scan_by_key_config_selectorIj11FixedVectorIiLj8EEEEZZNS1_16scan_by_key_implILNS1_25lookback_scan_determinismE0ELb0ES3_N6thrust23THRUST_200600_302600_NS6detail15normal_iteratorINSB_10device_ptrIjEEEENSD_INSE_IS6_EEEESI_S6_NSB_4plusIvEENSB_8equal_toIvEES6_EE10hipError_tPvRmT2_T3_T4_T5_mT6_T7_P12ihipStream_tbENKUlT_T0_E_clISt17integral_constantIbLb1EES12_IbLb0EEEEDaSY_SZ_EUlSY_E_NS1_11comp_targetILNS1_3genE0ELNS1_11target_archE4294967295ELNS1_3gpuE0ELNS1_3repE0EEENS1_30default_config_static_selectorELNS0_4arch9wavefront6targetE0EEEvT1_,comdat
	.protected	_ZN7rocprim17ROCPRIM_400000_NS6detail17trampoline_kernelINS0_14default_configENS1_27scan_by_key_config_selectorIj11FixedVectorIiLj8EEEEZZNS1_16scan_by_key_implILNS1_25lookback_scan_determinismE0ELb0ES3_N6thrust23THRUST_200600_302600_NS6detail15normal_iteratorINSB_10device_ptrIjEEEENSD_INSE_IS6_EEEESI_S6_NSB_4plusIvEENSB_8equal_toIvEES6_EE10hipError_tPvRmT2_T3_T4_T5_mT6_T7_P12ihipStream_tbENKUlT_T0_E_clISt17integral_constantIbLb1EES12_IbLb0EEEEDaSY_SZ_EUlSY_E_NS1_11comp_targetILNS1_3genE0ELNS1_11target_archE4294967295ELNS1_3gpuE0ELNS1_3repE0EEENS1_30default_config_static_selectorELNS0_4arch9wavefront6targetE0EEEvT1_ ; -- Begin function _ZN7rocprim17ROCPRIM_400000_NS6detail17trampoline_kernelINS0_14default_configENS1_27scan_by_key_config_selectorIj11FixedVectorIiLj8EEEEZZNS1_16scan_by_key_implILNS1_25lookback_scan_determinismE0ELb0ES3_N6thrust23THRUST_200600_302600_NS6detail15normal_iteratorINSB_10device_ptrIjEEEENSD_INSE_IS6_EEEESI_S6_NSB_4plusIvEENSB_8equal_toIvEES6_EE10hipError_tPvRmT2_T3_T4_T5_mT6_T7_P12ihipStream_tbENKUlT_T0_E_clISt17integral_constantIbLb1EES12_IbLb0EEEEDaSY_SZ_EUlSY_E_NS1_11comp_targetILNS1_3genE0ELNS1_11target_archE4294967295ELNS1_3gpuE0ELNS1_3repE0EEENS1_30default_config_static_selectorELNS0_4arch9wavefront6targetE0EEEvT1_
	.globl	_ZN7rocprim17ROCPRIM_400000_NS6detail17trampoline_kernelINS0_14default_configENS1_27scan_by_key_config_selectorIj11FixedVectorIiLj8EEEEZZNS1_16scan_by_key_implILNS1_25lookback_scan_determinismE0ELb0ES3_N6thrust23THRUST_200600_302600_NS6detail15normal_iteratorINSB_10device_ptrIjEEEENSD_INSE_IS6_EEEESI_S6_NSB_4plusIvEENSB_8equal_toIvEES6_EE10hipError_tPvRmT2_T3_T4_T5_mT6_T7_P12ihipStream_tbENKUlT_T0_E_clISt17integral_constantIbLb1EES12_IbLb0EEEEDaSY_SZ_EUlSY_E_NS1_11comp_targetILNS1_3genE0ELNS1_11target_archE4294967295ELNS1_3gpuE0ELNS1_3repE0EEENS1_30default_config_static_selectorELNS0_4arch9wavefront6targetE0EEEvT1_
	.p2align	8
	.type	_ZN7rocprim17ROCPRIM_400000_NS6detail17trampoline_kernelINS0_14default_configENS1_27scan_by_key_config_selectorIj11FixedVectorIiLj8EEEEZZNS1_16scan_by_key_implILNS1_25lookback_scan_determinismE0ELb0ES3_N6thrust23THRUST_200600_302600_NS6detail15normal_iteratorINSB_10device_ptrIjEEEENSD_INSE_IS6_EEEESI_S6_NSB_4plusIvEENSB_8equal_toIvEES6_EE10hipError_tPvRmT2_T3_T4_T5_mT6_T7_P12ihipStream_tbENKUlT_T0_E_clISt17integral_constantIbLb1EES12_IbLb0EEEEDaSY_SZ_EUlSY_E_NS1_11comp_targetILNS1_3genE0ELNS1_11target_archE4294967295ELNS1_3gpuE0ELNS1_3repE0EEENS1_30default_config_static_selectorELNS0_4arch9wavefront6targetE0EEEvT1_,@function
_ZN7rocprim17ROCPRIM_400000_NS6detail17trampoline_kernelINS0_14default_configENS1_27scan_by_key_config_selectorIj11FixedVectorIiLj8EEEEZZNS1_16scan_by_key_implILNS1_25lookback_scan_determinismE0ELb0ES3_N6thrust23THRUST_200600_302600_NS6detail15normal_iteratorINSB_10device_ptrIjEEEENSD_INSE_IS6_EEEESI_S6_NSB_4plusIvEENSB_8equal_toIvEES6_EE10hipError_tPvRmT2_T3_T4_T5_mT6_T7_P12ihipStream_tbENKUlT_T0_E_clISt17integral_constantIbLb1EES12_IbLb0EEEEDaSY_SZ_EUlSY_E_NS1_11comp_targetILNS1_3genE0ELNS1_11target_archE4294967295ELNS1_3gpuE0ELNS1_3repE0EEENS1_30default_config_static_selectorELNS0_4arch9wavefront6targetE0EEEvT1_: ; @_ZN7rocprim17ROCPRIM_400000_NS6detail17trampoline_kernelINS0_14default_configENS1_27scan_by_key_config_selectorIj11FixedVectorIiLj8EEEEZZNS1_16scan_by_key_implILNS1_25lookback_scan_determinismE0ELb0ES3_N6thrust23THRUST_200600_302600_NS6detail15normal_iteratorINSB_10device_ptrIjEEEENSD_INSE_IS6_EEEESI_S6_NSB_4plusIvEENSB_8equal_toIvEES6_EE10hipError_tPvRmT2_T3_T4_T5_mT6_T7_P12ihipStream_tbENKUlT_T0_E_clISt17integral_constantIbLb1EES12_IbLb0EEEEDaSY_SZ_EUlSY_E_NS1_11comp_targetILNS1_3genE0ELNS1_11target_archE4294967295ELNS1_3gpuE0ELNS1_3repE0EEENS1_30default_config_static_selectorELNS0_4arch9wavefront6targetE0EEEvT1_
; %bb.0:
	s_endpgm
	.section	.rodata,"a",@progbits
	.p2align	6, 0x0
	.amdhsa_kernel _ZN7rocprim17ROCPRIM_400000_NS6detail17trampoline_kernelINS0_14default_configENS1_27scan_by_key_config_selectorIj11FixedVectorIiLj8EEEEZZNS1_16scan_by_key_implILNS1_25lookback_scan_determinismE0ELb0ES3_N6thrust23THRUST_200600_302600_NS6detail15normal_iteratorINSB_10device_ptrIjEEEENSD_INSE_IS6_EEEESI_S6_NSB_4plusIvEENSB_8equal_toIvEES6_EE10hipError_tPvRmT2_T3_T4_T5_mT6_T7_P12ihipStream_tbENKUlT_T0_E_clISt17integral_constantIbLb1EES12_IbLb0EEEEDaSY_SZ_EUlSY_E_NS1_11comp_targetILNS1_3genE0ELNS1_11target_archE4294967295ELNS1_3gpuE0ELNS1_3repE0EEENS1_30default_config_static_selectorELNS0_4arch9wavefront6targetE0EEEvT1_
		.amdhsa_group_segment_fixed_size 0
		.amdhsa_private_segment_fixed_size 0
		.amdhsa_kernarg_size 160
		.amdhsa_user_sgpr_count 2
		.amdhsa_user_sgpr_dispatch_ptr 0
		.amdhsa_user_sgpr_queue_ptr 0
		.amdhsa_user_sgpr_kernarg_segment_ptr 1
		.amdhsa_user_sgpr_dispatch_id 0
		.amdhsa_user_sgpr_kernarg_preload_length 0
		.amdhsa_user_sgpr_kernarg_preload_offset 0
		.amdhsa_user_sgpr_private_segment_size 0
		.amdhsa_wavefront_size32 1
		.amdhsa_uses_dynamic_stack 0
		.amdhsa_enable_private_segment 0
		.amdhsa_system_sgpr_workgroup_id_x 1
		.amdhsa_system_sgpr_workgroup_id_y 0
		.amdhsa_system_sgpr_workgroup_id_z 0
		.amdhsa_system_sgpr_workgroup_info 0
		.amdhsa_system_vgpr_workitem_id 0
		.amdhsa_next_free_vgpr 1
		.amdhsa_next_free_sgpr 1
		.amdhsa_named_barrier_count 0
		.amdhsa_reserve_vcc 0
		.amdhsa_float_round_mode_32 0
		.amdhsa_float_round_mode_16_64 0
		.amdhsa_float_denorm_mode_32 3
		.amdhsa_float_denorm_mode_16_64 3
		.amdhsa_fp16_overflow 0
		.amdhsa_memory_ordered 1
		.amdhsa_forward_progress 1
		.amdhsa_inst_pref_size 1
		.amdhsa_round_robin_scheduling 0
		.amdhsa_exception_fp_ieee_invalid_op 0
		.amdhsa_exception_fp_denorm_src 0
		.amdhsa_exception_fp_ieee_div_zero 0
		.amdhsa_exception_fp_ieee_overflow 0
		.amdhsa_exception_fp_ieee_underflow 0
		.amdhsa_exception_fp_ieee_inexact 0
		.amdhsa_exception_int_div_zero 0
	.end_amdhsa_kernel
	.section	.text._ZN7rocprim17ROCPRIM_400000_NS6detail17trampoline_kernelINS0_14default_configENS1_27scan_by_key_config_selectorIj11FixedVectorIiLj8EEEEZZNS1_16scan_by_key_implILNS1_25lookback_scan_determinismE0ELb0ES3_N6thrust23THRUST_200600_302600_NS6detail15normal_iteratorINSB_10device_ptrIjEEEENSD_INSE_IS6_EEEESI_S6_NSB_4plusIvEENSB_8equal_toIvEES6_EE10hipError_tPvRmT2_T3_T4_T5_mT6_T7_P12ihipStream_tbENKUlT_T0_E_clISt17integral_constantIbLb1EES12_IbLb0EEEEDaSY_SZ_EUlSY_E_NS1_11comp_targetILNS1_3genE0ELNS1_11target_archE4294967295ELNS1_3gpuE0ELNS1_3repE0EEENS1_30default_config_static_selectorELNS0_4arch9wavefront6targetE0EEEvT1_,"axG",@progbits,_ZN7rocprim17ROCPRIM_400000_NS6detail17trampoline_kernelINS0_14default_configENS1_27scan_by_key_config_selectorIj11FixedVectorIiLj8EEEEZZNS1_16scan_by_key_implILNS1_25lookback_scan_determinismE0ELb0ES3_N6thrust23THRUST_200600_302600_NS6detail15normal_iteratorINSB_10device_ptrIjEEEENSD_INSE_IS6_EEEESI_S6_NSB_4plusIvEENSB_8equal_toIvEES6_EE10hipError_tPvRmT2_T3_T4_T5_mT6_T7_P12ihipStream_tbENKUlT_T0_E_clISt17integral_constantIbLb1EES12_IbLb0EEEEDaSY_SZ_EUlSY_E_NS1_11comp_targetILNS1_3genE0ELNS1_11target_archE4294967295ELNS1_3gpuE0ELNS1_3repE0EEENS1_30default_config_static_selectorELNS0_4arch9wavefront6targetE0EEEvT1_,comdat
.Lfunc_end2137:
	.size	_ZN7rocprim17ROCPRIM_400000_NS6detail17trampoline_kernelINS0_14default_configENS1_27scan_by_key_config_selectorIj11FixedVectorIiLj8EEEEZZNS1_16scan_by_key_implILNS1_25lookback_scan_determinismE0ELb0ES3_N6thrust23THRUST_200600_302600_NS6detail15normal_iteratorINSB_10device_ptrIjEEEENSD_INSE_IS6_EEEESI_S6_NSB_4plusIvEENSB_8equal_toIvEES6_EE10hipError_tPvRmT2_T3_T4_T5_mT6_T7_P12ihipStream_tbENKUlT_T0_E_clISt17integral_constantIbLb1EES12_IbLb0EEEEDaSY_SZ_EUlSY_E_NS1_11comp_targetILNS1_3genE0ELNS1_11target_archE4294967295ELNS1_3gpuE0ELNS1_3repE0EEENS1_30default_config_static_selectorELNS0_4arch9wavefront6targetE0EEEvT1_, .Lfunc_end2137-_ZN7rocprim17ROCPRIM_400000_NS6detail17trampoline_kernelINS0_14default_configENS1_27scan_by_key_config_selectorIj11FixedVectorIiLj8EEEEZZNS1_16scan_by_key_implILNS1_25lookback_scan_determinismE0ELb0ES3_N6thrust23THRUST_200600_302600_NS6detail15normal_iteratorINSB_10device_ptrIjEEEENSD_INSE_IS6_EEEESI_S6_NSB_4plusIvEENSB_8equal_toIvEES6_EE10hipError_tPvRmT2_T3_T4_T5_mT6_T7_P12ihipStream_tbENKUlT_T0_E_clISt17integral_constantIbLb1EES12_IbLb0EEEEDaSY_SZ_EUlSY_E_NS1_11comp_targetILNS1_3genE0ELNS1_11target_archE4294967295ELNS1_3gpuE0ELNS1_3repE0EEENS1_30default_config_static_selectorELNS0_4arch9wavefront6targetE0EEEvT1_
                                        ; -- End function
	.set _ZN7rocprim17ROCPRIM_400000_NS6detail17trampoline_kernelINS0_14default_configENS1_27scan_by_key_config_selectorIj11FixedVectorIiLj8EEEEZZNS1_16scan_by_key_implILNS1_25lookback_scan_determinismE0ELb0ES3_N6thrust23THRUST_200600_302600_NS6detail15normal_iteratorINSB_10device_ptrIjEEEENSD_INSE_IS6_EEEESI_S6_NSB_4plusIvEENSB_8equal_toIvEES6_EE10hipError_tPvRmT2_T3_T4_T5_mT6_T7_P12ihipStream_tbENKUlT_T0_E_clISt17integral_constantIbLb1EES12_IbLb0EEEEDaSY_SZ_EUlSY_E_NS1_11comp_targetILNS1_3genE0ELNS1_11target_archE4294967295ELNS1_3gpuE0ELNS1_3repE0EEENS1_30default_config_static_selectorELNS0_4arch9wavefront6targetE0EEEvT1_.num_vgpr, 0
	.set _ZN7rocprim17ROCPRIM_400000_NS6detail17trampoline_kernelINS0_14default_configENS1_27scan_by_key_config_selectorIj11FixedVectorIiLj8EEEEZZNS1_16scan_by_key_implILNS1_25lookback_scan_determinismE0ELb0ES3_N6thrust23THRUST_200600_302600_NS6detail15normal_iteratorINSB_10device_ptrIjEEEENSD_INSE_IS6_EEEESI_S6_NSB_4plusIvEENSB_8equal_toIvEES6_EE10hipError_tPvRmT2_T3_T4_T5_mT6_T7_P12ihipStream_tbENKUlT_T0_E_clISt17integral_constantIbLb1EES12_IbLb0EEEEDaSY_SZ_EUlSY_E_NS1_11comp_targetILNS1_3genE0ELNS1_11target_archE4294967295ELNS1_3gpuE0ELNS1_3repE0EEENS1_30default_config_static_selectorELNS0_4arch9wavefront6targetE0EEEvT1_.num_agpr, 0
	.set _ZN7rocprim17ROCPRIM_400000_NS6detail17trampoline_kernelINS0_14default_configENS1_27scan_by_key_config_selectorIj11FixedVectorIiLj8EEEEZZNS1_16scan_by_key_implILNS1_25lookback_scan_determinismE0ELb0ES3_N6thrust23THRUST_200600_302600_NS6detail15normal_iteratorINSB_10device_ptrIjEEEENSD_INSE_IS6_EEEESI_S6_NSB_4plusIvEENSB_8equal_toIvEES6_EE10hipError_tPvRmT2_T3_T4_T5_mT6_T7_P12ihipStream_tbENKUlT_T0_E_clISt17integral_constantIbLb1EES12_IbLb0EEEEDaSY_SZ_EUlSY_E_NS1_11comp_targetILNS1_3genE0ELNS1_11target_archE4294967295ELNS1_3gpuE0ELNS1_3repE0EEENS1_30default_config_static_selectorELNS0_4arch9wavefront6targetE0EEEvT1_.numbered_sgpr, 0
	.set _ZN7rocprim17ROCPRIM_400000_NS6detail17trampoline_kernelINS0_14default_configENS1_27scan_by_key_config_selectorIj11FixedVectorIiLj8EEEEZZNS1_16scan_by_key_implILNS1_25lookback_scan_determinismE0ELb0ES3_N6thrust23THRUST_200600_302600_NS6detail15normal_iteratorINSB_10device_ptrIjEEEENSD_INSE_IS6_EEEESI_S6_NSB_4plusIvEENSB_8equal_toIvEES6_EE10hipError_tPvRmT2_T3_T4_T5_mT6_T7_P12ihipStream_tbENKUlT_T0_E_clISt17integral_constantIbLb1EES12_IbLb0EEEEDaSY_SZ_EUlSY_E_NS1_11comp_targetILNS1_3genE0ELNS1_11target_archE4294967295ELNS1_3gpuE0ELNS1_3repE0EEENS1_30default_config_static_selectorELNS0_4arch9wavefront6targetE0EEEvT1_.num_named_barrier, 0
	.set _ZN7rocprim17ROCPRIM_400000_NS6detail17trampoline_kernelINS0_14default_configENS1_27scan_by_key_config_selectorIj11FixedVectorIiLj8EEEEZZNS1_16scan_by_key_implILNS1_25lookback_scan_determinismE0ELb0ES3_N6thrust23THRUST_200600_302600_NS6detail15normal_iteratorINSB_10device_ptrIjEEEENSD_INSE_IS6_EEEESI_S6_NSB_4plusIvEENSB_8equal_toIvEES6_EE10hipError_tPvRmT2_T3_T4_T5_mT6_T7_P12ihipStream_tbENKUlT_T0_E_clISt17integral_constantIbLb1EES12_IbLb0EEEEDaSY_SZ_EUlSY_E_NS1_11comp_targetILNS1_3genE0ELNS1_11target_archE4294967295ELNS1_3gpuE0ELNS1_3repE0EEENS1_30default_config_static_selectorELNS0_4arch9wavefront6targetE0EEEvT1_.private_seg_size, 0
	.set _ZN7rocprim17ROCPRIM_400000_NS6detail17trampoline_kernelINS0_14default_configENS1_27scan_by_key_config_selectorIj11FixedVectorIiLj8EEEEZZNS1_16scan_by_key_implILNS1_25lookback_scan_determinismE0ELb0ES3_N6thrust23THRUST_200600_302600_NS6detail15normal_iteratorINSB_10device_ptrIjEEEENSD_INSE_IS6_EEEESI_S6_NSB_4plusIvEENSB_8equal_toIvEES6_EE10hipError_tPvRmT2_T3_T4_T5_mT6_T7_P12ihipStream_tbENKUlT_T0_E_clISt17integral_constantIbLb1EES12_IbLb0EEEEDaSY_SZ_EUlSY_E_NS1_11comp_targetILNS1_3genE0ELNS1_11target_archE4294967295ELNS1_3gpuE0ELNS1_3repE0EEENS1_30default_config_static_selectorELNS0_4arch9wavefront6targetE0EEEvT1_.uses_vcc, 0
	.set _ZN7rocprim17ROCPRIM_400000_NS6detail17trampoline_kernelINS0_14default_configENS1_27scan_by_key_config_selectorIj11FixedVectorIiLj8EEEEZZNS1_16scan_by_key_implILNS1_25lookback_scan_determinismE0ELb0ES3_N6thrust23THRUST_200600_302600_NS6detail15normal_iteratorINSB_10device_ptrIjEEEENSD_INSE_IS6_EEEESI_S6_NSB_4plusIvEENSB_8equal_toIvEES6_EE10hipError_tPvRmT2_T3_T4_T5_mT6_T7_P12ihipStream_tbENKUlT_T0_E_clISt17integral_constantIbLb1EES12_IbLb0EEEEDaSY_SZ_EUlSY_E_NS1_11comp_targetILNS1_3genE0ELNS1_11target_archE4294967295ELNS1_3gpuE0ELNS1_3repE0EEENS1_30default_config_static_selectorELNS0_4arch9wavefront6targetE0EEEvT1_.uses_flat_scratch, 0
	.set _ZN7rocprim17ROCPRIM_400000_NS6detail17trampoline_kernelINS0_14default_configENS1_27scan_by_key_config_selectorIj11FixedVectorIiLj8EEEEZZNS1_16scan_by_key_implILNS1_25lookback_scan_determinismE0ELb0ES3_N6thrust23THRUST_200600_302600_NS6detail15normal_iteratorINSB_10device_ptrIjEEEENSD_INSE_IS6_EEEESI_S6_NSB_4plusIvEENSB_8equal_toIvEES6_EE10hipError_tPvRmT2_T3_T4_T5_mT6_T7_P12ihipStream_tbENKUlT_T0_E_clISt17integral_constantIbLb1EES12_IbLb0EEEEDaSY_SZ_EUlSY_E_NS1_11comp_targetILNS1_3genE0ELNS1_11target_archE4294967295ELNS1_3gpuE0ELNS1_3repE0EEENS1_30default_config_static_selectorELNS0_4arch9wavefront6targetE0EEEvT1_.has_dyn_sized_stack, 0
	.set _ZN7rocprim17ROCPRIM_400000_NS6detail17trampoline_kernelINS0_14default_configENS1_27scan_by_key_config_selectorIj11FixedVectorIiLj8EEEEZZNS1_16scan_by_key_implILNS1_25lookback_scan_determinismE0ELb0ES3_N6thrust23THRUST_200600_302600_NS6detail15normal_iteratorINSB_10device_ptrIjEEEENSD_INSE_IS6_EEEESI_S6_NSB_4plusIvEENSB_8equal_toIvEES6_EE10hipError_tPvRmT2_T3_T4_T5_mT6_T7_P12ihipStream_tbENKUlT_T0_E_clISt17integral_constantIbLb1EES12_IbLb0EEEEDaSY_SZ_EUlSY_E_NS1_11comp_targetILNS1_3genE0ELNS1_11target_archE4294967295ELNS1_3gpuE0ELNS1_3repE0EEENS1_30default_config_static_selectorELNS0_4arch9wavefront6targetE0EEEvT1_.has_recursion, 0
	.set _ZN7rocprim17ROCPRIM_400000_NS6detail17trampoline_kernelINS0_14default_configENS1_27scan_by_key_config_selectorIj11FixedVectorIiLj8EEEEZZNS1_16scan_by_key_implILNS1_25lookback_scan_determinismE0ELb0ES3_N6thrust23THRUST_200600_302600_NS6detail15normal_iteratorINSB_10device_ptrIjEEEENSD_INSE_IS6_EEEESI_S6_NSB_4plusIvEENSB_8equal_toIvEES6_EE10hipError_tPvRmT2_T3_T4_T5_mT6_T7_P12ihipStream_tbENKUlT_T0_E_clISt17integral_constantIbLb1EES12_IbLb0EEEEDaSY_SZ_EUlSY_E_NS1_11comp_targetILNS1_3genE0ELNS1_11target_archE4294967295ELNS1_3gpuE0ELNS1_3repE0EEENS1_30default_config_static_selectorELNS0_4arch9wavefront6targetE0EEEvT1_.has_indirect_call, 0
	.section	.AMDGPU.csdata,"",@progbits
; Kernel info:
; codeLenInByte = 4
; TotalNumSgprs: 0
; NumVgprs: 0
; ScratchSize: 0
; MemoryBound: 0
; FloatMode: 240
; IeeeMode: 1
; LDSByteSize: 0 bytes/workgroup (compile time only)
; SGPRBlocks: 0
; VGPRBlocks: 0
; NumSGPRsForWavesPerEU: 1
; NumVGPRsForWavesPerEU: 1
; NamedBarCnt: 0
; Occupancy: 16
; WaveLimiterHint : 0
; COMPUTE_PGM_RSRC2:SCRATCH_EN: 0
; COMPUTE_PGM_RSRC2:USER_SGPR: 2
; COMPUTE_PGM_RSRC2:TRAP_HANDLER: 0
; COMPUTE_PGM_RSRC2:TGID_X_EN: 1
; COMPUTE_PGM_RSRC2:TGID_Y_EN: 0
; COMPUTE_PGM_RSRC2:TGID_Z_EN: 0
; COMPUTE_PGM_RSRC2:TIDIG_COMP_CNT: 0
	.section	.text._ZN7rocprim17ROCPRIM_400000_NS6detail17trampoline_kernelINS0_14default_configENS1_27scan_by_key_config_selectorIj11FixedVectorIiLj8EEEEZZNS1_16scan_by_key_implILNS1_25lookback_scan_determinismE0ELb0ES3_N6thrust23THRUST_200600_302600_NS6detail15normal_iteratorINSB_10device_ptrIjEEEENSD_INSE_IS6_EEEESI_S6_NSB_4plusIvEENSB_8equal_toIvEES6_EE10hipError_tPvRmT2_T3_T4_T5_mT6_T7_P12ihipStream_tbENKUlT_T0_E_clISt17integral_constantIbLb1EES12_IbLb0EEEEDaSY_SZ_EUlSY_E_NS1_11comp_targetILNS1_3genE10ELNS1_11target_archE1201ELNS1_3gpuE5ELNS1_3repE0EEENS1_30default_config_static_selectorELNS0_4arch9wavefront6targetE0EEEvT1_,"axG",@progbits,_ZN7rocprim17ROCPRIM_400000_NS6detail17trampoline_kernelINS0_14default_configENS1_27scan_by_key_config_selectorIj11FixedVectorIiLj8EEEEZZNS1_16scan_by_key_implILNS1_25lookback_scan_determinismE0ELb0ES3_N6thrust23THRUST_200600_302600_NS6detail15normal_iteratorINSB_10device_ptrIjEEEENSD_INSE_IS6_EEEESI_S6_NSB_4plusIvEENSB_8equal_toIvEES6_EE10hipError_tPvRmT2_T3_T4_T5_mT6_T7_P12ihipStream_tbENKUlT_T0_E_clISt17integral_constantIbLb1EES12_IbLb0EEEEDaSY_SZ_EUlSY_E_NS1_11comp_targetILNS1_3genE10ELNS1_11target_archE1201ELNS1_3gpuE5ELNS1_3repE0EEENS1_30default_config_static_selectorELNS0_4arch9wavefront6targetE0EEEvT1_,comdat
	.protected	_ZN7rocprim17ROCPRIM_400000_NS6detail17trampoline_kernelINS0_14default_configENS1_27scan_by_key_config_selectorIj11FixedVectorIiLj8EEEEZZNS1_16scan_by_key_implILNS1_25lookback_scan_determinismE0ELb0ES3_N6thrust23THRUST_200600_302600_NS6detail15normal_iteratorINSB_10device_ptrIjEEEENSD_INSE_IS6_EEEESI_S6_NSB_4plusIvEENSB_8equal_toIvEES6_EE10hipError_tPvRmT2_T3_T4_T5_mT6_T7_P12ihipStream_tbENKUlT_T0_E_clISt17integral_constantIbLb1EES12_IbLb0EEEEDaSY_SZ_EUlSY_E_NS1_11comp_targetILNS1_3genE10ELNS1_11target_archE1201ELNS1_3gpuE5ELNS1_3repE0EEENS1_30default_config_static_selectorELNS0_4arch9wavefront6targetE0EEEvT1_ ; -- Begin function _ZN7rocprim17ROCPRIM_400000_NS6detail17trampoline_kernelINS0_14default_configENS1_27scan_by_key_config_selectorIj11FixedVectorIiLj8EEEEZZNS1_16scan_by_key_implILNS1_25lookback_scan_determinismE0ELb0ES3_N6thrust23THRUST_200600_302600_NS6detail15normal_iteratorINSB_10device_ptrIjEEEENSD_INSE_IS6_EEEESI_S6_NSB_4plusIvEENSB_8equal_toIvEES6_EE10hipError_tPvRmT2_T3_T4_T5_mT6_T7_P12ihipStream_tbENKUlT_T0_E_clISt17integral_constantIbLb1EES12_IbLb0EEEEDaSY_SZ_EUlSY_E_NS1_11comp_targetILNS1_3genE10ELNS1_11target_archE1201ELNS1_3gpuE5ELNS1_3repE0EEENS1_30default_config_static_selectorELNS0_4arch9wavefront6targetE0EEEvT1_
	.globl	_ZN7rocprim17ROCPRIM_400000_NS6detail17trampoline_kernelINS0_14default_configENS1_27scan_by_key_config_selectorIj11FixedVectorIiLj8EEEEZZNS1_16scan_by_key_implILNS1_25lookback_scan_determinismE0ELb0ES3_N6thrust23THRUST_200600_302600_NS6detail15normal_iteratorINSB_10device_ptrIjEEEENSD_INSE_IS6_EEEESI_S6_NSB_4plusIvEENSB_8equal_toIvEES6_EE10hipError_tPvRmT2_T3_T4_T5_mT6_T7_P12ihipStream_tbENKUlT_T0_E_clISt17integral_constantIbLb1EES12_IbLb0EEEEDaSY_SZ_EUlSY_E_NS1_11comp_targetILNS1_3genE10ELNS1_11target_archE1201ELNS1_3gpuE5ELNS1_3repE0EEENS1_30default_config_static_selectorELNS0_4arch9wavefront6targetE0EEEvT1_
	.p2align	8
	.type	_ZN7rocprim17ROCPRIM_400000_NS6detail17trampoline_kernelINS0_14default_configENS1_27scan_by_key_config_selectorIj11FixedVectorIiLj8EEEEZZNS1_16scan_by_key_implILNS1_25lookback_scan_determinismE0ELb0ES3_N6thrust23THRUST_200600_302600_NS6detail15normal_iteratorINSB_10device_ptrIjEEEENSD_INSE_IS6_EEEESI_S6_NSB_4plusIvEENSB_8equal_toIvEES6_EE10hipError_tPvRmT2_T3_T4_T5_mT6_T7_P12ihipStream_tbENKUlT_T0_E_clISt17integral_constantIbLb1EES12_IbLb0EEEEDaSY_SZ_EUlSY_E_NS1_11comp_targetILNS1_3genE10ELNS1_11target_archE1201ELNS1_3gpuE5ELNS1_3repE0EEENS1_30default_config_static_selectorELNS0_4arch9wavefront6targetE0EEEvT1_,@function
_ZN7rocprim17ROCPRIM_400000_NS6detail17trampoline_kernelINS0_14default_configENS1_27scan_by_key_config_selectorIj11FixedVectorIiLj8EEEEZZNS1_16scan_by_key_implILNS1_25lookback_scan_determinismE0ELb0ES3_N6thrust23THRUST_200600_302600_NS6detail15normal_iteratorINSB_10device_ptrIjEEEENSD_INSE_IS6_EEEESI_S6_NSB_4plusIvEENSB_8equal_toIvEES6_EE10hipError_tPvRmT2_T3_T4_T5_mT6_T7_P12ihipStream_tbENKUlT_T0_E_clISt17integral_constantIbLb1EES12_IbLb0EEEEDaSY_SZ_EUlSY_E_NS1_11comp_targetILNS1_3genE10ELNS1_11target_archE1201ELNS1_3gpuE5ELNS1_3repE0EEENS1_30default_config_static_selectorELNS0_4arch9wavefront6targetE0EEEvT1_: ; @_ZN7rocprim17ROCPRIM_400000_NS6detail17trampoline_kernelINS0_14default_configENS1_27scan_by_key_config_selectorIj11FixedVectorIiLj8EEEEZZNS1_16scan_by_key_implILNS1_25lookback_scan_determinismE0ELb0ES3_N6thrust23THRUST_200600_302600_NS6detail15normal_iteratorINSB_10device_ptrIjEEEENSD_INSE_IS6_EEEESI_S6_NSB_4plusIvEENSB_8equal_toIvEES6_EE10hipError_tPvRmT2_T3_T4_T5_mT6_T7_P12ihipStream_tbENKUlT_T0_E_clISt17integral_constantIbLb1EES12_IbLb0EEEEDaSY_SZ_EUlSY_E_NS1_11comp_targetILNS1_3genE10ELNS1_11target_archE1201ELNS1_3gpuE5ELNS1_3repE0EEENS1_30default_config_static_selectorELNS0_4arch9wavefront6targetE0EEEvT1_
; %bb.0:
	.section	.rodata,"a",@progbits
	.p2align	6, 0x0
	.amdhsa_kernel _ZN7rocprim17ROCPRIM_400000_NS6detail17trampoline_kernelINS0_14default_configENS1_27scan_by_key_config_selectorIj11FixedVectorIiLj8EEEEZZNS1_16scan_by_key_implILNS1_25lookback_scan_determinismE0ELb0ES3_N6thrust23THRUST_200600_302600_NS6detail15normal_iteratorINSB_10device_ptrIjEEEENSD_INSE_IS6_EEEESI_S6_NSB_4plusIvEENSB_8equal_toIvEES6_EE10hipError_tPvRmT2_T3_T4_T5_mT6_T7_P12ihipStream_tbENKUlT_T0_E_clISt17integral_constantIbLb1EES12_IbLb0EEEEDaSY_SZ_EUlSY_E_NS1_11comp_targetILNS1_3genE10ELNS1_11target_archE1201ELNS1_3gpuE5ELNS1_3repE0EEENS1_30default_config_static_selectorELNS0_4arch9wavefront6targetE0EEEvT1_
		.amdhsa_group_segment_fixed_size 0
		.amdhsa_private_segment_fixed_size 0
		.amdhsa_kernarg_size 160
		.amdhsa_user_sgpr_count 2
		.amdhsa_user_sgpr_dispatch_ptr 0
		.amdhsa_user_sgpr_queue_ptr 0
		.amdhsa_user_sgpr_kernarg_segment_ptr 1
		.amdhsa_user_sgpr_dispatch_id 0
		.amdhsa_user_sgpr_kernarg_preload_length 0
		.amdhsa_user_sgpr_kernarg_preload_offset 0
		.amdhsa_user_sgpr_private_segment_size 0
		.amdhsa_wavefront_size32 1
		.amdhsa_uses_dynamic_stack 0
		.amdhsa_enable_private_segment 0
		.amdhsa_system_sgpr_workgroup_id_x 1
		.amdhsa_system_sgpr_workgroup_id_y 0
		.amdhsa_system_sgpr_workgroup_id_z 0
		.amdhsa_system_sgpr_workgroup_info 0
		.amdhsa_system_vgpr_workitem_id 0
		.amdhsa_next_free_vgpr 1
		.amdhsa_next_free_sgpr 1
		.amdhsa_named_barrier_count 0
		.amdhsa_reserve_vcc 0
		.amdhsa_float_round_mode_32 0
		.amdhsa_float_round_mode_16_64 0
		.amdhsa_float_denorm_mode_32 3
		.amdhsa_float_denorm_mode_16_64 3
		.amdhsa_fp16_overflow 0
		.amdhsa_memory_ordered 1
		.amdhsa_forward_progress 1
		.amdhsa_inst_pref_size 0
		.amdhsa_round_robin_scheduling 0
		.amdhsa_exception_fp_ieee_invalid_op 0
		.amdhsa_exception_fp_denorm_src 0
		.amdhsa_exception_fp_ieee_div_zero 0
		.amdhsa_exception_fp_ieee_overflow 0
		.amdhsa_exception_fp_ieee_underflow 0
		.amdhsa_exception_fp_ieee_inexact 0
		.amdhsa_exception_int_div_zero 0
	.end_amdhsa_kernel
	.section	.text._ZN7rocprim17ROCPRIM_400000_NS6detail17trampoline_kernelINS0_14default_configENS1_27scan_by_key_config_selectorIj11FixedVectorIiLj8EEEEZZNS1_16scan_by_key_implILNS1_25lookback_scan_determinismE0ELb0ES3_N6thrust23THRUST_200600_302600_NS6detail15normal_iteratorINSB_10device_ptrIjEEEENSD_INSE_IS6_EEEESI_S6_NSB_4plusIvEENSB_8equal_toIvEES6_EE10hipError_tPvRmT2_T3_T4_T5_mT6_T7_P12ihipStream_tbENKUlT_T0_E_clISt17integral_constantIbLb1EES12_IbLb0EEEEDaSY_SZ_EUlSY_E_NS1_11comp_targetILNS1_3genE10ELNS1_11target_archE1201ELNS1_3gpuE5ELNS1_3repE0EEENS1_30default_config_static_selectorELNS0_4arch9wavefront6targetE0EEEvT1_,"axG",@progbits,_ZN7rocprim17ROCPRIM_400000_NS6detail17trampoline_kernelINS0_14default_configENS1_27scan_by_key_config_selectorIj11FixedVectorIiLj8EEEEZZNS1_16scan_by_key_implILNS1_25lookback_scan_determinismE0ELb0ES3_N6thrust23THRUST_200600_302600_NS6detail15normal_iteratorINSB_10device_ptrIjEEEENSD_INSE_IS6_EEEESI_S6_NSB_4plusIvEENSB_8equal_toIvEES6_EE10hipError_tPvRmT2_T3_T4_T5_mT6_T7_P12ihipStream_tbENKUlT_T0_E_clISt17integral_constantIbLb1EES12_IbLb0EEEEDaSY_SZ_EUlSY_E_NS1_11comp_targetILNS1_3genE10ELNS1_11target_archE1201ELNS1_3gpuE5ELNS1_3repE0EEENS1_30default_config_static_selectorELNS0_4arch9wavefront6targetE0EEEvT1_,comdat
.Lfunc_end2138:
	.size	_ZN7rocprim17ROCPRIM_400000_NS6detail17trampoline_kernelINS0_14default_configENS1_27scan_by_key_config_selectorIj11FixedVectorIiLj8EEEEZZNS1_16scan_by_key_implILNS1_25lookback_scan_determinismE0ELb0ES3_N6thrust23THRUST_200600_302600_NS6detail15normal_iteratorINSB_10device_ptrIjEEEENSD_INSE_IS6_EEEESI_S6_NSB_4plusIvEENSB_8equal_toIvEES6_EE10hipError_tPvRmT2_T3_T4_T5_mT6_T7_P12ihipStream_tbENKUlT_T0_E_clISt17integral_constantIbLb1EES12_IbLb0EEEEDaSY_SZ_EUlSY_E_NS1_11comp_targetILNS1_3genE10ELNS1_11target_archE1201ELNS1_3gpuE5ELNS1_3repE0EEENS1_30default_config_static_selectorELNS0_4arch9wavefront6targetE0EEEvT1_, .Lfunc_end2138-_ZN7rocprim17ROCPRIM_400000_NS6detail17trampoline_kernelINS0_14default_configENS1_27scan_by_key_config_selectorIj11FixedVectorIiLj8EEEEZZNS1_16scan_by_key_implILNS1_25lookback_scan_determinismE0ELb0ES3_N6thrust23THRUST_200600_302600_NS6detail15normal_iteratorINSB_10device_ptrIjEEEENSD_INSE_IS6_EEEESI_S6_NSB_4plusIvEENSB_8equal_toIvEES6_EE10hipError_tPvRmT2_T3_T4_T5_mT6_T7_P12ihipStream_tbENKUlT_T0_E_clISt17integral_constantIbLb1EES12_IbLb0EEEEDaSY_SZ_EUlSY_E_NS1_11comp_targetILNS1_3genE10ELNS1_11target_archE1201ELNS1_3gpuE5ELNS1_3repE0EEENS1_30default_config_static_selectorELNS0_4arch9wavefront6targetE0EEEvT1_
                                        ; -- End function
	.set _ZN7rocprim17ROCPRIM_400000_NS6detail17trampoline_kernelINS0_14default_configENS1_27scan_by_key_config_selectorIj11FixedVectorIiLj8EEEEZZNS1_16scan_by_key_implILNS1_25lookback_scan_determinismE0ELb0ES3_N6thrust23THRUST_200600_302600_NS6detail15normal_iteratorINSB_10device_ptrIjEEEENSD_INSE_IS6_EEEESI_S6_NSB_4plusIvEENSB_8equal_toIvEES6_EE10hipError_tPvRmT2_T3_T4_T5_mT6_T7_P12ihipStream_tbENKUlT_T0_E_clISt17integral_constantIbLb1EES12_IbLb0EEEEDaSY_SZ_EUlSY_E_NS1_11comp_targetILNS1_3genE10ELNS1_11target_archE1201ELNS1_3gpuE5ELNS1_3repE0EEENS1_30default_config_static_selectorELNS0_4arch9wavefront6targetE0EEEvT1_.num_vgpr, 0
	.set _ZN7rocprim17ROCPRIM_400000_NS6detail17trampoline_kernelINS0_14default_configENS1_27scan_by_key_config_selectorIj11FixedVectorIiLj8EEEEZZNS1_16scan_by_key_implILNS1_25lookback_scan_determinismE0ELb0ES3_N6thrust23THRUST_200600_302600_NS6detail15normal_iteratorINSB_10device_ptrIjEEEENSD_INSE_IS6_EEEESI_S6_NSB_4plusIvEENSB_8equal_toIvEES6_EE10hipError_tPvRmT2_T3_T4_T5_mT6_T7_P12ihipStream_tbENKUlT_T0_E_clISt17integral_constantIbLb1EES12_IbLb0EEEEDaSY_SZ_EUlSY_E_NS1_11comp_targetILNS1_3genE10ELNS1_11target_archE1201ELNS1_3gpuE5ELNS1_3repE0EEENS1_30default_config_static_selectorELNS0_4arch9wavefront6targetE0EEEvT1_.num_agpr, 0
	.set _ZN7rocprim17ROCPRIM_400000_NS6detail17trampoline_kernelINS0_14default_configENS1_27scan_by_key_config_selectorIj11FixedVectorIiLj8EEEEZZNS1_16scan_by_key_implILNS1_25lookback_scan_determinismE0ELb0ES3_N6thrust23THRUST_200600_302600_NS6detail15normal_iteratorINSB_10device_ptrIjEEEENSD_INSE_IS6_EEEESI_S6_NSB_4plusIvEENSB_8equal_toIvEES6_EE10hipError_tPvRmT2_T3_T4_T5_mT6_T7_P12ihipStream_tbENKUlT_T0_E_clISt17integral_constantIbLb1EES12_IbLb0EEEEDaSY_SZ_EUlSY_E_NS1_11comp_targetILNS1_3genE10ELNS1_11target_archE1201ELNS1_3gpuE5ELNS1_3repE0EEENS1_30default_config_static_selectorELNS0_4arch9wavefront6targetE0EEEvT1_.numbered_sgpr, 0
	.set _ZN7rocprim17ROCPRIM_400000_NS6detail17trampoline_kernelINS0_14default_configENS1_27scan_by_key_config_selectorIj11FixedVectorIiLj8EEEEZZNS1_16scan_by_key_implILNS1_25lookback_scan_determinismE0ELb0ES3_N6thrust23THRUST_200600_302600_NS6detail15normal_iteratorINSB_10device_ptrIjEEEENSD_INSE_IS6_EEEESI_S6_NSB_4plusIvEENSB_8equal_toIvEES6_EE10hipError_tPvRmT2_T3_T4_T5_mT6_T7_P12ihipStream_tbENKUlT_T0_E_clISt17integral_constantIbLb1EES12_IbLb0EEEEDaSY_SZ_EUlSY_E_NS1_11comp_targetILNS1_3genE10ELNS1_11target_archE1201ELNS1_3gpuE5ELNS1_3repE0EEENS1_30default_config_static_selectorELNS0_4arch9wavefront6targetE0EEEvT1_.num_named_barrier, 0
	.set _ZN7rocprim17ROCPRIM_400000_NS6detail17trampoline_kernelINS0_14default_configENS1_27scan_by_key_config_selectorIj11FixedVectorIiLj8EEEEZZNS1_16scan_by_key_implILNS1_25lookback_scan_determinismE0ELb0ES3_N6thrust23THRUST_200600_302600_NS6detail15normal_iteratorINSB_10device_ptrIjEEEENSD_INSE_IS6_EEEESI_S6_NSB_4plusIvEENSB_8equal_toIvEES6_EE10hipError_tPvRmT2_T3_T4_T5_mT6_T7_P12ihipStream_tbENKUlT_T0_E_clISt17integral_constantIbLb1EES12_IbLb0EEEEDaSY_SZ_EUlSY_E_NS1_11comp_targetILNS1_3genE10ELNS1_11target_archE1201ELNS1_3gpuE5ELNS1_3repE0EEENS1_30default_config_static_selectorELNS0_4arch9wavefront6targetE0EEEvT1_.private_seg_size, 0
	.set _ZN7rocprim17ROCPRIM_400000_NS6detail17trampoline_kernelINS0_14default_configENS1_27scan_by_key_config_selectorIj11FixedVectorIiLj8EEEEZZNS1_16scan_by_key_implILNS1_25lookback_scan_determinismE0ELb0ES3_N6thrust23THRUST_200600_302600_NS6detail15normal_iteratorINSB_10device_ptrIjEEEENSD_INSE_IS6_EEEESI_S6_NSB_4plusIvEENSB_8equal_toIvEES6_EE10hipError_tPvRmT2_T3_T4_T5_mT6_T7_P12ihipStream_tbENKUlT_T0_E_clISt17integral_constantIbLb1EES12_IbLb0EEEEDaSY_SZ_EUlSY_E_NS1_11comp_targetILNS1_3genE10ELNS1_11target_archE1201ELNS1_3gpuE5ELNS1_3repE0EEENS1_30default_config_static_selectorELNS0_4arch9wavefront6targetE0EEEvT1_.uses_vcc, 0
	.set _ZN7rocprim17ROCPRIM_400000_NS6detail17trampoline_kernelINS0_14default_configENS1_27scan_by_key_config_selectorIj11FixedVectorIiLj8EEEEZZNS1_16scan_by_key_implILNS1_25lookback_scan_determinismE0ELb0ES3_N6thrust23THRUST_200600_302600_NS6detail15normal_iteratorINSB_10device_ptrIjEEEENSD_INSE_IS6_EEEESI_S6_NSB_4plusIvEENSB_8equal_toIvEES6_EE10hipError_tPvRmT2_T3_T4_T5_mT6_T7_P12ihipStream_tbENKUlT_T0_E_clISt17integral_constantIbLb1EES12_IbLb0EEEEDaSY_SZ_EUlSY_E_NS1_11comp_targetILNS1_3genE10ELNS1_11target_archE1201ELNS1_3gpuE5ELNS1_3repE0EEENS1_30default_config_static_selectorELNS0_4arch9wavefront6targetE0EEEvT1_.uses_flat_scratch, 0
	.set _ZN7rocprim17ROCPRIM_400000_NS6detail17trampoline_kernelINS0_14default_configENS1_27scan_by_key_config_selectorIj11FixedVectorIiLj8EEEEZZNS1_16scan_by_key_implILNS1_25lookback_scan_determinismE0ELb0ES3_N6thrust23THRUST_200600_302600_NS6detail15normal_iteratorINSB_10device_ptrIjEEEENSD_INSE_IS6_EEEESI_S6_NSB_4plusIvEENSB_8equal_toIvEES6_EE10hipError_tPvRmT2_T3_T4_T5_mT6_T7_P12ihipStream_tbENKUlT_T0_E_clISt17integral_constantIbLb1EES12_IbLb0EEEEDaSY_SZ_EUlSY_E_NS1_11comp_targetILNS1_3genE10ELNS1_11target_archE1201ELNS1_3gpuE5ELNS1_3repE0EEENS1_30default_config_static_selectorELNS0_4arch9wavefront6targetE0EEEvT1_.has_dyn_sized_stack, 0
	.set _ZN7rocprim17ROCPRIM_400000_NS6detail17trampoline_kernelINS0_14default_configENS1_27scan_by_key_config_selectorIj11FixedVectorIiLj8EEEEZZNS1_16scan_by_key_implILNS1_25lookback_scan_determinismE0ELb0ES3_N6thrust23THRUST_200600_302600_NS6detail15normal_iteratorINSB_10device_ptrIjEEEENSD_INSE_IS6_EEEESI_S6_NSB_4plusIvEENSB_8equal_toIvEES6_EE10hipError_tPvRmT2_T3_T4_T5_mT6_T7_P12ihipStream_tbENKUlT_T0_E_clISt17integral_constantIbLb1EES12_IbLb0EEEEDaSY_SZ_EUlSY_E_NS1_11comp_targetILNS1_3genE10ELNS1_11target_archE1201ELNS1_3gpuE5ELNS1_3repE0EEENS1_30default_config_static_selectorELNS0_4arch9wavefront6targetE0EEEvT1_.has_recursion, 0
	.set _ZN7rocprim17ROCPRIM_400000_NS6detail17trampoline_kernelINS0_14default_configENS1_27scan_by_key_config_selectorIj11FixedVectorIiLj8EEEEZZNS1_16scan_by_key_implILNS1_25lookback_scan_determinismE0ELb0ES3_N6thrust23THRUST_200600_302600_NS6detail15normal_iteratorINSB_10device_ptrIjEEEENSD_INSE_IS6_EEEESI_S6_NSB_4plusIvEENSB_8equal_toIvEES6_EE10hipError_tPvRmT2_T3_T4_T5_mT6_T7_P12ihipStream_tbENKUlT_T0_E_clISt17integral_constantIbLb1EES12_IbLb0EEEEDaSY_SZ_EUlSY_E_NS1_11comp_targetILNS1_3genE10ELNS1_11target_archE1201ELNS1_3gpuE5ELNS1_3repE0EEENS1_30default_config_static_selectorELNS0_4arch9wavefront6targetE0EEEvT1_.has_indirect_call, 0
	.section	.AMDGPU.csdata,"",@progbits
; Kernel info:
; codeLenInByte = 0
; TotalNumSgprs: 0
; NumVgprs: 0
; ScratchSize: 0
; MemoryBound: 0
; FloatMode: 240
; IeeeMode: 1
; LDSByteSize: 0 bytes/workgroup (compile time only)
; SGPRBlocks: 0
; VGPRBlocks: 0
; NumSGPRsForWavesPerEU: 1
; NumVGPRsForWavesPerEU: 1
; NamedBarCnt: 0
; Occupancy: 16
; WaveLimiterHint : 0
; COMPUTE_PGM_RSRC2:SCRATCH_EN: 0
; COMPUTE_PGM_RSRC2:USER_SGPR: 2
; COMPUTE_PGM_RSRC2:TRAP_HANDLER: 0
; COMPUTE_PGM_RSRC2:TGID_X_EN: 1
; COMPUTE_PGM_RSRC2:TGID_Y_EN: 0
; COMPUTE_PGM_RSRC2:TGID_Z_EN: 0
; COMPUTE_PGM_RSRC2:TIDIG_COMP_CNT: 0
	.section	.text._ZN7rocprim17ROCPRIM_400000_NS6detail17trampoline_kernelINS0_14default_configENS1_27scan_by_key_config_selectorIj11FixedVectorIiLj8EEEEZZNS1_16scan_by_key_implILNS1_25lookback_scan_determinismE0ELb0ES3_N6thrust23THRUST_200600_302600_NS6detail15normal_iteratorINSB_10device_ptrIjEEEENSD_INSE_IS6_EEEESI_S6_NSB_4plusIvEENSB_8equal_toIvEES6_EE10hipError_tPvRmT2_T3_T4_T5_mT6_T7_P12ihipStream_tbENKUlT_T0_E_clISt17integral_constantIbLb1EES12_IbLb0EEEEDaSY_SZ_EUlSY_E_NS1_11comp_targetILNS1_3genE5ELNS1_11target_archE942ELNS1_3gpuE9ELNS1_3repE0EEENS1_30default_config_static_selectorELNS0_4arch9wavefront6targetE0EEEvT1_,"axG",@progbits,_ZN7rocprim17ROCPRIM_400000_NS6detail17trampoline_kernelINS0_14default_configENS1_27scan_by_key_config_selectorIj11FixedVectorIiLj8EEEEZZNS1_16scan_by_key_implILNS1_25lookback_scan_determinismE0ELb0ES3_N6thrust23THRUST_200600_302600_NS6detail15normal_iteratorINSB_10device_ptrIjEEEENSD_INSE_IS6_EEEESI_S6_NSB_4plusIvEENSB_8equal_toIvEES6_EE10hipError_tPvRmT2_T3_T4_T5_mT6_T7_P12ihipStream_tbENKUlT_T0_E_clISt17integral_constantIbLb1EES12_IbLb0EEEEDaSY_SZ_EUlSY_E_NS1_11comp_targetILNS1_3genE5ELNS1_11target_archE942ELNS1_3gpuE9ELNS1_3repE0EEENS1_30default_config_static_selectorELNS0_4arch9wavefront6targetE0EEEvT1_,comdat
	.protected	_ZN7rocprim17ROCPRIM_400000_NS6detail17trampoline_kernelINS0_14default_configENS1_27scan_by_key_config_selectorIj11FixedVectorIiLj8EEEEZZNS1_16scan_by_key_implILNS1_25lookback_scan_determinismE0ELb0ES3_N6thrust23THRUST_200600_302600_NS6detail15normal_iteratorINSB_10device_ptrIjEEEENSD_INSE_IS6_EEEESI_S6_NSB_4plusIvEENSB_8equal_toIvEES6_EE10hipError_tPvRmT2_T3_T4_T5_mT6_T7_P12ihipStream_tbENKUlT_T0_E_clISt17integral_constantIbLb1EES12_IbLb0EEEEDaSY_SZ_EUlSY_E_NS1_11comp_targetILNS1_3genE5ELNS1_11target_archE942ELNS1_3gpuE9ELNS1_3repE0EEENS1_30default_config_static_selectorELNS0_4arch9wavefront6targetE0EEEvT1_ ; -- Begin function _ZN7rocprim17ROCPRIM_400000_NS6detail17trampoline_kernelINS0_14default_configENS1_27scan_by_key_config_selectorIj11FixedVectorIiLj8EEEEZZNS1_16scan_by_key_implILNS1_25lookback_scan_determinismE0ELb0ES3_N6thrust23THRUST_200600_302600_NS6detail15normal_iteratorINSB_10device_ptrIjEEEENSD_INSE_IS6_EEEESI_S6_NSB_4plusIvEENSB_8equal_toIvEES6_EE10hipError_tPvRmT2_T3_T4_T5_mT6_T7_P12ihipStream_tbENKUlT_T0_E_clISt17integral_constantIbLb1EES12_IbLb0EEEEDaSY_SZ_EUlSY_E_NS1_11comp_targetILNS1_3genE5ELNS1_11target_archE942ELNS1_3gpuE9ELNS1_3repE0EEENS1_30default_config_static_selectorELNS0_4arch9wavefront6targetE0EEEvT1_
	.globl	_ZN7rocprim17ROCPRIM_400000_NS6detail17trampoline_kernelINS0_14default_configENS1_27scan_by_key_config_selectorIj11FixedVectorIiLj8EEEEZZNS1_16scan_by_key_implILNS1_25lookback_scan_determinismE0ELb0ES3_N6thrust23THRUST_200600_302600_NS6detail15normal_iteratorINSB_10device_ptrIjEEEENSD_INSE_IS6_EEEESI_S6_NSB_4plusIvEENSB_8equal_toIvEES6_EE10hipError_tPvRmT2_T3_T4_T5_mT6_T7_P12ihipStream_tbENKUlT_T0_E_clISt17integral_constantIbLb1EES12_IbLb0EEEEDaSY_SZ_EUlSY_E_NS1_11comp_targetILNS1_3genE5ELNS1_11target_archE942ELNS1_3gpuE9ELNS1_3repE0EEENS1_30default_config_static_selectorELNS0_4arch9wavefront6targetE0EEEvT1_
	.p2align	8
	.type	_ZN7rocprim17ROCPRIM_400000_NS6detail17trampoline_kernelINS0_14default_configENS1_27scan_by_key_config_selectorIj11FixedVectorIiLj8EEEEZZNS1_16scan_by_key_implILNS1_25lookback_scan_determinismE0ELb0ES3_N6thrust23THRUST_200600_302600_NS6detail15normal_iteratorINSB_10device_ptrIjEEEENSD_INSE_IS6_EEEESI_S6_NSB_4plusIvEENSB_8equal_toIvEES6_EE10hipError_tPvRmT2_T3_T4_T5_mT6_T7_P12ihipStream_tbENKUlT_T0_E_clISt17integral_constantIbLb1EES12_IbLb0EEEEDaSY_SZ_EUlSY_E_NS1_11comp_targetILNS1_3genE5ELNS1_11target_archE942ELNS1_3gpuE9ELNS1_3repE0EEENS1_30default_config_static_selectorELNS0_4arch9wavefront6targetE0EEEvT1_,@function
_ZN7rocprim17ROCPRIM_400000_NS6detail17trampoline_kernelINS0_14default_configENS1_27scan_by_key_config_selectorIj11FixedVectorIiLj8EEEEZZNS1_16scan_by_key_implILNS1_25lookback_scan_determinismE0ELb0ES3_N6thrust23THRUST_200600_302600_NS6detail15normal_iteratorINSB_10device_ptrIjEEEENSD_INSE_IS6_EEEESI_S6_NSB_4plusIvEENSB_8equal_toIvEES6_EE10hipError_tPvRmT2_T3_T4_T5_mT6_T7_P12ihipStream_tbENKUlT_T0_E_clISt17integral_constantIbLb1EES12_IbLb0EEEEDaSY_SZ_EUlSY_E_NS1_11comp_targetILNS1_3genE5ELNS1_11target_archE942ELNS1_3gpuE9ELNS1_3repE0EEENS1_30default_config_static_selectorELNS0_4arch9wavefront6targetE0EEEvT1_: ; @_ZN7rocprim17ROCPRIM_400000_NS6detail17trampoline_kernelINS0_14default_configENS1_27scan_by_key_config_selectorIj11FixedVectorIiLj8EEEEZZNS1_16scan_by_key_implILNS1_25lookback_scan_determinismE0ELb0ES3_N6thrust23THRUST_200600_302600_NS6detail15normal_iteratorINSB_10device_ptrIjEEEENSD_INSE_IS6_EEEESI_S6_NSB_4plusIvEENSB_8equal_toIvEES6_EE10hipError_tPvRmT2_T3_T4_T5_mT6_T7_P12ihipStream_tbENKUlT_T0_E_clISt17integral_constantIbLb1EES12_IbLb0EEEEDaSY_SZ_EUlSY_E_NS1_11comp_targetILNS1_3genE5ELNS1_11target_archE942ELNS1_3gpuE9ELNS1_3repE0EEENS1_30default_config_static_selectorELNS0_4arch9wavefront6targetE0EEEvT1_
; %bb.0:
	.section	.rodata,"a",@progbits
	.p2align	6, 0x0
	.amdhsa_kernel _ZN7rocprim17ROCPRIM_400000_NS6detail17trampoline_kernelINS0_14default_configENS1_27scan_by_key_config_selectorIj11FixedVectorIiLj8EEEEZZNS1_16scan_by_key_implILNS1_25lookback_scan_determinismE0ELb0ES3_N6thrust23THRUST_200600_302600_NS6detail15normal_iteratorINSB_10device_ptrIjEEEENSD_INSE_IS6_EEEESI_S6_NSB_4plusIvEENSB_8equal_toIvEES6_EE10hipError_tPvRmT2_T3_T4_T5_mT6_T7_P12ihipStream_tbENKUlT_T0_E_clISt17integral_constantIbLb1EES12_IbLb0EEEEDaSY_SZ_EUlSY_E_NS1_11comp_targetILNS1_3genE5ELNS1_11target_archE942ELNS1_3gpuE9ELNS1_3repE0EEENS1_30default_config_static_selectorELNS0_4arch9wavefront6targetE0EEEvT1_
		.amdhsa_group_segment_fixed_size 0
		.amdhsa_private_segment_fixed_size 0
		.amdhsa_kernarg_size 160
		.amdhsa_user_sgpr_count 2
		.amdhsa_user_sgpr_dispatch_ptr 0
		.amdhsa_user_sgpr_queue_ptr 0
		.amdhsa_user_sgpr_kernarg_segment_ptr 1
		.amdhsa_user_sgpr_dispatch_id 0
		.amdhsa_user_sgpr_kernarg_preload_length 0
		.amdhsa_user_sgpr_kernarg_preload_offset 0
		.amdhsa_user_sgpr_private_segment_size 0
		.amdhsa_wavefront_size32 1
		.amdhsa_uses_dynamic_stack 0
		.amdhsa_enable_private_segment 0
		.amdhsa_system_sgpr_workgroup_id_x 1
		.amdhsa_system_sgpr_workgroup_id_y 0
		.amdhsa_system_sgpr_workgroup_id_z 0
		.amdhsa_system_sgpr_workgroup_info 0
		.amdhsa_system_vgpr_workitem_id 0
		.amdhsa_next_free_vgpr 1
		.amdhsa_next_free_sgpr 1
		.amdhsa_named_barrier_count 0
		.amdhsa_reserve_vcc 0
		.amdhsa_float_round_mode_32 0
		.amdhsa_float_round_mode_16_64 0
		.amdhsa_float_denorm_mode_32 3
		.amdhsa_float_denorm_mode_16_64 3
		.amdhsa_fp16_overflow 0
		.amdhsa_memory_ordered 1
		.amdhsa_forward_progress 1
		.amdhsa_inst_pref_size 0
		.amdhsa_round_robin_scheduling 0
		.amdhsa_exception_fp_ieee_invalid_op 0
		.amdhsa_exception_fp_denorm_src 0
		.amdhsa_exception_fp_ieee_div_zero 0
		.amdhsa_exception_fp_ieee_overflow 0
		.amdhsa_exception_fp_ieee_underflow 0
		.amdhsa_exception_fp_ieee_inexact 0
		.amdhsa_exception_int_div_zero 0
	.end_amdhsa_kernel
	.section	.text._ZN7rocprim17ROCPRIM_400000_NS6detail17trampoline_kernelINS0_14default_configENS1_27scan_by_key_config_selectorIj11FixedVectorIiLj8EEEEZZNS1_16scan_by_key_implILNS1_25lookback_scan_determinismE0ELb0ES3_N6thrust23THRUST_200600_302600_NS6detail15normal_iteratorINSB_10device_ptrIjEEEENSD_INSE_IS6_EEEESI_S6_NSB_4plusIvEENSB_8equal_toIvEES6_EE10hipError_tPvRmT2_T3_T4_T5_mT6_T7_P12ihipStream_tbENKUlT_T0_E_clISt17integral_constantIbLb1EES12_IbLb0EEEEDaSY_SZ_EUlSY_E_NS1_11comp_targetILNS1_3genE5ELNS1_11target_archE942ELNS1_3gpuE9ELNS1_3repE0EEENS1_30default_config_static_selectorELNS0_4arch9wavefront6targetE0EEEvT1_,"axG",@progbits,_ZN7rocprim17ROCPRIM_400000_NS6detail17trampoline_kernelINS0_14default_configENS1_27scan_by_key_config_selectorIj11FixedVectorIiLj8EEEEZZNS1_16scan_by_key_implILNS1_25lookback_scan_determinismE0ELb0ES3_N6thrust23THRUST_200600_302600_NS6detail15normal_iteratorINSB_10device_ptrIjEEEENSD_INSE_IS6_EEEESI_S6_NSB_4plusIvEENSB_8equal_toIvEES6_EE10hipError_tPvRmT2_T3_T4_T5_mT6_T7_P12ihipStream_tbENKUlT_T0_E_clISt17integral_constantIbLb1EES12_IbLb0EEEEDaSY_SZ_EUlSY_E_NS1_11comp_targetILNS1_3genE5ELNS1_11target_archE942ELNS1_3gpuE9ELNS1_3repE0EEENS1_30default_config_static_selectorELNS0_4arch9wavefront6targetE0EEEvT1_,comdat
.Lfunc_end2139:
	.size	_ZN7rocprim17ROCPRIM_400000_NS6detail17trampoline_kernelINS0_14default_configENS1_27scan_by_key_config_selectorIj11FixedVectorIiLj8EEEEZZNS1_16scan_by_key_implILNS1_25lookback_scan_determinismE0ELb0ES3_N6thrust23THRUST_200600_302600_NS6detail15normal_iteratorINSB_10device_ptrIjEEEENSD_INSE_IS6_EEEESI_S6_NSB_4plusIvEENSB_8equal_toIvEES6_EE10hipError_tPvRmT2_T3_T4_T5_mT6_T7_P12ihipStream_tbENKUlT_T0_E_clISt17integral_constantIbLb1EES12_IbLb0EEEEDaSY_SZ_EUlSY_E_NS1_11comp_targetILNS1_3genE5ELNS1_11target_archE942ELNS1_3gpuE9ELNS1_3repE0EEENS1_30default_config_static_selectorELNS0_4arch9wavefront6targetE0EEEvT1_, .Lfunc_end2139-_ZN7rocprim17ROCPRIM_400000_NS6detail17trampoline_kernelINS0_14default_configENS1_27scan_by_key_config_selectorIj11FixedVectorIiLj8EEEEZZNS1_16scan_by_key_implILNS1_25lookback_scan_determinismE0ELb0ES3_N6thrust23THRUST_200600_302600_NS6detail15normal_iteratorINSB_10device_ptrIjEEEENSD_INSE_IS6_EEEESI_S6_NSB_4plusIvEENSB_8equal_toIvEES6_EE10hipError_tPvRmT2_T3_T4_T5_mT6_T7_P12ihipStream_tbENKUlT_T0_E_clISt17integral_constantIbLb1EES12_IbLb0EEEEDaSY_SZ_EUlSY_E_NS1_11comp_targetILNS1_3genE5ELNS1_11target_archE942ELNS1_3gpuE9ELNS1_3repE0EEENS1_30default_config_static_selectorELNS0_4arch9wavefront6targetE0EEEvT1_
                                        ; -- End function
	.set _ZN7rocprim17ROCPRIM_400000_NS6detail17trampoline_kernelINS0_14default_configENS1_27scan_by_key_config_selectorIj11FixedVectorIiLj8EEEEZZNS1_16scan_by_key_implILNS1_25lookback_scan_determinismE0ELb0ES3_N6thrust23THRUST_200600_302600_NS6detail15normal_iteratorINSB_10device_ptrIjEEEENSD_INSE_IS6_EEEESI_S6_NSB_4plusIvEENSB_8equal_toIvEES6_EE10hipError_tPvRmT2_T3_T4_T5_mT6_T7_P12ihipStream_tbENKUlT_T0_E_clISt17integral_constantIbLb1EES12_IbLb0EEEEDaSY_SZ_EUlSY_E_NS1_11comp_targetILNS1_3genE5ELNS1_11target_archE942ELNS1_3gpuE9ELNS1_3repE0EEENS1_30default_config_static_selectorELNS0_4arch9wavefront6targetE0EEEvT1_.num_vgpr, 0
	.set _ZN7rocprim17ROCPRIM_400000_NS6detail17trampoline_kernelINS0_14default_configENS1_27scan_by_key_config_selectorIj11FixedVectorIiLj8EEEEZZNS1_16scan_by_key_implILNS1_25lookback_scan_determinismE0ELb0ES3_N6thrust23THRUST_200600_302600_NS6detail15normal_iteratorINSB_10device_ptrIjEEEENSD_INSE_IS6_EEEESI_S6_NSB_4plusIvEENSB_8equal_toIvEES6_EE10hipError_tPvRmT2_T3_T4_T5_mT6_T7_P12ihipStream_tbENKUlT_T0_E_clISt17integral_constantIbLb1EES12_IbLb0EEEEDaSY_SZ_EUlSY_E_NS1_11comp_targetILNS1_3genE5ELNS1_11target_archE942ELNS1_3gpuE9ELNS1_3repE0EEENS1_30default_config_static_selectorELNS0_4arch9wavefront6targetE0EEEvT1_.num_agpr, 0
	.set _ZN7rocprim17ROCPRIM_400000_NS6detail17trampoline_kernelINS0_14default_configENS1_27scan_by_key_config_selectorIj11FixedVectorIiLj8EEEEZZNS1_16scan_by_key_implILNS1_25lookback_scan_determinismE0ELb0ES3_N6thrust23THRUST_200600_302600_NS6detail15normal_iteratorINSB_10device_ptrIjEEEENSD_INSE_IS6_EEEESI_S6_NSB_4plusIvEENSB_8equal_toIvEES6_EE10hipError_tPvRmT2_T3_T4_T5_mT6_T7_P12ihipStream_tbENKUlT_T0_E_clISt17integral_constantIbLb1EES12_IbLb0EEEEDaSY_SZ_EUlSY_E_NS1_11comp_targetILNS1_3genE5ELNS1_11target_archE942ELNS1_3gpuE9ELNS1_3repE0EEENS1_30default_config_static_selectorELNS0_4arch9wavefront6targetE0EEEvT1_.numbered_sgpr, 0
	.set _ZN7rocprim17ROCPRIM_400000_NS6detail17trampoline_kernelINS0_14default_configENS1_27scan_by_key_config_selectorIj11FixedVectorIiLj8EEEEZZNS1_16scan_by_key_implILNS1_25lookback_scan_determinismE0ELb0ES3_N6thrust23THRUST_200600_302600_NS6detail15normal_iteratorINSB_10device_ptrIjEEEENSD_INSE_IS6_EEEESI_S6_NSB_4plusIvEENSB_8equal_toIvEES6_EE10hipError_tPvRmT2_T3_T4_T5_mT6_T7_P12ihipStream_tbENKUlT_T0_E_clISt17integral_constantIbLb1EES12_IbLb0EEEEDaSY_SZ_EUlSY_E_NS1_11comp_targetILNS1_3genE5ELNS1_11target_archE942ELNS1_3gpuE9ELNS1_3repE0EEENS1_30default_config_static_selectorELNS0_4arch9wavefront6targetE0EEEvT1_.num_named_barrier, 0
	.set _ZN7rocprim17ROCPRIM_400000_NS6detail17trampoline_kernelINS0_14default_configENS1_27scan_by_key_config_selectorIj11FixedVectorIiLj8EEEEZZNS1_16scan_by_key_implILNS1_25lookback_scan_determinismE0ELb0ES3_N6thrust23THRUST_200600_302600_NS6detail15normal_iteratorINSB_10device_ptrIjEEEENSD_INSE_IS6_EEEESI_S6_NSB_4plusIvEENSB_8equal_toIvEES6_EE10hipError_tPvRmT2_T3_T4_T5_mT6_T7_P12ihipStream_tbENKUlT_T0_E_clISt17integral_constantIbLb1EES12_IbLb0EEEEDaSY_SZ_EUlSY_E_NS1_11comp_targetILNS1_3genE5ELNS1_11target_archE942ELNS1_3gpuE9ELNS1_3repE0EEENS1_30default_config_static_selectorELNS0_4arch9wavefront6targetE0EEEvT1_.private_seg_size, 0
	.set _ZN7rocprim17ROCPRIM_400000_NS6detail17trampoline_kernelINS0_14default_configENS1_27scan_by_key_config_selectorIj11FixedVectorIiLj8EEEEZZNS1_16scan_by_key_implILNS1_25lookback_scan_determinismE0ELb0ES3_N6thrust23THRUST_200600_302600_NS6detail15normal_iteratorINSB_10device_ptrIjEEEENSD_INSE_IS6_EEEESI_S6_NSB_4plusIvEENSB_8equal_toIvEES6_EE10hipError_tPvRmT2_T3_T4_T5_mT6_T7_P12ihipStream_tbENKUlT_T0_E_clISt17integral_constantIbLb1EES12_IbLb0EEEEDaSY_SZ_EUlSY_E_NS1_11comp_targetILNS1_3genE5ELNS1_11target_archE942ELNS1_3gpuE9ELNS1_3repE0EEENS1_30default_config_static_selectorELNS0_4arch9wavefront6targetE0EEEvT1_.uses_vcc, 0
	.set _ZN7rocprim17ROCPRIM_400000_NS6detail17trampoline_kernelINS0_14default_configENS1_27scan_by_key_config_selectorIj11FixedVectorIiLj8EEEEZZNS1_16scan_by_key_implILNS1_25lookback_scan_determinismE0ELb0ES3_N6thrust23THRUST_200600_302600_NS6detail15normal_iteratorINSB_10device_ptrIjEEEENSD_INSE_IS6_EEEESI_S6_NSB_4plusIvEENSB_8equal_toIvEES6_EE10hipError_tPvRmT2_T3_T4_T5_mT6_T7_P12ihipStream_tbENKUlT_T0_E_clISt17integral_constantIbLb1EES12_IbLb0EEEEDaSY_SZ_EUlSY_E_NS1_11comp_targetILNS1_3genE5ELNS1_11target_archE942ELNS1_3gpuE9ELNS1_3repE0EEENS1_30default_config_static_selectorELNS0_4arch9wavefront6targetE0EEEvT1_.uses_flat_scratch, 0
	.set _ZN7rocprim17ROCPRIM_400000_NS6detail17trampoline_kernelINS0_14default_configENS1_27scan_by_key_config_selectorIj11FixedVectorIiLj8EEEEZZNS1_16scan_by_key_implILNS1_25lookback_scan_determinismE0ELb0ES3_N6thrust23THRUST_200600_302600_NS6detail15normal_iteratorINSB_10device_ptrIjEEEENSD_INSE_IS6_EEEESI_S6_NSB_4plusIvEENSB_8equal_toIvEES6_EE10hipError_tPvRmT2_T3_T4_T5_mT6_T7_P12ihipStream_tbENKUlT_T0_E_clISt17integral_constantIbLb1EES12_IbLb0EEEEDaSY_SZ_EUlSY_E_NS1_11comp_targetILNS1_3genE5ELNS1_11target_archE942ELNS1_3gpuE9ELNS1_3repE0EEENS1_30default_config_static_selectorELNS0_4arch9wavefront6targetE0EEEvT1_.has_dyn_sized_stack, 0
	.set _ZN7rocprim17ROCPRIM_400000_NS6detail17trampoline_kernelINS0_14default_configENS1_27scan_by_key_config_selectorIj11FixedVectorIiLj8EEEEZZNS1_16scan_by_key_implILNS1_25lookback_scan_determinismE0ELb0ES3_N6thrust23THRUST_200600_302600_NS6detail15normal_iteratorINSB_10device_ptrIjEEEENSD_INSE_IS6_EEEESI_S6_NSB_4plusIvEENSB_8equal_toIvEES6_EE10hipError_tPvRmT2_T3_T4_T5_mT6_T7_P12ihipStream_tbENKUlT_T0_E_clISt17integral_constantIbLb1EES12_IbLb0EEEEDaSY_SZ_EUlSY_E_NS1_11comp_targetILNS1_3genE5ELNS1_11target_archE942ELNS1_3gpuE9ELNS1_3repE0EEENS1_30default_config_static_selectorELNS0_4arch9wavefront6targetE0EEEvT1_.has_recursion, 0
	.set _ZN7rocprim17ROCPRIM_400000_NS6detail17trampoline_kernelINS0_14default_configENS1_27scan_by_key_config_selectorIj11FixedVectorIiLj8EEEEZZNS1_16scan_by_key_implILNS1_25lookback_scan_determinismE0ELb0ES3_N6thrust23THRUST_200600_302600_NS6detail15normal_iteratorINSB_10device_ptrIjEEEENSD_INSE_IS6_EEEESI_S6_NSB_4plusIvEENSB_8equal_toIvEES6_EE10hipError_tPvRmT2_T3_T4_T5_mT6_T7_P12ihipStream_tbENKUlT_T0_E_clISt17integral_constantIbLb1EES12_IbLb0EEEEDaSY_SZ_EUlSY_E_NS1_11comp_targetILNS1_3genE5ELNS1_11target_archE942ELNS1_3gpuE9ELNS1_3repE0EEENS1_30default_config_static_selectorELNS0_4arch9wavefront6targetE0EEEvT1_.has_indirect_call, 0
	.section	.AMDGPU.csdata,"",@progbits
; Kernel info:
; codeLenInByte = 0
; TotalNumSgprs: 0
; NumVgprs: 0
; ScratchSize: 0
; MemoryBound: 0
; FloatMode: 240
; IeeeMode: 1
; LDSByteSize: 0 bytes/workgroup (compile time only)
; SGPRBlocks: 0
; VGPRBlocks: 0
; NumSGPRsForWavesPerEU: 1
; NumVGPRsForWavesPerEU: 1
; NamedBarCnt: 0
; Occupancy: 16
; WaveLimiterHint : 0
; COMPUTE_PGM_RSRC2:SCRATCH_EN: 0
; COMPUTE_PGM_RSRC2:USER_SGPR: 2
; COMPUTE_PGM_RSRC2:TRAP_HANDLER: 0
; COMPUTE_PGM_RSRC2:TGID_X_EN: 1
; COMPUTE_PGM_RSRC2:TGID_Y_EN: 0
; COMPUTE_PGM_RSRC2:TGID_Z_EN: 0
; COMPUTE_PGM_RSRC2:TIDIG_COMP_CNT: 0
	.section	.text._ZN7rocprim17ROCPRIM_400000_NS6detail17trampoline_kernelINS0_14default_configENS1_27scan_by_key_config_selectorIj11FixedVectorIiLj8EEEEZZNS1_16scan_by_key_implILNS1_25lookback_scan_determinismE0ELb0ES3_N6thrust23THRUST_200600_302600_NS6detail15normal_iteratorINSB_10device_ptrIjEEEENSD_INSE_IS6_EEEESI_S6_NSB_4plusIvEENSB_8equal_toIvEES6_EE10hipError_tPvRmT2_T3_T4_T5_mT6_T7_P12ihipStream_tbENKUlT_T0_E_clISt17integral_constantIbLb1EES12_IbLb0EEEEDaSY_SZ_EUlSY_E_NS1_11comp_targetILNS1_3genE4ELNS1_11target_archE910ELNS1_3gpuE8ELNS1_3repE0EEENS1_30default_config_static_selectorELNS0_4arch9wavefront6targetE0EEEvT1_,"axG",@progbits,_ZN7rocprim17ROCPRIM_400000_NS6detail17trampoline_kernelINS0_14default_configENS1_27scan_by_key_config_selectorIj11FixedVectorIiLj8EEEEZZNS1_16scan_by_key_implILNS1_25lookback_scan_determinismE0ELb0ES3_N6thrust23THRUST_200600_302600_NS6detail15normal_iteratorINSB_10device_ptrIjEEEENSD_INSE_IS6_EEEESI_S6_NSB_4plusIvEENSB_8equal_toIvEES6_EE10hipError_tPvRmT2_T3_T4_T5_mT6_T7_P12ihipStream_tbENKUlT_T0_E_clISt17integral_constantIbLb1EES12_IbLb0EEEEDaSY_SZ_EUlSY_E_NS1_11comp_targetILNS1_3genE4ELNS1_11target_archE910ELNS1_3gpuE8ELNS1_3repE0EEENS1_30default_config_static_selectorELNS0_4arch9wavefront6targetE0EEEvT1_,comdat
	.protected	_ZN7rocprim17ROCPRIM_400000_NS6detail17trampoline_kernelINS0_14default_configENS1_27scan_by_key_config_selectorIj11FixedVectorIiLj8EEEEZZNS1_16scan_by_key_implILNS1_25lookback_scan_determinismE0ELb0ES3_N6thrust23THRUST_200600_302600_NS6detail15normal_iteratorINSB_10device_ptrIjEEEENSD_INSE_IS6_EEEESI_S6_NSB_4plusIvEENSB_8equal_toIvEES6_EE10hipError_tPvRmT2_T3_T4_T5_mT6_T7_P12ihipStream_tbENKUlT_T0_E_clISt17integral_constantIbLb1EES12_IbLb0EEEEDaSY_SZ_EUlSY_E_NS1_11comp_targetILNS1_3genE4ELNS1_11target_archE910ELNS1_3gpuE8ELNS1_3repE0EEENS1_30default_config_static_selectorELNS0_4arch9wavefront6targetE0EEEvT1_ ; -- Begin function _ZN7rocprim17ROCPRIM_400000_NS6detail17trampoline_kernelINS0_14default_configENS1_27scan_by_key_config_selectorIj11FixedVectorIiLj8EEEEZZNS1_16scan_by_key_implILNS1_25lookback_scan_determinismE0ELb0ES3_N6thrust23THRUST_200600_302600_NS6detail15normal_iteratorINSB_10device_ptrIjEEEENSD_INSE_IS6_EEEESI_S6_NSB_4plusIvEENSB_8equal_toIvEES6_EE10hipError_tPvRmT2_T3_T4_T5_mT6_T7_P12ihipStream_tbENKUlT_T0_E_clISt17integral_constantIbLb1EES12_IbLb0EEEEDaSY_SZ_EUlSY_E_NS1_11comp_targetILNS1_3genE4ELNS1_11target_archE910ELNS1_3gpuE8ELNS1_3repE0EEENS1_30default_config_static_selectorELNS0_4arch9wavefront6targetE0EEEvT1_
	.globl	_ZN7rocprim17ROCPRIM_400000_NS6detail17trampoline_kernelINS0_14default_configENS1_27scan_by_key_config_selectorIj11FixedVectorIiLj8EEEEZZNS1_16scan_by_key_implILNS1_25lookback_scan_determinismE0ELb0ES3_N6thrust23THRUST_200600_302600_NS6detail15normal_iteratorINSB_10device_ptrIjEEEENSD_INSE_IS6_EEEESI_S6_NSB_4plusIvEENSB_8equal_toIvEES6_EE10hipError_tPvRmT2_T3_T4_T5_mT6_T7_P12ihipStream_tbENKUlT_T0_E_clISt17integral_constantIbLb1EES12_IbLb0EEEEDaSY_SZ_EUlSY_E_NS1_11comp_targetILNS1_3genE4ELNS1_11target_archE910ELNS1_3gpuE8ELNS1_3repE0EEENS1_30default_config_static_selectorELNS0_4arch9wavefront6targetE0EEEvT1_
	.p2align	8
	.type	_ZN7rocprim17ROCPRIM_400000_NS6detail17trampoline_kernelINS0_14default_configENS1_27scan_by_key_config_selectorIj11FixedVectorIiLj8EEEEZZNS1_16scan_by_key_implILNS1_25lookback_scan_determinismE0ELb0ES3_N6thrust23THRUST_200600_302600_NS6detail15normal_iteratorINSB_10device_ptrIjEEEENSD_INSE_IS6_EEEESI_S6_NSB_4plusIvEENSB_8equal_toIvEES6_EE10hipError_tPvRmT2_T3_T4_T5_mT6_T7_P12ihipStream_tbENKUlT_T0_E_clISt17integral_constantIbLb1EES12_IbLb0EEEEDaSY_SZ_EUlSY_E_NS1_11comp_targetILNS1_3genE4ELNS1_11target_archE910ELNS1_3gpuE8ELNS1_3repE0EEENS1_30default_config_static_selectorELNS0_4arch9wavefront6targetE0EEEvT1_,@function
_ZN7rocprim17ROCPRIM_400000_NS6detail17trampoline_kernelINS0_14default_configENS1_27scan_by_key_config_selectorIj11FixedVectorIiLj8EEEEZZNS1_16scan_by_key_implILNS1_25lookback_scan_determinismE0ELb0ES3_N6thrust23THRUST_200600_302600_NS6detail15normal_iteratorINSB_10device_ptrIjEEEENSD_INSE_IS6_EEEESI_S6_NSB_4plusIvEENSB_8equal_toIvEES6_EE10hipError_tPvRmT2_T3_T4_T5_mT6_T7_P12ihipStream_tbENKUlT_T0_E_clISt17integral_constantIbLb1EES12_IbLb0EEEEDaSY_SZ_EUlSY_E_NS1_11comp_targetILNS1_3genE4ELNS1_11target_archE910ELNS1_3gpuE8ELNS1_3repE0EEENS1_30default_config_static_selectorELNS0_4arch9wavefront6targetE0EEEvT1_: ; @_ZN7rocprim17ROCPRIM_400000_NS6detail17trampoline_kernelINS0_14default_configENS1_27scan_by_key_config_selectorIj11FixedVectorIiLj8EEEEZZNS1_16scan_by_key_implILNS1_25lookback_scan_determinismE0ELb0ES3_N6thrust23THRUST_200600_302600_NS6detail15normal_iteratorINSB_10device_ptrIjEEEENSD_INSE_IS6_EEEESI_S6_NSB_4plusIvEENSB_8equal_toIvEES6_EE10hipError_tPvRmT2_T3_T4_T5_mT6_T7_P12ihipStream_tbENKUlT_T0_E_clISt17integral_constantIbLb1EES12_IbLb0EEEEDaSY_SZ_EUlSY_E_NS1_11comp_targetILNS1_3genE4ELNS1_11target_archE910ELNS1_3gpuE8ELNS1_3repE0EEENS1_30default_config_static_selectorELNS0_4arch9wavefront6targetE0EEEvT1_
; %bb.0:
	.section	.rodata,"a",@progbits
	.p2align	6, 0x0
	.amdhsa_kernel _ZN7rocprim17ROCPRIM_400000_NS6detail17trampoline_kernelINS0_14default_configENS1_27scan_by_key_config_selectorIj11FixedVectorIiLj8EEEEZZNS1_16scan_by_key_implILNS1_25lookback_scan_determinismE0ELb0ES3_N6thrust23THRUST_200600_302600_NS6detail15normal_iteratorINSB_10device_ptrIjEEEENSD_INSE_IS6_EEEESI_S6_NSB_4plusIvEENSB_8equal_toIvEES6_EE10hipError_tPvRmT2_T3_T4_T5_mT6_T7_P12ihipStream_tbENKUlT_T0_E_clISt17integral_constantIbLb1EES12_IbLb0EEEEDaSY_SZ_EUlSY_E_NS1_11comp_targetILNS1_3genE4ELNS1_11target_archE910ELNS1_3gpuE8ELNS1_3repE0EEENS1_30default_config_static_selectorELNS0_4arch9wavefront6targetE0EEEvT1_
		.amdhsa_group_segment_fixed_size 0
		.amdhsa_private_segment_fixed_size 0
		.amdhsa_kernarg_size 160
		.amdhsa_user_sgpr_count 2
		.amdhsa_user_sgpr_dispatch_ptr 0
		.amdhsa_user_sgpr_queue_ptr 0
		.amdhsa_user_sgpr_kernarg_segment_ptr 1
		.amdhsa_user_sgpr_dispatch_id 0
		.amdhsa_user_sgpr_kernarg_preload_length 0
		.amdhsa_user_sgpr_kernarg_preload_offset 0
		.amdhsa_user_sgpr_private_segment_size 0
		.amdhsa_wavefront_size32 1
		.amdhsa_uses_dynamic_stack 0
		.amdhsa_enable_private_segment 0
		.amdhsa_system_sgpr_workgroup_id_x 1
		.amdhsa_system_sgpr_workgroup_id_y 0
		.amdhsa_system_sgpr_workgroup_id_z 0
		.amdhsa_system_sgpr_workgroup_info 0
		.amdhsa_system_vgpr_workitem_id 0
		.amdhsa_next_free_vgpr 1
		.amdhsa_next_free_sgpr 1
		.amdhsa_named_barrier_count 0
		.amdhsa_reserve_vcc 0
		.amdhsa_float_round_mode_32 0
		.amdhsa_float_round_mode_16_64 0
		.amdhsa_float_denorm_mode_32 3
		.amdhsa_float_denorm_mode_16_64 3
		.amdhsa_fp16_overflow 0
		.amdhsa_memory_ordered 1
		.amdhsa_forward_progress 1
		.amdhsa_inst_pref_size 0
		.amdhsa_round_robin_scheduling 0
		.amdhsa_exception_fp_ieee_invalid_op 0
		.amdhsa_exception_fp_denorm_src 0
		.amdhsa_exception_fp_ieee_div_zero 0
		.amdhsa_exception_fp_ieee_overflow 0
		.amdhsa_exception_fp_ieee_underflow 0
		.amdhsa_exception_fp_ieee_inexact 0
		.amdhsa_exception_int_div_zero 0
	.end_amdhsa_kernel
	.section	.text._ZN7rocprim17ROCPRIM_400000_NS6detail17trampoline_kernelINS0_14default_configENS1_27scan_by_key_config_selectorIj11FixedVectorIiLj8EEEEZZNS1_16scan_by_key_implILNS1_25lookback_scan_determinismE0ELb0ES3_N6thrust23THRUST_200600_302600_NS6detail15normal_iteratorINSB_10device_ptrIjEEEENSD_INSE_IS6_EEEESI_S6_NSB_4plusIvEENSB_8equal_toIvEES6_EE10hipError_tPvRmT2_T3_T4_T5_mT6_T7_P12ihipStream_tbENKUlT_T0_E_clISt17integral_constantIbLb1EES12_IbLb0EEEEDaSY_SZ_EUlSY_E_NS1_11comp_targetILNS1_3genE4ELNS1_11target_archE910ELNS1_3gpuE8ELNS1_3repE0EEENS1_30default_config_static_selectorELNS0_4arch9wavefront6targetE0EEEvT1_,"axG",@progbits,_ZN7rocprim17ROCPRIM_400000_NS6detail17trampoline_kernelINS0_14default_configENS1_27scan_by_key_config_selectorIj11FixedVectorIiLj8EEEEZZNS1_16scan_by_key_implILNS1_25lookback_scan_determinismE0ELb0ES3_N6thrust23THRUST_200600_302600_NS6detail15normal_iteratorINSB_10device_ptrIjEEEENSD_INSE_IS6_EEEESI_S6_NSB_4plusIvEENSB_8equal_toIvEES6_EE10hipError_tPvRmT2_T3_T4_T5_mT6_T7_P12ihipStream_tbENKUlT_T0_E_clISt17integral_constantIbLb1EES12_IbLb0EEEEDaSY_SZ_EUlSY_E_NS1_11comp_targetILNS1_3genE4ELNS1_11target_archE910ELNS1_3gpuE8ELNS1_3repE0EEENS1_30default_config_static_selectorELNS0_4arch9wavefront6targetE0EEEvT1_,comdat
.Lfunc_end2140:
	.size	_ZN7rocprim17ROCPRIM_400000_NS6detail17trampoline_kernelINS0_14default_configENS1_27scan_by_key_config_selectorIj11FixedVectorIiLj8EEEEZZNS1_16scan_by_key_implILNS1_25lookback_scan_determinismE0ELb0ES3_N6thrust23THRUST_200600_302600_NS6detail15normal_iteratorINSB_10device_ptrIjEEEENSD_INSE_IS6_EEEESI_S6_NSB_4plusIvEENSB_8equal_toIvEES6_EE10hipError_tPvRmT2_T3_T4_T5_mT6_T7_P12ihipStream_tbENKUlT_T0_E_clISt17integral_constantIbLb1EES12_IbLb0EEEEDaSY_SZ_EUlSY_E_NS1_11comp_targetILNS1_3genE4ELNS1_11target_archE910ELNS1_3gpuE8ELNS1_3repE0EEENS1_30default_config_static_selectorELNS0_4arch9wavefront6targetE0EEEvT1_, .Lfunc_end2140-_ZN7rocprim17ROCPRIM_400000_NS6detail17trampoline_kernelINS0_14default_configENS1_27scan_by_key_config_selectorIj11FixedVectorIiLj8EEEEZZNS1_16scan_by_key_implILNS1_25lookback_scan_determinismE0ELb0ES3_N6thrust23THRUST_200600_302600_NS6detail15normal_iteratorINSB_10device_ptrIjEEEENSD_INSE_IS6_EEEESI_S6_NSB_4plusIvEENSB_8equal_toIvEES6_EE10hipError_tPvRmT2_T3_T4_T5_mT6_T7_P12ihipStream_tbENKUlT_T0_E_clISt17integral_constantIbLb1EES12_IbLb0EEEEDaSY_SZ_EUlSY_E_NS1_11comp_targetILNS1_3genE4ELNS1_11target_archE910ELNS1_3gpuE8ELNS1_3repE0EEENS1_30default_config_static_selectorELNS0_4arch9wavefront6targetE0EEEvT1_
                                        ; -- End function
	.set _ZN7rocprim17ROCPRIM_400000_NS6detail17trampoline_kernelINS0_14default_configENS1_27scan_by_key_config_selectorIj11FixedVectorIiLj8EEEEZZNS1_16scan_by_key_implILNS1_25lookback_scan_determinismE0ELb0ES3_N6thrust23THRUST_200600_302600_NS6detail15normal_iteratorINSB_10device_ptrIjEEEENSD_INSE_IS6_EEEESI_S6_NSB_4plusIvEENSB_8equal_toIvEES6_EE10hipError_tPvRmT2_T3_T4_T5_mT6_T7_P12ihipStream_tbENKUlT_T0_E_clISt17integral_constantIbLb1EES12_IbLb0EEEEDaSY_SZ_EUlSY_E_NS1_11comp_targetILNS1_3genE4ELNS1_11target_archE910ELNS1_3gpuE8ELNS1_3repE0EEENS1_30default_config_static_selectorELNS0_4arch9wavefront6targetE0EEEvT1_.num_vgpr, 0
	.set _ZN7rocprim17ROCPRIM_400000_NS6detail17trampoline_kernelINS0_14default_configENS1_27scan_by_key_config_selectorIj11FixedVectorIiLj8EEEEZZNS1_16scan_by_key_implILNS1_25lookback_scan_determinismE0ELb0ES3_N6thrust23THRUST_200600_302600_NS6detail15normal_iteratorINSB_10device_ptrIjEEEENSD_INSE_IS6_EEEESI_S6_NSB_4plusIvEENSB_8equal_toIvEES6_EE10hipError_tPvRmT2_T3_T4_T5_mT6_T7_P12ihipStream_tbENKUlT_T0_E_clISt17integral_constantIbLb1EES12_IbLb0EEEEDaSY_SZ_EUlSY_E_NS1_11comp_targetILNS1_3genE4ELNS1_11target_archE910ELNS1_3gpuE8ELNS1_3repE0EEENS1_30default_config_static_selectorELNS0_4arch9wavefront6targetE0EEEvT1_.num_agpr, 0
	.set _ZN7rocprim17ROCPRIM_400000_NS6detail17trampoline_kernelINS0_14default_configENS1_27scan_by_key_config_selectorIj11FixedVectorIiLj8EEEEZZNS1_16scan_by_key_implILNS1_25lookback_scan_determinismE0ELb0ES3_N6thrust23THRUST_200600_302600_NS6detail15normal_iteratorINSB_10device_ptrIjEEEENSD_INSE_IS6_EEEESI_S6_NSB_4plusIvEENSB_8equal_toIvEES6_EE10hipError_tPvRmT2_T3_T4_T5_mT6_T7_P12ihipStream_tbENKUlT_T0_E_clISt17integral_constantIbLb1EES12_IbLb0EEEEDaSY_SZ_EUlSY_E_NS1_11comp_targetILNS1_3genE4ELNS1_11target_archE910ELNS1_3gpuE8ELNS1_3repE0EEENS1_30default_config_static_selectorELNS0_4arch9wavefront6targetE0EEEvT1_.numbered_sgpr, 0
	.set _ZN7rocprim17ROCPRIM_400000_NS6detail17trampoline_kernelINS0_14default_configENS1_27scan_by_key_config_selectorIj11FixedVectorIiLj8EEEEZZNS1_16scan_by_key_implILNS1_25lookback_scan_determinismE0ELb0ES3_N6thrust23THRUST_200600_302600_NS6detail15normal_iteratorINSB_10device_ptrIjEEEENSD_INSE_IS6_EEEESI_S6_NSB_4plusIvEENSB_8equal_toIvEES6_EE10hipError_tPvRmT2_T3_T4_T5_mT6_T7_P12ihipStream_tbENKUlT_T0_E_clISt17integral_constantIbLb1EES12_IbLb0EEEEDaSY_SZ_EUlSY_E_NS1_11comp_targetILNS1_3genE4ELNS1_11target_archE910ELNS1_3gpuE8ELNS1_3repE0EEENS1_30default_config_static_selectorELNS0_4arch9wavefront6targetE0EEEvT1_.num_named_barrier, 0
	.set _ZN7rocprim17ROCPRIM_400000_NS6detail17trampoline_kernelINS0_14default_configENS1_27scan_by_key_config_selectorIj11FixedVectorIiLj8EEEEZZNS1_16scan_by_key_implILNS1_25lookback_scan_determinismE0ELb0ES3_N6thrust23THRUST_200600_302600_NS6detail15normal_iteratorINSB_10device_ptrIjEEEENSD_INSE_IS6_EEEESI_S6_NSB_4plusIvEENSB_8equal_toIvEES6_EE10hipError_tPvRmT2_T3_T4_T5_mT6_T7_P12ihipStream_tbENKUlT_T0_E_clISt17integral_constantIbLb1EES12_IbLb0EEEEDaSY_SZ_EUlSY_E_NS1_11comp_targetILNS1_3genE4ELNS1_11target_archE910ELNS1_3gpuE8ELNS1_3repE0EEENS1_30default_config_static_selectorELNS0_4arch9wavefront6targetE0EEEvT1_.private_seg_size, 0
	.set _ZN7rocprim17ROCPRIM_400000_NS6detail17trampoline_kernelINS0_14default_configENS1_27scan_by_key_config_selectorIj11FixedVectorIiLj8EEEEZZNS1_16scan_by_key_implILNS1_25lookback_scan_determinismE0ELb0ES3_N6thrust23THRUST_200600_302600_NS6detail15normal_iteratorINSB_10device_ptrIjEEEENSD_INSE_IS6_EEEESI_S6_NSB_4plusIvEENSB_8equal_toIvEES6_EE10hipError_tPvRmT2_T3_T4_T5_mT6_T7_P12ihipStream_tbENKUlT_T0_E_clISt17integral_constantIbLb1EES12_IbLb0EEEEDaSY_SZ_EUlSY_E_NS1_11comp_targetILNS1_3genE4ELNS1_11target_archE910ELNS1_3gpuE8ELNS1_3repE0EEENS1_30default_config_static_selectorELNS0_4arch9wavefront6targetE0EEEvT1_.uses_vcc, 0
	.set _ZN7rocprim17ROCPRIM_400000_NS6detail17trampoline_kernelINS0_14default_configENS1_27scan_by_key_config_selectorIj11FixedVectorIiLj8EEEEZZNS1_16scan_by_key_implILNS1_25lookback_scan_determinismE0ELb0ES3_N6thrust23THRUST_200600_302600_NS6detail15normal_iteratorINSB_10device_ptrIjEEEENSD_INSE_IS6_EEEESI_S6_NSB_4plusIvEENSB_8equal_toIvEES6_EE10hipError_tPvRmT2_T3_T4_T5_mT6_T7_P12ihipStream_tbENKUlT_T0_E_clISt17integral_constantIbLb1EES12_IbLb0EEEEDaSY_SZ_EUlSY_E_NS1_11comp_targetILNS1_3genE4ELNS1_11target_archE910ELNS1_3gpuE8ELNS1_3repE0EEENS1_30default_config_static_selectorELNS0_4arch9wavefront6targetE0EEEvT1_.uses_flat_scratch, 0
	.set _ZN7rocprim17ROCPRIM_400000_NS6detail17trampoline_kernelINS0_14default_configENS1_27scan_by_key_config_selectorIj11FixedVectorIiLj8EEEEZZNS1_16scan_by_key_implILNS1_25lookback_scan_determinismE0ELb0ES3_N6thrust23THRUST_200600_302600_NS6detail15normal_iteratorINSB_10device_ptrIjEEEENSD_INSE_IS6_EEEESI_S6_NSB_4plusIvEENSB_8equal_toIvEES6_EE10hipError_tPvRmT2_T3_T4_T5_mT6_T7_P12ihipStream_tbENKUlT_T0_E_clISt17integral_constantIbLb1EES12_IbLb0EEEEDaSY_SZ_EUlSY_E_NS1_11comp_targetILNS1_3genE4ELNS1_11target_archE910ELNS1_3gpuE8ELNS1_3repE0EEENS1_30default_config_static_selectorELNS0_4arch9wavefront6targetE0EEEvT1_.has_dyn_sized_stack, 0
	.set _ZN7rocprim17ROCPRIM_400000_NS6detail17trampoline_kernelINS0_14default_configENS1_27scan_by_key_config_selectorIj11FixedVectorIiLj8EEEEZZNS1_16scan_by_key_implILNS1_25lookback_scan_determinismE0ELb0ES3_N6thrust23THRUST_200600_302600_NS6detail15normal_iteratorINSB_10device_ptrIjEEEENSD_INSE_IS6_EEEESI_S6_NSB_4plusIvEENSB_8equal_toIvEES6_EE10hipError_tPvRmT2_T3_T4_T5_mT6_T7_P12ihipStream_tbENKUlT_T0_E_clISt17integral_constantIbLb1EES12_IbLb0EEEEDaSY_SZ_EUlSY_E_NS1_11comp_targetILNS1_3genE4ELNS1_11target_archE910ELNS1_3gpuE8ELNS1_3repE0EEENS1_30default_config_static_selectorELNS0_4arch9wavefront6targetE0EEEvT1_.has_recursion, 0
	.set _ZN7rocprim17ROCPRIM_400000_NS6detail17trampoline_kernelINS0_14default_configENS1_27scan_by_key_config_selectorIj11FixedVectorIiLj8EEEEZZNS1_16scan_by_key_implILNS1_25lookback_scan_determinismE0ELb0ES3_N6thrust23THRUST_200600_302600_NS6detail15normal_iteratorINSB_10device_ptrIjEEEENSD_INSE_IS6_EEEESI_S6_NSB_4plusIvEENSB_8equal_toIvEES6_EE10hipError_tPvRmT2_T3_T4_T5_mT6_T7_P12ihipStream_tbENKUlT_T0_E_clISt17integral_constantIbLb1EES12_IbLb0EEEEDaSY_SZ_EUlSY_E_NS1_11comp_targetILNS1_3genE4ELNS1_11target_archE910ELNS1_3gpuE8ELNS1_3repE0EEENS1_30default_config_static_selectorELNS0_4arch9wavefront6targetE0EEEvT1_.has_indirect_call, 0
	.section	.AMDGPU.csdata,"",@progbits
; Kernel info:
; codeLenInByte = 0
; TotalNumSgprs: 0
; NumVgprs: 0
; ScratchSize: 0
; MemoryBound: 0
; FloatMode: 240
; IeeeMode: 1
; LDSByteSize: 0 bytes/workgroup (compile time only)
; SGPRBlocks: 0
; VGPRBlocks: 0
; NumSGPRsForWavesPerEU: 1
; NumVGPRsForWavesPerEU: 1
; NamedBarCnt: 0
; Occupancy: 16
; WaveLimiterHint : 0
; COMPUTE_PGM_RSRC2:SCRATCH_EN: 0
; COMPUTE_PGM_RSRC2:USER_SGPR: 2
; COMPUTE_PGM_RSRC2:TRAP_HANDLER: 0
; COMPUTE_PGM_RSRC2:TGID_X_EN: 1
; COMPUTE_PGM_RSRC2:TGID_Y_EN: 0
; COMPUTE_PGM_RSRC2:TGID_Z_EN: 0
; COMPUTE_PGM_RSRC2:TIDIG_COMP_CNT: 0
	.section	.text._ZN7rocprim17ROCPRIM_400000_NS6detail17trampoline_kernelINS0_14default_configENS1_27scan_by_key_config_selectorIj11FixedVectorIiLj8EEEEZZNS1_16scan_by_key_implILNS1_25lookback_scan_determinismE0ELb0ES3_N6thrust23THRUST_200600_302600_NS6detail15normal_iteratorINSB_10device_ptrIjEEEENSD_INSE_IS6_EEEESI_S6_NSB_4plusIvEENSB_8equal_toIvEES6_EE10hipError_tPvRmT2_T3_T4_T5_mT6_T7_P12ihipStream_tbENKUlT_T0_E_clISt17integral_constantIbLb1EES12_IbLb0EEEEDaSY_SZ_EUlSY_E_NS1_11comp_targetILNS1_3genE3ELNS1_11target_archE908ELNS1_3gpuE7ELNS1_3repE0EEENS1_30default_config_static_selectorELNS0_4arch9wavefront6targetE0EEEvT1_,"axG",@progbits,_ZN7rocprim17ROCPRIM_400000_NS6detail17trampoline_kernelINS0_14default_configENS1_27scan_by_key_config_selectorIj11FixedVectorIiLj8EEEEZZNS1_16scan_by_key_implILNS1_25lookback_scan_determinismE0ELb0ES3_N6thrust23THRUST_200600_302600_NS6detail15normal_iteratorINSB_10device_ptrIjEEEENSD_INSE_IS6_EEEESI_S6_NSB_4plusIvEENSB_8equal_toIvEES6_EE10hipError_tPvRmT2_T3_T4_T5_mT6_T7_P12ihipStream_tbENKUlT_T0_E_clISt17integral_constantIbLb1EES12_IbLb0EEEEDaSY_SZ_EUlSY_E_NS1_11comp_targetILNS1_3genE3ELNS1_11target_archE908ELNS1_3gpuE7ELNS1_3repE0EEENS1_30default_config_static_selectorELNS0_4arch9wavefront6targetE0EEEvT1_,comdat
	.protected	_ZN7rocprim17ROCPRIM_400000_NS6detail17trampoline_kernelINS0_14default_configENS1_27scan_by_key_config_selectorIj11FixedVectorIiLj8EEEEZZNS1_16scan_by_key_implILNS1_25lookback_scan_determinismE0ELb0ES3_N6thrust23THRUST_200600_302600_NS6detail15normal_iteratorINSB_10device_ptrIjEEEENSD_INSE_IS6_EEEESI_S6_NSB_4plusIvEENSB_8equal_toIvEES6_EE10hipError_tPvRmT2_T3_T4_T5_mT6_T7_P12ihipStream_tbENKUlT_T0_E_clISt17integral_constantIbLb1EES12_IbLb0EEEEDaSY_SZ_EUlSY_E_NS1_11comp_targetILNS1_3genE3ELNS1_11target_archE908ELNS1_3gpuE7ELNS1_3repE0EEENS1_30default_config_static_selectorELNS0_4arch9wavefront6targetE0EEEvT1_ ; -- Begin function _ZN7rocprim17ROCPRIM_400000_NS6detail17trampoline_kernelINS0_14default_configENS1_27scan_by_key_config_selectorIj11FixedVectorIiLj8EEEEZZNS1_16scan_by_key_implILNS1_25lookback_scan_determinismE0ELb0ES3_N6thrust23THRUST_200600_302600_NS6detail15normal_iteratorINSB_10device_ptrIjEEEENSD_INSE_IS6_EEEESI_S6_NSB_4plusIvEENSB_8equal_toIvEES6_EE10hipError_tPvRmT2_T3_T4_T5_mT6_T7_P12ihipStream_tbENKUlT_T0_E_clISt17integral_constantIbLb1EES12_IbLb0EEEEDaSY_SZ_EUlSY_E_NS1_11comp_targetILNS1_3genE3ELNS1_11target_archE908ELNS1_3gpuE7ELNS1_3repE0EEENS1_30default_config_static_selectorELNS0_4arch9wavefront6targetE0EEEvT1_
	.globl	_ZN7rocprim17ROCPRIM_400000_NS6detail17trampoline_kernelINS0_14default_configENS1_27scan_by_key_config_selectorIj11FixedVectorIiLj8EEEEZZNS1_16scan_by_key_implILNS1_25lookback_scan_determinismE0ELb0ES3_N6thrust23THRUST_200600_302600_NS6detail15normal_iteratorINSB_10device_ptrIjEEEENSD_INSE_IS6_EEEESI_S6_NSB_4plusIvEENSB_8equal_toIvEES6_EE10hipError_tPvRmT2_T3_T4_T5_mT6_T7_P12ihipStream_tbENKUlT_T0_E_clISt17integral_constantIbLb1EES12_IbLb0EEEEDaSY_SZ_EUlSY_E_NS1_11comp_targetILNS1_3genE3ELNS1_11target_archE908ELNS1_3gpuE7ELNS1_3repE0EEENS1_30default_config_static_selectorELNS0_4arch9wavefront6targetE0EEEvT1_
	.p2align	8
	.type	_ZN7rocprim17ROCPRIM_400000_NS6detail17trampoline_kernelINS0_14default_configENS1_27scan_by_key_config_selectorIj11FixedVectorIiLj8EEEEZZNS1_16scan_by_key_implILNS1_25lookback_scan_determinismE0ELb0ES3_N6thrust23THRUST_200600_302600_NS6detail15normal_iteratorINSB_10device_ptrIjEEEENSD_INSE_IS6_EEEESI_S6_NSB_4plusIvEENSB_8equal_toIvEES6_EE10hipError_tPvRmT2_T3_T4_T5_mT6_T7_P12ihipStream_tbENKUlT_T0_E_clISt17integral_constantIbLb1EES12_IbLb0EEEEDaSY_SZ_EUlSY_E_NS1_11comp_targetILNS1_3genE3ELNS1_11target_archE908ELNS1_3gpuE7ELNS1_3repE0EEENS1_30default_config_static_selectorELNS0_4arch9wavefront6targetE0EEEvT1_,@function
_ZN7rocprim17ROCPRIM_400000_NS6detail17trampoline_kernelINS0_14default_configENS1_27scan_by_key_config_selectorIj11FixedVectorIiLj8EEEEZZNS1_16scan_by_key_implILNS1_25lookback_scan_determinismE0ELb0ES3_N6thrust23THRUST_200600_302600_NS6detail15normal_iteratorINSB_10device_ptrIjEEEENSD_INSE_IS6_EEEESI_S6_NSB_4plusIvEENSB_8equal_toIvEES6_EE10hipError_tPvRmT2_T3_T4_T5_mT6_T7_P12ihipStream_tbENKUlT_T0_E_clISt17integral_constantIbLb1EES12_IbLb0EEEEDaSY_SZ_EUlSY_E_NS1_11comp_targetILNS1_3genE3ELNS1_11target_archE908ELNS1_3gpuE7ELNS1_3repE0EEENS1_30default_config_static_selectorELNS0_4arch9wavefront6targetE0EEEvT1_: ; @_ZN7rocprim17ROCPRIM_400000_NS6detail17trampoline_kernelINS0_14default_configENS1_27scan_by_key_config_selectorIj11FixedVectorIiLj8EEEEZZNS1_16scan_by_key_implILNS1_25lookback_scan_determinismE0ELb0ES3_N6thrust23THRUST_200600_302600_NS6detail15normal_iteratorINSB_10device_ptrIjEEEENSD_INSE_IS6_EEEESI_S6_NSB_4plusIvEENSB_8equal_toIvEES6_EE10hipError_tPvRmT2_T3_T4_T5_mT6_T7_P12ihipStream_tbENKUlT_T0_E_clISt17integral_constantIbLb1EES12_IbLb0EEEEDaSY_SZ_EUlSY_E_NS1_11comp_targetILNS1_3genE3ELNS1_11target_archE908ELNS1_3gpuE7ELNS1_3repE0EEENS1_30default_config_static_selectorELNS0_4arch9wavefront6targetE0EEEvT1_
; %bb.0:
	.section	.rodata,"a",@progbits
	.p2align	6, 0x0
	.amdhsa_kernel _ZN7rocprim17ROCPRIM_400000_NS6detail17trampoline_kernelINS0_14default_configENS1_27scan_by_key_config_selectorIj11FixedVectorIiLj8EEEEZZNS1_16scan_by_key_implILNS1_25lookback_scan_determinismE0ELb0ES3_N6thrust23THRUST_200600_302600_NS6detail15normal_iteratorINSB_10device_ptrIjEEEENSD_INSE_IS6_EEEESI_S6_NSB_4plusIvEENSB_8equal_toIvEES6_EE10hipError_tPvRmT2_T3_T4_T5_mT6_T7_P12ihipStream_tbENKUlT_T0_E_clISt17integral_constantIbLb1EES12_IbLb0EEEEDaSY_SZ_EUlSY_E_NS1_11comp_targetILNS1_3genE3ELNS1_11target_archE908ELNS1_3gpuE7ELNS1_3repE0EEENS1_30default_config_static_selectorELNS0_4arch9wavefront6targetE0EEEvT1_
		.amdhsa_group_segment_fixed_size 0
		.amdhsa_private_segment_fixed_size 0
		.amdhsa_kernarg_size 160
		.amdhsa_user_sgpr_count 2
		.amdhsa_user_sgpr_dispatch_ptr 0
		.amdhsa_user_sgpr_queue_ptr 0
		.amdhsa_user_sgpr_kernarg_segment_ptr 1
		.amdhsa_user_sgpr_dispatch_id 0
		.amdhsa_user_sgpr_kernarg_preload_length 0
		.amdhsa_user_sgpr_kernarg_preload_offset 0
		.amdhsa_user_sgpr_private_segment_size 0
		.amdhsa_wavefront_size32 1
		.amdhsa_uses_dynamic_stack 0
		.amdhsa_enable_private_segment 0
		.amdhsa_system_sgpr_workgroup_id_x 1
		.amdhsa_system_sgpr_workgroup_id_y 0
		.amdhsa_system_sgpr_workgroup_id_z 0
		.amdhsa_system_sgpr_workgroup_info 0
		.amdhsa_system_vgpr_workitem_id 0
		.amdhsa_next_free_vgpr 1
		.amdhsa_next_free_sgpr 1
		.amdhsa_named_barrier_count 0
		.amdhsa_reserve_vcc 0
		.amdhsa_float_round_mode_32 0
		.amdhsa_float_round_mode_16_64 0
		.amdhsa_float_denorm_mode_32 3
		.amdhsa_float_denorm_mode_16_64 3
		.amdhsa_fp16_overflow 0
		.amdhsa_memory_ordered 1
		.amdhsa_forward_progress 1
		.amdhsa_inst_pref_size 0
		.amdhsa_round_robin_scheduling 0
		.amdhsa_exception_fp_ieee_invalid_op 0
		.amdhsa_exception_fp_denorm_src 0
		.amdhsa_exception_fp_ieee_div_zero 0
		.amdhsa_exception_fp_ieee_overflow 0
		.amdhsa_exception_fp_ieee_underflow 0
		.amdhsa_exception_fp_ieee_inexact 0
		.amdhsa_exception_int_div_zero 0
	.end_amdhsa_kernel
	.section	.text._ZN7rocprim17ROCPRIM_400000_NS6detail17trampoline_kernelINS0_14default_configENS1_27scan_by_key_config_selectorIj11FixedVectorIiLj8EEEEZZNS1_16scan_by_key_implILNS1_25lookback_scan_determinismE0ELb0ES3_N6thrust23THRUST_200600_302600_NS6detail15normal_iteratorINSB_10device_ptrIjEEEENSD_INSE_IS6_EEEESI_S6_NSB_4plusIvEENSB_8equal_toIvEES6_EE10hipError_tPvRmT2_T3_T4_T5_mT6_T7_P12ihipStream_tbENKUlT_T0_E_clISt17integral_constantIbLb1EES12_IbLb0EEEEDaSY_SZ_EUlSY_E_NS1_11comp_targetILNS1_3genE3ELNS1_11target_archE908ELNS1_3gpuE7ELNS1_3repE0EEENS1_30default_config_static_selectorELNS0_4arch9wavefront6targetE0EEEvT1_,"axG",@progbits,_ZN7rocprim17ROCPRIM_400000_NS6detail17trampoline_kernelINS0_14default_configENS1_27scan_by_key_config_selectorIj11FixedVectorIiLj8EEEEZZNS1_16scan_by_key_implILNS1_25lookback_scan_determinismE0ELb0ES3_N6thrust23THRUST_200600_302600_NS6detail15normal_iteratorINSB_10device_ptrIjEEEENSD_INSE_IS6_EEEESI_S6_NSB_4plusIvEENSB_8equal_toIvEES6_EE10hipError_tPvRmT2_T3_T4_T5_mT6_T7_P12ihipStream_tbENKUlT_T0_E_clISt17integral_constantIbLb1EES12_IbLb0EEEEDaSY_SZ_EUlSY_E_NS1_11comp_targetILNS1_3genE3ELNS1_11target_archE908ELNS1_3gpuE7ELNS1_3repE0EEENS1_30default_config_static_selectorELNS0_4arch9wavefront6targetE0EEEvT1_,comdat
.Lfunc_end2141:
	.size	_ZN7rocprim17ROCPRIM_400000_NS6detail17trampoline_kernelINS0_14default_configENS1_27scan_by_key_config_selectorIj11FixedVectorIiLj8EEEEZZNS1_16scan_by_key_implILNS1_25lookback_scan_determinismE0ELb0ES3_N6thrust23THRUST_200600_302600_NS6detail15normal_iteratorINSB_10device_ptrIjEEEENSD_INSE_IS6_EEEESI_S6_NSB_4plusIvEENSB_8equal_toIvEES6_EE10hipError_tPvRmT2_T3_T4_T5_mT6_T7_P12ihipStream_tbENKUlT_T0_E_clISt17integral_constantIbLb1EES12_IbLb0EEEEDaSY_SZ_EUlSY_E_NS1_11comp_targetILNS1_3genE3ELNS1_11target_archE908ELNS1_3gpuE7ELNS1_3repE0EEENS1_30default_config_static_selectorELNS0_4arch9wavefront6targetE0EEEvT1_, .Lfunc_end2141-_ZN7rocprim17ROCPRIM_400000_NS6detail17trampoline_kernelINS0_14default_configENS1_27scan_by_key_config_selectorIj11FixedVectorIiLj8EEEEZZNS1_16scan_by_key_implILNS1_25lookback_scan_determinismE0ELb0ES3_N6thrust23THRUST_200600_302600_NS6detail15normal_iteratorINSB_10device_ptrIjEEEENSD_INSE_IS6_EEEESI_S6_NSB_4plusIvEENSB_8equal_toIvEES6_EE10hipError_tPvRmT2_T3_T4_T5_mT6_T7_P12ihipStream_tbENKUlT_T0_E_clISt17integral_constantIbLb1EES12_IbLb0EEEEDaSY_SZ_EUlSY_E_NS1_11comp_targetILNS1_3genE3ELNS1_11target_archE908ELNS1_3gpuE7ELNS1_3repE0EEENS1_30default_config_static_selectorELNS0_4arch9wavefront6targetE0EEEvT1_
                                        ; -- End function
	.set _ZN7rocprim17ROCPRIM_400000_NS6detail17trampoline_kernelINS0_14default_configENS1_27scan_by_key_config_selectorIj11FixedVectorIiLj8EEEEZZNS1_16scan_by_key_implILNS1_25lookback_scan_determinismE0ELb0ES3_N6thrust23THRUST_200600_302600_NS6detail15normal_iteratorINSB_10device_ptrIjEEEENSD_INSE_IS6_EEEESI_S6_NSB_4plusIvEENSB_8equal_toIvEES6_EE10hipError_tPvRmT2_T3_T4_T5_mT6_T7_P12ihipStream_tbENKUlT_T0_E_clISt17integral_constantIbLb1EES12_IbLb0EEEEDaSY_SZ_EUlSY_E_NS1_11comp_targetILNS1_3genE3ELNS1_11target_archE908ELNS1_3gpuE7ELNS1_3repE0EEENS1_30default_config_static_selectorELNS0_4arch9wavefront6targetE0EEEvT1_.num_vgpr, 0
	.set _ZN7rocprim17ROCPRIM_400000_NS6detail17trampoline_kernelINS0_14default_configENS1_27scan_by_key_config_selectorIj11FixedVectorIiLj8EEEEZZNS1_16scan_by_key_implILNS1_25lookback_scan_determinismE0ELb0ES3_N6thrust23THRUST_200600_302600_NS6detail15normal_iteratorINSB_10device_ptrIjEEEENSD_INSE_IS6_EEEESI_S6_NSB_4plusIvEENSB_8equal_toIvEES6_EE10hipError_tPvRmT2_T3_T4_T5_mT6_T7_P12ihipStream_tbENKUlT_T0_E_clISt17integral_constantIbLb1EES12_IbLb0EEEEDaSY_SZ_EUlSY_E_NS1_11comp_targetILNS1_3genE3ELNS1_11target_archE908ELNS1_3gpuE7ELNS1_3repE0EEENS1_30default_config_static_selectorELNS0_4arch9wavefront6targetE0EEEvT1_.num_agpr, 0
	.set _ZN7rocprim17ROCPRIM_400000_NS6detail17trampoline_kernelINS0_14default_configENS1_27scan_by_key_config_selectorIj11FixedVectorIiLj8EEEEZZNS1_16scan_by_key_implILNS1_25lookback_scan_determinismE0ELb0ES3_N6thrust23THRUST_200600_302600_NS6detail15normal_iteratorINSB_10device_ptrIjEEEENSD_INSE_IS6_EEEESI_S6_NSB_4plusIvEENSB_8equal_toIvEES6_EE10hipError_tPvRmT2_T3_T4_T5_mT6_T7_P12ihipStream_tbENKUlT_T0_E_clISt17integral_constantIbLb1EES12_IbLb0EEEEDaSY_SZ_EUlSY_E_NS1_11comp_targetILNS1_3genE3ELNS1_11target_archE908ELNS1_3gpuE7ELNS1_3repE0EEENS1_30default_config_static_selectorELNS0_4arch9wavefront6targetE0EEEvT1_.numbered_sgpr, 0
	.set _ZN7rocprim17ROCPRIM_400000_NS6detail17trampoline_kernelINS0_14default_configENS1_27scan_by_key_config_selectorIj11FixedVectorIiLj8EEEEZZNS1_16scan_by_key_implILNS1_25lookback_scan_determinismE0ELb0ES3_N6thrust23THRUST_200600_302600_NS6detail15normal_iteratorINSB_10device_ptrIjEEEENSD_INSE_IS6_EEEESI_S6_NSB_4plusIvEENSB_8equal_toIvEES6_EE10hipError_tPvRmT2_T3_T4_T5_mT6_T7_P12ihipStream_tbENKUlT_T0_E_clISt17integral_constantIbLb1EES12_IbLb0EEEEDaSY_SZ_EUlSY_E_NS1_11comp_targetILNS1_3genE3ELNS1_11target_archE908ELNS1_3gpuE7ELNS1_3repE0EEENS1_30default_config_static_selectorELNS0_4arch9wavefront6targetE0EEEvT1_.num_named_barrier, 0
	.set _ZN7rocprim17ROCPRIM_400000_NS6detail17trampoline_kernelINS0_14default_configENS1_27scan_by_key_config_selectorIj11FixedVectorIiLj8EEEEZZNS1_16scan_by_key_implILNS1_25lookback_scan_determinismE0ELb0ES3_N6thrust23THRUST_200600_302600_NS6detail15normal_iteratorINSB_10device_ptrIjEEEENSD_INSE_IS6_EEEESI_S6_NSB_4plusIvEENSB_8equal_toIvEES6_EE10hipError_tPvRmT2_T3_T4_T5_mT6_T7_P12ihipStream_tbENKUlT_T0_E_clISt17integral_constantIbLb1EES12_IbLb0EEEEDaSY_SZ_EUlSY_E_NS1_11comp_targetILNS1_3genE3ELNS1_11target_archE908ELNS1_3gpuE7ELNS1_3repE0EEENS1_30default_config_static_selectorELNS0_4arch9wavefront6targetE0EEEvT1_.private_seg_size, 0
	.set _ZN7rocprim17ROCPRIM_400000_NS6detail17trampoline_kernelINS0_14default_configENS1_27scan_by_key_config_selectorIj11FixedVectorIiLj8EEEEZZNS1_16scan_by_key_implILNS1_25lookback_scan_determinismE0ELb0ES3_N6thrust23THRUST_200600_302600_NS6detail15normal_iteratorINSB_10device_ptrIjEEEENSD_INSE_IS6_EEEESI_S6_NSB_4plusIvEENSB_8equal_toIvEES6_EE10hipError_tPvRmT2_T3_T4_T5_mT6_T7_P12ihipStream_tbENKUlT_T0_E_clISt17integral_constantIbLb1EES12_IbLb0EEEEDaSY_SZ_EUlSY_E_NS1_11comp_targetILNS1_3genE3ELNS1_11target_archE908ELNS1_3gpuE7ELNS1_3repE0EEENS1_30default_config_static_selectorELNS0_4arch9wavefront6targetE0EEEvT1_.uses_vcc, 0
	.set _ZN7rocprim17ROCPRIM_400000_NS6detail17trampoline_kernelINS0_14default_configENS1_27scan_by_key_config_selectorIj11FixedVectorIiLj8EEEEZZNS1_16scan_by_key_implILNS1_25lookback_scan_determinismE0ELb0ES3_N6thrust23THRUST_200600_302600_NS6detail15normal_iteratorINSB_10device_ptrIjEEEENSD_INSE_IS6_EEEESI_S6_NSB_4plusIvEENSB_8equal_toIvEES6_EE10hipError_tPvRmT2_T3_T4_T5_mT6_T7_P12ihipStream_tbENKUlT_T0_E_clISt17integral_constantIbLb1EES12_IbLb0EEEEDaSY_SZ_EUlSY_E_NS1_11comp_targetILNS1_3genE3ELNS1_11target_archE908ELNS1_3gpuE7ELNS1_3repE0EEENS1_30default_config_static_selectorELNS0_4arch9wavefront6targetE0EEEvT1_.uses_flat_scratch, 0
	.set _ZN7rocprim17ROCPRIM_400000_NS6detail17trampoline_kernelINS0_14default_configENS1_27scan_by_key_config_selectorIj11FixedVectorIiLj8EEEEZZNS1_16scan_by_key_implILNS1_25lookback_scan_determinismE0ELb0ES3_N6thrust23THRUST_200600_302600_NS6detail15normal_iteratorINSB_10device_ptrIjEEEENSD_INSE_IS6_EEEESI_S6_NSB_4plusIvEENSB_8equal_toIvEES6_EE10hipError_tPvRmT2_T3_T4_T5_mT6_T7_P12ihipStream_tbENKUlT_T0_E_clISt17integral_constantIbLb1EES12_IbLb0EEEEDaSY_SZ_EUlSY_E_NS1_11comp_targetILNS1_3genE3ELNS1_11target_archE908ELNS1_3gpuE7ELNS1_3repE0EEENS1_30default_config_static_selectorELNS0_4arch9wavefront6targetE0EEEvT1_.has_dyn_sized_stack, 0
	.set _ZN7rocprim17ROCPRIM_400000_NS6detail17trampoline_kernelINS0_14default_configENS1_27scan_by_key_config_selectorIj11FixedVectorIiLj8EEEEZZNS1_16scan_by_key_implILNS1_25lookback_scan_determinismE0ELb0ES3_N6thrust23THRUST_200600_302600_NS6detail15normal_iteratorINSB_10device_ptrIjEEEENSD_INSE_IS6_EEEESI_S6_NSB_4plusIvEENSB_8equal_toIvEES6_EE10hipError_tPvRmT2_T3_T4_T5_mT6_T7_P12ihipStream_tbENKUlT_T0_E_clISt17integral_constantIbLb1EES12_IbLb0EEEEDaSY_SZ_EUlSY_E_NS1_11comp_targetILNS1_3genE3ELNS1_11target_archE908ELNS1_3gpuE7ELNS1_3repE0EEENS1_30default_config_static_selectorELNS0_4arch9wavefront6targetE0EEEvT1_.has_recursion, 0
	.set _ZN7rocprim17ROCPRIM_400000_NS6detail17trampoline_kernelINS0_14default_configENS1_27scan_by_key_config_selectorIj11FixedVectorIiLj8EEEEZZNS1_16scan_by_key_implILNS1_25lookback_scan_determinismE0ELb0ES3_N6thrust23THRUST_200600_302600_NS6detail15normal_iteratorINSB_10device_ptrIjEEEENSD_INSE_IS6_EEEESI_S6_NSB_4plusIvEENSB_8equal_toIvEES6_EE10hipError_tPvRmT2_T3_T4_T5_mT6_T7_P12ihipStream_tbENKUlT_T0_E_clISt17integral_constantIbLb1EES12_IbLb0EEEEDaSY_SZ_EUlSY_E_NS1_11comp_targetILNS1_3genE3ELNS1_11target_archE908ELNS1_3gpuE7ELNS1_3repE0EEENS1_30default_config_static_selectorELNS0_4arch9wavefront6targetE0EEEvT1_.has_indirect_call, 0
	.section	.AMDGPU.csdata,"",@progbits
; Kernel info:
; codeLenInByte = 0
; TotalNumSgprs: 0
; NumVgprs: 0
; ScratchSize: 0
; MemoryBound: 0
; FloatMode: 240
; IeeeMode: 1
; LDSByteSize: 0 bytes/workgroup (compile time only)
; SGPRBlocks: 0
; VGPRBlocks: 0
; NumSGPRsForWavesPerEU: 1
; NumVGPRsForWavesPerEU: 1
; NamedBarCnt: 0
; Occupancy: 16
; WaveLimiterHint : 0
; COMPUTE_PGM_RSRC2:SCRATCH_EN: 0
; COMPUTE_PGM_RSRC2:USER_SGPR: 2
; COMPUTE_PGM_RSRC2:TRAP_HANDLER: 0
; COMPUTE_PGM_RSRC2:TGID_X_EN: 1
; COMPUTE_PGM_RSRC2:TGID_Y_EN: 0
; COMPUTE_PGM_RSRC2:TGID_Z_EN: 0
; COMPUTE_PGM_RSRC2:TIDIG_COMP_CNT: 0
	.section	.text._ZN7rocprim17ROCPRIM_400000_NS6detail17trampoline_kernelINS0_14default_configENS1_27scan_by_key_config_selectorIj11FixedVectorIiLj8EEEEZZNS1_16scan_by_key_implILNS1_25lookback_scan_determinismE0ELb0ES3_N6thrust23THRUST_200600_302600_NS6detail15normal_iteratorINSB_10device_ptrIjEEEENSD_INSE_IS6_EEEESI_S6_NSB_4plusIvEENSB_8equal_toIvEES6_EE10hipError_tPvRmT2_T3_T4_T5_mT6_T7_P12ihipStream_tbENKUlT_T0_E_clISt17integral_constantIbLb1EES12_IbLb0EEEEDaSY_SZ_EUlSY_E_NS1_11comp_targetILNS1_3genE2ELNS1_11target_archE906ELNS1_3gpuE6ELNS1_3repE0EEENS1_30default_config_static_selectorELNS0_4arch9wavefront6targetE0EEEvT1_,"axG",@progbits,_ZN7rocprim17ROCPRIM_400000_NS6detail17trampoline_kernelINS0_14default_configENS1_27scan_by_key_config_selectorIj11FixedVectorIiLj8EEEEZZNS1_16scan_by_key_implILNS1_25lookback_scan_determinismE0ELb0ES3_N6thrust23THRUST_200600_302600_NS6detail15normal_iteratorINSB_10device_ptrIjEEEENSD_INSE_IS6_EEEESI_S6_NSB_4plusIvEENSB_8equal_toIvEES6_EE10hipError_tPvRmT2_T3_T4_T5_mT6_T7_P12ihipStream_tbENKUlT_T0_E_clISt17integral_constantIbLb1EES12_IbLb0EEEEDaSY_SZ_EUlSY_E_NS1_11comp_targetILNS1_3genE2ELNS1_11target_archE906ELNS1_3gpuE6ELNS1_3repE0EEENS1_30default_config_static_selectorELNS0_4arch9wavefront6targetE0EEEvT1_,comdat
	.protected	_ZN7rocprim17ROCPRIM_400000_NS6detail17trampoline_kernelINS0_14default_configENS1_27scan_by_key_config_selectorIj11FixedVectorIiLj8EEEEZZNS1_16scan_by_key_implILNS1_25lookback_scan_determinismE0ELb0ES3_N6thrust23THRUST_200600_302600_NS6detail15normal_iteratorINSB_10device_ptrIjEEEENSD_INSE_IS6_EEEESI_S6_NSB_4plusIvEENSB_8equal_toIvEES6_EE10hipError_tPvRmT2_T3_T4_T5_mT6_T7_P12ihipStream_tbENKUlT_T0_E_clISt17integral_constantIbLb1EES12_IbLb0EEEEDaSY_SZ_EUlSY_E_NS1_11comp_targetILNS1_3genE2ELNS1_11target_archE906ELNS1_3gpuE6ELNS1_3repE0EEENS1_30default_config_static_selectorELNS0_4arch9wavefront6targetE0EEEvT1_ ; -- Begin function _ZN7rocprim17ROCPRIM_400000_NS6detail17trampoline_kernelINS0_14default_configENS1_27scan_by_key_config_selectorIj11FixedVectorIiLj8EEEEZZNS1_16scan_by_key_implILNS1_25lookback_scan_determinismE0ELb0ES3_N6thrust23THRUST_200600_302600_NS6detail15normal_iteratorINSB_10device_ptrIjEEEENSD_INSE_IS6_EEEESI_S6_NSB_4plusIvEENSB_8equal_toIvEES6_EE10hipError_tPvRmT2_T3_T4_T5_mT6_T7_P12ihipStream_tbENKUlT_T0_E_clISt17integral_constantIbLb1EES12_IbLb0EEEEDaSY_SZ_EUlSY_E_NS1_11comp_targetILNS1_3genE2ELNS1_11target_archE906ELNS1_3gpuE6ELNS1_3repE0EEENS1_30default_config_static_selectorELNS0_4arch9wavefront6targetE0EEEvT1_
	.globl	_ZN7rocprim17ROCPRIM_400000_NS6detail17trampoline_kernelINS0_14default_configENS1_27scan_by_key_config_selectorIj11FixedVectorIiLj8EEEEZZNS1_16scan_by_key_implILNS1_25lookback_scan_determinismE0ELb0ES3_N6thrust23THRUST_200600_302600_NS6detail15normal_iteratorINSB_10device_ptrIjEEEENSD_INSE_IS6_EEEESI_S6_NSB_4plusIvEENSB_8equal_toIvEES6_EE10hipError_tPvRmT2_T3_T4_T5_mT6_T7_P12ihipStream_tbENKUlT_T0_E_clISt17integral_constantIbLb1EES12_IbLb0EEEEDaSY_SZ_EUlSY_E_NS1_11comp_targetILNS1_3genE2ELNS1_11target_archE906ELNS1_3gpuE6ELNS1_3repE0EEENS1_30default_config_static_selectorELNS0_4arch9wavefront6targetE0EEEvT1_
	.p2align	8
	.type	_ZN7rocprim17ROCPRIM_400000_NS6detail17trampoline_kernelINS0_14default_configENS1_27scan_by_key_config_selectorIj11FixedVectorIiLj8EEEEZZNS1_16scan_by_key_implILNS1_25lookback_scan_determinismE0ELb0ES3_N6thrust23THRUST_200600_302600_NS6detail15normal_iteratorINSB_10device_ptrIjEEEENSD_INSE_IS6_EEEESI_S6_NSB_4plusIvEENSB_8equal_toIvEES6_EE10hipError_tPvRmT2_T3_T4_T5_mT6_T7_P12ihipStream_tbENKUlT_T0_E_clISt17integral_constantIbLb1EES12_IbLb0EEEEDaSY_SZ_EUlSY_E_NS1_11comp_targetILNS1_3genE2ELNS1_11target_archE906ELNS1_3gpuE6ELNS1_3repE0EEENS1_30default_config_static_selectorELNS0_4arch9wavefront6targetE0EEEvT1_,@function
_ZN7rocprim17ROCPRIM_400000_NS6detail17trampoline_kernelINS0_14default_configENS1_27scan_by_key_config_selectorIj11FixedVectorIiLj8EEEEZZNS1_16scan_by_key_implILNS1_25lookback_scan_determinismE0ELb0ES3_N6thrust23THRUST_200600_302600_NS6detail15normal_iteratorINSB_10device_ptrIjEEEENSD_INSE_IS6_EEEESI_S6_NSB_4plusIvEENSB_8equal_toIvEES6_EE10hipError_tPvRmT2_T3_T4_T5_mT6_T7_P12ihipStream_tbENKUlT_T0_E_clISt17integral_constantIbLb1EES12_IbLb0EEEEDaSY_SZ_EUlSY_E_NS1_11comp_targetILNS1_3genE2ELNS1_11target_archE906ELNS1_3gpuE6ELNS1_3repE0EEENS1_30default_config_static_selectorELNS0_4arch9wavefront6targetE0EEEvT1_: ; @_ZN7rocprim17ROCPRIM_400000_NS6detail17trampoline_kernelINS0_14default_configENS1_27scan_by_key_config_selectorIj11FixedVectorIiLj8EEEEZZNS1_16scan_by_key_implILNS1_25lookback_scan_determinismE0ELb0ES3_N6thrust23THRUST_200600_302600_NS6detail15normal_iteratorINSB_10device_ptrIjEEEENSD_INSE_IS6_EEEESI_S6_NSB_4plusIvEENSB_8equal_toIvEES6_EE10hipError_tPvRmT2_T3_T4_T5_mT6_T7_P12ihipStream_tbENKUlT_T0_E_clISt17integral_constantIbLb1EES12_IbLb0EEEEDaSY_SZ_EUlSY_E_NS1_11comp_targetILNS1_3genE2ELNS1_11target_archE906ELNS1_3gpuE6ELNS1_3repE0EEENS1_30default_config_static_selectorELNS0_4arch9wavefront6targetE0EEEvT1_
; %bb.0:
	.section	.rodata,"a",@progbits
	.p2align	6, 0x0
	.amdhsa_kernel _ZN7rocprim17ROCPRIM_400000_NS6detail17trampoline_kernelINS0_14default_configENS1_27scan_by_key_config_selectorIj11FixedVectorIiLj8EEEEZZNS1_16scan_by_key_implILNS1_25lookback_scan_determinismE0ELb0ES3_N6thrust23THRUST_200600_302600_NS6detail15normal_iteratorINSB_10device_ptrIjEEEENSD_INSE_IS6_EEEESI_S6_NSB_4plusIvEENSB_8equal_toIvEES6_EE10hipError_tPvRmT2_T3_T4_T5_mT6_T7_P12ihipStream_tbENKUlT_T0_E_clISt17integral_constantIbLb1EES12_IbLb0EEEEDaSY_SZ_EUlSY_E_NS1_11comp_targetILNS1_3genE2ELNS1_11target_archE906ELNS1_3gpuE6ELNS1_3repE0EEENS1_30default_config_static_selectorELNS0_4arch9wavefront6targetE0EEEvT1_
		.amdhsa_group_segment_fixed_size 0
		.amdhsa_private_segment_fixed_size 0
		.amdhsa_kernarg_size 160
		.amdhsa_user_sgpr_count 2
		.amdhsa_user_sgpr_dispatch_ptr 0
		.amdhsa_user_sgpr_queue_ptr 0
		.amdhsa_user_sgpr_kernarg_segment_ptr 1
		.amdhsa_user_sgpr_dispatch_id 0
		.amdhsa_user_sgpr_kernarg_preload_length 0
		.amdhsa_user_sgpr_kernarg_preload_offset 0
		.amdhsa_user_sgpr_private_segment_size 0
		.amdhsa_wavefront_size32 1
		.amdhsa_uses_dynamic_stack 0
		.amdhsa_enable_private_segment 0
		.amdhsa_system_sgpr_workgroup_id_x 1
		.amdhsa_system_sgpr_workgroup_id_y 0
		.amdhsa_system_sgpr_workgroup_id_z 0
		.amdhsa_system_sgpr_workgroup_info 0
		.amdhsa_system_vgpr_workitem_id 0
		.amdhsa_next_free_vgpr 1
		.amdhsa_next_free_sgpr 1
		.amdhsa_named_barrier_count 0
		.amdhsa_reserve_vcc 0
		.amdhsa_float_round_mode_32 0
		.amdhsa_float_round_mode_16_64 0
		.amdhsa_float_denorm_mode_32 3
		.amdhsa_float_denorm_mode_16_64 3
		.amdhsa_fp16_overflow 0
		.amdhsa_memory_ordered 1
		.amdhsa_forward_progress 1
		.amdhsa_inst_pref_size 0
		.amdhsa_round_robin_scheduling 0
		.amdhsa_exception_fp_ieee_invalid_op 0
		.amdhsa_exception_fp_denorm_src 0
		.amdhsa_exception_fp_ieee_div_zero 0
		.amdhsa_exception_fp_ieee_overflow 0
		.amdhsa_exception_fp_ieee_underflow 0
		.amdhsa_exception_fp_ieee_inexact 0
		.amdhsa_exception_int_div_zero 0
	.end_amdhsa_kernel
	.section	.text._ZN7rocprim17ROCPRIM_400000_NS6detail17trampoline_kernelINS0_14default_configENS1_27scan_by_key_config_selectorIj11FixedVectorIiLj8EEEEZZNS1_16scan_by_key_implILNS1_25lookback_scan_determinismE0ELb0ES3_N6thrust23THRUST_200600_302600_NS6detail15normal_iteratorINSB_10device_ptrIjEEEENSD_INSE_IS6_EEEESI_S6_NSB_4plusIvEENSB_8equal_toIvEES6_EE10hipError_tPvRmT2_T3_T4_T5_mT6_T7_P12ihipStream_tbENKUlT_T0_E_clISt17integral_constantIbLb1EES12_IbLb0EEEEDaSY_SZ_EUlSY_E_NS1_11comp_targetILNS1_3genE2ELNS1_11target_archE906ELNS1_3gpuE6ELNS1_3repE0EEENS1_30default_config_static_selectorELNS0_4arch9wavefront6targetE0EEEvT1_,"axG",@progbits,_ZN7rocprim17ROCPRIM_400000_NS6detail17trampoline_kernelINS0_14default_configENS1_27scan_by_key_config_selectorIj11FixedVectorIiLj8EEEEZZNS1_16scan_by_key_implILNS1_25lookback_scan_determinismE0ELb0ES3_N6thrust23THRUST_200600_302600_NS6detail15normal_iteratorINSB_10device_ptrIjEEEENSD_INSE_IS6_EEEESI_S6_NSB_4plusIvEENSB_8equal_toIvEES6_EE10hipError_tPvRmT2_T3_T4_T5_mT6_T7_P12ihipStream_tbENKUlT_T0_E_clISt17integral_constantIbLb1EES12_IbLb0EEEEDaSY_SZ_EUlSY_E_NS1_11comp_targetILNS1_3genE2ELNS1_11target_archE906ELNS1_3gpuE6ELNS1_3repE0EEENS1_30default_config_static_selectorELNS0_4arch9wavefront6targetE0EEEvT1_,comdat
.Lfunc_end2142:
	.size	_ZN7rocprim17ROCPRIM_400000_NS6detail17trampoline_kernelINS0_14default_configENS1_27scan_by_key_config_selectorIj11FixedVectorIiLj8EEEEZZNS1_16scan_by_key_implILNS1_25lookback_scan_determinismE0ELb0ES3_N6thrust23THRUST_200600_302600_NS6detail15normal_iteratorINSB_10device_ptrIjEEEENSD_INSE_IS6_EEEESI_S6_NSB_4plusIvEENSB_8equal_toIvEES6_EE10hipError_tPvRmT2_T3_T4_T5_mT6_T7_P12ihipStream_tbENKUlT_T0_E_clISt17integral_constantIbLb1EES12_IbLb0EEEEDaSY_SZ_EUlSY_E_NS1_11comp_targetILNS1_3genE2ELNS1_11target_archE906ELNS1_3gpuE6ELNS1_3repE0EEENS1_30default_config_static_selectorELNS0_4arch9wavefront6targetE0EEEvT1_, .Lfunc_end2142-_ZN7rocprim17ROCPRIM_400000_NS6detail17trampoline_kernelINS0_14default_configENS1_27scan_by_key_config_selectorIj11FixedVectorIiLj8EEEEZZNS1_16scan_by_key_implILNS1_25lookback_scan_determinismE0ELb0ES3_N6thrust23THRUST_200600_302600_NS6detail15normal_iteratorINSB_10device_ptrIjEEEENSD_INSE_IS6_EEEESI_S6_NSB_4plusIvEENSB_8equal_toIvEES6_EE10hipError_tPvRmT2_T3_T4_T5_mT6_T7_P12ihipStream_tbENKUlT_T0_E_clISt17integral_constantIbLb1EES12_IbLb0EEEEDaSY_SZ_EUlSY_E_NS1_11comp_targetILNS1_3genE2ELNS1_11target_archE906ELNS1_3gpuE6ELNS1_3repE0EEENS1_30default_config_static_selectorELNS0_4arch9wavefront6targetE0EEEvT1_
                                        ; -- End function
	.set _ZN7rocprim17ROCPRIM_400000_NS6detail17trampoline_kernelINS0_14default_configENS1_27scan_by_key_config_selectorIj11FixedVectorIiLj8EEEEZZNS1_16scan_by_key_implILNS1_25lookback_scan_determinismE0ELb0ES3_N6thrust23THRUST_200600_302600_NS6detail15normal_iteratorINSB_10device_ptrIjEEEENSD_INSE_IS6_EEEESI_S6_NSB_4plusIvEENSB_8equal_toIvEES6_EE10hipError_tPvRmT2_T3_T4_T5_mT6_T7_P12ihipStream_tbENKUlT_T0_E_clISt17integral_constantIbLb1EES12_IbLb0EEEEDaSY_SZ_EUlSY_E_NS1_11comp_targetILNS1_3genE2ELNS1_11target_archE906ELNS1_3gpuE6ELNS1_3repE0EEENS1_30default_config_static_selectorELNS0_4arch9wavefront6targetE0EEEvT1_.num_vgpr, 0
	.set _ZN7rocprim17ROCPRIM_400000_NS6detail17trampoline_kernelINS0_14default_configENS1_27scan_by_key_config_selectorIj11FixedVectorIiLj8EEEEZZNS1_16scan_by_key_implILNS1_25lookback_scan_determinismE0ELb0ES3_N6thrust23THRUST_200600_302600_NS6detail15normal_iteratorINSB_10device_ptrIjEEEENSD_INSE_IS6_EEEESI_S6_NSB_4plusIvEENSB_8equal_toIvEES6_EE10hipError_tPvRmT2_T3_T4_T5_mT6_T7_P12ihipStream_tbENKUlT_T0_E_clISt17integral_constantIbLb1EES12_IbLb0EEEEDaSY_SZ_EUlSY_E_NS1_11comp_targetILNS1_3genE2ELNS1_11target_archE906ELNS1_3gpuE6ELNS1_3repE0EEENS1_30default_config_static_selectorELNS0_4arch9wavefront6targetE0EEEvT1_.num_agpr, 0
	.set _ZN7rocprim17ROCPRIM_400000_NS6detail17trampoline_kernelINS0_14default_configENS1_27scan_by_key_config_selectorIj11FixedVectorIiLj8EEEEZZNS1_16scan_by_key_implILNS1_25lookback_scan_determinismE0ELb0ES3_N6thrust23THRUST_200600_302600_NS6detail15normal_iteratorINSB_10device_ptrIjEEEENSD_INSE_IS6_EEEESI_S6_NSB_4plusIvEENSB_8equal_toIvEES6_EE10hipError_tPvRmT2_T3_T4_T5_mT6_T7_P12ihipStream_tbENKUlT_T0_E_clISt17integral_constantIbLb1EES12_IbLb0EEEEDaSY_SZ_EUlSY_E_NS1_11comp_targetILNS1_3genE2ELNS1_11target_archE906ELNS1_3gpuE6ELNS1_3repE0EEENS1_30default_config_static_selectorELNS0_4arch9wavefront6targetE0EEEvT1_.numbered_sgpr, 0
	.set _ZN7rocprim17ROCPRIM_400000_NS6detail17trampoline_kernelINS0_14default_configENS1_27scan_by_key_config_selectorIj11FixedVectorIiLj8EEEEZZNS1_16scan_by_key_implILNS1_25lookback_scan_determinismE0ELb0ES3_N6thrust23THRUST_200600_302600_NS6detail15normal_iteratorINSB_10device_ptrIjEEEENSD_INSE_IS6_EEEESI_S6_NSB_4plusIvEENSB_8equal_toIvEES6_EE10hipError_tPvRmT2_T3_T4_T5_mT6_T7_P12ihipStream_tbENKUlT_T0_E_clISt17integral_constantIbLb1EES12_IbLb0EEEEDaSY_SZ_EUlSY_E_NS1_11comp_targetILNS1_3genE2ELNS1_11target_archE906ELNS1_3gpuE6ELNS1_3repE0EEENS1_30default_config_static_selectorELNS0_4arch9wavefront6targetE0EEEvT1_.num_named_barrier, 0
	.set _ZN7rocprim17ROCPRIM_400000_NS6detail17trampoline_kernelINS0_14default_configENS1_27scan_by_key_config_selectorIj11FixedVectorIiLj8EEEEZZNS1_16scan_by_key_implILNS1_25lookback_scan_determinismE0ELb0ES3_N6thrust23THRUST_200600_302600_NS6detail15normal_iteratorINSB_10device_ptrIjEEEENSD_INSE_IS6_EEEESI_S6_NSB_4plusIvEENSB_8equal_toIvEES6_EE10hipError_tPvRmT2_T3_T4_T5_mT6_T7_P12ihipStream_tbENKUlT_T0_E_clISt17integral_constantIbLb1EES12_IbLb0EEEEDaSY_SZ_EUlSY_E_NS1_11comp_targetILNS1_3genE2ELNS1_11target_archE906ELNS1_3gpuE6ELNS1_3repE0EEENS1_30default_config_static_selectorELNS0_4arch9wavefront6targetE0EEEvT1_.private_seg_size, 0
	.set _ZN7rocprim17ROCPRIM_400000_NS6detail17trampoline_kernelINS0_14default_configENS1_27scan_by_key_config_selectorIj11FixedVectorIiLj8EEEEZZNS1_16scan_by_key_implILNS1_25lookback_scan_determinismE0ELb0ES3_N6thrust23THRUST_200600_302600_NS6detail15normal_iteratorINSB_10device_ptrIjEEEENSD_INSE_IS6_EEEESI_S6_NSB_4plusIvEENSB_8equal_toIvEES6_EE10hipError_tPvRmT2_T3_T4_T5_mT6_T7_P12ihipStream_tbENKUlT_T0_E_clISt17integral_constantIbLb1EES12_IbLb0EEEEDaSY_SZ_EUlSY_E_NS1_11comp_targetILNS1_3genE2ELNS1_11target_archE906ELNS1_3gpuE6ELNS1_3repE0EEENS1_30default_config_static_selectorELNS0_4arch9wavefront6targetE0EEEvT1_.uses_vcc, 0
	.set _ZN7rocprim17ROCPRIM_400000_NS6detail17trampoline_kernelINS0_14default_configENS1_27scan_by_key_config_selectorIj11FixedVectorIiLj8EEEEZZNS1_16scan_by_key_implILNS1_25lookback_scan_determinismE0ELb0ES3_N6thrust23THRUST_200600_302600_NS6detail15normal_iteratorINSB_10device_ptrIjEEEENSD_INSE_IS6_EEEESI_S6_NSB_4plusIvEENSB_8equal_toIvEES6_EE10hipError_tPvRmT2_T3_T4_T5_mT6_T7_P12ihipStream_tbENKUlT_T0_E_clISt17integral_constantIbLb1EES12_IbLb0EEEEDaSY_SZ_EUlSY_E_NS1_11comp_targetILNS1_3genE2ELNS1_11target_archE906ELNS1_3gpuE6ELNS1_3repE0EEENS1_30default_config_static_selectorELNS0_4arch9wavefront6targetE0EEEvT1_.uses_flat_scratch, 0
	.set _ZN7rocprim17ROCPRIM_400000_NS6detail17trampoline_kernelINS0_14default_configENS1_27scan_by_key_config_selectorIj11FixedVectorIiLj8EEEEZZNS1_16scan_by_key_implILNS1_25lookback_scan_determinismE0ELb0ES3_N6thrust23THRUST_200600_302600_NS6detail15normal_iteratorINSB_10device_ptrIjEEEENSD_INSE_IS6_EEEESI_S6_NSB_4plusIvEENSB_8equal_toIvEES6_EE10hipError_tPvRmT2_T3_T4_T5_mT6_T7_P12ihipStream_tbENKUlT_T0_E_clISt17integral_constantIbLb1EES12_IbLb0EEEEDaSY_SZ_EUlSY_E_NS1_11comp_targetILNS1_3genE2ELNS1_11target_archE906ELNS1_3gpuE6ELNS1_3repE0EEENS1_30default_config_static_selectorELNS0_4arch9wavefront6targetE0EEEvT1_.has_dyn_sized_stack, 0
	.set _ZN7rocprim17ROCPRIM_400000_NS6detail17trampoline_kernelINS0_14default_configENS1_27scan_by_key_config_selectorIj11FixedVectorIiLj8EEEEZZNS1_16scan_by_key_implILNS1_25lookback_scan_determinismE0ELb0ES3_N6thrust23THRUST_200600_302600_NS6detail15normal_iteratorINSB_10device_ptrIjEEEENSD_INSE_IS6_EEEESI_S6_NSB_4plusIvEENSB_8equal_toIvEES6_EE10hipError_tPvRmT2_T3_T4_T5_mT6_T7_P12ihipStream_tbENKUlT_T0_E_clISt17integral_constantIbLb1EES12_IbLb0EEEEDaSY_SZ_EUlSY_E_NS1_11comp_targetILNS1_3genE2ELNS1_11target_archE906ELNS1_3gpuE6ELNS1_3repE0EEENS1_30default_config_static_selectorELNS0_4arch9wavefront6targetE0EEEvT1_.has_recursion, 0
	.set _ZN7rocprim17ROCPRIM_400000_NS6detail17trampoline_kernelINS0_14default_configENS1_27scan_by_key_config_selectorIj11FixedVectorIiLj8EEEEZZNS1_16scan_by_key_implILNS1_25lookback_scan_determinismE0ELb0ES3_N6thrust23THRUST_200600_302600_NS6detail15normal_iteratorINSB_10device_ptrIjEEEENSD_INSE_IS6_EEEESI_S6_NSB_4plusIvEENSB_8equal_toIvEES6_EE10hipError_tPvRmT2_T3_T4_T5_mT6_T7_P12ihipStream_tbENKUlT_T0_E_clISt17integral_constantIbLb1EES12_IbLb0EEEEDaSY_SZ_EUlSY_E_NS1_11comp_targetILNS1_3genE2ELNS1_11target_archE906ELNS1_3gpuE6ELNS1_3repE0EEENS1_30default_config_static_selectorELNS0_4arch9wavefront6targetE0EEEvT1_.has_indirect_call, 0
	.section	.AMDGPU.csdata,"",@progbits
; Kernel info:
; codeLenInByte = 0
; TotalNumSgprs: 0
; NumVgprs: 0
; ScratchSize: 0
; MemoryBound: 0
; FloatMode: 240
; IeeeMode: 1
; LDSByteSize: 0 bytes/workgroup (compile time only)
; SGPRBlocks: 0
; VGPRBlocks: 0
; NumSGPRsForWavesPerEU: 1
; NumVGPRsForWavesPerEU: 1
; NamedBarCnt: 0
; Occupancy: 16
; WaveLimiterHint : 0
; COMPUTE_PGM_RSRC2:SCRATCH_EN: 0
; COMPUTE_PGM_RSRC2:USER_SGPR: 2
; COMPUTE_PGM_RSRC2:TRAP_HANDLER: 0
; COMPUTE_PGM_RSRC2:TGID_X_EN: 1
; COMPUTE_PGM_RSRC2:TGID_Y_EN: 0
; COMPUTE_PGM_RSRC2:TGID_Z_EN: 0
; COMPUTE_PGM_RSRC2:TIDIG_COMP_CNT: 0
	.section	.text._ZN7rocprim17ROCPRIM_400000_NS6detail17trampoline_kernelINS0_14default_configENS1_27scan_by_key_config_selectorIj11FixedVectorIiLj8EEEEZZNS1_16scan_by_key_implILNS1_25lookback_scan_determinismE0ELb0ES3_N6thrust23THRUST_200600_302600_NS6detail15normal_iteratorINSB_10device_ptrIjEEEENSD_INSE_IS6_EEEESI_S6_NSB_4plusIvEENSB_8equal_toIvEES6_EE10hipError_tPvRmT2_T3_T4_T5_mT6_T7_P12ihipStream_tbENKUlT_T0_E_clISt17integral_constantIbLb1EES12_IbLb0EEEEDaSY_SZ_EUlSY_E_NS1_11comp_targetILNS1_3genE10ELNS1_11target_archE1200ELNS1_3gpuE4ELNS1_3repE0EEENS1_30default_config_static_selectorELNS0_4arch9wavefront6targetE0EEEvT1_,"axG",@progbits,_ZN7rocprim17ROCPRIM_400000_NS6detail17trampoline_kernelINS0_14default_configENS1_27scan_by_key_config_selectorIj11FixedVectorIiLj8EEEEZZNS1_16scan_by_key_implILNS1_25lookback_scan_determinismE0ELb0ES3_N6thrust23THRUST_200600_302600_NS6detail15normal_iteratorINSB_10device_ptrIjEEEENSD_INSE_IS6_EEEESI_S6_NSB_4plusIvEENSB_8equal_toIvEES6_EE10hipError_tPvRmT2_T3_T4_T5_mT6_T7_P12ihipStream_tbENKUlT_T0_E_clISt17integral_constantIbLb1EES12_IbLb0EEEEDaSY_SZ_EUlSY_E_NS1_11comp_targetILNS1_3genE10ELNS1_11target_archE1200ELNS1_3gpuE4ELNS1_3repE0EEENS1_30default_config_static_selectorELNS0_4arch9wavefront6targetE0EEEvT1_,comdat
	.protected	_ZN7rocprim17ROCPRIM_400000_NS6detail17trampoline_kernelINS0_14default_configENS1_27scan_by_key_config_selectorIj11FixedVectorIiLj8EEEEZZNS1_16scan_by_key_implILNS1_25lookback_scan_determinismE0ELb0ES3_N6thrust23THRUST_200600_302600_NS6detail15normal_iteratorINSB_10device_ptrIjEEEENSD_INSE_IS6_EEEESI_S6_NSB_4plusIvEENSB_8equal_toIvEES6_EE10hipError_tPvRmT2_T3_T4_T5_mT6_T7_P12ihipStream_tbENKUlT_T0_E_clISt17integral_constantIbLb1EES12_IbLb0EEEEDaSY_SZ_EUlSY_E_NS1_11comp_targetILNS1_3genE10ELNS1_11target_archE1200ELNS1_3gpuE4ELNS1_3repE0EEENS1_30default_config_static_selectorELNS0_4arch9wavefront6targetE0EEEvT1_ ; -- Begin function _ZN7rocprim17ROCPRIM_400000_NS6detail17trampoline_kernelINS0_14default_configENS1_27scan_by_key_config_selectorIj11FixedVectorIiLj8EEEEZZNS1_16scan_by_key_implILNS1_25lookback_scan_determinismE0ELb0ES3_N6thrust23THRUST_200600_302600_NS6detail15normal_iteratorINSB_10device_ptrIjEEEENSD_INSE_IS6_EEEESI_S6_NSB_4plusIvEENSB_8equal_toIvEES6_EE10hipError_tPvRmT2_T3_T4_T5_mT6_T7_P12ihipStream_tbENKUlT_T0_E_clISt17integral_constantIbLb1EES12_IbLb0EEEEDaSY_SZ_EUlSY_E_NS1_11comp_targetILNS1_3genE10ELNS1_11target_archE1200ELNS1_3gpuE4ELNS1_3repE0EEENS1_30default_config_static_selectorELNS0_4arch9wavefront6targetE0EEEvT1_
	.globl	_ZN7rocprim17ROCPRIM_400000_NS6detail17trampoline_kernelINS0_14default_configENS1_27scan_by_key_config_selectorIj11FixedVectorIiLj8EEEEZZNS1_16scan_by_key_implILNS1_25lookback_scan_determinismE0ELb0ES3_N6thrust23THRUST_200600_302600_NS6detail15normal_iteratorINSB_10device_ptrIjEEEENSD_INSE_IS6_EEEESI_S6_NSB_4plusIvEENSB_8equal_toIvEES6_EE10hipError_tPvRmT2_T3_T4_T5_mT6_T7_P12ihipStream_tbENKUlT_T0_E_clISt17integral_constantIbLb1EES12_IbLb0EEEEDaSY_SZ_EUlSY_E_NS1_11comp_targetILNS1_3genE10ELNS1_11target_archE1200ELNS1_3gpuE4ELNS1_3repE0EEENS1_30default_config_static_selectorELNS0_4arch9wavefront6targetE0EEEvT1_
	.p2align	8
	.type	_ZN7rocprim17ROCPRIM_400000_NS6detail17trampoline_kernelINS0_14default_configENS1_27scan_by_key_config_selectorIj11FixedVectorIiLj8EEEEZZNS1_16scan_by_key_implILNS1_25lookback_scan_determinismE0ELb0ES3_N6thrust23THRUST_200600_302600_NS6detail15normal_iteratorINSB_10device_ptrIjEEEENSD_INSE_IS6_EEEESI_S6_NSB_4plusIvEENSB_8equal_toIvEES6_EE10hipError_tPvRmT2_T3_T4_T5_mT6_T7_P12ihipStream_tbENKUlT_T0_E_clISt17integral_constantIbLb1EES12_IbLb0EEEEDaSY_SZ_EUlSY_E_NS1_11comp_targetILNS1_3genE10ELNS1_11target_archE1200ELNS1_3gpuE4ELNS1_3repE0EEENS1_30default_config_static_selectorELNS0_4arch9wavefront6targetE0EEEvT1_,@function
_ZN7rocprim17ROCPRIM_400000_NS6detail17trampoline_kernelINS0_14default_configENS1_27scan_by_key_config_selectorIj11FixedVectorIiLj8EEEEZZNS1_16scan_by_key_implILNS1_25lookback_scan_determinismE0ELb0ES3_N6thrust23THRUST_200600_302600_NS6detail15normal_iteratorINSB_10device_ptrIjEEEENSD_INSE_IS6_EEEESI_S6_NSB_4plusIvEENSB_8equal_toIvEES6_EE10hipError_tPvRmT2_T3_T4_T5_mT6_T7_P12ihipStream_tbENKUlT_T0_E_clISt17integral_constantIbLb1EES12_IbLb0EEEEDaSY_SZ_EUlSY_E_NS1_11comp_targetILNS1_3genE10ELNS1_11target_archE1200ELNS1_3gpuE4ELNS1_3repE0EEENS1_30default_config_static_selectorELNS0_4arch9wavefront6targetE0EEEvT1_: ; @_ZN7rocprim17ROCPRIM_400000_NS6detail17trampoline_kernelINS0_14default_configENS1_27scan_by_key_config_selectorIj11FixedVectorIiLj8EEEEZZNS1_16scan_by_key_implILNS1_25lookback_scan_determinismE0ELb0ES3_N6thrust23THRUST_200600_302600_NS6detail15normal_iteratorINSB_10device_ptrIjEEEENSD_INSE_IS6_EEEESI_S6_NSB_4plusIvEENSB_8equal_toIvEES6_EE10hipError_tPvRmT2_T3_T4_T5_mT6_T7_P12ihipStream_tbENKUlT_T0_E_clISt17integral_constantIbLb1EES12_IbLb0EEEEDaSY_SZ_EUlSY_E_NS1_11comp_targetILNS1_3genE10ELNS1_11target_archE1200ELNS1_3gpuE4ELNS1_3repE0EEENS1_30default_config_static_selectorELNS0_4arch9wavefront6targetE0EEEvT1_
; %bb.0:
	.section	.rodata,"a",@progbits
	.p2align	6, 0x0
	.amdhsa_kernel _ZN7rocprim17ROCPRIM_400000_NS6detail17trampoline_kernelINS0_14default_configENS1_27scan_by_key_config_selectorIj11FixedVectorIiLj8EEEEZZNS1_16scan_by_key_implILNS1_25lookback_scan_determinismE0ELb0ES3_N6thrust23THRUST_200600_302600_NS6detail15normal_iteratorINSB_10device_ptrIjEEEENSD_INSE_IS6_EEEESI_S6_NSB_4plusIvEENSB_8equal_toIvEES6_EE10hipError_tPvRmT2_T3_T4_T5_mT6_T7_P12ihipStream_tbENKUlT_T0_E_clISt17integral_constantIbLb1EES12_IbLb0EEEEDaSY_SZ_EUlSY_E_NS1_11comp_targetILNS1_3genE10ELNS1_11target_archE1200ELNS1_3gpuE4ELNS1_3repE0EEENS1_30default_config_static_selectorELNS0_4arch9wavefront6targetE0EEEvT1_
		.amdhsa_group_segment_fixed_size 0
		.amdhsa_private_segment_fixed_size 0
		.amdhsa_kernarg_size 160
		.amdhsa_user_sgpr_count 2
		.amdhsa_user_sgpr_dispatch_ptr 0
		.amdhsa_user_sgpr_queue_ptr 0
		.amdhsa_user_sgpr_kernarg_segment_ptr 1
		.amdhsa_user_sgpr_dispatch_id 0
		.amdhsa_user_sgpr_kernarg_preload_length 0
		.amdhsa_user_sgpr_kernarg_preload_offset 0
		.amdhsa_user_sgpr_private_segment_size 0
		.amdhsa_wavefront_size32 1
		.amdhsa_uses_dynamic_stack 0
		.amdhsa_enable_private_segment 0
		.amdhsa_system_sgpr_workgroup_id_x 1
		.amdhsa_system_sgpr_workgroup_id_y 0
		.amdhsa_system_sgpr_workgroup_id_z 0
		.amdhsa_system_sgpr_workgroup_info 0
		.amdhsa_system_vgpr_workitem_id 0
		.amdhsa_next_free_vgpr 1
		.amdhsa_next_free_sgpr 1
		.amdhsa_named_barrier_count 0
		.amdhsa_reserve_vcc 0
		.amdhsa_float_round_mode_32 0
		.amdhsa_float_round_mode_16_64 0
		.amdhsa_float_denorm_mode_32 3
		.amdhsa_float_denorm_mode_16_64 3
		.amdhsa_fp16_overflow 0
		.amdhsa_memory_ordered 1
		.amdhsa_forward_progress 1
		.amdhsa_inst_pref_size 0
		.amdhsa_round_robin_scheduling 0
		.amdhsa_exception_fp_ieee_invalid_op 0
		.amdhsa_exception_fp_denorm_src 0
		.amdhsa_exception_fp_ieee_div_zero 0
		.amdhsa_exception_fp_ieee_overflow 0
		.amdhsa_exception_fp_ieee_underflow 0
		.amdhsa_exception_fp_ieee_inexact 0
		.amdhsa_exception_int_div_zero 0
	.end_amdhsa_kernel
	.section	.text._ZN7rocprim17ROCPRIM_400000_NS6detail17trampoline_kernelINS0_14default_configENS1_27scan_by_key_config_selectorIj11FixedVectorIiLj8EEEEZZNS1_16scan_by_key_implILNS1_25lookback_scan_determinismE0ELb0ES3_N6thrust23THRUST_200600_302600_NS6detail15normal_iteratorINSB_10device_ptrIjEEEENSD_INSE_IS6_EEEESI_S6_NSB_4plusIvEENSB_8equal_toIvEES6_EE10hipError_tPvRmT2_T3_T4_T5_mT6_T7_P12ihipStream_tbENKUlT_T0_E_clISt17integral_constantIbLb1EES12_IbLb0EEEEDaSY_SZ_EUlSY_E_NS1_11comp_targetILNS1_3genE10ELNS1_11target_archE1200ELNS1_3gpuE4ELNS1_3repE0EEENS1_30default_config_static_selectorELNS0_4arch9wavefront6targetE0EEEvT1_,"axG",@progbits,_ZN7rocprim17ROCPRIM_400000_NS6detail17trampoline_kernelINS0_14default_configENS1_27scan_by_key_config_selectorIj11FixedVectorIiLj8EEEEZZNS1_16scan_by_key_implILNS1_25lookback_scan_determinismE0ELb0ES3_N6thrust23THRUST_200600_302600_NS6detail15normal_iteratorINSB_10device_ptrIjEEEENSD_INSE_IS6_EEEESI_S6_NSB_4plusIvEENSB_8equal_toIvEES6_EE10hipError_tPvRmT2_T3_T4_T5_mT6_T7_P12ihipStream_tbENKUlT_T0_E_clISt17integral_constantIbLb1EES12_IbLb0EEEEDaSY_SZ_EUlSY_E_NS1_11comp_targetILNS1_3genE10ELNS1_11target_archE1200ELNS1_3gpuE4ELNS1_3repE0EEENS1_30default_config_static_selectorELNS0_4arch9wavefront6targetE0EEEvT1_,comdat
.Lfunc_end2143:
	.size	_ZN7rocprim17ROCPRIM_400000_NS6detail17trampoline_kernelINS0_14default_configENS1_27scan_by_key_config_selectorIj11FixedVectorIiLj8EEEEZZNS1_16scan_by_key_implILNS1_25lookback_scan_determinismE0ELb0ES3_N6thrust23THRUST_200600_302600_NS6detail15normal_iteratorINSB_10device_ptrIjEEEENSD_INSE_IS6_EEEESI_S6_NSB_4plusIvEENSB_8equal_toIvEES6_EE10hipError_tPvRmT2_T3_T4_T5_mT6_T7_P12ihipStream_tbENKUlT_T0_E_clISt17integral_constantIbLb1EES12_IbLb0EEEEDaSY_SZ_EUlSY_E_NS1_11comp_targetILNS1_3genE10ELNS1_11target_archE1200ELNS1_3gpuE4ELNS1_3repE0EEENS1_30default_config_static_selectorELNS0_4arch9wavefront6targetE0EEEvT1_, .Lfunc_end2143-_ZN7rocprim17ROCPRIM_400000_NS6detail17trampoline_kernelINS0_14default_configENS1_27scan_by_key_config_selectorIj11FixedVectorIiLj8EEEEZZNS1_16scan_by_key_implILNS1_25lookback_scan_determinismE0ELb0ES3_N6thrust23THRUST_200600_302600_NS6detail15normal_iteratorINSB_10device_ptrIjEEEENSD_INSE_IS6_EEEESI_S6_NSB_4plusIvEENSB_8equal_toIvEES6_EE10hipError_tPvRmT2_T3_T4_T5_mT6_T7_P12ihipStream_tbENKUlT_T0_E_clISt17integral_constantIbLb1EES12_IbLb0EEEEDaSY_SZ_EUlSY_E_NS1_11comp_targetILNS1_3genE10ELNS1_11target_archE1200ELNS1_3gpuE4ELNS1_3repE0EEENS1_30default_config_static_selectorELNS0_4arch9wavefront6targetE0EEEvT1_
                                        ; -- End function
	.set _ZN7rocprim17ROCPRIM_400000_NS6detail17trampoline_kernelINS0_14default_configENS1_27scan_by_key_config_selectorIj11FixedVectorIiLj8EEEEZZNS1_16scan_by_key_implILNS1_25lookback_scan_determinismE0ELb0ES3_N6thrust23THRUST_200600_302600_NS6detail15normal_iteratorINSB_10device_ptrIjEEEENSD_INSE_IS6_EEEESI_S6_NSB_4plusIvEENSB_8equal_toIvEES6_EE10hipError_tPvRmT2_T3_T4_T5_mT6_T7_P12ihipStream_tbENKUlT_T0_E_clISt17integral_constantIbLb1EES12_IbLb0EEEEDaSY_SZ_EUlSY_E_NS1_11comp_targetILNS1_3genE10ELNS1_11target_archE1200ELNS1_3gpuE4ELNS1_3repE0EEENS1_30default_config_static_selectorELNS0_4arch9wavefront6targetE0EEEvT1_.num_vgpr, 0
	.set _ZN7rocprim17ROCPRIM_400000_NS6detail17trampoline_kernelINS0_14default_configENS1_27scan_by_key_config_selectorIj11FixedVectorIiLj8EEEEZZNS1_16scan_by_key_implILNS1_25lookback_scan_determinismE0ELb0ES3_N6thrust23THRUST_200600_302600_NS6detail15normal_iteratorINSB_10device_ptrIjEEEENSD_INSE_IS6_EEEESI_S6_NSB_4plusIvEENSB_8equal_toIvEES6_EE10hipError_tPvRmT2_T3_T4_T5_mT6_T7_P12ihipStream_tbENKUlT_T0_E_clISt17integral_constantIbLb1EES12_IbLb0EEEEDaSY_SZ_EUlSY_E_NS1_11comp_targetILNS1_3genE10ELNS1_11target_archE1200ELNS1_3gpuE4ELNS1_3repE0EEENS1_30default_config_static_selectorELNS0_4arch9wavefront6targetE0EEEvT1_.num_agpr, 0
	.set _ZN7rocprim17ROCPRIM_400000_NS6detail17trampoline_kernelINS0_14default_configENS1_27scan_by_key_config_selectorIj11FixedVectorIiLj8EEEEZZNS1_16scan_by_key_implILNS1_25lookback_scan_determinismE0ELb0ES3_N6thrust23THRUST_200600_302600_NS6detail15normal_iteratorINSB_10device_ptrIjEEEENSD_INSE_IS6_EEEESI_S6_NSB_4plusIvEENSB_8equal_toIvEES6_EE10hipError_tPvRmT2_T3_T4_T5_mT6_T7_P12ihipStream_tbENKUlT_T0_E_clISt17integral_constantIbLb1EES12_IbLb0EEEEDaSY_SZ_EUlSY_E_NS1_11comp_targetILNS1_3genE10ELNS1_11target_archE1200ELNS1_3gpuE4ELNS1_3repE0EEENS1_30default_config_static_selectorELNS0_4arch9wavefront6targetE0EEEvT1_.numbered_sgpr, 0
	.set _ZN7rocprim17ROCPRIM_400000_NS6detail17trampoline_kernelINS0_14default_configENS1_27scan_by_key_config_selectorIj11FixedVectorIiLj8EEEEZZNS1_16scan_by_key_implILNS1_25lookback_scan_determinismE0ELb0ES3_N6thrust23THRUST_200600_302600_NS6detail15normal_iteratorINSB_10device_ptrIjEEEENSD_INSE_IS6_EEEESI_S6_NSB_4plusIvEENSB_8equal_toIvEES6_EE10hipError_tPvRmT2_T3_T4_T5_mT6_T7_P12ihipStream_tbENKUlT_T0_E_clISt17integral_constantIbLb1EES12_IbLb0EEEEDaSY_SZ_EUlSY_E_NS1_11comp_targetILNS1_3genE10ELNS1_11target_archE1200ELNS1_3gpuE4ELNS1_3repE0EEENS1_30default_config_static_selectorELNS0_4arch9wavefront6targetE0EEEvT1_.num_named_barrier, 0
	.set _ZN7rocprim17ROCPRIM_400000_NS6detail17trampoline_kernelINS0_14default_configENS1_27scan_by_key_config_selectorIj11FixedVectorIiLj8EEEEZZNS1_16scan_by_key_implILNS1_25lookback_scan_determinismE0ELb0ES3_N6thrust23THRUST_200600_302600_NS6detail15normal_iteratorINSB_10device_ptrIjEEEENSD_INSE_IS6_EEEESI_S6_NSB_4plusIvEENSB_8equal_toIvEES6_EE10hipError_tPvRmT2_T3_T4_T5_mT6_T7_P12ihipStream_tbENKUlT_T0_E_clISt17integral_constantIbLb1EES12_IbLb0EEEEDaSY_SZ_EUlSY_E_NS1_11comp_targetILNS1_3genE10ELNS1_11target_archE1200ELNS1_3gpuE4ELNS1_3repE0EEENS1_30default_config_static_selectorELNS0_4arch9wavefront6targetE0EEEvT1_.private_seg_size, 0
	.set _ZN7rocprim17ROCPRIM_400000_NS6detail17trampoline_kernelINS0_14default_configENS1_27scan_by_key_config_selectorIj11FixedVectorIiLj8EEEEZZNS1_16scan_by_key_implILNS1_25lookback_scan_determinismE0ELb0ES3_N6thrust23THRUST_200600_302600_NS6detail15normal_iteratorINSB_10device_ptrIjEEEENSD_INSE_IS6_EEEESI_S6_NSB_4plusIvEENSB_8equal_toIvEES6_EE10hipError_tPvRmT2_T3_T4_T5_mT6_T7_P12ihipStream_tbENKUlT_T0_E_clISt17integral_constantIbLb1EES12_IbLb0EEEEDaSY_SZ_EUlSY_E_NS1_11comp_targetILNS1_3genE10ELNS1_11target_archE1200ELNS1_3gpuE4ELNS1_3repE0EEENS1_30default_config_static_selectorELNS0_4arch9wavefront6targetE0EEEvT1_.uses_vcc, 0
	.set _ZN7rocprim17ROCPRIM_400000_NS6detail17trampoline_kernelINS0_14default_configENS1_27scan_by_key_config_selectorIj11FixedVectorIiLj8EEEEZZNS1_16scan_by_key_implILNS1_25lookback_scan_determinismE0ELb0ES3_N6thrust23THRUST_200600_302600_NS6detail15normal_iteratorINSB_10device_ptrIjEEEENSD_INSE_IS6_EEEESI_S6_NSB_4plusIvEENSB_8equal_toIvEES6_EE10hipError_tPvRmT2_T3_T4_T5_mT6_T7_P12ihipStream_tbENKUlT_T0_E_clISt17integral_constantIbLb1EES12_IbLb0EEEEDaSY_SZ_EUlSY_E_NS1_11comp_targetILNS1_3genE10ELNS1_11target_archE1200ELNS1_3gpuE4ELNS1_3repE0EEENS1_30default_config_static_selectorELNS0_4arch9wavefront6targetE0EEEvT1_.uses_flat_scratch, 0
	.set _ZN7rocprim17ROCPRIM_400000_NS6detail17trampoline_kernelINS0_14default_configENS1_27scan_by_key_config_selectorIj11FixedVectorIiLj8EEEEZZNS1_16scan_by_key_implILNS1_25lookback_scan_determinismE0ELb0ES3_N6thrust23THRUST_200600_302600_NS6detail15normal_iteratorINSB_10device_ptrIjEEEENSD_INSE_IS6_EEEESI_S6_NSB_4plusIvEENSB_8equal_toIvEES6_EE10hipError_tPvRmT2_T3_T4_T5_mT6_T7_P12ihipStream_tbENKUlT_T0_E_clISt17integral_constantIbLb1EES12_IbLb0EEEEDaSY_SZ_EUlSY_E_NS1_11comp_targetILNS1_3genE10ELNS1_11target_archE1200ELNS1_3gpuE4ELNS1_3repE0EEENS1_30default_config_static_selectorELNS0_4arch9wavefront6targetE0EEEvT1_.has_dyn_sized_stack, 0
	.set _ZN7rocprim17ROCPRIM_400000_NS6detail17trampoline_kernelINS0_14default_configENS1_27scan_by_key_config_selectorIj11FixedVectorIiLj8EEEEZZNS1_16scan_by_key_implILNS1_25lookback_scan_determinismE0ELb0ES3_N6thrust23THRUST_200600_302600_NS6detail15normal_iteratorINSB_10device_ptrIjEEEENSD_INSE_IS6_EEEESI_S6_NSB_4plusIvEENSB_8equal_toIvEES6_EE10hipError_tPvRmT2_T3_T4_T5_mT6_T7_P12ihipStream_tbENKUlT_T0_E_clISt17integral_constantIbLb1EES12_IbLb0EEEEDaSY_SZ_EUlSY_E_NS1_11comp_targetILNS1_3genE10ELNS1_11target_archE1200ELNS1_3gpuE4ELNS1_3repE0EEENS1_30default_config_static_selectorELNS0_4arch9wavefront6targetE0EEEvT1_.has_recursion, 0
	.set _ZN7rocprim17ROCPRIM_400000_NS6detail17trampoline_kernelINS0_14default_configENS1_27scan_by_key_config_selectorIj11FixedVectorIiLj8EEEEZZNS1_16scan_by_key_implILNS1_25lookback_scan_determinismE0ELb0ES3_N6thrust23THRUST_200600_302600_NS6detail15normal_iteratorINSB_10device_ptrIjEEEENSD_INSE_IS6_EEEESI_S6_NSB_4plusIvEENSB_8equal_toIvEES6_EE10hipError_tPvRmT2_T3_T4_T5_mT6_T7_P12ihipStream_tbENKUlT_T0_E_clISt17integral_constantIbLb1EES12_IbLb0EEEEDaSY_SZ_EUlSY_E_NS1_11comp_targetILNS1_3genE10ELNS1_11target_archE1200ELNS1_3gpuE4ELNS1_3repE0EEENS1_30default_config_static_selectorELNS0_4arch9wavefront6targetE0EEEvT1_.has_indirect_call, 0
	.section	.AMDGPU.csdata,"",@progbits
; Kernel info:
; codeLenInByte = 0
; TotalNumSgprs: 0
; NumVgprs: 0
; ScratchSize: 0
; MemoryBound: 0
; FloatMode: 240
; IeeeMode: 1
; LDSByteSize: 0 bytes/workgroup (compile time only)
; SGPRBlocks: 0
; VGPRBlocks: 0
; NumSGPRsForWavesPerEU: 1
; NumVGPRsForWavesPerEU: 1
; NamedBarCnt: 0
; Occupancy: 16
; WaveLimiterHint : 0
; COMPUTE_PGM_RSRC2:SCRATCH_EN: 0
; COMPUTE_PGM_RSRC2:USER_SGPR: 2
; COMPUTE_PGM_RSRC2:TRAP_HANDLER: 0
; COMPUTE_PGM_RSRC2:TGID_X_EN: 1
; COMPUTE_PGM_RSRC2:TGID_Y_EN: 0
; COMPUTE_PGM_RSRC2:TGID_Z_EN: 0
; COMPUTE_PGM_RSRC2:TIDIG_COMP_CNT: 0
	.section	.text._ZN7rocprim17ROCPRIM_400000_NS6detail17trampoline_kernelINS0_14default_configENS1_27scan_by_key_config_selectorIj11FixedVectorIiLj8EEEEZZNS1_16scan_by_key_implILNS1_25lookback_scan_determinismE0ELb0ES3_N6thrust23THRUST_200600_302600_NS6detail15normal_iteratorINSB_10device_ptrIjEEEENSD_INSE_IS6_EEEESI_S6_NSB_4plusIvEENSB_8equal_toIvEES6_EE10hipError_tPvRmT2_T3_T4_T5_mT6_T7_P12ihipStream_tbENKUlT_T0_E_clISt17integral_constantIbLb1EES12_IbLb0EEEEDaSY_SZ_EUlSY_E_NS1_11comp_targetILNS1_3genE9ELNS1_11target_archE1100ELNS1_3gpuE3ELNS1_3repE0EEENS1_30default_config_static_selectorELNS0_4arch9wavefront6targetE0EEEvT1_,"axG",@progbits,_ZN7rocprim17ROCPRIM_400000_NS6detail17trampoline_kernelINS0_14default_configENS1_27scan_by_key_config_selectorIj11FixedVectorIiLj8EEEEZZNS1_16scan_by_key_implILNS1_25lookback_scan_determinismE0ELb0ES3_N6thrust23THRUST_200600_302600_NS6detail15normal_iteratorINSB_10device_ptrIjEEEENSD_INSE_IS6_EEEESI_S6_NSB_4plusIvEENSB_8equal_toIvEES6_EE10hipError_tPvRmT2_T3_T4_T5_mT6_T7_P12ihipStream_tbENKUlT_T0_E_clISt17integral_constantIbLb1EES12_IbLb0EEEEDaSY_SZ_EUlSY_E_NS1_11comp_targetILNS1_3genE9ELNS1_11target_archE1100ELNS1_3gpuE3ELNS1_3repE0EEENS1_30default_config_static_selectorELNS0_4arch9wavefront6targetE0EEEvT1_,comdat
	.protected	_ZN7rocprim17ROCPRIM_400000_NS6detail17trampoline_kernelINS0_14default_configENS1_27scan_by_key_config_selectorIj11FixedVectorIiLj8EEEEZZNS1_16scan_by_key_implILNS1_25lookback_scan_determinismE0ELb0ES3_N6thrust23THRUST_200600_302600_NS6detail15normal_iteratorINSB_10device_ptrIjEEEENSD_INSE_IS6_EEEESI_S6_NSB_4plusIvEENSB_8equal_toIvEES6_EE10hipError_tPvRmT2_T3_T4_T5_mT6_T7_P12ihipStream_tbENKUlT_T0_E_clISt17integral_constantIbLb1EES12_IbLb0EEEEDaSY_SZ_EUlSY_E_NS1_11comp_targetILNS1_3genE9ELNS1_11target_archE1100ELNS1_3gpuE3ELNS1_3repE0EEENS1_30default_config_static_selectorELNS0_4arch9wavefront6targetE0EEEvT1_ ; -- Begin function _ZN7rocprim17ROCPRIM_400000_NS6detail17trampoline_kernelINS0_14default_configENS1_27scan_by_key_config_selectorIj11FixedVectorIiLj8EEEEZZNS1_16scan_by_key_implILNS1_25lookback_scan_determinismE0ELb0ES3_N6thrust23THRUST_200600_302600_NS6detail15normal_iteratorINSB_10device_ptrIjEEEENSD_INSE_IS6_EEEESI_S6_NSB_4plusIvEENSB_8equal_toIvEES6_EE10hipError_tPvRmT2_T3_T4_T5_mT6_T7_P12ihipStream_tbENKUlT_T0_E_clISt17integral_constantIbLb1EES12_IbLb0EEEEDaSY_SZ_EUlSY_E_NS1_11comp_targetILNS1_3genE9ELNS1_11target_archE1100ELNS1_3gpuE3ELNS1_3repE0EEENS1_30default_config_static_selectorELNS0_4arch9wavefront6targetE0EEEvT1_
	.globl	_ZN7rocprim17ROCPRIM_400000_NS6detail17trampoline_kernelINS0_14default_configENS1_27scan_by_key_config_selectorIj11FixedVectorIiLj8EEEEZZNS1_16scan_by_key_implILNS1_25lookback_scan_determinismE0ELb0ES3_N6thrust23THRUST_200600_302600_NS6detail15normal_iteratorINSB_10device_ptrIjEEEENSD_INSE_IS6_EEEESI_S6_NSB_4plusIvEENSB_8equal_toIvEES6_EE10hipError_tPvRmT2_T3_T4_T5_mT6_T7_P12ihipStream_tbENKUlT_T0_E_clISt17integral_constantIbLb1EES12_IbLb0EEEEDaSY_SZ_EUlSY_E_NS1_11comp_targetILNS1_3genE9ELNS1_11target_archE1100ELNS1_3gpuE3ELNS1_3repE0EEENS1_30default_config_static_selectorELNS0_4arch9wavefront6targetE0EEEvT1_
	.p2align	8
	.type	_ZN7rocprim17ROCPRIM_400000_NS6detail17trampoline_kernelINS0_14default_configENS1_27scan_by_key_config_selectorIj11FixedVectorIiLj8EEEEZZNS1_16scan_by_key_implILNS1_25lookback_scan_determinismE0ELb0ES3_N6thrust23THRUST_200600_302600_NS6detail15normal_iteratorINSB_10device_ptrIjEEEENSD_INSE_IS6_EEEESI_S6_NSB_4plusIvEENSB_8equal_toIvEES6_EE10hipError_tPvRmT2_T3_T4_T5_mT6_T7_P12ihipStream_tbENKUlT_T0_E_clISt17integral_constantIbLb1EES12_IbLb0EEEEDaSY_SZ_EUlSY_E_NS1_11comp_targetILNS1_3genE9ELNS1_11target_archE1100ELNS1_3gpuE3ELNS1_3repE0EEENS1_30default_config_static_selectorELNS0_4arch9wavefront6targetE0EEEvT1_,@function
_ZN7rocprim17ROCPRIM_400000_NS6detail17trampoline_kernelINS0_14default_configENS1_27scan_by_key_config_selectorIj11FixedVectorIiLj8EEEEZZNS1_16scan_by_key_implILNS1_25lookback_scan_determinismE0ELb0ES3_N6thrust23THRUST_200600_302600_NS6detail15normal_iteratorINSB_10device_ptrIjEEEENSD_INSE_IS6_EEEESI_S6_NSB_4plusIvEENSB_8equal_toIvEES6_EE10hipError_tPvRmT2_T3_T4_T5_mT6_T7_P12ihipStream_tbENKUlT_T0_E_clISt17integral_constantIbLb1EES12_IbLb0EEEEDaSY_SZ_EUlSY_E_NS1_11comp_targetILNS1_3genE9ELNS1_11target_archE1100ELNS1_3gpuE3ELNS1_3repE0EEENS1_30default_config_static_selectorELNS0_4arch9wavefront6targetE0EEEvT1_: ; @_ZN7rocprim17ROCPRIM_400000_NS6detail17trampoline_kernelINS0_14default_configENS1_27scan_by_key_config_selectorIj11FixedVectorIiLj8EEEEZZNS1_16scan_by_key_implILNS1_25lookback_scan_determinismE0ELb0ES3_N6thrust23THRUST_200600_302600_NS6detail15normal_iteratorINSB_10device_ptrIjEEEENSD_INSE_IS6_EEEESI_S6_NSB_4plusIvEENSB_8equal_toIvEES6_EE10hipError_tPvRmT2_T3_T4_T5_mT6_T7_P12ihipStream_tbENKUlT_T0_E_clISt17integral_constantIbLb1EES12_IbLb0EEEEDaSY_SZ_EUlSY_E_NS1_11comp_targetILNS1_3genE9ELNS1_11target_archE1100ELNS1_3gpuE3ELNS1_3repE0EEENS1_30default_config_static_selectorELNS0_4arch9wavefront6targetE0EEEvT1_
; %bb.0:
	.section	.rodata,"a",@progbits
	.p2align	6, 0x0
	.amdhsa_kernel _ZN7rocprim17ROCPRIM_400000_NS6detail17trampoline_kernelINS0_14default_configENS1_27scan_by_key_config_selectorIj11FixedVectorIiLj8EEEEZZNS1_16scan_by_key_implILNS1_25lookback_scan_determinismE0ELb0ES3_N6thrust23THRUST_200600_302600_NS6detail15normal_iteratorINSB_10device_ptrIjEEEENSD_INSE_IS6_EEEESI_S6_NSB_4plusIvEENSB_8equal_toIvEES6_EE10hipError_tPvRmT2_T3_T4_T5_mT6_T7_P12ihipStream_tbENKUlT_T0_E_clISt17integral_constantIbLb1EES12_IbLb0EEEEDaSY_SZ_EUlSY_E_NS1_11comp_targetILNS1_3genE9ELNS1_11target_archE1100ELNS1_3gpuE3ELNS1_3repE0EEENS1_30default_config_static_selectorELNS0_4arch9wavefront6targetE0EEEvT1_
		.amdhsa_group_segment_fixed_size 0
		.amdhsa_private_segment_fixed_size 0
		.amdhsa_kernarg_size 160
		.amdhsa_user_sgpr_count 2
		.amdhsa_user_sgpr_dispatch_ptr 0
		.amdhsa_user_sgpr_queue_ptr 0
		.amdhsa_user_sgpr_kernarg_segment_ptr 1
		.amdhsa_user_sgpr_dispatch_id 0
		.amdhsa_user_sgpr_kernarg_preload_length 0
		.amdhsa_user_sgpr_kernarg_preload_offset 0
		.amdhsa_user_sgpr_private_segment_size 0
		.amdhsa_wavefront_size32 1
		.amdhsa_uses_dynamic_stack 0
		.amdhsa_enable_private_segment 0
		.amdhsa_system_sgpr_workgroup_id_x 1
		.amdhsa_system_sgpr_workgroup_id_y 0
		.amdhsa_system_sgpr_workgroup_id_z 0
		.amdhsa_system_sgpr_workgroup_info 0
		.amdhsa_system_vgpr_workitem_id 0
		.amdhsa_next_free_vgpr 1
		.amdhsa_next_free_sgpr 1
		.amdhsa_named_barrier_count 0
		.amdhsa_reserve_vcc 0
		.amdhsa_float_round_mode_32 0
		.amdhsa_float_round_mode_16_64 0
		.amdhsa_float_denorm_mode_32 3
		.amdhsa_float_denorm_mode_16_64 3
		.amdhsa_fp16_overflow 0
		.amdhsa_memory_ordered 1
		.amdhsa_forward_progress 1
		.amdhsa_inst_pref_size 0
		.amdhsa_round_robin_scheduling 0
		.amdhsa_exception_fp_ieee_invalid_op 0
		.amdhsa_exception_fp_denorm_src 0
		.amdhsa_exception_fp_ieee_div_zero 0
		.amdhsa_exception_fp_ieee_overflow 0
		.amdhsa_exception_fp_ieee_underflow 0
		.amdhsa_exception_fp_ieee_inexact 0
		.amdhsa_exception_int_div_zero 0
	.end_amdhsa_kernel
	.section	.text._ZN7rocprim17ROCPRIM_400000_NS6detail17trampoline_kernelINS0_14default_configENS1_27scan_by_key_config_selectorIj11FixedVectorIiLj8EEEEZZNS1_16scan_by_key_implILNS1_25lookback_scan_determinismE0ELb0ES3_N6thrust23THRUST_200600_302600_NS6detail15normal_iteratorINSB_10device_ptrIjEEEENSD_INSE_IS6_EEEESI_S6_NSB_4plusIvEENSB_8equal_toIvEES6_EE10hipError_tPvRmT2_T3_T4_T5_mT6_T7_P12ihipStream_tbENKUlT_T0_E_clISt17integral_constantIbLb1EES12_IbLb0EEEEDaSY_SZ_EUlSY_E_NS1_11comp_targetILNS1_3genE9ELNS1_11target_archE1100ELNS1_3gpuE3ELNS1_3repE0EEENS1_30default_config_static_selectorELNS0_4arch9wavefront6targetE0EEEvT1_,"axG",@progbits,_ZN7rocprim17ROCPRIM_400000_NS6detail17trampoline_kernelINS0_14default_configENS1_27scan_by_key_config_selectorIj11FixedVectorIiLj8EEEEZZNS1_16scan_by_key_implILNS1_25lookback_scan_determinismE0ELb0ES3_N6thrust23THRUST_200600_302600_NS6detail15normal_iteratorINSB_10device_ptrIjEEEENSD_INSE_IS6_EEEESI_S6_NSB_4plusIvEENSB_8equal_toIvEES6_EE10hipError_tPvRmT2_T3_T4_T5_mT6_T7_P12ihipStream_tbENKUlT_T0_E_clISt17integral_constantIbLb1EES12_IbLb0EEEEDaSY_SZ_EUlSY_E_NS1_11comp_targetILNS1_3genE9ELNS1_11target_archE1100ELNS1_3gpuE3ELNS1_3repE0EEENS1_30default_config_static_selectorELNS0_4arch9wavefront6targetE0EEEvT1_,comdat
.Lfunc_end2144:
	.size	_ZN7rocprim17ROCPRIM_400000_NS6detail17trampoline_kernelINS0_14default_configENS1_27scan_by_key_config_selectorIj11FixedVectorIiLj8EEEEZZNS1_16scan_by_key_implILNS1_25lookback_scan_determinismE0ELb0ES3_N6thrust23THRUST_200600_302600_NS6detail15normal_iteratorINSB_10device_ptrIjEEEENSD_INSE_IS6_EEEESI_S6_NSB_4plusIvEENSB_8equal_toIvEES6_EE10hipError_tPvRmT2_T3_T4_T5_mT6_T7_P12ihipStream_tbENKUlT_T0_E_clISt17integral_constantIbLb1EES12_IbLb0EEEEDaSY_SZ_EUlSY_E_NS1_11comp_targetILNS1_3genE9ELNS1_11target_archE1100ELNS1_3gpuE3ELNS1_3repE0EEENS1_30default_config_static_selectorELNS0_4arch9wavefront6targetE0EEEvT1_, .Lfunc_end2144-_ZN7rocprim17ROCPRIM_400000_NS6detail17trampoline_kernelINS0_14default_configENS1_27scan_by_key_config_selectorIj11FixedVectorIiLj8EEEEZZNS1_16scan_by_key_implILNS1_25lookback_scan_determinismE0ELb0ES3_N6thrust23THRUST_200600_302600_NS6detail15normal_iteratorINSB_10device_ptrIjEEEENSD_INSE_IS6_EEEESI_S6_NSB_4plusIvEENSB_8equal_toIvEES6_EE10hipError_tPvRmT2_T3_T4_T5_mT6_T7_P12ihipStream_tbENKUlT_T0_E_clISt17integral_constantIbLb1EES12_IbLb0EEEEDaSY_SZ_EUlSY_E_NS1_11comp_targetILNS1_3genE9ELNS1_11target_archE1100ELNS1_3gpuE3ELNS1_3repE0EEENS1_30default_config_static_selectorELNS0_4arch9wavefront6targetE0EEEvT1_
                                        ; -- End function
	.set _ZN7rocprim17ROCPRIM_400000_NS6detail17trampoline_kernelINS0_14default_configENS1_27scan_by_key_config_selectorIj11FixedVectorIiLj8EEEEZZNS1_16scan_by_key_implILNS1_25lookback_scan_determinismE0ELb0ES3_N6thrust23THRUST_200600_302600_NS6detail15normal_iteratorINSB_10device_ptrIjEEEENSD_INSE_IS6_EEEESI_S6_NSB_4plusIvEENSB_8equal_toIvEES6_EE10hipError_tPvRmT2_T3_T4_T5_mT6_T7_P12ihipStream_tbENKUlT_T0_E_clISt17integral_constantIbLb1EES12_IbLb0EEEEDaSY_SZ_EUlSY_E_NS1_11comp_targetILNS1_3genE9ELNS1_11target_archE1100ELNS1_3gpuE3ELNS1_3repE0EEENS1_30default_config_static_selectorELNS0_4arch9wavefront6targetE0EEEvT1_.num_vgpr, 0
	.set _ZN7rocprim17ROCPRIM_400000_NS6detail17trampoline_kernelINS0_14default_configENS1_27scan_by_key_config_selectorIj11FixedVectorIiLj8EEEEZZNS1_16scan_by_key_implILNS1_25lookback_scan_determinismE0ELb0ES3_N6thrust23THRUST_200600_302600_NS6detail15normal_iteratorINSB_10device_ptrIjEEEENSD_INSE_IS6_EEEESI_S6_NSB_4plusIvEENSB_8equal_toIvEES6_EE10hipError_tPvRmT2_T3_T4_T5_mT6_T7_P12ihipStream_tbENKUlT_T0_E_clISt17integral_constantIbLb1EES12_IbLb0EEEEDaSY_SZ_EUlSY_E_NS1_11comp_targetILNS1_3genE9ELNS1_11target_archE1100ELNS1_3gpuE3ELNS1_3repE0EEENS1_30default_config_static_selectorELNS0_4arch9wavefront6targetE0EEEvT1_.num_agpr, 0
	.set _ZN7rocprim17ROCPRIM_400000_NS6detail17trampoline_kernelINS0_14default_configENS1_27scan_by_key_config_selectorIj11FixedVectorIiLj8EEEEZZNS1_16scan_by_key_implILNS1_25lookback_scan_determinismE0ELb0ES3_N6thrust23THRUST_200600_302600_NS6detail15normal_iteratorINSB_10device_ptrIjEEEENSD_INSE_IS6_EEEESI_S6_NSB_4plusIvEENSB_8equal_toIvEES6_EE10hipError_tPvRmT2_T3_T4_T5_mT6_T7_P12ihipStream_tbENKUlT_T0_E_clISt17integral_constantIbLb1EES12_IbLb0EEEEDaSY_SZ_EUlSY_E_NS1_11comp_targetILNS1_3genE9ELNS1_11target_archE1100ELNS1_3gpuE3ELNS1_3repE0EEENS1_30default_config_static_selectorELNS0_4arch9wavefront6targetE0EEEvT1_.numbered_sgpr, 0
	.set _ZN7rocprim17ROCPRIM_400000_NS6detail17trampoline_kernelINS0_14default_configENS1_27scan_by_key_config_selectorIj11FixedVectorIiLj8EEEEZZNS1_16scan_by_key_implILNS1_25lookback_scan_determinismE0ELb0ES3_N6thrust23THRUST_200600_302600_NS6detail15normal_iteratorINSB_10device_ptrIjEEEENSD_INSE_IS6_EEEESI_S6_NSB_4plusIvEENSB_8equal_toIvEES6_EE10hipError_tPvRmT2_T3_T4_T5_mT6_T7_P12ihipStream_tbENKUlT_T0_E_clISt17integral_constantIbLb1EES12_IbLb0EEEEDaSY_SZ_EUlSY_E_NS1_11comp_targetILNS1_3genE9ELNS1_11target_archE1100ELNS1_3gpuE3ELNS1_3repE0EEENS1_30default_config_static_selectorELNS0_4arch9wavefront6targetE0EEEvT1_.num_named_barrier, 0
	.set _ZN7rocprim17ROCPRIM_400000_NS6detail17trampoline_kernelINS0_14default_configENS1_27scan_by_key_config_selectorIj11FixedVectorIiLj8EEEEZZNS1_16scan_by_key_implILNS1_25lookback_scan_determinismE0ELb0ES3_N6thrust23THRUST_200600_302600_NS6detail15normal_iteratorINSB_10device_ptrIjEEEENSD_INSE_IS6_EEEESI_S6_NSB_4plusIvEENSB_8equal_toIvEES6_EE10hipError_tPvRmT2_T3_T4_T5_mT6_T7_P12ihipStream_tbENKUlT_T0_E_clISt17integral_constantIbLb1EES12_IbLb0EEEEDaSY_SZ_EUlSY_E_NS1_11comp_targetILNS1_3genE9ELNS1_11target_archE1100ELNS1_3gpuE3ELNS1_3repE0EEENS1_30default_config_static_selectorELNS0_4arch9wavefront6targetE0EEEvT1_.private_seg_size, 0
	.set _ZN7rocprim17ROCPRIM_400000_NS6detail17trampoline_kernelINS0_14default_configENS1_27scan_by_key_config_selectorIj11FixedVectorIiLj8EEEEZZNS1_16scan_by_key_implILNS1_25lookback_scan_determinismE0ELb0ES3_N6thrust23THRUST_200600_302600_NS6detail15normal_iteratorINSB_10device_ptrIjEEEENSD_INSE_IS6_EEEESI_S6_NSB_4plusIvEENSB_8equal_toIvEES6_EE10hipError_tPvRmT2_T3_T4_T5_mT6_T7_P12ihipStream_tbENKUlT_T0_E_clISt17integral_constantIbLb1EES12_IbLb0EEEEDaSY_SZ_EUlSY_E_NS1_11comp_targetILNS1_3genE9ELNS1_11target_archE1100ELNS1_3gpuE3ELNS1_3repE0EEENS1_30default_config_static_selectorELNS0_4arch9wavefront6targetE0EEEvT1_.uses_vcc, 0
	.set _ZN7rocprim17ROCPRIM_400000_NS6detail17trampoline_kernelINS0_14default_configENS1_27scan_by_key_config_selectorIj11FixedVectorIiLj8EEEEZZNS1_16scan_by_key_implILNS1_25lookback_scan_determinismE0ELb0ES3_N6thrust23THRUST_200600_302600_NS6detail15normal_iteratorINSB_10device_ptrIjEEEENSD_INSE_IS6_EEEESI_S6_NSB_4plusIvEENSB_8equal_toIvEES6_EE10hipError_tPvRmT2_T3_T4_T5_mT6_T7_P12ihipStream_tbENKUlT_T0_E_clISt17integral_constantIbLb1EES12_IbLb0EEEEDaSY_SZ_EUlSY_E_NS1_11comp_targetILNS1_3genE9ELNS1_11target_archE1100ELNS1_3gpuE3ELNS1_3repE0EEENS1_30default_config_static_selectorELNS0_4arch9wavefront6targetE0EEEvT1_.uses_flat_scratch, 0
	.set _ZN7rocprim17ROCPRIM_400000_NS6detail17trampoline_kernelINS0_14default_configENS1_27scan_by_key_config_selectorIj11FixedVectorIiLj8EEEEZZNS1_16scan_by_key_implILNS1_25lookback_scan_determinismE0ELb0ES3_N6thrust23THRUST_200600_302600_NS6detail15normal_iteratorINSB_10device_ptrIjEEEENSD_INSE_IS6_EEEESI_S6_NSB_4plusIvEENSB_8equal_toIvEES6_EE10hipError_tPvRmT2_T3_T4_T5_mT6_T7_P12ihipStream_tbENKUlT_T0_E_clISt17integral_constantIbLb1EES12_IbLb0EEEEDaSY_SZ_EUlSY_E_NS1_11comp_targetILNS1_3genE9ELNS1_11target_archE1100ELNS1_3gpuE3ELNS1_3repE0EEENS1_30default_config_static_selectorELNS0_4arch9wavefront6targetE0EEEvT1_.has_dyn_sized_stack, 0
	.set _ZN7rocprim17ROCPRIM_400000_NS6detail17trampoline_kernelINS0_14default_configENS1_27scan_by_key_config_selectorIj11FixedVectorIiLj8EEEEZZNS1_16scan_by_key_implILNS1_25lookback_scan_determinismE0ELb0ES3_N6thrust23THRUST_200600_302600_NS6detail15normal_iteratorINSB_10device_ptrIjEEEENSD_INSE_IS6_EEEESI_S6_NSB_4plusIvEENSB_8equal_toIvEES6_EE10hipError_tPvRmT2_T3_T4_T5_mT6_T7_P12ihipStream_tbENKUlT_T0_E_clISt17integral_constantIbLb1EES12_IbLb0EEEEDaSY_SZ_EUlSY_E_NS1_11comp_targetILNS1_3genE9ELNS1_11target_archE1100ELNS1_3gpuE3ELNS1_3repE0EEENS1_30default_config_static_selectorELNS0_4arch9wavefront6targetE0EEEvT1_.has_recursion, 0
	.set _ZN7rocprim17ROCPRIM_400000_NS6detail17trampoline_kernelINS0_14default_configENS1_27scan_by_key_config_selectorIj11FixedVectorIiLj8EEEEZZNS1_16scan_by_key_implILNS1_25lookback_scan_determinismE0ELb0ES3_N6thrust23THRUST_200600_302600_NS6detail15normal_iteratorINSB_10device_ptrIjEEEENSD_INSE_IS6_EEEESI_S6_NSB_4plusIvEENSB_8equal_toIvEES6_EE10hipError_tPvRmT2_T3_T4_T5_mT6_T7_P12ihipStream_tbENKUlT_T0_E_clISt17integral_constantIbLb1EES12_IbLb0EEEEDaSY_SZ_EUlSY_E_NS1_11comp_targetILNS1_3genE9ELNS1_11target_archE1100ELNS1_3gpuE3ELNS1_3repE0EEENS1_30default_config_static_selectorELNS0_4arch9wavefront6targetE0EEEvT1_.has_indirect_call, 0
	.section	.AMDGPU.csdata,"",@progbits
; Kernel info:
; codeLenInByte = 0
; TotalNumSgprs: 0
; NumVgprs: 0
; ScratchSize: 0
; MemoryBound: 0
; FloatMode: 240
; IeeeMode: 1
; LDSByteSize: 0 bytes/workgroup (compile time only)
; SGPRBlocks: 0
; VGPRBlocks: 0
; NumSGPRsForWavesPerEU: 1
; NumVGPRsForWavesPerEU: 1
; NamedBarCnt: 0
; Occupancy: 16
; WaveLimiterHint : 0
; COMPUTE_PGM_RSRC2:SCRATCH_EN: 0
; COMPUTE_PGM_RSRC2:USER_SGPR: 2
; COMPUTE_PGM_RSRC2:TRAP_HANDLER: 0
; COMPUTE_PGM_RSRC2:TGID_X_EN: 1
; COMPUTE_PGM_RSRC2:TGID_Y_EN: 0
; COMPUTE_PGM_RSRC2:TGID_Z_EN: 0
; COMPUTE_PGM_RSRC2:TIDIG_COMP_CNT: 0
	.section	.text._ZN7rocprim17ROCPRIM_400000_NS6detail17trampoline_kernelINS0_14default_configENS1_27scan_by_key_config_selectorIj11FixedVectorIiLj8EEEEZZNS1_16scan_by_key_implILNS1_25lookback_scan_determinismE0ELb0ES3_N6thrust23THRUST_200600_302600_NS6detail15normal_iteratorINSB_10device_ptrIjEEEENSD_INSE_IS6_EEEESI_S6_NSB_4plusIvEENSB_8equal_toIvEES6_EE10hipError_tPvRmT2_T3_T4_T5_mT6_T7_P12ihipStream_tbENKUlT_T0_E_clISt17integral_constantIbLb1EES12_IbLb0EEEEDaSY_SZ_EUlSY_E_NS1_11comp_targetILNS1_3genE8ELNS1_11target_archE1030ELNS1_3gpuE2ELNS1_3repE0EEENS1_30default_config_static_selectorELNS0_4arch9wavefront6targetE0EEEvT1_,"axG",@progbits,_ZN7rocprim17ROCPRIM_400000_NS6detail17trampoline_kernelINS0_14default_configENS1_27scan_by_key_config_selectorIj11FixedVectorIiLj8EEEEZZNS1_16scan_by_key_implILNS1_25lookback_scan_determinismE0ELb0ES3_N6thrust23THRUST_200600_302600_NS6detail15normal_iteratorINSB_10device_ptrIjEEEENSD_INSE_IS6_EEEESI_S6_NSB_4plusIvEENSB_8equal_toIvEES6_EE10hipError_tPvRmT2_T3_T4_T5_mT6_T7_P12ihipStream_tbENKUlT_T0_E_clISt17integral_constantIbLb1EES12_IbLb0EEEEDaSY_SZ_EUlSY_E_NS1_11comp_targetILNS1_3genE8ELNS1_11target_archE1030ELNS1_3gpuE2ELNS1_3repE0EEENS1_30default_config_static_selectorELNS0_4arch9wavefront6targetE0EEEvT1_,comdat
	.protected	_ZN7rocprim17ROCPRIM_400000_NS6detail17trampoline_kernelINS0_14default_configENS1_27scan_by_key_config_selectorIj11FixedVectorIiLj8EEEEZZNS1_16scan_by_key_implILNS1_25lookback_scan_determinismE0ELb0ES3_N6thrust23THRUST_200600_302600_NS6detail15normal_iteratorINSB_10device_ptrIjEEEENSD_INSE_IS6_EEEESI_S6_NSB_4plusIvEENSB_8equal_toIvEES6_EE10hipError_tPvRmT2_T3_T4_T5_mT6_T7_P12ihipStream_tbENKUlT_T0_E_clISt17integral_constantIbLb1EES12_IbLb0EEEEDaSY_SZ_EUlSY_E_NS1_11comp_targetILNS1_3genE8ELNS1_11target_archE1030ELNS1_3gpuE2ELNS1_3repE0EEENS1_30default_config_static_selectorELNS0_4arch9wavefront6targetE0EEEvT1_ ; -- Begin function _ZN7rocprim17ROCPRIM_400000_NS6detail17trampoline_kernelINS0_14default_configENS1_27scan_by_key_config_selectorIj11FixedVectorIiLj8EEEEZZNS1_16scan_by_key_implILNS1_25lookback_scan_determinismE0ELb0ES3_N6thrust23THRUST_200600_302600_NS6detail15normal_iteratorINSB_10device_ptrIjEEEENSD_INSE_IS6_EEEESI_S6_NSB_4plusIvEENSB_8equal_toIvEES6_EE10hipError_tPvRmT2_T3_T4_T5_mT6_T7_P12ihipStream_tbENKUlT_T0_E_clISt17integral_constantIbLb1EES12_IbLb0EEEEDaSY_SZ_EUlSY_E_NS1_11comp_targetILNS1_3genE8ELNS1_11target_archE1030ELNS1_3gpuE2ELNS1_3repE0EEENS1_30default_config_static_selectorELNS0_4arch9wavefront6targetE0EEEvT1_
	.globl	_ZN7rocprim17ROCPRIM_400000_NS6detail17trampoline_kernelINS0_14default_configENS1_27scan_by_key_config_selectorIj11FixedVectorIiLj8EEEEZZNS1_16scan_by_key_implILNS1_25lookback_scan_determinismE0ELb0ES3_N6thrust23THRUST_200600_302600_NS6detail15normal_iteratorINSB_10device_ptrIjEEEENSD_INSE_IS6_EEEESI_S6_NSB_4plusIvEENSB_8equal_toIvEES6_EE10hipError_tPvRmT2_T3_T4_T5_mT6_T7_P12ihipStream_tbENKUlT_T0_E_clISt17integral_constantIbLb1EES12_IbLb0EEEEDaSY_SZ_EUlSY_E_NS1_11comp_targetILNS1_3genE8ELNS1_11target_archE1030ELNS1_3gpuE2ELNS1_3repE0EEENS1_30default_config_static_selectorELNS0_4arch9wavefront6targetE0EEEvT1_
	.p2align	8
	.type	_ZN7rocprim17ROCPRIM_400000_NS6detail17trampoline_kernelINS0_14default_configENS1_27scan_by_key_config_selectorIj11FixedVectorIiLj8EEEEZZNS1_16scan_by_key_implILNS1_25lookback_scan_determinismE0ELb0ES3_N6thrust23THRUST_200600_302600_NS6detail15normal_iteratorINSB_10device_ptrIjEEEENSD_INSE_IS6_EEEESI_S6_NSB_4plusIvEENSB_8equal_toIvEES6_EE10hipError_tPvRmT2_T3_T4_T5_mT6_T7_P12ihipStream_tbENKUlT_T0_E_clISt17integral_constantIbLb1EES12_IbLb0EEEEDaSY_SZ_EUlSY_E_NS1_11comp_targetILNS1_3genE8ELNS1_11target_archE1030ELNS1_3gpuE2ELNS1_3repE0EEENS1_30default_config_static_selectorELNS0_4arch9wavefront6targetE0EEEvT1_,@function
_ZN7rocprim17ROCPRIM_400000_NS6detail17trampoline_kernelINS0_14default_configENS1_27scan_by_key_config_selectorIj11FixedVectorIiLj8EEEEZZNS1_16scan_by_key_implILNS1_25lookback_scan_determinismE0ELb0ES3_N6thrust23THRUST_200600_302600_NS6detail15normal_iteratorINSB_10device_ptrIjEEEENSD_INSE_IS6_EEEESI_S6_NSB_4plusIvEENSB_8equal_toIvEES6_EE10hipError_tPvRmT2_T3_T4_T5_mT6_T7_P12ihipStream_tbENKUlT_T0_E_clISt17integral_constantIbLb1EES12_IbLb0EEEEDaSY_SZ_EUlSY_E_NS1_11comp_targetILNS1_3genE8ELNS1_11target_archE1030ELNS1_3gpuE2ELNS1_3repE0EEENS1_30default_config_static_selectorELNS0_4arch9wavefront6targetE0EEEvT1_: ; @_ZN7rocprim17ROCPRIM_400000_NS6detail17trampoline_kernelINS0_14default_configENS1_27scan_by_key_config_selectorIj11FixedVectorIiLj8EEEEZZNS1_16scan_by_key_implILNS1_25lookback_scan_determinismE0ELb0ES3_N6thrust23THRUST_200600_302600_NS6detail15normal_iteratorINSB_10device_ptrIjEEEENSD_INSE_IS6_EEEESI_S6_NSB_4plusIvEENSB_8equal_toIvEES6_EE10hipError_tPvRmT2_T3_T4_T5_mT6_T7_P12ihipStream_tbENKUlT_T0_E_clISt17integral_constantIbLb1EES12_IbLb0EEEEDaSY_SZ_EUlSY_E_NS1_11comp_targetILNS1_3genE8ELNS1_11target_archE1030ELNS1_3gpuE2ELNS1_3repE0EEENS1_30default_config_static_selectorELNS0_4arch9wavefront6targetE0EEEvT1_
; %bb.0:
	.section	.rodata,"a",@progbits
	.p2align	6, 0x0
	.amdhsa_kernel _ZN7rocprim17ROCPRIM_400000_NS6detail17trampoline_kernelINS0_14default_configENS1_27scan_by_key_config_selectorIj11FixedVectorIiLj8EEEEZZNS1_16scan_by_key_implILNS1_25lookback_scan_determinismE0ELb0ES3_N6thrust23THRUST_200600_302600_NS6detail15normal_iteratorINSB_10device_ptrIjEEEENSD_INSE_IS6_EEEESI_S6_NSB_4plusIvEENSB_8equal_toIvEES6_EE10hipError_tPvRmT2_T3_T4_T5_mT6_T7_P12ihipStream_tbENKUlT_T0_E_clISt17integral_constantIbLb1EES12_IbLb0EEEEDaSY_SZ_EUlSY_E_NS1_11comp_targetILNS1_3genE8ELNS1_11target_archE1030ELNS1_3gpuE2ELNS1_3repE0EEENS1_30default_config_static_selectorELNS0_4arch9wavefront6targetE0EEEvT1_
		.amdhsa_group_segment_fixed_size 0
		.amdhsa_private_segment_fixed_size 0
		.amdhsa_kernarg_size 160
		.amdhsa_user_sgpr_count 2
		.amdhsa_user_sgpr_dispatch_ptr 0
		.amdhsa_user_sgpr_queue_ptr 0
		.amdhsa_user_sgpr_kernarg_segment_ptr 1
		.amdhsa_user_sgpr_dispatch_id 0
		.amdhsa_user_sgpr_kernarg_preload_length 0
		.amdhsa_user_sgpr_kernarg_preload_offset 0
		.amdhsa_user_sgpr_private_segment_size 0
		.amdhsa_wavefront_size32 1
		.amdhsa_uses_dynamic_stack 0
		.amdhsa_enable_private_segment 0
		.amdhsa_system_sgpr_workgroup_id_x 1
		.amdhsa_system_sgpr_workgroup_id_y 0
		.amdhsa_system_sgpr_workgroup_id_z 0
		.amdhsa_system_sgpr_workgroup_info 0
		.amdhsa_system_vgpr_workitem_id 0
		.amdhsa_next_free_vgpr 1
		.amdhsa_next_free_sgpr 1
		.amdhsa_named_barrier_count 0
		.amdhsa_reserve_vcc 0
		.amdhsa_float_round_mode_32 0
		.amdhsa_float_round_mode_16_64 0
		.amdhsa_float_denorm_mode_32 3
		.amdhsa_float_denorm_mode_16_64 3
		.amdhsa_fp16_overflow 0
		.amdhsa_memory_ordered 1
		.amdhsa_forward_progress 1
		.amdhsa_inst_pref_size 0
		.amdhsa_round_robin_scheduling 0
		.amdhsa_exception_fp_ieee_invalid_op 0
		.amdhsa_exception_fp_denorm_src 0
		.amdhsa_exception_fp_ieee_div_zero 0
		.amdhsa_exception_fp_ieee_overflow 0
		.amdhsa_exception_fp_ieee_underflow 0
		.amdhsa_exception_fp_ieee_inexact 0
		.amdhsa_exception_int_div_zero 0
	.end_amdhsa_kernel
	.section	.text._ZN7rocprim17ROCPRIM_400000_NS6detail17trampoline_kernelINS0_14default_configENS1_27scan_by_key_config_selectorIj11FixedVectorIiLj8EEEEZZNS1_16scan_by_key_implILNS1_25lookback_scan_determinismE0ELb0ES3_N6thrust23THRUST_200600_302600_NS6detail15normal_iteratorINSB_10device_ptrIjEEEENSD_INSE_IS6_EEEESI_S6_NSB_4plusIvEENSB_8equal_toIvEES6_EE10hipError_tPvRmT2_T3_T4_T5_mT6_T7_P12ihipStream_tbENKUlT_T0_E_clISt17integral_constantIbLb1EES12_IbLb0EEEEDaSY_SZ_EUlSY_E_NS1_11comp_targetILNS1_3genE8ELNS1_11target_archE1030ELNS1_3gpuE2ELNS1_3repE0EEENS1_30default_config_static_selectorELNS0_4arch9wavefront6targetE0EEEvT1_,"axG",@progbits,_ZN7rocprim17ROCPRIM_400000_NS6detail17trampoline_kernelINS0_14default_configENS1_27scan_by_key_config_selectorIj11FixedVectorIiLj8EEEEZZNS1_16scan_by_key_implILNS1_25lookback_scan_determinismE0ELb0ES3_N6thrust23THRUST_200600_302600_NS6detail15normal_iteratorINSB_10device_ptrIjEEEENSD_INSE_IS6_EEEESI_S6_NSB_4plusIvEENSB_8equal_toIvEES6_EE10hipError_tPvRmT2_T3_T4_T5_mT6_T7_P12ihipStream_tbENKUlT_T0_E_clISt17integral_constantIbLb1EES12_IbLb0EEEEDaSY_SZ_EUlSY_E_NS1_11comp_targetILNS1_3genE8ELNS1_11target_archE1030ELNS1_3gpuE2ELNS1_3repE0EEENS1_30default_config_static_selectorELNS0_4arch9wavefront6targetE0EEEvT1_,comdat
.Lfunc_end2145:
	.size	_ZN7rocprim17ROCPRIM_400000_NS6detail17trampoline_kernelINS0_14default_configENS1_27scan_by_key_config_selectorIj11FixedVectorIiLj8EEEEZZNS1_16scan_by_key_implILNS1_25lookback_scan_determinismE0ELb0ES3_N6thrust23THRUST_200600_302600_NS6detail15normal_iteratorINSB_10device_ptrIjEEEENSD_INSE_IS6_EEEESI_S6_NSB_4plusIvEENSB_8equal_toIvEES6_EE10hipError_tPvRmT2_T3_T4_T5_mT6_T7_P12ihipStream_tbENKUlT_T0_E_clISt17integral_constantIbLb1EES12_IbLb0EEEEDaSY_SZ_EUlSY_E_NS1_11comp_targetILNS1_3genE8ELNS1_11target_archE1030ELNS1_3gpuE2ELNS1_3repE0EEENS1_30default_config_static_selectorELNS0_4arch9wavefront6targetE0EEEvT1_, .Lfunc_end2145-_ZN7rocprim17ROCPRIM_400000_NS6detail17trampoline_kernelINS0_14default_configENS1_27scan_by_key_config_selectorIj11FixedVectorIiLj8EEEEZZNS1_16scan_by_key_implILNS1_25lookback_scan_determinismE0ELb0ES3_N6thrust23THRUST_200600_302600_NS6detail15normal_iteratorINSB_10device_ptrIjEEEENSD_INSE_IS6_EEEESI_S6_NSB_4plusIvEENSB_8equal_toIvEES6_EE10hipError_tPvRmT2_T3_T4_T5_mT6_T7_P12ihipStream_tbENKUlT_T0_E_clISt17integral_constantIbLb1EES12_IbLb0EEEEDaSY_SZ_EUlSY_E_NS1_11comp_targetILNS1_3genE8ELNS1_11target_archE1030ELNS1_3gpuE2ELNS1_3repE0EEENS1_30default_config_static_selectorELNS0_4arch9wavefront6targetE0EEEvT1_
                                        ; -- End function
	.set _ZN7rocprim17ROCPRIM_400000_NS6detail17trampoline_kernelINS0_14default_configENS1_27scan_by_key_config_selectorIj11FixedVectorIiLj8EEEEZZNS1_16scan_by_key_implILNS1_25lookback_scan_determinismE0ELb0ES3_N6thrust23THRUST_200600_302600_NS6detail15normal_iteratorINSB_10device_ptrIjEEEENSD_INSE_IS6_EEEESI_S6_NSB_4plusIvEENSB_8equal_toIvEES6_EE10hipError_tPvRmT2_T3_T4_T5_mT6_T7_P12ihipStream_tbENKUlT_T0_E_clISt17integral_constantIbLb1EES12_IbLb0EEEEDaSY_SZ_EUlSY_E_NS1_11comp_targetILNS1_3genE8ELNS1_11target_archE1030ELNS1_3gpuE2ELNS1_3repE0EEENS1_30default_config_static_selectorELNS0_4arch9wavefront6targetE0EEEvT1_.num_vgpr, 0
	.set _ZN7rocprim17ROCPRIM_400000_NS6detail17trampoline_kernelINS0_14default_configENS1_27scan_by_key_config_selectorIj11FixedVectorIiLj8EEEEZZNS1_16scan_by_key_implILNS1_25lookback_scan_determinismE0ELb0ES3_N6thrust23THRUST_200600_302600_NS6detail15normal_iteratorINSB_10device_ptrIjEEEENSD_INSE_IS6_EEEESI_S6_NSB_4plusIvEENSB_8equal_toIvEES6_EE10hipError_tPvRmT2_T3_T4_T5_mT6_T7_P12ihipStream_tbENKUlT_T0_E_clISt17integral_constantIbLb1EES12_IbLb0EEEEDaSY_SZ_EUlSY_E_NS1_11comp_targetILNS1_3genE8ELNS1_11target_archE1030ELNS1_3gpuE2ELNS1_3repE0EEENS1_30default_config_static_selectorELNS0_4arch9wavefront6targetE0EEEvT1_.num_agpr, 0
	.set _ZN7rocprim17ROCPRIM_400000_NS6detail17trampoline_kernelINS0_14default_configENS1_27scan_by_key_config_selectorIj11FixedVectorIiLj8EEEEZZNS1_16scan_by_key_implILNS1_25lookback_scan_determinismE0ELb0ES3_N6thrust23THRUST_200600_302600_NS6detail15normal_iteratorINSB_10device_ptrIjEEEENSD_INSE_IS6_EEEESI_S6_NSB_4plusIvEENSB_8equal_toIvEES6_EE10hipError_tPvRmT2_T3_T4_T5_mT6_T7_P12ihipStream_tbENKUlT_T0_E_clISt17integral_constantIbLb1EES12_IbLb0EEEEDaSY_SZ_EUlSY_E_NS1_11comp_targetILNS1_3genE8ELNS1_11target_archE1030ELNS1_3gpuE2ELNS1_3repE0EEENS1_30default_config_static_selectorELNS0_4arch9wavefront6targetE0EEEvT1_.numbered_sgpr, 0
	.set _ZN7rocprim17ROCPRIM_400000_NS6detail17trampoline_kernelINS0_14default_configENS1_27scan_by_key_config_selectorIj11FixedVectorIiLj8EEEEZZNS1_16scan_by_key_implILNS1_25lookback_scan_determinismE0ELb0ES3_N6thrust23THRUST_200600_302600_NS6detail15normal_iteratorINSB_10device_ptrIjEEEENSD_INSE_IS6_EEEESI_S6_NSB_4plusIvEENSB_8equal_toIvEES6_EE10hipError_tPvRmT2_T3_T4_T5_mT6_T7_P12ihipStream_tbENKUlT_T0_E_clISt17integral_constantIbLb1EES12_IbLb0EEEEDaSY_SZ_EUlSY_E_NS1_11comp_targetILNS1_3genE8ELNS1_11target_archE1030ELNS1_3gpuE2ELNS1_3repE0EEENS1_30default_config_static_selectorELNS0_4arch9wavefront6targetE0EEEvT1_.num_named_barrier, 0
	.set _ZN7rocprim17ROCPRIM_400000_NS6detail17trampoline_kernelINS0_14default_configENS1_27scan_by_key_config_selectorIj11FixedVectorIiLj8EEEEZZNS1_16scan_by_key_implILNS1_25lookback_scan_determinismE0ELb0ES3_N6thrust23THRUST_200600_302600_NS6detail15normal_iteratorINSB_10device_ptrIjEEEENSD_INSE_IS6_EEEESI_S6_NSB_4plusIvEENSB_8equal_toIvEES6_EE10hipError_tPvRmT2_T3_T4_T5_mT6_T7_P12ihipStream_tbENKUlT_T0_E_clISt17integral_constantIbLb1EES12_IbLb0EEEEDaSY_SZ_EUlSY_E_NS1_11comp_targetILNS1_3genE8ELNS1_11target_archE1030ELNS1_3gpuE2ELNS1_3repE0EEENS1_30default_config_static_selectorELNS0_4arch9wavefront6targetE0EEEvT1_.private_seg_size, 0
	.set _ZN7rocprim17ROCPRIM_400000_NS6detail17trampoline_kernelINS0_14default_configENS1_27scan_by_key_config_selectorIj11FixedVectorIiLj8EEEEZZNS1_16scan_by_key_implILNS1_25lookback_scan_determinismE0ELb0ES3_N6thrust23THRUST_200600_302600_NS6detail15normal_iteratorINSB_10device_ptrIjEEEENSD_INSE_IS6_EEEESI_S6_NSB_4plusIvEENSB_8equal_toIvEES6_EE10hipError_tPvRmT2_T3_T4_T5_mT6_T7_P12ihipStream_tbENKUlT_T0_E_clISt17integral_constantIbLb1EES12_IbLb0EEEEDaSY_SZ_EUlSY_E_NS1_11comp_targetILNS1_3genE8ELNS1_11target_archE1030ELNS1_3gpuE2ELNS1_3repE0EEENS1_30default_config_static_selectorELNS0_4arch9wavefront6targetE0EEEvT1_.uses_vcc, 0
	.set _ZN7rocprim17ROCPRIM_400000_NS6detail17trampoline_kernelINS0_14default_configENS1_27scan_by_key_config_selectorIj11FixedVectorIiLj8EEEEZZNS1_16scan_by_key_implILNS1_25lookback_scan_determinismE0ELb0ES3_N6thrust23THRUST_200600_302600_NS6detail15normal_iteratorINSB_10device_ptrIjEEEENSD_INSE_IS6_EEEESI_S6_NSB_4plusIvEENSB_8equal_toIvEES6_EE10hipError_tPvRmT2_T3_T4_T5_mT6_T7_P12ihipStream_tbENKUlT_T0_E_clISt17integral_constantIbLb1EES12_IbLb0EEEEDaSY_SZ_EUlSY_E_NS1_11comp_targetILNS1_3genE8ELNS1_11target_archE1030ELNS1_3gpuE2ELNS1_3repE0EEENS1_30default_config_static_selectorELNS0_4arch9wavefront6targetE0EEEvT1_.uses_flat_scratch, 0
	.set _ZN7rocprim17ROCPRIM_400000_NS6detail17trampoline_kernelINS0_14default_configENS1_27scan_by_key_config_selectorIj11FixedVectorIiLj8EEEEZZNS1_16scan_by_key_implILNS1_25lookback_scan_determinismE0ELb0ES3_N6thrust23THRUST_200600_302600_NS6detail15normal_iteratorINSB_10device_ptrIjEEEENSD_INSE_IS6_EEEESI_S6_NSB_4plusIvEENSB_8equal_toIvEES6_EE10hipError_tPvRmT2_T3_T4_T5_mT6_T7_P12ihipStream_tbENKUlT_T0_E_clISt17integral_constantIbLb1EES12_IbLb0EEEEDaSY_SZ_EUlSY_E_NS1_11comp_targetILNS1_3genE8ELNS1_11target_archE1030ELNS1_3gpuE2ELNS1_3repE0EEENS1_30default_config_static_selectorELNS0_4arch9wavefront6targetE0EEEvT1_.has_dyn_sized_stack, 0
	.set _ZN7rocprim17ROCPRIM_400000_NS6detail17trampoline_kernelINS0_14default_configENS1_27scan_by_key_config_selectorIj11FixedVectorIiLj8EEEEZZNS1_16scan_by_key_implILNS1_25lookback_scan_determinismE0ELb0ES3_N6thrust23THRUST_200600_302600_NS6detail15normal_iteratorINSB_10device_ptrIjEEEENSD_INSE_IS6_EEEESI_S6_NSB_4plusIvEENSB_8equal_toIvEES6_EE10hipError_tPvRmT2_T3_T4_T5_mT6_T7_P12ihipStream_tbENKUlT_T0_E_clISt17integral_constantIbLb1EES12_IbLb0EEEEDaSY_SZ_EUlSY_E_NS1_11comp_targetILNS1_3genE8ELNS1_11target_archE1030ELNS1_3gpuE2ELNS1_3repE0EEENS1_30default_config_static_selectorELNS0_4arch9wavefront6targetE0EEEvT1_.has_recursion, 0
	.set _ZN7rocprim17ROCPRIM_400000_NS6detail17trampoline_kernelINS0_14default_configENS1_27scan_by_key_config_selectorIj11FixedVectorIiLj8EEEEZZNS1_16scan_by_key_implILNS1_25lookback_scan_determinismE0ELb0ES3_N6thrust23THRUST_200600_302600_NS6detail15normal_iteratorINSB_10device_ptrIjEEEENSD_INSE_IS6_EEEESI_S6_NSB_4plusIvEENSB_8equal_toIvEES6_EE10hipError_tPvRmT2_T3_T4_T5_mT6_T7_P12ihipStream_tbENKUlT_T0_E_clISt17integral_constantIbLb1EES12_IbLb0EEEEDaSY_SZ_EUlSY_E_NS1_11comp_targetILNS1_3genE8ELNS1_11target_archE1030ELNS1_3gpuE2ELNS1_3repE0EEENS1_30default_config_static_selectorELNS0_4arch9wavefront6targetE0EEEvT1_.has_indirect_call, 0
	.section	.AMDGPU.csdata,"",@progbits
; Kernel info:
; codeLenInByte = 0
; TotalNumSgprs: 0
; NumVgprs: 0
; ScratchSize: 0
; MemoryBound: 0
; FloatMode: 240
; IeeeMode: 1
; LDSByteSize: 0 bytes/workgroup (compile time only)
; SGPRBlocks: 0
; VGPRBlocks: 0
; NumSGPRsForWavesPerEU: 1
; NumVGPRsForWavesPerEU: 1
; NamedBarCnt: 0
; Occupancy: 16
; WaveLimiterHint : 0
; COMPUTE_PGM_RSRC2:SCRATCH_EN: 0
; COMPUTE_PGM_RSRC2:USER_SGPR: 2
; COMPUTE_PGM_RSRC2:TRAP_HANDLER: 0
; COMPUTE_PGM_RSRC2:TGID_X_EN: 1
; COMPUTE_PGM_RSRC2:TGID_Y_EN: 0
; COMPUTE_PGM_RSRC2:TGID_Z_EN: 0
; COMPUTE_PGM_RSRC2:TIDIG_COMP_CNT: 0
	.section	.text._ZN7rocprim17ROCPRIM_400000_NS6detail30init_device_scan_by_key_kernelINS1_19lookback_scan_stateINS0_5tupleIJ11FixedVectorIiLj8EEbEEELb0ELb0EEEN6thrust23THRUST_200600_302600_NS6detail15normal_iteratorINSA_10device_ptrIjEEEEjNS1_16block_id_wrapperIjLb1EEEEEvT_jjPNSI_10value_typeET0_PNSt15iterator_traitsISL_E10value_typeEmT1_T2_,"axG",@progbits,_ZN7rocprim17ROCPRIM_400000_NS6detail30init_device_scan_by_key_kernelINS1_19lookback_scan_stateINS0_5tupleIJ11FixedVectorIiLj8EEbEEELb0ELb0EEEN6thrust23THRUST_200600_302600_NS6detail15normal_iteratorINSA_10device_ptrIjEEEEjNS1_16block_id_wrapperIjLb1EEEEEvT_jjPNSI_10value_typeET0_PNSt15iterator_traitsISL_E10value_typeEmT1_T2_,comdat
	.protected	_ZN7rocprim17ROCPRIM_400000_NS6detail30init_device_scan_by_key_kernelINS1_19lookback_scan_stateINS0_5tupleIJ11FixedVectorIiLj8EEbEEELb0ELb0EEEN6thrust23THRUST_200600_302600_NS6detail15normal_iteratorINSA_10device_ptrIjEEEEjNS1_16block_id_wrapperIjLb1EEEEEvT_jjPNSI_10value_typeET0_PNSt15iterator_traitsISL_E10value_typeEmT1_T2_ ; -- Begin function _ZN7rocprim17ROCPRIM_400000_NS6detail30init_device_scan_by_key_kernelINS1_19lookback_scan_stateINS0_5tupleIJ11FixedVectorIiLj8EEbEEELb0ELb0EEEN6thrust23THRUST_200600_302600_NS6detail15normal_iteratorINSA_10device_ptrIjEEEEjNS1_16block_id_wrapperIjLb1EEEEEvT_jjPNSI_10value_typeET0_PNSt15iterator_traitsISL_E10value_typeEmT1_T2_
	.globl	_ZN7rocprim17ROCPRIM_400000_NS6detail30init_device_scan_by_key_kernelINS1_19lookback_scan_stateINS0_5tupleIJ11FixedVectorIiLj8EEbEEELb0ELb0EEEN6thrust23THRUST_200600_302600_NS6detail15normal_iteratorINSA_10device_ptrIjEEEEjNS1_16block_id_wrapperIjLb1EEEEEvT_jjPNSI_10value_typeET0_PNSt15iterator_traitsISL_E10value_typeEmT1_T2_
	.p2align	8
	.type	_ZN7rocprim17ROCPRIM_400000_NS6detail30init_device_scan_by_key_kernelINS1_19lookback_scan_stateINS0_5tupleIJ11FixedVectorIiLj8EEbEEELb0ELb0EEEN6thrust23THRUST_200600_302600_NS6detail15normal_iteratorINSA_10device_ptrIjEEEEjNS1_16block_id_wrapperIjLb1EEEEEvT_jjPNSI_10value_typeET0_PNSt15iterator_traitsISL_E10value_typeEmT1_T2_,@function
_ZN7rocprim17ROCPRIM_400000_NS6detail30init_device_scan_by_key_kernelINS1_19lookback_scan_stateINS0_5tupleIJ11FixedVectorIiLj8EEbEEELb0ELb0EEEN6thrust23THRUST_200600_302600_NS6detail15normal_iteratorINSA_10device_ptrIjEEEEjNS1_16block_id_wrapperIjLb1EEEEEvT_jjPNSI_10value_typeET0_PNSt15iterator_traitsISL_E10value_typeEmT1_T2_: ; @_ZN7rocprim17ROCPRIM_400000_NS6detail30init_device_scan_by_key_kernelINS1_19lookback_scan_stateINS0_5tupleIJ11FixedVectorIiLj8EEbEEELb0ELb0EEEN6thrust23THRUST_200600_302600_NS6detail15normal_iteratorINSA_10device_ptrIjEEEEjNS1_16block_id_wrapperIjLb1EEEEEvT_jjPNSI_10value_typeET0_PNSt15iterator_traitsISL_E10value_typeEmT1_T2_
; %bb.0:
	s_clause 0x1
	s_load_b32 s12, s[2:3], 0x5c
	s_load_b32 s18, s[2:3], 0x50
	s_bfe_u32 s13, ttmp6, 0x4000c
	s_load_b256 s[4:11], s[2:3], 0x10
	s_add_co_i32 s13, s13, 1
	s_and_b32 s14, ttmp6, 15
	s_mul_i32 s13, ttmp9, s13
	s_getreg_b32 s15, hwreg(HW_REG_IB_STS2, 6, 4)
	v_and_b32_e32 v1, 0x3ff, v0
	s_add_co_i32 s14, s14, s13
	s_wait_kmcnt 0x0
	s_and_b32 s19, s12, 0xffff
	s_cmp_eq_u32 s15, 0
	s_cselect_b32 s12, ttmp9, s14
	s_cmp_eq_u64 s[8:9], 0
	v_mad_u32 v2, s12, s19, v1
	s_cbranch_scc1 .LBB2146_9
; %bb.1:
	s_cmp_lt_u32 s7, s6
	s_mov_b32 s20, exec_lo
	s_cselect_b32 s12, s7, 0
	s_delay_alu instid0(VALU_DEP_1) | instid1(SALU_CYCLE_1)
	v_cmpx_eq_u32_e64 s12, v2
	s_cbranch_execz .LBB2146_8
; %bb.2:
	s_load_b64 s[12:13], s[0:1], 0x4
	v_bfe_u32 v3, v0, 10, 10
	v_bfe_u32 v0, v0, 20, 10
	s_wait_kmcnt 0x0
	s_lshr_b32 s0, s12, 16
	s_delay_alu instid0(VALU_DEP_2) | instskip(SKIP_4) | instid1(VALU_DEP_1)
	v_mul_u32_u24_e32 v3, s13, v3
	s_mul_i32 s0, s0, s13
	s_load_b128 s[12:15], s[2:3], 0x0
	v_mul_lo_u32 v1, s0, v1
	s_mov_b32 s0, 0
	v_add3_u32 v0, v1, v3, v0
	v_mov_b32_e32 v1, 0
	s_delay_alu instid0(VALU_DEP_2)
	v_mul_lo_u32 v0, v0, 36
	ds_store_2addr_b32 v0, v1, v1 offset0:6 offset1:7
	ds_store_2addr_b32 v0, v1, v1 offset0:4 offset1:5
	ds_store_2addr_b32 v0, v1, v1 offset0:2 offset1:3
	ds_store_2addr_b32 v0, v1, v1 offset1:1
	ds_store_b32 v0, v1 offset:32
.LBB2146_3:                             ; =>This Inner Loop Header: Depth=1
	v_add_nc_u32_e32 v3, s0, v0
	s_add_co_i32 s0, s0, 8
	s_delay_alu instid0(SALU_CYCLE_1)
	s_cmp_lg_u32 s0, 32
	ds_store_2addr_b32 v3, v1, v1 offset1:1
	s_cbranch_scc1 .LBB2146_3
; %bb.4:
	s_add_co_i32 s0, s7, 32
	s_delay_alu instid0(SALU_CYCLE_1)
	v_dual_mov_b32 v1, 0 :: v_dual_mov_b32 v3, s0
	s_mov_b32 s1, 0
	ds_store_b8 v0, v1 offset:32
	global_load_u8 v3, v3, s[4:5] scope:SCOPE_DEV
	s_wait_loadcnt 0x0
	v_and_b32_e32 v4, 0xffff, v3
	v_readfirstlane_b32 s7, v3
	s_delay_alu instid0(VALU_DEP_2)
	v_cmp_ne_u32_e32 vcc_lo, 0, v4
	s_cbranch_vccnz .LBB2146_7
; %bb.5:
	s_add_nc_u64 s[16:17], s[4:5], s[0:1]
.LBB2146_6:                             ; =>This Inner Loop Header: Depth=1
	global_load_u8 v3, v1, s[16:17] scope:SCOPE_DEV
	s_wait_loadcnt 0x0
	v_and_b32_e32 v4, 0xffff, v3
	v_readfirstlane_b32 s7, v3
	s_delay_alu instid0(VALU_DEP_2)
	v_cmp_eq_u32_e32 vcc_lo, 0, v4
	s_cbranch_vccnz .LBB2146_6
.LBB2146_7:
	s_and_b32 s7, 0xffff, s7
	v_mov_b32_e32 v1, 0
	s_cmp_eq_u32 s7, 1
	s_mul_u64 s[0:1], s[0:1], 36
	s_wait_kmcnt 0x0
	s_cselect_b32 s13, s13, s15
	s_cselect_b32 s12, s12, s14
	global_wb scope:SCOPE_DEV
	s_wait_storecnt_dscnt 0x0
	global_inv scope:SCOPE_DEV
	s_add_nc_u64 s[0:1], s[12:13], s[0:1]
	s_clause 0x2
	global_load_b128 v[4:7], v1, s[0:1]
	global_load_b128 v[8:11], v1, s[0:1] offset:16
	global_load_u8 v3, v1, s[0:1] offset:32
	s_wait_loadcnt 0x2
	ds_store_2addr_b32 v0, v4, v5 offset1:1
	ds_store_2addr_b32 v0, v6, v7 offset0:2 offset1:3
	s_wait_loadcnt 0x1
	ds_store_2addr_b32 v0, v8, v9 offset0:4 offset1:5
	ds_store_2addr_b32 v0, v10, v11 offset0:6 offset1:7
	s_clause 0x1
	global_store_b128 v1, v[4:7], s[8:9]
	global_store_b128 v1, v[8:11], s[8:9] offset:16
	s_wait_loadcnt 0x0
	global_store_b8 v1, v3, s[8:9] offset:32
.LBB2146_8:
	s_wait_xcnt 0x0
	s_or_b32 exec_lo, exec_lo, s20
.LBB2146_9:
	s_delay_alu instid0(SALU_CYCLE_1) | instskip(NEXT) | instid1(VALU_DEP_1)
	s_mov_b32 s0, exec_lo
	v_cmpx_eq_u32_e32 0, v2
	s_cbranch_execz .LBB2146_11
; %bb.10:
	s_load_b64 s[8:9], s[2:3], 0x48
	v_mov_b32_e32 v0, 0
	s_wait_kmcnt 0x0
	global_store_b32 v0, v0, s[8:9]
.LBB2146_11:
	s_wait_xcnt 0x0
	s_or_b32 exec_lo, exec_lo, s0
	s_delay_alu instid0(SALU_CYCLE_1)
	s_mov_b32 s0, exec_lo
	v_cmpx_gt_u32_e64 s6, v2
	s_cbranch_execz .LBB2146_13
; %bb.12:
	v_dual_mov_b32 v1, 0 :: v_dual_add_nc_u32 v0, 32, v2
	global_store_b8 v0, v1, s[4:5]
.LBB2146_13:
	s_wait_xcnt 0x0
	s_or_b32 exec_lo, exec_lo, s0
	v_mov_b32_e32 v3, 0
	s_mov_b32 s0, exec_lo
	v_cmpx_gt_u32_e32 32, v2
	s_cbranch_execz .LBB2146_15
; %bb.14:
	s_delay_alu instid0(VALU_DEP_2)
	v_add_nc_u64_e32 v[0:1], s[4:5], v[2:3]
	v_mov_b32_e32 v4, 0xff
	global_store_b8 v[0:1], v4, off
.LBB2146_15:
	s_wait_xcnt 0x0
	s_or_b32 exec_lo, exec_lo, s0
	s_load_b64 s[0:1], s[2:3], 0x38
	s_mov_b32 s4, exec_lo
	s_wait_kmcnt 0x0
	v_cmpx_gt_u64_e64 s[0:1], v[2:3]
	s_cbranch_execz .LBB2146_18
; %bb.16:
	s_clause 0x1
	s_load_b32 s4, s[2:3], 0x40
	s_load_b64 s[6:7], s[2:3], 0x30
	s_mov_b32 s5, 0
	s_wait_xcnt 0x0
	s_mul_i32 s2, s18, s19
	s_mov_b32 s9, s5
	s_mov_b32 s3, s5
	s_wait_kmcnt 0x0
	v_mul_u64_e32 v[0:1], s[4:5], v[2:3]
	s_add_co_i32 s8, s4, -1
	v_lshl_add_u64 v[4:5], v[2:3], 2, s[6:7]
	s_lshl_b64 s[8:9], s[8:9], 2
	s_delay_alu instid0(SALU_CYCLE_1) | instskip(SKIP_1) | instid1(SALU_CYCLE_1)
	s_add_nc_u64 s[8:9], s[10:11], s[8:9]
	s_mul_u64 s[10:11], s[4:5], s[2:3]
	s_lshl_b64 s[6:7], s[10:11], 2
	s_delay_alu instid0(VALU_DEP_2)
	v_lshl_add_u64 v[0:1], v[0:1], 2, s[8:9]
	s_lshl_b64 s[8:9], s[2:3], 2
.LBB2146_17:                            ; =>This Inner Loop Header: Depth=1
	global_load_b32 v6, v[0:1], off
	v_add_nc_u64_e32 v[2:3], s[2:3], v[2:3]
	s_wait_xcnt 0x0
	v_add_nc_u64_e32 v[0:1], s[6:7], v[0:1]
	s_delay_alu instid0(VALU_DEP_2)
	v_cmp_le_u64_e32 vcc_lo, s[0:1], v[2:3]
	s_or_b32 s5, vcc_lo, s5
	s_wait_loadcnt 0x0
	global_store_b32 v[4:5], v6, off
	s_wait_xcnt 0x0
	v_add_nc_u64_e32 v[4:5], s[8:9], v[4:5]
	s_and_not1_b32 exec_lo, exec_lo, s5
	s_cbranch_execnz .LBB2146_17
.LBB2146_18:
	s_endpgm
	.section	.rodata,"a",@progbits
	.p2align	6, 0x0
	.amdhsa_kernel _ZN7rocprim17ROCPRIM_400000_NS6detail30init_device_scan_by_key_kernelINS1_19lookback_scan_stateINS0_5tupleIJ11FixedVectorIiLj8EEbEEELb0ELb0EEEN6thrust23THRUST_200600_302600_NS6detail15normal_iteratorINSA_10device_ptrIjEEEEjNS1_16block_id_wrapperIjLb1EEEEEvT_jjPNSI_10value_typeET0_PNSt15iterator_traitsISL_E10value_typeEmT1_T2_
		.amdhsa_group_segment_fixed_size 9216
		.amdhsa_private_segment_fixed_size 0
		.amdhsa_kernarg_size 336
		.amdhsa_user_sgpr_count 4
		.amdhsa_user_sgpr_dispatch_ptr 1
		.amdhsa_user_sgpr_queue_ptr 0
		.amdhsa_user_sgpr_kernarg_segment_ptr 1
		.amdhsa_user_sgpr_dispatch_id 0
		.amdhsa_user_sgpr_kernarg_preload_length 0
		.amdhsa_user_sgpr_kernarg_preload_offset 0
		.amdhsa_user_sgpr_private_segment_size 0
		.amdhsa_wavefront_size32 1
		.amdhsa_uses_dynamic_stack 0
		.amdhsa_enable_private_segment 0
		.amdhsa_system_sgpr_workgroup_id_x 1
		.amdhsa_system_sgpr_workgroup_id_y 0
		.amdhsa_system_sgpr_workgroup_id_z 0
		.amdhsa_system_sgpr_workgroup_info 0
		.amdhsa_system_vgpr_workitem_id 2
		.amdhsa_next_free_vgpr 12
		.amdhsa_next_free_sgpr 21
		.amdhsa_named_barrier_count 0
		.amdhsa_reserve_vcc 1
		.amdhsa_float_round_mode_32 0
		.amdhsa_float_round_mode_16_64 0
		.amdhsa_float_denorm_mode_32 3
		.amdhsa_float_denorm_mode_16_64 3
		.amdhsa_fp16_overflow 0
		.amdhsa_memory_ordered 1
		.amdhsa_forward_progress 1
		.amdhsa_inst_pref_size 8
		.amdhsa_round_robin_scheduling 0
		.amdhsa_exception_fp_ieee_invalid_op 0
		.amdhsa_exception_fp_denorm_src 0
		.amdhsa_exception_fp_ieee_div_zero 0
		.amdhsa_exception_fp_ieee_overflow 0
		.amdhsa_exception_fp_ieee_underflow 0
		.amdhsa_exception_fp_ieee_inexact 0
		.amdhsa_exception_int_div_zero 0
	.end_amdhsa_kernel
	.section	.text._ZN7rocprim17ROCPRIM_400000_NS6detail30init_device_scan_by_key_kernelINS1_19lookback_scan_stateINS0_5tupleIJ11FixedVectorIiLj8EEbEEELb0ELb0EEEN6thrust23THRUST_200600_302600_NS6detail15normal_iteratorINSA_10device_ptrIjEEEEjNS1_16block_id_wrapperIjLb1EEEEEvT_jjPNSI_10value_typeET0_PNSt15iterator_traitsISL_E10value_typeEmT1_T2_,"axG",@progbits,_ZN7rocprim17ROCPRIM_400000_NS6detail30init_device_scan_by_key_kernelINS1_19lookback_scan_stateINS0_5tupleIJ11FixedVectorIiLj8EEbEEELb0ELb0EEEN6thrust23THRUST_200600_302600_NS6detail15normal_iteratorINSA_10device_ptrIjEEEEjNS1_16block_id_wrapperIjLb1EEEEEvT_jjPNSI_10value_typeET0_PNSt15iterator_traitsISL_E10value_typeEmT1_T2_,comdat
.Lfunc_end2146:
	.size	_ZN7rocprim17ROCPRIM_400000_NS6detail30init_device_scan_by_key_kernelINS1_19lookback_scan_stateINS0_5tupleIJ11FixedVectorIiLj8EEbEEELb0ELb0EEEN6thrust23THRUST_200600_302600_NS6detail15normal_iteratorINSA_10device_ptrIjEEEEjNS1_16block_id_wrapperIjLb1EEEEEvT_jjPNSI_10value_typeET0_PNSt15iterator_traitsISL_E10value_typeEmT1_T2_, .Lfunc_end2146-_ZN7rocprim17ROCPRIM_400000_NS6detail30init_device_scan_by_key_kernelINS1_19lookback_scan_stateINS0_5tupleIJ11FixedVectorIiLj8EEbEEELb0ELb0EEEN6thrust23THRUST_200600_302600_NS6detail15normal_iteratorINSA_10device_ptrIjEEEEjNS1_16block_id_wrapperIjLb1EEEEEvT_jjPNSI_10value_typeET0_PNSt15iterator_traitsISL_E10value_typeEmT1_T2_
                                        ; -- End function
	.set _ZN7rocprim17ROCPRIM_400000_NS6detail30init_device_scan_by_key_kernelINS1_19lookback_scan_stateINS0_5tupleIJ11FixedVectorIiLj8EEbEEELb0ELb0EEEN6thrust23THRUST_200600_302600_NS6detail15normal_iteratorINSA_10device_ptrIjEEEEjNS1_16block_id_wrapperIjLb1EEEEEvT_jjPNSI_10value_typeET0_PNSt15iterator_traitsISL_E10value_typeEmT1_T2_.num_vgpr, 12
	.set _ZN7rocprim17ROCPRIM_400000_NS6detail30init_device_scan_by_key_kernelINS1_19lookback_scan_stateINS0_5tupleIJ11FixedVectorIiLj8EEbEEELb0ELb0EEEN6thrust23THRUST_200600_302600_NS6detail15normal_iteratorINSA_10device_ptrIjEEEEjNS1_16block_id_wrapperIjLb1EEEEEvT_jjPNSI_10value_typeET0_PNSt15iterator_traitsISL_E10value_typeEmT1_T2_.num_agpr, 0
	.set _ZN7rocprim17ROCPRIM_400000_NS6detail30init_device_scan_by_key_kernelINS1_19lookback_scan_stateINS0_5tupleIJ11FixedVectorIiLj8EEbEEELb0ELb0EEEN6thrust23THRUST_200600_302600_NS6detail15normal_iteratorINSA_10device_ptrIjEEEEjNS1_16block_id_wrapperIjLb1EEEEEvT_jjPNSI_10value_typeET0_PNSt15iterator_traitsISL_E10value_typeEmT1_T2_.numbered_sgpr, 21
	.set _ZN7rocprim17ROCPRIM_400000_NS6detail30init_device_scan_by_key_kernelINS1_19lookback_scan_stateINS0_5tupleIJ11FixedVectorIiLj8EEbEEELb0ELb0EEEN6thrust23THRUST_200600_302600_NS6detail15normal_iteratorINSA_10device_ptrIjEEEEjNS1_16block_id_wrapperIjLb1EEEEEvT_jjPNSI_10value_typeET0_PNSt15iterator_traitsISL_E10value_typeEmT1_T2_.num_named_barrier, 0
	.set _ZN7rocprim17ROCPRIM_400000_NS6detail30init_device_scan_by_key_kernelINS1_19lookback_scan_stateINS0_5tupleIJ11FixedVectorIiLj8EEbEEELb0ELb0EEEN6thrust23THRUST_200600_302600_NS6detail15normal_iteratorINSA_10device_ptrIjEEEEjNS1_16block_id_wrapperIjLb1EEEEEvT_jjPNSI_10value_typeET0_PNSt15iterator_traitsISL_E10value_typeEmT1_T2_.private_seg_size, 0
	.set _ZN7rocprim17ROCPRIM_400000_NS6detail30init_device_scan_by_key_kernelINS1_19lookback_scan_stateINS0_5tupleIJ11FixedVectorIiLj8EEbEEELb0ELb0EEEN6thrust23THRUST_200600_302600_NS6detail15normal_iteratorINSA_10device_ptrIjEEEEjNS1_16block_id_wrapperIjLb1EEEEEvT_jjPNSI_10value_typeET0_PNSt15iterator_traitsISL_E10value_typeEmT1_T2_.uses_vcc, 1
	.set _ZN7rocprim17ROCPRIM_400000_NS6detail30init_device_scan_by_key_kernelINS1_19lookback_scan_stateINS0_5tupleIJ11FixedVectorIiLj8EEbEEELb0ELb0EEEN6thrust23THRUST_200600_302600_NS6detail15normal_iteratorINSA_10device_ptrIjEEEEjNS1_16block_id_wrapperIjLb1EEEEEvT_jjPNSI_10value_typeET0_PNSt15iterator_traitsISL_E10value_typeEmT1_T2_.uses_flat_scratch, 0
	.set _ZN7rocprim17ROCPRIM_400000_NS6detail30init_device_scan_by_key_kernelINS1_19lookback_scan_stateINS0_5tupleIJ11FixedVectorIiLj8EEbEEELb0ELb0EEEN6thrust23THRUST_200600_302600_NS6detail15normal_iteratorINSA_10device_ptrIjEEEEjNS1_16block_id_wrapperIjLb1EEEEEvT_jjPNSI_10value_typeET0_PNSt15iterator_traitsISL_E10value_typeEmT1_T2_.has_dyn_sized_stack, 0
	.set _ZN7rocprim17ROCPRIM_400000_NS6detail30init_device_scan_by_key_kernelINS1_19lookback_scan_stateINS0_5tupleIJ11FixedVectorIiLj8EEbEEELb0ELb0EEEN6thrust23THRUST_200600_302600_NS6detail15normal_iteratorINSA_10device_ptrIjEEEEjNS1_16block_id_wrapperIjLb1EEEEEvT_jjPNSI_10value_typeET0_PNSt15iterator_traitsISL_E10value_typeEmT1_T2_.has_recursion, 0
	.set _ZN7rocprim17ROCPRIM_400000_NS6detail30init_device_scan_by_key_kernelINS1_19lookback_scan_stateINS0_5tupleIJ11FixedVectorIiLj8EEbEEELb0ELb0EEEN6thrust23THRUST_200600_302600_NS6detail15normal_iteratorINSA_10device_ptrIjEEEEjNS1_16block_id_wrapperIjLb1EEEEEvT_jjPNSI_10value_typeET0_PNSt15iterator_traitsISL_E10value_typeEmT1_T2_.has_indirect_call, 0
	.section	.AMDGPU.csdata,"",@progbits
; Kernel info:
; codeLenInByte = 944
; TotalNumSgprs: 23
; NumVgprs: 12
; ScratchSize: 0
; MemoryBound: 0
; FloatMode: 240
; IeeeMode: 1
; LDSByteSize: 9216 bytes/workgroup (compile time only)
; SGPRBlocks: 0
; VGPRBlocks: 0
; NumSGPRsForWavesPerEU: 23
; NumVGPRsForWavesPerEU: 12
; NamedBarCnt: 0
; Occupancy: 16
; WaveLimiterHint : 0
; COMPUTE_PGM_RSRC2:SCRATCH_EN: 0
; COMPUTE_PGM_RSRC2:USER_SGPR: 4
; COMPUTE_PGM_RSRC2:TRAP_HANDLER: 0
; COMPUTE_PGM_RSRC2:TGID_X_EN: 1
; COMPUTE_PGM_RSRC2:TGID_Y_EN: 0
; COMPUTE_PGM_RSRC2:TGID_Z_EN: 0
; COMPUTE_PGM_RSRC2:TIDIG_COMP_CNT: 2
	.section	.text._ZN7rocprim17ROCPRIM_400000_NS6detail30init_device_scan_by_key_kernelINS1_19lookback_scan_stateINS0_5tupleIJ11FixedVectorIiLj8EEbEEELb0ELb0EEENS1_16block_id_wrapperIjLb1EEEEEvT_jjPNSB_10value_typeET0_,"axG",@progbits,_ZN7rocprim17ROCPRIM_400000_NS6detail30init_device_scan_by_key_kernelINS1_19lookback_scan_stateINS0_5tupleIJ11FixedVectorIiLj8EEbEEELb0ELb0EEENS1_16block_id_wrapperIjLb1EEEEEvT_jjPNSB_10value_typeET0_,comdat
	.protected	_ZN7rocprim17ROCPRIM_400000_NS6detail30init_device_scan_by_key_kernelINS1_19lookback_scan_stateINS0_5tupleIJ11FixedVectorIiLj8EEbEEELb0ELb0EEENS1_16block_id_wrapperIjLb1EEEEEvT_jjPNSB_10value_typeET0_ ; -- Begin function _ZN7rocprim17ROCPRIM_400000_NS6detail30init_device_scan_by_key_kernelINS1_19lookback_scan_stateINS0_5tupleIJ11FixedVectorIiLj8EEbEEELb0ELb0EEENS1_16block_id_wrapperIjLb1EEEEEvT_jjPNSB_10value_typeET0_
	.globl	_ZN7rocprim17ROCPRIM_400000_NS6detail30init_device_scan_by_key_kernelINS1_19lookback_scan_stateINS0_5tupleIJ11FixedVectorIiLj8EEbEEELb0ELb0EEENS1_16block_id_wrapperIjLb1EEEEEvT_jjPNSB_10value_typeET0_
	.p2align	8
	.type	_ZN7rocprim17ROCPRIM_400000_NS6detail30init_device_scan_by_key_kernelINS1_19lookback_scan_stateINS0_5tupleIJ11FixedVectorIiLj8EEbEEELb0ELb0EEENS1_16block_id_wrapperIjLb1EEEEEvT_jjPNSB_10value_typeET0_,@function
_ZN7rocprim17ROCPRIM_400000_NS6detail30init_device_scan_by_key_kernelINS1_19lookback_scan_stateINS0_5tupleIJ11FixedVectorIiLj8EEbEEELb0ELb0EEENS1_16block_id_wrapperIjLb1EEEEEvT_jjPNSB_10value_typeET0_: ; @_ZN7rocprim17ROCPRIM_400000_NS6detail30init_device_scan_by_key_kernelINS1_19lookback_scan_stateINS0_5tupleIJ11FixedVectorIiLj8EEbEEELb0ELb0EEENS1_16block_id_wrapperIjLb1EEEEEvT_jjPNSB_10value_typeET0_
; %bb.0:
	s_load_b32 s12, s[2:3], 0x3c
	s_bfe_u32 s13, ttmp6, 0x4000c
	s_load_b256 s[4:11], s[2:3], 0x10
	s_add_co_i32 s13, s13, 1
	s_and_b32 s14, ttmp6, 15
	s_mul_i32 s13, ttmp9, s13
	s_getreg_b32 s15, hwreg(HW_REG_IB_STS2, 6, 4)
	v_and_b32_e32 v2, 0x3ff, v0
	s_add_co_i32 s14, s14, s13
	s_wait_kmcnt 0x0
	s_and_b32 s12, s12, 0xffff
	s_cmp_eq_u32 s15, 0
	s_cselect_b32 s13, ttmp9, s14
	s_cmp_eq_u64 s[8:9], 0
	v_mad_u32 v1, s13, s12, v2
	s_cbranch_scc1 .LBB2147_9
; %bb.1:
	s_cmp_lt_u32 s7, s6
	s_mov_b32 s16, exec_lo
	s_cselect_b32 s12, s7, 0
	s_delay_alu instid0(VALU_DEP_1) | instid1(SALU_CYCLE_1)
	v_cmpx_eq_u32_e64 s12, v1
	s_cbranch_execz .LBB2147_8
; %bb.2:
	s_load_b64 s[12:13], s[0:1], 0x4
	v_bfe_u32 v3, v0, 10, 10
	v_bfe_u32 v0, v0, 20, 10
	s_wait_kmcnt 0x0
	s_lshr_b32 s0, s12, 16
	s_delay_alu instid0(VALU_DEP_2) | instskip(SKIP_4) | instid1(VALU_DEP_1)
	v_mul_u32_u24_e32 v3, s13, v3
	s_mul_i32 s0, s0, s13
	s_load_b128 s[12:15], s[2:3], 0x0
	v_mul_lo_u32 v2, s0, v2
	s_mov_b32 s0, 0
	v_add3_u32 v0, v2, v3, v0
	v_mov_b32_e32 v2, 0
	s_delay_alu instid0(VALU_DEP_2)
	v_mul_lo_u32 v0, v0, 36
	ds_store_2addr_b32 v0, v2, v2 offset0:6 offset1:7
	ds_store_2addr_b32 v0, v2, v2 offset0:4 offset1:5
	;; [unrolled: 1-line block ×3, first 2 shown]
	ds_store_2addr_b32 v0, v2, v2 offset1:1
	ds_store_b32 v0, v2 offset:32
.LBB2147_3:                             ; =>This Inner Loop Header: Depth=1
	v_add_nc_u32_e32 v3, s0, v0
	s_add_co_i32 s0, s0, 8
	s_delay_alu instid0(SALU_CYCLE_1)
	s_cmp_lg_u32 s0, 32
	ds_store_2addr_b32 v3, v2, v2 offset1:1
	s_cbranch_scc1 .LBB2147_3
; %bb.4:
	s_add_co_i32 s0, s7, 32
	s_delay_alu instid0(SALU_CYCLE_1)
	v_dual_mov_b32 v2, 0 :: v_dual_mov_b32 v3, s0
	s_mov_b32 s1, 0
	ds_store_b8 v0, v2 offset:32
	global_load_u8 v3, v3, s[4:5] scope:SCOPE_DEV
	s_wait_loadcnt 0x0
	v_and_b32_e32 v4, 0xffff, v3
	v_readfirstlane_b32 s7, v3
	s_delay_alu instid0(VALU_DEP_2)
	v_cmp_ne_u32_e32 vcc_lo, 0, v4
	s_cbranch_vccnz .LBB2147_7
; %bb.5:
	s_add_nc_u64 s[2:3], s[4:5], s[0:1]
.LBB2147_6:                             ; =>This Inner Loop Header: Depth=1
	global_load_u8 v3, v2, s[2:3] scope:SCOPE_DEV
	s_wait_loadcnt 0x0
	v_and_b32_e32 v4, 0xffff, v3
	v_readfirstlane_b32 s7, v3
	s_delay_alu instid0(VALU_DEP_2)
	v_cmp_eq_u32_e32 vcc_lo, 0, v4
	s_cbranch_vccnz .LBB2147_6
.LBB2147_7:
	s_and_b32 s2, 0xffff, s7
	v_mov_b32_e32 v10, 0
	s_cmp_eq_u32 s2, 1
	s_mul_u64 s[0:1], s[0:1], 36
	s_wait_kmcnt 0x0
	s_cselect_b32 s3, s13, s15
	s_cselect_b32 s2, s12, s14
	global_wb scope:SCOPE_DEV
	s_wait_storecnt_dscnt 0x0
	global_inv scope:SCOPE_DEV
	s_add_nc_u64 s[0:1], s[2:3], s[0:1]
	s_clause 0x2
	global_load_b128 v[2:5], v10, s[0:1]
	global_load_b128 v[6:9], v10, s[0:1] offset:16
	global_load_u8 v11, v10, s[0:1] offset:32
	s_wait_loadcnt 0x2
	ds_store_2addr_b32 v0, v2, v3 offset1:1
	ds_store_2addr_b32 v0, v4, v5 offset0:2 offset1:3
	s_wait_loadcnt 0x1
	ds_store_2addr_b32 v0, v6, v7 offset0:4 offset1:5
	ds_store_2addr_b32 v0, v8, v9 offset0:6 offset1:7
	s_clause 0x1
	global_store_b128 v10, v[2:5], s[8:9]
	global_store_b128 v10, v[6:9], s[8:9] offset:16
	s_wait_loadcnt 0x0
	global_store_b8 v10, v11, s[8:9] offset:32
.LBB2147_8:
	s_wait_xcnt 0x0
	s_or_b32 exec_lo, exec_lo, s16
.LBB2147_9:
	s_delay_alu instid0(SALU_CYCLE_1) | instskip(NEXT) | instid1(VALU_DEP_1)
	s_mov_b32 s0, exec_lo
	v_cmpx_eq_u32_e32 0, v1
	s_cbranch_execz .LBB2147_11
; %bb.10:
	v_mov_b32_e32 v0, 0
	global_store_b32 v0, v0, s[10:11]
.LBB2147_11:
	s_wait_xcnt 0x0
	s_or_b32 exec_lo, exec_lo, s0
	s_delay_alu instid0(SALU_CYCLE_1)
	s_mov_b32 s0, exec_lo
	v_cmpx_gt_u32_e64 s6, v1
	s_cbranch_execz .LBB2147_13
; %bb.12:
	v_dual_add_nc_u32 v0, 32, v1 :: v_dual_mov_b32 v2, 0
	global_store_b8 v0, v2, s[4:5]
.LBB2147_13:
	s_wait_xcnt 0x0
	s_or_b32 exec_lo, exec_lo, s0
	s_delay_alu instid0(SALU_CYCLE_1)
	s_mov_b32 s0, exec_lo
	v_cmpx_gt_u32_e32 32, v1
	s_cbranch_execz .LBB2147_15
; %bb.14:
	v_mov_b32_e32 v0, 0xff
	global_store_b8 v1, v0, s[4:5]
.LBB2147_15:
	s_endpgm
	.section	.rodata,"a",@progbits
	.p2align	6, 0x0
	.amdhsa_kernel _ZN7rocprim17ROCPRIM_400000_NS6detail30init_device_scan_by_key_kernelINS1_19lookback_scan_stateINS0_5tupleIJ11FixedVectorIiLj8EEbEEELb0ELb0EEENS1_16block_id_wrapperIjLb1EEEEEvT_jjPNSB_10value_typeET0_
		.amdhsa_group_segment_fixed_size 9216
		.amdhsa_private_segment_fixed_size 0
		.amdhsa_kernarg_size 304
		.amdhsa_user_sgpr_count 4
		.amdhsa_user_sgpr_dispatch_ptr 1
		.amdhsa_user_sgpr_queue_ptr 0
		.amdhsa_user_sgpr_kernarg_segment_ptr 1
		.amdhsa_user_sgpr_dispatch_id 0
		.amdhsa_user_sgpr_kernarg_preload_length 0
		.amdhsa_user_sgpr_kernarg_preload_offset 0
		.amdhsa_user_sgpr_private_segment_size 0
		.amdhsa_wavefront_size32 1
		.amdhsa_uses_dynamic_stack 0
		.amdhsa_enable_private_segment 0
		.amdhsa_system_sgpr_workgroup_id_x 1
		.amdhsa_system_sgpr_workgroup_id_y 0
		.amdhsa_system_sgpr_workgroup_id_z 0
		.amdhsa_system_sgpr_workgroup_info 0
		.amdhsa_system_vgpr_workitem_id 2
		.amdhsa_next_free_vgpr 12
		.amdhsa_next_free_sgpr 17
		.amdhsa_named_barrier_count 0
		.amdhsa_reserve_vcc 1
		.amdhsa_float_round_mode_32 0
		.amdhsa_float_round_mode_16_64 0
		.amdhsa_float_denorm_mode_32 3
		.amdhsa_float_denorm_mode_16_64 3
		.amdhsa_fp16_overflow 0
		.amdhsa_memory_ordered 1
		.amdhsa_forward_progress 1
		.amdhsa_inst_pref_size 6
		.amdhsa_round_robin_scheduling 0
		.amdhsa_exception_fp_ieee_invalid_op 0
		.amdhsa_exception_fp_denorm_src 0
		.amdhsa_exception_fp_ieee_div_zero 0
		.amdhsa_exception_fp_ieee_overflow 0
		.amdhsa_exception_fp_ieee_underflow 0
		.amdhsa_exception_fp_ieee_inexact 0
		.amdhsa_exception_int_div_zero 0
	.end_amdhsa_kernel
	.section	.text._ZN7rocprim17ROCPRIM_400000_NS6detail30init_device_scan_by_key_kernelINS1_19lookback_scan_stateINS0_5tupleIJ11FixedVectorIiLj8EEbEEELb0ELb0EEENS1_16block_id_wrapperIjLb1EEEEEvT_jjPNSB_10value_typeET0_,"axG",@progbits,_ZN7rocprim17ROCPRIM_400000_NS6detail30init_device_scan_by_key_kernelINS1_19lookback_scan_stateINS0_5tupleIJ11FixedVectorIiLj8EEbEEELb0ELb0EEENS1_16block_id_wrapperIjLb1EEEEEvT_jjPNSB_10value_typeET0_,comdat
.Lfunc_end2147:
	.size	_ZN7rocprim17ROCPRIM_400000_NS6detail30init_device_scan_by_key_kernelINS1_19lookback_scan_stateINS0_5tupleIJ11FixedVectorIiLj8EEbEEELb0ELb0EEENS1_16block_id_wrapperIjLb1EEEEEvT_jjPNSB_10value_typeET0_, .Lfunc_end2147-_ZN7rocprim17ROCPRIM_400000_NS6detail30init_device_scan_by_key_kernelINS1_19lookback_scan_stateINS0_5tupleIJ11FixedVectorIiLj8EEbEEELb0ELb0EEENS1_16block_id_wrapperIjLb1EEEEEvT_jjPNSB_10value_typeET0_
                                        ; -- End function
	.set _ZN7rocprim17ROCPRIM_400000_NS6detail30init_device_scan_by_key_kernelINS1_19lookback_scan_stateINS0_5tupleIJ11FixedVectorIiLj8EEbEEELb0ELb0EEENS1_16block_id_wrapperIjLb1EEEEEvT_jjPNSB_10value_typeET0_.num_vgpr, 12
	.set _ZN7rocprim17ROCPRIM_400000_NS6detail30init_device_scan_by_key_kernelINS1_19lookback_scan_stateINS0_5tupleIJ11FixedVectorIiLj8EEbEEELb0ELb0EEENS1_16block_id_wrapperIjLb1EEEEEvT_jjPNSB_10value_typeET0_.num_agpr, 0
	.set _ZN7rocprim17ROCPRIM_400000_NS6detail30init_device_scan_by_key_kernelINS1_19lookback_scan_stateINS0_5tupleIJ11FixedVectorIiLj8EEbEEELb0ELb0EEENS1_16block_id_wrapperIjLb1EEEEEvT_jjPNSB_10value_typeET0_.numbered_sgpr, 17
	.set _ZN7rocprim17ROCPRIM_400000_NS6detail30init_device_scan_by_key_kernelINS1_19lookback_scan_stateINS0_5tupleIJ11FixedVectorIiLj8EEbEEELb0ELb0EEENS1_16block_id_wrapperIjLb1EEEEEvT_jjPNSB_10value_typeET0_.num_named_barrier, 0
	.set _ZN7rocprim17ROCPRIM_400000_NS6detail30init_device_scan_by_key_kernelINS1_19lookback_scan_stateINS0_5tupleIJ11FixedVectorIiLj8EEbEEELb0ELb0EEENS1_16block_id_wrapperIjLb1EEEEEvT_jjPNSB_10value_typeET0_.private_seg_size, 0
	.set _ZN7rocprim17ROCPRIM_400000_NS6detail30init_device_scan_by_key_kernelINS1_19lookback_scan_stateINS0_5tupleIJ11FixedVectorIiLj8EEbEEELb0ELb0EEENS1_16block_id_wrapperIjLb1EEEEEvT_jjPNSB_10value_typeET0_.uses_vcc, 1
	.set _ZN7rocprim17ROCPRIM_400000_NS6detail30init_device_scan_by_key_kernelINS1_19lookback_scan_stateINS0_5tupleIJ11FixedVectorIiLj8EEbEEELb0ELb0EEENS1_16block_id_wrapperIjLb1EEEEEvT_jjPNSB_10value_typeET0_.uses_flat_scratch, 0
	.set _ZN7rocprim17ROCPRIM_400000_NS6detail30init_device_scan_by_key_kernelINS1_19lookback_scan_stateINS0_5tupleIJ11FixedVectorIiLj8EEbEEELb0ELb0EEENS1_16block_id_wrapperIjLb1EEEEEvT_jjPNSB_10value_typeET0_.has_dyn_sized_stack, 0
	.set _ZN7rocprim17ROCPRIM_400000_NS6detail30init_device_scan_by_key_kernelINS1_19lookback_scan_stateINS0_5tupleIJ11FixedVectorIiLj8EEbEEELb0ELb0EEENS1_16block_id_wrapperIjLb1EEEEEvT_jjPNSB_10value_typeET0_.has_recursion, 0
	.set _ZN7rocprim17ROCPRIM_400000_NS6detail30init_device_scan_by_key_kernelINS1_19lookback_scan_stateINS0_5tupleIJ11FixedVectorIiLj8EEbEEELb0ELb0EEENS1_16block_id_wrapperIjLb1EEEEEvT_jjPNSB_10value_typeET0_.has_indirect_call, 0
	.section	.AMDGPU.csdata,"",@progbits
; Kernel info:
; codeLenInByte = 712
; TotalNumSgprs: 19
; NumVgprs: 12
; ScratchSize: 0
; MemoryBound: 0
; FloatMode: 240
; IeeeMode: 1
; LDSByteSize: 9216 bytes/workgroup (compile time only)
; SGPRBlocks: 0
; VGPRBlocks: 0
; NumSGPRsForWavesPerEU: 19
; NumVGPRsForWavesPerEU: 12
; NamedBarCnt: 0
; Occupancy: 16
; WaveLimiterHint : 0
; COMPUTE_PGM_RSRC2:SCRATCH_EN: 0
; COMPUTE_PGM_RSRC2:USER_SGPR: 4
; COMPUTE_PGM_RSRC2:TRAP_HANDLER: 0
; COMPUTE_PGM_RSRC2:TGID_X_EN: 1
; COMPUTE_PGM_RSRC2:TGID_Y_EN: 0
; COMPUTE_PGM_RSRC2:TGID_Z_EN: 0
; COMPUTE_PGM_RSRC2:TIDIG_COMP_CNT: 2
	.section	.text._ZN7rocprim17ROCPRIM_400000_NS6detail17trampoline_kernelINS0_14default_configENS1_27scan_by_key_config_selectorIj11FixedVectorIiLj8EEEEZZNS1_16scan_by_key_implILNS1_25lookback_scan_determinismE0ELb0ES3_N6thrust23THRUST_200600_302600_NS6detail15normal_iteratorINSB_10device_ptrIjEEEENSD_INSE_IS6_EEEESI_S6_NSB_4plusIvEENSB_8equal_toIvEES6_EE10hipError_tPvRmT2_T3_T4_T5_mT6_T7_P12ihipStream_tbENKUlT_T0_E_clISt17integral_constantIbLb0EES12_IbLb1EEEEDaSY_SZ_EUlSY_E_NS1_11comp_targetILNS1_3genE0ELNS1_11target_archE4294967295ELNS1_3gpuE0ELNS1_3repE0EEENS1_30default_config_static_selectorELNS0_4arch9wavefront6targetE0EEEvT1_,"axG",@progbits,_ZN7rocprim17ROCPRIM_400000_NS6detail17trampoline_kernelINS0_14default_configENS1_27scan_by_key_config_selectorIj11FixedVectorIiLj8EEEEZZNS1_16scan_by_key_implILNS1_25lookback_scan_determinismE0ELb0ES3_N6thrust23THRUST_200600_302600_NS6detail15normal_iteratorINSB_10device_ptrIjEEEENSD_INSE_IS6_EEEESI_S6_NSB_4plusIvEENSB_8equal_toIvEES6_EE10hipError_tPvRmT2_T3_T4_T5_mT6_T7_P12ihipStream_tbENKUlT_T0_E_clISt17integral_constantIbLb0EES12_IbLb1EEEEDaSY_SZ_EUlSY_E_NS1_11comp_targetILNS1_3genE0ELNS1_11target_archE4294967295ELNS1_3gpuE0ELNS1_3repE0EEENS1_30default_config_static_selectorELNS0_4arch9wavefront6targetE0EEEvT1_,comdat
	.protected	_ZN7rocprim17ROCPRIM_400000_NS6detail17trampoline_kernelINS0_14default_configENS1_27scan_by_key_config_selectorIj11FixedVectorIiLj8EEEEZZNS1_16scan_by_key_implILNS1_25lookback_scan_determinismE0ELb0ES3_N6thrust23THRUST_200600_302600_NS6detail15normal_iteratorINSB_10device_ptrIjEEEENSD_INSE_IS6_EEEESI_S6_NSB_4plusIvEENSB_8equal_toIvEES6_EE10hipError_tPvRmT2_T3_T4_T5_mT6_T7_P12ihipStream_tbENKUlT_T0_E_clISt17integral_constantIbLb0EES12_IbLb1EEEEDaSY_SZ_EUlSY_E_NS1_11comp_targetILNS1_3genE0ELNS1_11target_archE4294967295ELNS1_3gpuE0ELNS1_3repE0EEENS1_30default_config_static_selectorELNS0_4arch9wavefront6targetE0EEEvT1_ ; -- Begin function _ZN7rocprim17ROCPRIM_400000_NS6detail17trampoline_kernelINS0_14default_configENS1_27scan_by_key_config_selectorIj11FixedVectorIiLj8EEEEZZNS1_16scan_by_key_implILNS1_25lookback_scan_determinismE0ELb0ES3_N6thrust23THRUST_200600_302600_NS6detail15normal_iteratorINSB_10device_ptrIjEEEENSD_INSE_IS6_EEEESI_S6_NSB_4plusIvEENSB_8equal_toIvEES6_EE10hipError_tPvRmT2_T3_T4_T5_mT6_T7_P12ihipStream_tbENKUlT_T0_E_clISt17integral_constantIbLb0EES12_IbLb1EEEEDaSY_SZ_EUlSY_E_NS1_11comp_targetILNS1_3genE0ELNS1_11target_archE4294967295ELNS1_3gpuE0ELNS1_3repE0EEENS1_30default_config_static_selectorELNS0_4arch9wavefront6targetE0EEEvT1_
	.globl	_ZN7rocprim17ROCPRIM_400000_NS6detail17trampoline_kernelINS0_14default_configENS1_27scan_by_key_config_selectorIj11FixedVectorIiLj8EEEEZZNS1_16scan_by_key_implILNS1_25lookback_scan_determinismE0ELb0ES3_N6thrust23THRUST_200600_302600_NS6detail15normal_iteratorINSB_10device_ptrIjEEEENSD_INSE_IS6_EEEESI_S6_NSB_4plusIvEENSB_8equal_toIvEES6_EE10hipError_tPvRmT2_T3_T4_T5_mT6_T7_P12ihipStream_tbENKUlT_T0_E_clISt17integral_constantIbLb0EES12_IbLb1EEEEDaSY_SZ_EUlSY_E_NS1_11comp_targetILNS1_3genE0ELNS1_11target_archE4294967295ELNS1_3gpuE0ELNS1_3repE0EEENS1_30default_config_static_selectorELNS0_4arch9wavefront6targetE0EEEvT1_
	.p2align	8
	.type	_ZN7rocprim17ROCPRIM_400000_NS6detail17trampoline_kernelINS0_14default_configENS1_27scan_by_key_config_selectorIj11FixedVectorIiLj8EEEEZZNS1_16scan_by_key_implILNS1_25lookback_scan_determinismE0ELb0ES3_N6thrust23THRUST_200600_302600_NS6detail15normal_iteratorINSB_10device_ptrIjEEEENSD_INSE_IS6_EEEESI_S6_NSB_4plusIvEENSB_8equal_toIvEES6_EE10hipError_tPvRmT2_T3_T4_T5_mT6_T7_P12ihipStream_tbENKUlT_T0_E_clISt17integral_constantIbLb0EES12_IbLb1EEEEDaSY_SZ_EUlSY_E_NS1_11comp_targetILNS1_3genE0ELNS1_11target_archE4294967295ELNS1_3gpuE0ELNS1_3repE0EEENS1_30default_config_static_selectorELNS0_4arch9wavefront6targetE0EEEvT1_,@function
_ZN7rocprim17ROCPRIM_400000_NS6detail17trampoline_kernelINS0_14default_configENS1_27scan_by_key_config_selectorIj11FixedVectorIiLj8EEEEZZNS1_16scan_by_key_implILNS1_25lookback_scan_determinismE0ELb0ES3_N6thrust23THRUST_200600_302600_NS6detail15normal_iteratorINSB_10device_ptrIjEEEENSD_INSE_IS6_EEEESI_S6_NSB_4plusIvEENSB_8equal_toIvEES6_EE10hipError_tPvRmT2_T3_T4_T5_mT6_T7_P12ihipStream_tbENKUlT_T0_E_clISt17integral_constantIbLb0EES12_IbLb1EEEEDaSY_SZ_EUlSY_E_NS1_11comp_targetILNS1_3genE0ELNS1_11target_archE4294967295ELNS1_3gpuE0ELNS1_3repE0EEENS1_30default_config_static_selectorELNS0_4arch9wavefront6targetE0EEEvT1_: ; @_ZN7rocprim17ROCPRIM_400000_NS6detail17trampoline_kernelINS0_14default_configENS1_27scan_by_key_config_selectorIj11FixedVectorIiLj8EEEEZZNS1_16scan_by_key_implILNS1_25lookback_scan_determinismE0ELb0ES3_N6thrust23THRUST_200600_302600_NS6detail15normal_iteratorINSB_10device_ptrIjEEEENSD_INSE_IS6_EEEESI_S6_NSB_4plusIvEENSB_8equal_toIvEES6_EE10hipError_tPvRmT2_T3_T4_T5_mT6_T7_P12ihipStream_tbENKUlT_T0_E_clISt17integral_constantIbLb0EES12_IbLb1EEEEDaSY_SZ_EUlSY_E_NS1_11comp_targetILNS1_3genE0ELNS1_11target_archE4294967295ELNS1_3gpuE0ELNS1_3repE0EEENS1_30default_config_static_selectorELNS0_4arch9wavefront6targetE0EEEvT1_
; %bb.0:
	s_clause 0x1
	s_load_b64 s[40:41], s[2:3], 0x68
	s_load_b256 s[8:15], s[2:3], 0x48
	v_and_b32_e32 v18, 0x3ff, v0
	s_delay_alu instid0(VALU_DEP_1)
	v_cmp_ne_u32_e64 s5, 0, v18
	v_cmp_eq_u32_e64 s4, 0, v18
	s_and_saveexec_b32 s6, s4
	s_cbranch_execz .LBB2148_4
; %bb.1:
	s_wait_kmcnt 0x0
	s_mov_b32 s15, exec_lo
	s_mov_b32 s7, exec_lo
	v_mbcnt_lo_u32_b32 v1, s15, 0
                                        ; implicit-def: $vgpr2
	s_delay_alu instid0(VALU_DEP_1)
	v_cmpx_eq_u32_e32 0, v1
	s_cbranch_execz .LBB2148_3
; %bb.2:
	s_load_b64 s[16:17], s[2:3], 0x98
	s_bcnt1_i32_b32 s15, s15
	s_delay_alu instid0(SALU_CYCLE_1)
	v_dual_mov_b32 v2, 0 :: v_dual_mov_b32 v3, s15
	s_wait_xcnt 0x0
	s_wait_kmcnt 0x0
	global_atomic_add_u32 v2, v2, v3, s[16:17] th:TH_ATOMIC_RETURN scope:SCOPE_DEV
.LBB2148_3:
	s_wait_xcnt 0x0
	s_or_b32 exec_lo, exec_lo, s7
	s_wait_loadcnt 0x0
	v_readfirstlane_b32 s7, v2
	s_delay_alu instid0(VALU_DEP_1)
	v_dual_mov_b32 v2, 0 :: v_dual_add_nc_u32 v1, s7, v1
	ds_store_b32 v2, v1
.LBB2148_4:
	s_or_b32 exec_lo, exec_lo, s6
	v_mov_b32_e32 v1, 0
	s_clause 0x2
	s_load_b256 s[16:23], s[2:3], 0x0
	s_load_b32 s6, s[2:3], 0x70
	s_load_b256 s[24:31], s[2:3], 0x78
	s_wait_dscnt 0x0
	s_barrier_signal -1
	s_barrier_wait -1
	ds_load_b32 v8, v1
	s_mov_b32 s36, 0
	v_mov_b64_e32 v[2:3], 0
	s_mov_b32 s37, s36
	s_mov_b32 s38, s36
	;; [unrolled: 1-line block ×3, first 2 shown]
	v_mov_b64_e32 v[4:5], s[36:37]
	v_mov_b64_e32 v[6:7], s[38:39]
	s_wait_dscnt 0x0
	s_barrier_signal -1
	s_barrier_wait -1
	s_barrier_signal -1
	s_barrier_wait -1
	s_clause 0x2
	scratch_store_b32 off, v1, off offset:320
	scratch_store_b128 off, v[4:7], off offset:304
	scratch_store_b128 off, v[4:7], off offset:288
	v_readfirstlane_b32 s38, v8
.LBB2148_5:                             ; =>This Inner Loop Header: Depth=1
	s_wait_xcnt 0x0
	s_add_co_i32 s2, s36, 0x120
	s_add_co_i32 s36, s36, 8
	scratch_store_b64 off, v[2:3], s2
	s_cmp_lg_u32 s36, 32
	s_cbranch_scc1 .LBB2148_5
; %bb.6:
	s_mov_b32 s44, 0
	s_wait_xcnt 0x0
	v_mov_b64_e32 v[2:3], 0
	s_mov_b32 s45, s44
	s_mov_b32 s46, s44
	s_mov_b32 s47, s44
	v_mov_b64_e32 v[4:5], s[44:45]
	v_mov_b64_e32 v[6:7], s[46:47]
	v_mov_b32_e32 v1, 0
	s_mov_b32 s2, 36
	s_wait_kmcnt 0x0
	s_movk_i32 s15, 0x144
	s_clause 0x3
	scratch_store_b8 off, v1, off offset:320
	scratch_store_b128 off, v[4:7], off offset:324
	scratch_store_b32 off, v1, off offset:356
	scratch_store_b128 off, v[4:7], off offset:340
.LBB2148_7:                             ; =>This Inner Loop Header: Depth=1
	s_wait_xcnt 0x0
	s_add_co_i32 s3, s2, 0x120
	s_add_co_i32 s2, s2, 8
	scratch_store_b64 off, v[2:3], s3
	s_cmp_lg_u32 s2, 0x44
	s_cbranch_scc1 .LBB2148_7
; %bb.8:
	s_mov_b32 s44, 0
	s_wait_xcnt 0x0
	v_mov_b64_e32 v[2:3], 0
	s_mov_b32 s45, s44
	s_mov_b32 s46, s44
	;; [unrolled: 1-line block ×3, first 2 shown]
	v_mov_b64_e32 v[4:5], s[44:45]
	v_mov_b64_e32 v[6:7], s[46:47]
	v_mov_b32_e32 v1, 0
	s_movk_i32 s2, 0x48
	s_movk_i32 s42, 0x168
	s_clause 0x3
	scratch_store_b8 off, v1, off offset:356
	scratch_store_b128 off, v[4:7], off offset:360
	scratch_store_b32 off, v1, off offset:392
	scratch_store_b128 off, v[4:7], off offset:376
.LBB2148_9:                             ; =>This Inner Loop Header: Depth=1
	s_wait_xcnt 0x0
	s_add_co_i32 s3, s2, 0x120
	s_add_co_i32 s2, s2, 8
	scratch_store_b64 off, v[2:3], s3
	s_cmp_lg_u32 s2, 0x68
	s_cbranch_scc1 .LBB2148_9
; %bb.10:
	s_wait_xcnt 0x0
	v_mov_b64_e32 v[2:3], 0
	v_mov_b32_e32 v1, 0
	s_mov_b32 s2, 0
	scratch_store_b8 off, v1, off offset:392
.LBB2148_11:                            ; =>This Inner Loop Header: Depth=1
	s_wait_xcnt 0x0
	s_add_co_i32 s3, s2, 0x90
	s_add_co_i32 s2, s2, 8
	scratch_store_b64 off, v[2:3], s3
	s_cmp_lg_u32 s2, 32
	s_cbranch_scc1 .LBB2148_11
; %bb.12:
	s_wait_xcnt 0x0
	v_mov_b64_e32 v[2:3], 0
	s_mov_b32 s2, 32
.LBB2148_13:                            ; =>This Inner Loop Header: Depth=1
	s_wait_xcnt 0x0
	s_add_co_i32 s3, s2, 0x90
	s_add_co_i32 s2, s2, 8
	scratch_store_b64 off, v[2:3], s3
	s_cmp_lg_u32 s2, 64
	s_cbranch_scc1 .LBB2148_13
; %bb.14:
	s_wait_xcnt 0x0
	v_mov_b64_e32 v[2:3], 0
	s_mov_b32 s2, 64
.LBB2148_15:                            ; =>This Inner Loop Header: Depth=1
	s_wait_xcnt 0x0
	s_add_co_i32 s3, s2, 0x90
	s_add_co_i32 s2, s2, 8
	scratch_store_b64 off, v[2:3], s3
	s_cmp_lg_u32 s2, 0x60
	s_cbranch_scc1 .LBB2148_15
; %bb.16:
	s_wait_xcnt 0x0
	s_lshl_b64 s[2:3], s[18:19], 2
	s_mov_b32 s7, 0
	s_add_nc_u64 s[2:3], s[16:17], s[2:3]
	s_mul_u64 s[16:17], s[40:41], s[6:7]
	s_mov_b32 s39, s7
	s_add_nc_u64 s[24:25], s[24:25], -1
	s_add_nc_u64 s[36:37], s[16:17], s[38:39]
	s_lshl_b64 s[34:35], s[18:19], 5
	s_cmp_lg_u64 s[28:29], 0
	v_cmp_ge_u64_e64 s28, s[36:37], s[24:25]
	s_mul_i32 s6, s38, 0x300
	s_add_nc_u64 s[44:45], s[20:21], s[34:35]
	s_cselect_b32 s39, -1, 0
	s_lshl_b64 s[16:17], s[6:7], 2
	s_lshl_b64 s[20:21], s[6:7], 5
	s_movk_i32 s33, 0xd0
	s_movk_i32 s43, 0xb0
	s_add_nc_u64 s[18:19], s[2:3], s[16:17]
	s_add_nc_u64 s[16:17], s[44:45], s[20:21]
	s_and_b32 vcc_lo, exec_lo, s28
	s_mul_i32 s29, s24, 0xfffffd00
	s_cbranch_vccz .LBB2148_26
; %bb.17:
	v_mov_b32_e32 v1, 0
	s_add_co_i32 s44, s29, s14
	s_delay_alu instid0(SALU_CYCLE_1)
	v_cmp_gt_u32_e64 s2, s44, v18
	flat_load_b32 v1, v1, s[18:19]
	s_wait_loadcnt_dscnt 0x0
	v_mov_b32_e32 v2, v1
	s_wait_xcnt 0x0
	s_and_saveexec_b32 s3, s2
	s_cbranch_execz .LBB2148_19
; %bb.18:
	flat_load_b32 v2, v18, s[18:19] scale_offset
.LBB2148_19:
	s_wait_xcnt 0x0
	s_or_b32 exec_lo, exec_lo, s3
	v_add_nc_u32_e32 v3, 0x100, v18
	s_delay_alu instid0(VALU_DEP_1)
	v_cmp_gt_u32_e64 s3, s44, v3
	v_mov_b32_e32 v3, v1
	s_and_saveexec_b32 s6, s3
	s_cbranch_execz .LBB2148_21
; %bb.20:
	flat_load_b32 v3, v18, s[18:19] offset:1024 scale_offset
.LBB2148_21:
	s_wait_xcnt 0x0
	s_or_b32 exec_lo, exec_lo, s6
	v_add_nc_u32_e32 v4, 0x200, v18
	s_mov_b32 s7, exec_lo
	s_delay_alu instid0(VALU_DEP_1) | instskip(SKIP_2) | instid1(SALU_CYCLE_1)
	v_cmp_gt_u32_e64 s6, s44, v4
	v_cmpx_le_u32_e64 s44, v4
	s_xor_b32 s7, exec_lo, s7
	s_and_not1_saveexec_b32 s7, s7
	s_cbranch_execz .LBB2148_23
; %bb.22:
	flat_load_b32 v1, v18, s[18:19] offset:2048 scale_offset
.LBB2148_23:
	s_wait_xcnt 0x0
	s_or_b32 exec_lo, exec_lo, s7
	v_dual_lshlrev_b32 v4, 2, v18 :: v_dual_lshlrev_b32 v5, 3, v18
	s_cmp_eq_u64 s[36:37], 0
	s_mov_b64 s[24:25], s[18:19]
	s_wait_loadcnt_dscnt 0x0
	ds_store_2addr_stride64_b32 v4, v2, v3 offset1:4
	ds_store_b32 v4, v1 offset:2048
	v_add_nc_u32_e32 v6, v4, v5
	s_wait_storecnt_dscnt 0x0
	s_barrier_signal -1
	s_barrier_wait -1
	ds_load_2addr_b32 v[2:3], v6 offset1:1
	ds_load_b32 v1, v6 offset:8
	s_cbranch_scc1 .LBB2148_29
; %bb.24:
	s_and_not1_b32 vcc_lo, exec_lo, s39
	s_cbranch_vccnz .LBB2148_27
; %bb.25:
	s_lshl_b64 s[24:25], s[36:37], 2
	s_mov_b32 s7, 0
	s_add_nc_u64 s[24:25], s[30:31], s[24:25]
	s_delay_alu instid0(SALU_CYCLE_1)
	s_add_nc_u64 s[24:25], s[24:25], -4
	s_branch .LBB2148_28
.LBB2148_26:
                                        ; implicit-def: $sgpr2
	s_cbranch_execnz .LBB2148_40
	s_branch .LBB2148_50
.LBB2148_27:
	s_add_nc_u64 s[24:25], s[18:19], -4
	s_mov_b32 s7, -1
.LBB2148_28:
	s_delay_alu instid0(SALU_CYCLE_1)
	s_and_not1_b32 vcc_lo, exec_lo, s7
.LBB2148_29:
	v_dual_mov_b32 v4, 0 :: v_dual_sub_nc_u32 v5, v6, v5
	flat_load_b32 v4, v4, s[24:25]
	s_wait_dscnt 0x1
	ds_store_b32 v5, v1 offset:3072
	s_wait_loadcnt_dscnt 0x0
	s_barrier_signal -1
	s_barrier_wait -1
	s_and_saveexec_b32 s7, s5
; %bb.30:
	ds_load_b32 v4, v5 offset:3068
; %bb.31:
	s_or_b32 exec_lo, exec_lo, s7
	s_wait_dscnt 0x0
	s_barrier_signal -1
	s_barrier_wait -1
	s_and_saveexec_b32 s7, s2
	s_cbranch_execnz .LBB2148_43
; %bb.32:
	s_or_b32 exec_lo, exec_lo, s7
	s_and_saveexec_b32 s2, s3
	s_cbranch_execnz .LBB2148_44
.LBB2148_33:
	s_or_b32 exec_lo, exec_lo, s2
	s_and_saveexec_b32 s2, s6
	s_cbranch_execz .LBB2148_35
.LBB2148_34:
	v_lshlrev_b32_e32 v14, 5, v18
	s_clause 0x1
	flat_load_b128 v[6:9], v14, s[16:17] offset:16384
	flat_load_b128 v[10:13], v14, s[16:17] offset:16400
	s_wait_loadcnt_dscnt 0x101
	scratch_store_b128 off, v[6:9], off offset:208
	s_wait_loadcnt_dscnt 0x0
	scratch_store_b128 off, v[10:13], off offset:224
.LBB2148_35:
	s_wait_xcnt 0x0
	s_or_b32 exec_lo, exec_lo, s2
	s_clause 0x1
	scratch_load_b128 v[8:11], off, off offset:144
	scratch_load_b128 v[12:15], off, off offset:160
	s_clause 0x3
	scratch_load_b128 v[20:23], off, s43
	scratch_load_b128 v[24:27], off, s43 offset:16
	scratch_load_b128 v[28:31], off, s33
	scratch_load_b128 v[32:35], off, s33 offset:16
	v_mad_u32_u24 v5, v18, 28, v5
	s_mov_b32 s3, 0
	s_mov_b32 s7, 0
	s_mov_b32 s6, exec_lo
                                        ; implicit-def: $sgpr2
	s_wait_loadcnt 0x5
	ds_store_b128 v5, v[8:11]
	s_wait_loadcnt 0x4
	ds_store_b128 v5, v[12:15] offset:16
	s_wait_loadcnt 0x3
	ds_store_b128 v5, v[20:23] offset:8192
	;; [unrolled: 2-line block ×5, first 2 shown]
	v_lshl_add_u32 v6, v18, 6, v5
	s_wait_storecnt_dscnt 0x0
	s_barrier_signal -1
	s_barrier_wait -1
	ds_load_b128 v[8:11], v6 offset:32
	ds_load_b128 v[12:15], v6 offset:48
	;; [unrolled: 1-line block ×4, first 2 shown]
	v_mul_u32_u24_e32 v5, 3, v18
	s_wait_dscnt 0x3
	scratch_store_b128 off, v[8:11], s43
	s_wait_dscnt 0x2
	scratch_store_b128 off, v[12:15], s43 offset:16
	s_wait_dscnt 0x1
	scratch_store_b128 off, v[20:23], s33
	s_wait_dscnt 0x0
	scratch_store_b128 off, v[24:27], s33 offset:16
	s_wait_xcnt 0x0
	v_cmpx_gt_u32_e64 s44, v5
	s_cbranch_execz .LBB2148_39
; %bb.36:
	ds_load_b128 v[8:11], v6
	ds_load_b128 v[12:15], v6 offset:16
	v_cmp_ne_u32_e32 vcc_lo, v4, v2
	v_add_nc_u32_e32 v7, 1, v5
	s_mov_b32 s24, 0
	s_mov_b32 s7, exec_lo
                                        ; implicit-def: $sgpr2
	v_cndmask_b32_e64 v4, 0, 1, vcc_lo
	s_wait_dscnt 0x1
	scratch_store_b128 off, v[8:11], off offset:288
	s_wait_dscnt 0x0
	s_clause 0x1
	scratch_store_b128 off, v[12:15], off offset:304
	scratch_store_b8 off, v4, off offset:320
	s_wait_xcnt 0x0
	v_cmpx_gt_u32_e64 s44, v7
	s_xor_b32 s7, exec_lo, s7
	s_cbranch_execz .LBB2148_38
; %bb.37:
	v_add_nc_u32_e32 v4, 32, v6
	v_cmp_ne_u32_e64 s2, v2, v3
	ds_load_2addr_b32 v[8:9], v4 offset0:2 offset1:3
	ds_load_2addr_b32 v[10:11], v4 offset0:4 offset1:5
	ds_load_2addr_b32 v[6:7], v4 offset1:1
	ds_load_2addr_b32 v[12:13], v4 offset0:6 offset1:7
	v_add_nc_u32_e32 v4, 2, v5
	v_cndmask_b32_e64 v2, 0, 1, s2
	v_cmp_ne_u32_e64 s2, v3, v1
	s_wait_dscnt 0x1
	scratch_store_b128 off, v[6:9], s15
	s_wait_dscnt 0x0
	scratch_store_b128 off, v[10:13], s15 offset:16
	scratch_store_b8 off, v2, off offset:356
	v_cmp_gt_u32_e32 vcc_lo, s44, v4
	s_and_b32 s24, vcc_lo, exec_lo
.LBB2148_38:
	s_wait_xcnt 0x0
	s_or_b32 exec_lo, exec_lo, s7
	s_delay_alu instid0(SALU_CYCLE_1)
	s_and_b32 s7, s24, exec_lo
.LBB2148_39:
	s_or_b32 exec_lo, exec_lo, s6
	s_delay_alu instid0(SALU_CYCLE_1)
	s_and_b32 vcc_lo, exec_lo, s3
	s_cbranch_vccz .LBB2148_50
.LBB2148_40:
	s_clause 0x2
	flat_load_b32 v1, v18, s[18:19] scale_offset
	flat_load_b32 v2, v18, s[18:19] offset:1024 scale_offset
	flat_load_b32 v3, v18, s[18:19] offset:2048 scale_offset
	v_dual_lshlrev_b32 v4, 2, v18 :: v_dual_lshlrev_b32 v5, 3, v18
	s_cmp_eq_u64 s[36:37], 0
	s_wait_loadcnt_dscnt 0x101
	ds_store_2addr_stride64_b32 v4, v1, v2 offset1:4
	s_wait_loadcnt_dscnt 0x1
	ds_store_b32 v4, v3 offset:2048
	v_dual_add_nc_u32 v6, v4, v5 :: v_dual_mov_b32 v4, 0
	s_wait_storecnt_dscnt 0x0
	s_barrier_signal -1
	s_barrier_wait -1
	ds_load_2addr_b32 v[2:3], v6 offset1:1
	ds_load_b32 v1, v6 offset:8
	s_cbranch_scc1 .LBB2148_47
; %bb.41:
	s_and_not1_b32 vcc_lo, exec_lo, s39
	s_cbranch_vccnz .LBB2148_45
; %bb.42:
	s_lshl_b64 s[2:3], s[36:37], 2
	s_delay_alu instid0(SALU_CYCLE_1)
	s_add_nc_u64 s[2:3], s[30:31], s[2:3]
	s_wait_xcnt 0x0
	s_add_nc_u64 s[18:19], s[2:3], -4
	s_mov_b32 s2, 0
	s_branch .LBB2148_46
.LBB2148_43:
	v_lshlrev_b32_e32 v14, 5, v18
	s_clause 0x1
	flat_load_b128 v[6:9], v14, s[16:17]
	flat_load_b128 v[10:13], v14, s[16:17] offset:16
	s_wait_loadcnt_dscnt 0x101
	scratch_store_b128 off, v[6:9], off offset:144
	s_wait_loadcnt_dscnt 0x0
	scratch_store_b128 off, v[10:13], off offset:160
	s_wait_xcnt 0x0
	s_or_b32 exec_lo, exec_lo, s7
	s_and_saveexec_b32 s2, s3
	s_cbranch_execz .LBB2148_33
.LBB2148_44:
	v_lshlrev_b32_e32 v14, 5, v18
	s_clause 0x1
	flat_load_b128 v[6:9], v14, s[16:17] offset:8192
	flat_load_b128 v[10:13], v14, s[16:17] offset:8208
	s_wait_loadcnt_dscnt 0x101
	scratch_store_b128 off, v[6:9], off offset:176
	s_wait_loadcnt_dscnt 0x0
	scratch_store_b128 off, v[10:13], off offset:192
	s_wait_xcnt 0x0
	s_or_b32 exec_lo, exec_lo, s2
	s_and_saveexec_b32 s2, s6
	s_cbranch_execnz .LBB2148_34
	s_branch .LBB2148_35
.LBB2148_45:
	s_wait_xcnt 0x0
	s_add_nc_u64 s[18:19], s[18:19], -4
	s_mov_b32 s2, -1
.LBB2148_46:
	s_delay_alu instid0(SALU_CYCLE_1)
	s_and_not1_b32 vcc_lo, exec_lo, s2
.LBB2148_47:
	flat_load_b32 v4, v4, s[18:19]
	v_sub_nc_u32_e32 v5, v6, v5
	s_wait_dscnt 0x1
	ds_store_b32 v5, v1 offset:3072
	s_wait_loadcnt_dscnt 0x0
	s_barrier_signal -1
	s_barrier_wait -1
	s_and_saveexec_b32 s2, s5
; %bb.48:
	ds_load_b32 v4, v5 offset:3068
; %bb.49:
	s_or_b32 exec_lo, exec_lo, s2
	v_lshlrev_b32_e32 v19, 5, v18
	s_wait_dscnt 0x0
	s_barrier_signal -1
	s_barrier_wait -1
	s_clause 0x1
	flat_load_b128 v[6:9], v19, s[16:17]
	flat_load_b128 v[10:13], v19, s[16:17] offset:16
	v_mad_u32_u24 v5, v18, 28, v5
	v_cmp_ne_u32_e32 vcc_lo, v2, v3
	v_cmp_ne_u32_e64 s2, v3, v1
	s_mov_b32 s7, -1
	s_wait_loadcnt_dscnt 0x101
	scratch_store_b128 off, v[6:9], off offset:144
	s_wait_loadcnt_dscnt 0x0
	scratch_store_b128 off, v[10:13], off offset:160
	s_clause 0x1
	flat_load_b128 v[14:17], v19, s[16:17] offset:8192
	flat_load_b128 v[20:23], v19, s[16:17] offset:8208
	v_cndmask_b32_e64 v1, 0, 1, vcc_lo
	v_cmp_ne_u32_e32 vcc_lo, v4, v2
	s_wait_loadcnt_dscnt 0x101
	scratch_store_b128 off, v[14:17], off offset:176
	s_wait_loadcnt_dscnt 0x0
	scratch_store_b128 off, v[20:23], off offset:192
	s_clause 0x1
	flat_load_b128 v[14:17], v19, s[16:17] offset:16384
	flat_load_b128 v[20:23], v19, s[16:17] offset:16400
	s_clause 0x1
	scratch_load_b128 v[24:27], off, s43
	scratch_load_b128 v[28:31], off, s43 offset:16
	s_wait_xcnt 0x2
	v_lshl_add_u32 v19, v18, 6, v5
	v_cndmask_b32_e64 v2, 0, 1, vcc_lo
	s_wait_loadcnt_dscnt 0x301
	scratch_store_b128 off, v[14:17], off offset:208
	s_wait_loadcnt_dscnt 0x200
	scratch_store_b128 off, v[20:23], off offset:224
	s_clause 0x1
	scratch_load_b128 v[14:17], off, s33
	scratch_load_b128 v[20:23], off, s33 offset:16
	ds_store_b128 v5, v[6:9]
	ds_store_b128 v5, v[10:13] offset:16
	s_wait_loadcnt 0x3
	ds_store_b128 v5, v[24:27] offset:8192
	s_wait_loadcnt 0x2
	;; [unrolled: 2-line block ×4, first 2 shown]
	ds_store_b128 v5, v[20:23] offset:16400
	s_wait_storecnt_dscnt 0x0
	s_barrier_signal -1
	s_barrier_wait -1
	ds_load_b128 v[6:9], v19 offset:32
	ds_load_b128 v[10:13], v19 offset:48
	;; [unrolled: 1-line block ×4, first 2 shown]
	ds_load_b128 v[24:27], v19
	ds_load_b128 v[28:31], v19 offset:16
	s_wait_dscnt 0x5
	scratch_store_b128 off, v[6:9], s43
	s_wait_dscnt 0x4
	scratch_store_b128 off, v[10:13], s43 offset:16
	s_wait_dscnt 0x3
	scratch_store_b128 off, v[14:17], s33
	s_wait_dscnt 0x2
	scratch_store_b128 off, v[20:23], s33 offset:16
	s_wait_dscnt 0x1
	scratch_store_b128 off, v[24:27], off offset:288
	s_wait_dscnt 0x0
	scratch_store_b128 off, v[28:31], off offset:304
	s_clause 0x1
	scratch_store_b128 off, v[10:13], s15 offset:16
	scratch_store_b128 off, v[6:9], s15
	s_clause 0x1
	scratch_store_b8 off, v2, off offset:320
	scratch_store_b8 off, v1, off offset:356
.LBB2148_50:
	s_wait_xcnt 0x0
	s_and_saveexec_b32 s3, s7
	s_cbranch_execz .LBB2148_52
; %bb.51:
	s_clause 0x1
	scratch_load_b128 v[2:5], off, s33
	scratch_load_b128 v[6:9], off, s33 offset:16
	v_cndmask_b32_e64 v1, 0, 1, s2
	s_wait_loadcnt 0x1
	scratch_store_b128 off, v[2:5], s42
	s_wait_loadcnt 0x0
	scratch_store_b128 off, v[6:9], s42 offset:16
	scratch_store_b8 off, v1, off offset:392
.LBB2148_52:
	s_wait_xcnt 0x0
	s_or_b32 exec_lo, exec_lo, s3
	s_cmp_lg_u32 s38, 0
	s_mov_b32 s2, 0
	s_wait_storecnt 0x0
	s_barrier_signal -1
	s_barrier_wait -1
	s_cbranch_scc0 .LBB2148_268
; %bb.53:
	v_mov_b64_e32 v[2:3], 0
	v_mov_b32_e32 v1, 0
	scratch_store_b32 off, v1, off offset:176
.LBB2148_54:                            ; =>This Inner Loop Header: Depth=1
	s_wait_xcnt 0x0
	s_add_co_i32 s3, s2, 0x90
	s_add_co_i32 s2, s2, 8
	scratch_store_b64 off, v[2:3], s3
	s_cmp_lg_u32 s2, 32
	s_cbranch_scc1 .LBB2148_54
; %bb.55:
	s_clause 0x3
	scratch_load_u8 v1, off, off offset:356
	scratch_load_b128 v[2:5], off, off offset:288
	scratch_load_b128 v[6:9], off, off offset:304
	scratch_load_u8 v10, off, off offset:320
	s_mov_b32 s2, exec_lo
	s_wait_loadcnt 0x2
	scratch_store_b128 off, v[2:5], off offset:144
	s_wait_loadcnt 0x1
	scratch_store_b128 off, v[6:9], off offset:160
                                        ; implicit-def: $vgpr8_vgpr9
                                        ; implicit-def: $vgpr4_vgpr5
	s_wait_xcnt 0x0
	v_cmpx_ne_u16_e32 0, v1
	s_xor_b32 s2, exec_lo, s2
	s_cbranch_execz .LBB2148_57
; %bb.56:
	s_clause 0x1
	scratch_load_b128 v[2:5], off, off offset:324
	scratch_load_b128 v[6:9], off, off offset:340
.LBB2148_57:
	s_wait_xcnt 0x0
	s_and_not1_saveexec_b32 s2, s2
	s_cbranch_execz .LBB2148_63
; %bb.58:
	s_wait_loadcnt 0x1
	v_mov_b64_e32 v[2:3], 0
	s_mov_b32 s3, 0
.LBB2148_59:                            ; =>This Inner Loop Header: Depth=1
	s_wait_xcnt 0x0
	s_add_co_i32 s6, s3, 32
	s_add_co_i32 s3, s3, 8
	scratch_store_b64 off, v[2:3], s6
	s_cmp_lg_u32 s3, 32
	s_cbranch_scc1 .LBB2148_59
; %bb.60:
	s_mov_b32 s3, 0
.LBB2148_61:                            ; =>This Inner Loop Header: Depth=1
	s_wait_xcnt 0x0
	s_add_co_i32 s6, s3, 0x90
	s_add_co_i32 s7, s15, s3
	scratch_load_b64 v[2:3], off, s6
	scratch_load_b64 v[4:5], off, s7
	s_wait_xcnt 0x1
	s_add_co_i32 s6, s3, 32
	s_add_co_i32 s3, s3, 8
	s_delay_alu instid0(SALU_CYCLE_1)
	s_cmp_lg_u32 s3, 32
	s_wait_loadcnt 0x0
	v_dual_add_nc_u32 v3, v5, v3 :: v_dual_add_nc_u32 v2, v4, v2
	scratch_store_b64 off, v[2:3], s6
	s_cbranch_scc1 .LBB2148_61
; %bb.62:
	s_clause 0x1
	scratch_load_b128 v[2:5], off, off offset:32
	scratch_load_b128 v[6:9], off, off offset:48
.LBB2148_63:
	s_wait_xcnt 0x0
	s_or_b32 exec_lo, exec_lo, s2
	scratch_load_u8 v11, off, off offset:392
	s_mov_b32 s2, exec_lo
	s_wait_loadcnt 0x2
	scratch_store_b128 off, v[2:5], off offset:144
	s_wait_loadcnt 0x1
	scratch_store_b128 off, v[6:9], off offset:160
                                        ; implicit-def: $vgpr8_vgpr9
                                        ; implicit-def: $vgpr4_vgpr5
	s_wait_loadcnt 0x0
	v_cmpx_ne_u16_e32 0, v11
	s_xor_b32 s2, exec_lo, s2
	s_cbranch_execz .LBB2148_65
; %bb.64:
	s_clause 0x1
	scratch_load_b128 v[2:5], off, off offset:360
	scratch_load_b128 v[6:9], off, off offset:376
.LBB2148_65:
	s_wait_xcnt 0x0
	s_and_not1_saveexec_b32 s2, s2
	s_cbranch_execz .LBB2148_71
; %bb.66:
	s_wait_loadcnt 0x1
	v_mov_b64_e32 v[2:3], 0
	s_mov_b32 s3, 0
.LBB2148_67:                            ; =>This Inner Loop Header: Depth=1
	s_wait_xcnt 0x0
	s_add_co_i32 s6, s3, 32
	s_add_co_i32 s3, s3, 8
	scratch_store_b64 off, v[2:3], s6
	s_cmp_lg_u32 s3, 32
	s_cbranch_scc1 .LBB2148_67
; %bb.68:
	s_mov_b32 s3, 0
.LBB2148_69:                            ; =>This Inner Loop Header: Depth=1
	s_wait_xcnt 0x0
	s_add_co_i32 s6, s3, 0x90
	s_add_co_i32 s7, s42, s3
	scratch_load_b64 v[2:3], off, s6
	scratch_load_b64 v[4:5], off, s7
	s_wait_xcnt 0x1
	s_add_co_i32 s6, s3, 32
	s_add_co_i32 s3, s3, 8
	s_delay_alu instid0(SALU_CYCLE_1)
	s_cmp_lg_u32 s3, 32
	s_wait_loadcnt 0x0
	v_dual_add_nc_u32 v3, v5, v3 :: v_dual_add_nc_u32 v2, v4, v2
	scratch_store_b64 off, v[2:3], s6
	s_cbranch_scc1 .LBB2148_69
; %bb.70:
	s_clause 0x1
	scratch_load_b128 v[2:5], off, off offset:32
	scratch_load_b128 v[6:9], off, off offset:48
.LBB2148_71:
	s_wait_xcnt 0x0
	s_or_b32 exec_lo, exec_lo, s2
	s_clause 0x1
	scratch_load_u16 v12, off, off offset:177
	scratch_load_i8 v13, off, off offset:179
	v_bitop3_b16 v1, v1, 0xff, v10 bitop3:0xc8
	v_and_b32_e32 v10, 1, v11
	v_mbcnt_lo_u32_b32 v19, -1, 0
	s_wait_loadcnt 0x3
	v_mov_b32_dpp v14, v2 row_shr:1 row_mask:0xf bank_mask:0xf
	v_mov_b32_dpp v15, v3 row_shr:1 row_mask:0xf bank_mask:0xf
	v_cmp_ne_u16_e32 vcc_lo, 0, v1
	v_cmp_eq_u32_e64 s2, 1, v10
	v_mov_b32_dpp v16, v4 row_shr:1 row_mask:0xf bank_mask:0xf
	v_mov_b32_dpp v17, v5 row_shr:1 row_mask:0xf bank_mask:0xf
	s_wait_loadcnt 0x2
	v_mov_b32_dpp v20, v6 row_shr:1 row_mask:0xf bank_mask:0xf
	v_mov_b32_dpp v21, v7 row_shr:1 row_mask:0xf bank_mask:0xf
	s_or_b32 s2, vcc_lo, s2
	v_mov_b32_dpp v22, v8 row_shr:1 row_mask:0xf bank_mask:0xf
	v_cndmask_b32_e64 v1, 0, 1, s2
	v_mov_b32_dpp v23, v9 row_shr:1 row_mask:0xf bank_mask:0xf
	s_mov_b32 s2, exec_lo
	s_clause 0x1
	scratch_store_b128 off, v[2:5], off offset:240
	scratch_store_b128 off, v[6:9], off offset:256
	s_wait_loadcnt 0x1
	v_lshlrev_b16 v10, 8, v12
	s_wait_loadcnt 0x0
	v_perm_b32 v11, v12, v13, 0xc0c0005
	s_delay_alu instid0(VALU_DEP_2) | instskip(SKIP_1) | instid1(VALU_DEP_2)
	v_or_b32_e32 v1, v1, v10
	v_and_b32_e32 v10, 15, v19
	v_and_b32_e32 v12, 0xffff, v1
	s_delay_alu instid0(VALU_DEP_1) | instskip(NEXT) | instid1(VALU_DEP_1)
	v_lshl_or_b32 v11, v11, 16, v12
	v_mov_b32_dpp v12, v11 row_shr:1 row_mask:0xf bank_mask:0xf
	s_clause 0x3
	scratch_store_b32 off, v11, off offset:272
	scratch_store_b128 off, v[14:17], off offset:144
	scratch_store_b128 off, v[20:23], off offset:160
	scratch_store_b32 off, v12, off offset:176
	s_wait_xcnt 0x0
	v_cmpx_ne_u32_e32 0, v10
	s_cbranch_execz .LBB2148_79
; %bb.72:
	v_and_b32_e32 v1, 0xff, v1
	s_mov_b32 s3, exec_lo
	s_delay_alu instid0(VALU_DEP_1)
	v_cmpx_eq_u16_e32 0, v1
	s_cbranch_execz .LBB2148_78
; %bb.73:
	v_mov_b64_e32 v[2:3], 0
	s_mov_b32 s6, 0
.LBB2148_74:                            ; =>This Inner Loop Header: Depth=1
	s_wait_xcnt 0x0
	s_add_co_i32 s7, s6, 32
	s_add_co_i32 s6, s6, 8
	scratch_store_b64 off, v[2:3], s7
	s_cmp_lg_u32 s6, 32
	s_cbranch_scc1 .LBB2148_74
; %bb.75:
	s_mov_b32 s6, 0
.LBB2148_76:                            ; =>This Inner Loop Header: Depth=1
	s_wait_xcnt 0x0
	s_add_co_i32 s7, s6, 0x90
	s_add_co_i32 s16, s6, 0xf0
	scratch_load_b64 v[2:3], off, s7
	scratch_load_b64 v[4:5], off, s16
	s_wait_xcnt 0x1
	s_add_co_i32 s7, s6, 32
	s_add_co_i32 s6, s6, 8
	s_delay_alu instid0(SALU_CYCLE_1)
	s_cmp_lg_u32 s6, 32
	s_wait_loadcnt 0x0
	v_dual_add_nc_u32 v3, v5, v3 :: v_dual_add_nc_u32 v2, v4, v2
	scratch_store_b64 off, v[2:3], s7
	s_cbranch_scc1 .LBB2148_76
; %bb.77:
	s_clause 0x1
	scratch_load_b128 v[2:5], off, off offset:32
	scratch_load_b128 v[6:9], off, off offset:48
.LBB2148_78:
	s_wait_xcnt 0x0
	s_or_b32 exec_lo, exec_lo, s3
	v_or_b32_e32 v1, v12, v11
	s_delay_alu instid0(VALU_DEP_1)
	v_and_b32_e32 v1, 1, v1
	s_clause 0x1
	scratch_store_b8 off, v1, off offset:272
	scratch_load_b32 v11, off, off offset:272
	s_wait_loadcnt 0x2
	scratch_store_b128 off, v[2:5], off offset:240
	s_wait_loadcnt 0x1
	scratch_store_b128 off, v[6:9], off offset:256
	s_wait_loadcnt 0x0
	s_wait_xcnt 0x3
	v_mov_b32_e32 v1, v11
.LBB2148_79:
	s_wait_xcnt 0x0
	s_or_b32 exec_lo, exec_lo, s2
	v_mov_b32_dpp v14, v2 row_shr:2 row_mask:0xf bank_mask:0xf
	v_mov_b32_dpp v15, v3 row_shr:2 row_mask:0xf bank_mask:0xf
	;; [unrolled: 1-line block ×9, first 2 shown]
	s_mov_b32 s3, exec_lo
	s_clause 0x2
	scratch_store_b128 off, v[14:17], off offset:144
	scratch_store_b128 off, v[20:23], off offset:160
	scratch_store_b32 off, v12, off offset:176
	s_wait_xcnt 0x0
	v_cmpx_lt_u32_e32 1, v10
	s_cbranch_execz .LBB2148_87
; %bb.80:
	v_and_b32_e32 v11, 0xff, v1
	s_mov_b32 s6, 0
	s_mov_b32 s2, exec_lo
	s_delay_alu instid0(VALU_DEP_1)
	v_cmpx_eq_u16_e32 0, v11
	s_cbranch_execz .LBB2148_86
; %bb.81:
	v_mov_b64_e32 v[2:3], 0
.LBB2148_82:                            ; =>This Inner Loop Header: Depth=1
	s_wait_xcnt 0x0
	s_add_co_i32 s7, s6, 32
	s_add_co_i32 s6, s6, 8
	scratch_store_b64 off, v[2:3], s7
	s_cmp_lg_u32 s6, 32
	s_cbranch_scc1 .LBB2148_82
; %bb.83:
	s_mov_b32 s6, 0
.LBB2148_84:                            ; =>This Inner Loop Header: Depth=1
	s_wait_xcnt 0x0
	s_add_co_i32 s7, s6, 0x90
	s_add_co_i32 s16, s6, 0xf0
	scratch_load_b64 v[2:3], off, s7
	scratch_load_b64 v[4:5], off, s16
	s_wait_xcnt 0x1
	s_add_co_i32 s7, s6, 32
	s_add_co_i32 s6, s6, 8
	s_delay_alu instid0(SALU_CYCLE_1)
	s_cmp_lg_u32 s6, 32
	s_wait_loadcnt 0x0
	v_dual_add_nc_u32 v3, v5, v3 :: v_dual_add_nc_u32 v2, v4, v2
	scratch_store_b64 off, v[2:3], s7
	s_cbranch_scc1 .LBB2148_84
; %bb.85:
	s_clause 0x1
	scratch_load_b128 v[2:5], off, off offset:32
	scratch_load_b128 v[6:9], off, off offset:48
.LBB2148_86:
	s_wait_xcnt 0x0
	s_or_b32 exec_lo, exec_lo, s2
	v_and_b32_e32 v1, 1, v1
	v_and_b32_e32 v11, 1, v12
	s_delay_alu instid0(VALU_DEP_2) | instskip(NEXT) | instid1(VALU_DEP_2)
	v_cmp_eq_u32_e32 vcc_lo, 1, v1
	v_cmp_eq_u32_e64 s2, 1, v11
	s_or_b32 s2, vcc_lo, s2
	s_delay_alu instid0(SALU_CYCLE_1)
	v_cndmask_b32_e64 v1, 0, 1, s2
	s_clause 0x1
	scratch_store_b8 off, v1, off offset:272
	scratch_load_b32 v11, off, off offset:272
	s_wait_loadcnt 0x2
	scratch_store_b128 off, v[2:5], off offset:240
	s_wait_loadcnt 0x1
	scratch_store_b128 off, v[6:9], off offset:256
	s_wait_loadcnt 0x0
	s_wait_xcnt 0x3
	v_mov_b32_e32 v1, v11
.LBB2148_87:
	s_wait_xcnt 0x0
	s_or_b32 exec_lo, exec_lo, s3
	v_mov_b32_dpp v14, v2 row_shr:4 row_mask:0xf bank_mask:0xf
	v_mov_b32_dpp v15, v3 row_shr:4 row_mask:0xf bank_mask:0xf
	;; [unrolled: 1-line block ×9, first 2 shown]
	s_mov_b32 s3, exec_lo
	s_clause 0x2
	scratch_store_b128 off, v[14:17], off offset:144
	scratch_store_b128 off, v[20:23], off offset:160
	scratch_store_b32 off, v12, off offset:176
	s_wait_xcnt 0x0
	v_cmpx_lt_u32_e32 3, v10
	s_cbranch_execz .LBB2148_95
; %bb.88:
	v_and_b32_e32 v11, 0xff, v1
	s_mov_b32 s6, 0
	s_mov_b32 s2, exec_lo
	s_delay_alu instid0(VALU_DEP_1)
	v_cmpx_eq_u16_e32 0, v11
	s_cbranch_execz .LBB2148_94
; %bb.89:
	v_mov_b64_e32 v[2:3], 0
.LBB2148_90:                            ; =>This Inner Loop Header: Depth=1
	s_wait_xcnt 0x0
	s_add_co_i32 s7, s6, 32
	s_add_co_i32 s6, s6, 8
	scratch_store_b64 off, v[2:3], s7
	s_cmp_lg_u32 s6, 32
	s_cbranch_scc1 .LBB2148_90
; %bb.91:
	s_mov_b32 s6, 0
.LBB2148_92:                            ; =>This Inner Loop Header: Depth=1
	s_wait_xcnt 0x0
	s_add_co_i32 s7, s6, 0x90
	s_add_co_i32 s16, s6, 0xf0
	scratch_load_b64 v[2:3], off, s7
	scratch_load_b64 v[4:5], off, s16
	s_wait_xcnt 0x1
	s_add_co_i32 s7, s6, 32
	s_add_co_i32 s6, s6, 8
	s_delay_alu instid0(SALU_CYCLE_1)
	s_cmp_lg_u32 s6, 32
	s_wait_loadcnt 0x0
	v_dual_add_nc_u32 v3, v5, v3 :: v_dual_add_nc_u32 v2, v4, v2
	scratch_store_b64 off, v[2:3], s7
	s_cbranch_scc1 .LBB2148_92
; %bb.93:
	s_clause 0x1
	scratch_load_b128 v[2:5], off, off offset:32
	scratch_load_b128 v[6:9], off, off offset:48
.LBB2148_94:
	s_wait_xcnt 0x0
	s_or_b32 exec_lo, exec_lo, s2
	v_and_b32_e32 v1, 1, v1
	v_and_b32_e32 v11, 1, v12
	s_delay_alu instid0(VALU_DEP_2) | instskip(NEXT) | instid1(VALU_DEP_2)
	v_cmp_eq_u32_e32 vcc_lo, 1, v1
	v_cmp_eq_u32_e64 s2, 1, v11
	s_or_b32 s2, vcc_lo, s2
	s_delay_alu instid0(SALU_CYCLE_1)
	v_cndmask_b32_e64 v1, 0, 1, s2
	s_clause 0x1
	scratch_store_b8 off, v1, off offset:272
	scratch_load_b32 v11, off, off offset:272
	s_wait_loadcnt 0x2
	scratch_store_b128 off, v[2:5], off offset:240
	s_wait_loadcnt 0x1
	scratch_store_b128 off, v[6:9], off offset:256
	s_wait_loadcnt 0x0
	s_wait_xcnt 0x3
	v_mov_b32_e32 v1, v11
.LBB2148_95:
	s_wait_xcnt 0x0
	s_or_b32 exec_lo, exec_lo, s3
	v_mov_b32_dpp v14, v2 row_shr:8 row_mask:0xf bank_mask:0xf
	v_mov_b32_dpp v15, v3 row_shr:8 row_mask:0xf bank_mask:0xf
	;; [unrolled: 1-line block ×9, first 2 shown]
	s_mov_b32 s3, exec_lo
	s_clause 0x2
	scratch_store_b128 off, v[14:17], off offset:144
	scratch_store_b128 off, v[20:23], off offset:160
	scratch_store_b32 off, v12, off offset:176
	s_wait_xcnt 0x0
	v_cmpx_lt_u32_e32 7, v10
	s_cbranch_execz .LBB2148_103
; %bb.96:
	v_and_b32_e32 v10, 0xff, v1
	s_mov_b32 s6, 0
	s_mov_b32 s2, exec_lo
	s_delay_alu instid0(VALU_DEP_1)
	v_cmpx_eq_u16_e32 0, v10
	s_cbranch_execz .LBB2148_102
; %bb.97:
	v_mov_b64_e32 v[2:3], 0
.LBB2148_98:                            ; =>This Inner Loop Header: Depth=1
	s_wait_xcnt 0x0
	s_add_co_i32 s7, s6, 32
	s_add_co_i32 s6, s6, 8
	scratch_store_b64 off, v[2:3], s7
	s_cmp_lg_u32 s6, 32
	s_cbranch_scc1 .LBB2148_98
; %bb.99:
	s_mov_b32 s6, 0
.LBB2148_100:                           ; =>This Inner Loop Header: Depth=1
	s_wait_xcnt 0x0
	s_add_co_i32 s7, s6, 0x90
	s_add_co_i32 s16, s6, 0xf0
	scratch_load_b64 v[2:3], off, s7
	scratch_load_b64 v[4:5], off, s16
	s_wait_xcnt 0x1
	s_add_co_i32 s7, s6, 32
	s_add_co_i32 s6, s6, 8
	s_delay_alu instid0(SALU_CYCLE_1)
	s_cmp_lg_u32 s6, 32
	s_wait_loadcnt 0x0
	v_dual_add_nc_u32 v3, v5, v3 :: v_dual_add_nc_u32 v2, v4, v2
	scratch_store_b64 off, v[2:3], s7
	s_cbranch_scc1 .LBB2148_100
; %bb.101:
	s_clause 0x1
	scratch_load_b128 v[2:5], off, off offset:32
	scratch_load_b128 v[6:9], off, off offset:48
.LBB2148_102:
	s_wait_xcnt 0x0
	s_or_b32 exec_lo, exec_lo, s2
	v_and_b32_e32 v1, 1, v1
	v_and_b32_e32 v10, 1, v12
	s_delay_alu instid0(VALU_DEP_2) | instskip(NEXT) | instid1(VALU_DEP_2)
	v_cmp_eq_u32_e32 vcc_lo, 1, v1
	v_cmp_eq_u32_e64 s2, 1, v10
	s_or_b32 s2, vcc_lo, s2
	s_delay_alu instid0(SALU_CYCLE_1)
	v_cndmask_b32_e64 v1, 0, 1, s2
	s_clause 0x1
	scratch_store_b8 off, v1, off offset:272
	scratch_load_b32 v11, off, off offset:272
	s_wait_loadcnt 0x2
	scratch_store_b128 off, v[2:5], off offset:240
	s_wait_loadcnt 0x1
	scratch_store_b128 off, v[6:9], off offset:256
	s_wait_loadcnt 0x0
	s_wait_xcnt 0x3
	v_mov_b32_e32 v1, v11
.LBB2148_103:
	s_wait_xcnt 0x0
	s_or_b32 exec_lo, exec_lo, s3
	ds_swizzle_b32 v12, v2 offset:swizzle(BROADCAST,32,15)
	ds_swizzle_b32 v13, v3 offset:swizzle(BROADCAST,32,15)
	;; [unrolled: 1-line block ×9, first 2 shown]
	v_and_b32_e32 v11, 16, v19
	s_mov_b32 s3, exec_lo
	s_wait_dscnt 0x5
	scratch_store_b128 off, v[12:15], off offset:144
	s_wait_dscnt 0x0
	s_clause 0x1
	scratch_store_b128 off, v[20:23], off offset:160
	scratch_store_b32 off, v10, off offset:176
	s_wait_xcnt 0x0
	v_cmpx_ne_u32_e32 0, v11
	s_cbranch_execz .LBB2148_111
; %bb.104:
	v_and_b32_e32 v11, 0xff, v1
	s_mov_b32 s6, 0
	s_mov_b32 s2, exec_lo
	s_delay_alu instid0(VALU_DEP_1)
	v_cmpx_eq_u16_e32 0, v11
	s_cbranch_execz .LBB2148_110
; %bb.105:
	v_mov_b64_e32 v[2:3], 0
.LBB2148_106:                           ; =>This Inner Loop Header: Depth=1
	s_wait_xcnt 0x0
	s_add_co_i32 s7, s6, 32
	s_add_co_i32 s6, s6, 8
	scratch_store_b64 off, v[2:3], s7
	s_cmp_lg_u32 s6, 32
	s_cbranch_scc1 .LBB2148_106
; %bb.107:
	s_mov_b32 s6, 0
.LBB2148_108:                           ; =>This Inner Loop Header: Depth=1
	s_wait_xcnt 0x0
	s_add_co_i32 s7, s6, 0x90
	s_add_co_i32 s16, s6, 0xf0
	scratch_load_b64 v[2:3], off, s7
	scratch_load_b64 v[4:5], off, s16
	s_wait_xcnt 0x1
	s_add_co_i32 s7, s6, 32
	s_add_co_i32 s6, s6, 8
	s_delay_alu instid0(SALU_CYCLE_1)
	s_cmp_lg_u32 s6, 32
	s_wait_loadcnt 0x0
	v_dual_add_nc_u32 v3, v5, v3 :: v_dual_add_nc_u32 v2, v4, v2
	scratch_store_b64 off, v[2:3], s7
	s_cbranch_scc1 .LBB2148_108
; %bb.109:
	s_clause 0x1
	scratch_load_b128 v[2:5], off, off offset:32
	scratch_load_b128 v[6:9], off, off offset:48
.LBB2148_110:
	s_wait_xcnt 0x0
	s_or_b32 exec_lo, exec_lo, s2
	v_and_b32_e32 v1, 1, v1
	v_and_b32_e32 v10, 1, v10
	s_delay_alu instid0(VALU_DEP_2) | instskip(NEXT) | instid1(VALU_DEP_2)
	v_cmp_eq_u32_e32 vcc_lo, 1, v1
	v_cmp_eq_u32_e64 s2, 1, v10
	s_or_b32 s2, vcc_lo, s2
	s_delay_alu instid0(SALU_CYCLE_1)
	v_cndmask_b32_e64 v1, 0, 1, s2
	s_wait_loadcnt 0x1
	scratch_store_b128 off, v[2:5], off offset:240
	s_wait_loadcnt 0x0
	s_clause 0x1
	scratch_store_b128 off, v[6:9], off offset:256
	scratch_store_b8 off, v1, off offset:272
.LBB2148_111:
	s_wait_xcnt 0x0
	s_or_b32 exec_lo, exec_lo, s3
	v_and_b32_e32 v10, 0x3e0, v18
	s_mov_b32 s2, exec_lo
	s_delay_alu instid0(VALU_DEP_1) | instskip(NEXT) | instid1(VALU_DEP_1)
	v_min_u32_e32 v10, 0xe0, v10
	v_or_b32_e32 v11, 31, v10
	v_lshrrev_b32_e32 v10, 5, v18
	s_delay_alu instid0(VALU_DEP_2)
	v_cmpx_eq_u32_e64 v18, v11
	s_cbranch_execz .LBB2148_113
; %bb.112:
	s_delay_alu instid0(VALU_DEP_2)
	v_mul_u32_u24_e32 v11, 36, v10
	ds_store_2addr_b32 v11, v2, v3 offset1:1
	ds_store_2addr_b32 v11, v4, v5 offset0:2 offset1:3
	ds_store_2addr_b32 v11, v6, v7 offset0:4 offset1:5
	ds_store_2addr_b32 v11, v8, v9 offset0:6 offset1:7
	ds_store_b8 v11, v1 offset:32
.LBB2148_113:
	s_or_b32 exec_lo, exec_lo, s2
	s_delay_alu instid0(SALU_CYCLE_1)
	s_mov_b32 s3, exec_lo
	s_wait_storecnt_dscnt 0x0
	s_barrier_signal -1
	s_barrier_wait -1
	v_cmpx_gt_u32_e32 8, v18
	s_cbranch_execz .LBB2148_139
; %bb.114:
	v_mul_u32_u24_e32 v1, 36, v18
	v_and_b32_e32 v12, 7, v19
	s_mov_b32 s2, exec_lo
	ds_load_b32 v11, v1 offset:32
	ds_load_2addr_b32 v[6:7], v1 offset0:4 offset1:5
	ds_load_2addr_b32 v[2:3], v1 offset1:1
	ds_load_2addr_b32 v[4:5], v1 offset0:2 offset1:3
	ds_load_2addr_b32 v[8:9], v1 offset0:6 offset1:7
	s_wait_dscnt 0x4
	v_mov_b32_dpp v13, v11 row_shr:1 row_mask:0xf bank_mask:0xf
	s_wait_dscnt 0x3
	v_mov_b32_dpp v20, v6 row_shr:1 row_mask:0xf bank_mask:0xf
	;; [unrolled: 2-line block ×3, first 2 shown]
	v_mov_b32_dpp v15, v3 row_shr:1 row_mask:0xf bank_mask:0xf
	s_wait_dscnt 0x1
	v_mov_b32_dpp v16, v4 row_shr:1 row_mask:0xf bank_mask:0xf
	v_mov_b32_dpp v17, v5 row_shr:1 row_mask:0xf bank_mask:0xf
	;; [unrolled: 1-line block ×3, first 2 shown]
	s_wait_dscnt 0x0
	v_mov_b32_dpp v22, v8 row_shr:1 row_mask:0xf bank_mask:0xf
	v_mov_b32_dpp v23, v9 row_shr:1 row_mask:0xf bank_mask:0xf
	s_clause 0x5
	scratch_store_b32 off, v11, off offset:64
	scratch_store_b128 off, v[2:5], off offset:32
	scratch_store_b128 off, v[6:9], off offset:48
	;; [unrolled: 1-line block ×4, first 2 shown]
	scratch_store_b32 off, v13, off offset:176
	s_wait_xcnt 0x0
	v_cmpx_ne_u32_e32 0, v12
	s_cbranch_execz .LBB2148_122
; %bb.115:
	v_and_b32_e32 v14, 0xff, v11
	s_mov_b32 s6, exec_lo
	s_delay_alu instid0(VALU_DEP_1)
	v_cmpx_eq_u16_e32 0, v14
	s_cbranch_execz .LBB2148_121
; %bb.116:
	v_mov_b64_e32 v[2:3], 0
	s_mov_b32 s7, 0
.LBB2148_117:                           ; =>This Inner Loop Header: Depth=1
	s_wait_xcnt 0x0
	s_add_co_i32 s16, s7, 0x44
	s_add_co_i32 s7, s7, 8
	scratch_store_b64 off, v[2:3], s16
	s_cmp_lg_u32 s7, 32
	s_cbranch_scc1 .LBB2148_117
; %bb.118:
	s_mov_b32 s7, 0
.LBB2148_119:                           ; =>This Inner Loop Header: Depth=1
	s_wait_xcnt 0x0
	s_add_co_i32 s16, s7, 0x90
	s_add_co_i32 s17, s7, 32
	scratch_load_b64 v[2:3], off, s16
	scratch_load_b64 v[4:5], off, s17
	s_wait_xcnt 0x1
	s_add_co_i32 s16, s7, 0x44
	s_add_co_i32 s7, s7, 8
	s_delay_alu instid0(SALU_CYCLE_1)
	s_cmp_lg_u32 s7, 32
	s_wait_loadcnt 0x0
	v_dual_add_nc_u32 v3, v5, v3 :: v_dual_add_nc_u32 v2, v4, v2
	scratch_store_b64 off, v[2:3], s16
	s_cbranch_scc1 .LBB2148_119
; %bb.120:
	s_clause 0x1
	scratch_load_b128 v[2:5], off, off offset:68
	scratch_load_b128 v[6:9], off, off offset:84
.LBB2148_121:
	s_wait_xcnt 0x0
	s_or_b32 exec_lo, exec_lo, s6
	v_or_b32_e32 v11, v13, v11
	s_delay_alu instid0(VALU_DEP_1)
	v_and_b32_e32 v11, 1, v11
	s_clause 0x1
	scratch_store_b8 off, v11, off offset:64
	scratch_load_b32 v11, off, off offset:64
	s_wait_loadcnt 0x2
	scratch_store_b128 off, v[2:5], off offset:32
	s_wait_loadcnt 0x1
	scratch_store_b128 off, v[6:9], off offset:48
.LBB2148_122:
	s_wait_xcnt 0x0
	s_or_b32 exec_lo, exec_lo, s2
	v_mov_b32_dpp v14, v2 row_shr:2 row_mask:0xf bank_mask:0xf
	v_mov_b32_dpp v15, v3 row_shr:2 row_mask:0xf bank_mask:0xf
	v_mov_b32_dpp v16, v4 row_shr:2 row_mask:0xf bank_mask:0xf
	v_mov_b32_dpp v17, v5 row_shr:2 row_mask:0xf bank_mask:0xf
	s_wait_loadcnt 0x0
	v_mov_b32_dpp v13, v11 row_shr:2 row_mask:0xf bank_mask:0xf
	v_mov_b32_dpp v20, v6 row_shr:2 row_mask:0xf bank_mask:0xf
	;; [unrolled: 1-line block ×5, first 2 shown]
	s_mov_b32 s6, exec_lo
	s_clause 0x2
	scratch_store_b128 off, v[14:17], off offset:144
	scratch_store_b128 off, v[20:23], off offset:160
	scratch_store_b32 off, v13, off offset:176
	s_wait_xcnt 0x0
	v_cmpx_lt_u32_e32 1, v12
	s_cbranch_execz .LBB2148_130
; %bb.123:
	v_and_b32_e32 v14, 0xff, v11
	s_mov_b32 s7, 0
	s_mov_b32 s2, exec_lo
	s_delay_alu instid0(VALU_DEP_1)
	v_cmpx_eq_u16_e32 0, v14
	s_cbranch_execz .LBB2148_129
; %bb.124:
	v_mov_b64_e32 v[2:3], 0
.LBB2148_125:                           ; =>This Inner Loop Header: Depth=1
	s_wait_xcnt 0x0
	s_add_co_i32 s16, s7, 0x44
	s_add_co_i32 s7, s7, 8
	scratch_store_b64 off, v[2:3], s16
	s_cmp_lg_u32 s7, 32
	s_cbranch_scc1 .LBB2148_125
; %bb.126:
	s_mov_b32 s7, 0
.LBB2148_127:                           ; =>This Inner Loop Header: Depth=1
	s_wait_xcnt 0x0
	s_add_co_i32 s16, s7, 0x90
	s_add_co_i32 s17, s7, 32
	scratch_load_b64 v[2:3], off, s16
	scratch_load_b64 v[4:5], off, s17
	s_wait_xcnt 0x1
	s_add_co_i32 s16, s7, 0x44
	s_add_co_i32 s7, s7, 8
	s_delay_alu instid0(SALU_CYCLE_1)
	s_cmp_lg_u32 s7, 32
	s_wait_loadcnt 0x0
	v_dual_add_nc_u32 v3, v5, v3 :: v_dual_add_nc_u32 v2, v4, v2
	scratch_store_b64 off, v[2:3], s16
	s_cbranch_scc1 .LBB2148_127
; %bb.128:
	s_clause 0x1
	scratch_load_b128 v[2:5], off, off offset:68
	scratch_load_b128 v[6:9], off, off offset:84
.LBB2148_129:
	s_wait_xcnt 0x0
	s_or_b32 exec_lo, exec_lo, s2
	v_and_b32_e32 v11, 1, v11
	v_and_b32_e32 v13, 1, v13
	s_delay_alu instid0(VALU_DEP_2) | instskip(NEXT) | instid1(VALU_DEP_2)
	v_cmp_eq_u32_e32 vcc_lo, 1, v11
	v_cmp_eq_u32_e64 s2, 1, v13
	s_or_b32 s2, vcc_lo, s2
	s_delay_alu instid0(SALU_CYCLE_1)
	v_cndmask_b32_e64 v11, 0, 1, s2
	s_clause 0x1
	scratch_store_b8 off, v11, off offset:64
	scratch_load_b32 v11, off, off offset:64
	s_wait_loadcnt 0x2
	scratch_store_b128 off, v[2:5], off offset:32
	s_wait_loadcnt 0x1
	scratch_store_b128 off, v[6:9], off offset:48
.LBB2148_130:
	s_wait_xcnt 0x0
	s_or_b32 exec_lo, exec_lo, s6
	v_mov_b32_dpp v14, v2 row_shr:4 row_mask:0xf bank_mask:0xf
	v_mov_b32_dpp v15, v3 row_shr:4 row_mask:0xf bank_mask:0xf
	v_mov_b32_dpp v16, v4 row_shr:4 row_mask:0xf bank_mask:0xf
	v_mov_b32_dpp v17, v5 row_shr:4 row_mask:0xf bank_mask:0xf
	s_wait_loadcnt 0x0
	v_mov_b32_dpp v13, v11 row_shr:4 row_mask:0xf bank_mask:0xf
	v_mov_b32_dpp v20, v6 row_shr:4 row_mask:0xf bank_mask:0xf
	;; [unrolled: 1-line block ×5, first 2 shown]
	s_mov_b32 s6, exec_lo
	s_clause 0x2
	scratch_store_b128 off, v[14:17], off offset:144
	scratch_store_b128 off, v[20:23], off offset:160
	scratch_store_b32 off, v13, off offset:176
	s_wait_xcnt 0x0
	v_cmpx_lt_u32_e32 3, v12
	s_cbranch_execz .LBB2148_138
; %bb.131:
	v_and_b32_e32 v12, 0xff, v11
	s_mov_b32 s7, 0
	s_mov_b32 s2, exec_lo
	s_delay_alu instid0(VALU_DEP_1)
	v_cmpx_eq_u16_e32 0, v12
	s_cbranch_execz .LBB2148_137
; %bb.132:
	v_mov_b64_e32 v[2:3], 0
.LBB2148_133:                           ; =>This Inner Loop Header: Depth=1
	s_wait_xcnt 0x0
	s_add_co_i32 s16, s7, 0x44
	s_add_co_i32 s7, s7, 8
	scratch_store_b64 off, v[2:3], s16
	s_cmp_lg_u32 s7, 32
	s_cbranch_scc1 .LBB2148_133
; %bb.134:
	s_mov_b32 s7, 0
.LBB2148_135:                           ; =>This Inner Loop Header: Depth=1
	s_wait_xcnt 0x0
	s_add_co_i32 s16, s7, 0x90
	s_add_co_i32 s17, s7, 32
	scratch_load_b64 v[2:3], off, s16
	scratch_load_b64 v[4:5], off, s17
	s_wait_xcnt 0x1
	s_add_co_i32 s16, s7, 0x44
	s_add_co_i32 s7, s7, 8
	s_delay_alu instid0(SALU_CYCLE_1)
	s_cmp_lg_u32 s7, 32
	s_wait_loadcnt 0x0
	v_dual_add_nc_u32 v3, v5, v3 :: v_dual_add_nc_u32 v2, v4, v2
	scratch_store_b64 off, v[2:3], s16
	s_cbranch_scc1 .LBB2148_135
; %bb.136:
	s_clause 0x1
	scratch_load_b128 v[2:5], off, off offset:68
	scratch_load_b128 v[6:9], off, off offset:84
.LBB2148_137:
	s_wait_xcnt 0x0
	s_or_b32 exec_lo, exec_lo, s2
	v_and_b32_e32 v11, 1, v11
	v_and_b32_e32 v12, 1, v13
	s_wait_loadcnt 0x1
	scratch_store_b128 off, v[2:5], off offset:32
	s_wait_loadcnt 0x0
	scratch_store_b128 off, v[6:9], off offset:48
	v_cmp_eq_u32_e32 vcc_lo, 1, v11
	v_cmp_eq_u32_e64 s2, 1, v12
	s_or_b32 s2, vcc_lo, s2
	s_delay_alu instid0(SALU_CYCLE_1)
	v_cndmask_b32_e64 v11, 0, 1, s2
.LBB2148_138:
	s_wait_xcnt 0x0
	s_or_b32 exec_lo, exec_lo, s6
	s_clause 0x1
	scratch_load_b128 v[2:5], off, off offset:32
	scratch_load_b128 v[6:9], off, off offset:48
	s_wait_loadcnt 0x1
	ds_store_2addr_b32 v1, v4, v5 offset0:2 offset1:3
	ds_store_2addr_b32 v1, v2, v3 offset1:1
	s_wait_loadcnt 0x0
	ds_store_2addr_b32 v1, v8, v9 offset0:6 offset1:7
	ds_store_2addr_b32 v1, v6, v7 offset0:4 offset1:5
	ds_store_b8 v1, v11 offset:32
.LBB2148_139:
	s_wait_xcnt 0x0
	s_or_b32 exec_lo, exec_lo, s3
	s_mov_b32 s16, 0
	v_mov_b64_e32 v[2:3], 0
	s_mov_b32 s17, s16
	s_mov_b32 s18, s16
	;; [unrolled: 1-line block ×3, first 2 shown]
	v_mov_b64_e32 v[4:5], s[16:17]
	v_mov_b64_e32 v[6:7], s[18:19]
	v_mov_b32_e32 v1, 0
	s_wait_storecnt_dscnt 0x0
	s_barrier_signal -1
	s_barrier_wait -1
	s_clause 0x2
	scratch_store_b32 off, v1, off offset:176
	scratch_store_b128 off, v[4:7], off offset:160
	scratch_store_b128 off, v[4:7], off offset:144
.LBB2148_140:                           ; =>This Inner Loop Header: Depth=1
	s_wait_xcnt 0x0
	s_add_co_i32 s2, s16, 0x90
	s_add_co_i32 s16, s16, 8
	scratch_store_b64 off, v[2:3], s2
	s_cmp_lg_u32 s16, 32
	s_cbranch_scc1 .LBB2148_140
; %bb.141:
	s_mov_b32 s3, exec_lo
	v_cmp_gt_u32_e32 vcc_lo, 32, v18
                                        ; implicit-def: $vgpr2_vgpr3
                                        ; implicit-def: $vgpr6_vgpr7
                                        ; implicit-def: $vgpr1
	s_wait_xcnt 0x0
	v_cmpx_lt_u32_e32 31, v18
	s_xor_b32 s3, exec_lo, s3
	s_cbranch_execz .LBB2148_151
; %bb.142:
	scratch_load_u8 v11, off, off offset:272
	v_mad_u32_u24 v1, v10, 36, 0xffffffdc
	v_mad_u32_u24 v10, v10, 36, -4
	ds_load_2addr_b32 v[4:5], v1 offset0:2 offset1:3
	ds_load_2addr_b32 v[6:7], v1 offset0:4 offset1:5
	ds_load_2addr_b32 v[2:3], v1 offset1:1
	ds_load_2addr_b32 v[8:9], v1 offset0:6 offset1:7
	ds_load_u8 v1, v10
	s_wait_dscnt 0x2
	scratch_store_b128 off, v[2:5], off offset:144
	s_wait_dscnt 0x1
	scratch_store_b128 off, v[6:9], off offset:160
                                        ; implicit-def: $vgpr2_vgpr3
                                        ; implicit-def: $vgpr6_vgpr7
	s_wait_loadcnt 0x0
	v_cmp_ne_u16_e64 s2, 0, v11
	s_wait_xcnt 0x0
	s_and_saveexec_b32 s6, s2
	s_delay_alu instid0(SALU_CYCLE_1)
	s_xor_b32 s2, exec_lo, s6
	s_cbranch_execz .LBB2148_144
; %bb.143:
	s_clause 0x1
	scratch_load_b128 v[2:5], off, off offset:240
	scratch_load_b128 v[6:9], off, off offset:256
.LBB2148_144:
	s_wait_xcnt 0x0
	s_and_not1_saveexec_b32 s2, s2
	s_cbranch_execz .LBB2148_150
; %bb.145:
	s_wait_loadcnt 0x1
	v_mov_b64_e32 v[2:3], 0
	s_mov_b32 s6, 0
.LBB2148_146:                           ; =>This Inner Loop Header: Depth=1
	s_wait_xcnt 0x0
	s_add_co_i32 s7, s6, 32
	s_add_co_i32 s6, s6, 8
	scratch_store_b64 off, v[2:3], s7
	s_cmp_lg_u32 s6, 32
	s_cbranch_scc1 .LBB2148_146
; %bb.147:
	s_mov_b32 s6, 0
.LBB2148_148:                           ; =>This Inner Loop Header: Depth=1
	s_wait_xcnt 0x0
	s_add_co_i32 s7, s6, 0x90
	s_add_co_i32 s16, s6, 0xf0
	scratch_load_b64 v[2:3], off, s7
	scratch_load_b64 v[4:5], off, s16
	s_wait_xcnt 0x1
	s_add_co_i32 s7, s6, 32
	s_add_co_i32 s6, s6, 8
	s_delay_alu instid0(SALU_CYCLE_1)
	s_cmp_lg_u32 s6, 32
	s_wait_loadcnt 0x0
	v_dual_add_nc_u32 v3, v5, v3 :: v_dual_add_nc_u32 v2, v4, v2
	scratch_store_b64 off, v[2:3], s7
	s_cbranch_scc1 .LBB2148_148
; %bb.149:
	s_clause 0x1
	scratch_load_b128 v[2:5], off, off offset:32
	scratch_load_b128 v[6:9], off, off offset:48
.LBB2148_150:
	s_wait_xcnt 0x0
	s_or_b32 exec_lo, exec_lo, s2
	s_wait_dscnt 0x0
	v_or_b32_e32 v10, v11, v1
	scratch_store_b8 off, v10, off offset:272
.LBB2148_151:
	s_wait_xcnt 0x0
	s_and_not1_saveexec_b32 s2, s3
	s_cbranch_execz .LBB2148_153
; %bb.152:
	s_wait_loadcnt 0x1
	scratch_load_b128 v[2:5], off, off offset:240
	s_wait_loadcnt 0x1
	scratch_load_b128 v[6:9], off, off offset:256
	v_mov_b32_e32 v1, 0
.LBB2148_153:
	s_wait_xcnt 0x0
	s_or_b32 exec_lo, exec_lo, s2
	scratch_load_b32 v10, off, off offset:272
	v_sub_co_u32 v11, s24, v19, 1
	s_delay_alu instid0(VALU_DEP_1) | instskip(NEXT) | instid1(VALU_DEP_1)
	v_cmp_gt_i32_e64 s2, 0, v11
	v_cndmask_b32_e64 v11, v11, v19, s2
	s_delay_alu instid0(VALU_DEP_1)
	v_lshlrev_b32_e32 v11, 2, v11
	s_wait_loadcnt 0x2
	ds_bpermute_b32 v2, v11, v2
	ds_bpermute_b32 v3, v11, v3
	;; [unrolled: 1-line block ×4, first 2 shown]
	s_wait_loadcnt 0x1
	ds_bpermute_b32 v6, v11, v6
	ds_bpermute_b32 v7, v11, v7
	;; [unrolled: 1-line block ×4, first 2 shown]
	s_wait_loadcnt 0x0
	ds_bpermute_b32 v10, v11, v10
	s_wait_dscnt 0x5
	scratch_store_b128 off, v[2:5], off offset:240
	s_wait_dscnt 0x1
	scratch_store_b128 off, v[6:9], off offset:256
	s_wait_dscnt 0x0
	scratch_store_b8 off, v10, off offset:272
	v_and_b32_e32 v11, 1, v10
	s_delay_alu instid0(VALU_DEP_1)
	v_cmp_eq_u32_e64 s6, 1, v11
	s_wait_xcnt 0x0
	s_and_saveexec_b32 s3, s24
	s_cbranch_execz .LBB2148_155
; %bb.154:
	s_clause 0x1
	scratch_load_b128 v[2:5], off, off offset:144
	scratch_load_b128 v[6:9], off, off offset:160
	v_and_b32_e32 v10, 1, v1
	s_and_not1_b32 s6, s6, exec_lo
	s_wait_loadcnt 0x1
	scratch_store_b128 off, v[2:5], off offset:240
	s_wait_loadcnt 0x0
	s_clause 0x1
	scratch_store_b128 off, v[6:9], off offset:256
	scratch_store_b8 off, v1, off offset:272
	v_cmp_eq_u32_e64 s2, 1, v10
	s_and_b32 s2, s2, exec_lo
	s_delay_alu instid0(SALU_CYCLE_1)
	s_or_b32 s6, s6, s2
.LBB2148_155:
	s_wait_xcnt 0x0
	s_or_b32 exec_lo, exec_lo, s3
	s_and_saveexec_b32 s7, vcc_lo
	s_cbranch_execz .LBB2148_279
; %bb.156:
	v_mov_b32_e32 v1, 0
	ds_load_2addr_b32 v[2:3], v1 offset0:63 offset1:64
	ds_load_2addr_b32 v[4:5], v1 offset0:65 offset1:66
	;; [unrolled: 1-line block ×4, first 2 shown]
	ds_load_b32 v22, v1 offset:284
	s_wait_dscnt 0x3
	scratch_store_b128 off, v[2:5], off offset:104
	s_wait_dscnt 0x1
	scratch_store_b128 off, v[6:9], off offset:120
	s_wait_dscnt 0x0
	scratch_store_b32 off, v22, off offset:136
	s_wait_xcnt 0x0
	s_and_saveexec_b32 s2, s24
	s_cbranch_execz .LBB2148_158
; %bb.157:
	s_add_co_i32 s16, s38, 32
	s_mov_b32 s17, 0
	v_dual_mov_b32 v10, 1 :: v_dual_mov_b32 v11, s16
	s_mul_u64 s[18:19], s[16:17], 36
	s_delay_alu instid0(SALU_CYCLE_1)
	s_add_nc_u64 s[18:19], s[8:9], s[18:19]
	s_clause 0x2
	global_store_b128 v1, v[2:5], s[18:19]
	global_store_b128 v1, v[6:9], s[18:19] offset:16
	global_store_b8 v1, v22, s[18:19] offset:32
	global_wb scope:SCOPE_DEV
	s_wait_storecnt 0x0
	global_inv scope:SCOPE_DEV
	s_wait_xcnt 0x0
	global_store_b8 v11, v10, s[12:13] scope:SCOPE_DEV
.LBB2148_158:
	s_wait_xcnt 0x0
	s_or_b32 exec_lo, exec_lo, s2
	s_load_b64 s[2:3], s[0:1], 0x4
	v_bfe_u32 v11, v0, 10, 10
	v_bfe_u32 v0, v0, 20, 10
	s_wait_kmcnt 0x0
	s_lshr_b32 s0, s2, 16
	s_delay_alu instid0(VALU_DEP_2) | instskip(SKIP_1) | instid1(SALU_CYCLE_1)
	v_mul_u32_u24_e32 v11, s3, v11
	s_mul_i32 s0, s0, s3
	v_mul_lo_u32 v10, s0, v18
	s_mov_b32 s0, 0
	s_delay_alu instid0(VALU_DEP_1) | instskip(NEXT) | instid1(VALU_DEP_1)
	v_add3_u32 v0, v10, v11, v0
	v_mul_lo_u32 v0, v0, 36
	s_delay_alu instid0(VALU_DEP_1)
	v_add_nc_u32_e32 v10, 0x6008, v0
	v_add_nc_u32_e32 v23, 0x6000, v0
	;; [unrolled: 1-line block ×4, first 2 shown]
	ds_store_2addr_b32 v10, v1, v1 offset1:1
	ds_store_2addr_b32 v23, v1, v1 offset1:1
	;; [unrolled: 1-line block ×4, first 2 shown]
	ds_store_b32 v0, v1 offset:24608
.LBB2148_159:                           ; =>This Inner Loop Header: Depth=1
	v_add_nc_u32_e32 v0, s0, v23
	s_add_co_i32 s0, s0, 8
	s_delay_alu instid0(SALU_CYCLE_1)
	s_cmp_lg_u32 s0, 32
	ds_store_2addr_b32 v0, v1, v1 offset1:1
	s_cbranch_scc1 .LBB2148_159
; %bb.160:
	s_mov_b32 s0, 0
	v_mov_b64_e32 v[0:1], 0
	s_mov_b32 s2, s0
	s_mov_b32 s3, s0
	;; [unrolled: 1-line block ×3, first 2 shown]
	v_mov_b64_e32 v[12:13], s[2:3]
	v_mov_b64_e32 v[10:11], s[0:1]
	v_mov_b32_e32 v14, 0
	ds_store_b8 v23, v14 offset:32
	s_clause 0x2
	scratch_store_b32 off, v14, off offset:64
	scratch_store_b128 off, v[10:13], off offset:48
	scratch_store_b128 off, v[10:13], off offset:32
.LBB2148_161:                           ; =>This Inner Loop Header: Depth=1
	s_wait_xcnt 0x0
	s_add_co_i32 s1, s0, 32
	s_add_co_i32 s0, s0, 8
	scratch_store_b64 off, v[0:1], s1
	s_cmp_lg_u32 s0, 32
	s_cbranch_scc1 .LBB2148_161
; %bb.162:
	s_wait_xcnt 0x0
	v_xad_u32 v0, v19, -1, s38
	v_mov_b32_e32 v11, 0
	s_mov_b32 s0, exec_lo
	s_delay_alu instid0(VALU_DEP_2)
	v_add_nc_u32_e32 v10, 32, v0
	scratch_store_b8 off, v11, off offset:64
	global_load_u8 v24, v10, s[12:13] scope:SCOPE_DEV
	s_wait_loadcnt 0x0
	v_cmpx_eq_u16_e32 0, v24
	s_cbranch_execz .LBB2148_166
; %bb.163:
	v_add_nc_u64_e32 v[12:13], s[12:13], v[10:11]
	s_mov_b32 s1, 0
.LBB2148_164:                           ; =>This Inner Loop Header: Depth=1
	global_load_u8 v24, v[12:13], off scope:SCOPE_DEV
	s_wait_loadcnt 0x0
	v_cmp_ne_u16_e32 vcc_lo, 0, v24
	s_or_b32 s1, vcc_lo, s1
	s_wait_xcnt 0x0
	s_and_not1_b32 exec_lo, exec_lo, s1
	s_cbranch_execnz .LBB2148_164
; %bb.165:
	s_or_b32 exec_lo, exec_lo, s1
.LBB2148_166:
	s_delay_alu instid0(SALU_CYCLE_1)
	s_or_b32 exec_lo, exec_lo, s0
	v_dual_mov_b32 v1, s9 :: v_dual_mov_b32 v11, s8
	v_cmp_eq_u16_e32 vcc_lo, 1, v24
	global_wb scope:SCOPE_DEV
	s_wait_storecnt_dscnt 0x0
	global_inv scope:SCOPE_DEV
	s_mov_b32 s0, 0
	v_dual_mov_b32 v25, 0 :: v_dual_cndmask_b32 v13, s11, v1, vcc_lo
	v_cndmask_b32_e32 v12, s10, v11, vcc_lo
	s_delay_alu instid0(VALU_DEP_1)
	v_mad_nc_u64_u32 v[20:21], v10, 36, v[12:13]
	s_clause 0x2
	global_load_b128 v[10:13], v[20:21], off
	global_load_b128 v[14:17], v[20:21], off offset:16
	global_load_u8 v1, v[20:21], off offset:32
	s_wait_xcnt 0x0
	v_mov_b64_e32 v[20:21], 0
	s_wait_loadcnt 0x2
	scratch_store_b128 off, v[10:13], off offset:32
	s_wait_loadcnt 0x1
	scratch_store_b128 off, v[14:17], off offset:48
	s_wait_loadcnt 0x0
	scratch_store_b8 off, v1, off offset:64
	ds_store_2addr_b32 v23, v10, v11 offset1:1
	ds_store_2addr_b32 v23, v12, v13 offset0:2 offset1:3
	ds_store_2addr_b32 v23, v14, v15 offset0:4 offset1:5
	;; [unrolled: 1-line block ×3, first 2 shown]
	ds_store_b8 v23, v1 offset:32
	scratch_store_b32 off, v25, off offset:176
.LBB2148_167:                           ; =>This Inner Loop Header: Depth=1
	s_wait_xcnt 0x0
	s_add_co_i32 s1, s0, 0x90
	s_add_co_i32 s0, s0, 8
	scratch_store_b64 off, v[20:21], s1
	s_cmp_lg_u32 s0, 32
	s_cbranch_scc1 .LBB2148_167
; %bb.168:
	s_wait_xcnt 0x2
	ds_load_b32 v1, v23 offset:32
	v_cmp_ne_u32_e32 vcc_lo, 31, v19
	v_lshlrev_b32_e64 v26, v19, -1
	s_mov_b32 s0, exec_lo
	s_wait_xcnt 0x0
	v_add_co_ci_u32_e64 v20, null, 0, v19, vcc_lo
	v_cmp_eq_u16_e32 vcc_lo, 2, v24
	s_delay_alu instid0(VALU_DEP_2)
	v_lshlrev_b32_e32 v25, 2, v20
	v_and_or_b32 v20, vcc_lo, v26, 0x80000000
	ds_bpermute_b32 v28, v25, v10
	ds_bpermute_b32 v29, v25, v11
	;; [unrolled: 1-line block ×4, first 2 shown]
	s_wait_dscnt 0x4
	ds_bpermute_b32 v21, v25, v1
	ds_bpermute_b32 v32, v25, v14
	;; [unrolled: 1-line block ×5, first 2 shown]
	v_ctz_i32_b32_e32 v20, v20
	s_wait_dscnt 0x5
	scratch_store_b128 off, v[28:31], off offset:144
	s_wait_dscnt 0x0
	scratch_store_b128 off, v[32:35], off offset:160
	s_wait_xcnt 0x0
	v_cmpx_lt_u32_e64 v19, v20
	s_cbranch_execz .LBB2148_176
; %bb.169:
	v_and_b32_e32 v27, 0xff, v1
	s_mov_b32 s1, exec_lo
	s_delay_alu instid0(VALU_DEP_1)
	v_cmpx_eq_u16_e32 0, v27
	s_cbranch_execz .LBB2148_175
; %bb.170:
	v_mov_b64_e32 v[10:11], 0
	s_mov_b32 s2, 0
.LBB2148_171:                           ; =>This Inner Loop Header: Depth=1
	s_wait_xcnt 0x0
	s_add_co_i32 s3, s2, 0x44
	s_add_co_i32 s2, s2, 8
	scratch_store_b64 off, v[10:11], s3
	s_cmp_lg_u32 s2, 32
	s_cbranch_scc1 .LBB2148_171
; %bb.172:
	s_mov_b32 s2, 0
.LBB2148_173:                           ; =>This Inner Loop Header: Depth=1
	s_wait_xcnt 0x0
	s_add_co_i32 s3, s2, 0x90
	v_add_nc_u32_e32 v12, s2, v23
	scratch_load_b64 v[10:11], off, s3
	s_wait_xcnt 0x0
	s_add_co_i32 s3, s2, 0x44
	s_add_co_i32 s2, s2, 8
	ds_load_2addr_b32 v[12:13], v12 offset1:1
	s_cmp_lg_u32 s2, 32
	s_wait_loadcnt_dscnt 0x0
	v_dual_add_nc_u32 v11, v13, v11 :: v_dual_add_nc_u32 v10, v12, v10
	scratch_store_b64 off, v[10:11], s3
	s_cbranch_scc1 .LBB2148_173
; %bb.174:
	s_clause 0x1
	scratch_load_b128 v[10:13], off, off offset:68
	scratch_load_b128 v[14:17], off, off offset:84
.LBB2148_175:
	s_wait_xcnt 0x0
	s_or_b32 exec_lo, exec_lo, s1
	v_or_b32_e32 v1, v21, v1
	s_delay_alu instid0(VALU_DEP_1)
	v_and_b32_e32 v1, 1, v1
	ds_store_b8 v23, v1 offset:32
	ds_load_b32 v1, v23 offset:32
	s_wait_loadcnt 0x1
	ds_store_2addr_b32 v23, v10, v11 offset1:1
	ds_store_2addr_b32 v23, v12, v13 offset0:2 offset1:3
	s_wait_loadcnt 0x0
	ds_store_2addr_b32 v23, v14, v15 offset0:4 offset1:5
	ds_store_2addr_b32 v23, v16, v17 offset0:6 offset1:7
.LBB2148_176:
	s_or_b32 exec_lo, exec_lo, s0
	v_cmp_gt_u32_e32 vcc_lo, 30, v19
	v_add_nc_u32_e32 v28, 2, v19
	s_mov_b32 s1, exec_lo
	v_cndmask_b32_e64 v21, 0, 2, vcc_lo
	s_delay_alu instid0(VALU_DEP_1)
	v_add_lshl_u32 v27, v21, v19, 2
	ds_bpermute_b32 v30, v27, v10
	ds_bpermute_b32 v31, v27, v11
	;; [unrolled: 1-line block ×4, first 2 shown]
	s_wait_dscnt 0x8
	ds_bpermute_b32 v21, v27, v1
	ds_bpermute_b32 v34, v27, v14
	;; [unrolled: 1-line block ×5, first 2 shown]
	s_wait_dscnt 0x5
	scratch_store_b128 off, v[30:33], off offset:144
	s_wait_dscnt 0x0
	scratch_store_b128 off, v[34:37], off offset:160
	s_wait_xcnt 0x0
	v_cmpx_le_u32_e64 v28, v20
	s_cbranch_execz .LBB2148_184
; %bb.177:
	v_and_b32_e32 v29, 0xff, v1
	s_mov_b32 s0, exec_lo
	s_delay_alu instid0(VALU_DEP_1)
	v_cmpx_eq_u16_e32 0, v29
	s_cbranch_execz .LBB2148_183
; %bb.178:
	v_mov_b64_e32 v[10:11], 0
	s_mov_b32 s2, 0
.LBB2148_179:                           ; =>This Inner Loop Header: Depth=1
	s_wait_xcnt 0x0
	s_add_co_i32 s3, s2, 0x44
	s_add_co_i32 s2, s2, 8
	scratch_store_b64 off, v[10:11], s3
	s_cmp_lg_u32 s2, 32
	s_cbranch_scc1 .LBB2148_179
; %bb.180:
	s_mov_b32 s2, 0
.LBB2148_181:                           ; =>This Inner Loop Header: Depth=1
	s_wait_xcnt 0x0
	s_add_co_i32 s3, s2, 0x90
	v_add_nc_u32_e32 v12, s2, v23
	scratch_load_b64 v[10:11], off, s3
	s_wait_xcnt 0x0
	s_add_co_i32 s3, s2, 0x44
	s_add_co_i32 s2, s2, 8
	ds_load_2addr_b32 v[12:13], v12 offset1:1
	s_cmp_lg_u32 s2, 32
	s_wait_loadcnt_dscnt 0x0
	v_dual_add_nc_u32 v11, v13, v11 :: v_dual_add_nc_u32 v10, v12, v10
	scratch_store_b64 off, v[10:11], s3
	s_cbranch_scc1 .LBB2148_181
; %bb.182:
	s_clause 0x1
	scratch_load_b128 v[10:13], off, off offset:68
	scratch_load_b128 v[14:17], off, off offset:84
.LBB2148_183:
	s_wait_xcnt 0x0
	s_or_b32 exec_lo, exec_lo, s0
	v_and_b32_e32 v1, 1, v1
	v_and_b32_e32 v21, 1, v21
	s_delay_alu instid0(VALU_DEP_2) | instskip(NEXT) | instid1(VALU_DEP_2)
	v_cmp_eq_u32_e32 vcc_lo, 1, v1
	v_cmp_eq_u32_e64 s0, 1, v21
	s_or_b32 s0, vcc_lo, s0
	s_delay_alu instid0(SALU_CYCLE_1)
	v_cndmask_b32_e64 v1, 0, 1, s0
	ds_store_b8 v23, v1 offset:32
	ds_load_b32 v1, v23 offset:32
	s_wait_loadcnt 0x1
	ds_store_2addr_b32 v23, v10, v11 offset1:1
	ds_store_2addr_b32 v23, v12, v13 offset0:2 offset1:3
	s_wait_loadcnt 0x0
	ds_store_2addr_b32 v23, v14, v15 offset0:4 offset1:5
	ds_store_2addr_b32 v23, v16, v17 offset0:6 offset1:7
.LBB2148_184:
	s_or_b32 exec_lo, exec_lo, s1
	v_cmp_gt_u32_e32 vcc_lo, 28, v19
	v_add_nc_u32_e32 v30, 4, v19
	s_mov_b32 s1, exec_lo
	v_cndmask_b32_e64 v21, 0, 4, vcc_lo
	s_delay_alu instid0(VALU_DEP_1)
	v_add_lshl_u32 v29, v21, v19, 2
	ds_bpermute_b32 v32, v29, v10
	ds_bpermute_b32 v33, v29, v11
	;; [unrolled: 1-line block ×4, first 2 shown]
	s_wait_dscnt 0x8
	ds_bpermute_b32 v21, v29, v1
	ds_bpermute_b32 v36, v29, v14
	;; [unrolled: 1-line block ×5, first 2 shown]
	s_wait_dscnt 0x5
	scratch_store_b128 off, v[32:35], off offset:144
	s_wait_dscnt 0x0
	scratch_store_b128 off, v[36:39], off offset:160
	s_wait_xcnt 0x0
	v_cmpx_le_u32_e64 v30, v20
	s_cbranch_execz .LBB2148_192
; %bb.185:
	v_and_b32_e32 v31, 0xff, v1
	s_mov_b32 s0, exec_lo
	s_delay_alu instid0(VALU_DEP_1)
	v_cmpx_eq_u16_e32 0, v31
	s_cbranch_execz .LBB2148_191
; %bb.186:
	v_mov_b64_e32 v[10:11], 0
	s_mov_b32 s2, 0
.LBB2148_187:                           ; =>This Inner Loop Header: Depth=1
	s_wait_xcnt 0x0
	s_add_co_i32 s3, s2, 0x44
	s_add_co_i32 s2, s2, 8
	scratch_store_b64 off, v[10:11], s3
	s_cmp_lg_u32 s2, 32
	s_cbranch_scc1 .LBB2148_187
; %bb.188:
	s_mov_b32 s2, 0
.LBB2148_189:                           ; =>This Inner Loop Header: Depth=1
	s_wait_xcnt 0x0
	s_add_co_i32 s3, s2, 0x90
	v_add_nc_u32_e32 v12, s2, v23
	scratch_load_b64 v[10:11], off, s3
	s_wait_xcnt 0x0
	s_add_co_i32 s3, s2, 0x44
	s_add_co_i32 s2, s2, 8
	ds_load_2addr_b32 v[12:13], v12 offset1:1
	s_cmp_lg_u32 s2, 32
	s_wait_loadcnt_dscnt 0x0
	v_dual_add_nc_u32 v11, v13, v11 :: v_dual_add_nc_u32 v10, v12, v10
	scratch_store_b64 off, v[10:11], s3
	s_cbranch_scc1 .LBB2148_189
; %bb.190:
	s_clause 0x1
	scratch_load_b128 v[10:13], off, off offset:68
	scratch_load_b128 v[14:17], off, off offset:84
.LBB2148_191:
	s_wait_xcnt 0x0
	s_or_b32 exec_lo, exec_lo, s0
	v_and_b32_e32 v1, 1, v1
	v_and_b32_e32 v21, 1, v21
	s_delay_alu instid0(VALU_DEP_2) | instskip(NEXT) | instid1(VALU_DEP_2)
	v_cmp_eq_u32_e32 vcc_lo, 1, v1
	v_cmp_eq_u32_e64 s0, 1, v21
	s_or_b32 s0, vcc_lo, s0
	s_delay_alu instid0(SALU_CYCLE_1)
	v_cndmask_b32_e64 v1, 0, 1, s0
	ds_store_b8 v23, v1 offset:32
	ds_load_b32 v1, v23 offset:32
	s_wait_loadcnt 0x1
	ds_store_2addr_b32 v23, v10, v11 offset1:1
	ds_store_2addr_b32 v23, v12, v13 offset0:2 offset1:3
	s_wait_loadcnt 0x0
	ds_store_2addr_b32 v23, v14, v15 offset0:4 offset1:5
	ds_store_2addr_b32 v23, v16, v17 offset0:6 offset1:7
.LBB2148_192:
	s_or_b32 exec_lo, exec_lo, s1
	v_cmp_gt_u32_e32 vcc_lo, 24, v19
	v_add_nc_u32_e32 v32, 8, v19
	s_mov_b32 s1, exec_lo
	v_cndmask_b32_e64 v21, 0, 8, vcc_lo
	s_delay_alu instid0(VALU_DEP_1)
	v_add_lshl_u32 v31, v21, v19, 2
	ds_bpermute_b32 v34, v31, v10
	ds_bpermute_b32 v35, v31, v11
	ds_bpermute_b32 v36, v31, v12
	ds_bpermute_b32 v37, v31, v13
	s_wait_dscnt 0x8
	ds_bpermute_b32 v21, v31, v1
	ds_bpermute_b32 v38, v31, v14
	;; [unrolled: 1-line block ×5, first 2 shown]
	s_wait_dscnt 0x5
	scratch_store_b128 off, v[34:37], off offset:144
	s_wait_dscnt 0x0
	scratch_store_b128 off, v[38:41], off offset:160
	s_wait_xcnt 0x0
	v_cmpx_le_u32_e64 v32, v20
	s_cbranch_execz .LBB2148_200
; %bb.193:
	v_and_b32_e32 v33, 0xff, v1
	s_mov_b32 s0, exec_lo
	s_delay_alu instid0(VALU_DEP_1)
	v_cmpx_eq_u16_e32 0, v33
	s_cbranch_execz .LBB2148_199
; %bb.194:
	v_mov_b64_e32 v[10:11], 0
	s_mov_b32 s2, 0
.LBB2148_195:                           ; =>This Inner Loop Header: Depth=1
	s_wait_xcnt 0x0
	s_add_co_i32 s3, s2, 0x44
	s_add_co_i32 s2, s2, 8
	scratch_store_b64 off, v[10:11], s3
	s_cmp_lg_u32 s2, 32
	s_cbranch_scc1 .LBB2148_195
; %bb.196:
	s_mov_b32 s2, 0
.LBB2148_197:                           ; =>This Inner Loop Header: Depth=1
	s_wait_xcnt 0x0
	s_add_co_i32 s3, s2, 0x90
	v_add_nc_u32_e32 v12, s2, v23
	scratch_load_b64 v[10:11], off, s3
	s_wait_xcnt 0x0
	s_add_co_i32 s3, s2, 0x44
	s_add_co_i32 s2, s2, 8
	ds_load_2addr_b32 v[12:13], v12 offset1:1
	s_cmp_lg_u32 s2, 32
	s_wait_loadcnt_dscnt 0x0
	v_dual_add_nc_u32 v11, v13, v11 :: v_dual_add_nc_u32 v10, v12, v10
	scratch_store_b64 off, v[10:11], s3
	s_cbranch_scc1 .LBB2148_197
; %bb.198:
	s_clause 0x1
	scratch_load_b128 v[10:13], off, off offset:68
	scratch_load_b128 v[14:17], off, off offset:84
.LBB2148_199:
	s_wait_xcnt 0x0
	s_or_b32 exec_lo, exec_lo, s0
	v_and_b32_e32 v1, 1, v1
	v_and_b32_e32 v21, 1, v21
	s_delay_alu instid0(VALU_DEP_2) | instskip(NEXT) | instid1(VALU_DEP_2)
	v_cmp_eq_u32_e32 vcc_lo, 1, v1
	v_cmp_eq_u32_e64 s0, 1, v21
	s_or_b32 s0, vcc_lo, s0
	s_delay_alu instid0(SALU_CYCLE_1)
	v_cndmask_b32_e64 v1, 0, 1, s0
	ds_store_b8 v23, v1 offset:32
	ds_load_b32 v1, v23 offset:32
	s_wait_loadcnt 0x1
	ds_store_2addr_b32 v23, v10, v11 offset1:1
	ds_store_2addr_b32 v23, v12, v13 offset0:2 offset1:3
	s_wait_loadcnt 0x0
	ds_store_2addr_b32 v23, v14, v15 offset0:4 offset1:5
	ds_store_2addr_b32 v23, v16, v17 offset0:6 offset1:7
.LBB2148_200:
	s_or_b32 exec_lo, exec_lo, s1
	v_lshl_or_b32 v33, v19, 2, 64
	v_add_nc_u32_e32 v34, 16, v19
	s_mov_b32 s1, exec_lo
	ds_bpermute_b32 v36, v33, v10
	ds_bpermute_b32 v37, v33, v11
	;; [unrolled: 1-line block ×4, first 2 shown]
	s_wait_dscnt 0x8
	ds_bpermute_b32 v21, v33, v1
	ds_bpermute_b32 v40, v33, v14
	;; [unrolled: 1-line block ×5, first 2 shown]
	s_wait_dscnt 0x5
	scratch_store_b128 off, v[36:39], off offset:144
	s_wait_dscnt 0x0
	scratch_store_b128 off, v[40:43], off offset:160
	s_wait_xcnt 0x0
	v_cmpx_le_u32_e64 v34, v20
	s_cbranch_execz .LBB2148_208
; %bb.201:
	v_and_b32_e32 v20, 0xff, v1
	s_mov_b32 s2, 0
	s_mov_b32 s0, exec_lo
	s_delay_alu instid0(VALU_DEP_1)
	v_cmpx_eq_u16_e32 0, v20
	s_cbranch_execz .LBB2148_207
; %bb.202:
	v_mov_b64_e32 v[10:11], 0
.LBB2148_203:                           ; =>This Inner Loop Header: Depth=1
	s_wait_xcnt 0x0
	s_add_co_i32 s3, s2, 0x44
	s_add_co_i32 s2, s2, 8
	scratch_store_b64 off, v[10:11], s3
	s_cmp_lg_u32 s2, 32
	s_cbranch_scc1 .LBB2148_203
; %bb.204:
	s_mov_b32 s2, 0
.LBB2148_205:                           ; =>This Inner Loop Header: Depth=1
	s_wait_xcnt 0x0
	s_add_co_i32 s3, s2, 0x90
	v_add_nc_u32_e32 v12, s2, v23
	scratch_load_b64 v[10:11], off, s3
	s_wait_xcnt 0x0
	s_add_co_i32 s3, s2, 0x44
	s_add_co_i32 s2, s2, 8
	ds_load_2addr_b32 v[12:13], v12 offset1:1
	s_cmp_lg_u32 s2, 32
	s_wait_loadcnt_dscnt 0x0
	v_dual_add_nc_u32 v11, v13, v11 :: v_dual_add_nc_u32 v10, v12, v10
	scratch_store_b64 off, v[10:11], s3
	s_cbranch_scc1 .LBB2148_205
; %bb.206:
	s_clause 0x1
	scratch_load_b128 v[10:13], off, off offset:68
	scratch_load_b128 v[14:17], off, off offset:84
.LBB2148_207:
	s_wait_xcnt 0x0
	s_or_b32 exec_lo, exec_lo, s0
	v_and_b32_e32 v1, 1, v1
	v_and_b32_e32 v20, 1, v21
	s_delay_alu instid0(VALU_DEP_2) | instskip(NEXT) | instid1(VALU_DEP_2)
	v_cmp_eq_u32_e32 vcc_lo, 1, v1
	v_cmp_eq_u32_e64 s0, 1, v20
	s_or_b32 s0, vcc_lo, s0
	s_delay_alu instid0(SALU_CYCLE_1)
	v_cndmask_b32_e64 v1, 0, 1, s0
	s_wait_loadcnt 0x1
	ds_store_2addr_b32 v23, v10, v11 offset1:1
	ds_store_2addr_b32 v23, v12, v13 offset0:2 offset1:3
	s_wait_loadcnt 0x0
	ds_store_2addr_b32 v23, v14, v15 offset0:4 offset1:5
	ds_store_2addr_b32 v23, v16, v17 offset0:6 offset1:7
	ds_store_b8 v23, v1 offset:32
.LBB2148_208:
	s_or_b32 exec_lo, exec_lo, s1
	ds_load_b32 v35, v23 offset:32
	ds_load_2addr_b32 v[12:13], v23 offset0:2 offset1:3
	ds_load_2addr_b32 v[14:15], v23 offset0:4 offset1:5
	ds_load_2addr_b32 v[10:11], v23 offset1:1
	ds_load_2addr_b32 v[16:17], v23 offset0:6 offset1:7
	v_mov_b64_e32 v[20:21], 0
	v_mov_b32_e32 v1, 0
	s_mov_b32 s16, 0
	s_wait_dscnt 0x4
	scratch_store_b32 off, v35, off offset:100
	s_wait_dscnt 0x1
	scratch_store_b128 off, v[10:13], off offset:68
	s_wait_dscnt 0x0
	scratch_store_b128 off, v[14:17], off offset:84
	s_branch .LBB2148_212
.LBB2148_209:                           ;   in Loop: Header=BB2148_212 Depth=1
	s_clause 0x1
	scratch_load_b128 v[10:13], off, off offset:144
	scratch_load_b128 v[14:17], off, off offset:160
.LBB2148_210:                           ;   in Loop: Header=BB2148_212 Depth=1
	s_wait_xcnt 0x0
	s_or_b32 exec_lo, exec_lo, s1
	v_and_b32_e32 v35, 1, v35
	v_subrev_nc_u32_e32 v0, 32, v0
	s_wait_loadcnt 0x1
	scratch_store_b128 off, v[10:13], off offset:68
	s_wait_loadcnt 0x0
	scratch_store_b128 off, v[14:17], off offset:84
	v_cmp_eq_u32_e32 vcc_lo, 1, v35
	s_or_b32 s0, vcc_lo, s0
	s_delay_alu instid0(SALU_CYCLE_1)
	v_cndmask_b32_e64 v35, 0, 1, s0
	s_mov_b32 s0, 0
	scratch_store_b8 off, v35, off offset:100
.LBB2148_211:                           ;   in Loop: Header=BB2148_212 Depth=1
	s_and_b32 vcc_lo, exec_lo, s0
	s_cbranch_vccnz .LBB2148_269
.LBB2148_212:                           ; =>This Loop Header: Depth=1
                                        ;     Child Loop BB2148_214 Depth 2
                                        ;     Child Loop BB2148_217 Depth 2
	;; [unrolled: 1-line block ×15, first 2 shown]
	s_wait_xcnt 0x1
	v_and_b32_e32 v10, 0xff, v24
	s_mov_b32 s0, -1
                                        ; implicit-def: $vgpr24
	s_delay_alu instid0(VALU_DEP_1)
	v_cmp_ne_u16_e32 vcc_lo, 2, v10
	s_cmp_lg_u32 vcc_lo, exec_lo
	s_cbranch_scc1 .LBB2148_211
; %bb.213:                              ;   in Loop: Header=BB2148_212 Depth=1
	s_mov_b32 s17, s16
	s_mov_b32 s18, s16
	;; [unrolled: 1-line block ×3, first 2 shown]
	v_mov_b64_e32 v[10:11], s[16:17]
	v_mov_b64_e32 v[12:13], s[18:19]
	s_mov_b32 s0, 0
	s_clause 0x2
	scratch_store_b32 off, v1, off offset:64
	scratch_store_b128 off, v[10:13], off offset:48
	scratch_store_b128 off, v[10:13], off offset:32
.LBB2148_214:                           ;   Parent Loop BB2148_212 Depth=1
                                        ; =>  This Inner Loop Header: Depth=2
	s_wait_xcnt 0x0
	s_add_co_i32 s1, s0, 32
	s_add_co_i32 s0, s0, 8
	scratch_store_b64 off, v[20:21], s1
	s_cmp_lg_u32 s0, 32
	s_cbranch_scc1 .LBB2148_214
; %bb.215:                              ;   in Loop: Header=BB2148_212 Depth=1
	scratch_store_b8 off, v1, off offset:64
	global_load_u8 v24, v0, s[12:13] scope:SCOPE_DEV
	s_mov_b32 s0, exec_lo
	s_wait_loadcnt 0x0
	s_wait_xcnt 0x0
	v_cmpx_eq_u16_e32 0, v24
	s_cbranch_execz .LBB2148_219
; %bb.216:                              ;   in Loop: Header=BB2148_212 Depth=1
	v_add_nc_u64_e32 v[10:11], s[12:13], v[0:1]
	s_mov_b32 s1, 0
.LBB2148_217:                           ;   Parent Loop BB2148_212 Depth=1
                                        ; =>  This Inner Loop Header: Depth=2
	global_load_u8 v24, v[10:11], off scope:SCOPE_DEV
	s_wait_loadcnt 0x0
	v_cmp_ne_u16_e32 vcc_lo, 0, v24
	s_or_b32 s1, vcc_lo, s1
	s_wait_xcnt 0x0
	s_and_not1_b32 exec_lo, exec_lo, s1
	s_cbranch_execnz .LBB2148_217
; %bb.218:                              ;   in Loop: Header=BB2148_212 Depth=1
	s_or_b32 exec_lo, exec_lo, s1
.LBB2148_219:                           ;   in Loop: Header=BB2148_212 Depth=1
	s_delay_alu instid0(SALU_CYCLE_1)
	s_or_b32 exec_lo, exec_lo, s0
	v_dual_mov_b32 v10, s9 :: v_dual_mov_b32 v12, s8
	v_cmp_eq_u16_e32 vcc_lo, 1, v24
	global_wb scope:SCOPE_DEV
	s_wait_storecnt 0x0
	global_inv scope:SCOPE_DEV
	s_mov_b32 s0, 0
	v_cndmask_b32_e32 v11, s11, v10, vcc_lo
	v_cndmask_b32_e32 v10, s10, v12, vcc_lo
	s_delay_alu instid0(VALU_DEP_1)
	v_mad_nc_u64_u32 v[36:37], v0, 36, v[10:11]
	s_clause 0x2
	global_load_b128 v[10:13], v[36:37], off
	global_load_b128 v[14:17], v[36:37], off offset:16
	global_load_u8 v35, v[36:37], off offset:32
	s_wait_loadcnt 0x2
	scratch_store_b128 off, v[10:13], off offset:32
	s_wait_loadcnt 0x1
	scratch_store_b128 off, v[14:17], off offset:48
	s_wait_loadcnt 0x0
	scratch_store_b8 off, v35, off offset:64
	ds_store_2addr_b32 v23, v10, v11 offset1:1
	ds_store_2addr_b32 v23, v12, v13 offset0:2 offset1:3
	ds_store_2addr_b32 v23, v14, v15 offset0:4 offset1:5
	;; [unrolled: 1-line block ×3, first 2 shown]
	ds_store_b8 v23, v35 offset:32
	scratch_store_b32 off, v1, off offset:176
.LBB2148_220:                           ;   Parent Loop BB2148_212 Depth=1
                                        ; =>  This Inner Loop Header: Depth=2
	s_wait_xcnt 0x0
	s_add_co_i32 s1, s0, 0x90
	s_add_co_i32 s0, s0, 8
	scratch_store_b64 off, v[20:21], s1
	s_cmp_lg_u32 s0, 32
	s_cbranch_scc1 .LBB2148_220
; %bb.221:                              ;   in Loop: Header=BB2148_212 Depth=1
	s_wait_xcnt 0x5
	ds_load_b32 v36, v23 offset:32
	ds_bpermute_b32 v38, v25, v10
	ds_bpermute_b32 v39, v25, v11
	;; [unrolled: 1-line block ×8, first 2 shown]
	v_cmp_eq_u16_e32 vcc_lo, 2, v24
	s_mov_b32 s0, exec_lo
	s_wait_dscnt 0x4
	scratch_store_b128 off, v[38:41], off offset:144
	s_wait_dscnt 0x0
	scratch_store_b128 off, v[42:45], off offset:160
	ds_bpermute_b32 v37, v25, v36
	s_wait_xcnt 0x4
	v_and_or_b32 v35, vcc_lo, v26, 0x80000000
	s_delay_alu instid0(VALU_DEP_1) | instskip(SKIP_1) | instid1(VALU_DEP_1)
	v_ctz_i32_b32_e32 v35, v35
	s_wait_xcnt 0x0
	v_cmpx_lt_u32_e64 v19, v35
	s_cbranch_execz .LBB2148_229
; %bb.222:                              ;   in Loop: Header=BB2148_212 Depth=1
	v_and_b32_e32 v38, 0xff, v36
	s_mov_b32 s1, exec_lo
	s_delay_alu instid0(VALU_DEP_1)
	v_cmpx_eq_u16_e32 0, v38
	s_cbranch_execz .LBB2148_228
; %bb.223:                              ;   in Loop: Header=BB2148_212 Depth=1
	s_mov_b32 s2, 0
.LBB2148_224:                           ;   Parent Loop BB2148_212 Depth=1
                                        ; =>  This Inner Loop Header: Depth=2
	s_wait_xcnt 0x0
	s_mov_b32 s3, s2
	s_add_co_i32 s2, s2, 8
	scratch_store_b64 off, v[20:21], s3
	s_cmp_lg_u32 s2, 32
	s_cbranch_scc1 .LBB2148_224
; %bb.225:                              ;   in Loop: Header=BB2148_212 Depth=1
	s_mov_b32 s2, 0
.LBB2148_226:                           ;   Parent Loop BB2148_212 Depth=1
                                        ; =>  This Inner Loop Header: Depth=2
	s_wait_xcnt 0x0
	s_add_co_i32 s3, s2, 0x90
	v_add_nc_u32_e32 v12, s2, v23
	scratch_load_b64 v[10:11], off, s3
	s_wait_xcnt 0x0
	s_mov_b32 s3, s2
	s_add_co_i32 s2, s2, 8
	ds_load_2addr_b32 v[12:13], v12 offset1:1
	s_cmp_lg_u32 s2, 32
	s_wait_loadcnt_dscnt 0x0
	v_dual_add_nc_u32 v11, v13, v11 :: v_dual_add_nc_u32 v10, v12, v10
	scratch_store_b64 off, v[10:11], s3
	s_cbranch_scc1 .LBB2148_226
; %bb.227:                              ;   in Loop: Header=BB2148_212 Depth=1
	s_clause 0x1
	scratch_load_b128 v[10:13], off, off
	scratch_load_b128 v[14:17], off, off offset:16
.LBB2148_228:                           ;   in Loop: Header=BB2148_212 Depth=1
	s_wait_xcnt 0x0
	s_or_b32 exec_lo, exec_lo, s1
	s_wait_dscnt 0x0
	v_or_b32_e32 v36, v37, v36
	s_delay_alu instid0(VALU_DEP_1)
	v_and_b32_e32 v36, 1, v36
	ds_store_b8 v23, v36 offset:32
	ds_load_b32 v36, v23 offset:32
	s_wait_loadcnt 0x1
	ds_store_2addr_b32 v23, v10, v11 offset1:1
	ds_store_2addr_b32 v23, v12, v13 offset0:2 offset1:3
	s_wait_loadcnt 0x0
	ds_store_2addr_b32 v23, v14, v15 offset0:4 offset1:5
	ds_store_2addr_b32 v23, v16, v17 offset0:6 offset1:7
.LBB2148_229:                           ;   in Loop: Header=BB2148_212 Depth=1
	s_or_b32 exec_lo, exec_lo, s0
	ds_bpermute_b32 v38, v27, v10
	ds_bpermute_b32 v39, v27, v11
	;; [unrolled: 1-line block ×4, first 2 shown]
	s_wait_dscnt 0x4
	ds_bpermute_b32 v37, v27, v36
	ds_bpermute_b32 v42, v27, v14
	;; [unrolled: 1-line block ×5, first 2 shown]
	s_mov_b32 s1, exec_lo
	s_wait_dscnt 0x5
	scratch_store_b128 off, v[38:41], off offset:144
	s_wait_dscnt 0x0
	scratch_store_b128 off, v[42:45], off offset:160
	s_wait_xcnt 0x0
	v_cmpx_le_u32_e64 v28, v35
	s_cbranch_execz .LBB2148_237
; %bb.230:                              ;   in Loop: Header=BB2148_212 Depth=1
	v_and_b32_e32 v38, 0xff, v36
	s_mov_b32 s0, exec_lo
	s_delay_alu instid0(VALU_DEP_1)
	v_cmpx_eq_u16_e32 0, v38
	s_cbranch_execz .LBB2148_236
; %bb.231:                              ;   in Loop: Header=BB2148_212 Depth=1
	s_mov_b32 s2, 0
.LBB2148_232:                           ;   Parent Loop BB2148_212 Depth=1
                                        ; =>  This Inner Loop Header: Depth=2
	s_wait_xcnt 0x0
	s_mov_b32 s3, s2
	s_add_co_i32 s2, s2, 8
	scratch_store_b64 off, v[20:21], s3
	s_cmp_lg_u32 s2, 32
	s_cbranch_scc1 .LBB2148_232
; %bb.233:                              ;   in Loop: Header=BB2148_212 Depth=1
	s_mov_b32 s2, 0
.LBB2148_234:                           ;   Parent Loop BB2148_212 Depth=1
                                        ; =>  This Inner Loop Header: Depth=2
	s_wait_xcnt 0x0
	s_add_co_i32 s3, s2, 0x90
	v_add_nc_u32_e32 v12, s2, v23
	scratch_load_b64 v[10:11], off, s3
	s_wait_xcnt 0x0
	s_mov_b32 s3, s2
	s_add_co_i32 s2, s2, 8
	ds_load_2addr_b32 v[12:13], v12 offset1:1
	s_cmp_lg_u32 s2, 32
	s_wait_loadcnt_dscnt 0x0
	v_dual_add_nc_u32 v11, v13, v11 :: v_dual_add_nc_u32 v10, v12, v10
	scratch_store_b64 off, v[10:11], s3
	s_cbranch_scc1 .LBB2148_234
; %bb.235:                              ;   in Loop: Header=BB2148_212 Depth=1
	s_clause 0x1
	scratch_load_b128 v[10:13], off, off
	scratch_load_b128 v[14:17], off, off offset:16
.LBB2148_236:                           ;   in Loop: Header=BB2148_212 Depth=1
	s_wait_xcnt 0x0
	s_or_b32 exec_lo, exec_lo, s0
	v_and_b32_e32 v36, 1, v36
	v_and_b32_e32 v37, 1, v37
	s_delay_alu instid0(VALU_DEP_2) | instskip(NEXT) | instid1(VALU_DEP_2)
	v_cmp_eq_u32_e32 vcc_lo, 1, v36
	v_cmp_eq_u32_e64 s0, 1, v37
	s_or_b32 s0, vcc_lo, s0
	s_delay_alu instid0(SALU_CYCLE_1)
	v_cndmask_b32_e64 v36, 0, 1, s0
	ds_store_b8 v23, v36 offset:32
	ds_load_b32 v36, v23 offset:32
	s_wait_loadcnt 0x1
	ds_store_2addr_b32 v23, v10, v11 offset1:1
	ds_store_2addr_b32 v23, v12, v13 offset0:2 offset1:3
	s_wait_loadcnt 0x0
	ds_store_2addr_b32 v23, v14, v15 offset0:4 offset1:5
	ds_store_2addr_b32 v23, v16, v17 offset0:6 offset1:7
.LBB2148_237:                           ;   in Loop: Header=BB2148_212 Depth=1
	s_or_b32 exec_lo, exec_lo, s1
	ds_bpermute_b32 v38, v29, v10
	ds_bpermute_b32 v39, v29, v11
	;; [unrolled: 1-line block ×4, first 2 shown]
	s_wait_dscnt 0x8
	ds_bpermute_b32 v37, v29, v36
	ds_bpermute_b32 v42, v29, v14
	;; [unrolled: 1-line block ×5, first 2 shown]
	s_mov_b32 s1, exec_lo
	s_wait_dscnt 0x5
	scratch_store_b128 off, v[38:41], off offset:144
	s_wait_dscnt 0x0
	scratch_store_b128 off, v[42:45], off offset:160
	s_wait_xcnt 0x0
	v_cmpx_le_u32_e64 v30, v35
	s_cbranch_execz .LBB2148_245
; %bb.238:                              ;   in Loop: Header=BB2148_212 Depth=1
	v_and_b32_e32 v38, 0xff, v36
	s_mov_b32 s0, exec_lo
	s_delay_alu instid0(VALU_DEP_1)
	v_cmpx_eq_u16_e32 0, v38
	s_cbranch_execz .LBB2148_244
; %bb.239:                              ;   in Loop: Header=BB2148_212 Depth=1
	s_mov_b32 s2, 0
.LBB2148_240:                           ;   Parent Loop BB2148_212 Depth=1
                                        ; =>  This Inner Loop Header: Depth=2
	s_wait_xcnt 0x0
	s_mov_b32 s3, s2
	s_add_co_i32 s2, s2, 8
	scratch_store_b64 off, v[20:21], s3
	s_cmp_lg_u32 s2, 32
	s_cbranch_scc1 .LBB2148_240
; %bb.241:                              ;   in Loop: Header=BB2148_212 Depth=1
	s_mov_b32 s2, 0
.LBB2148_242:                           ;   Parent Loop BB2148_212 Depth=1
                                        ; =>  This Inner Loop Header: Depth=2
	s_wait_xcnt 0x0
	s_add_co_i32 s3, s2, 0x90
	v_add_nc_u32_e32 v12, s2, v23
	scratch_load_b64 v[10:11], off, s3
	s_wait_xcnt 0x0
	s_mov_b32 s3, s2
	s_add_co_i32 s2, s2, 8
	ds_load_2addr_b32 v[12:13], v12 offset1:1
	s_cmp_lg_u32 s2, 32
	s_wait_loadcnt_dscnt 0x0
	v_dual_add_nc_u32 v11, v13, v11 :: v_dual_add_nc_u32 v10, v12, v10
	scratch_store_b64 off, v[10:11], s3
	s_cbranch_scc1 .LBB2148_242
; %bb.243:                              ;   in Loop: Header=BB2148_212 Depth=1
	s_clause 0x1
	scratch_load_b128 v[10:13], off, off
	scratch_load_b128 v[14:17], off, off offset:16
.LBB2148_244:                           ;   in Loop: Header=BB2148_212 Depth=1
	s_wait_xcnt 0x0
	s_or_b32 exec_lo, exec_lo, s0
	v_and_b32_e32 v36, 1, v36
	v_and_b32_e32 v37, 1, v37
	s_delay_alu instid0(VALU_DEP_2) | instskip(NEXT) | instid1(VALU_DEP_2)
	v_cmp_eq_u32_e32 vcc_lo, 1, v36
	v_cmp_eq_u32_e64 s0, 1, v37
	s_or_b32 s0, vcc_lo, s0
	s_delay_alu instid0(SALU_CYCLE_1)
	v_cndmask_b32_e64 v36, 0, 1, s0
	ds_store_b8 v23, v36 offset:32
	ds_load_b32 v36, v23 offset:32
	s_wait_loadcnt 0x1
	ds_store_2addr_b32 v23, v10, v11 offset1:1
	ds_store_2addr_b32 v23, v12, v13 offset0:2 offset1:3
	s_wait_loadcnt 0x0
	ds_store_2addr_b32 v23, v14, v15 offset0:4 offset1:5
	ds_store_2addr_b32 v23, v16, v17 offset0:6 offset1:7
.LBB2148_245:                           ;   in Loop: Header=BB2148_212 Depth=1
	s_or_b32 exec_lo, exec_lo, s1
	ds_bpermute_b32 v38, v31, v10
	ds_bpermute_b32 v39, v31, v11
	;; [unrolled: 1-line block ×4, first 2 shown]
	s_wait_dscnt 0x8
	ds_bpermute_b32 v37, v31, v36
	ds_bpermute_b32 v42, v31, v14
	;; [unrolled: 1-line block ×5, first 2 shown]
	s_mov_b32 s1, exec_lo
	s_wait_dscnt 0x5
	scratch_store_b128 off, v[38:41], off offset:144
	s_wait_dscnt 0x0
	scratch_store_b128 off, v[42:45], off offset:160
	s_wait_xcnt 0x0
	v_cmpx_le_u32_e64 v32, v35
	s_cbranch_execz .LBB2148_253
; %bb.246:                              ;   in Loop: Header=BB2148_212 Depth=1
	v_and_b32_e32 v38, 0xff, v36
	s_mov_b32 s0, exec_lo
	s_delay_alu instid0(VALU_DEP_1)
	v_cmpx_eq_u16_e32 0, v38
	s_cbranch_execz .LBB2148_252
; %bb.247:                              ;   in Loop: Header=BB2148_212 Depth=1
	s_mov_b32 s2, 0
.LBB2148_248:                           ;   Parent Loop BB2148_212 Depth=1
                                        ; =>  This Inner Loop Header: Depth=2
	s_wait_xcnt 0x0
	s_mov_b32 s3, s2
	s_add_co_i32 s2, s2, 8
	scratch_store_b64 off, v[20:21], s3
	s_cmp_lg_u32 s2, 32
	s_cbranch_scc1 .LBB2148_248
; %bb.249:                              ;   in Loop: Header=BB2148_212 Depth=1
	s_mov_b32 s2, 0
.LBB2148_250:                           ;   Parent Loop BB2148_212 Depth=1
                                        ; =>  This Inner Loop Header: Depth=2
	s_wait_xcnt 0x0
	s_add_co_i32 s3, s2, 0x90
	v_add_nc_u32_e32 v12, s2, v23
	scratch_load_b64 v[10:11], off, s3
	s_wait_xcnt 0x0
	s_mov_b32 s3, s2
	s_add_co_i32 s2, s2, 8
	ds_load_2addr_b32 v[12:13], v12 offset1:1
	s_cmp_lg_u32 s2, 32
	s_wait_loadcnt_dscnt 0x0
	v_dual_add_nc_u32 v11, v13, v11 :: v_dual_add_nc_u32 v10, v12, v10
	scratch_store_b64 off, v[10:11], s3
	s_cbranch_scc1 .LBB2148_250
; %bb.251:                              ;   in Loop: Header=BB2148_212 Depth=1
	s_clause 0x1
	scratch_load_b128 v[10:13], off, off
	scratch_load_b128 v[14:17], off, off offset:16
.LBB2148_252:                           ;   in Loop: Header=BB2148_212 Depth=1
	s_wait_xcnt 0x0
	s_or_b32 exec_lo, exec_lo, s0
	v_and_b32_e32 v36, 1, v36
	v_and_b32_e32 v37, 1, v37
	s_delay_alu instid0(VALU_DEP_2) | instskip(NEXT) | instid1(VALU_DEP_2)
	v_cmp_eq_u32_e32 vcc_lo, 1, v36
	v_cmp_eq_u32_e64 s0, 1, v37
	s_or_b32 s0, vcc_lo, s0
	s_delay_alu instid0(SALU_CYCLE_1)
	v_cndmask_b32_e64 v36, 0, 1, s0
	ds_store_b8 v23, v36 offset:32
	ds_load_b32 v36, v23 offset:32
	s_wait_loadcnt 0x1
	ds_store_2addr_b32 v23, v10, v11 offset1:1
	ds_store_2addr_b32 v23, v12, v13 offset0:2 offset1:3
	s_wait_loadcnt 0x0
	ds_store_2addr_b32 v23, v14, v15 offset0:4 offset1:5
	ds_store_2addr_b32 v23, v16, v17 offset0:6 offset1:7
.LBB2148_253:                           ;   in Loop: Header=BB2148_212 Depth=1
	s_or_b32 exec_lo, exec_lo, s1
	ds_bpermute_b32 v38, v33, v10
	ds_bpermute_b32 v39, v33, v11
	;; [unrolled: 1-line block ×4, first 2 shown]
	s_wait_dscnt 0x8
	ds_bpermute_b32 v37, v33, v36
	ds_bpermute_b32 v42, v33, v14
	;; [unrolled: 1-line block ×5, first 2 shown]
	v_and_b32_e32 v46, 1, v36
	s_mov_b32 s1, exec_lo
	s_wait_dscnt 0x5
	scratch_store_b128 off, v[38:41], off offset:144
	s_wait_dscnt 0x0
	scratch_store_b128 off, v[42:45], off offset:160
	v_cmp_eq_u32_e64 s0, 1, v46
	s_wait_xcnt 0x0
	v_cmpx_le_u32_e64 v34, v35
	s_cbranch_execz .LBB2148_261
; %bb.254:                              ;   in Loop: Header=BB2148_212 Depth=1
	v_and_b32_e32 v35, 0xff, v36
	s_mov_b32 s2, exec_lo
	s_delay_alu instid0(VALU_DEP_1)
	v_cmpx_eq_u16_e32 0, v35
	s_cbranch_execz .LBB2148_260
; %bb.255:                              ;   in Loop: Header=BB2148_212 Depth=1
	s_mov_b32 s3, 0
.LBB2148_256:                           ;   Parent Loop BB2148_212 Depth=1
                                        ; =>  This Inner Loop Header: Depth=2
	s_wait_xcnt 0x0
	s_mov_b32 s17, s3
	s_add_co_i32 s3, s3, 8
	scratch_store_b64 off, v[20:21], s17
	s_cmp_lg_u32 s3, 32
	s_cbranch_scc1 .LBB2148_256
; %bb.257:                              ;   in Loop: Header=BB2148_212 Depth=1
	s_mov_b32 s3, 0
.LBB2148_258:                           ;   Parent Loop BB2148_212 Depth=1
                                        ; =>  This Inner Loop Header: Depth=2
	s_wait_xcnt 0x0
	s_add_co_i32 s17, s3, 0x90
	v_add_nc_u32_e32 v12, s3, v23
	scratch_load_b64 v[10:11], off, s17
	s_wait_xcnt 0x0
	s_mov_b32 s17, s3
	s_add_co_i32 s3, s3, 8
	ds_load_2addr_b32 v[12:13], v12 offset1:1
	s_cmp_lg_u32 s3, 32
	s_wait_loadcnt_dscnt 0x0
	v_dual_add_nc_u32 v11, v13, v11 :: v_dual_add_nc_u32 v10, v12, v10
	scratch_store_b64 off, v[10:11], s17
	s_cbranch_scc1 .LBB2148_258
; %bb.259:                              ;   in Loop: Header=BB2148_212 Depth=1
	s_clause 0x1
	scratch_load_b128 v[10:13], off, off
	scratch_load_b128 v[14:17], off, off offset:16
.LBB2148_260:                           ;   in Loop: Header=BB2148_212 Depth=1
	s_wait_xcnt 0x0
	s_or_b32 exec_lo, exec_lo, s2
	v_and_b32_e32 v35, 1, v37
	s_and_not1_b32 s2, s0, exec_lo
	s_wait_loadcnt 0x1
	ds_store_2addr_b32 v23, v10, v11 offset1:1
	ds_store_2addr_b32 v23, v12, v13 offset0:2 offset1:3
	s_wait_loadcnt 0x0
	ds_store_2addr_b32 v23, v14, v15 offset0:4 offset1:5
	ds_store_2addr_b32 v23, v16, v17 offset0:6 offset1:7
	v_cmp_eq_u32_e32 vcc_lo, 1, v35
	s_or_b32 s0, s0, vcc_lo
	s_delay_alu instid0(SALU_CYCLE_1) | instskip(SKIP_1) | instid1(SALU_CYCLE_1)
	v_cndmask_b32_e64 v35, 0, 1, s0
	s_and_b32 s0, s0, exec_lo
	s_or_b32 s0, s2, s0
	ds_store_b8 v23, v35 offset:32
.LBB2148_261:                           ;   in Loop: Header=BB2148_212 Depth=1
	s_or_b32 exec_lo, exec_lo, s1
	scratch_load_u8 v35, off, off offset:100
	s_mov_b32 s1, exec_lo
                                        ; implicit-def: $vgpr16_vgpr17
                                        ; implicit-def: $vgpr12_vgpr13
	s_wait_loadcnt 0x0
	v_cmpx_ne_u16_e32 0, v35
	s_xor_b32 s1, exec_lo, s1
	s_cbranch_execz .LBB2148_263
; %bb.262:                              ;   in Loop: Header=BB2148_212 Depth=1
	s_clause 0x1
	scratch_load_b128 v[10:13], off, off offset:68
	scratch_load_b128 v[14:17], off, off offset:84
.LBB2148_263:                           ;   in Loop: Header=BB2148_212 Depth=1
	s_wait_xcnt 0x0
	s_and_not1_saveexec_b32 s1, s1
	s_cbranch_execz .LBB2148_210
; %bb.264:                              ;   in Loop: Header=BB2148_212 Depth=1
	s_mov_b32 s2, 0
.LBB2148_265:                           ;   Parent Loop BB2148_212 Depth=1
                                        ; =>  This Inner Loop Header: Depth=2
	s_wait_xcnt 0x0
	s_add_co_i32 s3, s2, 0x90
	s_add_co_i32 s2, s2, 8
	scratch_store_b64 off, v[20:21], s3
	s_cmp_lg_u32 s2, 32
	s_cbranch_scc1 .LBB2148_265
; %bb.266:                              ;   in Loop: Header=BB2148_212 Depth=1
	s_mov_b32 s2, 0
.LBB2148_267:                           ;   Parent Loop BB2148_212 Depth=1
                                        ; =>  This Inner Loop Header: Depth=2
	s_wait_xcnt 0x0
	s_add_co_i32 s3, s2, 0x44
	s_wait_loadcnt 0x1
	scratch_load_b64 v[10:11], off, s3
	v_add_nc_u32_e32 v12, s2, v23
	s_wait_xcnt 0x0
	s_add_co_i32 s3, s2, 0x90
	s_add_co_i32 s2, s2, 8
	s_delay_alu instid0(SALU_CYCLE_1)
	s_cmp_lg_u32 s2, 32
	ds_load_2addr_b32 v[12:13], v12 offset1:1
	s_wait_loadcnt_dscnt 0x0
	v_dual_add_nc_u32 v11, v11, v13 :: v_dual_add_nc_u32 v10, v10, v12
	scratch_store_b64 off, v[10:11], s3
	s_cbranch_scc1 .LBB2148_267
	s_branch .LBB2148_209
.LBB2148_268:
	s_cbranch_execnz .LBB2148_314
	s_branch .LBB2148_459
.LBB2148_269:
	s_clause 0x2
	scratch_load_b128 v[14:17], off, off offset:68
	scratch_load_b128 v[10:13], off, off offset:84
	scratch_load_b32 v19, off, off offset:100
	s_wait_loadcnt 0x2
	scratch_store_b128 off, v[14:17], off offset:144
	s_wait_loadcnt 0x1
	scratch_store_b128 off, v[10:13], off offset:160
	s_wait_loadcnt 0x0
	scratch_store_b32 off, v19, off offset:176
	s_wait_xcnt 0x0
	s_and_saveexec_b32 s0, s24
	s_cbranch_execz .LBB2148_277
; %bb.270:
	v_and_b32_e32 v0, 0xff, v22
	s_mov_b32 s1, 0
	s_delay_alu instid0(VALU_DEP_1)
	v_cmp_ne_u32_e32 vcc_lo, 0, v0
	s_cbranch_vccnz .LBB2148_276
; %bb.271:
	v_mov_b64_e32 v[0:1], 0
.LBB2148_272:                           ; =>This Inner Loop Header: Depth=1
	s_wait_xcnt 0x0
	s_add_co_i32 s2, s1, 32
	s_add_co_i32 s1, s1, 8
	scratch_store_b64 off, v[0:1], s2
	s_cmp_lg_u32 s1, 32
	s_cbranch_scc1 .LBB2148_272
; %bb.273:
	s_mov_b32 s1, 0
.LBB2148_274:                           ; =>This Inner Loop Header: Depth=1
	s_wait_xcnt 0x0
	s_add_co_i32 s2, s1, 0x90
	s_add_co_i32 s3, s1, 0x68
	scratch_load_b64 v[0:1], off, s2
	scratch_load_b64 v[2:3], off, s3
	s_wait_xcnt 0x1
	s_add_co_i32 s2, s1, 32
	s_add_co_i32 s1, s1, 8
	s_delay_alu instid0(SALU_CYCLE_1)
	s_cmp_lg_u32 s1, 32
	s_wait_loadcnt 0x0
	v_dual_add_nc_u32 v1, v3, v1 :: v_dual_add_nc_u32 v0, v2, v0
	scratch_store_b64 off, v[0:1], s2
	s_cbranch_scc1 .LBB2148_274
; %bb.275:
	s_clause 0x1
	scratch_load_b128 v[2:5], off, off offset:32
	scratch_load_b128 v[6:9], off, off offset:48
.LBB2148_276:
	s_wait_xcnt 0x2
	s_add_co_i32 s2, s38, 32
	s_mov_b32 s3, 0
	v_dual_mov_b32 v0, 0 :: v_dual_mov_b32 v20, 2
	v_mov_b32_e32 v21, s2
	s_mul_u64 s[8:9], s[2:3], 36
	v_bitop3_b16 v1, v22, 1, v19 bitop3:0xc8
	s_add_nc_u64 s[8:9], s[10:11], s[8:9]
	s_wait_loadcnt 0x1
	global_store_b128 v0, v[2:5], s[8:9]
	s_wait_loadcnt 0x0
	s_clause 0x1
	global_store_b128 v0, v[6:9], s[8:9] offset:16
	global_store_b8 v0, v1, s[8:9] offset:32
	global_wb scope:SCOPE_DEV
	s_wait_storecnt_dscnt 0x0
	global_inv scope:SCOPE_DEV
	s_wait_xcnt 0x0
	global_store_b8 v21, v20, s[12:13] scope:SCOPE_DEV
.LBB2148_277:
	s_wait_xcnt 0x0
	s_or_b32 exec_lo, exec_lo, s0
	s_delay_alu instid0(SALU_CYCLE_1)
	s_and_b32 exec_lo, exec_lo, s4
	s_cbranch_execz .LBB2148_279
; %bb.278:
	v_mov_b32_e32 v0, 0
	ds_store_2addr_b32 v0, v14, v15 offset0:63 offset1:64
	ds_store_2addr_b32 v0, v16, v17 offset0:65 offset1:66
	;; [unrolled: 1-line block ×4, first 2 shown]
	ds_store_b8 v0, v19 offset:284
.LBB2148_279:
	s_or_b32 exec_lo, exec_lo, s7
	s_wait_storecnt 0x0
	s_wait_loadcnt_dscnt 0x0
	s_barrier_signal -1
	s_barrier_wait -1
	scratch_load_u8 v8, off, off offset:320
	v_mov_b32_e32 v9, 0
	ds_load_2addr_b32 v[0:1], v9 offset0:63 offset1:64
	ds_load_2addr_b32 v[2:3], v9 offset0:65 offset1:66
	;; [unrolled: 1-line block ×4, first 2 shown]
	ds_load_b32 v9, v9 offset:284
	s_wait_dscnt 0x3
	scratch_store_b128 off, v[0:3], off offset:144
	s_wait_dscnt 0x1
	scratch_store_b128 off, v[4:7], off offset:160
	s_wait_dscnt 0x0
	scratch_store_b32 off, v9, off offset:176
	s_wait_xcnt 0x0
	s_and_saveexec_b32 s0, s5
	s_cbranch_execz .LBB2148_289
; %bb.280:
	s_wait_loadcnt 0x0
	v_and_b32_e32 v0, 0xff, v8
                                        ; implicit-def: $vgpr6_vgpr7
	s_delay_alu instid0(VALU_DEP_1) | instskip(SKIP_1) | instid1(SALU_CYCLE_1)
	v_cmp_ne_u16_e32 vcc_lo, 0, v0
                                        ; implicit-def: $vgpr2_vgpr3
	s_and_saveexec_b32 s1, vcc_lo
	s_xor_b32 s1, exec_lo, s1
	s_cbranch_execz .LBB2148_282
; %bb.281:
	s_clause 0x1
	scratch_load_b128 v[0:3], off, off offset:288
	scratch_load_b128 v[4:7], off, off offset:304
.LBB2148_282:
	s_wait_xcnt 0x0
	s_and_not1_saveexec_b32 s1, s1
	s_cbranch_execz .LBB2148_288
; %bb.283:
	s_wait_loadcnt 0x1
	v_mov_b64_e32 v[0:1], 0
	s_mov_b32 s2, 0
.LBB2148_284:                           ; =>This Inner Loop Header: Depth=1
	s_wait_xcnt 0x0
	s_add_co_i32 s3, s2, 32
	s_add_co_i32 s2, s2, 8
	scratch_store_b64 off, v[0:1], s3
	s_cmp_lg_u32 s2, 32
	s_cbranch_scc1 .LBB2148_284
; %bb.285:
	s_mov_b32 s2, 0
.LBB2148_286:                           ; =>This Inner Loop Header: Depth=1
	s_wait_xcnt 0x0
	s_add_co_i32 s3, s2, 0xf0
	s_add_co_i32 s7, s2, 0x120
	scratch_load_b64 v[0:1], off, s3
	scratch_load_b64 v[2:3], off, s7
	s_wait_xcnt 0x1
	s_add_co_i32 s3, s2, 32
	s_add_co_i32 s2, s2, 8
	s_delay_alu instid0(SALU_CYCLE_1)
	s_cmp_lg_u32 s2, 32
	s_wait_loadcnt 0x0
	v_dual_add_nc_u32 v1, v3, v1 :: v_dual_add_nc_u32 v0, v2, v0
	scratch_store_b64 off, v[0:1], s3
	s_cbranch_scc1 .LBB2148_286
; %bb.287:
	s_clause 0x1
	scratch_load_b128 v[0:3], off, off offset:32
	scratch_load_b128 v[4:7], off, off offset:48
.LBB2148_288:
	s_wait_xcnt 0x0
	s_or_b32 exec_lo, exec_lo, s1
	v_and_b32_e32 v8, 1, v8
	s_wait_loadcnt 0x1
	scratch_store_b128 off, v[0:3], off offset:288
	s_wait_loadcnt 0x0
	scratch_store_b128 off, v[4:7], off offset:304
	v_cmp_eq_u32_e32 vcc_lo, 1, v8
	s_or_b32 s1, vcc_lo, s6
	s_delay_alu instid0(SALU_CYCLE_1)
	v_cndmask_b32_e64 v8, 0, 1, s1
.LBB2148_289:
	s_wait_xcnt 0x0
	s_or_b32 exec_lo, exec_lo, s0
	s_wait_loadcnt 0x0
	s_delay_alu instid0(VALU_DEP_1) | instskip(NEXT) | instid1(VALU_DEP_1)
	v_and_b32_e32 v0, 0xff, v8
                                        ; implicit-def: $vgpr6_vgpr7
	v_cmp_ne_u16_e32 vcc_lo, 0, v0
                                        ; implicit-def: $vgpr2_vgpr3
	s_and_saveexec_b32 s0, vcc_lo
	s_delay_alu instid0(SALU_CYCLE_1)
	s_xor_b32 s0, exec_lo, s0
	s_cbranch_execz .LBB2148_291
; %bb.290:
	s_clause 0x1
	scratch_load_b128 v[0:3], off, off offset:288
	scratch_load_b128 v[4:7], off, off offset:304
.LBB2148_291:
	s_wait_xcnt 0x0
	s_and_not1_saveexec_b32 s0, s0
	s_cbranch_execz .LBB2148_297
; %bb.292:
	s_wait_loadcnt 0x1
	v_mov_b64_e32 v[0:1], 0
	s_mov_b32 s1, 0
.LBB2148_293:                           ; =>This Inner Loop Header: Depth=1
	s_wait_xcnt 0x0
	s_add_co_i32 s2, s1, 32
	s_add_co_i32 s1, s1, 8
	scratch_store_b64 off, v[0:1], s2
	s_cmp_lg_u32 s1, 32
	s_cbranch_scc1 .LBB2148_293
; %bb.294:
	s_mov_b32 s1, 0
.LBB2148_295:                           ; =>This Inner Loop Header: Depth=1
	s_wait_xcnt 0x0
	s_add_co_i32 s2, s1, 0x90
	s_add_co_i32 s3, s1, 0x120
	scratch_load_b64 v[0:1], off, s2
	scratch_load_b64 v[2:3], off, s3
	s_wait_xcnt 0x1
	s_add_co_i32 s2, s1, 32
	s_add_co_i32 s1, s1, 8
	s_delay_alu instid0(SALU_CYCLE_1)
	s_cmp_lg_u32 s1, 32
	s_wait_loadcnt 0x0
	v_dual_add_nc_u32 v1, v3, v1 :: v_dual_add_nc_u32 v0, v2, v0
	scratch_store_b64 off, v[0:1], s2
	s_cbranch_scc1 .LBB2148_295
; %bb.296:
	s_clause 0x1
	scratch_load_b128 v[0:3], off, off offset:32
	scratch_load_b128 v[4:7], off, off offset:48
.LBB2148_297:
	s_wait_xcnt 0x0
	s_or_b32 exec_lo, exec_lo, s0
	scratch_load_u8 v10, off, off offset:356
	v_or_b32_e32 v11, v8, v9
	v_bitop3_b16 v8, v8, 1, v9 bitop3:0xc8
	s_wait_loadcnt 0x2
	scratch_store_b128 off, v[0:3], off offset:288
	s_wait_loadcnt 0x1
	s_clause 0x1
	scratch_store_b128 off, v[4:7], off offset:304
	scratch_store_b8 off, v8, off offset:320
	v_and_b32_e32 v11, 1, v11
                                        ; implicit-def: $vgpr6_vgpr7
                                        ; implicit-def: $vgpr2_vgpr3
	s_delay_alu instid0(VALU_DEP_1) | instskip(SKIP_4) | instid1(SALU_CYCLE_1)
	v_cmp_eq_u32_e32 vcc_lo, 1, v11
	s_wait_loadcnt 0x0
	v_cmp_ne_u16_e64 s0, 0, v10
	s_wait_xcnt 0x0
	s_and_saveexec_b32 s1, s0
	s_xor_b32 s0, exec_lo, s1
	s_cbranch_execz .LBB2148_299
; %bb.298:
	s_clause 0x1
	scratch_load_b128 v[0:3], off, off offset:324
	scratch_load_b128 v[4:7], off, off offset:340
.LBB2148_299:
	s_wait_xcnt 0x0
	s_and_not1_saveexec_b32 s0, s0
	s_cbranch_execz .LBB2148_305
; %bb.300:
	s_wait_loadcnt 0x1
	v_mov_b64_e32 v[0:1], 0
	s_mov_b32 s1, 0
.LBB2148_301:                           ; =>This Inner Loop Header: Depth=1
	s_wait_xcnt 0x0
	s_add_co_i32 s2, s1, 32
	s_add_co_i32 s1, s1, 8
	scratch_store_b64 off, v[0:1], s2
	s_cmp_lg_u32 s1, 32
	s_cbranch_scc1 .LBB2148_301
; %bb.302:
	s_mov_b32 s1, 0
.LBB2148_303:                           ; =>This Inner Loop Header: Depth=1
	s_wait_xcnt 0x0
	s_add_co_i32 s2, s1, 0x120
	s_clause 0x1
	scratch_load_b64 v[0:1], off, s2
	scratch_load_b64 v[2:3], off, s2 offset:36
	s_wait_xcnt 0x0
	s_add_co_i32 s2, s1, 32
	s_add_co_i32 s1, s1, 8
	s_delay_alu instid0(SALU_CYCLE_1)
	s_cmp_lg_u32 s1, 32
	s_wait_loadcnt 0x0
	v_dual_add_nc_u32 v1, v3, v1 :: v_dual_add_nc_u32 v0, v2, v0
	scratch_store_b64 off, v[0:1], s2
	s_cbranch_scc1 .LBB2148_303
; %bb.304:
	s_clause 0x1
	scratch_load_b128 v[0:3], off, off offset:32
	scratch_load_b128 v[4:7], off, off offset:48
.LBB2148_305:
	s_wait_xcnt 0x0
	s_or_b32 exec_lo, exec_lo, s0
	scratch_load_u8 v8, off, off offset:392
	v_and_b32_e32 v9, 1, v10
	s_mov_b32 s1, exec_lo
	s_delay_alu instid0(VALU_DEP_1) | instskip(SKIP_1) | instid1(SALU_CYCLE_1)
	v_cmp_eq_u32_e64 s0, 1, v9
	s_or_b32 s0, s0, vcc_lo
	v_cndmask_b32_e64 v9, 0, 1, s0
	s_wait_loadcnt 0x2
	scratch_store_b128 off, v[0:3], off offset:324
	s_wait_loadcnt 0x1
	s_clause 0x1
	scratch_store_b128 off, v[4:7], off offset:340
	scratch_store_b8 off, v9, off offset:356
                                        ; implicit-def: $vgpr6_vgpr7
                                        ; implicit-def: $vgpr2_vgpr3
	s_wait_loadcnt 0x0
	v_cmpx_ne_u16_e32 0, v8
	s_xor_b32 s1, exec_lo, s1
	s_cbranch_execz .LBB2148_307
; %bb.306:
	s_clause 0x1
	scratch_load_b128 v[0:3], off, off offset:360
	scratch_load_b128 v[4:7], off, off offset:376
.LBB2148_307:
	s_wait_xcnt 0x0
	s_and_not1_saveexec_b32 s1, s1
	s_cbranch_execz .LBB2148_313
; %bb.308:
	s_wait_loadcnt 0x1
	v_mov_b64_e32 v[0:1], 0
	s_mov_b32 s2, 0
.LBB2148_309:                           ; =>This Inner Loop Header: Depth=1
	s_wait_xcnt 0x0
	s_add_co_i32 s3, s2, 32
	s_add_co_i32 s2, s2, 8
	scratch_store_b64 off, v[0:1], s3
	s_cmp_lg_u32 s2, 32
	s_cbranch_scc1 .LBB2148_309
; %bb.310:
	s_mov_b32 s2, 0
.LBB2148_311:                           ; =>This Inner Loop Header: Depth=1
	s_wait_xcnt 0x0
	s_add_co_i32 s3, s2, 0x120
	s_clause 0x1
	scratch_load_b64 v[0:1], off, s3 offset:36
	scratch_load_b64 v[2:3], off, s3 offset:72
	s_wait_xcnt 0x0
	s_add_co_i32 s3, s2, 32
	s_add_co_i32 s2, s2, 8
	s_delay_alu instid0(SALU_CYCLE_1)
	s_cmp_lg_u32 s2, 32
	s_wait_loadcnt 0x0
	v_dual_add_nc_u32 v1, v3, v1 :: v_dual_add_nc_u32 v0, v2, v0
	scratch_store_b64 off, v[0:1], s3
	s_cbranch_scc1 .LBB2148_311
; %bb.312:
	s_clause 0x1
	scratch_load_b128 v[0:3], off, off offset:32
	scratch_load_b128 v[4:7], off, off offset:48
.LBB2148_313:
	s_wait_xcnt 0x0
	s_or_b32 exec_lo, exec_lo, s1
	v_and_b32_e32 v8, 1, v8
	s_wait_loadcnt 0x1
	scratch_store_b128 off, v[0:3], off offset:360
	s_wait_loadcnt 0x0
	scratch_store_b128 off, v[4:7], off offset:376
	v_cmp_eq_u32_e32 vcc_lo, 1, v8
	s_or_b32 s0, vcc_lo, s0
	s_delay_alu instid0(SALU_CYCLE_1)
	v_cndmask_b32_e64 v8, 0, 1, s0
	scratch_store_b8 off, v8, off offset:392
	s_branch .LBB2148_459
.LBB2148_314:
	s_cmp_lg_u64 s[40:41], 0
	s_cselect_b32 s0, -1, 0
	s_cmp_lg_u64 s[26:27], 0
	s_cselect_b32 s1, -1, 0
	s_delay_alu instid0(SALU_CYCLE_1) | instskip(NEXT) | instid1(SALU_CYCLE_1)
	s_and_b32 s0, s0, s1
	s_and_b32 s0, s4, s0
	s_wait_xcnt 0x0
	s_and_saveexec_b32 s2, s0
	s_cbranch_execz .LBB2148_324
; %bb.315:
	scratch_load_u8 v8, off, off offset:320
	s_mov_b32 s0, exec_lo
                                        ; implicit-def: $vgpr6_vgpr7
                                        ; implicit-def: $vgpr2_vgpr3
	s_wait_loadcnt 0x0
	v_cmpx_ne_u16_e32 0, v8
	s_xor_b32 s0, exec_lo, s0
	s_cbranch_execz .LBB2148_317
; %bb.316:
	s_clause 0x1
	scratch_load_b128 v[0:3], off, off offset:288
	scratch_load_b128 v[4:7], off, off offset:304
.LBB2148_317:
	s_wait_xcnt 0x0
	s_and_not1_saveexec_b32 s3, s0
	s_cbranch_execz .LBB2148_323
; %bb.318:
	s_wait_loadcnt 0x1
	v_mov_b64_e32 v[0:1], 0
	s_mov_b32 s0, 0
.LBB2148_319:                           ; =>This Inner Loop Header: Depth=1
	s_wait_xcnt 0x0
	s_add_co_i32 s1, s0, 0x90
	s_add_co_i32 s0, s0, 8
	scratch_store_b64 off, v[0:1], s1
	s_cmp_lg_u32 s0, 32
	s_cbranch_scc1 .LBB2148_319
; %bb.320:
	s_wait_xcnt 0x0
	v_mov_b32_e32 v0, 0
	s_mov_b32 s6, 0
	s_mov_b64 s[0:1], s[26:27]
.LBB2148_321:                           ; =>This Inner Loop Header: Depth=1
	s_wait_xcnt 0x0
	s_add_co_i32 s7, s6, 0x120
	global_load_b64 v[2:3], v0, s[0:1]
	s_wait_loadcnt 0x1
	scratch_load_b64 v[4:5], off, s7
	s_wait_xcnt 0x0
	s_add_co_i32 s7, s6, 0x90
	s_add_co_i32 s6, s6, 8
	s_add_nc_u64 s[0:1], s[0:1], 8
	s_cmp_lg_u32 s6, 32
	s_wait_loadcnt 0x0
	v_dual_add_nc_u32 v3, v5, v3 :: v_dual_add_nc_u32 v2, v4, v2
	scratch_store_b64 off, v[2:3], s7
	s_cbranch_scc1 .LBB2148_321
; %bb.322:
	s_clause 0x1
	scratch_load_b128 v[0:3], off, off offset:144
	scratch_load_b128 v[4:7], off, off offset:160
.LBB2148_323:
	s_wait_xcnt 0x0
	s_or_b32 exec_lo, exec_lo, s3
	v_mov_b32_e32 v9, 0
	global_load_u8 v9, v9, s[26:27] offset:32
	s_wait_loadcnt 0x0
	v_bitop3_b16 v8, v8, 1, v9 bitop3:0xc8
	s_clause 0x2
	scratch_store_b128 off, v[0:3], off offset:288
	scratch_store_b128 off, v[4:7], off offset:304
	scratch_store_b8 off, v8, off offset:320
.LBB2148_324:
	s_wait_xcnt 0x0
	s_or_b32 exec_lo, exec_lo, s2
	s_mov_b32 s0, 0
	v_mov_b64_e32 v[0:1], 0
	s_mov_b32 s2, s0
	s_mov_b32 s3, s0
	;; [unrolled: 1-line block ×3, first 2 shown]
	v_mov_b64_e32 v[4:5], s[2:3]
	v_mov_b64_e32 v[2:3], s[0:1]
	v_mov_b32_e32 v6, 0
	s_clause 0x2
	scratch_store_b32 off, v6, off offset:272
	scratch_store_b128 off, v[2:5], off offset:256
	scratch_store_b128 off, v[2:5], off offset:240
.LBB2148_325:                           ; =>This Inner Loop Header: Depth=1
	s_wait_xcnt 0x0
	s_add_co_i32 s1, s0, 0xf0
	s_add_co_i32 s0, s0, 8
	scratch_store_b64 off, v[0:1], s1
	s_cmp_lg_u32 s0, 32
	s_cbranch_scc1 .LBB2148_325
; %bb.326:
	s_wait_xcnt 0x0
	v_mov_b64_e32 v[0:1], 0
	v_mov_b32_e32 v2, 0
	s_mov_b32 s0, 0
	s_clause 0x1
	scratch_store_b8 off, v2, off offset:272
	scratch_store_b32 off, v2, off offset:176
.LBB2148_327:                           ; =>This Inner Loop Header: Depth=1
	s_wait_xcnt 0x0
	s_add_co_i32 s1, s0, 0x90
	s_add_co_i32 s0, s0, 8
	scratch_store_b64 off, v[0:1], s1
	s_cmp_lg_u32 s0, 32
	s_cbranch_scc1 .LBB2148_327
; %bb.328:
	s_clause 0x3
	scratch_load_u8 v8, off, off offset:356
	scratch_load_b128 v[0:3], off, off offset:288
	scratch_load_b128 v[4:7], off, off offset:304
	scratch_load_u8 v9, off, off offset:320
	s_mov_b32 s0, exec_lo
	s_wait_loadcnt 0x2
	scratch_store_b128 off, v[0:3], off offset:144
	s_wait_loadcnt 0x1
	scratch_store_b128 off, v[4:7], off offset:160
                                        ; implicit-def: $vgpr6_vgpr7
                                        ; implicit-def: $vgpr2_vgpr3
	s_wait_xcnt 0x0
	v_cmpx_ne_u16_e32 0, v8
	s_xor_b32 s0, exec_lo, s0
	s_cbranch_execz .LBB2148_330
; %bb.329:
	s_clause 0x1
	scratch_load_b128 v[0:3], off, off offset:324
	scratch_load_b128 v[4:7], off, off offset:340
.LBB2148_330:
	s_wait_xcnt 0x0
	s_and_not1_saveexec_b32 s0, s0
	s_cbranch_execz .LBB2148_336
; %bb.331:
	s_wait_loadcnt 0x1
	v_mov_b64_e32 v[0:1], 0
	s_mov_b32 s1, 0
.LBB2148_332:                           ; =>This Inner Loop Header: Depth=1
	s_wait_xcnt 0x0
	s_add_co_i32 s2, s1, 32
	s_add_co_i32 s1, s1, 8
	scratch_store_b64 off, v[0:1], s2
	s_cmp_lg_u32 s1, 32
	s_cbranch_scc1 .LBB2148_332
; %bb.333:
	s_mov_b32 s1, 0
.LBB2148_334:                           ; =>This Inner Loop Header: Depth=1
	s_wait_xcnt 0x0
	s_add_co_i32 s2, s1, 0x90
	s_add_co_i32 s3, s15, s1
	scratch_load_b64 v[0:1], off, s2
	scratch_load_b64 v[2:3], off, s3
	s_wait_xcnt 0x1
	s_add_co_i32 s2, s1, 32
	s_add_co_i32 s1, s1, 8
	s_delay_alu instid0(SALU_CYCLE_1)
	s_cmp_lg_u32 s1, 32
	s_wait_loadcnt 0x0
	v_dual_add_nc_u32 v1, v3, v1 :: v_dual_add_nc_u32 v0, v2, v0
	scratch_store_b64 off, v[0:1], s2
	s_cbranch_scc1 .LBB2148_334
; %bb.335:
	s_clause 0x1
	scratch_load_b128 v[0:3], off, off offset:32
	scratch_load_b128 v[4:7], off, off offset:48
.LBB2148_336:
	s_wait_xcnt 0x0
	s_or_b32 exec_lo, exec_lo, s0
	scratch_load_u8 v10, off, off offset:392
	s_mov_b32 s0, exec_lo
	s_wait_loadcnt 0x2
	scratch_store_b128 off, v[0:3], off offset:144
	s_wait_loadcnt 0x1
	scratch_store_b128 off, v[4:7], off offset:160
                                        ; implicit-def: $vgpr6_vgpr7
                                        ; implicit-def: $vgpr2_vgpr3
	s_wait_loadcnt 0x0
	v_cmpx_ne_u16_e32 0, v10
	s_xor_b32 s0, exec_lo, s0
	s_cbranch_execz .LBB2148_338
; %bb.337:
	s_clause 0x1
	scratch_load_b128 v[0:3], off, off offset:360
	scratch_load_b128 v[4:7], off, off offset:376
.LBB2148_338:
	s_wait_xcnt 0x0
	s_and_not1_saveexec_b32 s0, s0
	s_cbranch_execz .LBB2148_344
; %bb.339:
	s_wait_loadcnt 0x1
	v_mov_b64_e32 v[0:1], 0
	s_mov_b32 s1, 0
.LBB2148_340:                           ; =>This Inner Loop Header: Depth=1
	s_wait_xcnt 0x0
	s_add_co_i32 s2, s1, 32
	s_add_co_i32 s1, s1, 8
	scratch_store_b64 off, v[0:1], s2
	s_cmp_lg_u32 s1, 32
	s_cbranch_scc1 .LBB2148_340
; %bb.341:
	s_mov_b32 s1, 0
.LBB2148_342:                           ; =>This Inner Loop Header: Depth=1
	s_wait_xcnt 0x0
	s_add_co_i32 s2, s1, 0x90
	s_add_co_i32 s3, s42, s1
	scratch_load_b64 v[0:1], off, s2
	scratch_load_b64 v[2:3], off, s3
	s_wait_xcnt 0x1
	s_add_co_i32 s2, s1, 32
	s_add_co_i32 s1, s1, 8
	s_delay_alu instid0(SALU_CYCLE_1)
	s_cmp_lg_u32 s1, 32
	s_wait_loadcnt 0x0
	v_dual_add_nc_u32 v1, v3, v1 :: v_dual_add_nc_u32 v0, v2, v0
	scratch_store_b64 off, v[0:1], s2
	s_cbranch_scc1 .LBB2148_342
; %bb.343:
	s_clause 0x1
	scratch_load_b128 v[0:3], off, off offset:32
	scratch_load_b128 v[4:7], off, off offset:48
.LBB2148_344:
	s_wait_xcnt 0x0
	s_or_b32 exec_lo, exec_lo, s0
	s_clause 0x1
	scratch_load_u16 v11, off, off offset:177
	scratch_load_i8 v12, off, off offset:179
	v_bitop3_b16 v8, v8, 0xff, v9 bitop3:0xc8
	v_and_b32_e32 v9, 1, v10
	s_wait_loadcnt 0x3
	v_mov_b32_dpp v14, v0 row_shr:1 row_mask:0xf bank_mask:0xf
	v_mov_b32_dpp v15, v1 row_shr:1 row_mask:0xf bank_mask:0xf
	;; [unrolled: 1-line block ×3, first 2 shown]
	v_cmp_ne_u16_e32 vcc_lo, 0, v8
	v_cmp_eq_u32_e64 s0, 1, v9
	v_mov_b32_dpp v17, v3 row_shr:1 row_mask:0xf bank_mask:0xf
	s_wait_loadcnt 0x2
	v_mov_b32_dpp v20, v4 row_shr:1 row_mask:0xf bank_mask:0xf
	v_mov_b32_dpp v21, v5 row_shr:1 row_mask:0xf bank_mask:0xf
	;; [unrolled: 1-line block ×3, first 2 shown]
	s_or_b32 s0, vcc_lo, s0
	v_mov_b32_dpp v23, v7 row_shr:1 row_mask:0xf bank_mask:0xf
	v_cndmask_b32_e64 v8, 0, 1, s0
	s_mov_b32 s0, exec_lo
	s_clause 0x1
	scratch_store_b128 off, v[0:3], off offset:104
	scratch_store_b128 off, v[4:7], off offset:120
	s_wait_loadcnt 0x1
	v_lshlrev_b16 v9, 8, v11
	s_wait_loadcnt 0x0
	v_perm_b32 v11, v11, v12, 0xc0c0005
	s_delay_alu instid0(VALU_DEP_2) | instskip(SKIP_1) | instid1(VALU_DEP_2)
	v_or_b32_e32 v9, v8, v9
	v_mbcnt_lo_u32_b32 v8, -1, 0
	v_and_b32_e32 v12, 0xffff, v9
	s_delay_alu instid0(VALU_DEP_2) | instskip(NEXT) | instid1(VALU_DEP_2)
	v_and_b32_e32 v10, 15, v8
	v_lshl_or_b32 v11, v11, 16, v12
	s_delay_alu instid0(VALU_DEP_1)
	v_mov_b32_dpp v12, v11 row_shr:1 row_mask:0xf bank_mask:0xf
	s_clause 0x3
	scratch_store_b32 off, v11, off offset:136
	scratch_store_b128 off, v[14:17], off offset:144
	scratch_store_b128 off, v[20:23], off offset:160
	scratch_store_b32 off, v12, off offset:176
	s_wait_xcnt 0x0
	v_cmpx_ne_u32_e32 0, v10
	s_cbranch_execz .LBB2148_352
; %bb.345:
	v_and_b32_e32 v9, 0xff, v9
	s_mov_b32 s1, exec_lo
	s_delay_alu instid0(VALU_DEP_1)
	v_cmpx_eq_u16_e32 0, v9
	s_cbranch_execz .LBB2148_351
; %bb.346:
	v_mov_b64_e32 v[0:1], 0
	s_mov_b32 s2, 0
.LBB2148_347:                           ; =>This Inner Loop Header: Depth=1
	s_wait_xcnt 0x0
	s_add_co_i32 s3, s2, 32
	s_add_co_i32 s2, s2, 8
	scratch_store_b64 off, v[0:1], s3
	s_cmp_lg_u32 s2, 32
	s_cbranch_scc1 .LBB2148_347
; %bb.348:
	s_mov_b32 s2, 0
.LBB2148_349:                           ; =>This Inner Loop Header: Depth=1
	s_wait_xcnt 0x0
	s_add_co_i32 s3, s2, 0x90
	s_add_co_i32 s6, s2, 0x68
	scratch_load_b64 v[0:1], off, s3
	scratch_load_b64 v[2:3], off, s6
	s_wait_xcnt 0x1
	s_add_co_i32 s3, s2, 32
	s_add_co_i32 s2, s2, 8
	s_delay_alu instid0(SALU_CYCLE_1)
	s_cmp_lg_u32 s2, 32
	s_wait_loadcnt 0x0
	v_dual_add_nc_u32 v1, v3, v1 :: v_dual_add_nc_u32 v0, v2, v0
	scratch_store_b64 off, v[0:1], s3
	s_cbranch_scc1 .LBB2148_349
; %bb.350:
	s_clause 0x1
	scratch_load_b128 v[0:3], off, off offset:32
	scratch_load_b128 v[4:7], off, off offset:48
.LBB2148_351:
	s_wait_xcnt 0x0
	s_or_b32 exec_lo, exec_lo, s1
	v_or_b32_e32 v9, v12, v11
	s_delay_alu instid0(VALU_DEP_1)
	v_and_b32_e32 v9, 1, v9
	s_clause 0x1
	scratch_store_b8 off, v9, off offset:136
	scratch_load_b32 v11, off, off offset:136
	s_wait_loadcnt 0x2
	scratch_store_b128 off, v[0:3], off offset:104
	s_wait_loadcnt 0x1
	scratch_store_b128 off, v[4:7], off offset:120
	s_wait_loadcnt 0x0
	s_wait_xcnt 0x3
	v_mov_b32_e32 v9, v11
.LBB2148_352:
	s_wait_xcnt 0x0
	s_or_b32 exec_lo, exec_lo, s0
	v_mov_b32_dpp v14, v0 row_shr:2 row_mask:0xf bank_mask:0xf
	v_mov_b32_dpp v15, v1 row_shr:2 row_mask:0xf bank_mask:0xf
	;; [unrolled: 1-line block ×9, first 2 shown]
	s_mov_b32 s1, exec_lo
	s_clause 0x2
	scratch_store_b128 off, v[14:17], off offset:144
	scratch_store_b128 off, v[20:23], off offset:160
	scratch_store_b32 off, v12, off offset:176
	s_wait_xcnt 0x0
	v_cmpx_lt_u32_e32 1, v10
	s_cbranch_execz .LBB2148_360
; %bb.353:
	v_and_b32_e32 v11, 0xff, v9
	s_mov_b32 s2, 0
	s_mov_b32 s0, exec_lo
	s_delay_alu instid0(VALU_DEP_1)
	v_cmpx_eq_u16_e32 0, v11
	s_cbranch_execz .LBB2148_359
; %bb.354:
	v_mov_b64_e32 v[0:1], 0
.LBB2148_355:                           ; =>This Inner Loop Header: Depth=1
	s_wait_xcnt 0x0
	s_add_co_i32 s3, s2, 32
	s_add_co_i32 s2, s2, 8
	scratch_store_b64 off, v[0:1], s3
	s_cmp_lg_u32 s2, 32
	s_cbranch_scc1 .LBB2148_355
; %bb.356:
	s_mov_b32 s2, 0
.LBB2148_357:                           ; =>This Inner Loop Header: Depth=1
	s_wait_xcnt 0x0
	s_add_co_i32 s3, s2, 0x90
	s_add_co_i32 s6, s2, 0x68
	scratch_load_b64 v[0:1], off, s3
	scratch_load_b64 v[2:3], off, s6
	s_wait_xcnt 0x1
	s_add_co_i32 s3, s2, 32
	s_add_co_i32 s2, s2, 8
	s_delay_alu instid0(SALU_CYCLE_1)
	s_cmp_lg_u32 s2, 32
	s_wait_loadcnt 0x0
	v_dual_add_nc_u32 v1, v3, v1 :: v_dual_add_nc_u32 v0, v2, v0
	scratch_store_b64 off, v[0:1], s3
	s_cbranch_scc1 .LBB2148_357
; %bb.358:
	s_clause 0x1
	scratch_load_b128 v[0:3], off, off offset:32
	scratch_load_b128 v[4:7], off, off offset:48
.LBB2148_359:
	s_wait_xcnt 0x0
	s_or_b32 exec_lo, exec_lo, s0
	v_and_b32_e32 v9, 1, v9
	v_and_b32_e32 v11, 1, v12
	s_delay_alu instid0(VALU_DEP_2) | instskip(NEXT) | instid1(VALU_DEP_2)
	v_cmp_eq_u32_e32 vcc_lo, 1, v9
	v_cmp_eq_u32_e64 s0, 1, v11
	s_or_b32 s0, vcc_lo, s0
	s_delay_alu instid0(SALU_CYCLE_1)
	v_cndmask_b32_e64 v9, 0, 1, s0
	s_clause 0x1
	scratch_store_b8 off, v9, off offset:136
	scratch_load_b32 v11, off, off offset:136
	s_wait_loadcnt 0x2
	scratch_store_b128 off, v[0:3], off offset:104
	s_wait_loadcnt 0x1
	scratch_store_b128 off, v[4:7], off offset:120
	s_wait_loadcnt 0x0
	s_wait_xcnt 0x3
	v_mov_b32_e32 v9, v11
.LBB2148_360:
	s_wait_xcnt 0x0
	s_or_b32 exec_lo, exec_lo, s1
	v_mov_b32_dpp v14, v0 row_shr:4 row_mask:0xf bank_mask:0xf
	v_mov_b32_dpp v15, v1 row_shr:4 row_mask:0xf bank_mask:0xf
	v_mov_b32_dpp v16, v2 row_shr:4 row_mask:0xf bank_mask:0xf
	v_mov_b32_dpp v17, v3 row_shr:4 row_mask:0xf bank_mask:0xf
	v_mov_b32_dpp v12, v11 row_shr:4 row_mask:0xf bank_mask:0xf
	v_mov_b32_dpp v20, v4 row_shr:4 row_mask:0xf bank_mask:0xf
	v_mov_b32_dpp v21, v5 row_shr:4 row_mask:0xf bank_mask:0xf
	v_mov_b32_dpp v22, v6 row_shr:4 row_mask:0xf bank_mask:0xf
	v_mov_b32_dpp v23, v7 row_shr:4 row_mask:0xf bank_mask:0xf
	s_mov_b32 s1, exec_lo
	s_clause 0x2
	scratch_store_b128 off, v[14:17], off offset:144
	scratch_store_b128 off, v[20:23], off offset:160
	scratch_store_b32 off, v12, off offset:176
	s_wait_xcnt 0x0
	v_cmpx_lt_u32_e32 3, v10
	s_cbranch_execz .LBB2148_368
; %bb.361:
	v_and_b32_e32 v11, 0xff, v9
	s_mov_b32 s2, 0
	s_mov_b32 s0, exec_lo
	s_delay_alu instid0(VALU_DEP_1)
	v_cmpx_eq_u16_e32 0, v11
	s_cbranch_execz .LBB2148_367
; %bb.362:
	v_mov_b64_e32 v[0:1], 0
.LBB2148_363:                           ; =>This Inner Loop Header: Depth=1
	s_wait_xcnt 0x0
	s_add_co_i32 s3, s2, 32
	s_add_co_i32 s2, s2, 8
	scratch_store_b64 off, v[0:1], s3
	s_cmp_lg_u32 s2, 32
	s_cbranch_scc1 .LBB2148_363
; %bb.364:
	s_mov_b32 s2, 0
.LBB2148_365:                           ; =>This Inner Loop Header: Depth=1
	s_wait_xcnt 0x0
	s_add_co_i32 s3, s2, 0x90
	s_add_co_i32 s6, s2, 0x68
	scratch_load_b64 v[0:1], off, s3
	scratch_load_b64 v[2:3], off, s6
	s_wait_xcnt 0x1
	s_add_co_i32 s3, s2, 32
	s_add_co_i32 s2, s2, 8
	s_delay_alu instid0(SALU_CYCLE_1)
	s_cmp_lg_u32 s2, 32
	s_wait_loadcnt 0x0
	v_dual_add_nc_u32 v1, v3, v1 :: v_dual_add_nc_u32 v0, v2, v0
	scratch_store_b64 off, v[0:1], s3
	s_cbranch_scc1 .LBB2148_365
; %bb.366:
	s_clause 0x1
	scratch_load_b128 v[0:3], off, off offset:32
	scratch_load_b128 v[4:7], off, off offset:48
.LBB2148_367:
	s_wait_xcnt 0x0
	s_or_b32 exec_lo, exec_lo, s0
	v_and_b32_e32 v9, 1, v9
	v_and_b32_e32 v11, 1, v12
	s_delay_alu instid0(VALU_DEP_2) | instskip(NEXT) | instid1(VALU_DEP_2)
	v_cmp_eq_u32_e32 vcc_lo, 1, v9
	v_cmp_eq_u32_e64 s0, 1, v11
	s_or_b32 s0, vcc_lo, s0
	s_delay_alu instid0(SALU_CYCLE_1)
	v_cndmask_b32_e64 v9, 0, 1, s0
	s_clause 0x1
	scratch_store_b8 off, v9, off offset:136
	scratch_load_b32 v11, off, off offset:136
	s_wait_loadcnt 0x2
	scratch_store_b128 off, v[0:3], off offset:104
	s_wait_loadcnt 0x1
	scratch_store_b128 off, v[4:7], off offset:120
	s_wait_loadcnt 0x0
	s_wait_xcnt 0x3
	v_mov_b32_e32 v9, v11
.LBB2148_368:
	s_wait_xcnt 0x0
	s_or_b32 exec_lo, exec_lo, s1
	v_mov_b32_dpp v14, v0 row_shr:8 row_mask:0xf bank_mask:0xf
	v_mov_b32_dpp v15, v1 row_shr:8 row_mask:0xf bank_mask:0xf
	;; [unrolled: 1-line block ×9, first 2 shown]
	s_mov_b32 s1, exec_lo
	s_clause 0x2
	scratch_store_b128 off, v[14:17], off offset:144
	scratch_store_b128 off, v[20:23], off offset:160
	scratch_store_b32 off, v12, off offset:176
	s_wait_xcnt 0x0
	v_cmpx_lt_u32_e32 7, v10
	s_cbranch_execz .LBB2148_376
; %bb.369:
	v_and_b32_e32 v10, 0xff, v9
	s_mov_b32 s2, 0
	s_mov_b32 s0, exec_lo
	s_delay_alu instid0(VALU_DEP_1)
	v_cmpx_eq_u16_e32 0, v10
	s_cbranch_execz .LBB2148_375
; %bb.370:
	v_mov_b64_e32 v[0:1], 0
.LBB2148_371:                           ; =>This Inner Loop Header: Depth=1
	s_wait_xcnt 0x0
	s_add_co_i32 s3, s2, 32
	s_add_co_i32 s2, s2, 8
	scratch_store_b64 off, v[0:1], s3
	s_cmp_lg_u32 s2, 32
	s_cbranch_scc1 .LBB2148_371
; %bb.372:
	s_mov_b32 s2, 0
.LBB2148_373:                           ; =>This Inner Loop Header: Depth=1
	s_wait_xcnt 0x0
	s_add_co_i32 s3, s2, 0x90
	s_add_co_i32 s6, s2, 0x68
	scratch_load_b64 v[0:1], off, s3
	scratch_load_b64 v[2:3], off, s6
	s_wait_xcnt 0x1
	s_add_co_i32 s3, s2, 32
	s_add_co_i32 s2, s2, 8
	s_delay_alu instid0(SALU_CYCLE_1)
	s_cmp_lg_u32 s2, 32
	s_wait_loadcnt 0x0
	v_dual_add_nc_u32 v1, v3, v1 :: v_dual_add_nc_u32 v0, v2, v0
	scratch_store_b64 off, v[0:1], s3
	s_cbranch_scc1 .LBB2148_373
; %bb.374:
	s_clause 0x1
	scratch_load_b128 v[0:3], off, off offset:32
	scratch_load_b128 v[4:7], off, off offset:48
.LBB2148_375:
	s_wait_xcnt 0x0
	s_or_b32 exec_lo, exec_lo, s0
	v_and_b32_e32 v9, 1, v9
	v_and_b32_e32 v10, 1, v12
	s_delay_alu instid0(VALU_DEP_2) | instskip(NEXT) | instid1(VALU_DEP_2)
	v_cmp_eq_u32_e32 vcc_lo, 1, v9
	v_cmp_eq_u32_e64 s0, 1, v10
	s_or_b32 s0, vcc_lo, s0
	s_delay_alu instid0(SALU_CYCLE_1)
	v_cndmask_b32_e64 v9, 0, 1, s0
	s_clause 0x1
	scratch_store_b8 off, v9, off offset:136
	scratch_load_b32 v11, off, off offset:136
	s_wait_loadcnt 0x2
	scratch_store_b128 off, v[0:3], off offset:104
	s_wait_loadcnt 0x1
	scratch_store_b128 off, v[4:7], off offset:120
	s_wait_loadcnt 0x0
	s_wait_xcnt 0x3
	v_mov_b32_e32 v9, v11
.LBB2148_376:
	s_wait_xcnt 0x0
	s_or_b32 exec_lo, exec_lo, s1
	ds_swizzle_b32 v12, v0 offset:swizzle(BROADCAST,32,15)
	ds_swizzle_b32 v13, v1 offset:swizzle(BROADCAST,32,15)
	;; [unrolled: 1-line block ×9, first 2 shown]
	v_and_b32_e32 v11, 16, v8
	s_mov_b32 s1, exec_lo
	s_wait_dscnt 0x5
	scratch_store_b128 off, v[12:15], off offset:144
	s_wait_dscnt 0x0
	s_clause 0x1
	scratch_store_b128 off, v[20:23], off offset:160
	scratch_store_b32 off, v10, off offset:176
	s_wait_xcnt 0x0
	v_cmpx_ne_u32_e32 0, v11
	s_cbranch_execz .LBB2148_384
; %bb.377:
	v_and_b32_e32 v11, 0xff, v9
	s_mov_b32 s2, 0
	s_mov_b32 s0, exec_lo
	s_delay_alu instid0(VALU_DEP_1)
	v_cmpx_eq_u16_e32 0, v11
	s_cbranch_execz .LBB2148_383
; %bb.378:
	v_mov_b64_e32 v[0:1], 0
.LBB2148_379:                           ; =>This Inner Loop Header: Depth=1
	s_wait_xcnt 0x0
	s_add_co_i32 s3, s2, 32
	s_add_co_i32 s2, s2, 8
	scratch_store_b64 off, v[0:1], s3
	s_cmp_lg_u32 s2, 32
	s_cbranch_scc1 .LBB2148_379
; %bb.380:
	s_mov_b32 s2, 0
.LBB2148_381:                           ; =>This Inner Loop Header: Depth=1
	s_wait_xcnt 0x0
	s_add_co_i32 s3, s2, 0x90
	s_add_co_i32 s6, s2, 0x68
	scratch_load_b64 v[0:1], off, s3
	scratch_load_b64 v[2:3], off, s6
	s_wait_xcnt 0x1
	s_add_co_i32 s3, s2, 32
	s_add_co_i32 s2, s2, 8
	s_delay_alu instid0(SALU_CYCLE_1)
	s_cmp_lg_u32 s2, 32
	s_wait_loadcnt 0x0
	v_dual_add_nc_u32 v1, v3, v1 :: v_dual_add_nc_u32 v0, v2, v0
	scratch_store_b64 off, v[0:1], s3
	s_cbranch_scc1 .LBB2148_381
; %bb.382:
	s_clause 0x1
	scratch_load_b128 v[0:3], off, off offset:32
	scratch_load_b128 v[4:7], off, off offset:48
.LBB2148_383:
	s_wait_xcnt 0x0
	s_or_b32 exec_lo, exec_lo, s0
	v_and_b32_e32 v9, 1, v9
	v_and_b32_e32 v10, 1, v10
	s_delay_alu instid0(VALU_DEP_2) | instskip(NEXT) | instid1(VALU_DEP_2)
	v_cmp_eq_u32_e32 vcc_lo, 1, v9
	v_cmp_eq_u32_e64 s0, 1, v10
	s_or_b32 s0, vcc_lo, s0
	s_delay_alu instid0(SALU_CYCLE_1)
	v_cndmask_b32_e64 v9, 0, 1, s0
	s_wait_loadcnt 0x1
	scratch_store_b128 off, v[0:3], off offset:104
	s_wait_loadcnt 0x0
	s_clause 0x1
	scratch_store_b128 off, v[4:7], off offset:120
	scratch_store_b8 off, v9, off offset:136
.LBB2148_384:
	s_wait_xcnt 0x0
	s_or_b32 exec_lo, exec_lo, s1
	v_and_b32_e32 v10, 0x3e0, v18
	s_mov_b32 s0, exec_lo
	s_delay_alu instid0(VALU_DEP_1) | instskip(NEXT) | instid1(VALU_DEP_1)
	v_min_u32_e32 v10, 0xe0, v10
	v_or_b32_e32 v11, 31, v10
	v_lshrrev_b32_e32 v10, 5, v18
	s_delay_alu instid0(VALU_DEP_2)
	v_cmpx_eq_u32_e64 v18, v11
	s_cbranch_execz .LBB2148_386
; %bb.385:
	s_delay_alu instid0(VALU_DEP_2)
	v_mul_u32_u24_e32 v11, 36, v10
	ds_store_2addr_b32 v11, v0, v1 offset1:1
	ds_store_2addr_b32 v11, v2, v3 offset0:2 offset1:3
	ds_store_2addr_b32 v11, v4, v5 offset0:4 offset1:5
	;; [unrolled: 1-line block ×3, first 2 shown]
	ds_store_b8 v11, v9 offset:32
.LBB2148_386:
	s_or_b32 exec_lo, exec_lo, s0
	s_delay_alu instid0(SALU_CYCLE_1)
	s_mov_b32 s1, exec_lo
	s_wait_storecnt_dscnt 0x0
	s_barrier_signal -1
	s_barrier_wait -1
	v_cmpx_gt_u32_e32 8, v18
	s_cbranch_execz .LBB2148_412
; %bb.387:
	v_mul_u32_u24_e32 v9, 36, v18
	v_and_b32_e32 v12, 7, v8
	s_mov_b32 s0, exec_lo
	ds_load_b32 v11, v9 offset:32
	ds_load_2addr_b32 v[4:5], v9 offset0:4 offset1:5
	ds_load_2addr_b32 v[0:1], v9 offset1:1
	ds_load_2addr_b32 v[2:3], v9 offset0:2 offset1:3
	ds_load_2addr_b32 v[6:7], v9 offset0:6 offset1:7
	s_wait_dscnt 0x4
	v_mov_b32_dpp v13, v11 row_shr:1 row_mask:0xf bank_mask:0xf
	s_wait_dscnt 0x3
	v_mov_b32_dpp v20, v4 row_shr:1 row_mask:0xf bank_mask:0xf
	;; [unrolled: 2-line block ×3, first 2 shown]
	v_mov_b32_dpp v15, v1 row_shr:1 row_mask:0xf bank_mask:0xf
	s_wait_dscnt 0x1
	v_mov_b32_dpp v16, v2 row_shr:1 row_mask:0xf bank_mask:0xf
	v_mov_b32_dpp v17, v3 row_shr:1 row_mask:0xf bank_mask:0xf
	;; [unrolled: 1-line block ×3, first 2 shown]
	s_wait_dscnt 0x0
	v_mov_b32_dpp v22, v6 row_shr:1 row_mask:0xf bank_mask:0xf
	v_mov_b32_dpp v23, v7 row_shr:1 row_mask:0xf bank_mask:0xf
	s_clause 0x5
	scratch_store_b32 off, v11, off offset:64
	scratch_store_b128 off, v[0:3], off offset:32
	scratch_store_b128 off, v[4:7], off offset:48
	;; [unrolled: 1-line block ×4, first 2 shown]
	scratch_store_b32 off, v13, off offset:176
	s_wait_xcnt 0x0
	v_cmpx_ne_u32_e32 0, v12
	s_cbranch_execz .LBB2148_395
; %bb.388:
	v_and_b32_e32 v14, 0xff, v11
	s_mov_b32 s2, exec_lo
	s_delay_alu instid0(VALU_DEP_1)
	v_cmpx_eq_u16_e32 0, v14
	s_cbranch_execz .LBB2148_394
; %bb.389:
	v_mov_b64_e32 v[0:1], 0
	s_mov_b32 s3, 0
.LBB2148_390:                           ; =>This Inner Loop Header: Depth=1
	s_wait_xcnt 0x0
	s_add_co_i32 s6, s3, 0x44
	s_add_co_i32 s3, s3, 8
	scratch_store_b64 off, v[0:1], s6
	s_cmp_lg_u32 s3, 32
	s_cbranch_scc1 .LBB2148_390
; %bb.391:
	s_mov_b32 s3, 0
.LBB2148_392:                           ; =>This Inner Loop Header: Depth=1
	s_wait_xcnt 0x0
	s_add_co_i32 s6, s3, 0x90
	s_add_co_i32 s7, s3, 32
	scratch_load_b64 v[0:1], off, s6
	scratch_load_b64 v[2:3], off, s7
	s_wait_xcnt 0x1
	s_add_co_i32 s6, s3, 0x44
	s_add_co_i32 s3, s3, 8
	s_delay_alu instid0(SALU_CYCLE_1)
	s_cmp_lg_u32 s3, 32
	s_wait_loadcnt 0x0
	v_dual_add_nc_u32 v1, v3, v1 :: v_dual_add_nc_u32 v0, v2, v0
	scratch_store_b64 off, v[0:1], s6
	s_cbranch_scc1 .LBB2148_392
; %bb.393:
	s_clause 0x1
	scratch_load_b128 v[0:3], off, off offset:68
	scratch_load_b128 v[4:7], off, off offset:84
.LBB2148_394:
	s_wait_xcnt 0x0
	s_or_b32 exec_lo, exec_lo, s2
	v_or_b32_e32 v11, v13, v11
	s_delay_alu instid0(VALU_DEP_1)
	v_and_b32_e32 v11, 1, v11
	s_clause 0x1
	scratch_store_b8 off, v11, off offset:64
	scratch_load_b32 v11, off, off offset:64
	s_wait_loadcnt 0x2
	scratch_store_b128 off, v[0:3], off offset:32
	s_wait_loadcnt 0x1
	scratch_store_b128 off, v[4:7], off offset:48
.LBB2148_395:
	s_wait_xcnt 0x0
	s_or_b32 exec_lo, exec_lo, s0
	v_mov_b32_dpp v14, v0 row_shr:2 row_mask:0xf bank_mask:0xf
	v_mov_b32_dpp v15, v1 row_shr:2 row_mask:0xf bank_mask:0xf
	;; [unrolled: 1-line block ×4, first 2 shown]
	s_wait_loadcnt 0x0
	v_mov_b32_dpp v13, v11 row_shr:2 row_mask:0xf bank_mask:0xf
	v_mov_b32_dpp v20, v4 row_shr:2 row_mask:0xf bank_mask:0xf
	;; [unrolled: 1-line block ×5, first 2 shown]
	s_mov_b32 s2, exec_lo
	s_clause 0x2
	scratch_store_b128 off, v[14:17], off offset:144
	scratch_store_b128 off, v[20:23], off offset:160
	scratch_store_b32 off, v13, off offset:176
	s_wait_xcnt 0x0
	v_cmpx_lt_u32_e32 1, v12
	s_cbranch_execz .LBB2148_403
; %bb.396:
	v_and_b32_e32 v14, 0xff, v11
	s_mov_b32 s3, 0
	s_mov_b32 s0, exec_lo
	s_delay_alu instid0(VALU_DEP_1)
	v_cmpx_eq_u16_e32 0, v14
	s_cbranch_execz .LBB2148_402
; %bb.397:
	v_mov_b64_e32 v[0:1], 0
.LBB2148_398:                           ; =>This Inner Loop Header: Depth=1
	s_wait_xcnt 0x0
	s_add_co_i32 s6, s3, 0x44
	s_add_co_i32 s3, s3, 8
	scratch_store_b64 off, v[0:1], s6
	s_cmp_lg_u32 s3, 32
	s_cbranch_scc1 .LBB2148_398
; %bb.399:
	s_mov_b32 s3, 0
.LBB2148_400:                           ; =>This Inner Loop Header: Depth=1
	s_wait_xcnt 0x0
	s_add_co_i32 s6, s3, 0x90
	s_add_co_i32 s7, s3, 32
	scratch_load_b64 v[0:1], off, s6
	scratch_load_b64 v[2:3], off, s7
	s_wait_xcnt 0x1
	s_add_co_i32 s6, s3, 0x44
	s_add_co_i32 s3, s3, 8
	s_delay_alu instid0(SALU_CYCLE_1)
	s_cmp_lg_u32 s3, 32
	s_wait_loadcnt 0x0
	v_dual_add_nc_u32 v1, v3, v1 :: v_dual_add_nc_u32 v0, v2, v0
	scratch_store_b64 off, v[0:1], s6
	s_cbranch_scc1 .LBB2148_400
; %bb.401:
	s_clause 0x1
	scratch_load_b128 v[0:3], off, off offset:68
	scratch_load_b128 v[4:7], off, off offset:84
.LBB2148_402:
	s_wait_xcnt 0x0
	s_or_b32 exec_lo, exec_lo, s0
	v_and_b32_e32 v11, 1, v11
	v_and_b32_e32 v13, 1, v13
	s_delay_alu instid0(VALU_DEP_2) | instskip(NEXT) | instid1(VALU_DEP_2)
	v_cmp_eq_u32_e32 vcc_lo, 1, v11
	v_cmp_eq_u32_e64 s0, 1, v13
	s_or_b32 s0, vcc_lo, s0
	s_delay_alu instid0(SALU_CYCLE_1)
	v_cndmask_b32_e64 v11, 0, 1, s0
	s_clause 0x1
	scratch_store_b8 off, v11, off offset:64
	scratch_load_b32 v11, off, off offset:64
	s_wait_loadcnt 0x2
	scratch_store_b128 off, v[0:3], off offset:32
	s_wait_loadcnt 0x1
	scratch_store_b128 off, v[4:7], off offset:48
.LBB2148_403:
	s_wait_xcnt 0x0
	s_or_b32 exec_lo, exec_lo, s2
	v_mov_b32_dpp v14, v0 row_shr:4 row_mask:0xf bank_mask:0xf
	v_mov_b32_dpp v15, v1 row_shr:4 row_mask:0xf bank_mask:0xf
	;; [unrolled: 1-line block ×4, first 2 shown]
	s_wait_loadcnt 0x0
	v_mov_b32_dpp v13, v11 row_shr:4 row_mask:0xf bank_mask:0xf
	v_mov_b32_dpp v20, v4 row_shr:4 row_mask:0xf bank_mask:0xf
	;; [unrolled: 1-line block ×5, first 2 shown]
	s_mov_b32 s2, exec_lo
	s_clause 0x2
	scratch_store_b128 off, v[14:17], off offset:144
	scratch_store_b128 off, v[20:23], off offset:160
	scratch_store_b32 off, v13, off offset:176
	s_wait_xcnt 0x0
	v_cmpx_lt_u32_e32 3, v12
	s_cbranch_execz .LBB2148_411
; %bb.404:
	v_and_b32_e32 v12, 0xff, v11
	s_mov_b32 s3, 0
	s_mov_b32 s0, exec_lo
	s_delay_alu instid0(VALU_DEP_1)
	v_cmpx_eq_u16_e32 0, v12
	s_cbranch_execz .LBB2148_410
; %bb.405:
	v_mov_b64_e32 v[0:1], 0
.LBB2148_406:                           ; =>This Inner Loop Header: Depth=1
	s_wait_xcnt 0x0
	s_add_co_i32 s6, s3, 0x44
	s_add_co_i32 s3, s3, 8
	scratch_store_b64 off, v[0:1], s6
	s_cmp_lg_u32 s3, 32
	s_cbranch_scc1 .LBB2148_406
; %bb.407:
	s_mov_b32 s3, 0
.LBB2148_408:                           ; =>This Inner Loop Header: Depth=1
	s_wait_xcnt 0x0
	s_add_co_i32 s6, s3, 0x90
	s_add_co_i32 s7, s3, 32
	scratch_load_b64 v[0:1], off, s6
	scratch_load_b64 v[2:3], off, s7
	s_wait_xcnt 0x1
	s_add_co_i32 s6, s3, 0x44
	s_add_co_i32 s3, s3, 8
	s_delay_alu instid0(SALU_CYCLE_1)
	s_cmp_lg_u32 s3, 32
	s_wait_loadcnt 0x0
	v_dual_add_nc_u32 v1, v3, v1 :: v_dual_add_nc_u32 v0, v2, v0
	scratch_store_b64 off, v[0:1], s6
	s_cbranch_scc1 .LBB2148_408
; %bb.409:
	s_clause 0x1
	scratch_load_b128 v[0:3], off, off offset:68
	scratch_load_b128 v[4:7], off, off offset:84
.LBB2148_410:
	s_wait_xcnt 0x0
	s_or_b32 exec_lo, exec_lo, s0
	v_and_b32_e32 v11, 1, v11
	v_and_b32_e32 v12, 1, v13
	s_wait_loadcnt 0x1
	scratch_store_b128 off, v[0:3], off offset:32
	s_wait_loadcnt 0x0
	scratch_store_b128 off, v[4:7], off offset:48
	v_cmp_eq_u32_e32 vcc_lo, 1, v11
	v_cmp_eq_u32_e64 s0, 1, v12
	s_or_b32 s0, vcc_lo, s0
	s_delay_alu instid0(SALU_CYCLE_1)
	v_cndmask_b32_e64 v11, 0, 1, s0
.LBB2148_411:
	s_wait_xcnt 0x0
	s_or_b32 exec_lo, exec_lo, s2
	s_clause 0x1
	scratch_load_b128 v[0:3], off, off offset:32
	scratch_load_b128 v[4:7], off, off offset:48
	s_wait_loadcnt 0x1
	ds_store_2addr_b32 v9, v2, v3 offset0:2 offset1:3
	ds_store_2addr_b32 v9, v0, v1 offset1:1
	s_wait_loadcnt 0x0
	ds_store_2addr_b32 v9, v6, v7 offset0:6 offset1:7
	ds_store_2addr_b32 v9, v4, v5 offset0:4 offset1:5
	ds_store_b8 v9, v11 offset:32
.LBB2148_412:
	s_wait_xcnt 0x0
	s_or_b32 exec_lo, exec_lo, s1
	s_mov_b32 s0, 0
	v_mov_b64_e32 v[0:1], 0
	s_mov_b32 s2, s0
	s_mov_b32 s3, s0
	;; [unrolled: 1-line block ×3, first 2 shown]
	v_mov_b64_e32 v[4:5], s[2:3]
	v_mov_b64_e32 v[2:3], s[0:1]
	v_mov_b32_e32 v6, 0
	s_wait_storecnt_dscnt 0x0
	s_barrier_signal -1
	s_barrier_wait -1
	s_clause 0x2
	scratch_store_b32 off, v6, off offset:176
	scratch_store_b128 off, v[2:5], off offset:160
	scratch_store_b128 off, v[2:5], off offset:144
.LBB2148_413:                           ; =>This Inner Loop Header: Depth=1
	s_wait_xcnt 0x0
	s_add_co_i32 s1, s0, 0x90
	s_add_co_i32 s0, s0, 8
	scratch_store_b64 off, v[0:1], s1
	s_cmp_lg_u32 s0, 32
	s_cbranch_scc1 .LBB2148_413
; %bb.414:
	s_mov_b32 s0, exec_lo
                                        ; implicit-def: $vgpr0_vgpr1
                                        ; implicit-def: $vgpr4_vgpr5
                                        ; implicit-def: $vgpr9
	s_wait_xcnt 0x0
	v_cmpx_lt_u32_e32 31, v18
	s_xor_b32 s0, exec_lo, s0
	s_cbranch_execz .LBB2148_424
; %bb.415:
	scratch_load_u8 v11, off, off offset:136
	v_mad_u32_u24 v6, v10, 36, 0xffffffdc
	v_mad_u32_u24 v9, v10, 36, -4
	s_mov_b32 s1, exec_lo
	ds_load_2addr_b32 v[2:3], v6 offset0:2 offset1:3
	ds_load_2addr_b32 v[4:5], v6 offset0:4 offset1:5
	ds_load_2addr_b32 v[0:1], v6 offset1:1
	ds_load_2addr_b32 v[6:7], v6 offset0:6 offset1:7
	ds_load_u8 v9, v9
	s_wait_dscnt 0x2
	scratch_store_b128 off, v[0:3], off offset:144
	s_wait_dscnt 0x1
	scratch_store_b128 off, v[4:7], off offset:160
                                        ; implicit-def: $vgpr0_vgpr1
                                        ; implicit-def: $vgpr4_vgpr5
	s_wait_loadcnt 0x0
	v_cmpx_ne_u16_e32 0, v11
	s_xor_b32 s1, exec_lo, s1
	s_cbranch_execz .LBB2148_417
; %bb.416:
	s_clause 0x1
	scratch_load_b128 v[0:3], off, off offset:104
	scratch_load_b128 v[4:7], off, off offset:120
.LBB2148_417:
	s_wait_xcnt 0x0
	s_and_not1_saveexec_b32 s1, s1
	s_cbranch_execz .LBB2148_423
; %bb.418:
	s_wait_loadcnt 0x1
	v_mov_b64_e32 v[0:1], 0
	s_mov_b32 s2, 0
.LBB2148_419:                           ; =>This Inner Loop Header: Depth=1
	s_wait_xcnt 0x0
	s_add_co_i32 s3, s2, 32
	s_add_co_i32 s2, s2, 8
	scratch_store_b64 off, v[0:1], s3
	s_cmp_lg_u32 s2, 32
	s_cbranch_scc1 .LBB2148_419
; %bb.420:
	s_mov_b32 s2, 0
.LBB2148_421:                           ; =>This Inner Loop Header: Depth=1
	s_wait_xcnt 0x0
	s_add_co_i32 s3, s2, 0x90
	s_add_co_i32 s6, s2, 0x68
	scratch_load_b64 v[0:1], off, s3
	scratch_load_b64 v[2:3], off, s6
	s_wait_xcnt 0x1
	s_add_co_i32 s3, s2, 32
	s_add_co_i32 s2, s2, 8
	s_delay_alu instid0(SALU_CYCLE_1)
	s_cmp_lg_u32 s2, 32
	s_wait_loadcnt 0x0
	v_dual_add_nc_u32 v1, v3, v1 :: v_dual_add_nc_u32 v0, v2, v0
	scratch_store_b64 off, v[0:1], s3
	s_cbranch_scc1 .LBB2148_421
; %bb.422:
	s_clause 0x1
	scratch_load_b128 v[0:3], off, off offset:32
	scratch_load_b128 v[4:7], off, off offset:48
.LBB2148_423:
	s_wait_xcnt 0x0
	s_or_b32 exec_lo, exec_lo, s1
	s_wait_dscnt 0x0
	v_or_b32_e32 v10, v11, v9
	scratch_store_b8 off, v10, off offset:136
.LBB2148_424:
	s_wait_xcnt 0x0
	s_and_not1_saveexec_b32 s0, s0
	s_cbranch_execz .LBB2148_426
; %bb.425:
	s_wait_loadcnt 0x1
	scratch_load_b128 v[0:3], off, off offset:104
	s_wait_loadcnt 0x1
	scratch_load_b128 v[4:7], off, off offset:120
	v_mov_b32_e32 v9, 0
.LBB2148_426:
	s_wait_xcnt 0x0
	s_or_b32 exec_lo, exec_lo, s0
	scratch_load_b32 v11, off, off offset:136
	v_sub_co_u32 v10, s1, v8, 1
	s_delay_alu instid0(VALU_DEP_1) | instskip(SKIP_1) | instid1(VALU_DEP_1)
	v_cmp_gt_i32_e32 vcc_lo, 0, v10
	v_cndmask_b32_e32 v8, v10, v8, vcc_lo
	v_lshlrev_b32_e32 v8, 2, v8
	s_wait_loadcnt 0x2
	ds_bpermute_b32 v0, v8, v0
	ds_bpermute_b32 v1, v8, v1
	;; [unrolled: 1-line block ×4, first 2 shown]
	s_wait_loadcnt 0x1
	ds_bpermute_b32 v4, v8, v4
	ds_bpermute_b32 v5, v8, v5
	;; [unrolled: 1-line block ×4, first 2 shown]
	s_wait_loadcnt 0x0
	ds_bpermute_b32 v10, v8, v11
	s_wait_dscnt 0x5
	scratch_store_b128 off, v[0:3], off offset:104
	s_wait_dscnt 0x1
	scratch_store_b128 off, v[4:7], off offset:120
	s_wait_dscnt 0x0
	scratch_store_b8 off, v10, off offset:136
	s_wait_xcnt 0x0
	s_and_saveexec_b32 s0, s1
	s_cbranch_execz .LBB2148_428
; %bb.427:
	s_clause 0x1
	scratch_load_b128 v[0:3], off, off offset:144
	scratch_load_b128 v[4:7], off, off offset:160
	v_mov_b32_e32 v10, v9
	s_wait_loadcnt 0x1
	scratch_store_b128 off, v[0:3], off offset:104
	s_wait_loadcnt 0x0
	s_clause 0x1
	scratch_store_b128 off, v[4:7], off offset:120
	scratch_store_b8 off, v9, off offset:136
.LBB2148_428:
	s_wait_xcnt 0x0
	s_or_b32 exec_lo, exec_lo, s0
	s_clause 0x2
	scratch_load_b128 v[12:15], off, off offset:288
	scratch_load_b128 v[20:23], off, off offset:304
	scratch_load_b32 v8, off, off offset:320
	v_perm_b32 v9, v10, v11, 0x3020104
	s_clause 0x2
	scratch_store_b128 off, v[0:3], off offset:32
	scratch_store_b128 off, v[4:7], off offset:48
	scratch_store_b32 off, v9, off offset:64
	s_wait_loadcnt 0x2
	scratch_store_b128 off, v[12:15], off offset:68
	s_wait_loadcnt 0x1
	scratch_store_b128 off, v[20:23], off offset:84
	s_wait_loadcnt 0x0
	scratch_store_b32 off, v8, off offset:100
                                        ; implicit-def: $vgpr6_vgpr7
                                        ; implicit-def: $vgpr2_vgpr3
	s_wait_xcnt 0x0
	s_and_saveexec_b32 s0, s5
	s_delay_alu instid0(SALU_CYCLE_1)
	s_xor_b32 s0, exec_lo, s0
	s_cbranch_execz .LBB2148_438
; %bb.429:
	v_and_b32_e32 v0, 0xff, v8
                                        ; implicit-def: $vgpr6_vgpr7
	s_delay_alu instid0(VALU_DEP_1) | instskip(SKIP_1) | instid1(SALU_CYCLE_1)
	v_cmp_ne_u16_e32 vcc_lo, 0, v0
                                        ; implicit-def: $vgpr2_vgpr3
	s_and_saveexec_b32 s1, vcc_lo
	s_xor_b32 s1, exec_lo, s1
	s_cbranch_execz .LBB2148_431
; %bb.430:
	s_clause 0x1
	scratch_load_b128 v[0:3], off, off offset:68
	scratch_load_b128 v[4:7], off, off offset:84
.LBB2148_431:
	s_wait_xcnt 0x0
	s_and_not1_saveexec_b32 s1, s1
	s_cbranch_execz .LBB2148_437
; %bb.432:
	s_wait_loadcnt 0x1
	v_mov_b64_e32 v[0:1], 0
	s_mov_b32 s2, 0
.LBB2148_433:                           ; =>This Inner Loop Header: Depth=1
	s_wait_xcnt 0x0
	s_add_co_i32 s3, s2, 0x90
	s_add_co_i32 s2, s2, 8
	scratch_store_b64 off, v[0:1], s3
	s_cmp_lg_u32 s2, 32
	s_cbranch_scc1 .LBB2148_433
; %bb.434:
	s_mov_b32 s2, 0
.LBB2148_435:                           ; =>This Inner Loop Header: Depth=1
	s_wait_xcnt 0x0
	s_add_co_i32 s3, s2, 32
	s_add_co_i32 s5, s2, 0x44
	scratch_load_b64 v[0:1], off, s3
	scratch_load_b64 v[2:3], off, s5
	s_wait_xcnt 0x1
	s_add_co_i32 s3, s2, 0x90
	s_add_co_i32 s2, s2, 8
	s_delay_alu instid0(SALU_CYCLE_1)
	s_cmp_lg_u32 s2, 32
	s_wait_loadcnt 0x0
	v_dual_add_nc_u32 v1, v3, v1 :: v_dual_add_nc_u32 v0, v2, v0
	scratch_store_b64 off, v[0:1], s3
	s_cbranch_scc1 .LBB2148_435
; %bb.436:
	s_clause 0x1
	scratch_load_b128 v[0:3], off, off offset:144
	scratch_load_b128 v[4:7], off, off offset:160
.LBB2148_437:
	s_wait_xcnt 0x0
	s_or_b32 exec_lo, exec_lo, s1
	v_bitop3_b16 v8, v8, v10, 1 bitop3:0xf8
	s_wait_loadcnt 0x1
	scratch_store_b128 off, v[0:3], off offset:68
	s_wait_loadcnt 0x0
	scratch_store_b128 off, v[4:7], off offset:84
	;;#ASMSTART
	;;#ASMEND
.LBB2148_438:
	s_wait_xcnt 0x0
	s_and_not1_saveexec_b32 s0, s0
	s_cbranch_execz .LBB2148_440
; %bb.439:
	s_clause 0x1
	scratch_load_b128 v[0:3], off, off offset:68
	scratch_load_b128 v[4:7], off, off offset:84
.LBB2148_440:
	s_wait_xcnt 0x0
	s_or_b32 exec_lo, exec_lo, s0
	s_clause 0x4
	scratch_load_u16 v9, off, off offset:101
	scratch_load_u8 v11, off, off offset:103
	scratch_load_b128 v[12:15], off, off offset:68
	scratch_load_b128 v[20:23], off, off offset:84
	scratch_load_u8 v10, off, off offset:356
	s_mov_b32 s0, exec_lo
	s_wait_loadcnt 0x2
	scratch_store_b128 off, v[12:15], off offset:288
	s_wait_loadcnt 0x1
	scratch_store_b128 off, v[20:23], off offset:304
	v_perm_b32 v16, v8, v9, 0xc0c0004
	v_perm_b32 v9, v9, v11, 0xc0c0005
	s_delay_alu instid0(VALU_DEP_1)
	v_lshl_or_b32 v9, v9, 16, v16
	s_clause 0x3
	scratch_store_b8 off, v8, off offset:320
	scratch_store_b128 off, v[0:3], off offset:144
	scratch_store_b128 off, v[4:7], off offset:160
	scratch_store_b32 off, v9, off offset:176
                                        ; implicit-def: $vgpr6_vgpr7
                                        ; implicit-def: $vgpr2_vgpr3
	s_wait_loadcnt 0x0
	v_cmpx_ne_u16_e32 0, v10
	s_xor_b32 s0, exec_lo, s0
	s_cbranch_execz .LBB2148_442
; %bb.441:
	s_clause 0x1
	scratch_load_b128 v[0:3], off, off offset:324
	scratch_load_b128 v[4:7], off, off offset:340
.LBB2148_442:
	s_wait_xcnt 0x0
	s_and_not1_saveexec_b32 s0, s0
	s_cbranch_execz .LBB2148_448
; %bb.443:
	s_wait_loadcnt 0x1
	v_mov_b64_e32 v[0:1], 0
	s_mov_b32 s1, 0
.LBB2148_444:                           ; =>This Inner Loop Header: Depth=1
	s_wait_xcnt 0x0
	s_mov_b32 s2, s1
	s_add_co_i32 s1, s1, 8
	scratch_store_b64 off, v[0:1], s2
	s_cmp_lg_u32 s1, 32
	s_cbranch_scc1 .LBB2148_444
; %bb.445:
	s_mov_b32 s1, 0
.LBB2148_446:                           ; =>This Inner Loop Header: Depth=1
	s_wait_xcnt 0x0
	s_add_co_i32 s2, s1, 0x90
	s_add_co_i32 s3, s15, s1
	scratch_load_b64 v[0:1], off, s2
	scratch_load_b64 v[2:3], off, s3
	s_wait_xcnt 0x1
	s_mov_b32 s2, s1
	s_add_co_i32 s1, s1, 8
	s_delay_alu instid0(SALU_CYCLE_1)
	s_cmp_lg_u32 s1, 32
	s_wait_loadcnt 0x0
	v_dual_add_nc_u32 v1, v3, v1 :: v_dual_add_nc_u32 v0, v2, v0
	scratch_store_b64 off, v[0:1], s2
	s_cbranch_scc1 .LBB2148_446
; %bb.447:
	s_clause 0x1
	scratch_load_b128 v[0:3], off, off
	scratch_load_b128 v[4:7], off, off offset:16
.LBB2148_448:
	s_wait_xcnt 0x0
	s_or_b32 exec_lo, exec_lo, s0
	scratch_load_u8 v9, off, off offset:392
	v_or_b32_e32 v8, v10, v8
	s_mov_b32 s0, exec_lo
	s_wait_loadcnt 0x2
	scratch_store_b128 off, v[0:3], off offset:144
	s_wait_loadcnt 0x1
	scratch_store_b128 off, v[4:7], off offset:160
	s_clause 0x1
	scratch_store_b128 off, v[0:3], s15
	scratch_store_b128 off, v[4:7], s15 offset:16
	scratch_store_b8 off, v8, off offset:356
                                        ; implicit-def: $vgpr6_vgpr7
                                        ; implicit-def: $vgpr2_vgpr3
	s_wait_loadcnt 0x0
	v_cmpx_ne_u16_e32 0, v9
	s_xor_b32 s0, exec_lo, s0
	s_cbranch_execz .LBB2148_450
; %bb.449:
	s_clause 0x1
	scratch_load_b128 v[0:3], off, off offset:360
	scratch_load_b128 v[4:7], off, off offset:376
.LBB2148_450:
	s_wait_xcnt 0x0
	s_and_not1_saveexec_b32 s0, s0
	s_cbranch_execz .LBB2148_456
; %bb.451:
	s_wait_loadcnt 0x1
	v_mov_b64_e32 v[0:1], 0
	s_mov_b32 s1, 0
.LBB2148_452:                           ; =>This Inner Loop Header: Depth=1
	s_wait_xcnt 0x0
	s_mov_b32 s2, s1
	s_add_co_i32 s1, s1, 8
	scratch_store_b64 off, v[0:1], s2
	s_cmp_lg_u32 s1, 32
	s_cbranch_scc1 .LBB2148_452
; %bb.453:
	s_mov_b32 s1, 0
.LBB2148_454:                           ; =>This Inner Loop Header: Depth=1
	s_wait_xcnt 0x0
	s_add_co_i32 s2, s1, 0x90
	s_add_co_i32 s3, s42, s1
	scratch_load_b64 v[0:1], off, s2
	scratch_load_b64 v[2:3], off, s3
	s_wait_xcnt 0x1
	s_mov_b32 s2, s1
	s_add_co_i32 s1, s1, 8
	s_delay_alu instid0(SALU_CYCLE_1)
	s_cmp_lg_u32 s1, 32
	s_wait_loadcnt 0x0
	v_dual_add_nc_u32 v1, v3, v1 :: v_dual_add_nc_u32 v0, v2, v0
	scratch_store_b64 off, v[0:1], s2
	s_cbranch_scc1 .LBB2148_454
; %bb.455:
	s_clause 0x1
	scratch_load_b128 v[0:3], off, off
	scratch_load_b128 v[4:7], off, off offset:16
.LBB2148_456:
	s_wait_xcnt 0x0
	s_or_b32 exec_lo, exec_lo, s0
	v_dual_mov_b32 v10, 0 :: v_dual_bitop2_b32 v9, 1, v9 bitop3:0x40
	v_and_b32_e32 v11, 0xff, v8
	ds_load_2addr_b32 v[14:15], v10 offset0:65 offset1:66
	ds_load_2addr_b32 v[22:23], v10 offset0:69 offset1:70
	;; [unrolled: 1-line block ×4, first 2 shown]
	ds_load_u8 v8, v10 offset:284
	v_cmp_ne_u16_e32 vcc_lo, 0, v11
	v_cmp_eq_u32_e64 s0, 1, v9
	s_or_b32 s0, vcc_lo, s0
	s_delay_alu instid0(SALU_CYCLE_1)
	v_cndmask_b32_e64 v9, 0, 1, s0
	s_wait_loadcnt 0x1
	scratch_store_b128 off, v[0:3], s42
	s_wait_loadcnt 0x0
	scratch_store_b128 off, v[4:7], s42 offset:16
	scratch_store_b8 off, v9, off offset:392
	s_wait_dscnt 0x1
	s_clause 0x1
	scratch_store_b128 off, v[12:15], off offset:240
	scratch_store_b128 off, v[20:23], off offset:256
	s_wait_dscnt 0x0
	scratch_store_b8 off, v8, off offset:272
	s_wait_xcnt 0x0
	s_and_saveexec_b32 s0, s4
	s_cbranch_execz .LBB2148_458
; %bb.457:
	s_clause 0x1
	scratch_load_b128 v[0:3], off, off offset:240
	scratch_load_b128 v[4:7], off, off offset:256
	v_mov_b32_e32 v9, 2
	global_store_b8 v10, v8, s[10:11] offset:1184
	s_wait_loadcnt 0x1
	global_store_b128 v10, v[0:3], s[10:11] offset:1152
	s_wait_loadcnt 0x0
	global_store_b128 v10, v[4:7], s[10:11] offset:1168
	global_wb scope:SCOPE_DEV
	s_wait_storecnt 0x0
	global_inv scope:SCOPE_DEV
	s_wait_xcnt 0x0
	global_store_b8 v10, v9, s[12:13] offset:32 scope:SCOPE_DEV
.LBB2148_458:
	s_wait_xcnt 0x0
	s_or_b32 exec_lo, exec_lo, s0
.LBB2148_459:
	s_wait_xcnt 0x2
	v_mov_b64_e32 v[0:1], 0
	s_mov_b32 s0, 0
.LBB2148_460:                           ; =>This Inner Loop Header: Depth=1
	s_wait_xcnt 0x0
	s_add_co_i32 s1, s0, 0x90
	s_add_co_i32 s0, s0, 8
	scratch_store_b64 off, v[0:1], s1
	s_cmp_lg_u32 s0, 32
	s_cbranch_scc1 .LBB2148_460
; %bb.461:
	s_wait_xcnt 0x0
	v_mov_b64_e32 v[0:1], 0
	s_mov_b32 s0, 32
.LBB2148_462:                           ; =>This Inner Loop Header: Depth=1
	s_wait_xcnt 0x0
	s_add_co_i32 s1, s0, 0x90
	s_add_co_i32 s0, s0, 8
	scratch_store_b64 off, v[0:1], s1
	s_cmp_lg_u32 s0, 64
	s_cbranch_scc1 .LBB2148_462
; %bb.463:
	;; [unrolled: 11-line block ×3, first 2 shown]
	s_wait_xcnt 0x0
	s_add_nc_u64 s[0:1], s[22:23], s[34:35]
	s_and_b32 vcc_lo, exec_lo, s28
	s_add_nc_u64 s[0:1], s[0:1], s[20:21]
	s_cbranch_vccz .LBB2148_475
; %bb.466:
	v_mul_u32_u24_e32 v0, 3, v18
	s_add_co_i32 s29, s29, s14
	s_mov_b32 s2, exec_lo
	s_delay_alu instid0(VALU_DEP_1)
	v_cmpx_gt_u32_e64 s29, v0
	s_cbranch_execz .LBB2148_470
; %bb.467:
	s_clause 0x1
	scratch_load_b128 v[2:5], off, off offset:288
	scratch_load_b128 v[6:9], off, off offset:304
	v_add_nc_u32_e32 v1, 1, v0
	s_wait_loadcnt 0x1
	scratch_store_b128 off, v[2:5], off offset:144
	s_wait_loadcnt 0x0
	scratch_store_b128 off, v[6:9], off offset:160
	v_cmp_gt_u32_e32 vcc_lo, s29, v1
	s_wait_xcnt 0x0
	s_and_b32 exec_lo, exec_lo, vcc_lo
	s_cbranch_execz .LBB2148_470
; %bb.468:
	s_clause 0x1
	scratch_load_b128 v[2:5], off, s15
	scratch_load_b128 v[6:9], off, s15 offset:16
	v_add_nc_u32_e32 v1, 2, v0
	s_wait_loadcnt 0x1
	scratch_store_b128 off, v[2:5], s43
	s_wait_loadcnt 0x0
	scratch_store_b128 off, v[6:9], s43 offset:16
	v_cmp_gt_u32_e32 vcc_lo, s29, v1
	s_wait_xcnt 0x0
	s_and_b32 exec_lo, exec_lo, vcc_lo
	s_cbranch_execz .LBB2148_470
; %bb.469:
	s_clause 0x1
	scratch_load_b128 v[2:5], off, s42
	scratch_load_b128 v[6:9], off, s42 offset:16
	s_wait_loadcnt 0x1
	scratch_store_b128 off, v[2:5], s33
	s_wait_loadcnt 0x0
	scratch_store_b128 off, v[6:9], s33 offset:16
.LBB2148_470:
	s_wait_xcnt 0x0
	s_or_b32 exec_lo, exec_lo, s2
	s_wait_loadcnt 0x0
	s_wait_storecnt 0x0
	s_barrier_signal -1
	s_barrier_wait -1
	s_clause 0x1
	scratch_load_b128 v[4:7], off, off offset:144
	scratch_load_b128 v[8:11], off, off offset:160
	s_clause 0x3
	scratch_load_b128 v[12:15], off, s43
	scratch_load_b128 v[20:23], off, s43 offset:16
	scratch_load_b128 v[24:27], off, s33
	scratch_load_b128 v[28:31], off, s33 offset:16
	v_dual_lshlrev_b32 v0, 5, v0 :: v_dual_lshlrev_b32 v1, 6, v18
	s_mov_b32 s2, exec_lo
	s_wait_loadcnt 0x5
	ds_store_b128 v0, v[4:7]
	s_wait_loadcnt 0x4
	ds_store_b128 v0, v[8:11] offset:16
	s_wait_loadcnt 0x3
	ds_store_b128 v0, v[12:15] offset:32
	;; [unrolled: 2-line block ×5, first 2 shown]
	v_dual_mov_b32 v1, 0 :: v_dual_sub_nc_u32 v2, v0, v1
	s_wait_dscnt 0x0
	s_barrier_signal -1
	s_barrier_wait -1
	ds_load_b128 v[4:7], v2 offset:8192
	ds_load_b128 v[8:11], v2 offset:8208
	;; [unrolled: 1-line block ×4, first 2 shown]
	v_lshlrev_b32_e32 v0, 5, v18
	s_wait_dscnt 0x3
	scratch_store_b128 off, v[4:7], s43
	s_wait_dscnt 0x2
	scratch_store_b128 off, v[8:11], s43 offset:16
	s_wait_dscnt 0x1
	scratch_store_b128 off, v[12:15], s33
	s_wait_dscnt 0x0
	scratch_store_b128 off, v[20:23], s33 offset:16
	v_add_nc_u64_e32 v[0:1], s[0:1], v[0:1]
	s_wait_xcnt 0x0
	v_cmpx_gt_u32_e64 s29, v18
	s_cbranch_execz .LBB2148_472
; %bb.471:
	ds_load_2addr_b32 v[4:5], v2 offset0:2 offset1:3
	ds_load_2addr_b32 v[6:7], v2 offset0:4 offset1:5
	;; [unrolled: 1-line block ×3, first 2 shown]
	ds_load_2addr_b32 v[2:3], v2 offset1:1
	s_wait_dscnt 0x0
	s_clause 0x1
	flat_store_b128 v[0:1], v[2:5]
	flat_store_b128 v[0:1], v[6:9] offset:16
.LBB2148_472:
	s_wait_xcnt 0x0
	s_or_b32 exec_lo, exec_lo, s2
	v_add_nc_u32_e32 v2, 0x100, v18
	s_mov_b32 s2, exec_lo
	s_delay_alu instid0(VALU_DEP_1)
	v_cmpx_gt_u32_e64 s29, v2
	s_cbranch_execz .LBB2148_474
; %bb.473:
	scratch_load_b128 v[2:5], off, s43
	s_wait_loadcnt 0x0
	flat_store_b128 v[0:1], v[2:5] offset:8192
	scratch_load_b128 v[2:5], off, s43 offset:16
	s_wait_loadcnt 0x0
	flat_store_b128 v[0:1], v[2:5] offset:8208
.LBB2148_474:
	s_wait_xcnt 0x0
	s_or_b32 exec_lo, exec_lo, s2
	v_add_nc_u32_e32 v0, 0x200, v18
	s_delay_alu instid0(VALU_DEP_1)
	v_cmp_gt_u32_e64 s2, s29, v0
	s_branch .LBB2148_477
.LBB2148_475:
	s_mov_b32 s2, 0
	s_cbranch_execz .LBB2148_477
; %bb.476:
	s_clause 0x1
	scratch_load_b128 v[0:3], off, off offset:288
	scratch_load_b128 v[4:7], off, off offset:304
	s_clause 0x3
	scratch_load_b128 v[8:11], off, s15
	scratch_load_b128 v[12:15], off, s15 offset:16
	scratch_load_b128 v[20:23], off, s42
	scratch_load_b128 v[24:27], off, s42 offset:16
	v_mul_u32_u24_e32 v16, 0x60, v18
	v_lshlrev_b32_e32 v17, 6, v18
	s_or_b32 s2, s2, exec_lo
	s_wait_loadcnt 0x5
	scratch_store_b128 off, v[0:3], off offset:144
	s_wait_loadcnt 0x4
	scratch_store_b128 off, v[4:7], off offset:160
	s_wait_loadcnt 0x3
	scratch_store_b128 off, v[8:11], s43
	s_wait_loadcnt 0x2
	scratch_store_b128 off, v[12:15], s43 offset:16
	s_wait_loadcnt 0x1
	scratch_store_b128 off, v[20:23], s33
	s_wait_loadcnt 0x0
	scratch_store_b128 off, v[24:27], s33 offset:16
	s_wait_storecnt_dscnt 0x0
	s_barrier_signal -1
	s_barrier_wait -1
	s_clause 0x1
	scratch_load_b128 v[0:3], off, off offset:144
	scratch_load_b128 v[4:7], off, off offset:160
	s_clause 0x3
	scratch_load_b128 v[8:11], off, s43
	scratch_load_b128 v[12:15], off, s43 offset:16
	scratch_load_b128 v[20:23], off, s33
	scratch_load_b128 v[24:27], off, s33 offset:16
	v_sub_nc_u32_e32 v17, v16, v17
	s_wait_loadcnt 0x5
	ds_store_b128 v16, v[0:3]
	s_wait_loadcnt 0x4
	ds_store_b128 v16, v[4:7] offset:16
	s_wait_loadcnt 0x3
	ds_store_b128 v16, v[8:11] offset:32
	;; [unrolled: 2-line block ×5, first 2 shown]
	s_wait_dscnt 0x0
	s_barrier_signal -1
	s_barrier_wait -1
	ds_load_b128 v[0:3], v17 offset:8192
	ds_load_b128 v[4:7], v17 offset:8208
	;; [unrolled: 1-line block ×4, first 2 shown]
	ds_load_2addr_b32 v[22:23], v17 offset0:6 offset1:7
	ds_load_2addr_b32 v[20:21], v17 offset0:4 offset1:5
	ds_load_2addr_b32 v[24:25], v17 offset1:1
	ds_load_2addr_b32 v[26:27], v17 offset0:2 offset1:3
	v_lshlrev_b32_e32 v16, 5, v18
	s_wait_dscnt 0x7
	scratch_store_b128 off, v[0:3], s43
	s_wait_dscnt 0x6
	scratch_store_b128 off, v[4:7], s43 offset:16
	s_wait_dscnt 0x5
	scratch_store_b128 off, v[8:11], s33
	s_wait_dscnt 0x4
	scratch_store_b128 off, v[12:15], s33 offset:16
	s_wait_dscnt 0x2
	flat_store_b128 v16, v[20:23], s[0:1] offset:16
	s_wait_dscnt 0x1
	s_clause 0x2
	flat_store_b128 v16, v[24:27], s[0:1]
	flat_store_b128 v16, v[0:3], s[0:1] offset:8192
	flat_store_b128 v16, v[4:7], s[0:1] offset:8208
.LBB2148_477:
	s_wait_xcnt 0x0
	s_delay_alu instid0(VALU_DEP_1)
	s_and_saveexec_b32 s3, s2
	s_cbranch_execnz .LBB2148_479
; %bb.478:
	s_endpgm
.LBB2148_479:
	scratch_load_b128 v[0:3], off, s33
	v_lshlrev_b32_e32 v4, 5, v18
	s_wait_loadcnt 0x0
	flat_store_b128 v4, v[0:3], s[0:1] offset:16384
	scratch_load_b128 v[0:3], off, s33 offset:16
	s_wait_loadcnt 0x0
	flat_store_b128 v4, v[0:3], s[0:1] offset:16400
	s_endpgm
	.section	.rodata,"a",@progbits
	.p2align	6, 0x0
	.amdhsa_kernel _ZN7rocprim17ROCPRIM_400000_NS6detail17trampoline_kernelINS0_14default_configENS1_27scan_by_key_config_selectorIj11FixedVectorIiLj8EEEEZZNS1_16scan_by_key_implILNS1_25lookback_scan_determinismE0ELb0ES3_N6thrust23THRUST_200600_302600_NS6detail15normal_iteratorINSB_10device_ptrIjEEEENSD_INSE_IS6_EEEESI_S6_NSB_4plusIvEENSB_8equal_toIvEES6_EE10hipError_tPvRmT2_T3_T4_T5_mT6_T7_P12ihipStream_tbENKUlT_T0_E_clISt17integral_constantIbLb0EES12_IbLb1EEEEDaSY_SZ_EUlSY_E_NS1_11comp_targetILNS1_3genE0ELNS1_11target_archE4294967295ELNS1_3gpuE0ELNS1_3repE0EEENS1_30default_config_static_selectorELNS0_4arch9wavefront6targetE0EEEvT1_
		.amdhsa_group_segment_fixed_size 33792
		.amdhsa_private_segment_fixed_size 400
		.amdhsa_kernarg_size 160
		.amdhsa_user_sgpr_count 4
		.amdhsa_user_sgpr_dispatch_ptr 1
		.amdhsa_user_sgpr_queue_ptr 0
		.amdhsa_user_sgpr_kernarg_segment_ptr 1
		.amdhsa_user_sgpr_dispatch_id 0
		.amdhsa_user_sgpr_kernarg_preload_length 0
		.amdhsa_user_sgpr_kernarg_preload_offset 0
		.amdhsa_user_sgpr_private_segment_size 0
		.amdhsa_wavefront_size32 1
		.amdhsa_uses_dynamic_stack 0
		.amdhsa_enable_private_segment 1
		.amdhsa_system_sgpr_workgroup_id_x 1
		.amdhsa_system_sgpr_workgroup_id_y 0
		.amdhsa_system_sgpr_workgroup_id_z 0
		.amdhsa_system_sgpr_workgroup_info 0
		.amdhsa_system_vgpr_workitem_id 2
		.amdhsa_next_free_vgpr 47
		.amdhsa_next_free_sgpr 48
		.amdhsa_named_barrier_count 0
		.amdhsa_reserve_vcc 1
		.amdhsa_float_round_mode_32 0
		.amdhsa_float_round_mode_16_64 0
		.amdhsa_float_denorm_mode_32 3
		.amdhsa_float_denorm_mode_16_64 3
		.amdhsa_fp16_overflow 0
		.amdhsa_memory_ordered 1
		.amdhsa_forward_progress 1
		.amdhsa_inst_pref_size 202
		.amdhsa_round_robin_scheduling 0
		.amdhsa_exception_fp_ieee_invalid_op 0
		.amdhsa_exception_fp_denorm_src 0
		.amdhsa_exception_fp_ieee_div_zero 0
		.amdhsa_exception_fp_ieee_overflow 0
		.amdhsa_exception_fp_ieee_underflow 0
		.amdhsa_exception_fp_ieee_inexact 0
		.amdhsa_exception_int_div_zero 0
	.end_amdhsa_kernel
	.section	.text._ZN7rocprim17ROCPRIM_400000_NS6detail17trampoline_kernelINS0_14default_configENS1_27scan_by_key_config_selectorIj11FixedVectorIiLj8EEEEZZNS1_16scan_by_key_implILNS1_25lookback_scan_determinismE0ELb0ES3_N6thrust23THRUST_200600_302600_NS6detail15normal_iteratorINSB_10device_ptrIjEEEENSD_INSE_IS6_EEEESI_S6_NSB_4plusIvEENSB_8equal_toIvEES6_EE10hipError_tPvRmT2_T3_T4_T5_mT6_T7_P12ihipStream_tbENKUlT_T0_E_clISt17integral_constantIbLb0EES12_IbLb1EEEEDaSY_SZ_EUlSY_E_NS1_11comp_targetILNS1_3genE0ELNS1_11target_archE4294967295ELNS1_3gpuE0ELNS1_3repE0EEENS1_30default_config_static_selectorELNS0_4arch9wavefront6targetE0EEEvT1_,"axG",@progbits,_ZN7rocprim17ROCPRIM_400000_NS6detail17trampoline_kernelINS0_14default_configENS1_27scan_by_key_config_selectorIj11FixedVectorIiLj8EEEEZZNS1_16scan_by_key_implILNS1_25lookback_scan_determinismE0ELb0ES3_N6thrust23THRUST_200600_302600_NS6detail15normal_iteratorINSB_10device_ptrIjEEEENSD_INSE_IS6_EEEESI_S6_NSB_4plusIvEENSB_8equal_toIvEES6_EE10hipError_tPvRmT2_T3_T4_T5_mT6_T7_P12ihipStream_tbENKUlT_T0_E_clISt17integral_constantIbLb0EES12_IbLb1EEEEDaSY_SZ_EUlSY_E_NS1_11comp_targetILNS1_3genE0ELNS1_11target_archE4294967295ELNS1_3gpuE0ELNS1_3repE0EEENS1_30default_config_static_selectorELNS0_4arch9wavefront6targetE0EEEvT1_,comdat
.Lfunc_end2148:
	.size	_ZN7rocprim17ROCPRIM_400000_NS6detail17trampoline_kernelINS0_14default_configENS1_27scan_by_key_config_selectorIj11FixedVectorIiLj8EEEEZZNS1_16scan_by_key_implILNS1_25lookback_scan_determinismE0ELb0ES3_N6thrust23THRUST_200600_302600_NS6detail15normal_iteratorINSB_10device_ptrIjEEEENSD_INSE_IS6_EEEESI_S6_NSB_4plusIvEENSB_8equal_toIvEES6_EE10hipError_tPvRmT2_T3_T4_T5_mT6_T7_P12ihipStream_tbENKUlT_T0_E_clISt17integral_constantIbLb0EES12_IbLb1EEEEDaSY_SZ_EUlSY_E_NS1_11comp_targetILNS1_3genE0ELNS1_11target_archE4294967295ELNS1_3gpuE0ELNS1_3repE0EEENS1_30default_config_static_selectorELNS0_4arch9wavefront6targetE0EEEvT1_, .Lfunc_end2148-_ZN7rocprim17ROCPRIM_400000_NS6detail17trampoline_kernelINS0_14default_configENS1_27scan_by_key_config_selectorIj11FixedVectorIiLj8EEEEZZNS1_16scan_by_key_implILNS1_25lookback_scan_determinismE0ELb0ES3_N6thrust23THRUST_200600_302600_NS6detail15normal_iteratorINSB_10device_ptrIjEEEENSD_INSE_IS6_EEEESI_S6_NSB_4plusIvEENSB_8equal_toIvEES6_EE10hipError_tPvRmT2_T3_T4_T5_mT6_T7_P12ihipStream_tbENKUlT_T0_E_clISt17integral_constantIbLb0EES12_IbLb1EEEEDaSY_SZ_EUlSY_E_NS1_11comp_targetILNS1_3genE0ELNS1_11target_archE4294967295ELNS1_3gpuE0ELNS1_3repE0EEENS1_30default_config_static_selectorELNS0_4arch9wavefront6targetE0EEEvT1_
                                        ; -- End function
	.set _ZN7rocprim17ROCPRIM_400000_NS6detail17trampoline_kernelINS0_14default_configENS1_27scan_by_key_config_selectorIj11FixedVectorIiLj8EEEEZZNS1_16scan_by_key_implILNS1_25lookback_scan_determinismE0ELb0ES3_N6thrust23THRUST_200600_302600_NS6detail15normal_iteratorINSB_10device_ptrIjEEEENSD_INSE_IS6_EEEESI_S6_NSB_4plusIvEENSB_8equal_toIvEES6_EE10hipError_tPvRmT2_T3_T4_T5_mT6_T7_P12ihipStream_tbENKUlT_T0_E_clISt17integral_constantIbLb0EES12_IbLb1EEEEDaSY_SZ_EUlSY_E_NS1_11comp_targetILNS1_3genE0ELNS1_11target_archE4294967295ELNS1_3gpuE0ELNS1_3repE0EEENS1_30default_config_static_selectorELNS0_4arch9wavefront6targetE0EEEvT1_.num_vgpr, 47
	.set _ZN7rocprim17ROCPRIM_400000_NS6detail17trampoline_kernelINS0_14default_configENS1_27scan_by_key_config_selectorIj11FixedVectorIiLj8EEEEZZNS1_16scan_by_key_implILNS1_25lookback_scan_determinismE0ELb0ES3_N6thrust23THRUST_200600_302600_NS6detail15normal_iteratorINSB_10device_ptrIjEEEENSD_INSE_IS6_EEEESI_S6_NSB_4plusIvEENSB_8equal_toIvEES6_EE10hipError_tPvRmT2_T3_T4_T5_mT6_T7_P12ihipStream_tbENKUlT_T0_E_clISt17integral_constantIbLb0EES12_IbLb1EEEEDaSY_SZ_EUlSY_E_NS1_11comp_targetILNS1_3genE0ELNS1_11target_archE4294967295ELNS1_3gpuE0ELNS1_3repE0EEENS1_30default_config_static_selectorELNS0_4arch9wavefront6targetE0EEEvT1_.num_agpr, 0
	.set _ZN7rocprim17ROCPRIM_400000_NS6detail17trampoline_kernelINS0_14default_configENS1_27scan_by_key_config_selectorIj11FixedVectorIiLj8EEEEZZNS1_16scan_by_key_implILNS1_25lookback_scan_determinismE0ELb0ES3_N6thrust23THRUST_200600_302600_NS6detail15normal_iteratorINSB_10device_ptrIjEEEENSD_INSE_IS6_EEEESI_S6_NSB_4plusIvEENSB_8equal_toIvEES6_EE10hipError_tPvRmT2_T3_T4_T5_mT6_T7_P12ihipStream_tbENKUlT_T0_E_clISt17integral_constantIbLb0EES12_IbLb1EEEEDaSY_SZ_EUlSY_E_NS1_11comp_targetILNS1_3genE0ELNS1_11target_archE4294967295ELNS1_3gpuE0ELNS1_3repE0EEENS1_30default_config_static_selectorELNS0_4arch9wavefront6targetE0EEEvT1_.numbered_sgpr, 48
	.set _ZN7rocprim17ROCPRIM_400000_NS6detail17trampoline_kernelINS0_14default_configENS1_27scan_by_key_config_selectorIj11FixedVectorIiLj8EEEEZZNS1_16scan_by_key_implILNS1_25lookback_scan_determinismE0ELb0ES3_N6thrust23THRUST_200600_302600_NS6detail15normal_iteratorINSB_10device_ptrIjEEEENSD_INSE_IS6_EEEESI_S6_NSB_4plusIvEENSB_8equal_toIvEES6_EE10hipError_tPvRmT2_T3_T4_T5_mT6_T7_P12ihipStream_tbENKUlT_T0_E_clISt17integral_constantIbLb0EES12_IbLb1EEEEDaSY_SZ_EUlSY_E_NS1_11comp_targetILNS1_3genE0ELNS1_11target_archE4294967295ELNS1_3gpuE0ELNS1_3repE0EEENS1_30default_config_static_selectorELNS0_4arch9wavefront6targetE0EEEvT1_.num_named_barrier, 0
	.set _ZN7rocprim17ROCPRIM_400000_NS6detail17trampoline_kernelINS0_14default_configENS1_27scan_by_key_config_selectorIj11FixedVectorIiLj8EEEEZZNS1_16scan_by_key_implILNS1_25lookback_scan_determinismE0ELb0ES3_N6thrust23THRUST_200600_302600_NS6detail15normal_iteratorINSB_10device_ptrIjEEEENSD_INSE_IS6_EEEESI_S6_NSB_4plusIvEENSB_8equal_toIvEES6_EE10hipError_tPvRmT2_T3_T4_T5_mT6_T7_P12ihipStream_tbENKUlT_T0_E_clISt17integral_constantIbLb0EES12_IbLb1EEEEDaSY_SZ_EUlSY_E_NS1_11comp_targetILNS1_3genE0ELNS1_11target_archE4294967295ELNS1_3gpuE0ELNS1_3repE0EEENS1_30default_config_static_selectorELNS0_4arch9wavefront6targetE0EEEvT1_.private_seg_size, 400
	.set _ZN7rocprim17ROCPRIM_400000_NS6detail17trampoline_kernelINS0_14default_configENS1_27scan_by_key_config_selectorIj11FixedVectorIiLj8EEEEZZNS1_16scan_by_key_implILNS1_25lookback_scan_determinismE0ELb0ES3_N6thrust23THRUST_200600_302600_NS6detail15normal_iteratorINSB_10device_ptrIjEEEENSD_INSE_IS6_EEEESI_S6_NSB_4plusIvEENSB_8equal_toIvEES6_EE10hipError_tPvRmT2_T3_T4_T5_mT6_T7_P12ihipStream_tbENKUlT_T0_E_clISt17integral_constantIbLb0EES12_IbLb1EEEEDaSY_SZ_EUlSY_E_NS1_11comp_targetILNS1_3genE0ELNS1_11target_archE4294967295ELNS1_3gpuE0ELNS1_3repE0EEENS1_30default_config_static_selectorELNS0_4arch9wavefront6targetE0EEEvT1_.uses_vcc, 1
	.set _ZN7rocprim17ROCPRIM_400000_NS6detail17trampoline_kernelINS0_14default_configENS1_27scan_by_key_config_selectorIj11FixedVectorIiLj8EEEEZZNS1_16scan_by_key_implILNS1_25lookback_scan_determinismE0ELb0ES3_N6thrust23THRUST_200600_302600_NS6detail15normal_iteratorINSB_10device_ptrIjEEEENSD_INSE_IS6_EEEESI_S6_NSB_4plusIvEENSB_8equal_toIvEES6_EE10hipError_tPvRmT2_T3_T4_T5_mT6_T7_P12ihipStream_tbENKUlT_T0_E_clISt17integral_constantIbLb0EES12_IbLb1EEEEDaSY_SZ_EUlSY_E_NS1_11comp_targetILNS1_3genE0ELNS1_11target_archE4294967295ELNS1_3gpuE0ELNS1_3repE0EEENS1_30default_config_static_selectorELNS0_4arch9wavefront6targetE0EEEvT1_.uses_flat_scratch, 1
	.set _ZN7rocprim17ROCPRIM_400000_NS6detail17trampoline_kernelINS0_14default_configENS1_27scan_by_key_config_selectorIj11FixedVectorIiLj8EEEEZZNS1_16scan_by_key_implILNS1_25lookback_scan_determinismE0ELb0ES3_N6thrust23THRUST_200600_302600_NS6detail15normal_iteratorINSB_10device_ptrIjEEEENSD_INSE_IS6_EEEESI_S6_NSB_4plusIvEENSB_8equal_toIvEES6_EE10hipError_tPvRmT2_T3_T4_T5_mT6_T7_P12ihipStream_tbENKUlT_T0_E_clISt17integral_constantIbLb0EES12_IbLb1EEEEDaSY_SZ_EUlSY_E_NS1_11comp_targetILNS1_3genE0ELNS1_11target_archE4294967295ELNS1_3gpuE0ELNS1_3repE0EEENS1_30default_config_static_selectorELNS0_4arch9wavefront6targetE0EEEvT1_.has_dyn_sized_stack, 0
	.set _ZN7rocprim17ROCPRIM_400000_NS6detail17trampoline_kernelINS0_14default_configENS1_27scan_by_key_config_selectorIj11FixedVectorIiLj8EEEEZZNS1_16scan_by_key_implILNS1_25lookback_scan_determinismE0ELb0ES3_N6thrust23THRUST_200600_302600_NS6detail15normal_iteratorINSB_10device_ptrIjEEEENSD_INSE_IS6_EEEESI_S6_NSB_4plusIvEENSB_8equal_toIvEES6_EE10hipError_tPvRmT2_T3_T4_T5_mT6_T7_P12ihipStream_tbENKUlT_T0_E_clISt17integral_constantIbLb0EES12_IbLb1EEEEDaSY_SZ_EUlSY_E_NS1_11comp_targetILNS1_3genE0ELNS1_11target_archE4294967295ELNS1_3gpuE0ELNS1_3repE0EEENS1_30default_config_static_selectorELNS0_4arch9wavefront6targetE0EEEvT1_.has_recursion, 0
	.set _ZN7rocprim17ROCPRIM_400000_NS6detail17trampoline_kernelINS0_14default_configENS1_27scan_by_key_config_selectorIj11FixedVectorIiLj8EEEEZZNS1_16scan_by_key_implILNS1_25lookback_scan_determinismE0ELb0ES3_N6thrust23THRUST_200600_302600_NS6detail15normal_iteratorINSB_10device_ptrIjEEEENSD_INSE_IS6_EEEESI_S6_NSB_4plusIvEENSB_8equal_toIvEES6_EE10hipError_tPvRmT2_T3_T4_T5_mT6_T7_P12ihipStream_tbENKUlT_T0_E_clISt17integral_constantIbLb0EES12_IbLb1EEEEDaSY_SZ_EUlSY_E_NS1_11comp_targetILNS1_3genE0ELNS1_11target_archE4294967295ELNS1_3gpuE0ELNS1_3repE0EEENS1_30default_config_static_selectorELNS0_4arch9wavefront6targetE0EEEvT1_.has_indirect_call, 0
	.section	.AMDGPU.csdata,"",@progbits
; Kernel info:
; codeLenInByte = 25772
; TotalNumSgprs: 50
; NumVgprs: 47
; ScratchSize: 400
; MemoryBound: 0
; FloatMode: 240
; IeeeMode: 1
; LDSByteSize: 33792 bytes/workgroup (compile time only)
; SGPRBlocks: 0
; VGPRBlocks: 2
; NumSGPRsForWavesPerEU: 50
; NumVGPRsForWavesPerEU: 47
; NamedBarCnt: 0
; Occupancy: 16
; WaveLimiterHint : 1
; COMPUTE_PGM_RSRC2:SCRATCH_EN: 1
; COMPUTE_PGM_RSRC2:USER_SGPR: 4
; COMPUTE_PGM_RSRC2:TRAP_HANDLER: 0
; COMPUTE_PGM_RSRC2:TGID_X_EN: 1
; COMPUTE_PGM_RSRC2:TGID_Y_EN: 0
; COMPUTE_PGM_RSRC2:TGID_Z_EN: 0
; COMPUTE_PGM_RSRC2:TIDIG_COMP_CNT: 2
	.section	.text._ZN7rocprim17ROCPRIM_400000_NS6detail17trampoline_kernelINS0_14default_configENS1_27scan_by_key_config_selectorIj11FixedVectorIiLj8EEEEZZNS1_16scan_by_key_implILNS1_25lookback_scan_determinismE0ELb0ES3_N6thrust23THRUST_200600_302600_NS6detail15normal_iteratorINSB_10device_ptrIjEEEENSD_INSE_IS6_EEEESI_S6_NSB_4plusIvEENSB_8equal_toIvEES6_EE10hipError_tPvRmT2_T3_T4_T5_mT6_T7_P12ihipStream_tbENKUlT_T0_E_clISt17integral_constantIbLb0EES12_IbLb1EEEEDaSY_SZ_EUlSY_E_NS1_11comp_targetILNS1_3genE10ELNS1_11target_archE1201ELNS1_3gpuE5ELNS1_3repE0EEENS1_30default_config_static_selectorELNS0_4arch9wavefront6targetE0EEEvT1_,"axG",@progbits,_ZN7rocprim17ROCPRIM_400000_NS6detail17trampoline_kernelINS0_14default_configENS1_27scan_by_key_config_selectorIj11FixedVectorIiLj8EEEEZZNS1_16scan_by_key_implILNS1_25lookback_scan_determinismE0ELb0ES3_N6thrust23THRUST_200600_302600_NS6detail15normal_iteratorINSB_10device_ptrIjEEEENSD_INSE_IS6_EEEESI_S6_NSB_4plusIvEENSB_8equal_toIvEES6_EE10hipError_tPvRmT2_T3_T4_T5_mT6_T7_P12ihipStream_tbENKUlT_T0_E_clISt17integral_constantIbLb0EES12_IbLb1EEEEDaSY_SZ_EUlSY_E_NS1_11comp_targetILNS1_3genE10ELNS1_11target_archE1201ELNS1_3gpuE5ELNS1_3repE0EEENS1_30default_config_static_selectorELNS0_4arch9wavefront6targetE0EEEvT1_,comdat
	.protected	_ZN7rocprim17ROCPRIM_400000_NS6detail17trampoline_kernelINS0_14default_configENS1_27scan_by_key_config_selectorIj11FixedVectorIiLj8EEEEZZNS1_16scan_by_key_implILNS1_25lookback_scan_determinismE0ELb0ES3_N6thrust23THRUST_200600_302600_NS6detail15normal_iteratorINSB_10device_ptrIjEEEENSD_INSE_IS6_EEEESI_S6_NSB_4plusIvEENSB_8equal_toIvEES6_EE10hipError_tPvRmT2_T3_T4_T5_mT6_T7_P12ihipStream_tbENKUlT_T0_E_clISt17integral_constantIbLb0EES12_IbLb1EEEEDaSY_SZ_EUlSY_E_NS1_11comp_targetILNS1_3genE10ELNS1_11target_archE1201ELNS1_3gpuE5ELNS1_3repE0EEENS1_30default_config_static_selectorELNS0_4arch9wavefront6targetE0EEEvT1_ ; -- Begin function _ZN7rocprim17ROCPRIM_400000_NS6detail17trampoline_kernelINS0_14default_configENS1_27scan_by_key_config_selectorIj11FixedVectorIiLj8EEEEZZNS1_16scan_by_key_implILNS1_25lookback_scan_determinismE0ELb0ES3_N6thrust23THRUST_200600_302600_NS6detail15normal_iteratorINSB_10device_ptrIjEEEENSD_INSE_IS6_EEEESI_S6_NSB_4plusIvEENSB_8equal_toIvEES6_EE10hipError_tPvRmT2_T3_T4_T5_mT6_T7_P12ihipStream_tbENKUlT_T0_E_clISt17integral_constantIbLb0EES12_IbLb1EEEEDaSY_SZ_EUlSY_E_NS1_11comp_targetILNS1_3genE10ELNS1_11target_archE1201ELNS1_3gpuE5ELNS1_3repE0EEENS1_30default_config_static_selectorELNS0_4arch9wavefront6targetE0EEEvT1_
	.globl	_ZN7rocprim17ROCPRIM_400000_NS6detail17trampoline_kernelINS0_14default_configENS1_27scan_by_key_config_selectorIj11FixedVectorIiLj8EEEEZZNS1_16scan_by_key_implILNS1_25lookback_scan_determinismE0ELb0ES3_N6thrust23THRUST_200600_302600_NS6detail15normal_iteratorINSB_10device_ptrIjEEEENSD_INSE_IS6_EEEESI_S6_NSB_4plusIvEENSB_8equal_toIvEES6_EE10hipError_tPvRmT2_T3_T4_T5_mT6_T7_P12ihipStream_tbENKUlT_T0_E_clISt17integral_constantIbLb0EES12_IbLb1EEEEDaSY_SZ_EUlSY_E_NS1_11comp_targetILNS1_3genE10ELNS1_11target_archE1201ELNS1_3gpuE5ELNS1_3repE0EEENS1_30default_config_static_selectorELNS0_4arch9wavefront6targetE0EEEvT1_
	.p2align	8
	.type	_ZN7rocprim17ROCPRIM_400000_NS6detail17trampoline_kernelINS0_14default_configENS1_27scan_by_key_config_selectorIj11FixedVectorIiLj8EEEEZZNS1_16scan_by_key_implILNS1_25lookback_scan_determinismE0ELb0ES3_N6thrust23THRUST_200600_302600_NS6detail15normal_iteratorINSB_10device_ptrIjEEEENSD_INSE_IS6_EEEESI_S6_NSB_4plusIvEENSB_8equal_toIvEES6_EE10hipError_tPvRmT2_T3_T4_T5_mT6_T7_P12ihipStream_tbENKUlT_T0_E_clISt17integral_constantIbLb0EES12_IbLb1EEEEDaSY_SZ_EUlSY_E_NS1_11comp_targetILNS1_3genE10ELNS1_11target_archE1201ELNS1_3gpuE5ELNS1_3repE0EEENS1_30default_config_static_selectorELNS0_4arch9wavefront6targetE0EEEvT1_,@function
_ZN7rocprim17ROCPRIM_400000_NS6detail17trampoline_kernelINS0_14default_configENS1_27scan_by_key_config_selectorIj11FixedVectorIiLj8EEEEZZNS1_16scan_by_key_implILNS1_25lookback_scan_determinismE0ELb0ES3_N6thrust23THRUST_200600_302600_NS6detail15normal_iteratorINSB_10device_ptrIjEEEENSD_INSE_IS6_EEEESI_S6_NSB_4plusIvEENSB_8equal_toIvEES6_EE10hipError_tPvRmT2_T3_T4_T5_mT6_T7_P12ihipStream_tbENKUlT_T0_E_clISt17integral_constantIbLb0EES12_IbLb1EEEEDaSY_SZ_EUlSY_E_NS1_11comp_targetILNS1_3genE10ELNS1_11target_archE1201ELNS1_3gpuE5ELNS1_3repE0EEENS1_30default_config_static_selectorELNS0_4arch9wavefront6targetE0EEEvT1_: ; @_ZN7rocprim17ROCPRIM_400000_NS6detail17trampoline_kernelINS0_14default_configENS1_27scan_by_key_config_selectorIj11FixedVectorIiLj8EEEEZZNS1_16scan_by_key_implILNS1_25lookback_scan_determinismE0ELb0ES3_N6thrust23THRUST_200600_302600_NS6detail15normal_iteratorINSB_10device_ptrIjEEEENSD_INSE_IS6_EEEESI_S6_NSB_4plusIvEENSB_8equal_toIvEES6_EE10hipError_tPvRmT2_T3_T4_T5_mT6_T7_P12ihipStream_tbENKUlT_T0_E_clISt17integral_constantIbLb0EES12_IbLb1EEEEDaSY_SZ_EUlSY_E_NS1_11comp_targetILNS1_3genE10ELNS1_11target_archE1201ELNS1_3gpuE5ELNS1_3repE0EEENS1_30default_config_static_selectorELNS0_4arch9wavefront6targetE0EEEvT1_
; %bb.0:
	.section	.rodata,"a",@progbits
	.p2align	6, 0x0
	.amdhsa_kernel _ZN7rocprim17ROCPRIM_400000_NS6detail17trampoline_kernelINS0_14default_configENS1_27scan_by_key_config_selectorIj11FixedVectorIiLj8EEEEZZNS1_16scan_by_key_implILNS1_25lookback_scan_determinismE0ELb0ES3_N6thrust23THRUST_200600_302600_NS6detail15normal_iteratorINSB_10device_ptrIjEEEENSD_INSE_IS6_EEEESI_S6_NSB_4plusIvEENSB_8equal_toIvEES6_EE10hipError_tPvRmT2_T3_T4_T5_mT6_T7_P12ihipStream_tbENKUlT_T0_E_clISt17integral_constantIbLb0EES12_IbLb1EEEEDaSY_SZ_EUlSY_E_NS1_11comp_targetILNS1_3genE10ELNS1_11target_archE1201ELNS1_3gpuE5ELNS1_3repE0EEENS1_30default_config_static_selectorELNS0_4arch9wavefront6targetE0EEEvT1_
		.amdhsa_group_segment_fixed_size 0
		.amdhsa_private_segment_fixed_size 0
		.amdhsa_kernarg_size 160
		.amdhsa_user_sgpr_count 2
		.amdhsa_user_sgpr_dispatch_ptr 0
		.amdhsa_user_sgpr_queue_ptr 0
		.amdhsa_user_sgpr_kernarg_segment_ptr 1
		.amdhsa_user_sgpr_dispatch_id 0
		.amdhsa_user_sgpr_kernarg_preload_length 0
		.amdhsa_user_sgpr_kernarg_preload_offset 0
		.amdhsa_user_sgpr_private_segment_size 0
		.amdhsa_wavefront_size32 1
		.amdhsa_uses_dynamic_stack 0
		.amdhsa_enable_private_segment 0
		.amdhsa_system_sgpr_workgroup_id_x 1
		.amdhsa_system_sgpr_workgroup_id_y 0
		.amdhsa_system_sgpr_workgroup_id_z 0
		.amdhsa_system_sgpr_workgroup_info 0
		.amdhsa_system_vgpr_workitem_id 0
		.amdhsa_next_free_vgpr 1
		.amdhsa_next_free_sgpr 1
		.amdhsa_named_barrier_count 0
		.amdhsa_reserve_vcc 0
		.amdhsa_float_round_mode_32 0
		.amdhsa_float_round_mode_16_64 0
		.amdhsa_float_denorm_mode_32 3
		.amdhsa_float_denorm_mode_16_64 3
		.amdhsa_fp16_overflow 0
		.amdhsa_memory_ordered 1
		.amdhsa_forward_progress 1
		.amdhsa_inst_pref_size 0
		.amdhsa_round_robin_scheduling 0
		.amdhsa_exception_fp_ieee_invalid_op 0
		.amdhsa_exception_fp_denorm_src 0
		.amdhsa_exception_fp_ieee_div_zero 0
		.amdhsa_exception_fp_ieee_overflow 0
		.amdhsa_exception_fp_ieee_underflow 0
		.amdhsa_exception_fp_ieee_inexact 0
		.amdhsa_exception_int_div_zero 0
	.end_amdhsa_kernel
	.section	.text._ZN7rocprim17ROCPRIM_400000_NS6detail17trampoline_kernelINS0_14default_configENS1_27scan_by_key_config_selectorIj11FixedVectorIiLj8EEEEZZNS1_16scan_by_key_implILNS1_25lookback_scan_determinismE0ELb0ES3_N6thrust23THRUST_200600_302600_NS6detail15normal_iteratorINSB_10device_ptrIjEEEENSD_INSE_IS6_EEEESI_S6_NSB_4plusIvEENSB_8equal_toIvEES6_EE10hipError_tPvRmT2_T3_T4_T5_mT6_T7_P12ihipStream_tbENKUlT_T0_E_clISt17integral_constantIbLb0EES12_IbLb1EEEEDaSY_SZ_EUlSY_E_NS1_11comp_targetILNS1_3genE10ELNS1_11target_archE1201ELNS1_3gpuE5ELNS1_3repE0EEENS1_30default_config_static_selectorELNS0_4arch9wavefront6targetE0EEEvT1_,"axG",@progbits,_ZN7rocprim17ROCPRIM_400000_NS6detail17trampoline_kernelINS0_14default_configENS1_27scan_by_key_config_selectorIj11FixedVectorIiLj8EEEEZZNS1_16scan_by_key_implILNS1_25lookback_scan_determinismE0ELb0ES3_N6thrust23THRUST_200600_302600_NS6detail15normal_iteratorINSB_10device_ptrIjEEEENSD_INSE_IS6_EEEESI_S6_NSB_4plusIvEENSB_8equal_toIvEES6_EE10hipError_tPvRmT2_T3_T4_T5_mT6_T7_P12ihipStream_tbENKUlT_T0_E_clISt17integral_constantIbLb0EES12_IbLb1EEEEDaSY_SZ_EUlSY_E_NS1_11comp_targetILNS1_3genE10ELNS1_11target_archE1201ELNS1_3gpuE5ELNS1_3repE0EEENS1_30default_config_static_selectorELNS0_4arch9wavefront6targetE0EEEvT1_,comdat
.Lfunc_end2149:
	.size	_ZN7rocprim17ROCPRIM_400000_NS6detail17trampoline_kernelINS0_14default_configENS1_27scan_by_key_config_selectorIj11FixedVectorIiLj8EEEEZZNS1_16scan_by_key_implILNS1_25lookback_scan_determinismE0ELb0ES3_N6thrust23THRUST_200600_302600_NS6detail15normal_iteratorINSB_10device_ptrIjEEEENSD_INSE_IS6_EEEESI_S6_NSB_4plusIvEENSB_8equal_toIvEES6_EE10hipError_tPvRmT2_T3_T4_T5_mT6_T7_P12ihipStream_tbENKUlT_T0_E_clISt17integral_constantIbLb0EES12_IbLb1EEEEDaSY_SZ_EUlSY_E_NS1_11comp_targetILNS1_3genE10ELNS1_11target_archE1201ELNS1_3gpuE5ELNS1_3repE0EEENS1_30default_config_static_selectorELNS0_4arch9wavefront6targetE0EEEvT1_, .Lfunc_end2149-_ZN7rocprim17ROCPRIM_400000_NS6detail17trampoline_kernelINS0_14default_configENS1_27scan_by_key_config_selectorIj11FixedVectorIiLj8EEEEZZNS1_16scan_by_key_implILNS1_25lookback_scan_determinismE0ELb0ES3_N6thrust23THRUST_200600_302600_NS6detail15normal_iteratorINSB_10device_ptrIjEEEENSD_INSE_IS6_EEEESI_S6_NSB_4plusIvEENSB_8equal_toIvEES6_EE10hipError_tPvRmT2_T3_T4_T5_mT6_T7_P12ihipStream_tbENKUlT_T0_E_clISt17integral_constantIbLb0EES12_IbLb1EEEEDaSY_SZ_EUlSY_E_NS1_11comp_targetILNS1_3genE10ELNS1_11target_archE1201ELNS1_3gpuE5ELNS1_3repE0EEENS1_30default_config_static_selectorELNS0_4arch9wavefront6targetE0EEEvT1_
                                        ; -- End function
	.set _ZN7rocprim17ROCPRIM_400000_NS6detail17trampoline_kernelINS0_14default_configENS1_27scan_by_key_config_selectorIj11FixedVectorIiLj8EEEEZZNS1_16scan_by_key_implILNS1_25lookback_scan_determinismE0ELb0ES3_N6thrust23THRUST_200600_302600_NS6detail15normal_iteratorINSB_10device_ptrIjEEEENSD_INSE_IS6_EEEESI_S6_NSB_4plusIvEENSB_8equal_toIvEES6_EE10hipError_tPvRmT2_T3_T4_T5_mT6_T7_P12ihipStream_tbENKUlT_T0_E_clISt17integral_constantIbLb0EES12_IbLb1EEEEDaSY_SZ_EUlSY_E_NS1_11comp_targetILNS1_3genE10ELNS1_11target_archE1201ELNS1_3gpuE5ELNS1_3repE0EEENS1_30default_config_static_selectorELNS0_4arch9wavefront6targetE0EEEvT1_.num_vgpr, 0
	.set _ZN7rocprim17ROCPRIM_400000_NS6detail17trampoline_kernelINS0_14default_configENS1_27scan_by_key_config_selectorIj11FixedVectorIiLj8EEEEZZNS1_16scan_by_key_implILNS1_25lookback_scan_determinismE0ELb0ES3_N6thrust23THRUST_200600_302600_NS6detail15normal_iteratorINSB_10device_ptrIjEEEENSD_INSE_IS6_EEEESI_S6_NSB_4plusIvEENSB_8equal_toIvEES6_EE10hipError_tPvRmT2_T3_T4_T5_mT6_T7_P12ihipStream_tbENKUlT_T0_E_clISt17integral_constantIbLb0EES12_IbLb1EEEEDaSY_SZ_EUlSY_E_NS1_11comp_targetILNS1_3genE10ELNS1_11target_archE1201ELNS1_3gpuE5ELNS1_3repE0EEENS1_30default_config_static_selectorELNS0_4arch9wavefront6targetE0EEEvT1_.num_agpr, 0
	.set _ZN7rocprim17ROCPRIM_400000_NS6detail17trampoline_kernelINS0_14default_configENS1_27scan_by_key_config_selectorIj11FixedVectorIiLj8EEEEZZNS1_16scan_by_key_implILNS1_25lookback_scan_determinismE0ELb0ES3_N6thrust23THRUST_200600_302600_NS6detail15normal_iteratorINSB_10device_ptrIjEEEENSD_INSE_IS6_EEEESI_S6_NSB_4plusIvEENSB_8equal_toIvEES6_EE10hipError_tPvRmT2_T3_T4_T5_mT6_T7_P12ihipStream_tbENKUlT_T0_E_clISt17integral_constantIbLb0EES12_IbLb1EEEEDaSY_SZ_EUlSY_E_NS1_11comp_targetILNS1_3genE10ELNS1_11target_archE1201ELNS1_3gpuE5ELNS1_3repE0EEENS1_30default_config_static_selectorELNS0_4arch9wavefront6targetE0EEEvT1_.numbered_sgpr, 0
	.set _ZN7rocprim17ROCPRIM_400000_NS6detail17trampoline_kernelINS0_14default_configENS1_27scan_by_key_config_selectorIj11FixedVectorIiLj8EEEEZZNS1_16scan_by_key_implILNS1_25lookback_scan_determinismE0ELb0ES3_N6thrust23THRUST_200600_302600_NS6detail15normal_iteratorINSB_10device_ptrIjEEEENSD_INSE_IS6_EEEESI_S6_NSB_4plusIvEENSB_8equal_toIvEES6_EE10hipError_tPvRmT2_T3_T4_T5_mT6_T7_P12ihipStream_tbENKUlT_T0_E_clISt17integral_constantIbLb0EES12_IbLb1EEEEDaSY_SZ_EUlSY_E_NS1_11comp_targetILNS1_3genE10ELNS1_11target_archE1201ELNS1_3gpuE5ELNS1_3repE0EEENS1_30default_config_static_selectorELNS0_4arch9wavefront6targetE0EEEvT1_.num_named_barrier, 0
	.set _ZN7rocprim17ROCPRIM_400000_NS6detail17trampoline_kernelINS0_14default_configENS1_27scan_by_key_config_selectorIj11FixedVectorIiLj8EEEEZZNS1_16scan_by_key_implILNS1_25lookback_scan_determinismE0ELb0ES3_N6thrust23THRUST_200600_302600_NS6detail15normal_iteratorINSB_10device_ptrIjEEEENSD_INSE_IS6_EEEESI_S6_NSB_4plusIvEENSB_8equal_toIvEES6_EE10hipError_tPvRmT2_T3_T4_T5_mT6_T7_P12ihipStream_tbENKUlT_T0_E_clISt17integral_constantIbLb0EES12_IbLb1EEEEDaSY_SZ_EUlSY_E_NS1_11comp_targetILNS1_3genE10ELNS1_11target_archE1201ELNS1_3gpuE5ELNS1_3repE0EEENS1_30default_config_static_selectorELNS0_4arch9wavefront6targetE0EEEvT1_.private_seg_size, 0
	.set _ZN7rocprim17ROCPRIM_400000_NS6detail17trampoline_kernelINS0_14default_configENS1_27scan_by_key_config_selectorIj11FixedVectorIiLj8EEEEZZNS1_16scan_by_key_implILNS1_25lookback_scan_determinismE0ELb0ES3_N6thrust23THRUST_200600_302600_NS6detail15normal_iteratorINSB_10device_ptrIjEEEENSD_INSE_IS6_EEEESI_S6_NSB_4plusIvEENSB_8equal_toIvEES6_EE10hipError_tPvRmT2_T3_T4_T5_mT6_T7_P12ihipStream_tbENKUlT_T0_E_clISt17integral_constantIbLb0EES12_IbLb1EEEEDaSY_SZ_EUlSY_E_NS1_11comp_targetILNS1_3genE10ELNS1_11target_archE1201ELNS1_3gpuE5ELNS1_3repE0EEENS1_30default_config_static_selectorELNS0_4arch9wavefront6targetE0EEEvT1_.uses_vcc, 0
	.set _ZN7rocprim17ROCPRIM_400000_NS6detail17trampoline_kernelINS0_14default_configENS1_27scan_by_key_config_selectorIj11FixedVectorIiLj8EEEEZZNS1_16scan_by_key_implILNS1_25lookback_scan_determinismE0ELb0ES3_N6thrust23THRUST_200600_302600_NS6detail15normal_iteratorINSB_10device_ptrIjEEEENSD_INSE_IS6_EEEESI_S6_NSB_4plusIvEENSB_8equal_toIvEES6_EE10hipError_tPvRmT2_T3_T4_T5_mT6_T7_P12ihipStream_tbENKUlT_T0_E_clISt17integral_constantIbLb0EES12_IbLb1EEEEDaSY_SZ_EUlSY_E_NS1_11comp_targetILNS1_3genE10ELNS1_11target_archE1201ELNS1_3gpuE5ELNS1_3repE0EEENS1_30default_config_static_selectorELNS0_4arch9wavefront6targetE0EEEvT1_.uses_flat_scratch, 0
	.set _ZN7rocprim17ROCPRIM_400000_NS6detail17trampoline_kernelINS0_14default_configENS1_27scan_by_key_config_selectorIj11FixedVectorIiLj8EEEEZZNS1_16scan_by_key_implILNS1_25lookback_scan_determinismE0ELb0ES3_N6thrust23THRUST_200600_302600_NS6detail15normal_iteratorINSB_10device_ptrIjEEEENSD_INSE_IS6_EEEESI_S6_NSB_4plusIvEENSB_8equal_toIvEES6_EE10hipError_tPvRmT2_T3_T4_T5_mT6_T7_P12ihipStream_tbENKUlT_T0_E_clISt17integral_constantIbLb0EES12_IbLb1EEEEDaSY_SZ_EUlSY_E_NS1_11comp_targetILNS1_3genE10ELNS1_11target_archE1201ELNS1_3gpuE5ELNS1_3repE0EEENS1_30default_config_static_selectorELNS0_4arch9wavefront6targetE0EEEvT1_.has_dyn_sized_stack, 0
	.set _ZN7rocprim17ROCPRIM_400000_NS6detail17trampoline_kernelINS0_14default_configENS1_27scan_by_key_config_selectorIj11FixedVectorIiLj8EEEEZZNS1_16scan_by_key_implILNS1_25lookback_scan_determinismE0ELb0ES3_N6thrust23THRUST_200600_302600_NS6detail15normal_iteratorINSB_10device_ptrIjEEEENSD_INSE_IS6_EEEESI_S6_NSB_4plusIvEENSB_8equal_toIvEES6_EE10hipError_tPvRmT2_T3_T4_T5_mT6_T7_P12ihipStream_tbENKUlT_T0_E_clISt17integral_constantIbLb0EES12_IbLb1EEEEDaSY_SZ_EUlSY_E_NS1_11comp_targetILNS1_3genE10ELNS1_11target_archE1201ELNS1_3gpuE5ELNS1_3repE0EEENS1_30default_config_static_selectorELNS0_4arch9wavefront6targetE0EEEvT1_.has_recursion, 0
	.set _ZN7rocprim17ROCPRIM_400000_NS6detail17trampoline_kernelINS0_14default_configENS1_27scan_by_key_config_selectorIj11FixedVectorIiLj8EEEEZZNS1_16scan_by_key_implILNS1_25lookback_scan_determinismE0ELb0ES3_N6thrust23THRUST_200600_302600_NS6detail15normal_iteratorINSB_10device_ptrIjEEEENSD_INSE_IS6_EEEESI_S6_NSB_4plusIvEENSB_8equal_toIvEES6_EE10hipError_tPvRmT2_T3_T4_T5_mT6_T7_P12ihipStream_tbENKUlT_T0_E_clISt17integral_constantIbLb0EES12_IbLb1EEEEDaSY_SZ_EUlSY_E_NS1_11comp_targetILNS1_3genE10ELNS1_11target_archE1201ELNS1_3gpuE5ELNS1_3repE0EEENS1_30default_config_static_selectorELNS0_4arch9wavefront6targetE0EEEvT1_.has_indirect_call, 0
	.section	.AMDGPU.csdata,"",@progbits
; Kernel info:
; codeLenInByte = 0
; TotalNumSgprs: 0
; NumVgprs: 0
; ScratchSize: 0
; MemoryBound: 0
; FloatMode: 240
; IeeeMode: 1
; LDSByteSize: 0 bytes/workgroup (compile time only)
; SGPRBlocks: 0
; VGPRBlocks: 0
; NumSGPRsForWavesPerEU: 1
; NumVGPRsForWavesPerEU: 1
; NamedBarCnt: 0
; Occupancy: 16
; WaveLimiterHint : 0
; COMPUTE_PGM_RSRC2:SCRATCH_EN: 0
; COMPUTE_PGM_RSRC2:USER_SGPR: 2
; COMPUTE_PGM_RSRC2:TRAP_HANDLER: 0
; COMPUTE_PGM_RSRC2:TGID_X_EN: 1
; COMPUTE_PGM_RSRC2:TGID_Y_EN: 0
; COMPUTE_PGM_RSRC2:TGID_Z_EN: 0
; COMPUTE_PGM_RSRC2:TIDIG_COMP_CNT: 0
	.section	.text._ZN7rocprim17ROCPRIM_400000_NS6detail17trampoline_kernelINS0_14default_configENS1_27scan_by_key_config_selectorIj11FixedVectorIiLj8EEEEZZNS1_16scan_by_key_implILNS1_25lookback_scan_determinismE0ELb0ES3_N6thrust23THRUST_200600_302600_NS6detail15normal_iteratorINSB_10device_ptrIjEEEENSD_INSE_IS6_EEEESI_S6_NSB_4plusIvEENSB_8equal_toIvEES6_EE10hipError_tPvRmT2_T3_T4_T5_mT6_T7_P12ihipStream_tbENKUlT_T0_E_clISt17integral_constantIbLb0EES12_IbLb1EEEEDaSY_SZ_EUlSY_E_NS1_11comp_targetILNS1_3genE5ELNS1_11target_archE942ELNS1_3gpuE9ELNS1_3repE0EEENS1_30default_config_static_selectorELNS0_4arch9wavefront6targetE0EEEvT1_,"axG",@progbits,_ZN7rocprim17ROCPRIM_400000_NS6detail17trampoline_kernelINS0_14default_configENS1_27scan_by_key_config_selectorIj11FixedVectorIiLj8EEEEZZNS1_16scan_by_key_implILNS1_25lookback_scan_determinismE0ELb0ES3_N6thrust23THRUST_200600_302600_NS6detail15normal_iteratorINSB_10device_ptrIjEEEENSD_INSE_IS6_EEEESI_S6_NSB_4plusIvEENSB_8equal_toIvEES6_EE10hipError_tPvRmT2_T3_T4_T5_mT6_T7_P12ihipStream_tbENKUlT_T0_E_clISt17integral_constantIbLb0EES12_IbLb1EEEEDaSY_SZ_EUlSY_E_NS1_11comp_targetILNS1_3genE5ELNS1_11target_archE942ELNS1_3gpuE9ELNS1_3repE0EEENS1_30default_config_static_selectorELNS0_4arch9wavefront6targetE0EEEvT1_,comdat
	.protected	_ZN7rocprim17ROCPRIM_400000_NS6detail17trampoline_kernelINS0_14default_configENS1_27scan_by_key_config_selectorIj11FixedVectorIiLj8EEEEZZNS1_16scan_by_key_implILNS1_25lookback_scan_determinismE0ELb0ES3_N6thrust23THRUST_200600_302600_NS6detail15normal_iteratorINSB_10device_ptrIjEEEENSD_INSE_IS6_EEEESI_S6_NSB_4plusIvEENSB_8equal_toIvEES6_EE10hipError_tPvRmT2_T3_T4_T5_mT6_T7_P12ihipStream_tbENKUlT_T0_E_clISt17integral_constantIbLb0EES12_IbLb1EEEEDaSY_SZ_EUlSY_E_NS1_11comp_targetILNS1_3genE5ELNS1_11target_archE942ELNS1_3gpuE9ELNS1_3repE0EEENS1_30default_config_static_selectorELNS0_4arch9wavefront6targetE0EEEvT1_ ; -- Begin function _ZN7rocprim17ROCPRIM_400000_NS6detail17trampoline_kernelINS0_14default_configENS1_27scan_by_key_config_selectorIj11FixedVectorIiLj8EEEEZZNS1_16scan_by_key_implILNS1_25lookback_scan_determinismE0ELb0ES3_N6thrust23THRUST_200600_302600_NS6detail15normal_iteratorINSB_10device_ptrIjEEEENSD_INSE_IS6_EEEESI_S6_NSB_4plusIvEENSB_8equal_toIvEES6_EE10hipError_tPvRmT2_T3_T4_T5_mT6_T7_P12ihipStream_tbENKUlT_T0_E_clISt17integral_constantIbLb0EES12_IbLb1EEEEDaSY_SZ_EUlSY_E_NS1_11comp_targetILNS1_3genE5ELNS1_11target_archE942ELNS1_3gpuE9ELNS1_3repE0EEENS1_30default_config_static_selectorELNS0_4arch9wavefront6targetE0EEEvT1_
	.globl	_ZN7rocprim17ROCPRIM_400000_NS6detail17trampoline_kernelINS0_14default_configENS1_27scan_by_key_config_selectorIj11FixedVectorIiLj8EEEEZZNS1_16scan_by_key_implILNS1_25lookback_scan_determinismE0ELb0ES3_N6thrust23THRUST_200600_302600_NS6detail15normal_iteratorINSB_10device_ptrIjEEEENSD_INSE_IS6_EEEESI_S6_NSB_4plusIvEENSB_8equal_toIvEES6_EE10hipError_tPvRmT2_T3_T4_T5_mT6_T7_P12ihipStream_tbENKUlT_T0_E_clISt17integral_constantIbLb0EES12_IbLb1EEEEDaSY_SZ_EUlSY_E_NS1_11comp_targetILNS1_3genE5ELNS1_11target_archE942ELNS1_3gpuE9ELNS1_3repE0EEENS1_30default_config_static_selectorELNS0_4arch9wavefront6targetE0EEEvT1_
	.p2align	8
	.type	_ZN7rocprim17ROCPRIM_400000_NS6detail17trampoline_kernelINS0_14default_configENS1_27scan_by_key_config_selectorIj11FixedVectorIiLj8EEEEZZNS1_16scan_by_key_implILNS1_25lookback_scan_determinismE0ELb0ES3_N6thrust23THRUST_200600_302600_NS6detail15normal_iteratorINSB_10device_ptrIjEEEENSD_INSE_IS6_EEEESI_S6_NSB_4plusIvEENSB_8equal_toIvEES6_EE10hipError_tPvRmT2_T3_T4_T5_mT6_T7_P12ihipStream_tbENKUlT_T0_E_clISt17integral_constantIbLb0EES12_IbLb1EEEEDaSY_SZ_EUlSY_E_NS1_11comp_targetILNS1_3genE5ELNS1_11target_archE942ELNS1_3gpuE9ELNS1_3repE0EEENS1_30default_config_static_selectorELNS0_4arch9wavefront6targetE0EEEvT1_,@function
_ZN7rocprim17ROCPRIM_400000_NS6detail17trampoline_kernelINS0_14default_configENS1_27scan_by_key_config_selectorIj11FixedVectorIiLj8EEEEZZNS1_16scan_by_key_implILNS1_25lookback_scan_determinismE0ELb0ES3_N6thrust23THRUST_200600_302600_NS6detail15normal_iteratorINSB_10device_ptrIjEEEENSD_INSE_IS6_EEEESI_S6_NSB_4plusIvEENSB_8equal_toIvEES6_EE10hipError_tPvRmT2_T3_T4_T5_mT6_T7_P12ihipStream_tbENKUlT_T0_E_clISt17integral_constantIbLb0EES12_IbLb1EEEEDaSY_SZ_EUlSY_E_NS1_11comp_targetILNS1_3genE5ELNS1_11target_archE942ELNS1_3gpuE9ELNS1_3repE0EEENS1_30default_config_static_selectorELNS0_4arch9wavefront6targetE0EEEvT1_: ; @_ZN7rocprim17ROCPRIM_400000_NS6detail17trampoline_kernelINS0_14default_configENS1_27scan_by_key_config_selectorIj11FixedVectorIiLj8EEEEZZNS1_16scan_by_key_implILNS1_25lookback_scan_determinismE0ELb0ES3_N6thrust23THRUST_200600_302600_NS6detail15normal_iteratorINSB_10device_ptrIjEEEENSD_INSE_IS6_EEEESI_S6_NSB_4plusIvEENSB_8equal_toIvEES6_EE10hipError_tPvRmT2_T3_T4_T5_mT6_T7_P12ihipStream_tbENKUlT_T0_E_clISt17integral_constantIbLb0EES12_IbLb1EEEEDaSY_SZ_EUlSY_E_NS1_11comp_targetILNS1_3genE5ELNS1_11target_archE942ELNS1_3gpuE9ELNS1_3repE0EEENS1_30default_config_static_selectorELNS0_4arch9wavefront6targetE0EEEvT1_
; %bb.0:
	.section	.rodata,"a",@progbits
	.p2align	6, 0x0
	.amdhsa_kernel _ZN7rocprim17ROCPRIM_400000_NS6detail17trampoline_kernelINS0_14default_configENS1_27scan_by_key_config_selectorIj11FixedVectorIiLj8EEEEZZNS1_16scan_by_key_implILNS1_25lookback_scan_determinismE0ELb0ES3_N6thrust23THRUST_200600_302600_NS6detail15normal_iteratorINSB_10device_ptrIjEEEENSD_INSE_IS6_EEEESI_S6_NSB_4plusIvEENSB_8equal_toIvEES6_EE10hipError_tPvRmT2_T3_T4_T5_mT6_T7_P12ihipStream_tbENKUlT_T0_E_clISt17integral_constantIbLb0EES12_IbLb1EEEEDaSY_SZ_EUlSY_E_NS1_11comp_targetILNS1_3genE5ELNS1_11target_archE942ELNS1_3gpuE9ELNS1_3repE0EEENS1_30default_config_static_selectorELNS0_4arch9wavefront6targetE0EEEvT1_
		.amdhsa_group_segment_fixed_size 0
		.amdhsa_private_segment_fixed_size 0
		.amdhsa_kernarg_size 160
		.amdhsa_user_sgpr_count 2
		.amdhsa_user_sgpr_dispatch_ptr 0
		.amdhsa_user_sgpr_queue_ptr 0
		.amdhsa_user_sgpr_kernarg_segment_ptr 1
		.amdhsa_user_sgpr_dispatch_id 0
		.amdhsa_user_sgpr_kernarg_preload_length 0
		.amdhsa_user_sgpr_kernarg_preload_offset 0
		.amdhsa_user_sgpr_private_segment_size 0
		.amdhsa_wavefront_size32 1
		.amdhsa_uses_dynamic_stack 0
		.amdhsa_enable_private_segment 0
		.amdhsa_system_sgpr_workgroup_id_x 1
		.amdhsa_system_sgpr_workgroup_id_y 0
		.amdhsa_system_sgpr_workgroup_id_z 0
		.amdhsa_system_sgpr_workgroup_info 0
		.amdhsa_system_vgpr_workitem_id 0
		.amdhsa_next_free_vgpr 1
		.amdhsa_next_free_sgpr 1
		.amdhsa_named_barrier_count 0
		.amdhsa_reserve_vcc 0
		.amdhsa_float_round_mode_32 0
		.amdhsa_float_round_mode_16_64 0
		.amdhsa_float_denorm_mode_32 3
		.amdhsa_float_denorm_mode_16_64 3
		.amdhsa_fp16_overflow 0
		.amdhsa_memory_ordered 1
		.amdhsa_forward_progress 1
		.amdhsa_inst_pref_size 0
		.amdhsa_round_robin_scheduling 0
		.amdhsa_exception_fp_ieee_invalid_op 0
		.amdhsa_exception_fp_denorm_src 0
		.amdhsa_exception_fp_ieee_div_zero 0
		.amdhsa_exception_fp_ieee_overflow 0
		.amdhsa_exception_fp_ieee_underflow 0
		.amdhsa_exception_fp_ieee_inexact 0
		.amdhsa_exception_int_div_zero 0
	.end_amdhsa_kernel
	.section	.text._ZN7rocprim17ROCPRIM_400000_NS6detail17trampoline_kernelINS0_14default_configENS1_27scan_by_key_config_selectorIj11FixedVectorIiLj8EEEEZZNS1_16scan_by_key_implILNS1_25lookback_scan_determinismE0ELb0ES3_N6thrust23THRUST_200600_302600_NS6detail15normal_iteratorINSB_10device_ptrIjEEEENSD_INSE_IS6_EEEESI_S6_NSB_4plusIvEENSB_8equal_toIvEES6_EE10hipError_tPvRmT2_T3_T4_T5_mT6_T7_P12ihipStream_tbENKUlT_T0_E_clISt17integral_constantIbLb0EES12_IbLb1EEEEDaSY_SZ_EUlSY_E_NS1_11comp_targetILNS1_3genE5ELNS1_11target_archE942ELNS1_3gpuE9ELNS1_3repE0EEENS1_30default_config_static_selectorELNS0_4arch9wavefront6targetE0EEEvT1_,"axG",@progbits,_ZN7rocprim17ROCPRIM_400000_NS6detail17trampoline_kernelINS0_14default_configENS1_27scan_by_key_config_selectorIj11FixedVectorIiLj8EEEEZZNS1_16scan_by_key_implILNS1_25lookback_scan_determinismE0ELb0ES3_N6thrust23THRUST_200600_302600_NS6detail15normal_iteratorINSB_10device_ptrIjEEEENSD_INSE_IS6_EEEESI_S6_NSB_4plusIvEENSB_8equal_toIvEES6_EE10hipError_tPvRmT2_T3_T4_T5_mT6_T7_P12ihipStream_tbENKUlT_T0_E_clISt17integral_constantIbLb0EES12_IbLb1EEEEDaSY_SZ_EUlSY_E_NS1_11comp_targetILNS1_3genE5ELNS1_11target_archE942ELNS1_3gpuE9ELNS1_3repE0EEENS1_30default_config_static_selectorELNS0_4arch9wavefront6targetE0EEEvT1_,comdat
.Lfunc_end2150:
	.size	_ZN7rocprim17ROCPRIM_400000_NS6detail17trampoline_kernelINS0_14default_configENS1_27scan_by_key_config_selectorIj11FixedVectorIiLj8EEEEZZNS1_16scan_by_key_implILNS1_25lookback_scan_determinismE0ELb0ES3_N6thrust23THRUST_200600_302600_NS6detail15normal_iteratorINSB_10device_ptrIjEEEENSD_INSE_IS6_EEEESI_S6_NSB_4plusIvEENSB_8equal_toIvEES6_EE10hipError_tPvRmT2_T3_T4_T5_mT6_T7_P12ihipStream_tbENKUlT_T0_E_clISt17integral_constantIbLb0EES12_IbLb1EEEEDaSY_SZ_EUlSY_E_NS1_11comp_targetILNS1_3genE5ELNS1_11target_archE942ELNS1_3gpuE9ELNS1_3repE0EEENS1_30default_config_static_selectorELNS0_4arch9wavefront6targetE0EEEvT1_, .Lfunc_end2150-_ZN7rocprim17ROCPRIM_400000_NS6detail17trampoline_kernelINS0_14default_configENS1_27scan_by_key_config_selectorIj11FixedVectorIiLj8EEEEZZNS1_16scan_by_key_implILNS1_25lookback_scan_determinismE0ELb0ES3_N6thrust23THRUST_200600_302600_NS6detail15normal_iteratorINSB_10device_ptrIjEEEENSD_INSE_IS6_EEEESI_S6_NSB_4plusIvEENSB_8equal_toIvEES6_EE10hipError_tPvRmT2_T3_T4_T5_mT6_T7_P12ihipStream_tbENKUlT_T0_E_clISt17integral_constantIbLb0EES12_IbLb1EEEEDaSY_SZ_EUlSY_E_NS1_11comp_targetILNS1_3genE5ELNS1_11target_archE942ELNS1_3gpuE9ELNS1_3repE0EEENS1_30default_config_static_selectorELNS0_4arch9wavefront6targetE0EEEvT1_
                                        ; -- End function
	.set _ZN7rocprim17ROCPRIM_400000_NS6detail17trampoline_kernelINS0_14default_configENS1_27scan_by_key_config_selectorIj11FixedVectorIiLj8EEEEZZNS1_16scan_by_key_implILNS1_25lookback_scan_determinismE0ELb0ES3_N6thrust23THRUST_200600_302600_NS6detail15normal_iteratorINSB_10device_ptrIjEEEENSD_INSE_IS6_EEEESI_S6_NSB_4plusIvEENSB_8equal_toIvEES6_EE10hipError_tPvRmT2_T3_T4_T5_mT6_T7_P12ihipStream_tbENKUlT_T0_E_clISt17integral_constantIbLb0EES12_IbLb1EEEEDaSY_SZ_EUlSY_E_NS1_11comp_targetILNS1_3genE5ELNS1_11target_archE942ELNS1_3gpuE9ELNS1_3repE0EEENS1_30default_config_static_selectorELNS0_4arch9wavefront6targetE0EEEvT1_.num_vgpr, 0
	.set _ZN7rocprim17ROCPRIM_400000_NS6detail17trampoline_kernelINS0_14default_configENS1_27scan_by_key_config_selectorIj11FixedVectorIiLj8EEEEZZNS1_16scan_by_key_implILNS1_25lookback_scan_determinismE0ELb0ES3_N6thrust23THRUST_200600_302600_NS6detail15normal_iteratorINSB_10device_ptrIjEEEENSD_INSE_IS6_EEEESI_S6_NSB_4plusIvEENSB_8equal_toIvEES6_EE10hipError_tPvRmT2_T3_T4_T5_mT6_T7_P12ihipStream_tbENKUlT_T0_E_clISt17integral_constantIbLb0EES12_IbLb1EEEEDaSY_SZ_EUlSY_E_NS1_11comp_targetILNS1_3genE5ELNS1_11target_archE942ELNS1_3gpuE9ELNS1_3repE0EEENS1_30default_config_static_selectorELNS0_4arch9wavefront6targetE0EEEvT1_.num_agpr, 0
	.set _ZN7rocprim17ROCPRIM_400000_NS6detail17trampoline_kernelINS0_14default_configENS1_27scan_by_key_config_selectorIj11FixedVectorIiLj8EEEEZZNS1_16scan_by_key_implILNS1_25lookback_scan_determinismE0ELb0ES3_N6thrust23THRUST_200600_302600_NS6detail15normal_iteratorINSB_10device_ptrIjEEEENSD_INSE_IS6_EEEESI_S6_NSB_4plusIvEENSB_8equal_toIvEES6_EE10hipError_tPvRmT2_T3_T4_T5_mT6_T7_P12ihipStream_tbENKUlT_T0_E_clISt17integral_constantIbLb0EES12_IbLb1EEEEDaSY_SZ_EUlSY_E_NS1_11comp_targetILNS1_3genE5ELNS1_11target_archE942ELNS1_3gpuE9ELNS1_3repE0EEENS1_30default_config_static_selectorELNS0_4arch9wavefront6targetE0EEEvT1_.numbered_sgpr, 0
	.set _ZN7rocprim17ROCPRIM_400000_NS6detail17trampoline_kernelINS0_14default_configENS1_27scan_by_key_config_selectorIj11FixedVectorIiLj8EEEEZZNS1_16scan_by_key_implILNS1_25lookback_scan_determinismE0ELb0ES3_N6thrust23THRUST_200600_302600_NS6detail15normal_iteratorINSB_10device_ptrIjEEEENSD_INSE_IS6_EEEESI_S6_NSB_4plusIvEENSB_8equal_toIvEES6_EE10hipError_tPvRmT2_T3_T4_T5_mT6_T7_P12ihipStream_tbENKUlT_T0_E_clISt17integral_constantIbLb0EES12_IbLb1EEEEDaSY_SZ_EUlSY_E_NS1_11comp_targetILNS1_3genE5ELNS1_11target_archE942ELNS1_3gpuE9ELNS1_3repE0EEENS1_30default_config_static_selectorELNS0_4arch9wavefront6targetE0EEEvT1_.num_named_barrier, 0
	.set _ZN7rocprim17ROCPRIM_400000_NS6detail17trampoline_kernelINS0_14default_configENS1_27scan_by_key_config_selectorIj11FixedVectorIiLj8EEEEZZNS1_16scan_by_key_implILNS1_25lookback_scan_determinismE0ELb0ES3_N6thrust23THRUST_200600_302600_NS6detail15normal_iteratorINSB_10device_ptrIjEEEENSD_INSE_IS6_EEEESI_S6_NSB_4plusIvEENSB_8equal_toIvEES6_EE10hipError_tPvRmT2_T3_T4_T5_mT6_T7_P12ihipStream_tbENKUlT_T0_E_clISt17integral_constantIbLb0EES12_IbLb1EEEEDaSY_SZ_EUlSY_E_NS1_11comp_targetILNS1_3genE5ELNS1_11target_archE942ELNS1_3gpuE9ELNS1_3repE0EEENS1_30default_config_static_selectorELNS0_4arch9wavefront6targetE0EEEvT1_.private_seg_size, 0
	.set _ZN7rocprim17ROCPRIM_400000_NS6detail17trampoline_kernelINS0_14default_configENS1_27scan_by_key_config_selectorIj11FixedVectorIiLj8EEEEZZNS1_16scan_by_key_implILNS1_25lookback_scan_determinismE0ELb0ES3_N6thrust23THRUST_200600_302600_NS6detail15normal_iteratorINSB_10device_ptrIjEEEENSD_INSE_IS6_EEEESI_S6_NSB_4plusIvEENSB_8equal_toIvEES6_EE10hipError_tPvRmT2_T3_T4_T5_mT6_T7_P12ihipStream_tbENKUlT_T0_E_clISt17integral_constantIbLb0EES12_IbLb1EEEEDaSY_SZ_EUlSY_E_NS1_11comp_targetILNS1_3genE5ELNS1_11target_archE942ELNS1_3gpuE9ELNS1_3repE0EEENS1_30default_config_static_selectorELNS0_4arch9wavefront6targetE0EEEvT1_.uses_vcc, 0
	.set _ZN7rocprim17ROCPRIM_400000_NS6detail17trampoline_kernelINS0_14default_configENS1_27scan_by_key_config_selectorIj11FixedVectorIiLj8EEEEZZNS1_16scan_by_key_implILNS1_25lookback_scan_determinismE0ELb0ES3_N6thrust23THRUST_200600_302600_NS6detail15normal_iteratorINSB_10device_ptrIjEEEENSD_INSE_IS6_EEEESI_S6_NSB_4plusIvEENSB_8equal_toIvEES6_EE10hipError_tPvRmT2_T3_T4_T5_mT6_T7_P12ihipStream_tbENKUlT_T0_E_clISt17integral_constantIbLb0EES12_IbLb1EEEEDaSY_SZ_EUlSY_E_NS1_11comp_targetILNS1_3genE5ELNS1_11target_archE942ELNS1_3gpuE9ELNS1_3repE0EEENS1_30default_config_static_selectorELNS0_4arch9wavefront6targetE0EEEvT1_.uses_flat_scratch, 0
	.set _ZN7rocprim17ROCPRIM_400000_NS6detail17trampoline_kernelINS0_14default_configENS1_27scan_by_key_config_selectorIj11FixedVectorIiLj8EEEEZZNS1_16scan_by_key_implILNS1_25lookback_scan_determinismE0ELb0ES3_N6thrust23THRUST_200600_302600_NS6detail15normal_iteratorINSB_10device_ptrIjEEEENSD_INSE_IS6_EEEESI_S6_NSB_4plusIvEENSB_8equal_toIvEES6_EE10hipError_tPvRmT2_T3_T4_T5_mT6_T7_P12ihipStream_tbENKUlT_T0_E_clISt17integral_constantIbLb0EES12_IbLb1EEEEDaSY_SZ_EUlSY_E_NS1_11comp_targetILNS1_3genE5ELNS1_11target_archE942ELNS1_3gpuE9ELNS1_3repE0EEENS1_30default_config_static_selectorELNS0_4arch9wavefront6targetE0EEEvT1_.has_dyn_sized_stack, 0
	.set _ZN7rocprim17ROCPRIM_400000_NS6detail17trampoline_kernelINS0_14default_configENS1_27scan_by_key_config_selectorIj11FixedVectorIiLj8EEEEZZNS1_16scan_by_key_implILNS1_25lookback_scan_determinismE0ELb0ES3_N6thrust23THRUST_200600_302600_NS6detail15normal_iteratorINSB_10device_ptrIjEEEENSD_INSE_IS6_EEEESI_S6_NSB_4plusIvEENSB_8equal_toIvEES6_EE10hipError_tPvRmT2_T3_T4_T5_mT6_T7_P12ihipStream_tbENKUlT_T0_E_clISt17integral_constantIbLb0EES12_IbLb1EEEEDaSY_SZ_EUlSY_E_NS1_11comp_targetILNS1_3genE5ELNS1_11target_archE942ELNS1_3gpuE9ELNS1_3repE0EEENS1_30default_config_static_selectorELNS0_4arch9wavefront6targetE0EEEvT1_.has_recursion, 0
	.set _ZN7rocprim17ROCPRIM_400000_NS6detail17trampoline_kernelINS0_14default_configENS1_27scan_by_key_config_selectorIj11FixedVectorIiLj8EEEEZZNS1_16scan_by_key_implILNS1_25lookback_scan_determinismE0ELb0ES3_N6thrust23THRUST_200600_302600_NS6detail15normal_iteratorINSB_10device_ptrIjEEEENSD_INSE_IS6_EEEESI_S6_NSB_4plusIvEENSB_8equal_toIvEES6_EE10hipError_tPvRmT2_T3_T4_T5_mT6_T7_P12ihipStream_tbENKUlT_T0_E_clISt17integral_constantIbLb0EES12_IbLb1EEEEDaSY_SZ_EUlSY_E_NS1_11comp_targetILNS1_3genE5ELNS1_11target_archE942ELNS1_3gpuE9ELNS1_3repE0EEENS1_30default_config_static_selectorELNS0_4arch9wavefront6targetE0EEEvT1_.has_indirect_call, 0
	.section	.AMDGPU.csdata,"",@progbits
; Kernel info:
; codeLenInByte = 0
; TotalNumSgprs: 0
; NumVgprs: 0
; ScratchSize: 0
; MemoryBound: 0
; FloatMode: 240
; IeeeMode: 1
; LDSByteSize: 0 bytes/workgroup (compile time only)
; SGPRBlocks: 0
; VGPRBlocks: 0
; NumSGPRsForWavesPerEU: 1
; NumVGPRsForWavesPerEU: 1
; NamedBarCnt: 0
; Occupancy: 16
; WaveLimiterHint : 0
; COMPUTE_PGM_RSRC2:SCRATCH_EN: 0
; COMPUTE_PGM_RSRC2:USER_SGPR: 2
; COMPUTE_PGM_RSRC2:TRAP_HANDLER: 0
; COMPUTE_PGM_RSRC2:TGID_X_EN: 1
; COMPUTE_PGM_RSRC2:TGID_Y_EN: 0
; COMPUTE_PGM_RSRC2:TGID_Z_EN: 0
; COMPUTE_PGM_RSRC2:TIDIG_COMP_CNT: 0
	.section	.text._ZN7rocprim17ROCPRIM_400000_NS6detail17trampoline_kernelINS0_14default_configENS1_27scan_by_key_config_selectorIj11FixedVectorIiLj8EEEEZZNS1_16scan_by_key_implILNS1_25lookback_scan_determinismE0ELb0ES3_N6thrust23THRUST_200600_302600_NS6detail15normal_iteratorINSB_10device_ptrIjEEEENSD_INSE_IS6_EEEESI_S6_NSB_4plusIvEENSB_8equal_toIvEES6_EE10hipError_tPvRmT2_T3_T4_T5_mT6_T7_P12ihipStream_tbENKUlT_T0_E_clISt17integral_constantIbLb0EES12_IbLb1EEEEDaSY_SZ_EUlSY_E_NS1_11comp_targetILNS1_3genE4ELNS1_11target_archE910ELNS1_3gpuE8ELNS1_3repE0EEENS1_30default_config_static_selectorELNS0_4arch9wavefront6targetE0EEEvT1_,"axG",@progbits,_ZN7rocprim17ROCPRIM_400000_NS6detail17trampoline_kernelINS0_14default_configENS1_27scan_by_key_config_selectorIj11FixedVectorIiLj8EEEEZZNS1_16scan_by_key_implILNS1_25lookback_scan_determinismE0ELb0ES3_N6thrust23THRUST_200600_302600_NS6detail15normal_iteratorINSB_10device_ptrIjEEEENSD_INSE_IS6_EEEESI_S6_NSB_4plusIvEENSB_8equal_toIvEES6_EE10hipError_tPvRmT2_T3_T4_T5_mT6_T7_P12ihipStream_tbENKUlT_T0_E_clISt17integral_constantIbLb0EES12_IbLb1EEEEDaSY_SZ_EUlSY_E_NS1_11comp_targetILNS1_3genE4ELNS1_11target_archE910ELNS1_3gpuE8ELNS1_3repE0EEENS1_30default_config_static_selectorELNS0_4arch9wavefront6targetE0EEEvT1_,comdat
	.protected	_ZN7rocprim17ROCPRIM_400000_NS6detail17trampoline_kernelINS0_14default_configENS1_27scan_by_key_config_selectorIj11FixedVectorIiLj8EEEEZZNS1_16scan_by_key_implILNS1_25lookback_scan_determinismE0ELb0ES3_N6thrust23THRUST_200600_302600_NS6detail15normal_iteratorINSB_10device_ptrIjEEEENSD_INSE_IS6_EEEESI_S6_NSB_4plusIvEENSB_8equal_toIvEES6_EE10hipError_tPvRmT2_T3_T4_T5_mT6_T7_P12ihipStream_tbENKUlT_T0_E_clISt17integral_constantIbLb0EES12_IbLb1EEEEDaSY_SZ_EUlSY_E_NS1_11comp_targetILNS1_3genE4ELNS1_11target_archE910ELNS1_3gpuE8ELNS1_3repE0EEENS1_30default_config_static_selectorELNS0_4arch9wavefront6targetE0EEEvT1_ ; -- Begin function _ZN7rocprim17ROCPRIM_400000_NS6detail17trampoline_kernelINS0_14default_configENS1_27scan_by_key_config_selectorIj11FixedVectorIiLj8EEEEZZNS1_16scan_by_key_implILNS1_25lookback_scan_determinismE0ELb0ES3_N6thrust23THRUST_200600_302600_NS6detail15normal_iteratorINSB_10device_ptrIjEEEENSD_INSE_IS6_EEEESI_S6_NSB_4plusIvEENSB_8equal_toIvEES6_EE10hipError_tPvRmT2_T3_T4_T5_mT6_T7_P12ihipStream_tbENKUlT_T0_E_clISt17integral_constantIbLb0EES12_IbLb1EEEEDaSY_SZ_EUlSY_E_NS1_11comp_targetILNS1_3genE4ELNS1_11target_archE910ELNS1_3gpuE8ELNS1_3repE0EEENS1_30default_config_static_selectorELNS0_4arch9wavefront6targetE0EEEvT1_
	.globl	_ZN7rocprim17ROCPRIM_400000_NS6detail17trampoline_kernelINS0_14default_configENS1_27scan_by_key_config_selectorIj11FixedVectorIiLj8EEEEZZNS1_16scan_by_key_implILNS1_25lookback_scan_determinismE0ELb0ES3_N6thrust23THRUST_200600_302600_NS6detail15normal_iteratorINSB_10device_ptrIjEEEENSD_INSE_IS6_EEEESI_S6_NSB_4plusIvEENSB_8equal_toIvEES6_EE10hipError_tPvRmT2_T3_T4_T5_mT6_T7_P12ihipStream_tbENKUlT_T0_E_clISt17integral_constantIbLb0EES12_IbLb1EEEEDaSY_SZ_EUlSY_E_NS1_11comp_targetILNS1_3genE4ELNS1_11target_archE910ELNS1_3gpuE8ELNS1_3repE0EEENS1_30default_config_static_selectorELNS0_4arch9wavefront6targetE0EEEvT1_
	.p2align	8
	.type	_ZN7rocprim17ROCPRIM_400000_NS6detail17trampoline_kernelINS0_14default_configENS1_27scan_by_key_config_selectorIj11FixedVectorIiLj8EEEEZZNS1_16scan_by_key_implILNS1_25lookback_scan_determinismE0ELb0ES3_N6thrust23THRUST_200600_302600_NS6detail15normal_iteratorINSB_10device_ptrIjEEEENSD_INSE_IS6_EEEESI_S6_NSB_4plusIvEENSB_8equal_toIvEES6_EE10hipError_tPvRmT2_T3_T4_T5_mT6_T7_P12ihipStream_tbENKUlT_T0_E_clISt17integral_constantIbLb0EES12_IbLb1EEEEDaSY_SZ_EUlSY_E_NS1_11comp_targetILNS1_3genE4ELNS1_11target_archE910ELNS1_3gpuE8ELNS1_3repE0EEENS1_30default_config_static_selectorELNS0_4arch9wavefront6targetE0EEEvT1_,@function
_ZN7rocprim17ROCPRIM_400000_NS6detail17trampoline_kernelINS0_14default_configENS1_27scan_by_key_config_selectorIj11FixedVectorIiLj8EEEEZZNS1_16scan_by_key_implILNS1_25lookback_scan_determinismE0ELb0ES3_N6thrust23THRUST_200600_302600_NS6detail15normal_iteratorINSB_10device_ptrIjEEEENSD_INSE_IS6_EEEESI_S6_NSB_4plusIvEENSB_8equal_toIvEES6_EE10hipError_tPvRmT2_T3_T4_T5_mT6_T7_P12ihipStream_tbENKUlT_T0_E_clISt17integral_constantIbLb0EES12_IbLb1EEEEDaSY_SZ_EUlSY_E_NS1_11comp_targetILNS1_3genE4ELNS1_11target_archE910ELNS1_3gpuE8ELNS1_3repE0EEENS1_30default_config_static_selectorELNS0_4arch9wavefront6targetE0EEEvT1_: ; @_ZN7rocprim17ROCPRIM_400000_NS6detail17trampoline_kernelINS0_14default_configENS1_27scan_by_key_config_selectorIj11FixedVectorIiLj8EEEEZZNS1_16scan_by_key_implILNS1_25lookback_scan_determinismE0ELb0ES3_N6thrust23THRUST_200600_302600_NS6detail15normal_iteratorINSB_10device_ptrIjEEEENSD_INSE_IS6_EEEESI_S6_NSB_4plusIvEENSB_8equal_toIvEES6_EE10hipError_tPvRmT2_T3_T4_T5_mT6_T7_P12ihipStream_tbENKUlT_T0_E_clISt17integral_constantIbLb0EES12_IbLb1EEEEDaSY_SZ_EUlSY_E_NS1_11comp_targetILNS1_3genE4ELNS1_11target_archE910ELNS1_3gpuE8ELNS1_3repE0EEENS1_30default_config_static_selectorELNS0_4arch9wavefront6targetE0EEEvT1_
; %bb.0:
	.section	.rodata,"a",@progbits
	.p2align	6, 0x0
	.amdhsa_kernel _ZN7rocprim17ROCPRIM_400000_NS6detail17trampoline_kernelINS0_14default_configENS1_27scan_by_key_config_selectorIj11FixedVectorIiLj8EEEEZZNS1_16scan_by_key_implILNS1_25lookback_scan_determinismE0ELb0ES3_N6thrust23THRUST_200600_302600_NS6detail15normal_iteratorINSB_10device_ptrIjEEEENSD_INSE_IS6_EEEESI_S6_NSB_4plusIvEENSB_8equal_toIvEES6_EE10hipError_tPvRmT2_T3_T4_T5_mT6_T7_P12ihipStream_tbENKUlT_T0_E_clISt17integral_constantIbLb0EES12_IbLb1EEEEDaSY_SZ_EUlSY_E_NS1_11comp_targetILNS1_3genE4ELNS1_11target_archE910ELNS1_3gpuE8ELNS1_3repE0EEENS1_30default_config_static_selectorELNS0_4arch9wavefront6targetE0EEEvT1_
		.amdhsa_group_segment_fixed_size 0
		.amdhsa_private_segment_fixed_size 0
		.amdhsa_kernarg_size 160
		.amdhsa_user_sgpr_count 2
		.amdhsa_user_sgpr_dispatch_ptr 0
		.amdhsa_user_sgpr_queue_ptr 0
		.amdhsa_user_sgpr_kernarg_segment_ptr 1
		.amdhsa_user_sgpr_dispatch_id 0
		.amdhsa_user_sgpr_kernarg_preload_length 0
		.amdhsa_user_sgpr_kernarg_preload_offset 0
		.amdhsa_user_sgpr_private_segment_size 0
		.amdhsa_wavefront_size32 1
		.amdhsa_uses_dynamic_stack 0
		.amdhsa_enable_private_segment 0
		.amdhsa_system_sgpr_workgroup_id_x 1
		.amdhsa_system_sgpr_workgroup_id_y 0
		.amdhsa_system_sgpr_workgroup_id_z 0
		.amdhsa_system_sgpr_workgroup_info 0
		.amdhsa_system_vgpr_workitem_id 0
		.amdhsa_next_free_vgpr 1
		.amdhsa_next_free_sgpr 1
		.amdhsa_named_barrier_count 0
		.amdhsa_reserve_vcc 0
		.amdhsa_float_round_mode_32 0
		.amdhsa_float_round_mode_16_64 0
		.amdhsa_float_denorm_mode_32 3
		.amdhsa_float_denorm_mode_16_64 3
		.amdhsa_fp16_overflow 0
		.amdhsa_memory_ordered 1
		.amdhsa_forward_progress 1
		.amdhsa_inst_pref_size 0
		.amdhsa_round_robin_scheduling 0
		.amdhsa_exception_fp_ieee_invalid_op 0
		.amdhsa_exception_fp_denorm_src 0
		.amdhsa_exception_fp_ieee_div_zero 0
		.amdhsa_exception_fp_ieee_overflow 0
		.amdhsa_exception_fp_ieee_underflow 0
		.amdhsa_exception_fp_ieee_inexact 0
		.amdhsa_exception_int_div_zero 0
	.end_amdhsa_kernel
	.section	.text._ZN7rocprim17ROCPRIM_400000_NS6detail17trampoline_kernelINS0_14default_configENS1_27scan_by_key_config_selectorIj11FixedVectorIiLj8EEEEZZNS1_16scan_by_key_implILNS1_25lookback_scan_determinismE0ELb0ES3_N6thrust23THRUST_200600_302600_NS6detail15normal_iteratorINSB_10device_ptrIjEEEENSD_INSE_IS6_EEEESI_S6_NSB_4plusIvEENSB_8equal_toIvEES6_EE10hipError_tPvRmT2_T3_T4_T5_mT6_T7_P12ihipStream_tbENKUlT_T0_E_clISt17integral_constantIbLb0EES12_IbLb1EEEEDaSY_SZ_EUlSY_E_NS1_11comp_targetILNS1_3genE4ELNS1_11target_archE910ELNS1_3gpuE8ELNS1_3repE0EEENS1_30default_config_static_selectorELNS0_4arch9wavefront6targetE0EEEvT1_,"axG",@progbits,_ZN7rocprim17ROCPRIM_400000_NS6detail17trampoline_kernelINS0_14default_configENS1_27scan_by_key_config_selectorIj11FixedVectorIiLj8EEEEZZNS1_16scan_by_key_implILNS1_25lookback_scan_determinismE0ELb0ES3_N6thrust23THRUST_200600_302600_NS6detail15normal_iteratorINSB_10device_ptrIjEEEENSD_INSE_IS6_EEEESI_S6_NSB_4plusIvEENSB_8equal_toIvEES6_EE10hipError_tPvRmT2_T3_T4_T5_mT6_T7_P12ihipStream_tbENKUlT_T0_E_clISt17integral_constantIbLb0EES12_IbLb1EEEEDaSY_SZ_EUlSY_E_NS1_11comp_targetILNS1_3genE4ELNS1_11target_archE910ELNS1_3gpuE8ELNS1_3repE0EEENS1_30default_config_static_selectorELNS0_4arch9wavefront6targetE0EEEvT1_,comdat
.Lfunc_end2151:
	.size	_ZN7rocprim17ROCPRIM_400000_NS6detail17trampoline_kernelINS0_14default_configENS1_27scan_by_key_config_selectorIj11FixedVectorIiLj8EEEEZZNS1_16scan_by_key_implILNS1_25lookback_scan_determinismE0ELb0ES3_N6thrust23THRUST_200600_302600_NS6detail15normal_iteratorINSB_10device_ptrIjEEEENSD_INSE_IS6_EEEESI_S6_NSB_4plusIvEENSB_8equal_toIvEES6_EE10hipError_tPvRmT2_T3_T4_T5_mT6_T7_P12ihipStream_tbENKUlT_T0_E_clISt17integral_constantIbLb0EES12_IbLb1EEEEDaSY_SZ_EUlSY_E_NS1_11comp_targetILNS1_3genE4ELNS1_11target_archE910ELNS1_3gpuE8ELNS1_3repE0EEENS1_30default_config_static_selectorELNS0_4arch9wavefront6targetE0EEEvT1_, .Lfunc_end2151-_ZN7rocprim17ROCPRIM_400000_NS6detail17trampoline_kernelINS0_14default_configENS1_27scan_by_key_config_selectorIj11FixedVectorIiLj8EEEEZZNS1_16scan_by_key_implILNS1_25lookback_scan_determinismE0ELb0ES3_N6thrust23THRUST_200600_302600_NS6detail15normal_iteratorINSB_10device_ptrIjEEEENSD_INSE_IS6_EEEESI_S6_NSB_4plusIvEENSB_8equal_toIvEES6_EE10hipError_tPvRmT2_T3_T4_T5_mT6_T7_P12ihipStream_tbENKUlT_T0_E_clISt17integral_constantIbLb0EES12_IbLb1EEEEDaSY_SZ_EUlSY_E_NS1_11comp_targetILNS1_3genE4ELNS1_11target_archE910ELNS1_3gpuE8ELNS1_3repE0EEENS1_30default_config_static_selectorELNS0_4arch9wavefront6targetE0EEEvT1_
                                        ; -- End function
	.set _ZN7rocprim17ROCPRIM_400000_NS6detail17trampoline_kernelINS0_14default_configENS1_27scan_by_key_config_selectorIj11FixedVectorIiLj8EEEEZZNS1_16scan_by_key_implILNS1_25lookback_scan_determinismE0ELb0ES3_N6thrust23THRUST_200600_302600_NS6detail15normal_iteratorINSB_10device_ptrIjEEEENSD_INSE_IS6_EEEESI_S6_NSB_4plusIvEENSB_8equal_toIvEES6_EE10hipError_tPvRmT2_T3_T4_T5_mT6_T7_P12ihipStream_tbENKUlT_T0_E_clISt17integral_constantIbLb0EES12_IbLb1EEEEDaSY_SZ_EUlSY_E_NS1_11comp_targetILNS1_3genE4ELNS1_11target_archE910ELNS1_3gpuE8ELNS1_3repE0EEENS1_30default_config_static_selectorELNS0_4arch9wavefront6targetE0EEEvT1_.num_vgpr, 0
	.set _ZN7rocprim17ROCPRIM_400000_NS6detail17trampoline_kernelINS0_14default_configENS1_27scan_by_key_config_selectorIj11FixedVectorIiLj8EEEEZZNS1_16scan_by_key_implILNS1_25lookback_scan_determinismE0ELb0ES3_N6thrust23THRUST_200600_302600_NS6detail15normal_iteratorINSB_10device_ptrIjEEEENSD_INSE_IS6_EEEESI_S6_NSB_4plusIvEENSB_8equal_toIvEES6_EE10hipError_tPvRmT2_T3_T4_T5_mT6_T7_P12ihipStream_tbENKUlT_T0_E_clISt17integral_constantIbLb0EES12_IbLb1EEEEDaSY_SZ_EUlSY_E_NS1_11comp_targetILNS1_3genE4ELNS1_11target_archE910ELNS1_3gpuE8ELNS1_3repE0EEENS1_30default_config_static_selectorELNS0_4arch9wavefront6targetE0EEEvT1_.num_agpr, 0
	.set _ZN7rocprim17ROCPRIM_400000_NS6detail17trampoline_kernelINS0_14default_configENS1_27scan_by_key_config_selectorIj11FixedVectorIiLj8EEEEZZNS1_16scan_by_key_implILNS1_25lookback_scan_determinismE0ELb0ES3_N6thrust23THRUST_200600_302600_NS6detail15normal_iteratorINSB_10device_ptrIjEEEENSD_INSE_IS6_EEEESI_S6_NSB_4plusIvEENSB_8equal_toIvEES6_EE10hipError_tPvRmT2_T3_T4_T5_mT6_T7_P12ihipStream_tbENKUlT_T0_E_clISt17integral_constantIbLb0EES12_IbLb1EEEEDaSY_SZ_EUlSY_E_NS1_11comp_targetILNS1_3genE4ELNS1_11target_archE910ELNS1_3gpuE8ELNS1_3repE0EEENS1_30default_config_static_selectorELNS0_4arch9wavefront6targetE0EEEvT1_.numbered_sgpr, 0
	.set _ZN7rocprim17ROCPRIM_400000_NS6detail17trampoline_kernelINS0_14default_configENS1_27scan_by_key_config_selectorIj11FixedVectorIiLj8EEEEZZNS1_16scan_by_key_implILNS1_25lookback_scan_determinismE0ELb0ES3_N6thrust23THRUST_200600_302600_NS6detail15normal_iteratorINSB_10device_ptrIjEEEENSD_INSE_IS6_EEEESI_S6_NSB_4plusIvEENSB_8equal_toIvEES6_EE10hipError_tPvRmT2_T3_T4_T5_mT6_T7_P12ihipStream_tbENKUlT_T0_E_clISt17integral_constantIbLb0EES12_IbLb1EEEEDaSY_SZ_EUlSY_E_NS1_11comp_targetILNS1_3genE4ELNS1_11target_archE910ELNS1_3gpuE8ELNS1_3repE0EEENS1_30default_config_static_selectorELNS0_4arch9wavefront6targetE0EEEvT1_.num_named_barrier, 0
	.set _ZN7rocprim17ROCPRIM_400000_NS6detail17trampoline_kernelINS0_14default_configENS1_27scan_by_key_config_selectorIj11FixedVectorIiLj8EEEEZZNS1_16scan_by_key_implILNS1_25lookback_scan_determinismE0ELb0ES3_N6thrust23THRUST_200600_302600_NS6detail15normal_iteratorINSB_10device_ptrIjEEEENSD_INSE_IS6_EEEESI_S6_NSB_4plusIvEENSB_8equal_toIvEES6_EE10hipError_tPvRmT2_T3_T4_T5_mT6_T7_P12ihipStream_tbENKUlT_T0_E_clISt17integral_constantIbLb0EES12_IbLb1EEEEDaSY_SZ_EUlSY_E_NS1_11comp_targetILNS1_3genE4ELNS1_11target_archE910ELNS1_3gpuE8ELNS1_3repE0EEENS1_30default_config_static_selectorELNS0_4arch9wavefront6targetE0EEEvT1_.private_seg_size, 0
	.set _ZN7rocprim17ROCPRIM_400000_NS6detail17trampoline_kernelINS0_14default_configENS1_27scan_by_key_config_selectorIj11FixedVectorIiLj8EEEEZZNS1_16scan_by_key_implILNS1_25lookback_scan_determinismE0ELb0ES3_N6thrust23THRUST_200600_302600_NS6detail15normal_iteratorINSB_10device_ptrIjEEEENSD_INSE_IS6_EEEESI_S6_NSB_4plusIvEENSB_8equal_toIvEES6_EE10hipError_tPvRmT2_T3_T4_T5_mT6_T7_P12ihipStream_tbENKUlT_T0_E_clISt17integral_constantIbLb0EES12_IbLb1EEEEDaSY_SZ_EUlSY_E_NS1_11comp_targetILNS1_3genE4ELNS1_11target_archE910ELNS1_3gpuE8ELNS1_3repE0EEENS1_30default_config_static_selectorELNS0_4arch9wavefront6targetE0EEEvT1_.uses_vcc, 0
	.set _ZN7rocprim17ROCPRIM_400000_NS6detail17trampoline_kernelINS0_14default_configENS1_27scan_by_key_config_selectorIj11FixedVectorIiLj8EEEEZZNS1_16scan_by_key_implILNS1_25lookback_scan_determinismE0ELb0ES3_N6thrust23THRUST_200600_302600_NS6detail15normal_iteratorINSB_10device_ptrIjEEEENSD_INSE_IS6_EEEESI_S6_NSB_4plusIvEENSB_8equal_toIvEES6_EE10hipError_tPvRmT2_T3_T4_T5_mT6_T7_P12ihipStream_tbENKUlT_T0_E_clISt17integral_constantIbLb0EES12_IbLb1EEEEDaSY_SZ_EUlSY_E_NS1_11comp_targetILNS1_3genE4ELNS1_11target_archE910ELNS1_3gpuE8ELNS1_3repE0EEENS1_30default_config_static_selectorELNS0_4arch9wavefront6targetE0EEEvT1_.uses_flat_scratch, 0
	.set _ZN7rocprim17ROCPRIM_400000_NS6detail17trampoline_kernelINS0_14default_configENS1_27scan_by_key_config_selectorIj11FixedVectorIiLj8EEEEZZNS1_16scan_by_key_implILNS1_25lookback_scan_determinismE0ELb0ES3_N6thrust23THRUST_200600_302600_NS6detail15normal_iteratorINSB_10device_ptrIjEEEENSD_INSE_IS6_EEEESI_S6_NSB_4plusIvEENSB_8equal_toIvEES6_EE10hipError_tPvRmT2_T3_T4_T5_mT6_T7_P12ihipStream_tbENKUlT_T0_E_clISt17integral_constantIbLb0EES12_IbLb1EEEEDaSY_SZ_EUlSY_E_NS1_11comp_targetILNS1_3genE4ELNS1_11target_archE910ELNS1_3gpuE8ELNS1_3repE0EEENS1_30default_config_static_selectorELNS0_4arch9wavefront6targetE0EEEvT1_.has_dyn_sized_stack, 0
	.set _ZN7rocprim17ROCPRIM_400000_NS6detail17trampoline_kernelINS0_14default_configENS1_27scan_by_key_config_selectorIj11FixedVectorIiLj8EEEEZZNS1_16scan_by_key_implILNS1_25lookback_scan_determinismE0ELb0ES3_N6thrust23THRUST_200600_302600_NS6detail15normal_iteratorINSB_10device_ptrIjEEEENSD_INSE_IS6_EEEESI_S6_NSB_4plusIvEENSB_8equal_toIvEES6_EE10hipError_tPvRmT2_T3_T4_T5_mT6_T7_P12ihipStream_tbENKUlT_T0_E_clISt17integral_constantIbLb0EES12_IbLb1EEEEDaSY_SZ_EUlSY_E_NS1_11comp_targetILNS1_3genE4ELNS1_11target_archE910ELNS1_3gpuE8ELNS1_3repE0EEENS1_30default_config_static_selectorELNS0_4arch9wavefront6targetE0EEEvT1_.has_recursion, 0
	.set _ZN7rocprim17ROCPRIM_400000_NS6detail17trampoline_kernelINS0_14default_configENS1_27scan_by_key_config_selectorIj11FixedVectorIiLj8EEEEZZNS1_16scan_by_key_implILNS1_25lookback_scan_determinismE0ELb0ES3_N6thrust23THRUST_200600_302600_NS6detail15normal_iteratorINSB_10device_ptrIjEEEENSD_INSE_IS6_EEEESI_S6_NSB_4plusIvEENSB_8equal_toIvEES6_EE10hipError_tPvRmT2_T3_T4_T5_mT6_T7_P12ihipStream_tbENKUlT_T0_E_clISt17integral_constantIbLb0EES12_IbLb1EEEEDaSY_SZ_EUlSY_E_NS1_11comp_targetILNS1_3genE4ELNS1_11target_archE910ELNS1_3gpuE8ELNS1_3repE0EEENS1_30default_config_static_selectorELNS0_4arch9wavefront6targetE0EEEvT1_.has_indirect_call, 0
	.section	.AMDGPU.csdata,"",@progbits
; Kernel info:
; codeLenInByte = 0
; TotalNumSgprs: 0
; NumVgprs: 0
; ScratchSize: 0
; MemoryBound: 0
; FloatMode: 240
; IeeeMode: 1
; LDSByteSize: 0 bytes/workgroup (compile time only)
; SGPRBlocks: 0
; VGPRBlocks: 0
; NumSGPRsForWavesPerEU: 1
; NumVGPRsForWavesPerEU: 1
; NamedBarCnt: 0
; Occupancy: 16
; WaveLimiterHint : 0
; COMPUTE_PGM_RSRC2:SCRATCH_EN: 0
; COMPUTE_PGM_RSRC2:USER_SGPR: 2
; COMPUTE_PGM_RSRC2:TRAP_HANDLER: 0
; COMPUTE_PGM_RSRC2:TGID_X_EN: 1
; COMPUTE_PGM_RSRC2:TGID_Y_EN: 0
; COMPUTE_PGM_RSRC2:TGID_Z_EN: 0
; COMPUTE_PGM_RSRC2:TIDIG_COMP_CNT: 0
	.section	.text._ZN7rocprim17ROCPRIM_400000_NS6detail17trampoline_kernelINS0_14default_configENS1_27scan_by_key_config_selectorIj11FixedVectorIiLj8EEEEZZNS1_16scan_by_key_implILNS1_25lookback_scan_determinismE0ELb0ES3_N6thrust23THRUST_200600_302600_NS6detail15normal_iteratorINSB_10device_ptrIjEEEENSD_INSE_IS6_EEEESI_S6_NSB_4plusIvEENSB_8equal_toIvEES6_EE10hipError_tPvRmT2_T3_T4_T5_mT6_T7_P12ihipStream_tbENKUlT_T0_E_clISt17integral_constantIbLb0EES12_IbLb1EEEEDaSY_SZ_EUlSY_E_NS1_11comp_targetILNS1_3genE3ELNS1_11target_archE908ELNS1_3gpuE7ELNS1_3repE0EEENS1_30default_config_static_selectorELNS0_4arch9wavefront6targetE0EEEvT1_,"axG",@progbits,_ZN7rocprim17ROCPRIM_400000_NS6detail17trampoline_kernelINS0_14default_configENS1_27scan_by_key_config_selectorIj11FixedVectorIiLj8EEEEZZNS1_16scan_by_key_implILNS1_25lookback_scan_determinismE0ELb0ES3_N6thrust23THRUST_200600_302600_NS6detail15normal_iteratorINSB_10device_ptrIjEEEENSD_INSE_IS6_EEEESI_S6_NSB_4plusIvEENSB_8equal_toIvEES6_EE10hipError_tPvRmT2_T3_T4_T5_mT6_T7_P12ihipStream_tbENKUlT_T0_E_clISt17integral_constantIbLb0EES12_IbLb1EEEEDaSY_SZ_EUlSY_E_NS1_11comp_targetILNS1_3genE3ELNS1_11target_archE908ELNS1_3gpuE7ELNS1_3repE0EEENS1_30default_config_static_selectorELNS0_4arch9wavefront6targetE0EEEvT1_,comdat
	.protected	_ZN7rocprim17ROCPRIM_400000_NS6detail17trampoline_kernelINS0_14default_configENS1_27scan_by_key_config_selectorIj11FixedVectorIiLj8EEEEZZNS1_16scan_by_key_implILNS1_25lookback_scan_determinismE0ELb0ES3_N6thrust23THRUST_200600_302600_NS6detail15normal_iteratorINSB_10device_ptrIjEEEENSD_INSE_IS6_EEEESI_S6_NSB_4plusIvEENSB_8equal_toIvEES6_EE10hipError_tPvRmT2_T3_T4_T5_mT6_T7_P12ihipStream_tbENKUlT_T0_E_clISt17integral_constantIbLb0EES12_IbLb1EEEEDaSY_SZ_EUlSY_E_NS1_11comp_targetILNS1_3genE3ELNS1_11target_archE908ELNS1_3gpuE7ELNS1_3repE0EEENS1_30default_config_static_selectorELNS0_4arch9wavefront6targetE0EEEvT1_ ; -- Begin function _ZN7rocprim17ROCPRIM_400000_NS6detail17trampoline_kernelINS0_14default_configENS1_27scan_by_key_config_selectorIj11FixedVectorIiLj8EEEEZZNS1_16scan_by_key_implILNS1_25lookback_scan_determinismE0ELb0ES3_N6thrust23THRUST_200600_302600_NS6detail15normal_iteratorINSB_10device_ptrIjEEEENSD_INSE_IS6_EEEESI_S6_NSB_4plusIvEENSB_8equal_toIvEES6_EE10hipError_tPvRmT2_T3_T4_T5_mT6_T7_P12ihipStream_tbENKUlT_T0_E_clISt17integral_constantIbLb0EES12_IbLb1EEEEDaSY_SZ_EUlSY_E_NS1_11comp_targetILNS1_3genE3ELNS1_11target_archE908ELNS1_3gpuE7ELNS1_3repE0EEENS1_30default_config_static_selectorELNS0_4arch9wavefront6targetE0EEEvT1_
	.globl	_ZN7rocprim17ROCPRIM_400000_NS6detail17trampoline_kernelINS0_14default_configENS1_27scan_by_key_config_selectorIj11FixedVectorIiLj8EEEEZZNS1_16scan_by_key_implILNS1_25lookback_scan_determinismE0ELb0ES3_N6thrust23THRUST_200600_302600_NS6detail15normal_iteratorINSB_10device_ptrIjEEEENSD_INSE_IS6_EEEESI_S6_NSB_4plusIvEENSB_8equal_toIvEES6_EE10hipError_tPvRmT2_T3_T4_T5_mT6_T7_P12ihipStream_tbENKUlT_T0_E_clISt17integral_constantIbLb0EES12_IbLb1EEEEDaSY_SZ_EUlSY_E_NS1_11comp_targetILNS1_3genE3ELNS1_11target_archE908ELNS1_3gpuE7ELNS1_3repE0EEENS1_30default_config_static_selectorELNS0_4arch9wavefront6targetE0EEEvT1_
	.p2align	8
	.type	_ZN7rocprim17ROCPRIM_400000_NS6detail17trampoline_kernelINS0_14default_configENS1_27scan_by_key_config_selectorIj11FixedVectorIiLj8EEEEZZNS1_16scan_by_key_implILNS1_25lookback_scan_determinismE0ELb0ES3_N6thrust23THRUST_200600_302600_NS6detail15normal_iteratorINSB_10device_ptrIjEEEENSD_INSE_IS6_EEEESI_S6_NSB_4plusIvEENSB_8equal_toIvEES6_EE10hipError_tPvRmT2_T3_T4_T5_mT6_T7_P12ihipStream_tbENKUlT_T0_E_clISt17integral_constantIbLb0EES12_IbLb1EEEEDaSY_SZ_EUlSY_E_NS1_11comp_targetILNS1_3genE3ELNS1_11target_archE908ELNS1_3gpuE7ELNS1_3repE0EEENS1_30default_config_static_selectorELNS0_4arch9wavefront6targetE0EEEvT1_,@function
_ZN7rocprim17ROCPRIM_400000_NS6detail17trampoline_kernelINS0_14default_configENS1_27scan_by_key_config_selectorIj11FixedVectorIiLj8EEEEZZNS1_16scan_by_key_implILNS1_25lookback_scan_determinismE0ELb0ES3_N6thrust23THRUST_200600_302600_NS6detail15normal_iteratorINSB_10device_ptrIjEEEENSD_INSE_IS6_EEEESI_S6_NSB_4plusIvEENSB_8equal_toIvEES6_EE10hipError_tPvRmT2_T3_T4_T5_mT6_T7_P12ihipStream_tbENKUlT_T0_E_clISt17integral_constantIbLb0EES12_IbLb1EEEEDaSY_SZ_EUlSY_E_NS1_11comp_targetILNS1_3genE3ELNS1_11target_archE908ELNS1_3gpuE7ELNS1_3repE0EEENS1_30default_config_static_selectorELNS0_4arch9wavefront6targetE0EEEvT1_: ; @_ZN7rocprim17ROCPRIM_400000_NS6detail17trampoline_kernelINS0_14default_configENS1_27scan_by_key_config_selectorIj11FixedVectorIiLj8EEEEZZNS1_16scan_by_key_implILNS1_25lookback_scan_determinismE0ELb0ES3_N6thrust23THRUST_200600_302600_NS6detail15normal_iteratorINSB_10device_ptrIjEEEENSD_INSE_IS6_EEEESI_S6_NSB_4plusIvEENSB_8equal_toIvEES6_EE10hipError_tPvRmT2_T3_T4_T5_mT6_T7_P12ihipStream_tbENKUlT_T0_E_clISt17integral_constantIbLb0EES12_IbLb1EEEEDaSY_SZ_EUlSY_E_NS1_11comp_targetILNS1_3genE3ELNS1_11target_archE908ELNS1_3gpuE7ELNS1_3repE0EEENS1_30default_config_static_selectorELNS0_4arch9wavefront6targetE0EEEvT1_
; %bb.0:
	.section	.rodata,"a",@progbits
	.p2align	6, 0x0
	.amdhsa_kernel _ZN7rocprim17ROCPRIM_400000_NS6detail17trampoline_kernelINS0_14default_configENS1_27scan_by_key_config_selectorIj11FixedVectorIiLj8EEEEZZNS1_16scan_by_key_implILNS1_25lookback_scan_determinismE0ELb0ES3_N6thrust23THRUST_200600_302600_NS6detail15normal_iteratorINSB_10device_ptrIjEEEENSD_INSE_IS6_EEEESI_S6_NSB_4plusIvEENSB_8equal_toIvEES6_EE10hipError_tPvRmT2_T3_T4_T5_mT6_T7_P12ihipStream_tbENKUlT_T0_E_clISt17integral_constantIbLb0EES12_IbLb1EEEEDaSY_SZ_EUlSY_E_NS1_11comp_targetILNS1_3genE3ELNS1_11target_archE908ELNS1_3gpuE7ELNS1_3repE0EEENS1_30default_config_static_selectorELNS0_4arch9wavefront6targetE0EEEvT1_
		.amdhsa_group_segment_fixed_size 0
		.amdhsa_private_segment_fixed_size 0
		.amdhsa_kernarg_size 160
		.amdhsa_user_sgpr_count 2
		.amdhsa_user_sgpr_dispatch_ptr 0
		.amdhsa_user_sgpr_queue_ptr 0
		.amdhsa_user_sgpr_kernarg_segment_ptr 1
		.amdhsa_user_sgpr_dispatch_id 0
		.amdhsa_user_sgpr_kernarg_preload_length 0
		.amdhsa_user_sgpr_kernarg_preload_offset 0
		.amdhsa_user_sgpr_private_segment_size 0
		.amdhsa_wavefront_size32 1
		.amdhsa_uses_dynamic_stack 0
		.amdhsa_enable_private_segment 0
		.amdhsa_system_sgpr_workgroup_id_x 1
		.amdhsa_system_sgpr_workgroup_id_y 0
		.amdhsa_system_sgpr_workgroup_id_z 0
		.amdhsa_system_sgpr_workgroup_info 0
		.amdhsa_system_vgpr_workitem_id 0
		.amdhsa_next_free_vgpr 1
		.amdhsa_next_free_sgpr 1
		.amdhsa_named_barrier_count 0
		.amdhsa_reserve_vcc 0
		.amdhsa_float_round_mode_32 0
		.amdhsa_float_round_mode_16_64 0
		.amdhsa_float_denorm_mode_32 3
		.amdhsa_float_denorm_mode_16_64 3
		.amdhsa_fp16_overflow 0
		.amdhsa_memory_ordered 1
		.amdhsa_forward_progress 1
		.amdhsa_inst_pref_size 0
		.amdhsa_round_robin_scheduling 0
		.amdhsa_exception_fp_ieee_invalid_op 0
		.amdhsa_exception_fp_denorm_src 0
		.amdhsa_exception_fp_ieee_div_zero 0
		.amdhsa_exception_fp_ieee_overflow 0
		.amdhsa_exception_fp_ieee_underflow 0
		.amdhsa_exception_fp_ieee_inexact 0
		.amdhsa_exception_int_div_zero 0
	.end_amdhsa_kernel
	.section	.text._ZN7rocprim17ROCPRIM_400000_NS6detail17trampoline_kernelINS0_14default_configENS1_27scan_by_key_config_selectorIj11FixedVectorIiLj8EEEEZZNS1_16scan_by_key_implILNS1_25lookback_scan_determinismE0ELb0ES3_N6thrust23THRUST_200600_302600_NS6detail15normal_iteratorINSB_10device_ptrIjEEEENSD_INSE_IS6_EEEESI_S6_NSB_4plusIvEENSB_8equal_toIvEES6_EE10hipError_tPvRmT2_T3_T4_T5_mT6_T7_P12ihipStream_tbENKUlT_T0_E_clISt17integral_constantIbLb0EES12_IbLb1EEEEDaSY_SZ_EUlSY_E_NS1_11comp_targetILNS1_3genE3ELNS1_11target_archE908ELNS1_3gpuE7ELNS1_3repE0EEENS1_30default_config_static_selectorELNS0_4arch9wavefront6targetE0EEEvT1_,"axG",@progbits,_ZN7rocprim17ROCPRIM_400000_NS6detail17trampoline_kernelINS0_14default_configENS1_27scan_by_key_config_selectorIj11FixedVectorIiLj8EEEEZZNS1_16scan_by_key_implILNS1_25lookback_scan_determinismE0ELb0ES3_N6thrust23THRUST_200600_302600_NS6detail15normal_iteratorINSB_10device_ptrIjEEEENSD_INSE_IS6_EEEESI_S6_NSB_4plusIvEENSB_8equal_toIvEES6_EE10hipError_tPvRmT2_T3_T4_T5_mT6_T7_P12ihipStream_tbENKUlT_T0_E_clISt17integral_constantIbLb0EES12_IbLb1EEEEDaSY_SZ_EUlSY_E_NS1_11comp_targetILNS1_3genE3ELNS1_11target_archE908ELNS1_3gpuE7ELNS1_3repE0EEENS1_30default_config_static_selectorELNS0_4arch9wavefront6targetE0EEEvT1_,comdat
.Lfunc_end2152:
	.size	_ZN7rocprim17ROCPRIM_400000_NS6detail17trampoline_kernelINS0_14default_configENS1_27scan_by_key_config_selectorIj11FixedVectorIiLj8EEEEZZNS1_16scan_by_key_implILNS1_25lookback_scan_determinismE0ELb0ES3_N6thrust23THRUST_200600_302600_NS6detail15normal_iteratorINSB_10device_ptrIjEEEENSD_INSE_IS6_EEEESI_S6_NSB_4plusIvEENSB_8equal_toIvEES6_EE10hipError_tPvRmT2_T3_T4_T5_mT6_T7_P12ihipStream_tbENKUlT_T0_E_clISt17integral_constantIbLb0EES12_IbLb1EEEEDaSY_SZ_EUlSY_E_NS1_11comp_targetILNS1_3genE3ELNS1_11target_archE908ELNS1_3gpuE7ELNS1_3repE0EEENS1_30default_config_static_selectorELNS0_4arch9wavefront6targetE0EEEvT1_, .Lfunc_end2152-_ZN7rocprim17ROCPRIM_400000_NS6detail17trampoline_kernelINS0_14default_configENS1_27scan_by_key_config_selectorIj11FixedVectorIiLj8EEEEZZNS1_16scan_by_key_implILNS1_25lookback_scan_determinismE0ELb0ES3_N6thrust23THRUST_200600_302600_NS6detail15normal_iteratorINSB_10device_ptrIjEEEENSD_INSE_IS6_EEEESI_S6_NSB_4plusIvEENSB_8equal_toIvEES6_EE10hipError_tPvRmT2_T3_T4_T5_mT6_T7_P12ihipStream_tbENKUlT_T0_E_clISt17integral_constantIbLb0EES12_IbLb1EEEEDaSY_SZ_EUlSY_E_NS1_11comp_targetILNS1_3genE3ELNS1_11target_archE908ELNS1_3gpuE7ELNS1_3repE0EEENS1_30default_config_static_selectorELNS0_4arch9wavefront6targetE0EEEvT1_
                                        ; -- End function
	.set _ZN7rocprim17ROCPRIM_400000_NS6detail17trampoline_kernelINS0_14default_configENS1_27scan_by_key_config_selectorIj11FixedVectorIiLj8EEEEZZNS1_16scan_by_key_implILNS1_25lookback_scan_determinismE0ELb0ES3_N6thrust23THRUST_200600_302600_NS6detail15normal_iteratorINSB_10device_ptrIjEEEENSD_INSE_IS6_EEEESI_S6_NSB_4plusIvEENSB_8equal_toIvEES6_EE10hipError_tPvRmT2_T3_T4_T5_mT6_T7_P12ihipStream_tbENKUlT_T0_E_clISt17integral_constantIbLb0EES12_IbLb1EEEEDaSY_SZ_EUlSY_E_NS1_11comp_targetILNS1_3genE3ELNS1_11target_archE908ELNS1_3gpuE7ELNS1_3repE0EEENS1_30default_config_static_selectorELNS0_4arch9wavefront6targetE0EEEvT1_.num_vgpr, 0
	.set _ZN7rocprim17ROCPRIM_400000_NS6detail17trampoline_kernelINS0_14default_configENS1_27scan_by_key_config_selectorIj11FixedVectorIiLj8EEEEZZNS1_16scan_by_key_implILNS1_25lookback_scan_determinismE0ELb0ES3_N6thrust23THRUST_200600_302600_NS6detail15normal_iteratorINSB_10device_ptrIjEEEENSD_INSE_IS6_EEEESI_S6_NSB_4plusIvEENSB_8equal_toIvEES6_EE10hipError_tPvRmT2_T3_T4_T5_mT6_T7_P12ihipStream_tbENKUlT_T0_E_clISt17integral_constantIbLb0EES12_IbLb1EEEEDaSY_SZ_EUlSY_E_NS1_11comp_targetILNS1_3genE3ELNS1_11target_archE908ELNS1_3gpuE7ELNS1_3repE0EEENS1_30default_config_static_selectorELNS0_4arch9wavefront6targetE0EEEvT1_.num_agpr, 0
	.set _ZN7rocprim17ROCPRIM_400000_NS6detail17trampoline_kernelINS0_14default_configENS1_27scan_by_key_config_selectorIj11FixedVectorIiLj8EEEEZZNS1_16scan_by_key_implILNS1_25lookback_scan_determinismE0ELb0ES3_N6thrust23THRUST_200600_302600_NS6detail15normal_iteratorINSB_10device_ptrIjEEEENSD_INSE_IS6_EEEESI_S6_NSB_4plusIvEENSB_8equal_toIvEES6_EE10hipError_tPvRmT2_T3_T4_T5_mT6_T7_P12ihipStream_tbENKUlT_T0_E_clISt17integral_constantIbLb0EES12_IbLb1EEEEDaSY_SZ_EUlSY_E_NS1_11comp_targetILNS1_3genE3ELNS1_11target_archE908ELNS1_3gpuE7ELNS1_3repE0EEENS1_30default_config_static_selectorELNS0_4arch9wavefront6targetE0EEEvT1_.numbered_sgpr, 0
	.set _ZN7rocprim17ROCPRIM_400000_NS6detail17trampoline_kernelINS0_14default_configENS1_27scan_by_key_config_selectorIj11FixedVectorIiLj8EEEEZZNS1_16scan_by_key_implILNS1_25lookback_scan_determinismE0ELb0ES3_N6thrust23THRUST_200600_302600_NS6detail15normal_iteratorINSB_10device_ptrIjEEEENSD_INSE_IS6_EEEESI_S6_NSB_4plusIvEENSB_8equal_toIvEES6_EE10hipError_tPvRmT2_T3_T4_T5_mT6_T7_P12ihipStream_tbENKUlT_T0_E_clISt17integral_constantIbLb0EES12_IbLb1EEEEDaSY_SZ_EUlSY_E_NS1_11comp_targetILNS1_3genE3ELNS1_11target_archE908ELNS1_3gpuE7ELNS1_3repE0EEENS1_30default_config_static_selectorELNS0_4arch9wavefront6targetE0EEEvT1_.num_named_barrier, 0
	.set _ZN7rocprim17ROCPRIM_400000_NS6detail17trampoline_kernelINS0_14default_configENS1_27scan_by_key_config_selectorIj11FixedVectorIiLj8EEEEZZNS1_16scan_by_key_implILNS1_25lookback_scan_determinismE0ELb0ES3_N6thrust23THRUST_200600_302600_NS6detail15normal_iteratorINSB_10device_ptrIjEEEENSD_INSE_IS6_EEEESI_S6_NSB_4plusIvEENSB_8equal_toIvEES6_EE10hipError_tPvRmT2_T3_T4_T5_mT6_T7_P12ihipStream_tbENKUlT_T0_E_clISt17integral_constantIbLb0EES12_IbLb1EEEEDaSY_SZ_EUlSY_E_NS1_11comp_targetILNS1_3genE3ELNS1_11target_archE908ELNS1_3gpuE7ELNS1_3repE0EEENS1_30default_config_static_selectorELNS0_4arch9wavefront6targetE0EEEvT1_.private_seg_size, 0
	.set _ZN7rocprim17ROCPRIM_400000_NS6detail17trampoline_kernelINS0_14default_configENS1_27scan_by_key_config_selectorIj11FixedVectorIiLj8EEEEZZNS1_16scan_by_key_implILNS1_25lookback_scan_determinismE0ELb0ES3_N6thrust23THRUST_200600_302600_NS6detail15normal_iteratorINSB_10device_ptrIjEEEENSD_INSE_IS6_EEEESI_S6_NSB_4plusIvEENSB_8equal_toIvEES6_EE10hipError_tPvRmT2_T3_T4_T5_mT6_T7_P12ihipStream_tbENKUlT_T0_E_clISt17integral_constantIbLb0EES12_IbLb1EEEEDaSY_SZ_EUlSY_E_NS1_11comp_targetILNS1_3genE3ELNS1_11target_archE908ELNS1_3gpuE7ELNS1_3repE0EEENS1_30default_config_static_selectorELNS0_4arch9wavefront6targetE0EEEvT1_.uses_vcc, 0
	.set _ZN7rocprim17ROCPRIM_400000_NS6detail17trampoline_kernelINS0_14default_configENS1_27scan_by_key_config_selectorIj11FixedVectorIiLj8EEEEZZNS1_16scan_by_key_implILNS1_25lookback_scan_determinismE0ELb0ES3_N6thrust23THRUST_200600_302600_NS6detail15normal_iteratorINSB_10device_ptrIjEEEENSD_INSE_IS6_EEEESI_S6_NSB_4plusIvEENSB_8equal_toIvEES6_EE10hipError_tPvRmT2_T3_T4_T5_mT6_T7_P12ihipStream_tbENKUlT_T0_E_clISt17integral_constantIbLb0EES12_IbLb1EEEEDaSY_SZ_EUlSY_E_NS1_11comp_targetILNS1_3genE3ELNS1_11target_archE908ELNS1_3gpuE7ELNS1_3repE0EEENS1_30default_config_static_selectorELNS0_4arch9wavefront6targetE0EEEvT1_.uses_flat_scratch, 0
	.set _ZN7rocprim17ROCPRIM_400000_NS6detail17trampoline_kernelINS0_14default_configENS1_27scan_by_key_config_selectorIj11FixedVectorIiLj8EEEEZZNS1_16scan_by_key_implILNS1_25lookback_scan_determinismE0ELb0ES3_N6thrust23THRUST_200600_302600_NS6detail15normal_iteratorINSB_10device_ptrIjEEEENSD_INSE_IS6_EEEESI_S6_NSB_4plusIvEENSB_8equal_toIvEES6_EE10hipError_tPvRmT2_T3_T4_T5_mT6_T7_P12ihipStream_tbENKUlT_T0_E_clISt17integral_constantIbLb0EES12_IbLb1EEEEDaSY_SZ_EUlSY_E_NS1_11comp_targetILNS1_3genE3ELNS1_11target_archE908ELNS1_3gpuE7ELNS1_3repE0EEENS1_30default_config_static_selectorELNS0_4arch9wavefront6targetE0EEEvT1_.has_dyn_sized_stack, 0
	.set _ZN7rocprim17ROCPRIM_400000_NS6detail17trampoline_kernelINS0_14default_configENS1_27scan_by_key_config_selectorIj11FixedVectorIiLj8EEEEZZNS1_16scan_by_key_implILNS1_25lookback_scan_determinismE0ELb0ES3_N6thrust23THRUST_200600_302600_NS6detail15normal_iteratorINSB_10device_ptrIjEEEENSD_INSE_IS6_EEEESI_S6_NSB_4plusIvEENSB_8equal_toIvEES6_EE10hipError_tPvRmT2_T3_T4_T5_mT6_T7_P12ihipStream_tbENKUlT_T0_E_clISt17integral_constantIbLb0EES12_IbLb1EEEEDaSY_SZ_EUlSY_E_NS1_11comp_targetILNS1_3genE3ELNS1_11target_archE908ELNS1_3gpuE7ELNS1_3repE0EEENS1_30default_config_static_selectorELNS0_4arch9wavefront6targetE0EEEvT1_.has_recursion, 0
	.set _ZN7rocprim17ROCPRIM_400000_NS6detail17trampoline_kernelINS0_14default_configENS1_27scan_by_key_config_selectorIj11FixedVectorIiLj8EEEEZZNS1_16scan_by_key_implILNS1_25lookback_scan_determinismE0ELb0ES3_N6thrust23THRUST_200600_302600_NS6detail15normal_iteratorINSB_10device_ptrIjEEEENSD_INSE_IS6_EEEESI_S6_NSB_4plusIvEENSB_8equal_toIvEES6_EE10hipError_tPvRmT2_T3_T4_T5_mT6_T7_P12ihipStream_tbENKUlT_T0_E_clISt17integral_constantIbLb0EES12_IbLb1EEEEDaSY_SZ_EUlSY_E_NS1_11comp_targetILNS1_3genE3ELNS1_11target_archE908ELNS1_3gpuE7ELNS1_3repE0EEENS1_30default_config_static_selectorELNS0_4arch9wavefront6targetE0EEEvT1_.has_indirect_call, 0
	.section	.AMDGPU.csdata,"",@progbits
; Kernel info:
; codeLenInByte = 0
; TotalNumSgprs: 0
; NumVgprs: 0
; ScratchSize: 0
; MemoryBound: 0
; FloatMode: 240
; IeeeMode: 1
; LDSByteSize: 0 bytes/workgroup (compile time only)
; SGPRBlocks: 0
; VGPRBlocks: 0
; NumSGPRsForWavesPerEU: 1
; NumVGPRsForWavesPerEU: 1
; NamedBarCnt: 0
; Occupancy: 16
; WaveLimiterHint : 0
; COMPUTE_PGM_RSRC2:SCRATCH_EN: 0
; COMPUTE_PGM_RSRC2:USER_SGPR: 2
; COMPUTE_PGM_RSRC2:TRAP_HANDLER: 0
; COMPUTE_PGM_RSRC2:TGID_X_EN: 1
; COMPUTE_PGM_RSRC2:TGID_Y_EN: 0
; COMPUTE_PGM_RSRC2:TGID_Z_EN: 0
; COMPUTE_PGM_RSRC2:TIDIG_COMP_CNT: 0
	.section	.text._ZN7rocprim17ROCPRIM_400000_NS6detail17trampoline_kernelINS0_14default_configENS1_27scan_by_key_config_selectorIj11FixedVectorIiLj8EEEEZZNS1_16scan_by_key_implILNS1_25lookback_scan_determinismE0ELb0ES3_N6thrust23THRUST_200600_302600_NS6detail15normal_iteratorINSB_10device_ptrIjEEEENSD_INSE_IS6_EEEESI_S6_NSB_4plusIvEENSB_8equal_toIvEES6_EE10hipError_tPvRmT2_T3_T4_T5_mT6_T7_P12ihipStream_tbENKUlT_T0_E_clISt17integral_constantIbLb0EES12_IbLb1EEEEDaSY_SZ_EUlSY_E_NS1_11comp_targetILNS1_3genE2ELNS1_11target_archE906ELNS1_3gpuE6ELNS1_3repE0EEENS1_30default_config_static_selectorELNS0_4arch9wavefront6targetE0EEEvT1_,"axG",@progbits,_ZN7rocprim17ROCPRIM_400000_NS6detail17trampoline_kernelINS0_14default_configENS1_27scan_by_key_config_selectorIj11FixedVectorIiLj8EEEEZZNS1_16scan_by_key_implILNS1_25lookback_scan_determinismE0ELb0ES3_N6thrust23THRUST_200600_302600_NS6detail15normal_iteratorINSB_10device_ptrIjEEEENSD_INSE_IS6_EEEESI_S6_NSB_4plusIvEENSB_8equal_toIvEES6_EE10hipError_tPvRmT2_T3_T4_T5_mT6_T7_P12ihipStream_tbENKUlT_T0_E_clISt17integral_constantIbLb0EES12_IbLb1EEEEDaSY_SZ_EUlSY_E_NS1_11comp_targetILNS1_3genE2ELNS1_11target_archE906ELNS1_3gpuE6ELNS1_3repE0EEENS1_30default_config_static_selectorELNS0_4arch9wavefront6targetE0EEEvT1_,comdat
	.protected	_ZN7rocprim17ROCPRIM_400000_NS6detail17trampoline_kernelINS0_14default_configENS1_27scan_by_key_config_selectorIj11FixedVectorIiLj8EEEEZZNS1_16scan_by_key_implILNS1_25lookback_scan_determinismE0ELb0ES3_N6thrust23THRUST_200600_302600_NS6detail15normal_iteratorINSB_10device_ptrIjEEEENSD_INSE_IS6_EEEESI_S6_NSB_4plusIvEENSB_8equal_toIvEES6_EE10hipError_tPvRmT2_T3_T4_T5_mT6_T7_P12ihipStream_tbENKUlT_T0_E_clISt17integral_constantIbLb0EES12_IbLb1EEEEDaSY_SZ_EUlSY_E_NS1_11comp_targetILNS1_3genE2ELNS1_11target_archE906ELNS1_3gpuE6ELNS1_3repE0EEENS1_30default_config_static_selectorELNS0_4arch9wavefront6targetE0EEEvT1_ ; -- Begin function _ZN7rocprim17ROCPRIM_400000_NS6detail17trampoline_kernelINS0_14default_configENS1_27scan_by_key_config_selectorIj11FixedVectorIiLj8EEEEZZNS1_16scan_by_key_implILNS1_25lookback_scan_determinismE0ELb0ES3_N6thrust23THRUST_200600_302600_NS6detail15normal_iteratorINSB_10device_ptrIjEEEENSD_INSE_IS6_EEEESI_S6_NSB_4plusIvEENSB_8equal_toIvEES6_EE10hipError_tPvRmT2_T3_T4_T5_mT6_T7_P12ihipStream_tbENKUlT_T0_E_clISt17integral_constantIbLb0EES12_IbLb1EEEEDaSY_SZ_EUlSY_E_NS1_11comp_targetILNS1_3genE2ELNS1_11target_archE906ELNS1_3gpuE6ELNS1_3repE0EEENS1_30default_config_static_selectorELNS0_4arch9wavefront6targetE0EEEvT1_
	.globl	_ZN7rocprim17ROCPRIM_400000_NS6detail17trampoline_kernelINS0_14default_configENS1_27scan_by_key_config_selectorIj11FixedVectorIiLj8EEEEZZNS1_16scan_by_key_implILNS1_25lookback_scan_determinismE0ELb0ES3_N6thrust23THRUST_200600_302600_NS6detail15normal_iteratorINSB_10device_ptrIjEEEENSD_INSE_IS6_EEEESI_S6_NSB_4plusIvEENSB_8equal_toIvEES6_EE10hipError_tPvRmT2_T3_T4_T5_mT6_T7_P12ihipStream_tbENKUlT_T0_E_clISt17integral_constantIbLb0EES12_IbLb1EEEEDaSY_SZ_EUlSY_E_NS1_11comp_targetILNS1_3genE2ELNS1_11target_archE906ELNS1_3gpuE6ELNS1_3repE0EEENS1_30default_config_static_selectorELNS0_4arch9wavefront6targetE0EEEvT1_
	.p2align	8
	.type	_ZN7rocprim17ROCPRIM_400000_NS6detail17trampoline_kernelINS0_14default_configENS1_27scan_by_key_config_selectorIj11FixedVectorIiLj8EEEEZZNS1_16scan_by_key_implILNS1_25lookback_scan_determinismE0ELb0ES3_N6thrust23THRUST_200600_302600_NS6detail15normal_iteratorINSB_10device_ptrIjEEEENSD_INSE_IS6_EEEESI_S6_NSB_4plusIvEENSB_8equal_toIvEES6_EE10hipError_tPvRmT2_T3_T4_T5_mT6_T7_P12ihipStream_tbENKUlT_T0_E_clISt17integral_constantIbLb0EES12_IbLb1EEEEDaSY_SZ_EUlSY_E_NS1_11comp_targetILNS1_3genE2ELNS1_11target_archE906ELNS1_3gpuE6ELNS1_3repE0EEENS1_30default_config_static_selectorELNS0_4arch9wavefront6targetE0EEEvT1_,@function
_ZN7rocprim17ROCPRIM_400000_NS6detail17trampoline_kernelINS0_14default_configENS1_27scan_by_key_config_selectorIj11FixedVectorIiLj8EEEEZZNS1_16scan_by_key_implILNS1_25lookback_scan_determinismE0ELb0ES3_N6thrust23THRUST_200600_302600_NS6detail15normal_iteratorINSB_10device_ptrIjEEEENSD_INSE_IS6_EEEESI_S6_NSB_4plusIvEENSB_8equal_toIvEES6_EE10hipError_tPvRmT2_T3_T4_T5_mT6_T7_P12ihipStream_tbENKUlT_T0_E_clISt17integral_constantIbLb0EES12_IbLb1EEEEDaSY_SZ_EUlSY_E_NS1_11comp_targetILNS1_3genE2ELNS1_11target_archE906ELNS1_3gpuE6ELNS1_3repE0EEENS1_30default_config_static_selectorELNS0_4arch9wavefront6targetE0EEEvT1_: ; @_ZN7rocprim17ROCPRIM_400000_NS6detail17trampoline_kernelINS0_14default_configENS1_27scan_by_key_config_selectorIj11FixedVectorIiLj8EEEEZZNS1_16scan_by_key_implILNS1_25lookback_scan_determinismE0ELb0ES3_N6thrust23THRUST_200600_302600_NS6detail15normal_iteratorINSB_10device_ptrIjEEEENSD_INSE_IS6_EEEESI_S6_NSB_4plusIvEENSB_8equal_toIvEES6_EE10hipError_tPvRmT2_T3_T4_T5_mT6_T7_P12ihipStream_tbENKUlT_T0_E_clISt17integral_constantIbLb0EES12_IbLb1EEEEDaSY_SZ_EUlSY_E_NS1_11comp_targetILNS1_3genE2ELNS1_11target_archE906ELNS1_3gpuE6ELNS1_3repE0EEENS1_30default_config_static_selectorELNS0_4arch9wavefront6targetE0EEEvT1_
; %bb.0:
	.section	.rodata,"a",@progbits
	.p2align	6, 0x0
	.amdhsa_kernel _ZN7rocprim17ROCPRIM_400000_NS6detail17trampoline_kernelINS0_14default_configENS1_27scan_by_key_config_selectorIj11FixedVectorIiLj8EEEEZZNS1_16scan_by_key_implILNS1_25lookback_scan_determinismE0ELb0ES3_N6thrust23THRUST_200600_302600_NS6detail15normal_iteratorINSB_10device_ptrIjEEEENSD_INSE_IS6_EEEESI_S6_NSB_4plusIvEENSB_8equal_toIvEES6_EE10hipError_tPvRmT2_T3_T4_T5_mT6_T7_P12ihipStream_tbENKUlT_T0_E_clISt17integral_constantIbLb0EES12_IbLb1EEEEDaSY_SZ_EUlSY_E_NS1_11comp_targetILNS1_3genE2ELNS1_11target_archE906ELNS1_3gpuE6ELNS1_3repE0EEENS1_30default_config_static_selectorELNS0_4arch9wavefront6targetE0EEEvT1_
		.amdhsa_group_segment_fixed_size 0
		.amdhsa_private_segment_fixed_size 0
		.amdhsa_kernarg_size 160
		.amdhsa_user_sgpr_count 2
		.amdhsa_user_sgpr_dispatch_ptr 0
		.amdhsa_user_sgpr_queue_ptr 0
		.amdhsa_user_sgpr_kernarg_segment_ptr 1
		.amdhsa_user_sgpr_dispatch_id 0
		.amdhsa_user_sgpr_kernarg_preload_length 0
		.amdhsa_user_sgpr_kernarg_preload_offset 0
		.amdhsa_user_sgpr_private_segment_size 0
		.amdhsa_wavefront_size32 1
		.amdhsa_uses_dynamic_stack 0
		.amdhsa_enable_private_segment 0
		.amdhsa_system_sgpr_workgroup_id_x 1
		.amdhsa_system_sgpr_workgroup_id_y 0
		.amdhsa_system_sgpr_workgroup_id_z 0
		.amdhsa_system_sgpr_workgroup_info 0
		.amdhsa_system_vgpr_workitem_id 0
		.amdhsa_next_free_vgpr 1
		.amdhsa_next_free_sgpr 1
		.amdhsa_named_barrier_count 0
		.amdhsa_reserve_vcc 0
		.amdhsa_float_round_mode_32 0
		.amdhsa_float_round_mode_16_64 0
		.amdhsa_float_denorm_mode_32 3
		.amdhsa_float_denorm_mode_16_64 3
		.amdhsa_fp16_overflow 0
		.amdhsa_memory_ordered 1
		.amdhsa_forward_progress 1
		.amdhsa_inst_pref_size 0
		.amdhsa_round_robin_scheduling 0
		.amdhsa_exception_fp_ieee_invalid_op 0
		.amdhsa_exception_fp_denorm_src 0
		.amdhsa_exception_fp_ieee_div_zero 0
		.amdhsa_exception_fp_ieee_overflow 0
		.amdhsa_exception_fp_ieee_underflow 0
		.amdhsa_exception_fp_ieee_inexact 0
		.amdhsa_exception_int_div_zero 0
	.end_amdhsa_kernel
	.section	.text._ZN7rocprim17ROCPRIM_400000_NS6detail17trampoline_kernelINS0_14default_configENS1_27scan_by_key_config_selectorIj11FixedVectorIiLj8EEEEZZNS1_16scan_by_key_implILNS1_25lookback_scan_determinismE0ELb0ES3_N6thrust23THRUST_200600_302600_NS6detail15normal_iteratorINSB_10device_ptrIjEEEENSD_INSE_IS6_EEEESI_S6_NSB_4plusIvEENSB_8equal_toIvEES6_EE10hipError_tPvRmT2_T3_T4_T5_mT6_T7_P12ihipStream_tbENKUlT_T0_E_clISt17integral_constantIbLb0EES12_IbLb1EEEEDaSY_SZ_EUlSY_E_NS1_11comp_targetILNS1_3genE2ELNS1_11target_archE906ELNS1_3gpuE6ELNS1_3repE0EEENS1_30default_config_static_selectorELNS0_4arch9wavefront6targetE0EEEvT1_,"axG",@progbits,_ZN7rocprim17ROCPRIM_400000_NS6detail17trampoline_kernelINS0_14default_configENS1_27scan_by_key_config_selectorIj11FixedVectorIiLj8EEEEZZNS1_16scan_by_key_implILNS1_25lookback_scan_determinismE0ELb0ES3_N6thrust23THRUST_200600_302600_NS6detail15normal_iteratorINSB_10device_ptrIjEEEENSD_INSE_IS6_EEEESI_S6_NSB_4plusIvEENSB_8equal_toIvEES6_EE10hipError_tPvRmT2_T3_T4_T5_mT6_T7_P12ihipStream_tbENKUlT_T0_E_clISt17integral_constantIbLb0EES12_IbLb1EEEEDaSY_SZ_EUlSY_E_NS1_11comp_targetILNS1_3genE2ELNS1_11target_archE906ELNS1_3gpuE6ELNS1_3repE0EEENS1_30default_config_static_selectorELNS0_4arch9wavefront6targetE0EEEvT1_,comdat
.Lfunc_end2153:
	.size	_ZN7rocprim17ROCPRIM_400000_NS6detail17trampoline_kernelINS0_14default_configENS1_27scan_by_key_config_selectorIj11FixedVectorIiLj8EEEEZZNS1_16scan_by_key_implILNS1_25lookback_scan_determinismE0ELb0ES3_N6thrust23THRUST_200600_302600_NS6detail15normal_iteratorINSB_10device_ptrIjEEEENSD_INSE_IS6_EEEESI_S6_NSB_4plusIvEENSB_8equal_toIvEES6_EE10hipError_tPvRmT2_T3_T4_T5_mT6_T7_P12ihipStream_tbENKUlT_T0_E_clISt17integral_constantIbLb0EES12_IbLb1EEEEDaSY_SZ_EUlSY_E_NS1_11comp_targetILNS1_3genE2ELNS1_11target_archE906ELNS1_3gpuE6ELNS1_3repE0EEENS1_30default_config_static_selectorELNS0_4arch9wavefront6targetE0EEEvT1_, .Lfunc_end2153-_ZN7rocprim17ROCPRIM_400000_NS6detail17trampoline_kernelINS0_14default_configENS1_27scan_by_key_config_selectorIj11FixedVectorIiLj8EEEEZZNS1_16scan_by_key_implILNS1_25lookback_scan_determinismE0ELb0ES3_N6thrust23THRUST_200600_302600_NS6detail15normal_iteratorINSB_10device_ptrIjEEEENSD_INSE_IS6_EEEESI_S6_NSB_4plusIvEENSB_8equal_toIvEES6_EE10hipError_tPvRmT2_T3_T4_T5_mT6_T7_P12ihipStream_tbENKUlT_T0_E_clISt17integral_constantIbLb0EES12_IbLb1EEEEDaSY_SZ_EUlSY_E_NS1_11comp_targetILNS1_3genE2ELNS1_11target_archE906ELNS1_3gpuE6ELNS1_3repE0EEENS1_30default_config_static_selectorELNS0_4arch9wavefront6targetE0EEEvT1_
                                        ; -- End function
	.set _ZN7rocprim17ROCPRIM_400000_NS6detail17trampoline_kernelINS0_14default_configENS1_27scan_by_key_config_selectorIj11FixedVectorIiLj8EEEEZZNS1_16scan_by_key_implILNS1_25lookback_scan_determinismE0ELb0ES3_N6thrust23THRUST_200600_302600_NS6detail15normal_iteratorINSB_10device_ptrIjEEEENSD_INSE_IS6_EEEESI_S6_NSB_4plusIvEENSB_8equal_toIvEES6_EE10hipError_tPvRmT2_T3_T4_T5_mT6_T7_P12ihipStream_tbENKUlT_T0_E_clISt17integral_constantIbLb0EES12_IbLb1EEEEDaSY_SZ_EUlSY_E_NS1_11comp_targetILNS1_3genE2ELNS1_11target_archE906ELNS1_3gpuE6ELNS1_3repE0EEENS1_30default_config_static_selectorELNS0_4arch9wavefront6targetE0EEEvT1_.num_vgpr, 0
	.set _ZN7rocprim17ROCPRIM_400000_NS6detail17trampoline_kernelINS0_14default_configENS1_27scan_by_key_config_selectorIj11FixedVectorIiLj8EEEEZZNS1_16scan_by_key_implILNS1_25lookback_scan_determinismE0ELb0ES3_N6thrust23THRUST_200600_302600_NS6detail15normal_iteratorINSB_10device_ptrIjEEEENSD_INSE_IS6_EEEESI_S6_NSB_4plusIvEENSB_8equal_toIvEES6_EE10hipError_tPvRmT2_T3_T4_T5_mT6_T7_P12ihipStream_tbENKUlT_T0_E_clISt17integral_constantIbLb0EES12_IbLb1EEEEDaSY_SZ_EUlSY_E_NS1_11comp_targetILNS1_3genE2ELNS1_11target_archE906ELNS1_3gpuE6ELNS1_3repE0EEENS1_30default_config_static_selectorELNS0_4arch9wavefront6targetE0EEEvT1_.num_agpr, 0
	.set _ZN7rocprim17ROCPRIM_400000_NS6detail17trampoline_kernelINS0_14default_configENS1_27scan_by_key_config_selectorIj11FixedVectorIiLj8EEEEZZNS1_16scan_by_key_implILNS1_25lookback_scan_determinismE0ELb0ES3_N6thrust23THRUST_200600_302600_NS6detail15normal_iteratorINSB_10device_ptrIjEEEENSD_INSE_IS6_EEEESI_S6_NSB_4plusIvEENSB_8equal_toIvEES6_EE10hipError_tPvRmT2_T3_T4_T5_mT6_T7_P12ihipStream_tbENKUlT_T0_E_clISt17integral_constantIbLb0EES12_IbLb1EEEEDaSY_SZ_EUlSY_E_NS1_11comp_targetILNS1_3genE2ELNS1_11target_archE906ELNS1_3gpuE6ELNS1_3repE0EEENS1_30default_config_static_selectorELNS0_4arch9wavefront6targetE0EEEvT1_.numbered_sgpr, 0
	.set _ZN7rocprim17ROCPRIM_400000_NS6detail17trampoline_kernelINS0_14default_configENS1_27scan_by_key_config_selectorIj11FixedVectorIiLj8EEEEZZNS1_16scan_by_key_implILNS1_25lookback_scan_determinismE0ELb0ES3_N6thrust23THRUST_200600_302600_NS6detail15normal_iteratorINSB_10device_ptrIjEEEENSD_INSE_IS6_EEEESI_S6_NSB_4plusIvEENSB_8equal_toIvEES6_EE10hipError_tPvRmT2_T3_T4_T5_mT6_T7_P12ihipStream_tbENKUlT_T0_E_clISt17integral_constantIbLb0EES12_IbLb1EEEEDaSY_SZ_EUlSY_E_NS1_11comp_targetILNS1_3genE2ELNS1_11target_archE906ELNS1_3gpuE6ELNS1_3repE0EEENS1_30default_config_static_selectorELNS0_4arch9wavefront6targetE0EEEvT1_.num_named_barrier, 0
	.set _ZN7rocprim17ROCPRIM_400000_NS6detail17trampoline_kernelINS0_14default_configENS1_27scan_by_key_config_selectorIj11FixedVectorIiLj8EEEEZZNS1_16scan_by_key_implILNS1_25lookback_scan_determinismE0ELb0ES3_N6thrust23THRUST_200600_302600_NS6detail15normal_iteratorINSB_10device_ptrIjEEEENSD_INSE_IS6_EEEESI_S6_NSB_4plusIvEENSB_8equal_toIvEES6_EE10hipError_tPvRmT2_T3_T4_T5_mT6_T7_P12ihipStream_tbENKUlT_T0_E_clISt17integral_constantIbLb0EES12_IbLb1EEEEDaSY_SZ_EUlSY_E_NS1_11comp_targetILNS1_3genE2ELNS1_11target_archE906ELNS1_3gpuE6ELNS1_3repE0EEENS1_30default_config_static_selectorELNS0_4arch9wavefront6targetE0EEEvT1_.private_seg_size, 0
	.set _ZN7rocprim17ROCPRIM_400000_NS6detail17trampoline_kernelINS0_14default_configENS1_27scan_by_key_config_selectorIj11FixedVectorIiLj8EEEEZZNS1_16scan_by_key_implILNS1_25lookback_scan_determinismE0ELb0ES3_N6thrust23THRUST_200600_302600_NS6detail15normal_iteratorINSB_10device_ptrIjEEEENSD_INSE_IS6_EEEESI_S6_NSB_4plusIvEENSB_8equal_toIvEES6_EE10hipError_tPvRmT2_T3_T4_T5_mT6_T7_P12ihipStream_tbENKUlT_T0_E_clISt17integral_constantIbLb0EES12_IbLb1EEEEDaSY_SZ_EUlSY_E_NS1_11comp_targetILNS1_3genE2ELNS1_11target_archE906ELNS1_3gpuE6ELNS1_3repE0EEENS1_30default_config_static_selectorELNS0_4arch9wavefront6targetE0EEEvT1_.uses_vcc, 0
	.set _ZN7rocprim17ROCPRIM_400000_NS6detail17trampoline_kernelINS0_14default_configENS1_27scan_by_key_config_selectorIj11FixedVectorIiLj8EEEEZZNS1_16scan_by_key_implILNS1_25lookback_scan_determinismE0ELb0ES3_N6thrust23THRUST_200600_302600_NS6detail15normal_iteratorINSB_10device_ptrIjEEEENSD_INSE_IS6_EEEESI_S6_NSB_4plusIvEENSB_8equal_toIvEES6_EE10hipError_tPvRmT2_T3_T4_T5_mT6_T7_P12ihipStream_tbENKUlT_T0_E_clISt17integral_constantIbLb0EES12_IbLb1EEEEDaSY_SZ_EUlSY_E_NS1_11comp_targetILNS1_3genE2ELNS1_11target_archE906ELNS1_3gpuE6ELNS1_3repE0EEENS1_30default_config_static_selectorELNS0_4arch9wavefront6targetE0EEEvT1_.uses_flat_scratch, 0
	.set _ZN7rocprim17ROCPRIM_400000_NS6detail17trampoline_kernelINS0_14default_configENS1_27scan_by_key_config_selectorIj11FixedVectorIiLj8EEEEZZNS1_16scan_by_key_implILNS1_25lookback_scan_determinismE0ELb0ES3_N6thrust23THRUST_200600_302600_NS6detail15normal_iteratorINSB_10device_ptrIjEEEENSD_INSE_IS6_EEEESI_S6_NSB_4plusIvEENSB_8equal_toIvEES6_EE10hipError_tPvRmT2_T3_T4_T5_mT6_T7_P12ihipStream_tbENKUlT_T0_E_clISt17integral_constantIbLb0EES12_IbLb1EEEEDaSY_SZ_EUlSY_E_NS1_11comp_targetILNS1_3genE2ELNS1_11target_archE906ELNS1_3gpuE6ELNS1_3repE0EEENS1_30default_config_static_selectorELNS0_4arch9wavefront6targetE0EEEvT1_.has_dyn_sized_stack, 0
	.set _ZN7rocprim17ROCPRIM_400000_NS6detail17trampoline_kernelINS0_14default_configENS1_27scan_by_key_config_selectorIj11FixedVectorIiLj8EEEEZZNS1_16scan_by_key_implILNS1_25lookback_scan_determinismE0ELb0ES3_N6thrust23THRUST_200600_302600_NS6detail15normal_iteratorINSB_10device_ptrIjEEEENSD_INSE_IS6_EEEESI_S6_NSB_4plusIvEENSB_8equal_toIvEES6_EE10hipError_tPvRmT2_T3_T4_T5_mT6_T7_P12ihipStream_tbENKUlT_T0_E_clISt17integral_constantIbLb0EES12_IbLb1EEEEDaSY_SZ_EUlSY_E_NS1_11comp_targetILNS1_3genE2ELNS1_11target_archE906ELNS1_3gpuE6ELNS1_3repE0EEENS1_30default_config_static_selectorELNS0_4arch9wavefront6targetE0EEEvT1_.has_recursion, 0
	.set _ZN7rocprim17ROCPRIM_400000_NS6detail17trampoline_kernelINS0_14default_configENS1_27scan_by_key_config_selectorIj11FixedVectorIiLj8EEEEZZNS1_16scan_by_key_implILNS1_25lookback_scan_determinismE0ELb0ES3_N6thrust23THRUST_200600_302600_NS6detail15normal_iteratorINSB_10device_ptrIjEEEENSD_INSE_IS6_EEEESI_S6_NSB_4plusIvEENSB_8equal_toIvEES6_EE10hipError_tPvRmT2_T3_T4_T5_mT6_T7_P12ihipStream_tbENKUlT_T0_E_clISt17integral_constantIbLb0EES12_IbLb1EEEEDaSY_SZ_EUlSY_E_NS1_11comp_targetILNS1_3genE2ELNS1_11target_archE906ELNS1_3gpuE6ELNS1_3repE0EEENS1_30default_config_static_selectorELNS0_4arch9wavefront6targetE0EEEvT1_.has_indirect_call, 0
	.section	.AMDGPU.csdata,"",@progbits
; Kernel info:
; codeLenInByte = 0
; TotalNumSgprs: 0
; NumVgprs: 0
; ScratchSize: 0
; MemoryBound: 0
; FloatMode: 240
; IeeeMode: 1
; LDSByteSize: 0 bytes/workgroup (compile time only)
; SGPRBlocks: 0
; VGPRBlocks: 0
; NumSGPRsForWavesPerEU: 1
; NumVGPRsForWavesPerEU: 1
; NamedBarCnt: 0
; Occupancy: 16
; WaveLimiterHint : 0
; COMPUTE_PGM_RSRC2:SCRATCH_EN: 0
; COMPUTE_PGM_RSRC2:USER_SGPR: 2
; COMPUTE_PGM_RSRC2:TRAP_HANDLER: 0
; COMPUTE_PGM_RSRC2:TGID_X_EN: 1
; COMPUTE_PGM_RSRC2:TGID_Y_EN: 0
; COMPUTE_PGM_RSRC2:TGID_Z_EN: 0
; COMPUTE_PGM_RSRC2:TIDIG_COMP_CNT: 0
	.section	.text._ZN7rocprim17ROCPRIM_400000_NS6detail17trampoline_kernelINS0_14default_configENS1_27scan_by_key_config_selectorIj11FixedVectorIiLj8EEEEZZNS1_16scan_by_key_implILNS1_25lookback_scan_determinismE0ELb0ES3_N6thrust23THRUST_200600_302600_NS6detail15normal_iteratorINSB_10device_ptrIjEEEENSD_INSE_IS6_EEEESI_S6_NSB_4plusIvEENSB_8equal_toIvEES6_EE10hipError_tPvRmT2_T3_T4_T5_mT6_T7_P12ihipStream_tbENKUlT_T0_E_clISt17integral_constantIbLb0EES12_IbLb1EEEEDaSY_SZ_EUlSY_E_NS1_11comp_targetILNS1_3genE10ELNS1_11target_archE1200ELNS1_3gpuE4ELNS1_3repE0EEENS1_30default_config_static_selectorELNS0_4arch9wavefront6targetE0EEEvT1_,"axG",@progbits,_ZN7rocprim17ROCPRIM_400000_NS6detail17trampoline_kernelINS0_14default_configENS1_27scan_by_key_config_selectorIj11FixedVectorIiLj8EEEEZZNS1_16scan_by_key_implILNS1_25lookback_scan_determinismE0ELb0ES3_N6thrust23THRUST_200600_302600_NS6detail15normal_iteratorINSB_10device_ptrIjEEEENSD_INSE_IS6_EEEESI_S6_NSB_4plusIvEENSB_8equal_toIvEES6_EE10hipError_tPvRmT2_T3_T4_T5_mT6_T7_P12ihipStream_tbENKUlT_T0_E_clISt17integral_constantIbLb0EES12_IbLb1EEEEDaSY_SZ_EUlSY_E_NS1_11comp_targetILNS1_3genE10ELNS1_11target_archE1200ELNS1_3gpuE4ELNS1_3repE0EEENS1_30default_config_static_selectorELNS0_4arch9wavefront6targetE0EEEvT1_,comdat
	.protected	_ZN7rocprim17ROCPRIM_400000_NS6detail17trampoline_kernelINS0_14default_configENS1_27scan_by_key_config_selectorIj11FixedVectorIiLj8EEEEZZNS1_16scan_by_key_implILNS1_25lookback_scan_determinismE0ELb0ES3_N6thrust23THRUST_200600_302600_NS6detail15normal_iteratorINSB_10device_ptrIjEEEENSD_INSE_IS6_EEEESI_S6_NSB_4plusIvEENSB_8equal_toIvEES6_EE10hipError_tPvRmT2_T3_T4_T5_mT6_T7_P12ihipStream_tbENKUlT_T0_E_clISt17integral_constantIbLb0EES12_IbLb1EEEEDaSY_SZ_EUlSY_E_NS1_11comp_targetILNS1_3genE10ELNS1_11target_archE1200ELNS1_3gpuE4ELNS1_3repE0EEENS1_30default_config_static_selectorELNS0_4arch9wavefront6targetE0EEEvT1_ ; -- Begin function _ZN7rocprim17ROCPRIM_400000_NS6detail17trampoline_kernelINS0_14default_configENS1_27scan_by_key_config_selectorIj11FixedVectorIiLj8EEEEZZNS1_16scan_by_key_implILNS1_25lookback_scan_determinismE0ELb0ES3_N6thrust23THRUST_200600_302600_NS6detail15normal_iteratorINSB_10device_ptrIjEEEENSD_INSE_IS6_EEEESI_S6_NSB_4plusIvEENSB_8equal_toIvEES6_EE10hipError_tPvRmT2_T3_T4_T5_mT6_T7_P12ihipStream_tbENKUlT_T0_E_clISt17integral_constantIbLb0EES12_IbLb1EEEEDaSY_SZ_EUlSY_E_NS1_11comp_targetILNS1_3genE10ELNS1_11target_archE1200ELNS1_3gpuE4ELNS1_3repE0EEENS1_30default_config_static_selectorELNS0_4arch9wavefront6targetE0EEEvT1_
	.globl	_ZN7rocprim17ROCPRIM_400000_NS6detail17trampoline_kernelINS0_14default_configENS1_27scan_by_key_config_selectorIj11FixedVectorIiLj8EEEEZZNS1_16scan_by_key_implILNS1_25lookback_scan_determinismE0ELb0ES3_N6thrust23THRUST_200600_302600_NS6detail15normal_iteratorINSB_10device_ptrIjEEEENSD_INSE_IS6_EEEESI_S6_NSB_4plusIvEENSB_8equal_toIvEES6_EE10hipError_tPvRmT2_T3_T4_T5_mT6_T7_P12ihipStream_tbENKUlT_T0_E_clISt17integral_constantIbLb0EES12_IbLb1EEEEDaSY_SZ_EUlSY_E_NS1_11comp_targetILNS1_3genE10ELNS1_11target_archE1200ELNS1_3gpuE4ELNS1_3repE0EEENS1_30default_config_static_selectorELNS0_4arch9wavefront6targetE0EEEvT1_
	.p2align	8
	.type	_ZN7rocprim17ROCPRIM_400000_NS6detail17trampoline_kernelINS0_14default_configENS1_27scan_by_key_config_selectorIj11FixedVectorIiLj8EEEEZZNS1_16scan_by_key_implILNS1_25lookback_scan_determinismE0ELb0ES3_N6thrust23THRUST_200600_302600_NS6detail15normal_iteratorINSB_10device_ptrIjEEEENSD_INSE_IS6_EEEESI_S6_NSB_4plusIvEENSB_8equal_toIvEES6_EE10hipError_tPvRmT2_T3_T4_T5_mT6_T7_P12ihipStream_tbENKUlT_T0_E_clISt17integral_constantIbLb0EES12_IbLb1EEEEDaSY_SZ_EUlSY_E_NS1_11comp_targetILNS1_3genE10ELNS1_11target_archE1200ELNS1_3gpuE4ELNS1_3repE0EEENS1_30default_config_static_selectorELNS0_4arch9wavefront6targetE0EEEvT1_,@function
_ZN7rocprim17ROCPRIM_400000_NS6detail17trampoline_kernelINS0_14default_configENS1_27scan_by_key_config_selectorIj11FixedVectorIiLj8EEEEZZNS1_16scan_by_key_implILNS1_25lookback_scan_determinismE0ELb0ES3_N6thrust23THRUST_200600_302600_NS6detail15normal_iteratorINSB_10device_ptrIjEEEENSD_INSE_IS6_EEEESI_S6_NSB_4plusIvEENSB_8equal_toIvEES6_EE10hipError_tPvRmT2_T3_T4_T5_mT6_T7_P12ihipStream_tbENKUlT_T0_E_clISt17integral_constantIbLb0EES12_IbLb1EEEEDaSY_SZ_EUlSY_E_NS1_11comp_targetILNS1_3genE10ELNS1_11target_archE1200ELNS1_3gpuE4ELNS1_3repE0EEENS1_30default_config_static_selectorELNS0_4arch9wavefront6targetE0EEEvT1_: ; @_ZN7rocprim17ROCPRIM_400000_NS6detail17trampoline_kernelINS0_14default_configENS1_27scan_by_key_config_selectorIj11FixedVectorIiLj8EEEEZZNS1_16scan_by_key_implILNS1_25lookback_scan_determinismE0ELb0ES3_N6thrust23THRUST_200600_302600_NS6detail15normal_iteratorINSB_10device_ptrIjEEEENSD_INSE_IS6_EEEESI_S6_NSB_4plusIvEENSB_8equal_toIvEES6_EE10hipError_tPvRmT2_T3_T4_T5_mT6_T7_P12ihipStream_tbENKUlT_T0_E_clISt17integral_constantIbLb0EES12_IbLb1EEEEDaSY_SZ_EUlSY_E_NS1_11comp_targetILNS1_3genE10ELNS1_11target_archE1200ELNS1_3gpuE4ELNS1_3repE0EEENS1_30default_config_static_selectorELNS0_4arch9wavefront6targetE0EEEvT1_
; %bb.0:
	.section	.rodata,"a",@progbits
	.p2align	6, 0x0
	.amdhsa_kernel _ZN7rocprim17ROCPRIM_400000_NS6detail17trampoline_kernelINS0_14default_configENS1_27scan_by_key_config_selectorIj11FixedVectorIiLj8EEEEZZNS1_16scan_by_key_implILNS1_25lookback_scan_determinismE0ELb0ES3_N6thrust23THRUST_200600_302600_NS6detail15normal_iteratorINSB_10device_ptrIjEEEENSD_INSE_IS6_EEEESI_S6_NSB_4plusIvEENSB_8equal_toIvEES6_EE10hipError_tPvRmT2_T3_T4_T5_mT6_T7_P12ihipStream_tbENKUlT_T0_E_clISt17integral_constantIbLb0EES12_IbLb1EEEEDaSY_SZ_EUlSY_E_NS1_11comp_targetILNS1_3genE10ELNS1_11target_archE1200ELNS1_3gpuE4ELNS1_3repE0EEENS1_30default_config_static_selectorELNS0_4arch9wavefront6targetE0EEEvT1_
		.amdhsa_group_segment_fixed_size 0
		.amdhsa_private_segment_fixed_size 0
		.amdhsa_kernarg_size 160
		.amdhsa_user_sgpr_count 2
		.amdhsa_user_sgpr_dispatch_ptr 0
		.amdhsa_user_sgpr_queue_ptr 0
		.amdhsa_user_sgpr_kernarg_segment_ptr 1
		.amdhsa_user_sgpr_dispatch_id 0
		.amdhsa_user_sgpr_kernarg_preload_length 0
		.amdhsa_user_sgpr_kernarg_preload_offset 0
		.amdhsa_user_sgpr_private_segment_size 0
		.amdhsa_wavefront_size32 1
		.amdhsa_uses_dynamic_stack 0
		.amdhsa_enable_private_segment 0
		.amdhsa_system_sgpr_workgroup_id_x 1
		.amdhsa_system_sgpr_workgroup_id_y 0
		.amdhsa_system_sgpr_workgroup_id_z 0
		.amdhsa_system_sgpr_workgroup_info 0
		.amdhsa_system_vgpr_workitem_id 0
		.amdhsa_next_free_vgpr 1
		.amdhsa_next_free_sgpr 1
		.amdhsa_named_barrier_count 0
		.amdhsa_reserve_vcc 0
		.amdhsa_float_round_mode_32 0
		.amdhsa_float_round_mode_16_64 0
		.amdhsa_float_denorm_mode_32 3
		.amdhsa_float_denorm_mode_16_64 3
		.amdhsa_fp16_overflow 0
		.amdhsa_memory_ordered 1
		.amdhsa_forward_progress 1
		.amdhsa_inst_pref_size 0
		.amdhsa_round_robin_scheduling 0
		.amdhsa_exception_fp_ieee_invalid_op 0
		.amdhsa_exception_fp_denorm_src 0
		.amdhsa_exception_fp_ieee_div_zero 0
		.amdhsa_exception_fp_ieee_overflow 0
		.amdhsa_exception_fp_ieee_underflow 0
		.amdhsa_exception_fp_ieee_inexact 0
		.amdhsa_exception_int_div_zero 0
	.end_amdhsa_kernel
	.section	.text._ZN7rocprim17ROCPRIM_400000_NS6detail17trampoline_kernelINS0_14default_configENS1_27scan_by_key_config_selectorIj11FixedVectorIiLj8EEEEZZNS1_16scan_by_key_implILNS1_25lookback_scan_determinismE0ELb0ES3_N6thrust23THRUST_200600_302600_NS6detail15normal_iteratorINSB_10device_ptrIjEEEENSD_INSE_IS6_EEEESI_S6_NSB_4plusIvEENSB_8equal_toIvEES6_EE10hipError_tPvRmT2_T3_T4_T5_mT6_T7_P12ihipStream_tbENKUlT_T0_E_clISt17integral_constantIbLb0EES12_IbLb1EEEEDaSY_SZ_EUlSY_E_NS1_11comp_targetILNS1_3genE10ELNS1_11target_archE1200ELNS1_3gpuE4ELNS1_3repE0EEENS1_30default_config_static_selectorELNS0_4arch9wavefront6targetE0EEEvT1_,"axG",@progbits,_ZN7rocprim17ROCPRIM_400000_NS6detail17trampoline_kernelINS0_14default_configENS1_27scan_by_key_config_selectorIj11FixedVectorIiLj8EEEEZZNS1_16scan_by_key_implILNS1_25lookback_scan_determinismE0ELb0ES3_N6thrust23THRUST_200600_302600_NS6detail15normal_iteratorINSB_10device_ptrIjEEEENSD_INSE_IS6_EEEESI_S6_NSB_4plusIvEENSB_8equal_toIvEES6_EE10hipError_tPvRmT2_T3_T4_T5_mT6_T7_P12ihipStream_tbENKUlT_T0_E_clISt17integral_constantIbLb0EES12_IbLb1EEEEDaSY_SZ_EUlSY_E_NS1_11comp_targetILNS1_3genE10ELNS1_11target_archE1200ELNS1_3gpuE4ELNS1_3repE0EEENS1_30default_config_static_selectorELNS0_4arch9wavefront6targetE0EEEvT1_,comdat
.Lfunc_end2154:
	.size	_ZN7rocprim17ROCPRIM_400000_NS6detail17trampoline_kernelINS0_14default_configENS1_27scan_by_key_config_selectorIj11FixedVectorIiLj8EEEEZZNS1_16scan_by_key_implILNS1_25lookback_scan_determinismE0ELb0ES3_N6thrust23THRUST_200600_302600_NS6detail15normal_iteratorINSB_10device_ptrIjEEEENSD_INSE_IS6_EEEESI_S6_NSB_4plusIvEENSB_8equal_toIvEES6_EE10hipError_tPvRmT2_T3_T4_T5_mT6_T7_P12ihipStream_tbENKUlT_T0_E_clISt17integral_constantIbLb0EES12_IbLb1EEEEDaSY_SZ_EUlSY_E_NS1_11comp_targetILNS1_3genE10ELNS1_11target_archE1200ELNS1_3gpuE4ELNS1_3repE0EEENS1_30default_config_static_selectorELNS0_4arch9wavefront6targetE0EEEvT1_, .Lfunc_end2154-_ZN7rocprim17ROCPRIM_400000_NS6detail17trampoline_kernelINS0_14default_configENS1_27scan_by_key_config_selectorIj11FixedVectorIiLj8EEEEZZNS1_16scan_by_key_implILNS1_25lookback_scan_determinismE0ELb0ES3_N6thrust23THRUST_200600_302600_NS6detail15normal_iteratorINSB_10device_ptrIjEEEENSD_INSE_IS6_EEEESI_S6_NSB_4plusIvEENSB_8equal_toIvEES6_EE10hipError_tPvRmT2_T3_T4_T5_mT6_T7_P12ihipStream_tbENKUlT_T0_E_clISt17integral_constantIbLb0EES12_IbLb1EEEEDaSY_SZ_EUlSY_E_NS1_11comp_targetILNS1_3genE10ELNS1_11target_archE1200ELNS1_3gpuE4ELNS1_3repE0EEENS1_30default_config_static_selectorELNS0_4arch9wavefront6targetE0EEEvT1_
                                        ; -- End function
	.set _ZN7rocprim17ROCPRIM_400000_NS6detail17trampoline_kernelINS0_14default_configENS1_27scan_by_key_config_selectorIj11FixedVectorIiLj8EEEEZZNS1_16scan_by_key_implILNS1_25lookback_scan_determinismE0ELb0ES3_N6thrust23THRUST_200600_302600_NS6detail15normal_iteratorINSB_10device_ptrIjEEEENSD_INSE_IS6_EEEESI_S6_NSB_4plusIvEENSB_8equal_toIvEES6_EE10hipError_tPvRmT2_T3_T4_T5_mT6_T7_P12ihipStream_tbENKUlT_T0_E_clISt17integral_constantIbLb0EES12_IbLb1EEEEDaSY_SZ_EUlSY_E_NS1_11comp_targetILNS1_3genE10ELNS1_11target_archE1200ELNS1_3gpuE4ELNS1_3repE0EEENS1_30default_config_static_selectorELNS0_4arch9wavefront6targetE0EEEvT1_.num_vgpr, 0
	.set _ZN7rocprim17ROCPRIM_400000_NS6detail17trampoline_kernelINS0_14default_configENS1_27scan_by_key_config_selectorIj11FixedVectorIiLj8EEEEZZNS1_16scan_by_key_implILNS1_25lookback_scan_determinismE0ELb0ES3_N6thrust23THRUST_200600_302600_NS6detail15normal_iteratorINSB_10device_ptrIjEEEENSD_INSE_IS6_EEEESI_S6_NSB_4plusIvEENSB_8equal_toIvEES6_EE10hipError_tPvRmT2_T3_T4_T5_mT6_T7_P12ihipStream_tbENKUlT_T0_E_clISt17integral_constantIbLb0EES12_IbLb1EEEEDaSY_SZ_EUlSY_E_NS1_11comp_targetILNS1_3genE10ELNS1_11target_archE1200ELNS1_3gpuE4ELNS1_3repE0EEENS1_30default_config_static_selectorELNS0_4arch9wavefront6targetE0EEEvT1_.num_agpr, 0
	.set _ZN7rocprim17ROCPRIM_400000_NS6detail17trampoline_kernelINS0_14default_configENS1_27scan_by_key_config_selectorIj11FixedVectorIiLj8EEEEZZNS1_16scan_by_key_implILNS1_25lookback_scan_determinismE0ELb0ES3_N6thrust23THRUST_200600_302600_NS6detail15normal_iteratorINSB_10device_ptrIjEEEENSD_INSE_IS6_EEEESI_S6_NSB_4plusIvEENSB_8equal_toIvEES6_EE10hipError_tPvRmT2_T3_T4_T5_mT6_T7_P12ihipStream_tbENKUlT_T0_E_clISt17integral_constantIbLb0EES12_IbLb1EEEEDaSY_SZ_EUlSY_E_NS1_11comp_targetILNS1_3genE10ELNS1_11target_archE1200ELNS1_3gpuE4ELNS1_3repE0EEENS1_30default_config_static_selectorELNS0_4arch9wavefront6targetE0EEEvT1_.numbered_sgpr, 0
	.set _ZN7rocprim17ROCPRIM_400000_NS6detail17trampoline_kernelINS0_14default_configENS1_27scan_by_key_config_selectorIj11FixedVectorIiLj8EEEEZZNS1_16scan_by_key_implILNS1_25lookback_scan_determinismE0ELb0ES3_N6thrust23THRUST_200600_302600_NS6detail15normal_iteratorINSB_10device_ptrIjEEEENSD_INSE_IS6_EEEESI_S6_NSB_4plusIvEENSB_8equal_toIvEES6_EE10hipError_tPvRmT2_T3_T4_T5_mT6_T7_P12ihipStream_tbENKUlT_T0_E_clISt17integral_constantIbLb0EES12_IbLb1EEEEDaSY_SZ_EUlSY_E_NS1_11comp_targetILNS1_3genE10ELNS1_11target_archE1200ELNS1_3gpuE4ELNS1_3repE0EEENS1_30default_config_static_selectorELNS0_4arch9wavefront6targetE0EEEvT1_.num_named_barrier, 0
	.set _ZN7rocprim17ROCPRIM_400000_NS6detail17trampoline_kernelINS0_14default_configENS1_27scan_by_key_config_selectorIj11FixedVectorIiLj8EEEEZZNS1_16scan_by_key_implILNS1_25lookback_scan_determinismE0ELb0ES3_N6thrust23THRUST_200600_302600_NS6detail15normal_iteratorINSB_10device_ptrIjEEEENSD_INSE_IS6_EEEESI_S6_NSB_4plusIvEENSB_8equal_toIvEES6_EE10hipError_tPvRmT2_T3_T4_T5_mT6_T7_P12ihipStream_tbENKUlT_T0_E_clISt17integral_constantIbLb0EES12_IbLb1EEEEDaSY_SZ_EUlSY_E_NS1_11comp_targetILNS1_3genE10ELNS1_11target_archE1200ELNS1_3gpuE4ELNS1_3repE0EEENS1_30default_config_static_selectorELNS0_4arch9wavefront6targetE0EEEvT1_.private_seg_size, 0
	.set _ZN7rocprim17ROCPRIM_400000_NS6detail17trampoline_kernelINS0_14default_configENS1_27scan_by_key_config_selectorIj11FixedVectorIiLj8EEEEZZNS1_16scan_by_key_implILNS1_25lookback_scan_determinismE0ELb0ES3_N6thrust23THRUST_200600_302600_NS6detail15normal_iteratorINSB_10device_ptrIjEEEENSD_INSE_IS6_EEEESI_S6_NSB_4plusIvEENSB_8equal_toIvEES6_EE10hipError_tPvRmT2_T3_T4_T5_mT6_T7_P12ihipStream_tbENKUlT_T0_E_clISt17integral_constantIbLb0EES12_IbLb1EEEEDaSY_SZ_EUlSY_E_NS1_11comp_targetILNS1_3genE10ELNS1_11target_archE1200ELNS1_3gpuE4ELNS1_3repE0EEENS1_30default_config_static_selectorELNS0_4arch9wavefront6targetE0EEEvT1_.uses_vcc, 0
	.set _ZN7rocprim17ROCPRIM_400000_NS6detail17trampoline_kernelINS0_14default_configENS1_27scan_by_key_config_selectorIj11FixedVectorIiLj8EEEEZZNS1_16scan_by_key_implILNS1_25lookback_scan_determinismE0ELb0ES3_N6thrust23THRUST_200600_302600_NS6detail15normal_iteratorINSB_10device_ptrIjEEEENSD_INSE_IS6_EEEESI_S6_NSB_4plusIvEENSB_8equal_toIvEES6_EE10hipError_tPvRmT2_T3_T4_T5_mT6_T7_P12ihipStream_tbENKUlT_T0_E_clISt17integral_constantIbLb0EES12_IbLb1EEEEDaSY_SZ_EUlSY_E_NS1_11comp_targetILNS1_3genE10ELNS1_11target_archE1200ELNS1_3gpuE4ELNS1_3repE0EEENS1_30default_config_static_selectorELNS0_4arch9wavefront6targetE0EEEvT1_.uses_flat_scratch, 0
	.set _ZN7rocprim17ROCPRIM_400000_NS6detail17trampoline_kernelINS0_14default_configENS1_27scan_by_key_config_selectorIj11FixedVectorIiLj8EEEEZZNS1_16scan_by_key_implILNS1_25lookback_scan_determinismE0ELb0ES3_N6thrust23THRUST_200600_302600_NS6detail15normal_iteratorINSB_10device_ptrIjEEEENSD_INSE_IS6_EEEESI_S6_NSB_4plusIvEENSB_8equal_toIvEES6_EE10hipError_tPvRmT2_T3_T4_T5_mT6_T7_P12ihipStream_tbENKUlT_T0_E_clISt17integral_constantIbLb0EES12_IbLb1EEEEDaSY_SZ_EUlSY_E_NS1_11comp_targetILNS1_3genE10ELNS1_11target_archE1200ELNS1_3gpuE4ELNS1_3repE0EEENS1_30default_config_static_selectorELNS0_4arch9wavefront6targetE0EEEvT1_.has_dyn_sized_stack, 0
	.set _ZN7rocprim17ROCPRIM_400000_NS6detail17trampoline_kernelINS0_14default_configENS1_27scan_by_key_config_selectorIj11FixedVectorIiLj8EEEEZZNS1_16scan_by_key_implILNS1_25lookback_scan_determinismE0ELb0ES3_N6thrust23THRUST_200600_302600_NS6detail15normal_iteratorINSB_10device_ptrIjEEEENSD_INSE_IS6_EEEESI_S6_NSB_4plusIvEENSB_8equal_toIvEES6_EE10hipError_tPvRmT2_T3_T4_T5_mT6_T7_P12ihipStream_tbENKUlT_T0_E_clISt17integral_constantIbLb0EES12_IbLb1EEEEDaSY_SZ_EUlSY_E_NS1_11comp_targetILNS1_3genE10ELNS1_11target_archE1200ELNS1_3gpuE4ELNS1_3repE0EEENS1_30default_config_static_selectorELNS0_4arch9wavefront6targetE0EEEvT1_.has_recursion, 0
	.set _ZN7rocprim17ROCPRIM_400000_NS6detail17trampoline_kernelINS0_14default_configENS1_27scan_by_key_config_selectorIj11FixedVectorIiLj8EEEEZZNS1_16scan_by_key_implILNS1_25lookback_scan_determinismE0ELb0ES3_N6thrust23THRUST_200600_302600_NS6detail15normal_iteratorINSB_10device_ptrIjEEEENSD_INSE_IS6_EEEESI_S6_NSB_4plusIvEENSB_8equal_toIvEES6_EE10hipError_tPvRmT2_T3_T4_T5_mT6_T7_P12ihipStream_tbENKUlT_T0_E_clISt17integral_constantIbLb0EES12_IbLb1EEEEDaSY_SZ_EUlSY_E_NS1_11comp_targetILNS1_3genE10ELNS1_11target_archE1200ELNS1_3gpuE4ELNS1_3repE0EEENS1_30default_config_static_selectorELNS0_4arch9wavefront6targetE0EEEvT1_.has_indirect_call, 0
	.section	.AMDGPU.csdata,"",@progbits
; Kernel info:
; codeLenInByte = 0
; TotalNumSgprs: 0
; NumVgprs: 0
; ScratchSize: 0
; MemoryBound: 0
; FloatMode: 240
; IeeeMode: 1
; LDSByteSize: 0 bytes/workgroup (compile time only)
; SGPRBlocks: 0
; VGPRBlocks: 0
; NumSGPRsForWavesPerEU: 1
; NumVGPRsForWavesPerEU: 1
; NamedBarCnt: 0
; Occupancy: 16
; WaveLimiterHint : 0
; COMPUTE_PGM_RSRC2:SCRATCH_EN: 0
; COMPUTE_PGM_RSRC2:USER_SGPR: 2
; COMPUTE_PGM_RSRC2:TRAP_HANDLER: 0
; COMPUTE_PGM_RSRC2:TGID_X_EN: 1
; COMPUTE_PGM_RSRC2:TGID_Y_EN: 0
; COMPUTE_PGM_RSRC2:TGID_Z_EN: 0
; COMPUTE_PGM_RSRC2:TIDIG_COMP_CNT: 0
	.section	.text._ZN7rocprim17ROCPRIM_400000_NS6detail17trampoline_kernelINS0_14default_configENS1_27scan_by_key_config_selectorIj11FixedVectorIiLj8EEEEZZNS1_16scan_by_key_implILNS1_25lookback_scan_determinismE0ELb0ES3_N6thrust23THRUST_200600_302600_NS6detail15normal_iteratorINSB_10device_ptrIjEEEENSD_INSE_IS6_EEEESI_S6_NSB_4plusIvEENSB_8equal_toIvEES6_EE10hipError_tPvRmT2_T3_T4_T5_mT6_T7_P12ihipStream_tbENKUlT_T0_E_clISt17integral_constantIbLb0EES12_IbLb1EEEEDaSY_SZ_EUlSY_E_NS1_11comp_targetILNS1_3genE9ELNS1_11target_archE1100ELNS1_3gpuE3ELNS1_3repE0EEENS1_30default_config_static_selectorELNS0_4arch9wavefront6targetE0EEEvT1_,"axG",@progbits,_ZN7rocprim17ROCPRIM_400000_NS6detail17trampoline_kernelINS0_14default_configENS1_27scan_by_key_config_selectorIj11FixedVectorIiLj8EEEEZZNS1_16scan_by_key_implILNS1_25lookback_scan_determinismE0ELb0ES3_N6thrust23THRUST_200600_302600_NS6detail15normal_iteratorINSB_10device_ptrIjEEEENSD_INSE_IS6_EEEESI_S6_NSB_4plusIvEENSB_8equal_toIvEES6_EE10hipError_tPvRmT2_T3_T4_T5_mT6_T7_P12ihipStream_tbENKUlT_T0_E_clISt17integral_constantIbLb0EES12_IbLb1EEEEDaSY_SZ_EUlSY_E_NS1_11comp_targetILNS1_3genE9ELNS1_11target_archE1100ELNS1_3gpuE3ELNS1_3repE0EEENS1_30default_config_static_selectorELNS0_4arch9wavefront6targetE0EEEvT1_,comdat
	.protected	_ZN7rocprim17ROCPRIM_400000_NS6detail17trampoline_kernelINS0_14default_configENS1_27scan_by_key_config_selectorIj11FixedVectorIiLj8EEEEZZNS1_16scan_by_key_implILNS1_25lookback_scan_determinismE0ELb0ES3_N6thrust23THRUST_200600_302600_NS6detail15normal_iteratorINSB_10device_ptrIjEEEENSD_INSE_IS6_EEEESI_S6_NSB_4plusIvEENSB_8equal_toIvEES6_EE10hipError_tPvRmT2_T3_T4_T5_mT6_T7_P12ihipStream_tbENKUlT_T0_E_clISt17integral_constantIbLb0EES12_IbLb1EEEEDaSY_SZ_EUlSY_E_NS1_11comp_targetILNS1_3genE9ELNS1_11target_archE1100ELNS1_3gpuE3ELNS1_3repE0EEENS1_30default_config_static_selectorELNS0_4arch9wavefront6targetE0EEEvT1_ ; -- Begin function _ZN7rocprim17ROCPRIM_400000_NS6detail17trampoline_kernelINS0_14default_configENS1_27scan_by_key_config_selectorIj11FixedVectorIiLj8EEEEZZNS1_16scan_by_key_implILNS1_25lookback_scan_determinismE0ELb0ES3_N6thrust23THRUST_200600_302600_NS6detail15normal_iteratorINSB_10device_ptrIjEEEENSD_INSE_IS6_EEEESI_S6_NSB_4plusIvEENSB_8equal_toIvEES6_EE10hipError_tPvRmT2_T3_T4_T5_mT6_T7_P12ihipStream_tbENKUlT_T0_E_clISt17integral_constantIbLb0EES12_IbLb1EEEEDaSY_SZ_EUlSY_E_NS1_11comp_targetILNS1_3genE9ELNS1_11target_archE1100ELNS1_3gpuE3ELNS1_3repE0EEENS1_30default_config_static_selectorELNS0_4arch9wavefront6targetE0EEEvT1_
	.globl	_ZN7rocprim17ROCPRIM_400000_NS6detail17trampoline_kernelINS0_14default_configENS1_27scan_by_key_config_selectorIj11FixedVectorIiLj8EEEEZZNS1_16scan_by_key_implILNS1_25lookback_scan_determinismE0ELb0ES3_N6thrust23THRUST_200600_302600_NS6detail15normal_iteratorINSB_10device_ptrIjEEEENSD_INSE_IS6_EEEESI_S6_NSB_4plusIvEENSB_8equal_toIvEES6_EE10hipError_tPvRmT2_T3_T4_T5_mT6_T7_P12ihipStream_tbENKUlT_T0_E_clISt17integral_constantIbLb0EES12_IbLb1EEEEDaSY_SZ_EUlSY_E_NS1_11comp_targetILNS1_3genE9ELNS1_11target_archE1100ELNS1_3gpuE3ELNS1_3repE0EEENS1_30default_config_static_selectorELNS0_4arch9wavefront6targetE0EEEvT1_
	.p2align	8
	.type	_ZN7rocprim17ROCPRIM_400000_NS6detail17trampoline_kernelINS0_14default_configENS1_27scan_by_key_config_selectorIj11FixedVectorIiLj8EEEEZZNS1_16scan_by_key_implILNS1_25lookback_scan_determinismE0ELb0ES3_N6thrust23THRUST_200600_302600_NS6detail15normal_iteratorINSB_10device_ptrIjEEEENSD_INSE_IS6_EEEESI_S6_NSB_4plusIvEENSB_8equal_toIvEES6_EE10hipError_tPvRmT2_T3_T4_T5_mT6_T7_P12ihipStream_tbENKUlT_T0_E_clISt17integral_constantIbLb0EES12_IbLb1EEEEDaSY_SZ_EUlSY_E_NS1_11comp_targetILNS1_3genE9ELNS1_11target_archE1100ELNS1_3gpuE3ELNS1_3repE0EEENS1_30default_config_static_selectorELNS0_4arch9wavefront6targetE0EEEvT1_,@function
_ZN7rocprim17ROCPRIM_400000_NS6detail17trampoline_kernelINS0_14default_configENS1_27scan_by_key_config_selectorIj11FixedVectorIiLj8EEEEZZNS1_16scan_by_key_implILNS1_25lookback_scan_determinismE0ELb0ES3_N6thrust23THRUST_200600_302600_NS6detail15normal_iteratorINSB_10device_ptrIjEEEENSD_INSE_IS6_EEEESI_S6_NSB_4plusIvEENSB_8equal_toIvEES6_EE10hipError_tPvRmT2_T3_T4_T5_mT6_T7_P12ihipStream_tbENKUlT_T0_E_clISt17integral_constantIbLb0EES12_IbLb1EEEEDaSY_SZ_EUlSY_E_NS1_11comp_targetILNS1_3genE9ELNS1_11target_archE1100ELNS1_3gpuE3ELNS1_3repE0EEENS1_30default_config_static_selectorELNS0_4arch9wavefront6targetE0EEEvT1_: ; @_ZN7rocprim17ROCPRIM_400000_NS6detail17trampoline_kernelINS0_14default_configENS1_27scan_by_key_config_selectorIj11FixedVectorIiLj8EEEEZZNS1_16scan_by_key_implILNS1_25lookback_scan_determinismE0ELb0ES3_N6thrust23THRUST_200600_302600_NS6detail15normal_iteratorINSB_10device_ptrIjEEEENSD_INSE_IS6_EEEESI_S6_NSB_4plusIvEENSB_8equal_toIvEES6_EE10hipError_tPvRmT2_T3_T4_T5_mT6_T7_P12ihipStream_tbENKUlT_T0_E_clISt17integral_constantIbLb0EES12_IbLb1EEEEDaSY_SZ_EUlSY_E_NS1_11comp_targetILNS1_3genE9ELNS1_11target_archE1100ELNS1_3gpuE3ELNS1_3repE0EEENS1_30default_config_static_selectorELNS0_4arch9wavefront6targetE0EEEvT1_
; %bb.0:
	.section	.rodata,"a",@progbits
	.p2align	6, 0x0
	.amdhsa_kernel _ZN7rocprim17ROCPRIM_400000_NS6detail17trampoline_kernelINS0_14default_configENS1_27scan_by_key_config_selectorIj11FixedVectorIiLj8EEEEZZNS1_16scan_by_key_implILNS1_25lookback_scan_determinismE0ELb0ES3_N6thrust23THRUST_200600_302600_NS6detail15normal_iteratorINSB_10device_ptrIjEEEENSD_INSE_IS6_EEEESI_S6_NSB_4plusIvEENSB_8equal_toIvEES6_EE10hipError_tPvRmT2_T3_T4_T5_mT6_T7_P12ihipStream_tbENKUlT_T0_E_clISt17integral_constantIbLb0EES12_IbLb1EEEEDaSY_SZ_EUlSY_E_NS1_11comp_targetILNS1_3genE9ELNS1_11target_archE1100ELNS1_3gpuE3ELNS1_3repE0EEENS1_30default_config_static_selectorELNS0_4arch9wavefront6targetE0EEEvT1_
		.amdhsa_group_segment_fixed_size 0
		.amdhsa_private_segment_fixed_size 0
		.amdhsa_kernarg_size 160
		.amdhsa_user_sgpr_count 2
		.amdhsa_user_sgpr_dispatch_ptr 0
		.amdhsa_user_sgpr_queue_ptr 0
		.amdhsa_user_sgpr_kernarg_segment_ptr 1
		.amdhsa_user_sgpr_dispatch_id 0
		.amdhsa_user_sgpr_kernarg_preload_length 0
		.amdhsa_user_sgpr_kernarg_preload_offset 0
		.amdhsa_user_sgpr_private_segment_size 0
		.amdhsa_wavefront_size32 1
		.amdhsa_uses_dynamic_stack 0
		.amdhsa_enable_private_segment 0
		.amdhsa_system_sgpr_workgroup_id_x 1
		.amdhsa_system_sgpr_workgroup_id_y 0
		.amdhsa_system_sgpr_workgroup_id_z 0
		.amdhsa_system_sgpr_workgroup_info 0
		.amdhsa_system_vgpr_workitem_id 0
		.amdhsa_next_free_vgpr 1
		.amdhsa_next_free_sgpr 1
		.amdhsa_named_barrier_count 0
		.amdhsa_reserve_vcc 0
		.amdhsa_float_round_mode_32 0
		.amdhsa_float_round_mode_16_64 0
		.amdhsa_float_denorm_mode_32 3
		.amdhsa_float_denorm_mode_16_64 3
		.amdhsa_fp16_overflow 0
		.amdhsa_memory_ordered 1
		.amdhsa_forward_progress 1
		.amdhsa_inst_pref_size 0
		.amdhsa_round_robin_scheduling 0
		.amdhsa_exception_fp_ieee_invalid_op 0
		.amdhsa_exception_fp_denorm_src 0
		.amdhsa_exception_fp_ieee_div_zero 0
		.amdhsa_exception_fp_ieee_overflow 0
		.amdhsa_exception_fp_ieee_underflow 0
		.amdhsa_exception_fp_ieee_inexact 0
		.amdhsa_exception_int_div_zero 0
	.end_amdhsa_kernel
	.section	.text._ZN7rocprim17ROCPRIM_400000_NS6detail17trampoline_kernelINS0_14default_configENS1_27scan_by_key_config_selectorIj11FixedVectorIiLj8EEEEZZNS1_16scan_by_key_implILNS1_25lookback_scan_determinismE0ELb0ES3_N6thrust23THRUST_200600_302600_NS6detail15normal_iteratorINSB_10device_ptrIjEEEENSD_INSE_IS6_EEEESI_S6_NSB_4plusIvEENSB_8equal_toIvEES6_EE10hipError_tPvRmT2_T3_T4_T5_mT6_T7_P12ihipStream_tbENKUlT_T0_E_clISt17integral_constantIbLb0EES12_IbLb1EEEEDaSY_SZ_EUlSY_E_NS1_11comp_targetILNS1_3genE9ELNS1_11target_archE1100ELNS1_3gpuE3ELNS1_3repE0EEENS1_30default_config_static_selectorELNS0_4arch9wavefront6targetE0EEEvT1_,"axG",@progbits,_ZN7rocprim17ROCPRIM_400000_NS6detail17trampoline_kernelINS0_14default_configENS1_27scan_by_key_config_selectorIj11FixedVectorIiLj8EEEEZZNS1_16scan_by_key_implILNS1_25lookback_scan_determinismE0ELb0ES3_N6thrust23THRUST_200600_302600_NS6detail15normal_iteratorINSB_10device_ptrIjEEEENSD_INSE_IS6_EEEESI_S6_NSB_4plusIvEENSB_8equal_toIvEES6_EE10hipError_tPvRmT2_T3_T4_T5_mT6_T7_P12ihipStream_tbENKUlT_T0_E_clISt17integral_constantIbLb0EES12_IbLb1EEEEDaSY_SZ_EUlSY_E_NS1_11comp_targetILNS1_3genE9ELNS1_11target_archE1100ELNS1_3gpuE3ELNS1_3repE0EEENS1_30default_config_static_selectorELNS0_4arch9wavefront6targetE0EEEvT1_,comdat
.Lfunc_end2155:
	.size	_ZN7rocprim17ROCPRIM_400000_NS6detail17trampoline_kernelINS0_14default_configENS1_27scan_by_key_config_selectorIj11FixedVectorIiLj8EEEEZZNS1_16scan_by_key_implILNS1_25lookback_scan_determinismE0ELb0ES3_N6thrust23THRUST_200600_302600_NS6detail15normal_iteratorINSB_10device_ptrIjEEEENSD_INSE_IS6_EEEESI_S6_NSB_4plusIvEENSB_8equal_toIvEES6_EE10hipError_tPvRmT2_T3_T4_T5_mT6_T7_P12ihipStream_tbENKUlT_T0_E_clISt17integral_constantIbLb0EES12_IbLb1EEEEDaSY_SZ_EUlSY_E_NS1_11comp_targetILNS1_3genE9ELNS1_11target_archE1100ELNS1_3gpuE3ELNS1_3repE0EEENS1_30default_config_static_selectorELNS0_4arch9wavefront6targetE0EEEvT1_, .Lfunc_end2155-_ZN7rocprim17ROCPRIM_400000_NS6detail17trampoline_kernelINS0_14default_configENS1_27scan_by_key_config_selectorIj11FixedVectorIiLj8EEEEZZNS1_16scan_by_key_implILNS1_25lookback_scan_determinismE0ELb0ES3_N6thrust23THRUST_200600_302600_NS6detail15normal_iteratorINSB_10device_ptrIjEEEENSD_INSE_IS6_EEEESI_S6_NSB_4plusIvEENSB_8equal_toIvEES6_EE10hipError_tPvRmT2_T3_T4_T5_mT6_T7_P12ihipStream_tbENKUlT_T0_E_clISt17integral_constantIbLb0EES12_IbLb1EEEEDaSY_SZ_EUlSY_E_NS1_11comp_targetILNS1_3genE9ELNS1_11target_archE1100ELNS1_3gpuE3ELNS1_3repE0EEENS1_30default_config_static_selectorELNS0_4arch9wavefront6targetE0EEEvT1_
                                        ; -- End function
	.set _ZN7rocprim17ROCPRIM_400000_NS6detail17trampoline_kernelINS0_14default_configENS1_27scan_by_key_config_selectorIj11FixedVectorIiLj8EEEEZZNS1_16scan_by_key_implILNS1_25lookback_scan_determinismE0ELb0ES3_N6thrust23THRUST_200600_302600_NS6detail15normal_iteratorINSB_10device_ptrIjEEEENSD_INSE_IS6_EEEESI_S6_NSB_4plusIvEENSB_8equal_toIvEES6_EE10hipError_tPvRmT2_T3_T4_T5_mT6_T7_P12ihipStream_tbENKUlT_T0_E_clISt17integral_constantIbLb0EES12_IbLb1EEEEDaSY_SZ_EUlSY_E_NS1_11comp_targetILNS1_3genE9ELNS1_11target_archE1100ELNS1_3gpuE3ELNS1_3repE0EEENS1_30default_config_static_selectorELNS0_4arch9wavefront6targetE0EEEvT1_.num_vgpr, 0
	.set _ZN7rocprim17ROCPRIM_400000_NS6detail17trampoline_kernelINS0_14default_configENS1_27scan_by_key_config_selectorIj11FixedVectorIiLj8EEEEZZNS1_16scan_by_key_implILNS1_25lookback_scan_determinismE0ELb0ES3_N6thrust23THRUST_200600_302600_NS6detail15normal_iteratorINSB_10device_ptrIjEEEENSD_INSE_IS6_EEEESI_S6_NSB_4plusIvEENSB_8equal_toIvEES6_EE10hipError_tPvRmT2_T3_T4_T5_mT6_T7_P12ihipStream_tbENKUlT_T0_E_clISt17integral_constantIbLb0EES12_IbLb1EEEEDaSY_SZ_EUlSY_E_NS1_11comp_targetILNS1_3genE9ELNS1_11target_archE1100ELNS1_3gpuE3ELNS1_3repE0EEENS1_30default_config_static_selectorELNS0_4arch9wavefront6targetE0EEEvT1_.num_agpr, 0
	.set _ZN7rocprim17ROCPRIM_400000_NS6detail17trampoline_kernelINS0_14default_configENS1_27scan_by_key_config_selectorIj11FixedVectorIiLj8EEEEZZNS1_16scan_by_key_implILNS1_25lookback_scan_determinismE0ELb0ES3_N6thrust23THRUST_200600_302600_NS6detail15normal_iteratorINSB_10device_ptrIjEEEENSD_INSE_IS6_EEEESI_S6_NSB_4plusIvEENSB_8equal_toIvEES6_EE10hipError_tPvRmT2_T3_T4_T5_mT6_T7_P12ihipStream_tbENKUlT_T0_E_clISt17integral_constantIbLb0EES12_IbLb1EEEEDaSY_SZ_EUlSY_E_NS1_11comp_targetILNS1_3genE9ELNS1_11target_archE1100ELNS1_3gpuE3ELNS1_3repE0EEENS1_30default_config_static_selectorELNS0_4arch9wavefront6targetE0EEEvT1_.numbered_sgpr, 0
	.set _ZN7rocprim17ROCPRIM_400000_NS6detail17trampoline_kernelINS0_14default_configENS1_27scan_by_key_config_selectorIj11FixedVectorIiLj8EEEEZZNS1_16scan_by_key_implILNS1_25lookback_scan_determinismE0ELb0ES3_N6thrust23THRUST_200600_302600_NS6detail15normal_iteratorINSB_10device_ptrIjEEEENSD_INSE_IS6_EEEESI_S6_NSB_4plusIvEENSB_8equal_toIvEES6_EE10hipError_tPvRmT2_T3_T4_T5_mT6_T7_P12ihipStream_tbENKUlT_T0_E_clISt17integral_constantIbLb0EES12_IbLb1EEEEDaSY_SZ_EUlSY_E_NS1_11comp_targetILNS1_3genE9ELNS1_11target_archE1100ELNS1_3gpuE3ELNS1_3repE0EEENS1_30default_config_static_selectorELNS0_4arch9wavefront6targetE0EEEvT1_.num_named_barrier, 0
	.set _ZN7rocprim17ROCPRIM_400000_NS6detail17trampoline_kernelINS0_14default_configENS1_27scan_by_key_config_selectorIj11FixedVectorIiLj8EEEEZZNS1_16scan_by_key_implILNS1_25lookback_scan_determinismE0ELb0ES3_N6thrust23THRUST_200600_302600_NS6detail15normal_iteratorINSB_10device_ptrIjEEEENSD_INSE_IS6_EEEESI_S6_NSB_4plusIvEENSB_8equal_toIvEES6_EE10hipError_tPvRmT2_T3_T4_T5_mT6_T7_P12ihipStream_tbENKUlT_T0_E_clISt17integral_constantIbLb0EES12_IbLb1EEEEDaSY_SZ_EUlSY_E_NS1_11comp_targetILNS1_3genE9ELNS1_11target_archE1100ELNS1_3gpuE3ELNS1_3repE0EEENS1_30default_config_static_selectorELNS0_4arch9wavefront6targetE0EEEvT1_.private_seg_size, 0
	.set _ZN7rocprim17ROCPRIM_400000_NS6detail17trampoline_kernelINS0_14default_configENS1_27scan_by_key_config_selectorIj11FixedVectorIiLj8EEEEZZNS1_16scan_by_key_implILNS1_25lookback_scan_determinismE0ELb0ES3_N6thrust23THRUST_200600_302600_NS6detail15normal_iteratorINSB_10device_ptrIjEEEENSD_INSE_IS6_EEEESI_S6_NSB_4plusIvEENSB_8equal_toIvEES6_EE10hipError_tPvRmT2_T3_T4_T5_mT6_T7_P12ihipStream_tbENKUlT_T0_E_clISt17integral_constantIbLb0EES12_IbLb1EEEEDaSY_SZ_EUlSY_E_NS1_11comp_targetILNS1_3genE9ELNS1_11target_archE1100ELNS1_3gpuE3ELNS1_3repE0EEENS1_30default_config_static_selectorELNS0_4arch9wavefront6targetE0EEEvT1_.uses_vcc, 0
	.set _ZN7rocprim17ROCPRIM_400000_NS6detail17trampoline_kernelINS0_14default_configENS1_27scan_by_key_config_selectorIj11FixedVectorIiLj8EEEEZZNS1_16scan_by_key_implILNS1_25lookback_scan_determinismE0ELb0ES3_N6thrust23THRUST_200600_302600_NS6detail15normal_iteratorINSB_10device_ptrIjEEEENSD_INSE_IS6_EEEESI_S6_NSB_4plusIvEENSB_8equal_toIvEES6_EE10hipError_tPvRmT2_T3_T4_T5_mT6_T7_P12ihipStream_tbENKUlT_T0_E_clISt17integral_constantIbLb0EES12_IbLb1EEEEDaSY_SZ_EUlSY_E_NS1_11comp_targetILNS1_3genE9ELNS1_11target_archE1100ELNS1_3gpuE3ELNS1_3repE0EEENS1_30default_config_static_selectorELNS0_4arch9wavefront6targetE0EEEvT1_.uses_flat_scratch, 0
	.set _ZN7rocprim17ROCPRIM_400000_NS6detail17trampoline_kernelINS0_14default_configENS1_27scan_by_key_config_selectorIj11FixedVectorIiLj8EEEEZZNS1_16scan_by_key_implILNS1_25lookback_scan_determinismE0ELb0ES3_N6thrust23THRUST_200600_302600_NS6detail15normal_iteratorINSB_10device_ptrIjEEEENSD_INSE_IS6_EEEESI_S6_NSB_4plusIvEENSB_8equal_toIvEES6_EE10hipError_tPvRmT2_T3_T4_T5_mT6_T7_P12ihipStream_tbENKUlT_T0_E_clISt17integral_constantIbLb0EES12_IbLb1EEEEDaSY_SZ_EUlSY_E_NS1_11comp_targetILNS1_3genE9ELNS1_11target_archE1100ELNS1_3gpuE3ELNS1_3repE0EEENS1_30default_config_static_selectorELNS0_4arch9wavefront6targetE0EEEvT1_.has_dyn_sized_stack, 0
	.set _ZN7rocprim17ROCPRIM_400000_NS6detail17trampoline_kernelINS0_14default_configENS1_27scan_by_key_config_selectorIj11FixedVectorIiLj8EEEEZZNS1_16scan_by_key_implILNS1_25lookback_scan_determinismE0ELb0ES3_N6thrust23THRUST_200600_302600_NS6detail15normal_iteratorINSB_10device_ptrIjEEEENSD_INSE_IS6_EEEESI_S6_NSB_4plusIvEENSB_8equal_toIvEES6_EE10hipError_tPvRmT2_T3_T4_T5_mT6_T7_P12ihipStream_tbENKUlT_T0_E_clISt17integral_constantIbLb0EES12_IbLb1EEEEDaSY_SZ_EUlSY_E_NS1_11comp_targetILNS1_3genE9ELNS1_11target_archE1100ELNS1_3gpuE3ELNS1_3repE0EEENS1_30default_config_static_selectorELNS0_4arch9wavefront6targetE0EEEvT1_.has_recursion, 0
	.set _ZN7rocprim17ROCPRIM_400000_NS6detail17trampoline_kernelINS0_14default_configENS1_27scan_by_key_config_selectorIj11FixedVectorIiLj8EEEEZZNS1_16scan_by_key_implILNS1_25lookback_scan_determinismE0ELb0ES3_N6thrust23THRUST_200600_302600_NS6detail15normal_iteratorINSB_10device_ptrIjEEEENSD_INSE_IS6_EEEESI_S6_NSB_4plusIvEENSB_8equal_toIvEES6_EE10hipError_tPvRmT2_T3_T4_T5_mT6_T7_P12ihipStream_tbENKUlT_T0_E_clISt17integral_constantIbLb0EES12_IbLb1EEEEDaSY_SZ_EUlSY_E_NS1_11comp_targetILNS1_3genE9ELNS1_11target_archE1100ELNS1_3gpuE3ELNS1_3repE0EEENS1_30default_config_static_selectorELNS0_4arch9wavefront6targetE0EEEvT1_.has_indirect_call, 0
	.section	.AMDGPU.csdata,"",@progbits
; Kernel info:
; codeLenInByte = 0
; TotalNumSgprs: 0
; NumVgprs: 0
; ScratchSize: 0
; MemoryBound: 0
; FloatMode: 240
; IeeeMode: 1
; LDSByteSize: 0 bytes/workgroup (compile time only)
; SGPRBlocks: 0
; VGPRBlocks: 0
; NumSGPRsForWavesPerEU: 1
; NumVGPRsForWavesPerEU: 1
; NamedBarCnt: 0
; Occupancy: 16
; WaveLimiterHint : 0
; COMPUTE_PGM_RSRC2:SCRATCH_EN: 0
; COMPUTE_PGM_RSRC2:USER_SGPR: 2
; COMPUTE_PGM_RSRC2:TRAP_HANDLER: 0
; COMPUTE_PGM_RSRC2:TGID_X_EN: 1
; COMPUTE_PGM_RSRC2:TGID_Y_EN: 0
; COMPUTE_PGM_RSRC2:TGID_Z_EN: 0
; COMPUTE_PGM_RSRC2:TIDIG_COMP_CNT: 0
	.section	.text._ZN7rocprim17ROCPRIM_400000_NS6detail17trampoline_kernelINS0_14default_configENS1_27scan_by_key_config_selectorIj11FixedVectorIiLj8EEEEZZNS1_16scan_by_key_implILNS1_25lookback_scan_determinismE0ELb0ES3_N6thrust23THRUST_200600_302600_NS6detail15normal_iteratorINSB_10device_ptrIjEEEENSD_INSE_IS6_EEEESI_S6_NSB_4plusIvEENSB_8equal_toIvEES6_EE10hipError_tPvRmT2_T3_T4_T5_mT6_T7_P12ihipStream_tbENKUlT_T0_E_clISt17integral_constantIbLb0EES12_IbLb1EEEEDaSY_SZ_EUlSY_E_NS1_11comp_targetILNS1_3genE8ELNS1_11target_archE1030ELNS1_3gpuE2ELNS1_3repE0EEENS1_30default_config_static_selectorELNS0_4arch9wavefront6targetE0EEEvT1_,"axG",@progbits,_ZN7rocprim17ROCPRIM_400000_NS6detail17trampoline_kernelINS0_14default_configENS1_27scan_by_key_config_selectorIj11FixedVectorIiLj8EEEEZZNS1_16scan_by_key_implILNS1_25lookback_scan_determinismE0ELb0ES3_N6thrust23THRUST_200600_302600_NS6detail15normal_iteratorINSB_10device_ptrIjEEEENSD_INSE_IS6_EEEESI_S6_NSB_4plusIvEENSB_8equal_toIvEES6_EE10hipError_tPvRmT2_T3_T4_T5_mT6_T7_P12ihipStream_tbENKUlT_T0_E_clISt17integral_constantIbLb0EES12_IbLb1EEEEDaSY_SZ_EUlSY_E_NS1_11comp_targetILNS1_3genE8ELNS1_11target_archE1030ELNS1_3gpuE2ELNS1_3repE0EEENS1_30default_config_static_selectorELNS0_4arch9wavefront6targetE0EEEvT1_,comdat
	.protected	_ZN7rocprim17ROCPRIM_400000_NS6detail17trampoline_kernelINS0_14default_configENS1_27scan_by_key_config_selectorIj11FixedVectorIiLj8EEEEZZNS1_16scan_by_key_implILNS1_25lookback_scan_determinismE0ELb0ES3_N6thrust23THRUST_200600_302600_NS6detail15normal_iteratorINSB_10device_ptrIjEEEENSD_INSE_IS6_EEEESI_S6_NSB_4plusIvEENSB_8equal_toIvEES6_EE10hipError_tPvRmT2_T3_T4_T5_mT6_T7_P12ihipStream_tbENKUlT_T0_E_clISt17integral_constantIbLb0EES12_IbLb1EEEEDaSY_SZ_EUlSY_E_NS1_11comp_targetILNS1_3genE8ELNS1_11target_archE1030ELNS1_3gpuE2ELNS1_3repE0EEENS1_30default_config_static_selectorELNS0_4arch9wavefront6targetE0EEEvT1_ ; -- Begin function _ZN7rocprim17ROCPRIM_400000_NS6detail17trampoline_kernelINS0_14default_configENS1_27scan_by_key_config_selectorIj11FixedVectorIiLj8EEEEZZNS1_16scan_by_key_implILNS1_25lookback_scan_determinismE0ELb0ES3_N6thrust23THRUST_200600_302600_NS6detail15normal_iteratorINSB_10device_ptrIjEEEENSD_INSE_IS6_EEEESI_S6_NSB_4plusIvEENSB_8equal_toIvEES6_EE10hipError_tPvRmT2_T3_T4_T5_mT6_T7_P12ihipStream_tbENKUlT_T0_E_clISt17integral_constantIbLb0EES12_IbLb1EEEEDaSY_SZ_EUlSY_E_NS1_11comp_targetILNS1_3genE8ELNS1_11target_archE1030ELNS1_3gpuE2ELNS1_3repE0EEENS1_30default_config_static_selectorELNS0_4arch9wavefront6targetE0EEEvT1_
	.globl	_ZN7rocprim17ROCPRIM_400000_NS6detail17trampoline_kernelINS0_14default_configENS1_27scan_by_key_config_selectorIj11FixedVectorIiLj8EEEEZZNS1_16scan_by_key_implILNS1_25lookback_scan_determinismE0ELb0ES3_N6thrust23THRUST_200600_302600_NS6detail15normal_iteratorINSB_10device_ptrIjEEEENSD_INSE_IS6_EEEESI_S6_NSB_4plusIvEENSB_8equal_toIvEES6_EE10hipError_tPvRmT2_T3_T4_T5_mT6_T7_P12ihipStream_tbENKUlT_T0_E_clISt17integral_constantIbLb0EES12_IbLb1EEEEDaSY_SZ_EUlSY_E_NS1_11comp_targetILNS1_3genE8ELNS1_11target_archE1030ELNS1_3gpuE2ELNS1_3repE0EEENS1_30default_config_static_selectorELNS0_4arch9wavefront6targetE0EEEvT1_
	.p2align	8
	.type	_ZN7rocprim17ROCPRIM_400000_NS6detail17trampoline_kernelINS0_14default_configENS1_27scan_by_key_config_selectorIj11FixedVectorIiLj8EEEEZZNS1_16scan_by_key_implILNS1_25lookback_scan_determinismE0ELb0ES3_N6thrust23THRUST_200600_302600_NS6detail15normal_iteratorINSB_10device_ptrIjEEEENSD_INSE_IS6_EEEESI_S6_NSB_4plusIvEENSB_8equal_toIvEES6_EE10hipError_tPvRmT2_T3_T4_T5_mT6_T7_P12ihipStream_tbENKUlT_T0_E_clISt17integral_constantIbLb0EES12_IbLb1EEEEDaSY_SZ_EUlSY_E_NS1_11comp_targetILNS1_3genE8ELNS1_11target_archE1030ELNS1_3gpuE2ELNS1_3repE0EEENS1_30default_config_static_selectorELNS0_4arch9wavefront6targetE0EEEvT1_,@function
_ZN7rocprim17ROCPRIM_400000_NS6detail17trampoline_kernelINS0_14default_configENS1_27scan_by_key_config_selectorIj11FixedVectorIiLj8EEEEZZNS1_16scan_by_key_implILNS1_25lookback_scan_determinismE0ELb0ES3_N6thrust23THRUST_200600_302600_NS6detail15normal_iteratorINSB_10device_ptrIjEEEENSD_INSE_IS6_EEEESI_S6_NSB_4plusIvEENSB_8equal_toIvEES6_EE10hipError_tPvRmT2_T3_T4_T5_mT6_T7_P12ihipStream_tbENKUlT_T0_E_clISt17integral_constantIbLb0EES12_IbLb1EEEEDaSY_SZ_EUlSY_E_NS1_11comp_targetILNS1_3genE8ELNS1_11target_archE1030ELNS1_3gpuE2ELNS1_3repE0EEENS1_30default_config_static_selectorELNS0_4arch9wavefront6targetE0EEEvT1_: ; @_ZN7rocprim17ROCPRIM_400000_NS6detail17trampoline_kernelINS0_14default_configENS1_27scan_by_key_config_selectorIj11FixedVectorIiLj8EEEEZZNS1_16scan_by_key_implILNS1_25lookback_scan_determinismE0ELb0ES3_N6thrust23THRUST_200600_302600_NS6detail15normal_iteratorINSB_10device_ptrIjEEEENSD_INSE_IS6_EEEESI_S6_NSB_4plusIvEENSB_8equal_toIvEES6_EE10hipError_tPvRmT2_T3_T4_T5_mT6_T7_P12ihipStream_tbENKUlT_T0_E_clISt17integral_constantIbLb0EES12_IbLb1EEEEDaSY_SZ_EUlSY_E_NS1_11comp_targetILNS1_3genE8ELNS1_11target_archE1030ELNS1_3gpuE2ELNS1_3repE0EEENS1_30default_config_static_selectorELNS0_4arch9wavefront6targetE0EEEvT1_
; %bb.0:
	.section	.rodata,"a",@progbits
	.p2align	6, 0x0
	.amdhsa_kernel _ZN7rocprim17ROCPRIM_400000_NS6detail17trampoline_kernelINS0_14default_configENS1_27scan_by_key_config_selectorIj11FixedVectorIiLj8EEEEZZNS1_16scan_by_key_implILNS1_25lookback_scan_determinismE0ELb0ES3_N6thrust23THRUST_200600_302600_NS6detail15normal_iteratorINSB_10device_ptrIjEEEENSD_INSE_IS6_EEEESI_S6_NSB_4plusIvEENSB_8equal_toIvEES6_EE10hipError_tPvRmT2_T3_T4_T5_mT6_T7_P12ihipStream_tbENKUlT_T0_E_clISt17integral_constantIbLb0EES12_IbLb1EEEEDaSY_SZ_EUlSY_E_NS1_11comp_targetILNS1_3genE8ELNS1_11target_archE1030ELNS1_3gpuE2ELNS1_3repE0EEENS1_30default_config_static_selectorELNS0_4arch9wavefront6targetE0EEEvT1_
		.amdhsa_group_segment_fixed_size 0
		.amdhsa_private_segment_fixed_size 0
		.amdhsa_kernarg_size 160
		.amdhsa_user_sgpr_count 2
		.amdhsa_user_sgpr_dispatch_ptr 0
		.amdhsa_user_sgpr_queue_ptr 0
		.amdhsa_user_sgpr_kernarg_segment_ptr 1
		.amdhsa_user_sgpr_dispatch_id 0
		.amdhsa_user_sgpr_kernarg_preload_length 0
		.amdhsa_user_sgpr_kernarg_preload_offset 0
		.amdhsa_user_sgpr_private_segment_size 0
		.amdhsa_wavefront_size32 1
		.amdhsa_uses_dynamic_stack 0
		.amdhsa_enable_private_segment 0
		.amdhsa_system_sgpr_workgroup_id_x 1
		.amdhsa_system_sgpr_workgroup_id_y 0
		.amdhsa_system_sgpr_workgroup_id_z 0
		.amdhsa_system_sgpr_workgroup_info 0
		.amdhsa_system_vgpr_workitem_id 0
		.amdhsa_next_free_vgpr 1
		.amdhsa_next_free_sgpr 1
		.amdhsa_named_barrier_count 0
		.amdhsa_reserve_vcc 0
		.amdhsa_float_round_mode_32 0
		.amdhsa_float_round_mode_16_64 0
		.amdhsa_float_denorm_mode_32 3
		.amdhsa_float_denorm_mode_16_64 3
		.amdhsa_fp16_overflow 0
		.amdhsa_memory_ordered 1
		.amdhsa_forward_progress 1
		.amdhsa_inst_pref_size 0
		.amdhsa_round_robin_scheduling 0
		.amdhsa_exception_fp_ieee_invalid_op 0
		.amdhsa_exception_fp_denorm_src 0
		.amdhsa_exception_fp_ieee_div_zero 0
		.amdhsa_exception_fp_ieee_overflow 0
		.amdhsa_exception_fp_ieee_underflow 0
		.amdhsa_exception_fp_ieee_inexact 0
		.amdhsa_exception_int_div_zero 0
	.end_amdhsa_kernel
	.section	.text._ZN7rocprim17ROCPRIM_400000_NS6detail17trampoline_kernelINS0_14default_configENS1_27scan_by_key_config_selectorIj11FixedVectorIiLj8EEEEZZNS1_16scan_by_key_implILNS1_25lookback_scan_determinismE0ELb0ES3_N6thrust23THRUST_200600_302600_NS6detail15normal_iteratorINSB_10device_ptrIjEEEENSD_INSE_IS6_EEEESI_S6_NSB_4plusIvEENSB_8equal_toIvEES6_EE10hipError_tPvRmT2_T3_T4_T5_mT6_T7_P12ihipStream_tbENKUlT_T0_E_clISt17integral_constantIbLb0EES12_IbLb1EEEEDaSY_SZ_EUlSY_E_NS1_11comp_targetILNS1_3genE8ELNS1_11target_archE1030ELNS1_3gpuE2ELNS1_3repE0EEENS1_30default_config_static_selectorELNS0_4arch9wavefront6targetE0EEEvT1_,"axG",@progbits,_ZN7rocprim17ROCPRIM_400000_NS6detail17trampoline_kernelINS0_14default_configENS1_27scan_by_key_config_selectorIj11FixedVectorIiLj8EEEEZZNS1_16scan_by_key_implILNS1_25lookback_scan_determinismE0ELb0ES3_N6thrust23THRUST_200600_302600_NS6detail15normal_iteratorINSB_10device_ptrIjEEEENSD_INSE_IS6_EEEESI_S6_NSB_4plusIvEENSB_8equal_toIvEES6_EE10hipError_tPvRmT2_T3_T4_T5_mT6_T7_P12ihipStream_tbENKUlT_T0_E_clISt17integral_constantIbLb0EES12_IbLb1EEEEDaSY_SZ_EUlSY_E_NS1_11comp_targetILNS1_3genE8ELNS1_11target_archE1030ELNS1_3gpuE2ELNS1_3repE0EEENS1_30default_config_static_selectorELNS0_4arch9wavefront6targetE0EEEvT1_,comdat
.Lfunc_end2156:
	.size	_ZN7rocprim17ROCPRIM_400000_NS6detail17trampoline_kernelINS0_14default_configENS1_27scan_by_key_config_selectorIj11FixedVectorIiLj8EEEEZZNS1_16scan_by_key_implILNS1_25lookback_scan_determinismE0ELb0ES3_N6thrust23THRUST_200600_302600_NS6detail15normal_iteratorINSB_10device_ptrIjEEEENSD_INSE_IS6_EEEESI_S6_NSB_4plusIvEENSB_8equal_toIvEES6_EE10hipError_tPvRmT2_T3_T4_T5_mT6_T7_P12ihipStream_tbENKUlT_T0_E_clISt17integral_constantIbLb0EES12_IbLb1EEEEDaSY_SZ_EUlSY_E_NS1_11comp_targetILNS1_3genE8ELNS1_11target_archE1030ELNS1_3gpuE2ELNS1_3repE0EEENS1_30default_config_static_selectorELNS0_4arch9wavefront6targetE0EEEvT1_, .Lfunc_end2156-_ZN7rocprim17ROCPRIM_400000_NS6detail17trampoline_kernelINS0_14default_configENS1_27scan_by_key_config_selectorIj11FixedVectorIiLj8EEEEZZNS1_16scan_by_key_implILNS1_25lookback_scan_determinismE0ELb0ES3_N6thrust23THRUST_200600_302600_NS6detail15normal_iteratorINSB_10device_ptrIjEEEENSD_INSE_IS6_EEEESI_S6_NSB_4plusIvEENSB_8equal_toIvEES6_EE10hipError_tPvRmT2_T3_T4_T5_mT6_T7_P12ihipStream_tbENKUlT_T0_E_clISt17integral_constantIbLb0EES12_IbLb1EEEEDaSY_SZ_EUlSY_E_NS1_11comp_targetILNS1_3genE8ELNS1_11target_archE1030ELNS1_3gpuE2ELNS1_3repE0EEENS1_30default_config_static_selectorELNS0_4arch9wavefront6targetE0EEEvT1_
                                        ; -- End function
	.set _ZN7rocprim17ROCPRIM_400000_NS6detail17trampoline_kernelINS0_14default_configENS1_27scan_by_key_config_selectorIj11FixedVectorIiLj8EEEEZZNS1_16scan_by_key_implILNS1_25lookback_scan_determinismE0ELb0ES3_N6thrust23THRUST_200600_302600_NS6detail15normal_iteratorINSB_10device_ptrIjEEEENSD_INSE_IS6_EEEESI_S6_NSB_4plusIvEENSB_8equal_toIvEES6_EE10hipError_tPvRmT2_T3_T4_T5_mT6_T7_P12ihipStream_tbENKUlT_T0_E_clISt17integral_constantIbLb0EES12_IbLb1EEEEDaSY_SZ_EUlSY_E_NS1_11comp_targetILNS1_3genE8ELNS1_11target_archE1030ELNS1_3gpuE2ELNS1_3repE0EEENS1_30default_config_static_selectorELNS0_4arch9wavefront6targetE0EEEvT1_.num_vgpr, 0
	.set _ZN7rocprim17ROCPRIM_400000_NS6detail17trampoline_kernelINS0_14default_configENS1_27scan_by_key_config_selectorIj11FixedVectorIiLj8EEEEZZNS1_16scan_by_key_implILNS1_25lookback_scan_determinismE0ELb0ES3_N6thrust23THRUST_200600_302600_NS6detail15normal_iteratorINSB_10device_ptrIjEEEENSD_INSE_IS6_EEEESI_S6_NSB_4plusIvEENSB_8equal_toIvEES6_EE10hipError_tPvRmT2_T3_T4_T5_mT6_T7_P12ihipStream_tbENKUlT_T0_E_clISt17integral_constantIbLb0EES12_IbLb1EEEEDaSY_SZ_EUlSY_E_NS1_11comp_targetILNS1_3genE8ELNS1_11target_archE1030ELNS1_3gpuE2ELNS1_3repE0EEENS1_30default_config_static_selectorELNS0_4arch9wavefront6targetE0EEEvT1_.num_agpr, 0
	.set _ZN7rocprim17ROCPRIM_400000_NS6detail17trampoline_kernelINS0_14default_configENS1_27scan_by_key_config_selectorIj11FixedVectorIiLj8EEEEZZNS1_16scan_by_key_implILNS1_25lookback_scan_determinismE0ELb0ES3_N6thrust23THRUST_200600_302600_NS6detail15normal_iteratorINSB_10device_ptrIjEEEENSD_INSE_IS6_EEEESI_S6_NSB_4plusIvEENSB_8equal_toIvEES6_EE10hipError_tPvRmT2_T3_T4_T5_mT6_T7_P12ihipStream_tbENKUlT_T0_E_clISt17integral_constantIbLb0EES12_IbLb1EEEEDaSY_SZ_EUlSY_E_NS1_11comp_targetILNS1_3genE8ELNS1_11target_archE1030ELNS1_3gpuE2ELNS1_3repE0EEENS1_30default_config_static_selectorELNS0_4arch9wavefront6targetE0EEEvT1_.numbered_sgpr, 0
	.set _ZN7rocprim17ROCPRIM_400000_NS6detail17trampoline_kernelINS0_14default_configENS1_27scan_by_key_config_selectorIj11FixedVectorIiLj8EEEEZZNS1_16scan_by_key_implILNS1_25lookback_scan_determinismE0ELb0ES3_N6thrust23THRUST_200600_302600_NS6detail15normal_iteratorINSB_10device_ptrIjEEEENSD_INSE_IS6_EEEESI_S6_NSB_4plusIvEENSB_8equal_toIvEES6_EE10hipError_tPvRmT2_T3_T4_T5_mT6_T7_P12ihipStream_tbENKUlT_T0_E_clISt17integral_constantIbLb0EES12_IbLb1EEEEDaSY_SZ_EUlSY_E_NS1_11comp_targetILNS1_3genE8ELNS1_11target_archE1030ELNS1_3gpuE2ELNS1_3repE0EEENS1_30default_config_static_selectorELNS0_4arch9wavefront6targetE0EEEvT1_.num_named_barrier, 0
	.set _ZN7rocprim17ROCPRIM_400000_NS6detail17trampoline_kernelINS0_14default_configENS1_27scan_by_key_config_selectorIj11FixedVectorIiLj8EEEEZZNS1_16scan_by_key_implILNS1_25lookback_scan_determinismE0ELb0ES3_N6thrust23THRUST_200600_302600_NS6detail15normal_iteratorINSB_10device_ptrIjEEEENSD_INSE_IS6_EEEESI_S6_NSB_4plusIvEENSB_8equal_toIvEES6_EE10hipError_tPvRmT2_T3_T4_T5_mT6_T7_P12ihipStream_tbENKUlT_T0_E_clISt17integral_constantIbLb0EES12_IbLb1EEEEDaSY_SZ_EUlSY_E_NS1_11comp_targetILNS1_3genE8ELNS1_11target_archE1030ELNS1_3gpuE2ELNS1_3repE0EEENS1_30default_config_static_selectorELNS0_4arch9wavefront6targetE0EEEvT1_.private_seg_size, 0
	.set _ZN7rocprim17ROCPRIM_400000_NS6detail17trampoline_kernelINS0_14default_configENS1_27scan_by_key_config_selectorIj11FixedVectorIiLj8EEEEZZNS1_16scan_by_key_implILNS1_25lookback_scan_determinismE0ELb0ES3_N6thrust23THRUST_200600_302600_NS6detail15normal_iteratorINSB_10device_ptrIjEEEENSD_INSE_IS6_EEEESI_S6_NSB_4plusIvEENSB_8equal_toIvEES6_EE10hipError_tPvRmT2_T3_T4_T5_mT6_T7_P12ihipStream_tbENKUlT_T0_E_clISt17integral_constantIbLb0EES12_IbLb1EEEEDaSY_SZ_EUlSY_E_NS1_11comp_targetILNS1_3genE8ELNS1_11target_archE1030ELNS1_3gpuE2ELNS1_3repE0EEENS1_30default_config_static_selectorELNS0_4arch9wavefront6targetE0EEEvT1_.uses_vcc, 0
	.set _ZN7rocprim17ROCPRIM_400000_NS6detail17trampoline_kernelINS0_14default_configENS1_27scan_by_key_config_selectorIj11FixedVectorIiLj8EEEEZZNS1_16scan_by_key_implILNS1_25lookback_scan_determinismE0ELb0ES3_N6thrust23THRUST_200600_302600_NS6detail15normal_iteratorINSB_10device_ptrIjEEEENSD_INSE_IS6_EEEESI_S6_NSB_4plusIvEENSB_8equal_toIvEES6_EE10hipError_tPvRmT2_T3_T4_T5_mT6_T7_P12ihipStream_tbENKUlT_T0_E_clISt17integral_constantIbLb0EES12_IbLb1EEEEDaSY_SZ_EUlSY_E_NS1_11comp_targetILNS1_3genE8ELNS1_11target_archE1030ELNS1_3gpuE2ELNS1_3repE0EEENS1_30default_config_static_selectorELNS0_4arch9wavefront6targetE0EEEvT1_.uses_flat_scratch, 0
	.set _ZN7rocprim17ROCPRIM_400000_NS6detail17trampoline_kernelINS0_14default_configENS1_27scan_by_key_config_selectorIj11FixedVectorIiLj8EEEEZZNS1_16scan_by_key_implILNS1_25lookback_scan_determinismE0ELb0ES3_N6thrust23THRUST_200600_302600_NS6detail15normal_iteratorINSB_10device_ptrIjEEEENSD_INSE_IS6_EEEESI_S6_NSB_4plusIvEENSB_8equal_toIvEES6_EE10hipError_tPvRmT2_T3_T4_T5_mT6_T7_P12ihipStream_tbENKUlT_T0_E_clISt17integral_constantIbLb0EES12_IbLb1EEEEDaSY_SZ_EUlSY_E_NS1_11comp_targetILNS1_3genE8ELNS1_11target_archE1030ELNS1_3gpuE2ELNS1_3repE0EEENS1_30default_config_static_selectorELNS0_4arch9wavefront6targetE0EEEvT1_.has_dyn_sized_stack, 0
	.set _ZN7rocprim17ROCPRIM_400000_NS6detail17trampoline_kernelINS0_14default_configENS1_27scan_by_key_config_selectorIj11FixedVectorIiLj8EEEEZZNS1_16scan_by_key_implILNS1_25lookback_scan_determinismE0ELb0ES3_N6thrust23THRUST_200600_302600_NS6detail15normal_iteratorINSB_10device_ptrIjEEEENSD_INSE_IS6_EEEESI_S6_NSB_4plusIvEENSB_8equal_toIvEES6_EE10hipError_tPvRmT2_T3_T4_T5_mT6_T7_P12ihipStream_tbENKUlT_T0_E_clISt17integral_constantIbLb0EES12_IbLb1EEEEDaSY_SZ_EUlSY_E_NS1_11comp_targetILNS1_3genE8ELNS1_11target_archE1030ELNS1_3gpuE2ELNS1_3repE0EEENS1_30default_config_static_selectorELNS0_4arch9wavefront6targetE0EEEvT1_.has_recursion, 0
	.set _ZN7rocprim17ROCPRIM_400000_NS6detail17trampoline_kernelINS0_14default_configENS1_27scan_by_key_config_selectorIj11FixedVectorIiLj8EEEEZZNS1_16scan_by_key_implILNS1_25lookback_scan_determinismE0ELb0ES3_N6thrust23THRUST_200600_302600_NS6detail15normal_iteratorINSB_10device_ptrIjEEEENSD_INSE_IS6_EEEESI_S6_NSB_4plusIvEENSB_8equal_toIvEES6_EE10hipError_tPvRmT2_T3_T4_T5_mT6_T7_P12ihipStream_tbENKUlT_T0_E_clISt17integral_constantIbLb0EES12_IbLb1EEEEDaSY_SZ_EUlSY_E_NS1_11comp_targetILNS1_3genE8ELNS1_11target_archE1030ELNS1_3gpuE2ELNS1_3repE0EEENS1_30default_config_static_selectorELNS0_4arch9wavefront6targetE0EEEvT1_.has_indirect_call, 0
	.section	.AMDGPU.csdata,"",@progbits
; Kernel info:
; codeLenInByte = 0
; TotalNumSgprs: 0
; NumVgprs: 0
; ScratchSize: 0
; MemoryBound: 0
; FloatMode: 240
; IeeeMode: 1
; LDSByteSize: 0 bytes/workgroup (compile time only)
; SGPRBlocks: 0
; VGPRBlocks: 0
; NumSGPRsForWavesPerEU: 1
; NumVGPRsForWavesPerEU: 1
; NamedBarCnt: 0
; Occupancy: 16
; WaveLimiterHint : 0
; COMPUTE_PGM_RSRC2:SCRATCH_EN: 0
; COMPUTE_PGM_RSRC2:USER_SGPR: 2
; COMPUTE_PGM_RSRC2:TRAP_HANDLER: 0
; COMPUTE_PGM_RSRC2:TGID_X_EN: 1
; COMPUTE_PGM_RSRC2:TGID_Y_EN: 0
; COMPUTE_PGM_RSRC2:TGID_Z_EN: 0
; COMPUTE_PGM_RSRC2:TIDIG_COMP_CNT: 0
	.section	.text._ZN7rocprim17ROCPRIM_400000_NS6detail17trampoline_kernelINS0_14default_configENS1_27scan_by_key_config_selectorIj11FixedVectorIiLj8EEEEZZNS1_16scan_by_key_implILNS1_25lookback_scan_determinismE0ELb1ES3_N6thrust23THRUST_200600_302600_NS6detail15normal_iteratorINSB_10device_ptrIjEEEENSD_INSE_IS6_EEEESI_S6_NSB_4plusIvEENSB_8equal_toIvEES6_EE10hipError_tPvRmT2_T3_T4_T5_mT6_T7_P12ihipStream_tbENKUlT_T0_E_clISt17integral_constantIbLb0EES13_EEDaSY_SZ_EUlSY_E_NS1_11comp_targetILNS1_3genE0ELNS1_11target_archE4294967295ELNS1_3gpuE0ELNS1_3repE0EEENS1_30default_config_static_selectorELNS0_4arch9wavefront6targetE0EEEvT1_,"axG",@progbits,_ZN7rocprim17ROCPRIM_400000_NS6detail17trampoline_kernelINS0_14default_configENS1_27scan_by_key_config_selectorIj11FixedVectorIiLj8EEEEZZNS1_16scan_by_key_implILNS1_25lookback_scan_determinismE0ELb1ES3_N6thrust23THRUST_200600_302600_NS6detail15normal_iteratorINSB_10device_ptrIjEEEENSD_INSE_IS6_EEEESI_S6_NSB_4plusIvEENSB_8equal_toIvEES6_EE10hipError_tPvRmT2_T3_T4_T5_mT6_T7_P12ihipStream_tbENKUlT_T0_E_clISt17integral_constantIbLb0EES13_EEDaSY_SZ_EUlSY_E_NS1_11comp_targetILNS1_3genE0ELNS1_11target_archE4294967295ELNS1_3gpuE0ELNS1_3repE0EEENS1_30default_config_static_selectorELNS0_4arch9wavefront6targetE0EEEvT1_,comdat
	.protected	_ZN7rocprim17ROCPRIM_400000_NS6detail17trampoline_kernelINS0_14default_configENS1_27scan_by_key_config_selectorIj11FixedVectorIiLj8EEEEZZNS1_16scan_by_key_implILNS1_25lookback_scan_determinismE0ELb1ES3_N6thrust23THRUST_200600_302600_NS6detail15normal_iteratorINSB_10device_ptrIjEEEENSD_INSE_IS6_EEEESI_S6_NSB_4plusIvEENSB_8equal_toIvEES6_EE10hipError_tPvRmT2_T3_T4_T5_mT6_T7_P12ihipStream_tbENKUlT_T0_E_clISt17integral_constantIbLb0EES13_EEDaSY_SZ_EUlSY_E_NS1_11comp_targetILNS1_3genE0ELNS1_11target_archE4294967295ELNS1_3gpuE0ELNS1_3repE0EEENS1_30default_config_static_selectorELNS0_4arch9wavefront6targetE0EEEvT1_ ; -- Begin function _ZN7rocprim17ROCPRIM_400000_NS6detail17trampoline_kernelINS0_14default_configENS1_27scan_by_key_config_selectorIj11FixedVectorIiLj8EEEEZZNS1_16scan_by_key_implILNS1_25lookback_scan_determinismE0ELb1ES3_N6thrust23THRUST_200600_302600_NS6detail15normal_iteratorINSB_10device_ptrIjEEEENSD_INSE_IS6_EEEESI_S6_NSB_4plusIvEENSB_8equal_toIvEES6_EE10hipError_tPvRmT2_T3_T4_T5_mT6_T7_P12ihipStream_tbENKUlT_T0_E_clISt17integral_constantIbLb0EES13_EEDaSY_SZ_EUlSY_E_NS1_11comp_targetILNS1_3genE0ELNS1_11target_archE4294967295ELNS1_3gpuE0ELNS1_3repE0EEENS1_30default_config_static_selectorELNS0_4arch9wavefront6targetE0EEEvT1_
	.globl	_ZN7rocprim17ROCPRIM_400000_NS6detail17trampoline_kernelINS0_14default_configENS1_27scan_by_key_config_selectorIj11FixedVectorIiLj8EEEEZZNS1_16scan_by_key_implILNS1_25lookback_scan_determinismE0ELb1ES3_N6thrust23THRUST_200600_302600_NS6detail15normal_iteratorINSB_10device_ptrIjEEEENSD_INSE_IS6_EEEESI_S6_NSB_4plusIvEENSB_8equal_toIvEES6_EE10hipError_tPvRmT2_T3_T4_T5_mT6_T7_P12ihipStream_tbENKUlT_T0_E_clISt17integral_constantIbLb0EES13_EEDaSY_SZ_EUlSY_E_NS1_11comp_targetILNS1_3genE0ELNS1_11target_archE4294967295ELNS1_3gpuE0ELNS1_3repE0EEENS1_30default_config_static_selectorELNS0_4arch9wavefront6targetE0EEEvT1_
	.p2align	8
	.type	_ZN7rocprim17ROCPRIM_400000_NS6detail17trampoline_kernelINS0_14default_configENS1_27scan_by_key_config_selectorIj11FixedVectorIiLj8EEEEZZNS1_16scan_by_key_implILNS1_25lookback_scan_determinismE0ELb1ES3_N6thrust23THRUST_200600_302600_NS6detail15normal_iteratorINSB_10device_ptrIjEEEENSD_INSE_IS6_EEEESI_S6_NSB_4plusIvEENSB_8equal_toIvEES6_EE10hipError_tPvRmT2_T3_T4_T5_mT6_T7_P12ihipStream_tbENKUlT_T0_E_clISt17integral_constantIbLb0EES13_EEDaSY_SZ_EUlSY_E_NS1_11comp_targetILNS1_3genE0ELNS1_11target_archE4294967295ELNS1_3gpuE0ELNS1_3repE0EEENS1_30default_config_static_selectorELNS0_4arch9wavefront6targetE0EEEvT1_,@function
_ZN7rocprim17ROCPRIM_400000_NS6detail17trampoline_kernelINS0_14default_configENS1_27scan_by_key_config_selectorIj11FixedVectorIiLj8EEEEZZNS1_16scan_by_key_implILNS1_25lookback_scan_determinismE0ELb1ES3_N6thrust23THRUST_200600_302600_NS6detail15normal_iteratorINSB_10device_ptrIjEEEENSD_INSE_IS6_EEEESI_S6_NSB_4plusIvEENSB_8equal_toIvEES6_EE10hipError_tPvRmT2_T3_T4_T5_mT6_T7_P12ihipStream_tbENKUlT_T0_E_clISt17integral_constantIbLb0EES13_EEDaSY_SZ_EUlSY_E_NS1_11comp_targetILNS1_3genE0ELNS1_11target_archE4294967295ELNS1_3gpuE0ELNS1_3repE0EEENS1_30default_config_static_selectorELNS0_4arch9wavefront6targetE0EEEvT1_: ; @_ZN7rocprim17ROCPRIM_400000_NS6detail17trampoline_kernelINS0_14default_configENS1_27scan_by_key_config_selectorIj11FixedVectorIiLj8EEEEZZNS1_16scan_by_key_implILNS1_25lookback_scan_determinismE0ELb1ES3_N6thrust23THRUST_200600_302600_NS6detail15normal_iteratorINSB_10device_ptrIjEEEENSD_INSE_IS6_EEEESI_S6_NSB_4plusIvEENSB_8equal_toIvEES6_EE10hipError_tPvRmT2_T3_T4_T5_mT6_T7_P12ihipStream_tbENKUlT_T0_E_clISt17integral_constantIbLb0EES13_EEDaSY_SZ_EUlSY_E_NS1_11comp_targetILNS1_3genE0ELNS1_11target_archE4294967295ELNS1_3gpuE0ELNS1_3repE0EEENS1_30default_config_static_selectorELNS0_4arch9wavefront6targetE0EEEvT1_
; %bb.0:
	s_load_b64 s[40:41], s[0:1], 0x4
	s_clause 0x4
	s_load_b96 s[36:38], s[2:3], 0x68
	s_load_b256 s[12:19], s[2:3], 0x0
	s_load_b256 s[20:27], s[2:3], 0x20
	;; [unrolled: 1-line block ×3, first 2 shown]
	s_load_b128 s[28:31], s[2:3], 0x78
	s_wait_xcnt 0x0
	s_mov_b32 s0, 0
	v_bfe_u32 v9, v0, 10, 10
	s_mov_b32 s2, s0
	s_mov_b32 s3, s0
	;; [unrolled: 1-line block ×3, first 2 shown]
	v_mov_b64_e32 v[2:3], 0
	v_mov_b64_e32 v[6:7], s[2:3]
	;; [unrolled: 1-line block ×3, first 2 shown]
	v_mov_b32_e32 v1, 0
	v_and_b32_e32 v16, 0x3ff, v0
	v_bfe_u32 v8, v0, 20, 10
	s_barrier_signal -1
	s_barrier_wait -1
	s_wait_kmcnt 0x0
	v_mul_u32_u24_e32 v9, s41, v9
	s_mov_b32 s2, s38
	s_clause 0x2
	scratch_store_b32 off, v1, off offset:304
	scratch_store_b128 off, v[4:7], off offset:288
	scratch_store_b128 off, v[4:7], off offset:272
.LBB2157_1:                             ; =>This Inner Loop Header: Depth=1
	s_wait_xcnt 0x0
	s_add_co_i32 s1, s0, 0x110
	s_add_co_i32 s0, s0, 8
	scratch_store_b64 off, v[2:3], s1
	s_cmp_lg_u32 s0, 32
	s_cbranch_scc1 .LBB2157_1
; %bb.2:
	s_mov_b32 s44, 0
	s_wait_xcnt 0x3
	v_mov_b64_e32 v[0:1], 0
	s_mov_b32 s45, s44
	s_mov_b32 s46, s44
	;; [unrolled: 1-line block ×3, first 2 shown]
	s_wait_xcnt 0x0
	v_mov_b64_e32 v[2:3], s[44:45]
	v_mov_b64_e32 v[4:5], s[46:47]
	v_mov_b32_e32 v6, 0
	s_mov_b32 s0, 36
	s_movk_i32 s11, 0x134
	s_clause 0x3
	scratch_store_b8 off, v6, off offset:304
	scratch_store_b128 off, v[2:5], off offset:308
	scratch_store_b32 off, v6, off offset:340
	scratch_store_b128 off, v[2:5], off offset:324
.LBB2157_3:                             ; =>This Inner Loop Header: Depth=1
	s_wait_xcnt 0x0
	s_add_co_i32 s1, s0, 0x110
	s_add_co_i32 s0, s0, 8
	scratch_store_b64 off, v[0:1], s1
	s_cmp_lg_u32 s0, 0x44
	s_cbranch_scc1 .LBB2157_3
; %bb.4:
	s_mov_b32 s44, 0
	s_wait_xcnt 0x0
	v_mov_b64_e32 v[0:1], 0
	s_mov_b32 s45, s44
	s_mov_b32 s46, s44
	;; [unrolled: 1-line block ×3, first 2 shown]
	v_mov_b64_e32 v[2:3], s[44:45]
	v_mov_b64_e32 v[4:5], s[46:47]
	v_mov_b32_e32 v6, 0
	s_movk_i32 s0, 0x48
	s_movk_i32 s33, 0x158
	s_clause 0x3
	scratch_store_b8 off, v6, off offset:340
	scratch_store_b128 off, v[2:5], off offset:344
	scratch_store_b32 off, v6, off offset:376
	scratch_store_b128 off, v[2:5], off offset:360
.LBB2157_5:                             ; =>This Inner Loop Header: Depth=1
	s_wait_xcnt 0x0
	s_add_co_i32 s1, s0, 0x110
	s_add_co_i32 s0, s0, 8
	scratch_store_b64 off, v[0:1], s1
	s_cmp_lg_u32 s0, 0x68
	s_cbranch_scc1 .LBB2157_5
; %bb.6:
	s_wait_xcnt 0x0
	v_mov_b64_e32 v[0:1], 0
	v_dual_mov_b32 v6, 0 :: v_dual_mov_b32 v2, s20
	v_dual_mov_b32 v3, s21 :: v_dual_mov_b32 v4, s22
	;; [unrolled: 1-line block ×4, first 2 shown]
	v_mov_b32_e32 v13, s27
	s_mov_b32 s0, 0
	s_clause 0x2
	scratch_store_b8 off, v6, off offset:376
	scratch_store_b128 off, v[2:5], off offset:96
	scratch_store_b128 off, v[10:13], off offset:112
.LBB2157_7:                             ; =>This Inner Loop Header: Depth=1
	s_wait_xcnt 0x0
	s_mov_b32 s1, s0
	s_add_co_i32 s0, s0, 8
	scratch_store_b64 off, v[0:1], s1
	s_cmp_lg_u32 s0, 32
	s_cbranch_scc1 .LBB2157_7
; %bb.8:
	s_wait_xcnt 0x0
	v_mov_b64_e32 v[0:1], 0
	s_mov_b32 s0, 32
.LBB2157_9:                             ; =>This Inner Loop Header: Depth=1
	s_wait_xcnt 0x0
	s_mov_b32 s1, s0
	s_add_co_i32 s0, s0, 8
	scratch_store_b64 off, v[0:1], s1
	s_cmp_lg_u32 s0, 64
	s_cbranch_scc1 .LBB2157_9
; %bb.10:
	s_wait_xcnt 0x0
	v_mov_b64_e32 v[0:1], 0
	s_mov_b32 s0, 64
.LBB2157_11:                            ; =>This Inner Loop Header: Depth=1
	s_wait_xcnt 0x0
	s_mov_b32 s1, s0
	s_add_co_i32 s0, s0, 8
	scratch_store_b64 off, v[0:1], s1
	s_cmp_lg_u32 s0, 0x60
	s_cbranch_scc1 .LBB2157_11
; %bb.12:
	s_wait_xcnt 0x0
	s_lshl_b64 s[0:1], s[14:15], 2
	s_getreg_b32 s34, hwreg(HW_REG_IB_STS2, 6, 4)
	s_add_nc_u64 s[0:1], s[12:13], s[0:1]
	s_bfe_u32 s12, ttmp6, 0x4000c
	s_and_b32 s13, ttmp6, 15
	s_add_co_i32 s12, s12, 1
	s_mov_b32 s3, 0
	s_mul_i32 s12, ttmp9, s12
	s_add_nc_u64 s[42:43], s[28:29], -1
	s_add_co_i32 s35, s13, s12
	s_cmp_eq_u32 s34, 0
	s_mul_u64 s[12:13], s[36:37], s[2:3]
	s_cselect_b32 s34, ttmp9, s35
	s_mov_b32 s35, s3
	s_mul_i32 s2, s34, 0x300
	s_add_nc_u64 s[12:13], s[12:13], s[34:35]
	s_lshl_b64 s[28:29], s[14:15], 5
	v_cmp_ge_u64_e64 s39, s[12:13], s[42:43]
	s_add_nc_u64 s[12:13], s[16:17], s[28:29]
	s_lshl_b64 s[14:15], s[2:3], 2
	s_lshl_b64 s[16:17], s[2:3], 5
	s_mov_b32 s38, 64
	s_mov_b32 s35, 32
	s_add_nc_u64 s[14:15], s[0:1], s[14:15]
	s_add_nc_u64 s[12:13], s[12:13], s[16:17]
	s_and_b32 vcc_lo, exec_lo, s39
	s_mulk_i32 s42, 0xfd00
	s_cbranch_vccz .LBB2157_30
; %bb.13:
	v_mov_b32_e32 v0, 0
	s_add_co_i32 s43, s42, s10
	s_delay_alu instid0(SALU_CYCLE_1)
	v_cmp_gt_u32_e32 vcc_lo, s43, v16
	flat_load_b32 v0, v0, s[14:15]
	s_wait_loadcnt_dscnt 0x0
	v_mov_b32_e32 v1, v0
	s_wait_xcnt 0x0
	s_and_saveexec_b32 s0, vcc_lo
	s_cbranch_execz .LBB2157_15
; %bb.14:
	flat_load_b32 v1, v16, s[14:15] scale_offset
.LBB2157_15:
	s_wait_xcnt 0x0
	s_or_b32 exec_lo, exec_lo, s0
	v_add_nc_u32_e32 v2, 0x100, v16
	s_delay_alu instid0(VALU_DEP_1)
	v_cmp_gt_u32_e64 s1, s43, v2
	v_mov_b32_e32 v2, v0
	s_and_saveexec_b32 s0, s1
	s_cbranch_execz .LBB2157_17
; %bb.16:
	flat_load_b32 v2, v16, s[14:15] offset:1024 scale_offset
.LBB2157_17:
	s_wait_xcnt 0x0
	s_or_b32 exec_lo, exec_lo, s0
	v_add_nc_u32_e32 v3, 0x200, v16
	s_delay_alu instid0(VALU_DEP_1) | instskip(SKIP_2) | instid1(SALU_CYCLE_1)
	v_cmp_gt_u32_e64 s0, s43, v3
	v_cmp_le_u32_e64 s2, s43, v3
	s_and_saveexec_b32 s3, s2
	s_xor_b32 s2, exec_lo, s3
	s_delay_alu instid0(SALU_CYCLE_1)
	s_and_not1_saveexec_b32 s2, s2
	s_cbranch_execz .LBB2157_19
; %bb.18:
	flat_load_b32 v0, v16, s[14:15] offset:2048 scale_offset
.LBB2157_19:
	s_wait_xcnt 0x0
	s_or_b32 exec_lo, exec_lo, s2
	v_dual_lshlrev_b32 v5, 2, v16 :: v_dual_mov_b32 v3, 0
	s_mov_b32 s3, exec_lo
	s_wait_loadcnt_dscnt 0x0
	ds_store_2addr_stride64_b32 v5, v1, v2 offset1:4
	ds_store_b32 v5, v0 offset:2048
	s_wait_storecnt_dscnt 0x0
	s_barrier_signal -1
	s_barrier_wait -1
	flat_load_b32 v2, v3, s[14:15]
	v_lshl_add_u32 v0, v16, 3, v5
	s_wait_xcnt 0x0
	ds_load_b32 v3, v0
	ds_load_2addr_b32 v[0:1], v0 offset0:1 offset1:2
	s_wait_dscnt 0x1
	ds_store_b32 v5, v3 offset:4096
	s_wait_loadcnt_dscnt 0x0
	s_barrier_signal -1
	s_barrier_wait -1
	v_cmpx_ne_u32_e32 0xff, v16
; %bb.20:
	ds_load_b32 v2, v5 offset:4100
; %bb.21:
	s_or_b32 exec_lo, exec_lo, s3
	s_wait_dscnt 0x0
	s_barrier_signal -1
	s_barrier_wait -1
	s_and_saveexec_b32 s2, vcc_lo
	s_cbranch_execnz .LBB2157_418
; %bb.22:
	s_or_b32 exec_lo, exec_lo, s2
	s_and_saveexec_b32 s2, s1
	s_cbranch_execnz .LBB2157_419
.LBB2157_23:
	s_or_b32 exec_lo, exec_lo, s2
	v_mul_u32_u24_e32 v4, 3, v16
	s_and_saveexec_b32 s1, s0
	s_cbranch_execz .LBB2157_25
.LBB2157_24:
	v_lshlrev_b32_e32 v6, 5, v16
	s_clause 0x1
	flat_load_b128 v[10:13], v6, s[12:13] offset:16384
	flat_load_b128 v[18:21], v6, s[12:13] offset:16400
	s_wait_loadcnt_dscnt 0x101
	scratch_store_b128 off, v[10:13], off offset:64
	s_wait_loadcnt_dscnt 0x0
	scratch_store_b128 off, v[18:21], off offset:80
.LBB2157_25:
	s_wait_xcnt 0x0
	s_or_b32 exec_lo, exec_lo, s1
	s_clause 0x1
	scratch_load_b128 v[10:13], off, off
	scratch_load_b128 v[18:21], off, off offset:16
	s_clause 0x3
	scratch_load_b128 v[22:25], off, s35
	scratch_load_b128 v[26:29], off, s35 offset:16
	scratch_load_b128 v[30:33], off, s38
	scratch_load_b128 v[34:37], off, s38 offset:16
	v_mad_u32_u24 v5, v16, 28, v5
	s_mov_b32 s0, 0
	s_mov_b32 s3, 0
	s_mov_b32 s2, exec_lo
                                        ; implicit-def: $sgpr1
	s_wait_loadcnt 0x5
	ds_store_b128 v5, v[10:13]
	s_wait_loadcnt 0x4
	ds_store_b128 v5, v[18:21] offset:16
	s_wait_loadcnt 0x3
	ds_store_b128 v5, v[22:25] offset:8192
	;; [unrolled: 2-line block ×5, first 2 shown]
	v_lshl_add_u32 v6, v16, 6, v5
	s_wait_storecnt_dscnt 0x0
	s_barrier_signal -1
	s_barrier_wait -1
	ds_load_b128 v[10:13], v6
	ds_load_b128 v[18:21], v6 offset:16
	ds_load_b128 v[22:25], v6 offset:32
	;; [unrolled: 1-line block ×5, first 2 shown]
	s_wait_dscnt 0x5
	scratch_store_b128 off, v[10:13], off
	s_wait_dscnt 0x4
	scratch_store_b128 off, v[18:21], off offset:16
	s_wait_dscnt 0x3
	scratch_store_b128 off, v[22:25], s35
	s_wait_dscnt 0x2
	scratch_store_b128 off, v[26:29], s35 offset:16
	s_wait_dscnt 0x1
	scratch_store_b128 off, v[30:33], s38
	s_wait_dscnt 0x0
	scratch_store_b128 off, v[34:37], s38 offset:16
	s_wait_xcnt 0x0
	v_cmpx_gt_u32_e64 s43, v4
	s_cbranch_execz .LBB2157_29
; %bb.26:
	v_mov_b32_e32 v5, 0x60
	v_cmp_ne_u32_e32 vcc_lo, v3, v0
	s_mov_b32 s44, 0
	s_mov_b32 s3, exec_lo
                                        ; implicit-def: $sgpr1
	s_delay_alu instid0(VALU_DEP_2)
	v_cndmask_b32_e32 v6, 0, v5, vcc_lo
	v_cndmask_b32_e64 v3, 0, 1, vcc_lo
	s_clause 0x1
	scratch_load_b128 v[10:13], v6, off
	scratch_load_b128 v[18:21], v6, off offset:16
	s_wait_xcnt 0x0
	v_add_nc_u32_e32 v6, 1, v4
	s_wait_loadcnt 0x1
	scratch_store_b128 off, v[10:13], off offset:272
	s_wait_loadcnt 0x0
	s_clause 0x1
	scratch_store_b128 off, v[18:21], off offset:288
	scratch_store_b8 off, v3, off offset:304
	s_wait_xcnt 0x0
	v_cmpx_gt_u32_e64 s43, v6
	s_xor_b32 s3, exec_lo, s3
	s_cbranch_execz .LBB2157_28
; %bb.27:
	v_cmp_ne_u32_e32 vcc_lo, v0, v1
	v_cmp_ne_u32_e64 s1, v1, v2
	v_cndmask_b32_e32 v3, s35, v5, vcc_lo
	v_cndmask_b32_e64 v0, 0, 1, vcc_lo
	s_clause 0x1
	scratch_load_b128 v[10:13], v3, off
	scratch_load_b128 v[18:21], v3, off offset:16
	s_wait_xcnt 0x0
	v_add_nc_u32_e32 v3, 2, v4
	s_wait_loadcnt 0x1
	scratch_store_b128 off, v[10:13], s11
	s_wait_loadcnt 0x0
	scratch_store_b128 off, v[18:21], s11 offset:16
	scratch_store_b8 off, v0, off offset:340
	v_cmp_gt_u32_e32 vcc_lo, s43, v3
	s_and_b32 s44, vcc_lo, exec_lo
.LBB2157_28:
	s_wait_xcnt 0x0
	s_or_b32 exec_lo, exec_lo, s3
	s_delay_alu instid0(SALU_CYCLE_1)
	s_and_b32 s3, s44, exec_lo
.LBB2157_29:
	s_or_b32 exec_lo, exec_lo, s2
	s_delay_alu instid0(SALU_CYCLE_1)
	s_and_b32 vcc_lo, exec_lo, s0
	s_cbranch_vccnz .LBB2157_31
	s_branch .LBB2157_34
.LBB2157_30:
                                        ; implicit-def: $sgpr1
	s_cbranch_execz .LBB2157_34
.LBB2157_31:
	s_clause 0x2
	flat_load_b32 v0, v16, s[14:15] scale_offset
	flat_load_b32 v1, v16, s[14:15] offset:1024 scale_offset
	flat_load_b32 v2, v16, s[14:15] offset:2048 scale_offset
	v_dual_mov_b32 v3, 0 :: v_dual_lshlrev_b32 v4, 2, v16
	s_mov_b32 s0, exec_lo
	s_wait_loadcnt_dscnt 0x101
	ds_store_2addr_stride64_b32 v4, v0, v1 offset1:4
	s_wait_loadcnt_dscnt 0x1
	ds_store_b32 v4, v2 offset:2048
	s_wait_storecnt_dscnt 0x0
	s_barrier_signal -1
	s_barrier_wait -1
	flat_load_b32 v2, v3, s[14:15] offset:3072
	v_lshl_add_u32 v0, v16, 3, v4
	s_wait_xcnt 0x0
	ds_load_b32 v3, v0
	ds_load_2addr_b32 v[0:1], v0 offset0:1 offset1:2
	s_wait_dscnt 0x1
	ds_store_b32 v4, v3 offset:4096
	s_wait_loadcnt_dscnt 0x0
	s_barrier_signal -1
	s_barrier_wait -1
	v_cmpx_ne_u32_e32 0xff, v16
; %bb.32:
	ds_load_b32 v2, v4 offset:4100
; %bb.33:
	s_or_b32 exec_lo, exec_lo, s0
	v_cmp_ne_u32_e32 vcc_lo, v3, v0
	v_mov_b32_e32 v3, 0x60
	v_lshlrev_b32_e32 v5, 5, v16
	s_wait_dscnt 0x0
	s_barrier_signal -1
	s_barrier_wait -1
	v_cndmask_b32_e32 v17, 0, v3, vcc_lo
	s_clause 0x1
	flat_load_b128 v[10:13], v5, s[12:13]
	flat_load_b128 v[18:21], v5, s[12:13] offset:16
	v_mad_u32_u24 v4, v16, 28, v4
	v_cmp_ne_u32_e64 s0, v0, v1
	v_cmp_ne_u32_e64 s1, v1, v2
	s_mov_b32 s3, -1
	v_cndmask_b32_e64 v0, 0, 1, vcc_lo
	v_lshl_add_u32 v14, v16, 6, v4
	v_cndmask_b32_e64 v3, s35, v3, s0
	v_cndmask_b32_e64 v15, 0, 1, s0
	s_wait_loadcnt_dscnt 0x101
	scratch_store_b128 off, v[10:13], off
	s_wait_loadcnt_dscnt 0x0
	scratch_store_b128 off, v[18:21], off offset:16
	s_clause 0x1
	flat_load_b128 v[22:25], v5, s[12:13] offset:8192
	flat_load_b128 v[26:29], v5, s[12:13] offset:8208
	s_wait_loadcnt_dscnt 0x101
	scratch_store_b128 off, v[22:25], off offset:32
	s_wait_loadcnt_dscnt 0x0
	scratch_store_b128 off, v[26:29], off offset:48
	s_clause 0x1
	flat_load_b128 v[22:25], v5, s[12:13] offset:16384
	flat_load_b128 v[26:29], v5, s[12:13] offset:16400
	s_clause 0x1
	scratch_load_b128 v[30:33], off, s35
	scratch_load_b128 v[34:37], off, s35 offset:16
	s_wait_loadcnt_dscnt 0x301
	scratch_store_b128 off, v[22:25], off offset:64
	s_wait_loadcnt_dscnt 0x200
	scratch_store_b128 off, v[26:29], off offset:80
	s_clause 0x1
	scratch_load_b128 v[22:25], off, s38
	scratch_load_b128 v[26:29], off, s38 offset:16
	ds_store_b128 v4, v[10:13]
	ds_store_b128 v4, v[18:21] offset:16
	s_wait_loadcnt 0x3
	ds_store_b128 v4, v[30:33] offset:8192
	s_wait_loadcnt 0x2
	;; [unrolled: 2-line block ×4, first 2 shown]
	ds_store_b128 v4, v[26:29] offset:16400
	s_wait_storecnt_dscnt 0x0
	s_barrier_signal -1
	s_barrier_wait -1
	ds_load_b128 v[4:7], v14
	ds_load_b128 v[10:13], v14 offset:16
	ds_load_b128 v[18:21], v14 offset:32
	;; [unrolled: 1-line block ×3, first 2 shown]
	s_wait_dscnt 0x3
	scratch_store_b128 off, v[4:7], off
	s_wait_dscnt 0x2
	scratch_store_b128 off, v[10:13], off offset:16
	s_wait_dscnt 0x1
	scratch_store_b128 off, v[18:21], s35
	s_wait_dscnt 0x0
	scratch_store_b128 off, v[22:25], s35 offset:16
	s_clause 0x1
	scratch_load_b128 v[4:7], v17, off offset:16
	scratch_load_b128 v[10:13], v17, off
	s_clause 0x1
	scratch_load_b128 v[18:21], v3, off offset:16
	scratch_load_b128 v[22:25], v3, off
	ds_load_b128 v[26:29], v14 offset:64
	ds_load_b128 v[30:33], v14 offset:80
	s_wait_dscnt 0x1
	scratch_store_b128 off, v[26:29], s38
	s_wait_dscnt 0x0
	scratch_store_b128 off, v[30:33], s38 offset:16
	s_wait_loadcnt 0x3
	scratch_store_b128 off, v[4:7], off offset:288
	s_wait_loadcnt 0x2
	scratch_store_b128 off, v[10:13], off offset:272
	s_wait_loadcnt 0x1
	scratch_store_b128 off, v[18:21], s11 offset:16
	s_wait_loadcnt 0x0
	scratch_store_b128 off, v[22:25], s11
	s_clause 0x1
	scratch_store_b8 off, v0, off offset:304
	scratch_store_b8 off, v15, off offset:340
.LBB2157_34:
	s_wait_xcnt 0x0
	s_and_saveexec_b32 s0, s3
	s_cbranch_execz .LBB2157_36
; %bb.35:
	v_mov_b32_e32 v0, 0x60
	s_delay_alu instid0(VALU_DEP_1)
	v_cndmask_b32_e64 v10, s38, v0, s1
	s_clause 0x1
	scratch_load_b128 v[0:3], v10, off
	scratch_load_b128 v[4:7], v10, off offset:16
	s_wait_xcnt 0x0
	v_cndmask_b32_e64 v10, 0, 1, s1
	s_wait_loadcnt 0x1
	scratch_store_b128 off, v[0:3], s33
	s_wait_loadcnt 0x0
	scratch_store_b128 off, v[4:7], s33 offset:16
	scratch_store_b8 off, v10, off offset:376
.LBB2157_36:
	s_wait_xcnt 0x0
	s_or_b32 exec_lo, exec_lo, s0
	s_cmp_lg_u32 s34, 0
	s_wait_storecnt 0x0
	s_barrier_signal -1
	s_barrier_wait -1
	s_cbranch_scc0 .LBB2157_250
; %bb.37:
	s_clause 0x3
	scratch_load_u8 v10, off, off offset:340
	scratch_load_b128 v[0:3], off, off offset:272
	scratch_load_b128 v[4:7], off, off offset:288
	scratch_load_b32 v11, off, off offset:304
	s_mov_b32 s0, exec_lo
	s_wait_loadcnt 0x2
	scratch_store_b128 off, v[0:3], off offset:204
	s_wait_loadcnt 0x1
	scratch_store_b128 off, v[4:7], off offset:220
	s_wait_loadcnt 0x0
	scratch_store_b32 off, v11, off offset:236
                                        ; implicit-def: $vgpr6_vgpr7
                                        ; implicit-def: $vgpr2_vgpr3
	s_wait_xcnt 0x0
	v_cmpx_ne_u16_e32 0, v10
	s_xor_b32 s0, exec_lo, s0
	s_cbranch_execz .LBB2157_39
; %bb.38:
	s_clause 0x1
	scratch_load_b128 v[0:3], off, off offset:308
	scratch_load_b128 v[4:7], off, off offset:324
.LBB2157_39:
	s_wait_xcnt 0x0
	s_and_not1_saveexec_b32 s0, s0
	s_cbranch_execz .LBB2157_45
; %bb.40:
	s_wait_loadcnt 0x1
	v_mov_b64_e32 v[0:1], 0
	s_mov_b32 s1, 0
.LBB2157_41:                            ; =>This Inner Loop Header: Depth=1
	s_wait_xcnt 0x0
	s_mov_b32 s2, s1
	s_add_co_i32 s1, s1, 8
	scratch_store_b64 off, v[0:1], s2
	s_cmp_lg_u32 s1, 32
	s_cbranch_scc1 .LBB2157_41
; %bb.42:
	s_mov_b32 s1, 0
.LBB2157_43:                            ; =>This Inner Loop Header: Depth=1
	s_wait_xcnt 0x0
	s_add_co_i32 s2, s1, 0xcc
	s_add_co_i32 s3, s11, s1
	scratch_load_b64 v[0:1], off, s2
	scratch_load_b64 v[2:3], off, s3
	s_wait_xcnt 0x1
	s_mov_b32 s2, s1
	s_add_co_i32 s1, s1, 8
	s_delay_alu instid0(SALU_CYCLE_1)
	s_cmp_lg_u32 s1, 32
	s_wait_loadcnt 0x0
	v_dual_add_nc_u32 v1, v3, v1 :: v_dual_add_nc_u32 v0, v2, v0
	scratch_store_b64 off, v[0:1], s2
	s_cbranch_scc1 .LBB2157_43
; %bb.44:
	s_clause 0x1
	scratch_load_b128 v[0:3], off, off
	scratch_load_b128 v[4:7], off, off offset:16
.LBB2157_45:
	s_wait_xcnt 0x0
	s_or_b32 exec_lo, exec_lo, s0
	scratch_load_u8 v12, off, off offset:376
	s_mov_b32 s0, exec_lo
	s_wait_loadcnt 0x2
	scratch_store_b128 off, v[0:3], off offset:204
	s_wait_loadcnt 0x1
	scratch_store_b128 off, v[4:7], off offset:220
                                        ; implicit-def: $vgpr6_vgpr7
                                        ; implicit-def: $vgpr2_vgpr3
	s_wait_loadcnt 0x0
	v_cmpx_ne_u16_e32 0, v12
	s_xor_b32 s0, exec_lo, s0
	s_cbranch_execz .LBB2157_47
; %bb.46:
	s_clause 0x1
	scratch_load_b128 v[0:3], off, off offset:344
	scratch_load_b128 v[4:7], off, off offset:360
.LBB2157_47:
	s_wait_xcnt 0x0
	s_and_not1_saveexec_b32 s0, s0
	s_cbranch_execz .LBB2157_53
; %bb.48:
	s_wait_loadcnt 0x1
	v_mov_b64_e32 v[0:1], 0
	s_mov_b32 s1, 0
.LBB2157_49:                            ; =>This Inner Loop Header: Depth=1
	s_wait_xcnt 0x0
	s_mov_b32 s2, s1
	s_add_co_i32 s1, s1, 8
	scratch_store_b64 off, v[0:1], s2
	s_cmp_lg_u32 s1, 32
	s_cbranch_scc1 .LBB2157_49
; %bb.50:
	s_mov_b32 s1, 0
.LBB2157_51:                            ; =>This Inner Loop Header: Depth=1
	s_wait_xcnt 0x0
	s_add_co_i32 s2, s1, 0xcc
	s_add_co_i32 s3, s33, s1
	scratch_load_b64 v[0:1], off, s2
	scratch_load_b64 v[2:3], off, s3
	s_wait_xcnt 0x1
	s_mov_b32 s2, s1
	s_add_co_i32 s1, s1, 8
	s_delay_alu instid0(SALU_CYCLE_1)
	s_cmp_lg_u32 s1, 32
	s_wait_loadcnt 0x0
	v_dual_add_nc_u32 v1, v3, v1 :: v_dual_add_nc_u32 v0, v2, v0
	scratch_store_b64 off, v[0:1], s2
	s_cbranch_scc1 .LBB2157_51
; %bb.52:
	s_clause 0x1
	scratch_load_b128 v[0:3], off, off
	scratch_load_b128 v[4:7], off, off offset:16
.LBB2157_53:
	s_wait_xcnt 0x0
	s_or_b32 exec_lo, exec_lo, s0
	v_and_b32_e32 v11, 1, v11
	v_or_b32_e32 v10, v12, v10
	v_mbcnt_lo_u32_b32 v17, -1, 0
	s_wait_loadcnt 0x1
	v_mov_b32_dpp v18, v0 row_shr:1 row_mask:0xf bank_mask:0xf
	v_mov_b32_dpp v19, v1 row_shr:1 row_mask:0xf bank_mask:0xf
	v_cmp_eq_u32_e32 vcc_lo, 1, v11
	v_cmp_ne_u16_e64 s0, 0, v10
	v_and_b32_e32 v11, 15, v17
	v_mov_b32_dpp v20, v2 row_shr:1 row_mask:0xf bank_mask:0xf
	v_mov_b32_dpp v21, v3 row_shr:1 row_mask:0xf bank_mask:0xf
	s_wait_loadcnt 0x0
	v_mov_b32_dpp v22, v4 row_shr:1 row_mask:0xf bank_mask:0xf
	s_or_b32 s0, s0, vcc_lo
	v_mov_b32_dpp v23, v5 row_shr:1 row_mask:0xf bank_mask:0xf
	v_cndmask_b32_e64 v10, 0, 1, s0
	v_mov_b32_dpp v24, v6 row_shr:1 row_mask:0xf bank_mask:0xf
	v_mov_b32_dpp v25, v7 row_shr:1 row_mask:0xf bank_mask:0xf
	s_mov_b32 s0, exec_lo
	s_clause 0x1
	scratch_store_b8 off, v10, off offset:236
	scratch_load_b32 v10, off, off offset:236
	s_wait_loadcnt 0x0
	v_mov_b32_dpp v12, v10 row_shr:1 row_mask:0xf bank_mask:0xf
	s_clause 0x4
	scratch_store_b128 off, v[0:3], off offset:204
	scratch_store_b128 off, v[4:7], off offset:220
	scratch_store_b128 off, v[18:21], off
	scratch_store_b128 off, v[22:25], off offset:16
	scratch_store_b32 off, v12, off offset:32
	s_wait_xcnt 0x0
	v_cmpx_ne_u32_e32 0, v11
	s_xor_b32 s0, exec_lo, s0
	s_cbranch_execz .LBB2157_61
; %bb.54:
	v_and_b32_e32 v13, 0xff, v10
	s_mov_b32 s1, exec_lo
	s_delay_alu instid0(VALU_DEP_1)
	v_cmpx_eq_u16_e32 0, v13
	s_cbranch_execz .LBB2157_60
; %bb.55:
	v_mov_b64_e32 v[0:1], 0
	s_mov_b32 s2, 0
.LBB2157_56:                            ; =>This Inner Loop Header: Depth=1
	s_wait_xcnt 0x0
	s_add_co_i32 s3, s2, 0x60
	s_add_co_i32 s2, s2, 8
	scratch_store_b64 off, v[0:1], s3
	s_cmp_lg_u32 s2, 32
	s_cbranch_scc1 .LBB2157_56
; %bb.57:
	s_mov_b32 s2, 0
.LBB2157_58:                            ; =>This Inner Loop Header: Depth=1
	s_wait_xcnt 0x1
	s_add_co_i32 s12, s2, 0xcc
	scratch_load_b64 v[0:1], off, s2
	scratch_load_b64 v[2:3], off, s12
	s_mov_b32 s3, s2
                                        ; kill: killed $sgpr3
	s_add_co_i32 s3, s2, 0x60
	s_wait_xcnt 0x1
	s_add_co_i32 s2, s2, 8
                                        ; kill: killed $sgpr12
	s_delay_alu instid0(SALU_CYCLE_1)
	s_cmp_lg_u32 s2, 32
	s_wait_loadcnt 0x0
	v_dual_add_nc_u32 v1, v3, v1 :: v_dual_add_nc_u32 v0, v2, v0
	scratch_store_b64 off, v[0:1], s3
	s_cbranch_scc1 .LBB2157_58
; %bb.59:
	s_clause 0x1
	scratch_load_b128 v[0:3], off, off offset:96
	scratch_load_b128 v[4:7], off, off offset:112
.LBB2157_60:
	s_wait_xcnt 0x0
	s_or_b32 exec_lo, exec_lo, s1
	v_or_b32_e32 v10, v12, v10
	s_delay_alu instid0(VALU_DEP_1)
	v_and_b32_e32 v10, 1, v10
	s_clause 0x1
	scratch_store_b8 off, v10, off offset:236
	scratch_load_b32 v10, off, off offset:236
	s_wait_loadcnt 0x2
	scratch_store_b128 off, v[0:3], off offset:204
	s_wait_loadcnt 0x1
	scratch_store_b128 off, v[4:7], off offset:220
.LBB2157_61:
	s_wait_xcnt 0x0
	s_or_b32 exec_lo, exec_lo, s0
	v_mov_b32_dpp v18, v0 row_shr:2 row_mask:0xf bank_mask:0xf
	v_mov_b32_dpp v19, v1 row_shr:2 row_mask:0xf bank_mask:0xf
	;; [unrolled: 1-line block ×4, first 2 shown]
	s_wait_loadcnt 0x0
	v_mov_b32_dpp v12, v10 row_shr:2 row_mask:0xf bank_mask:0xf
	v_mov_b32_dpp v22, v4 row_shr:2 row_mask:0xf bank_mask:0xf
	;; [unrolled: 1-line block ×5, first 2 shown]
	s_mov_b32 s1, exec_lo
	s_clause 0x2
	scratch_store_b128 off, v[18:21], off
	scratch_store_b128 off, v[22:25], off offset:16
	scratch_store_b32 off, v12, off offset:32
	s_wait_xcnt 0x0
	v_cmpx_lt_u32_e32 1, v11
	s_cbranch_execz .LBB2157_69
; %bb.62:
	v_and_b32_e32 v13, 0xff, v10
	s_mov_b32 s2, 0
	s_mov_b32 s0, exec_lo
	s_delay_alu instid0(VALU_DEP_1)
	v_cmpx_eq_u16_e32 0, v13
	s_cbranch_execz .LBB2157_68
; %bb.63:
	v_mov_b64_e32 v[0:1], 0
.LBB2157_64:                            ; =>This Inner Loop Header: Depth=1
	s_wait_xcnt 0x0
	s_add_co_i32 s3, s2, 0x60
	s_add_co_i32 s2, s2, 8
	scratch_store_b64 off, v[0:1], s3
	s_cmp_lg_u32 s2, 32
	s_cbranch_scc1 .LBB2157_64
; %bb.65:
	s_mov_b32 s2, 0
.LBB2157_66:                            ; =>This Inner Loop Header: Depth=1
	s_wait_xcnt 0x1
	s_add_co_i32 s12, s2, 0xcc
	scratch_load_b64 v[0:1], off, s2
	scratch_load_b64 v[2:3], off, s12
	s_mov_b32 s3, s2
                                        ; kill: killed $sgpr3
	s_add_co_i32 s3, s2, 0x60
	s_wait_xcnt 0x1
	s_add_co_i32 s2, s2, 8
                                        ; kill: killed $sgpr12
	s_delay_alu instid0(SALU_CYCLE_1)
	s_cmp_lg_u32 s2, 32
	s_wait_loadcnt 0x0
	v_dual_add_nc_u32 v1, v3, v1 :: v_dual_add_nc_u32 v0, v2, v0
	scratch_store_b64 off, v[0:1], s3
	s_cbranch_scc1 .LBB2157_66
; %bb.67:
	s_clause 0x1
	scratch_load_b128 v[0:3], off, off offset:96
	scratch_load_b128 v[4:7], off, off offset:112
.LBB2157_68:
	s_wait_xcnt 0x0
	s_or_b32 exec_lo, exec_lo, s0
	v_and_b32_e32 v10, 1, v10
	v_and_b32_e32 v12, 1, v12
	s_delay_alu instid0(VALU_DEP_2) | instskip(NEXT) | instid1(VALU_DEP_2)
	v_cmp_eq_u32_e32 vcc_lo, 1, v10
	v_cmp_eq_u32_e64 s0, 1, v12
	s_or_b32 s0, vcc_lo, s0
	s_delay_alu instid0(SALU_CYCLE_1)
	v_cndmask_b32_e64 v10, 0, 1, s0
	s_clause 0x1
	scratch_store_b8 off, v10, off offset:236
	scratch_load_b32 v10, off, off offset:236
	s_wait_loadcnt 0x2
	scratch_store_b128 off, v[0:3], off offset:204
	s_wait_loadcnt 0x1
	scratch_store_b128 off, v[4:7], off offset:220
.LBB2157_69:
	s_wait_xcnt 0x0
	s_or_b32 exec_lo, exec_lo, s1
	v_mov_b32_dpp v18, v0 row_shr:4 row_mask:0xf bank_mask:0xf
	v_mov_b32_dpp v19, v1 row_shr:4 row_mask:0xf bank_mask:0xf
	v_mov_b32_dpp v20, v2 row_shr:4 row_mask:0xf bank_mask:0xf
	v_mov_b32_dpp v21, v3 row_shr:4 row_mask:0xf bank_mask:0xf
	s_wait_loadcnt 0x0
	v_mov_b32_dpp v12, v10 row_shr:4 row_mask:0xf bank_mask:0xf
	v_mov_b32_dpp v22, v4 row_shr:4 row_mask:0xf bank_mask:0xf
	;; [unrolled: 1-line block ×5, first 2 shown]
	s_mov_b32 s1, exec_lo
	s_clause 0x2
	scratch_store_b128 off, v[18:21], off
	scratch_store_b128 off, v[22:25], off offset:16
	scratch_store_b32 off, v12, off offset:32
	s_wait_xcnt 0x0
	v_cmpx_lt_u32_e32 3, v11
	s_cbranch_execz .LBB2157_77
; %bb.70:
	v_and_b32_e32 v13, 0xff, v10
	s_mov_b32 s2, 0
	s_mov_b32 s0, exec_lo
	s_delay_alu instid0(VALU_DEP_1)
	v_cmpx_eq_u16_e32 0, v13
	s_cbranch_execz .LBB2157_76
; %bb.71:
	v_mov_b64_e32 v[0:1], 0
.LBB2157_72:                            ; =>This Inner Loop Header: Depth=1
	s_wait_xcnt 0x0
	s_add_co_i32 s3, s2, 0x60
	s_add_co_i32 s2, s2, 8
	scratch_store_b64 off, v[0:1], s3
	s_cmp_lg_u32 s2, 32
	s_cbranch_scc1 .LBB2157_72
; %bb.73:
	s_mov_b32 s2, 0
.LBB2157_74:                            ; =>This Inner Loop Header: Depth=1
	s_wait_xcnt 0x1
	s_add_co_i32 s12, s2, 0xcc
	scratch_load_b64 v[0:1], off, s2
	scratch_load_b64 v[2:3], off, s12
	s_mov_b32 s3, s2
                                        ; kill: killed $sgpr3
	s_add_co_i32 s3, s2, 0x60
	s_wait_xcnt 0x1
	s_add_co_i32 s2, s2, 8
                                        ; kill: killed $sgpr12
	s_delay_alu instid0(SALU_CYCLE_1)
	s_cmp_lg_u32 s2, 32
	s_wait_loadcnt 0x0
	v_dual_add_nc_u32 v1, v3, v1 :: v_dual_add_nc_u32 v0, v2, v0
	scratch_store_b64 off, v[0:1], s3
	s_cbranch_scc1 .LBB2157_74
; %bb.75:
	s_clause 0x1
	scratch_load_b128 v[0:3], off, off offset:96
	scratch_load_b128 v[4:7], off, off offset:112
.LBB2157_76:
	s_wait_xcnt 0x0
	s_or_b32 exec_lo, exec_lo, s0
	v_and_b32_e32 v10, 1, v10
	v_and_b32_e32 v12, 1, v12
	s_delay_alu instid0(VALU_DEP_2) | instskip(NEXT) | instid1(VALU_DEP_2)
	v_cmp_eq_u32_e32 vcc_lo, 1, v10
	v_cmp_eq_u32_e64 s0, 1, v12
	s_or_b32 s0, vcc_lo, s0
	s_delay_alu instid0(SALU_CYCLE_1)
	v_cndmask_b32_e64 v10, 0, 1, s0
	s_clause 0x1
	scratch_store_b8 off, v10, off offset:236
	scratch_load_b32 v10, off, off offset:236
	s_wait_loadcnt 0x2
	scratch_store_b128 off, v[0:3], off offset:204
	s_wait_loadcnt 0x1
	scratch_store_b128 off, v[4:7], off offset:220
.LBB2157_77:
	s_wait_xcnt 0x0
	s_or_b32 exec_lo, exec_lo, s1
	v_mov_b32_dpp v18, v0 row_shr:8 row_mask:0xf bank_mask:0xf
	v_mov_b32_dpp v19, v1 row_shr:8 row_mask:0xf bank_mask:0xf
	;; [unrolled: 1-line block ×4, first 2 shown]
	s_wait_loadcnt 0x0
	v_mov_b32_dpp v12, v10 row_shr:8 row_mask:0xf bank_mask:0xf
	v_mov_b32_dpp v22, v4 row_shr:8 row_mask:0xf bank_mask:0xf
	;; [unrolled: 1-line block ×5, first 2 shown]
	s_mov_b32 s1, exec_lo
	s_clause 0x2
	scratch_store_b128 off, v[18:21], off
	scratch_store_b128 off, v[22:25], off offset:16
	scratch_store_b32 off, v12, off offset:32
	s_wait_xcnt 0x0
	v_cmpx_lt_u32_e32 7, v11
	s_cbranch_execz .LBB2157_85
; %bb.78:
	v_and_b32_e32 v11, 0xff, v10
	s_mov_b32 s2, 0
	s_mov_b32 s0, exec_lo
	s_delay_alu instid0(VALU_DEP_1)
	v_cmpx_eq_u16_e32 0, v11
	s_cbranch_execz .LBB2157_84
; %bb.79:
	v_mov_b64_e32 v[0:1], 0
.LBB2157_80:                            ; =>This Inner Loop Header: Depth=1
	s_wait_xcnt 0x0
	s_add_co_i32 s3, s2, 0x60
	s_add_co_i32 s2, s2, 8
	scratch_store_b64 off, v[0:1], s3
	s_cmp_lg_u32 s2, 32
	s_cbranch_scc1 .LBB2157_80
; %bb.81:
	s_mov_b32 s2, 0
.LBB2157_82:                            ; =>This Inner Loop Header: Depth=1
	s_wait_xcnt 0x1
	s_add_co_i32 s12, s2, 0xcc
	scratch_load_b64 v[0:1], off, s2
	scratch_load_b64 v[2:3], off, s12
	s_mov_b32 s3, s2
                                        ; kill: killed $sgpr3
	s_add_co_i32 s3, s2, 0x60
	s_wait_xcnt 0x1
	s_add_co_i32 s2, s2, 8
                                        ; kill: killed $sgpr12
	s_delay_alu instid0(SALU_CYCLE_1)
	s_cmp_lg_u32 s2, 32
	s_wait_loadcnt 0x0
	v_dual_add_nc_u32 v1, v3, v1 :: v_dual_add_nc_u32 v0, v2, v0
	scratch_store_b64 off, v[0:1], s3
	s_cbranch_scc1 .LBB2157_82
; %bb.83:
	s_clause 0x1
	scratch_load_b128 v[0:3], off, off offset:96
	scratch_load_b128 v[4:7], off, off offset:112
.LBB2157_84:
	s_wait_xcnt 0x0
	s_or_b32 exec_lo, exec_lo, s0
	v_and_b32_e32 v10, 1, v10
	v_and_b32_e32 v11, 1, v12
	s_delay_alu instid0(VALU_DEP_2) | instskip(NEXT) | instid1(VALU_DEP_2)
	v_cmp_eq_u32_e32 vcc_lo, 1, v10
	v_cmp_eq_u32_e64 s0, 1, v11
	s_or_b32 s0, vcc_lo, s0
	s_delay_alu instid0(SALU_CYCLE_1)
	v_cndmask_b32_e64 v10, 0, 1, s0
	s_clause 0x1
	scratch_store_b8 off, v10, off offset:236
	scratch_load_b32 v10, off, off offset:236
	s_wait_loadcnt 0x2
	scratch_store_b128 off, v[0:3], off offset:204
	s_wait_loadcnt 0x1
	scratch_store_b128 off, v[4:7], off offset:220
.LBB2157_85:
	s_wait_xcnt 0x0
	s_or_b32 exec_lo, exec_lo, s1
	ds_swizzle_b32 v12, v0 offset:swizzle(BROADCAST,32,15)
	ds_swizzle_b32 v13, v1 offset:swizzle(BROADCAST,32,15)
	;; [unrolled: 1-line block ×4, first 2 shown]
	s_wait_loadcnt 0x0
	ds_swizzle_b32 v11, v10 offset:swizzle(BROADCAST,32,15)
	ds_swizzle_b32 v18, v4 offset:swizzle(BROADCAST,32,15)
	;; [unrolled: 1-line block ×5, first 2 shown]
	v_and_b32_e32 v22, 16, v17
	s_mov_b32 s1, exec_lo
	s_wait_dscnt 0x5
	scratch_store_b128 off, v[12:15], off
	s_wait_dscnt 0x0
	s_clause 0x1
	scratch_store_b128 off, v[18:21], off offset:16
	scratch_store_b32 off, v11, off offset:32
	s_wait_xcnt 0x0
	v_cmpx_ne_u32_e32 0, v22
	s_cbranch_execz .LBB2157_93
; %bb.86:
	v_and_b32_e32 v12, 0xff, v10
	s_mov_b32 s2, 0
	s_mov_b32 s0, exec_lo
	s_delay_alu instid0(VALU_DEP_1)
	v_cmpx_eq_u16_e32 0, v12
	s_cbranch_execz .LBB2157_92
; %bb.87:
	v_mov_b64_e32 v[0:1], 0
.LBB2157_88:                            ; =>This Inner Loop Header: Depth=1
	s_wait_xcnt 0x0
	s_add_co_i32 s3, s2, 0x60
	s_add_co_i32 s2, s2, 8
	scratch_store_b64 off, v[0:1], s3
	s_cmp_lg_u32 s2, 32
	s_cbranch_scc1 .LBB2157_88
; %bb.89:
	s_mov_b32 s2, 0
.LBB2157_90:                            ; =>This Inner Loop Header: Depth=1
	s_wait_xcnt 0x1
	s_add_co_i32 s12, s2, 0xcc
	scratch_load_b64 v[0:1], off, s2
	scratch_load_b64 v[2:3], off, s12
	s_mov_b32 s3, s2
                                        ; kill: killed $sgpr3
	s_add_co_i32 s3, s2, 0x60
	s_wait_xcnt 0x1
	s_add_co_i32 s2, s2, 8
                                        ; kill: killed $sgpr12
	s_delay_alu instid0(SALU_CYCLE_1)
	s_cmp_lg_u32 s2, 32
	s_wait_loadcnt 0x0
	v_dual_add_nc_u32 v1, v3, v1 :: v_dual_add_nc_u32 v0, v2, v0
	scratch_store_b64 off, v[0:1], s3
	s_cbranch_scc1 .LBB2157_90
; %bb.91:
	s_clause 0x1
	scratch_load_b128 v[0:3], off, off offset:96
	scratch_load_b128 v[4:7], off, off offset:112
.LBB2157_92:
	s_wait_xcnt 0x0
	s_or_b32 exec_lo, exec_lo, s0
	v_and_b32_e32 v10, 1, v10
	v_and_b32_e32 v11, 1, v11
	s_delay_alu instid0(VALU_DEP_2) | instskip(NEXT) | instid1(VALU_DEP_2)
	v_cmp_eq_u32_e32 vcc_lo, 1, v10
	v_cmp_eq_u32_e64 s0, 1, v11
	s_or_b32 s0, vcc_lo, s0
	s_delay_alu instid0(SALU_CYCLE_1)
	v_cndmask_b32_e64 v10, 0, 1, s0
	s_wait_loadcnt 0x1
	scratch_store_b128 off, v[0:3], off offset:204
	s_wait_loadcnt 0x0
	s_clause 0x1
	scratch_store_b128 off, v[4:7], off offset:220
	scratch_store_b8 off, v10, off offset:236
.LBB2157_93:
	s_wait_xcnt 0x0
	s_or_b32 exec_lo, exec_lo, s1
	v_and_b32_e32 v11, 0x3e0, v16
	s_mov_b32 s0, exec_lo
	s_delay_alu instid0(VALU_DEP_1) | instskip(NEXT) | instid1(VALU_DEP_1)
	v_min_u32_e32 v11, 0xe0, v11
	v_dual_lshrrev_b32 v11, 5, v16 :: v_dual_bitop2_b32 v12, 31, v11 bitop3:0x54
	s_delay_alu instid0(VALU_DEP_1)
	v_cmpx_eq_u32_e64 v16, v12
	s_cbranch_execz .LBB2157_95
; %bb.94:
	s_delay_alu instid0(VALU_DEP_2)
	v_mul_u32_u24_e32 v12, 36, v11
	ds_store_2addr_b32 v12, v0, v1 offset1:1
	ds_store_2addr_b32 v12, v2, v3 offset0:2 offset1:3
	ds_store_2addr_b32 v12, v4, v5 offset0:4 offset1:5
	;; [unrolled: 1-line block ×3, first 2 shown]
	ds_store_b8 v12, v10 offset:32
.LBB2157_95:
	s_or_b32 exec_lo, exec_lo, s0
	s_delay_alu instid0(SALU_CYCLE_1)
	s_mov_b32 s1, exec_lo
	s_wait_storecnt_dscnt 0x0
	s_barrier_signal -1
	s_barrier_wait -1
	v_cmpx_gt_u32_e32 8, v16
	s_cbranch_execz .LBB2157_121
; %bb.96:
	v_mul_u32_u24_e32 v10, 36, v16
	v_and_b32_e32 v13, 7, v17
	s_mov_b32 s0, exec_lo
	ds_load_b32 v12, v10 offset:32
	ds_load_2addr_b32 v[4:5], v10 offset0:4 offset1:5
	ds_load_2addr_b32 v[0:1], v10 offset1:1
	ds_load_2addr_b32 v[2:3], v10 offset0:2 offset1:3
	ds_load_2addr_b32 v[6:7], v10 offset0:6 offset1:7
	s_wait_dscnt 0x4
	v_mov_b32_dpp v14, v12 row_shr:1 row_mask:0xf bank_mask:0xf
	s_wait_dscnt 0x3
	v_mov_b32_dpp v22, v4 row_shr:1 row_mask:0xf bank_mask:0xf
	;; [unrolled: 2-line block ×3, first 2 shown]
	v_mov_b32_dpp v19, v1 row_shr:1 row_mask:0xf bank_mask:0xf
	s_wait_dscnt 0x1
	v_mov_b32_dpp v20, v2 row_shr:1 row_mask:0xf bank_mask:0xf
	v_mov_b32_dpp v21, v3 row_shr:1 row_mask:0xf bank_mask:0xf
	;; [unrolled: 1-line block ×3, first 2 shown]
	s_wait_dscnt 0x0
	v_mov_b32_dpp v24, v6 row_shr:1 row_mask:0xf bank_mask:0xf
	v_mov_b32_dpp v25, v7 row_shr:1 row_mask:0xf bank_mask:0xf
	s_clause 0x5
	scratch_store_b32 off, v12, off offset:128
	scratch_store_b128 off, v[0:3], off offset:96
	scratch_store_b128 off, v[4:7], off offset:112
	scratch_store_b128 off, v[18:21], off
	scratch_store_b128 off, v[22:25], off offset:16
	scratch_store_b32 off, v14, off offset:32
	s_wait_xcnt 0x0
	v_cmpx_ne_u32_e32 0, v13
	s_cbranch_execz .LBB2157_104
; %bb.97:
	v_and_b32_e32 v15, 0xff, v12
	s_mov_b32 s2, exec_lo
	s_delay_alu instid0(VALU_DEP_1)
	v_cmpx_eq_u16_e32 0, v15
	s_cbranch_execz .LBB2157_103
; %bb.98:
	v_mov_b64_e32 v[0:1], 0
	s_mov_b32 s3, 0
.LBB2157_99:                            ; =>This Inner Loop Header: Depth=1
	s_wait_xcnt 0x0
	s_add_co_i32 s12, s3, 0x84
	s_add_co_i32 s3, s3, 8
	scratch_store_b64 off, v[0:1], s12
	s_cmp_lg_u32 s3, 32
	s_cbranch_scc1 .LBB2157_99
; %bb.100:
	s_mov_b32 s3, 0
.LBB2157_101:                           ; =>This Inner Loop Header: Depth=1
	s_wait_xcnt 0x1
	s_add_co_i32 s13, s3, 0x60
	scratch_load_b64 v[0:1], off, s3
	scratch_load_b64 v[2:3], off, s13
	s_mov_b32 s12, s3
                                        ; kill: killed $sgpr12
	s_add_co_i32 s12, s3, 0x84
	s_wait_xcnt 0x1
	s_add_co_i32 s3, s3, 8
                                        ; kill: killed $sgpr13
	s_delay_alu instid0(SALU_CYCLE_1)
	s_cmp_lg_u32 s3, 32
	s_wait_loadcnt 0x0
	v_dual_add_nc_u32 v1, v3, v1 :: v_dual_add_nc_u32 v0, v2, v0
	scratch_store_b64 off, v[0:1], s12
	s_cbranch_scc1 .LBB2157_101
; %bb.102:
	s_clause 0x1
	scratch_load_b128 v[0:3], off, off offset:132
	scratch_load_b128 v[4:7], off, off offset:148
.LBB2157_103:
	s_wait_xcnt 0x0
	s_or_b32 exec_lo, exec_lo, s2
	v_or_b32_e32 v12, v14, v12
	s_delay_alu instid0(VALU_DEP_1)
	v_and_b32_e32 v12, 1, v12
	s_clause 0x1
	scratch_store_b8 off, v12, off offset:128
	scratch_load_b32 v12, off, off offset:128
	s_wait_loadcnt 0x2
	scratch_store_b128 off, v[0:3], off offset:96
	s_wait_loadcnt 0x1
	scratch_store_b128 off, v[4:7], off offset:112
.LBB2157_104:
	s_wait_xcnt 0x0
	s_or_b32 exec_lo, exec_lo, s0
	v_mov_b32_dpp v18, v0 row_shr:2 row_mask:0xf bank_mask:0xf
	v_mov_b32_dpp v19, v1 row_shr:2 row_mask:0xf bank_mask:0xf
	;; [unrolled: 1-line block ×4, first 2 shown]
	s_wait_loadcnt 0x0
	v_mov_b32_dpp v14, v12 row_shr:2 row_mask:0xf bank_mask:0xf
	v_mov_b32_dpp v22, v4 row_shr:2 row_mask:0xf bank_mask:0xf
	;; [unrolled: 1-line block ×5, first 2 shown]
	s_mov_b32 s2, exec_lo
	s_clause 0x2
	scratch_store_b128 off, v[18:21], off
	scratch_store_b128 off, v[22:25], off offset:16
	scratch_store_b32 off, v14, off offset:32
	s_wait_xcnt 0x0
	v_cmpx_lt_u32_e32 1, v13
	s_cbranch_execz .LBB2157_112
; %bb.105:
	v_and_b32_e32 v15, 0xff, v12
	s_mov_b32 s3, 0
	s_mov_b32 s0, exec_lo
	s_delay_alu instid0(VALU_DEP_1)
	v_cmpx_eq_u16_e32 0, v15
	s_cbranch_execz .LBB2157_111
; %bb.106:
	v_mov_b64_e32 v[0:1], 0
.LBB2157_107:                           ; =>This Inner Loop Header: Depth=1
	s_wait_xcnt 0x0
	s_add_co_i32 s12, s3, 0x84
	s_add_co_i32 s3, s3, 8
	scratch_store_b64 off, v[0:1], s12
	s_cmp_lg_u32 s3, 32
	s_cbranch_scc1 .LBB2157_107
; %bb.108:
	s_mov_b32 s3, 0
.LBB2157_109:                           ; =>This Inner Loop Header: Depth=1
	s_wait_xcnt 0x1
	s_add_co_i32 s13, s3, 0x60
	scratch_load_b64 v[0:1], off, s3
	scratch_load_b64 v[2:3], off, s13
	s_mov_b32 s12, s3
                                        ; kill: killed $sgpr12
	s_add_co_i32 s12, s3, 0x84
	s_wait_xcnt 0x1
	s_add_co_i32 s3, s3, 8
                                        ; kill: killed $sgpr13
	s_delay_alu instid0(SALU_CYCLE_1)
	s_cmp_lg_u32 s3, 32
	s_wait_loadcnt 0x0
	v_dual_add_nc_u32 v1, v3, v1 :: v_dual_add_nc_u32 v0, v2, v0
	scratch_store_b64 off, v[0:1], s12
	s_cbranch_scc1 .LBB2157_109
; %bb.110:
	s_clause 0x1
	scratch_load_b128 v[0:3], off, off offset:132
	scratch_load_b128 v[4:7], off, off offset:148
.LBB2157_111:
	s_wait_xcnt 0x0
	s_or_b32 exec_lo, exec_lo, s0
	v_and_b32_e32 v12, 1, v12
	v_and_b32_e32 v14, 1, v14
	s_delay_alu instid0(VALU_DEP_2) | instskip(NEXT) | instid1(VALU_DEP_2)
	v_cmp_eq_u32_e32 vcc_lo, 1, v12
	v_cmp_eq_u32_e64 s0, 1, v14
	s_or_b32 s0, vcc_lo, s0
	s_delay_alu instid0(SALU_CYCLE_1)
	v_cndmask_b32_e64 v12, 0, 1, s0
	s_clause 0x1
	scratch_store_b8 off, v12, off offset:128
	scratch_load_b32 v12, off, off offset:128
	s_wait_loadcnt 0x2
	scratch_store_b128 off, v[0:3], off offset:96
	s_wait_loadcnt 0x1
	scratch_store_b128 off, v[4:7], off offset:112
.LBB2157_112:
	s_wait_xcnt 0x0
	s_or_b32 exec_lo, exec_lo, s2
	v_mov_b32_dpp v18, v0 row_shr:4 row_mask:0xf bank_mask:0xf
	v_mov_b32_dpp v19, v1 row_shr:4 row_mask:0xf bank_mask:0xf
	;; [unrolled: 1-line block ×4, first 2 shown]
	s_wait_loadcnt 0x0
	v_mov_b32_dpp v14, v12 row_shr:4 row_mask:0xf bank_mask:0xf
	v_mov_b32_dpp v22, v4 row_shr:4 row_mask:0xf bank_mask:0xf
	;; [unrolled: 1-line block ×5, first 2 shown]
	s_mov_b32 s2, exec_lo
	s_clause 0x2
	scratch_store_b128 off, v[18:21], off
	scratch_store_b128 off, v[22:25], off offset:16
	scratch_store_b32 off, v14, off offset:32
	s_wait_xcnt 0x0
	v_cmpx_lt_u32_e32 3, v13
	s_cbranch_execz .LBB2157_120
; %bb.113:
	v_and_b32_e32 v13, 0xff, v12
	s_mov_b32 s3, 0
	s_mov_b32 s0, exec_lo
	s_delay_alu instid0(VALU_DEP_1)
	v_cmpx_eq_u16_e32 0, v13
	s_cbranch_execz .LBB2157_119
; %bb.114:
	v_mov_b64_e32 v[0:1], 0
.LBB2157_115:                           ; =>This Inner Loop Header: Depth=1
	s_wait_xcnt 0x0
	s_add_co_i32 s12, s3, 0x84
	s_add_co_i32 s3, s3, 8
	scratch_store_b64 off, v[0:1], s12
	s_cmp_lg_u32 s3, 32
	s_cbranch_scc1 .LBB2157_115
; %bb.116:
	s_mov_b32 s3, 0
.LBB2157_117:                           ; =>This Inner Loop Header: Depth=1
	s_wait_xcnt 0x1
	s_add_co_i32 s13, s3, 0x60
	scratch_load_b64 v[0:1], off, s3
	scratch_load_b64 v[2:3], off, s13
	s_mov_b32 s12, s3
                                        ; kill: killed $sgpr12
	s_add_co_i32 s12, s3, 0x84
	s_wait_xcnt 0x1
	s_add_co_i32 s3, s3, 8
                                        ; kill: killed $sgpr13
	s_delay_alu instid0(SALU_CYCLE_1)
	s_cmp_lg_u32 s3, 32
	s_wait_loadcnt 0x0
	v_dual_add_nc_u32 v1, v3, v1 :: v_dual_add_nc_u32 v0, v2, v0
	scratch_store_b64 off, v[0:1], s12
	s_cbranch_scc1 .LBB2157_117
; %bb.118:
	s_clause 0x1
	scratch_load_b128 v[0:3], off, off offset:132
	scratch_load_b128 v[4:7], off, off offset:148
.LBB2157_119:
	s_wait_xcnt 0x0
	s_or_b32 exec_lo, exec_lo, s0
	v_and_b32_e32 v12, 1, v12
	v_and_b32_e32 v13, 1, v14
	s_wait_loadcnt 0x1
	scratch_store_b128 off, v[0:3], off offset:96
	s_wait_loadcnt 0x0
	scratch_store_b128 off, v[4:7], off offset:112
	v_cmp_eq_u32_e32 vcc_lo, 1, v12
	v_cmp_eq_u32_e64 s0, 1, v13
	s_or_b32 s0, vcc_lo, s0
	s_delay_alu instid0(SALU_CYCLE_1)
	v_cndmask_b32_e64 v12, 0, 1, s0
.LBB2157_120:
	s_wait_xcnt 0x0
	s_or_b32 exec_lo, exec_lo, s2
	s_clause 0x1
	scratch_load_b128 v[0:3], off, off offset:96
	scratch_load_b128 v[4:7], off, off offset:112
	s_wait_loadcnt 0x1
	ds_store_2addr_b32 v10, v2, v3 offset0:2 offset1:3
	ds_store_2addr_b32 v10, v0, v1 offset1:1
	s_wait_loadcnt 0x0
	ds_store_2addr_b32 v10, v6, v7 offset0:6 offset1:7
	ds_store_2addr_b32 v10, v4, v5 offset0:4 offset1:5
	ds_store_b8 v10, v12 offset:32
.LBB2157_121:
	s_wait_xcnt 0x0
	s_or_b32 exec_lo, exec_lo, s1
	s_mov_b32 s0, 0
	v_mov_b64_e32 v[0:1], 0
	s_mov_b32 s2, s0
	s_mov_b32 s3, s0
	;; [unrolled: 1-line block ×3, first 2 shown]
	v_mov_b64_e32 v[4:5], s[2:3]
	v_mov_b64_e32 v[2:3], s[0:1]
	v_mov_b32_e32 v6, 0
	s_wait_storecnt_dscnt 0x0
	s_barrier_signal -1
	s_barrier_wait -1
	s_clause 0x2
	scratch_store_b32 off, v6, off offset:32
	scratch_store_b128 off, v[2:5], off offset:16
	scratch_store_b128 off, v[2:5], off
.LBB2157_122:                           ; =>This Inner Loop Header: Depth=1
	s_wait_xcnt 0x0
	s_mov_b32 s1, s0
	s_add_co_i32 s0, s0, 8
	scratch_store_b64 off, v[0:1], s1
	s_cmp_lg_u32 s0, 32
	s_cbranch_scc1 .LBB2157_122
; %bb.123:
	s_wait_xcnt 0x0
	s_mov_b32 s1, exec_lo
	v_cmp_gt_u32_e32 vcc_lo, 32, v16
                                        ; implicit-def: $vgpr0_vgpr1
                                        ; implicit-def: $vgpr4_vgpr5
                                        ; implicit-def: $vgpr10
	v_cmpx_lt_u32_e32 31, v16
	s_xor_b32 s1, exec_lo, s1
	s_cbranch_execz .LBB2157_133
; %bb.124:
	scratch_load_u8 v12, off, off offset:236
	v_mad_u32_u24 v6, v11, 36, 0xffffffdc
	v_mad_u32_u24 v10, v11, 36, -4
	ds_load_2addr_b32 v[2:3], v6 offset0:2 offset1:3
	ds_load_2addr_b32 v[4:5], v6 offset0:4 offset1:5
	ds_load_2addr_b32 v[0:1], v6 offset1:1
	ds_load_2addr_b32 v[6:7], v6 offset0:6 offset1:7
	ds_load_u8 v10, v10
	s_wait_dscnt 0x2
	scratch_store_b128 off, v[0:3], off
	s_wait_dscnt 0x1
	scratch_store_b128 off, v[4:7], off offset:16
                                        ; implicit-def: $vgpr0_vgpr1
                                        ; implicit-def: $vgpr4_vgpr5
	s_wait_loadcnt 0x0
	v_cmp_ne_u16_e64 s0, 0, v12
	s_wait_xcnt 0x0
	s_and_saveexec_b32 s2, s0
	s_delay_alu instid0(SALU_CYCLE_1)
	s_xor_b32 s0, exec_lo, s2
	s_cbranch_execz .LBB2157_126
; %bb.125:
	s_clause 0x1
	scratch_load_b128 v[0:3], off, off offset:204
	scratch_load_b128 v[4:7], off, off offset:220
.LBB2157_126:
	s_wait_xcnt 0x0
	s_and_not1_saveexec_b32 s0, s0
	s_cbranch_execz .LBB2157_132
; %bb.127:
	s_wait_loadcnt 0x1
	v_mov_b64_e32 v[0:1], 0
	s_mov_b32 s2, 0
.LBB2157_128:                           ; =>This Inner Loop Header: Depth=1
	s_wait_xcnt 0x0
	s_add_co_i32 s3, s2, 0x60
	s_add_co_i32 s2, s2, 8
	scratch_store_b64 off, v[0:1], s3
	s_cmp_lg_u32 s2, 32
	s_cbranch_scc1 .LBB2157_128
; %bb.129:
	s_mov_b32 s2, 0
.LBB2157_130:                           ; =>This Inner Loop Header: Depth=1
	s_wait_xcnt 0x1
	s_add_co_i32 s12, s2, 0xcc
	scratch_load_b64 v[0:1], off, s2
	scratch_load_b64 v[2:3], off, s12
	s_mov_b32 s3, s2
                                        ; kill: killed $sgpr3
	s_add_co_i32 s3, s2, 0x60
	s_wait_xcnt 0x1
	s_add_co_i32 s2, s2, 8
                                        ; kill: killed $sgpr12
	s_delay_alu instid0(SALU_CYCLE_1)
	s_cmp_lg_u32 s2, 32
	s_wait_loadcnt 0x0
	v_dual_add_nc_u32 v1, v3, v1 :: v_dual_add_nc_u32 v0, v2, v0
	scratch_store_b64 off, v[0:1], s3
	s_cbranch_scc1 .LBB2157_130
; %bb.131:
	s_clause 0x1
	scratch_load_b128 v[0:3], off, off offset:96
	scratch_load_b128 v[4:7], off, off offset:112
.LBB2157_132:
	s_wait_xcnt 0x0
	s_or_b32 exec_lo, exec_lo, s0
	s_wait_dscnt 0x0
	v_or_b32_e32 v11, v12, v10
	scratch_store_b8 off, v11, off offset:236
.LBB2157_133:
	s_wait_xcnt 0x0
	s_and_not1_saveexec_b32 s0, s1
	s_cbranch_execz .LBB2157_135
; %bb.134:
	s_wait_loadcnt 0x1
	scratch_load_b128 v[0:3], off, off offset:204
	s_wait_loadcnt 0x1
	scratch_load_b128 v[4:7], off, off offset:220
	v_mov_b32_e32 v10, 0
.LBB2157_135:
	s_wait_xcnt 0x0
	s_or_b32 exec_lo, exec_lo, s0
	scratch_load_b32 v11, off, off offset:236
	v_sub_co_u32 v12, s44, v17, 1
	s_delay_alu instid0(VALU_DEP_1) | instskip(NEXT) | instid1(VALU_DEP_1)
	v_cmp_gt_i32_e64 s0, 0, v12
	v_cndmask_b32_e64 v12, v12, v17, s0
	s_delay_alu instid0(VALU_DEP_1)
	v_lshlrev_b32_e32 v12, 2, v12
	s_wait_loadcnt 0x2
	ds_bpermute_b32 v0, v12, v0
	ds_bpermute_b32 v1, v12, v1
	ds_bpermute_b32 v2, v12, v2
	ds_bpermute_b32 v3, v12, v3
	s_wait_loadcnt 0x1
	ds_bpermute_b32 v4, v12, v4
	ds_bpermute_b32 v5, v12, v5
	;; [unrolled: 1-line block ×4, first 2 shown]
	s_wait_loadcnt 0x0
	ds_bpermute_b32 v11, v12, v11
	s_wait_dscnt 0x5
	scratch_store_b128 off, v[0:3], off offset:204
	s_wait_dscnt 0x1
	scratch_store_b128 off, v[4:7], off offset:220
	s_wait_dscnt 0x0
	scratch_store_b8 off, v11, off offset:236
	s_wait_xcnt 0x0
	s_and_saveexec_b32 s0, s44
	s_cbranch_execz .LBB2157_137
; %bb.136:
	s_clause 0x1
	scratch_load_b128 v[0:3], off, off
	scratch_load_b128 v[4:7], off, off offset:16
	s_wait_loadcnt 0x1
	scratch_store_b128 off, v[0:3], off offset:204
	s_wait_loadcnt 0x0
	s_clause 0x1
	scratch_store_b128 off, v[4:7], off offset:220
	scratch_store_b8 off, v10, off offset:236
.LBB2157_137:
	s_wait_xcnt 0x0
	s_or_b32 exec_lo, exec_lo, s0
	s_and_saveexec_b32 s43, vcc_lo
	s_cbranch_execz .LBB2157_261
; %bb.138:
	v_mov_b32_e32 v10, 0
	ds_load_2addr_b32 v[0:1], v10 offset0:63 offset1:64
	ds_load_2addr_b32 v[2:3], v10 offset0:65 offset1:66
	ds_load_2addr_b32 v[4:5], v10 offset0:67 offset1:68
	ds_load_2addr_b32 v[6:7], v10 offset0:69 offset1:70
	ds_load_b32 v22, v10 offset:284
	s_wait_dscnt 0x3
	scratch_store_b128 off, v[0:3], off offset:168
	s_wait_dscnt 0x1
	scratch_store_b128 off, v[4:7], off offset:184
	s_wait_dscnt 0x0
	scratch_store_b32 off, v22, off offset:200
	s_wait_xcnt 0x0
	s_and_saveexec_b32 s0, s44
	s_cbranch_execz .LBB2157_140
; %bb.139:
	s_add_co_i32 s2, s34, 32
	s_mov_b32 s3, 0
	v_dual_mov_b32 v11, 1 :: v_dual_mov_b32 v12, s2
	s_mul_u64 s[12:13], s[2:3], 36
	s_delay_alu instid0(SALU_CYCLE_1)
	s_add_nc_u64 s[12:13], s[4:5], s[12:13]
	s_clause 0x2
	global_store_b128 v10, v[0:3], s[12:13]
	global_store_b128 v10, v[4:7], s[12:13] offset:16
	global_store_b8 v10, v22, s[12:13] offset:32
	global_wb scope:SCOPE_DEV
	s_wait_storecnt 0x0
	global_inv scope:SCOPE_DEV
	s_wait_xcnt 0x0
	global_store_b8 v12, v11, s[8:9] scope:SCOPE_DEV
.LBB2157_140:
	s_wait_xcnt 0x0
	s_or_b32 exec_lo, exec_lo, s0
	s_lshr_b32 s0, s40, 16
	s_delay_alu instid0(SALU_CYCLE_1) | instskip(NEXT) | instid1(SALU_CYCLE_1)
	s_mul_i32 s0, s0, s41
	v_mul_lo_u32 v11, s0, v16
	s_mov_b32 s0, 0
	s_delay_alu instid0(VALU_DEP_1) | instskip(NEXT) | instid1(VALU_DEP_1)
	v_add3_u32 v8, v11, v9, v8
	v_mul_lo_u32 v8, v8, 36
	s_delay_alu instid0(VALU_DEP_1)
	v_add_nc_u32_e32 v9, 0x6008, v8
	v_add_nc_u32_e32 v23, 0x6000, v8
	;; [unrolled: 1-line block ×4, first 2 shown]
	ds_store_2addr_b32 v9, v10, v10 offset1:1
	ds_store_2addr_b32 v23, v10, v10 offset1:1
	ds_store_2addr_b32 v11, v10, v10 offset1:1
	ds_store_2addr_b32 v12, v10, v10 offset1:1
	ds_store_b32 v8, v10 offset:24608
.LBB2157_141:                           ; =>This Inner Loop Header: Depth=1
	v_add_nc_u32_e32 v8, s0, v23
	s_add_co_i32 s0, s0, 8
	s_delay_alu instid0(SALU_CYCLE_1)
	s_cmp_lg_u32 s0, 32
	ds_store_2addr_b32 v8, v10, v10 offset1:1
	s_cbranch_scc1 .LBB2157_141
; %bb.142:
	s_mov_b32 s0, 0
	v_mov_b64_e32 v[8:9], 0
	s_mov_b32 s2, s0
	s_mov_b32 s3, s0
	;; [unrolled: 1-line block ×3, first 2 shown]
	v_mov_b64_e32 v[12:13], s[2:3]
	v_mov_b64_e32 v[10:11], s[0:1]
	v_mov_b32_e32 v14, 0
	ds_store_b8 v23, v14 offset:32
	s_clause 0x2
	scratch_store_b32 off, v14, off offset:128
	scratch_store_b128 off, v[10:13], off offset:112
	scratch_store_b128 off, v[10:13], off offset:96
.LBB2157_143:                           ; =>This Inner Loop Header: Depth=1
	s_wait_xcnt 0x0
	s_add_co_i32 s1, s0, 0x60
	s_add_co_i32 s0, s0, 8
	scratch_store_b64 off, v[8:9], s1
	s_cmp_lg_u32 s0, 32
	s_cbranch_scc1 .LBB2157_143
; %bb.144:
	v_xad_u32 v18, v17, -1, s34
	s_wait_xcnt 0x0
	v_mov_b32_e32 v9, 0
	s_mov_b32 s0, exec_lo
	s_delay_alu instid0(VALU_DEP_2)
	v_add_nc_u32_e32 v8, 32, v18
	scratch_store_b8 off, v9, off offset:128
	global_load_u8 v24, v8, s[8:9] scope:SCOPE_DEV
	s_wait_loadcnt 0x0
	v_cmpx_eq_u16_e32 0, v24
	s_cbranch_execz .LBB2157_148
; %bb.145:
	v_add_nc_u64_e32 v[10:11], s[8:9], v[8:9]
	s_mov_b32 s1, 0
.LBB2157_146:                           ; =>This Inner Loop Header: Depth=1
	global_load_u8 v24, v[10:11], off scope:SCOPE_DEV
	s_wait_loadcnt 0x0
	v_cmp_ne_u16_e32 vcc_lo, 0, v24
	s_or_b32 s1, vcc_lo, s1
	s_wait_xcnt 0x0
	s_and_not1_b32 exec_lo, exec_lo, s1
	s_cbranch_execnz .LBB2157_146
; %bb.147:
	s_or_b32 exec_lo, exec_lo, s1
.LBB2157_148:
	s_delay_alu instid0(SALU_CYCLE_1)
	s_or_b32 exec_lo, exec_lo, s0
	v_dual_mov_b32 v9, s5 :: v_dual_mov_b32 v10, s4
	v_cmp_eq_u16_e32 vcc_lo, 1, v24
	global_wb scope:SCOPE_DEV
	s_wait_storecnt_dscnt 0x0
	global_inv scope:SCOPE_DEV
	s_mov_b32 s0, 0
	v_dual_mov_b32 v25, 0 :: v_dual_cndmask_b32 v11, s7, v9, vcc_lo
	v_cndmask_b32_e32 v10, s6, v10, vcc_lo
	s_delay_alu instid0(VALU_DEP_1)
	v_mad_nc_u64_u32 v[20:21], v8, 36, v[10:11]
                                        ; kill: killed $vgpr20_vgpr21
	s_clause 0x2
	global_load_b128 v[8:11], v[20:21], off
	global_load_b128 v[12:15], v[20:21], off offset:16
	global_load_u8 v19, v[20:21], off offset:32
	s_wait_xcnt 0x0
	v_mov_b64_e32 v[20:21], 0
	s_wait_loadcnt 0x2
	scratch_store_b128 off, v[8:11], off offset:96
	s_wait_loadcnt 0x1
	scratch_store_b128 off, v[12:15], off offset:112
	s_wait_loadcnt 0x0
	scratch_store_b8 off, v19, off offset:128
	ds_store_2addr_b32 v23, v8, v9 offset1:1
	ds_store_2addr_b32 v23, v10, v11 offset0:2 offset1:3
	ds_store_2addr_b32 v23, v12, v13 offset0:4 offset1:5
	;; [unrolled: 1-line block ×3, first 2 shown]
	ds_store_b8 v23, v19 offset:32
	scratch_store_b32 off, v25, off offset:32
.LBB2157_149:                           ; =>This Inner Loop Header: Depth=1
	s_wait_xcnt 0x0
	s_mov_b32 s1, s0
	s_add_co_i32 s0, s0, 8
	scratch_store_b64 off, v[20:21], s1
	s_cmp_lg_u32 s0, 32
	s_cbranch_scc1 .LBB2157_149
; %bb.150:
	s_wait_xcnt 0x2
	ds_load_b32 v19, v23 offset:32
	v_cmp_ne_u32_e32 vcc_lo, 31, v17
	v_lshlrev_b32_e64 v26, v17, -1
	s_mov_b32 s0, exec_lo
	s_wait_xcnt 0x0
	v_add_co_ci_u32_e64 v20, null, 0, v17, vcc_lo
	v_cmp_eq_u16_e32 vcc_lo, 2, v24
	s_delay_alu instid0(VALU_DEP_2)
	v_lshlrev_b32_e32 v25, 2, v20
	v_and_or_b32 v20, vcc_lo, v26, 0x80000000
	ds_bpermute_b32 v28, v25, v8
	ds_bpermute_b32 v29, v25, v9
	;; [unrolled: 1-line block ×4, first 2 shown]
	s_wait_dscnt 0x4
	ds_bpermute_b32 v21, v25, v19
	ds_bpermute_b32 v32, v25, v12
	;; [unrolled: 1-line block ×5, first 2 shown]
	v_ctz_i32_b32_e32 v20, v20
	s_wait_dscnt 0x5
	scratch_store_b128 off, v[28:31], off
	s_wait_dscnt 0x0
	scratch_store_b128 off, v[32:35], off offset:16
	s_wait_xcnt 0x0
	v_cmpx_lt_u32_e64 v17, v20
	s_cbranch_execz .LBB2157_158
; %bb.151:
	v_and_b32_e32 v27, 0xff, v19
	s_mov_b32 s1, exec_lo
	s_delay_alu instid0(VALU_DEP_1)
	v_cmpx_eq_u16_e32 0, v27
	s_cbranch_execz .LBB2157_157
; %bb.152:
	v_mov_b64_e32 v[8:9], 0
	s_mov_b32 s2, 0
.LBB2157_153:                           ; =>This Inner Loop Header: Depth=1
	s_wait_xcnt 0x0
	s_add_co_i32 s3, s2, 0x84
	s_add_co_i32 s2, s2, 8
	scratch_store_b64 off, v[8:9], s3
	s_cmp_lg_u32 s2, 32
	s_cbranch_scc1 .LBB2157_153
; %bb.154:
	s_mov_b32 s2, 0
.LBB2157_155:                           ; =>This Inner Loop Header: Depth=1
	scratch_load_b64 v[8:9], off, s2
	v_add_nc_u32_e32 v10, s2, v23
	s_add_co_i32 s3, s2, 0x84
	s_wait_xcnt 0x0
	s_add_co_i32 s2, s2, 8
	s_delay_alu instid0(SALU_CYCLE_1)
	s_cmp_lg_u32 s2, 32
	ds_load_2addr_b32 v[10:11], v10 offset1:1
	s_wait_loadcnt_dscnt 0x0
	v_dual_add_nc_u32 v9, v11, v9 :: v_dual_add_nc_u32 v8, v10, v8
	scratch_store_b64 off, v[8:9], s3
	s_cbranch_scc1 .LBB2157_155
; %bb.156:
	s_clause 0x1
	scratch_load_b128 v[8:11], off, off offset:132
	scratch_load_b128 v[12:15], off, off offset:148
.LBB2157_157:
	s_wait_xcnt 0x0
	s_or_b32 exec_lo, exec_lo, s1
	v_or_b32_e32 v19, v21, v19
	s_delay_alu instid0(VALU_DEP_1)
	v_and_b32_e32 v19, 1, v19
	ds_store_b8 v23, v19 offset:32
	ds_load_b32 v19, v23 offset:32
	s_wait_loadcnt 0x1
	ds_store_2addr_b32 v23, v8, v9 offset1:1
	ds_store_2addr_b32 v23, v10, v11 offset0:2 offset1:3
	s_wait_loadcnt 0x0
	ds_store_2addr_b32 v23, v12, v13 offset0:4 offset1:5
	ds_store_2addr_b32 v23, v14, v15 offset0:6 offset1:7
.LBB2157_158:
	s_or_b32 exec_lo, exec_lo, s0
	v_cmp_gt_u32_e32 vcc_lo, 30, v17
	v_add_nc_u32_e32 v28, 2, v17
	s_mov_b32 s1, exec_lo
	v_cndmask_b32_e64 v21, 0, 2, vcc_lo
	s_delay_alu instid0(VALU_DEP_1)
	v_add_lshl_u32 v27, v21, v17, 2
	ds_bpermute_b32 v30, v27, v8
	ds_bpermute_b32 v31, v27, v9
	;; [unrolled: 1-line block ×4, first 2 shown]
	s_wait_dscnt 0x8
	ds_bpermute_b32 v21, v27, v19
	ds_bpermute_b32 v34, v27, v12
	ds_bpermute_b32 v35, v27, v13
	ds_bpermute_b32 v36, v27, v14
	ds_bpermute_b32 v37, v27, v15
	s_wait_dscnt 0x5
	scratch_store_b128 off, v[30:33], off
	s_wait_dscnt 0x0
	scratch_store_b128 off, v[34:37], off offset:16
	s_wait_xcnt 0x0
	v_cmpx_le_u32_e64 v28, v20
	s_cbranch_execz .LBB2157_166
; %bb.159:
	v_and_b32_e32 v29, 0xff, v19
	s_mov_b32 s0, exec_lo
	s_delay_alu instid0(VALU_DEP_1)
	v_cmpx_eq_u16_e32 0, v29
	s_cbranch_execz .LBB2157_165
; %bb.160:
	v_mov_b64_e32 v[8:9], 0
	s_mov_b32 s2, 0
.LBB2157_161:                           ; =>This Inner Loop Header: Depth=1
	s_wait_xcnt 0x0
	s_add_co_i32 s3, s2, 0x84
	s_add_co_i32 s2, s2, 8
	scratch_store_b64 off, v[8:9], s3
	s_cmp_lg_u32 s2, 32
	s_cbranch_scc1 .LBB2157_161
; %bb.162:
	s_mov_b32 s2, 0
.LBB2157_163:                           ; =>This Inner Loop Header: Depth=1
	scratch_load_b64 v[8:9], off, s2
	v_add_nc_u32_e32 v10, s2, v23
	s_add_co_i32 s3, s2, 0x84
	s_wait_xcnt 0x0
	s_add_co_i32 s2, s2, 8
	s_delay_alu instid0(SALU_CYCLE_1)
	s_cmp_lg_u32 s2, 32
	ds_load_2addr_b32 v[10:11], v10 offset1:1
	s_wait_loadcnt_dscnt 0x0
	v_dual_add_nc_u32 v9, v11, v9 :: v_dual_add_nc_u32 v8, v10, v8
	scratch_store_b64 off, v[8:9], s3
	s_cbranch_scc1 .LBB2157_163
; %bb.164:
	s_clause 0x1
	scratch_load_b128 v[8:11], off, off offset:132
	scratch_load_b128 v[12:15], off, off offset:148
.LBB2157_165:
	s_wait_xcnt 0x0
	s_or_b32 exec_lo, exec_lo, s0
	v_and_b32_e32 v19, 1, v19
	v_and_b32_e32 v21, 1, v21
	s_delay_alu instid0(VALU_DEP_2) | instskip(NEXT) | instid1(VALU_DEP_2)
	v_cmp_eq_u32_e32 vcc_lo, 1, v19
	v_cmp_eq_u32_e64 s0, 1, v21
	s_or_b32 s0, vcc_lo, s0
	s_delay_alu instid0(SALU_CYCLE_1)
	v_cndmask_b32_e64 v19, 0, 1, s0
	ds_store_b8 v23, v19 offset:32
	ds_load_b32 v19, v23 offset:32
	s_wait_loadcnt 0x1
	ds_store_2addr_b32 v23, v8, v9 offset1:1
	ds_store_2addr_b32 v23, v10, v11 offset0:2 offset1:3
	s_wait_loadcnt 0x0
	ds_store_2addr_b32 v23, v12, v13 offset0:4 offset1:5
	ds_store_2addr_b32 v23, v14, v15 offset0:6 offset1:7
.LBB2157_166:
	s_or_b32 exec_lo, exec_lo, s1
	v_cmp_gt_u32_e32 vcc_lo, 28, v17
	v_add_nc_u32_e32 v30, 4, v17
	s_mov_b32 s1, exec_lo
	v_cndmask_b32_e64 v21, 0, 4, vcc_lo
	s_delay_alu instid0(VALU_DEP_1)
	v_add_lshl_u32 v29, v21, v17, 2
	ds_bpermute_b32 v32, v29, v8
	ds_bpermute_b32 v33, v29, v9
	;; [unrolled: 1-line block ×4, first 2 shown]
	s_wait_dscnt 0x8
	ds_bpermute_b32 v21, v29, v19
	ds_bpermute_b32 v36, v29, v12
	;; [unrolled: 1-line block ×5, first 2 shown]
	s_wait_dscnt 0x5
	scratch_store_b128 off, v[32:35], off
	s_wait_dscnt 0x0
	scratch_store_b128 off, v[36:39], off offset:16
	s_wait_xcnt 0x0
	v_cmpx_le_u32_e64 v30, v20
	s_cbranch_execz .LBB2157_174
; %bb.167:
	v_and_b32_e32 v31, 0xff, v19
	s_mov_b32 s0, exec_lo
	s_delay_alu instid0(VALU_DEP_1)
	v_cmpx_eq_u16_e32 0, v31
	s_cbranch_execz .LBB2157_173
; %bb.168:
	v_mov_b64_e32 v[8:9], 0
	s_mov_b32 s2, 0
.LBB2157_169:                           ; =>This Inner Loop Header: Depth=1
	s_wait_xcnt 0x0
	s_add_co_i32 s3, s2, 0x84
	s_add_co_i32 s2, s2, 8
	scratch_store_b64 off, v[8:9], s3
	s_cmp_lg_u32 s2, 32
	s_cbranch_scc1 .LBB2157_169
; %bb.170:
	s_mov_b32 s2, 0
.LBB2157_171:                           ; =>This Inner Loop Header: Depth=1
	scratch_load_b64 v[8:9], off, s2
	v_add_nc_u32_e32 v10, s2, v23
	s_add_co_i32 s3, s2, 0x84
	s_wait_xcnt 0x0
	s_add_co_i32 s2, s2, 8
	s_delay_alu instid0(SALU_CYCLE_1)
	s_cmp_lg_u32 s2, 32
	ds_load_2addr_b32 v[10:11], v10 offset1:1
	s_wait_loadcnt_dscnt 0x0
	v_dual_add_nc_u32 v9, v11, v9 :: v_dual_add_nc_u32 v8, v10, v8
	scratch_store_b64 off, v[8:9], s3
	s_cbranch_scc1 .LBB2157_171
; %bb.172:
	s_clause 0x1
	scratch_load_b128 v[8:11], off, off offset:132
	scratch_load_b128 v[12:15], off, off offset:148
.LBB2157_173:
	s_wait_xcnt 0x0
	s_or_b32 exec_lo, exec_lo, s0
	v_and_b32_e32 v19, 1, v19
	v_and_b32_e32 v21, 1, v21
	s_delay_alu instid0(VALU_DEP_2) | instskip(NEXT) | instid1(VALU_DEP_2)
	v_cmp_eq_u32_e32 vcc_lo, 1, v19
	v_cmp_eq_u32_e64 s0, 1, v21
	s_or_b32 s0, vcc_lo, s0
	s_delay_alu instid0(SALU_CYCLE_1)
	v_cndmask_b32_e64 v19, 0, 1, s0
	ds_store_b8 v23, v19 offset:32
	ds_load_b32 v19, v23 offset:32
	s_wait_loadcnt 0x1
	ds_store_2addr_b32 v23, v8, v9 offset1:1
	ds_store_2addr_b32 v23, v10, v11 offset0:2 offset1:3
	s_wait_loadcnt 0x0
	ds_store_2addr_b32 v23, v12, v13 offset0:4 offset1:5
	ds_store_2addr_b32 v23, v14, v15 offset0:6 offset1:7
.LBB2157_174:
	s_or_b32 exec_lo, exec_lo, s1
	v_cmp_gt_u32_e32 vcc_lo, 24, v17
	v_add_nc_u32_e32 v32, 8, v17
	s_mov_b32 s1, exec_lo
	v_cndmask_b32_e64 v21, 0, 8, vcc_lo
	s_delay_alu instid0(VALU_DEP_1)
	v_add_lshl_u32 v31, v21, v17, 2
	ds_bpermute_b32 v34, v31, v8
	ds_bpermute_b32 v35, v31, v9
	;; [unrolled: 1-line block ×4, first 2 shown]
	s_wait_dscnt 0x8
	ds_bpermute_b32 v21, v31, v19
	ds_bpermute_b32 v38, v31, v12
	;; [unrolled: 1-line block ×5, first 2 shown]
	s_wait_dscnt 0x5
	scratch_store_b128 off, v[34:37], off
	s_wait_dscnt 0x0
	scratch_store_b128 off, v[38:41], off offset:16
	s_wait_xcnt 0x0
	v_cmpx_le_u32_e64 v32, v20
	s_cbranch_execz .LBB2157_182
; %bb.175:
	v_and_b32_e32 v33, 0xff, v19
	s_mov_b32 s0, exec_lo
	s_delay_alu instid0(VALU_DEP_1)
	v_cmpx_eq_u16_e32 0, v33
	s_cbranch_execz .LBB2157_181
; %bb.176:
	v_mov_b64_e32 v[8:9], 0
	s_mov_b32 s2, 0
.LBB2157_177:                           ; =>This Inner Loop Header: Depth=1
	s_wait_xcnt 0x0
	s_add_co_i32 s3, s2, 0x84
	s_add_co_i32 s2, s2, 8
	scratch_store_b64 off, v[8:9], s3
	s_cmp_lg_u32 s2, 32
	s_cbranch_scc1 .LBB2157_177
; %bb.178:
	s_mov_b32 s2, 0
.LBB2157_179:                           ; =>This Inner Loop Header: Depth=1
	scratch_load_b64 v[8:9], off, s2
	v_add_nc_u32_e32 v10, s2, v23
	s_add_co_i32 s3, s2, 0x84
	s_wait_xcnt 0x0
	s_add_co_i32 s2, s2, 8
	s_delay_alu instid0(SALU_CYCLE_1)
	s_cmp_lg_u32 s2, 32
	ds_load_2addr_b32 v[10:11], v10 offset1:1
	s_wait_loadcnt_dscnt 0x0
	v_dual_add_nc_u32 v9, v11, v9 :: v_dual_add_nc_u32 v8, v10, v8
	scratch_store_b64 off, v[8:9], s3
	s_cbranch_scc1 .LBB2157_179
; %bb.180:
	s_clause 0x1
	scratch_load_b128 v[8:11], off, off offset:132
	scratch_load_b128 v[12:15], off, off offset:148
.LBB2157_181:
	s_wait_xcnt 0x0
	s_or_b32 exec_lo, exec_lo, s0
	v_and_b32_e32 v19, 1, v19
	v_and_b32_e32 v21, 1, v21
	s_delay_alu instid0(VALU_DEP_2) | instskip(NEXT) | instid1(VALU_DEP_2)
	v_cmp_eq_u32_e32 vcc_lo, 1, v19
	v_cmp_eq_u32_e64 s0, 1, v21
	s_or_b32 s0, vcc_lo, s0
	s_delay_alu instid0(SALU_CYCLE_1)
	v_cndmask_b32_e64 v19, 0, 1, s0
	ds_store_b8 v23, v19 offset:32
	ds_load_b32 v19, v23 offset:32
	s_wait_loadcnt 0x1
	ds_store_2addr_b32 v23, v8, v9 offset1:1
	ds_store_2addr_b32 v23, v10, v11 offset0:2 offset1:3
	s_wait_loadcnt 0x0
	ds_store_2addr_b32 v23, v12, v13 offset0:4 offset1:5
	ds_store_2addr_b32 v23, v14, v15 offset0:6 offset1:7
.LBB2157_182:
	s_or_b32 exec_lo, exec_lo, s1
	v_lshl_or_b32 v33, v17, 2, 64
	v_add_nc_u32_e32 v34, 16, v17
	s_mov_b32 s1, exec_lo
	ds_bpermute_b32 v36, v33, v8
	ds_bpermute_b32 v37, v33, v9
	;; [unrolled: 1-line block ×4, first 2 shown]
	s_wait_dscnt 0x8
	ds_bpermute_b32 v21, v33, v19
	ds_bpermute_b32 v40, v33, v12
	;; [unrolled: 1-line block ×5, first 2 shown]
	s_wait_dscnt 0x5
	scratch_store_b128 off, v[36:39], off
	s_wait_dscnt 0x0
	scratch_store_b128 off, v[40:43], off offset:16
	s_wait_xcnt 0x0
	v_cmpx_le_u32_e64 v34, v20
	s_cbranch_execz .LBB2157_190
; %bb.183:
	v_and_b32_e32 v20, 0xff, v19
	s_mov_b32 s2, 0
	s_mov_b32 s0, exec_lo
	s_delay_alu instid0(VALU_DEP_1)
	v_cmpx_eq_u16_e32 0, v20
	s_cbranch_execz .LBB2157_189
; %bb.184:
	v_mov_b64_e32 v[8:9], 0
.LBB2157_185:                           ; =>This Inner Loop Header: Depth=1
	s_wait_xcnt 0x0
	s_add_co_i32 s3, s2, 0x84
	s_add_co_i32 s2, s2, 8
	scratch_store_b64 off, v[8:9], s3
	s_cmp_lg_u32 s2, 32
	s_cbranch_scc1 .LBB2157_185
; %bb.186:
	s_mov_b32 s2, 0
.LBB2157_187:                           ; =>This Inner Loop Header: Depth=1
	scratch_load_b64 v[8:9], off, s2
	v_add_nc_u32_e32 v10, s2, v23
	s_add_co_i32 s3, s2, 0x84
	s_wait_xcnt 0x0
	s_add_co_i32 s2, s2, 8
	s_delay_alu instid0(SALU_CYCLE_1)
	s_cmp_lg_u32 s2, 32
	ds_load_2addr_b32 v[10:11], v10 offset1:1
	s_wait_loadcnt_dscnt 0x0
	v_dual_add_nc_u32 v9, v11, v9 :: v_dual_add_nc_u32 v8, v10, v8
	scratch_store_b64 off, v[8:9], s3
	s_cbranch_scc1 .LBB2157_187
; %bb.188:
	s_clause 0x1
	scratch_load_b128 v[8:11], off, off offset:132
	scratch_load_b128 v[12:15], off, off offset:148
.LBB2157_189:
	s_wait_xcnt 0x0
	s_or_b32 exec_lo, exec_lo, s0
	v_and_b32_e32 v19, 1, v19
	v_and_b32_e32 v20, 1, v21
	s_delay_alu instid0(VALU_DEP_2) | instskip(NEXT) | instid1(VALU_DEP_2)
	v_cmp_eq_u32_e32 vcc_lo, 1, v19
	v_cmp_eq_u32_e64 s0, 1, v20
	s_or_b32 s0, vcc_lo, s0
	s_delay_alu instid0(SALU_CYCLE_1)
	v_cndmask_b32_e64 v19, 0, 1, s0
	s_wait_loadcnt 0x1
	ds_store_2addr_b32 v23, v8, v9 offset1:1
	ds_store_2addr_b32 v23, v10, v11 offset0:2 offset1:3
	s_wait_loadcnt 0x0
	ds_store_2addr_b32 v23, v12, v13 offset0:4 offset1:5
	ds_store_2addr_b32 v23, v14, v15 offset0:6 offset1:7
	ds_store_b8 v23, v19 offset:32
.LBB2157_190:
	s_or_b32 exec_lo, exec_lo, s1
	ds_load_b32 v35, v23 offset:32
	ds_load_2addr_b32 v[10:11], v23 offset0:2 offset1:3
	ds_load_2addr_b32 v[12:13], v23 offset0:4 offset1:5
	ds_load_2addr_b32 v[8:9], v23 offset1:1
	ds_load_2addr_b32 v[14:15], v23 offset0:6 offset1:7
	v_mov_b64_e32 v[20:21], 0
	v_mov_b32_e32 v19, 0
	s_mov_b32 s12, 0
	s_wait_dscnt 0x4
	scratch_store_b32 off, v35, off offset:164
	s_wait_dscnt 0x1
	scratch_store_b128 off, v[8:11], off offset:132
	s_wait_dscnt 0x0
	scratch_store_b128 off, v[12:15], off offset:148
	s_branch .LBB2157_194
.LBB2157_191:                           ;   in Loop: Header=BB2157_194 Depth=1
	s_clause 0x1
	scratch_load_b128 v[8:11], off, off
	scratch_load_b128 v[12:15], off, off offset:16
.LBB2157_192:                           ;   in Loop: Header=BB2157_194 Depth=1
	s_wait_xcnt 0x0
	s_or_b32 exec_lo, exec_lo, s1
	v_and_b32_e32 v35, 1, v35
	v_subrev_nc_u32_e32 v18, 32, v18
	s_wait_loadcnt 0x1
	scratch_store_b128 off, v[8:11], off offset:132
	s_wait_loadcnt 0x0
	scratch_store_b128 off, v[12:15], off offset:148
	v_cmp_eq_u32_e32 vcc_lo, 1, v35
	s_or_b32 s0, vcc_lo, s0
	s_delay_alu instid0(SALU_CYCLE_1)
	v_cndmask_b32_e64 v35, 0, 1, s0
	s_mov_b32 s0, 0
	scratch_store_b8 off, v35, off offset:164
.LBB2157_193:                           ;   in Loop: Header=BB2157_194 Depth=1
	s_and_b32 vcc_lo, exec_lo, s0
	s_cbranch_vccnz .LBB2157_251
.LBB2157_194:                           ; =>This Loop Header: Depth=1
                                        ;     Child Loop BB2157_196 Depth 2
                                        ;     Child Loop BB2157_199 Depth 2
                                        ;     Child Loop BB2157_202 Depth 2
                                        ;     Child Loop BB2157_206 Depth 2
                                        ;     Child Loop BB2157_208 Depth 2
                                        ;     Child Loop BB2157_214 Depth 2
                                        ;     Child Loop BB2157_216 Depth 2
                                        ;     Child Loop BB2157_222 Depth 2
                                        ;     Child Loop BB2157_224 Depth 2
                                        ;     Child Loop BB2157_230 Depth 2
                                        ;     Child Loop BB2157_232 Depth 2
                                        ;     Child Loop BB2157_238 Depth 2
                                        ;     Child Loop BB2157_240 Depth 2
                                        ;     Child Loop BB2157_247 Depth 2
                                        ;     Child Loop BB2157_249 Depth 2
	s_wait_xcnt 0x1
	v_and_b32_e32 v8, 0xff, v24
	s_mov_b32 s0, -1
                                        ; implicit-def: $vgpr24
	s_delay_alu instid0(VALU_DEP_1)
	v_cmp_ne_u16_e32 vcc_lo, 2, v8
	s_cmp_lg_u32 vcc_lo, exec_lo
	s_cbranch_scc1 .LBB2157_193
; %bb.195:                              ;   in Loop: Header=BB2157_194 Depth=1
	s_mov_b32 s13, s12
	s_mov_b32 s14, s12
	;; [unrolled: 1-line block ×3, first 2 shown]
	v_mov_b64_e32 v[8:9], s[12:13]
	v_mov_b64_e32 v[10:11], s[14:15]
	s_mov_b32 s0, 0
	s_clause 0x2
	scratch_store_b32 off, v19, off offset:128
	scratch_store_b128 off, v[8:11], off offset:112
	scratch_store_b128 off, v[8:11], off offset:96
.LBB2157_196:                           ;   Parent Loop BB2157_194 Depth=1
                                        ; =>  This Inner Loop Header: Depth=2
	s_wait_xcnt 0x0
	s_add_co_i32 s1, s0, 0x60
	s_add_co_i32 s0, s0, 8
	scratch_store_b64 off, v[20:21], s1
	s_cmp_lg_u32 s0, 32
	s_cbranch_scc1 .LBB2157_196
; %bb.197:                              ;   in Loop: Header=BB2157_194 Depth=1
	scratch_store_b8 off, v19, off offset:128
	global_load_u8 v24, v18, s[8:9] scope:SCOPE_DEV
	s_mov_b32 s0, exec_lo
	s_wait_loadcnt 0x0
	s_wait_xcnt 0x0
	v_cmpx_eq_u16_e32 0, v24
	s_cbranch_execz .LBB2157_201
; %bb.198:                              ;   in Loop: Header=BB2157_194 Depth=1
	v_add_nc_u64_e32 v[8:9], s[8:9], v[18:19]
	s_mov_b32 s1, 0
.LBB2157_199:                           ;   Parent Loop BB2157_194 Depth=1
                                        ; =>  This Inner Loop Header: Depth=2
	global_load_u8 v24, v[8:9], off scope:SCOPE_DEV
	s_wait_loadcnt 0x0
	v_cmp_ne_u16_e32 vcc_lo, 0, v24
	s_or_b32 s1, vcc_lo, s1
	s_wait_xcnt 0x0
	s_and_not1_b32 exec_lo, exec_lo, s1
	s_cbranch_execnz .LBB2157_199
; %bb.200:                              ;   in Loop: Header=BB2157_194 Depth=1
	s_or_b32 exec_lo, exec_lo, s1
.LBB2157_201:                           ;   in Loop: Header=BB2157_194 Depth=1
	s_delay_alu instid0(SALU_CYCLE_1)
	s_or_b32 exec_lo, exec_lo, s0
	v_dual_mov_b32 v8, s5 :: v_dual_mov_b32 v10, s4
	v_cmp_eq_u16_e32 vcc_lo, 1, v24
	global_wb scope:SCOPE_DEV
	s_wait_storecnt 0x0
	global_inv scope:SCOPE_DEV
	s_mov_b32 s0, 0
	v_cndmask_b32_e32 v9, s7, v8, vcc_lo
	v_cndmask_b32_e32 v8, s6, v10, vcc_lo
	s_delay_alu instid0(VALU_DEP_1)
	v_mad_nc_u64_u32 v[36:37], v18, 36, v[8:9]
                                        ; kill: killed $vgpr36_vgpr37
	s_clause 0x2
	global_load_b128 v[8:11], v[36:37], off
	global_load_b128 v[12:15], v[36:37], off offset:16
	global_load_u8 v35, v[36:37], off offset:32
	s_wait_loadcnt 0x2
	scratch_store_b128 off, v[8:11], off offset:96
	s_wait_loadcnt 0x1
	scratch_store_b128 off, v[12:15], off offset:112
	s_wait_loadcnt 0x0
	scratch_store_b8 off, v35, off offset:128
	ds_store_2addr_b32 v23, v8, v9 offset1:1
	ds_store_2addr_b32 v23, v10, v11 offset0:2 offset1:3
	ds_store_2addr_b32 v23, v12, v13 offset0:4 offset1:5
	;; [unrolled: 1-line block ×3, first 2 shown]
	ds_store_b8 v23, v35 offset:32
	scratch_store_b32 off, v19, off offset:32
.LBB2157_202:                           ;   Parent Loop BB2157_194 Depth=1
                                        ; =>  This Inner Loop Header: Depth=2
	s_wait_xcnt 0x0
	s_mov_b32 s1, s0
	s_add_co_i32 s0, s0, 8
	scratch_store_b64 off, v[20:21], s1
	s_cmp_lg_u32 s0, 32
	s_cbranch_scc1 .LBB2157_202
; %bb.203:                              ;   in Loop: Header=BB2157_194 Depth=1
	s_wait_xcnt 0x5
	ds_load_b32 v36, v23 offset:32
	ds_bpermute_b32 v38, v25, v8
	ds_bpermute_b32 v39, v25, v9
	ds_bpermute_b32 v40, v25, v10
	ds_bpermute_b32 v41, v25, v11
	ds_bpermute_b32 v42, v25, v12
	ds_bpermute_b32 v43, v25, v13
	ds_bpermute_b32 v44, v25, v14
	ds_bpermute_b32 v45, v25, v15
	v_cmp_eq_u16_e32 vcc_lo, 2, v24
	s_mov_b32 s0, exec_lo
	s_wait_dscnt 0x4
	scratch_store_b128 off, v[38:41], off
	s_wait_dscnt 0x0
	scratch_store_b128 off, v[42:45], off offset:16
	ds_bpermute_b32 v37, v25, v36
	s_wait_xcnt 0x4
	v_and_or_b32 v35, vcc_lo, v26, 0x80000000
	s_delay_alu instid0(VALU_DEP_1) | instskip(SKIP_1) | instid1(VALU_DEP_1)
	v_ctz_i32_b32_e32 v35, v35
	s_wait_xcnt 0x0
	v_cmpx_lt_u32_e64 v17, v35
	s_cbranch_execz .LBB2157_211
; %bb.204:                              ;   in Loop: Header=BB2157_194 Depth=1
	v_and_b32_e32 v38, 0xff, v36
	s_mov_b32 s1, exec_lo
	s_delay_alu instid0(VALU_DEP_1)
	v_cmpx_eq_u16_e32 0, v38
	s_cbranch_execz .LBB2157_210
; %bb.205:                              ;   in Loop: Header=BB2157_194 Depth=1
	s_mov_b32 s2, 0
.LBB2157_206:                           ;   Parent Loop BB2157_194 Depth=1
                                        ; =>  This Inner Loop Header: Depth=2
	s_wait_xcnt 0x0
	s_add_co_i32 s3, s2, 0x17c
	s_add_co_i32 s2, s2, 8
	scratch_store_b64 off, v[20:21], s3
	s_cmp_lg_u32 s2, 32
	s_cbranch_scc1 .LBB2157_206
; %bb.207:                              ;   in Loop: Header=BB2157_194 Depth=1
	s_mov_b32 s2, 0
.LBB2157_208:                           ;   Parent Loop BB2157_194 Depth=1
                                        ; =>  This Inner Loop Header: Depth=2
	scratch_load_b64 v[8:9], off, s2
	v_add_nc_u32_e32 v10, s2, v23
	s_wait_xcnt 0x1
	s_add_co_i32 s3, s2, 0x17c
	s_wait_xcnt 0x0
	s_add_co_i32 s2, s2, 8
	s_delay_alu instid0(SALU_CYCLE_1)
	s_cmp_lg_u32 s2, 32
	ds_load_2addr_b32 v[10:11], v10 offset1:1
	s_wait_loadcnt_dscnt 0x0
	v_dual_add_nc_u32 v9, v11, v9 :: v_dual_add_nc_u32 v8, v10, v8
	scratch_store_b64 off, v[8:9], s3
	s_cbranch_scc1 .LBB2157_208
; %bb.209:                              ;   in Loop: Header=BB2157_194 Depth=1
	s_clause 0x1
	scratch_load_b128 v[8:11], off, off offset:380
	scratch_load_b128 v[12:15], off, off offset:396
.LBB2157_210:                           ;   in Loop: Header=BB2157_194 Depth=1
	s_wait_xcnt 0x0
	s_or_b32 exec_lo, exec_lo, s1
	s_wait_dscnt 0x0
	v_or_b32_e32 v36, v37, v36
	s_delay_alu instid0(VALU_DEP_1)
	v_and_b32_e32 v36, 1, v36
	ds_store_b8 v23, v36 offset:32
	ds_load_b32 v36, v23 offset:32
	s_wait_loadcnt 0x1
	ds_store_2addr_b32 v23, v8, v9 offset1:1
	ds_store_2addr_b32 v23, v10, v11 offset0:2 offset1:3
	s_wait_loadcnt 0x0
	ds_store_2addr_b32 v23, v12, v13 offset0:4 offset1:5
	ds_store_2addr_b32 v23, v14, v15 offset0:6 offset1:7
.LBB2157_211:                           ;   in Loop: Header=BB2157_194 Depth=1
	s_or_b32 exec_lo, exec_lo, s0
	ds_bpermute_b32 v38, v27, v8
	ds_bpermute_b32 v39, v27, v9
	ds_bpermute_b32 v40, v27, v10
	ds_bpermute_b32 v41, v27, v11
	s_wait_dscnt 0x4
	ds_bpermute_b32 v37, v27, v36
	ds_bpermute_b32 v42, v27, v12
	ds_bpermute_b32 v43, v27, v13
	ds_bpermute_b32 v44, v27, v14
	ds_bpermute_b32 v45, v27, v15
	s_mov_b32 s1, exec_lo
	s_wait_dscnt 0x5
	scratch_store_b128 off, v[38:41], off
	s_wait_dscnt 0x0
	scratch_store_b128 off, v[42:45], off offset:16
	s_wait_xcnt 0x0
	v_cmpx_le_u32_e64 v28, v35
	s_cbranch_execz .LBB2157_219
; %bb.212:                              ;   in Loop: Header=BB2157_194 Depth=1
	v_and_b32_e32 v38, 0xff, v36
	s_mov_b32 s0, exec_lo
	s_delay_alu instid0(VALU_DEP_1)
	v_cmpx_eq_u16_e32 0, v38
	s_cbranch_execz .LBB2157_218
; %bb.213:                              ;   in Loop: Header=BB2157_194 Depth=1
	s_mov_b32 s2, 0
.LBB2157_214:                           ;   Parent Loop BB2157_194 Depth=1
                                        ; =>  This Inner Loop Header: Depth=2
	s_wait_xcnt 0x0
	s_add_co_i32 s3, s2, 0x17c
	s_add_co_i32 s2, s2, 8
	scratch_store_b64 off, v[20:21], s3
	s_cmp_lg_u32 s2, 32
	s_cbranch_scc1 .LBB2157_214
; %bb.215:                              ;   in Loop: Header=BB2157_194 Depth=1
	s_mov_b32 s2, 0
.LBB2157_216:                           ;   Parent Loop BB2157_194 Depth=1
                                        ; =>  This Inner Loop Header: Depth=2
	scratch_load_b64 v[8:9], off, s2
	v_add_nc_u32_e32 v10, s2, v23
	s_wait_xcnt 0x1
	s_add_co_i32 s3, s2, 0x17c
	s_wait_xcnt 0x0
	s_add_co_i32 s2, s2, 8
	s_delay_alu instid0(SALU_CYCLE_1)
	s_cmp_lg_u32 s2, 32
	ds_load_2addr_b32 v[10:11], v10 offset1:1
	s_wait_loadcnt_dscnt 0x0
	v_dual_add_nc_u32 v9, v11, v9 :: v_dual_add_nc_u32 v8, v10, v8
	scratch_store_b64 off, v[8:9], s3
	s_cbranch_scc1 .LBB2157_216
; %bb.217:                              ;   in Loop: Header=BB2157_194 Depth=1
	s_clause 0x1
	scratch_load_b128 v[8:11], off, off offset:380
	scratch_load_b128 v[12:15], off, off offset:396
.LBB2157_218:                           ;   in Loop: Header=BB2157_194 Depth=1
	s_wait_xcnt 0x0
	s_or_b32 exec_lo, exec_lo, s0
	v_and_b32_e32 v36, 1, v36
	v_and_b32_e32 v37, 1, v37
	s_delay_alu instid0(VALU_DEP_2) | instskip(NEXT) | instid1(VALU_DEP_2)
	v_cmp_eq_u32_e32 vcc_lo, 1, v36
	v_cmp_eq_u32_e64 s0, 1, v37
	s_or_b32 s0, vcc_lo, s0
	s_delay_alu instid0(SALU_CYCLE_1)
	v_cndmask_b32_e64 v36, 0, 1, s0
	ds_store_b8 v23, v36 offset:32
	ds_load_b32 v36, v23 offset:32
	s_wait_loadcnt 0x1
	ds_store_2addr_b32 v23, v8, v9 offset1:1
	ds_store_2addr_b32 v23, v10, v11 offset0:2 offset1:3
	s_wait_loadcnt 0x0
	ds_store_2addr_b32 v23, v12, v13 offset0:4 offset1:5
	ds_store_2addr_b32 v23, v14, v15 offset0:6 offset1:7
.LBB2157_219:                           ;   in Loop: Header=BB2157_194 Depth=1
	s_or_b32 exec_lo, exec_lo, s1
	ds_bpermute_b32 v38, v29, v8
	ds_bpermute_b32 v39, v29, v9
	;; [unrolled: 1-line block ×4, first 2 shown]
	s_wait_dscnt 0x8
	ds_bpermute_b32 v37, v29, v36
	ds_bpermute_b32 v42, v29, v12
	;; [unrolled: 1-line block ×5, first 2 shown]
	s_mov_b32 s1, exec_lo
	s_wait_dscnt 0x5
	scratch_store_b128 off, v[38:41], off
	s_wait_dscnt 0x0
	scratch_store_b128 off, v[42:45], off offset:16
	s_wait_xcnt 0x0
	v_cmpx_le_u32_e64 v30, v35
	s_cbranch_execz .LBB2157_227
; %bb.220:                              ;   in Loop: Header=BB2157_194 Depth=1
	v_and_b32_e32 v38, 0xff, v36
	s_mov_b32 s0, exec_lo
	s_delay_alu instid0(VALU_DEP_1)
	v_cmpx_eq_u16_e32 0, v38
	s_cbranch_execz .LBB2157_226
; %bb.221:                              ;   in Loop: Header=BB2157_194 Depth=1
	s_mov_b32 s2, 0
.LBB2157_222:                           ;   Parent Loop BB2157_194 Depth=1
                                        ; =>  This Inner Loop Header: Depth=2
	s_wait_xcnt 0x0
	s_add_co_i32 s3, s2, 0x17c
	s_add_co_i32 s2, s2, 8
	scratch_store_b64 off, v[20:21], s3
	s_cmp_lg_u32 s2, 32
	s_cbranch_scc1 .LBB2157_222
; %bb.223:                              ;   in Loop: Header=BB2157_194 Depth=1
	s_mov_b32 s2, 0
.LBB2157_224:                           ;   Parent Loop BB2157_194 Depth=1
                                        ; =>  This Inner Loop Header: Depth=2
	scratch_load_b64 v[8:9], off, s2
	v_add_nc_u32_e32 v10, s2, v23
	s_wait_xcnt 0x1
	s_add_co_i32 s3, s2, 0x17c
	s_wait_xcnt 0x0
	s_add_co_i32 s2, s2, 8
	s_delay_alu instid0(SALU_CYCLE_1)
	s_cmp_lg_u32 s2, 32
	ds_load_2addr_b32 v[10:11], v10 offset1:1
	s_wait_loadcnt_dscnt 0x0
	v_dual_add_nc_u32 v9, v11, v9 :: v_dual_add_nc_u32 v8, v10, v8
	scratch_store_b64 off, v[8:9], s3
	s_cbranch_scc1 .LBB2157_224
; %bb.225:                              ;   in Loop: Header=BB2157_194 Depth=1
	s_clause 0x1
	scratch_load_b128 v[8:11], off, off offset:380
	scratch_load_b128 v[12:15], off, off offset:396
.LBB2157_226:                           ;   in Loop: Header=BB2157_194 Depth=1
	s_wait_xcnt 0x0
	s_or_b32 exec_lo, exec_lo, s0
	v_and_b32_e32 v36, 1, v36
	v_and_b32_e32 v37, 1, v37
	s_delay_alu instid0(VALU_DEP_2) | instskip(NEXT) | instid1(VALU_DEP_2)
	v_cmp_eq_u32_e32 vcc_lo, 1, v36
	v_cmp_eq_u32_e64 s0, 1, v37
	s_or_b32 s0, vcc_lo, s0
	s_delay_alu instid0(SALU_CYCLE_1)
	v_cndmask_b32_e64 v36, 0, 1, s0
	ds_store_b8 v23, v36 offset:32
	ds_load_b32 v36, v23 offset:32
	s_wait_loadcnt 0x1
	ds_store_2addr_b32 v23, v8, v9 offset1:1
	ds_store_2addr_b32 v23, v10, v11 offset0:2 offset1:3
	s_wait_loadcnt 0x0
	ds_store_2addr_b32 v23, v12, v13 offset0:4 offset1:5
	ds_store_2addr_b32 v23, v14, v15 offset0:6 offset1:7
.LBB2157_227:                           ;   in Loop: Header=BB2157_194 Depth=1
	s_or_b32 exec_lo, exec_lo, s1
	ds_bpermute_b32 v38, v31, v8
	ds_bpermute_b32 v39, v31, v9
	;; [unrolled: 1-line block ×4, first 2 shown]
	s_wait_dscnt 0x8
	ds_bpermute_b32 v37, v31, v36
	ds_bpermute_b32 v42, v31, v12
	;; [unrolled: 1-line block ×5, first 2 shown]
	s_mov_b32 s1, exec_lo
	s_wait_dscnt 0x5
	scratch_store_b128 off, v[38:41], off
	s_wait_dscnt 0x0
	scratch_store_b128 off, v[42:45], off offset:16
	s_wait_xcnt 0x0
	v_cmpx_le_u32_e64 v32, v35
	s_cbranch_execz .LBB2157_235
; %bb.228:                              ;   in Loop: Header=BB2157_194 Depth=1
	v_and_b32_e32 v38, 0xff, v36
	s_mov_b32 s0, exec_lo
	s_delay_alu instid0(VALU_DEP_1)
	v_cmpx_eq_u16_e32 0, v38
	s_cbranch_execz .LBB2157_234
; %bb.229:                              ;   in Loop: Header=BB2157_194 Depth=1
	s_mov_b32 s2, 0
.LBB2157_230:                           ;   Parent Loop BB2157_194 Depth=1
                                        ; =>  This Inner Loop Header: Depth=2
	s_wait_xcnt 0x0
	s_add_co_i32 s3, s2, 0x17c
	s_add_co_i32 s2, s2, 8
	scratch_store_b64 off, v[20:21], s3
	s_cmp_lg_u32 s2, 32
	s_cbranch_scc1 .LBB2157_230
; %bb.231:                              ;   in Loop: Header=BB2157_194 Depth=1
	s_mov_b32 s2, 0
.LBB2157_232:                           ;   Parent Loop BB2157_194 Depth=1
                                        ; =>  This Inner Loop Header: Depth=2
	scratch_load_b64 v[8:9], off, s2
	v_add_nc_u32_e32 v10, s2, v23
	s_wait_xcnt 0x1
	s_add_co_i32 s3, s2, 0x17c
	s_wait_xcnt 0x0
	s_add_co_i32 s2, s2, 8
	s_delay_alu instid0(SALU_CYCLE_1)
	s_cmp_lg_u32 s2, 32
	ds_load_2addr_b32 v[10:11], v10 offset1:1
	s_wait_loadcnt_dscnt 0x0
	v_dual_add_nc_u32 v9, v11, v9 :: v_dual_add_nc_u32 v8, v10, v8
	scratch_store_b64 off, v[8:9], s3
	s_cbranch_scc1 .LBB2157_232
; %bb.233:                              ;   in Loop: Header=BB2157_194 Depth=1
	s_clause 0x1
	scratch_load_b128 v[8:11], off, off offset:380
	scratch_load_b128 v[12:15], off, off offset:396
.LBB2157_234:                           ;   in Loop: Header=BB2157_194 Depth=1
	s_wait_xcnt 0x0
	s_or_b32 exec_lo, exec_lo, s0
	v_and_b32_e32 v36, 1, v36
	v_and_b32_e32 v37, 1, v37
	s_delay_alu instid0(VALU_DEP_2) | instskip(NEXT) | instid1(VALU_DEP_2)
	v_cmp_eq_u32_e32 vcc_lo, 1, v36
	v_cmp_eq_u32_e64 s0, 1, v37
	s_or_b32 s0, vcc_lo, s0
	s_delay_alu instid0(SALU_CYCLE_1)
	v_cndmask_b32_e64 v36, 0, 1, s0
	ds_store_b8 v23, v36 offset:32
	ds_load_b32 v36, v23 offset:32
	s_wait_loadcnt 0x1
	ds_store_2addr_b32 v23, v8, v9 offset1:1
	ds_store_2addr_b32 v23, v10, v11 offset0:2 offset1:3
	s_wait_loadcnt 0x0
	ds_store_2addr_b32 v23, v12, v13 offset0:4 offset1:5
	ds_store_2addr_b32 v23, v14, v15 offset0:6 offset1:7
.LBB2157_235:                           ;   in Loop: Header=BB2157_194 Depth=1
	s_or_b32 exec_lo, exec_lo, s1
	ds_bpermute_b32 v38, v33, v8
	ds_bpermute_b32 v39, v33, v9
	;; [unrolled: 1-line block ×4, first 2 shown]
	s_wait_dscnt 0x8
	ds_bpermute_b32 v37, v33, v36
	ds_bpermute_b32 v42, v33, v12
	;; [unrolled: 1-line block ×5, first 2 shown]
	v_and_b32_e32 v46, 1, v36
	s_mov_b32 s1, exec_lo
	s_wait_dscnt 0x5
	scratch_store_b128 off, v[38:41], off
	s_wait_dscnt 0x0
	scratch_store_b128 off, v[42:45], off offset:16
	v_cmp_eq_u32_e64 s0, 1, v46
	s_wait_xcnt 0x0
	v_cmpx_le_u32_e64 v34, v35
	s_cbranch_execz .LBB2157_243
; %bb.236:                              ;   in Loop: Header=BB2157_194 Depth=1
	v_and_b32_e32 v35, 0xff, v36
	s_mov_b32 s2, exec_lo
	s_delay_alu instid0(VALU_DEP_1)
	v_cmpx_eq_u16_e32 0, v35
	s_cbranch_execz .LBB2157_242
; %bb.237:                              ;   in Loop: Header=BB2157_194 Depth=1
	s_mov_b32 s3, 0
.LBB2157_238:                           ;   Parent Loop BB2157_194 Depth=1
                                        ; =>  This Inner Loop Header: Depth=2
	s_wait_xcnt 0x0
	s_add_co_i32 s13, s3, 0x17c
	s_add_co_i32 s3, s3, 8
	scratch_store_b64 off, v[20:21], s13
	s_cmp_lg_u32 s3, 32
	s_cbranch_scc1 .LBB2157_238
; %bb.239:                              ;   in Loop: Header=BB2157_194 Depth=1
	s_mov_b32 s3, 0
.LBB2157_240:                           ;   Parent Loop BB2157_194 Depth=1
                                        ; =>  This Inner Loop Header: Depth=2
	scratch_load_b64 v[8:9], off, s3
	v_add_nc_u32_e32 v10, s3, v23
	s_wait_xcnt 0x1
	s_add_co_i32 s13, s3, 0x17c
	s_wait_xcnt 0x0
	s_add_co_i32 s3, s3, 8
	s_delay_alu instid0(SALU_CYCLE_1)
	s_cmp_lg_u32 s3, 32
	ds_load_2addr_b32 v[10:11], v10 offset1:1
	s_wait_loadcnt_dscnt 0x0
	v_dual_add_nc_u32 v9, v11, v9 :: v_dual_add_nc_u32 v8, v10, v8
	scratch_store_b64 off, v[8:9], s13
	s_cbranch_scc1 .LBB2157_240
; %bb.241:                              ;   in Loop: Header=BB2157_194 Depth=1
	s_clause 0x1
	scratch_load_b128 v[8:11], off, off offset:380
	scratch_load_b128 v[12:15], off, off offset:396
.LBB2157_242:                           ;   in Loop: Header=BB2157_194 Depth=1
	s_wait_xcnt 0x0
	s_or_b32 exec_lo, exec_lo, s2
	v_and_b32_e32 v35, 1, v37
	s_and_not1_b32 s2, s0, exec_lo
	s_wait_loadcnt 0x1
	ds_store_2addr_b32 v23, v8, v9 offset1:1
	ds_store_2addr_b32 v23, v10, v11 offset0:2 offset1:3
	s_wait_loadcnt 0x0
	ds_store_2addr_b32 v23, v12, v13 offset0:4 offset1:5
	ds_store_2addr_b32 v23, v14, v15 offset0:6 offset1:7
	v_cmp_eq_u32_e32 vcc_lo, 1, v35
	s_or_b32 s0, s0, vcc_lo
	s_delay_alu instid0(SALU_CYCLE_1) | instskip(SKIP_1) | instid1(SALU_CYCLE_1)
	v_cndmask_b32_e64 v35, 0, 1, s0
	s_and_b32 s0, s0, exec_lo
	s_or_b32 s0, s2, s0
	ds_store_b8 v23, v35 offset:32
.LBB2157_243:                           ;   in Loop: Header=BB2157_194 Depth=1
	s_or_b32 exec_lo, exec_lo, s1
	scratch_load_u8 v35, off, off offset:164
	s_mov_b32 s1, exec_lo
                                        ; implicit-def: $vgpr14_vgpr15
                                        ; implicit-def: $vgpr10_vgpr11
	s_wait_loadcnt 0x0
	v_cmpx_ne_u16_e32 0, v35
	s_xor_b32 s1, exec_lo, s1
	s_cbranch_execz .LBB2157_245
; %bb.244:                              ;   in Loop: Header=BB2157_194 Depth=1
	s_clause 0x1
	scratch_load_b128 v[8:11], off, off offset:132
	scratch_load_b128 v[12:15], off, off offset:148
.LBB2157_245:                           ;   in Loop: Header=BB2157_194 Depth=1
	s_wait_xcnt 0x0
	s_and_not1_saveexec_b32 s1, s1
	s_cbranch_execz .LBB2157_192
; %bb.246:                              ;   in Loop: Header=BB2157_194 Depth=1
	s_mov_b32 s2, 0
.LBB2157_247:                           ;   Parent Loop BB2157_194 Depth=1
                                        ; =>  This Inner Loop Header: Depth=2
	s_wait_xcnt 0x0
	s_mov_b32 s3, s2
	s_add_co_i32 s2, s2, 8
	scratch_store_b64 off, v[20:21], s3
	s_cmp_lg_u32 s2, 32
	s_cbranch_scc1 .LBB2157_247
; %bb.248:                              ;   in Loop: Header=BB2157_194 Depth=1
	s_mov_b32 s2, 0
.LBB2157_249:                           ;   Parent Loop BB2157_194 Depth=1
                                        ; =>  This Inner Loop Header: Depth=2
	s_wait_xcnt 0x0
	s_add_co_i32 s3, s2, 0x84
	s_wait_loadcnt 0x1
	v_add_nc_u32_e32 v10, s2, v23
	scratch_load_b64 v[8:9], off, s3
	s_wait_xcnt 0x0
	s_mov_b32 s3, s2
	s_add_co_i32 s2, s2, 8
	ds_load_2addr_b32 v[10:11], v10 offset1:1
	s_cmp_lg_u32 s2, 32
	s_wait_loadcnt_dscnt 0x0
	v_dual_add_nc_u32 v9, v9, v11 :: v_dual_add_nc_u32 v8, v8, v10
	scratch_store_b64 off, v[8:9], s3
	s_cbranch_scc1 .LBB2157_249
	s_branch .LBB2157_191
.LBB2157_250:
	s_cbranch_execnz .LBB2157_290
	s_branch .LBB2157_429
.LBB2157_251:
	s_clause 0x2
	scratch_load_b128 v[12:15], off, off offset:132
	scratch_load_b128 v[8:11], off, off offset:148
	scratch_load_b32 v17, off, off offset:164
	s_wait_loadcnt 0x2
	scratch_store_b128 off, v[12:15], off
	s_wait_loadcnt 0x1
	scratch_store_b128 off, v[8:11], off offset:16
	s_wait_loadcnt 0x0
	scratch_store_b32 off, v17, off offset:32
	s_wait_xcnt 0x0
	s_and_saveexec_b32 s0, s44
	s_cbranch_execz .LBB2157_259
; %bb.252:
	v_and_b32_e32 v18, 0xff, v22
	s_mov_b32 s1, 0
	s_delay_alu instid0(VALU_DEP_1)
	v_cmp_ne_u32_e32 vcc_lo, 0, v18
	s_cbranch_vccnz .LBB2157_258
; %bb.253:
	v_mov_b64_e32 v[0:1], 0
.LBB2157_254:                           ; =>This Inner Loop Header: Depth=1
	s_wait_xcnt 0x0
	s_add_co_i32 s2, s1, 0x60
	s_add_co_i32 s1, s1, 8
	scratch_store_b64 off, v[0:1], s2
	s_cmp_lg_u32 s1, 32
	s_cbranch_scc1 .LBB2157_254
; %bb.255:
	s_mov_b32 s1, 0
.LBB2157_256:                           ; =>This Inner Loop Header: Depth=1
	s_wait_xcnt 0x1
	s_add_co_i32 s3, s1, 0xa8
	scratch_load_b64 v[0:1], off, s1
	scratch_load_b64 v[2:3], off, s3
	s_mov_b32 s2, s1
                                        ; kill: killed $sgpr2
	s_add_co_i32 s2, s1, 0x60
	s_wait_xcnt 0x1
	s_add_co_i32 s1, s1, 8
                                        ; kill: killed $sgpr3
	s_delay_alu instid0(SALU_CYCLE_1)
	s_cmp_lg_u32 s1, 32
	s_wait_loadcnt 0x0
	v_dual_add_nc_u32 v1, v3, v1 :: v_dual_add_nc_u32 v0, v2, v0
	scratch_store_b64 off, v[0:1], s2
	s_cbranch_scc1 .LBB2157_256
; %bb.257:
	s_clause 0x1
	scratch_load_b128 v[0:3], off, off offset:96
	scratch_load_b128 v[4:7], off, off offset:112
.LBB2157_258:
	s_add_co_i32 s2, s34, 32
	s_mov_b32 s3, 0
	v_dual_mov_b32 v18, 0 :: v_dual_mov_b32 v20, 2
	v_mov_b32_e32 v21, s2
	s_mul_u64 s[4:5], s[2:3], 36
	v_bitop3_b16 v19, v22, 1, v17 bitop3:0xc8
	s_add_nc_u64 s[4:5], s[6:7], s[4:5]
	s_wait_loadcnt 0x1
	global_store_b128 v18, v[0:3], s[4:5]
	s_wait_loadcnt 0x0
	s_clause 0x1
	global_store_b128 v18, v[4:7], s[4:5] offset:16
	global_store_b8 v18, v19, s[4:5] offset:32
	global_wb scope:SCOPE_DEV
	s_wait_storecnt_dscnt 0x0
	global_inv scope:SCOPE_DEV
	s_wait_xcnt 0x0
	global_store_b8 v21, v20, s[8:9] scope:SCOPE_DEV
.LBB2157_259:
	s_wait_xcnt 0x0
	s_or_b32 exec_lo, exec_lo, s0
	v_cmp_eq_u32_e32 vcc_lo, 0, v16
	s_and_b32 exec_lo, exec_lo, vcc_lo
	s_cbranch_execz .LBB2157_261
; %bb.260:
	v_mov_b32_e32 v0, 0
	ds_store_2addr_b32 v0, v12, v13 offset0:63 offset1:64
	ds_store_2addr_b32 v0, v14, v15 offset0:65 offset1:66
	;; [unrolled: 1-line block ×4, first 2 shown]
	ds_store_b8 v0, v17 offset:284
.LBB2157_261:
	s_or_b32 exec_lo, exec_lo, s43
	s_wait_storecnt 0x0
	s_wait_loadcnt_dscnt 0x0
	s_barrier_signal -1
	s_barrier_wait -1
	s_clause 0x2
	scratch_load_b128 v[0:3], off, off offset:272
	scratch_load_b128 v[4:7], off, off offset:288
	scratch_load_b32 v8, off, off offset:304
	v_mov_b32_e32 v9, 0
	ds_load_2addr_b32 v[10:11], v9 offset0:63 offset1:64
	ds_load_2addr_b32 v[12:13], v9 offset0:65 offset1:66
	;; [unrolled: 1-line block ×4, first 2 shown]
	ds_load_b32 v9, v9 offset:284
	s_mov_b32 s0, exec_lo
	s_wait_dscnt 0x3
	scratch_store_b128 off, v[10:13], off
	s_wait_dscnt 0x1
	scratch_store_b128 off, v[18:21], off offset:16
	s_wait_dscnt 0x0
	s_clause 0x2
	scratch_store_b32 off, v9, off offset:32
	scratch_store_b128 off, v[10:13], off offset:132
	scratch_store_b128 off, v[18:21], off offset:148
	s_wait_loadcnt 0x2
	scratch_store_b128 off, v[0:3], off offset:96
	s_wait_loadcnt 0x1
	;; [unrolled: 2-line block ×3, first 2 shown]
	s_clause 0x1
	scratch_store_b32 off, v8, off offset:128
	scratch_store_b32 off, v9, off offset:164
                                        ; implicit-def: $vgpr8
	s_wait_xcnt 0x0
	v_cmpx_ne_u32_e32 0, v16
	s_xor_b32 s0, exec_lo, s0
	s_cbranch_execz .LBB2157_271
; %bb.262:
	scratch_load_u8 v8, off, off offset:236
	s_mov_b32 s1, exec_lo
                                        ; implicit-def: $vgpr6_vgpr7
                                        ; implicit-def: $vgpr2_vgpr3
	s_wait_loadcnt 0x0
	v_cmpx_ne_u16_e32 0, v8
	s_xor_b32 s1, exec_lo, s1
	s_cbranch_execz .LBB2157_264
; %bb.263:
	s_clause 0x1
	scratch_load_b128 v[0:3], off, off offset:204
	scratch_load_b128 v[4:7], off, off offset:220
.LBB2157_264:
	s_wait_xcnt 0x0
	s_and_not1_saveexec_b32 s1, s1
	s_cbranch_execz .LBB2157_270
; %bb.265:
	s_wait_loadcnt 0x1
	v_mov_b64_e32 v[0:1], 0
	s_mov_b32 s2, 0
.LBB2157_266:                           ; =>This Inner Loop Header: Depth=1
	s_wait_xcnt 0x0
	s_add_co_i32 s3, s2, 0xa8
	s_add_co_i32 s2, s2, 8
	scratch_store_b64 off, v[0:1], s3
	s_cmp_lg_u32 s2, 32
	s_cbranch_scc1 .LBB2157_266
; %bb.267:
	s_mov_b32 s2, 0
.LBB2157_268:                           ; =>This Inner Loop Header: Depth=1
	s_wait_xcnt 0x1
	s_add_co_i32 s4, s2, 0xcc
	scratch_load_b64 v[0:1], off, s2
	scratch_load_b64 v[2:3], off, s4
	s_mov_b32 s3, s2
                                        ; kill: killed $sgpr3
	s_add_co_i32 s3, s2, 0xa8
	s_wait_xcnt 0x1
	s_add_co_i32 s2, s2, 8
	s_delay_alu instid0(SALU_CYCLE_1)
	s_cmp_lg_u32 s2, 32
	s_wait_loadcnt 0x0
	v_dual_add_nc_u32 v1, v3, v1 :: v_dual_add_nc_u32 v0, v2, v0
	scratch_store_b64 off, v[0:1], s3
	s_cbranch_scc1 .LBB2157_268
; %bb.269:
	s_clause 0x1
	scratch_load_b128 v[0:3], off, off offset:168
	scratch_load_b128 v[4:7], off, off offset:184
.LBB2157_270:
	s_wait_xcnt 0x0
	s_or_b32 exec_lo, exec_lo, s1
	v_bitop3_b16 v8, v8, 1, v9 bitop3:0xc8
	s_wait_loadcnt 0x1
	scratch_store_b128 off, v[0:3], off offset:132
	s_wait_loadcnt 0x0
	scratch_store_b128 off, v[4:7], off offset:148
.LBB2157_271:
	s_wait_xcnt 0x0
	s_and_not1_saveexec_b32 s0, s0
	s_cbranch_execz .LBB2157_273
; %bb.272:
	scratch_load_u8 v8, off, off offset:164
.LBB2157_273:
	s_wait_xcnt 0x0
	s_or_b32 exec_lo, exec_lo, s0
	s_clause 0x2
	scratch_load_u8 v9, off, off offset:128
	scratch_load_b128 v[0:3], off, off offset:132
	scratch_load_b128 v[4:7], off, off offset:148
	s_mov_b32 s0, exec_lo
	s_wait_loadcnt 0x1
	scratch_store_b128 off, v[0:3], off offset:272
	s_wait_loadcnt 0x0
	s_clause 0x1
	scratch_store_b128 off, v[4:7], off offset:288
	scratch_store_b8 off, v8, off offset:304
                                        ; implicit-def: $vgpr6_vgpr7
                                        ; implicit-def: $vgpr2_vgpr3
	s_wait_xcnt 0x0
	v_cmpx_ne_u16_e32 0, v9
	s_xor_b32 s0, exec_lo, s0
	s_cbranch_execz .LBB2157_275
; %bb.274:
	s_clause 0x1
	scratch_load_b128 v[0:3], off, off offset:96
	scratch_load_b128 v[4:7], off, off offset:112
.LBB2157_275:
	s_wait_xcnt 0x0
	s_and_not1_saveexec_b32 s0, s0
	s_cbranch_execz .LBB2157_281
; %bb.276:
	s_wait_loadcnt 0x1
	v_mov_b64_e32 v[0:1], 0
	s_mov_b32 s1, 0
.LBB2157_277:                           ; =>This Inner Loop Header: Depth=1
	s_wait_xcnt 0x0
	s_add_co_i32 s2, s1, 0xa8
	s_add_co_i32 s1, s1, 8
	scratch_store_b64 off, v[0:1], s2
	s_cmp_lg_u32 s1, 32
	s_cbranch_scc1 .LBB2157_277
; %bb.278:
	s_mov_b32 s1, 0
.LBB2157_279:                           ; =>This Inner Loop Header: Depth=1
	s_wait_xcnt 0x0
	s_add_co_i32 s2, s1, 0x84
	s_add_co_i32 s3, s1, 0x60
	scratch_load_b64 v[0:1], off, s2
	scratch_load_b64 v[2:3], off, s3
	s_wait_xcnt 0x1
	s_add_co_i32 s2, s1, 0xa8
	s_add_co_i32 s1, s1, 8
	s_delay_alu instid0(SALU_CYCLE_1)
	s_cmp_lg_u32 s1, 32
	s_wait_loadcnt 0x0
	v_dual_add_nc_u32 v1, v3, v1 :: v_dual_add_nc_u32 v0, v2, v0
	scratch_store_b64 off, v[0:1], s2
	s_cbranch_scc1 .LBB2157_279
; %bb.280:
	s_clause 0x1
	scratch_load_b128 v[0:3], off, off offset:168
	scratch_load_b128 v[4:7], off, off offset:184
.LBB2157_281:
	s_wait_xcnt 0x0
	s_or_b32 exec_lo, exec_lo, s0
	scratch_load_u8 v10, off, off offset:340
	s_clause 0x1
	scratch_load_b128 v[12:15], off, s11
	scratch_load_b128 v[18:21], off, s11 offset:16
	v_or_b32_e32 v11, v9, v8
	v_bitop3_b16 v8, v9, 1, v8 bitop3:0xc8
	s_wait_loadcnt 0x4
	scratch_store_b128 off, v[0:3], off offset:132
	s_wait_loadcnt 0x3
	scratch_store_b128 off, v[4:7], off offset:148
	;; [unrolled: 2-line block ×4, first 2 shown]
	s_clause 0x1
	scratch_store_b128 off, v[0:3], s11
	scratch_store_b128 off, v[4:7], s11 offset:16
	scratch_store_b8 off, v8, off offset:340
	v_and_b32_e32 v11, 1, v11
	v_cmp_ne_u16_e64 s0, 0, v10
                                        ; implicit-def: $vgpr6_vgpr7
                                        ; implicit-def: $vgpr2_vgpr3
	s_delay_alu instid0(VALU_DEP_2) | instskip(SKIP_2) | instid1(SALU_CYCLE_1)
	v_cmp_eq_u32_e32 vcc_lo, 1, v11
	s_wait_xcnt 0x0
	s_and_saveexec_b32 s1, s0
	s_xor_b32 s0, exec_lo, s1
	s_cbranch_execz .LBB2157_283
; %bb.282:
	s_clause 0x1
	scratch_load_b128 v[0:3], off, off offset:96
	scratch_load_b128 v[4:7], off, off offset:112
.LBB2157_283:
	s_wait_xcnt 0x0
	s_and_not1_saveexec_b32 s0, s0
	s_cbranch_execz .LBB2157_289
; %bb.284:
	s_wait_loadcnt 0x1
	v_mov_b64_e32 v[0:1], 0
	s_mov_b32 s1, 0
.LBB2157_285:                           ; =>This Inner Loop Header: Depth=1
	s_wait_xcnt 0x0
	s_add_co_i32 s2, s1, 0xa8
	s_add_co_i32 s1, s1, 8
	scratch_store_b64 off, v[0:1], s2
	s_cmp_lg_u32 s1, 32
	s_cbranch_scc1 .LBB2157_285
; %bb.286:
	s_mov_b32 s1, 0
.LBB2157_287:                           ; =>This Inner Loop Header: Depth=1
	s_wait_xcnt 0x0
	s_add_co_i32 s2, s1, 0x84
	s_add_co_i32 s3, s1, 0x60
	scratch_load_b64 v[0:1], off, s2
	scratch_load_b64 v[2:3], off, s3
	s_wait_xcnt 0x1
	s_add_co_i32 s2, s1, 0xa8
	s_add_co_i32 s1, s1, 8
	s_delay_alu instid0(SALU_CYCLE_1)
	s_cmp_lg_u32 s1, 32
	s_wait_loadcnt 0x0
	v_dual_add_nc_u32 v1, v3, v1 :: v_dual_add_nc_u32 v0, v2, v0
	scratch_store_b64 off, v[0:1], s2
	s_cbranch_scc1 .LBB2157_287
; %bb.288:
	s_clause 0x1
	scratch_load_b128 v[0:3], off, off offset:168
	scratch_load_b128 v[4:7], off, off offset:184
.LBB2157_289:
	s_wait_xcnt 0x0
	s_or_b32 exec_lo, exec_lo, s0
	v_and_b32_e32 v8, 1, v10
	s_wait_loadcnt 0x1
	scratch_store_b128 off, v[0:3], s33
	s_wait_loadcnt 0x0
	scratch_store_b128 off, v[4:7], s33 offset:16
	v_cmp_eq_u32_e64 s0, 1, v8
	s_or_b32 s0, s0, vcc_lo
	s_delay_alu instid0(SALU_CYCLE_1)
	v_cndmask_b32_e64 v8, 0, 1, s0
	scratch_store_b8 off, v8, off offset:376
	s_branch .LBB2157_429
.LBB2157_290:
	s_cmp_eq_u64 s[36:37], 0
	s_wait_xcnt 0x1
	v_mov_b64_e32 v[4:5], s[20:21]
	s_cselect_b32 s0, -1, 0
	s_cmp_eq_u64 s[30:31], 0
	v_mov_b64_e32 v[6:7], s[22:23]
	v_mov_b64_e32 v[0:1], s[24:25]
	;; [unrolled: 1-line block ×3, first 2 shown]
	s_cselect_b32 s1, -1, 0
	s_delay_alu instid0(SALU_CYCLE_1) | instskip(NEXT) | instid1(SALU_CYCLE_1)
	s_or_b32 s0, s0, s1
	s_and_b32 vcc_lo, exec_lo, s0
	s_cbranch_vccnz .LBB2157_292
; %bb.291:
	s_wait_xcnt 0x0
	v_mov_b32_e32 v8, 0
	s_clause 0x1
	global_load_b128 v[0:3], v8, s[30:31] offset:16
	global_load_b128 v[4:7], v8, s[30:31]
.LBB2157_292:
	s_mov_b32 s0, 0
	s_wait_xcnt 0x0
	v_mov_b64_e32 v[8:9], 0
	s_mov_b32 s2, s0
	s_mov_b32 s3, s0
	;; [unrolled: 1-line block ×3, first 2 shown]
	v_mov_b64_e32 v[12:13], s[2:3]
	v_mov_b64_e32 v[10:11], s[0:1]
	v_mov_b32_e32 v14, 0
	s_clause 0x2
	scratch_store_b32 off, v14, off offset:412
	scratch_store_b128 off, v[10:13], off offset:396
	scratch_store_b128 off, v[10:13], off offset:380
.LBB2157_293:                           ; =>This Inner Loop Header: Depth=1
	s_wait_xcnt 0x0
	s_add_co_i32 s1, s0, 0x17c
	s_add_co_i32 s0, s0, 8
	scratch_store_b64 off, v[8:9], s1
	s_cmp_lg_u32 s0, 32
	s_cbranch_scc1 .LBB2157_293
; %bb.294:
	s_clause 0x3
	scratch_load_u8 v17, off, off offset:340
	scratch_load_b128 v[8:11], off, off offset:272
	scratch_load_b128 v[12:15], off, off offset:288
	scratch_load_b32 v18, off, off offset:304
	v_mov_b32_e32 v19, 0
	s_mov_b32 s0, exec_lo
	scratch_store_b8 off, v19, off offset:412
	s_wait_loadcnt 0x4
	s_clause 0x2
	scratch_store_b128 off, v[4:7], off offset:204
	scratch_store_b128 off, v[0:3], off offset:220
	scratch_store_b8 off, v19, off offset:236
	s_wait_loadcnt 0x2
	scratch_store_b128 off, v[8:11], off offset:168
	s_wait_loadcnt 0x1
	scratch_store_b128 off, v[12:15], off offset:184
	s_wait_loadcnt 0x0
	scratch_store_b32 off, v18, off offset:200
                                        ; implicit-def: $vgpr14_vgpr15
                                        ; implicit-def: $vgpr10_vgpr11
	s_wait_xcnt 0x0
	v_cmpx_ne_u16_e32 0, v17
	s_xor_b32 s0, exec_lo, s0
	s_cbranch_execz .LBB2157_296
; %bb.295:
	s_clause 0x1
	scratch_load_b128 v[8:11], off, off offset:308
	scratch_load_b128 v[12:15], off, off offset:324
.LBB2157_296:
	s_wait_xcnt 0x0
	s_and_not1_saveexec_b32 s0, s0
	s_cbranch_execz .LBB2157_302
; %bb.297:
	s_wait_loadcnt 0x1
	v_mov_b64_e32 v[8:9], 0
	s_mov_b32 s1, 0
.LBB2157_298:                           ; =>This Inner Loop Header: Depth=1
	s_wait_xcnt 0x0
	s_mov_b32 s2, s1
	s_add_co_i32 s1, s1, 8
	scratch_store_b64 off, v[8:9], s2
	s_cmp_lg_u32 s1, 32
	s_cbranch_scc1 .LBB2157_298
; %bb.299:
	s_mov_b32 s1, 0
.LBB2157_300:                           ; =>This Inner Loop Header: Depth=1
	s_wait_xcnt 0x0
	s_add_co_i32 s2, s1, 0xa8
	s_add_co_i32 s3, s11, s1
	scratch_load_b64 v[8:9], off, s2
	scratch_load_b64 v[10:11], off, s3
	s_wait_xcnt 0x1
	s_mov_b32 s2, s1
	s_add_co_i32 s1, s1, 8
	s_delay_alu instid0(SALU_CYCLE_1)
	s_cmp_lg_u32 s1, 32
	s_wait_loadcnt 0x0
	v_dual_add_nc_u32 v9, v11, v9 :: v_dual_add_nc_u32 v8, v10, v8
	scratch_store_b64 off, v[8:9], s2
	s_cbranch_scc1 .LBB2157_300
; %bb.301:
	s_clause 0x1
	scratch_load_b128 v[8:11], off, off
	scratch_load_b128 v[12:15], off, off offset:16
.LBB2157_302:
	s_wait_xcnt 0x0
	s_or_b32 exec_lo, exec_lo, s0
	scratch_load_u8 v19, off, off offset:376
	s_mov_b32 s0, exec_lo
	s_wait_loadcnt 0x2
	scratch_store_b128 off, v[8:11], off offset:168
	s_wait_loadcnt 0x1
	scratch_store_b128 off, v[12:15], off offset:184
                                        ; implicit-def: $vgpr14_vgpr15
                                        ; implicit-def: $vgpr10_vgpr11
	s_wait_loadcnt 0x0
	v_cmpx_ne_u16_e32 0, v19
	s_xor_b32 s0, exec_lo, s0
	s_cbranch_execz .LBB2157_304
; %bb.303:
	s_clause 0x1
	scratch_load_b128 v[8:11], off, off offset:344
	scratch_load_b128 v[12:15], off, off offset:360
.LBB2157_304:
	s_wait_xcnt 0x0
	s_and_not1_saveexec_b32 s0, s0
	s_cbranch_execz .LBB2157_310
; %bb.305:
	s_wait_loadcnt 0x1
	v_mov_b64_e32 v[8:9], 0
	s_mov_b32 s1, 0
.LBB2157_306:                           ; =>This Inner Loop Header: Depth=1
	s_wait_xcnt 0x0
	s_mov_b32 s2, s1
	s_add_co_i32 s1, s1, 8
	scratch_store_b64 off, v[8:9], s2
	s_cmp_lg_u32 s1, 32
	s_cbranch_scc1 .LBB2157_306
; %bb.307:
	s_mov_b32 s1, 0
.LBB2157_308:                           ; =>This Inner Loop Header: Depth=1
	s_wait_xcnt 0x0
	s_add_co_i32 s2, s1, 0xa8
	s_add_co_i32 s3, s33, s1
	scratch_load_b64 v[8:9], off, s2
	scratch_load_b64 v[10:11], off, s3
	s_wait_xcnt 0x1
	s_mov_b32 s2, s1
	s_add_co_i32 s1, s1, 8
	s_delay_alu instid0(SALU_CYCLE_1)
	s_cmp_lg_u32 s1, 32
	s_wait_loadcnt 0x0
	v_dual_add_nc_u32 v9, v11, v9 :: v_dual_add_nc_u32 v8, v10, v8
	scratch_store_b64 off, v[8:9], s2
	s_cbranch_scc1 .LBB2157_308
; %bb.309:
	s_clause 0x1
	scratch_load_b128 v[8:11], off, off
	scratch_load_b128 v[12:15], off, off offset:16
.LBB2157_310:
	s_wait_xcnt 0x0
	s_or_b32 exec_lo, exec_lo, s0
	v_dual_mov_b32 v20, 0 :: v_dual_bitop2_b32 v18, 1, v18 bitop3:0x40
	v_or_b32_e32 v17, v19, v17
	s_wait_loadcnt 0x1
	v_mov_b32_dpp v22, v8 row_shr:1 row_mask:0xf bank_mask:0xf
	v_mov_b32_dpp v23, v9 row_shr:1 row_mask:0xf bank_mask:0xf
	v_cmp_eq_u32_e32 vcc_lo, 1, v18
	v_mov_b32_dpp v24, v10 row_shr:1 row_mask:0xf bank_mask:0xf
	v_cmp_ne_u16_e64 s0, 0, v17
	v_mov_b32_dpp v25, v11 row_shr:1 row_mask:0xf bank_mask:0xf
	s_wait_loadcnt 0x0
	v_mov_b32_dpp v26, v12 row_shr:1 row_mask:0xf bank_mask:0xf
	v_mov_b32_dpp v27, v13 row_shr:1 row_mask:0xf bank_mask:0xf
	;; [unrolled: 1-line block ×3, first 2 shown]
	s_or_b32 s0, s0, vcc_lo
	v_mov_b32_dpp v29, v15 row_shr:1 row_mask:0xf bank_mask:0xf
	v_cndmask_b32_e64 v17, 0, 1, s0
	s_mov_b32 s0, exec_lo
	s_clause 0x1
	scratch_store_b8 off, v17, off offset:200
	scratch_load_b32 v18, off, off offset:200
	s_wait_xcnt 0x1
	v_mbcnt_lo_u32_b32 v17, -1, 0
	s_clause 0x2
	scratch_store_b128 off, v[4:7], off offset:132
	scratch_store_b128 off, v[0:3], off offset:148
	scratch_store_b8 off, v20, off offset:164
	v_and_b32_e32 v19, 15, v17
	s_wait_loadcnt 0x0
	v_mov_b32_dpp v20, v18 row_shr:1 row_mask:0xf bank_mask:0xf
	s_clause 0x4
	scratch_store_b128 off, v[8:11], off offset:168
	scratch_store_b128 off, v[12:15], off offset:184
	scratch_store_b128 off, v[22:25], off
	scratch_store_b128 off, v[26:29], off offset:16
	scratch_store_b32 off, v20, off offset:32
	s_wait_xcnt 0x0
	v_cmpx_ne_u32_e32 0, v19
	s_xor_b32 s0, exec_lo, s0
	s_cbranch_execz .LBB2157_318
; %bb.311:
	v_and_b32_e32 v21, 0xff, v18
	s_mov_b32 s1, exec_lo
	s_delay_alu instid0(VALU_DEP_1)
	v_cmpx_eq_u16_e32 0, v21
	s_cbranch_execz .LBB2157_317
; %bb.312:
	v_mov_b64_e32 v[8:9], 0
	s_mov_b32 s2, 0
.LBB2157_313:                           ; =>This Inner Loop Header: Depth=1
	s_wait_xcnt 0x0
	s_add_co_i32 s3, s2, 0x60
	s_add_co_i32 s2, s2, 8
	scratch_store_b64 off, v[8:9], s3
	s_cmp_lg_u32 s2, 32
	s_cbranch_scc1 .LBB2157_313
; %bb.314:
	s_mov_b32 s2, 0
.LBB2157_315:                           ; =>This Inner Loop Header: Depth=1
	s_wait_xcnt 0x1
	s_add_co_i32 s4, s2, 0xa8
	scratch_load_b64 v[8:9], off, s2
	scratch_load_b64 v[10:11], off, s4
	s_mov_b32 s3, s2
                                        ; kill: killed $sgpr3
	s_add_co_i32 s3, s2, 0x60
	s_wait_xcnt 0x1
	s_add_co_i32 s2, s2, 8
                                        ; kill: killed $sgpr4
	s_delay_alu instid0(SALU_CYCLE_1)
	s_cmp_lg_u32 s2, 32
	s_wait_loadcnt 0x0
	v_dual_add_nc_u32 v9, v11, v9 :: v_dual_add_nc_u32 v8, v10, v8
	scratch_store_b64 off, v[8:9], s3
	s_cbranch_scc1 .LBB2157_315
; %bb.316:
	s_clause 0x1
	scratch_load_b128 v[8:11], off, off offset:96
	scratch_load_b128 v[12:15], off, off offset:112
.LBB2157_317:
	s_wait_xcnt 0x0
	s_or_b32 exec_lo, exec_lo, s1
	v_or_b32_e32 v18, v20, v18
	s_delay_alu instid0(VALU_DEP_1)
	v_and_b32_e32 v18, 1, v18
	s_clause 0x1
	scratch_store_b8 off, v18, off offset:200
	scratch_load_b32 v18, off, off offset:200
	s_wait_loadcnt 0x2
	scratch_store_b128 off, v[8:11], off offset:168
	s_wait_loadcnt 0x1
	scratch_store_b128 off, v[12:15], off offset:184
.LBB2157_318:
	s_wait_xcnt 0x0
	s_or_b32 exec_lo, exec_lo, s0
	v_mov_b32_dpp v22, v8 row_shr:2 row_mask:0xf bank_mask:0xf
	v_mov_b32_dpp v23, v9 row_shr:2 row_mask:0xf bank_mask:0xf
	v_mov_b32_dpp v24, v10 row_shr:2 row_mask:0xf bank_mask:0xf
	v_mov_b32_dpp v25, v11 row_shr:2 row_mask:0xf bank_mask:0xf
	s_wait_loadcnt 0x0
	v_mov_b32_dpp v20, v18 row_shr:2 row_mask:0xf bank_mask:0xf
	v_mov_b32_dpp v26, v12 row_shr:2 row_mask:0xf bank_mask:0xf
	;; [unrolled: 1-line block ×5, first 2 shown]
	s_mov_b32 s1, exec_lo
	s_clause 0x2
	scratch_store_b128 off, v[22:25], off
	scratch_store_b128 off, v[26:29], off offset:16
	scratch_store_b32 off, v20, off offset:32
	s_wait_xcnt 0x0
	v_cmpx_lt_u32_e32 1, v19
	s_cbranch_execz .LBB2157_326
; %bb.319:
	v_and_b32_e32 v21, 0xff, v18
	s_mov_b32 s2, 0
	s_mov_b32 s0, exec_lo
	s_delay_alu instid0(VALU_DEP_1)
	v_cmpx_eq_u16_e32 0, v21
	s_cbranch_execz .LBB2157_325
; %bb.320:
	v_mov_b64_e32 v[8:9], 0
.LBB2157_321:                           ; =>This Inner Loop Header: Depth=1
	s_wait_xcnt 0x0
	s_add_co_i32 s3, s2, 0x60
	s_add_co_i32 s2, s2, 8
	scratch_store_b64 off, v[8:9], s3
	s_cmp_lg_u32 s2, 32
	s_cbranch_scc1 .LBB2157_321
; %bb.322:
	s_mov_b32 s2, 0
.LBB2157_323:                           ; =>This Inner Loop Header: Depth=1
	s_wait_xcnt 0x1
	s_add_co_i32 s4, s2, 0xa8
	scratch_load_b64 v[8:9], off, s2
	scratch_load_b64 v[10:11], off, s4
	s_mov_b32 s3, s2
                                        ; kill: killed $sgpr3
	s_add_co_i32 s3, s2, 0x60
	s_wait_xcnt 0x1
	s_add_co_i32 s2, s2, 8
                                        ; kill: killed $sgpr4
	s_delay_alu instid0(SALU_CYCLE_1)
	s_cmp_lg_u32 s2, 32
	s_wait_loadcnt 0x0
	v_dual_add_nc_u32 v9, v11, v9 :: v_dual_add_nc_u32 v8, v10, v8
	scratch_store_b64 off, v[8:9], s3
	s_cbranch_scc1 .LBB2157_323
; %bb.324:
	s_clause 0x1
	scratch_load_b128 v[8:11], off, off offset:96
	scratch_load_b128 v[12:15], off, off offset:112
.LBB2157_325:
	s_wait_xcnt 0x0
	s_or_b32 exec_lo, exec_lo, s0
	v_and_b32_e32 v18, 1, v18
	v_and_b32_e32 v20, 1, v20
	s_delay_alu instid0(VALU_DEP_2) | instskip(NEXT) | instid1(VALU_DEP_2)
	v_cmp_eq_u32_e32 vcc_lo, 1, v18
	v_cmp_eq_u32_e64 s0, 1, v20
	s_or_b32 s0, vcc_lo, s0
	s_delay_alu instid0(SALU_CYCLE_1)
	v_cndmask_b32_e64 v18, 0, 1, s0
	s_clause 0x1
	scratch_store_b8 off, v18, off offset:200
	scratch_load_b32 v18, off, off offset:200
	s_wait_loadcnt 0x2
	scratch_store_b128 off, v[8:11], off offset:168
	s_wait_loadcnt 0x1
	scratch_store_b128 off, v[12:15], off offset:184
.LBB2157_326:
	s_wait_xcnt 0x0
	s_or_b32 exec_lo, exec_lo, s1
	v_mov_b32_dpp v22, v8 row_shr:4 row_mask:0xf bank_mask:0xf
	v_mov_b32_dpp v23, v9 row_shr:4 row_mask:0xf bank_mask:0xf
	;; [unrolled: 1-line block ×4, first 2 shown]
	s_wait_loadcnt 0x0
	v_mov_b32_dpp v20, v18 row_shr:4 row_mask:0xf bank_mask:0xf
	v_mov_b32_dpp v26, v12 row_shr:4 row_mask:0xf bank_mask:0xf
	;; [unrolled: 1-line block ×5, first 2 shown]
	s_mov_b32 s1, exec_lo
	s_clause 0x2
	scratch_store_b128 off, v[22:25], off
	scratch_store_b128 off, v[26:29], off offset:16
	scratch_store_b32 off, v20, off offset:32
	s_wait_xcnt 0x0
	v_cmpx_lt_u32_e32 3, v19
	s_cbranch_execz .LBB2157_334
; %bb.327:
	v_and_b32_e32 v21, 0xff, v18
	s_mov_b32 s2, 0
	s_mov_b32 s0, exec_lo
	s_delay_alu instid0(VALU_DEP_1)
	v_cmpx_eq_u16_e32 0, v21
	s_cbranch_execz .LBB2157_333
; %bb.328:
	v_mov_b64_e32 v[8:9], 0
.LBB2157_329:                           ; =>This Inner Loop Header: Depth=1
	s_wait_xcnt 0x0
	s_add_co_i32 s3, s2, 0x60
	s_add_co_i32 s2, s2, 8
	scratch_store_b64 off, v[8:9], s3
	s_cmp_lg_u32 s2, 32
	s_cbranch_scc1 .LBB2157_329
; %bb.330:
	s_mov_b32 s2, 0
.LBB2157_331:                           ; =>This Inner Loop Header: Depth=1
	s_wait_xcnt 0x1
	s_add_co_i32 s4, s2, 0xa8
	scratch_load_b64 v[8:9], off, s2
	scratch_load_b64 v[10:11], off, s4
	s_mov_b32 s3, s2
                                        ; kill: killed $sgpr3
	s_add_co_i32 s3, s2, 0x60
	s_wait_xcnt 0x1
	s_add_co_i32 s2, s2, 8
                                        ; kill: killed $sgpr4
	s_delay_alu instid0(SALU_CYCLE_1)
	s_cmp_lg_u32 s2, 32
	s_wait_loadcnt 0x0
	v_dual_add_nc_u32 v9, v11, v9 :: v_dual_add_nc_u32 v8, v10, v8
	scratch_store_b64 off, v[8:9], s3
	s_cbranch_scc1 .LBB2157_331
; %bb.332:
	s_clause 0x1
	scratch_load_b128 v[8:11], off, off offset:96
	scratch_load_b128 v[12:15], off, off offset:112
.LBB2157_333:
	s_wait_xcnt 0x0
	s_or_b32 exec_lo, exec_lo, s0
	v_and_b32_e32 v18, 1, v18
	v_and_b32_e32 v20, 1, v20
	s_delay_alu instid0(VALU_DEP_2) | instskip(NEXT) | instid1(VALU_DEP_2)
	v_cmp_eq_u32_e32 vcc_lo, 1, v18
	v_cmp_eq_u32_e64 s0, 1, v20
	s_or_b32 s0, vcc_lo, s0
	s_delay_alu instid0(SALU_CYCLE_1)
	v_cndmask_b32_e64 v18, 0, 1, s0
	s_clause 0x1
	scratch_store_b8 off, v18, off offset:200
	scratch_load_b32 v18, off, off offset:200
	s_wait_loadcnt 0x2
	scratch_store_b128 off, v[8:11], off offset:168
	s_wait_loadcnt 0x1
	scratch_store_b128 off, v[12:15], off offset:184
.LBB2157_334:
	s_wait_xcnt 0x0
	s_or_b32 exec_lo, exec_lo, s1
	v_mov_b32_dpp v22, v8 row_shr:8 row_mask:0xf bank_mask:0xf
	v_mov_b32_dpp v23, v9 row_shr:8 row_mask:0xf bank_mask:0xf
	;; [unrolled: 1-line block ×4, first 2 shown]
	s_wait_loadcnt 0x0
	v_mov_b32_dpp v20, v18 row_shr:8 row_mask:0xf bank_mask:0xf
	v_mov_b32_dpp v26, v12 row_shr:8 row_mask:0xf bank_mask:0xf
	;; [unrolled: 1-line block ×5, first 2 shown]
	s_mov_b32 s1, exec_lo
	s_clause 0x2
	scratch_store_b128 off, v[22:25], off
	scratch_store_b128 off, v[26:29], off offset:16
	scratch_store_b32 off, v20, off offset:32
	s_wait_xcnt 0x0
	v_cmpx_lt_u32_e32 7, v19
	s_cbranch_execz .LBB2157_342
; %bb.335:
	v_and_b32_e32 v19, 0xff, v18
	s_mov_b32 s2, 0
	s_mov_b32 s0, exec_lo
	s_delay_alu instid0(VALU_DEP_1)
	v_cmpx_eq_u16_e32 0, v19
	s_cbranch_execz .LBB2157_341
; %bb.336:
	v_mov_b64_e32 v[8:9], 0
.LBB2157_337:                           ; =>This Inner Loop Header: Depth=1
	s_wait_xcnt 0x0
	s_add_co_i32 s3, s2, 0x60
	s_add_co_i32 s2, s2, 8
	scratch_store_b64 off, v[8:9], s3
	s_cmp_lg_u32 s2, 32
	s_cbranch_scc1 .LBB2157_337
; %bb.338:
	s_mov_b32 s2, 0
.LBB2157_339:                           ; =>This Inner Loop Header: Depth=1
	s_wait_xcnt 0x1
	s_add_co_i32 s4, s2, 0xa8
	scratch_load_b64 v[8:9], off, s2
	scratch_load_b64 v[10:11], off, s4
	s_mov_b32 s3, s2
                                        ; kill: killed $sgpr3
	s_add_co_i32 s3, s2, 0x60
	s_wait_xcnt 0x1
	s_add_co_i32 s2, s2, 8
                                        ; kill: killed $sgpr4
	s_delay_alu instid0(SALU_CYCLE_1)
	s_cmp_lg_u32 s2, 32
	s_wait_loadcnt 0x0
	v_dual_add_nc_u32 v9, v11, v9 :: v_dual_add_nc_u32 v8, v10, v8
	scratch_store_b64 off, v[8:9], s3
	s_cbranch_scc1 .LBB2157_339
; %bb.340:
	s_clause 0x1
	scratch_load_b128 v[8:11], off, off offset:96
	scratch_load_b128 v[12:15], off, off offset:112
.LBB2157_341:
	s_wait_xcnt 0x0
	s_or_b32 exec_lo, exec_lo, s0
	v_and_b32_e32 v18, 1, v18
	v_and_b32_e32 v19, 1, v20
	s_delay_alu instid0(VALU_DEP_2) | instskip(NEXT) | instid1(VALU_DEP_2)
	v_cmp_eq_u32_e32 vcc_lo, 1, v18
	v_cmp_eq_u32_e64 s0, 1, v19
	s_or_b32 s0, vcc_lo, s0
	s_delay_alu instid0(SALU_CYCLE_1)
	v_cndmask_b32_e64 v18, 0, 1, s0
	s_clause 0x1
	scratch_store_b8 off, v18, off offset:200
	scratch_load_b32 v18, off, off offset:200
	s_wait_loadcnt 0x2
	scratch_store_b128 off, v[8:11], off offset:168
	s_wait_loadcnt 0x1
	scratch_store_b128 off, v[12:15], off offset:184
.LBB2157_342:
	s_wait_xcnt 0x0
	s_or_b32 exec_lo, exec_lo, s1
	ds_swizzle_b32 v20, v8 offset:swizzle(BROADCAST,32,15)
	ds_swizzle_b32 v21, v9 offset:swizzle(BROADCAST,32,15)
	;; [unrolled: 1-line block ×4, first 2 shown]
	s_wait_loadcnt 0x0
	ds_swizzle_b32 v19, v18 offset:swizzle(BROADCAST,32,15)
	ds_swizzle_b32 v24, v12 offset:swizzle(BROADCAST,32,15)
	;; [unrolled: 1-line block ×5, first 2 shown]
	v_and_b32_e32 v28, 16, v17
	s_mov_b32 s1, exec_lo
	s_wait_dscnt 0x5
	scratch_store_b128 off, v[20:23], off
	s_wait_dscnt 0x0
	s_clause 0x1
	scratch_store_b128 off, v[24:27], off offset:16
	scratch_store_b32 off, v19, off offset:32
	s_wait_xcnt 0x0
	v_cmpx_ne_u32_e32 0, v28
	s_cbranch_execz .LBB2157_350
; %bb.343:
	v_and_b32_e32 v20, 0xff, v18
	s_mov_b32 s2, 0
	s_mov_b32 s0, exec_lo
	s_delay_alu instid0(VALU_DEP_1)
	v_cmpx_eq_u16_e32 0, v20
	s_cbranch_execz .LBB2157_349
; %bb.344:
	v_mov_b64_e32 v[8:9], 0
.LBB2157_345:                           ; =>This Inner Loop Header: Depth=1
	s_wait_xcnt 0x0
	s_add_co_i32 s3, s2, 0x60
	s_add_co_i32 s2, s2, 8
	scratch_store_b64 off, v[8:9], s3
	s_cmp_lg_u32 s2, 32
	s_cbranch_scc1 .LBB2157_345
; %bb.346:
	s_mov_b32 s2, 0
.LBB2157_347:                           ; =>This Inner Loop Header: Depth=1
	s_wait_xcnt 0x1
	s_add_co_i32 s4, s2, 0xa8
	scratch_load_b64 v[8:9], off, s2
	scratch_load_b64 v[10:11], off, s4
	s_mov_b32 s3, s2
                                        ; kill: killed $sgpr3
	s_add_co_i32 s3, s2, 0x60
	s_wait_xcnt 0x1
	s_add_co_i32 s2, s2, 8
                                        ; kill: killed $sgpr4
	s_delay_alu instid0(SALU_CYCLE_1)
	s_cmp_lg_u32 s2, 32
	s_wait_loadcnt 0x0
	v_dual_add_nc_u32 v9, v11, v9 :: v_dual_add_nc_u32 v8, v10, v8
	scratch_store_b64 off, v[8:9], s3
	s_cbranch_scc1 .LBB2157_347
; %bb.348:
	s_clause 0x1
	scratch_load_b128 v[8:11], off, off offset:96
	scratch_load_b128 v[12:15], off, off offset:112
.LBB2157_349:
	s_wait_xcnt 0x0
	s_or_b32 exec_lo, exec_lo, s0
	v_and_b32_e32 v18, 1, v18
	v_and_b32_e32 v19, 1, v19
	s_delay_alu instid0(VALU_DEP_2) | instskip(NEXT) | instid1(VALU_DEP_2)
	v_cmp_eq_u32_e32 vcc_lo, 1, v18
	v_cmp_eq_u32_e64 s0, 1, v19
	s_or_b32 s0, vcc_lo, s0
	s_delay_alu instid0(SALU_CYCLE_1)
	v_cndmask_b32_e64 v18, 0, 1, s0
	s_wait_loadcnt 0x1
	scratch_store_b128 off, v[8:11], off offset:168
	s_wait_loadcnt 0x0
	s_clause 0x1
	scratch_store_b128 off, v[12:15], off offset:184
	scratch_store_b8 off, v18, off offset:200
.LBB2157_350:
	s_wait_xcnt 0x0
	s_or_b32 exec_lo, exec_lo, s1
	v_and_b32_e32 v19, 0x3e0, v16
	s_mov_b32 s0, exec_lo
	s_delay_alu instid0(VALU_DEP_1) | instskip(NEXT) | instid1(VALU_DEP_1)
	v_min_u32_e32 v19, 0xe0, v19
	v_dual_lshrrev_b32 v19, 5, v16 :: v_dual_bitop2_b32 v20, 31, v19 bitop3:0x54
	s_delay_alu instid0(VALU_DEP_1)
	v_cmpx_eq_u32_e64 v16, v20
	s_cbranch_execz .LBB2157_352
; %bb.351:
	s_delay_alu instid0(VALU_DEP_2)
	v_mul_u32_u24_e32 v20, 36, v19
	ds_store_2addr_b32 v20, v8, v9 offset1:1
	ds_store_2addr_b32 v20, v10, v11 offset0:2 offset1:3
	ds_store_2addr_b32 v20, v12, v13 offset0:4 offset1:5
	;; [unrolled: 1-line block ×3, first 2 shown]
	ds_store_b8 v20, v18 offset:32
.LBB2157_352:
	s_or_b32 exec_lo, exec_lo, s0
	s_delay_alu instid0(SALU_CYCLE_1)
	s_mov_b32 s1, exec_lo
	s_wait_storecnt_dscnt 0x0
	s_barrier_signal -1
	s_barrier_wait -1
	v_cmpx_gt_u32_e32 8, v16
	s_cbranch_execz .LBB2157_378
; %bb.353:
	v_mul_u32_u24_e32 v18, 36, v16
	v_and_b32_e32 v21, 7, v17
	s_mov_b32 s0, exec_lo
	ds_load_b32 v20, v18 offset:32
	ds_load_2addr_b32 v[12:13], v18 offset0:4 offset1:5
	ds_load_2addr_b32 v[8:9], v18 offset1:1
	ds_load_2addr_b32 v[10:11], v18 offset0:2 offset1:3
	ds_load_2addr_b32 v[14:15], v18 offset0:6 offset1:7
	s_wait_dscnt 0x4
	v_mov_b32_dpp v22, v20 row_shr:1 row_mask:0xf bank_mask:0xf
	s_wait_dscnt 0x3
	v_mov_b32_dpp v28, v12 row_shr:1 row_mask:0xf bank_mask:0xf
	s_wait_dscnt 0x2
	v_mov_b32_dpp v24, v8 row_shr:1 row_mask:0xf bank_mask:0xf
	v_mov_b32_dpp v25, v9 row_shr:1 row_mask:0xf bank_mask:0xf
	s_wait_dscnt 0x1
	v_mov_b32_dpp v26, v10 row_shr:1 row_mask:0xf bank_mask:0xf
	v_mov_b32_dpp v27, v11 row_shr:1 row_mask:0xf bank_mask:0xf
	;; [unrolled: 1-line block ×3, first 2 shown]
	s_wait_dscnt 0x0
	v_mov_b32_dpp v30, v14 row_shr:1 row_mask:0xf bank_mask:0xf
	v_mov_b32_dpp v31, v15 row_shr:1 row_mask:0xf bank_mask:0xf
	s_clause 0x5
	scratch_store_b32 off, v20, off offset:128
	scratch_store_b128 off, v[8:11], off offset:96
	scratch_store_b128 off, v[12:15], off offset:112
	scratch_store_b128 off, v[24:27], off
	scratch_store_b128 off, v[28:31], off offset:16
	scratch_store_b32 off, v22, off offset:32
	s_wait_xcnt 0x0
	v_cmpx_ne_u32_e32 0, v21
	s_cbranch_execz .LBB2157_361
; %bb.354:
	v_and_b32_e32 v23, 0xff, v20
	s_mov_b32 s2, exec_lo
	s_delay_alu instid0(VALU_DEP_1)
	v_cmpx_eq_u16_e32 0, v23
	s_cbranch_execz .LBB2157_360
; %bb.355:
	v_mov_b64_e32 v[8:9], 0
	s_mov_b32 s3, 0
.LBB2157_356:                           ; =>This Inner Loop Header: Depth=1
	s_wait_xcnt 0x0
	s_add_co_i32 s4, s3, 0xf0
	s_add_co_i32 s3, s3, 8
	scratch_store_b64 off, v[8:9], s4
	s_cmp_lg_u32 s3, 32
	s_cbranch_scc1 .LBB2157_356
; %bb.357:
	s_mov_b32 s3, 0
.LBB2157_358:                           ; =>This Inner Loop Header: Depth=1
	s_wait_xcnt 0x1
	s_add_co_i32 s5, s3, 0x60
	scratch_load_b64 v[8:9], off, s3
	scratch_load_b64 v[10:11], off, s5
	s_mov_b32 s4, s3
                                        ; kill: killed $sgpr4
	s_add_co_i32 s4, s3, 0xf0
	s_wait_xcnt 0x1
	s_add_co_i32 s3, s3, 8
                                        ; kill: killed $sgpr5
	s_delay_alu instid0(SALU_CYCLE_1)
	s_cmp_lg_u32 s3, 32
	s_wait_loadcnt 0x0
	v_dual_add_nc_u32 v9, v11, v9 :: v_dual_add_nc_u32 v8, v10, v8
	scratch_store_b64 off, v[8:9], s4
	s_cbranch_scc1 .LBB2157_358
; %bb.359:
	s_clause 0x1
	scratch_load_b128 v[8:11], off, off offset:240
	scratch_load_b128 v[12:15], off, off offset:256
.LBB2157_360:
	s_wait_xcnt 0x0
	s_or_b32 exec_lo, exec_lo, s2
	v_or_b32_e32 v20, v22, v20
	s_delay_alu instid0(VALU_DEP_1)
	v_and_b32_e32 v20, 1, v20
	s_clause 0x1
	scratch_store_b8 off, v20, off offset:128
	scratch_load_b32 v20, off, off offset:128
	s_wait_loadcnt 0x2
	scratch_store_b128 off, v[8:11], off offset:96
	s_wait_loadcnt 0x1
	scratch_store_b128 off, v[12:15], off offset:112
.LBB2157_361:
	s_wait_xcnt 0x0
	s_or_b32 exec_lo, exec_lo, s0
	v_mov_b32_dpp v24, v8 row_shr:2 row_mask:0xf bank_mask:0xf
	v_mov_b32_dpp v25, v9 row_shr:2 row_mask:0xf bank_mask:0xf
	;; [unrolled: 1-line block ×4, first 2 shown]
	s_wait_loadcnt 0x0
	v_mov_b32_dpp v22, v20 row_shr:2 row_mask:0xf bank_mask:0xf
	v_mov_b32_dpp v28, v12 row_shr:2 row_mask:0xf bank_mask:0xf
	v_mov_b32_dpp v29, v13 row_shr:2 row_mask:0xf bank_mask:0xf
	v_mov_b32_dpp v30, v14 row_shr:2 row_mask:0xf bank_mask:0xf
	v_mov_b32_dpp v31, v15 row_shr:2 row_mask:0xf bank_mask:0xf
	s_mov_b32 s2, exec_lo
	s_clause 0x2
	scratch_store_b128 off, v[24:27], off
	scratch_store_b128 off, v[28:31], off offset:16
	scratch_store_b32 off, v22, off offset:32
	s_wait_xcnt 0x0
	v_cmpx_lt_u32_e32 1, v21
	s_cbranch_execz .LBB2157_369
; %bb.362:
	v_and_b32_e32 v23, 0xff, v20
	s_mov_b32 s3, 0
	s_mov_b32 s0, exec_lo
	s_delay_alu instid0(VALU_DEP_1)
	v_cmpx_eq_u16_e32 0, v23
	s_cbranch_execz .LBB2157_368
; %bb.363:
	v_mov_b64_e32 v[8:9], 0
.LBB2157_364:                           ; =>This Inner Loop Header: Depth=1
	s_wait_xcnt 0x0
	s_add_co_i32 s4, s3, 0xf0
	s_add_co_i32 s3, s3, 8
	scratch_store_b64 off, v[8:9], s4
	s_cmp_lg_u32 s3, 32
	s_cbranch_scc1 .LBB2157_364
; %bb.365:
	s_mov_b32 s3, 0
.LBB2157_366:                           ; =>This Inner Loop Header: Depth=1
	s_wait_xcnt 0x1
	s_add_co_i32 s5, s3, 0x60
	scratch_load_b64 v[8:9], off, s3
	scratch_load_b64 v[10:11], off, s5
	s_mov_b32 s4, s3
                                        ; kill: killed $sgpr4
	s_add_co_i32 s4, s3, 0xf0
	s_wait_xcnt 0x1
	s_add_co_i32 s3, s3, 8
                                        ; kill: killed $sgpr5
	s_delay_alu instid0(SALU_CYCLE_1)
	s_cmp_lg_u32 s3, 32
	s_wait_loadcnt 0x0
	v_dual_add_nc_u32 v9, v11, v9 :: v_dual_add_nc_u32 v8, v10, v8
	scratch_store_b64 off, v[8:9], s4
	s_cbranch_scc1 .LBB2157_366
; %bb.367:
	s_clause 0x1
	scratch_load_b128 v[8:11], off, off offset:240
	scratch_load_b128 v[12:15], off, off offset:256
.LBB2157_368:
	s_wait_xcnt 0x0
	s_or_b32 exec_lo, exec_lo, s0
	v_and_b32_e32 v20, 1, v20
	v_and_b32_e32 v22, 1, v22
	s_delay_alu instid0(VALU_DEP_2) | instskip(NEXT) | instid1(VALU_DEP_2)
	v_cmp_eq_u32_e32 vcc_lo, 1, v20
	v_cmp_eq_u32_e64 s0, 1, v22
	s_or_b32 s0, vcc_lo, s0
	s_delay_alu instid0(SALU_CYCLE_1)
	v_cndmask_b32_e64 v20, 0, 1, s0
	s_clause 0x1
	scratch_store_b8 off, v20, off offset:128
	scratch_load_b32 v20, off, off offset:128
	s_wait_loadcnt 0x2
	scratch_store_b128 off, v[8:11], off offset:96
	s_wait_loadcnt 0x1
	scratch_store_b128 off, v[12:15], off offset:112
.LBB2157_369:
	s_wait_xcnt 0x0
	s_or_b32 exec_lo, exec_lo, s2
	v_mov_b32_dpp v24, v8 row_shr:4 row_mask:0xf bank_mask:0xf
	v_mov_b32_dpp v25, v9 row_shr:4 row_mask:0xf bank_mask:0xf
	;; [unrolled: 1-line block ×4, first 2 shown]
	s_wait_loadcnt 0x0
	v_mov_b32_dpp v22, v20 row_shr:4 row_mask:0xf bank_mask:0xf
	v_mov_b32_dpp v28, v12 row_shr:4 row_mask:0xf bank_mask:0xf
	;; [unrolled: 1-line block ×5, first 2 shown]
	s_mov_b32 s2, exec_lo
	s_clause 0x2
	scratch_store_b128 off, v[24:27], off
	scratch_store_b128 off, v[28:31], off offset:16
	scratch_store_b32 off, v22, off offset:32
	s_wait_xcnt 0x0
	v_cmpx_lt_u32_e32 3, v21
	s_cbranch_execz .LBB2157_377
; %bb.370:
	v_and_b32_e32 v21, 0xff, v20
	s_mov_b32 s3, 0
	s_mov_b32 s0, exec_lo
	s_delay_alu instid0(VALU_DEP_1)
	v_cmpx_eq_u16_e32 0, v21
	s_cbranch_execz .LBB2157_376
; %bb.371:
	v_mov_b64_e32 v[8:9], 0
.LBB2157_372:                           ; =>This Inner Loop Header: Depth=1
	s_wait_xcnt 0x0
	s_add_co_i32 s4, s3, 0xf0
	s_add_co_i32 s3, s3, 8
	scratch_store_b64 off, v[8:9], s4
	s_cmp_lg_u32 s3, 32
	s_cbranch_scc1 .LBB2157_372
; %bb.373:
	s_mov_b32 s3, 0
.LBB2157_374:                           ; =>This Inner Loop Header: Depth=1
	s_wait_xcnt 0x1
	s_add_co_i32 s5, s3, 0x60
	scratch_load_b64 v[8:9], off, s3
	scratch_load_b64 v[10:11], off, s5
	s_mov_b32 s4, s3
                                        ; kill: killed $sgpr4
	s_add_co_i32 s4, s3, 0xf0
	s_wait_xcnt 0x1
	s_add_co_i32 s3, s3, 8
                                        ; kill: killed $sgpr5
	s_delay_alu instid0(SALU_CYCLE_1)
	s_cmp_lg_u32 s3, 32
	s_wait_loadcnt 0x0
	v_dual_add_nc_u32 v9, v11, v9 :: v_dual_add_nc_u32 v8, v10, v8
	scratch_store_b64 off, v[8:9], s4
	s_cbranch_scc1 .LBB2157_374
; %bb.375:
	s_clause 0x1
	scratch_load_b128 v[8:11], off, off offset:240
	scratch_load_b128 v[12:15], off, off offset:256
.LBB2157_376:
	s_wait_xcnt 0x0
	s_or_b32 exec_lo, exec_lo, s0
	v_and_b32_e32 v20, 1, v20
	v_and_b32_e32 v21, 1, v22
	s_wait_loadcnt 0x1
	scratch_store_b128 off, v[8:11], off offset:96
	s_wait_loadcnt 0x0
	scratch_store_b128 off, v[12:15], off offset:112
	v_cmp_eq_u32_e32 vcc_lo, 1, v20
	v_cmp_eq_u32_e64 s0, 1, v21
	s_or_b32 s0, vcc_lo, s0
	s_delay_alu instid0(SALU_CYCLE_1)
	v_cndmask_b32_e64 v20, 0, 1, s0
.LBB2157_377:
	s_wait_xcnt 0x0
	s_or_b32 exec_lo, exec_lo, s2
	s_clause 0x1
	scratch_load_b128 v[8:11], off, off offset:96
	scratch_load_b128 v[12:15], off, off offset:112
	s_wait_loadcnt 0x1
	ds_store_2addr_b32 v18, v10, v11 offset0:2 offset1:3
	ds_store_2addr_b32 v18, v8, v9 offset1:1
	s_wait_loadcnt 0x0
	ds_store_2addr_b32 v18, v14, v15 offset0:6 offset1:7
	ds_store_2addr_b32 v18, v12, v13 offset0:4 offset1:5
	ds_store_b8 v18, v20 offset:32
.LBB2157_378:
	s_wait_xcnt 0x0
	s_or_b32 exec_lo, exec_lo, s1
	s_wait_storecnt_dscnt 0x0
	s_barrier_signal -1
	s_barrier_wait -1
	s_clause 0x2
	scratch_load_b128 v[8:11], off, off offset:132
	scratch_load_b128 v[12:15], off, off offset:148
	scratch_load_b32 v18, off, off offset:164
	s_mov_b32 s0, exec_lo
	s_wait_loadcnt 0x2
	scratch_store_b128 off, v[8:11], off
	s_wait_loadcnt 0x1
	scratch_store_b128 off, v[12:15], off offset:16
	s_wait_loadcnt 0x0
	scratch_store_b32 off, v18, off offset:32
	s_wait_xcnt 0x0
	v_cmpx_lt_u32_e32 31, v16
	s_cbranch_execz .LBB2157_388
; %bb.379:
	v_mad_u32_u24 v8, v19, 36, -4
	v_mad_u32_u24 v20, v19, 36, 0xffffffdc
	s_mov_b32 s1, exec_lo
                                        ; implicit-def: $vgpr14_vgpr15
	ds_load_u8 v18, v8
                                        ; implicit-def: $vgpr10_vgpr11
	s_wait_dscnt 0x0
	v_cmpx_ne_u16_e32 0, v18
	s_xor_b32 s1, exec_lo, s1
	s_cbranch_execz .LBB2157_381
; %bb.380:
	v_mul_u32_u24_e32 v8, 36, v19
	s_delay_alu instid0(VALU_DEP_1)
	v_subrev_nc_u32_e32 v10, 28, v8
	v_subrev_nc_u32_e32 v12, 20, v8
	v_add_nc_u32_e32 v14, -12, v8
	ds_load_2addr_b32 v[8:9], v20 offset1:1
	ds_load_2addr_b32 v[10:11], v10 offset1:1
	;; [unrolled: 1-line block ×4, first 2 shown]
                                        ; implicit-def: $vgpr20
.LBB2157_381:
	s_and_not1_saveexec_b32 s1, s1
	s_cbranch_execz .LBB2157_387
; %bb.382:
	s_wait_dscnt 0x3
	v_mov_b64_e32 v[8:9], 0
	s_mov_b32 s2, 0
.LBB2157_383:                           ; =>This Inner Loop Header: Depth=1
	s_wait_xcnt 0x0
	s_add_co_i32 s3, s2, 0x60
	s_add_co_i32 s2, s2, 8
	scratch_store_b64 off, v[8:9], s3
	s_cmp_lg_u32 s2, 32
	s_cbranch_scc1 .LBB2157_383
; %bb.384:
	s_mov_b32 s2, 0
.LBB2157_385:                           ; =>This Inner Loop Header: Depth=1
	s_wait_xcnt 0x0
	s_add_co_i32 s3, s2, 0x84
	scratch_load_b64 v[8:9], off, s3
	s_wait_dscnt 0x2
	v_add_nc_u32_e32 v10, s2, v20
	s_wait_xcnt 0x0
	s_add_co_i32 s3, s2, 0x60
	s_add_co_i32 s2, s2, 8
	s_delay_alu instid0(SALU_CYCLE_1)
	s_cmp_lg_u32 s2, 32
	ds_load_2addr_b32 v[10:11], v10 offset1:1
	s_wait_loadcnt_dscnt 0x0
	v_dual_add_nc_u32 v9, v11, v9 :: v_dual_add_nc_u32 v8, v10, v8
	scratch_store_b64 off, v[8:9], s3
	s_cbranch_scc1 .LBB2157_385
; %bb.386:
	s_clause 0x1
	scratch_load_b128 v[8:11], off, off offset:96
	scratch_load_b128 v[12:15], off, off offset:112
.LBB2157_387:
	s_wait_xcnt 0x0
	s_or_b32 exec_lo, exec_lo, s1
	scratch_load_u8 v19, off, off offset:164
	s_wait_loadcnt 0x0
	v_bitop3_b16 v18, v18, 1, v19 bitop3:0xc8
	s_wait_dscnt 0x2
	scratch_store_b128 off, v[8:11], off
	s_wait_dscnt 0x0
	s_clause 0x1
	scratch_store_b128 off, v[12:15], off offset:16
	scratch_store_b8 off, v18, off offset:32
.LBB2157_388:
	s_wait_xcnt 0x0
	s_or_b32 exec_lo, exec_lo, s0
	scratch_load_u8 v15, off, off offset:200
	s_mov_b32 s0, exec_lo
                                        ; implicit-def: $vgpr18_vgpr19
                                        ; implicit-def: $vgpr8_vgpr9
                                        ; implicit-def: $vgpr20
                                        ; implicit-def: $vgpr12
	s_wait_loadcnt 0x0
	v_cmpx_ne_u16_e32 0, v15
	s_xor_b32 s0, exec_lo, s0
	s_cbranch_execz .LBB2157_390
; %bb.389:
	s_clause 0x2
	scratch_load_b96 v[12:14], off, off offset:168
	scratch_load_b128 v[8:11], off, off offset:180
	scratch_load_b32 v20, off, off offset:196
	s_wait_loadcnt 0x2
	v_dual_mov_b32 v18, v13 :: v_dual_mov_b32 v19, v14
.LBB2157_390:
	s_wait_xcnt 0x0
	s_and_not1_saveexec_b32 s0, s0
	s_cbranch_execz .LBB2157_396
; %bb.391:
	s_wait_loadcnt 0x1
	v_mov_b64_e32 v[8:9], 0
	s_mov_b32 s1, 0
.LBB2157_392:                           ; =>This Inner Loop Header: Depth=1
	s_wait_xcnt 0x0
	s_add_co_i32 s2, s1, 0x60
	s_add_co_i32 s1, s1, 8
	scratch_store_b64 off, v[8:9], s2
	s_cmp_lg_u32 s1, 32
	s_cbranch_scc1 .LBB2157_392
; %bb.393:
	s_mov_b32 s1, 0
.LBB2157_394:                           ; =>This Inner Loop Header: Depth=1
	s_wait_xcnt 0x1
	s_add_co_i32 s3, s1, 0xa8
	scratch_load_b64 v[8:9], off, s1
	scratch_load_b64 v[10:11], off, s3
	s_mov_b32 s2, s1
                                        ; kill: killed $sgpr2
	s_add_co_i32 s2, s1, 0x60
	s_wait_xcnt 0x1
	s_add_co_i32 s1, s1, 8
                                        ; kill: killed $sgpr3
	s_delay_alu instid0(SALU_CYCLE_1)
	s_cmp_lg_u32 s1, 32
	s_wait_loadcnt 0x0
	v_dual_add_nc_u32 v9, v11, v9 :: v_dual_add_nc_u32 v8, v10, v8
	scratch_store_b64 off, v[8:9], s2
	s_cbranch_scc1 .LBB2157_394
; %bb.395:
	s_clause 0x2
	scratch_load_b96 v[12:14], off, off offset:96
	scratch_load_b128 v[8:11], off, off offset:108
	scratch_load_b32 v20, off, off offset:124
	s_wait_loadcnt 0x2
	v_dual_mov_b32 v18, v13 :: v_dual_mov_b32 v19, v14
.LBB2157_396:
	s_wait_xcnt 0x0
	s_or_b32 exec_lo, exec_lo, s0
	scratch_load_u8 v13, off, off offset:32
	s_wait_loadcnt 0x0
	v_bitop3_b16 v14, v15, 1, v13 bitop3:0xc8
	v_sub_co_u32 v15, s1, v17, 1
	s_clause 0x1
	scratch_store_b8 off, v14, off offset:200
	scratch_load_b32 v14, off, off offset:200
	v_cmp_gt_i32_e32 vcc_lo, 0, v15
	v_cndmask_b32_e32 v15, v15, v17, vcc_lo
	s_delay_alu instid0(VALU_DEP_1)
	v_lshlrev_b32_e32 v15, 2, v15
	ds_bpermute_b32 v22, v15, v12
	ds_bpermute_b32 v23, v15, v18
	;; [unrolled: 1-line block ×8, first 2 shown]
	s_wait_dscnt 0x4
	scratch_store_b128 off, v[22:25], off offset:168
	s_wait_dscnt 0x0
	scratch_store_b128 off, v[26:29], off offset:184
	s_wait_loadcnt 0x0
	ds_bpermute_b32 v9, v15, v14
	s_wait_xcnt 0x0
	s_and_saveexec_b32 s0, s1
	s_cbranch_execz .LBB2157_398
; %bb.397:
	s_clause 0x1
	scratch_load_b128 v[18:21], off, off
	scratch_load_b128 v[22:25], off, off offset:16
	s_wait_dscnt 0x0
	v_mov_b32_e32 v9, v13
	s_wait_loadcnt 0x1
	scratch_store_b128 off, v[18:21], off offset:168
	s_wait_loadcnt 0x0
	scratch_store_b128 off, v[22:25], off offset:184
.LBB2157_398:
	s_wait_xcnt 0x0
	s_or_b32 exec_lo, exec_lo, s0
	s_clause 0x2
	scratch_load_b128 v[10:13], off, off offset:272
	scratch_load_b128 v[18:21], off, off offset:288
	scratch_load_b32 v14, off, off offset:304
	v_mov_b32_e32 v8, 0
	v_cmp_eq_u32_e64 s0, 0, v16
	s_mov_b32 s1, exec_lo
	s_clause 0x1
	scratch_store_b128 off, v[4:7], off offset:96
	scratch_store_b128 off, v[0:3], off offset:112
	s_wait_loadcnt 0x2
	scratch_store_b128 off, v[10:13], off
	s_wait_loadcnt 0x1
	scratch_store_b128 off, v[18:21], off offset:16
	s_wait_loadcnt 0x0
	s_clause 0x1
	scratch_store_b32 off, v14, off offset:32
	scratch_store_b8 off, v8, off offset:128
	s_wait_xcnt 0x0
	v_cmpx_ne_u32_e32 0, v16
	s_cbranch_execz .LBB2157_400
; %bb.399:
	s_clause 0x1
	scratch_load_b128 v[0:3], off, off offset:168
	scratch_load_b128 v[4:7], off, off offset:184
	s_wait_dscnt 0x0
	v_mov_b32_e32 v8, v9
	s_wait_loadcnt 0x1
	scratch_store_b128 off, v[0:3], off offset:96
	s_wait_loadcnt 0x0
	scratch_store_b128 off, v[4:7], off offset:112
.LBB2157_400:
	s_wait_xcnt 0x0
	s_or_b32 exec_lo, exec_lo, s1
	s_clause 0x2
	scratch_load_u8 v10, off, off offset:32
	scratch_load_b128 v[0:3], off, off offset:96
	scratch_load_b128 v[4:7], off, off offset:112
	s_mov_b32 s1, exec_lo
	s_wait_loadcnt 0x1
	scratch_store_b128 off, v[0:3], off offset:272
	s_wait_loadcnt 0x0
	s_clause 0x1
	scratch_store_b128 off, v[4:7], off offset:288
	scratch_store_b8 off, v8, off offset:304
                                        ; implicit-def: $vgpr6_vgpr7
                                        ; implicit-def: $vgpr2_vgpr3
	s_wait_xcnt 0x0
	v_cmpx_ne_u16_e32 0, v10
	s_xor_b32 s1, exec_lo, s1
	s_cbranch_execz .LBB2157_402
; %bb.401:
	s_clause 0x1
	scratch_load_b128 v[0:3], off, off
	scratch_load_b128 v[4:7], off, off offset:16
.LBB2157_402:
	s_wait_xcnt 0x0
	s_and_not1_saveexec_b32 s1, s1
	s_cbranch_execz .LBB2157_408
; %bb.403:
	s_wait_loadcnt 0x1
	v_mov_b64_e32 v[0:1], 0
	s_mov_b32 s2, 0
.LBB2157_404:                           ; =>This Inner Loop Header: Depth=1
	s_wait_xcnt 0x0
	s_add_co_i32 s3, s2, 0x84
	s_add_co_i32 s2, s2, 8
	scratch_store_b64 off, v[0:1], s3
	s_cmp_lg_u32 s2, 32
	s_cbranch_scc1 .LBB2157_404
; %bb.405:
	s_mov_b32 s2, 0
.LBB2157_406:                           ; =>This Inner Loop Header: Depth=1
	s_wait_xcnt 0x0
	s_add_co_i32 s3, s2, 0x60
	s_mov_b32 s4, s2
	scratch_load_b64 v[0:1], off, s3
	scratch_load_b64 v[2:3], off, s2
                                        ; kill: killed $sgpr3
	s_wait_xcnt 0x1
	s_add_co_i32 s3, s2, 0x84
	s_wait_xcnt 0x0
	s_add_co_i32 s2, s2, 8
                                        ; kill: killed $sgpr4
	s_delay_alu instid0(SALU_CYCLE_1)
	s_cmp_lg_u32 s2, 32
	s_wait_loadcnt 0x0
	v_dual_add_nc_u32 v1, v3, v1 :: v_dual_add_nc_u32 v0, v2, v0
	scratch_store_b64 off, v[0:1], s3
	s_cbranch_scc1 .LBB2157_406
; %bb.407:
	s_clause 0x1
	scratch_load_b128 v[0:3], off, off offset:132
	scratch_load_b128 v[4:7], off, off offset:148
.LBB2157_408:
	s_wait_xcnt 0x0
	s_or_b32 exec_lo, exec_lo, s1
	s_wait_dscnt 0x0
	scratch_load_u8 v9, off, off offset:340
	s_clause 0x1
	scratch_load_b128 v[12:15], off, s11
	scratch_load_b128 v[18:21], off, s11 offset:16
	v_or_b32_e32 v11, v10, v8
	v_bitop3_b16 v8, v10, 1, v8 bitop3:0xc8
	s_wait_loadcnt 0x4
	scratch_store_b128 off, v[0:3], off offset:96
	s_wait_loadcnt 0x3
	scratch_store_b128 off, v[4:7], off offset:112
	s_wait_loadcnt 0x1
	scratch_store_b128 off, v[12:15], off
	s_wait_loadcnt 0x0
	scratch_store_b128 off, v[18:21], off offset:16
	s_clause 0x1
	scratch_store_b128 off, v[0:3], s11
	scratch_store_b128 off, v[4:7], s11 offset:16
	scratch_store_b8 off, v8, off offset:340
	v_and_b32_e32 v11, 1, v11
	v_cmp_ne_u16_e64 s1, 0, v9
                                        ; implicit-def: $vgpr6_vgpr7
                                        ; implicit-def: $vgpr2_vgpr3
	s_delay_alu instid0(VALU_DEP_2) | instskip(SKIP_2) | instid1(SALU_CYCLE_1)
	v_cmp_eq_u32_e32 vcc_lo, 1, v11
	s_wait_xcnt 0x0
	s_and_saveexec_b32 s2, s1
	s_xor_b32 s1, exec_lo, s2
	s_cbranch_execz .LBB2157_410
; %bb.409:
	s_clause 0x1
	scratch_load_b128 v[0:3], off, off
	scratch_load_b128 v[4:7], off, off offset:16
.LBB2157_410:
	s_wait_xcnt 0x0
	s_and_not1_saveexec_b32 s1, s1
	s_cbranch_execz .LBB2157_416
; %bb.411:
	s_wait_loadcnt 0x1
	v_mov_b64_e32 v[0:1], 0
	s_mov_b32 s2, 0
.LBB2157_412:                           ; =>This Inner Loop Header: Depth=1
	s_wait_xcnt 0x0
	s_add_co_i32 s3, s2, 0x84
	s_add_co_i32 s2, s2, 8
	scratch_store_b64 off, v[0:1], s3
	s_cmp_lg_u32 s2, 32
	s_cbranch_scc1 .LBB2157_412
; %bb.413:
	s_mov_b32 s2, 0
.LBB2157_414:                           ; =>This Inner Loop Header: Depth=1
	s_wait_xcnt 0x0
	s_add_co_i32 s3, s2, 0x60
	s_mov_b32 s4, s2
	scratch_load_b64 v[0:1], off, s3
	scratch_load_b64 v[2:3], off, s2
                                        ; kill: killed $sgpr3
	s_wait_xcnt 0x1
	s_add_co_i32 s3, s2, 0x84
	s_wait_xcnt 0x0
	s_add_co_i32 s2, s2, 8
                                        ; kill: killed $sgpr4
	s_delay_alu instid0(SALU_CYCLE_1)
	s_cmp_lg_u32 s2, 32
	s_wait_loadcnt 0x0
	v_dual_add_nc_u32 v1, v3, v1 :: v_dual_add_nc_u32 v0, v2, v0
	scratch_store_b64 off, v[0:1], s3
	s_cbranch_scc1 .LBB2157_414
; %bb.415:
	s_clause 0x1
	scratch_load_b128 v[0:3], off, off offset:132
	scratch_load_b128 v[4:7], off, off offset:148
.LBB2157_416:
	s_wait_xcnt 0x0
	s_or_b32 exec_lo, exec_lo, s1
	v_dual_mov_b32 v10, 0 :: v_dual_bitop2_b32 v9, 1, v9 bitop3:0x40
	ds_load_u8 v8, v10 offset:284
	ds_load_2addr_b32 v[12:13], v10 offset0:65 offset1:66
	ds_load_2addr_b32 v[20:21], v10 offset0:69 offset1:70
	;; [unrolled: 1-line block ×4, first 2 shown]
	v_cmp_eq_u32_e64 s1, 1, v9
	s_or_b32 s1, s1, vcc_lo
	s_delay_alu instid0(SALU_CYCLE_1)
	v_cndmask_b32_e64 v14, 0, 1, s1
	s_mov_b32 s1, 0
	s_wait_loadcnt 0x1
	scratch_store_b128 off, v[0:3], s33
	s_wait_loadcnt 0x0
	scratch_store_b128 off, v[4:7], s33 offset:16
	scratch_store_b8 off, v14, off offset:376
	s_wait_dscnt 0x0
	s_clause 0x1
	scratch_store_b128 off, v[10:13], off offset:380
	scratch_store_b128 off, v[18:21], off offset:396
	v_and_b32_e32 v9, 0xffff, v8
	s_delay_alu instid0(VALU_DEP_1)
	v_cmp_ne_u32_e32 vcc_lo, 0, v9
	s_cbranch_vccz .LBB2157_420
; %bb.417:
	s_clause 0x1
	scratch_load_b128 v[0:3], off, off offset:380
	scratch_load_b128 v[4:7], off, off offset:396
	s_and_not1_b32 vcc_lo, exec_lo, s1
	s_cbranch_vccz .LBB2157_421
	s_branch .LBB2157_426
.LBB2157_418:
	v_lshlrev_b32_e32 v4, 5, v16
	s_clause 0x1
	flat_load_b128 v[10:13], v4, s[12:13]
	flat_load_b128 v[18:21], v4, s[12:13] offset:16
	s_wait_loadcnt_dscnt 0x101
	scratch_store_b128 off, v[10:13], off
	s_wait_loadcnt_dscnt 0x0
	scratch_store_b128 off, v[18:21], off offset:16
	s_wait_xcnt 0x0
	s_or_b32 exec_lo, exec_lo, s2
	s_and_saveexec_b32 s2, s1
	s_cbranch_execz .LBB2157_23
.LBB2157_419:
	v_lshlrev_b32_e32 v4, 5, v16
	s_clause 0x1
	flat_load_b128 v[10:13], v4, s[12:13] offset:8192
	flat_load_b128 v[18:21], v4, s[12:13] offset:8208
	s_wait_loadcnt_dscnt 0x101
	scratch_store_b128 off, v[10:13], off offset:32
	s_wait_loadcnt_dscnt 0x0
	scratch_store_b128 off, v[18:21], off offset:48
	s_wait_xcnt 0x0
	s_or_b32 exec_lo, exec_lo, s2
	v_mul_u32_u24_e32 v4, 3, v16
	s_and_saveexec_b32 s1, s0
	s_cbranch_execnz .LBB2157_24
	s_branch .LBB2157_25
.LBB2157_420:
                                        ; implicit-def: $vgpr6_vgpr7
                                        ; implicit-def: $vgpr2_vgpr3
.LBB2157_421:
	s_wait_loadcnt 0x1
	s_wait_xcnt 0x4
	v_mov_b64_e32 v[0:1], 0
	s_mov_b32 s1, 0
.LBB2157_422:                           ; =>This Inner Loop Header: Depth=1
	s_wait_xcnt 0x0
	s_mov_b32 s2, s1
	s_add_co_i32 s1, s1, 8
	scratch_store_b64 off, v[0:1], s2
	s_cmp_lg_u32 s1, 32
	s_cbranch_scc1 .LBB2157_422
; %bb.423:
	s_mov_b32 s1, 0
.LBB2157_424:                           ; =>This Inner Loop Header: Depth=1
	s_wait_xcnt 0x0
	s_add_co_i32 s2, s1, 0xcc
	s_add_co_i32 s3, s1, 0x17c
	scratch_load_b64 v[0:1], off, s2
	scratch_load_b64 v[2:3], off, s3
                                        ; kill: killed $sgpr2
	s_wait_xcnt 0x1
	s_mov_b32 s2, s1
	s_add_co_i32 s1, s1, 8
                                        ; kill: killed $sgpr3
	s_delay_alu instid0(SALU_CYCLE_1)
	s_cmp_lg_u32 s1, 32
	s_wait_loadcnt 0x0
	v_dual_add_nc_u32 v1, v3, v1 :: v_dual_add_nc_u32 v0, v2, v0
	scratch_store_b64 off, v[0:1], s2
	s_cbranch_scc1 .LBB2157_424
; %bb.425:
	s_clause 0x1
	scratch_load_b128 v[0:3], off, off
	scratch_load_b128 v[4:7], off, off offset:16
.LBB2157_426:
	s_wait_loadcnt 0x1
	scratch_store_b128 off, v[0:3], off offset:380
	s_wait_loadcnt 0x0
	s_clause 0x1
	scratch_store_b128 off, v[4:7], off offset:396
	scratch_store_b8 off, v8, off offset:412
	s_wait_xcnt 0x0
	s_and_saveexec_b32 s1, s0
	s_cbranch_execz .LBB2157_428
; %bb.427:
	v_dual_mov_b32 v9, 0 :: v_dual_mov_b32 v10, 2
	s_clause 0x2
	global_store_b128 v9, v[0:3], s[6:7] offset:1152
	global_store_b128 v9, v[4:7], s[6:7] offset:1168
	global_store_b8 v9, v8, s[6:7] offset:1184
	global_wb scope:SCOPE_DEV
	s_wait_storecnt 0x0
	global_inv scope:SCOPE_DEV
	s_wait_xcnt 0x0
	global_store_b8 v9, v10, s[8:9] offset:32 scope:SCOPE_DEV
.LBB2157_428:
	s_wait_xcnt 0x0
	s_or_b32 exec_lo, exec_lo, s1
.LBB2157_429:
	s_wait_xcnt 0x2
	v_mov_b64_e32 v[0:1], 0
	s_mov_b32 s0, 0
.LBB2157_430:                           ; =>This Inner Loop Header: Depth=1
	s_wait_xcnt 0x0
	s_mov_b32 s1, s0
	s_add_co_i32 s0, s0, 8
	scratch_store_b64 off, v[0:1], s1
	s_cmp_lg_u32 s0, 32
	s_cbranch_scc1 .LBB2157_430
; %bb.431:
	s_wait_xcnt 0x0
	v_mov_b64_e32 v[0:1], 0
	s_mov_b32 s0, 32
.LBB2157_432:                           ; =>This Inner Loop Header: Depth=1
	s_wait_xcnt 0x0
	s_mov_b32 s1, s0
	s_add_co_i32 s0, s0, 8
	scratch_store_b64 off, v[0:1], s1
	s_cmp_lg_u32 s0, 64
	s_cbranch_scc1 .LBB2157_432
; %bb.433:
	;; [unrolled: 11-line block ×3, first 2 shown]
	s_wait_xcnt 0x0
	s_add_nc_u64 s[0:1], s[18:19], s[28:29]
	s_and_b32 vcc_lo, exec_lo, s39
	s_add_nc_u64 s[0:1], s[0:1], s[16:17]
	s_cbranch_vccz .LBB2157_445
; %bb.436:
	v_mul_u32_u24_e32 v0, 3, v16
	s_add_co_i32 s42, s42, s10
	s_mov_b32 s2, exec_lo
	s_delay_alu instid0(VALU_DEP_1)
	v_cmpx_gt_u32_e64 s42, v0
	s_cbranch_execz .LBB2157_440
; %bb.437:
	s_clause 0x1
	scratch_load_b128 v[2:5], off, off offset:272
	scratch_load_b128 v[6:9], off, off offset:288
	v_add_nc_u32_e32 v1, 1, v0
	s_wait_loadcnt 0x1
	scratch_store_b128 off, v[2:5], off
	s_wait_loadcnt 0x0
	scratch_store_b128 off, v[6:9], off offset:16
	v_cmp_gt_u32_e32 vcc_lo, s42, v1
	s_wait_xcnt 0x0
	s_and_b32 exec_lo, exec_lo, vcc_lo
	s_cbranch_execz .LBB2157_440
; %bb.438:
	s_clause 0x1
	scratch_load_b128 v[2:5], off, s11
	scratch_load_b128 v[6:9], off, s11 offset:16
	v_add_nc_u32_e32 v1, 2, v0
	s_wait_loadcnt 0x1
	scratch_store_b128 off, v[2:5], s35
	s_wait_loadcnt 0x0
	scratch_store_b128 off, v[6:9], s35 offset:16
	v_cmp_gt_u32_e32 vcc_lo, s42, v1
	s_wait_xcnt 0x0
	s_and_b32 exec_lo, exec_lo, vcc_lo
	s_cbranch_execz .LBB2157_440
; %bb.439:
	s_clause 0x1
	scratch_load_b128 v[2:5], off, s33
	scratch_load_b128 v[6:9], off, s33 offset:16
	s_wait_loadcnt 0x1
	scratch_store_b128 off, v[2:5], s38
	s_wait_loadcnt 0x0
	scratch_store_b128 off, v[6:9], s38 offset:16
.LBB2157_440:
	s_wait_xcnt 0x0
	s_or_b32 exec_lo, exec_lo, s2
	s_wait_loadcnt 0x0
	s_wait_storecnt 0x0
	s_barrier_signal -1
	s_barrier_wait -1
	s_clause 0x1
	scratch_load_b128 v[4:7], off, off
	scratch_load_b128 v[8:11], off, off offset:16
	s_clause 0x3
	scratch_load_b128 v[12:15], off, s35
	scratch_load_b128 v[18:21], off, s35 offset:16
	scratch_load_b128 v[22:25], off, s38
	scratch_load_b128 v[26:29], off, s38 offset:16
	v_lshlrev_b32_e32 v0, 5, v0
	v_lshlrev_b32_e32 v1, 6, v16
	s_mov_b32 s2, exec_lo
	s_delay_alu instid0(VALU_DEP_1)
	v_dual_mov_b32 v1, 0 :: v_dual_sub_nc_u32 v2, v0, v1
	s_wait_loadcnt 0x5
	ds_store_b128 v0, v[4:7]
	s_wait_loadcnt 0x4
	ds_store_b128 v0, v[8:11] offset:16
	s_wait_loadcnt 0x3
	ds_store_b128 v0, v[12:15] offset:32
	;; [unrolled: 2-line block ×5, first 2 shown]
	s_wait_dscnt 0x0
	s_barrier_signal -1
	s_barrier_wait -1
	ds_load_b128 v[4:7], v2 offset:8192
	ds_load_b128 v[8:11], v2 offset:8208
	;; [unrolled: 1-line block ×4, first 2 shown]
	v_lshlrev_b32_e32 v0, 5, v16
	s_wait_dscnt 0x3
	scratch_store_b128 off, v[4:7], s35
	s_wait_dscnt 0x2
	scratch_store_b128 off, v[8:11], s35 offset:16
	s_wait_dscnt 0x1
	scratch_store_b128 off, v[12:15], s38
	s_wait_dscnt 0x0
	scratch_store_b128 off, v[18:21], s38 offset:16
	v_add_nc_u64_e32 v[0:1], s[0:1], v[0:1]
	s_wait_xcnt 0x0
	v_cmpx_gt_u32_e64 s42, v16
	s_cbranch_execz .LBB2157_442
; %bb.441:
	ds_load_2addr_b32 v[4:5], v2 offset0:2 offset1:3
	ds_load_2addr_b32 v[6:7], v2 offset0:4 offset1:5
	;; [unrolled: 1-line block ×3, first 2 shown]
	ds_load_2addr_b32 v[2:3], v2 offset1:1
	s_wait_dscnt 0x0
	s_clause 0x1
	flat_store_b128 v[0:1], v[2:5]
	flat_store_b128 v[0:1], v[6:9] offset:16
.LBB2157_442:
	s_wait_xcnt 0x0
	s_or_b32 exec_lo, exec_lo, s2
	v_add_nc_u32_e32 v2, 0x100, v16
	s_mov_b32 s2, exec_lo
	s_delay_alu instid0(VALU_DEP_1)
	v_cmpx_gt_u32_e64 s42, v2
	s_cbranch_execz .LBB2157_444
; %bb.443:
	scratch_load_b128 v[2:5], off, s35
	s_wait_loadcnt 0x0
	flat_store_b128 v[0:1], v[2:5] offset:8192
	scratch_load_b128 v[2:5], off, s35 offset:16
	s_wait_loadcnt 0x0
	flat_store_b128 v[0:1], v[2:5] offset:8208
.LBB2157_444:
	s_wait_xcnt 0x0
	s_or_b32 exec_lo, exec_lo, s2
	v_add_nc_u32_e32 v0, 0x200, v16
	s_delay_alu instid0(VALU_DEP_1)
	v_cmp_gt_u32_e64 s2, s42, v0
	s_branch .LBB2157_447
.LBB2157_445:
	s_mov_b32 s2, 0
	s_cbranch_execz .LBB2157_447
; %bb.446:
	s_clause 0x1
	scratch_load_b128 v[0:3], off, off offset:272
	scratch_load_b128 v[4:7], off, off offset:288
	s_clause 0x3
	scratch_load_b128 v[8:11], off, s11
	scratch_load_b128 v[12:15], off, s11 offset:16
	scratch_load_b128 v[18:21], off, s33
	scratch_load_b128 v[22:25], off, s33 offset:16
	v_mul_u32_u24_e32 v17, 0x60, v16
	v_lshlrev_b32_e32 v26, 6, v16
	s_or_b32 s2, s2, exec_lo
	s_wait_loadcnt 0x5
	scratch_store_b128 off, v[0:3], off
	s_wait_loadcnt 0x4
	scratch_store_b128 off, v[4:7], off offset:16
	s_wait_loadcnt 0x3
	scratch_store_b128 off, v[8:11], s35
	s_wait_loadcnt 0x2
	scratch_store_b128 off, v[12:15], s35 offset:16
	s_wait_loadcnt 0x1
	scratch_store_b128 off, v[18:21], s38
	s_wait_loadcnt 0x0
	scratch_store_b128 off, v[22:25], s38 offset:16
	s_wait_storecnt_dscnt 0x0
	s_barrier_signal -1
	s_barrier_wait -1
	s_clause 0x1
	scratch_load_b128 v[0:3], off, off
	scratch_load_b128 v[4:7], off, off offset:16
	s_clause 0x3
	scratch_load_b128 v[8:11], off, s35
	scratch_load_b128 v[12:15], off, s35 offset:16
	scratch_load_b128 v[18:21], off, s38
	scratch_load_b128 v[22:25], off, s38 offset:16
	v_sub_nc_u32_e32 v26, v17, v26
	s_wait_loadcnt 0x5
	ds_store_b128 v17, v[0:3]
	s_wait_loadcnt 0x4
	ds_store_b128 v17, v[4:7] offset:16
	s_wait_loadcnt 0x3
	ds_store_b128 v17, v[8:11] offset:32
	;; [unrolled: 2-line block ×5, first 2 shown]
	s_wait_dscnt 0x0
	s_barrier_signal -1
	s_barrier_wait -1
	ds_load_b128 v[0:3], v26 offset:8192
	ds_load_b128 v[4:7], v26 offset:8208
	;; [unrolled: 1-line block ×4, first 2 shown]
	ds_load_2addr_b32 v[20:21], v26 offset0:6 offset1:7
	ds_load_2addr_b32 v[18:19], v26 offset0:4 offset1:5
	ds_load_2addr_b32 v[22:23], v26 offset1:1
	ds_load_2addr_b32 v[24:25], v26 offset0:2 offset1:3
	v_lshlrev_b32_e32 v17, 5, v16
	s_wait_dscnt 0x7
	scratch_store_b128 off, v[0:3], s35
	s_wait_dscnt 0x6
	scratch_store_b128 off, v[4:7], s35 offset:16
	s_wait_dscnt 0x5
	scratch_store_b128 off, v[8:11], s38
	s_wait_dscnt 0x4
	scratch_store_b128 off, v[12:15], s38 offset:16
	s_wait_dscnt 0x2
	flat_store_b128 v17, v[18:21], s[0:1] offset:16
	s_wait_dscnt 0x1
	s_clause 0x2
	flat_store_b128 v17, v[22:25], s[0:1]
	flat_store_b128 v17, v[0:3], s[0:1] offset:8192
	flat_store_b128 v17, v[4:7], s[0:1] offset:8208
.LBB2157_447:
	s_wait_xcnt 0x0
	s_delay_alu instid0(VALU_DEP_1)
	s_and_saveexec_b32 s3, s2
	s_cbranch_execnz .LBB2157_449
; %bb.448:
	s_endpgm
.LBB2157_449:
	scratch_load_b128 v[0:3], off, s38
	v_lshlrev_b32_e32 v4, 5, v16
	s_wait_loadcnt 0x0
	flat_store_b128 v4, v[0:3], s[0:1] offset:16384
	scratch_load_b128 v[0:3], off, s38 offset:16
	s_wait_loadcnt 0x0
	flat_store_b128 v4, v[0:3], s[0:1] offset:16400
	s_endpgm
	.section	.rodata,"a",@progbits
	.p2align	6, 0x0
	.amdhsa_kernel _ZN7rocprim17ROCPRIM_400000_NS6detail17trampoline_kernelINS0_14default_configENS1_27scan_by_key_config_selectorIj11FixedVectorIiLj8EEEEZZNS1_16scan_by_key_implILNS1_25lookback_scan_determinismE0ELb1ES3_N6thrust23THRUST_200600_302600_NS6detail15normal_iteratorINSB_10device_ptrIjEEEENSD_INSE_IS6_EEEESI_S6_NSB_4plusIvEENSB_8equal_toIvEES6_EE10hipError_tPvRmT2_T3_T4_T5_mT6_T7_P12ihipStream_tbENKUlT_T0_E_clISt17integral_constantIbLb0EES13_EEDaSY_SZ_EUlSY_E_NS1_11comp_targetILNS1_3genE0ELNS1_11target_archE4294967295ELNS1_3gpuE0ELNS1_3repE0EEENS1_30default_config_static_selectorELNS0_4arch9wavefront6targetE0EEEvT1_
		.amdhsa_group_segment_fixed_size 33792
		.amdhsa_private_segment_fixed_size 432
		.amdhsa_kernarg_size 160
		.amdhsa_user_sgpr_count 4
		.amdhsa_user_sgpr_dispatch_ptr 1
		.amdhsa_user_sgpr_queue_ptr 0
		.amdhsa_user_sgpr_kernarg_segment_ptr 1
		.amdhsa_user_sgpr_dispatch_id 0
		.amdhsa_user_sgpr_kernarg_preload_length 0
		.amdhsa_user_sgpr_kernarg_preload_offset 0
		.amdhsa_user_sgpr_private_segment_size 0
		.amdhsa_wavefront_size32 1
		.amdhsa_uses_dynamic_stack 0
		.amdhsa_enable_private_segment 1
		.amdhsa_system_sgpr_workgroup_id_x 1
		.amdhsa_system_sgpr_workgroup_id_y 0
		.amdhsa_system_sgpr_workgroup_id_z 0
		.amdhsa_system_sgpr_workgroup_info 0
		.amdhsa_system_vgpr_workitem_id 2
		.amdhsa_next_free_vgpr 47
		.amdhsa_next_free_sgpr 48
		.amdhsa_named_barrier_count 0
		.amdhsa_reserve_vcc 1
		.amdhsa_float_round_mode_32 0
		.amdhsa_float_round_mode_16_64 0
		.amdhsa_float_denorm_mode_32 3
		.amdhsa_float_denorm_mode_16_64 3
		.amdhsa_fp16_overflow 0
		.amdhsa_memory_ordered 1
		.amdhsa_forward_progress 1
		.amdhsa_inst_pref_size 199
		.amdhsa_round_robin_scheduling 0
		.amdhsa_exception_fp_ieee_invalid_op 0
		.amdhsa_exception_fp_denorm_src 0
		.amdhsa_exception_fp_ieee_div_zero 0
		.amdhsa_exception_fp_ieee_overflow 0
		.amdhsa_exception_fp_ieee_underflow 0
		.amdhsa_exception_fp_ieee_inexact 0
		.amdhsa_exception_int_div_zero 0
	.end_amdhsa_kernel
	.section	.text._ZN7rocprim17ROCPRIM_400000_NS6detail17trampoline_kernelINS0_14default_configENS1_27scan_by_key_config_selectorIj11FixedVectorIiLj8EEEEZZNS1_16scan_by_key_implILNS1_25lookback_scan_determinismE0ELb1ES3_N6thrust23THRUST_200600_302600_NS6detail15normal_iteratorINSB_10device_ptrIjEEEENSD_INSE_IS6_EEEESI_S6_NSB_4plusIvEENSB_8equal_toIvEES6_EE10hipError_tPvRmT2_T3_T4_T5_mT6_T7_P12ihipStream_tbENKUlT_T0_E_clISt17integral_constantIbLb0EES13_EEDaSY_SZ_EUlSY_E_NS1_11comp_targetILNS1_3genE0ELNS1_11target_archE4294967295ELNS1_3gpuE0ELNS1_3repE0EEENS1_30default_config_static_selectorELNS0_4arch9wavefront6targetE0EEEvT1_,"axG",@progbits,_ZN7rocprim17ROCPRIM_400000_NS6detail17trampoline_kernelINS0_14default_configENS1_27scan_by_key_config_selectorIj11FixedVectorIiLj8EEEEZZNS1_16scan_by_key_implILNS1_25lookback_scan_determinismE0ELb1ES3_N6thrust23THRUST_200600_302600_NS6detail15normal_iteratorINSB_10device_ptrIjEEEENSD_INSE_IS6_EEEESI_S6_NSB_4plusIvEENSB_8equal_toIvEES6_EE10hipError_tPvRmT2_T3_T4_T5_mT6_T7_P12ihipStream_tbENKUlT_T0_E_clISt17integral_constantIbLb0EES13_EEDaSY_SZ_EUlSY_E_NS1_11comp_targetILNS1_3genE0ELNS1_11target_archE4294967295ELNS1_3gpuE0ELNS1_3repE0EEENS1_30default_config_static_selectorELNS0_4arch9wavefront6targetE0EEEvT1_,comdat
.Lfunc_end2157:
	.size	_ZN7rocprim17ROCPRIM_400000_NS6detail17trampoline_kernelINS0_14default_configENS1_27scan_by_key_config_selectorIj11FixedVectorIiLj8EEEEZZNS1_16scan_by_key_implILNS1_25lookback_scan_determinismE0ELb1ES3_N6thrust23THRUST_200600_302600_NS6detail15normal_iteratorINSB_10device_ptrIjEEEENSD_INSE_IS6_EEEESI_S6_NSB_4plusIvEENSB_8equal_toIvEES6_EE10hipError_tPvRmT2_T3_T4_T5_mT6_T7_P12ihipStream_tbENKUlT_T0_E_clISt17integral_constantIbLb0EES13_EEDaSY_SZ_EUlSY_E_NS1_11comp_targetILNS1_3genE0ELNS1_11target_archE4294967295ELNS1_3gpuE0ELNS1_3repE0EEENS1_30default_config_static_selectorELNS0_4arch9wavefront6targetE0EEEvT1_, .Lfunc_end2157-_ZN7rocprim17ROCPRIM_400000_NS6detail17trampoline_kernelINS0_14default_configENS1_27scan_by_key_config_selectorIj11FixedVectorIiLj8EEEEZZNS1_16scan_by_key_implILNS1_25lookback_scan_determinismE0ELb1ES3_N6thrust23THRUST_200600_302600_NS6detail15normal_iteratorINSB_10device_ptrIjEEEENSD_INSE_IS6_EEEESI_S6_NSB_4plusIvEENSB_8equal_toIvEES6_EE10hipError_tPvRmT2_T3_T4_T5_mT6_T7_P12ihipStream_tbENKUlT_T0_E_clISt17integral_constantIbLb0EES13_EEDaSY_SZ_EUlSY_E_NS1_11comp_targetILNS1_3genE0ELNS1_11target_archE4294967295ELNS1_3gpuE0ELNS1_3repE0EEENS1_30default_config_static_selectorELNS0_4arch9wavefront6targetE0EEEvT1_
                                        ; -- End function
	.set _ZN7rocprim17ROCPRIM_400000_NS6detail17trampoline_kernelINS0_14default_configENS1_27scan_by_key_config_selectorIj11FixedVectorIiLj8EEEEZZNS1_16scan_by_key_implILNS1_25lookback_scan_determinismE0ELb1ES3_N6thrust23THRUST_200600_302600_NS6detail15normal_iteratorINSB_10device_ptrIjEEEENSD_INSE_IS6_EEEESI_S6_NSB_4plusIvEENSB_8equal_toIvEES6_EE10hipError_tPvRmT2_T3_T4_T5_mT6_T7_P12ihipStream_tbENKUlT_T0_E_clISt17integral_constantIbLb0EES13_EEDaSY_SZ_EUlSY_E_NS1_11comp_targetILNS1_3genE0ELNS1_11target_archE4294967295ELNS1_3gpuE0ELNS1_3repE0EEENS1_30default_config_static_selectorELNS0_4arch9wavefront6targetE0EEEvT1_.num_vgpr, 47
	.set _ZN7rocprim17ROCPRIM_400000_NS6detail17trampoline_kernelINS0_14default_configENS1_27scan_by_key_config_selectorIj11FixedVectorIiLj8EEEEZZNS1_16scan_by_key_implILNS1_25lookback_scan_determinismE0ELb1ES3_N6thrust23THRUST_200600_302600_NS6detail15normal_iteratorINSB_10device_ptrIjEEEENSD_INSE_IS6_EEEESI_S6_NSB_4plusIvEENSB_8equal_toIvEES6_EE10hipError_tPvRmT2_T3_T4_T5_mT6_T7_P12ihipStream_tbENKUlT_T0_E_clISt17integral_constantIbLb0EES13_EEDaSY_SZ_EUlSY_E_NS1_11comp_targetILNS1_3genE0ELNS1_11target_archE4294967295ELNS1_3gpuE0ELNS1_3repE0EEENS1_30default_config_static_selectorELNS0_4arch9wavefront6targetE0EEEvT1_.num_agpr, 0
	.set _ZN7rocprim17ROCPRIM_400000_NS6detail17trampoline_kernelINS0_14default_configENS1_27scan_by_key_config_selectorIj11FixedVectorIiLj8EEEEZZNS1_16scan_by_key_implILNS1_25lookback_scan_determinismE0ELb1ES3_N6thrust23THRUST_200600_302600_NS6detail15normal_iteratorINSB_10device_ptrIjEEEENSD_INSE_IS6_EEEESI_S6_NSB_4plusIvEENSB_8equal_toIvEES6_EE10hipError_tPvRmT2_T3_T4_T5_mT6_T7_P12ihipStream_tbENKUlT_T0_E_clISt17integral_constantIbLb0EES13_EEDaSY_SZ_EUlSY_E_NS1_11comp_targetILNS1_3genE0ELNS1_11target_archE4294967295ELNS1_3gpuE0ELNS1_3repE0EEENS1_30default_config_static_selectorELNS0_4arch9wavefront6targetE0EEEvT1_.numbered_sgpr, 48
	.set _ZN7rocprim17ROCPRIM_400000_NS6detail17trampoline_kernelINS0_14default_configENS1_27scan_by_key_config_selectorIj11FixedVectorIiLj8EEEEZZNS1_16scan_by_key_implILNS1_25lookback_scan_determinismE0ELb1ES3_N6thrust23THRUST_200600_302600_NS6detail15normal_iteratorINSB_10device_ptrIjEEEENSD_INSE_IS6_EEEESI_S6_NSB_4plusIvEENSB_8equal_toIvEES6_EE10hipError_tPvRmT2_T3_T4_T5_mT6_T7_P12ihipStream_tbENKUlT_T0_E_clISt17integral_constantIbLb0EES13_EEDaSY_SZ_EUlSY_E_NS1_11comp_targetILNS1_3genE0ELNS1_11target_archE4294967295ELNS1_3gpuE0ELNS1_3repE0EEENS1_30default_config_static_selectorELNS0_4arch9wavefront6targetE0EEEvT1_.num_named_barrier, 0
	.set _ZN7rocprim17ROCPRIM_400000_NS6detail17trampoline_kernelINS0_14default_configENS1_27scan_by_key_config_selectorIj11FixedVectorIiLj8EEEEZZNS1_16scan_by_key_implILNS1_25lookback_scan_determinismE0ELb1ES3_N6thrust23THRUST_200600_302600_NS6detail15normal_iteratorINSB_10device_ptrIjEEEENSD_INSE_IS6_EEEESI_S6_NSB_4plusIvEENSB_8equal_toIvEES6_EE10hipError_tPvRmT2_T3_T4_T5_mT6_T7_P12ihipStream_tbENKUlT_T0_E_clISt17integral_constantIbLb0EES13_EEDaSY_SZ_EUlSY_E_NS1_11comp_targetILNS1_3genE0ELNS1_11target_archE4294967295ELNS1_3gpuE0ELNS1_3repE0EEENS1_30default_config_static_selectorELNS0_4arch9wavefront6targetE0EEEvT1_.private_seg_size, 432
	.set _ZN7rocprim17ROCPRIM_400000_NS6detail17trampoline_kernelINS0_14default_configENS1_27scan_by_key_config_selectorIj11FixedVectorIiLj8EEEEZZNS1_16scan_by_key_implILNS1_25lookback_scan_determinismE0ELb1ES3_N6thrust23THRUST_200600_302600_NS6detail15normal_iteratorINSB_10device_ptrIjEEEENSD_INSE_IS6_EEEESI_S6_NSB_4plusIvEENSB_8equal_toIvEES6_EE10hipError_tPvRmT2_T3_T4_T5_mT6_T7_P12ihipStream_tbENKUlT_T0_E_clISt17integral_constantIbLb0EES13_EEDaSY_SZ_EUlSY_E_NS1_11comp_targetILNS1_3genE0ELNS1_11target_archE4294967295ELNS1_3gpuE0ELNS1_3repE0EEENS1_30default_config_static_selectorELNS0_4arch9wavefront6targetE0EEEvT1_.uses_vcc, 1
	.set _ZN7rocprim17ROCPRIM_400000_NS6detail17trampoline_kernelINS0_14default_configENS1_27scan_by_key_config_selectorIj11FixedVectorIiLj8EEEEZZNS1_16scan_by_key_implILNS1_25lookback_scan_determinismE0ELb1ES3_N6thrust23THRUST_200600_302600_NS6detail15normal_iteratorINSB_10device_ptrIjEEEENSD_INSE_IS6_EEEESI_S6_NSB_4plusIvEENSB_8equal_toIvEES6_EE10hipError_tPvRmT2_T3_T4_T5_mT6_T7_P12ihipStream_tbENKUlT_T0_E_clISt17integral_constantIbLb0EES13_EEDaSY_SZ_EUlSY_E_NS1_11comp_targetILNS1_3genE0ELNS1_11target_archE4294967295ELNS1_3gpuE0ELNS1_3repE0EEENS1_30default_config_static_selectorELNS0_4arch9wavefront6targetE0EEEvT1_.uses_flat_scratch, 1
	.set _ZN7rocprim17ROCPRIM_400000_NS6detail17trampoline_kernelINS0_14default_configENS1_27scan_by_key_config_selectorIj11FixedVectorIiLj8EEEEZZNS1_16scan_by_key_implILNS1_25lookback_scan_determinismE0ELb1ES3_N6thrust23THRUST_200600_302600_NS6detail15normal_iteratorINSB_10device_ptrIjEEEENSD_INSE_IS6_EEEESI_S6_NSB_4plusIvEENSB_8equal_toIvEES6_EE10hipError_tPvRmT2_T3_T4_T5_mT6_T7_P12ihipStream_tbENKUlT_T0_E_clISt17integral_constantIbLb0EES13_EEDaSY_SZ_EUlSY_E_NS1_11comp_targetILNS1_3genE0ELNS1_11target_archE4294967295ELNS1_3gpuE0ELNS1_3repE0EEENS1_30default_config_static_selectorELNS0_4arch9wavefront6targetE0EEEvT1_.has_dyn_sized_stack, 0
	.set _ZN7rocprim17ROCPRIM_400000_NS6detail17trampoline_kernelINS0_14default_configENS1_27scan_by_key_config_selectorIj11FixedVectorIiLj8EEEEZZNS1_16scan_by_key_implILNS1_25lookback_scan_determinismE0ELb1ES3_N6thrust23THRUST_200600_302600_NS6detail15normal_iteratorINSB_10device_ptrIjEEEENSD_INSE_IS6_EEEESI_S6_NSB_4plusIvEENSB_8equal_toIvEES6_EE10hipError_tPvRmT2_T3_T4_T5_mT6_T7_P12ihipStream_tbENKUlT_T0_E_clISt17integral_constantIbLb0EES13_EEDaSY_SZ_EUlSY_E_NS1_11comp_targetILNS1_3genE0ELNS1_11target_archE4294967295ELNS1_3gpuE0ELNS1_3repE0EEENS1_30default_config_static_selectorELNS0_4arch9wavefront6targetE0EEEvT1_.has_recursion, 0
	.set _ZN7rocprim17ROCPRIM_400000_NS6detail17trampoline_kernelINS0_14default_configENS1_27scan_by_key_config_selectorIj11FixedVectorIiLj8EEEEZZNS1_16scan_by_key_implILNS1_25lookback_scan_determinismE0ELb1ES3_N6thrust23THRUST_200600_302600_NS6detail15normal_iteratorINSB_10device_ptrIjEEEENSD_INSE_IS6_EEEESI_S6_NSB_4plusIvEENSB_8equal_toIvEES6_EE10hipError_tPvRmT2_T3_T4_T5_mT6_T7_P12ihipStream_tbENKUlT_T0_E_clISt17integral_constantIbLb0EES13_EEDaSY_SZ_EUlSY_E_NS1_11comp_targetILNS1_3genE0ELNS1_11target_archE4294967295ELNS1_3gpuE0ELNS1_3repE0EEENS1_30default_config_static_selectorELNS0_4arch9wavefront6targetE0EEEvT1_.has_indirect_call, 0
	.section	.AMDGPU.csdata,"",@progbits
; Kernel info:
; codeLenInByte = 25440
; TotalNumSgprs: 50
; NumVgprs: 47
; ScratchSize: 432
; MemoryBound: 1
; FloatMode: 240
; IeeeMode: 1
; LDSByteSize: 33792 bytes/workgroup (compile time only)
; SGPRBlocks: 0
; VGPRBlocks: 2
; NumSGPRsForWavesPerEU: 50
; NumVGPRsForWavesPerEU: 47
; NamedBarCnt: 0
; Occupancy: 16
; WaveLimiterHint : 1
; COMPUTE_PGM_RSRC2:SCRATCH_EN: 1
; COMPUTE_PGM_RSRC2:USER_SGPR: 4
; COMPUTE_PGM_RSRC2:TRAP_HANDLER: 0
; COMPUTE_PGM_RSRC2:TGID_X_EN: 1
; COMPUTE_PGM_RSRC2:TGID_Y_EN: 0
; COMPUTE_PGM_RSRC2:TGID_Z_EN: 0
; COMPUTE_PGM_RSRC2:TIDIG_COMP_CNT: 2
	.section	.text._ZN7rocprim17ROCPRIM_400000_NS6detail17trampoline_kernelINS0_14default_configENS1_27scan_by_key_config_selectorIj11FixedVectorIiLj8EEEEZZNS1_16scan_by_key_implILNS1_25lookback_scan_determinismE0ELb1ES3_N6thrust23THRUST_200600_302600_NS6detail15normal_iteratorINSB_10device_ptrIjEEEENSD_INSE_IS6_EEEESI_S6_NSB_4plusIvEENSB_8equal_toIvEES6_EE10hipError_tPvRmT2_T3_T4_T5_mT6_T7_P12ihipStream_tbENKUlT_T0_E_clISt17integral_constantIbLb0EES13_EEDaSY_SZ_EUlSY_E_NS1_11comp_targetILNS1_3genE10ELNS1_11target_archE1201ELNS1_3gpuE5ELNS1_3repE0EEENS1_30default_config_static_selectorELNS0_4arch9wavefront6targetE0EEEvT1_,"axG",@progbits,_ZN7rocprim17ROCPRIM_400000_NS6detail17trampoline_kernelINS0_14default_configENS1_27scan_by_key_config_selectorIj11FixedVectorIiLj8EEEEZZNS1_16scan_by_key_implILNS1_25lookback_scan_determinismE0ELb1ES3_N6thrust23THRUST_200600_302600_NS6detail15normal_iteratorINSB_10device_ptrIjEEEENSD_INSE_IS6_EEEESI_S6_NSB_4plusIvEENSB_8equal_toIvEES6_EE10hipError_tPvRmT2_T3_T4_T5_mT6_T7_P12ihipStream_tbENKUlT_T0_E_clISt17integral_constantIbLb0EES13_EEDaSY_SZ_EUlSY_E_NS1_11comp_targetILNS1_3genE10ELNS1_11target_archE1201ELNS1_3gpuE5ELNS1_3repE0EEENS1_30default_config_static_selectorELNS0_4arch9wavefront6targetE0EEEvT1_,comdat
	.protected	_ZN7rocprim17ROCPRIM_400000_NS6detail17trampoline_kernelINS0_14default_configENS1_27scan_by_key_config_selectorIj11FixedVectorIiLj8EEEEZZNS1_16scan_by_key_implILNS1_25lookback_scan_determinismE0ELb1ES3_N6thrust23THRUST_200600_302600_NS6detail15normal_iteratorINSB_10device_ptrIjEEEENSD_INSE_IS6_EEEESI_S6_NSB_4plusIvEENSB_8equal_toIvEES6_EE10hipError_tPvRmT2_T3_T4_T5_mT6_T7_P12ihipStream_tbENKUlT_T0_E_clISt17integral_constantIbLb0EES13_EEDaSY_SZ_EUlSY_E_NS1_11comp_targetILNS1_3genE10ELNS1_11target_archE1201ELNS1_3gpuE5ELNS1_3repE0EEENS1_30default_config_static_selectorELNS0_4arch9wavefront6targetE0EEEvT1_ ; -- Begin function _ZN7rocprim17ROCPRIM_400000_NS6detail17trampoline_kernelINS0_14default_configENS1_27scan_by_key_config_selectorIj11FixedVectorIiLj8EEEEZZNS1_16scan_by_key_implILNS1_25lookback_scan_determinismE0ELb1ES3_N6thrust23THRUST_200600_302600_NS6detail15normal_iteratorINSB_10device_ptrIjEEEENSD_INSE_IS6_EEEESI_S6_NSB_4plusIvEENSB_8equal_toIvEES6_EE10hipError_tPvRmT2_T3_T4_T5_mT6_T7_P12ihipStream_tbENKUlT_T0_E_clISt17integral_constantIbLb0EES13_EEDaSY_SZ_EUlSY_E_NS1_11comp_targetILNS1_3genE10ELNS1_11target_archE1201ELNS1_3gpuE5ELNS1_3repE0EEENS1_30default_config_static_selectorELNS0_4arch9wavefront6targetE0EEEvT1_
	.globl	_ZN7rocprim17ROCPRIM_400000_NS6detail17trampoline_kernelINS0_14default_configENS1_27scan_by_key_config_selectorIj11FixedVectorIiLj8EEEEZZNS1_16scan_by_key_implILNS1_25lookback_scan_determinismE0ELb1ES3_N6thrust23THRUST_200600_302600_NS6detail15normal_iteratorINSB_10device_ptrIjEEEENSD_INSE_IS6_EEEESI_S6_NSB_4plusIvEENSB_8equal_toIvEES6_EE10hipError_tPvRmT2_T3_T4_T5_mT6_T7_P12ihipStream_tbENKUlT_T0_E_clISt17integral_constantIbLb0EES13_EEDaSY_SZ_EUlSY_E_NS1_11comp_targetILNS1_3genE10ELNS1_11target_archE1201ELNS1_3gpuE5ELNS1_3repE0EEENS1_30default_config_static_selectorELNS0_4arch9wavefront6targetE0EEEvT1_
	.p2align	8
	.type	_ZN7rocprim17ROCPRIM_400000_NS6detail17trampoline_kernelINS0_14default_configENS1_27scan_by_key_config_selectorIj11FixedVectorIiLj8EEEEZZNS1_16scan_by_key_implILNS1_25lookback_scan_determinismE0ELb1ES3_N6thrust23THRUST_200600_302600_NS6detail15normal_iteratorINSB_10device_ptrIjEEEENSD_INSE_IS6_EEEESI_S6_NSB_4plusIvEENSB_8equal_toIvEES6_EE10hipError_tPvRmT2_T3_T4_T5_mT6_T7_P12ihipStream_tbENKUlT_T0_E_clISt17integral_constantIbLb0EES13_EEDaSY_SZ_EUlSY_E_NS1_11comp_targetILNS1_3genE10ELNS1_11target_archE1201ELNS1_3gpuE5ELNS1_3repE0EEENS1_30default_config_static_selectorELNS0_4arch9wavefront6targetE0EEEvT1_,@function
_ZN7rocprim17ROCPRIM_400000_NS6detail17trampoline_kernelINS0_14default_configENS1_27scan_by_key_config_selectorIj11FixedVectorIiLj8EEEEZZNS1_16scan_by_key_implILNS1_25lookback_scan_determinismE0ELb1ES3_N6thrust23THRUST_200600_302600_NS6detail15normal_iteratorINSB_10device_ptrIjEEEENSD_INSE_IS6_EEEESI_S6_NSB_4plusIvEENSB_8equal_toIvEES6_EE10hipError_tPvRmT2_T3_T4_T5_mT6_T7_P12ihipStream_tbENKUlT_T0_E_clISt17integral_constantIbLb0EES13_EEDaSY_SZ_EUlSY_E_NS1_11comp_targetILNS1_3genE10ELNS1_11target_archE1201ELNS1_3gpuE5ELNS1_3repE0EEENS1_30default_config_static_selectorELNS0_4arch9wavefront6targetE0EEEvT1_: ; @_ZN7rocprim17ROCPRIM_400000_NS6detail17trampoline_kernelINS0_14default_configENS1_27scan_by_key_config_selectorIj11FixedVectorIiLj8EEEEZZNS1_16scan_by_key_implILNS1_25lookback_scan_determinismE0ELb1ES3_N6thrust23THRUST_200600_302600_NS6detail15normal_iteratorINSB_10device_ptrIjEEEENSD_INSE_IS6_EEEESI_S6_NSB_4plusIvEENSB_8equal_toIvEES6_EE10hipError_tPvRmT2_T3_T4_T5_mT6_T7_P12ihipStream_tbENKUlT_T0_E_clISt17integral_constantIbLb0EES13_EEDaSY_SZ_EUlSY_E_NS1_11comp_targetILNS1_3genE10ELNS1_11target_archE1201ELNS1_3gpuE5ELNS1_3repE0EEENS1_30default_config_static_selectorELNS0_4arch9wavefront6targetE0EEEvT1_
; %bb.0:
	.section	.rodata,"a",@progbits
	.p2align	6, 0x0
	.amdhsa_kernel _ZN7rocprim17ROCPRIM_400000_NS6detail17trampoline_kernelINS0_14default_configENS1_27scan_by_key_config_selectorIj11FixedVectorIiLj8EEEEZZNS1_16scan_by_key_implILNS1_25lookback_scan_determinismE0ELb1ES3_N6thrust23THRUST_200600_302600_NS6detail15normal_iteratorINSB_10device_ptrIjEEEENSD_INSE_IS6_EEEESI_S6_NSB_4plusIvEENSB_8equal_toIvEES6_EE10hipError_tPvRmT2_T3_T4_T5_mT6_T7_P12ihipStream_tbENKUlT_T0_E_clISt17integral_constantIbLb0EES13_EEDaSY_SZ_EUlSY_E_NS1_11comp_targetILNS1_3genE10ELNS1_11target_archE1201ELNS1_3gpuE5ELNS1_3repE0EEENS1_30default_config_static_selectorELNS0_4arch9wavefront6targetE0EEEvT1_
		.amdhsa_group_segment_fixed_size 0
		.amdhsa_private_segment_fixed_size 0
		.amdhsa_kernarg_size 160
		.amdhsa_user_sgpr_count 2
		.amdhsa_user_sgpr_dispatch_ptr 0
		.amdhsa_user_sgpr_queue_ptr 0
		.amdhsa_user_sgpr_kernarg_segment_ptr 1
		.amdhsa_user_sgpr_dispatch_id 0
		.amdhsa_user_sgpr_kernarg_preload_length 0
		.amdhsa_user_sgpr_kernarg_preload_offset 0
		.amdhsa_user_sgpr_private_segment_size 0
		.amdhsa_wavefront_size32 1
		.amdhsa_uses_dynamic_stack 0
		.amdhsa_enable_private_segment 0
		.amdhsa_system_sgpr_workgroup_id_x 1
		.amdhsa_system_sgpr_workgroup_id_y 0
		.amdhsa_system_sgpr_workgroup_id_z 0
		.amdhsa_system_sgpr_workgroup_info 0
		.amdhsa_system_vgpr_workitem_id 0
		.amdhsa_next_free_vgpr 1
		.amdhsa_next_free_sgpr 1
		.amdhsa_named_barrier_count 0
		.amdhsa_reserve_vcc 0
		.amdhsa_float_round_mode_32 0
		.amdhsa_float_round_mode_16_64 0
		.amdhsa_float_denorm_mode_32 3
		.amdhsa_float_denorm_mode_16_64 3
		.amdhsa_fp16_overflow 0
		.amdhsa_memory_ordered 1
		.amdhsa_forward_progress 1
		.amdhsa_inst_pref_size 0
		.amdhsa_round_robin_scheduling 0
		.amdhsa_exception_fp_ieee_invalid_op 0
		.amdhsa_exception_fp_denorm_src 0
		.amdhsa_exception_fp_ieee_div_zero 0
		.amdhsa_exception_fp_ieee_overflow 0
		.amdhsa_exception_fp_ieee_underflow 0
		.amdhsa_exception_fp_ieee_inexact 0
		.amdhsa_exception_int_div_zero 0
	.end_amdhsa_kernel
	.section	.text._ZN7rocprim17ROCPRIM_400000_NS6detail17trampoline_kernelINS0_14default_configENS1_27scan_by_key_config_selectorIj11FixedVectorIiLj8EEEEZZNS1_16scan_by_key_implILNS1_25lookback_scan_determinismE0ELb1ES3_N6thrust23THRUST_200600_302600_NS6detail15normal_iteratorINSB_10device_ptrIjEEEENSD_INSE_IS6_EEEESI_S6_NSB_4plusIvEENSB_8equal_toIvEES6_EE10hipError_tPvRmT2_T3_T4_T5_mT6_T7_P12ihipStream_tbENKUlT_T0_E_clISt17integral_constantIbLb0EES13_EEDaSY_SZ_EUlSY_E_NS1_11comp_targetILNS1_3genE10ELNS1_11target_archE1201ELNS1_3gpuE5ELNS1_3repE0EEENS1_30default_config_static_selectorELNS0_4arch9wavefront6targetE0EEEvT1_,"axG",@progbits,_ZN7rocprim17ROCPRIM_400000_NS6detail17trampoline_kernelINS0_14default_configENS1_27scan_by_key_config_selectorIj11FixedVectorIiLj8EEEEZZNS1_16scan_by_key_implILNS1_25lookback_scan_determinismE0ELb1ES3_N6thrust23THRUST_200600_302600_NS6detail15normal_iteratorINSB_10device_ptrIjEEEENSD_INSE_IS6_EEEESI_S6_NSB_4plusIvEENSB_8equal_toIvEES6_EE10hipError_tPvRmT2_T3_T4_T5_mT6_T7_P12ihipStream_tbENKUlT_T0_E_clISt17integral_constantIbLb0EES13_EEDaSY_SZ_EUlSY_E_NS1_11comp_targetILNS1_3genE10ELNS1_11target_archE1201ELNS1_3gpuE5ELNS1_3repE0EEENS1_30default_config_static_selectorELNS0_4arch9wavefront6targetE0EEEvT1_,comdat
.Lfunc_end2158:
	.size	_ZN7rocprim17ROCPRIM_400000_NS6detail17trampoline_kernelINS0_14default_configENS1_27scan_by_key_config_selectorIj11FixedVectorIiLj8EEEEZZNS1_16scan_by_key_implILNS1_25lookback_scan_determinismE0ELb1ES3_N6thrust23THRUST_200600_302600_NS6detail15normal_iteratorINSB_10device_ptrIjEEEENSD_INSE_IS6_EEEESI_S6_NSB_4plusIvEENSB_8equal_toIvEES6_EE10hipError_tPvRmT2_T3_T4_T5_mT6_T7_P12ihipStream_tbENKUlT_T0_E_clISt17integral_constantIbLb0EES13_EEDaSY_SZ_EUlSY_E_NS1_11comp_targetILNS1_3genE10ELNS1_11target_archE1201ELNS1_3gpuE5ELNS1_3repE0EEENS1_30default_config_static_selectorELNS0_4arch9wavefront6targetE0EEEvT1_, .Lfunc_end2158-_ZN7rocprim17ROCPRIM_400000_NS6detail17trampoline_kernelINS0_14default_configENS1_27scan_by_key_config_selectorIj11FixedVectorIiLj8EEEEZZNS1_16scan_by_key_implILNS1_25lookback_scan_determinismE0ELb1ES3_N6thrust23THRUST_200600_302600_NS6detail15normal_iteratorINSB_10device_ptrIjEEEENSD_INSE_IS6_EEEESI_S6_NSB_4plusIvEENSB_8equal_toIvEES6_EE10hipError_tPvRmT2_T3_T4_T5_mT6_T7_P12ihipStream_tbENKUlT_T0_E_clISt17integral_constantIbLb0EES13_EEDaSY_SZ_EUlSY_E_NS1_11comp_targetILNS1_3genE10ELNS1_11target_archE1201ELNS1_3gpuE5ELNS1_3repE0EEENS1_30default_config_static_selectorELNS0_4arch9wavefront6targetE0EEEvT1_
                                        ; -- End function
	.set _ZN7rocprim17ROCPRIM_400000_NS6detail17trampoline_kernelINS0_14default_configENS1_27scan_by_key_config_selectorIj11FixedVectorIiLj8EEEEZZNS1_16scan_by_key_implILNS1_25lookback_scan_determinismE0ELb1ES3_N6thrust23THRUST_200600_302600_NS6detail15normal_iteratorINSB_10device_ptrIjEEEENSD_INSE_IS6_EEEESI_S6_NSB_4plusIvEENSB_8equal_toIvEES6_EE10hipError_tPvRmT2_T3_T4_T5_mT6_T7_P12ihipStream_tbENKUlT_T0_E_clISt17integral_constantIbLb0EES13_EEDaSY_SZ_EUlSY_E_NS1_11comp_targetILNS1_3genE10ELNS1_11target_archE1201ELNS1_3gpuE5ELNS1_3repE0EEENS1_30default_config_static_selectorELNS0_4arch9wavefront6targetE0EEEvT1_.num_vgpr, 0
	.set _ZN7rocprim17ROCPRIM_400000_NS6detail17trampoline_kernelINS0_14default_configENS1_27scan_by_key_config_selectorIj11FixedVectorIiLj8EEEEZZNS1_16scan_by_key_implILNS1_25lookback_scan_determinismE0ELb1ES3_N6thrust23THRUST_200600_302600_NS6detail15normal_iteratorINSB_10device_ptrIjEEEENSD_INSE_IS6_EEEESI_S6_NSB_4plusIvEENSB_8equal_toIvEES6_EE10hipError_tPvRmT2_T3_T4_T5_mT6_T7_P12ihipStream_tbENKUlT_T0_E_clISt17integral_constantIbLb0EES13_EEDaSY_SZ_EUlSY_E_NS1_11comp_targetILNS1_3genE10ELNS1_11target_archE1201ELNS1_3gpuE5ELNS1_3repE0EEENS1_30default_config_static_selectorELNS0_4arch9wavefront6targetE0EEEvT1_.num_agpr, 0
	.set _ZN7rocprim17ROCPRIM_400000_NS6detail17trampoline_kernelINS0_14default_configENS1_27scan_by_key_config_selectorIj11FixedVectorIiLj8EEEEZZNS1_16scan_by_key_implILNS1_25lookback_scan_determinismE0ELb1ES3_N6thrust23THRUST_200600_302600_NS6detail15normal_iteratorINSB_10device_ptrIjEEEENSD_INSE_IS6_EEEESI_S6_NSB_4plusIvEENSB_8equal_toIvEES6_EE10hipError_tPvRmT2_T3_T4_T5_mT6_T7_P12ihipStream_tbENKUlT_T0_E_clISt17integral_constantIbLb0EES13_EEDaSY_SZ_EUlSY_E_NS1_11comp_targetILNS1_3genE10ELNS1_11target_archE1201ELNS1_3gpuE5ELNS1_3repE0EEENS1_30default_config_static_selectorELNS0_4arch9wavefront6targetE0EEEvT1_.numbered_sgpr, 0
	.set _ZN7rocprim17ROCPRIM_400000_NS6detail17trampoline_kernelINS0_14default_configENS1_27scan_by_key_config_selectorIj11FixedVectorIiLj8EEEEZZNS1_16scan_by_key_implILNS1_25lookback_scan_determinismE0ELb1ES3_N6thrust23THRUST_200600_302600_NS6detail15normal_iteratorINSB_10device_ptrIjEEEENSD_INSE_IS6_EEEESI_S6_NSB_4plusIvEENSB_8equal_toIvEES6_EE10hipError_tPvRmT2_T3_T4_T5_mT6_T7_P12ihipStream_tbENKUlT_T0_E_clISt17integral_constantIbLb0EES13_EEDaSY_SZ_EUlSY_E_NS1_11comp_targetILNS1_3genE10ELNS1_11target_archE1201ELNS1_3gpuE5ELNS1_3repE0EEENS1_30default_config_static_selectorELNS0_4arch9wavefront6targetE0EEEvT1_.num_named_barrier, 0
	.set _ZN7rocprim17ROCPRIM_400000_NS6detail17trampoline_kernelINS0_14default_configENS1_27scan_by_key_config_selectorIj11FixedVectorIiLj8EEEEZZNS1_16scan_by_key_implILNS1_25lookback_scan_determinismE0ELb1ES3_N6thrust23THRUST_200600_302600_NS6detail15normal_iteratorINSB_10device_ptrIjEEEENSD_INSE_IS6_EEEESI_S6_NSB_4plusIvEENSB_8equal_toIvEES6_EE10hipError_tPvRmT2_T3_T4_T5_mT6_T7_P12ihipStream_tbENKUlT_T0_E_clISt17integral_constantIbLb0EES13_EEDaSY_SZ_EUlSY_E_NS1_11comp_targetILNS1_3genE10ELNS1_11target_archE1201ELNS1_3gpuE5ELNS1_3repE0EEENS1_30default_config_static_selectorELNS0_4arch9wavefront6targetE0EEEvT1_.private_seg_size, 0
	.set _ZN7rocprim17ROCPRIM_400000_NS6detail17trampoline_kernelINS0_14default_configENS1_27scan_by_key_config_selectorIj11FixedVectorIiLj8EEEEZZNS1_16scan_by_key_implILNS1_25lookback_scan_determinismE0ELb1ES3_N6thrust23THRUST_200600_302600_NS6detail15normal_iteratorINSB_10device_ptrIjEEEENSD_INSE_IS6_EEEESI_S6_NSB_4plusIvEENSB_8equal_toIvEES6_EE10hipError_tPvRmT2_T3_T4_T5_mT6_T7_P12ihipStream_tbENKUlT_T0_E_clISt17integral_constantIbLb0EES13_EEDaSY_SZ_EUlSY_E_NS1_11comp_targetILNS1_3genE10ELNS1_11target_archE1201ELNS1_3gpuE5ELNS1_3repE0EEENS1_30default_config_static_selectorELNS0_4arch9wavefront6targetE0EEEvT1_.uses_vcc, 0
	.set _ZN7rocprim17ROCPRIM_400000_NS6detail17trampoline_kernelINS0_14default_configENS1_27scan_by_key_config_selectorIj11FixedVectorIiLj8EEEEZZNS1_16scan_by_key_implILNS1_25lookback_scan_determinismE0ELb1ES3_N6thrust23THRUST_200600_302600_NS6detail15normal_iteratorINSB_10device_ptrIjEEEENSD_INSE_IS6_EEEESI_S6_NSB_4plusIvEENSB_8equal_toIvEES6_EE10hipError_tPvRmT2_T3_T4_T5_mT6_T7_P12ihipStream_tbENKUlT_T0_E_clISt17integral_constantIbLb0EES13_EEDaSY_SZ_EUlSY_E_NS1_11comp_targetILNS1_3genE10ELNS1_11target_archE1201ELNS1_3gpuE5ELNS1_3repE0EEENS1_30default_config_static_selectorELNS0_4arch9wavefront6targetE0EEEvT1_.uses_flat_scratch, 0
	.set _ZN7rocprim17ROCPRIM_400000_NS6detail17trampoline_kernelINS0_14default_configENS1_27scan_by_key_config_selectorIj11FixedVectorIiLj8EEEEZZNS1_16scan_by_key_implILNS1_25lookback_scan_determinismE0ELb1ES3_N6thrust23THRUST_200600_302600_NS6detail15normal_iteratorINSB_10device_ptrIjEEEENSD_INSE_IS6_EEEESI_S6_NSB_4plusIvEENSB_8equal_toIvEES6_EE10hipError_tPvRmT2_T3_T4_T5_mT6_T7_P12ihipStream_tbENKUlT_T0_E_clISt17integral_constantIbLb0EES13_EEDaSY_SZ_EUlSY_E_NS1_11comp_targetILNS1_3genE10ELNS1_11target_archE1201ELNS1_3gpuE5ELNS1_3repE0EEENS1_30default_config_static_selectorELNS0_4arch9wavefront6targetE0EEEvT1_.has_dyn_sized_stack, 0
	.set _ZN7rocprim17ROCPRIM_400000_NS6detail17trampoline_kernelINS0_14default_configENS1_27scan_by_key_config_selectorIj11FixedVectorIiLj8EEEEZZNS1_16scan_by_key_implILNS1_25lookback_scan_determinismE0ELb1ES3_N6thrust23THRUST_200600_302600_NS6detail15normal_iteratorINSB_10device_ptrIjEEEENSD_INSE_IS6_EEEESI_S6_NSB_4plusIvEENSB_8equal_toIvEES6_EE10hipError_tPvRmT2_T3_T4_T5_mT6_T7_P12ihipStream_tbENKUlT_T0_E_clISt17integral_constantIbLb0EES13_EEDaSY_SZ_EUlSY_E_NS1_11comp_targetILNS1_3genE10ELNS1_11target_archE1201ELNS1_3gpuE5ELNS1_3repE0EEENS1_30default_config_static_selectorELNS0_4arch9wavefront6targetE0EEEvT1_.has_recursion, 0
	.set _ZN7rocprim17ROCPRIM_400000_NS6detail17trampoline_kernelINS0_14default_configENS1_27scan_by_key_config_selectorIj11FixedVectorIiLj8EEEEZZNS1_16scan_by_key_implILNS1_25lookback_scan_determinismE0ELb1ES3_N6thrust23THRUST_200600_302600_NS6detail15normal_iteratorINSB_10device_ptrIjEEEENSD_INSE_IS6_EEEESI_S6_NSB_4plusIvEENSB_8equal_toIvEES6_EE10hipError_tPvRmT2_T3_T4_T5_mT6_T7_P12ihipStream_tbENKUlT_T0_E_clISt17integral_constantIbLb0EES13_EEDaSY_SZ_EUlSY_E_NS1_11comp_targetILNS1_3genE10ELNS1_11target_archE1201ELNS1_3gpuE5ELNS1_3repE0EEENS1_30default_config_static_selectorELNS0_4arch9wavefront6targetE0EEEvT1_.has_indirect_call, 0
	.section	.AMDGPU.csdata,"",@progbits
; Kernel info:
; codeLenInByte = 0
; TotalNumSgprs: 0
; NumVgprs: 0
; ScratchSize: 0
; MemoryBound: 0
; FloatMode: 240
; IeeeMode: 1
; LDSByteSize: 0 bytes/workgroup (compile time only)
; SGPRBlocks: 0
; VGPRBlocks: 0
; NumSGPRsForWavesPerEU: 1
; NumVGPRsForWavesPerEU: 1
; NamedBarCnt: 0
; Occupancy: 16
; WaveLimiterHint : 0
; COMPUTE_PGM_RSRC2:SCRATCH_EN: 0
; COMPUTE_PGM_RSRC2:USER_SGPR: 2
; COMPUTE_PGM_RSRC2:TRAP_HANDLER: 0
; COMPUTE_PGM_RSRC2:TGID_X_EN: 1
; COMPUTE_PGM_RSRC2:TGID_Y_EN: 0
; COMPUTE_PGM_RSRC2:TGID_Z_EN: 0
; COMPUTE_PGM_RSRC2:TIDIG_COMP_CNT: 0
	.section	.text._ZN7rocprim17ROCPRIM_400000_NS6detail17trampoline_kernelINS0_14default_configENS1_27scan_by_key_config_selectorIj11FixedVectorIiLj8EEEEZZNS1_16scan_by_key_implILNS1_25lookback_scan_determinismE0ELb1ES3_N6thrust23THRUST_200600_302600_NS6detail15normal_iteratorINSB_10device_ptrIjEEEENSD_INSE_IS6_EEEESI_S6_NSB_4plusIvEENSB_8equal_toIvEES6_EE10hipError_tPvRmT2_T3_T4_T5_mT6_T7_P12ihipStream_tbENKUlT_T0_E_clISt17integral_constantIbLb0EES13_EEDaSY_SZ_EUlSY_E_NS1_11comp_targetILNS1_3genE5ELNS1_11target_archE942ELNS1_3gpuE9ELNS1_3repE0EEENS1_30default_config_static_selectorELNS0_4arch9wavefront6targetE0EEEvT1_,"axG",@progbits,_ZN7rocprim17ROCPRIM_400000_NS6detail17trampoline_kernelINS0_14default_configENS1_27scan_by_key_config_selectorIj11FixedVectorIiLj8EEEEZZNS1_16scan_by_key_implILNS1_25lookback_scan_determinismE0ELb1ES3_N6thrust23THRUST_200600_302600_NS6detail15normal_iteratorINSB_10device_ptrIjEEEENSD_INSE_IS6_EEEESI_S6_NSB_4plusIvEENSB_8equal_toIvEES6_EE10hipError_tPvRmT2_T3_T4_T5_mT6_T7_P12ihipStream_tbENKUlT_T0_E_clISt17integral_constantIbLb0EES13_EEDaSY_SZ_EUlSY_E_NS1_11comp_targetILNS1_3genE5ELNS1_11target_archE942ELNS1_3gpuE9ELNS1_3repE0EEENS1_30default_config_static_selectorELNS0_4arch9wavefront6targetE0EEEvT1_,comdat
	.protected	_ZN7rocprim17ROCPRIM_400000_NS6detail17trampoline_kernelINS0_14default_configENS1_27scan_by_key_config_selectorIj11FixedVectorIiLj8EEEEZZNS1_16scan_by_key_implILNS1_25lookback_scan_determinismE0ELb1ES3_N6thrust23THRUST_200600_302600_NS6detail15normal_iteratorINSB_10device_ptrIjEEEENSD_INSE_IS6_EEEESI_S6_NSB_4plusIvEENSB_8equal_toIvEES6_EE10hipError_tPvRmT2_T3_T4_T5_mT6_T7_P12ihipStream_tbENKUlT_T0_E_clISt17integral_constantIbLb0EES13_EEDaSY_SZ_EUlSY_E_NS1_11comp_targetILNS1_3genE5ELNS1_11target_archE942ELNS1_3gpuE9ELNS1_3repE0EEENS1_30default_config_static_selectorELNS0_4arch9wavefront6targetE0EEEvT1_ ; -- Begin function _ZN7rocprim17ROCPRIM_400000_NS6detail17trampoline_kernelINS0_14default_configENS1_27scan_by_key_config_selectorIj11FixedVectorIiLj8EEEEZZNS1_16scan_by_key_implILNS1_25lookback_scan_determinismE0ELb1ES3_N6thrust23THRUST_200600_302600_NS6detail15normal_iteratorINSB_10device_ptrIjEEEENSD_INSE_IS6_EEEESI_S6_NSB_4plusIvEENSB_8equal_toIvEES6_EE10hipError_tPvRmT2_T3_T4_T5_mT6_T7_P12ihipStream_tbENKUlT_T0_E_clISt17integral_constantIbLb0EES13_EEDaSY_SZ_EUlSY_E_NS1_11comp_targetILNS1_3genE5ELNS1_11target_archE942ELNS1_3gpuE9ELNS1_3repE0EEENS1_30default_config_static_selectorELNS0_4arch9wavefront6targetE0EEEvT1_
	.globl	_ZN7rocprim17ROCPRIM_400000_NS6detail17trampoline_kernelINS0_14default_configENS1_27scan_by_key_config_selectorIj11FixedVectorIiLj8EEEEZZNS1_16scan_by_key_implILNS1_25lookback_scan_determinismE0ELb1ES3_N6thrust23THRUST_200600_302600_NS6detail15normal_iteratorINSB_10device_ptrIjEEEENSD_INSE_IS6_EEEESI_S6_NSB_4plusIvEENSB_8equal_toIvEES6_EE10hipError_tPvRmT2_T3_T4_T5_mT6_T7_P12ihipStream_tbENKUlT_T0_E_clISt17integral_constantIbLb0EES13_EEDaSY_SZ_EUlSY_E_NS1_11comp_targetILNS1_3genE5ELNS1_11target_archE942ELNS1_3gpuE9ELNS1_3repE0EEENS1_30default_config_static_selectorELNS0_4arch9wavefront6targetE0EEEvT1_
	.p2align	8
	.type	_ZN7rocprim17ROCPRIM_400000_NS6detail17trampoline_kernelINS0_14default_configENS1_27scan_by_key_config_selectorIj11FixedVectorIiLj8EEEEZZNS1_16scan_by_key_implILNS1_25lookback_scan_determinismE0ELb1ES3_N6thrust23THRUST_200600_302600_NS6detail15normal_iteratorINSB_10device_ptrIjEEEENSD_INSE_IS6_EEEESI_S6_NSB_4plusIvEENSB_8equal_toIvEES6_EE10hipError_tPvRmT2_T3_T4_T5_mT6_T7_P12ihipStream_tbENKUlT_T0_E_clISt17integral_constantIbLb0EES13_EEDaSY_SZ_EUlSY_E_NS1_11comp_targetILNS1_3genE5ELNS1_11target_archE942ELNS1_3gpuE9ELNS1_3repE0EEENS1_30default_config_static_selectorELNS0_4arch9wavefront6targetE0EEEvT1_,@function
_ZN7rocprim17ROCPRIM_400000_NS6detail17trampoline_kernelINS0_14default_configENS1_27scan_by_key_config_selectorIj11FixedVectorIiLj8EEEEZZNS1_16scan_by_key_implILNS1_25lookback_scan_determinismE0ELb1ES3_N6thrust23THRUST_200600_302600_NS6detail15normal_iteratorINSB_10device_ptrIjEEEENSD_INSE_IS6_EEEESI_S6_NSB_4plusIvEENSB_8equal_toIvEES6_EE10hipError_tPvRmT2_T3_T4_T5_mT6_T7_P12ihipStream_tbENKUlT_T0_E_clISt17integral_constantIbLb0EES13_EEDaSY_SZ_EUlSY_E_NS1_11comp_targetILNS1_3genE5ELNS1_11target_archE942ELNS1_3gpuE9ELNS1_3repE0EEENS1_30default_config_static_selectorELNS0_4arch9wavefront6targetE0EEEvT1_: ; @_ZN7rocprim17ROCPRIM_400000_NS6detail17trampoline_kernelINS0_14default_configENS1_27scan_by_key_config_selectorIj11FixedVectorIiLj8EEEEZZNS1_16scan_by_key_implILNS1_25lookback_scan_determinismE0ELb1ES3_N6thrust23THRUST_200600_302600_NS6detail15normal_iteratorINSB_10device_ptrIjEEEENSD_INSE_IS6_EEEESI_S6_NSB_4plusIvEENSB_8equal_toIvEES6_EE10hipError_tPvRmT2_T3_T4_T5_mT6_T7_P12ihipStream_tbENKUlT_T0_E_clISt17integral_constantIbLb0EES13_EEDaSY_SZ_EUlSY_E_NS1_11comp_targetILNS1_3genE5ELNS1_11target_archE942ELNS1_3gpuE9ELNS1_3repE0EEENS1_30default_config_static_selectorELNS0_4arch9wavefront6targetE0EEEvT1_
; %bb.0:
	.section	.rodata,"a",@progbits
	.p2align	6, 0x0
	.amdhsa_kernel _ZN7rocprim17ROCPRIM_400000_NS6detail17trampoline_kernelINS0_14default_configENS1_27scan_by_key_config_selectorIj11FixedVectorIiLj8EEEEZZNS1_16scan_by_key_implILNS1_25lookback_scan_determinismE0ELb1ES3_N6thrust23THRUST_200600_302600_NS6detail15normal_iteratorINSB_10device_ptrIjEEEENSD_INSE_IS6_EEEESI_S6_NSB_4plusIvEENSB_8equal_toIvEES6_EE10hipError_tPvRmT2_T3_T4_T5_mT6_T7_P12ihipStream_tbENKUlT_T0_E_clISt17integral_constantIbLb0EES13_EEDaSY_SZ_EUlSY_E_NS1_11comp_targetILNS1_3genE5ELNS1_11target_archE942ELNS1_3gpuE9ELNS1_3repE0EEENS1_30default_config_static_selectorELNS0_4arch9wavefront6targetE0EEEvT1_
		.amdhsa_group_segment_fixed_size 0
		.amdhsa_private_segment_fixed_size 0
		.amdhsa_kernarg_size 160
		.amdhsa_user_sgpr_count 2
		.amdhsa_user_sgpr_dispatch_ptr 0
		.amdhsa_user_sgpr_queue_ptr 0
		.amdhsa_user_sgpr_kernarg_segment_ptr 1
		.amdhsa_user_sgpr_dispatch_id 0
		.amdhsa_user_sgpr_kernarg_preload_length 0
		.amdhsa_user_sgpr_kernarg_preload_offset 0
		.amdhsa_user_sgpr_private_segment_size 0
		.amdhsa_wavefront_size32 1
		.amdhsa_uses_dynamic_stack 0
		.amdhsa_enable_private_segment 0
		.amdhsa_system_sgpr_workgroup_id_x 1
		.amdhsa_system_sgpr_workgroup_id_y 0
		.amdhsa_system_sgpr_workgroup_id_z 0
		.amdhsa_system_sgpr_workgroup_info 0
		.amdhsa_system_vgpr_workitem_id 0
		.amdhsa_next_free_vgpr 1
		.amdhsa_next_free_sgpr 1
		.amdhsa_named_barrier_count 0
		.amdhsa_reserve_vcc 0
		.amdhsa_float_round_mode_32 0
		.amdhsa_float_round_mode_16_64 0
		.amdhsa_float_denorm_mode_32 3
		.amdhsa_float_denorm_mode_16_64 3
		.amdhsa_fp16_overflow 0
		.amdhsa_memory_ordered 1
		.amdhsa_forward_progress 1
		.amdhsa_inst_pref_size 0
		.amdhsa_round_robin_scheduling 0
		.amdhsa_exception_fp_ieee_invalid_op 0
		.amdhsa_exception_fp_denorm_src 0
		.amdhsa_exception_fp_ieee_div_zero 0
		.amdhsa_exception_fp_ieee_overflow 0
		.amdhsa_exception_fp_ieee_underflow 0
		.amdhsa_exception_fp_ieee_inexact 0
		.amdhsa_exception_int_div_zero 0
	.end_amdhsa_kernel
	.section	.text._ZN7rocprim17ROCPRIM_400000_NS6detail17trampoline_kernelINS0_14default_configENS1_27scan_by_key_config_selectorIj11FixedVectorIiLj8EEEEZZNS1_16scan_by_key_implILNS1_25lookback_scan_determinismE0ELb1ES3_N6thrust23THRUST_200600_302600_NS6detail15normal_iteratorINSB_10device_ptrIjEEEENSD_INSE_IS6_EEEESI_S6_NSB_4plusIvEENSB_8equal_toIvEES6_EE10hipError_tPvRmT2_T3_T4_T5_mT6_T7_P12ihipStream_tbENKUlT_T0_E_clISt17integral_constantIbLb0EES13_EEDaSY_SZ_EUlSY_E_NS1_11comp_targetILNS1_3genE5ELNS1_11target_archE942ELNS1_3gpuE9ELNS1_3repE0EEENS1_30default_config_static_selectorELNS0_4arch9wavefront6targetE0EEEvT1_,"axG",@progbits,_ZN7rocprim17ROCPRIM_400000_NS6detail17trampoline_kernelINS0_14default_configENS1_27scan_by_key_config_selectorIj11FixedVectorIiLj8EEEEZZNS1_16scan_by_key_implILNS1_25lookback_scan_determinismE0ELb1ES3_N6thrust23THRUST_200600_302600_NS6detail15normal_iteratorINSB_10device_ptrIjEEEENSD_INSE_IS6_EEEESI_S6_NSB_4plusIvEENSB_8equal_toIvEES6_EE10hipError_tPvRmT2_T3_T4_T5_mT6_T7_P12ihipStream_tbENKUlT_T0_E_clISt17integral_constantIbLb0EES13_EEDaSY_SZ_EUlSY_E_NS1_11comp_targetILNS1_3genE5ELNS1_11target_archE942ELNS1_3gpuE9ELNS1_3repE0EEENS1_30default_config_static_selectorELNS0_4arch9wavefront6targetE0EEEvT1_,comdat
.Lfunc_end2159:
	.size	_ZN7rocprim17ROCPRIM_400000_NS6detail17trampoline_kernelINS0_14default_configENS1_27scan_by_key_config_selectorIj11FixedVectorIiLj8EEEEZZNS1_16scan_by_key_implILNS1_25lookback_scan_determinismE0ELb1ES3_N6thrust23THRUST_200600_302600_NS6detail15normal_iteratorINSB_10device_ptrIjEEEENSD_INSE_IS6_EEEESI_S6_NSB_4plusIvEENSB_8equal_toIvEES6_EE10hipError_tPvRmT2_T3_T4_T5_mT6_T7_P12ihipStream_tbENKUlT_T0_E_clISt17integral_constantIbLb0EES13_EEDaSY_SZ_EUlSY_E_NS1_11comp_targetILNS1_3genE5ELNS1_11target_archE942ELNS1_3gpuE9ELNS1_3repE0EEENS1_30default_config_static_selectorELNS0_4arch9wavefront6targetE0EEEvT1_, .Lfunc_end2159-_ZN7rocprim17ROCPRIM_400000_NS6detail17trampoline_kernelINS0_14default_configENS1_27scan_by_key_config_selectorIj11FixedVectorIiLj8EEEEZZNS1_16scan_by_key_implILNS1_25lookback_scan_determinismE0ELb1ES3_N6thrust23THRUST_200600_302600_NS6detail15normal_iteratorINSB_10device_ptrIjEEEENSD_INSE_IS6_EEEESI_S6_NSB_4plusIvEENSB_8equal_toIvEES6_EE10hipError_tPvRmT2_T3_T4_T5_mT6_T7_P12ihipStream_tbENKUlT_T0_E_clISt17integral_constantIbLb0EES13_EEDaSY_SZ_EUlSY_E_NS1_11comp_targetILNS1_3genE5ELNS1_11target_archE942ELNS1_3gpuE9ELNS1_3repE0EEENS1_30default_config_static_selectorELNS0_4arch9wavefront6targetE0EEEvT1_
                                        ; -- End function
	.set _ZN7rocprim17ROCPRIM_400000_NS6detail17trampoline_kernelINS0_14default_configENS1_27scan_by_key_config_selectorIj11FixedVectorIiLj8EEEEZZNS1_16scan_by_key_implILNS1_25lookback_scan_determinismE0ELb1ES3_N6thrust23THRUST_200600_302600_NS6detail15normal_iteratorINSB_10device_ptrIjEEEENSD_INSE_IS6_EEEESI_S6_NSB_4plusIvEENSB_8equal_toIvEES6_EE10hipError_tPvRmT2_T3_T4_T5_mT6_T7_P12ihipStream_tbENKUlT_T0_E_clISt17integral_constantIbLb0EES13_EEDaSY_SZ_EUlSY_E_NS1_11comp_targetILNS1_3genE5ELNS1_11target_archE942ELNS1_3gpuE9ELNS1_3repE0EEENS1_30default_config_static_selectorELNS0_4arch9wavefront6targetE0EEEvT1_.num_vgpr, 0
	.set _ZN7rocprim17ROCPRIM_400000_NS6detail17trampoline_kernelINS0_14default_configENS1_27scan_by_key_config_selectorIj11FixedVectorIiLj8EEEEZZNS1_16scan_by_key_implILNS1_25lookback_scan_determinismE0ELb1ES3_N6thrust23THRUST_200600_302600_NS6detail15normal_iteratorINSB_10device_ptrIjEEEENSD_INSE_IS6_EEEESI_S6_NSB_4plusIvEENSB_8equal_toIvEES6_EE10hipError_tPvRmT2_T3_T4_T5_mT6_T7_P12ihipStream_tbENKUlT_T0_E_clISt17integral_constantIbLb0EES13_EEDaSY_SZ_EUlSY_E_NS1_11comp_targetILNS1_3genE5ELNS1_11target_archE942ELNS1_3gpuE9ELNS1_3repE0EEENS1_30default_config_static_selectorELNS0_4arch9wavefront6targetE0EEEvT1_.num_agpr, 0
	.set _ZN7rocprim17ROCPRIM_400000_NS6detail17trampoline_kernelINS0_14default_configENS1_27scan_by_key_config_selectorIj11FixedVectorIiLj8EEEEZZNS1_16scan_by_key_implILNS1_25lookback_scan_determinismE0ELb1ES3_N6thrust23THRUST_200600_302600_NS6detail15normal_iteratorINSB_10device_ptrIjEEEENSD_INSE_IS6_EEEESI_S6_NSB_4plusIvEENSB_8equal_toIvEES6_EE10hipError_tPvRmT2_T3_T4_T5_mT6_T7_P12ihipStream_tbENKUlT_T0_E_clISt17integral_constantIbLb0EES13_EEDaSY_SZ_EUlSY_E_NS1_11comp_targetILNS1_3genE5ELNS1_11target_archE942ELNS1_3gpuE9ELNS1_3repE0EEENS1_30default_config_static_selectorELNS0_4arch9wavefront6targetE0EEEvT1_.numbered_sgpr, 0
	.set _ZN7rocprim17ROCPRIM_400000_NS6detail17trampoline_kernelINS0_14default_configENS1_27scan_by_key_config_selectorIj11FixedVectorIiLj8EEEEZZNS1_16scan_by_key_implILNS1_25lookback_scan_determinismE0ELb1ES3_N6thrust23THRUST_200600_302600_NS6detail15normal_iteratorINSB_10device_ptrIjEEEENSD_INSE_IS6_EEEESI_S6_NSB_4plusIvEENSB_8equal_toIvEES6_EE10hipError_tPvRmT2_T3_T4_T5_mT6_T7_P12ihipStream_tbENKUlT_T0_E_clISt17integral_constantIbLb0EES13_EEDaSY_SZ_EUlSY_E_NS1_11comp_targetILNS1_3genE5ELNS1_11target_archE942ELNS1_3gpuE9ELNS1_3repE0EEENS1_30default_config_static_selectorELNS0_4arch9wavefront6targetE0EEEvT1_.num_named_barrier, 0
	.set _ZN7rocprim17ROCPRIM_400000_NS6detail17trampoline_kernelINS0_14default_configENS1_27scan_by_key_config_selectorIj11FixedVectorIiLj8EEEEZZNS1_16scan_by_key_implILNS1_25lookback_scan_determinismE0ELb1ES3_N6thrust23THRUST_200600_302600_NS6detail15normal_iteratorINSB_10device_ptrIjEEEENSD_INSE_IS6_EEEESI_S6_NSB_4plusIvEENSB_8equal_toIvEES6_EE10hipError_tPvRmT2_T3_T4_T5_mT6_T7_P12ihipStream_tbENKUlT_T0_E_clISt17integral_constantIbLb0EES13_EEDaSY_SZ_EUlSY_E_NS1_11comp_targetILNS1_3genE5ELNS1_11target_archE942ELNS1_3gpuE9ELNS1_3repE0EEENS1_30default_config_static_selectorELNS0_4arch9wavefront6targetE0EEEvT1_.private_seg_size, 0
	.set _ZN7rocprim17ROCPRIM_400000_NS6detail17trampoline_kernelINS0_14default_configENS1_27scan_by_key_config_selectorIj11FixedVectorIiLj8EEEEZZNS1_16scan_by_key_implILNS1_25lookback_scan_determinismE0ELb1ES3_N6thrust23THRUST_200600_302600_NS6detail15normal_iteratorINSB_10device_ptrIjEEEENSD_INSE_IS6_EEEESI_S6_NSB_4plusIvEENSB_8equal_toIvEES6_EE10hipError_tPvRmT2_T3_T4_T5_mT6_T7_P12ihipStream_tbENKUlT_T0_E_clISt17integral_constantIbLb0EES13_EEDaSY_SZ_EUlSY_E_NS1_11comp_targetILNS1_3genE5ELNS1_11target_archE942ELNS1_3gpuE9ELNS1_3repE0EEENS1_30default_config_static_selectorELNS0_4arch9wavefront6targetE0EEEvT1_.uses_vcc, 0
	.set _ZN7rocprim17ROCPRIM_400000_NS6detail17trampoline_kernelINS0_14default_configENS1_27scan_by_key_config_selectorIj11FixedVectorIiLj8EEEEZZNS1_16scan_by_key_implILNS1_25lookback_scan_determinismE0ELb1ES3_N6thrust23THRUST_200600_302600_NS6detail15normal_iteratorINSB_10device_ptrIjEEEENSD_INSE_IS6_EEEESI_S6_NSB_4plusIvEENSB_8equal_toIvEES6_EE10hipError_tPvRmT2_T3_T4_T5_mT6_T7_P12ihipStream_tbENKUlT_T0_E_clISt17integral_constantIbLb0EES13_EEDaSY_SZ_EUlSY_E_NS1_11comp_targetILNS1_3genE5ELNS1_11target_archE942ELNS1_3gpuE9ELNS1_3repE0EEENS1_30default_config_static_selectorELNS0_4arch9wavefront6targetE0EEEvT1_.uses_flat_scratch, 0
	.set _ZN7rocprim17ROCPRIM_400000_NS6detail17trampoline_kernelINS0_14default_configENS1_27scan_by_key_config_selectorIj11FixedVectorIiLj8EEEEZZNS1_16scan_by_key_implILNS1_25lookback_scan_determinismE0ELb1ES3_N6thrust23THRUST_200600_302600_NS6detail15normal_iteratorINSB_10device_ptrIjEEEENSD_INSE_IS6_EEEESI_S6_NSB_4plusIvEENSB_8equal_toIvEES6_EE10hipError_tPvRmT2_T3_T4_T5_mT6_T7_P12ihipStream_tbENKUlT_T0_E_clISt17integral_constantIbLb0EES13_EEDaSY_SZ_EUlSY_E_NS1_11comp_targetILNS1_3genE5ELNS1_11target_archE942ELNS1_3gpuE9ELNS1_3repE0EEENS1_30default_config_static_selectorELNS0_4arch9wavefront6targetE0EEEvT1_.has_dyn_sized_stack, 0
	.set _ZN7rocprim17ROCPRIM_400000_NS6detail17trampoline_kernelINS0_14default_configENS1_27scan_by_key_config_selectorIj11FixedVectorIiLj8EEEEZZNS1_16scan_by_key_implILNS1_25lookback_scan_determinismE0ELb1ES3_N6thrust23THRUST_200600_302600_NS6detail15normal_iteratorINSB_10device_ptrIjEEEENSD_INSE_IS6_EEEESI_S6_NSB_4plusIvEENSB_8equal_toIvEES6_EE10hipError_tPvRmT2_T3_T4_T5_mT6_T7_P12ihipStream_tbENKUlT_T0_E_clISt17integral_constantIbLb0EES13_EEDaSY_SZ_EUlSY_E_NS1_11comp_targetILNS1_3genE5ELNS1_11target_archE942ELNS1_3gpuE9ELNS1_3repE0EEENS1_30default_config_static_selectorELNS0_4arch9wavefront6targetE0EEEvT1_.has_recursion, 0
	.set _ZN7rocprim17ROCPRIM_400000_NS6detail17trampoline_kernelINS0_14default_configENS1_27scan_by_key_config_selectorIj11FixedVectorIiLj8EEEEZZNS1_16scan_by_key_implILNS1_25lookback_scan_determinismE0ELb1ES3_N6thrust23THRUST_200600_302600_NS6detail15normal_iteratorINSB_10device_ptrIjEEEENSD_INSE_IS6_EEEESI_S6_NSB_4plusIvEENSB_8equal_toIvEES6_EE10hipError_tPvRmT2_T3_T4_T5_mT6_T7_P12ihipStream_tbENKUlT_T0_E_clISt17integral_constantIbLb0EES13_EEDaSY_SZ_EUlSY_E_NS1_11comp_targetILNS1_3genE5ELNS1_11target_archE942ELNS1_3gpuE9ELNS1_3repE0EEENS1_30default_config_static_selectorELNS0_4arch9wavefront6targetE0EEEvT1_.has_indirect_call, 0
	.section	.AMDGPU.csdata,"",@progbits
; Kernel info:
; codeLenInByte = 0
; TotalNumSgprs: 0
; NumVgprs: 0
; ScratchSize: 0
; MemoryBound: 0
; FloatMode: 240
; IeeeMode: 1
; LDSByteSize: 0 bytes/workgroup (compile time only)
; SGPRBlocks: 0
; VGPRBlocks: 0
; NumSGPRsForWavesPerEU: 1
; NumVGPRsForWavesPerEU: 1
; NamedBarCnt: 0
; Occupancy: 16
; WaveLimiterHint : 0
; COMPUTE_PGM_RSRC2:SCRATCH_EN: 0
; COMPUTE_PGM_RSRC2:USER_SGPR: 2
; COMPUTE_PGM_RSRC2:TRAP_HANDLER: 0
; COMPUTE_PGM_RSRC2:TGID_X_EN: 1
; COMPUTE_PGM_RSRC2:TGID_Y_EN: 0
; COMPUTE_PGM_RSRC2:TGID_Z_EN: 0
; COMPUTE_PGM_RSRC2:TIDIG_COMP_CNT: 0
	.section	.text._ZN7rocprim17ROCPRIM_400000_NS6detail17trampoline_kernelINS0_14default_configENS1_27scan_by_key_config_selectorIj11FixedVectorIiLj8EEEEZZNS1_16scan_by_key_implILNS1_25lookback_scan_determinismE0ELb1ES3_N6thrust23THRUST_200600_302600_NS6detail15normal_iteratorINSB_10device_ptrIjEEEENSD_INSE_IS6_EEEESI_S6_NSB_4plusIvEENSB_8equal_toIvEES6_EE10hipError_tPvRmT2_T3_T4_T5_mT6_T7_P12ihipStream_tbENKUlT_T0_E_clISt17integral_constantIbLb0EES13_EEDaSY_SZ_EUlSY_E_NS1_11comp_targetILNS1_3genE4ELNS1_11target_archE910ELNS1_3gpuE8ELNS1_3repE0EEENS1_30default_config_static_selectorELNS0_4arch9wavefront6targetE0EEEvT1_,"axG",@progbits,_ZN7rocprim17ROCPRIM_400000_NS6detail17trampoline_kernelINS0_14default_configENS1_27scan_by_key_config_selectorIj11FixedVectorIiLj8EEEEZZNS1_16scan_by_key_implILNS1_25lookback_scan_determinismE0ELb1ES3_N6thrust23THRUST_200600_302600_NS6detail15normal_iteratorINSB_10device_ptrIjEEEENSD_INSE_IS6_EEEESI_S6_NSB_4plusIvEENSB_8equal_toIvEES6_EE10hipError_tPvRmT2_T3_T4_T5_mT6_T7_P12ihipStream_tbENKUlT_T0_E_clISt17integral_constantIbLb0EES13_EEDaSY_SZ_EUlSY_E_NS1_11comp_targetILNS1_3genE4ELNS1_11target_archE910ELNS1_3gpuE8ELNS1_3repE0EEENS1_30default_config_static_selectorELNS0_4arch9wavefront6targetE0EEEvT1_,comdat
	.protected	_ZN7rocprim17ROCPRIM_400000_NS6detail17trampoline_kernelINS0_14default_configENS1_27scan_by_key_config_selectorIj11FixedVectorIiLj8EEEEZZNS1_16scan_by_key_implILNS1_25lookback_scan_determinismE0ELb1ES3_N6thrust23THRUST_200600_302600_NS6detail15normal_iteratorINSB_10device_ptrIjEEEENSD_INSE_IS6_EEEESI_S6_NSB_4plusIvEENSB_8equal_toIvEES6_EE10hipError_tPvRmT2_T3_T4_T5_mT6_T7_P12ihipStream_tbENKUlT_T0_E_clISt17integral_constantIbLb0EES13_EEDaSY_SZ_EUlSY_E_NS1_11comp_targetILNS1_3genE4ELNS1_11target_archE910ELNS1_3gpuE8ELNS1_3repE0EEENS1_30default_config_static_selectorELNS0_4arch9wavefront6targetE0EEEvT1_ ; -- Begin function _ZN7rocprim17ROCPRIM_400000_NS6detail17trampoline_kernelINS0_14default_configENS1_27scan_by_key_config_selectorIj11FixedVectorIiLj8EEEEZZNS1_16scan_by_key_implILNS1_25lookback_scan_determinismE0ELb1ES3_N6thrust23THRUST_200600_302600_NS6detail15normal_iteratorINSB_10device_ptrIjEEEENSD_INSE_IS6_EEEESI_S6_NSB_4plusIvEENSB_8equal_toIvEES6_EE10hipError_tPvRmT2_T3_T4_T5_mT6_T7_P12ihipStream_tbENKUlT_T0_E_clISt17integral_constantIbLb0EES13_EEDaSY_SZ_EUlSY_E_NS1_11comp_targetILNS1_3genE4ELNS1_11target_archE910ELNS1_3gpuE8ELNS1_3repE0EEENS1_30default_config_static_selectorELNS0_4arch9wavefront6targetE0EEEvT1_
	.globl	_ZN7rocprim17ROCPRIM_400000_NS6detail17trampoline_kernelINS0_14default_configENS1_27scan_by_key_config_selectorIj11FixedVectorIiLj8EEEEZZNS1_16scan_by_key_implILNS1_25lookback_scan_determinismE0ELb1ES3_N6thrust23THRUST_200600_302600_NS6detail15normal_iteratorINSB_10device_ptrIjEEEENSD_INSE_IS6_EEEESI_S6_NSB_4plusIvEENSB_8equal_toIvEES6_EE10hipError_tPvRmT2_T3_T4_T5_mT6_T7_P12ihipStream_tbENKUlT_T0_E_clISt17integral_constantIbLb0EES13_EEDaSY_SZ_EUlSY_E_NS1_11comp_targetILNS1_3genE4ELNS1_11target_archE910ELNS1_3gpuE8ELNS1_3repE0EEENS1_30default_config_static_selectorELNS0_4arch9wavefront6targetE0EEEvT1_
	.p2align	8
	.type	_ZN7rocprim17ROCPRIM_400000_NS6detail17trampoline_kernelINS0_14default_configENS1_27scan_by_key_config_selectorIj11FixedVectorIiLj8EEEEZZNS1_16scan_by_key_implILNS1_25lookback_scan_determinismE0ELb1ES3_N6thrust23THRUST_200600_302600_NS6detail15normal_iteratorINSB_10device_ptrIjEEEENSD_INSE_IS6_EEEESI_S6_NSB_4plusIvEENSB_8equal_toIvEES6_EE10hipError_tPvRmT2_T3_T4_T5_mT6_T7_P12ihipStream_tbENKUlT_T0_E_clISt17integral_constantIbLb0EES13_EEDaSY_SZ_EUlSY_E_NS1_11comp_targetILNS1_3genE4ELNS1_11target_archE910ELNS1_3gpuE8ELNS1_3repE0EEENS1_30default_config_static_selectorELNS0_4arch9wavefront6targetE0EEEvT1_,@function
_ZN7rocprim17ROCPRIM_400000_NS6detail17trampoline_kernelINS0_14default_configENS1_27scan_by_key_config_selectorIj11FixedVectorIiLj8EEEEZZNS1_16scan_by_key_implILNS1_25lookback_scan_determinismE0ELb1ES3_N6thrust23THRUST_200600_302600_NS6detail15normal_iteratorINSB_10device_ptrIjEEEENSD_INSE_IS6_EEEESI_S6_NSB_4plusIvEENSB_8equal_toIvEES6_EE10hipError_tPvRmT2_T3_T4_T5_mT6_T7_P12ihipStream_tbENKUlT_T0_E_clISt17integral_constantIbLb0EES13_EEDaSY_SZ_EUlSY_E_NS1_11comp_targetILNS1_3genE4ELNS1_11target_archE910ELNS1_3gpuE8ELNS1_3repE0EEENS1_30default_config_static_selectorELNS0_4arch9wavefront6targetE0EEEvT1_: ; @_ZN7rocprim17ROCPRIM_400000_NS6detail17trampoline_kernelINS0_14default_configENS1_27scan_by_key_config_selectorIj11FixedVectorIiLj8EEEEZZNS1_16scan_by_key_implILNS1_25lookback_scan_determinismE0ELb1ES3_N6thrust23THRUST_200600_302600_NS6detail15normal_iteratorINSB_10device_ptrIjEEEENSD_INSE_IS6_EEEESI_S6_NSB_4plusIvEENSB_8equal_toIvEES6_EE10hipError_tPvRmT2_T3_T4_T5_mT6_T7_P12ihipStream_tbENKUlT_T0_E_clISt17integral_constantIbLb0EES13_EEDaSY_SZ_EUlSY_E_NS1_11comp_targetILNS1_3genE4ELNS1_11target_archE910ELNS1_3gpuE8ELNS1_3repE0EEENS1_30default_config_static_selectorELNS0_4arch9wavefront6targetE0EEEvT1_
; %bb.0:
	.section	.rodata,"a",@progbits
	.p2align	6, 0x0
	.amdhsa_kernel _ZN7rocprim17ROCPRIM_400000_NS6detail17trampoline_kernelINS0_14default_configENS1_27scan_by_key_config_selectorIj11FixedVectorIiLj8EEEEZZNS1_16scan_by_key_implILNS1_25lookback_scan_determinismE0ELb1ES3_N6thrust23THRUST_200600_302600_NS6detail15normal_iteratorINSB_10device_ptrIjEEEENSD_INSE_IS6_EEEESI_S6_NSB_4plusIvEENSB_8equal_toIvEES6_EE10hipError_tPvRmT2_T3_T4_T5_mT6_T7_P12ihipStream_tbENKUlT_T0_E_clISt17integral_constantIbLb0EES13_EEDaSY_SZ_EUlSY_E_NS1_11comp_targetILNS1_3genE4ELNS1_11target_archE910ELNS1_3gpuE8ELNS1_3repE0EEENS1_30default_config_static_selectorELNS0_4arch9wavefront6targetE0EEEvT1_
		.amdhsa_group_segment_fixed_size 0
		.amdhsa_private_segment_fixed_size 0
		.amdhsa_kernarg_size 160
		.amdhsa_user_sgpr_count 2
		.amdhsa_user_sgpr_dispatch_ptr 0
		.amdhsa_user_sgpr_queue_ptr 0
		.amdhsa_user_sgpr_kernarg_segment_ptr 1
		.amdhsa_user_sgpr_dispatch_id 0
		.amdhsa_user_sgpr_kernarg_preload_length 0
		.amdhsa_user_sgpr_kernarg_preload_offset 0
		.amdhsa_user_sgpr_private_segment_size 0
		.amdhsa_wavefront_size32 1
		.amdhsa_uses_dynamic_stack 0
		.amdhsa_enable_private_segment 0
		.amdhsa_system_sgpr_workgroup_id_x 1
		.amdhsa_system_sgpr_workgroup_id_y 0
		.amdhsa_system_sgpr_workgroup_id_z 0
		.amdhsa_system_sgpr_workgroup_info 0
		.amdhsa_system_vgpr_workitem_id 0
		.amdhsa_next_free_vgpr 1
		.amdhsa_next_free_sgpr 1
		.amdhsa_named_barrier_count 0
		.amdhsa_reserve_vcc 0
		.amdhsa_float_round_mode_32 0
		.amdhsa_float_round_mode_16_64 0
		.amdhsa_float_denorm_mode_32 3
		.amdhsa_float_denorm_mode_16_64 3
		.amdhsa_fp16_overflow 0
		.amdhsa_memory_ordered 1
		.amdhsa_forward_progress 1
		.amdhsa_inst_pref_size 0
		.amdhsa_round_robin_scheduling 0
		.amdhsa_exception_fp_ieee_invalid_op 0
		.amdhsa_exception_fp_denorm_src 0
		.amdhsa_exception_fp_ieee_div_zero 0
		.amdhsa_exception_fp_ieee_overflow 0
		.amdhsa_exception_fp_ieee_underflow 0
		.amdhsa_exception_fp_ieee_inexact 0
		.amdhsa_exception_int_div_zero 0
	.end_amdhsa_kernel
	.section	.text._ZN7rocprim17ROCPRIM_400000_NS6detail17trampoline_kernelINS0_14default_configENS1_27scan_by_key_config_selectorIj11FixedVectorIiLj8EEEEZZNS1_16scan_by_key_implILNS1_25lookback_scan_determinismE0ELb1ES3_N6thrust23THRUST_200600_302600_NS6detail15normal_iteratorINSB_10device_ptrIjEEEENSD_INSE_IS6_EEEESI_S6_NSB_4plusIvEENSB_8equal_toIvEES6_EE10hipError_tPvRmT2_T3_T4_T5_mT6_T7_P12ihipStream_tbENKUlT_T0_E_clISt17integral_constantIbLb0EES13_EEDaSY_SZ_EUlSY_E_NS1_11comp_targetILNS1_3genE4ELNS1_11target_archE910ELNS1_3gpuE8ELNS1_3repE0EEENS1_30default_config_static_selectorELNS0_4arch9wavefront6targetE0EEEvT1_,"axG",@progbits,_ZN7rocprim17ROCPRIM_400000_NS6detail17trampoline_kernelINS0_14default_configENS1_27scan_by_key_config_selectorIj11FixedVectorIiLj8EEEEZZNS1_16scan_by_key_implILNS1_25lookback_scan_determinismE0ELb1ES3_N6thrust23THRUST_200600_302600_NS6detail15normal_iteratorINSB_10device_ptrIjEEEENSD_INSE_IS6_EEEESI_S6_NSB_4plusIvEENSB_8equal_toIvEES6_EE10hipError_tPvRmT2_T3_T4_T5_mT6_T7_P12ihipStream_tbENKUlT_T0_E_clISt17integral_constantIbLb0EES13_EEDaSY_SZ_EUlSY_E_NS1_11comp_targetILNS1_3genE4ELNS1_11target_archE910ELNS1_3gpuE8ELNS1_3repE0EEENS1_30default_config_static_selectorELNS0_4arch9wavefront6targetE0EEEvT1_,comdat
.Lfunc_end2160:
	.size	_ZN7rocprim17ROCPRIM_400000_NS6detail17trampoline_kernelINS0_14default_configENS1_27scan_by_key_config_selectorIj11FixedVectorIiLj8EEEEZZNS1_16scan_by_key_implILNS1_25lookback_scan_determinismE0ELb1ES3_N6thrust23THRUST_200600_302600_NS6detail15normal_iteratorINSB_10device_ptrIjEEEENSD_INSE_IS6_EEEESI_S6_NSB_4plusIvEENSB_8equal_toIvEES6_EE10hipError_tPvRmT2_T3_T4_T5_mT6_T7_P12ihipStream_tbENKUlT_T0_E_clISt17integral_constantIbLb0EES13_EEDaSY_SZ_EUlSY_E_NS1_11comp_targetILNS1_3genE4ELNS1_11target_archE910ELNS1_3gpuE8ELNS1_3repE0EEENS1_30default_config_static_selectorELNS0_4arch9wavefront6targetE0EEEvT1_, .Lfunc_end2160-_ZN7rocprim17ROCPRIM_400000_NS6detail17trampoline_kernelINS0_14default_configENS1_27scan_by_key_config_selectorIj11FixedVectorIiLj8EEEEZZNS1_16scan_by_key_implILNS1_25lookback_scan_determinismE0ELb1ES3_N6thrust23THRUST_200600_302600_NS6detail15normal_iteratorINSB_10device_ptrIjEEEENSD_INSE_IS6_EEEESI_S6_NSB_4plusIvEENSB_8equal_toIvEES6_EE10hipError_tPvRmT2_T3_T4_T5_mT6_T7_P12ihipStream_tbENKUlT_T0_E_clISt17integral_constantIbLb0EES13_EEDaSY_SZ_EUlSY_E_NS1_11comp_targetILNS1_3genE4ELNS1_11target_archE910ELNS1_3gpuE8ELNS1_3repE0EEENS1_30default_config_static_selectorELNS0_4arch9wavefront6targetE0EEEvT1_
                                        ; -- End function
	.set _ZN7rocprim17ROCPRIM_400000_NS6detail17trampoline_kernelINS0_14default_configENS1_27scan_by_key_config_selectorIj11FixedVectorIiLj8EEEEZZNS1_16scan_by_key_implILNS1_25lookback_scan_determinismE0ELb1ES3_N6thrust23THRUST_200600_302600_NS6detail15normal_iteratorINSB_10device_ptrIjEEEENSD_INSE_IS6_EEEESI_S6_NSB_4plusIvEENSB_8equal_toIvEES6_EE10hipError_tPvRmT2_T3_T4_T5_mT6_T7_P12ihipStream_tbENKUlT_T0_E_clISt17integral_constantIbLb0EES13_EEDaSY_SZ_EUlSY_E_NS1_11comp_targetILNS1_3genE4ELNS1_11target_archE910ELNS1_3gpuE8ELNS1_3repE0EEENS1_30default_config_static_selectorELNS0_4arch9wavefront6targetE0EEEvT1_.num_vgpr, 0
	.set _ZN7rocprim17ROCPRIM_400000_NS6detail17trampoline_kernelINS0_14default_configENS1_27scan_by_key_config_selectorIj11FixedVectorIiLj8EEEEZZNS1_16scan_by_key_implILNS1_25lookback_scan_determinismE0ELb1ES3_N6thrust23THRUST_200600_302600_NS6detail15normal_iteratorINSB_10device_ptrIjEEEENSD_INSE_IS6_EEEESI_S6_NSB_4plusIvEENSB_8equal_toIvEES6_EE10hipError_tPvRmT2_T3_T4_T5_mT6_T7_P12ihipStream_tbENKUlT_T0_E_clISt17integral_constantIbLb0EES13_EEDaSY_SZ_EUlSY_E_NS1_11comp_targetILNS1_3genE4ELNS1_11target_archE910ELNS1_3gpuE8ELNS1_3repE0EEENS1_30default_config_static_selectorELNS0_4arch9wavefront6targetE0EEEvT1_.num_agpr, 0
	.set _ZN7rocprim17ROCPRIM_400000_NS6detail17trampoline_kernelINS0_14default_configENS1_27scan_by_key_config_selectorIj11FixedVectorIiLj8EEEEZZNS1_16scan_by_key_implILNS1_25lookback_scan_determinismE0ELb1ES3_N6thrust23THRUST_200600_302600_NS6detail15normal_iteratorINSB_10device_ptrIjEEEENSD_INSE_IS6_EEEESI_S6_NSB_4plusIvEENSB_8equal_toIvEES6_EE10hipError_tPvRmT2_T3_T4_T5_mT6_T7_P12ihipStream_tbENKUlT_T0_E_clISt17integral_constantIbLb0EES13_EEDaSY_SZ_EUlSY_E_NS1_11comp_targetILNS1_3genE4ELNS1_11target_archE910ELNS1_3gpuE8ELNS1_3repE0EEENS1_30default_config_static_selectorELNS0_4arch9wavefront6targetE0EEEvT1_.numbered_sgpr, 0
	.set _ZN7rocprim17ROCPRIM_400000_NS6detail17trampoline_kernelINS0_14default_configENS1_27scan_by_key_config_selectorIj11FixedVectorIiLj8EEEEZZNS1_16scan_by_key_implILNS1_25lookback_scan_determinismE0ELb1ES3_N6thrust23THRUST_200600_302600_NS6detail15normal_iteratorINSB_10device_ptrIjEEEENSD_INSE_IS6_EEEESI_S6_NSB_4plusIvEENSB_8equal_toIvEES6_EE10hipError_tPvRmT2_T3_T4_T5_mT6_T7_P12ihipStream_tbENKUlT_T0_E_clISt17integral_constantIbLb0EES13_EEDaSY_SZ_EUlSY_E_NS1_11comp_targetILNS1_3genE4ELNS1_11target_archE910ELNS1_3gpuE8ELNS1_3repE0EEENS1_30default_config_static_selectorELNS0_4arch9wavefront6targetE0EEEvT1_.num_named_barrier, 0
	.set _ZN7rocprim17ROCPRIM_400000_NS6detail17trampoline_kernelINS0_14default_configENS1_27scan_by_key_config_selectorIj11FixedVectorIiLj8EEEEZZNS1_16scan_by_key_implILNS1_25lookback_scan_determinismE0ELb1ES3_N6thrust23THRUST_200600_302600_NS6detail15normal_iteratorINSB_10device_ptrIjEEEENSD_INSE_IS6_EEEESI_S6_NSB_4plusIvEENSB_8equal_toIvEES6_EE10hipError_tPvRmT2_T3_T4_T5_mT6_T7_P12ihipStream_tbENKUlT_T0_E_clISt17integral_constantIbLb0EES13_EEDaSY_SZ_EUlSY_E_NS1_11comp_targetILNS1_3genE4ELNS1_11target_archE910ELNS1_3gpuE8ELNS1_3repE0EEENS1_30default_config_static_selectorELNS0_4arch9wavefront6targetE0EEEvT1_.private_seg_size, 0
	.set _ZN7rocprim17ROCPRIM_400000_NS6detail17trampoline_kernelINS0_14default_configENS1_27scan_by_key_config_selectorIj11FixedVectorIiLj8EEEEZZNS1_16scan_by_key_implILNS1_25lookback_scan_determinismE0ELb1ES3_N6thrust23THRUST_200600_302600_NS6detail15normal_iteratorINSB_10device_ptrIjEEEENSD_INSE_IS6_EEEESI_S6_NSB_4plusIvEENSB_8equal_toIvEES6_EE10hipError_tPvRmT2_T3_T4_T5_mT6_T7_P12ihipStream_tbENKUlT_T0_E_clISt17integral_constantIbLb0EES13_EEDaSY_SZ_EUlSY_E_NS1_11comp_targetILNS1_3genE4ELNS1_11target_archE910ELNS1_3gpuE8ELNS1_3repE0EEENS1_30default_config_static_selectorELNS0_4arch9wavefront6targetE0EEEvT1_.uses_vcc, 0
	.set _ZN7rocprim17ROCPRIM_400000_NS6detail17trampoline_kernelINS0_14default_configENS1_27scan_by_key_config_selectorIj11FixedVectorIiLj8EEEEZZNS1_16scan_by_key_implILNS1_25lookback_scan_determinismE0ELb1ES3_N6thrust23THRUST_200600_302600_NS6detail15normal_iteratorINSB_10device_ptrIjEEEENSD_INSE_IS6_EEEESI_S6_NSB_4plusIvEENSB_8equal_toIvEES6_EE10hipError_tPvRmT2_T3_T4_T5_mT6_T7_P12ihipStream_tbENKUlT_T0_E_clISt17integral_constantIbLb0EES13_EEDaSY_SZ_EUlSY_E_NS1_11comp_targetILNS1_3genE4ELNS1_11target_archE910ELNS1_3gpuE8ELNS1_3repE0EEENS1_30default_config_static_selectorELNS0_4arch9wavefront6targetE0EEEvT1_.uses_flat_scratch, 0
	.set _ZN7rocprim17ROCPRIM_400000_NS6detail17trampoline_kernelINS0_14default_configENS1_27scan_by_key_config_selectorIj11FixedVectorIiLj8EEEEZZNS1_16scan_by_key_implILNS1_25lookback_scan_determinismE0ELb1ES3_N6thrust23THRUST_200600_302600_NS6detail15normal_iteratorINSB_10device_ptrIjEEEENSD_INSE_IS6_EEEESI_S6_NSB_4plusIvEENSB_8equal_toIvEES6_EE10hipError_tPvRmT2_T3_T4_T5_mT6_T7_P12ihipStream_tbENKUlT_T0_E_clISt17integral_constantIbLb0EES13_EEDaSY_SZ_EUlSY_E_NS1_11comp_targetILNS1_3genE4ELNS1_11target_archE910ELNS1_3gpuE8ELNS1_3repE0EEENS1_30default_config_static_selectorELNS0_4arch9wavefront6targetE0EEEvT1_.has_dyn_sized_stack, 0
	.set _ZN7rocprim17ROCPRIM_400000_NS6detail17trampoline_kernelINS0_14default_configENS1_27scan_by_key_config_selectorIj11FixedVectorIiLj8EEEEZZNS1_16scan_by_key_implILNS1_25lookback_scan_determinismE0ELb1ES3_N6thrust23THRUST_200600_302600_NS6detail15normal_iteratorINSB_10device_ptrIjEEEENSD_INSE_IS6_EEEESI_S6_NSB_4plusIvEENSB_8equal_toIvEES6_EE10hipError_tPvRmT2_T3_T4_T5_mT6_T7_P12ihipStream_tbENKUlT_T0_E_clISt17integral_constantIbLb0EES13_EEDaSY_SZ_EUlSY_E_NS1_11comp_targetILNS1_3genE4ELNS1_11target_archE910ELNS1_3gpuE8ELNS1_3repE0EEENS1_30default_config_static_selectorELNS0_4arch9wavefront6targetE0EEEvT1_.has_recursion, 0
	.set _ZN7rocprim17ROCPRIM_400000_NS6detail17trampoline_kernelINS0_14default_configENS1_27scan_by_key_config_selectorIj11FixedVectorIiLj8EEEEZZNS1_16scan_by_key_implILNS1_25lookback_scan_determinismE0ELb1ES3_N6thrust23THRUST_200600_302600_NS6detail15normal_iteratorINSB_10device_ptrIjEEEENSD_INSE_IS6_EEEESI_S6_NSB_4plusIvEENSB_8equal_toIvEES6_EE10hipError_tPvRmT2_T3_T4_T5_mT6_T7_P12ihipStream_tbENKUlT_T0_E_clISt17integral_constantIbLb0EES13_EEDaSY_SZ_EUlSY_E_NS1_11comp_targetILNS1_3genE4ELNS1_11target_archE910ELNS1_3gpuE8ELNS1_3repE0EEENS1_30default_config_static_selectorELNS0_4arch9wavefront6targetE0EEEvT1_.has_indirect_call, 0
	.section	.AMDGPU.csdata,"",@progbits
; Kernel info:
; codeLenInByte = 0
; TotalNumSgprs: 0
; NumVgprs: 0
; ScratchSize: 0
; MemoryBound: 0
; FloatMode: 240
; IeeeMode: 1
; LDSByteSize: 0 bytes/workgroup (compile time only)
; SGPRBlocks: 0
; VGPRBlocks: 0
; NumSGPRsForWavesPerEU: 1
; NumVGPRsForWavesPerEU: 1
; NamedBarCnt: 0
; Occupancy: 16
; WaveLimiterHint : 0
; COMPUTE_PGM_RSRC2:SCRATCH_EN: 0
; COMPUTE_PGM_RSRC2:USER_SGPR: 2
; COMPUTE_PGM_RSRC2:TRAP_HANDLER: 0
; COMPUTE_PGM_RSRC2:TGID_X_EN: 1
; COMPUTE_PGM_RSRC2:TGID_Y_EN: 0
; COMPUTE_PGM_RSRC2:TGID_Z_EN: 0
; COMPUTE_PGM_RSRC2:TIDIG_COMP_CNT: 0
	.section	.text._ZN7rocprim17ROCPRIM_400000_NS6detail17trampoline_kernelINS0_14default_configENS1_27scan_by_key_config_selectorIj11FixedVectorIiLj8EEEEZZNS1_16scan_by_key_implILNS1_25lookback_scan_determinismE0ELb1ES3_N6thrust23THRUST_200600_302600_NS6detail15normal_iteratorINSB_10device_ptrIjEEEENSD_INSE_IS6_EEEESI_S6_NSB_4plusIvEENSB_8equal_toIvEES6_EE10hipError_tPvRmT2_T3_T4_T5_mT6_T7_P12ihipStream_tbENKUlT_T0_E_clISt17integral_constantIbLb0EES13_EEDaSY_SZ_EUlSY_E_NS1_11comp_targetILNS1_3genE3ELNS1_11target_archE908ELNS1_3gpuE7ELNS1_3repE0EEENS1_30default_config_static_selectorELNS0_4arch9wavefront6targetE0EEEvT1_,"axG",@progbits,_ZN7rocprim17ROCPRIM_400000_NS6detail17trampoline_kernelINS0_14default_configENS1_27scan_by_key_config_selectorIj11FixedVectorIiLj8EEEEZZNS1_16scan_by_key_implILNS1_25lookback_scan_determinismE0ELb1ES3_N6thrust23THRUST_200600_302600_NS6detail15normal_iteratorINSB_10device_ptrIjEEEENSD_INSE_IS6_EEEESI_S6_NSB_4plusIvEENSB_8equal_toIvEES6_EE10hipError_tPvRmT2_T3_T4_T5_mT6_T7_P12ihipStream_tbENKUlT_T0_E_clISt17integral_constantIbLb0EES13_EEDaSY_SZ_EUlSY_E_NS1_11comp_targetILNS1_3genE3ELNS1_11target_archE908ELNS1_3gpuE7ELNS1_3repE0EEENS1_30default_config_static_selectorELNS0_4arch9wavefront6targetE0EEEvT1_,comdat
	.protected	_ZN7rocprim17ROCPRIM_400000_NS6detail17trampoline_kernelINS0_14default_configENS1_27scan_by_key_config_selectorIj11FixedVectorIiLj8EEEEZZNS1_16scan_by_key_implILNS1_25lookback_scan_determinismE0ELb1ES3_N6thrust23THRUST_200600_302600_NS6detail15normal_iteratorINSB_10device_ptrIjEEEENSD_INSE_IS6_EEEESI_S6_NSB_4plusIvEENSB_8equal_toIvEES6_EE10hipError_tPvRmT2_T3_T4_T5_mT6_T7_P12ihipStream_tbENKUlT_T0_E_clISt17integral_constantIbLb0EES13_EEDaSY_SZ_EUlSY_E_NS1_11comp_targetILNS1_3genE3ELNS1_11target_archE908ELNS1_3gpuE7ELNS1_3repE0EEENS1_30default_config_static_selectorELNS0_4arch9wavefront6targetE0EEEvT1_ ; -- Begin function _ZN7rocprim17ROCPRIM_400000_NS6detail17trampoline_kernelINS0_14default_configENS1_27scan_by_key_config_selectorIj11FixedVectorIiLj8EEEEZZNS1_16scan_by_key_implILNS1_25lookback_scan_determinismE0ELb1ES3_N6thrust23THRUST_200600_302600_NS6detail15normal_iteratorINSB_10device_ptrIjEEEENSD_INSE_IS6_EEEESI_S6_NSB_4plusIvEENSB_8equal_toIvEES6_EE10hipError_tPvRmT2_T3_T4_T5_mT6_T7_P12ihipStream_tbENKUlT_T0_E_clISt17integral_constantIbLb0EES13_EEDaSY_SZ_EUlSY_E_NS1_11comp_targetILNS1_3genE3ELNS1_11target_archE908ELNS1_3gpuE7ELNS1_3repE0EEENS1_30default_config_static_selectorELNS0_4arch9wavefront6targetE0EEEvT1_
	.globl	_ZN7rocprim17ROCPRIM_400000_NS6detail17trampoline_kernelINS0_14default_configENS1_27scan_by_key_config_selectorIj11FixedVectorIiLj8EEEEZZNS1_16scan_by_key_implILNS1_25lookback_scan_determinismE0ELb1ES3_N6thrust23THRUST_200600_302600_NS6detail15normal_iteratorINSB_10device_ptrIjEEEENSD_INSE_IS6_EEEESI_S6_NSB_4plusIvEENSB_8equal_toIvEES6_EE10hipError_tPvRmT2_T3_T4_T5_mT6_T7_P12ihipStream_tbENKUlT_T0_E_clISt17integral_constantIbLb0EES13_EEDaSY_SZ_EUlSY_E_NS1_11comp_targetILNS1_3genE3ELNS1_11target_archE908ELNS1_3gpuE7ELNS1_3repE0EEENS1_30default_config_static_selectorELNS0_4arch9wavefront6targetE0EEEvT1_
	.p2align	8
	.type	_ZN7rocprim17ROCPRIM_400000_NS6detail17trampoline_kernelINS0_14default_configENS1_27scan_by_key_config_selectorIj11FixedVectorIiLj8EEEEZZNS1_16scan_by_key_implILNS1_25lookback_scan_determinismE0ELb1ES3_N6thrust23THRUST_200600_302600_NS6detail15normal_iteratorINSB_10device_ptrIjEEEENSD_INSE_IS6_EEEESI_S6_NSB_4plusIvEENSB_8equal_toIvEES6_EE10hipError_tPvRmT2_T3_T4_T5_mT6_T7_P12ihipStream_tbENKUlT_T0_E_clISt17integral_constantIbLb0EES13_EEDaSY_SZ_EUlSY_E_NS1_11comp_targetILNS1_3genE3ELNS1_11target_archE908ELNS1_3gpuE7ELNS1_3repE0EEENS1_30default_config_static_selectorELNS0_4arch9wavefront6targetE0EEEvT1_,@function
_ZN7rocprim17ROCPRIM_400000_NS6detail17trampoline_kernelINS0_14default_configENS1_27scan_by_key_config_selectorIj11FixedVectorIiLj8EEEEZZNS1_16scan_by_key_implILNS1_25lookback_scan_determinismE0ELb1ES3_N6thrust23THRUST_200600_302600_NS6detail15normal_iteratorINSB_10device_ptrIjEEEENSD_INSE_IS6_EEEESI_S6_NSB_4plusIvEENSB_8equal_toIvEES6_EE10hipError_tPvRmT2_T3_T4_T5_mT6_T7_P12ihipStream_tbENKUlT_T0_E_clISt17integral_constantIbLb0EES13_EEDaSY_SZ_EUlSY_E_NS1_11comp_targetILNS1_3genE3ELNS1_11target_archE908ELNS1_3gpuE7ELNS1_3repE0EEENS1_30default_config_static_selectorELNS0_4arch9wavefront6targetE0EEEvT1_: ; @_ZN7rocprim17ROCPRIM_400000_NS6detail17trampoline_kernelINS0_14default_configENS1_27scan_by_key_config_selectorIj11FixedVectorIiLj8EEEEZZNS1_16scan_by_key_implILNS1_25lookback_scan_determinismE0ELb1ES3_N6thrust23THRUST_200600_302600_NS6detail15normal_iteratorINSB_10device_ptrIjEEEENSD_INSE_IS6_EEEESI_S6_NSB_4plusIvEENSB_8equal_toIvEES6_EE10hipError_tPvRmT2_T3_T4_T5_mT6_T7_P12ihipStream_tbENKUlT_T0_E_clISt17integral_constantIbLb0EES13_EEDaSY_SZ_EUlSY_E_NS1_11comp_targetILNS1_3genE3ELNS1_11target_archE908ELNS1_3gpuE7ELNS1_3repE0EEENS1_30default_config_static_selectorELNS0_4arch9wavefront6targetE0EEEvT1_
; %bb.0:
	.section	.rodata,"a",@progbits
	.p2align	6, 0x0
	.amdhsa_kernel _ZN7rocprim17ROCPRIM_400000_NS6detail17trampoline_kernelINS0_14default_configENS1_27scan_by_key_config_selectorIj11FixedVectorIiLj8EEEEZZNS1_16scan_by_key_implILNS1_25lookback_scan_determinismE0ELb1ES3_N6thrust23THRUST_200600_302600_NS6detail15normal_iteratorINSB_10device_ptrIjEEEENSD_INSE_IS6_EEEESI_S6_NSB_4plusIvEENSB_8equal_toIvEES6_EE10hipError_tPvRmT2_T3_T4_T5_mT6_T7_P12ihipStream_tbENKUlT_T0_E_clISt17integral_constantIbLb0EES13_EEDaSY_SZ_EUlSY_E_NS1_11comp_targetILNS1_3genE3ELNS1_11target_archE908ELNS1_3gpuE7ELNS1_3repE0EEENS1_30default_config_static_selectorELNS0_4arch9wavefront6targetE0EEEvT1_
		.amdhsa_group_segment_fixed_size 0
		.amdhsa_private_segment_fixed_size 0
		.amdhsa_kernarg_size 160
		.amdhsa_user_sgpr_count 2
		.amdhsa_user_sgpr_dispatch_ptr 0
		.amdhsa_user_sgpr_queue_ptr 0
		.amdhsa_user_sgpr_kernarg_segment_ptr 1
		.amdhsa_user_sgpr_dispatch_id 0
		.amdhsa_user_sgpr_kernarg_preload_length 0
		.amdhsa_user_sgpr_kernarg_preload_offset 0
		.amdhsa_user_sgpr_private_segment_size 0
		.amdhsa_wavefront_size32 1
		.amdhsa_uses_dynamic_stack 0
		.amdhsa_enable_private_segment 0
		.amdhsa_system_sgpr_workgroup_id_x 1
		.amdhsa_system_sgpr_workgroup_id_y 0
		.amdhsa_system_sgpr_workgroup_id_z 0
		.amdhsa_system_sgpr_workgroup_info 0
		.amdhsa_system_vgpr_workitem_id 0
		.amdhsa_next_free_vgpr 1
		.amdhsa_next_free_sgpr 1
		.amdhsa_named_barrier_count 0
		.amdhsa_reserve_vcc 0
		.amdhsa_float_round_mode_32 0
		.amdhsa_float_round_mode_16_64 0
		.amdhsa_float_denorm_mode_32 3
		.amdhsa_float_denorm_mode_16_64 3
		.amdhsa_fp16_overflow 0
		.amdhsa_memory_ordered 1
		.amdhsa_forward_progress 1
		.amdhsa_inst_pref_size 0
		.amdhsa_round_robin_scheduling 0
		.amdhsa_exception_fp_ieee_invalid_op 0
		.amdhsa_exception_fp_denorm_src 0
		.amdhsa_exception_fp_ieee_div_zero 0
		.amdhsa_exception_fp_ieee_overflow 0
		.amdhsa_exception_fp_ieee_underflow 0
		.amdhsa_exception_fp_ieee_inexact 0
		.amdhsa_exception_int_div_zero 0
	.end_amdhsa_kernel
	.section	.text._ZN7rocprim17ROCPRIM_400000_NS6detail17trampoline_kernelINS0_14default_configENS1_27scan_by_key_config_selectorIj11FixedVectorIiLj8EEEEZZNS1_16scan_by_key_implILNS1_25lookback_scan_determinismE0ELb1ES3_N6thrust23THRUST_200600_302600_NS6detail15normal_iteratorINSB_10device_ptrIjEEEENSD_INSE_IS6_EEEESI_S6_NSB_4plusIvEENSB_8equal_toIvEES6_EE10hipError_tPvRmT2_T3_T4_T5_mT6_T7_P12ihipStream_tbENKUlT_T0_E_clISt17integral_constantIbLb0EES13_EEDaSY_SZ_EUlSY_E_NS1_11comp_targetILNS1_3genE3ELNS1_11target_archE908ELNS1_3gpuE7ELNS1_3repE0EEENS1_30default_config_static_selectorELNS0_4arch9wavefront6targetE0EEEvT1_,"axG",@progbits,_ZN7rocprim17ROCPRIM_400000_NS6detail17trampoline_kernelINS0_14default_configENS1_27scan_by_key_config_selectorIj11FixedVectorIiLj8EEEEZZNS1_16scan_by_key_implILNS1_25lookback_scan_determinismE0ELb1ES3_N6thrust23THRUST_200600_302600_NS6detail15normal_iteratorINSB_10device_ptrIjEEEENSD_INSE_IS6_EEEESI_S6_NSB_4plusIvEENSB_8equal_toIvEES6_EE10hipError_tPvRmT2_T3_T4_T5_mT6_T7_P12ihipStream_tbENKUlT_T0_E_clISt17integral_constantIbLb0EES13_EEDaSY_SZ_EUlSY_E_NS1_11comp_targetILNS1_3genE3ELNS1_11target_archE908ELNS1_3gpuE7ELNS1_3repE0EEENS1_30default_config_static_selectorELNS0_4arch9wavefront6targetE0EEEvT1_,comdat
.Lfunc_end2161:
	.size	_ZN7rocprim17ROCPRIM_400000_NS6detail17trampoline_kernelINS0_14default_configENS1_27scan_by_key_config_selectorIj11FixedVectorIiLj8EEEEZZNS1_16scan_by_key_implILNS1_25lookback_scan_determinismE0ELb1ES3_N6thrust23THRUST_200600_302600_NS6detail15normal_iteratorINSB_10device_ptrIjEEEENSD_INSE_IS6_EEEESI_S6_NSB_4plusIvEENSB_8equal_toIvEES6_EE10hipError_tPvRmT2_T3_T4_T5_mT6_T7_P12ihipStream_tbENKUlT_T0_E_clISt17integral_constantIbLb0EES13_EEDaSY_SZ_EUlSY_E_NS1_11comp_targetILNS1_3genE3ELNS1_11target_archE908ELNS1_3gpuE7ELNS1_3repE0EEENS1_30default_config_static_selectorELNS0_4arch9wavefront6targetE0EEEvT1_, .Lfunc_end2161-_ZN7rocprim17ROCPRIM_400000_NS6detail17trampoline_kernelINS0_14default_configENS1_27scan_by_key_config_selectorIj11FixedVectorIiLj8EEEEZZNS1_16scan_by_key_implILNS1_25lookback_scan_determinismE0ELb1ES3_N6thrust23THRUST_200600_302600_NS6detail15normal_iteratorINSB_10device_ptrIjEEEENSD_INSE_IS6_EEEESI_S6_NSB_4plusIvEENSB_8equal_toIvEES6_EE10hipError_tPvRmT2_T3_T4_T5_mT6_T7_P12ihipStream_tbENKUlT_T0_E_clISt17integral_constantIbLb0EES13_EEDaSY_SZ_EUlSY_E_NS1_11comp_targetILNS1_3genE3ELNS1_11target_archE908ELNS1_3gpuE7ELNS1_3repE0EEENS1_30default_config_static_selectorELNS0_4arch9wavefront6targetE0EEEvT1_
                                        ; -- End function
	.set _ZN7rocprim17ROCPRIM_400000_NS6detail17trampoline_kernelINS0_14default_configENS1_27scan_by_key_config_selectorIj11FixedVectorIiLj8EEEEZZNS1_16scan_by_key_implILNS1_25lookback_scan_determinismE0ELb1ES3_N6thrust23THRUST_200600_302600_NS6detail15normal_iteratorINSB_10device_ptrIjEEEENSD_INSE_IS6_EEEESI_S6_NSB_4plusIvEENSB_8equal_toIvEES6_EE10hipError_tPvRmT2_T3_T4_T5_mT6_T7_P12ihipStream_tbENKUlT_T0_E_clISt17integral_constantIbLb0EES13_EEDaSY_SZ_EUlSY_E_NS1_11comp_targetILNS1_3genE3ELNS1_11target_archE908ELNS1_3gpuE7ELNS1_3repE0EEENS1_30default_config_static_selectorELNS0_4arch9wavefront6targetE0EEEvT1_.num_vgpr, 0
	.set _ZN7rocprim17ROCPRIM_400000_NS6detail17trampoline_kernelINS0_14default_configENS1_27scan_by_key_config_selectorIj11FixedVectorIiLj8EEEEZZNS1_16scan_by_key_implILNS1_25lookback_scan_determinismE0ELb1ES3_N6thrust23THRUST_200600_302600_NS6detail15normal_iteratorINSB_10device_ptrIjEEEENSD_INSE_IS6_EEEESI_S6_NSB_4plusIvEENSB_8equal_toIvEES6_EE10hipError_tPvRmT2_T3_T4_T5_mT6_T7_P12ihipStream_tbENKUlT_T0_E_clISt17integral_constantIbLb0EES13_EEDaSY_SZ_EUlSY_E_NS1_11comp_targetILNS1_3genE3ELNS1_11target_archE908ELNS1_3gpuE7ELNS1_3repE0EEENS1_30default_config_static_selectorELNS0_4arch9wavefront6targetE0EEEvT1_.num_agpr, 0
	.set _ZN7rocprim17ROCPRIM_400000_NS6detail17trampoline_kernelINS0_14default_configENS1_27scan_by_key_config_selectorIj11FixedVectorIiLj8EEEEZZNS1_16scan_by_key_implILNS1_25lookback_scan_determinismE0ELb1ES3_N6thrust23THRUST_200600_302600_NS6detail15normal_iteratorINSB_10device_ptrIjEEEENSD_INSE_IS6_EEEESI_S6_NSB_4plusIvEENSB_8equal_toIvEES6_EE10hipError_tPvRmT2_T3_T4_T5_mT6_T7_P12ihipStream_tbENKUlT_T0_E_clISt17integral_constantIbLb0EES13_EEDaSY_SZ_EUlSY_E_NS1_11comp_targetILNS1_3genE3ELNS1_11target_archE908ELNS1_3gpuE7ELNS1_3repE0EEENS1_30default_config_static_selectorELNS0_4arch9wavefront6targetE0EEEvT1_.numbered_sgpr, 0
	.set _ZN7rocprim17ROCPRIM_400000_NS6detail17trampoline_kernelINS0_14default_configENS1_27scan_by_key_config_selectorIj11FixedVectorIiLj8EEEEZZNS1_16scan_by_key_implILNS1_25lookback_scan_determinismE0ELb1ES3_N6thrust23THRUST_200600_302600_NS6detail15normal_iteratorINSB_10device_ptrIjEEEENSD_INSE_IS6_EEEESI_S6_NSB_4plusIvEENSB_8equal_toIvEES6_EE10hipError_tPvRmT2_T3_T4_T5_mT6_T7_P12ihipStream_tbENKUlT_T0_E_clISt17integral_constantIbLb0EES13_EEDaSY_SZ_EUlSY_E_NS1_11comp_targetILNS1_3genE3ELNS1_11target_archE908ELNS1_3gpuE7ELNS1_3repE0EEENS1_30default_config_static_selectorELNS0_4arch9wavefront6targetE0EEEvT1_.num_named_barrier, 0
	.set _ZN7rocprim17ROCPRIM_400000_NS6detail17trampoline_kernelINS0_14default_configENS1_27scan_by_key_config_selectorIj11FixedVectorIiLj8EEEEZZNS1_16scan_by_key_implILNS1_25lookback_scan_determinismE0ELb1ES3_N6thrust23THRUST_200600_302600_NS6detail15normal_iteratorINSB_10device_ptrIjEEEENSD_INSE_IS6_EEEESI_S6_NSB_4plusIvEENSB_8equal_toIvEES6_EE10hipError_tPvRmT2_T3_T4_T5_mT6_T7_P12ihipStream_tbENKUlT_T0_E_clISt17integral_constantIbLb0EES13_EEDaSY_SZ_EUlSY_E_NS1_11comp_targetILNS1_3genE3ELNS1_11target_archE908ELNS1_3gpuE7ELNS1_3repE0EEENS1_30default_config_static_selectorELNS0_4arch9wavefront6targetE0EEEvT1_.private_seg_size, 0
	.set _ZN7rocprim17ROCPRIM_400000_NS6detail17trampoline_kernelINS0_14default_configENS1_27scan_by_key_config_selectorIj11FixedVectorIiLj8EEEEZZNS1_16scan_by_key_implILNS1_25lookback_scan_determinismE0ELb1ES3_N6thrust23THRUST_200600_302600_NS6detail15normal_iteratorINSB_10device_ptrIjEEEENSD_INSE_IS6_EEEESI_S6_NSB_4plusIvEENSB_8equal_toIvEES6_EE10hipError_tPvRmT2_T3_T4_T5_mT6_T7_P12ihipStream_tbENKUlT_T0_E_clISt17integral_constantIbLb0EES13_EEDaSY_SZ_EUlSY_E_NS1_11comp_targetILNS1_3genE3ELNS1_11target_archE908ELNS1_3gpuE7ELNS1_3repE0EEENS1_30default_config_static_selectorELNS0_4arch9wavefront6targetE0EEEvT1_.uses_vcc, 0
	.set _ZN7rocprim17ROCPRIM_400000_NS6detail17trampoline_kernelINS0_14default_configENS1_27scan_by_key_config_selectorIj11FixedVectorIiLj8EEEEZZNS1_16scan_by_key_implILNS1_25lookback_scan_determinismE0ELb1ES3_N6thrust23THRUST_200600_302600_NS6detail15normal_iteratorINSB_10device_ptrIjEEEENSD_INSE_IS6_EEEESI_S6_NSB_4plusIvEENSB_8equal_toIvEES6_EE10hipError_tPvRmT2_T3_T4_T5_mT6_T7_P12ihipStream_tbENKUlT_T0_E_clISt17integral_constantIbLb0EES13_EEDaSY_SZ_EUlSY_E_NS1_11comp_targetILNS1_3genE3ELNS1_11target_archE908ELNS1_3gpuE7ELNS1_3repE0EEENS1_30default_config_static_selectorELNS0_4arch9wavefront6targetE0EEEvT1_.uses_flat_scratch, 0
	.set _ZN7rocprim17ROCPRIM_400000_NS6detail17trampoline_kernelINS0_14default_configENS1_27scan_by_key_config_selectorIj11FixedVectorIiLj8EEEEZZNS1_16scan_by_key_implILNS1_25lookback_scan_determinismE0ELb1ES3_N6thrust23THRUST_200600_302600_NS6detail15normal_iteratorINSB_10device_ptrIjEEEENSD_INSE_IS6_EEEESI_S6_NSB_4plusIvEENSB_8equal_toIvEES6_EE10hipError_tPvRmT2_T3_T4_T5_mT6_T7_P12ihipStream_tbENKUlT_T0_E_clISt17integral_constantIbLb0EES13_EEDaSY_SZ_EUlSY_E_NS1_11comp_targetILNS1_3genE3ELNS1_11target_archE908ELNS1_3gpuE7ELNS1_3repE0EEENS1_30default_config_static_selectorELNS0_4arch9wavefront6targetE0EEEvT1_.has_dyn_sized_stack, 0
	.set _ZN7rocprim17ROCPRIM_400000_NS6detail17trampoline_kernelINS0_14default_configENS1_27scan_by_key_config_selectorIj11FixedVectorIiLj8EEEEZZNS1_16scan_by_key_implILNS1_25lookback_scan_determinismE0ELb1ES3_N6thrust23THRUST_200600_302600_NS6detail15normal_iteratorINSB_10device_ptrIjEEEENSD_INSE_IS6_EEEESI_S6_NSB_4plusIvEENSB_8equal_toIvEES6_EE10hipError_tPvRmT2_T3_T4_T5_mT6_T7_P12ihipStream_tbENKUlT_T0_E_clISt17integral_constantIbLb0EES13_EEDaSY_SZ_EUlSY_E_NS1_11comp_targetILNS1_3genE3ELNS1_11target_archE908ELNS1_3gpuE7ELNS1_3repE0EEENS1_30default_config_static_selectorELNS0_4arch9wavefront6targetE0EEEvT1_.has_recursion, 0
	.set _ZN7rocprim17ROCPRIM_400000_NS6detail17trampoline_kernelINS0_14default_configENS1_27scan_by_key_config_selectorIj11FixedVectorIiLj8EEEEZZNS1_16scan_by_key_implILNS1_25lookback_scan_determinismE0ELb1ES3_N6thrust23THRUST_200600_302600_NS6detail15normal_iteratorINSB_10device_ptrIjEEEENSD_INSE_IS6_EEEESI_S6_NSB_4plusIvEENSB_8equal_toIvEES6_EE10hipError_tPvRmT2_T3_T4_T5_mT6_T7_P12ihipStream_tbENKUlT_T0_E_clISt17integral_constantIbLb0EES13_EEDaSY_SZ_EUlSY_E_NS1_11comp_targetILNS1_3genE3ELNS1_11target_archE908ELNS1_3gpuE7ELNS1_3repE0EEENS1_30default_config_static_selectorELNS0_4arch9wavefront6targetE0EEEvT1_.has_indirect_call, 0
	.section	.AMDGPU.csdata,"",@progbits
; Kernel info:
; codeLenInByte = 0
; TotalNumSgprs: 0
; NumVgprs: 0
; ScratchSize: 0
; MemoryBound: 0
; FloatMode: 240
; IeeeMode: 1
; LDSByteSize: 0 bytes/workgroup (compile time only)
; SGPRBlocks: 0
; VGPRBlocks: 0
; NumSGPRsForWavesPerEU: 1
; NumVGPRsForWavesPerEU: 1
; NamedBarCnt: 0
; Occupancy: 16
; WaveLimiterHint : 0
; COMPUTE_PGM_RSRC2:SCRATCH_EN: 0
; COMPUTE_PGM_RSRC2:USER_SGPR: 2
; COMPUTE_PGM_RSRC2:TRAP_HANDLER: 0
; COMPUTE_PGM_RSRC2:TGID_X_EN: 1
; COMPUTE_PGM_RSRC2:TGID_Y_EN: 0
; COMPUTE_PGM_RSRC2:TGID_Z_EN: 0
; COMPUTE_PGM_RSRC2:TIDIG_COMP_CNT: 0
	.section	.text._ZN7rocprim17ROCPRIM_400000_NS6detail17trampoline_kernelINS0_14default_configENS1_27scan_by_key_config_selectorIj11FixedVectorIiLj8EEEEZZNS1_16scan_by_key_implILNS1_25lookback_scan_determinismE0ELb1ES3_N6thrust23THRUST_200600_302600_NS6detail15normal_iteratorINSB_10device_ptrIjEEEENSD_INSE_IS6_EEEESI_S6_NSB_4plusIvEENSB_8equal_toIvEES6_EE10hipError_tPvRmT2_T3_T4_T5_mT6_T7_P12ihipStream_tbENKUlT_T0_E_clISt17integral_constantIbLb0EES13_EEDaSY_SZ_EUlSY_E_NS1_11comp_targetILNS1_3genE2ELNS1_11target_archE906ELNS1_3gpuE6ELNS1_3repE0EEENS1_30default_config_static_selectorELNS0_4arch9wavefront6targetE0EEEvT1_,"axG",@progbits,_ZN7rocprim17ROCPRIM_400000_NS6detail17trampoline_kernelINS0_14default_configENS1_27scan_by_key_config_selectorIj11FixedVectorIiLj8EEEEZZNS1_16scan_by_key_implILNS1_25lookback_scan_determinismE0ELb1ES3_N6thrust23THRUST_200600_302600_NS6detail15normal_iteratorINSB_10device_ptrIjEEEENSD_INSE_IS6_EEEESI_S6_NSB_4plusIvEENSB_8equal_toIvEES6_EE10hipError_tPvRmT2_T3_T4_T5_mT6_T7_P12ihipStream_tbENKUlT_T0_E_clISt17integral_constantIbLb0EES13_EEDaSY_SZ_EUlSY_E_NS1_11comp_targetILNS1_3genE2ELNS1_11target_archE906ELNS1_3gpuE6ELNS1_3repE0EEENS1_30default_config_static_selectorELNS0_4arch9wavefront6targetE0EEEvT1_,comdat
	.protected	_ZN7rocprim17ROCPRIM_400000_NS6detail17trampoline_kernelINS0_14default_configENS1_27scan_by_key_config_selectorIj11FixedVectorIiLj8EEEEZZNS1_16scan_by_key_implILNS1_25lookback_scan_determinismE0ELb1ES3_N6thrust23THRUST_200600_302600_NS6detail15normal_iteratorINSB_10device_ptrIjEEEENSD_INSE_IS6_EEEESI_S6_NSB_4plusIvEENSB_8equal_toIvEES6_EE10hipError_tPvRmT2_T3_T4_T5_mT6_T7_P12ihipStream_tbENKUlT_T0_E_clISt17integral_constantIbLb0EES13_EEDaSY_SZ_EUlSY_E_NS1_11comp_targetILNS1_3genE2ELNS1_11target_archE906ELNS1_3gpuE6ELNS1_3repE0EEENS1_30default_config_static_selectorELNS0_4arch9wavefront6targetE0EEEvT1_ ; -- Begin function _ZN7rocprim17ROCPRIM_400000_NS6detail17trampoline_kernelINS0_14default_configENS1_27scan_by_key_config_selectorIj11FixedVectorIiLj8EEEEZZNS1_16scan_by_key_implILNS1_25lookback_scan_determinismE0ELb1ES3_N6thrust23THRUST_200600_302600_NS6detail15normal_iteratorINSB_10device_ptrIjEEEENSD_INSE_IS6_EEEESI_S6_NSB_4plusIvEENSB_8equal_toIvEES6_EE10hipError_tPvRmT2_T3_T4_T5_mT6_T7_P12ihipStream_tbENKUlT_T0_E_clISt17integral_constantIbLb0EES13_EEDaSY_SZ_EUlSY_E_NS1_11comp_targetILNS1_3genE2ELNS1_11target_archE906ELNS1_3gpuE6ELNS1_3repE0EEENS1_30default_config_static_selectorELNS0_4arch9wavefront6targetE0EEEvT1_
	.globl	_ZN7rocprim17ROCPRIM_400000_NS6detail17trampoline_kernelINS0_14default_configENS1_27scan_by_key_config_selectorIj11FixedVectorIiLj8EEEEZZNS1_16scan_by_key_implILNS1_25lookback_scan_determinismE0ELb1ES3_N6thrust23THRUST_200600_302600_NS6detail15normal_iteratorINSB_10device_ptrIjEEEENSD_INSE_IS6_EEEESI_S6_NSB_4plusIvEENSB_8equal_toIvEES6_EE10hipError_tPvRmT2_T3_T4_T5_mT6_T7_P12ihipStream_tbENKUlT_T0_E_clISt17integral_constantIbLb0EES13_EEDaSY_SZ_EUlSY_E_NS1_11comp_targetILNS1_3genE2ELNS1_11target_archE906ELNS1_3gpuE6ELNS1_3repE0EEENS1_30default_config_static_selectorELNS0_4arch9wavefront6targetE0EEEvT1_
	.p2align	8
	.type	_ZN7rocprim17ROCPRIM_400000_NS6detail17trampoline_kernelINS0_14default_configENS1_27scan_by_key_config_selectorIj11FixedVectorIiLj8EEEEZZNS1_16scan_by_key_implILNS1_25lookback_scan_determinismE0ELb1ES3_N6thrust23THRUST_200600_302600_NS6detail15normal_iteratorINSB_10device_ptrIjEEEENSD_INSE_IS6_EEEESI_S6_NSB_4plusIvEENSB_8equal_toIvEES6_EE10hipError_tPvRmT2_T3_T4_T5_mT6_T7_P12ihipStream_tbENKUlT_T0_E_clISt17integral_constantIbLb0EES13_EEDaSY_SZ_EUlSY_E_NS1_11comp_targetILNS1_3genE2ELNS1_11target_archE906ELNS1_3gpuE6ELNS1_3repE0EEENS1_30default_config_static_selectorELNS0_4arch9wavefront6targetE0EEEvT1_,@function
_ZN7rocprim17ROCPRIM_400000_NS6detail17trampoline_kernelINS0_14default_configENS1_27scan_by_key_config_selectorIj11FixedVectorIiLj8EEEEZZNS1_16scan_by_key_implILNS1_25lookback_scan_determinismE0ELb1ES3_N6thrust23THRUST_200600_302600_NS6detail15normal_iteratorINSB_10device_ptrIjEEEENSD_INSE_IS6_EEEESI_S6_NSB_4plusIvEENSB_8equal_toIvEES6_EE10hipError_tPvRmT2_T3_T4_T5_mT6_T7_P12ihipStream_tbENKUlT_T0_E_clISt17integral_constantIbLb0EES13_EEDaSY_SZ_EUlSY_E_NS1_11comp_targetILNS1_3genE2ELNS1_11target_archE906ELNS1_3gpuE6ELNS1_3repE0EEENS1_30default_config_static_selectorELNS0_4arch9wavefront6targetE0EEEvT1_: ; @_ZN7rocprim17ROCPRIM_400000_NS6detail17trampoline_kernelINS0_14default_configENS1_27scan_by_key_config_selectorIj11FixedVectorIiLj8EEEEZZNS1_16scan_by_key_implILNS1_25lookback_scan_determinismE0ELb1ES3_N6thrust23THRUST_200600_302600_NS6detail15normal_iteratorINSB_10device_ptrIjEEEENSD_INSE_IS6_EEEESI_S6_NSB_4plusIvEENSB_8equal_toIvEES6_EE10hipError_tPvRmT2_T3_T4_T5_mT6_T7_P12ihipStream_tbENKUlT_T0_E_clISt17integral_constantIbLb0EES13_EEDaSY_SZ_EUlSY_E_NS1_11comp_targetILNS1_3genE2ELNS1_11target_archE906ELNS1_3gpuE6ELNS1_3repE0EEENS1_30default_config_static_selectorELNS0_4arch9wavefront6targetE0EEEvT1_
; %bb.0:
	.section	.rodata,"a",@progbits
	.p2align	6, 0x0
	.amdhsa_kernel _ZN7rocprim17ROCPRIM_400000_NS6detail17trampoline_kernelINS0_14default_configENS1_27scan_by_key_config_selectorIj11FixedVectorIiLj8EEEEZZNS1_16scan_by_key_implILNS1_25lookback_scan_determinismE0ELb1ES3_N6thrust23THRUST_200600_302600_NS6detail15normal_iteratorINSB_10device_ptrIjEEEENSD_INSE_IS6_EEEESI_S6_NSB_4plusIvEENSB_8equal_toIvEES6_EE10hipError_tPvRmT2_T3_T4_T5_mT6_T7_P12ihipStream_tbENKUlT_T0_E_clISt17integral_constantIbLb0EES13_EEDaSY_SZ_EUlSY_E_NS1_11comp_targetILNS1_3genE2ELNS1_11target_archE906ELNS1_3gpuE6ELNS1_3repE0EEENS1_30default_config_static_selectorELNS0_4arch9wavefront6targetE0EEEvT1_
		.amdhsa_group_segment_fixed_size 0
		.amdhsa_private_segment_fixed_size 0
		.amdhsa_kernarg_size 160
		.amdhsa_user_sgpr_count 2
		.amdhsa_user_sgpr_dispatch_ptr 0
		.amdhsa_user_sgpr_queue_ptr 0
		.amdhsa_user_sgpr_kernarg_segment_ptr 1
		.amdhsa_user_sgpr_dispatch_id 0
		.amdhsa_user_sgpr_kernarg_preload_length 0
		.amdhsa_user_sgpr_kernarg_preload_offset 0
		.amdhsa_user_sgpr_private_segment_size 0
		.amdhsa_wavefront_size32 1
		.amdhsa_uses_dynamic_stack 0
		.amdhsa_enable_private_segment 0
		.amdhsa_system_sgpr_workgroup_id_x 1
		.amdhsa_system_sgpr_workgroup_id_y 0
		.amdhsa_system_sgpr_workgroup_id_z 0
		.amdhsa_system_sgpr_workgroup_info 0
		.amdhsa_system_vgpr_workitem_id 0
		.amdhsa_next_free_vgpr 1
		.amdhsa_next_free_sgpr 1
		.amdhsa_named_barrier_count 0
		.amdhsa_reserve_vcc 0
		.amdhsa_float_round_mode_32 0
		.amdhsa_float_round_mode_16_64 0
		.amdhsa_float_denorm_mode_32 3
		.amdhsa_float_denorm_mode_16_64 3
		.amdhsa_fp16_overflow 0
		.amdhsa_memory_ordered 1
		.amdhsa_forward_progress 1
		.amdhsa_inst_pref_size 0
		.amdhsa_round_robin_scheduling 0
		.amdhsa_exception_fp_ieee_invalid_op 0
		.amdhsa_exception_fp_denorm_src 0
		.amdhsa_exception_fp_ieee_div_zero 0
		.amdhsa_exception_fp_ieee_overflow 0
		.amdhsa_exception_fp_ieee_underflow 0
		.amdhsa_exception_fp_ieee_inexact 0
		.amdhsa_exception_int_div_zero 0
	.end_amdhsa_kernel
	.section	.text._ZN7rocprim17ROCPRIM_400000_NS6detail17trampoline_kernelINS0_14default_configENS1_27scan_by_key_config_selectorIj11FixedVectorIiLj8EEEEZZNS1_16scan_by_key_implILNS1_25lookback_scan_determinismE0ELb1ES3_N6thrust23THRUST_200600_302600_NS6detail15normal_iteratorINSB_10device_ptrIjEEEENSD_INSE_IS6_EEEESI_S6_NSB_4plusIvEENSB_8equal_toIvEES6_EE10hipError_tPvRmT2_T3_T4_T5_mT6_T7_P12ihipStream_tbENKUlT_T0_E_clISt17integral_constantIbLb0EES13_EEDaSY_SZ_EUlSY_E_NS1_11comp_targetILNS1_3genE2ELNS1_11target_archE906ELNS1_3gpuE6ELNS1_3repE0EEENS1_30default_config_static_selectorELNS0_4arch9wavefront6targetE0EEEvT1_,"axG",@progbits,_ZN7rocprim17ROCPRIM_400000_NS6detail17trampoline_kernelINS0_14default_configENS1_27scan_by_key_config_selectorIj11FixedVectorIiLj8EEEEZZNS1_16scan_by_key_implILNS1_25lookback_scan_determinismE0ELb1ES3_N6thrust23THRUST_200600_302600_NS6detail15normal_iteratorINSB_10device_ptrIjEEEENSD_INSE_IS6_EEEESI_S6_NSB_4plusIvEENSB_8equal_toIvEES6_EE10hipError_tPvRmT2_T3_T4_T5_mT6_T7_P12ihipStream_tbENKUlT_T0_E_clISt17integral_constantIbLb0EES13_EEDaSY_SZ_EUlSY_E_NS1_11comp_targetILNS1_3genE2ELNS1_11target_archE906ELNS1_3gpuE6ELNS1_3repE0EEENS1_30default_config_static_selectorELNS0_4arch9wavefront6targetE0EEEvT1_,comdat
.Lfunc_end2162:
	.size	_ZN7rocprim17ROCPRIM_400000_NS6detail17trampoline_kernelINS0_14default_configENS1_27scan_by_key_config_selectorIj11FixedVectorIiLj8EEEEZZNS1_16scan_by_key_implILNS1_25lookback_scan_determinismE0ELb1ES3_N6thrust23THRUST_200600_302600_NS6detail15normal_iteratorINSB_10device_ptrIjEEEENSD_INSE_IS6_EEEESI_S6_NSB_4plusIvEENSB_8equal_toIvEES6_EE10hipError_tPvRmT2_T3_T4_T5_mT6_T7_P12ihipStream_tbENKUlT_T0_E_clISt17integral_constantIbLb0EES13_EEDaSY_SZ_EUlSY_E_NS1_11comp_targetILNS1_3genE2ELNS1_11target_archE906ELNS1_3gpuE6ELNS1_3repE0EEENS1_30default_config_static_selectorELNS0_4arch9wavefront6targetE0EEEvT1_, .Lfunc_end2162-_ZN7rocprim17ROCPRIM_400000_NS6detail17trampoline_kernelINS0_14default_configENS1_27scan_by_key_config_selectorIj11FixedVectorIiLj8EEEEZZNS1_16scan_by_key_implILNS1_25lookback_scan_determinismE0ELb1ES3_N6thrust23THRUST_200600_302600_NS6detail15normal_iteratorINSB_10device_ptrIjEEEENSD_INSE_IS6_EEEESI_S6_NSB_4plusIvEENSB_8equal_toIvEES6_EE10hipError_tPvRmT2_T3_T4_T5_mT6_T7_P12ihipStream_tbENKUlT_T0_E_clISt17integral_constantIbLb0EES13_EEDaSY_SZ_EUlSY_E_NS1_11comp_targetILNS1_3genE2ELNS1_11target_archE906ELNS1_3gpuE6ELNS1_3repE0EEENS1_30default_config_static_selectorELNS0_4arch9wavefront6targetE0EEEvT1_
                                        ; -- End function
	.set _ZN7rocprim17ROCPRIM_400000_NS6detail17trampoline_kernelINS0_14default_configENS1_27scan_by_key_config_selectorIj11FixedVectorIiLj8EEEEZZNS1_16scan_by_key_implILNS1_25lookback_scan_determinismE0ELb1ES3_N6thrust23THRUST_200600_302600_NS6detail15normal_iteratorINSB_10device_ptrIjEEEENSD_INSE_IS6_EEEESI_S6_NSB_4plusIvEENSB_8equal_toIvEES6_EE10hipError_tPvRmT2_T3_T4_T5_mT6_T7_P12ihipStream_tbENKUlT_T0_E_clISt17integral_constantIbLb0EES13_EEDaSY_SZ_EUlSY_E_NS1_11comp_targetILNS1_3genE2ELNS1_11target_archE906ELNS1_3gpuE6ELNS1_3repE0EEENS1_30default_config_static_selectorELNS0_4arch9wavefront6targetE0EEEvT1_.num_vgpr, 0
	.set _ZN7rocprim17ROCPRIM_400000_NS6detail17trampoline_kernelINS0_14default_configENS1_27scan_by_key_config_selectorIj11FixedVectorIiLj8EEEEZZNS1_16scan_by_key_implILNS1_25lookback_scan_determinismE0ELb1ES3_N6thrust23THRUST_200600_302600_NS6detail15normal_iteratorINSB_10device_ptrIjEEEENSD_INSE_IS6_EEEESI_S6_NSB_4plusIvEENSB_8equal_toIvEES6_EE10hipError_tPvRmT2_T3_T4_T5_mT6_T7_P12ihipStream_tbENKUlT_T0_E_clISt17integral_constantIbLb0EES13_EEDaSY_SZ_EUlSY_E_NS1_11comp_targetILNS1_3genE2ELNS1_11target_archE906ELNS1_3gpuE6ELNS1_3repE0EEENS1_30default_config_static_selectorELNS0_4arch9wavefront6targetE0EEEvT1_.num_agpr, 0
	.set _ZN7rocprim17ROCPRIM_400000_NS6detail17trampoline_kernelINS0_14default_configENS1_27scan_by_key_config_selectorIj11FixedVectorIiLj8EEEEZZNS1_16scan_by_key_implILNS1_25lookback_scan_determinismE0ELb1ES3_N6thrust23THRUST_200600_302600_NS6detail15normal_iteratorINSB_10device_ptrIjEEEENSD_INSE_IS6_EEEESI_S6_NSB_4plusIvEENSB_8equal_toIvEES6_EE10hipError_tPvRmT2_T3_T4_T5_mT6_T7_P12ihipStream_tbENKUlT_T0_E_clISt17integral_constantIbLb0EES13_EEDaSY_SZ_EUlSY_E_NS1_11comp_targetILNS1_3genE2ELNS1_11target_archE906ELNS1_3gpuE6ELNS1_3repE0EEENS1_30default_config_static_selectorELNS0_4arch9wavefront6targetE0EEEvT1_.numbered_sgpr, 0
	.set _ZN7rocprim17ROCPRIM_400000_NS6detail17trampoline_kernelINS0_14default_configENS1_27scan_by_key_config_selectorIj11FixedVectorIiLj8EEEEZZNS1_16scan_by_key_implILNS1_25lookback_scan_determinismE0ELb1ES3_N6thrust23THRUST_200600_302600_NS6detail15normal_iteratorINSB_10device_ptrIjEEEENSD_INSE_IS6_EEEESI_S6_NSB_4plusIvEENSB_8equal_toIvEES6_EE10hipError_tPvRmT2_T3_T4_T5_mT6_T7_P12ihipStream_tbENKUlT_T0_E_clISt17integral_constantIbLb0EES13_EEDaSY_SZ_EUlSY_E_NS1_11comp_targetILNS1_3genE2ELNS1_11target_archE906ELNS1_3gpuE6ELNS1_3repE0EEENS1_30default_config_static_selectorELNS0_4arch9wavefront6targetE0EEEvT1_.num_named_barrier, 0
	.set _ZN7rocprim17ROCPRIM_400000_NS6detail17trampoline_kernelINS0_14default_configENS1_27scan_by_key_config_selectorIj11FixedVectorIiLj8EEEEZZNS1_16scan_by_key_implILNS1_25lookback_scan_determinismE0ELb1ES3_N6thrust23THRUST_200600_302600_NS6detail15normal_iteratorINSB_10device_ptrIjEEEENSD_INSE_IS6_EEEESI_S6_NSB_4plusIvEENSB_8equal_toIvEES6_EE10hipError_tPvRmT2_T3_T4_T5_mT6_T7_P12ihipStream_tbENKUlT_T0_E_clISt17integral_constantIbLb0EES13_EEDaSY_SZ_EUlSY_E_NS1_11comp_targetILNS1_3genE2ELNS1_11target_archE906ELNS1_3gpuE6ELNS1_3repE0EEENS1_30default_config_static_selectorELNS0_4arch9wavefront6targetE0EEEvT1_.private_seg_size, 0
	.set _ZN7rocprim17ROCPRIM_400000_NS6detail17trampoline_kernelINS0_14default_configENS1_27scan_by_key_config_selectorIj11FixedVectorIiLj8EEEEZZNS1_16scan_by_key_implILNS1_25lookback_scan_determinismE0ELb1ES3_N6thrust23THRUST_200600_302600_NS6detail15normal_iteratorINSB_10device_ptrIjEEEENSD_INSE_IS6_EEEESI_S6_NSB_4plusIvEENSB_8equal_toIvEES6_EE10hipError_tPvRmT2_T3_T4_T5_mT6_T7_P12ihipStream_tbENKUlT_T0_E_clISt17integral_constantIbLb0EES13_EEDaSY_SZ_EUlSY_E_NS1_11comp_targetILNS1_3genE2ELNS1_11target_archE906ELNS1_3gpuE6ELNS1_3repE0EEENS1_30default_config_static_selectorELNS0_4arch9wavefront6targetE0EEEvT1_.uses_vcc, 0
	.set _ZN7rocprim17ROCPRIM_400000_NS6detail17trampoline_kernelINS0_14default_configENS1_27scan_by_key_config_selectorIj11FixedVectorIiLj8EEEEZZNS1_16scan_by_key_implILNS1_25lookback_scan_determinismE0ELb1ES3_N6thrust23THRUST_200600_302600_NS6detail15normal_iteratorINSB_10device_ptrIjEEEENSD_INSE_IS6_EEEESI_S6_NSB_4plusIvEENSB_8equal_toIvEES6_EE10hipError_tPvRmT2_T3_T4_T5_mT6_T7_P12ihipStream_tbENKUlT_T0_E_clISt17integral_constantIbLb0EES13_EEDaSY_SZ_EUlSY_E_NS1_11comp_targetILNS1_3genE2ELNS1_11target_archE906ELNS1_3gpuE6ELNS1_3repE0EEENS1_30default_config_static_selectorELNS0_4arch9wavefront6targetE0EEEvT1_.uses_flat_scratch, 0
	.set _ZN7rocprim17ROCPRIM_400000_NS6detail17trampoline_kernelINS0_14default_configENS1_27scan_by_key_config_selectorIj11FixedVectorIiLj8EEEEZZNS1_16scan_by_key_implILNS1_25lookback_scan_determinismE0ELb1ES3_N6thrust23THRUST_200600_302600_NS6detail15normal_iteratorINSB_10device_ptrIjEEEENSD_INSE_IS6_EEEESI_S6_NSB_4plusIvEENSB_8equal_toIvEES6_EE10hipError_tPvRmT2_T3_T4_T5_mT6_T7_P12ihipStream_tbENKUlT_T0_E_clISt17integral_constantIbLb0EES13_EEDaSY_SZ_EUlSY_E_NS1_11comp_targetILNS1_3genE2ELNS1_11target_archE906ELNS1_3gpuE6ELNS1_3repE0EEENS1_30default_config_static_selectorELNS0_4arch9wavefront6targetE0EEEvT1_.has_dyn_sized_stack, 0
	.set _ZN7rocprim17ROCPRIM_400000_NS6detail17trampoline_kernelINS0_14default_configENS1_27scan_by_key_config_selectorIj11FixedVectorIiLj8EEEEZZNS1_16scan_by_key_implILNS1_25lookback_scan_determinismE0ELb1ES3_N6thrust23THRUST_200600_302600_NS6detail15normal_iteratorINSB_10device_ptrIjEEEENSD_INSE_IS6_EEEESI_S6_NSB_4plusIvEENSB_8equal_toIvEES6_EE10hipError_tPvRmT2_T3_T4_T5_mT6_T7_P12ihipStream_tbENKUlT_T0_E_clISt17integral_constantIbLb0EES13_EEDaSY_SZ_EUlSY_E_NS1_11comp_targetILNS1_3genE2ELNS1_11target_archE906ELNS1_3gpuE6ELNS1_3repE0EEENS1_30default_config_static_selectorELNS0_4arch9wavefront6targetE0EEEvT1_.has_recursion, 0
	.set _ZN7rocprim17ROCPRIM_400000_NS6detail17trampoline_kernelINS0_14default_configENS1_27scan_by_key_config_selectorIj11FixedVectorIiLj8EEEEZZNS1_16scan_by_key_implILNS1_25lookback_scan_determinismE0ELb1ES3_N6thrust23THRUST_200600_302600_NS6detail15normal_iteratorINSB_10device_ptrIjEEEENSD_INSE_IS6_EEEESI_S6_NSB_4plusIvEENSB_8equal_toIvEES6_EE10hipError_tPvRmT2_T3_T4_T5_mT6_T7_P12ihipStream_tbENKUlT_T0_E_clISt17integral_constantIbLb0EES13_EEDaSY_SZ_EUlSY_E_NS1_11comp_targetILNS1_3genE2ELNS1_11target_archE906ELNS1_3gpuE6ELNS1_3repE0EEENS1_30default_config_static_selectorELNS0_4arch9wavefront6targetE0EEEvT1_.has_indirect_call, 0
	.section	.AMDGPU.csdata,"",@progbits
; Kernel info:
; codeLenInByte = 0
; TotalNumSgprs: 0
; NumVgprs: 0
; ScratchSize: 0
; MemoryBound: 0
; FloatMode: 240
; IeeeMode: 1
; LDSByteSize: 0 bytes/workgroup (compile time only)
; SGPRBlocks: 0
; VGPRBlocks: 0
; NumSGPRsForWavesPerEU: 1
; NumVGPRsForWavesPerEU: 1
; NamedBarCnt: 0
; Occupancy: 16
; WaveLimiterHint : 0
; COMPUTE_PGM_RSRC2:SCRATCH_EN: 0
; COMPUTE_PGM_RSRC2:USER_SGPR: 2
; COMPUTE_PGM_RSRC2:TRAP_HANDLER: 0
; COMPUTE_PGM_RSRC2:TGID_X_EN: 1
; COMPUTE_PGM_RSRC2:TGID_Y_EN: 0
; COMPUTE_PGM_RSRC2:TGID_Z_EN: 0
; COMPUTE_PGM_RSRC2:TIDIG_COMP_CNT: 0
	.section	.text._ZN7rocprim17ROCPRIM_400000_NS6detail17trampoline_kernelINS0_14default_configENS1_27scan_by_key_config_selectorIj11FixedVectorIiLj8EEEEZZNS1_16scan_by_key_implILNS1_25lookback_scan_determinismE0ELb1ES3_N6thrust23THRUST_200600_302600_NS6detail15normal_iteratorINSB_10device_ptrIjEEEENSD_INSE_IS6_EEEESI_S6_NSB_4plusIvEENSB_8equal_toIvEES6_EE10hipError_tPvRmT2_T3_T4_T5_mT6_T7_P12ihipStream_tbENKUlT_T0_E_clISt17integral_constantIbLb0EES13_EEDaSY_SZ_EUlSY_E_NS1_11comp_targetILNS1_3genE10ELNS1_11target_archE1200ELNS1_3gpuE4ELNS1_3repE0EEENS1_30default_config_static_selectorELNS0_4arch9wavefront6targetE0EEEvT1_,"axG",@progbits,_ZN7rocprim17ROCPRIM_400000_NS6detail17trampoline_kernelINS0_14default_configENS1_27scan_by_key_config_selectorIj11FixedVectorIiLj8EEEEZZNS1_16scan_by_key_implILNS1_25lookback_scan_determinismE0ELb1ES3_N6thrust23THRUST_200600_302600_NS6detail15normal_iteratorINSB_10device_ptrIjEEEENSD_INSE_IS6_EEEESI_S6_NSB_4plusIvEENSB_8equal_toIvEES6_EE10hipError_tPvRmT2_T3_T4_T5_mT6_T7_P12ihipStream_tbENKUlT_T0_E_clISt17integral_constantIbLb0EES13_EEDaSY_SZ_EUlSY_E_NS1_11comp_targetILNS1_3genE10ELNS1_11target_archE1200ELNS1_3gpuE4ELNS1_3repE0EEENS1_30default_config_static_selectorELNS0_4arch9wavefront6targetE0EEEvT1_,comdat
	.protected	_ZN7rocprim17ROCPRIM_400000_NS6detail17trampoline_kernelINS0_14default_configENS1_27scan_by_key_config_selectorIj11FixedVectorIiLj8EEEEZZNS1_16scan_by_key_implILNS1_25lookback_scan_determinismE0ELb1ES3_N6thrust23THRUST_200600_302600_NS6detail15normal_iteratorINSB_10device_ptrIjEEEENSD_INSE_IS6_EEEESI_S6_NSB_4plusIvEENSB_8equal_toIvEES6_EE10hipError_tPvRmT2_T3_T4_T5_mT6_T7_P12ihipStream_tbENKUlT_T0_E_clISt17integral_constantIbLb0EES13_EEDaSY_SZ_EUlSY_E_NS1_11comp_targetILNS1_3genE10ELNS1_11target_archE1200ELNS1_3gpuE4ELNS1_3repE0EEENS1_30default_config_static_selectorELNS0_4arch9wavefront6targetE0EEEvT1_ ; -- Begin function _ZN7rocprim17ROCPRIM_400000_NS6detail17trampoline_kernelINS0_14default_configENS1_27scan_by_key_config_selectorIj11FixedVectorIiLj8EEEEZZNS1_16scan_by_key_implILNS1_25lookback_scan_determinismE0ELb1ES3_N6thrust23THRUST_200600_302600_NS6detail15normal_iteratorINSB_10device_ptrIjEEEENSD_INSE_IS6_EEEESI_S6_NSB_4plusIvEENSB_8equal_toIvEES6_EE10hipError_tPvRmT2_T3_T4_T5_mT6_T7_P12ihipStream_tbENKUlT_T0_E_clISt17integral_constantIbLb0EES13_EEDaSY_SZ_EUlSY_E_NS1_11comp_targetILNS1_3genE10ELNS1_11target_archE1200ELNS1_3gpuE4ELNS1_3repE0EEENS1_30default_config_static_selectorELNS0_4arch9wavefront6targetE0EEEvT1_
	.globl	_ZN7rocprim17ROCPRIM_400000_NS6detail17trampoline_kernelINS0_14default_configENS1_27scan_by_key_config_selectorIj11FixedVectorIiLj8EEEEZZNS1_16scan_by_key_implILNS1_25lookback_scan_determinismE0ELb1ES3_N6thrust23THRUST_200600_302600_NS6detail15normal_iteratorINSB_10device_ptrIjEEEENSD_INSE_IS6_EEEESI_S6_NSB_4plusIvEENSB_8equal_toIvEES6_EE10hipError_tPvRmT2_T3_T4_T5_mT6_T7_P12ihipStream_tbENKUlT_T0_E_clISt17integral_constantIbLb0EES13_EEDaSY_SZ_EUlSY_E_NS1_11comp_targetILNS1_3genE10ELNS1_11target_archE1200ELNS1_3gpuE4ELNS1_3repE0EEENS1_30default_config_static_selectorELNS0_4arch9wavefront6targetE0EEEvT1_
	.p2align	8
	.type	_ZN7rocprim17ROCPRIM_400000_NS6detail17trampoline_kernelINS0_14default_configENS1_27scan_by_key_config_selectorIj11FixedVectorIiLj8EEEEZZNS1_16scan_by_key_implILNS1_25lookback_scan_determinismE0ELb1ES3_N6thrust23THRUST_200600_302600_NS6detail15normal_iteratorINSB_10device_ptrIjEEEENSD_INSE_IS6_EEEESI_S6_NSB_4plusIvEENSB_8equal_toIvEES6_EE10hipError_tPvRmT2_T3_T4_T5_mT6_T7_P12ihipStream_tbENKUlT_T0_E_clISt17integral_constantIbLb0EES13_EEDaSY_SZ_EUlSY_E_NS1_11comp_targetILNS1_3genE10ELNS1_11target_archE1200ELNS1_3gpuE4ELNS1_3repE0EEENS1_30default_config_static_selectorELNS0_4arch9wavefront6targetE0EEEvT1_,@function
_ZN7rocprim17ROCPRIM_400000_NS6detail17trampoline_kernelINS0_14default_configENS1_27scan_by_key_config_selectorIj11FixedVectorIiLj8EEEEZZNS1_16scan_by_key_implILNS1_25lookback_scan_determinismE0ELb1ES3_N6thrust23THRUST_200600_302600_NS6detail15normal_iteratorINSB_10device_ptrIjEEEENSD_INSE_IS6_EEEESI_S6_NSB_4plusIvEENSB_8equal_toIvEES6_EE10hipError_tPvRmT2_T3_T4_T5_mT6_T7_P12ihipStream_tbENKUlT_T0_E_clISt17integral_constantIbLb0EES13_EEDaSY_SZ_EUlSY_E_NS1_11comp_targetILNS1_3genE10ELNS1_11target_archE1200ELNS1_3gpuE4ELNS1_3repE0EEENS1_30default_config_static_selectorELNS0_4arch9wavefront6targetE0EEEvT1_: ; @_ZN7rocprim17ROCPRIM_400000_NS6detail17trampoline_kernelINS0_14default_configENS1_27scan_by_key_config_selectorIj11FixedVectorIiLj8EEEEZZNS1_16scan_by_key_implILNS1_25lookback_scan_determinismE0ELb1ES3_N6thrust23THRUST_200600_302600_NS6detail15normal_iteratorINSB_10device_ptrIjEEEENSD_INSE_IS6_EEEESI_S6_NSB_4plusIvEENSB_8equal_toIvEES6_EE10hipError_tPvRmT2_T3_T4_T5_mT6_T7_P12ihipStream_tbENKUlT_T0_E_clISt17integral_constantIbLb0EES13_EEDaSY_SZ_EUlSY_E_NS1_11comp_targetILNS1_3genE10ELNS1_11target_archE1200ELNS1_3gpuE4ELNS1_3repE0EEENS1_30default_config_static_selectorELNS0_4arch9wavefront6targetE0EEEvT1_
; %bb.0:
	.section	.rodata,"a",@progbits
	.p2align	6, 0x0
	.amdhsa_kernel _ZN7rocprim17ROCPRIM_400000_NS6detail17trampoline_kernelINS0_14default_configENS1_27scan_by_key_config_selectorIj11FixedVectorIiLj8EEEEZZNS1_16scan_by_key_implILNS1_25lookback_scan_determinismE0ELb1ES3_N6thrust23THRUST_200600_302600_NS6detail15normal_iteratorINSB_10device_ptrIjEEEENSD_INSE_IS6_EEEESI_S6_NSB_4plusIvEENSB_8equal_toIvEES6_EE10hipError_tPvRmT2_T3_T4_T5_mT6_T7_P12ihipStream_tbENKUlT_T0_E_clISt17integral_constantIbLb0EES13_EEDaSY_SZ_EUlSY_E_NS1_11comp_targetILNS1_3genE10ELNS1_11target_archE1200ELNS1_3gpuE4ELNS1_3repE0EEENS1_30default_config_static_selectorELNS0_4arch9wavefront6targetE0EEEvT1_
		.amdhsa_group_segment_fixed_size 0
		.amdhsa_private_segment_fixed_size 0
		.amdhsa_kernarg_size 160
		.amdhsa_user_sgpr_count 2
		.amdhsa_user_sgpr_dispatch_ptr 0
		.amdhsa_user_sgpr_queue_ptr 0
		.amdhsa_user_sgpr_kernarg_segment_ptr 1
		.amdhsa_user_sgpr_dispatch_id 0
		.amdhsa_user_sgpr_kernarg_preload_length 0
		.amdhsa_user_sgpr_kernarg_preload_offset 0
		.amdhsa_user_sgpr_private_segment_size 0
		.amdhsa_wavefront_size32 1
		.amdhsa_uses_dynamic_stack 0
		.amdhsa_enable_private_segment 0
		.amdhsa_system_sgpr_workgroup_id_x 1
		.amdhsa_system_sgpr_workgroup_id_y 0
		.amdhsa_system_sgpr_workgroup_id_z 0
		.amdhsa_system_sgpr_workgroup_info 0
		.amdhsa_system_vgpr_workitem_id 0
		.amdhsa_next_free_vgpr 1
		.amdhsa_next_free_sgpr 1
		.amdhsa_named_barrier_count 0
		.amdhsa_reserve_vcc 0
		.amdhsa_float_round_mode_32 0
		.amdhsa_float_round_mode_16_64 0
		.amdhsa_float_denorm_mode_32 3
		.amdhsa_float_denorm_mode_16_64 3
		.amdhsa_fp16_overflow 0
		.amdhsa_memory_ordered 1
		.amdhsa_forward_progress 1
		.amdhsa_inst_pref_size 0
		.amdhsa_round_robin_scheduling 0
		.amdhsa_exception_fp_ieee_invalid_op 0
		.amdhsa_exception_fp_denorm_src 0
		.amdhsa_exception_fp_ieee_div_zero 0
		.amdhsa_exception_fp_ieee_overflow 0
		.amdhsa_exception_fp_ieee_underflow 0
		.amdhsa_exception_fp_ieee_inexact 0
		.amdhsa_exception_int_div_zero 0
	.end_amdhsa_kernel
	.section	.text._ZN7rocprim17ROCPRIM_400000_NS6detail17trampoline_kernelINS0_14default_configENS1_27scan_by_key_config_selectorIj11FixedVectorIiLj8EEEEZZNS1_16scan_by_key_implILNS1_25lookback_scan_determinismE0ELb1ES3_N6thrust23THRUST_200600_302600_NS6detail15normal_iteratorINSB_10device_ptrIjEEEENSD_INSE_IS6_EEEESI_S6_NSB_4plusIvEENSB_8equal_toIvEES6_EE10hipError_tPvRmT2_T3_T4_T5_mT6_T7_P12ihipStream_tbENKUlT_T0_E_clISt17integral_constantIbLb0EES13_EEDaSY_SZ_EUlSY_E_NS1_11comp_targetILNS1_3genE10ELNS1_11target_archE1200ELNS1_3gpuE4ELNS1_3repE0EEENS1_30default_config_static_selectorELNS0_4arch9wavefront6targetE0EEEvT1_,"axG",@progbits,_ZN7rocprim17ROCPRIM_400000_NS6detail17trampoline_kernelINS0_14default_configENS1_27scan_by_key_config_selectorIj11FixedVectorIiLj8EEEEZZNS1_16scan_by_key_implILNS1_25lookback_scan_determinismE0ELb1ES3_N6thrust23THRUST_200600_302600_NS6detail15normal_iteratorINSB_10device_ptrIjEEEENSD_INSE_IS6_EEEESI_S6_NSB_4plusIvEENSB_8equal_toIvEES6_EE10hipError_tPvRmT2_T3_T4_T5_mT6_T7_P12ihipStream_tbENKUlT_T0_E_clISt17integral_constantIbLb0EES13_EEDaSY_SZ_EUlSY_E_NS1_11comp_targetILNS1_3genE10ELNS1_11target_archE1200ELNS1_3gpuE4ELNS1_3repE0EEENS1_30default_config_static_selectorELNS0_4arch9wavefront6targetE0EEEvT1_,comdat
.Lfunc_end2163:
	.size	_ZN7rocprim17ROCPRIM_400000_NS6detail17trampoline_kernelINS0_14default_configENS1_27scan_by_key_config_selectorIj11FixedVectorIiLj8EEEEZZNS1_16scan_by_key_implILNS1_25lookback_scan_determinismE0ELb1ES3_N6thrust23THRUST_200600_302600_NS6detail15normal_iteratorINSB_10device_ptrIjEEEENSD_INSE_IS6_EEEESI_S6_NSB_4plusIvEENSB_8equal_toIvEES6_EE10hipError_tPvRmT2_T3_T4_T5_mT6_T7_P12ihipStream_tbENKUlT_T0_E_clISt17integral_constantIbLb0EES13_EEDaSY_SZ_EUlSY_E_NS1_11comp_targetILNS1_3genE10ELNS1_11target_archE1200ELNS1_3gpuE4ELNS1_3repE0EEENS1_30default_config_static_selectorELNS0_4arch9wavefront6targetE0EEEvT1_, .Lfunc_end2163-_ZN7rocprim17ROCPRIM_400000_NS6detail17trampoline_kernelINS0_14default_configENS1_27scan_by_key_config_selectorIj11FixedVectorIiLj8EEEEZZNS1_16scan_by_key_implILNS1_25lookback_scan_determinismE0ELb1ES3_N6thrust23THRUST_200600_302600_NS6detail15normal_iteratorINSB_10device_ptrIjEEEENSD_INSE_IS6_EEEESI_S6_NSB_4plusIvEENSB_8equal_toIvEES6_EE10hipError_tPvRmT2_T3_T4_T5_mT6_T7_P12ihipStream_tbENKUlT_T0_E_clISt17integral_constantIbLb0EES13_EEDaSY_SZ_EUlSY_E_NS1_11comp_targetILNS1_3genE10ELNS1_11target_archE1200ELNS1_3gpuE4ELNS1_3repE0EEENS1_30default_config_static_selectorELNS0_4arch9wavefront6targetE0EEEvT1_
                                        ; -- End function
	.set _ZN7rocprim17ROCPRIM_400000_NS6detail17trampoline_kernelINS0_14default_configENS1_27scan_by_key_config_selectorIj11FixedVectorIiLj8EEEEZZNS1_16scan_by_key_implILNS1_25lookback_scan_determinismE0ELb1ES3_N6thrust23THRUST_200600_302600_NS6detail15normal_iteratorINSB_10device_ptrIjEEEENSD_INSE_IS6_EEEESI_S6_NSB_4plusIvEENSB_8equal_toIvEES6_EE10hipError_tPvRmT2_T3_T4_T5_mT6_T7_P12ihipStream_tbENKUlT_T0_E_clISt17integral_constantIbLb0EES13_EEDaSY_SZ_EUlSY_E_NS1_11comp_targetILNS1_3genE10ELNS1_11target_archE1200ELNS1_3gpuE4ELNS1_3repE0EEENS1_30default_config_static_selectorELNS0_4arch9wavefront6targetE0EEEvT1_.num_vgpr, 0
	.set _ZN7rocprim17ROCPRIM_400000_NS6detail17trampoline_kernelINS0_14default_configENS1_27scan_by_key_config_selectorIj11FixedVectorIiLj8EEEEZZNS1_16scan_by_key_implILNS1_25lookback_scan_determinismE0ELb1ES3_N6thrust23THRUST_200600_302600_NS6detail15normal_iteratorINSB_10device_ptrIjEEEENSD_INSE_IS6_EEEESI_S6_NSB_4plusIvEENSB_8equal_toIvEES6_EE10hipError_tPvRmT2_T3_T4_T5_mT6_T7_P12ihipStream_tbENKUlT_T0_E_clISt17integral_constantIbLb0EES13_EEDaSY_SZ_EUlSY_E_NS1_11comp_targetILNS1_3genE10ELNS1_11target_archE1200ELNS1_3gpuE4ELNS1_3repE0EEENS1_30default_config_static_selectorELNS0_4arch9wavefront6targetE0EEEvT1_.num_agpr, 0
	.set _ZN7rocprim17ROCPRIM_400000_NS6detail17trampoline_kernelINS0_14default_configENS1_27scan_by_key_config_selectorIj11FixedVectorIiLj8EEEEZZNS1_16scan_by_key_implILNS1_25lookback_scan_determinismE0ELb1ES3_N6thrust23THRUST_200600_302600_NS6detail15normal_iteratorINSB_10device_ptrIjEEEENSD_INSE_IS6_EEEESI_S6_NSB_4plusIvEENSB_8equal_toIvEES6_EE10hipError_tPvRmT2_T3_T4_T5_mT6_T7_P12ihipStream_tbENKUlT_T0_E_clISt17integral_constantIbLb0EES13_EEDaSY_SZ_EUlSY_E_NS1_11comp_targetILNS1_3genE10ELNS1_11target_archE1200ELNS1_3gpuE4ELNS1_3repE0EEENS1_30default_config_static_selectorELNS0_4arch9wavefront6targetE0EEEvT1_.numbered_sgpr, 0
	.set _ZN7rocprim17ROCPRIM_400000_NS6detail17trampoline_kernelINS0_14default_configENS1_27scan_by_key_config_selectorIj11FixedVectorIiLj8EEEEZZNS1_16scan_by_key_implILNS1_25lookback_scan_determinismE0ELb1ES3_N6thrust23THRUST_200600_302600_NS6detail15normal_iteratorINSB_10device_ptrIjEEEENSD_INSE_IS6_EEEESI_S6_NSB_4plusIvEENSB_8equal_toIvEES6_EE10hipError_tPvRmT2_T3_T4_T5_mT6_T7_P12ihipStream_tbENKUlT_T0_E_clISt17integral_constantIbLb0EES13_EEDaSY_SZ_EUlSY_E_NS1_11comp_targetILNS1_3genE10ELNS1_11target_archE1200ELNS1_3gpuE4ELNS1_3repE0EEENS1_30default_config_static_selectorELNS0_4arch9wavefront6targetE0EEEvT1_.num_named_barrier, 0
	.set _ZN7rocprim17ROCPRIM_400000_NS6detail17trampoline_kernelINS0_14default_configENS1_27scan_by_key_config_selectorIj11FixedVectorIiLj8EEEEZZNS1_16scan_by_key_implILNS1_25lookback_scan_determinismE0ELb1ES3_N6thrust23THRUST_200600_302600_NS6detail15normal_iteratorINSB_10device_ptrIjEEEENSD_INSE_IS6_EEEESI_S6_NSB_4plusIvEENSB_8equal_toIvEES6_EE10hipError_tPvRmT2_T3_T4_T5_mT6_T7_P12ihipStream_tbENKUlT_T0_E_clISt17integral_constantIbLb0EES13_EEDaSY_SZ_EUlSY_E_NS1_11comp_targetILNS1_3genE10ELNS1_11target_archE1200ELNS1_3gpuE4ELNS1_3repE0EEENS1_30default_config_static_selectorELNS0_4arch9wavefront6targetE0EEEvT1_.private_seg_size, 0
	.set _ZN7rocprim17ROCPRIM_400000_NS6detail17trampoline_kernelINS0_14default_configENS1_27scan_by_key_config_selectorIj11FixedVectorIiLj8EEEEZZNS1_16scan_by_key_implILNS1_25lookback_scan_determinismE0ELb1ES3_N6thrust23THRUST_200600_302600_NS6detail15normal_iteratorINSB_10device_ptrIjEEEENSD_INSE_IS6_EEEESI_S6_NSB_4plusIvEENSB_8equal_toIvEES6_EE10hipError_tPvRmT2_T3_T4_T5_mT6_T7_P12ihipStream_tbENKUlT_T0_E_clISt17integral_constantIbLb0EES13_EEDaSY_SZ_EUlSY_E_NS1_11comp_targetILNS1_3genE10ELNS1_11target_archE1200ELNS1_3gpuE4ELNS1_3repE0EEENS1_30default_config_static_selectorELNS0_4arch9wavefront6targetE0EEEvT1_.uses_vcc, 0
	.set _ZN7rocprim17ROCPRIM_400000_NS6detail17trampoline_kernelINS0_14default_configENS1_27scan_by_key_config_selectorIj11FixedVectorIiLj8EEEEZZNS1_16scan_by_key_implILNS1_25lookback_scan_determinismE0ELb1ES3_N6thrust23THRUST_200600_302600_NS6detail15normal_iteratorINSB_10device_ptrIjEEEENSD_INSE_IS6_EEEESI_S6_NSB_4plusIvEENSB_8equal_toIvEES6_EE10hipError_tPvRmT2_T3_T4_T5_mT6_T7_P12ihipStream_tbENKUlT_T0_E_clISt17integral_constantIbLb0EES13_EEDaSY_SZ_EUlSY_E_NS1_11comp_targetILNS1_3genE10ELNS1_11target_archE1200ELNS1_3gpuE4ELNS1_3repE0EEENS1_30default_config_static_selectorELNS0_4arch9wavefront6targetE0EEEvT1_.uses_flat_scratch, 0
	.set _ZN7rocprim17ROCPRIM_400000_NS6detail17trampoline_kernelINS0_14default_configENS1_27scan_by_key_config_selectorIj11FixedVectorIiLj8EEEEZZNS1_16scan_by_key_implILNS1_25lookback_scan_determinismE0ELb1ES3_N6thrust23THRUST_200600_302600_NS6detail15normal_iteratorINSB_10device_ptrIjEEEENSD_INSE_IS6_EEEESI_S6_NSB_4plusIvEENSB_8equal_toIvEES6_EE10hipError_tPvRmT2_T3_T4_T5_mT6_T7_P12ihipStream_tbENKUlT_T0_E_clISt17integral_constantIbLb0EES13_EEDaSY_SZ_EUlSY_E_NS1_11comp_targetILNS1_3genE10ELNS1_11target_archE1200ELNS1_3gpuE4ELNS1_3repE0EEENS1_30default_config_static_selectorELNS0_4arch9wavefront6targetE0EEEvT1_.has_dyn_sized_stack, 0
	.set _ZN7rocprim17ROCPRIM_400000_NS6detail17trampoline_kernelINS0_14default_configENS1_27scan_by_key_config_selectorIj11FixedVectorIiLj8EEEEZZNS1_16scan_by_key_implILNS1_25lookback_scan_determinismE0ELb1ES3_N6thrust23THRUST_200600_302600_NS6detail15normal_iteratorINSB_10device_ptrIjEEEENSD_INSE_IS6_EEEESI_S6_NSB_4plusIvEENSB_8equal_toIvEES6_EE10hipError_tPvRmT2_T3_T4_T5_mT6_T7_P12ihipStream_tbENKUlT_T0_E_clISt17integral_constantIbLb0EES13_EEDaSY_SZ_EUlSY_E_NS1_11comp_targetILNS1_3genE10ELNS1_11target_archE1200ELNS1_3gpuE4ELNS1_3repE0EEENS1_30default_config_static_selectorELNS0_4arch9wavefront6targetE0EEEvT1_.has_recursion, 0
	.set _ZN7rocprim17ROCPRIM_400000_NS6detail17trampoline_kernelINS0_14default_configENS1_27scan_by_key_config_selectorIj11FixedVectorIiLj8EEEEZZNS1_16scan_by_key_implILNS1_25lookback_scan_determinismE0ELb1ES3_N6thrust23THRUST_200600_302600_NS6detail15normal_iteratorINSB_10device_ptrIjEEEENSD_INSE_IS6_EEEESI_S6_NSB_4plusIvEENSB_8equal_toIvEES6_EE10hipError_tPvRmT2_T3_T4_T5_mT6_T7_P12ihipStream_tbENKUlT_T0_E_clISt17integral_constantIbLb0EES13_EEDaSY_SZ_EUlSY_E_NS1_11comp_targetILNS1_3genE10ELNS1_11target_archE1200ELNS1_3gpuE4ELNS1_3repE0EEENS1_30default_config_static_selectorELNS0_4arch9wavefront6targetE0EEEvT1_.has_indirect_call, 0
	.section	.AMDGPU.csdata,"",@progbits
; Kernel info:
; codeLenInByte = 0
; TotalNumSgprs: 0
; NumVgprs: 0
; ScratchSize: 0
; MemoryBound: 0
; FloatMode: 240
; IeeeMode: 1
; LDSByteSize: 0 bytes/workgroup (compile time only)
; SGPRBlocks: 0
; VGPRBlocks: 0
; NumSGPRsForWavesPerEU: 1
; NumVGPRsForWavesPerEU: 1
; NamedBarCnt: 0
; Occupancy: 16
; WaveLimiterHint : 0
; COMPUTE_PGM_RSRC2:SCRATCH_EN: 0
; COMPUTE_PGM_RSRC2:USER_SGPR: 2
; COMPUTE_PGM_RSRC2:TRAP_HANDLER: 0
; COMPUTE_PGM_RSRC2:TGID_X_EN: 1
; COMPUTE_PGM_RSRC2:TGID_Y_EN: 0
; COMPUTE_PGM_RSRC2:TGID_Z_EN: 0
; COMPUTE_PGM_RSRC2:TIDIG_COMP_CNT: 0
	.section	.text._ZN7rocprim17ROCPRIM_400000_NS6detail17trampoline_kernelINS0_14default_configENS1_27scan_by_key_config_selectorIj11FixedVectorIiLj8EEEEZZNS1_16scan_by_key_implILNS1_25lookback_scan_determinismE0ELb1ES3_N6thrust23THRUST_200600_302600_NS6detail15normal_iteratorINSB_10device_ptrIjEEEENSD_INSE_IS6_EEEESI_S6_NSB_4plusIvEENSB_8equal_toIvEES6_EE10hipError_tPvRmT2_T3_T4_T5_mT6_T7_P12ihipStream_tbENKUlT_T0_E_clISt17integral_constantIbLb0EES13_EEDaSY_SZ_EUlSY_E_NS1_11comp_targetILNS1_3genE9ELNS1_11target_archE1100ELNS1_3gpuE3ELNS1_3repE0EEENS1_30default_config_static_selectorELNS0_4arch9wavefront6targetE0EEEvT1_,"axG",@progbits,_ZN7rocprim17ROCPRIM_400000_NS6detail17trampoline_kernelINS0_14default_configENS1_27scan_by_key_config_selectorIj11FixedVectorIiLj8EEEEZZNS1_16scan_by_key_implILNS1_25lookback_scan_determinismE0ELb1ES3_N6thrust23THRUST_200600_302600_NS6detail15normal_iteratorINSB_10device_ptrIjEEEENSD_INSE_IS6_EEEESI_S6_NSB_4plusIvEENSB_8equal_toIvEES6_EE10hipError_tPvRmT2_T3_T4_T5_mT6_T7_P12ihipStream_tbENKUlT_T0_E_clISt17integral_constantIbLb0EES13_EEDaSY_SZ_EUlSY_E_NS1_11comp_targetILNS1_3genE9ELNS1_11target_archE1100ELNS1_3gpuE3ELNS1_3repE0EEENS1_30default_config_static_selectorELNS0_4arch9wavefront6targetE0EEEvT1_,comdat
	.protected	_ZN7rocprim17ROCPRIM_400000_NS6detail17trampoline_kernelINS0_14default_configENS1_27scan_by_key_config_selectorIj11FixedVectorIiLj8EEEEZZNS1_16scan_by_key_implILNS1_25lookback_scan_determinismE0ELb1ES3_N6thrust23THRUST_200600_302600_NS6detail15normal_iteratorINSB_10device_ptrIjEEEENSD_INSE_IS6_EEEESI_S6_NSB_4plusIvEENSB_8equal_toIvEES6_EE10hipError_tPvRmT2_T3_T4_T5_mT6_T7_P12ihipStream_tbENKUlT_T0_E_clISt17integral_constantIbLb0EES13_EEDaSY_SZ_EUlSY_E_NS1_11comp_targetILNS1_3genE9ELNS1_11target_archE1100ELNS1_3gpuE3ELNS1_3repE0EEENS1_30default_config_static_selectorELNS0_4arch9wavefront6targetE0EEEvT1_ ; -- Begin function _ZN7rocprim17ROCPRIM_400000_NS6detail17trampoline_kernelINS0_14default_configENS1_27scan_by_key_config_selectorIj11FixedVectorIiLj8EEEEZZNS1_16scan_by_key_implILNS1_25lookback_scan_determinismE0ELb1ES3_N6thrust23THRUST_200600_302600_NS6detail15normal_iteratorINSB_10device_ptrIjEEEENSD_INSE_IS6_EEEESI_S6_NSB_4plusIvEENSB_8equal_toIvEES6_EE10hipError_tPvRmT2_T3_T4_T5_mT6_T7_P12ihipStream_tbENKUlT_T0_E_clISt17integral_constantIbLb0EES13_EEDaSY_SZ_EUlSY_E_NS1_11comp_targetILNS1_3genE9ELNS1_11target_archE1100ELNS1_3gpuE3ELNS1_3repE0EEENS1_30default_config_static_selectorELNS0_4arch9wavefront6targetE0EEEvT1_
	.globl	_ZN7rocprim17ROCPRIM_400000_NS6detail17trampoline_kernelINS0_14default_configENS1_27scan_by_key_config_selectorIj11FixedVectorIiLj8EEEEZZNS1_16scan_by_key_implILNS1_25lookback_scan_determinismE0ELb1ES3_N6thrust23THRUST_200600_302600_NS6detail15normal_iteratorINSB_10device_ptrIjEEEENSD_INSE_IS6_EEEESI_S6_NSB_4plusIvEENSB_8equal_toIvEES6_EE10hipError_tPvRmT2_T3_T4_T5_mT6_T7_P12ihipStream_tbENKUlT_T0_E_clISt17integral_constantIbLb0EES13_EEDaSY_SZ_EUlSY_E_NS1_11comp_targetILNS1_3genE9ELNS1_11target_archE1100ELNS1_3gpuE3ELNS1_3repE0EEENS1_30default_config_static_selectorELNS0_4arch9wavefront6targetE0EEEvT1_
	.p2align	8
	.type	_ZN7rocprim17ROCPRIM_400000_NS6detail17trampoline_kernelINS0_14default_configENS1_27scan_by_key_config_selectorIj11FixedVectorIiLj8EEEEZZNS1_16scan_by_key_implILNS1_25lookback_scan_determinismE0ELb1ES3_N6thrust23THRUST_200600_302600_NS6detail15normal_iteratorINSB_10device_ptrIjEEEENSD_INSE_IS6_EEEESI_S6_NSB_4plusIvEENSB_8equal_toIvEES6_EE10hipError_tPvRmT2_T3_T4_T5_mT6_T7_P12ihipStream_tbENKUlT_T0_E_clISt17integral_constantIbLb0EES13_EEDaSY_SZ_EUlSY_E_NS1_11comp_targetILNS1_3genE9ELNS1_11target_archE1100ELNS1_3gpuE3ELNS1_3repE0EEENS1_30default_config_static_selectorELNS0_4arch9wavefront6targetE0EEEvT1_,@function
_ZN7rocprim17ROCPRIM_400000_NS6detail17trampoline_kernelINS0_14default_configENS1_27scan_by_key_config_selectorIj11FixedVectorIiLj8EEEEZZNS1_16scan_by_key_implILNS1_25lookback_scan_determinismE0ELb1ES3_N6thrust23THRUST_200600_302600_NS6detail15normal_iteratorINSB_10device_ptrIjEEEENSD_INSE_IS6_EEEESI_S6_NSB_4plusIvEENSB_8equal_toIvEES6_EE10hipError_tPvRmT2_T3_T4_T5_mT6_T7_P12ihipStream_tbENKUlT_T0_E_clISt17integral_constantIbLb0EES13_EEDaSY_SZ_EUlSY_E_NS1_11comp_targetILNS1_3genE9ELNS1_11target_archE1100ELNS1_3gpuE3ELNS1_3repE0EEENS1_30default_config_static_selectorELNS0_4arch9wavefront6targetE0EEEvT1_: ; @_ZN7rocprim17ROCPRIM_400000_NS6detail17trampoline_kernelINS0_14default_configENS1_27scan_by_key_config_selectorIj11FixedVectorIiLj8EEEEZZNS1_16scan_by_key_implILNS1_25lookback_scan_determinismE0ELb1ES3_N6thrust23THRUST_200600_302600_NS6detail15normal_iteratorINSB_10device_ptrIjEEEENSD_INSE_IS6_EEEESI_S6_NSB_4plusIvEENSB_8equal_toIvEES6_EE10hipError_tPvRmT2_T3_T4_T5_mT6_T7_P12ihipStream_tbENKUlT_T0_E_clISt17integral_constantIbLb0EES13_EEDaSY_SZ_EUlSY_E_NS1_11comp_targetILNS1_3genE9ELNS1_11target_archE1100ELNS1_3gpuE3ELNS1_3repE0EEENS1_30default_config_static_selectorELNS0_4arch9wavefront6targetE0EEEvT1_
; %bb.0:
	.section	.rodata,"a",@progbits
	.p2align	6, 0x0
	.amdhsa_kernel _ZN7rocprim17ROCPRIM_400000_NS6detail17trampoline_kernelINS0_14default_configENS1_27scan_by_key_config_selectorIj11FixedVectorIiLj8EEEEZZNS1_16scan_by_key_implILNS1_25lookback_scan_determinismE0ELb1ES3_N6thrust23THRUST_200600_302600_NS6detail15normal_iteratorINSB_10device_ptrIjEEEENSD_INSE_IS6_EEEESI_S6_NSB_4plusIvEENSB_8equal_toIvEES6_EE10hipError_tPvRmT2_T3_T4_T5_mT6_T7_P12ihipStream_tbENKUlT_T0_E_clISt17integral_constantIbLb0EES13_EEDaSY_SZ_EUlSY_E_NS1_11comp_targetILNS1_3genE9ELNS1_11target_archE1100ELNS1_3gpuE3ELNS1_3repE0EEENS1_30default_config_static_selectorELNS0_4arch9wavefront6targetE0EEEvT1_
		.amdhsa_group_segment_fixed_size 0
		.amdhsa_private_segment_fixed_size 0
		.amdhsa_kernarg_size 160
		.amdhsa_user_sgpr_count 2
		.amdhsa_user_sgpr_dispatch_ptr 0
		.amdhsa_user_sgpr_queue_ptr 0
		.amdhsa_user_sgpr_kernarg_segment_ptr 1
		.amdhsa_user_sgpr_dispatch_id 0
		.amdhsa_user_sgpr_kernarg_preload_length 0
		.amdhsa_user_sgpr_kernarg_preload_offset 0
		.amdhsa_user_sgpr_private_segment_size 0
		.amdhsa_wavefront_size32 1
		.amdhsa_uses_dynamic_stack 0
		.amdhsa_enable_private_segment 0
		.amdhsa_system_sgpr_workgroup_id_x 1
		.amdhsa_system_sgpr_workgroup_id_y 0
		.amdhsa_system_sgpr_workgroup_id_z 0
		.amdhsa_system_sgpr_workgroup_info 0
		.amdhsa_system_vgpr_workitem_id 0
		.amdhsa_next_free_vgpr 1
		.amdhsa_next_free_sgpr 1
		.amdhsa_named_barrier_count 0
		.amdhsa_reserve_vcc 0
		.amdhsa_float_round_mode_32 0
		.amdhsa_float_round_mode_16_64 0
		.amdhsa_float_denorm_mode_32 3
		.amdhsa_float_denorm_mode_16_64 3
		.amdhsa_fp16_overflow 0
		.amdhsa_memory_ordered 1
		.amdhsa_forward_progress 1
		.amdhsa_inst_pref_size 0
		.amdhsa_round_robin_scheduling 0
		.amdhsa_exception_fp_ieee_invalid_op 0
		.amdhsa_exception_fp_denorm_src 0
		.amdhsa_exception_fp_ieee_div_zero 0
		.amdhsa_exception_fp_ieee_overflow 0
		.amdhsa_exception_fp_ieee_underflow 0
		.amdhsa_exception_fp_ieee_inexact 0
		.amdhsa_exception_int_div_zero 0
	.end_amdhsa_kernel
	.section	.text._ZN7rocprim17ROCPRIM_400000_NS6detail17trampoline_kernelINS0_14default_configENS1_27scan_by_key_config_selectorIj11FixedVectorIiLj8EEEEZZNS1_16scan_by_key_implILNS1_25lookback_scan_determinismE0ELb1ES3_N6thrust23THRUST_200600_302600_NS6detail15normal_iteratorINSB_10device_ptrIjEEEENSD_INSE_IS6_EEEESI_S6_NSB_4plusIvEENSB_8equal_toIvEES6_EE10hipError_tPvRmT2_T3_T4_T5_mT6_T7_P12ihipStream_tbENKUlT_T0_E_clISt17integral_constantIbLb0EES13_EEDaSY_SZ_EUlSY_E_NS1_11comp_targetILNS1_3genE9ELNS1_11target_archE1100ELNS1_3gpuE3ELNS1_3repE0EEENS1_30default_config_static_selectorELNS0_4arch9wavefront6targetE0EEEvT1_,"axG",@progbits,_ZN7rocprim17ROCPRIM_400000_NS6detail17trampoline_kernelINS0_14default_configENS1_27scan_by_key_config_selectorIj11FixedVectorIiLj8EEEEZZNS1_16scan_by_key_implILNS1_25lookback_scan_determinismE0ELb1ES3_N6thrust23THRUST_200600_302600_NS6detail15normal_iteratorINSB_10device_ptrIjEEEENSD_INSE_IS6_EEEESI_S6_NSB_4plusIvEENSB_8equal_toIvEES6_EE10hipError_tPvRmT2_T3_T4_T5_mT6_T7_P12ihipStream_tbENKUlT_T0_E_clISt17integral_constantIbLb0EES13_EEDaSY_SZ_EUlSY_E_NS1_11comp_targetILNS1_3genE9ELNS1_11target_archE1100ELNS1_3gpuE3ELNS1_3repE0EEENS1_30default_config_static_selectorELNS0_4arch9wavefront6targetE0EEEvT1_,comdat
.Lfunc_end2164:
	.size	_ZN7rocprim17ROCPRIM_400000_NS6detail17trampoline_kernelINS0_14default_configENS1_27scan_by_key_config_selectorIj11FixedVectorIiLj8EEEEZZNS1_16scan_by_key_implILNS1_25lookback_scan_determinismE0ELb1ES3_N6thrust23THRUST_200600_302600_NS6detail15normal_iteratorINSB_10device_ptrIjEEEENSD_INSE_IS6_EEEESI_S6_NSB_4plusIvEENSB_8equal_toIvEES6_EE10hipError_tPvRmT2_T3_T4_T5_mT6_T7_P12ihipStream_tbENKUlT_T0_E_clISt17integral_constantIbLb0EES13_EEDaSY_SZ_EUlSY_E_NS1_11comp_targetILNS1_3genE9ELNS1_11target_archE1100ELNS1_3gpuE3ELNS1_3repE0EEENS1_30default_config_static_selectorELNS0_4arch9wavefront6targetE0EEEvT1_, .Lfunc_end2164-_ZN7rocprim17ROCPRIM_400000_NS6detail17trampoline_kernelINS0_14default_configENS1_27scan_by_key_config_selectorIj11FixedVectorIiLj8EEEEZZNS1_16scan_by_key_implILNS1_25lookback_scan_determinismE0ELb1ES3_N6thrust23THRUST_200600_302600_NS6detail15normal_iteratorINSB_10device_ptrIjEEEENSD_INSE_IS6_EEEESI_S6_NSB_4plusIvEENSB_8equal_toIvEES6_EE10hipError_tPvRmT2_T3_T4_T5_mT6_T7_P12ihipStream_tbENKUlT_T0_E_clISt17integral_constantIbLb0EES13_EEDaSY_SZ_EUlSY_E_NS1_11comp_targetILNS1_3genE9ELNS1_11target_archE1100ELNS1_3gpuE3ELNS1_3repE0EEENS1_30default_config_static_selectorELNS0_4arch9wavefront6targetE0EEEvT1_
                                        ; -- End function
	.set _ZN7rocprim17ROCPRIM_400000_NS6detail17trampoline_kernelINS0_14default_configENS1_27scan_by_key_config_selectorIj11FixedVectorIiLj8EEEEZZNS1_16scan_by_key_implILNS1_25lookback_scan_determinismE0ELb1ES3_N6thrust23THRUST_200600_302600_NS6detail15normal_iteratorINSB_10device_ptrIjEEEENSD_INSE_IS6_EEEESI_S6_NSB_4plusIvEENSB_8equal_toIvEES6_EE10hipError_tPvRmT2_T3_T4_T5_mT6_T7_P12ihipStream_tbENKUlT_T0_E_clISt17integral_constantIbLb0EES13_EEDaSY_SZ_EUlSY_E_NS1_11comp_targetILNS1_3genE9ELNS1_11target_archE1100ELNS1_3gpuE3ELNS1_3repE0EEENS1_30default_config_static_selectorELNS0_4arch9wavefront6targetE0EEEvT1_.num_vgpr, 0
	.set _ZN7rocprim17ROCPRIM_400000_NS6detail17trampoline_kernelINS0_14default_configENS1_27scan_by_key_config_selectorIj11FixedVectorIiLj8EEEEZZNS1_16scan_by_key_implILNS1_25lookback_scan_determinismE0ELb1ES3_N6thrust23THRUST_200600_302600_NS6detail15normal_iteratorINSB_10device_ptrIjEEEENSD_INSE_IS6_EEEESI_S6_NSB_4plusIvEENSB_8equal_toIvEES6_EE10hipError_tPvRmT2_T3_T4_T5_mT6_T7_P12ihipStream_tbENKUlT_T0_E_clISt17integral_constantIbLb0EES13_EEDaSY_SZ_EUlSY_E_NS1_11comp_targetILNS1_3genE9ELNS1_11target_archE1100ELNS1_3gpuE3ELNS1_3repE0EEENS1_30default_config_static_selectorELNS0_4arch9wavefront6targetE0EEEvT1_.num_agpr, 0
	.set _ZN7rocprim17ROCPRIM_400000_NS6detail17trampoline_kernelINS0_14default_configENS1_27scan_by_key_config_selectorIj11FixedVectorIiLj8EEEEZZNS1_16scan_by_key_implILNS1_25lookback_scan_determinismE0ELb1ES3_N6thrust23THRUST_200600_302600_NS6detail15normal_iteratorINSB_10device_ptrIjEEEENSD_INSE_IS6_EEEESI_S6_NSB_4plusIvEENSB_8equal_toIvEES6_EE10hipError_tPvRmT2_T3_T4_T5_mT6_T7_P12ihipStream_tbENKUlT_T0_E_clISt17integral_constantIbLb0EES13_EEDaSY_SZ_EUlSY_E_NS1_11comp_targetILNS1_3genE9ELNS1_11target_archE1100ELNS1_3gpuE3ELNS1_3repE0EEENS1_30default_config_static_selectorELNS0_4arch9wavefront6targetE0EEEvT1_.numbered_sgpr, 0
	.set _ZN7rocprim17ROCPRIM_400000_NS6detail17trampoline_kernelINS0_14default_configENS1_27scan_by_key_config_selectorIj11FixedVectorIiLj8EEEEZZNS1_16scan_by_key_implILNS1_25lookback_scan_determinismE0ELb1ES3_N6thrust23THRUST_200600_302600_NS6detail15normal_iteratorINSB_10device_ptrIjEEEENSD_INSE_IS6_EEEESI_S6_NSB_4plusIvEENSB_8equal_toIvEES6_EE10hipError_tPvRmT2_T3_T4_T5_mT6_T7_P12ihipStream_tbENKUlT_T0_E_clISt17integral_constantIbLb0EES13_EEDaSY_SZ_EUlSY_E_NS1_11comp_targetILNS1_3genE9ELNS1_11target_archE1100ELNS1_3gpuE3ELNS1_3repE0EEENS1_30default_config_static_selectorELNS0_4arch9wavefront6targetE0EEEvT1_.num_named_barrier, 0
	.set _ZN7rocprim17ROCPRIM_400000_NS6detail17trampoline_kernelINS0_14default_configENS1_27scan_by_key_config_selectorIj11FixedVectorIiLj8EEEEZZNS1_16scan_by_key_implILNS1_25lookback_scan_determinismE0ELb1ES3_N6thrust23THRUST_200600_302600_NS6detail15normal_iteratorINSB_10device_ptrIjEEEENSD_INSE_IS6_EEEESI_S6_NSB_4plusIvEENSB_8equal_toIvEES6_EE10hipError_tPvRmT2_T3_T4_T5_mT6_T7_P12ihipStream_tbENKUlT_T0_E_clISt17integral_constantIbLb0EES13_EEDaSY_SZ_EUlSY_E_NS1_11comp_targetILNS1_3genE9ELNS1_11target_archE1100ELNS1_3gpuE3ELNS1_3repE0EEENS1_30default_config_static_selectorELNS0_4arch9wavefront6targetE0EEEvT1_.private_seg_size, 0
	.set _ZN7rocprim17ROCPRIM_400000_NS6detail17trampoline_kernelINS0_14default_configENS1_27scan_by_key_config_selectorIj11FixedVectorIiLj8EEEEZZNS1_16scan_by_key_implILNS1_25lookback_scan_determinismE0ELb1ES3_N6thrust23THRUST_200600_302600_NS6detail15normal_iteratorINSB_10device_ptrIjEEEENSD_INSE_IS6_EEEESI_S6_NSB_4plusIvEENSB_8equal_toIvEES6_EE10hipError_tPvRmT2_T3_T4_T5_mT6_T7_P12ihipStream_tbENKUlT_T0_E_clISt17integral_constantIbLb0EES13_EEDaSY_SZ_EUlSY_E_NS1_11comp_targetILNS1_3genE9ELNS1_11target_archE1100ELNS1_3gpuE3ELNS1_3repE0EEENS1_30default_config_static_selectorELNS0_4arch9wavefront6targetE0EEEvT1_.uses_vcc, 0
	.set _ZN7rocprim17ROCPRIM_400000_NS6detail17trampoline_kernelINS0_14default_configENS1_27scan_by_key_config_selectorIj11FixedVectorIiLj8EEEEZZNS1_16scan_by_key_implILNS1_25lookback_scan_determinismE0ELb1ES3_N6thrust23THRUST_200600_302600_NS6detail15normal_iteratorINSB_10device_ptrIjEEEENSD_INSE_IS6_EEEESI_S6_NSB_4plusIvEENSB_8equal_toIvEES6_EE10hipError_tPvRmT2_T3_T4_T5_mT6_T7_P12ihipStream_tbENKUlT_T0_E_clISt17integral_constantIbLb0EES13_EEDaSY_SZ_EUlSY_E_NS1_11comp_targetILNS1_3genE9ELNS1_11target_archE1100ELNS1_3gpuE3ELNS1_3repE0EEENS1_30default_config_static_selectorELNS0_4arch9wavefront6targetE0EEEvT1_.uses_flat_scratch, 0
	.set _ZN7rocprim17ROCPRIM_400000_NS6detail17trampoline_kernelINS0_14default_configENS1_27scan_by_key_config_selectorIj11FixedVectorIiLj8EEEEZZNS1_16scan_by_key_implILNS1_25lookback_scan_determinismE0ELb1ES3_N6thrust23THRUST_200600_302600_NS6detail15normal_iteratorINSB_10device_ptrIjEEEENSD_INSE_IS6_EEEESI_S6_NSB_4plusIvEENSB_8equal_toIvEES6_EE10hipError_tPvRmT2_T3_T4_T5_mT6_T7_P12ihipStream_tbENKUlT_T0_E_clISt17integral_constantIbLb0EES13_EEDaSY_SZ_EUlSY_E_NS1_11comp_targetILNS1_3genE9ELNS1_11target_archE1100ELNS1_3gpuE3ELNS1_3repE0EEENS1_30default_config_static_selectorELNS0_4arch9wavefront6targetE0EEEvT1_.has_dyn_sized_stack, 0
	.set _ZN7rocprim17ROCPRIM_400000_NS6detail17trampoline_kernelINS0_14default_configENS1_27scan_by_key_config_selectorIj11FixedVectorIiLj8EEEEZZNS1_16scan_by_key_implILNS1_25lookback_scan_determinismE0ELb1ES3_N6thrust23THRUST_200600_302600_NS6detail15normal_iteratorINSB_10device_ptrIjEEEENSD_INSE_IS6_EEEESI_S6_NSB_4plusIvEENSB_8equal_toIvEES6_EE10hipError_tPvRmT2_T3_T4_T5_mT6_T7_P12ihipStream_tbENKUlT_T0_E_clISt17integral_constantIbLb0EES13_EEDaSY_SZ_EUlSY_E_NS1_11comp_targetILNS1_3genE9ELNS1_11target_archE1100ELNS1_3gpuE3ELNS1_3repE0EEENS1_30default_config_static_selectorELNS0_4arch9wavefront6targetE0EEEvT1_.has_recursion, 0
	.set _ZN7rocprim17ROCPRIM_400000_NS6detail17trampoline_kernelINS0_14default_configENS1_27scan_by_key_config_selectorIj11FixedVectorIiLj8EEEEZZNS1_16scan_by_key_implILNS1_25lookback_scan_determinismE0ELb1ES3_N6thrust23THRUST_200600_302600_NS6detail15normal_iteratorINSB_10device_ptrIjEEEENSD_INSE_IS6_EEEESI_S6_NSB_4plusIvEENSB_8equal_toIvEES6_EE10hipError_tPvRmT2_T3_T4_T5_mT6_T7_P12ihipStream_tbENKUlT_T0_E_clISt17integral_constantIbLb0EES13_EEDaSY_SZ_EUlSY_E_NS1_11comp_targetILNS1_3genE9ELNS1_11target_archE1100ELNS1_3gpuE3ELNS1_3repE0EEENS1_30default_config_static_selectorELNS0_4arch9wavefront6targetE0EEEvT1_.has_indirect_call, 0
	.section	.AMDGPU.csdata,"",@progbits
; Kernel info:
; codeLenInByte = 0
; TotalNumSgprs: 0
; NumVgprs: 0
; ScratchSize: 0
; MemoryBound: 0
; FloatMode: 240
; IeeeMode: 1
; LDSByteSize: 0 bytes/workgroup (compile time only)
; SGPRBlocks: 0
; VGPRBlocks: 0
; NumSGPRsForWavesPerEU: 1
; NumVGPRsForWavesPerEU: 1
; NamedBarCnt: 0
; Occupancy: 16
; WaveLimiterHint : 0
; COMPUTE_PGM_RSRC2:SCRATCH_EN: 0
; COMPUTE_PGM_RSRC2:USER_SGPR: 2
; COMPUTE_PGM_RSRC2:TRAP_HANDLER: 0
; COMPUTE_PGM_RSRC2:TGID_X_EN: 1
; COMPUTE_PGM_RSRC2:TGID_Y_EN: 0
; COMPUTE_PGM_RSRC2:TGID_Z_EN: 0
; COMPUTE_PGM_RSRC2:TIDIG_COMP_CNT: 0
	.section	.text._ZN7rocprim17ROCPRIM_400000_NS6detail17trampoline_kernelINS0_14default_configENS1_27scan_by_key_config_selectorIj11FixedVectorIiLj8EEEEZZNS1_16scan_by_key_implILNS1_25lookback_scan_determinismE0ELb1ES3_N6thrust23THRUST_200600_302600_NS6detail15normal_iteratorINSB_10device_ptrIjEEEENSD_INSE_IS6_EEEESI_S6_NSB_4plusIvEENSB_8equal_toIvEES6_EE10hipError_tPvRmT2_T3_T4_T5_mT6_T7_P12ihipStream_tbENKUlT_T0_E_clISt17integral_constantIbLb0EES13_EEDaSY_SZ_EUlSY_E_NS1_11comp_targetILNS1_3genE8ELNS1_11target_archE1030ELNS1_3gpuE2ELNS1_3repE0EEENS1_30default_config_static_selectorELNS0_4arch9wavefront6targetE0EEEvT1_,"axG",@progbits,_ZN7rocprim17ROCPRIM_400000_NS6detail17trampoline_kernelINS0_14default_configENS1_27scan_by_key_config_selectorIj11FixedVectorIiLj8EEEEZZNS1_16scan_by_key_implILNS1_25lookback_scan_determinismE0ELb1ES3_N6thrust23THRUST_200600_302600_NS6detail15normal_iteratorINSB_10device_ptrIjEEEENSD_INSE_IS6_EEEESI_S6_NSB_4plusIvEENSB_8equal_toIvEES6_EE10hipError_tPvRmT2_T3_T4_T5_mT6_T7_P12ihipStream_tbENKUlT_T0_E_clISt17integral_constantIbLb0EES13_EEDaSY_SZ_EUlSY_E_NS1_11comp_targetILNS1_3genE8ELNS1_11target_archE1030ELNS1_3gpuE2ELNS1_3repE0EEENS1_30default_config_static_selectorELNS0_4arch9wavefront6targetE0EEEvT1_,comdat
	.protected	_ZN7rocprim17ROCPRIM_400000_NS6detail17trampoline_kernelINS0_14default_configENS1_27scan_by_key_config_selectorIj11FixedVectorIiLj8EEEEZZNS1_16scan_by_key_implILNS1_25lookback_scan_determinismE0ELb1ES3_N6thrust23THRUST_200600_302600_NS6detail15normal_iteratorINSB_10device_ptrIjEEEENSD_INSE_IS6_EEEESI_S6_NSB_4plusIvEENSB_8equal_toIvEES6_EE10hipError_tPvRmT2_T3_T4_T5_mT6_T7_P12ihipStream_tbENKUlT_T0_E_clISt17integral_constantIbLb0EES13_EEDaSY_SZ_EUlSY_E_NS1_11comp_targetILNS1_3genE8ELNS1_11target_archE1030ELNS1_3gpuE2ELNS1_3repE0EEENS1_30default_config_static_selectorELNS0_4arch9wavefront6targetE0EEEvT1_ ; -- Begin function _ZN7rocprim17ROCPRIM_400000_NS6detail17trampoline_kernelINS0_14default_configENS1_27scan_by_key_config_selectorIj11FixedVectorIiLj8EEEEZZNS1_16scan_by_key_implILNS1_25lookback_scan_determinismE0ELb1ES3_N6thrust23THRUST_200600_302600_NS6detail15normal_iteratorINSB_10device_ptrIjEEEENSD_INSE_IS6_EEEESI_S6_NSB_4plusIvEENSB_8equal_toIvEES6_EE10hipError_tPvRmT2_T3_T4_T5_mT6_T7_P12ihipStream_tbENKUlT_T0_E_clISt17integral_constantIbLb0EES13_EEDaSY_SZ_EUlSY_E_NS1_11comp_targetILNS1_3genE8ELNS1_11target_archE1030ELNS1_3gpuE2ELNS1_3repE0EEENS1_30default_config_static_selectorELNS0_4arch9wavefront6targetE0EEEvT1_
	.globl	_ZN7rocprim17ROCPRIM_400000_NS6detail17trampoline_kernelINS0_14default_configENS1_27scan_by_key_config_selectorIj11FixedVectorIiLj8EEEEZZNS1_16scan_by_key_implILNS1_25lookback_scan_determinismE0ELb1ES3_N6thrust23THRUST_200600_302600_NS6detail15normal_iteratorINSB_10device_ptrIjEEEENSD_INSE_IS6_EEEESI_S6_NSB_4plusIvEENSB_8equal_toIvEES6_EE10hipError_tPvRmT2_T3_T4_T5_mT6_T7_P12ihipStream_tbENKUlT_T0_E_clISt17integral_constantIbLb0EES13_EEDaSY_SZ_EUlSY_E_NS1_11comp_targetILNS1_3genE8ELNS1_11target_archE1030ELNS1_3gpuE2ELNS1_3repE0EEENS1_30default_config_static_selectorELNS0_4arch9wavefront6targetE0EEEvT1_
	.p2align	8
	.type	_ZN7rocprim17ROCPRIM_400000_NS6detail17trampoline_kernelINS0_14default_configENS1_27scan_by_key_config_selectorIj11FixedVectorIiLj8EEEEZZNS1_16scan_by_key_implILNS1_25lookback_scan_determinismE0ELb1ES3_N6thrust23THRUST_200600_302600_NS6detail15normal_iteratorINSB_10device_ptrIjEEEENSD_INSE_IS6_EEEESI_S6_NSB_4plusIvEENSB_8equal_toIvEES6_EE10hipError_tPvRmT2_T3_T4_T5_mT6_T7_P12ihipStream_tbENKUlT_T0_E_clISt17integral_constantIbLb0EES13_EEDaSY_SZ_EUlSY_E_NS1_11comp_targetILNS1_3genE8ELNS1_11target_archE1030ELNS1_3gpuE2ELNS1_3repE0EEENS1_30default_config_static_selectorELNS0_4arch9wavefront6targetE0EEEvT1_,@function
_ZN7rocprim17ROCPRIM_400000_NS6detail17trampoline_kernelINS0_14default_configENS1_27scan_by_key_config_selectorIj11FixedVectorIiLj8EEEEZZNS1_16scan_by_key_implILNS1_25lookback_scan_determinismE0ELb1ES3_N6thrust23THRUST_200600_302600_NS6detail15normal_iteratorINSB_10device_ptrIjEEEENSD_INSE_IS6_EEEESI_S6_NSB_4plusIvEENSB_8equal_toIvEES6_EE10hipError_tPvRmT2_T3_T4_T5_mT6_T7_P12ihipStream_tbENKUlT_T0_E_clISt17integral_constantIbLb0EES13_EEDaSY_SZ_EUlSY_E_NS1_11comp_targetILNS1_3genE8ELNS1_11target_archE1030ELNS1_3gpuE2ELNS1_3repE0EEENS1_30default_config_static_selectorELNS0_4arch9wavefront6targetE0EEEvT1_: ; @_ZN7rocprim17ROCPRIM_400000_NS6detail17trampoline_kernelINS0_14default_configENS1_27scan_by_key_config_selectorIj11FixedVectorIiLj8EEEEZZNS1_16scan_by_key_implILNS1_25lookback_scan_determinismE0ELb1ES3_N6thrust23THRUST_200600_302600_NS6detail15normal_iteratorINSB_10device_ptrIjEEEENSD_INSE_IS6_EEEESI_S6_NSB_4plusIvEENSB_8equal_toIvEES6_EE10hipError_tPvRmT2_T3_T4_T5_mT6_T7_P12ihipStream_tbENKUlT_T0_E_clISt17integral_constantIbLb0EES13_EEDaSY_SZ_EUlSY_E_NS1_11comp_targetILNS1_3genE8ELNS1_11target_archE1030ELNS1_3gpuE2ELNS1_3repE0EEENS1_30default_config_static_selectorELNS0_4arch9wavefront6targetE0EEEvT1_
; %bb.0:
	.section	.rodata,"a",@progbits
	.p2align	6, 0x0
	.amdhsa_kernel _ZN7rocprim17ROCPRIM_400000_NS6detail17trampoline_kernelINS0_14default_configENS1_27scan_by_key_config_selectorIj11FixedVectorIiLj8EEEEZZNS1_16scan_by_key_implILNS1_25lookback_scan_determinismE0ELb1ES3_N6thrust23THRUST_200600_302600_NS6detail15normal_iteratorINSB_10device_ptrIjEEEENSD_INSE_IS6_EEEESI_S6_NSB_4plusIvEENSB_8equal_toIvEES6_EE10hipError_tPvRmT2_T3_T4_T5_mT6_T7_P12ihipStream_tbENKUlT_T0_E_clISt17integral_constantIbLb0EES13_EEDaSY_SZ_EUlSY_E_NS1_11comp_targetILNS1_3genE8ELNS1_11target_archE1030ELNS1_3gpuE2ELNS1_3repE0EEENS1_30default_config_static_selectorELNS0_4arch9wavefront6targetE0EEEvT1_
		.amdhsa_group_segment_fixed_size 0
		.amdhsa_private_segment_fixed_size 0
		.amdhsa_kernarg_size 160
		.amdhsa_user_sgpr_count 2
		.amdhsa_user_sgpr_dispatch_ptr 0
		.amdhsa_user_sgpr_queue_ptr 0
		.amdhsa_user_sgpr_kernarg_segment_ptr 1
		.amdhsa_user_sgpr_dispatch_id 0
		.amdhsa_user_sgpr_kernarg_preload_length 0
		.amdhsa_user_sgpr_kernarg_preload_offset 0
		.amdhsa_user_sgpr_private_segment_size 0
		.amdhsa_wavefront_size32 1
		.amdhsa_uses_dynamic_stack 0
		.amdhsa_enable_private_segment 0
		.amdhsa_system_sgpr_workgroup_id_x 1
		.amdhsa_system_sgpr_workgroup_id_y 0
		.amdhsa_system_sgpr_workgroup_id_z 0
		.amdhsa_system_sgpr_workgroup_info 0
		.amdhsa_system_vgpr_workitem_id 0
		.amdhsa_next_free_vgpr 1
		.amdhsa_next_free_sgpr 1
		.amdhsa_named_barrier_count 0
		.amdhsa_reserve_vcc 0
		.amdhsa_float_round_mode_32 0
		.amdhsa_float_round_mode_16_64 0
		.amdhsa_float_denorm_mode_32 3
		.amdhsa_float_denorm_mode_16_64 3
		.amdhsa_fp16_overflow 0
		.amdhsa_memory_ordered 1
		.amdhsa_forward_progress 1
		.amdhsa_inst_pref_size 0
		.amdhsa_round_robin_scheduling 0
		.amdhsa_exception_fp_ieee_invalid_op 0
		.amdhsa_exception_fp_denorm_src 0
		.amdhsa_exception_fp_ieee_div_zero 0
		.amdhsa_exception_fp_ieee_overflow 0
		.amdhsa_exception_fp_ieee_underflow 0
		.amdhsa_exception_fp_ieee_inexact 0
		.amdhsa_exception_int_div_zero 0
	.end_amdhsa_kernel
	.section	.text._ZN7rocprim17ROCPRIM_400000_NS6detail17trampoline_kernelINS0_14default_configENS1_27scan_by_key_config_selectorIj11FixedVectorIiLj8EEEEZZNS1_16scan_by_key_implILNS1_25lookback_scan_determinismE0ELb1ES3_N6thrust23THRUST_200600_302600_NS6detail15normal_iteratorINSB_10device_ptrIjEEEENSD_INSE_IS6_EEEESI_S6_NSB_4plusIvEENSB_8equal_toIvEES6_EE10hipError_tPvRmT2_T3_T4_T5_mT6_T7_P12ihipStream_tbENKUlT_T0_E_clISt17integral_constantIbLb0EES13_EEDaSY_SZ_EUlSY_E_NS1_11comp_targetILNS1_3genE8ELNS1_11target_archE1030ELNS1_3gpuE2ELNS1_3repE0EEENS1_30default_config_static_selectorELNS0_4arch9wavefront6targetE0EEEvT1_,"axG",@progbits,_ZN7rocprim17ROCPRIM_400000_NS6detail17trampoline_kernelINS0_14default_configENS1_27scan_by_key_config_selectorIj11FixedVectorIiLj8EEEEZZNS1_16scan_by_key_implILNS1_25lookback_scan_determinismE0ELb1ES3_N6thrust23THRUST_200600_302600_NS6detail15normal_iteratorINSB_10device_ptrIjEEEENSD_INSE_IS6_EEEESI_S6_NSB_4plusIvEENSB_8equal_toIvEES6_EE10hipError_tPvRmT2_T3_T4_T5_mT6_T7_P12ihipStream_tbENKUlT_T0_E_clISt17integral_constantIbLb0EES13_EEDaSY_SZ_EUlSY_E_NS1_11comp_targetILNS1_3genE8ELNS1_11target_archE1030ELNS1_3gpuE2ELNS1_3repE0EEENS1_30default_config_static_selectorELNS0_4arch9wavefront6targetE0EEEvT1_,comdat
.Lfunc_end2165:
	.size	_ZN7rocprim17ROCPRIM_400000_NS6detail17trampoline_kernelINS0_14default_configENS1_27scan_by_key_config_selectorIj11FixedVectorIiLj8EEEEZZNS1_16scan_by_key_implILNS1_25lookback_scan_determinismE0ELb1ES3_N6thrust23THRUST_200600_302600_NS6detail15normal_iteratorINSB_10device_ptrIjEEEENSD_INSE_IS6_EEEESI_S6_NSB_4plusIvEENSB_8equal_toIvEES6_EE10hipError_tPvRmT2_T3_T4_T5_mT6_T7_P12ihipStream_tbENKUlT_T0_E_clISt17integral_constantIbLb0EES13_EEDaSY_SZ_EUlSY_E_NS1_11comp_targetILNS1_3genE8ELNS1_11target_archE1030ELNS1_3gpuE2ELNS1_3repE0EEENS1_30default_config_static_selectorELNS0_4arch9wavefront6targetE0EEEvT1_, .Lfunc_end2165-_ZN7rocprim17ROCPRIM_400000_NS6detail17trampoline_kernelINS0_14default_configENS1_27scan_by_key_config_selectorIj11FixedVectorIiLj8EEEEZZNS1_16scan_by_key_implILNS1_25lookback_scan_determinismE0ELb1ES3_N6thrust23THRUST_200600_302600_NS6detail15normal_iteratorINSB_10device_ptrIjEEEENSD_INSE_IS6_EEEESI_S6_NSB_4plusIvEENSB_8equal_toIvEES6_EE10hipError_tPvRmT2_T3_T4_T5_mT6_T7_P12ihipStream_tbENKUlT_T0_E_clISt17integral_constantIbLb0EES13_EEDaSY_SZ_EUlSY_E_NS1_11comp_targetILNS1_3genE8ELNS1_11target_archE1030ELNS1_3gpuE2ELNS1_3repE0EEENS1_30default_config_static_selectorELNS0_4arch9wavefront6targetE0EEEvT1_
                                        ; -- End function
	.set _ZN7rocprim17ROCPRIM_400000_NS6detail17trampoline_kernelINS0_14default_configENS1_27scan_by_key_config_selectorIj11FixedVectorIiLj8EEEEZZNS1_16scan_by_key_implILNS1_25lookback_scan_determinismE0ELb1ES3_N6thrust23THRUST_200600_302600_NS6detail15normal_iteratorINSB_10device_ptrIjEEEENSD_INSE_IS6_EEEESI_S6_NSB_4plusIvEENSB_8equal_toIvEES6_EE10hipError_tPvRmT2_T3_T4_T5_mT6_T7_P12ihipStream_tbENKUlT_T0_E_clISt17integral_constantIbLb0EES13_EEDaSY_SZ_EUlSY_E_NS1_11comp_targetILNS1_3genE8ELNS1_11target_archE1030ELNS1_3gpuE2ELNS1_3repE0EEENS1_30default_config_static_selectorELNS0_4arch9wavefront6targetE0EEEvT1_.num_vgpr, 0
	.set _ZN7rocprim17ROCPRIM_400000_NS6detail17trampoline_kernelINS0_14default_configENS1_27scan_by_key_config_selectorIj11FixedVectorIiLj8EEEEZZNS1_16scan_by_key_implILNS1_25lookback_scan_determinismE0ELb1ES3_N6thrust23THRUST_200600_302600_NS6detail15normal_iteratorINSB_10device_ptrIjEEEENSD_INSE_IS6_EEEESI_S6_NSB_4plusIvEENSB_8equal_toIvEES6_EE10hipError_tPvRmT2_T3_T4_T5_mT6_T7_P12ihipStream_tbENKUlT_T0_E_clISt17integral_constantIbLb0EES13_EEDaSY_SZ_EUlSY_E_NS1_11comp_targetILNS1_3genE8ELNS1_11target_archE1030ELNS1_3gpuE2ELNS1_3repE0EEENS1_30default_config_static_selectorELNS0_4arch9wavefront6targetE0EEEvT1_.num_agpr, 0
	.set _ZN7rocprim17ROCPRIM_400000_NS6detail17trampoline_kernelINS0_14default_configENS1_27scan_by_key_config_selectorIj11FixedVectorIiLj8EEEEZZNS1_16scan_by_key_implILNS1_25lookback_scan_determinismE0ELb1ES3_N6thrust23THRUST_200600_302600_NS6detail15normal_iteratorINSB_10device_ptrIjEEEENSD_INSE_IS6_EEEESI_S6_NSB_4plusIvEENSB_8equal_toIvEES6_EE10hipError_tPvRmT2_T3_T4_T5_mT6_T7_P12ihipStream_tbENKUlT_T0_E_clISt17integral_constantIbLb0EES13_EEDaSY_SZ_EUlSY_E_NS1_11comp_targetILNS1_3genE8ELNS1_11target_archE1030ELNS1_3gpuE2ELNS1_3repE0EEENS1_30default_config_static_selectorELNS0_4arch9wavefront6targetE0EEEvT1_.numbered_sgpr, 0
	.set _ZN7rocprim17ROCPRIM_400000_NS6detail17trampoline_kernelINS0_14default_configENS1_27scan_by_key_config_selectorIj11FixedVectorIiLj8EEEEZZNS1_16scan_by_key_implILNS1_25lookback_scan_determinismE0ELb1ES3_N6thrust23THRUST_200600_302600_NS6detail15normal_iteratorINSB_10device_ptrIjEEEENSD_INSE_IS6_EEEESI_S6_NSB_4plusIvEENSB_8equal_toIvEES6_EE10hipError_tPvRmT2_T3_T4_T5_mT6_T7_P12ihipStream_tbENKUlT_T0_E_clISt17integral_constantIbLb0EES13_EEDaSY_SZ_EUlSY_E_NS1_11comp_targetILNS1_3genE8ELNS1_11target_archE1030ELNS1_3gpuE2ELNS1_3repE0EEENS1_30default_config_static_selectorELNS0_4arch9wavefront6targetE0EEEvT1_.num_named_barrier, 0
	.set _ZN7rocprim17ROCPRIM_400000_NS6detail17trampoline_kernelINS0_14default_configENS1_27scan_by_key_config_selectorIj11FixedVectorIiLj8EEEEZZNS1_16scan_by_key_implILNS1_25lookback_scan_determinismE0ELb1ES3_N6thrust23THRUST_200600_302600_NS6detail15normal_iteratorINSB_10device_ptrIjEEEENSD_INSE_IS6_EEEESI_S6_NSB_4plusIvEENSB_8equal_toIvEES6_EE10hipError_tPvRmT2_T3_T4_T5_mT6_T7_P12ihipStream_tbENKUlT_T0_E_clISt17integral_constantIbLb0EES13_EEDaSY_SZ_EUlSY_E_NS1_11comp_targetILNS1_3genE8ELNS1_11target_archE1030ELNS1_3gpuE2ELNS1_3repE0EEENS1_30default_config_static_selectorELNS0_4arch9wavefront6targetE0EEEvT1_.private_seg_size, 0
	.set _ZN7rocprim17ROCPRIM_400000_NS6detail17trampoline_kernelINS0_14default_configENS1_27scan_by_key_config_selectorIj11FixedVectorIiLj8EEEEZZNS1_16scan_by_key_implILNS1_25lookback_scan_determinismE0ELb1ES3_N6thrust23THRUST_200600_302600_NS6detail15normal_iteratorINSB_10device_ptrIjEEEENSD_INSE_IS6_EEEESI_S6_NSB_4plusIvEENSB_8equal_toIvEES6_EE10hipError_tPvRmT2_T3_T4_T5_mT6_T7_P12ihipStream_tbENKUlT_T0_E_clISt17integral_constantIbLb0EES13_EEDaSY_SZ_EUlSY_E_NS1_11comp_targetILNS1_3genE8ELNS1_11target_archE1030ELNS1_3gpuE2ELNS1_3repE0EEENS1_30default_config_static_selectorELNS0_4arch9wavefront6targetE0EEEvT1_.uses_vcc, 0
	.set _ZN7rocprim17ROCPRIM_400000_NS6detail17trampoline_kernelINS0_14default_configENS1_27scan_by_key_config_selectorIj11FixedVectorIiLj8EEEEZZNS1_16scan_by_key_implILNS1_25lookback_scan_determinismE0ELb1ES3_N6thrust23THRUST_200600_302600_NS6detail15normal_iteratorINSB_10device_ptrIjEEEENSD_INSE_IS6_EEEESI_S6_NSB_4plusIvEENSB_8equal_toIvEES6_EE10hipError_tPvRmT2_T3_T4_T5_mT6_T7_P12ihipStream_tbENKUlT_T0_E_clISt17integral_constantIbLb0EES13_EEDaSY_SZ_EUlSY_E_NS1_11comp_targetILNS1_3genE8ELNS1_11target_archE1030ELNS1_3gpuE2ELNS1_3repE0EEENS1_30default_config_static_selectorELNS0_4arch9wavefront6targetE0EEEvT1_.uses_flat_scratch, 0
	.set _ZN7rocprim17ROCPRIM_400000_NS6detail17trampoline_kernelINS0_14default_configENS1_27scan_by_key_config_selectorIj11FixedVectorIiLj8EEEEZZNS1_16scan_by_key_implILNS1_25lookback_scan_determinismE0ELb1ES3_N6thrust23THRUST_200600_302600_NS6detail15normal_iteratorINSB_10device_ptrIjEEEENSD_INSE_IS6_EEEESI_S6_NSB_4plusIvEENSB_8equal_toIvEES6_EE10hipError_tPvRmT2_T3_T4_T5_mT6_T7_P12ihipStream_tbENKUlT_T0_E_clISt17integral_constantIbLb0EES13_EEDaSY_SZ_EUlSY_E_NS1_11comp_targetILNS1_3genE8ELNS1_11target_archE1030ELNS1_3gpuE2ELNS1_3repE0EEENS1_30default_config_static_selectorELNS0_4arch9wavefront6targetE0EEEvT1_.has_dyn_sized_stack, 0
	.set _ZN7rocprim17ROCPRIM_400000_NS6detail17trampoline_kernelINS0_14default_configENS1_27scan_by_key_config_selectorIj11FixedVectorIiLj8EEEEZZNS1_16scan_by_key_implILNS1_25lookback_scan_determinismE0ELb1ES3_N6thrust23THRUST_200600_302600_NS6detail15normal_iteratorINSB_10device_ptrIjEEEENSD_INSE_IS6_EEEESI_S6_NSB_4plusIvEENSB_8equal_toIvEES6_EE10hipError_tPvRmT2_T3_T4_T5_mT6_T7_P12ihipStream_tbENKUlT_T0_E_clISt17integral_constantIbLb0EES13_EEDaSY_SZ_EUlSY_E_NS1_11comp_targetILNS1_3genE8ELNS1_11target_archE1030ELNS1_3gpuE2ELNS1_3repE0EEENS1_30default_config_static_selectorELNS0_4arch9wavefront6targetE0EEEvT1_.has_recursion, 0
	.set _ZN7rocprim17ROCPRIM_400000_NS6detail17trampoline_kernelINS0_14default_configENS1_27scan_by_key_config_selectorIj11FixedVectorIiLj8EEEEZZNS1_16scan_by_key_implILNS1_25lookback_scan_determinismE0ELb1ES3_N6thrust23THRUST_200600_302600_NS6detail15normal_iteratorINSB_10device_ptrIjEEEENSD_INSE_IS6_EEEESI_S6_NSB_4plusIvEENSB_8equal_toIvEES6_EE10hipError_tPvRmT2_T3_T4_T5_mT6_T7_P12ihipStream_tbENKUlT_T0_E_clISt17integral_constantIbLb0EES13_EEDaSY_SZ_EUlSY_E_NS1_11comp_targetILNS1_3genE8ELNS1_11target_archE1030ELNS1_3gpuE2ELNS1_3repE0EEENS1_30default_config_static_selectorELNS0_4arch9wavefront6targetE0EEEvT1_.has_indirect_call, 0
	.section	.AMDGPU.csdata,"",@progbits
; Kernel info:
; codeLenInByte = 0
; TotalNumSgprs: 0
; NumVgprs: 0
; ScratchSize: 0
; MemoryBound: 0
; FloatMode: 240
; IeeeMode: 1
; LDSByteSize: 0 bytes/workgroup (compile time only)
; SGPRBlocks: 0
; VGPRBlocks: 0
; NumSGPRsForWavesPerEU: 1
; NumVGPRsForWavesPerEU: 1
; NamedBarCnt: 0
; Occupancy: 16
; WaveLimiterHint : 0
; COMPUTE_PGM_RSRC2:SCRATCH_EN: 0
; COMPUTE_PGM_RSRC2:USER_SGPR: 2
; COMPUTE_PGM_RSRC2:TRAP_HANDLER: 0
; COMPUTE_PGM_RSRC2:TGID_X_EN: 1
; COMPUTE_PGM_RSRC2:TGID_Y_EN: 0
; COMPUTE_PGM_RSRC2:TGID_Z_EN: 0
; COMPUTE_PGM_RSRC2:TIDIG_COMP_CNT: 0
	.section	.text._ZN7rocprim17ROCPRIM_400000_NS6detail17trampoline_kernelINS0_14default_configENS1_27scan_by_key_config_selectorIj11FixedVectorIiLj8EEEEZZNS1_16scan_by_key_implILNS1_25lookback_scan_determinismE0ELb1ES3_N6thrust23THRUST_200600_302600_NS6detail15normal_iteratorINSB_10device_ptrIjEEEENSD_INSE_IS6_EEEESI_S6_NSB_4plusIvEENSB_8equal_toIvEES6_EE10hipError_tPvRmT2_T3_T4_T5_mT6_T7_P12ihipStream_tbENKUlT_T0_E_clISt17integral_constantIbLb1EES13_EEDaSY_SZ_EUlSY_E_NS1_11comp_targetILNS1_3genE0ELNS1_11target_archE4294967295ELNS1_3gpuE0ELNS1_3repE0EEENS1_30default_config_static_selectorELNS0_4arch9wavefront6targetE0EEEvT1_,"axG",@progbits,_ZN7rocprim17ROCPRIM_400000_NS6detail17trampoline_kernelINS0_14default_configENS1_27scan_by_key_config_selectorIj11FixedVectorIiLj8EEEEZZNS1_16scan_by_key_implILNS1_25lookback_scan_determinismE0ELb1ES3_N6thrust23THRUST_200600_302600_NS6detail15normal_iteratorINSB_10device_ptrIjEEEENSD_INSE_IS6_EEEESI_S6_NSB_4plusIvEENSB_8equal_toIvEES6_EE10hipError_tPvRmT2_T3_T4_T5_mT6_T7_P12ihipStream_tbENKUlT_T0_E_clISt17integral_constantIbLb1EES13_EEDaSY_SZ_EUlSY_E_NS1_11comp_targetILNS1_3genE0ELNS1_11target_archE4294967295ELNS1_3gpuE0ELNS1_3repE0EEENS1_30default_config_static_selectorELNS0_4arch9wavefront6targetE0EEEvT1_,comdat
	.protected	_ZN7rocprim17ROCPRIM_400000_NS6detail17trampoline_kernelINS0_14default_configENS1_27scan_by_key_config_selectorIj11FixedVectorIiLj8EEEEZZNS1_16scan_by_key_implILNS1_25lookback_scan_determinismE0ELb1ES3_N6thrust23THRUST_200600_302600_NS6detail15normal_iteratorINSB_10device_ptrIjEEEENSD_INSE_IS6_EEEESI_S6_NSB_4plusIvEENSB_8equal_toIvEES6_EE10hipError_tPvRmT2_T3_T4_T5_mT6_T7_P12ihipStream_tbENKUlT_T0_E_clISt17integral_constantIbLb1EES13_EEDaSY_SZ_EUlSY_E_NS1_11comp_targetILNS1_3genE0ELNS1_11target_archE4294967295ELNS1_3gpuE0ELNS1_3repE0EEENS1_30default_config_static_selectorELNS0_4arch9wavefront6targetE0EEEvT1_ ; -- Begin function _ZN7rocprim17ROCPRIM_400000_NS6detail17trampoline_kernelINS0_14default_configENS1_27scan_by_key_config_selectorIj11FixedVectorIiLj8EEEEZZNS1_16scan_by_key_implILNS1_25lookback_scan_determinismE0ELb1ES3_N6thrust23THRUST_200600_302600_NS6detail15normal_iteratorINSB_10device_ptrIjEEEENSD_INSE_IS6_EEEESI_S6_NSB_4plusIvEENSB_8equal_toIvEES6_EE10hipError_tPvRmT2_T3_T4_T5_mT6_T7_P12ihipStream_tbENKUlT_T0_E_clISt17integral_constantIbLb1EES13_EEDaSY_SZ_EUlSY_E_NS1_11comp_targetILNS1_3genE0ELNS1_11target_archE4294967295ELNS1_3gpuE0ELNS1_3repE0EEENS1_30default_config_static_selectorELNS0_4arch9wavefront6targetE0EEEvT1_
	.globl	_ZN7rocprim17ROCPRIM_400000_NS6detail17trampoline_kernelINS0_14default_configENS1_27scan_by_key_config_selectorIj11FixedVectorIiLj8EEEEZZNS1_16scan_by_key_implILNS1_25lookback_scan_determinismE0ELb1ES3_N6thrust23THRUST_200600_302600_NS6detail15normal_iteratorINSB_10device_ptrIjEEEENSD_INSE_IS6_EEEESI_S6_NSB_4plusIvEENSB_8equal_toIvEES6_EE10hipError_tPvRmT2_T3_T4_T5_mT6_T7_P12ihipStream_tbENKUlT_T0_E_clISt17integral_constantIbLb1EES13_EEDaSY_SZ_EUlSY_E_NS1_11comp_targetILNS1_3genE0ELNS1_11target_archE4294967295ELNS1_3gpuE0ELNS1_3repE0EEENS1_30default_config_static_selectorELNS0_4arch9wavefront6targetE0EEEvT1_
	.p2align	8
	.type	_ZN7rocprim17ROCPRIM_400000_NS6detail17trampoline_kernelINS0_14default_configENS1_27scan_by_key_config_selectorIj11FixedVectorIiLj8EEEEZZNS1_16scan_by_key_implILNS1_25lookback_scan_determinismE0ELb1ES3_N6thrust23THRUST_200600_302600_NS6detail15normal_iteratorINSB_10device_ptrIjEEEENSD_INSE_IS6_EEEESI_S6_NSB_4plusIvEENSB_8equal_toIvEES6_EE10hipError_tPvRmT2_T3_T4_T5_mT6_T7_P12ihipStream_tbENKUlT_T0_E_clISt17integral_constantIbLb1EES13_EEDaSY_SZ_EUlSY_E_NS1_11comp_targetILNS1_3genE0ELNS1_11target_archE4294967295ELNS1_3gpuE0ELNS1_3repE0EEENS1_30default_config_static_selectorELNS0_4arch9wavefront6targetE0EEEvT1_,@function
_ZN7rocprim17ROCPRIM_400000_NS6detail17trampoline_kernelINS0_14default_configENS1_27scan_by_key_config_selectorIj11FixedVectorIiLj8EEEEZZNS1_16scan_by_key_implILNS1_25lookback_scan_determinismE0ELb1ES3_N6thrust23THRUST_200600_302600_NS6detail15normal_iteratorINSB_10device_ptrIjEEEENSD_INSE_IS6_EEEESI_S6_NSB_4plusIvEENSB_8equal_toIvEES6_EE10hipError_tPvRmT2_T3_T4_T5_mT6_T7_P12ihipStream_tbENKUlT_T0_E_clISt17integral_constantIbLb1EES13_EEDaSY_SZ_EUlSY_E_NS1_11comp_targetILNS1_3genE0ELNS1_11target_archE4294967295ELNS1_3gpuE0ELNS1_3repE0EEENS1_30default_config_static_selectorELNS0_4arch9wavefront6targetE0EEEvT1_: ; @_ZN7rocprim17ROCPRIM_400000_NS6detail17trampoline_kernelINS0_14default_configENS1_27scan_by_key_config_selectorIj11FixedVectorIiLj8EEEEZZNS1_16scan_by_key_implILNS1_25lookback_scan_determinismE0ELb1ES3_N6thrust23THRUST_200600_302600_NS6detail15normal_iteratorINSB_10device_ptrIjEEEENSD_INSE_IS6_EEEESI_S6_NSB_4plusIvEENSB_8equal_toIvEES6_EE10hipError_tPvRmT2_T3_T4_T5_mT6_T7_P12ihipStream_tbENKUlT_T0_E_clISt17integral_constantIbLb1EES13_EEDaSY_SZ_EUlSY_E_NS1_11comp_targetILNS1_3genE0ELNS1_11target_archE4294967295ELNS1_3gpuE0ELNS1_3repE0EEENS1_30default_config_static_selectorELNS0_4arch9wavefront6targetE0EEEvT1_
; %bb.0:
	s_endpgm
	.section	.rodata,"a",@progbits
	.p2align	6, 0x0
	.amdhsa_kernel _ZN7rocprim17ROCPRIM_400000_NS6detail17trampoline_kernelINS0_14default_configENS1_27scan_by_key_config_selectorIj11FixedVectorIiLj8EEEEZZNS1_16scan_by_key_implILNS1_25lookback_scan_determinismE0ELb1ES3_N6thrust23THRUST_200600_302600_NS6detail15normal_iteratorINSB_10device_ptrIjEEEENSD_INSE_IS6_EEEESI_S6_NSB_4plusIvEENSB_8equal_toIvEES6_EE10hipError_tPvRmT2_T3_T4_T5_mT6_T7_P12ihipStream_tbENKUlT_T0_E_clISt17integral_constantIbLb1EES13_EEDaSY_SZ_EUlSY_E_NS1_11comp_targetILNS1_3genE0ELNS1_11target_archE4294967295ELNS1_3gpuE0ELNS1_3repE0EEENS1_30default_config_static_selectorELNS0_4arch9wavefront6targetE0EEEvT1_
		.amdhsa_group_segment_fixed_size 0
		.amdhsa_private_segment_fixed_size 0
		.amdhsa_kernarg_size 160
		.amdhsa_user_sgpr_count 2
		.amdhsa_user_sgpr_dispatch_ptr 0
		.amdhsa_user_sgpr_queue_ptr 0
		.amdhsa_user_sgpr_kernarg_segment_ptr 1
		.amdhsa_user_sgpr_dispatch_id 0
		.amdhsa_user_sgpr_kernarg_preload_length 0
		.amdhsa_user_sgpr_kernarg_preload_offset 0
		.amdhsa_user_sgpr_private_segment_size 0
		.amdhsa_wavefront_size32 1
		.amdhsa_uses_dynamic_stack 0
		.amdhsa_enable_private_segment 0
		.amdhsa_system_sgpr_workgroup_id_x 1
		.amdhsa_system_sgpr_workgroup_id_y 0
		.amdhsa_system_sgpr_workgroup_id_z 0
		.amdhsa_system_sgpr_workgroup_info 0
		.amdhsa_system_vgpr_workitem_id 0
		.amdhsa_next_free_vgpr 1
		.amdhsa_next_free_sgpr 1
		.amdhsa_named_barrier_count 0
		.amdhsa_reserve_vcc 0
		.amdhsa_float_round_mode_32 0
		.amdhsa_float_round_mode_16_64 0
		.amdhsa_float_denorm_mode_32 3
		.amdhsa_float_denorm_mode_16_64 3
		.amdhsa_fp16_overflow 0
		.amdhsa_memory_ordered 1
		.amdhsa_forward_progress 1
		.amdhsa_inst_pref_size 1
		.amdhsa_round_robin_scheduling 0
		.amdhsa_exception_fp_ieee_invalid_op 0
		.amdhsa_exception_fp_denorm_src 0
		.amdhsa_exception_fp_ieee_div_zero 0
		.amdhsa_exception_fp_ieee_overflow 0
		.amdhsa_exception_fp_ieee_underflow 0
		.amdhsa_exception_fp_ieee_inexact 0
		.amdhsa_exception_int_div_zero 0
	.end_amdhsa_kernel
	.section	.text._ZN7rocprim17ROCPRIM_400000_NS6detail17trampoline_kernelINS0_14default_configENS1_27scan_by_key_config_selectorIj11FixedVectorIiLj8EEEEZZNS1_16scan_by_key_implILNS1_25lookback_scan_determinismE0ELb1ES3_N6thrust23THRUST_200600_302600_NS6detail15normal_iteratorINSB_10device_ptrIjEEEENSD_INSE_IS6_EEEESI_S6_NSB_4plusIvEENSB_8equal_toIvEES6_EE10hipError_tPvRmT2_T3_T4_T5_mT6_T7_P12ihipStream_tbENKUlT_T0_E_clISt17integral_constantIbLb1EES13_EEDaSY_SZ_EUlSY_E_NS1_11comp_targetILNS1_3genE0ELNS1_11target_archE4294967295ELNS1_3gpuE0ELNS1_3repE0EEENS1_30default_config_static_selectorELNS0_4arch9wavefront6targetE0EEEvT1_,"axG",@progbits,_ZN7rocprim17ROCPRIM_400000_NS6detail17trampoline_kernelINS0_14default_configENS1_27scan_by_key_config_selectorIj11FixedVectorIiLj8EEEEZZNS1_16scan_by_key_implILNS1_25lookback_scan_determinismE0ELb1ES3_N6thrust23THRUST_200600_302600_NS6detail15normal_iteratorINSB_10device_ptrIjEEEENSD_INSE_IS6_EEEESI_S6_NSB_4plusIvEENSB_8equal_toIvEES6_EE10hipError_tPvRmT2_T3_T4_T5_mT6_T7_P12ihipStream_tbENKUlT_T0_E_clISt17integral_constantIbLb1EES13_EEDaSY_SZ_EUlSY_E_NS1_11comp_targetILNS1_3genE0ELNS1_11target_archE4294967295ELNS1_3gpuE0ELNS1_3repE0EEENS1_30default_config_static_selectorELNS0_4arch9wavefront6targetE0EEEvT1_,comdat
.Lfunc_end2166:
	.size	_ZN7rocprim17ROCPRIM_400000_NS6detail17trampoline_kernelINS0_14default_configENS1_27scan_by_key_config_selectorIj11FixedVectorIiLj8EEEEZZNS1_16scan_by_key_implILNS1_25lookback_scan_determinismE0ELb1ES3_N6thrust23THRUST_200600_302600_NS6detail15normal_iteratorINSB_10device_ptrIjEEEENSD_INSE_IS6_EEEESI_S6_NSB_4plusIvEENSB_8equal_toIvEES6_EE10hipError_tPvRmT2_T3_T4_T5_mT6_T7_P12ihipStream_tbENKUlT_T0_E_clISt17integral_constantIbLb1EES13_EEDaSY_SZ_EUlSY_E_NS1_11comp_targetILNS1_3genE0ELNS1_11target_archE4294967295ELNS1_3gpuE0ELNS1_3repE0EEENS1_30default_config_static_selectorELNS0_4arch9wavefront6targetE0EEEvT1_, .Lfunc_end2166-_ZN7rocprim17ROCPRIM_400000_NS6detail17trampoline_kernelINS0_14default_configENS1_27scan_by_key_config_selectorIj11FixedVectorIiLj8EEEEZZNS1_16scan_by_key_implILNS1_25lookback_scan_determinismE0ELb1ES3_N6thrust23THRUST_200600_302600_NS6detail15normal_iteratorINSB_10device_ptrIjEEEENSD_INSE_IS6_EEEESI_S6_NSB_4plusIvEENSB_8equal_toIvEES6_EE10hipError_tPvRmT2_T3_T4_T5_mT6_T7_P12ihipStream_tbENKUlT_T0_E_clISt17integral_constantIbLb1EES13_EEDaSY_SZ_EUlSY_E_NS1_11comp_targetILNS1_3genE0ELNS1_11target_archE4294967295ELNS1_3gpuE0ELNS1_3repE0EEENS1_30default_config_static_selectorELNS0_4arch9wavefront6targetE0EEEvT1_
                                        ; -- End function
	.set _ZN7rocprim17ROCPRIM_400000_NS6detail17trampoline_kernelINS0_14default_configENS1_27scan_by_key_config_selectorIj11FixedVectorIiLj8EEEEZZNS1_16scan_by_key_implILNS1_25lookback_scan_determinismE0ELb1ES3_N6thrust23THRUST_200600_302600_NS6detail15normal_iteratorINSB_10device_ptrIjEEEENSD_INSE_IS6_EEEESI_S6_NSB_4plusIvEENSB_8equal_toIvEES6_EE10hipError_tPvRmT2_T3_T4_T5_mT6_T7_P12ihipStream_tbENKUlT_T0_E_clISt17integral_constantIbLb1EES13_EEDaSY_SZ_EUlSY_E_NS1_11comp_targetILNS1_3genE0ELNS1_11target_archE4294967295ELNS1_3gpuE0ELNS1_3repE0EEENS1_30default_config_static_selectorELNS0_4arch9wavefront6targetE0EEEvT1_.num_vgpr, 0
	.set _ZN7rocprim17ROCPRIM_400000_NS6detail17trampoline_kernelINS0_14default_configENS1_27scan_by_key_config_selectorIj11FixedVectorIiLj8EEEEZZNS1_16scan_by_key_implILNS1_25lookback_scan_determinismE0ELb1ES3_N6thrust23THRUST_200600_302600_NS6detail15normal_iteratorINSB_10device_ptrIjEEEENSD_INSE_IS6_EEEESI_S6_NSB_4plusIvEENSB_8equal_toIvEES6_EE10hipError_tPvRmT2_T3_T4_T5_mT6_T7_P12ihipStream_tbENKUlT_T0_E_clISt17integral_constantIbLb1EES13_EEDaSY_SZ_EUlSY_E_NS1_11comp_targetILNS1_3genE0ELNS1_11target_archE4294967295ELNS1_3gpuE0ELNS1_3repE0EEENS1_30default_config_static_selectorELNS0_4arch9wavefront6targetE0EEEvT1_.num_agpr, 0
	.set _ZN7rocprim17ROCPRIM_400000_NS6detail17trampoline_kernelINS0_14default_configENS1_27scan_by_key_config_selectorIj11FixedVectorIiLj8EEEEZZNS1_16scan_by_key_implILNS1_25lookback_scan_determinismE0ELb1ES3_N6thrust23THRUST_200600_302600_NS6detail15normal_iteratorINSB_10device_ptrIjEEEENSD_INSE_IS6_EEEESI_S6_NSB_4plusIvEENSB_8equal_toIvEES6_EE10hipError_tPvRmT2_T3_T4_T5_mT6_T7_P12ihipStream_tbENKUlT_T0_E_clISt17integral_constantIbLb1EES13_EEDaSY_SZ_EUlSY_E_NS1_11comp_targetILNS1_3genE0ELNS1_11target_archE4294967295ELNS1_3gpuE0ELNS1_3repE0EEENS1_30default_config_static_selectorELNS0_4arch9wavefront6targetE0EEEvT1_.numbered_sgpr, 0
	.set _ZN7rocprim17ROCPRIM_400000_NS6detail17trampoline_kernelINS0_14default_configENS1_27scan_by_key_config_selectorIj11FixedVectorIiLj8EEEEZZNS1_16scan_by_key_implILNS1_25lookback_scan_determinismE0ELb1ES3_N6thrust23THRUST_200600_302600_NS6detail15normal_iteratorINSB_10device_ptrIjEEEENSD_INSE_IS6_EEEESI_S6_NSB_4plusIvEENSB_8equal_toIvEES6_EE10hipError_tPvRmT2_T3_T4_T5_mT6_T7_P12ihipStream_tbENKUlT_T0_E_clISt17integral_constantIbLb1EES13_EEDaSY_SZ_EUlSY_E_NS1_11comp_targetILNS1_3genE0ELNS1_11target_archE4294967295ELNS1_3gpuE0ELNS1_3repE0EEENS1_30default_config_static_selectorELNS0_4arch9wavefront6targetE0EEEvT1_.num_named_barrier, 0
	.set _ZN7rocprim17ROCPRIM_400000_NS6detail17trampoline_kernelINS0_14default_configENS1_27scan_by_key_config_selectorIj11FixedVectorIiLj8EEEEZZNS1_16scan_by_key_implILNS1_25lookback_scan_determinismE0ELb1ES3_N6thrust23THRUST_200600_302600_NS6detail15normal_iteratorINSB_10device_ptrIjEEEENSD_INSE_IS6_EEEESI_S6_NSB_4plusIvEENSB_8equal_toIvEES6_EE10hipError_tPvRmT2_T3_T4_T5_mT6_T7_P12ihipStream_tbENKUlT_T0_E_clISt17integral_constantIbLb1EES13_EEDaSY_SZ_EUlSY_E_NS1_11comp_targetILNS1_3genE0ELNS1_11target_archE4294967295ELNS1_3gpuE0ELNS1_3repE0EEENS1_30default_config_static_selectorELNS0_4arch9wavefront6targetE0EEEvT1_.private_seg_size, 0
	.set _ZN7rocprim17ROCPRIM_400000_NS6detail17trampoline_kernelINS0_14default_configENS1_27scan_by_key_config_selectorIj11FixedVectorIiLj8EEEEZZNS1_16scan_by_key_implILNS1_25lookback_scan_determinismE0ELb1ES3_N6thrust23THRUST_200600_302600_NS6detail15normal_iteratorINSB_10device_ptrIjEEEENSD_INSE_IS6_EEEESI_S6_NSB_4plusIvEENSB_8equal_toIvEES6_EE10hipError_tPvRmT2_T3_T4_T5_mT6_T7_P12ihipStream_tbENKUlT_T0_E_clISt17integral_constantIbLb1EES13_EEDaSY_SZ_EUlSY_E_NS1_11comp_targetILNS1_3genE0ELNS1_11target_archE4294967295ELNS1_3gpuE0ELNS1_3repE0EEENS1_30default_config_static_selectorELNS0_4arch9wavefront6targetE0EEEvT1_.uses_vcc, 0
	.set _ZN7rocprim17ROCPRIM_400000_NS6detail17trampoline_kernelINS0_14default_configENS1_27scan_by_key_config_selectorIj11FixedVectorIiLj8EEEEZZNS1_16scan_by_key_implILNS1_25lookback_scan_determinismE0ELb1ES3_N6thrust23THRUST_200600_302600_NS6detail15normal_iteratorINSB_10device_ptrIjEEEENSD_INSE_IS6_EEEESI_S6_NSB_4plusIvEENSB_8equal_toIvEES6_EE10hipError_tPvRmT2_T3_T4_T5_mT6_T7_P12ihipStream_tbENKUlT_T0_E_clISt17integral_constantIbLb1EES13_EEDaSY_SZ_EUlSY_E_NS1_11comp_targetILNS1_3genE0ELNS1_11target_archE4294967295ELNS1_3gpuE0ELNS1_3repE0EEENS1_30default_config_static_selectorELNS0_4arch9wavefront6targetE0EEEvT1_.uses_flat_scratch, 0
	.set _ZN7rocprim17ROCPRIM_400000_NS6detail17trampoline_kernelINS0_14default_configENS1_27scan_by_key_config_selectorIj11FixedVectorIiLj8EEEEZZNS1_16scan_by_key_implILNS1_25lookback_scan_determinismE0ELb1ES3_N6thrust23THRUST_200600_302600_NS6detail15normal_iteratorINSB_10device_ptrIjEEEENSD_INSE_IS6_EEEESI_S6_NSB_4plusIvEENSB_8equal_toIvEES6_EE10hipError_tPvRmT2_T3_T4_T5_mT6_T7_P12ihipStream_tbENKUlT_T0_E_clISt17integral_constantIbLb1EES13_EEDaSY_SZ_EUlSY_E_NS1_11comp_targetILNS1_3genE0ELNS1_11target_archE4294967295ELNS1_3gpuE0ELNS1_3repE0EEENS1_30default_config_static_selectorELNS0_4arch9wavefront6targetE0EEEvT1_.has_dyn_sized_stack, 0
	.set _ZN7rocprim17ROCPRIM_400000_NS6detail17trampoline_kernelINS0_14default_configENS1_27scan_by_key_config_selectorIj11FixedVectorIiLj8EEEEZZNS1_16scan_by_key_implILNS1_25lookback_scan_determinismE0ELb1ES3_N6thrust23THRUST_200600_302600_NS6detail15normal_iteratorINSB_10device_ptrIjEEEENSD_INSE_IS6_EEEESI_S6_NSB_4plusIvEENSB_8equal_toIvEES6_EE10hipError_tPvRmT2_T3_T4_T5_mT6_T7_P12ihipStream_tbENKUlT_T0_E_clISt17integral_constantIbLb1EES13_EEDaSY_SZ_EUlSY_E_NS1_11comp_targetILNS1_3genE0ELNS1_11target_archE4294967295ELNS1_3gpuE0ELNS1_3repE0EEENS1_30default_config_static_selectorELNS0_4arch9wavefront6targetE0EEEvT1_.has_recursion, 0
	.set _ZN7rocprim17ROCPRIM_400000_NS6detail17trampoline_kernelINS0_14default_configENS1_27scan_by_key_config_selectorIj11FixedVectorIiLj8EEEEZZNS1_16scan_by_key_implILNS1_25lookback_scan_determinismE0ELb1ES3_N6thrust23THRUST_200600_302600_NS6detail15normal_iteratorINSB_10device_ptrIjEEEENSD_INSE_IS6_EEEESI_S6_NSB_4plusIvEENSB_8equal_toIvEES6_EE10hipError_tPvRmT2_T3_T4_T5_mT6_T7_P12ihipStream_tbENKUlT_T0_E_clISt17integral_constantIbLb1EES13_EEDaSY_SZ_EUlSY_E_NS1_11comp_targetILNS1_3genE0ELNS1_11target_archE4294967295ELNS1_3gpuE0ELNS1_3repE0EEENS1_30default_config_static_selectorELNS0_4arch9wavefront6targetE0EEEvT1_.has_indirect_call, 0
	.section	.AMDGPU.csdata,"",@progbits
; Kernel info:
; codeLenInByte = 4
; TotalNumSgprs: 0
; NumVgprs: 0
; ScratchSize: 0
; MemoryBound: 0
; FloatMode: 240
; IeeeMode: 1
; LDSByteSize: 0 bytes/workgroup (compile time only)
; SGPRBlocks: 0
; VGPRBlocks: 0
; NumSGPRsForWavesPerEU: 1
; NumVGPRsForWavesPerEU: 1
; NamedBarCnt: 0
; Occupancy: 16
; WaveLimiterHint : 0
; COMPUTE_PGM_RSRC2:SCRATCH_EN: 0
; COMPUTE_PGM_RSRC2:USER_SGPR: 2
; COMPUTE_PGM_RSRC2:TRAP_HANDLER: 0
; COMPUTE_PGM_RSRC2:TGID_X_EN: 1
; COMPUTE_PGM_RSRC2:TGID_Y_EN: 0
; COMPUTE_PGM_RSRC2:TGID_Z_EN: 0
; COMPUTE_PGM_RSRC2:TIDIG_COMP_CNT: 0
	.section	.text._ZN7rocprim17ROCPRIM_400000_NS6detail17trampoline_kernelINS0_14default_configENS1_27scan_by_key_config_selectorIj11FixedVectorIiLj8EEEEZZNS1_16scan_by_key_implILNS1_25lookback_scan_determinismE0ELb1ES3_N6thrust23THRUST_200600_302600_NS6detail15normal_iteratorINSB_10device_ptrIjEEEENSD_INSE_IS6_EEEESI_S6_NSB_4plusIvEENSB_8equal_toIvEES6_EE10hipError_tPvRmT2_T3_T4_T5_mT6_T7_P12ihipStream_tbENKUlT_T0_E_clISt17integral_constantIbLb1EES13_EEDaSY_SZ_EUlSY_E_NS1_11comp_targetILNS1_3genE10ELNS1_11target_archE1201ELNS1_3gpuE5ELNS1_3repE0EEENS1_30default_config_static_selectorELNS0_4arch9wavefront6targetE0EEEvT1_,"axG",@progbits,_ZN7rocprim17ROCPRIM_400000_NS6detail17trampoline_kernelINS0_14default_configENS1_27scan_by_key_config_selectorIj11FixedVectorIiLj8EEEEZZNS1_16scan_by_key_implILNS1_25lookback_scan_determinismE0ELb1ES3_N6thrust23THRUST_200600_302600_NS6detail15normal_iteratorINSB_10device_ptrIjEEEENSD_INSE_IS6_EEEESI_S6_NSB_4plusIvEENSB_8equal_toIvEES6_EE10hipError_tPvRmT2_T3_T4_T5_mT6_T7_P12ihipStream_tbENKUlT_T0_E_clISt17integral_constantIbLb1EES13_EEDaSY_SZ_EUlSY_E_NS1_11comp_targetILNS1_3genE10ELNS1_11target_archE1201ELNS1_3gpuE5ELNS1_3repE0EEENS1_30default_config_static_selectorELNS0_4arch9wavefront6targetE0EEEvT1_,comdat
	.protected	_ZN7rocprim17ROCPRIM_400000_NS6detail17trampoline_kernelINS0_14default_configENS1_27scan_by_key_config_selectorIj11FixedVectorIiLj8EEEEZZNS1_16scan_by_key_implILNS1_25lookback_scan_determinismE0ELb1ES3_N6thrust23THRUST_200600_302600_NS6detail15normal_iteratorINSB_10device_ptrIjEEEENSD_INSE_IS6_EEEESI_S6_NSB_4plusIvEENSB_8equal_toIvEES6_EE10hipError_tPvRmT2_T3_T4_T5_mT6_T7_P12ihipStream_tbENKUlT_T0_E_clISt17integral_constantIbLb1EES13_EEDaSY_SZ_EUlSY_E_NS1_11comp_targetILNS1_3genE10ELNS1_11target_archE1201ELNS1_3gpuE5ELNS1_3repE0EEENS1_30default_config_static_selectorELNS0_4arch9wavefront6targetE0EEEvT1_ ; -- Begin function _ZN7rocprim17ROCPRIM_400000_NS6detail17trampoline_kernelINS0_14default_configENS1_27scan_by_key_config_selectorIj11FixedVectorIiLj8EEEEZZNS1_16scan_by_key_implILNS1_25lookback_scan_determinismE0ELb1ES3_N6thrust23THRUST_200600_302600_NS6detail15normal_iteratorINSB_10device_ptrIjEEEENSD_INSE_IS6_EEEESI_S6_NSB_4plusIvEENSB_8equal_toIvEES6_EE10hipError_tPvRmT2_T3_T4_T5_mT6_T7_P12ihipStream_tbENKUlT_T0_E_clISt17integral_constantIbLb1EES13_EEDaSY_SZ_EUlSY_E_NS1_11comp_targetILNS1_3genE10ELNS1_11target_archE1201ELNS1_3gpuE5ELNS1_3repE0EEENS1_30default_config_static_selectorELNS0_4arch9wavefront6targetE0EEEvT1_
	.globl	_ZN7rocprim17ROCPRIM_400000_NS6detail17trampoline_kernelINS0_14default_configENS1_27scan_by_key_config_selectorIj11FixedVectorIiLj8EEEEZZNS1_16scan_by_key_implILNS1_25lookback_scan_determinismE0ELb1ES3_N6thrust23THRUST_200600_302600_NS6detail15normal_iteratorINSB_10device_ptrIjEEEENSD_INSE_IS6_EEEESI_S6_NSB_4plusIvEENSB_8equal_toIvEES6_EE10hipError_tPvRmT2_T3_T4_T5_mT6_T7_P12ihipStream_tbENKUlT_T0_E_clISt17integral_constantIbLb1EES13_EEDaSY_SZ_EUlSY_E_NS1_11comp_targetILNS1_3genE10ELNS1_11target_archE1201ELNS1_3gpuE5ELNS1_3repE0EEENS1_30default_config_static_selectorELNS0_4arch9wavefront6targetE0EEEvT1_
	.p2align	8
	.type	_ZN7rocprim17ROCPRIM_400000_NS6detail17trampoline_kernelINS0_14default_configENS1_27scan_by_key_config_selectorIj11FixedVectorIiLj8EEEEZZNS1_16scan_by_key_implILNS1_25lookback_scan_determinismE0ELb1ES3_N6thrust23THRUST_200600_302600_NS6detail15normal_iteratorINSB_10device_ptrIjEEEENSD_INSE_IS6_EEEESI_S6_NSB_4plusIvEENSB_8equal_toIvEES6_EE10hipError_tPvRmT2_T3_T4_T5_mT6_T7_P12ihipStream_tbENKUlT_T0_E_clISt17integral_constantIbLb1EES13_EEDaSY_SZ_EUlSY_E_NS1_11comp_targetILNS1_3genE10ELNS1_11target_archE1201ELNS1_3gpuE5ELNS1_3repE0EEENS1_30default_config_static_selectorELNS0_4arch9wavefront6targetE0EEEvT1_,@function
_ZN7rocprim17ROCPRIM_400000_NS6detail17trampoline_kernelINS0_14default_configENS1_27scan_by_key_config_selectorIj11FixedVectorIiLj8EEEEZZNS1_16scan_by_key_implILNS1_25lookback_scan_determinismE0ELb1ES3_N6thrust23THRUST_200600_302600_NS6detail15normal_iteratorINSB_10device_ptrIjEEEENSD_INSE_IS6_EEEESI_S6_NSB_4plusIvEENSB_8equal_toIvEES6_EE10hipError_tPvRmT2_T3_T4_T5_mT6_T7_P12ihipStream_tbENKUlT_T0_E_clISt17integral_constantIbLb1EES13_EEDaSY_SZ_EUlSY_E_NS1_11comp_targetILNS1_3genE10ELNS1_11target_archE1201ELNS1_3gpuE5ELNS1_3repE0EEENS1_30default_config_static_selectorELNS0_4arch9wavefront6targetE0EEEvT1_: ; @_ZN7rocprim17ROCPRIM_400000_NS6detail17trampoline_kernelINS0_14default_configENS1_27scan_by_key_config_selectorIj11FixedVectorIiLj8EEEEZZNS1_16scan_by_key_implILNS1_25lookback_scan_determinismE0ELb1ES3_N6thrust23THRUST_200600_302600_NS6detail15normal_iteratorINSB_10device_ptrIjEEEENSD_INSE_IS6_EEEESI_S6_NSB_4plusIvEENSB_8equal_toIvEES6_EE10hipError_tPvRmT2_T3_T4_T5_mT6_T7_P12ihipStream_tbENKUlT_T0_E_clISt17integral_constantIbLb1EES13_EEDaSY_SZ_EUlSY_E_NS1_11comp_targetILNS1_3genE10ELNS1_11target_archE1201ELNS1_3gpuE5ELNS1_3repE0EEENS1_30default_config_static_selectorELNS0_4arch9wavefront6targetE0EEEvT1_
; %bb.0:
	.section	.rodata,"a",@progbits
	.p2align	6, 0x0
	.amdhsa_kernel _ZN7rocprim17ROCPRIM_400000_NS6detail17trampoline_kernelINS0_14default_configENS1_27scan_by_key_config_selectorIj11FixedVectorIiLj8EEEEZZNS1_16scan_by_key_implILNS1_25lookback_scan_determinismE0ELb1ES3_N6thrust23THRUST_200600_302600_NS6detail15normal_iteratorINSB_10device_ptrIjEEEENSD_INSE_IS6_EEEESI_S6_NSB_4plusIvEENSB_8equal_toIvEES6_EE10hipError_tPvRmT2_T3_T4_T5_mT6_T7_P12ihipStream_tbENKUlT_T0_E_clISt17integral_constantIbLb1EES13_EEDaSY_SZ_EUlSY_E_NS1_11comp_targetILNS1_3genE10ELNS1_11target_archE1201ELNS1_3gpuE5ELNS1_3repE0EEENS1_30default_config_static_selectorELNS0_4arch9wavefront6targetE0EEEvT1_
		.amdhsa_group_segment_fixed_size 0
		.amdhsa_private_segment_fixed_size 0
		.amdhsa_kernarg_size 160
		.amdhsa_user_sgpr_count 2
		.amdhsa_user_sgpr_dispatch_ptr 0
		.amdhsa_user_sgpr_queue_ptr 0
		.amdhsa_user_sgpr_kernarg_segment_ptr 1
		.amdhsa_user_sgpr_dispatch_id 0
		.amdhsa_user_sgpr_kernarg_preload_length 0
		.amdhsa_user_sgpr_kernarg_preload_offset 0
		.amdhsa_user_sgpr_private_segment_size 0
		.amdhsa_wavefront_size32 1
		.amdhsa_uses_dynamic_stack 0
		.amdhsa_enable_private_segment 0
		.amdhsa_system_sgpr_workgroup_id_x 1
		.amdhsa_system_sgpr_workgroup_id_y 0
		.amdhsa_system_sgpr_workgroup_id_z 0
		.amdhsa_system_sgpr_workgroup_info 0
		.amdhsa_system_vgpr_workitem_id 0
		.amdhsa_next_free_vgpr 1
		.amdhsa_next_free_sgpr 1
		.amdhsa_named_barrier_count 0
		.amdhsa_reserve_vcc 0
		.amdhsa_float_round_mode_32 0
		.amdhsa_float_round_mode_16_64 0
		.amdhsa_float_denorm_mode_32 3
		.amdhsa_float_denorm_mode_16_64 3
		.amdhsa_fp16_overflow 0
		.amdhsa_memory_ordered 1
		.amdhsa_forward_progress 1
		.amdhsa_inst_pref_size 0
		.amdhsa_round_robin_scheduling 0
		.amdhsa_exception_fp_ieee_invalid_op 0
		.amdhsa_exception_fp_denorm_src 0
		.amdhsa_exception_fp_ieee_div_zero 0
		.amdhsa_exception_fp_ieee_overflow 0
		.amdhsa_exception_fp_ieee_underflow 0
		.amdhsa_exception_fp_ieee_inexact 0
		.amdhsa_exception_int_div_zero 0
	.end_amdhsa_kernel
	.section	.text._ZN7rocprim17ROCPRIM_400000_NS6detail17trampoline_kernelINS0_14default_configENS1_27scan_by_key_config_selectorIj11FixedVectorIiLj8EEEEZZNS1_16scan_by_key_implILNS1_25lookback_scan_determinismE0ELb1ES3_N6thrust23THRUST_200600_302600_NS6detail15normal_iteratorINSB_10device_ptrIjEEEENSD_INSE_IS6_EEEESI_S6_NSB_4plusIvEENSB_8equal_toIvEES6_EE10hipError_tPvRmT2_T3_T4_T5_mT6_T7_P12ihipStream_tbENKUlT_T0_E_clISt17integral_constantIbLb1EES13_EEDaSY_SZ_EUlSY_E_NS1_11comp_targetILNS1_3genE10ELNS1_11target_archE1201ELNS1_3gpuE5ELNS1_3repE0EEENS1_30default_config_static_selectorELNS0_4arch9wavefront6targetE0EEEvT1_,"axG",@progbits,_ZN7rocprim17ROCPRIM_400000_NS6detail17trampoline_kernelINS0_14default_configENS1_27scan_by_key_config_selectorIj11FixedVectorIiLj8EEEEZZNS1_16scan_by_key_implILNS1_25lookback_scan_determinismE0ELb1ES3_N6thrust23THRUST_200600_302600_NS6detail15normal_iteratorINSB_10device_ptrIjEEEENSD_INSE_IS6_EEEESI_S6_NSB_4plusIvEENSB_8equal_toIvEES6_EE10hipError_tPvRmT2_T3_T4_T5_mT6_T7_P12ihipStream_tbENKUlT_T0_E_clISt17integral_constantIbLb1EES13_EEDaSY_SZ_EUlSY_E_NS1_11comp_targetILNS1_3genE10ELNS1_11target_archE1201ELNS1_3gpuE5ELNS1_3repE0EEENS1_30default_config_static_selectorELNS0_4arch9wavefront6targetE0EEEvT1_,comdat
.Lfunc_end2167:
	.size	_ZN7rocprim17ROCPRIM_400000_NS6detail17trampoline_kernelINS0_14default_configENS1_27scan_by_key_config_selectorIj11FixedVectorIiLj8EEEEZZNS1_16scan_by_key_implILNS1_25lookback_scan_determinismE0ELb1ES3_N6thrust23THRUST_200600_302600_NS6detail15normal_iteratorINSB_10device_ptrIjEEEENSD_INSE_IS6_EEEESI_S6_NSB_4plusIvEENSB_8equal_toIvEES6_EE10hipError_tPvRmT2_T3_T4_T5_mT6_T7_P12ihipStream_tbENKUlT_T0_E_clISt17integral_constantIbLb1EES13_EEDaSY_SZ_EUlSY_E_NS1_11comp_targetILNS1_3genE10ELNS1_11target_archE1201ELNS1_3gpuE5ELNS1_3repE0EEENS1_30default_config_static_selectorELNS0_4arch9wavefront6targetE0EEEvT1_, .Lfunc_end2167-_ZN7rocprim17ROCPRIM_400000_NS6detail17trampoline_kernelINS0_14default_configENS1_27scan_by_key_config_selectorIj11FixedVectorIiLj8EEEEZZNS1_16scan_by_key_implILNS1_25lookback_scan_determinismE0ELb1ES3_N6thrust23THRUST_200600_302600_NS6detail15normal_iteratorINSB_10device_ptrIjEEEENSD_INSE_IS6_EEEESI_S6_NSB_4plusIvEENSB_8equal_toIvEES6_EE10hipError_tPvRmT2_T3_T4_T5_mT6_T7_P12ihipStream_tbENKUlT_T0_E_clISt17integral_constantIbLb1EES13_EEDaSY_SZ_EUlSY_E_NS1_11comp_targetILNS1_3genE10ELNS1_11target_archE1201ELNS1_3gpuE5ELNS1_3repE0EEENS1_30default_config_static_selectorELNS0_4arch9wavefront6targetE0EEEvT1_
                                        ; -- End function
	.set _ZN7rocprim17ROCPRIM_400000_NS6detail17trampoline_kernelINS0_14default_configENS1_27scan_by_key_config_selectorIj11FixedVectorIiLj8EEEEZZNS1_16scan_by_key_implILNS1_25lookback_scan_determinismE0ELb1ES3_N6thrust23THRUST_200600_302600_NS6detail15normal_iteratorINSB_10device_ptrIjEEEENSD_INSE_IS6_EEEESI_S6_NSB_4plusIvEENSB_8equal_toIvEES6_EE10hipError_tPvRmT2_T3_T4_T5_mT6_T7_P12ihipStream_tbENKUlT_T0_E_clISt17integral_constantIbLb1EES13_EEDaSY_SZ_EUlSY_E_NS1_11comp_targetILNS1_3genE10ELNS1_11target_archE1201ELNS1_3gpuE5ELNS1_3repE0EEENS1_30default_config_static_selectorELNS0_4arch9wavefront6targetE0EEEvT1_.num_vgpr, 0
	.set _ZN7rocprim17ROCPRIM_400000_NS6detail17trampoline_kernelINS0_14default_configENS1_27scan_by_key_config_selectorIj11FixedVectorIiLj8EEEEZZNS1_16scan_by_key_implILNS1_25lookback_scan_determinismE0ELb1ES3_N6thrust23THRUST_200600_302600_NS6detail15normal_iteratorINSB_10device_ptrIjEEEENSD_INSE_IS6_EEEESI_S6_NSB_4plusIvEENSB_8equal_toIvEES6_EE10hipError_tPvRmT2_T3_T4_T5_mT6_T7_P12ihipStream_tbENKUlT_T0_E_clISt17integral_constantIbLb1EES13_EEDaSY_SZ_EUlSY_E_NS1_11comp_targetILNS1_3genE10ELNS1_11target_archE1201ELNS1_3gpuE5ELNS1_3repE0EEENS1_30default_config_static_selectorELNS0_4arch9wavefront6targetE0EEEvT1_.num_agpr, 0
	.set _ZN7rocprim17ROCPRIM_400000_NS6detail17trampoline_kernelINS0_14default_configENS1_27scan_by_key_config_selectorIj11FixedVectorIiLj8EEEEZZNS1_16scan_by_key_implILNS1_25lookback_scan_determinismE0ELb1ES3_N6thrust23THRUST_200600_302600_NS6detail15normal_iteratorINSB_10device_ptrIjEEEENSD_INSE_IS6_EEEESI_S6_NSB_4plusIvEENSB_8equal_toIvEES6_EE10hipError_tPvRmT2_T3_T4_T5_mT6_T7_P12ihipStream_tbENKUlT_T0_E_clISt17integral_constantIbLb1EES13_EEDaSY_SZ_EUlSY_E_NS1_11comp_targetILNS1_3genE10ELNS1_11target_archE1201ELNS1_3gpuE5ELNS1_3repE0EEENS1_30default_config_static_selectorELNS0_4arch9wavefront6targetE0EEEvT1_.numbered_sgpr, 0
	.set _ZN7rocprim17ROCPRIM_400000_NS6detail17trampoline_kernelINS0_14default_configENS1_27scan_by_key_config_selectorIj11FixedVectorIiLj8EEEEZZNS1_16scan_by_key_implILNS1_25lookback_scan_determinismE0ELb1ES3_N6thrust23THRUST_200600_302600_NS6detail15normal_iteratorINSB_10device_ptrIjEEEENSD_INSE_IS6_EEEESI_S6_NSB_4plusIvEENSB_8equal_toIvEES6_EE10hipError_tPvRmT2_T3_T4_T5_mT6_T7_P12ihipStream_tbENKUlT_T0_E_clISt17integral_constantIbLb1EES13_EEDaSY_SZ_EUlSY_E_NS1_11comp_targetILNS1_3genE10ELNS1_11target_archE1201ELNS1_3gpuE5ELNS1_3repE0EEENS1_30default_config_static_selectorELNS0_4arch9wavefront6targetE0EEEvT1_.num_named_barrier, 0
	.set _ZN7rocprim17ROCPRIM_400000_NS6detail17trampoline_kernelINS0_14default_configENS1_27scan_by_key_config_selectorIj11FixedVectorIiLj8EEEEZZNS1_16scan_by_key_implILNS1_25lookback_scan_determinismE0ELb1ES3_N6thrust23THRUST_200600_302600_NS6detail15normal_iteratorINSB_10device_ptrIjEEEENSD_INSE_IS6_EEEESI_S6_NSB_4plusIvEENSB_8equal_toIvEES6_EE10hipError_tPvRmT2_T3_T4_T5_mT6_T7_P12ihipStream_tbENKUlT_T0_E_clISt17integral_constantIbLb1EES13_EEDaSY_SZ_EUlSY_E_NS1_11comp_targetILNS1_3genE10ELNS1_11target_archE1201ELNS1_3gpuE5ELNS1_3repE0EEENS1_30default_config_static_selectorELNS0_4arch9wavefront6targetE0EEEvT1_.private_seg_size, 0
	.set _ZN7rocprim17ROCPRIM_400000_NS6detail17trampoline_kernelINS0_14default_configENS1_27scan_by_key_config_selectorIj11FixedVectorIiLj8EEEEZZNS1_16scan_by_key_implILNS1_25lookback_scan_determinismE0ELb1ES3_N6thrust23THRUST_200600_302600_NS6detail15normal_iteratorINSB_10device_ptrIjEEEENSD_INSE_IS6_EEEESI_S6_NSB_4plusIvEENSB_8equal_toIvEES6_EE10hipError_tPvRmT2_T3_T4_T5_mT6_T7_P12ihipStream_tbENKUlT_T0_E_clISt17integral_constantIbLb1EES13_EEDaSY_SZ_EUlSY_E_NS1_11comp_targetILNS1_3genE10ELNS1_11target_archE1201ELNS1_3gpuE5ELNS1_3repE0EEENS1_30default_config_static_selectorELNS0_4arch9wavefront6targetE0EEEvT1_.uses_vcc, 0
	.set _ZN7rocprim17ROCPRIM_400000_NS6detail17trampoline_kernelINS0_14default_configENS1_27scan_by_key_config_selectorIj11FixedVectorIiLj8EEEEZZNS1_16scan_by_key_implILNS1_25lookback_scan_determinismE0ELb1ES3_N6thrust23THRUST_200600_302600_NS6detail15normal_iteratorINSB_10device_ptrIjEEEENSD_INSE_IS6_EEEESI_S6_NSB_4plusIvEENSB_8equal_toIvEES6_EE10hipError_tPvRmT2_T3_T4_T5_mT6_T7_P12ihipStream_tbENKUlT_T0_E_clISt17integral_constantIbLb1EES13_EEDaSY_SZ_EUlSY_E_NS1_11comp_targetILNS1_3genE10ELNS1_11target_archE1201ELNS1_3gpuE5ELNS1_3repE0EEENS1_30default_config_static_selectorELNS0_4arch9wavefront6targetE0EEEvT1_.uses_flat_scratch, 0
	.set _ZN7rocprim17ROCPRIM_400000_NS6detail17trampoline_kernelINS0_14default_configENS1_27scan_by_key_config_selectorIj11FixedVectorIiLj8EEEEZZNS1_16scan_by_key_implILNS1_25lookback_scan_determinismE0ELb1ES3_N6thrust23THRUST_200600_302600_NS6detail15normal_iteratorINSB_10device_ptrIjEEEENSD_INSE_IS6_EEEESI_S6_NSB_4plusIvEENSB_8equal_toIvEES6_EE10hipError_tPvRmT2_T3_T4_T5_mT6_T7_P12ihipStream_tbENKUlT_T0_E_clISt17integral_constantIbLb1EES13_EEDaSY_SZ_EUlSY_E_NS1_11comp_targetILNS1_3genE10ELNS1_11target_archE1201ELNS1_3gpuE5ELNS1_3repE0EEENS1_30default_config_static_selectorELNS0_4arch9wavefront6targetE0EEEvT1_.has_dyn_sized_stack, 0
	.set _ZN7rocprim17ROCPRIM_400000_NS6detail17trampoline_kernelINS0_14default_configENS1_27scan_by_key_config_selectorIj11FixedVectorIiLj8EEEEZZNS1_16scan_by_key_implILNS1_25lookback_scan_determinismE0ELb1ES3_N6thrust23THRUST_200600_302600_NS6detail15normal_iteratorINSB_10device_ptrIjEEEENSD_INSE_IS6_EEEESI_S6_NSB_4plusIvEENSB_8equal_toIvEES6_EE10hipError_tPvRmT2_T3_T4_T5_mT6_T7_P12ihipStream_tbENKUlT_T0_E_clISt17integral_constantIbLb1EES13_EEDaSY_SZ_EUlSY_E_NS1_11comp_targetILNS1_3genE10ELNS1_11target_archE1201ELNS1_3gpuE5ELNS1_3repE0EEENS1_30default_config_static_selectorELNS0_4arch9wavefront6targetE0EEEvT1_.has_recursion, 0
	.set _ZN7rocprim17ROCPRIM_400000_NS6detail17trampoline_kernelINS0_14default_configENS1_27scan_by_key_config_selectorIj11FixedVectorIiLj8EEEEZZNS1_16scan_by_key_implILNS1_25lookback_scan_determinismE0ELb1ES3_N6thrust23THRUST_200600_302600_NS6detail15normal_iteratorINSB_10device_ptrIjEEEENSD_INSE_IS6_EEEESI_S6_NSB_4plusIvEENSB_8equal_toIvEES6_EE10hipError_tPvRmT2_T3_T4_T5_mT6_T7_P12ihipStream_tbENKUlT_T0_E_clISt17integral_constantIbLb1EES13_EEDaSY_SZ_EUlSY_E_NS1_11comp_targetILNS1_3genE10ELNS1_11target_archE1201ELNS1_3gpuE5ELNS1_3repE0EEENS1_30default_config_static_selectorELNS0_4arch9wavefront6targetE0EEEvT1_.has_indirect_call, 0
	.section	.AMDGPU.csdata,"",@progbits
; Kernel info:
; codeLenInByte = 0
; TotalNumSgprs: 0
; NumVgprs: 0
; ScratchSize: 0
; MemoryBound: 0
; FloatMode: 240
; IeeeMode: 1
; LDSByteSize: 0 bytes/workgroup (compile time only)
; SGPRBlocks: 0
; VGPRBlocks: 0
; NumSGPRsForWavesPerEU: 1
; NumVGPRsForWavesPerEU: 1
; NamedBarCnt: 0
; Occupancy: 16
; WaveLimiterHint : 0
; COMPUTE_PGM_RSRC2:SCRATCH_EN: 0
; COMPUTE_PGM_RSRC2:USER_SGPR: 2
; COMPUTE_PGM_RSRC2:TRAP_HANDLER: 0
; COMPUTE_PGM_RSRC2:TGID_X_EN: 1
; COMPUTE_PGM_RSRC2:TGID_Y_EN: 0
; COMPUTE_PGM_RSRC2:TGID_Z_EN: 0
; COMPUTE_PGM_RSRC2:TIDIG_COMP_CNT: 0
	.section	.text._ZN7rocprim17ROCPRIM_400000_NS6detail17trampoline_kernelINS0_14default_configENS1_27scan_by_key_config_selectorIj11FixedVectorIiLj8EEEEZZNS1_16scan_by_key_implILNS1_25lookback_scan_determinismE0ELb1ES3_N6thrust23THRUST_200600_302600_NS6detail15normal_iteratorINSB_10device_ptrIjEEEENSD_INSE_IS6_EEEESI_S6_NSB_4plusIvEENSB_8equal_toIvEES6_EE10hipError_tPvRmT2_T3_T4_T5_mT6_T7_P12ihipStream_tbENKUlT_T0_E_clISt17integral_constantIbLb1EES13_EEDaSY_SZ_EUlSY_E_NS1_11comp_targetILNS1_3genE5ELNS1_11target_archE942ELNS1_3gpuE9ELNS1_3repE0EEENS1_30default_config_static_selectorELNS0_4arch9wavefront6targetE0EEEvT1_,"axG",@progbits,_ZN7rocprim17ROCPRIM_400000_NS6detail17trampoline_kernelINS0_14default_configENS1_27scan_by_key_config_selectorIj11FixedVectorIiLj8EEEEZZNS1_16scan_by_key_implILNS1_25lookback_scan_determinismE0ELb1ES3_N6thrust23THRUST_200600_302600_NS6detail15normal_iteratorINSB_10device_ptrIjEEEENSD_INSE_IS6_EEEESI_S6_NSB_4plusIvEENSB_8equal_toIvEES6_EE10hipError_tPvRmT2_T3_T4_T5_mT6_T7_P12ihipStream_tbENKUlT_T0_E_clISt17integral_constantIbLb1EES13_EEDaSY_SZ_EUlSY_E_NS1_11comp_targetILNS1_3genE5ELNS1_11target_archE942ELNS1_3gpuE9ELNS1_3repE0EEENS1_30default_config_static_selectorELNS0_4arch9wavefront6targetE0EEEvT1_,comdat
	.protected	_ZN7rocprim17ROCPRIM_400000_NS6detail17trampoline_kernelINS0_14default_configENS1_27scan_by_key_config_selectorIj11FixedVectorIiLj8EEEEZZNS1_16scan_by_key_implILNS1_25lookback_scan_determinismE0ELb1ES3_N6thrust23THRUST_200600_302600_NS6detail15normal_iteratorINSB_10device_ptrIjEEEENSD_INSE_IS6_EEEESI_S6_NSB_4plusIvEENSB_8equal_toIvEES6_EE10hipError_tPvRmT2_T3_T4_T5_mT6_T7_P12ihipStream_tbENKUlT_T0_E_clISt17integral_constantIbLb1EES13_EEDaSY_SZ_EUlSY_E_NS1_11comp_targetILNS1_3genE5ELNS1_11target_archE942ELNS1_3gpuE9ELNS1_3repE0EEENS1_30default_config_static_selectorELNS0_4arch9wavefront6targetE0EEEvT1_ ; -- Begin function _ZN7rocprim17ROCPRIM_400000_NS6detail17trampoline_kernelINS0_14default_configENS1_27scan_by_key_config_selectorIj11FixedVectorIiLj8EEEEZZNS1_16scan_by_key_implILNS1_25lookback_scan_determinismE0ELb1ES3_N6thrust23THRUST_200600_302600_NS6detail15normal_iteratorINSB_10device_ptrIjEEEENSD_INSE_IS6_EEEESI_S6_NSB_4plusIvEENSB_8equal_toIvEES6_EE10hipError_tPvRmT2_T3_T4_T5_mT6_T7_P12ihipStream_tbENKUlT_T0_E_clISt17integral_constantIbLb1EES13_EEDaSY_SZ_EUlSY_E_NS1_11comp_targetILNS1_3genE5ELNS1_11target_archE942ELNS1_3gpuE9ELNS1_3repE0EEENS1_30default_config_static_selectorELNS0_4arch9wavefront6targetE0EEEvT1_
	.globl	_ZN7rocprim17ROCPRIM_400000_NS6detail17trampoline_kernelINS0_14default_configENS1_27scan_by_key_config_selectorIj11FixedVectorIiLj8EEEEZZNS1_16scan_by_key_implILNS1_25lookback_scan_determinismE0ELb1ES3_N6thrust23THRUST_200600_302600_NS6detail15normal_iteratorINSB_10device_ptrIjEEEENSD_INSE_IS6_EEEESI_S6_NSB_4plusIvEENSB_8equal_toIvEES6_EE10hipError_tPvRmT2_T3_T4_T5_mT6_T7_P12ihipStream_tbENKUlT_T0_E_clISt17integral_constantIbLb1EES13_EEDaSY_SZ_EUlSY_E_NS1_11comp_targetILNS1_3genE5ELNS1_11target_archE942ELNS1_3gpuE9ELNS1_3repE0EEENS1_30default_config_static_selectorELNS0_4arch9wavefront6targetE0EEEvT1_
	.p2align	8
	.type	_ZN7rocprim17ROCPRIM_400000_NS6detail17trampoline_kernelINS0_14default_configENS1_27scan_by_key_config_selectorIj11FixedVectorIiLj8EEEEZZNS1_16scan_by_key_implILNS1_25lookback_scan_determinismE0ELb1ES3_N6thrust23THRUST_200600_302600_NS6detail15normal_iteratorINSB_10device_ptrIjEEEENSD_INSE_IS6_EEEESI_S6_NSB_4plusIvEENSB_8equal_toIvEES6_EE10hipError_tPvRmT2_T3_T4_T5_mT6_T7_P12ihipStream_tbENKUlT_T0_E_clISt17integral_constantIbLb1EES13_EEDaSY_SZ_EUlSY_E_NS1_11comp_targetILNS1_3genE5ELNS1_11target_archE942ELNS1_3gpuE9ELNS1_3repE0EEENS1_30default_config_static_selectorELNS0_4arch9wavefront6targetE0EEEvT1_,@function
_ZN7rocprim17ROCPRIM_400000_NS6detail17trampoline_kernelINS0_14default_configENS1_27scan_by_key_config_selectorIj11FixedVectorIiLj8EEEEZZNS1_16scan_by_key_implILNS1_25lookback_scan_determinismE0ELb1ES3_N6thrust23THRUST_200600_302600_NS6detail15normal_iteratorINSB_10device_ptrIjEEEENSD_INSE_IS6_EEEESI_S6_NSB_4plusIvEENSB_8equal_toIvEES6_EE10hipError_tPvRmT2_T3_T4_T5_mT6_T7_P12ihipStream_tbENKUlT_T0_E_clISt17integral_constantIbLb1EES13_EEDaSY_SZ_EUlSY_E_NS1_11comp_targetILNS1_3genE5ELNS1_11target_archE942ELNS1_3gpuE9ELNS1_3repE0EEENS1_30default_config_static_selectorELNS0_4arch9wavefront6targetE0EEEvT1_: ; @_ZN7rocprim17ROCPRIM_400000_NS6detail17trampoline_kernelINS0_14default_configENS1_27scan_by_key_config_selectorIj11FixedVectorIiLj8EEEEZZNS1_16scan_by_key_implILNS1_25lookback_scan_determinismE0ELb1ES3_N6thrust23THRUST_200600_302600_NS6detail15normal_iteratorINSB_10device_ptrIjEEEENSD_INSE_IS6_EEEESI_S6_NSB_4plusIvEENSB_8equal_toIvEES6_EE10hipError_tPvRmT2_T3_T4_T5_mT6_T7_P12ihipStream_tbENKUlT_T0_E_clISt17integral_constantIbLb1EES13_EEDaSY_SZ_EUlSY_E_NS1_11comp_targetILNS1_3genE5ELNS1_11target_archE942ELNS1_3gpuE9ELNS1_3repE0EEENS1_30default_config_static_selectorELNS0_4arch9wavefront6targetE0EEEvT1_
; %bb.0:
	.section	.rodata,"a",@progbits
	.p2align	6, 0x0
	.amdhsa_kernel _ZN7rocprim17ROCPRIM_400000_NS6detail17trampoline_kernelINS0_14default_configENS1_27scan_by_key_config_selectorIj11FixedVectorIiLj8EEEEZZNS1_16scan_by_key_implILNS1_25lookback_scan_determinismE0ELb1ES3_N6thrust23THRUST_200600_302600_NS6detail15normal_iteratorINSB_10device_ptrIjEEEENSD_INSE_IS6_EEEESI_S6_NSB_4plusIvEENSB_8equal_toIvEES6_EE10hipError_tPvRmT2_T3_T4_T5_mT6_T7_P12ihipStream_tbENKUlT_T0_E_clISt17integral_constantIbLb1EES13_EEDaSY_SZ_EUlSY_E_NS1_11comp_targetILNS1_3genE5ELNS1_11target_archE942ELNS1_3gpuE9ELNS1_3repE0EEENS1_30default_config_static_selectorELNS0_4arch9wavefront6targetE0EEEvT1_
		.amdhsa_group_segment_fixed_size 0
		.amdhsa_private_segment_fixed_size 0
		.amdhsa_kernarg_size 160
		.amdhsa_user_sgpr_count 2
		.amdhsa_user_sgpr_dispatch_ptr 0
		.amdhsa_user_sgpr_queue_ptr 0
		.amdhsa_user_sgpr_kernarg_segment_ptr 1
		.amdhsa_user_sgpr_dispatch_id 0
		.amdhsa_user_sgpr_kernarg_preload_length 0
		.amdhsa_user_sgpr_kernarg_preload_offset 0
		.amdhsa_user_sgpr_private_segment_size 0
		.amdhsa_wavefront_size32 1
		.amdhsa_uses_dynamic_stack 0
		.amdhsa_enable_private_segment 0
		.amdhsa_system_sgpr_workgroup_id_x 1
		.amdhsa_system_sgpr_workgroup_id_y 0
		.amdhsa_system_sgpr_workgroup_id_z 0
		.amdhsa_system_sgpr_workgroup_info 0
		.amdhsa_system_vgpr_workitem_id 0
		.amdhsa_next_free_vgpr 1
		.amdhsa_next_free_sgpr 1
		.amdhsa_named_barrier_count 0
		.amdhsa_reserve_vcc 0
		.amdhsa_float_round_mode_32 0
		.amdhsa_float_round_mode_16_64 0
		.amdhsa_float_denorm_mode_32 3
		.amdhsa_float_denorm_mode_16_64 3
		.amdhsa_fp16_overflow 0
		.amdhsa_memory_ordered 1
		.amdhsa_forward_progress 1
		.amdhsa_inst_pref_size 0
		.amdhsa_round_robin_scheduling 0
		.amdhsa_exception_fp_ieee_invalid_op 0
		.amdhsa_exception_fp_denorm_src 0
		.amdhsa_exception_fp_ieee_div_zero 0
		.amdhsa_exception_fp_ieee_overflow 0
		.amdhsa_exception_fp_ieee_underflow 0
		.amdhsa_exception_fp_ieee_inexact 0
		.amdhsa_exception_int_div_zero 0
	.end_amdhsa_kernel
	.section	.text._ZN7rocprim17ROCPRIM_400000_NS6detail17trampoline_kernelINS0_14default_configENS1_27scan_by_key_config_selectorIj11FixedVectorIiLj8EEEEZZNS1_16scan_by_key_implILNS1_25lookback_scan_determinismE0ELb1ES3_N6thrust23THRUST_200600_302600_NS6detail15normal_iteratorINSB_10device_ptrIjEEEENSD_INSE_IS6_EEEESI_S6_NSB_4plusIvEENSB_8equal_toIvEES6_EE10hipError_tPvRmT2_T3_T4_T5_mT6_T7_P12ihipStream_tbENKUlT_T0_E_clISt17integral_constantIbLb1EES13_EEDaSY_SZ_EUlSY_E_NS1_11comp_targetILNS1_3genE5ELNS1_11target_archE942ELNS1_3gpuE9ELNS1_3repE0EEENS1_30default_config_static_selectorELNS0_4arch9wavefront6targetE0EEEvT1_,"axG",@progbits,_ZN7rocprim17ROCPRIM_400000_NS6detail17trampoline_kernelINS0_14default_configENS1_27scan_by_key_config_selectorIj11FixedVectorIiLj8EEEEZZNS1_16scan_by_key_implILNS1_25lookback_scan_determinismE0ELb1ES3_N6thrust23THRUST_200600_302600_NS6detail15normal_iteratorINSB_10device_ptrIjEEEENSD_INSE_IS6_EEEESI_S6_NSB_4plusIvEENSB_8equal_toIvEES6_EE10hipError_tPvRmT2_T3_T4_T5_mT6_T7_P12ihipStream_tbENKUlT_T0_E_clISt17integral_constantIbLb1EES13_EEDaSY_SZ_EUlSY_E_NS1_11comp_targetILNS1_3genE5ELNS1_11target_archE942ELNS1_3gpuE9ELNS1_3repE0EEENS1_30default_config_static_selectorELNS0_4arch9wavefront6targetE0EEEvT1_,comdat
.Lfunc_end2168:
	.size	_ZN7rocprim17ROCPRIM_400000_NS6detail17trampoline_kernelINS0_14default_configENS1_27scan_by_key_config_selectorIj11FixedVectorIiLj8EEEEZZNS1_16scan_by_key_implILNS1_25lookback_scan_determinismE0ELb1ES3_N6thrust23THRUST_200600_302600_NS6detail15normal_iteratorINSB_10device_ptrIjEEEENSD_INSE_IS6_EEEESI_S6_NSB_4plusIvEENSB_8equal_toIvEES6_EE10hipError_tPvRmT2_T3_T4_T5_mT6_T7_P12ihipStream_tbENKUlT_T0_E_clISt17integral_constantIbLb1EES13_EEDaSY_SZ_EUlSY_E_NS1_11comp_targetILNS1_3genE5ELNS1_11target_archE942ELNS1_3gpuE9ELNS1_3repE0EEENS1_30default_config_static_selectorELNS0_4arch9wavefront6targetE0EEEvT1_, .Lfunc_end2168-_ZN7rocprim17ROCPRIM_400000_NS6detail17trampoline_kernelINS0_14default_configENS1_27scan_by_key_config_selectorIj11FixedVectorIiLj8EEEEZZNS1_16scan_by_key_implILNS1_25lookback_scan_determinismE0ELb1ES3_N6thrust23THRUST_200600_302600_NS6detail15normal_iteratorINSB_10device_ptrIjEEEENSD_INSE_IS6_EEEESI_S6_NSB_4plusIvEENSB_8equal_toIvEES6_EE10hipError_tPvRmT2_T3_T4_T5_mT6_T7_P12ihipStream_tbENKUlT_T0_E_clISt17integral_constantIbLb1EES13_EEDaSY_SZ_EUlSY_E_NS1_11comp_targetILNS1_3genE5ELNS1_11target_archE942ELNS1_3gpuE9ELNS1_3repE0EEENS1_30default_config_static_selectorELNS0_4arch9wavefront6targetE0EEEvT1_
                                        ; -- End function
	.set _ZN7rocprim17ROCPRIM_400000_NS6detail17trampoline_kernelINS0_14default_configENS1_27scan_by_key_config_selectorIj11FixedVectorIiLj8EEEEZZNS1_16scan_by_key_implILNS1_25lookback_scan_determinismE0ELb1ES3_N6thrust23THRUST_200600_302600_NS6detail15normal_iteratorINSB_10device_ptrIjEEEENSD_INSE_IS6_EEEESI_S6_NSB_4plusIvEENSB_8equal_toIvEES6_EE10hipError_tPvRmT2_T3_T4_T5_mT6_T7_P12ihipStream_tbENKUlT_T0_E_clISt17integral_constantIbLb1EES13_EEDaSY_SZ_EUlSY_E_NS1_11comp_targetILNS1_3genE5ELNS1_11target_archE942ELNS1_3gpuE9ELNS1_3repE0EEENS1_30default_config_static_selectorELNS0_4arch9wavefront6targetE0EEEvT1_.num_vgpr, 0
	.set _ZN7rocprim17ROCPRIM_400000_NS6detail17trampoline_kernelINS0_14default_configENS1_27scan_by_key_config_selectorIj11FixedVectorIiLj8EEEEZZNS1_16scan_by_key_implILNS1_25lookback_scan_determinismE0ELb1ES3_N6thrust23THRUST_200600_302600_NS6detail15normal_iteratorINSB_10device_ptrIjEEEENSD_INSE_IS6_EEEESI_S6_NSB_4plusIvEENSB_8equal_toIvEES6_EE10hipError_tPvRmT2_T3_T4_T5_mT6_T7_P12ihipStream_tbENKUlT_T0_E_clISt17integral_constantIbLb1EES13_EEDaSY_SZ_EUlSY_E_NS1_11comp_targetILNS1_3genE5ELNS1_11target_archE942ELNS1_3gpuE9ELNS1_3repE0EEENS1_30default_config_static_selectorELNS0_4arch9wavefront6targetE0EEEvT1_.num_agpr, 0
	.set _ZN7rocprim17ROCPRIM_400000_NS6detail17trampoline_kernelINS0_14default_configENS1_27scan_by_key_config_selectorIj11FixedVectorIiLj8EEEEZZNS1_16scan_by_key_implILNS1_25lookback_scan_determinismE0ELb1ES3_N6thrust23THRUST_200600_302600_NS6detail15normal_iteratorINSB_10device_ptrIjEEEENSD_INSE_IS6_EEEESI_S6_NSB_4plusIvEENSB_8equal_toIvEES6_EE10hipError_tPvRmT2_T3_T4_T5_mT6_T7_P12ihipStream_tbENKUlT_T0_E_clISt17integral_constantIbLb1EES13_EEDaSY_SZ_EUlSY_E_NS1_11comp_targetILNS1_3genE5ELNS1_11target_archE942ELNS1_3gpuE9ELNS1_3repE0EEENS1_30default_config_static_selectorELNS0_4arch9wavefront6targetE0EEEvT1_.numbered_sgpr, 0
	.set _ZN7rocprim17ROCPRIM_400000_NS6detail17trampoline_kernelINS0_14default_configENS1_27scan_by_key_config_selectorIj11FixedVectorIiLj8EEEEZZNS1_16scan_by_key_implILNS1_25lookback_scan_determinismE0ELb1ES3_N6thrust23THRUST_200600_302600_NS6detail15normal_iteratorINSB_10device_ptrIjEEEENSD_INSE_IS6_EEEESI_S6_NSB_4plusIvEENSB_8equal_toIvEES6_EE10hipError_tPvRmT2_T3_T4_T5_mT6_T7_P12ihipStream_tbENKUlT_T0_E_clISt17integral_constantIbLb1EES13_EEDaSY_SZ_EUlSY_E_NS1_11comp_targetILNS1_3genE5ELNS1_11target_archE942ELNS1_3gpuE9ELNS1_3repE0EEENS1_30default_config_static_selectorELNS0_4arch9wavefront6targetE0EEEvT1_.num_named_barrier, 0
	.set _ZN7rocprim17ROCPRIM_400000_NS6detail17trampoline_kernelINS0_14default_configENS1_27scan_by_key_config_selectorIj11FixedVectorIiLj8EEEEZZNS1_16scan_by_key_implILNS1_25lookback_scan_determinismE0ELb1ES3_N6thrust23THRUST_200600_302600_NS6detail15normal_iteratorINSB_10device_ptrIjEEEENSD_INSE_IS6_EEEESI_S6_NSB_4plusIvEENSB_8equal_toIvEES6_EE10hipError_tPvRmT2_T3_T4_T5_mT6_T7_P12ihipStream_tbENKUlT_T0_E_clISt17integral_constantIbLb1EES13_EEDaSY_SZ_EUlSY_E_NS1_11comp_targetILNS1_3genE5ELNS1_11target_archE942ELNS1_3gpuE9ELNS1_3repE0EEENS1_30default_config_static_selectorELNS0_4arch9wavefront6targetE0EEEvT1_.private_seg_size, 0
	.set _ZN7rocprim17ROCPRIM_400000_NS6detail17trampoline_kernelINS0_14default_configENS1_27scan_by_key_config_selectorIj11FixedVectorIiLj8EEEEZZNS1_16scan_by_key_implILNS1_25lookback_scan_determinismE0ELb1ES3_N6thrust23THRUST_200600_302600_NS6detail15normal_iteratorINSB_10device_ptrIjEEEENSD_INSE_IS6_EEEESI_S6_NSB_4plusIvEENSB_8equal_toIvEES6_EE10hipError_tPvRmT2_T3_T4_T5_mT6_T7_P12ihipStream_tbENKUlT_T0_E_clISt17integral_constantIbLb1EES13_EEDaSY_SZ_EUlSY_E_NS1_11comp_targetILNS1_3genE5ELNS1_11target_archE942ELNS1_3gpuE9ELNS1_3repE0EEENS1_30default_config_static_selectorELNS0_4arch9wavefront6targetE0EEEvT1_.uses_vcc, 0
	.set _ZN7rocprim17ROCPRIM_400000_NS6detail17trampoline_kernelINS0_14default_configENS1_27scan_by_key_config_selectorIj11FixedVectorIiLj8EEEEZZNS1_16scan_by_key_implILNS1_25lookback_scan_determinismE0ELb1ES3_N6thrust23THRUST_200600_302600_NS6detail15normal_iteratorINSB_10device_ptrIjEEEENSD_INSE_IS6_EEEESI_S6_NSB_4plusIvEENSB_8equal_toIvEES6_EE10hipError_tPvRmT2_T3_T4_T5_mT6_T7_P12ihipStream_tbENKUlT_T0_E_clISt17integral_constantIbLb1EES13_EEDaSY_SZ_EUlSY_E_NS1_11comp_targetILNS1_3genE5ELNS1_11target_archE942ELNS1_3gpuE9ELNS1_3repE0EEENS1_30default_config_static_selectorELNS0_4arch9wavefront6targetE0EEEvT1_.uses_flat_scratch, 0
	.set _ZN7rocprim17ROCPRIM_400000_NS6detail17trampoline_kernelINS0_14default_configENS1_27scan_by_key_config_selectorIj11FixedVectorIiLj8EEEEZZNS1_16scan_by_key_implILNS1_25lookback_scan_determinismE0ELb1ES3_N6thrust23THRUST_200600_302600_NS6detail15normal_iteratorINSB_10device_ptrIjEEEENSD_INSE_IS6_EEEESI_S6_NSB_4plusIvEENSB_8equal_toIvEES6_EE10hipError_tPvRmT2_T3_T4_T5_mT6_T7_P12ihipStream_tbENKUlT_T0_E_clISt17integral_constantIbLb1EES13_EEDaSY_SZ_EUlSY_E_NS1_11comp_targetILNS1_3genE5ELNS1_11target_archE942ELNS1_3gpuE9ELNS1_3repE0EEENS1_30default_config_static_selectorELNS0_4arch9wavefront6targetE0EEEvT1_.has_dyn_sized_stack, 0
	.set _ZN7rocprim17ROCPRIM_400000_NS6detail17trampoline_kernelINS0_14default_configENS1_27scan_by_key_config_selectorIj11FixedVectorIiLj8EEEEZZNS1_16scan_by_key_implILNS1_25lookback_scan_determinismE0ELb1ES3_N6thrust23THRUST_200600_302600_NS6detail15normal_iteratorINSB_10device_ptrIjEEEENSD_INSE_IS6_EEEESI_S6_NSB_4plusIvEENSB_8equal_toIvEES6_EE10hipError_tPvRmT2_T3_T4_T5_mT6_T7_P12ihipStream_tbENKUlT_T0_E_clISt17integral_constantIbLb1EES13_EEDaSY_SZ_EUlSY_E_NS1_11comp_targetILNS1_3genE5ELNS1_11target_archE942ELNS1_3gpuE9ELNS1_3repE0EEENS1_30default_config_static_selectorELNS0_4arch9wavefront6targetE0EEEvT1_.has_recursion, 0
	.set _ZN7rocprim17ROCPRIM_400000_NS6detail17trampoline_kernelINS0_14default_configENS1_27scan_by_key_config_selectorIj11FixedVectorIiLj8EEEEZZNS1_16scan_by_key_implILNS1_25lookback_scan_determinismE0ELb1ES3_N6thrust23THRUST_200600_302600_NS6detail15normal_iteratorINSB_10device_ptrIjEEEENSD_INSE_IS6_EEEESI_S6_NSB_4plusIvEENSB_8equal_toIvEES6_EE10hipError_tPvRmT2_T3_T4_T5_mT6_T7_P12ihipStream_tbENKUlT_T0_E_clISt17integral_constantIbLb1EES13_EEDaSY_SZ_EUlSY_E_NS1_11comp_targetILNS1_3genE5ELNS1_11target_archE942ELNS1_3gpuE9ELNS1_3repE0EEENS1_30default_config_static_selectorELNS0_4arch9wavefront6targetE0EEEvT1_.has_indirect_call, 0
	.section	.AMDGPU.csdata,"",@progbits
; Kernel info:
; codeLenInByte = 0
; TotalNumSgprs: 0
; NumVgprs: 0
; ScratchSize: 0
; MemoryBound: 0
; FloatMode: 240
; IeeeMode: 1
; LDSByteSize: 0 bytes/workgroup (compile time only)
; SGPRBlocks: 0
; VGPRBlocks: 0
; NumSGPRsForWavesPerEU: 1
; NumVGPRsForWavesPerEU: 1
; NamedBarCnt: 0
; Occupancy: 16
; WaveLimiterHint : 0
; COMPUTE_PGM_RSRC2:SCRATCH_EN: 0
; COMPUTE_PGM_RSRC2:USER_SGPR: 2
; COMPUTE_PGM_RSRC2:TRAP_HANDLER: 0
; COMPUTE_PGM_RSRC2:TGID_X_EN: 1
; COMPUTE_PGM_RSRC2:TGID_Y_EN: 0
; COMPUTE_PGM_RSRC2:TGID_Z_EN: 0
; COMPUTE_PGM_RSRC2:TIDIG_COMP_CNT: 0
	.section	.text._ZN7rocprim17ROCPRIM_400000_NS6detail17trampoline_kernelINS0_14default_configENS1_27scan_by_key_config_selectorIj11FixedVectorIiLj8EEEEZZNS1_16scan_by_key_implILNS1_25lookback_scan_determinismE0ELb1ES3_N6thrust23THRUST_200600_302600_NS6detail15normal_iteratorINSB_10device_ptrIjEEEENSD_INSE_IS6_EEEESI_S6_NSB_4plusIvEENSB_8equal_toIvEES6_EE10hipError_tPvRmT2_T3_T4_T5_mT6_T7_P12ihipStream_tbENKUlT_T0_E_clISt17integral_constantIbLb1EES13_EEDaSY_SZ_EUlSY_E_NS1_11comp_targetILNS1_3genE4ELNS1_11target_archE910ELNS1_3gpuE8ELNS1_3repE0EEENS1_30default_config_static_selectorELNS0_4arch9wavefront6targetE0EEEvT1_,"axG",@progbits,_ZN7rocprim17ROCPRIM_400000_NS6detail17trampoline_kernelINS0_14default_configENS1_27scan_by_key_config_selectorIj11FixedVectorIiLj8EEEEZZNS1_16scan_by_key_implILNS1_25lookback_scan_determinismE0ELb1ES3_N6thrust23THRUST_200600_302600_NS6detail15normal_iteratorINSB_10device_ptrIjEEEENSD_INSE_IS6_EEEESI_S6_NSB_4plusIvEENSB_8equal_toIvEES6_EE10hipError_tPvRmT2_T3_T4_T5_mT6_T7_P12ihipStream_tbENKUlT_T0_E_clISt17integral_constantIbLb1EES13_EEDaSY_SZ_EUlSY_E_NS1_11comp_targetILNS1_3genE4ELNS1_11target_archE910ELNS1_3gpuE8ELNS1_3repE0EEENS1_30default_config_static_selectorELNS0_4arch9wavefront6targetE0EEEvT1_,comdat
	.protected	_ZN7rocprim17ROCPRIM_400000_NS6detail17trampoline_kernelINS0_14default_configENS1_27scan_by_key_config_selectorIj11FixedVectorIiLj8EEEEZZNS1_16scan_by_key_implILNS1_25lookback_scan_determinismE0ELb1ES3_N6thrust23THRUST_200600_302600_NS6detail15normal_iteratorINSB_10device_ptrIjEEEENSD_INSE_IS6_EEEESI_S6_NSB_4plusIvEENSB_8equal_toIvEES6_EE10hipError_tPvRmT2_T3_T4_T5_mT6_T7_P12ihipStream_tbENKUlT_T0_E_clISt17integral_constantIbLb1EES13_EEDaSY_SZ_EUlSY_E_NS1_11comp_targetILNS1_3genE4ELNS1_11target_archE910ELNS1_3gpuE8ELNS1_3repE0EEENS1_30default_config_static_selectorELNS0_4arch9wavefront6targetE0EEEvT1_ ; -- Begin function _ZN7rocprim17ROCPRIM_400000_NS6detail17trampoline_kernelINS0_14default_configENS1_27scan_by_key_config_selectorIj11FixedVectorIiLj8EEEEZZNS1_16scan_by_key_implILNS1_25lookback_scan_determinismE0ELb1ES3_N6thrust23THRUST_200600_302600_NS6detail15normal_iteratorINSB_10device_ptrIjEEEENSD_INSE_IS6_EEEESI_S6_NSB_4plusIvEENSB_8equal_toIvEES6_EE10hipError_tPvRmT2_T3_T4_T5_mT6_T7_P12ihipStream_tbENKUlT_T0_E_clISt17integral_constantIbLb1EES13_EEDaSY_SZ_EUlSY_E_NS1_11comp_targetILNS1_3genE4ELNS1_11target_archE910ELNS1_3gpuE8ELNS1_3repE0EEENS1_30default_config_static_selectorELNS0_4arch9wavefront6targetE0EEEvT1_
	.globl	_ZN7rocprim17ROCPRIM_400000_NS6detail17trampoline_kernelINS0_14default_configENS1_27scan_by_key_config_selectorIj11FixedVectorIiLj8EEEEZZNS1_16scan_by_key_implILNS1_25lookback_scan_determinismE0ELb1ES3_N6thrust23THRUST_200600_302600_NS6detail15normal_iteratorINSB_10device_ptrIjEEEENSD_INSE_IS6_EEEESI_S6_NSB_4plusIvEENSB_8equal_toIvEES6_EE10hipError_tPvRmT2_T3_T4_T5_mT6_T7_P12ihipStream_tbENKUlT_T0_E_clISt17integral_constantIbLb1EES13_EEDaSY_SZ_EUlSY_E_NS1_11comp_targetILNS1_3genE4ELNS1_11target_archE910ELNS1_3gpuE8ELNS1_3repE0EEENS1_30default_config_static_selectorELNS0_4arch9wavefront6targetE0EEEvT1_
	.p2align	8
	.type	_ZN7rocprim17ROCPRIM_400000_NS6detail17trampoline_kernelINS0_14default_configENS1_27scan_by_key_config_selectorIj11FixedVectorIiLj8EEEEZZNS1_16scan_by_key_implILNS1_25lookback_scan_determinismE0ELb1ES3_N6thrust23THRUST_200600_302600_NS6detail15normal_iteratorINSB_10device_ptrIjEEEENSD_INSE_IS6_EEEESI_S6_NSB_4plusIvEENSB_8equal_toIvEES6_EE10hipError_tPvRmT2_T3_T4_T5_mT6_T7_P12ihipStream_tbENKUlT_T0_E_clISt17integral_constantIbLb1EES13_EEDaSY_SZ_EUlSY_E_NS1_11comp_targetILNS1_3genE4ELNS1_11target_archE910ELNS1_3gpuE8ELNS1_3repE0EEENS1_30default_config_static_selectorELNS0_4arch9wavefront6targetE0EEEvT1_,@function
_ZN7rocprim17ROCPRIM_400000_NS6detail17trampoline_kernelINS0_14default_configENS1_27scan_by_key_config_selectorIj11FixedVectorIiLj8EEEEZZNS1_16scan_by_key_implILNS1_25lookback_scan_determinismE0ELb1ES3_N6thrust23THRUST_200600_302600_NS6detail15normal_iteratorINSB_10device_ptrIjEEEENSD_INSE_IS6_EEEESI_S6_NSB_4plusIvEENSB_8equal_toIvEES6_EE10hipError_tPvRmT2_T3_T4_T5_mT6_T7_P12ihipStream_tbENKUlT_T0_E_clISt17integral_constantIbLb1EES13_EEDaSY_SZ_EUlSY_E_NS1_11comp_targetILNS1_3genE4ELNS1_11target_archE910ELNS1_3gpuE8ELNS1_3repE0EEENS1_30default_config_static_selectorELNS0_4arch9wavefront6targetE0EEEvT1_: ; @_ZN7rocprim17ROCPRIM_400000_NS6detail17trampoline_kernelINS0_14default_configENS1_27scan_by_key_config_selectorIj11FixedVectorIiLj8EEEEZZNS1_16scan_by_key_implILNS1_25lookback_scan_determinismE0ELb1ES3_N6thrust23THRUST_200600_302600_NS6detail15normal_iteratorINSB_10device_ptrIjEEEENSD_INSE_IS6_EEEESI_S6_NSB_4plusIvEENSB_8equal_toIvEES6_EE10hipError_tPvRmT2_T3_T4_T5_mT6_T7_P12ihipStream_tbENKUlT_T0_E_clISt17integral_constantIbLb1EES13_EEDaSY_SZ_EUlSY_E_NS1_11comp_targetILNS1_3genE4ELNS1_11target_archE910ELNS1_3gpuE8ELNS1_3repE0EEENS1_30default_config_static_selectorELNS0_4arch9wavefront6targetE0EEEvT1_
; %bb.0:
	.section	.rodata,"a",@progbits
	.p2align	6, 0x0
	.amdhsa_kernel _ZN7rocprim17ROCPRIM_400000_NS6detail17trampoline_kernelINS0_14default_configENS1_27scan_by_key_config_selectorIj11FixedVectorIiLj8EEEEZZNS1_16scan_by_key_implILNS1_25lookback_scan_determinismE0ELb1ES3_N6thrust23THRUST_200600_302600_NS6detail15normal_iteratorINSB_10device_ptrIjEEEENSD_INSE_IS6_EEEESI_S6_NSB_4plusIvEENSB_8equal_toIvEES6_EE10hipError_tPvRmT2_T3_T4_T5_mT6_T7_P12ihipStream_tbENKUlT_T0_E_clISt17integral_constantIbLb1EES13_EEDaSY_SZ_EUlSY_E_NS1_11comp_targetILNS1_3genE4ELNS1_11target_archE910ELNS1_3gpuE8ELNS1_3repE0EEENS1_30default_config_static_selectorELNS0_4arch9wavefront6targetE0EEEvT1_
		.amdhsa_group_segment_fixed_size 0
		.amdhsa_private_segment_fixed_size 0
		.amdhsa_kernarg_size 160
		.amdhsa_user_sgpr_count 2
		.amdhsa_user_sgpr_dispatch_ptr 0
		.amdhsa_user_sgpr_queue_ptr 0
		.amdhsa_user_sgpr_kernarg_segment_ptr 1
		.amdhsa_user_sgpr_dispatch_id 0
		.amdhsa_user_sgpr_kernarg_preload_length 0
		.amdhsa_user_sgpr_kernarg_preload_offset 0
		.amdhsa_user_sgpr_private_segment_size 0
		.amdhsa_wavefront_size32 1
		.amdhsa_uses_dynamic_stack 0
		.amdhsa_enable_private_segment 0
		.amdhsa_system_sgpr_workgroup_id_x 1
		.amdhsa_system_sgpr_workgroup_id_y 0
		.amdhsa_system_sgpr_workgroup_id_z 0
		.amdhsa_system_sgpr_workgroup_info 0
		.amdhsa_system_vgpr_workitem_id 0
		.amdhsa_next_free_vgpr 1
		.amdhsa_next_free_sgpr 1
		.amdhsa_named_barrier_count 0
		.amdhsa_reserve_vcc 0
		.amdhsa_float_round_mode_32 0
		.amdhsa_float_round_mode_16_64 0
		.amdhsa_float_denorm_mode_32 3
		.amdhsa_float_denorm_mode_16_64 3
		.amdhsa_fp16_overflow 0
		.amdhsa_memory_ordered 1
		.amdhsa_forward_progress 1
		.amdhsa_inst_pref_size 0
		.amdhsa_round_robin_scheduling 0
		.amdhsa_exception_fp_ieee_invalid_op 0
		.amdhsa_exception_fp_denorm_src 0
		.amdhsa_exception_fp_ieee_div_zero 0
		.amdhsa_exception_fp_ieee_overflow 0
		.amdhsa_exception_fp_ieee_underflow 0
		.amdhsa_exception_fp_ieee_inexact 0
		.amdhsa_exception_int_div_zero 0
	.end_amdhsa_kernel
	.section	.text._ZN7rocprim17ROCPRIM_400000_NS6detail17trampoline_kernelINS0_14default_configENS1_27scan_by_key_config_selectorIj11FixedVectorIiLj8EEEEZZNS1_16scan_by_key_implILNS1_25lookback_scan_determinismE0ELb1ES3_N6thrust23THRUST_200600_302600_NS6detail15normal_iteratorINSB_10device_ptrIjEEEENSD_INSE_IS6_EEEESI_S6_NSB_4plusIvEENSB_8equal_toIvEES6_EE10hipError_tPvRmT2_T3_T4_T5_mT6_T7_P12ihipStream_tbENKUlT_T0_E_clISt17integral_constantIbLb1EES13_EEDaSY_SZ_EUlSY_E_NS1_11comp_targetILNS1_3genE4ELNS1_11target_archE910ELNS1_3gpuE8ELNS1_3repE0EEENS1_30default_config_static_selectorELNS0_4arch9wavefront6targetE0EEEvT1_,"axG",@progbits,_ZN7rocprim17ROCPRIM_400000_NS6detail17trampoline_kernelINS0_14default_configENS1_27scan_by_key_config_selectorIj11FixedVectorIiLj8EEEEZZNS1_16scan_by_key_implILNS1_25lookback_scan_determinismE0ELb1ES3_N6thrust23THRUST_200600_302600_NS6detail15normal_iteratorINSB_10device_ptrIjEEEENSD_INSE_IS6_EEEESI_S6_NSB_4plusIvEENSB_8equal_toIvEES6_EE10hipError_tPvRmT2_T3_T4_T5_mT6_T7_P12ihipStream_tbENKUlT_T0_E_clISt17integral_constantIbLb1EES13_EEDaSY_SZ_EUlSY_E_NS1_11comp_targetILNS1_3genE4ELNS1_11target_archE910ELNS1_3gpuE8ELNS1_3repE0EEENS1_30default_config_static_selectorELNS0_4arch9wavefront6targetE0EEEvT1_,comdat
.Lfunc_end2169:
	.size	_ZN7rocprim17ROCPRIM_400000_NS6detail17trampoline_kernelINS0_14default_configENS1_27scan_by_key_config_selectorIj11FixedVectorIiLj8EEEEZZNS1_16scan_by_key_implILNS1_25lookback_scan_determinismE0ELb1ES3_N6thrust23THRUST_200600_302600_NS6detail15normal_iteratorINSB_10device_ptrIjEEEENSD_INSE_IS6_EEEESI_S6_NSB_4plusIvEENSB_8equal_toIvEES6_EE10hipError_tPvRmT2_T3_T4_T5_mT6_T7_P12ihipStream_tbENKUlT_T0_E_clISt17integral_constantIbLb1EES13_EEDaSY_SZ_EUlSY_E_NS1_11comp_targetILNS1_3genE4ELNS1_11target_archE910ELNS1_3gpuE8ELNS1_3repE0EEENS1_30default_config_static_selectorELNS0_4arch9wavefront6targetE0EEEvT1_, .Lfunc_end2169-_ZN7rocprim17ROCPRIM_400000_NS6detail17trampoline_kernelINS0_14default_configENS1_27scan_by_key_config_selectorIj11FixedVectorIiLj8EEEEZZNS1_16scan_by_key_implILNS1_25lookback_scan_determinismE0ELb1ES3_N6thrust23THRUST_200600_302600_NS6detail15normal_iteratorINSB_10device_ptrIjEEEENSD_INSE_IS6_EEEESI_S6_NSB_4plusIvEENSB_8equal_toIvEES6_EE10hipError_tPvRmT2_T3_T4_T5_mT6_T7_P12ihipStream_tbENKUlT_T0_E_clISt17integral_constantIbLb1EES13_EEDaSY_SZ_EUlSY_E_NS1_11comp_targetILNS1_3genE4ELNS1_11target_archE910ELNS1_3gpuE8ELNS1_3repE0EEENS1_30default_config_static_selectorELNS0_4arch9wavefront6targetE0EEEvT1_
                                        ; -- End function
	.set _ZN7rocprim17ROCPRIM_400000_NS6detail17trampoline_kernelINS0_14default_configENS1_27scan_by_key_config_selectorIj11FixedVectorIiLj8EEEEZZNS1_16scan_by_key_implILNS1_25lookback_scan_determinismE0ELb1ES3_N6thrust23THRUST_200600_302600_NS6detail15normal_iteratorINSB_10device_ptrIjEEEENSD_INSE_IS6_EEEESI_S6_NSB_4plusIvEENSB_8equal_toIvEES6_EE10hipError_tPvRmT2_T3_T4_T5_mT6_T7_P12ihipStream_tbENKUlT_T0_E_clISt17integral_constantIbLb1EES13_EEDaSY_SZ_EUlSY_E_NS1_11comp_targetILNS1_3genE4ELNS1_11target_archE910ELNS1_3gpuE8ELNS1_3repE0EEENS1_30default_config_static_selectorELNS0_4arch9wavefront6targetE0EEEvT1_.num_vgpr, 0
	.set _ZN7rocprim17ROCPRIM_400000_NS6detail17trampoline_kernelINS0_14default_configENS1_27scan_by_key_config_selectorIj11FixedVectorIiLj8EEEEZZNS1_16scan_by_key_implILNS1_25lookback_scan_determinismE0ELb1ES3_N6thrust23THRUST_200600_302600_NS6detail15normal_iteratorINSB_10device_ptrIjEEEENSD_INSE_IS6_EEEESI_S6_NSB_4plusIvEENSB_8equal_toIvEES6_EE10hipError_tPvRmT2_T3_T4_T5_mT6_T7_P12ihipStream_tbENKUlT_T0_E_clISt17integral_constantIbLb1EES13_EEDaSY_SZ_EUlSY_E_NS1_11comp_targetILNS1_3genE4ELNS1_11target_archE910ELNS1_3gpuE8ELNS1_3repE0EEENS1_30default_config_static_selectorELNS0_4arch9wavefront6targetE0EEEvT1_.num_agpr, 0
	.set _ZN7rocprim17ROCPRIM_400000_NS6detail17trampoline_kernelINS0_14default_configENS1_27scan_by_key_config_selectorIj11FixedVectorIiLj8EEEEZZNS1_16scan_by_key_implILNS1_25lookback_scan_determinismE0ELb1ES3_N6thrust23THRUST_200600_302600_NS6detail15normal_iteratorINSB_10device_ptrIjEEEENSD_INSE_IS6_EEEESI_S6_NSB_4plusIvEENSB_8equal_toIvEES6_EE10hipError_tPvRmT2_T3_T4_T5_mT6_T7_P12ihipStream_tbENKUlT_T0_E_clISt17integral_constantIbLb1EES13_EEDaSY_SZ_EUlSY_E_NS1_11comp_targetILNS1_3genE4ELNS1_11target_archE910ELNS1_3gpuE8ELNS1_3repE0EEENS1_30default_config_static_selectorELNS0_4arch9wavefront6targetE0EEEvT1_.numbered_sgpr, 0
	.set _ZN7rocprim17ROCPRIM_400000_NS6detail17trampoline_kernelINS0_14default_configENS1_27scan_by_key_config_selectorIj11FixedVectorIiLj8EEEEZZNS1_16scan_by_key_implILNS1_25lookback_scan_determinismE0ELb1ES3_N6thrust23THRUST_200600_302600_NS6detail15normal_iteratorINSB_10device_ptrIjEEEENSD_INSE_IS6_EEEESI_S6_NSB_4plusIvEENSB_8equal_toIvEES6_EE10hipError_tPvRmT2_T3_T4_T5_mT6_T7_P12ihipStream_tbENKUlT_T0_E_clISt17integral_constantIbLb1EES13_EEDaSY_SZ_EUlSY_E_NS1_11comp_targetILNS1_3genE4ELNS1_11target_archE910ELNS1_3gpuE8ELNS1_3repE0EEENS1_30default_config_static_selectorELNS0_4arch9wavefront6targetE0EEEvT1_.num_named_barrier, 0
	.set _ZN7rocprim17ROCPRIM_400000_NS6detail17trampoline_kernelINS0_14default_configENS1_27scan_by_key_config_selectorIj11FixedVectorIiLj8EEEEZZNS1_16scan_by_key_implILNS1_25lookback_scan_determinismE0ELb1ES3_N6thrust23THRUST_200600_302600_NS6detail15normal_iteratorINSB_10device_ptrIjEEEENSD_INSE_IS6_EEEESI_S6_NSB_4plusIvEENSB_8equal_toIvEES6_EE10hipError_tPvRmT2_T3_T4_T5_mT6_T7_P12ihipStream_tbENKUlT_T0_E_clISt17integral_constantIbLb1EES13_EEDaSY_SZ_EUlSY_E_NS1_11comp_targetILNS1_3genE4ELNS1_11target_archE910ELNS1_3gpuE8ELNS1_3repE0EEENS1_30default_config_static_selectorELNS0_4arch9wavefront6targetE0EEEvT1_.private_seg_size, 0
	.set _ZN7rocprim17ROCPRIM_400000_NS6detail17trampoline_kernelINS0_14default_configENS1_27scan_by_key_config_selectorIj11FixedVectorIiLj8EEEEZZNS1_16scan_by_key_implILNS1_25lookback_scan_determinismE0ELb1ES3_N6thrust23THRUST_200600_302600_NS6detail15normal_iteratorINSB_10device_ptrIjEEEENSD_INSE_IS6_EEEESI_S6_NSB_4plusIvEENSB_8equal_toIvEES6_EE10hipError_tPvRmT2_T3_T4_T5_mT6_T7_P12ihipStream_tbENKUlT_T0_E_clISt17integral_constantIbLb1EES13_EEDaSY_SZ_EUlSY_E_NS1_11comp_targetILNS1_3genE4ELNS1_11target_archE910ELNS1_3gpuE8ELNS1_3repE0EEENS1_30default_config_static_selectorELNS0_4arch9wavefront6targetE0EEEvT1_.uses_vcc, 0
	.set _ZN7rocprim17ROCPRIM_400000_NS6detail17trampoline_kernelINS0_14default_configENS1_27scan_by_key_config_selectorIj11FixedVectorIiLj8EEEEZZNS1_16scan_by_key_implILNS1_25lookback_scan_determinismE0ELb1ES3_N6thrust23THRUST_200600_302600_NS6detail15normal_iteratorINSB_10device_ptrIjEEEENSD_INSE_IS6_EEEESI_S6_NSB_4plusIvEENSB_8equal_toIvEES6_EE10hipError_tPvRmT2_T3_T4_T5_mT6_T7_P12ihipStream_tbENKUlT_T0_E_clISt17integral_constantIbLb1EES13_EEDaSY_SZ_EUlSY_E_NS1_11comp_targetILNS1_3genE4ELNS1_11target_archE910ELNS1_3gpuE8ELNS1_3repE0EEENS1_30default_config_static_selectorELNS0_4arch9wavefront6targetE0EEEvT1_.uses_flat_scratch, 0
	.set _ZN7rocprim17ROCPRIM_400000_NS6detail17trampoline_kernelINS0_14default_configENS1_27scan_by_key_config_selectorIj11FixedVectorIiLj8EEEEZZNS1_16scan_by_key_implILNS1_25lookback_scan_determinismE0ELb1ES3_N6thrust23THRUST_200600_302600_NS6detail15normal_iteratorINSB_10device_ptrIjEEEENSD_INSE_IS6_EEEESI_S6_NSB_4plusIvEENSB_8equal_toIvEES6_EE10hipError_tPvRmT2_T3_T4_T5_mT6_T7_P12ihipStream_tbENKUlT_T0_E_clISt17integral_constantIbLb1EES13_EEDaSY_SZ_EUlSY_E_NS1_11comp_targetILNS1_3genE4ELNS1_11target_archE910ELNS1_3gpuE8ELNS1_3repE0EEENS1_30default_config_static_selectorELNS0_4arch9wavefront6targetE0EEEvT1_.has_dyn_sized_stack, 0
	.set _ZN7rocprim17ROCPRIM_400000_NS6detail17trampoline_kernelINS0_14default_configENS1_27scan_by_key_config_selectorIj11FixedVectorIiLj8EEEEZZNS1_16scan_by_key_implILNS1_25lookback_scan_determinismE0ELb1ES3_N6thrust23THRUST_200600_302600_NS6detail15normal_iteratorINSB_10device_ptrIjEEEENSD_INSE_IS6_EEEESI_S6_NSB_4plusIvEENSB_8equal_toIvEES6_EE10hipError_tPvRmT2_T3_T4_T5_mT6_T7_P12ihipStream_tbENKUlT_T0_E_clISt17integral_constantIbLb1EES13_EEDaSY_SZ_EUlSY_E_NS1_11comp_targetILNS1_3genE4ELNS1_11target_archE910ELNS1_3gpuE8ELNS1_3repE0EEENS1_30default_config_static_selectorELNS0_4arch9wavefront6targetE0EEEvT1_.has_recursion, 0
	.set _ZN7rocprim17ROCPRIM_400000_NS6detail17trampoline_kernelINS0_14default_configENS1_27scan_by_key_config_selectorIj11FixedVectorIiLj8EEEEZZNS1_16scan_by_key_implILNS1_25lookback_scan_determinismE0ELb1ES3_N6thrust23THRUST_200600_302600_NS6detail15normal_iteratorINSB_10device_ptrIjEEEENSD_INSE_IS6_EEEESI_S6_NSB_4plusIvEENSB_8equal_toIvEES6_EE10hipError_tPvRmT2_T3_T4_T5_mT6_T7_P12ihipStream_tbENKUlT_T0_E_clISt17integral_constantIbLb1EES13_EEDaSY_SZ_EUlSY_E_NS1_11comp_targetILNS1_3genE4ELNS1_11target_archE910ELNS1_3gpuE8ELNS1_3repE0EEENS1_30default_config_static_selectorELNS0_4arch9wavefront6targetE0EEEvT1_.has_indirect_call, 0
	.section	.AMDGPU.csdata,"",@progbits
; Kernel info:
; codeLenInByte = 0
; TotalNumSgprs: 0
; NumVgprs: 0
; ScratchSize: 0
; MemoryBound: 0
; FloatMode: 240
; IeeeMode: 1
; LDSByteSize: 0 bytes/workgroup (compile time only)
; SGPRBlocks: 0
; VGPRBlocks: 0
; NumSGPRsForWavesPerEU: 1
; NumVGPRsForWavesPerEU: 1
; NamedBarCnt: 0
; Occupancy: 16
; WaveLimiterHint : 0
; COMPUTE_PGM_RSRC2:SCRATCH_EN: 0
; COMPUTE_PGM_RSRC2:USER_SGPR: 2
; COMPUTE_PGM_RSRC2:TRAP_HANDLER: 0
; COMPUTE_PGM_RSRC2:TGID_X_EN: 1
; COMPUTE_PGM_RSRC2:TGID_Y_EN: 0
; COMPUTE_PGM_RSRC2:TGID_Z_EN: 0
; COMPUTE_PGM_RSRC2:TIDIG_COMP_CNT: 0
	.section	.text._ZN7rocprim17ROCPRIM_400000_NS6detail17trampoline_kernelINS0_14default_configENS1_27scan_by_key_config_selectorIj11FixedVectorIiLj8EEEEZZNS1_16scan_by_key_implILNS1_25lookback_scan_determinismE0ELb1ES3_N6thrust23THRUST_200600_302600_NS6detail15normal_iteratorINSB_10device_ptrIjEEEENSD_INSE_IS6_EEEESI_S6_NSB_4plusIvEENSB_8equal_toIvEES6_EE10hipError_tPvRmT2_T3_T4_T5_mT6_T7_P12ihipStream_tbENKUlT_T0_E_clISt17integral_constantIbLb1EES13_EEDaSY_SZ_EUlSY_E_NS1_11comp_targetILNS1_3genE3ELNS1_11target_archE908ELNS1_3gpuE7ELNS1_3repE0EEENS1_30default_config_static_selectorELNS0_4arch9wavefront6targetE0EEEvT1_,"axG",@progbits,_ZN7rocprim17ROCPRIM_400000_NS6detail17trampoline_kernelINS0_14default_configENS1_27scan_by_key_config_selectorIj11FixedVectorIiLj8EEEEZZNS1_16scan_by_key_implILNS1_25lookback_scan_determinismE0ELb1ES3_N6thrust23THRUST_200600_302600_NS6detail15normal_iteratorINSB_10device_ptrIjEEEENSD_INSE_IS6_EEEESI_S6_NSB_4plusIvEENSB_8equal_toIvEES6_EE10hipError_tPvRmT2_T3_T4_T5_mT6_T7_P12ihipStream_tbENKUlT_T0_E_clISt17integral_constantIbLb1EES13_EEDaSY_SZ_EUlSY_E_NS1_11comp_targetILNS1_3genE3ELNS1_11target_archE908ELNS1_3gpuE7ELNS1_3repE0EEENS1_30default_config_static_selectorELNS0_4arch9wavefront6targetE0EEEvT1_,comdat
	.protected	_ZN7rocprim17ROCPRIM_400000_NS6detail17trampoline_kernelINS0_14default_configENS1_27scan_by_key_config_selectorIj11FixedVectorIiLj8EEEEZZNS1_16scan_by_key_implILNS1_25lookback_scan_determinismE0ELb1ES3_N6thrust23THRUST_200600_302600_NS6detail15normal_iteratorINSB_10device_ptrIjEEEENSD_INSE_IS6_EEEESI_S6_NSB_4plusIvEENSB_8equal_toIvEES6_EE10hipError_tPvRmT2_T3_T4_T5_mT6_T7_P12ihipStream_tbENKUlT_T0_E_clISt17integral_constantIbLb1EES13_EEDaSY_SZ_EUlSY_E_NS1_11comp_targetILNS1_3genE3ELNS1_11target_archE908ELNS1_3gpuE7ELNS1_3repE0EEENS1_30default_config_static_selectorELNS0_4arch9wavefront6targetE0EEEvT1_ ; -- Begin function _ZN7rocprim17ROCPRIM_400000_NS6detail17trampoline_kernelINS0_14default_configENS1_27scan_by_key_config_selectorIj11FixedVectorIiLj8EEEEZZNS1_16scan_by_key_implILNS1_25lookback_scan_determinismE0ELb1ES3_N6thrust23THRUST_200600_302600_NS6detail15normal_iteratorINSB_10device_ptrIjEEEENSD_INSE_IS6_EEEESI_S6_NSB_4plusIvEENSB_8equal_toIvEES6_EE10hipError_tPvRmT2_T3_T4_T5_mT6_T7_P12ihipStream_tbENKUlT_T0_E_clISt17integral_constantIbLb1EES13_EEDaSY_SZ_EUlSY_E_NS1_11comp_targetILNS1_3genE3ELNS1_11target_archE908ELNS1_3gpuE7ELNS1_3repE0EEENS1_30default_config_static_selectorELNS0_4arch9wavefront6targetE0EEEvT1_
	.globl	_ZN7rocprim17ROCPRIM_400000_NS6detail17trampoline_kernelINS0_14default_configENS1_27scan_by_key_config_selectorIj11FixedVectorIiLj8EEEEZZNS1_16scan_by_key_implILNS1_25lookback_scan_determinismE0ELb1ES3_N6thrust23THRUST_200600_302600_NS6detail15normal_iteratorINSB_10device_ptrIjEEEENSD_INSE_IS6_EEEESI_S6_NSB_4plusIvEENSB_8equal_toIvEES6_EE10hipError_tPvRmT2_T3_T4_T5_mT6_T7_P12ihipStream_tbENKUlT_T0_E_clISt17integral_constantIbLb1EES13_EEDaSY_SZ_EUlSY_E_NS1_11comp_targetILNS1_3genE3ELNS1_11target_archE908ELNS1_3gpuE7ELNS1_3repE0EEENS1_30default_config_static_selectorELNS0_4arch9wavefront6targetE0EEEvT1_
	.p2align	8
	.type	_ZN7rocprim17ROCPRIM_400000_NS6detail17trampoline_kernelINS0_14default_configENS1_27scan_by_key_config_selectorIj11FixedVectorIiLj8EEEEZZNS1_16scan_by_key_implILNS1_25lookback_scan_determinismE0ELb1ES3_N6thrust23THRUST_200600_302600_NS6detail15normal_iteratorINSB_10device_ptrIjEEEENSD_INSE_IS6_EEEESI_S6_NSB_4plusIvEENSB_8equal_toIvEES6_EE10hipError_tPvRmT2_T3_T4_T5_mT6_T7_P12ihipStream_tbENKUlT_T0_E_clISt17integral_constantIbLb1EES13_EEDaSY_SZ_EUlSY_E_NS1_11comp_targetILNS1_3genE3ELNS1_11target_archE908ELNS1_3gpuE7ELNS1_3repE0EEENS1_30default_config_static_selectorELNS0_4arch9wavefront6targetE0EEEvT1_,@function
_ZN7rocprim17ROCPRIM_400000_NS6detail17trampoline_kernelINS0_14default_configENS1_27scan_by_key_config_selectorIj11FixedVectorIiLj8EEEEZZNS1_16scan_by_key_implILNS1_25lookback_scan_determinismE0ELb1ES3_N6thrust23THRUST_200600_302600_NS6detail15normal_iteratorINSB_10device_ptrIjEEEENSD_INSE_IS6_EEEESI_S6_NSB_4plusIvEENSB_8equal_toIvEES6_EE10hipError_tPvRmT2_T3_T4_T5_mT6_T7_P12ihipStream_tbENKUlT_T0_E_clISt17integral_constantIbLb1EES13_EEDaSY_SZ_EUlSY_E_NS1_11comp_targetILNS1_3genE3ELNS1_11target_archE908ELNS1_3gpuE7ELNS1_3repE0EEENS1_30default_config_static_selectorELNS0_4arch9wavefront6targetE0EEEvT1_: ; @_ZN7rocprim17ROCPRIM_400000_NS6detail17trampoline_kernelINS0_14default_configENS1_27scan_by_key_config_selectorIj11FixedVectorIiLj8EEEEZZNS1_16scan_by_key_implILNS1_25lookback_scan_determinismE0ELb1ES3_N6thrust23THRUST_200600_302600_NS6detail15normal_iteratorINSB_10device_ptrIjEEEENSD_INSE_IS6_EEEESI_S6_NSB_4plusIvEENSB_8equal_toIvEES6_EE10hipError_tPvRmT2_T3_T4_T5_mT6_T7_P12ihipStream_tbENKUlT_T0_E_clISt17integral_constantIbLb1EES13_EEDaSY_SZ_EUlSY_E_NS1_11comp_targetILNS1_3genE3ELNS1_11target_archE908ELNS1_3gpuE7ELNS1_3repE0EEENS1_30default_config_static_selectorELNS0_4arch9wavefront6targetE0EEEvT1_
; %bb.0:
	.section	.rodata,"a",@progbits
	.p2align	6, 0x0
	.amdhsa_kernel _ZN7rocprim17ROCPRIM_400000_NS6detail17trampoline_kernelINS0_14default_configENS1_27scan_by_key_config_selectorIj11FixedVectorIiLj8EEEEZZNS1_16scan_by_key_implILNS1_25lookback_scan_determinismE0ELb1ES3_N6thrust23THRUST_200600_302600_NS6detail15normal_iteratorINSB_10device_ptrIjEEEENSD_INSE_IS6_EEEESI_S6_NSB_4plusIvEENSB_8equal_toIvEES6_EE10hipError_tPvRmT2_T3_T4_T5_mT6_T7_P12ihipStream_tbENKUlT_T0_E_clISt17integral_constantIbLb1EES13_EEDaSY_SZ_EUlSY_E_NS1_11comp_targetILNS1_3genE3ELNS1_11target_archE908ELNS1_3gpuE7ELNS1_3repE0EEENS1_30default_config_static_selectorELNS0_4arch9wavefront6targetE0EEEvT1_
		.amdhsa_group_segment_fixed_size 0
		.amdhsa_private_segment_fixed_size 0
		.amdhsa_kernarg_size 160
		.amdhsa_user_sgpr_count 2
		.amdhsa_user_sgpr_dispatch_ptr 0
		.amdhsa_user_sgpr_queue_ptr 0
		.amdhsa_user_sgpr_kernarg_segment_ptr 1
		.amdhsa_user_sgpr_dispatch_id 0
		.amdhsa_user_sgpr_kernarg_preload_length 0
		.amdhsa_user_sgpr_kernarg_preload_offset 0
		.amdhsa_user_sgpr_private_segment_size 0
		.amdhsa_wavefront_size32 1
		.amdhsa_uses_dynamic_stack 0
		.amdhsa_enable_private_segment 0
		.amdhsa_system_sgpr_workgroup_id_x 1
		.amdhsa_system_sgpr_workgroup_id_y 0
		.amdhsa_system_sgpr_workgroup_id_z 0
		.amdhsa_system_sgpr_workgroup_info 0
		.amdhsa_system_vgpr_workitem_id 0
		.amdhsa_next_free_vgpr 1
		.amdhsa_next_free_sgpr 1
		.amdhsa_named_barrier_count 0
		.amdhsa_reserve_vcc 0
		.amdhsa_float_round_mode_32 0
		.amdhsa_float_round_mode_16_64 0
		.amdhsa_float_denorm_mode_32 3
		.amdhsa_float_denorm_mode_16_64 3
		.amdhsa_fp16_overflow 0
		.amdhsa_memory_ordered 1
		.amdhsa_forward_progress 1
		.amdhsa_inst_pref_size 0
		.amdhsa_round_robin_scheduling 0
		.amdhsa_exception_fp_ieee_invalid_op 0
		.amdhsa_exception_fp_denorm_src 0
		.amdhsa_exception_fp_ieee_div_zero 0
		.amdhsa_exception_fp_ieee_overflow 0
		.amdhsa_exception_fp_ieee_underflow 0
		.amdhsa_exception_fp_ieee_inexact 0
		.amdhsa_exception_int_div_zero 0
	.end_amdhsa_kernel
	.section	.text._ZN7rocprim17ROCPRIM_400000_NS6detail17trampoline_kernelINS0_14default_configENS1_27scan_by_key_config_selectorIj11FixedVectorIiLj8EEEEZZNS1_16scan_by_key_implILNS1_25lookback_scan_determinismE0ELb1ES3_N6thrust23THRUST_200600_302600_NS6detail15normal_iteratorINSB_10device_ptrIjEEEENSD_INSE_IS6_EEEESI_S6_NSB_4plusIvEENSB_8equal_toIvEES6_EE10hipError_tPvRmT2_T3_T4_T5_mT6_T7_P12ihipStream_tbENKUlT_T0_E_clISt17integral_constantIbLb1EES13_EEDaSY_SZ_EUlSY_E_NS1_11comp_targetILNS1_3genE3ELNS1_11target_archE908ELNS1_3gpuE7ELNS1_3repE0EEENS1_30default_config_static_selectorELNS0_4arch9wavefront6targetE0EEEvT1_,"axG",@progbits,_ZN7rocprim17ROCPRIM_400000_NS6detail17trampoline_kernelINS0_14default_configENS1_27scan_by_key_config_selectorIj11FixedVectorIiLj8EEEEZZNS1_16scan_by_key_implILNS1_25lookback_scan_determinismE0ELb1ES3_N6thrust23THRUST_200600_302600_NS6detail15normal_iteratorINSB_10device_ptrIjEEEENSD_INSE_IS6_EEEESI_S6_NSB_4plusIvEENSB_8equal_toIvEES6_EE10hipError_tPvRmT2_T3_T4_T5_mT6_T7_P12ihipStream_tbENKUlT_T0_E_clISt17integral_constantIbLb1EES13_EEDaSY_SZ_EUlSY_E_NS1_11comp_targetILNS1_3genE3ELNS1_11target_archE908ELNS1_3gpuE7ELNS1_3repE0EEENS1_30default_config_static_selectorELNS0_4arch9wavefront6targetE0EEEvT1_,comdat
.Lfunc_end2170:
	.size	_ZN7rocprim17ROCPRIM_400000_NS6detail17trampoline_kernelINS0_14default_configENS1_27scan_by_key_config_selectorIj11FixedVectorIiLj8EEEEZZNS1_16scan_by_key_implILNS1_25lookback_scan_determinismE0ELb1ES3_N6thrust23THRUST_200600_302600_NS6detail15normal_iteratorINSB_10device_ptrIjEEEENSD_INSE_IS6_EEEESI_S6_NSB_4plusIvEENSB_8equal_toIvEES6_EE10hipError_tPvRmT2_T3_T4_T5_mT6_T7_P12ihipStream_tbENKUlT_T0_E_clISt17integral_constantIbLb1EES13_EEDaSY_SZ_EUlSY_E_NS1_11comp_targetILNS1_3genE3ELNS1_11target_archE908ELNS1_3gpuE7ELNS1_3repE0EEENS1_30default_config_static_selectorELNS0_4arch9wavefront6targetE0EEEvT1_, .Lfunc_end2170-_ZN7rocprim17ROCPRIM_400000_NS6detail17trampoline_kernelINS0_14default_configENS1_27scan_by_key_config_selectorIj11FixedVectorIiLj8EEEEZZNS1_16scan_by_key_implILNS1_25lookback_scan_determinismE0ELb1ES3_N6thrust23THRUST_200600_302600_NS6detail15normal_iteratorINSB_10device_ptrIjEEEENSD_INSE_IS6_EEEESI_S6_NSB_4plusIvEENSB_8equal_toIvEES6_EE10hipError_tPvRmT2_T3_T4_T5_mT6_T7_P12ihipStream_tbENKUlT_T0_E_clISt17integral_constantIbLb1EES13_EEDaSY_SZ_EUlSY_E_NS1_11comp_targetILNS1_3genE3ELNS1_11target_archE908ELNS1_3gpuE7ELNS1_3repE0EEENS1_30default_config_static_selectorELNS0_4arch9wavefront6targetE0EEEvT1_
                                        ; -- End function
	.set _ZN7rocprim17ROCPRIM_400000_NS6detail17trampoline_kernelINS0_14default_configENS1_27scan_by_key_config_selectorIj11FixedVectorIiLj8EEEEZZNS1_16scan_by_key_implILNS1_25lookback_scan_determinismE0ELb1ES3_N6thrust23THRUST_200600_302600_NS6detail15normal_iteratorINSB_10device_ptrIjEEEENSD_INSE_IS6_EEEESI_S6_NSB_4plusIvEENSB_8equal_toIvEES6_EE10hipError_tPvRmT2_T3_T4_T5_mT6_T7_P12ihipStream_tbENKUlT_T0_E_clISt17integral_constantIbLb1EES13_EEDaSY_SZ_EUlSY_E_NS1_11comp_targetILNS1_3genE3ELNS1_11target_archE908ELNS1_3gpuE7ELNS1_3repE0EEENS1_30default_config_static_selectorELNS0_4arch9wavefront6targetE0EEEvT1_.num_vgpr, 0
	.set _ZN7rocprim17ROCPRIM_400000_NS6detail17trampoline_kernelINS0_14default_configENS1_27scan_by_key_config_selectorIj11FixedVectorIiLj8EEEEZZNS1_16scan_by_key_implILNS1_25lookback_scan_determinismE0ELb1ES3_N6thrust23THRUST_200600_302600_NS6detail15normal_iteratorINSB_10device_ptrIjEEEENSD_INSE_IS6_EEEESI_S6_NSB_4plusIvEENSB_8equal_toIvEES6_EE10hipError_tPvRmT2_T3_T4_T5_mT6_T7_P12ihipStream_tbENKUlT_T0_E_clISt17integral_constantIbLb1EES13_EEDaSY_SZ_EUlSY_E_NS1_11comp_targetILNS1_3genE3ELNS1_11target_archE908ELNS1_3gpuE7ELNS1_3repE0EEENS1_30default_config_static_selectorELNS0_4arch9wavefront6targetE0EEEvT1_.num_agpr, 0
	.set _ZN7rocprim17ROCPRIM_400000_NS6detail17trampoline_kernelINS0_14default_configENS1_27scan_by_key_config_selectorIj11FixedVectorIiLj8EEEEZZNS1_16scan_by_key_implILNS1_25lookback_scan_determinismE0ELb1ES3_N6thrust23THRUST_200600_302600_NS6detail15normal_iteratorINSB_10device_ptrIjEEEENSD_INSE_IS6_EEEESI_S6_NSB_4plusIvEENSB_8equal_toIvEES6_EE10hipError_tPvRmT2_T3_T4_T5_mT6_T7_P12ihipStream_tbENKUlT_T0_E_clISt17integral_constantIbLb1EES13_EEDaSY_SZ_EUlSY_E_NS1_11comp_targetILNS1_3genE3ELNS1_11target_archE908ELNS1_3gpuE7ELNS1_3repE0EEENS1_30default_config_static_selectorELNS0_4arch9wavefront6targetE0EEEvT1_.numbered_sgpr, 0
	.set _ZN7rocprim17ROCPRIM_400000_NS6detail17trampoline_kernelINS0_14default_configENS1_27scan_by_key_config_selectorIj11FixedVectorIiLj8EEEEZZNS1_16scan_by_key_implILNS1_25lookback_scan_determinismE0ELb1ES3_N6thrust23THRUST_200600_302600_NS6detail15normal_iteratorINSB_10device_ptrIjEEEENSD_INSE_IS6_EEEESI_S6_NSB_4plusIvEENSB_8equal_toIvEES6_EE10hipError_tPvRmT2_T3_T4_T5_mT6_T7_P12ihipStream_tbENKUlT_T0_E_clISt17integral_constantIbLb1EES13_EEDaSY_SZ_EUlSY_E_NS1_11comp_targetILNS1_3genE3ELNS1_11target_archE908ELNS1_3gpuE7ELNS1_3repE0EEENS1_30default_config_static_selectorELNS0_4arch9wavefront6targetE0EEEvT1_.num_named_barrier, 0
	.set _ZN7rocprim17ROCPRIM_400000_NS6detail17trampoline_kernelINS0_14default_configENS1_27scan_by_key_config_selectorIj11FixedVectorIiLj8EEEEZZNS1_16scan_by_key_implILNS1_25lookback_scan_determinismE0ELb1ES3_N6thrust23THRUST_200600_302600_NS6detail15normal_iteratorINSB_10device_ptrIjEEEENSD_INSE_IS6_EEEESI_S6_NSB_4plusIvEENSB_8equal_toIvEES6_EE10hipError_tPvRmT2_T3_T4_T5_mT6_T7_P12ihipStream_tbENKUlT_T0_E_clISt17integral_constantIbLb1EES13_EEDaSY_SZ_EUlSY_E_NS1_11comp_targetILNS1_3genE3ELNS1_11target_archE908ELNS1_3gpuE7ELNS1_3repE0EEENS1_30default_config_static_selectorELNS0_4arch9wavefront6targetE0EEEvT1_.private_seg_size, 0
	.set _ZN7rocprim17ROCPRIM_400000_NS6detail17trampoline_kernelINS0_14default_configENS1_27scan_by_key_config_selectorIj11FixedVectorIiLj8EEEEZZNS1_16scan_by_key_implILNS1_25lookback_scan_determinismE0ELb1ES3_N6thrust23THRUST_200600_302600_NS6detail15normal_iteratorINSB_10device_ptrIjEEEENSD_INSE_IS6_EEEESI_S6_NSB_4plusIvEENSB_8equal_toIvEES6_EE10hipError_tPvRmT2_T3_T4_T5_mT6_T7_P12ihipStream_tbENKUlT_T0_E_clISt17integral_constantIbLb1EES13_EEDaSY_SZ_EUlSY_E_NS1_11comp_targetILNS1_3genE3ELNS1_11target_archE908ELNS1_3gpuE7ELNS1_3repE0EEENS1_30default_config_static_selectorELNS0_4arch9wavefront6targetE0EEEvT1_.uses_vcc, 0
	.set _ZN7rocprim17ROCPRIM_400000_NS6detail17trampoline_kernelINS0_14default_configENS1_27scan_by_key_config_selectorIj11FixedVectorIiLj8EEEEZZNS1_16scan_by_key_implILNS1_25lookback_scan_determinismE0ELb1ES3_N6thrust23THRUST_200600_302600_NS6detail15normal_iteratorINSB_10device_ptrIjEEEENSD_INSE_IS6_EEEESI_S6_NSB_4plusIvEENSB_8equal_toIvEES6_EE10hipError_tPvRmT2_T3_T4_T5_mT6_T7_P12ihipStream_tbENKUlT_T0_E_clISt17integral_constantIbLb1EES13_EEDaSY_SZ_EUlSY_E_NS1_11comp_targetILNS1_3genE3ELNS1_11target_archE908ELNS1_3gpuE7ELNS1_3repE0EEENS1_30default_config_static_selectorELNS0_4arch9wavefront6targetE0EEEvT1_.uses_flat_scratch, 0
	.set _ZN7rocprim17ROCPRIM_400000_NS6detail17trampoline_kernelINS0_14default_configENS1_27scan_by_key_config_selectorIj11FixedVectorIiLj8EEEEZZNS1_16scan_by_key_implILNS1_25lookback_scan_determinismE0ELb1ES3_N6thrust23THRUST_200600_302600_NS6detail15normal_iteratorINSB_10device_ptrIjEEEENSD_INSE_IS6_EEEESI_S6_NSB_4plusIvEENSB_8equal_toIvEES6_EE10hipError_tPvRmT2_T3_T4_T5_mT6_T7_P12ihipStream_tbENKUlT_T0_E_clISt17integral_constantIbLb1EES13_EEDaSY_SZ_EUlSY_E_NS1_11comp_targetILNS1_3genE3ELNS1_11target_archE908ELNS1_3gpuE7ELNS1_3repE0EEENS1_30default_config_static_selectorELNS0_4arch9wavefront6targetE0EEEvT1_.has_dyn_sized_stack, 0
	.set _ZN7rocprim17ROCPRIM_400000_NS6detail17trampoline_kernelINS0_14default_configENS1_27scan_by_key_config_selectorIj11FixedVectorIiLj8EEEEZZNS1_16scan_by_key_implILNS1_25lookback_scan_determinismE0ELb1ES3_N6thrust23THRUST_200600_302600_NS6detail15normal_iteratorINSB_10device_ptrIjEEEENSD_INSE_IS6_EEEESI_S6_NSB_4plusIvEENSB_8equal_toIvEES6_EE10hipError_tPvRmT2_T3_T4_T5_mT6_T7_P12ihipStream_tbENKUlT_T0_E_clISt17integral_constantIbLb1EES13_EEDaSY_SZ_EUlSY_E_NS1_11comp_targetILNS1_3genE3ELNS1_11target_archE908ELNS1_3gpuE7ELNS1_3repE0EEENS1_30default_config_static_selectorELNS0_4arch9wavefront6targetE0EEEvT1_.has_recursion, 0
	.set _ZN7rocprim17ROCPRIM_400000_NS6detail17trampoline_kernelINS0_14default_configENS1_27scan_by_key_config_selectorIj11FixedVectorIiLj8EEEEZZNS1_16scan_by_key_implILNS1_25lookback_scan_determinismE0ELb1ES3_N6thrust23THRUST_200600_302600_NS6detail15normal_iteratorINSB_10device_ptrIjEEEENSD_INSE_IS6_EEEESI_S6_NSB_4plusIvEENSB_8equal_toIvEES6_EE10hipError_tPvRmT2_T3_T4_T5_mT6_T7_P12ihipStream_tbENKUlT_T0_E_clISt17integral_constantIbLb1EES13_EEDaSY_SZ_EUlSY_E_NS1_11comp_targetILNS1_3genE3ELNS1_11target_archE908ELNS1_3gpuE7ELNS1_3repE0EEENS1_30default_config_static_selectorELNS0_4arch9wavefront6targetE0EEEvT1_.has_indirect_call, 0
	.section	.AMDGPU.csdata,"",@progbits
; Kernel info:
; codeLenInByte = 0
; TotalNumSgprs: 0
; NumVgprs: 0
; ScratchSize: 0
; MemoryBound: 0
; FloatMode: 240
; IeeeMode: 1
; LDSByteSize: 0 bytes/workgroup (compile time only)
; SGPRBlocks: 0
; VGPRBlocks: 0
; NumSGPRsForWavesPerEU: 1
; NumVGPRsForWavesPerEU: 1
; NamedBarCnt: 0
; Occupancy: 16
; WaveLimiterHint : 0
; COMPUTE_PGM_RSRC2:SCRATCH_EN: 0
; COMPUTE_PGM_RSRC2:USER_SGPR: 2
; COMPUTE_PGM_RSRC2:TRAP_HANDLER: 0
; COMPUTE_PGM_RSRC2:TGID_X_EN: 1
; COMPUTE_PGM_RSRC2:TGID_Y_EN: 0
; COMPUTE_PGM_RSRC2:TGID_Z_EN: 0
; COMPUTE_PGM_RSRC2:TIDIG_COMP_CNT: 0
	.section	.text._ZN7rocprim17ROCPRIM_400000_NS6detail17trampoline_kernelINS0_14default_configENS1_27scan_by_key_config_selectorIj11FixedVectorIiLj8EEEEZZNS1_16scan_by_key_implILNS1_25lookback_scan_determinismE0ELb1ES3_N6thrust23THRUST_200600_302600_NS6detail15normal_iteratorINSB_10device_ptrIjEEEENSD_INSE_IS6_EEEESI_S6_NSB_4plusIvEENSB_8equal_toIvEES6_EE10hipError_tPvRmT2_T3_T4_T5_mT6_T7_P12ihipStream_tbENKUlT_T0_E_clISt17integral_constantIbLb1EES13_EEDaSY_SZ_EUlSY_E_NS1_11comp_targetILNS1_3genE2ELNS1_11target_archE906ELNS1_3gpuE6ELNS1_3repE0EEENS1_30default_config_static_selectorELNS0_4arch9wavefront6targetE0EEEvT1_,"axG",@progbits,_ZN7rocprim17ROCPRIM_400000_NS6detail17trampoline_kernelINS0_14default_configENS1_27scan_by_key_config_selectorIj11FixedVectorIiLj8EEEEZZNS1_16scan_by_key_implILNS1_25lookback_scan_determinismE0ELb1ES3_N6thrust23THRUST_200600_302600_NS6detail15normal_iteratorINSB_10device_ptrIjEEEENSD_INSE_IS6_EEEESI_S6_NSB_4plusIvEENSB_8equal_toIvEES6_EE10hipError_tPvRmT2_T3_T4_T5_mT6_T7_P12ihipStream_tbENKUlT_T0_E_clISt17integral_constantIbLb1EES13_EEDaSY_SZ_EUlSY_E_NS1_11comp_targetILNS1_3genE2ELNS1_11target_archE906ELNS1_3gpuE6ELNS1_3repE0EEENS1_30default_config_static_selectorELNS0_4arch9wavefront6targetE0EEEvT1_,comdat
	.protected	_ZN7rocprim17ROCPRIM_400000_NS6detail17trampoline_kernelINS0_14default_configENS1_27scan_by_key_config_selectorIj11FixedVectorIiLj8EEEEZZNS1_16scan_by_key_implILNS1_25lookback_scan_determinismE0ELb1ES3_N6thrust23THRUST_200600_302600_NS6detail15normal_iteratorINSB_10device_ptrIjEEEENSD_INSE_IS6_EEEESI_S6_NSB_4plusIvEENSB_8equal_toIvEES6_EE10hipError_tPvRmT2_T3_T4_T5_mT6_T7_P12ihipStream_tbENKUlT_T0_E_clISt17integral_constantIbLb1EES13_EEDaSY_SZ_EUlSY_E_NS1_11comp_targetILNS1_3genE2ELNS1_11target_archE906ELNS1_3gpuE6ELNS1_3repE0EEENS1_30default_config_static_selectorELNS0_4arch9wavefront6targetE0EEEvT1_ ; -- Begin function _ZN7rocprim17ROCPRIM_400000_NS6detail17trampoline_kernelINS0_14default_configENS1_27scan_by_key_config_selectorIj11FixedVectorIiLj8EEEEZZNS1_16scan_by_key_implILNS1_25lookback_scan_determinismE0ELb1ES3_N6thrust23THRUST_200600_302600_NS6detail15normal_iteratorINSB_10device_ptrIjEEEENSD_INSE_IS6_EEEESI_S6_NSB_4plusIvEENSB_8equal_toIvEES6_EE10hipError_tPvRmT2_T3_T4_T5_mT6_T7_P12ihipStream_tbENKUlT_T0_E_clISt17integral_constantIbLb1EES13_EEDaSY_SZ_EUlSY_E_NS1_11comp_targetILNS1_3genE2ELNS1_11target_archE906ELNS1_3gpuE6ELNS1_3repE0EEENS1_30default_config_static_selectorELNS0_4arch9wavefront6targetE0EEEvT1_
	.globl	_ZN7rocprim17ROCPRIM_400000_NS6detail17trampoline_kernelINS0_14default_configENS1_27scan_by_key_config_selectorIj11FixedVectorIiLj8EEEEZZNS1_16scan_by_key_implILNS1_25lookback_scan_determinismE0ELb1ES3_N6thrust23THRUST_200600_302600_NS6detail15normal_iteratorINSB_10device_ptrIjEEEENSD_INSE_IS6_EEEESI_S6_NSB_4plusIvEENSB_8equal_toIvEES6_EE10hipError_tPvRmT2_T3_T4_T5_mT6_T7_P12ihipStream_tbENKUlT_T0_E_clISt17integral_constantIbLb1EES13_EEDaSY_SZ_EUlSY_E_NS1_11comp_targetILNS1_3genE2ELNS1_11target_archE906ELNS1_3gpuE6ELNS1_3repE0EEENS1_30default_config_static_selectorELNS0_4arch9wavefront6targetE0EEEvT1_
	.p2align	8
	.type	_ZN7rocprim17ROCPRIM_400000_NS6detail17trampoline_kernelINS0_14default_configENS1_27scan_by_key_config_selectorIj11FixedVectorIiLj8EEEEZZNS1_16scan_by_key_implILNS1_25lookback_scan_determinismE0ELb1ES3_N6thrust23THRUST_200600_302600_NS6detail15normal_iteratorINSB_10device_ptrIjEEEENSD_INSE_IS6_EEEESI_S6_NSB_4plusIvEENSB_8equal_toIvEES6_EE10hipError_tPvRmT2_T3_T4_T5_mT6_T7_P12ihipStream_tbENKUlT_T0_E_clISt17integral_constantIbLb1EES13_EEDaSY_SZ_EUlSY_E_NS1_11comp_targetILNS1_3genE2ELNS1_11target_archE906ELNS1_3gpuE6ELNS1_3repE0EEENS1_30default_config_static_selectorELNS0_4arch9wavefront6targetE0EEEvT1_,@function
_ZN7rocprim17ROCPRIM_400000_NS6detail17trampoline_kernelINS0_14default_configENS1_27scan_by_key_config_selectorIj11FixedVectorIiLj8EEEEZZNS1_16scan_by_key_implILNS1_25lookback_scan_determinismE0ELb1ES3_N6thrust23THRUST_200600_302600_NS6detail15normal_iteratorINSB_10device_ptrIjEEEENSD_INSE_IS6_EEEESI_S6_NSB_4plusIvEENSB_8equal_toIvEES6_EE10hipError_tPvRmT2_T3_T4_T5_mT6_T7_P12ihipStream_tbENKUlT_T0_E_clISt17integral_constantIbLb1EES13_EEDaSY_SZ_EUlSY_E_NS1_11comp_targetILNS1_3genE2ELNS1_11target_archE906ELNS1_3gpuE6ELNS1_3repE0EEENS1_30default_config_static_selectorELNS0_4arch9wavefront6targetE0EEEvT1_: ; @_ZN7rocprim17ROCPRIM_400000_NS6detail17trampoline_kernelINS0_14default_configENS1_27scan_by_key_config_selectorIj11FixedVectorIiLj8EEEEZZNS1_16scan_by_key_implILNS1_25lookback_scan_determinismE0ELb1ES3_N6thrust23THRUST_200600_302600_NS6detail15normal_iteratorINSB_10device_ptrIjEEEENSD_INSE_IS6_EEEESI_S6_NSB_4plusIvEENSB_8equal_toIvEES6_EE10hipError_tPvRmT2_T3_T4_T5_mT6_T7_P12ihipStream_tbENKUlT_T0_E_clISt17integral_constantIbLb1EES13_EEDaSY_SZ_EUlSY_E_NS1_11comp_targetILNS1_3genE2ELNS1_11target_archE906ELNS1_3gpuE6ELNS1_3repE0EEENS1_30default_config_static_selectorELNS0_4arch9wavefront6targetE0EEEvT1_
; %bb.0:
	.section	.rodata,"a",@progbits
	.p2align	6, 0x0
	.amdhsa_kernel _ZN7rocprim17ROCPRIM_400000_NS6detail17trampoline_kernelINS0_14default_configENS1_27scan_by_key_config_selectorIj11FixedVectorIiLj8EEEEZZNS1_16scan_by_key_implILNS1_25lookback_scan_determinismE0ELb1ES3_N6thrust23THRUST_200600_302600_NS6detail15normal_iteratorINSB_10device_ptrIjEEEENSD_INSE_IS6_EEEESI_S6_NSB_4plusIvEENSB_8equal_toIvEES6_EE10hipError_tPvRmT2_T3_T4_T5_mT6_T7_P12ihipStream_tbENKUlT_T0_E_clISt17integral_constantIbLb1EES13_EEDaSY_SZ_EUlSY_E_NS1_11comp_targetILNS1_3genE2ELNS1_11target_archE906ELNS1_3gpuE6ELNS1_3repE0EEENS1_30default_config_static_selectorELNS0_4arch9wavefront6targetE0EEEvT1_
		.amdhsa_group_segment_fixed_size 0
		.amdhsa_private_segment_fixed_size 0
		.amdhsa_kernarg_size 160
		.amdhsa_user_sgpr_count 2
		.amdhsa_user_sgpr_dispatch_ptr 0
		.amdhsa_user_sgpr_queue_ptr 0
		.amdhsa_user_sgpr_kernarg_segment_ptr 1
		.amdhsa_user_sgpr_dispatch_id 0
		.amdhsa_user_sgpr_kernarg_preload_length 0
		.amdhsa_user_sgpr_kernarg_preload_offset 0
		.amdhsa_user_sgpr_private_segment_size 0
		.amdhsa_wavefront_size32 1
		.amdhsa_uses_dynamic_stack 0
		.amdhsa_enable_private_segment 0
		.amdhsa_system_sgpr_workgroup_id_x 1
		.amdhsa_system_sgpr_workgroup_id_y 0
		.amdhsa_system_sgpr_workgroup_id_z 0
		.amdhsa_system_sgpr_workgroup_info 0
		.amdhsa_system_vgpr_workitem_id 0
		.amdhsa_next_free_vgpr 1
		.amdhsa_next_free_sgpr 1
		.amdhsa_named_barrier_count 0
		.amdhsa_reserve_vcc 0
		.amdhsa_float_round_mode_32 0
		.amdhsa_float_round_mode_16_64 0
		.amdhsa_float_denorm_mode_32 3
		.amdhsa_float_denorm_mode_16_64 3
		.amdhsa_fp16_overflow 0
		.amdhsa_memory_ordered 1
		.amdhsa_forward_progress 1
		.amdhsa_inst_pref_size 0
		.amdhsa_round_robin_scheduling 0
		.amdhsa_exception_fp_ieee_invalid_op 0
		.amdhsa_exception_fp_denorm_src 0
		.amdhsa_exception_fp_ieee_div_zero 0
		.amdhsa_exception_fp_ieee_overflow 0
		.amdhsa_exception_fp_ieee_underflow 0
		.amdhsa_exception_fp_ieee_inexact 0
		.amdhsa_exception_int_div_zero 0
	.end_amdhsa_kernel
	.section	.text._ZN7rocprim17ROCPRIM_400000_NS6detail17trampoline_kernelINS0_14default_configENS1_27scan_by_key_config_selectorIj11FixedVectorIiLj8EEEEZZNS1_16scan_by_key_implILNS1_25lookback_scan_determinismE0ELb1ES3_N6thrust23THRUST_200600_302600_NS6detail15normal_iteratorINSB_10device_ptrIjEEEENSD_INSE_IS6_EEEESI_S6_NSB_4plusIvEENSB_8equal_toIvEES6_EE10hipError_tPvRmT2_T3_T4_T5_mT6_T7_P12ihipStream_tbENKUlT_T0_E_clISt17integral_constantIbLb1EES13_EEDaSY_SZ_EUlSY_E_NS1_11comp_targetILNS1_3genE2ELNS1_11target_archE906ELNS1_3gpuE6ELNS1_3repE0EEENS1_30default_config_static_selectorELNS0_4arch9wavefront6targetE0EEEvT1_,"axG",@progbits,_ZN7rocprim17ROCPRIM_400000_NS6detail17trampoline_kernelINS0_14default_configENS1_27scan_by_key_config_selectorIj11FixedVectorIiLj8EEEEZZNS1_16scan_by_key_implILNS1_25lookback_scan_determinismE0ELb1ES3_N6thrust23THRUST_200600_302600_NS6detail15normal_iteratorINSB_10device_ptrIjEEEENSD_INSE_IS6_EEEESI_S6_NSB_4plusIvEENSB_8equal_toIvEES6_EE10hipError_tPvRmT2_T3_T4_T5_mT6_T7_P12ihipStream_tbENKUlT_T0_E_clISt17integral_constantIbLb1EES13_EEDaSY_SZ_EUlSY_E_NS1_11comp_targetILNS1_3genE2ELNS1_11target_archE906ELNS1_3gpuE6ELNS1_3repE0EEENS1_30default_config_static_selectorELNS0_4arch9wavefront6targetE0EEEvT1_,comdat
.Lfunc_end2171:
	.size	_ZN7rocprim17ROCPRIM_400000_NS6detail17trampoline_kernelINS0_14default_configENS1_27scan_by_key_config_selectorIj11FixedVectorIiLj8EEEEZZNS1_16scan_by_key_implILNS1_25lookback_scan_determinismE0ELb1ES3_N6thrust23THRUST_200600_302600_NS6detail15normal_iteratorINSB_10device_ptrIjEEEENSD_INSE_IS6_EEEESI_S6_NSB_4plusIvEENSB_8equal_toIvEES6_EE10hipError_tPvRmT2_T3_T4_T5_mT6_T7_P12ihipStream_tbENKUlT_T0_E_clISt17integral_constantIbLb1EES13_EEDaSY_SZ_EUlSY_E_NS1_11comp_targetILNS1_3genE2ELNS1_11target_archE906ELNS1_3gpuE6ELNS1_3repE0EEENS1_30default_config_static_selectorELNS0_4arch9wavefront6targetE0EEEvT1_, .Lfunc_end2171-_ZN7rocprim17ROCPRIM_400000_NS6detail17trampoline_kernelINS0_14default_configENS1_27scan_by_key_config_selectorIj11FixedVectorIiLj8EEEEZZNS1_16scan_by_key_implILNS1_25lookback_scan_determinismE0ELb1ES3_N6thrust23THRUST_200600_302600_NS6detail15normal_iteratorINSB_10device_ptrIjEEEENSD_INSE_IS6_EEEESI_S6_NSB_4plusIvEENSB_8equal_toIvEES6_EE10hipError_tPvRmT2_T3_T4_T5_mT6_T7_P12ihipStream_tbENKUlT_T0_E_clISt17integral_constantIbLb1EES13_EEDaSY_SZ_EUlSY_E_NS1_11comp_targetILNS1_3genE2ELNS1_11target_archE906ELNS1_3gpuE6ELNS1_3repE0EEENS1_30default_config_static_selectorELNS0_4arch9wavefront6targetE0EEEvT1_
                                        ; -- End function
	.set _ZN7rocprim17ROCPRIM_400000_NS6detail17trampoline_kernelINS0_14default_configENS1_27scan_by_key_config_selectorIj11FixedVectorIiLj8EEEEZZNS1_16scan_by_key_implILNS1_25lookback_scan_determinismE0ELb1ES3_N6thrust23THRUST_200600_302600_NS6detail15normal_iteratorINSB_10device_ptrIjEEEENSD_INSE_IS6_EEEESI_S6_NSB_4plusIvEENSB_8equal_toIvEES6_EE10hipError_tPvRmT2_T3_T4_T5_mT6_T7_P12ihipStream_tbENKUlT_T0_E_clISt17integral_constantIbLb1EES13_EEDaSY_SZ_EUlSY_E_NS1_11comp_targetILNS1_3genE2ELNS1_11target_archE906ELNS1_3gpuE6ELNS1_3repE0EEENS1_30default_config_static_selectorELNS0_4arch9wavefront6targetE0EEEvT1_.num_vgpr, 0
	.set _ZN7rocprim17ROCPRIM_400000_NS6detail17trampoline_kernelINS0_14default_configENS1_27scan_by_key_config_selectorIj11FixedVectorIiLj8EEEEZZNS1_16scan_by_key_implILNS1_25lookback_scan_determinismE0ELb1ES3_N6thrust23THRUST_200600_302600_NS6detail15normal_iteratorINSB_10device_ptrIjEEEENSD_INSE_IS6_EEEESI_S6_NSB_4plusIvEENSB_8equal_toIvEES6_EE10hipError_tPvRmT2_T3_T4_T5_mT6_T7_P12ihipStream_tbENKUlT_T0_E_clISt17integral_constantIbLb1EES13_EEDaSY_SZ_EUlSY_E_NS1_11comp_targetILNS1_3genE2ELNS1_11target_archE906ELNS1_3gpuE6ELNS1_3repE0EEENS1_30default_config_static_selectorELNS0_4arch9wavefront6targetE0EEEvT1_.num_agpr, 0
	.set _ZN7rocprim17ROCPRIM_400000_NS6detail17trampoline_kernelINS0_14default_configENS1_27scan_by_key_config_selectorIj11FixedVectorIiLj8EEEEZZNS1_16scan_by_key_implILNS1_25lookback_scan_determinismE0ELb1ES3_N6thrust23THRUST_200600_302600_NS6detail15normal_iteratorINSB_10device_ptrIjEEEENSD_INSE_IS6_EEEESI_S6_NSB_4plusIvEENSB_8equal_toIvEES6_EE10hipError_tPvRmT2_T3_T4_T5_mT6_T7_P12ihipStream_tbENKUlT_T0_E_clISt17integral_constantIbLb1EES13_EEDaSY_SZ_EUlSY_E_NS1_11comp_targetILNS1_3genE2ELNS1_11target_archE906ELNS1_3gpuE6ELNS1_3repE0EEENS1_30default_config_static_selectorELNS0_4arch9wavefront6targetE0EEEvT1_.numbered_sgpr, 0
	.set _ZN7rocprim17ROCPRIM_400000_NS6detail17trampoline_kernelINS0_14default_configENS1_27scan_by_key_config_selectorIj11FixedVectorIiLj8EEEEZZNS1_16scan_by_key_implILNS1_25lookback_scan_determinismE0ELb1ES3_N6thrust23THRUST_200600_302600_NS6detail15normal_iteratorINSB_10device_ptrIjEEEENSD_INSE_IS6_EEEESI_S6_NSB_4plusIvEENSB_8equal_toIvEES6_EE10hipError_tPvRmT2_T3_T4_T5_mT6_T7_P12ihipStream_tbENKUlT_T0_E_clISt17integral_constantIbLb1EES13_EEDaSY_SZ_EUlSY_E_NS1_11comp_targetILNS1_3genE2ELNS1_11target_archE906ELNS1_3gpuE6ELNS1_3repE0EEENS1_30default_config_static_selectorELNS0_4arch9wavefront6targetE0EEEvT1_.num_named_barrier, 0
	.set _ZN7rocprim17ROCPRIM_400000_NS6detail17trampoline_kernelINS0_14default_configENS1_27scan_by_key_config_selectorIj11FixedVectorIiLj8EEEEZZNS1_16scan_by_key_implILNS1_25lookback_scan_determinismE0ELb1ES3_N6thrust23THRUST_200600_302600_NS6detail15normal_iteratorINSB_10device_ptrIjEEEENSD_INSE_IS6_EEEESI_S6_NSB_4plusIvEENSB_8equal_toIvEES6_EE10hipError_tPvRmT2_T3_T4_T5_mT6_T7_P12ihipStream_tbENKUlT_T0_E_clISt17integral_constantIbLb1EES13_EEDaSY_SZ_EUlSY_E_NS1_11comp_targetILNS1_3genE2ELNS1_11target_archE906ELNS1_3gpuE6ELNS1_3repE0EEENS1_30default_config_static_selectorELNS0_4arch9wavefront6targetE0EEEvT1_.private_seg_size, 0
	.set _ZN7rocprim17ROCPRIM_400000_NS6detail17trampoline_kernelINS0_14default_configENS1_27scan_by_key_config_selectorIj11FixedVectorIiLj8EEEEZZNS1_16scan_by_key_implILNS1_25lookback_scan_determinismE0ELb1ES3_N6thrust23THRUST_200600_302600_NS6detail15normal_iteratorINSB_10device_ptrIjEEEENSD_INSE_IS6_EEEESI_S6_NSB_4plusIvEENSB_8equal_toIvEES6_EE10hipError_tPvRmT2_T3_T4_T5_mT6_T7_P12ihipStream_tbENKUlT_T0_E_clISt17integral_constantIbLb1EES13_EEDaSY_SZ_EUlSY_E_NS1_11comp_targetILNS1_3genE2ELNS1_11target_archE906ELNS1_3gpuE6ELNS1_3repE0EEENS1_30default_config_static_selectorELNS0_4arch9wavefront6targetE0EEEvT1_.uses_vcc, 0
	.set _ZN7rocprim17ROCPRIM_400000_NS6detail17trampoline_kernelINS0_14default_configENS1_27scan_by_key_config_selectorIj11FixedVectorIiLj8EEEEZZNS1_16scan_by_key_implILNS1_25lookback_scan_determinismE0ELb1ES3_N6thrust23THRUST_200600_302600_NS6detail15normal_iteratorINSB_10device_ptrIjEEEENSD_INSE_IS6_EEEESI_S6_NSB_4plusIvEENSB_8equal_toIvEES6_EE10hipError_tPvRmT2_T3_T4_T5_mT6_T7_P12ihipStream_tbENKUlT_T0_E_clISt17integral_constantIbLb1EES13_EEDaSY_SZ_EUlSY_E_NS1_11comp_targetILNS1_3genE2ELNS1_11target_archE906ELNS1_3gpuE6ELNS1_3repE0EEENS1_30default_config_static_selectorELNS0_4arch9wavefront6targetE0EEEvT1_.uses_flat_scratch, 0
	.set _ZN7rocprim17ROCPRIM_400000_NS6detail17trampoline_kernelINS0_14default_configENS1_27scan_by_key_config_selectorIj11FixedVectorIiLj8EEEEZZNS1_16scan_by_key_implILNS1_25lookback_scan_determinismE0ELb1ES3_N6thrust23THRUST_200600_302600_NS6detail15normal_iteratorINSB_10device_ptrIjEEEENSD_INSE_IS6_EEEESI_S6_NSB_4plusIvEENSB_8equal_toIvEES6_EE10hipError_tPvRmT2_T3_T4_T5_mT6_T7_P12ihipStream_tbENKUlT_T0_E_clISt17integral_constantIbLb1EES13_EEDaSY_SZ_EUlSY_E_NS1_11comp_targetILNS1_3genE2ELNS1_11target_archE906ELNS1_3gpuE6ELNS1_3repE0EEENS1_30default_config_static_selectorELNS0_4arch9wavefront6targetE0EEEvT1_.has_dyn_sized_stack, 0
	.set _ZN7rocprim17ROCPRIM_400000_NS6detail17trampoline_kernelINS0_14default_configENS1_27scan_by_key_config_selectorIj11FixedVectorIiLj8EEEEZZNS1_16scan_by_key_implILNS1_25lookback_scan_determinismE0ELb1ES3_N6thrust23THRUST_200600_302600_NS6detail15normal_iteratorINSB_10device_ptrIjEEEENSD_INSE_IS6_EEEESI_S6_NSB_4plusIvEENSB_8equal_toIvEES6_EE10hipError_tPvRmT2_T3_T4_T5_mT6_T7_P12ihipStream_tbENKUlT_T0_E_clISt17integral_constantIbLb1EES13_EEDaSY_SZ_EUlSY_E_NS1_11comp_targetILNS1_3genE2ELNS1_11target_archE906ELNS1_3gpuE6ELNS1_3repE0EEENS1_30default_config_static_selectorELNS0_4arch9wavefront6targetE0EEEvT1_.has_recursion, 0
	.set _ZN7rocprim17ROCPRIM_400000_NS6detail17trampoline_kernelINS0_14default_configENS1_27scan_by_key_config_selectorIj11FixedVectorIiLj8EEEEZZNS1_16scan_by_key_implILNS1_25lookback_scan_determinismE0ELb1ES3_N6thrust23THRUST_200600_302600_NS6detail15normal_iteratorINSB_10device_ptrIjEEEENSD_INSE_IS6_EEEESI_S6_NSB_4plusIvEENSB_8equal_toIvEES6_EE10hipError_tPvRmT2_T3_T4_T5_mT6_T7_P12ihipStream_tbENKUlT_T0_E_clISt17integral_constantIbLb1EES13_EEDaSY_SZ_EUlSY_E_NS1_11comp_targetILNS1_3genE2ELNS1_11target_archE906ELNS1_3gpuE6ELNS1_3repE0EEENS1_30default_config_static_selectorELNS0_4arch9wavefront6targetE0EEEvT1_.has_indirect_call, 0
	.section	.AMDGPU.csdata,"",@progbits
; Kernel info:
; codeLenInByte = 0
; TotalNumSgprs: 0
; NumVgprs: 0
; ScratchSize: 0
; MemoryBound: 0
; FloatMode: 240
; IeeeMode: 1
; LDSByteSize: 0 bytes/workgroup (compile time only)
; SGPRBlocks: 0
; VGPRBlocks: 0
; NumSGPRsForWavesPerEU: 1
; NumVGPRsForWavesPerEU: 1
; NamedBarCnt: 0
; Occupancy: 16
; WaveLimiterHint : 0
; COMPUTE_PGM_RSRC2:SCRATCH_EN: 0
; COMPUTE_PGM_RSRC2:USER_SGPR: 2
; COMPUTE_PGM_RSRC2:TRAP_HANDLER: 0
; COMPUTE_PGM_RSRC2:TGID_X_EN: 1
; COMPUTE_PGM_RSRC2:TGID_Y_EN: 0
; COMPUTE_PGM_RSRC2:TGID_Z_EN: 0
; COMPUTE_PGM_RSRC2:TIDIG_COMP_CNT: 0
	.section	.text._ZN7rocprim17ROCPRIM_400000_NS6detail17trampoline_kernelINS0_14default_configENS1_27scan_by_key_config_selectorIj11FixedVectorIiLj8EEEEZZNS1_16scan_by_key_implILNS1_25lookback_scan_determinismE0ELb1ES3_N6thrust23THRUST_200600_302600_NS6detail15normal_iteratorINSB_10device_ptrIjEEEENSD_INSE_IS6_EEEESI_S6_NSB_4plusIvEENSB_8equal_toIvEES6_EE10hipError_tPvRmT2_T3_T4_T5_mT6_T7_P12ihipStream_tbENKUlT_T0_E_clISt17integral_constantIbLb1EES13_EEDaSY_SZ_EUlSY_E_NS1_11comp_targetILNS1_3genE10ELNS1_11target_archE1200ELNS1_3gpuE4ELNS1_3repE0EEENS1_30default_config_static_selectorELNS0_4arch9wavefront6targetE0EEEvT1_,"axG",@progbits,_ZN7rocprim17ROCPRIM_400000_NS6detail17trampoline_kernelINS0_14default_configENS1_27scan_by_key_config_selectorIj11FixedVectorIiLj8EEEEZZNS1_16scan_by_key_implILNS1_25lookback_scan_determinismE0ELb1ES3_N6thrust23THRUST_200600_302600_NS6detail15normal_iteratorINSB_10device_ptrIjEEEENSD_INSE_IS6_EEEESI_S6_NSB_4plusIvEENSB_8equal_toIvEES6_EE10hipError_tPvRmT2_T3_T4_T5_mT6_T7_P12ihipStream_tbENKUlT_T0_E_clISt17integral_constantIbLb1EES13_EEDaSY_SZ_EUlSY_E_NS1_11comp_targetILNS1_3genE10ELNS1_11target_archE1200ELNS1_3gpuE4ELNS1_3repE0EEENS1_30default_config_static_selectorELNS0_4arch9wavefront6targetE0EEEvT1_,comdat
	.protected	_ZN7rocprim17ROCPRIM_400000_NS6detail17trampoline_kernelINS0_14default_configENS1_27scan_by_key_config_selectorIj11FixedVectorIiLj8EEEEZZNS1_16scan_by_key_implILNS1_25lookback_scan_determinismE0ELb1ES3_N6thrust23THRUST_200600_302600_NS6detail15normal_iteratorINSB_10device_ptrIjEEEENSD_INSE_IS6_EEEESI_S6_NSB_4plusIvEENSB_8equal_toIvEES6_EE10hipError_tPvRmT2_T3_T4_T5_mT6_T7_P12ihipStream_tbENKUlT_T0_E_clISt17integral_constantIbLb1EES13_EEDaSY_SZ_EUlSY_E_NS1_11comp_targetILNS1_3genE10ELNS1_11target_archE1200ELNS1_3gpuE4ELNS1_3repE0EEENS1_30default_config_static_selectorELNS0_4arch9wavefront6targetE0EEEvT1_ ; -- Begin function _ZN7rocprim17ROCPRIM_400000_NS6detail17trampoline_kernelINS0_14default_configENS1_27scan_by_key_config_selectorIj11FixedVectorIiLj8EEEEZZNS1_16scan_by_key_implILNS1_25lookback_scan_determinismE0ELb1ES3_N6thrust23THRUST_200600_302600_NS6detail15normal_iteratorINSB_10device_ptrIjEEEENSD_INSE_IS6_EEEESI_S6_NSB_4plusIvEENSB_8equal_toIvEES6_EE10hipError_tPvRmT2_T3_T4_T5_mT6_T7_P12ihipStream_tbENKUlT_T0_E_clISt17integral_constantIbLb1EES13_EEDaSY_SZ_EUlSY_E_NS1_11comp_targetILNS1_3genE10ELNS1_11target_archE1200ELNS1_3gpuE4ELNS1_3repE0EEENS1_30default_config_static_selectorELNS0_4arch9wavefront6targetE0EEEvT1_
	.globl	_ZN7rocprim17ROCPRIM_400000_NS6detail17trampoline_kernelINS0_14default_configENS1_27scan_by_key_config_selectorIj11FixedVectorIiLj8EEEEZZNS1_16scan_by_key_implILNS1_25lookback_scan_determinismE0ELb1ES3_N6thrust23THRUST_200600_302600_NS6detail15normal_iteratorINSB_10device_ptrIjEEEENSD_INSE_IS6_EEEESI_S6_NSB_4plusIvEENSB_8equal_toIvEES6_EE10hipError_tPvRmT2_T3_T4_T5_mT6_T7_P12ihipStream_tbENKUlT_T0_E_clISt17integral_constantIbLb1EES13_EEDaSY_SZ_EUlSY_E_NS1_11comp_targetILNS1_3genE10ELNS1_11target_archE1200ELNS1_3gpuE4ELNS1_3repE0EEENS1_30default_config_static_selectorELNS0_4arch9wavefront6targetE0EEEvT1_
	.p2align	8
	.type	_ZN7rocprim17ROCPRIM_400000_NS6detail17trampoline_kernelINS0_14default_configENS1_27scan_by_key_config_selectorIj11FixedVectorIiLj8EEEEZZNS1_16scan_by_key_implILNS1_25lookback_scan_determinismE0ELb1ES3_N6thrust23THRUST_200600_302600_NS6detail15normal_iteratorINSB_10device_ptrIjEEEENSD_INSE_IS6_EEEESI_S6_NSB_4plusIvEENSB_8equal_toIvEES6_EE10hipError_tPvRmT2_T3_T4_T5_mT6_T7_P12ihipStream_tbENKUlT_T0_E_clISt17integral_constantIbLb1EES13_EEDaSY_SZ_EUlSY_E_NS1_11comp_targetILNS1_3genE10ELNS1_11target_archE1200ELNS1_3gpuE4ELNS1_3repE0EEENS1_30default_config_static_selectorELNS0_4arch9wavefront6targetE0EEEvT1_,@function
_ZN7rocprim17ROCPRIM_400000_NS6detail17trampoline_kernelINS0_14default_configENS1_27scan_by_key_config_selectorIj11FixedVectorIiLj8EEEEZZNS1_16scan_by_key_implILNS1_25lookback_scan_determinismE0ELb1ES3_N6thrust23THRUST_200600_302600_NS6detail15normal_iteratorINSB_10device_ptrIjEEEENSD_INSE_IS6_EEEESI_S6_NSB_4plusIvEENSB_8equal_toIvEES6_EE10hipError_tPvRmT2_T3_T4_T5_mT6_T7_P12ihipStream_tbENKUlT_T0_E_clISt17integral_constantIbLb1EES13_EEDaSY_SZ_EUlSY_E_NS1_11comp_targetILNS1_3genE10ELNS1_11target_archE1200ELNS1_3gpuE4ELNS1_3repE0EEENS1_30default_config_static_selectorELNS0_4arch9wavefront6targetE0EEEvT1_: ; @_ZN7rocprim17ROCPRIM_400000_NS6detail17trampoline_kernelINS0_14default_configENS1_27scan_by_key_config_selectorIj11FixedVectorIiLj8EEEEZZNS1_16scan_by_key_implILNS1_25lookback_scan_determinismE0ELb1ES3_N6thrust23THRUST_200600_302600_NS6detail15normal_iteratorINSB_10device_ptrIjEEEENSD_INSE_IS6_EEEESI_S6_NSB_4plusIvEENSB_8equal_toIvEES6_EE10hipError_tPvRmT2_T3_T4_T5_mT6_T7_P12ihipStream_tbENKUlT_T0_E_clISt17integral_constantIbLb1EES13_EEDaSY_SZ_EUlSY_E_NS1_11comp_targetILNS1_3genE10ELNS1_11target_archE1200ELNS1_3gpuE4ELNS1_3repE0EEENS1_30default_config_static_selectorELNS0_4arch9wavefront6targetE0EEEvT1_
; %bb.0:
	.section	.rodata,"a",@progbits
	.p2align	6, 0x0
	.amdhsa_kernel _ZN7rocprim17ROCPRIM_400000_NS6detail17trampoline_kernelINS0_14default_configENS1_27scan_by_key_config_selectorIj11FixedVectorIiLj8EEEEZZNS1_16scan_by_key_implILNS1_25lookback_scan_determinismE0ELb1ES3_N6thrust23THRUST_200600_302600_NS6detail15normal_iteratorINSB_10device_ptrIjEEEENSD_INSE_IS6_EEEESI_S6_NSB_4plusIvEENSB_8equal_toIvEES6_EE10hipError_tPvRmT2_T3_T4_T5_mT6_T7_P12ihipStream_tbENKUlT_T0_E_clISt17integral_constantIbLb1EES13_EEDaSY_SZ_EUlSY_E_NS1_11comp_targetILNS1_3genE10ELNS1_11target_archE1200ELNS1_3gpuE4ELNS1_3repE0EEENS1_30default_config_static_selectorELNS0_4arch9wavefront6targetE0EEEvT1_
		.amdhsa_group_segment_fixed_size 0
		.amdhsa_private_segment_fixed_size 0
		.amdhsa_kernarg_size 160
		.amdhsa_user_sgpr_count 2
		.amdhsa_user_sgpr_dispatch_ptr 0
		.amdhsa_user_sgpr_queue_ptr 0
		.amdhsa_user_sgpr_kernarg_segment_ptr 1
		.amdhsa_user_sgpr_dispatch_id 0
		.amdhsa_user_sgpr_kernarg_preload_length 0
		.amdhsa_user_sgpr_kernarg_preload_offset 0
		.amdhsa_user_sgpr_private_segment_size 0
		.amdhsa_wavefront_size32 1
		.amdhsa_uses_dynamic_stack 0
		.amdhsa_enable_private_segment 0
		.amdhsa_system_sgpr_workgroup_id_x 1
		.amdhsa_system_sgpr_workgroup_id_y 0
		.amdhsa_system_sgpr_workgroup_id_z 0
		.amdhsa_system_sgpr_workgroup_info 0
		.amdhsa_system_vgpr_workitem_id 0
		.amdhsa_next_free_vgpr 1
		.amdhsa_next_free_sgpr 1
		.amdhsa_named_barrier_count 0
		.amdhsa_reserve_vcc 0
		.amdhsa_float_round_mode_32 0
		.amdhsa_float_round_mode_16_64 0
		.amdhsa_float_denorm_mode_32 3
		.amdhsa_float_denorm_mode_16_64 3
		.amdhsa_fp16_overflow 0
		.amdhsa_memory_ordered 1
		.amdhsa_forward_progress 1
		.amdhsa_inst_pref_size 0
		.amdhsa_round_robin_scheduling 0
		.amdhsa_exception_fp_ieee_invalid_op 0
		.amdhsa_exception_fp_denorm_src 0
		.amdhsa_exception_fp_ieee_div_zero 0
		.amdhsa_exception_fp_ieee_overflow 0
		.amdhsa_exception_fp_ieee_underflow 0
		.amdhsa_exception_fp_ieee_inexact 0
		.amdhsa_exception_int_div_zero 0
	.end_amdhsa_kernel
	.section	.text._ZN7rocprim17ROCPRIM_400000_NS6detail17trampoline_kernelINS0_14default_configENS1_27scan_by_key_config_selectorIj11FixedVectorIiLj8EEEEZZNS1_16scan_by_key_implILNS1_25lookback_scan_determinismE0ELb1ES3_N6thrust23THRUST_200600_302600_NS6detail15normal_iteratorINSB_10device_ptrIjEEEENSD_INSE_IS6_EEEESI_S6_NSB_4plusIvEENSB_8equal_toIvEES6_EE10hipError_tPvRmT2_T3_T4_T5_mT6_T7_P12ihipStream_tbENKUlT_T0_E_clISt17integral_constantIbLb1EES13_EEDaSY_SZ_EUlSY_E_NS1_11comp_targetILNS1_3genE10ELNS1_11target_archE1200ELNS1_3gpuE4ELNS1_3repE0EEENS1_30default_config_static_selectorELNS0_4arch9wavefront6targetE0EEEvT1_,"axG",@progbits,_ZN7rocprim17ROCPRIM_400000_NS6detail17trampoline_kernelINS0_14default_configENS1_27scan_by_key_config_selectorIj11FixedVectorIiLj8EEEEZZNS1_16scan_by_key_implILNS1_25lookback_scan_determinismE0ELb1ES3_N6thrust23THRUST_200600_302600_NS6detail15normal_iteratorINSB_10device_ptrIjEEEENSD_INSE_IS6_EEEESI_S6_NSB_4plusIvEENSB_8equal_toIvEES6_EE10hipError_tPvRmT2_T3_T4_T5_mT6_T7_P12ihipStream_tbENKUlT_T0_E_clISt17integral_constantIbLb1EES13_EEDaSY_SZ_EUlSY_E_NS1_11comp_targetILNS1_3genE10ELNS1_11target_archE1200ELNS1_3gpuE4ELNS1_3repE0EEENS1_30default_config_static_selectorELNS0_4arch9wavefront6targetE0EEEvT1_,comdat
.Lfunc_end2172:
	.size	_ZN7rocprim17ROCPRIM_400000_NS6detail17trampoline_kernelINS0_14default_configENS1_27scan_by_key_config_selectorIj11FixedVectorIiLj8EEEEZZNS1_16scan_by_key_implILNS1_25lookback_scan_determinismE0ELb1ES3_N6thrust23THRUST_200600_302600_NS6detail15normal_iteratorINSB_10device_ptrIjEEEENSD_INSE_IS6_EEEESI_S6_NSB_4plusIvEENSB_8equal_toIvEES6_EE10hipError_tPvRmT2_T3_T4_T5_mT6_T7_P12ihipStream_tbENKUlT_T0_E_clISt17integral_constantIbLb1EES13_EEDaSY_SZ_EUlSY_E_NS1_11comp_targetILNS1_3genE10ELNS1_11target_archE1200ELNS1_3gpuE4ELNS1_3repE0EEENS1_30default_config_static_selectorELNS0_4arch9wavefront6targetE0EEEvT1_, .Lfunc_end2172-_ZN7rocprim17ROCPRIM_400000_NS6detail17trampoline_kernelINS0_14default_configENS1_27scan_by_key_config_selectorIj11FixedVectorIiLj8EEEEZZNS1_16scan_by_key_implILNS1_25lookback_scan_determinismE0ELb1ES3_N6thrust23THRUST_200600_302600_NS6detail15normal_iteratorINSB_10device_ptrIjEEEENSD_INSE_IS6_EEEESI_S6_NSB_4plusIvEENSB_8equal_toIvEES6_EE10hipError_tPvRmT2_T3_T4_T5_mT6_T7_P12ihipStream_tbENKUlT_T0_E_clISt17integral_constantIbLb1EES13_EEDaSY_SZ_EUlSY_E_NS1_11comp_targetILNS1_3genE10ELNS1_11target_archE1200ELNS1_3gpuE4ELNS1_3repE0EEENS1_30default_config_static_selectorELNS0_4arch9wavefront6targetE0EEEvT1_
                                        ; -- End function
	.set _ZN7rocprim17ROCPRIM_400000_NS6detail17trampoline_kernelINS0_14default_configENS1_27scan_by_key_config_selectorIj11FixedVectorIiLj8EEEEZZNS1_16scan_by_key_implILNS1_25lookback_scan_determinismE0ELb1ES3_N6thrust23THRUST_200600_302600_NS6detail15normal_iteratorINSB_10device_ptrIjEEEENSD_INSE_IS6_EEEESI_S6_NSB_4plusIvEENSB_8equal_toIvEES6_EE10hipError_tPvRmT2_T3_T4_T5_mT6_T7_P12ihipStream_tbENKUlT_T0_E_clISt17integral_constantIbLb1EES13_EEDaSY_SZ_EUlSY_E_NS1_11comp_targetILNS1_3genE10ELNS1_11target_archE1200ELNS1_3gpuE4ELNS1_3repE0EEENS1_30default_config_static_selectorELNS0_4arch9wavefront6targetE0EEEvT1_.num_vgpr, 0
	.set _ZN7rocprim17ROCPRIM_400000_NS6detail17trampoline_kernelINS0_14default_configENS1_27scan_by_key_config_selectorIj11FixedVectorIiLj8EEEEZZNS1_16scan_by_key_implILNS1_25lookback_scan_determinismE0ELb1ES3_N6thrust23THRUST_200600_302600_NS6detail15normal_iteratorINSB_10device_ptrIjEEEENSD_INSE_IS6_EEEESI_S6_NSB_4plusIvEENSB_8equal_toIvEES6_EE10hipError_tPvRmT2_T3_T4_T5_mT6_T7_P12ihipStream_tbENKUlT_T0_E_clISt17integral_constantIbLb1EES13_EEDaSY_SZ_EUlSY_E_NS1_11comp_targetILNS1_3genE10ELNS1_11target_archE1200ELNS1_3gpuE4ELNS1_3repE0EEENS1_30default_config_static_selectorELNS0_4arch9wavefront6targetE0EEEvT1_.num_agpr, 0
	.set _ZN7rocprim17ROCPRIM_400000_NS6detail17trampoline_kernelINS0_14default_configENS1_27scan_by_key_config_selectorIj11FixedVectorIiLj8EEEEZZNS1_16scan_by_key_implILNS1_25lookback_scan_determinismE0ELb1ES3_N6thrust23THRUST_200600_302600_NS6detail15normal_iteratorINSB_10device_ptrIjEEEENSD_INSE_IS6_EEEESI_S6_NSB_4plusIvEENSB_8equal_toIvEES6_EE10hipError_tPvRmT2_T3_T4_T5_mT6_T7_P12ihipStream_tbENKUlT_T0_E_clISt17integral_constantIbLb1EES13_EEDaSY_SZ_EUlSY_E_NS1_11comp_targetILNS1_3genE10ELNS1_11target_archE1200ELNS1_3gpuE4ELNS1_3repE0EEENS1_30default_config_static_selectorELNS0_4arch9wavefront6targetE0EEEvT1_.numbered_sgpr, 0
	.set _ZN7rocprim17ROCPRIM_400000_NS6detail17trampoline_kernelINS0_14default_configENS1_27scan_by_key_config_selectorIj11FixedVectorIiLj8EEEEZZNS1_16scan_by_key_implILNS1_25lookback_scan_determinismE0ELb1ES3_N6thrust23THRUST_200600_302600_NS6detail15normal_iteratorINSB_10device_ptrIjEEEENSD_INSE_IS6_EEEESI_S6_NSB_4plusIvEENSB_8equal_toIvEES6_EE10hipError_tPvRmT2_T3_T4_T5_mT6_T7_P12ihipStream_tbENKUlT_T0_E_clISt17integral_constantIbLb1EES13_EEDaSY_SZ_EUlSY_E_NS1_11comp_targetILNS1_3genE10ELNS1_11target_archE1200ELNS1_3gpuE4ELNS1_3repE0EEENS1_30default_config_static_selectorELNS0_4arch9wavefront6targetE0EEEvT1_.num_named_barrier, 0
	.set _ZN7rocprim17ROCPRIM_400000_NS6detail17trampoline_kernelINS0_14default_configENS1_27scan_by_key_config_selectorIj11FixedVectorIiLj8EEEEZZNS1_16scan_by_key_implILNS1_25lookback_scan_determinismE0ELb1ES3_N6thrust23THRUST_200600_302600_NS6detail15normal_iteratorINSB_10device_ptrIjEEEENSD_INSE_IS6_EEEESI_S6_NSB_4plusIvEENSB_8equal_toIvEES6_EE10hipError_tPvRmT2_T3_T4_T5_mT6_T7_P12ihipStream_tbENKUlT_T0_E_clISt17integral_constantIbLb1EES13_EEDaSY_SZ_EUlSY_E_NS1_11comp_targetILNS1_3genE10ELNS1_11target_archE1200ELNS1_3gpuE4ELNS1_3repE0EEENS1_30default_config_static_selectorELNS0_4arch9wavefront6targetE0EEEvT1_.private_seg_size, 0
	.set _ZN7rocprim17ROCPRIM_400000_NS6detail17trampoline_kernelINS0_14default_configENS1_27scan_by_key_config_selectorIj11FixedVectorIiLj8EEEEZZNS1_16scan_by_key_implILNS1_25lookback_scan_determinismE0ELb1ES3_N6thrust23THRUST_200600_302600_NS6detail15normal_iteratorINSB_10device_ptrIjEEEENSD_INSE_IS6_EEEESI_S6_NSB_4plusIvEENSB_8equal_toIvEES6_EE10hipError_tPvRmT2_T3_T4_T5_mT6_T7_P12ihipStream_tbENKUlT_T0_E_clISt17integral_constantIbLb1EES13_EEDaSY_SZ_EUlSY_E_NS1_11comp_targetILNS1_3genE10ELNS1_11target_archE1200ELNS1_3gpuE4ELNS1_3repE0EEENS1_30default_config_static_selectorELNS0_4arch9wavefront6targetE0EEEvT1_.uses_vcc, 0
	.set _ZN7rocprim17ROCPRIM_400000_NS6detail17trampoline_kernelINS0_14default_configENS1_27scan_by_key_config_selectorIj11FixedVectorIiLj8EEEEZZNS1_16scan_by_key_implILNS1_25lookback_scan_determinismE0ELb1ES3_N6thrust23THRUST_200600_302600_NS6detail15normal_iteratorINSB_10device_ptrIjEEEENSD_INSE_IS6_EEEESI_S6_NSB_4plusIvEENSB_8equal_toIvEES6_EE10hipError_tPvRmT2_T3_T4_T5_mT6_T7_P12ihipStream_tbENKUlT_T0_E_clISt17integral_constantIbLb1EES13_EEDaSY_SZ_EUlSY_E_NS1_11comp_targetILNS1_3genE10ELNS1_11target_archE1200ELNS1_3gpuE4ELNS1_3repE0EEENS1_30default_config_static_selectorELNS0_4arch9wavefront6targetE0EEEvT1_.uses_flat_scratch, 0
	.set _ZN7rocprim17ROCPRIM_400000_NS6detail17trampoline_kernelINS0_14default_configENS1_27scan_by_key_config_selectorIj11FixedVectorIiLj8EEEEZZNS1_16scan_by_key_implILNS1_25lookback_scan_determinismE0ELb1ES3_N6thrust23THRUST_200600_302600_NS6detail15normal_iteratorINSB_10device_ptrIjEEEENSD_INSE_IS6_EEEESI_S6_NSB_4plusIvEENSB_8equal_toIvEES6_EE10hipError_tPvRmT2_T3_T4_T5_mT6_T7_P12ihipStream_tbENKUlT_T0_E_clISt17integral_constantIbLb1EES13_EEDaSY_SZ_EUlSY_E_NS1_11comp_targetILNS1_3genE10ELNS1_11target_archE1200ELNS1_3gpuE4ELNS1_3repE0EEENS1_30default_config_static_selectorELNS0_4arch9wavefront6targetE0EEEvT1_.has_dyn_sized_stack, 0
	.set _ZN7rocprim17ROCPRIM_400000_NS6detail17trampoline_kernelINS0_14default_configENS1_27scan_by_key_config_selectorIj11FixedVectorIiLj8EEEEZZNS1_16scan_by_key_implILNS1_25lookback_scan_determinismE0ELb1ES3_N6thrust23THRUST_200600_302600_NS6detail15normal_iteratorINSB_10device_ptrIjEEEENSD_INSE_IS6_EEEESI_S6_NSB_4plusIvEENSB_8equal_toIvEES6_EE10hipError_tPvRmT2_T3_T4_T5_mT6_T7_P12ihipStream_tbENKUlT_T0_E_clISt17integral_constantIbLb1EES13_EEDaSY_SZ_EUlSY_E_NS1_11comp_targetILNS1_3genE10ELNS1_11target_archE1200ELNS1_3gpuE4ELNS1_3repE0EEENS1_30default_config_static_selectorELNS0_4arch9wavefront6targetE0EEEvT1_.has_recursion, 0
	.set _ZN7rocprim17ROCPRIM_400000_NS6detail17trampoline_kernelINS0_14default_configENS1_27scan_by_key_config_selectorIj11FixedVectorIiLj8EEEEZZNS1_16scan_by_key_implILNS1_25lookback_scan_determinismE0ELb1ES3_N6thrust23THRUST_200600_302600_NS6detail15normal_iteratorINSB_10device_ptrIjEEEENSD_INSE_IS6_EEEESI_S6_NSB_4plusIvEENSB_8equal_toIvEES6_EE10hipError_tPvRmT2_T3_T4_T5_mT6_T7_P12ihipStream_tbENKUlT_T0_E_clISt17integral_constantIbLb1EES13_EEDaSY_SZ_EUlSY_E_NS1_11comp_targetILNS1_3genE10ELNS1_11target_archE1200ELNS1_3gpuE4ELNS1_3repE0EEENS1_30default_config_static_selectorELNS0_4arch9wavefront6targetE0EEEvT1_.has_indirect_call, 0
	.section	.AMDGPU.csdata,"",@progbits
; Kernel info:
; codeLenInByte = 0
; TotalNumSgprs: 0
; NumVgprs: 0
; ScratchSize: 0
; MemoryBound: 0
; FloatMode: 240
; IeeeMode: 1
; LDSByteSize: 0 bytes/workgroup (compile time only)
; SGPRBlocks: 0
; VGPRBlocks: 0
; NumSGPRsForWavesPerEU: 1
; NumVGPRsForWavesPerEU: 1
; NamedBarCnt: 0
; Occupancy: 16
; WaveLimiterHint : 0
; COMPUTE_PGM_RSRC2:SCRATCH_EN: 0
; COMPUTE_PGM_RSRC2:USER_SGPR: 2
; COMPUTE_PGM_RSRC2:TRAP_HANDLER: 0
; COMPUTE_PGM_RSRC2:TGID_X_EN: 1
; COMPUTE_PGM_RSRC2:TGID_Y_EN: 0
; COMPUTE_PGM_RSRC2:TGID_Z_EN: 0
; COMPUTE_PGM_RSRC2:TIDIG_COMP_CNT: 0
	.section	.text._ZN7rocprim17ROCPRIM_400000_NS6detail17trampoline_kernelINS0_14default_configENS1_27scan_by_key_config_selectorIj11FixedVectorIiLj8EEEEZZNS1_16scan_by_key_implILNS1_25lookback_scan_determinismE0ELb1ES3_N6thrust23THRUST_200600_302600_NS6detail15normal_iteratorINSB_10device_ptrIjEEEENSD_INSE_IS6_EEEESI_S6_NSB_4plusIvEENSB_8equal_toIvEES6_EE10hipError_tPvRmT2_T3_T4_T5_mT6_T7_P12ihipStream_tbENKUlT_T0_E_clISt17integral_constantIbLb1EES13_EEDaSY_SZ_EUlSY_E_NS1_11comp_targetILNS1_3genE9ELNS1_11target_archE1100ELNS1_3gpuE3ELNS1_3repE0EEENS1_30default_config_static_selectorELNS0_4arch9wavefront6targetE0EEEvT1_,"axG",@progbits,_ZN7rocprim17ROCPRIM_400000_NS6detail17trampoline_kernelINS0_14default_configENS1_27scan_by_key_config_selectorIj11FixedVectorIiLj8EEEEZZNS1_16scan_by_key_implILNS1_25lookback_scan_determinismE0ELb1ES3_N6thrust23THRUST_200600_302600_NS6detail15normal_iteratorINSB_10device_ptrIjEEEENSD_INSE_IS6_EEEESI_S6_NSB_4plusIvEENSB_8equal_toIvEES6_EE10hipError_tPvRmT2_T3_T4_T5_mT6_T7_P12ihipStream_tbENKUlT_T0_E_clISt17integral_constantIbLb1EES13_EEDaSY_SZ_EUlSY_E_NS1_11comp_targetILNS1_3genE9ELNS1_11target_archE1100ELNS1_3gpuE3ELNS1_3repE0EEENS1_30default_config_static_selectorELNS0_4arch9wavefront6targetE0EEEvT1_,comdat
	.protected	_ZN7rocprim17ROCPRIM_400000_NS6detail17trampoline_kernelINS0_14default_configENS1_27scan_by_key_config_selectorIj11FixedVectorIiLj8EEEEZZNS1_16scan_by_key_implILNS1_25lookback_scan_determinismE0ELb1ES3_N6thrust23THRUST_200600_302600_NS6detail15normal_iteratorINSB_10device_ptrIjEEEENSD_INSE_IS6_EEEESI_S6_NSB_4plusIvEENSB_8equal_toIvEES6_EE10hipError_tPvRmT2_T3_T4_T5_mT6_T7_P12ihipStream_tbENKUlT_T0_E_clISt17integral_constantIbLb1EES13_EEDaSY_SZ_EUlSY_E_NS1_11comp_targetILNS1_3genE9ELNS1_11target_archE1100ELNS1_3gpuE3ELNS1_3repE0EEENS1_30default_config_static_selectorELNS0_4arch9wavefront6targetE0EEEvT1_ ; -- Begin function _ZN7rocprim17ROCPRIM_400000_NS6detail17trampoline_kernelINS0_14default_configENS1_27scan_by_key_config_selectorIj11FixedVectorIiLj8EEEEZZNS1_16scan_by_key_implILNS1_25lookback_scan_determinismE0ELb1ES3_N6thrust23THRUST_200600_302600_NS6detail15normal_iteratorINSB_10device_ptrIjEEEENSD_INSE_IS6_EEEESI_S6_NSB_4plusIvEENSB_8equal_toIvEES6_EE10hipError_tPvRmT2_T3_T4_T5_mT6_T7_P12ihipStream_tbENKUlT_T0_E_clISt17integral_constantIbLb1EES13_EEDaSY_SZ_EUlSY_E_NS1_11comp_targetILNS1_3genE9ELNS1_11target_archE1100ELNS1_3gpuE3ELNS1_3repE0EEENS1_30default_config_static_selectorELNS0_4arch9wavefront6targetE0EEEvT1_
	.globl	_ZN7rocprim17ROCPRIM_400000_NS6detail17trampoline_kernelINS0_14default_configENS1_27scan_by_key_config_selectorIj11FixedVectorIiLj8EEEEZZNS1_16scan_by_key_implILNS1_25lookback_scan_determinismE0ELb1ES3_N6thrust23THRUST_200600_302600_NS6detail15normal_iteratorINSB_10device_ptrIjEEEENSD_INSE_IS6_EEEESI_S6_NSB_4plusIvEENSB_8equal_toIvEES6_EE10hipError_tPvRmT2_T3_T4_T5_mT6_T7_P12ihipStream_tbENKUlT_T0_E_clISt17integral_constantIbLb1EES13_EEDaSY_SZ_EUlSY_E_NS1_11comp_targetILNS1_3genE9ELNS1_11target_archE1100ELNS1_3gpuE3ELNS1_3repE0EEENS1_30default_config_static_selectorELNS0_4arch9wavefront6targetE0EEEvT1_
	.p2align	8
	.type	_ZN7rocprim17ROCPRIM_400000_NS6detail17trampoline_kernelINS0_14default_configENS1_27scan_by_key_config_selectorIj11FixedVectorIiLj8EEEEZZNS1_16scan_by_key_implILNS1_25lookback_scan_determinismE0ELb1ES3_N6thrust23THRUST_200600_302600_NS6detail15normal_iteratorINSB_10device_ptrIjEEEENSD_INSE_IS6_EEEESI_S6_NSB_4plusIvEENSB_8equal_toIvEES6_EE10hipError_tPvRmT2_T3_T4_T5_mT6_T7_P12ihipStream_tbENKUlT_T0_E_clISt17integral_constantIbLb1EES13_EEDaSY_SZ_EUlSY_E_NS1_11comp_targetILNS1_3genE9ELNS1_11target_archE1100ELNS1_3gpuE3ELNS1_3repE0EEENS1_30default_config_static_selectorELNS0_4arch9wavefront6targetE0EEEvT1_,@function
_ZN7rocprim17ROCPRIM_400000_NS6detail17trampoline_kernelINS0_14default_configENS1_27scan_by_key_config_selectorIj11FixedVectorIiLj8EEEEZZNS1_16scan_by_key_implILNS1_25lookback_scan_determinismE0ELb1ES3_N6thrust23THRUST_200600_302600_NS6detail15normal_iteratorINSB_10device_ptrIjEEEENSD_INSE_IS6_EEEESI_S6_NSB_4plusIvEENSB_8equal_toIvEES6_EE10hipError_tPvRmT2_T3_T4_T5_mT6_T7_P12ihipStream_tbENKUlT_T0_E_clISt17integral_constantIbLb1EES13_EEDaSY_SZ_EUlSY_E_NS1_11comp_targetILNS1_3genE9ELNS1_11target_archE1100ELNS1_3gpuE3ELNS1_3repE0EEENS1_30default_config_static_selectorELNS0_4arch9wavefront6targetE0EEEvT1_: ; @_ZN7rocprim17ROCPRIM_400000_NS6detail17trampoline_kernelINS0_14default_configENS1_27scan_by_key_config_selectorIj11FixedVectorIiLj8EEEEZZNS1_16scan_by_key_implILNS1_25lookback_scan_determinismE0ELb1ES3_N6thrust23THRUST_200600_302600_NS6detail15normal_iteratorINSB_10device_ptrIjEEEENSD_INSE_IS6_EEEESI_S6_NSB_4plusIvEENSB_8equal_toIvEES6_EE10hipError_tPvRmT2_T3_T4_T5_mT6_T7_P12ihipStream_tbENKUlT_T0_E_clISt17integral_constantIbLb1EES13_EEDaSY_SZ_EUlSY_E_NS1_11comp_targetILNS1_3genE9ELNS1_11target_archE1100ELNS1_3gpuE3ELNS1_3repE0EEENS1_30default_config_static_selectorELNS0_4arch9wavefront6targetE0EEEvT1_
; %bb.0:
	.section	.rodata,"a",@progbits
	.p2align	6, 0x0
	.amdhsa_kernel _ZN7rocprim17ROCPRIM_400000_NS6detail17trampoline_kernelINS0_14default_configENS1_27scan_by_key_config_selectorIj11FixedVectorIiLj8EEEEZZNS1_16scan_by_key_implILNS1_25lookback_scan_determinismE0ELb1ES3_N6thrust23THRUST_200600_302600_NS6detail15normal_iteratorINSB_10device_ptrIjEEEENSD_INSE_IS6_EEEESI_S6_NSB_4plusIvEENSB_8equal_toIvEES6_EE10hipError_tPvRmT2_T3_T4_T5_mT6_T7_P12ihipStream_tbENKUlT_T0_E_clISt17integral_constantIbLb1EES13_EEDaSY_SZ_EUlSY_E_NS1_11comp_targetILNS1_3genE9ELNS1_11target_archE1100ELNS1_3gpuE3ELNS1_3repE0EEENS1_30default_config_static_selectorELNS0_4arch9wavefront6targetE0EEEvT1_
		.amdhsa_group_segment_fixed_size 0
		.amdhsa_private_segment_fixed_size 0
		.amdhsa_kernarg_size 160
		.amdhsa_user_sgpr_count 2
		.amdhsa_user_sgpr_dispatch_ptr 0
		.amdhsa_user_sgpr_queue_ptr 0
		.amdhsa_user_sgpr_kernarg_segment_ptr 1
		.amdhsa_user_sgpr_dispatch_id 0
		.amdhsa_user_sgpr_kernarg_preload_length 0
		.amdhsa_user_sgpr_kernarg_preload_offset 0
		.amdhsa_user_sgpr_private_segment_size 0
		.amdhsa_wavefront_size32 1
		.amdhsa_uses_dynamic_stack 0
		.amdhsa_enable_private_segment 0
		.amdhsa_system_sgpr_workgroup_id_x 1
		.amdhsa_system_sgpr_workgroup_id_y 0
		.amdhsa_system_sgpr_workgroup_id_z 0
		.amdhsa_system_sgpr_workgroup_info 0
		.amdhsa_system_vgpr_workitem_id 0
		.amdhsa_next_free_vgpr 1
		.amdhsa_next_free_sgpr 1
		.amdhsa_named_barrier_count 0
		.amdhsa_reserve_vcc 0
		.amdhsa_float_round_mode_32 0
		.amdhsa_float_round_mode_16_64 0
		.amdhsa_float_denorm_mode_32 3
		.amdhsa_float_denorm_mode_16_64 3
		.amdhsa_fp16_overflow 0
		.amdhsa_memory_ordered 1
		.amdhsa_forward_progress 1
		.amdhsa_inst_pref_size 0
		.amdhsa_round_robin_scheduling 0
		.amdhsa_exception_fp_ieee_invalid_op 0
		.amdhsa_exception_fp_denorm_src 0
		.amdhsa_exception_fp_ieee_div_zero 0
		.amdhsa_exception_fp_ieee_overflow 0
		.amdhsa_exception_fp_ieee_underflow 0
		.amdhsa_exception_fp_ieee_inexact 0
		.amdhsa_exception_int_div_zero 0
	.end_amdhsa_kernel
	.section	.text._ZN7rocprim17ROCPRIM_400000_NS6detail17trampoline_kernelINS0_14default_configENS1_27scan_by_key_config_selectorIj11FixedVectorIiLj8EEEEZZNS1_16scan_by_key_implILNS1_25lookback_scan_determinismE0ELb1ES3_N6thrust23THRUST_200600_302600_NS6detail15normal_iteratorINSB_10device_ptrIjEEEENSD_INSE_IS6_EEEESI_S6_NSB_4plusIvEENSB_8equal_toIvEES6_EE10hipError_tPvRmT2_T3_T4_T5_mT6_T7_P12ihipStream_tbENKUlT_T0_E_clISt17integral_constantIbLb1EES13_EEDaSY_SZ_EUlSY_E_NS1_11comp_targetILNS1_3genE9ELNS1_11target_archE1100ELNS1_3gpuE3ELNS1_3repE0EEENS1_30default_config_static_selectorELNS0_4arch9wavefront6targetE0EEEvT1_,"axG",@progbits,_ZN7rocprim17ROCPRIM_400000_NS6detail17trampoline_kernelINS0_14default_configENS1_27scan_by_key_config_selectorIj11FixedVectorIiLj8EEEEZZNS1_16scan_by_key_implILNS1_25lookback_scan_determinismE0ELb1ES3_N6thrust23THRUST_200600_302600_NS6detail15normal_iteratorINSB_10device_ptrIjEEEENSD_INSE_IS6_EEEESI_S6_NSB_4plusIvEENSB_8equal_toIvEES6_EE10hipError_tPvRmT2_T3_T4_T5_mT6_T7_P12ihipStream_tbENKUlT_T0_E_clISt17integral_constantIbLb1EES13_EEDaSY_SZ_EUlSY_E_NS1_11comp_targetILNS1_3genE9ELNS1_11target_archE1100ELNS1_3gpuE3ELNS1_3repE0EEENS1_30default_config_static_selectorELNS0_4arch9wavefront6targetE0EEEvT1_,comdat
.Lfunc_end2173:
	.size	_ZN7rocprim17ROCPRIM_400000_NS6detail17trampoline_kernelINS0_14default_configENS1_27scan_by_key_config_selectorIj11FixedVectorIiLj8EEEEZZNS1_16scan_by_key_implILNS1_25lookback_scan_determinismE0ELb1ES3_N6thrust23THRUST_200600_302600_NS6detail15normal_iteratorINSB_10device_ptrIjEEEENSD_INSE_IS6_EEEESI_S6_NSB_4plusIvEENSB_8equal_toIvEES6_EE10hipError_tPvRmT2_T3_T4_T5_mT6_T7_P12ihipStream_tbENKUlT_T0_E_clISt17integral_constantIbLb1EES13_EEDaSY_SZ_EUlSY_E_NS1_11comp_targetILNS1_3genE9ELNS1_11target_archE1100ELNS1_3gpuE3ELNS1_3repE0EEENS1_30default_config_static_selectorELNS0_4arch9wavefront6targetE0EEEvT1_, .Lfunc_end2173-_ZN7rocprim17ROCPRIM_400000_NS6detail17trampoline_kernelINS0_14default_configENS1_27scan_by_key_config_selectorIj11FixedVectorIiLj8EEEEZZNS1_16scan_by_key_implILNS1_25lookback_scan_determinismE0ELb1ES3_N6thrust23THRUST_200600_302600_NS6detail15normal_iteratorINSB_10device_ptrIjEEEENSD_INSE_IS6_EEEESI_S6_NSB_4plusIvEENSB_8equal_toIvEES6_EE10hipError_tPvRmT2_T3_T4_T5_mT6_T7_P12ihipStream_tbENKUlT_T0_E_clISt17integral_constantIbLb1EES13_EEDaSY_SZ_EUlSY_E_NS1_11comp_targetILNS1_3genE9ELNS1_11target_archE1100ELNS1_3gpuE3ELNS1_3repE0EEENS1_30default_config_static_selectorELNS0_4arch9wavefront6targetE0EEEvT1_
                                        ; -- End function
	.set _ZN7rocprim17ROCPRIM_400000_NS6detail17trampoline_kernelINS0_14default_configENS1_27scan_by_key_config_selectorIj11FixedVectorIiLj8EEEEZZNS1_16scan_by_key_implILNS1_25lookback_scan_determinismE0ELb1ES3_N6thrust23THRUST_200600_302600_NS6detail15normal_iteratorINSB_10device_ptrIjEEEENSD_INSE_IS6_EEEESI_S6_NSB_4plusIvEENSB_8equal_toIvEES6_EE10hipError_tPvRmT2_T3_T4_T5_mT6_T7_P12ihipStream_tbENKUlT_T0_E_clISt17integral_constantIbLb1EES13_EEDaSY_SZ_EUlSY_E_NS1_11comp_targetILNS1_3genE9ELNS1_11target_archE1100ELNS1_3gpuE3ELNS1_3repE0EEENS1_30default_config_static_selectorELNS0_4arch9wavefront6targetE0EEEvT1_.num_vgpr, 0
	.set _ZN7rocprim17ROCPRIM_400000_NS6detail17trampoline_kernelINS0_14default_configENS1_27scan_by_key_config_selectorIj11FixedVectorIiLj8EEEEZZNS1_16scan_by_key_implILNS1_25lookback_scan_determinismE0ELb1ES3_N6thrust23THRUST_200600_302600_NS6detail15normal_iteratorINSB_10device_ptrIjEEEENSD_INSE_IS6_EEEESI_S6_NSB_4plusIvEENSB_8equal_toIvEES6_EE10hipError_tPvRmT2_T3_T4_T5_mT6_T7_P12ihipStream_tbENKUlT_T0_E_clISt17integral_constantIbLb1EES13_EEDaSY_SZ_EUlSY_E_NS1_11comp_targetILNS1_3genE9ELNS1_11target_archE1100ELNS1_3gpuE3ELNS1_3repE0EEENS1_30default_config_static_selectorELNS0_4arch9wavefront6targetE0EEEvT1_.num_agpr, 0
	.set _ZN7rocprim17ROCPRIM_400000_NS6detail17trampoline_kernelINS0_14default_configENS1_27scan_by_key_config_selectorIj11FixedVectorIiLj8EEEEZZNS1_16scan_by_key_implILNS1_25lookback_scan_determinismE0ELb1ES3_N6thrust23THRUST_200600_302600_NS6detail15normal_iteratorINSB_10device_ptrIjEEEENSD_INSE_IS6_EEEESI_S6_NSB_4plusIvEENSB_8equal_toIvEES6_EE10hipError_tPvRmT2_T3_T4_T5_mT6_T7_P12ihipStream_tbENKUlT_T0_E_clISt17integral_constantIbLb1EES13_EEDaSY_SZ_EUlSY_E_NS1_11comp_targetILNS1_3genE9ELNS1_11target_archE1100ELNS1_3gpuE3ELNS1_3repE0EEENS1_30default_config_static_selectorELNS0_4arch9wavefront6targetE0EEEvT1_.numbered_sgpr, 0
	.set _ZN7rocprim17ROCPRIM_400000_NS6detail17trampoline_kernelINS0_14default_configENS1_27scan_by_key_config_selectorIj11FixedVectorIiLj8EEEEZZNS1_16scan_by_key_implILNS1_25lookback_scan_determinismE0ELb1ES3_N6thrust23THRUST_200600_302600_NS6detail15normal_iteratorINSB_10device_ptrIjEEEENSD_INSE_IS6_EEEESI_S6_NSB_4plusIvEENSB_8equal_toIvEES6_EE10hipError_tPvRmT2_T3_T4_T5_mT6_T7_P12ihipStream_tbENKUlT_T0_E_clISt17integral_constantIbLb1EES13_EEDaSY_SZ_EUlSY_E_NS1_11comp_targetILNS1_3genE9ELNS1_11target_archE1100ELNS1_3gpuE3ELNS1_3repE0EEENS1_30default_config_static_selectorELNS0_4arch9wavefront6targetE0EEEvT1_.num_named_barrier, 0
	.set _ZN7rocprim17ROCPRIM_400000_NS6detail17trampoline_kernelINS0_14default_configENS1_27scan_by_key_config_selectorIj11FixedVectorIiLj8EEEEZZNS1_16scan_by_key_implILNS1_25lookback_scan_determinismE0ELb1ES3_N6thrust23THRUST_200600_302600_NS6detail15normal_iteratorINSB_10device_ptrIjEEEENSD_INSE_IS6_EEEESI_S6_NSB_4plusIvEENSB_8equal_toIvEES6_EE10hipError_tPvRmT2_T3_T4_T5_mT6_T7_P12ihipStream_tbENKUlT_T0_E_clISt17integral_constantIbLb1EES13_EEDaSY_SZ_EUlSY_E_NS1_11comp_targetILNS1_3genE9ELNS1_11target_archE1100ELNS1_3gpuE3ELNS1_3repE0EEENS1_30default_config_static_selectorELNS0_4arch9wavefront6targetE0EEEvT1_.private_seg_size, 0
	.set _ZN7rocprim17ROCPRIM_400000_NS6detail17trampoline_kernelINS0_14default_configENS1_27scan_by_key_config_selectorIj11FixedVectorIiLj8EEEEZZNS1_16scan_by_key_implILNS1_25lookback_scan_determinismE0ELb1ES3_N6thrust23THRUST_200600_302600_NS6detail15normal_iteratorINSB_10device_ptrIjEEEENSD_INSE_IS6_EEEESI_S6_NSB_4plusIvEENSB_8equal_toIvEES6_EE10hipError_tPvRmT2_T3_T4_T5_mT6_T7_P12ihipStream_tbENKUlT_T0_E_clISt17integral_constantIbLb1EES13_EEDaSY_SZ_EUlSY_E_NS1_11comp_targetILNS1_3genE9ELNS1_11target_archE1100ELNS1_3gpuE3ELNS1_3repE0EEENS1_30default_config_static_selectorELNS0_4arch9wavefront6targetE0EEEvT1_.uses_vcc, 0
	.set _ZN7rocprim17ROCPRIM_400000_NS6detail17trampoline_kernelINS0_14default_configENS1_27scan_by_key_config_selectorIj11FixedVectorIiLj8EEEEZZNS1_16scan_by_key_implILNS1_25lookback_scan_determinismE0ELb1ES3_N6thrust23THRUST_200600_302600_NS6detail15normal_iteratorINSB_10device_ptrIjEEEENSD_INSE_IS6_EEEESI_S6_NSB_4plusIvEENSB_8equal_toIvEES6_EE10hipError_tPvRmT2_T3_T4_T5_mT6_T7_P12ihipStream_tbENKUlT_T0_E_clISt17integral_constantIbLb1EES13_EEDaSY_SZ_EUlSY_E_NS1_11comp_targetILNS1_3genE9ELNS1_11target_archE1100ELNS1_3gpuE3ELNS1_3repE0EEENS1_30default_config_static_selectorELNS0_4arch9wavefront6targetE0EEEvT1_.uses_flat_scratch, 0
	.set _ZN7rocprim17ROCPRIM_400000_NS6detail17trampoline_kernelINS0_14default_configENS1_27scan_by_key_config_selectorIj11FixedVectorIiLj8EEEEZZNS1_16scan_by_key_implILNS1_25lookback_scan_determinismE0ELb1ES3_N6thrust23THRUST_200600_302600_NS6detail15normal_iteratorINSB_10device_ptrIjEEEENSD_INSE_IS6_EEEESI_S6_NSB_4plusIvEENSB_8equal_toIvEES6_EE10hipError_tPvRmT2_T3_T4_T5_mT6_T7_P12ihipStream_tbENKUlT_T0_E_clISt17integral_constantIbLb1EES13_EEDaSY_SZ_EUlSY_E_NS1_11comp_targetILNS1_3genE9ELNS1_11target_archE1100ELNS1_3gpuE3ELNS1_3repE0EEENS1_30default_config_static_selectorELNS0_4arch9wavefront6targetE0EEEvT1_.has_dyn_sized_stack, 0
	.set _ZN7rocprim17ROCPRIM_400000_NS6detail17trampoline_kernelINS0_14default_configENS1_27scan_by_key_config_selectorIj11FixedVectorIiLj8EEEEZZNS1_16scan_by_key_implILNS1_25lookback_scan_determinismE0ELb1ES3_N6thrust23THRUST_200600_302600_NS6detail15normal_iteratorINSB_10device_ptrIjEEEENSD_INSE_IS6_EEEESI_S6_NSB_4plusIvEENSB_8equal_toIvEES6_EE10hipError_tPvRmT2_T3_T4_T5_mT6_T7_P12ihipStream_tbENKUlT_T0_E_clISt17integral_constantIbLb1EES13_EEDaSY_SZ_EUlSY_E_NS1_11comp_targetILNS1_3genE9ELNS1_11target_archE1100ELNS1_3gpuE3ELNS1_3repE0EEENS1_30default_config_static_selectorELNS0_4arch9wavefront6targetE0EEEvT1_.has_recursion, 0
	.set _ZN7rocprim17ROCPRIM_400000_NS6detail17trampoline_kernelINS0_14default_configENS1_27scan_by_key_config_selectorIj11FixedVectorIiLj8EEEEZZNS1_16scan_by_key_implILNS1_25lookback_scan_determinismE0ELb1ES3_N6thrust23THRUST_200600_302600_NS6detail15normal_iteratorINSB_10device_ptrIjEEEENSD_INSE_IS6_EEEESI_S6_NSB_4plusIvEENSB_8equal_toIvEES6_EE10hipError_tPvRmT2_T3_T4_T5_mT6_T7_P12ihipStream_tbENKUlT_T0_E_clISt17integral_constantIbLb1EES13_EEDaSY_SZ_EUlSY_E_NS1_11comp_targetILNS1_3genE9ELNS1_11target_archE1100ELNS1_3gpuE3ELNS1_3repE0EEENS1_30default_config_static_selectorELNS0_4arch9wavefront6targetE0EEEvT1_.has_indirect_call, 0
	.section	.AMDGPU.csdata,"",@progbits
; Kernel info:
; codeLenInByte = 0
; TotalNumSgprs: 0
; NumVgprs: 0
; ScratchSize: 0
; MemoryBound: 0
; FloatMode: 240
; IeeeMode: 1
; LDSByteSize: 0 bytes/workgroup (compile time only)
; SGPRBlocks: 0
; VGPRBlocks: 0
; NumSGPRsForWavesPerEU: 1
; NumVGPRsForWavesPerEU: 1
; NamedBarCnt: 0
; Occupancy: 16
; WaveLimiterHint : 0
; COMPUTE_PGM_RSRC2:SCRATCH_EN: 0
; COMPUTE_PGM_RSRC2:USER_SGPR: 2
; COMPUTE_PGM_RSRC2:TRAP_HANDLER: 0
; COMPUTE_PGM_RSRC2:TGID_X_EN: 1
; COMPUTE_PGM_RSRC2:TGID_Y_EN: 0
; COMPUTE_PGM_RSRC2:TGID_Z_EN: 0
; COMPUTE_PGM_RSRC2:TIDIG_COMP_CNT: 0
	.section	.text._ZN7rocprim17ROCPRIM_400000_NS6detail17trampoline_kernelINS0_14default_configENS1_27scan_by_key_config_selectorIj11FixedVectorIiLj8EEEEZZNS1_16scan_by_key_implILNS1_25lookback_scan_determinismE0ELb1ES3_N6thrust23THRUST_200600_302600_NS6detail15normal_iteratorINSB_10device_ptrIjEEEENSD_INSE_IS6_EEEESI_S6_NSB_4plusIvEENSB_8equal_toIvEES6_EE10hipError_tPvRmT2_T3_T4_T5_mT6_T7_P12ihipStream_tbENKUlT_T0_E_clISt17integral_constantIbLb1EES13_EEDaSY_SZ_EUlSY_E_NS1_11comp_targetILNS1_3genE8ELNS1_11target_archE1030ELNS1_3gpuE2ELNS1_3repE0EEENS1_30default_config_static_selectorELNS0_4arch9wavefront6targetE0EEEvT1_,"axG",@progbits,_ZN7rocprim17ROCPRIM_400000_NS6detail17trampoline_kernelINS0_14default_configENS1_27scan_by_key_config_selectorIj11FixedVectorIiLj8EEEEZZNS1_16scan_by_key_implILNS1_25lookback_scan_determinismE0ELb1ES3_N6thrust23THRUST_200600_302600_NS6detail15normal_iteratorINSB_10device_ptrIjEEEENSD_INSE_IS6_EEEESI_S6_NSB_4plusIvEENSB_8equal_toIvEES6_EE10hipError_tPvRmT2_T3_T4_T5_mT6_T7_P12ihipStream_tbENKUlT_T0_E_clISt17integral_constantIbLb1EES13_EEDaSY_SZ_EUlSY_E_NS1_11comp_targetILNS1_3genE8ELNS1_11target_archE1030ELNS1_3gpuE2ELNS1_3repE0EEENS1_30default_config_static_selectorELNS0_4arch9wavefront6targetE0EEEvT1_,comdat
	.protected	_ZN7rocprim17ROCPRIM_400000_NS6detail17trampoline_kernelINS0_14default_configENS1_27scan_by_key_config_selectorIj11FixedVectorIiLj8EEEEZZNS1_16scan_by_key_implILNS1_25lookback_scan_determinismE0ELb1ES3_N6thrust23THRUST_200600_302600_NS6detail15normal_iteratorINSB_10device_ptrIjEEEENSD_INSE_IS6_EEEESI_S6_NSB_4plusIvEENSB_8equal_toIvEES6_EE10hipError_tPvRmT2_T3_T4_T5_mT6_T7_P12ihipStream_tbENKUlT_T0_E_clISt17integral_constantIbLb1EES13_EEDaSY_SZ_EUlSY_E_NS1_11comp_targetILNS1_3genE8ELNS1_11target_archE1030ELNS1_3gpuE2ELNS1_3repE0EEENS1_30default_config_static_selectorELNS0_4arch9wavefront6targetE0EEEvT1_ ; -- Begin function _ZN7rocprim17ROCPRIM_400000_NS6detail17trampoline_kernelINS0_14default_configENS1_27scan_by_key_config_selectorIj11FixedVectorIiLj8EEEEZZNS1_16scan_by_key_implILNS1_25lookback_scan_determinismE0ELb1ES3_N6thrust23THRUST_200600_302600_NS6detail15normal_iteratorINSB_10device_ptrIjEEEENSD_INSE_IS6_EEEESI_S6_NSB_4plusIvEENSB_8equal_toIvEES6_EE10hipError_tPvRmT2_T3_T4_T5_mT6_T7_P12ihipStream_tbENKUlT_T0_E_clISt17integral_constantIbLb1EES13_EEDaSY_SZ_EUlSY_E_NS1_11comp_targetILNS1_3genE8ELNS1_11target_archE1030ELNS1_3gpuE2ELNS1_3repE0EEENS1_30default_config_static_selectorELNS0_4arch9wavefront6targetE0EEEvT1_
	.globl	_ZN7rocprim17ROCPRIM_400000_NS6detail17trampoline_kernelINS0_14default_configENS1_27scan_by_key_config_selectorIj11FixedVectorIiLj8EEEEZZNS1_16scan_by_key_implILNS1_25lookback_scan_determinismE0ELb1ES3_N6thrust23THRUST_200600_302600_NS6detail15normal_iteratorINSB_10device_ptrIjEEEENSD_INSE_IS6_EEEESI_S6_NSB_4plusIvEENSB_8equal_toIvEES6_EE10hipError_tPvRmT2_T3_T4_T5_mT6_T7_P12ihipStream_tbENKUlT_T0_E_clISt17integral_constantIbLb1EES13_EEDaSY_SZ_EUlSY_E_NS1_11comp_targetILNS1_3genE8ELNS1_11target_archE1030ELNS1_3gpuE2ELNS1_3repE0EEENS1_30default_config_static_selectorELNS0_4arch9wavefront6targetE0EEEvT1_
	.p2align	8
	.type	_ZN7rocprim17ROCPRIM_400000_NS6detail17trampoline_kernelINS0_14default_configENS1_27scan_by_key_config_selectorIj11FixedVectorIiLj8EEEEZZNS1_16scan_by_key_implILNS1_25lookback_scan_determinismE0ELb1ES3_N6thrust23THRUST_200600_302600_NS6detail15normal_iteratorINSB_10device_ptrIjEEEENSD_INSE_IS6_EEEESI_S6_NSB_4plusIvEENSB_8equal_toIvEES6_EE10hipError_tPvRmT2_T3_T4_T5_mT6_T7_P12ihipStream_tbENKUlT_T0_E_clISt17integral_constantIbLb1EES13_EEDaSY_SZ_EUlSY_E_NS1_11comp_targetILNS1_3genE8ELNS1_11target_archE1030ELNS1_3gpuE2ELNS1_3repE0EEENS1_30default_config_static_selectorELNS0_4arch9wavefront6targetE0EEEvT1_,@function
_ZN7rocprim17ROCPRIM_400000_NS6detail17trampoline_kernelINS0_14default_configENS1_27scan_by_key_config_selectorIj11FixedVectorIiLj8EEEEZZNS1_16scan_by_key_implILNS1_25lookback_scan_determinismE0ELb1ES3_N6thrust23THRUST_200600_302600_NS6detail15normal_iteratorINSB_10device_ptrIjEEEENSD_INSE_IS6_EEEESI_S6_NSB_4plusIvEENSB_8equal_toIvEES6_EE10hipError_tPvRmT2_T3_T4_T5_mT6_T7_P12ihipStream_tbENKUlT_T0_E_clISt17integral_constantIbLb1EES13_EEDaSY_SZ_EUlSY_E_NS1_11comp_targetILNS1_3genE8ELNS1_11target_archE1030ELNS1_3gpuE2ELNS1_3repE0EEENS1_30default_config_static_selectorELNS0_4arch9wavefront6targetE0EEEvT1_: ; @_ZN7rocprim17ROCPRIM_400000_NS6detail17trampoline_kernelINS0_14default_configENS1_27scan_by_key_config_selectorIj11FixedVectorIiLj8EEEEZZNS1_16scan_by_key_implILNS1_25lookback_scan_determinismE0ELb1ES3_N6thrust23THRUST_200600_302600_NS6detail15normal_iteratorINSB_10device_ptrIjEEEENSD_INSE_IS6_EEEESI_S6_NSB_4plusIvEENSB_8equal_toIvEES6_EE10hipError_tPvRmT2_T3_T4_T5_mT6_T7_P12ihipStream_tbENKUlT_T0_E_clISt17integral_constantIbLb1EES13_EEDaSY_SZ_EUlSY_E_NS1_11comp_targetILNS1_3genE8ELNS1_11target_archE1030ELNS1_3gpuE2ELNS1_3repE0EEENS1_30default_config_static_selectorELNS0_4arch9wavefront6targetE0EEEvT1_
; %bb.0:
	.section	.rodata,"a",@progbits
	.p2align	6, 0x0
	.amdhsa_kernel _ZN7rocprim17ROCPRIM_400000_NS6detail17trampoline_kernelINS0_14default_configENS1_27scan_by_key_config_selectorIj11FixedVectorIiLj8EEEEZZNS1_16scan_by_key_implILNS1_25lookback_scan_determinismE0ELb1ES3_N6thrust23THRUST_200600_302600_NS6detail15normal_iteratorINSB_10device_ptrIjEEEENSD_INSE_IS6_EEEESI_S6_NSB_4plusIvEENSB_8equal_toIvEES6_EE10hipError_tPvRmT2_T3_T4_T5_mT6_T7_P12ihipStream_tbENKUlT_T0_E_clISt17integral_constantIbLb1EES13_EEDaSY_SZ_EUlSY_E_NS1_11comp_targetILNS1_3genE8ELNS1_11target_archE1030ELNS1_3gpuE2ELNS1_3repE0EEENS1_30default_config_static_selectorELNS0_4arch9wavefront6targetE0EEEvT1_
		.amdhsa_group_segment_fixed_size 0
		.amdhsa_private_segment_fixed_size 0
		.amdhsa_kernarg_size 160
		.amdhsa_user_sgpr_count 2
		.amdhsa_user_sgpr_dispatch_ptr 0
		.amdhsa_user_sgpr_queue_ptr 0
		.amdhsa_user_sgpr_kernarg_segment_ptr 1
		.amdhsa_user_sgpr_dispatch_id 0
		.amdhsa_user_sgpr_kernarg_preload_length 0
		.amdhsa_user_sgpr_kernarg_preload_offset 0
		.amdhsa_user_sgpr_private_segment_size 0
		.amdhsa_wavefront_size32 1
		.amdhsa_uses_dynamic_stack 0
		.amdhsa_enable_private_segment 0
		.amdhsa_system_sgpr_workgroup_id_x 1
		.amdhsa_system_sgpr_workgroup_id_y 0
		.amdhsa_system_sgpr_workgroup_id_z 0
		.amdhsa_system_sgpr_workgroup_info 0
		.amdhsa_system_vgpr_workitem_id 0
		.amdhsa_next_free_vgpr 1
		.amdhsa_next_free_sgpr 1
		.amdhsa_named_barrier_count 0
		.amdhsa_reserve_vcc 0
		.amdhsa_float_round_mode_32 0
		.amdhsa_float_round_mode_16_64 0
		.amdhsa_float_denorm_mode_32 3
		.amdhsa_float_denorm_mode_16_64 3
		.amdhsa_fp16_overflow 0
		.amdhsa_memory_ordered 1
		.amdhsa_forward_progress 1
		.amdhsa_inst_pref_size 0
		.amdhsa_round_robin_scheduling 0
		.amdhsa_exception_fp_ieee_invalid_op 0
		.amdhsa_exception_fp_denorm_src 0
		.amdhsa_exception_fp_ieee_div_zero 0
		.amdhsa_exception_fp_ieee_overflow 0
		.amdhsa_exception_fp_ieee_underflow 0
		.amdhsa_exception_fp_ieee_inexact 0
		.amdhsa_exception_int_div_zero 0
	.end_amdhsa_kernel
	.section	.text._ZN7rocprim17ROCPRIM_400000_NS6detail17trampoline_kernelINS0_14default_configENS1_27scan_by_key_config_selectorIj11FixedVectorIiLj8EEEEZZNS1_16scan_by_key_implILNS1_25lookback_scan_determinismE0ELb1ES3_N6thrust23THRUST_200600_302600_NS6detail15normal_iteratorINSB_10device_ptrIjEEEENSD_INSE_IS6_EEEESI_S6_NSB_4plusIvEENSB_8equal_toIvEES6_EE10hipError_tPvRmT2_T3_T4_T5_mT6_T7_P12ihipStream_tbENKUlT_T0_E_clISt17integral_constantIbLb1EES13_EEDaSY_SZ_EUlSY_E_NS1_11comp_targetILNS1_3genE8ELNS1_11target_archE1030ELNS1_3gpuE2ELNS1_3repE0EEENS1_30default_config_static_selectorELNS0_4arch9wavefront6targetE0EEEvT1_,"axG",@progbits,_ZN7rocprim17ROCPRIM_400000_NS6detail17trampoline_kernelINS0_14default_configENS1_27scan_by_key_config_selectorIj11FixedVectorIiLj8EEEEZZNS1_16scan_by_key_implILNS1_25lookback_scan_determinismE0ELb1ES3_N6thrust23THRUST_200600_302600_NS6detail15normal_iteratorINSB_10device_ptrIjEEEENSD_INSE_IS6_EEEESI_S6_NSB_4plusIvEENSB_8equal_toIvEES6_EE10hipError_tPvRmT2_T3_T4_T5_mT6_T7_P12ihipStream_tbENKUlT_T0_E_clISt17integral_constantIbLb1EES13_EEDaSY_SZ_EUlSY_E_NS1_11comp_targetILNS1_3genE8ELNS1_11target_archE1030ELNS1_3gpuE2ELNS1_3repE0EEENS1_30default_config_static_selectorELNS0_4arch9wavefront6targetE0EEEvT1_,comdat
.Lfunc_end2174:
	.size	_ZN7rocprim17ROCPRIM_400000_NS6detail17trampoline_kernelINS0_14default_configENS1_27scan_by_key_config_selectorIj11FixedVectorIiLj8EEEEZZNS1_16scan_by_key_implILNS1_25lookback_scan_determinismE0ELb1ES3_N6thrust23THRUST_200600_302600_NS6detail15normal_iteratorINSB_10device_ptrIjEEEENSD_INSE_IS6_EEEESI_S6_NSB_4plusIvEENSB_8equal_toIvEES6_EE10hipError_tPvRmT2_T3_T4_T5_mT6_T7_P12ihipStream_tbENKUlT_T0_E_clISt17integral_constantIbLb1EES13_EEDaSY_SZ_EUlSY_E_NS1_11comp_targetILNS1_3genE8ELNS1_11target_archE1030ELNS1_3gpuE2ELNS1_3repE0EEENS1_30default_config_static_selectorELNS0_4arch9wavefront6targetE0EEEvT1_, .Lfunc_end2174-_ZN7rocprim17ROCPRIM_400000_NS6detail17trampoline_kernelINS0_14default_configENS1_27scan_by_key_config_selectorIj11FixedVectorIiLj8EEEEZZNS1_16scan_by_key_implILNS1_25lookback_scan_determinismE0ELb1ES3_N6thrust23THRUST_200600_302600_NS6detail15normal_iteratorINSB_10device_ptrIjEEEENSD_INSE_IS6_EEEESI_S6_NSB_4plusIvEENSB_8equal_toIvEES6_EE10hipError_tPvRmT2_T3_T4_T5_mT6_T7_P12ihipStream_tbENKUlT_T0_E_clISt17integral_constantIbLb1EES13_EEDaSY_SZ_EUlSY_E_NS1_11comp_targetILNS1_3genE8ELNS1_11target_archE1030ELNS1_3gpuE2ELNS1_3repE0EEENS1_30default_config_static_selectorELNS0_4arch9wavefront6targetE0EEEvT1_
                                        ; -- End function
	.set _ZN7rocprim17ROCPRIM_400000_NS6detail17trampoline_kernelINS0_14default_configENS1_27scan_by_key_config_selectorIj11FixedVectorIiLj8EEEEZZNS1_16scan_by_key_implILNS1_25lookback_scan_determinismE0ELb1ES3_N6thrust23THRUST_200600_302600_NS6detail15normal_iteratorINSB_10device_ptrIjEEEENSD_INSE_IS6_EEEESI_S6_NSB_4plusIvEENSB_8equal_toIvEES6_EE10hipError_tPvRmT2_T3_T4_T5_mT6_T7_P12ihipStream_tbENKUlT_T0_E_clISt17integral_constantIbLb1EES13_EEDaSY_SZ_EUlSY_E_NS1_11comp_targetILNS1_3genE8ELNS1_11target_archE1030ELNS1_3gpuE2ELNS1_3repE0EEENS1_30default_config_static_selectorELNS0_4arch9wavefront6targetE0EEEvT1_.num_vgpr, 0
	.set _ZN7rocprim17ROCPRIM_400000_NS6detail17trampoline_kernelINS0_14default_configENS1_27scan_by_key_config_selectorIj11FixedVectorIiLj8EEEEZZNS1_16scan_by_key_implILNS1_25lookback_scan_determinismE0ELb1ES3_N6thrust23THRUST_200600_302600_NS6detail15normal_iteratorINSB_10device_ptrIjEEEENSD_INSE_IS6_EEEESI_S6_NSB_4plusIvEENSB_8equal_toIvEES6_EE10hipError_tPvRmT2_T3_T4_T5_mT6_T7_P12ihipStream_tbENKUlT_T0_E_clISt17integral_constantIbLb1EES13_EEDaSY_SZ_EUlSY_E_NS1_11comp_targetILNS1_3genE8ELNS1_11target_archE1030ELNS1_3gpuE2ELNS1_3repE0EEENS1_30default_config_static_selectorELNS0_4arch9wavefront6targetE0EEEvT1_.num_agpr, 0
	.set _ZN7rocprim17ROCPRIM_400000_NS6detail17trampoline_kernelINS0_14default_configENS1_27scan_by_key_config_selectorIj11FixedVectorIiLj8EEEEZZNS1_16scan_by_key_implILNS1_25lookback_scan_determinismE0ELb1ES3_N6thrust23THRUST_200600_302600_NS6detail15normal_iteratorINSB_10device_ptrIjEEEENSD_INSE_IS6_EEEESI_S6_NSB_4plusIvEENSB_8equal_toIvEES6_EE10hipError_tPvRmT2_T3_T4_T5_mT6_T7_P12ihipStream_tbENKUlT_T0_E_clISt17integral_constantIbLb1EES13_EEDaSY_SZ_EUlSY_E_NS1_11comp_targetILNS1_3genE8ELNS1_11target_archE1030ELNS1_3gpuE2ELNS1_3repE0EEENS1_30default_config_static_selectorELNS0_4arch9wavefront6targetE0EEEvT1_.numbered_sgpr, 0
	.set _ZN7rocprim17ROCPRIM_400000_NS6detail17trampoline_kernelINS0_14default_configENS1_27scan_by_key_config_selectorIj11FixedVectorIiLj8EEEEZZNS1_16scan_by_key_implILNS1_25lookback_scan_determinismE0ELb1ES3_N6thrust23THRUST_200600_302600_NS6detail15normal_iteratorINSB_10device_ptrIjEEEENSD_INSE_IS6_EEEESI_S6_NSB_4plusIvEENSB_8equal_toIvEES6_EE10hipError_tPvRmT2_T3_T4_T5_mT6_T7_P12ihipStream_tbENKUlT_T0_E_clISt17integral_constantIbLb1EES13_EEDaSY_SZ_EUlSY_E_NS1_11comp_targetILNS1_3genE8ELNS1_11target_archE1030ELNS1_3gpuE2ELNS1_3repE0EEENS1_30default_config_static_selectorELNS0_4arch9wavefront6targetE0EEEvT1_.num_named_barrier, 0
	.set _ZN7rocprim17ROCPRIM_400000_NS6detail17trampoline_kernelINS0_14default_configENS1_27scan_by_key_config_selectorIj11FixedVectorIiLj8EEEEZZNS1_16scan_by_key_implILNS1_25lookback_scan_determinismE0ELb1ES3_N6thrust23THRUST_200600_302600_NS6detail15normal_iteratorINSB_10device_ptrIjEEEENSD_INSE_IS6_EEEESI_S6_NSB_4plusIvEENSB_8equal_toIvEES6_EE10hipError_tPvRmT2_T3_T4_T5_mT6_T7_P12ihipStream_tbENKUlT_T0_E_clISt17integral_constantIbLb1EES13_EEDaSY_SZ_EUlSY_E_NS1_11comp_targetILNS1_3genE8ELNS1_11target_archE1030ELNS1_3gpuE2ELNS1_3repE0EEENS1_30default_config_static_selectorELNS0_4arch9wavefront6targetE0EEEvT1_.private_seg_size, 0
	.set _ZN7rocprim17ROCPRIM_400000_NS6detail17trampoline_kernelINS0_14default_configENS1_27scan_by_key_config_selectorIj11FixedVectorIiLj8EEEEZZNS1_16scan_by_key_implILNS1_25lookback_scan_determinismE0ELb1ES3_N6thrust23THRUST_200600_302600_NS6detail15normal_iteratorINSB_10device_ptrIjEEEENSD_INSE_IS6_EEEESI_S6_NSB_4plusIvEENSB_8equal_toIvEES6_EE10hipError_tPvRmT2_T3_T4_T5_mT6_T7_P12ihipStream_tbENKUlT_T0_E_clISt17integral_constantIbLb1EES13_EEDaSY_SZ_EUlSY_E_NS1_11comp_targetILNS1_3genE8ELNS1_11target_archE1030ELNS1_3gpuE2ELNS1_3repE0EEENS1_30default_config_static_selectorELNS0_4arch9wavefront6targetE0EEEvT1_.uses_vcc, 0
	.set _ZN7rocprim17ROCPRIM_400000_NS6detail17trampoline_kernelINS0_14default_configENS1_27scan_by_key_config_selectorIj11FixedVectorIiLj8EEEEZZNS1_16scan_by_key_implILNS1_25lookback_scan_determinismE0ELb1ES3_N6thrust23THRUST_200600_302600_NS6detail15normal_iteratorINSB_10device_ptrIjEEEENSD_INSE_IS6_EEEESI_S6_NSB_4plusIvEENSB_8equal_toIvEES6_EE10hipError_tPvRmT2_T3_T4_T5_mT6_T7_P12ihipStream_tbENKUlT_T0_E_clISt17integral_constantIbLb1EES13_EEDaSY_SZ_EUlSY_E_NS1_11comp_targetILNS1_3genE8ELNS1_11target_archE1030ELNS1_3gpuE2ELNS1_3repE0EEENS1_30default_config_static_selectorELNS0_4arch9wavefront6targetE0EEEvT1_.uses_flat_scratch, 0
	.set _ZN7rocprim17ROCPRIM_400000_NS6detail17trampoline_kernelINS0_14default_configENS1_27scan_by_key_config_selectorIj11FixedVectorIiLj8EEEEZZNS1_16scan_by_key_implILNS1_25lookback_scan_determinismE0ELb1ES3_N6thrust23THRUST_200600_302600_NS6detail15normal_iteratorINSB_10device_ptrIjEEEENSD_INSE_IS6_EEEESI_S6_NSB_4plusIvEENSB_8equal_toIvEES6_EE10hipError_tPvRmT2_T3_T4_T5_mT6_T7_P12ihipStream_tbENKUlT_T0_E_clISt17integral_constantIbLb1EES13_EEDaSY_SZ_EUlSY_E_NS1_11comp_targetILNS1_3genE8ELNS1_11target_archE1030ELNS1_3gpuE2ELNS1_3repE0EEENS1_30default_config_static_selectorELNS0_4arch9wavefront6targetE0EEEvT1_.has_dyn_sized_stack, 0
	.set _ZN7rocprim17ROCPRIM_400000_NS6detail17trampoline_kernelINS0_14default_configENS1_27scan_by_key_config_selectorIj11FixedVectorIiLj8EEEEZZNS1_16scan_by_key_implILNS1_25lookback_scan_determinismE0ELb1ES3_N6thrust23THRUST_200600_302600_NS6detail15normal_iteratorINSB_10device_ptrIjEEEENSD_INSE_IS6_EEEESI_S6_NSB_4plusIvEENSB_8equal_toIvEES6_EE10hipError_tPvRmT2_T3_T4_T5_mT6_T7_P12ihipStream_tbENKUlT_T0_E_clISt17integral_constantIbLb1EES13_EEDaSY_SZ_EUlSY_E_NS1_11comp_targetILNS1_3genE8ELNS1_11target_archE1030ELNS1_3gpuE2ELNS1_3repE0EEENS1_30default_config_static_selectorELNS0_4arch9wavefront6targetE0EEEvT1_.has_recursion, 0
	.set _ZN7rocprim17ROCPRIM_400000_NS6detail17trampoline_kernelINS0_14default_configENS1_27scan_by_key_config_selectorIj11FixedVectorIiLj8EEEEZZNS1_16scan_by_key_implILNS1_25lookback_scan_determinismE0ELb1ES3_N6thrust23THRUST_200600_302600_NS6detail15normal_iteratorINSB_10device_ptrIjEEEENSD_INSE_IS6_EEEESI_S6_NSB_4plusIvEENSB_8equal_toIvEES6_EE10hipError_tPvRmT2_T3_T4_T5_mT6_T7_P12ihipStream_tbENKUlT_T0_E_clISt17integral_constantIbLb1EES13_EEDaSY_SZ_EUlSY_E_NS1_11comp_targetILNS1_3genE8ELNS1_11target_archE1030ELNS1_3gpuE2ELNS1_3repE0EEENS1_30default_config_static_selectorELNS0_4arch9wavefront6targetE0EEEvT1_.has_indirect_call, 0
	.section	.AMDGPU.csdata,"",@progbits
; Kernel info:
; codeLenInByte = 0
; TotalNumSgprs: 0
; NumVgprs: 0
; ScratchSize: 0
; MemoryBound: 0
; FloatMode: 240
; IeeeMode: 1
; LDSByteSize: 0 bytes/workgroup (compile time only)
; SGPRBlocks: 0
; VGPRBlocks: 0
; NumSGPRsForWavesPerEU: 1
; NumVGPRsForWavesPerEU: 1
; NamedBarCnt: 0
; Occupancy: 16
; WaveLimiterHint : 0
; COMPUTE_PGM_RSRC2:SCRATCH_EN: 0
; COMPUTE_PGM_RSRC2:USER_SGPR: 2
; COMPUTE_PGM_RSRC2:TRAP_HANDLER: 0
; COMPUTE_PGM_RSRC2:TGID_X_EN: 1
; COMPUTE_PGM_RSRC2:TGID_Y_EN: 0
; COMPUTE_PGM_RSRC2:TGID_Z_EN: 0
; COMPUTE_PGM_RSRC2:TIDIG_COMP_CNT: 0
	.section	.text._ZN7rocprim17ROCPRIM_400000_NS6detail17trampoline_kernelINS0_14default_configENS1_27scan_by_key_config_selectorIj11FixedVectorIiLj8EEEEZZNS1_16scan_by_key_implILNS1_25lookback_scan_determinismE0ELb1ES3_N6thrust23THRUST_200600_302600_NS6detail15normal_iteratorINSB_10device_ptrIjEEEENSD_INSE_IS6_EEEESI_S6_NSB_4plusIvEENSB_8equal_toIvEES6_EE10hipError_tPvRmT2_T3_T4_T5_mT6_T7_P12ihipStream_tbENKUlT_T0_E_clISt17integral_constantIbLb1EES12_IbLb0EEEEDaSY_SZ_EUlSY_E_NS1_11comp_targetILNS1_3genE0ELNS1_11target_archE4294967295ELNS1_3gpuE0ELNS1_3repE0EEENS1_30default_config_static_selectorELNS0_4arch9wavefront6targetE0EEEvT1_,"axG",@progbits,_ZN7rocprim17ROCPRIM_400000_NS6detail17trampoline_kernelINS0_14default_configENS1_27scan_by_key_config_selectorIj11FixedVectorIiLj8EEEEZZNS1_16scan_by_key_implILNS1_25lookback_scan_determinismE0ELb1ES3_N6thrust23THRUST_200600_302600_NS6detail15normal_iteratorINSB_10device_ptrIjEEEENSD_INSE_IS6_EEEESI_S6_NSB_4plusIvEENSB_8equal_toIvEES6_EE10hipError_tPvRmT2_T3_T4_T5_mT6_T7_P12ihipStream_tbENKUlT_T0_E_clISt17integral_constantIbLb1EES12_IbLb0EEEEDaSY_SZ_EUlSY_E_NS1_11comp_targetILNS1_3genE0ELNS1_11target_archE4294967295ELNS1_3gpuE0ELNS1_3repE0EEENS1_30default_config_static_selectorELNS0_4arch9wavefront6targetE0EEEvT1_,comdat
	.protected	_ZN7rocprim17ROCPRIM_400000_NS6detail17trampoline_kernelINS0_14default_configENS1_27scan_by_key_config_selectorIj11FixedVectorIiLj8EEEEZZNS1_16scan_by_key_implILNS1_25lookback_scan_determinismE0ELb1ES3_N6thrust23THRUST_200600_302600_NS6detail15normal_iteratorINSB_10device_ptrIjEEEENSD_INSE_IS6_EEEESI_S6_NSB_4plusIvEENSB_8equal_toIvEES6_EE10hipError_tPvRmT2_T3_T4_T5_mT6_T7_P12ihipStream_tbENKUlT_T0_E_clISt17integral_constantIbLb1EES12_IbLb0EEEEDaSY_SZ_EUlSY_E_NS1_11comp_targetILNS1_3genE0ELNS1_11target_archE4294967295ELNS1_3gpuE0ELNS1_3repE0EEENS1_30default_config_static_selectorELNS0_4arch9wavefront6targetE0EEEvT1_ ; -- Begin function _ZN7rocprim17ROCPRIM_400000_NS6detail17trampoline_kernelINS0_14default_configENS1_27scan_by_key_config_selectorIj11FixedVectorIiLj8EEEEZZNS1_16scan_by_key_implILNS1_25lookback_scan_determinismE0ELb1ES3_N6thrust23THRUST_200600_302600_NS6detail15normal_iteratorINSB_10device_ptrIjEEEENSD_INSE_IS6_EEEESI_S6_NSB_4plusIvEENSB_8equal_toIvEES6_EE10hipError_tPvRmT2_T3_T4_T5_mT6_T7_P12ihipStream_tbENKUlT_T0_E_clISt17integral_constantIbLb1EES12_IbLb0EEEEDaSY_SZ_EUlSY_E_NS1_11comp_targetILNS1_3genE0ELNS1_11target_archE4294967295ELNS1_3gpuE0ELNS1_3repE0EEENS1_30default_config_static_selectorELNS0_4arch9wavefront6targetE0EEEvT1_
	.globl	_ZN7rocprim17ROCPRIM_400000_NS6detail17trampoline_kernelINS0_14default_configENS1_27scan_by_key_config_selectorIj11FixedVectorIiLj8EEEEZZNS1_16scan_by_key_implILNS1_25lookback_scan_determinismE0ELb1ES3_N6thrust23THRUST_200600_302600_NS6detail15normal_iteratorINSB_10device_ptrIjEEEENSD_INSE_IS6_EEEESI_S6_NSB_4plusIvEENSB_8equal_toIvEES6_EE10hipError_tPvRmT2_T3_T4_T5_mT6_T7_P12ihipStream_tbENKUlT_T0_E_clISt17integral_constantIbLb1EES12_IbLb0EEEEDaSY_SZ_EUlSY_E_NS1_11comp_targetILNS1_3genE0ELNS1_11target_archE4294967295ELNS1_3gpuE0ELNS1_3repE0EEENS1_30default_config_static_selectorELNS0_4arch9wavefront6targetE0EEEvT1_
	.p2align	8
	.type	_ZN7rocprim17ROCPRIM_400000_NS6detail17trampoline_kernelINS0_14default_configENS1_27scan_by_key_config_selectorIj11FixedVectorIiLj8EEEEZZNS1_16scan_by_key_implILNS1_25lookback_scan_determinismE0ELb1ES3_N6thrust23THRUST_200600_302600_NS6detail15normal_iteratorINSB_10device_ptrIjEEEENSD_INSE_IS6_EEEESI_S6_NSB_4plusIvEENSB_8equal_toIvEES6_EE10hipError_tPvRmT2_T3_T4_T5_mT6_T7_P12ihipStream_tbENKUlT_T0_E_clISt17integral_constantIbLb1EES12_IbLb0EEEEDaSY_SZ_EUlSY_E_NS1_11comp_targetILNS1_3genE0ELNS1_11target_archE4294967295ELNS1_3gpuE0ELNS1_3repE0EEENS1_30default_config_static_selectorELNS0_4arch9wavefront6targetE0EEEvT1_,@function
_ZN7rocprim17ROCPRIM_400000_NS6detail17trampoline_kernelINS0_14default_configENS1_27scan_by_key_config_selectorIj11FixedVectorIiLj8EEEEZZNS1_16scan_by_key_implILNS1_25lookback_scan_determinismE0ELb1ES3_N6thrust23THRUST_200600_302600_NS6detail15normal_iteratorINSB_10device_ptrIjEEEENSD_INSE_IS6_EEEESI_S6_NSB_4plusIvEENSB_8equal_toIvEES6_EE10hipError_tPvRmT2_T3_T4_T5_mT6_T7_P12ihipStream_tbENKUlT_T0_E_clISt17integral_constantIbLb1EES12_IbLb0EEEEDaSY_SZ_EUlSY_E_NS1_11comp_targetILNS1_3genE0ELNS1_11target_archE4294967295ELNS1_3gpuE0ELNS1_3repE0EEENS1_30default_config_static_selectorELNS0_4arch9wavefront6targetE0EEEvT1_: ; @_ZN7rocprim17ROCPRIM_400000_NS6detail17trampoline_kernelINS0_14default_configENS1_27scan_by_key_config_selectorIj11FixedVectorIiLj8EEEEZZNS1_16scan_by_key_implILNS1_25lookback_scan_determinismE0ELb1ES3_N6thrust23THRUST_200600_302600_NS6detail15normal_iteratorINSB_10device_ptrIjEEEENSD_INSE_IS6_EEEESI_S6_NSB_4plusIvEENSB_8equal_toIvEES6_EE10hipError_tPvRmT2_T3_T4_T5_mT6_T7_P12ihipStream_tbENKUlT_T0_E_clISt17integral_constantIbLb1EES12_IbLb0EEEEDaSY_SZ_EUlSY_E_NS1_11comp_targetILNS1_3genE0ELNS1_11target_archE4294967295ELNS1_3gpuE0ELNS1_3repE0EEENS1_30default_config_static_selectorELNS0_4arch9wavefront6targetE0EEEvT1_
; %bb.0:
	s_endpgm
	.section	.rodata,"a",@progbits
	.p2align	6, 0x0
	.amdhsa_kernel _ZN7rocprim17ROCPRIM_400000_NS6detail17trampoline_kernelINS0_14default_configENS1_27scan_by_key_config_selectorIj11FixedVectorIiLj8EEEEZZNS1_16scan_by_key_implILNS1_25lookback_scan_determinismE0ELb1ES3_N6thrust23THRUST_200600_302600_NS6detail15normal_iteratorINSB_10device_ptrIjEEEENSD_INSE_IS6_EEEESI_S6_NSB_4plusIvEENSB_8equal_toIvEES6_EE10hipError_tPvRmT2_T3_T4_T5_mT6_T7_P12ihipStream_tbENKUlT_T0_E_clISt17integral_constantIbLb1EES12_IbLb0EEEEDaSY_SZ_EUlSY_E_NS1_11comp_targetILNS1_3genE0ELNS1_11target_archE4294967295ELNS1_3gpuE0ELNS1_3repE0EEENS1_30default_config_static_selectorELNS0_4arch9wavefront6targetE0EEEvT1_
		.amdhsa_group_segment_fixed_size 0
		.amdhsa_private_segment_fixed_size 0
		.amdhsa_kernarg_size 160
		.amdhsa_user_sgpr_count 2
		.amdhsa_user_sgpr_dispatch_ptr 0
		.amdhsa_user_sgpr_queue_ptr 0
		.amdhsa_user_sgpr_kernarg_segment_ptr 1
		.amdhsa_user_sgpr_dispatch_id 0
		.amdhsa_user_sgpr_kernarg_preload_length 0
		.amdhsa_user_sgpr_kernarg_preload_offset 0
		.amdhsa_user_sgpr_private_segment_size 0
		.amdhsa_wavefront_size32 1
		.amdhsa_uses_dynamic_stack 0
		.amdhsa_enable_private_segment 0
		.amdhsa_system_sgpr_workgroup_id_x 1
		.amdhsa_system_sgpr_workgroup_id_y 0
		.amdhsa_system_sgpr_workgroup_id_z 0
		.amdhsa_system_sgpr_workgroup_info 0
		.amdhsa_system_vgpr_workitem_id 0
		.amdhsa_next_free_vgpr 1
		.amdhsa_next_free_sgpr 1
		.amdhsa_named_barrier_count 0
		.amdhsa_reserve_vcc 0
		.amdhsa_float_round_mode_32 0
		.amdhsa_float_round_mode_16_64 0
		.amdhsa_float_denorm_mode_32 3
		.amdhsa_float_denorm_mode_16_64 3
		.amdhsa_fp16_overflow 0
		.amdhsa_memory_ordered 1
		.amdhsa_forward_progress 1
		.amdhsa_inst_pref_size 1
		.amdhsa_round_robin_scheduling 0
		.amdhsa_exception_fp_ieee_invalid_op 0
		.amdhsa_exception_fp_denorm_src 0
		.amdhsa_exception_fp_ieee_div_zero 0
		.amdhsa_exception_fp_ieee_overflow 0
		.amdhsa_exception_fp_ieee_underflow 0
		.amdhsa_exception_fp_ieee_inexact 0
		.amdhsa_exception_int_div_zero 0
	.end_amdhsa_kernel
	.section	.text._ZN7rocprim17ROCPRIM_400000_NS6detail17trampoline_kernelINS0_14default_configENS1_27scan_by_key_config_selectorIj11FixedVectorIiLj8EEEEZZNS1_16scan_by_key_implILNS1_25lookback_scan_determinismE0ELb1ES3_N6thrust23THRUST_200600_302600_NS6detail15normal_iteratorINSB_10device_ptrIjEEEENSD_INSE_IS6_EEEESI_S6_NSB_4plusIvEENSB_8equal_toIvEES6_EE10hipError_tPvRmT2_T3_T4_T5_mT6_T7_P12ihipStream_tbENKUlT_T0_E_clISt17integral_constantIbLb1EES12_IbLb0EEEEDaSY_SZ_EUlSY_E_NS1_11comp_targetILNS1_3genE0ELNS1_11target_archE4294967295ELNS1_3gpuE0ELNS1_3repE0EEENS1_30default_config_static_selectorELNS0_4arch9wavefront6targetE0EEEvT1_,"axG",@progbits,_ZN7rocprim17ROCPRIM_400000_NS6detail17trampoline_kernelINS0_14default_configENS1_27scan_by_key_config_selectorIj11FixedVectorIiLj8EEEEZZNS1_16scan_by_key_implILNS1_25lookback_scan_determinismE0ELb1ES3_N6thrust23THRUST_200600_302600_NS6detail15normal_iteratorINSB_10device_ptrIjEEEENSD_INSE_IS6_EEEESI_S6_NSB_4plusIvEENSB_8equal_toIvEES6_EE10hipError_tPvRmT2_T3_T4_T5_mT6_T7_P12ihipStream_tbENKUlT_T0_E_clISt17integral_constantIbLb1EES12_IbLb0EEEEDaSY_SZ_EUlSY_E_NS1_11comp_targetILNS1_3genE0ELNS1_11target_archE4294967295ELNS1_3gpuE0ELNS1_3repE0EEENS1_30default_config_static_selectorELNS0_4arch9wavefront6targetE0EEEvT1_,comdat
.Lfunc_end2175:
	.size	_ZN7rocprim17ROCPRIM_400000_NS6detail17trampoline_kernelINS0_14default_configENS1_27scan_by_key_config_selectorIj11FixedVectorIiLj8EEEEZZNS1_16scan_by_key_implILNS1_25lookback_scan_determinismE0ELb1ES3_N6thrust23THRUST_200600_302600_NS6detail15normal_iteratorINSB_10device_ptrIjEEEENSD_INSE_IS6_EEEESI_S6_NSB_4plusIvEENSB_8equal_toIvEES6_EE10hipError_tPvRmT2_T3_T4_T5_mT6_T7_P12ihipStream_tbENKUlT_T0_E_clISt17integral_constantIbLb1EES12_IbLb0EEEEDaSY_SZ_EUlSY_E_NS1_11comp_targetILNS1_3genE0ELNS1_11target_archE4294967295ELNS1_3gpuE0ELNS1_3repE0EEENS1_30default_config_static_selectorELNS0_4arch9wavefront6targetE0EEEvT1_, .Lfunc_end2175-_ZN7rocprim17ROCPRIM_400000_NS6detail17trampoline_kernelINS0_14default_configENS1_27scan_by_key_config_selectorIj11FixedVectorIiLj8EEEEZZNS1_16scan_by_key_implILNS1_25lookback_scan_determinismE0ELb1ES3_N6thrust23THRUST_200600_302600_NS6detail15normal_iteratorINSB_10device_ptrIjEEEENSD_INSE_IS6_EEEESI_S6_NSB_4plusIvEENSB_8equal_toIvEES6_EE10hipError_tPvRmT2_T3_T4_T5_mT6_T7_P12ihipStream_tbENKUlT_T0_E_clISt17integral_constantIbLb1EES12_IbLb0EEEEDaSY_SZ_EUlSY_E_NS1_11comp_targetILNS1_3genE0ELNS1_11target_archE4294967295ELNS1_3gpuE0ELNS1_3repE0EEENS1_30default_config_static_selectorELNS0_4arch9wavefront6targetE0EEEvT1_
                                        ; -- End function
	.set _ZN7rocprim17ROCPRIM_400000_NS6detail17trampoline_kernelINS0_14default_configENS1_27scan_by_key_config_selectorIj11FixedVectorIiLj8EEEEZZNS1_16scan_by_key_implILNS1_25lookback_scan_determinismE0ELb1ES3_N6thrust23THRUST_200600_302600_NS6detail15normal_iteratorINSB_10device_ptrIjEEEENSD_INSE_IS6_EEEESI_S6_NSB_4plusIvEENSB_8equal_toIvEES6_EE10hipError_tPvRmT2_T3_T4_T5_mT6_T7_P12ihipStream_tbENKUlT_T0_E_clISt17integral_constantIbLb1EES12_IbLb0EEEEDaSY_SZ_EUlSY_E_NS1_11comp_targetILNS1_3genE0ELNS1_11target_archE4294967295ELNS1_3gpuE0ELNS1_3repE0EEENS1_30default_config_static_selectorELNS0_4arch9wavefront6targetE0EEEvT1_.num_vgpr, 0
	.set _ZN7rocprim17ROCPRIM_400000_NS6detail17trampoline_kernelINS0_14default_configENS1_27scan_by_key_config_selectorIj11FixedVectorIiLj8EEEEZZNS1_16scan_by_key_implILNS1_25lookback_scan_determinismE0ELb1ES3_N6thrust23THRUST_200600_302600_NS6detail15normal_iteratorINSB_10device_ptrIjEEEENSD_INSE_IS6_EEEESI_S6_NSB_4plusIvEENSB_8equal_toIvEES6_EE10hipError_tPvRmT2_T3_T4_T5_mT6_T7_P12ihipStream_tbENKUlT_T0_E_clISt17integral_constantIbLb1EES12_IbLb0EEEEDaSY_SZ_EUlSY_E_NS1_11comp_targetILNS1_3genE0ELNS1_11target_archE4294967295ELNS1_3gpuE0ELNS1_3repE0EEENS1_30default_config_static_selectorELNS0_4arch9wavefront6targetE0EEEvT1_.num_agpr, 0
	.set _ZN7rocprim17ROCPRIM_400000_NS6detail17trampoline_kernelINS0_14default_configENS1_27scan_by_key_config_selectorIj11FixedVectorIiLj8EEEEZZNS1_16scan_by_key_implILNS1_25lookback_scan_determinismE0ELb1ES3_N6thrust23THRUST_200600_302600_NS6detail15normal_iteratorINSB_10device_ptrIjEEEENSD_INSE_IS6_EEEESI_S6_NSB_4plusIvEENSB_8equal_toIvEES6_EE10hipError_tPvRmT2_T3_T4_T5_mT6_T7_P12ihipStream_tbENKUlT_T0_E_clISt17integral_constantIbLb1EES12_IbLb0EEEEDaSY_SZ_EUlSY_E_NS1_11comp_targetILNS1_3genE0ELNS1_11target_archE4294967295ELNS1_3gpuE0ELNS1_3repE0EEENS1_30default_config_static_selectorELNS0_4arch9wavefront6targetE0EEEvT1_.numbered_sgpr, 0
	.set _ZN7rocprim17ROCPRIM_400000_NS6detail17trampoline_kernelINS0_14default_configENS1_27scan_by_key_config_selectorIj11FixedVectorIiLj8EEEEZZNS1_16scan_by_key_implILNS1_25lookback_scan_determinismE0ELb1ES3_N6thrust23THRUST_200600_302600_NS6detail15normal_iteratorINSB_10device_ptrIjEEEENSD_INSE_IS6_EEEESI_S6_NSB_4plusIvEENSB_8equal_toIvEES6_EE10hipError_tPvRmT2_T3_T4_T5_mT6_T7_P12ihipStream_tbENKUlT_T0_E_clISt17integral_constantIbLb1EES12_IbLb0EEEEDaSY_SZ_EUlSY_E_NS1_11comp_targetILNS1_3genE0ELNS1_11target_archE4294967295ELNS1_3gpuE0ELNS1_3repE0EEENS1_30default_config_static_selectorELNS0_4arch9wavefront6targetE0EEEvT1_.num_named_barrier, 0
	.set _ZN7rocprim17ROCPRIM_400000_NS6detail17trampoline_kernelINS0_14default_configENS1_27scan_by_key_config_selectorIj11FixedVectorIiLj8EEEEZZNS1_16scan_by_key_implILNS1_25lookback_scan_determinismE0ELb1ES3_N6thrust23THRUST_200600_302600_NS6detail15normal_iteratorINSB_10device_ptrIjEEEENSD_INSE_IS6_EEEESI_S6_NSB_4plusIvEENSB_8equal_toIvEES6_EE10hipError_tPvRmT2_T3_T4_T5_mT6_T7_P12ihipStream_tbENKUlT_T0_E_clISt17integral_constantIbLb1EES12_IbLb0EEEEDaSY_SZ_EUlSY_E_NS1_11comp_targetILNS1_3genE0ELNS1_11target_archE4294967295ELNS1_3gpuE0ELNS1_3repE0EEENS1_30default_config_static_selectorELNS0_4arch9wavefront6targetE0EEEvT1_.private_seg_size, 0
	.set _ZN7rocprim17ROCPRIM_400000_NS6detail17trampoline_kernelINS0_14default_configENS1_27scan_by_key_config_selectorIj11FixedVectorIiLj8EEEEZZNS1_16scan_by_key_implILNS1_25lookback_scan_determinismE0ELb1ES3_N6thrust23THRUST_200600_302600_NS6detail15normal_iteratorINSB_10device_ptrIjEEEENSD_INSE_IS6_EEEESI_S6_NSB_4plusIvEENSB_8equal_toIvEES6_EE10hipError_tPvRmT2_T3_T4_T5_mT6_T7_P12ihipStream_tbENKUlT_T0_E_clISt17integral_constantIbLb1EES12_IbLb0EEEEDaSY_SZ_EUlSY_E_NS1_11comp_targetILNS1_3genE0ELNS1_11target_archE4294967295ELNS1_3gpuE0ELNS1_3repE0EEENS1_30default_config_static_selectorELNS0_4arch9wavefront6targetE0EEEvT1_.uses_vcc, 0
	.set _ZN7rocprim17ROCPRIM_400000_NS6detail17trampoline_kernelINS0_14default_configENS1_27scan_by_key_config_selectorIj11FixedVectorIiLj8EEEEZZNS1_16scan_by_key_implILNS1_25lookback_scan_determinismE0ELb1ES3_N6thrust23THRUST_200600_302600_NS6detail15normal_iteratorINSB_10device_ptrIjEEEENSD_INSE_IS6_EEEESI_S6_NSB_4plusIvEENSB_8equal_toIvEES6_EE10hipError_tPvRmT2_T3_T4_T5_mT6_T7_P12ihipStream_tbENKUlT_T0_E_clISt17integral_constantIbLb1EES12_IbLb0EEEEDaSY_SZ_EUlSY_E_NS1_11comp_targetILNS1_3genE0ELNS1_11target_archE4294967295ELNS1_3gpuE0ELNS1_3repE0EEENS1_30default_config_static_selectorELNS0_4arch9wavefront6targetE0EEEvT1_.uses_flat_scratch, 0
	.set _ZN7rocprim17ROCPRIM_400000_NS6detail17trampoline_kernelINS0_14default_configENS1_27scan_by_key_config_selectorIj11FixedVectorIiLj8EEEEZZNS1_16scan_by_key_implILNS1_25lookback_scan_determinismE0ELb1ES3_N6thrust23THRUST_200600_302600_NS6detail15normal_iteratorINSB_10device_ptrIjEEEENSD_INSE_IS6_EEEESI_S6_NSB_4plusIvEENSB_8equal_toIvEES6_EE10hipError_tPvRmT2_T3_T4_T5_mT6_T7_P12ihipStream_tbENKUlT_T0_E_clISt17integral_constantIbLb1EES12_IbLb0EEEEDaSY_SZ_EUlSY_E_NS1_11comp_targetILNS1_3genE0ELNS1_11target_archE4294967295ELNS1_3gpuE0ELNS1_3repE0EEENS1_30default_config_static_selectorELNS0_4arch9wavefront6targetE0EEEvT1_.has_dyn_sized_stack, 0
	.set _ZN7rocprim17ROCPRIM_400000_NS6detail17trampoline_kernelINS0_14default_configENS1_27scan_by_key_config_selectorIj11FixedVectorIiLj8EEEEZZNS1_16scan_by_key_implILNS1_25lookback_scan_determinismE0ELb1ES3_N6thrust23THRUST_200600_302600_NS6detail15normal_iteratorINSB_10device_ptrIjEEEENSD_INSE_IS6_EEEESI_S6_NSB_4plusIvEENSB_8equal_toIvEES6_EE10hipError_tPvRmT2_T3_T4_T5_mT6_T7_P12ihipStream_tbENKUlT_T0_E_clISt17integral_constantIbLb1EES12_IbLb0EEEEDaSY_SZ_EUlSY_E_NS1_11comp_targetILNS1_3genE0ELNS1_11target_archE4294967295ELNS1_3gpuE0ELNS1_3repE0EEENS1_30default_config_static_selectorELNS0_4arch9wavefront6targetE0EEEvT1_.has_recursion, 0
	.set _ZN7rocprim17ROCPRIM_400000_NS6detail17trampoline_kernelINS0_14default_configENS1_27scan_by_key_config_selectorIj11FixedVectorIiLj8EEEEZZNS1_16scan_by_key_implILNS1_25lookback_scan_determinismE0ELb1ES3_N6thrust23THRUST_200600_302600_NS6detail15normal_iteratorINSB_10device_ptrIjEEEENSD_INSE_IS6_EEEESI_S6_NSB_4plusIvEENSB_8equal_toIvEES6_EE10hipError_tPvRmT2_T3_T4_T5_mT6_T7_P12ihipStream_tbENKUlT_T0_E_clISt17integral_constantIbLb1EES12_IbLb0EEEEDaSY_SZ_EUlSY_E_NS1_11comp_targetILNS1_3genE0ELNS1_11target_archE4294967295ELNS1_3gpuE0ELNS1_3repE0EEENS1_30default_config_static_selectorELNS0_4arch9wavefront6targetE0EEEvT1_.has_indirect_call, 0
	.section	.AMDGPU.csdata,"",@progbits
; Kernel info:
; codeLenInByte = 4
; TotalNumSgprs: 0
; NumVgprs: 0
; ScratchSize: 0
; MemoryBound: 0
; FloatMode: 240
; IeeeMode: 1
; LDSByteSize: 0 bytes/workgroup (compile time only)
; SGPRBlocks: 0
; VGPRBlocks: 0
; NumSGPRsForWavesPerEU: 1
; NumVGPRsForWavesPerEU: 1
; NamedBarCnt: 0
; Occupancy: 16
; WaveLimiterHint : 0
; COMPUTE_PGM_RSRC2:SCRATCH_EN: 0
; COMPUTE_PGM_RSRC2:USER_SGPR: 2
; COMPUTE_PGM_RSRC2:TRAP_HANDLER: 0
; COMPUTE_PGM_RSRC2:TGID_X_EN: 1
; COMPUTE_PGM_RSRC2:TGID_Y_EN: 0
; COMPUTE_PGM_RSRC2:TGID_Z_EN: 0
; COMPUTE_PGM_RSRC2:TIDIG_COMP_CNT: 0
	.section	.text._ZN7rocprim17ROCPRIM_400000_NS6detail17trampoline_kernelINS0_14default_configENS1_27scan_by_key_config_selectorIj11FixedVectorIiLj8EEEEZZNS1_16scan_by_key_implILNS1_25lookback_scan_determinismE0ELb1ES3_N6thrust23THRUST_200600_302600_NS6detail15normal_iteratorINSB_10device_ptrIjEEEENSD_INSE_IS6_EEEESI_S6_NSB_4plusIvEENSB_8equal_toIvEES6_EE10hipError_tPvRmT2_T3_T4_T5_mT6_T7_P12ihipStream_tbENKUlT_T0_E_clISt17integral_constantIbLb1EES12_IbLb0EEEEDaSY_SZ_EUlSY_E_NS1_11comp_targetILNS1_3genE10ELNS1_11target_archE1201ELNS1_3gpuE5ELNS1_3repE0EEENS1_30default_config_static_selectorELNS0_4arch9wavefront6targetE0EEEvT1_,"axG",@progbits,_ZN7rocprim17ROCPRIM_400000_NS6detail17trampoline_kernelINS0_14default_configENS1_27scan_by_key_config_selectorIj11FixedVectorIiLj8EEEEZZNS1_16scan_by_key_implILNS1_25lookback_scan_determinismE0ELb1ES3_N6thrust23THRUST_200600_302600_NS6detail15normal_iteratorINSB_10device_ptrIjEEEENSD_INSE_IS6_EEEESI_S6_NSB_4plusIvEENSB_8equal_toIvEES6_EE10hipError_tPvRmT2_T3_T4_T5_mT6_T7_P12ihipStream_tbENKUlT_T0_E_clISt17integral_constantIbLb1EES12_IbLb0EEEEDaSY_SZ_EUlSY_E_NS1_11comp_targetILNS1_3genE10ELNS1_11target_archE1201ELNS1_3gpuE5ELNS1_3repE0EEENS1_30default_config_static_selectorELNS0_4arch9wavefront6targetE0EEEvT1_,comdat
	.protected	_ZN7rocprim17ROCPRIM_400000_NS6detail17trampoline_kernelINS0_14default_configENS1_27scan_by_key_config_selectorIj11FixedVectorIiLj8EEEEZZNS1_16scan_by_key_implILNS1_25lookback_scan_determinismE0ELb1ES3_N6thrust23THRUST_200600_302600_NS6detail15normal_iteratorINSB_10device_ptrIjEEEENSD_INSE_IS6_EEEESI_S6_NSB_4plusIvEENSB_8equal_toIvEES6_EE10hipError_tPvRmT2_T3_T4_T5_mT6_T7_P12ihipStream_tbENKUlT_T0_E_clISt17integral_constantIbLb1EES12_IbLb0EEEEDaSY_SZ_EUlSY_E_NS1_11comp_targetILNS1_3genE10ELNS1_11target_archE1201ELNS1_3gpuE5ELNS1_3repE0EEENS1_30default_config_static_selectorELNS0_4arch9wavefront6targetE0EEEvT1_ ; -- Begin function _ZN7rocprim17ROCPRIM_400000_NS6detail17trampoline_kernelINS0_14default_configENS1_27scan_by_key_config_selectorIj11FixedVectorIiLj8EEEEZZNS1_16scan_by_key_implILNS1_25lookback_scan_determinismE0ELb1ES3_N6thrust23THRUST_200600_302600_NS6detail15normal_iteratorINSB_10device_ptrIjEEEENSD_INSE_IS6_EEEESI_S6_NSB_4plusIvEENSB_8equal_toIvEES6_EE10hipError_tPvRmT2_T3_T4_T5_mT6_T7_P12ihipStream_tbENKUlT_T0_E_clISt17integral_constantIbLb1EES12_IbLb0EEEEDaSY_SZ_EUlSY_E_NS1_11comp_targetILNS1_3genE10ELNS1_11target_archE1201ELNS1_3gpuE5ELNS1_3repE0EEENS1_30default_config_static_selectorELNS0_4arch9wavefront6targetE0EEEvT1_
	.globl	_ZN7rocprim17ROCPRIM_400000_NS6detail17trampoline_kernelINS0_14default_configENS1_27scan_by_key_config_selectorIj11FixedVectorIiLj8EEEEZZNS1_16scan_by_key_implILNS1_25lookback_scan_determinismE0ELb1ES3_N6thrust23THRUST_200600_302600_NS6detail15normal_iteratorINSB_10device_ptrIjEEEENSD_INSE_IS6_EEEESI_S6_NSB_4plusIvEENSB_8equal_toIvEES6_EE10hipError_tPvRmT2_T3_T4_T5_mT6_T7_P12ihipStream_tbENKUlT_T0_E_clISt17integral_constantIbLb1EES12_IbLb0EEEEDaSY_SZ_EUlSY_E_NS1_11comp_targetILNS1_3genE10ELNS1_11target_archE1201ELNS1_3gpuE5ELNS1_3repE0EEENS1_30default_config_static_selectorELNS0_4arch9wavefront6targetE0EEEvT1_
	.p2align	8
	.type	_ZN7rocprim17ROCPRIM_400000_NS6detail17trampoline_kernelINS0_14default_configENS1_27scan_by_key_config_selectorIj11FixedVectorIiLj8EEEEZZNS1_16scan_by_key_implILNS1_25lookback_scan_determinismE0ELb1ES3_N6thrust23THRUST_200600_302600_NS6detail15normal_iteratorINSB_10device_ptrIjEEEENSD_INSE_IS6_EEEESI_S6_NSB_4plusIvEENSB_8equal_toIvEES6_EE10hipError_tPvRmT2_T3_T4_T5_mT6_T7_P12ihipStream_tbENKUlT_T0_E_clISt17integral_constantIbLb1EES12_IbLb0EEEEDaSY_SZ_EUlSY_E_NS1_11comp_targetILNS1_3genE10ELNS1_11target_archE1201ELNS1_3gpuE5ELNS1_3repE0EEENS1_30default_config_static_selectorELNS0_4arch9wavefront6targetE0EEEvT1_,@function
_ZN7rocprim17ROCPRIM_400000_NS6detail17trampoline_kernelINS0_14default_configENS1_27scan_by_key_config_selectorIj11FixedVectorIiLj8EEEEZZNS1_16scan_by_key_implILNS1_25lookback_scan_determinismE0ELb1ES3_N6thrust23THRUST_200600_302600_NS6detail15normal_iteratorINSB_10device_ptrIjEEEENSD_INSE_IS6_EEEESI_S6_NSB_4plusIvEENSB_8equal_toIvEES6_EE10hipError_tPvRmT2_T3_T4_T5_mT6_T7_P12ihipStream_tbENKUlT_T0_E_clISt17integral_constantIbLb1EES12_IbLb0EEEEDaSY_SZ_EUlSY_E_NS1_11comp_targetILNS1_3genE10ELNS1_11target_archE1201ELNS1_3gpuE5ELNS1_3repE0EEENS1_30default_config_static_selectorELNS0_4arch9wavefront6targetE0EEEvT1_: ; @_ZN7rocprim17ROCPRIM_400000_NS6detail17trampoline_kernelINS0_14default_configENS1_27scan_by_key_config_selectorIj11FixedVectorIiLj8EEEEZZNS1_16scan_by_key_implILNS1_25lookback_scan_determinismE0ELb1ES3_N6thrust23THRUST_200600_302600_NS6detail15normal_iteratorINSB_10device_ptrIjEEEENSD_INSE_IS6_EEEESI_S6_NSB_4plusIvEENSB_8equal_toIvEES6_EE10hipError_tPvRmT2_T3_T4_T5_mT6_T7_P12ihipStream_tbENKUlT_T0_E_clISt17integral_constantIbLb1EES12_IbLb0EEEEDaSY_SZ_EUlSY_E_NS1_11comp_targetILNS1_3genE10ELNS1_11target_archE1201ELNS1_3gpuE5ELNS1_3repE0EEENS1_30default_config_static_selectorELNS0_4arch9wavefront6targetE0EEEvT1_
; %bb.0:
	.section	.rodata,"a",@progbits
	.p2align	6, 0x0
	.amdhsa_kernel _ZN7rocprim17ROCPRIM_400000_NS6detail17trampoline_kernelINS0_14default_configENS1_27scan_by_key_config_selectorIj11FixedVectorIiLj8EEEEZZNS1_16scan_by_key_implILNS1_25lookback_scan_determinismE0ELb1ES3_N6thrust23THRUST_200600_302600_NS6detail15normal_iteratorINSB_10device_ptrIjEEEENSD_INSE_IS6_EEEESI_S6_NSB_4plusIvEENSB_8equal_toIvEES6_EE10hipError_tPvRmT2_T3_T4_T5_mT6_T7_P12ihipStream_tbENKUlT_T0_E_clISt17integral_constantIbLb1EES12_IbLb0EEEEDaSY_SZ_EUlSY_E_NS1_11comp_targetILNS1_3genE10ELNS1_11target_archE1201ELNS1_3gpuE5ELNS1_3repE0EEENS1_30default_config_static_selectorELNS0_4arch9wavefront6targetE0EEEvT1_
		.amdhsa_group_segment_fixed_size 0
		.amdhsa_private_segment_fixed_size 0
		.amdhsa_kernarg_size 160
		.amdhsa_user_sgpr_count 2
		.amdhsa_user_sgpr_dispatch_ptr 0
		.amdhsa_user_sgpr_queue_ptr 0
		.amdhsa_user_sgpr_kernarg_segment_ptr 1
		.amdhsa_user_sgpr_dispatch_id 0
		.amdhsa_user_sgpr_kernarg_preload_length 0
		.amdhsa_user_sgpr_kernarg_preload_offset 0
		.amdhsa_user_sgpr_private_segment_size 0
		.amdhsa_wavefront_size32 1
		.amdhsa_uses_dynamic_stack 0
		.amdhsa_enable_private_segment 0
		.amdhsa_system_sgpr_workgroup_id_x 1
		.amdhsa_system_sgpr_workgroup_id_y 0
		.amdhsa_system_sgpr_workgroup_id_z 0
		.amdhsa_system_sgpr_workgroup_info 0
		.amdhsa_system_vgpr_workitem_id 0
		.amdhsa_next_free_vgpr 1
		.amdhsa_next_free_sgpr 1
		.amdhsa_named_barrier_count 0
		.amdhsa_reserve_vcc 0
		.amdhsa_float_round_mode_32 0
		.amdhsa_float_round_mode_16_64 0
		.amdhsa_float_denorm_mode_32 3
		.amdhsa_float_denorm_mode_16_64 3
		.amdhsa_fp16_overflow 0
		.amdhsa_memory_ordered 1
		.amdhsa_forward_progress 1
		.amdhsa_inst_pref_size 0
		.amdhsa_round_robin_scheduling 0
		.amdhsa_exception_fp_ieee_invalid_op 0
		.amdhsa_exception_fp_denorm_src 0
		.amdhsa_exception_fp_ieee_div_zero 0
		.amdhsa_exception_fp_ieee_overflow 0
		.amdhsa_exception_fp_ieee_underflow 0
		.amdhsa_exception_fp_ieee_inexact 0
		.amdhsa_exception_int_div_zero 0
	.end_amdhsa_kernel
	.section	.text._ZN7rocprim17ROCPRIM_400000_NS6detail17trampoline_kernelINS0_14default_configENS1_27scan_by_key_config_selectorIj11FixedVectorIiLj8EEEEZZNS1_16scan_by_key_implILNS1_25lookback_scan_determinismE0ELb1ES3_N6thrust23THRUST_200600_302600_NS6detail15normal_iteratorINSB_10device_ptrIjEEEENSD_INSE_IS6_EEEESI_S6_NSB_4plusIvEENSB_8equal_toIvEES6_EE10hipError_tPvRmT2_T3_T4_T5_mT6_T7_P12ihipStream_tbENKUlT_T0_E_clISt17integral_constantIbLb1EES12_IbLb0EEEEDaSY_SZ_EUlSY_E_NS1_11comp_targetILNS1_3genE10ELNS1_11target_archE1201ELNS1_3gpuE5ELNS1_3repE0EEENS1_30default_config_static_selectorELNS0_4arch9wavefront6targetE0EEEvT1_,"axG",@progbits,_ZN7rocprim17ROCPRIM_400000_NS6detail17trampoline_kernelINS0_14default_configENS1_27scan_by_key_config_selectorIj11FixedVectorIiLj8EEEEZZNS1_16scan_by_key_implILNS1_25lookback_scan_determinismE0ELb1ES3_N6thrust23THRUST_200600_302600_NS6detail15normal_iteratorINSB_10device_ptrIjEEEENSD_INSE_IS6_EEEESI_S6_NSB_4plusIvEENSB_8equal_toIvEES6_EE10hipError_tPvRmT2_T3_T4_T5_mT6_T7_P12ihipStream_tbENKUlT_T0_E_clISt17integral_constantIbLb1EES12_IbLb0EEEEDaSY_SZ_EUlSY_E_NS1_11comp_targetILNS1_3genE10ELNS1_11target_archE1201ELNS1_3gpuE5ELNS1_3repE0EEENS1_30default_config_static_selectorELNS0_4arch9wavefront6targetE0EEEvT1_,comdat
.Lfunc_end2176:
	.size	_ZN7rocprim17ROCPRIM_400000_NS6detail17trampoline_kernelINS0_14default_configENS1_27scan_by_key_config_selectorIj11FixedVectorIiLj8EEEEZZNS1_16scan_by_key_implILNS1_25lookback_scan_determinismE0ELb1ES3_N6thrust23THRUST_200600_302600_NS6detail15normal_iteratorINSB_10device_ptrIjEEEENSD_INSE_IS6_EEEESI_S6_NSB_4plusIvEENSB_8equal_toIvEES6_EE10hipError_tPvRmT2_T3_T4_T5_mT6_T7_P12ihipStream_tbENKUlT_T0_E_clISt17integral_constantIbLb1EES12_IbLb0EEEEDaSY_SZ_EUlSY_E_NS1_11comp_targetILNS1_3genE10ELNS1_11target_archE1201ELNS1_3gpuE5ELNS1_3repE0EEENS1_30default_config_static_selectorELNS0_4arch9wavefront6targetE0EEEvT1_, .Lfunc_end2176-_ZN7rocprim17ROCPRIM_400000_NS6detail17trampoline_kernelINS0_14default_configENS1_27scan_by_key_config_selectorIj11FixedVectorIiLj8EEEEZZNS1_16scan_by_key_implILNS1_25lookback_scan_determinismE0ELb1ES3_N6thrust23THRUST_200600_302600_NS6detail15normal_iteratorINSB_10device_ptrIjEEEENSD_INSE_IS6_EEEESI_S6_NSB_4plusIvEENSB_8equal_toIvEES6_EE10hipError_tPvRmT2_T3_T4_T5_mT6_T7_P12ihipStream_tbENKUlT_T0_E_clISt17integral_constantIbLb1EES12_IbLb0EEEEDaSY_SZ_EUlSY_E_NS1_11comp_targetILNS1_3genE10ELNS1_11target_archE1201ELNS1_3gpuE5ELNS1_3repE0EEENS1_30default_config_static_selectorELNS0_4arch9wavefront6targetE0EEEvT1_
                                        ; -- End function
	.set _ZN7rocprim17ROCPRIM_400000_NS6detail17trampoline_kernelINS0_14default_configENS1_27scan_by_key_config_selectorIj11FixedVectorIiLj8EEEEZZNS1_16scan_by_key_implILNS1_25lookback_scan_determinismE0ELb1ES3_N6thrust23THRUST_200600_302600_NS6detail15normal_iteratorINSB_10device_ptrIjEEEENSD_INSE_IS6_EEEESI_S6_NSB_4plusIvEENSB_8equal_toIvEES6_EE10hipError_tPvRmT2_T3_T4_T5_mT6_T7_P12ihipStream_tbENKUlT_T0_E_clISt17integral_constantIbLb1EES12_IbLb0EEEEDaSY_SZ_EUlSY_E_NS1_11comp_targetILNS1_3genE10ELNS1_11target_archE1201ELNS1_3gpuE5ELNS1_3repE0EEENS1_30default_config_static_selectorELNS0_4arch9wavefront6targetE0EEEvT1_.num_vgpr, 0
	.set _ZN7rocprim17ROCPRIM_400000_NS6detail17trampoline_kernelINS0_14default_configENS1_27scan_by_key_config_selectorIj11FixedVectorIiLj8EEEEZZNS1_16scan_by_key_implILNS1_25lookback_scan_determinismE0ELb1ES3_N6thrust23THRUST_200600_302600_NS6detail15normal_iteratorINSB_10device_ptrIjEEEENSD_INSE_IS6_EEEESI_S6_NSB_4plusIvEENSB_8equal_toIvEES6_EE10hipError_tPvRmT2_T3_T4_T5_mT6_T7_P12ihipStream_tbENKUlT_T0_E_clISt17integral_constantIbLb1EES12_IbLb0EEEEDaSY_SZ_EUlSY_E_NS1_11comp_targetILNS1_3genE10ELNS1_11target_archE1201ELNS1_3gpuE5ELNS1_3repE0EEENS1_30default_config_static_selectorELNS0_4arch9wavefront6targetE0EEEvT1_.num_agpr, 0
	.set _ZN7rocprim17ROCPRIM_400000_NS6detail17trampoline_kernelINS0_14default_configENS1_27scan_by_key_config_selectorIj11FixedVectorIiLj8EEEEZZNS1_16scan_by_key_implILNS1_25lookback_scan_determinismE0ELb1ES3_N6thrust23THRUST_200600_302600_NS6detail15normal_iteratorINSB_10device_ptrIjEEEENSD_INSE_IS6_EEEESI_S6_NSB_4plusIvEENSB_8equal_toIvEES6_EE10hipError_tPvRmT2_T3_T4_T5_mT6_T7_P12ihipStream_tbENKUlT_T0_E_clISt17integral_constantIbLb1EES12_IbLb0EEEEDaSY_SZ_EUlSY_E_NS1_11comp_targetILNS1_3genE10ELNS1_11target_archE1201ELNS1_3gpuE5ELNS1_3repE0EEENS1_30default_config_static_selectorELNS0_4arch9wavefront6targetE0EEEvT1_.numbered_sgpr, 0
	.set _ZN7rocprim17ROCPRIM_400000_NS6detail17trampoline_kernelINS0_14default_configENS1_27scan_by_key_config_selectorIj11FixedVectorIiLj8EEEEZZNS1_16scan_by_key_implILNS1_25lookback_scan_determinismE0ELb1ES3_N6thrust23THRUST_200600_302600_NS6detail15normal_iteratorINSB_10device_ptrIjEEEENSD_INSE_IS6_EEEESI_S6_NSB_4plusIvEENSB_8equal_toIvEES6_EE10hipError_tPvRmT2_T3_T4_T5_mT6_T7_P12ihipStream_tbENKUlT_T0_E_clISt17integral_constantIbLb1EES12_IbLb0EEEEDaSY_SZ_EUlSY_E_NS1_11comp_targetILNS1_3genE10ELNS1_11target_archE1201ELNS1_3gpuE5ELNS1_3repE0EEENS1_30default_config_static_selectorELNS0_4arch9wavefront6targetE0EEEvT1_.num_named_barrier, 0
	.set _ZN7rocprim17ROCPRIM_400000_NS6detail17trampoline_kernelINS0_14default_configENS1_27scan_by_key_config_selectorIj11FixedVectorIiLj8EEEEZZNS1_16scan_by_key_implILNS1_25lookback_scan_determinismE0ELb1ES3_N6thrust23THRUST_200600_302600_NS6detail15normal_iteratorINSB_10device_ptrIjEEEENSD_INSE_IS6_EEEESI_S6_NSB_4plusIvEENSB_8equal_toIvEES6_EE10hipError_tPvRmT2_T3_T4_T5_mT6_T7_P12ihipStream_tbENKUlT_T0_E_clISt17integral_constantIbLb1EES12_IbLb0EEEEDaSY_SZ_EUlSY_E_NS1_11comp_targetILNS1_3genE10ELNS1_11target_archE1201ELNS1_3gpuE5ELNS1_3repE0EEENS1_30default_config_static_selectorELNS0_4arch9wavefront6targetE0EEEvT1_.private_seg_size, 0
	.set _ZN7rocprim17ROCPRIM_400000_NS6detail17trampoline_kernelINS0_14default_configENS1_27scan_by_key_config_selectorIj11FixedVectorIiLj8EEEEZZNS1_16scan_by_key_implILNS1_25lookback_scan_determinismE0ELb1ES3_N6thrust23THRUST_200600_302600_NS6detail15normal_iteratorINSB_10device_ptrIjEEEENSD_INSE_IS6_EEEESI_S6_NSB_4plusIvEENSB_8equal_toIvEES6_EE10hipError_tPvRmT2_T3_T4_T5_mT6_T7_P12ihipStream_tbENKUlT_T0_E_clISt17integral_constantIbLb1EES12_IbLb0EEEEDaSY_SZ_EUlSY_E_NS1_11comp_targetILNS1_3genE10ELNS1_11target_archE1201ELNS1_3gpuE5ELNS1_3repE0EEENS1_30default_config_static_selectorELNS0_4arch9wavefront6targetE0EEEvT1_.uses_vcc, 0
	.set _ZN7rocprim17ROCPRIM_400000_NS6detail17trampoline_kernelINS0_14default_configENS1_27scan_by_key_config_selectorIj11FixedVectorIiLj8EEEEZZNS1_16scan_by_key_implILNS1_25lookback_scan_determinismE0ELb1ES3_N6thrust23THRUST_200600_302600_NS6detail15normal_iteratorINSB_10device_ptrIjEEEENSD_INSE_IS6_EEEESI_S6_NSB_4plusIvEENSB_8equal_toIvEES6_EE10hipError_tPvRmT2_T3_T4_T5_mT6_T7_P12ihipStream_tbENKUlT_T0_E_clISt17integral_constantIbLb1EES12_IbLb0EEEEDaSY_SZ_EUlSY_E_NS1_11comp_targetILNS1_3genE10ELNS1_11target_archE1201ELNS1_3gpuE5ELNS1_3repE0EEENS1_30default_config_static_selectorELNS0_4arch9wavefront6targetE0EEEvT1_.uses_flat_scratch, 0
	.set _ZN7rocprim17ROCPRIM_400000_NS6detail17trampoline_kernelINS0_14default_configENS1_27scan_by_key_config_selectorIj11FixedVectorIiLj8EEEEZZNS1_16scan_by_key_implILNS1_25lookback_scan_determinismE0ELb1ES3_N6thrust23THRUST_200600_302600_NS6detail15normal_iteratorINSB_10device_ptrIjEEEENSD_INSE_IS6_EEEESI_S6_NSB_4plusIvEENSB_8equal_toIvEES6_EE10hipError_tPvRmT2_T3_T4_T5_mT6_T7_P12ihipStream_tbENKUlT_T0_E_clISt17integral_constantIbLb1EES12_IbLb0EEEEDaSY_SZ_EUlSY_E_NS1_11comp_targetILNS1_3genE10ELNS1_11target_archE1201ELNS1_3gpuE5ELNS1_3repE0EEENS1_30default_config_static_selectorELNS0_4arch9wavefront6targetE0EEEvT1_.has_dyn_sized_stack, 0
	.set _ZN7rocprim17ROCPRIM_400000_NS6detail17trampoline_kernelINS0_14default_configENS1_27scan_by_key_config_selectorIj11FixedVectorIiLj8EEEEZZNS1_16scan_by_key_implILNS1_25lookback_scan_determinismE0ELb1ES3_N6thrust23THRUST_200600_302600_NS6detail15normal_iteratorINSB_10device_ptrIjEEEENSD_INSE_IS6_EEEESI_S6_NSB_4plusIvEENSB_8equal_toIvEES6_EE10hipError_tPvRmT2_T3_T4_T5_mT6_T7_P12ihipStream_tbENKUlT_T0_E_clISt17integral_constantIbLb1EES12_IbLb0EEEEDaSY_SZ_EUlSY_E_NS1_11comp_targetILNS1_3genE10ELNS1_11target_archE1201ELNS1_3gpuE5ELNS1_3repE0EEENS1_30default_config_static_selectorELNS0_4arch9wavefront6targetE0EEEvT1_.has_recursion, 0
	.set _ZN7rocprim17ROCPRIM_400000_NS6detail17trampoline_kernelINS0_14default_configENS1_27scan_by_key_config_selectorIj11FixedVectorIiLj8EEEEZZNS1_16scan_by_key_implILNS1_25lookback_scan_determinismE0ELb1ES3_N6thrust23THRUST_200600_302600_NS6detail15normal_iteratorINSB_10device_ptrIjEEEENSD_INSE_IS6_EEEESI_S6_NSB_4plusIvEENSB_8equal_toIvEES6_EE10hipError_tPvRmT2_T3_T4_T5_mT6_T7_P12ihipStream_tbENKUlT_T0_E_clISt17integral_constantIbLb1EES12_IbLb0EEEEDaSY_SZ_EUlSY_E_NS1_11comp_targetILNS1_3genE10ELNS1_11target_archE1201ELNS1_3gpuE5ELNS1_3repE0EEENS1_30default_config_static_selectorELNS0_4arch9wavefront6targetE0EEEvT1_.has_indirect_call, 0
	.section	.AMDGPU.csdata,"",@progbits
; Kernel info:
; codeLenInByte = 0
; TotalNumSgprs: 0
; NumVgprs: 0
; ScratchSize: 0
; MemoryBound: 0
; FloatMode: 240
; IeeeMode: 1
; LDSByteSize: 0 bytes/workgroup (compile time only)
; SGPRBlocks: 0
; VGPRBlocks: 0
; NumSGPRsForWavesPerEU: 1
; NumVGPRsForWavesPerEU: 1
; NamedBarCnt: 0
; Occupancy: 16
; WaveLimiterHint : 0
; COMPUTE_PGM_RSRC2:SCRATCH_EN: 0
; COMPUTE_PGM_RSRC2:USER_SGPR: 2
; COMPUTE_PGM_RSRC2:TRAP_HANDLER: 0
; COMPUTE_PGM_RSRC2:TGID_X_EN: 1
; COMPUTE_PGM_RSRC2:TGID_Y_EN: 0
; COMPUTE_PGM_RSRC2:TGID_Z_EN: 0
; COMPUTE_PGM_RSRC2:TIDIG_COMP_CNT: 0
	.section	.text._ZN7rocprim17ROCPRIM_400000_NS6detail17trampoline_kernelINS0_14default_configENS1_27scan_by_key_config_selectorIj11FixedVectorIiLj8EEEEZZNS1_16scan_by_key_implILNS1_25lookback_scan_determinismE0ELb1ES3_N6thrust23THRUST_200600_302600_NS6detail15normal_iteratorINSB_10device_ptrIjEEEENSD_INSE_IS6_EEEESI_S6_NSB_4plusIvEENSB_8equal_toIvEES6_EE10hipError_tPvRmT2_T3_T4_T5_mT6_T7_P12ihipStream_tbENKUlT_T0_E_clISt17integral_constantIbLb1EES12_IbLb0EEEEDaSY_SZ_EUlSY_E_NS1_11comp_targetILNS1_3genE5ELNS1_11target_archE942ELNS1_3gpuE9ELNS1_3repE0EEENS1_30default_config_static_selectorELNS0_4arch9wavefront6targetE0EEEvT1_,"axG",@progbits,_ZN7rocprim17ROCPRIM_400000_NS6detail17trampoline_kernelINS0_14default_configENS1_27scan_by_key_config_selectorIj11FixedVectorIiLj8EEEEZZNS1_16scan_by_key_implILNS1_25lookback_scan_determinismE0ELb1ES3_N6thrust23THRUST_200600_302600_NS6detail15normal_iteratorINSB_10device_ptrIjEEEENSD_INSE_IS6_EEEESI_S6_NSB_4plusIvEENSB_8equal_toIvEES6_EE10hipError_tPvRmT2_T3_T4_T5_mT6_T7_P12ihipStream_tbENKUlT_T0_E_clISt17integral_constantIbLb1EES12_IbLb0EEEEDaSY_SZ_EUlSY_E_NS1_11comp_targetILNS1_3genE5ELNS1_11target_archE942ELNS1_3gpuE9ELNS1_3repE0EEENS1_30default_config_static_selectorELNS0_4arch9wavefront6targetE0EEEvT1_,comdat
	.protected	_ZN7rocprim17ROCPRIM_400000_NS6detail17trampoline_kernelINS0_14default_configENS1_27scan_by_key_config_selectorIj11FixedVectorIiLj8EEEEZZNS1_16scan_by_key_implILNS1_25lookback_scan_determinismE0ELb1ES3_N6thrust23THRUST_200600_302600_NS6detail15normal_iteratorINSB_10device_ptrIjEEEENSD_INSE_IS6_EEEESI_S6_NSB_4plusIvEENSB_8equal_toIvEES6_EE10hipError_tPvRmT2_T3_T4_T5_mT6_T7_P12ihipStream_tbENKUlT_T0_E_clISt17integral_constantIbLb1EES12_IbLb0EEEEDaSY_SZ_EUlSY_E_NS1_11comp_targetILNS1_3genE5ELNS1_11target_archE942ELNS1_3gpuE9ELNS1_3repE0EEENS1_30default_config_static_selectorELNS0_4arch9wavefront6targetE0EEEvT1_ ; -- Begin function _ZN7rocprim17ROCPRIM_400000_NS6detail17trampoline_kernelINS0_14default_configENS1_27scan_by_key_config_selectorIj11FixedVectorIiLj8EEEEZZNS1_16scan_by_key_implILNS1_25lookback_scan_determinismE0ELb1ES3_N6thrust23THRUST_200600_302600_NS6detail15normal_iteratorINSB_10device_ptrIjEEEENSD_INSE_IS6_EEEESI_S6_NSB_4plusIvEENSB_8equal_toIvEES6_EE10hipError_tPvRmT2_T3_T4_T5_mT6_T7_P12ihipStream_tbENKUlT_T0_E_clISt17integral_constantIbLb1EES12_IbLb0EEEEDaSY_SZ_EUlSY_E_NS1_11comp_targetILNS1_3genE5ELNS1_11target_archE942ELNS1_3gpuE9ELNS1_3repE0EEENS1_30default_config_static_selectorELNS0_4arch9wavefront6targetE0EEEvT1_
	.globl	_ZN7rocprim17ROCPRIM_400000_NS6detail17trampoline_kernelINS0_14default_configENS1_27scan_by_key_config_selectorIj11FixedVectorIiLj8EEEEZZNS1_16scan_by_key_implILNS1_25lookback_scan_determinismE0ELb1ES3_N6thrust23THRUST_200600_302600_NS6detail15normal_iteratorINSB_10device_ptrIjEEEENSD_INSE_IS6_EEEESI_S6_NSB_4plusIvEENSB_8equal_toIvEES6_EE10hipError_tPvRmT2_T3_T4_T5_mT6_T7_P12ihipStream_tbENKUlT_T0_E_clISt17integral_constantIbLb1EES12_IbLb0EEEEDaSY_SZ_EUlSY_E_NS1_11comp_targetILNS1_3genE5ELNS1_11target_archE942ELNS1_3gpuE9ELNS1_3repE0EEENS1_30default_config_static_selectorELNS0_4arch9wavefront6targetE0EEEvT1_
	.p2align	8
	.type	_ZN7rocprim17ROCPRIM_400000_NS6detail17trampoline_kernelINS0_14default_configENS1_27scan_by_key_config_selectorIj11FixedVectorIiLj8EEEEZZNS1_16scan_by_key_implILNS1_25lookback_scan_determinismE0ELb1ES3_N6thrust23THRUST_200600_302600_NS6detail15normal_iteratorINSB_10device_ptrIjEEEENSD_INSE_IS6_EEEESI_S6_NSB_4plusIvEENSB_8equal_toIvEES6_EE10hipError_tPvRmT2_T3_T4_T5_mT6_T7_P12ihipStream_tbENKUlT_T0_E_clISt17integral_constantIbLb1EES12_IbLb0EEEEDaSY_SZ_EUlSY_E_NS1_11comp_targetILNS1_3genE5ELNS1_11target_archE942ELNS1_3gpuE9ELNS1_3repE0EEENS1_30default_config_static_selectorELNS0_4arch9wavefront6targetE0EEEvT1_,@function
_ZN7rocprim17ROCPRIM_400000_NS6detail17trampoline_kernelINS0_14default_configENS1_27scan_by_key_config_selectorIj11FixedVectorIiLj8EEEEZZNS1_16scan_by_key_implILNS1_25lookback_scan_determinismE0ELb1ES3_N6thrust23THRUST_200600_302600_NS6detail15normal_iteratorINSB_10device_ptrIjEEEENSD_INSE_IS6_EEEESI_S6_NSB_4plusIvEENSB_8equal_toIvEES6_EE10hipError_tPvRmT2_T3_T4_T5_mT6_T7_P12ihipStream_tbENKUlT_T0_E_clISt17integral_constantIbLb1EES12_IbLb0EEEEDaSY_SZ_EUlSY_E_NS1_11comp_targetILNS1_3genE5ELNS1_11target_archE942ELNS1_3gpuE9ELNS1_3repE0EEENS1_30default_config_static_selectorELNS0_4arch9wavefront6targetE0EEEvT1_: ; @_ZN7rocprim17ROCPRIM_400000_NS6detail17trampoline_kernelINS0_14default_configENS1_27scan_by_key_config_selectorIj11FixedVectorIiLj8EEEEZZNS1_16scan_by_key_implILNS1_25lookback_scan_determinismE0ELb1ES3_N6thrust23THRUST_200600_302600_NS6detail15normal_iteratorINSB_10device_ptrIjEEEENSD_INSE_IS6_EEEESI_S6_NSB_4plusIvEENSB_8equal_toIvEES6_EE10hipError_tPvRmT2_T3_T4_T5_mT6_T7_P12ihipStream_tbENKUlT_T0_E_clISt17integral_constantIbLb1EES12_IbLb0EEEEDaSY_SZ_EUlSY_E_NS1_11comp_targetILNS1_3genE5ELNS1_11target_archE942ELNS1_3gpuE9ELNS1_3repE0EEENS1_30default_config_static_selectorELNS0_4arch9wavefront6targetE0EEEvT1_
; %bb.0:
	.section	.rodata,"a",@progbits
	.p2align	6, 0x0
	.amdhsa_kernel _ZN7rocprim17ROCPRIM_400000_NS6detail17trampoline_kernelINS0_14default_configENS1_27scan_by_key_config_selectorIj11FixedVectorIiLj8EEEEZZNS1_16scan_by_key_implILNS1_25lookback_scan_determinismE0ELb1ES3_N6thrust23THRUST_200600_302600_NS6detail15normal_iteratorINSB_10device_ptrIjEEEENSD_INSE_IS6_EEEESI_S6_NSB_4plusIvEENSB_8equal_toIvEES6_EE10hipError_tPvRmT2_T3_T4_T5_mT6_T7_P12ihipStream_tbENKUlT_T0_E_clISt17integral_constantIbLb1EES12_IbLb0EEEEDaSY_SZ_EUlSY_E_NS1_11comp_targetILNS1_3genE5ELNS1_11target_archE942ELNS1_3gpuE9ELNS1_3repE0EEENS1_30default_config_static_selectorELNS0_4arch9wavefront6targetE0EEEvT1_
		.amdhsa_group_segment_fixed_size 0
		.amdhsa_private_segment_fixed_size 0
		.amdhsa_kernarg_size 160
		.amdhsa_user_sgpr_count 2
		.amdhsa_user_sgpr_dispatch_ptr 0
		.amdhsa_user_sgpr_queue_ptr 0
		.amdhsa_user_sgpr_kernarg_segment_ptr 1
		.amdhsa_user_sgpr_dispatch_id 0
		.amdhsa_user_sgpr_kernarg_preload_length 0
		.amdhsa_user_sgpr_kernarg_preload_offset 0
		.amdhsa_user_sgpr_private_segment_size 0
		.amdhsa_wavefront_size32 1
		.amdhsa_uses_dynamic_stack 0
		.amdhsa_enable_private_segment 0
		.amdhsa_system_sgpr_workgroup_id_x 1
		.amdhsa_system_sgpr_workgroup_id_y 0
		.amdhsa_system_sgpr_workgroup_id_z 0
		.amdhsa_system_sgpr_workgroup_info 0
		.amdhsa_system_vgpr_workitem_id 0
		.amdhsa_next_free_vgpr 1
		.amdhsa_next_free_sgpr 1
		.amdhsa_named_barrier_count 0
		.amdhsa_reserve_vcc 0
		.amdhsa_float_round_mode_32 0
		.amdhsa_float_round_mode_16_64 0
		.amdhsa_float_denorm_mode_32 3
		.amdhsa_float_denorm_mode_16_64 3
		.amdhsa_fp16_overflow 0
		.amdhsa_memory_ordered 1
		.amdhsa_forward_progress 1
		.amdhsa_inst_pref_size 0
		.amdhsa_round_robin_scheduling 0
		.amdhsa_exception_fp_ieee_invalid_op 0
		.amdhsa_exception_fp_denorm_src 0
		.amdhsa_exception_fp_ieee_div_zero 0
		.amdhsa_exception_fp_ieee_overflow 0
		.amdhsa_exception_fp_ieee_underflow 0
		.amdhsa_exception_fp_ieee_inexact 0
		.amdhsa_exception_int_div_zero 0
	.end_amdhsa_kernel
	.section	.text._ZN7rocprim17ROCPRIM_400000_NS6detail17trampoline_kernelINS0_14default_configENS1_27scan_by_key_config_selectorIj11FixedVectorIiLj8EEEEZZNS1_16scan_by_key_implILNS1_25lookback_scan_determinismE0ELb1ES3_N6thrust23THRUST_200600_302600_NS6detail15normal_iteratorINSB_10device_ptrIjEEEENSD_INSE_IS6_EEEESI_S6_NSB_4plusIvEENSB_8equal_toIvEES6_EE10hipError_tPvRmT2_T3_T4_T5_mT6_T7_P12ihipStream_tbENKUlT_T0_E_clISt17integral_constantIbLb1EES12_IbLb0EEEEDaSY_SZ_EUlSY_E_NS1_11comp_targetILNS1_3genE5ELNS1_11target_archE942ELNS1_3gpuE9ELNS1_3repE0EEENS1_30default_config_static_selectorELNS0_4arch9wavefront6targetE0EEEvT1_,"axG",@progbits,_ZN7rocprim17ROCPRIM_400000_NS6detail17trampoline_kernelINS0_14default_configENS1_27scan_by_key_config_selectorIj11FixedVectorIiLj8EEEEZZNS1_16scan_by_key_implILNS1_25lookback_scan_determinismE0ELb1ES3_N6thrust23THRUST_200600_302600_NS6detail15normal_iteratorINSB_10device_ptrIjEEEENSD_INSE_IS6_EEEESI_S6_NSB_4plusIvEENSB_8equal_toIvEES6_EE10hipError_tPvRmT2_T3_T4_T5_mT6_T7_P12ihipStream_tbENKUlT_T0_E_clISt17integral_constantIbLb1EES12_IbLb0EEEEDaSY_SZ_EUlSY_E_NS1_11comp_targetILNS1_3genE5ELNS1_11target_archE942ELNS1_3gpuE9ELNS1_3repE0EEENS1_30default_config_static_selectorELNS0_4arch9wavefront6targetE0EEEvT1_,comdat
.Lfunc_end2177:
	.size	_ZN7rocprim17ROCPRIM_400000_NS6detail17trampoline_kernelINS0_14default_configENS1_27scan_by_key_config_selectorIj11FixedVectorIiLj8EEEEZZNS1_16scan_by_key_implILNS1_25lookback_scan_determinismE0ELb1ES3_N6thrust23THRUST_200600_302600_NS6detail15normal_iteratorINSB_10device_ptrIjEEEENSD_INSE_IS6_EEEESI_S6_NSB_4plusIvEENSB_8equal_toIvEES6_EE10hipError_tPvRmT2_T3_T4_T5_mT6_T7_P12ihipStream_tbENKUlT_T0_E_clISt17integral_constantIbLb1EES12_IbLb0EEEEDaSY_SZ_EUlSY_E_NS1_11comp_targetILNS1_3genE5ELNS1_11target_archE942ELNS1_3gpuE9ELNS1_3repE0EEENS1_30default_config_static_selectorELNS0_4arch9wavefront6targetE0EEEvT1_, .Lfunc_end2177-_ZN7rocprim17ROCPRIM_400000_NS6detail17trampoline_kernelINS0_14default_configENS1_27scan_by_key_config_selectorIj11FixedVectorIiLj8EEEEZZNS1_16scan_by_key_implILNS1_25lookback_scan_determinismE0ELb1ES3_N6thrust23THRUST_200600_302600_NS6detail15normal_iteratorINSB_10device_ptrIjEEEENSD_INSE_IS6_EEEESI_S6_NSB_4plusIvEENSB_8equal_toIvEES6_EE10hipError_tPvRmT2_T3_T4_T5_mT6_T7_P12ihipStream_tbENKUlT_T0_E_clISt17integral_constantIbLb1EES12_IbLb0EEEEDaSY_SZ_EUlSY_E_NS1_11comp_targetILNS1_3genE5ELNS1_11target_archE942ELNS1_3gpuE9ELNS1_3repE0EEENS1_30default_config_static_selectorELNS0_4arch9wavefront6targetE0EEEvT1_
                                        ; -- End function
	.set _ZN7rocprim17ROCPRIM_400000_NS6detail17trampoline_kernelINS0_14default_configENS1_27scan_by_key_config_selectorIj11FixedVectorIiLj8EEEEZZNS1_16scan_by_key_implILNS1_25lookback_scan_determinismE0ELb1ES3_N6thrust23THRUST_200600_302600_NS6detail15normal_iteratorINSB_10device_ptrIjEEEENSD_INSE_IS6_EEEESI_S6_NSB_4plusIvEENSB_8equal_toIvEES6_EE10hipError_tPvRmT2_T3_T4_T5_mT6_T7_P12ihipStream_tbENKUlT_T0_E_clISt17integral_constantIbLb1EES12_IbLb0EEEEDaSY_SZ_EUlSY_E_NS1_11comp_targetILNS1_3genE5ELNS1_11target_archE942ELNS1_3gpuE9ELNS1_3repE0EEENS1_30default_config_static_selectorELNS0_4arch9wavefront6targetE0EEEvT1_.num_vgpr, 0
	.set _ZN7rocprim17ROCPRIM_400000_NS6detail17trampoline_kernelINS0_14default_configENS1_27scan_by_key_config_selectorIj11FixedVectorIiLj8EEEEZZNS1_16scan_by_key_implILNS1_25lookback_scan_determinismE0ELb1ES3_N6thrust23THRUST_200600_302600_NS6detail15normal_iteratorINSB_10device_ptrIjEEEENSD_INSE_IS6_EEEESI_S6_NSB_4plusIvEENSB_8equal_toIvEES6_EE10hipError_tPvRmT2_T3_T4_T5_mT6_T7_P12ihipStream_tbENKUlT_T0_E_clISt17integral_constantIbLb1EES12_IbLb0EEEEDaSY_SZ_EUlSY_E_NS1_11comp_targetILNS1_3genE5ELNS1_11target_archE942ELNS1_3gpuE9ELNS1_3repE0EEENS1_30default_config_static_selectorELNS0_4arch9wavefront6targetE0EEEvT1_.num_agpr, 0
	.set _ZN7rocprim17ROCPRIM_400000_NS6detail17trampoline_kernelINS0_14default_configENS1_27scan_by_key_config_selectorIj11FixedVectorIiLj8EEEEZZNS1_16scan_by_key_implILNS1_25lookback_scan_determinismE0ELb1ES3_N6thrust23THRUST_200600_302600_NS6detail15normal_iteratorINSB_10device_ptrIjEEEENSD_INSE_IS6_EEEESI_S6_NSB_4plusIvEENSB_8equal_toIvEES6_EE10hipError_tPvRmT2_T3_T4_T5_mT6_T7_P12ihipStream_tbENKUlT_T0_E_clISt17integral_constantIbLb1EES12_IbLb0EEEEDaSY_SZ_EUlSY_E_NS1_11comp_targetILNS1_3genE5ELNS1_11target_archE942ELNS1_3gpuE9ELNS1_3repE0EEENS1_30default_config_static_selectorELNS0_4arch9wavefront6targetE0EEEvT1_.numbered_sgpr, 0
	.set _ZN7rocprim17ROCPRIM_400000_NS6detail17trampoline_kernelINS0_14default_configENS1_27scan_by_key_config_selectorIj11FixedVectorIiLj8EEEEZZNS1_16scan_by_key_implILNS1_25lookback_scan_determinismE0ELb1ES3_N6thrust23THRUST_200600_302600_NS6detail15normal_iteratorINSB_10device_ptrIjEEEENSD_INSE_IS6_EEEESI_S6_NSB_4plusIvEENSB_8equal_toIvEES6_EE10hipError_tPvRmT2_T3_T4_T5_mT6_T7_P12ihipStream_tbENKUlT_T0_E_clISt17integral_constantIbLb1EES12_IbLb0EEEEDaSY_SZ_EUlSY_E_NS1_11comp_targetILNS1_3genE5ELNS1_11target_archE942ELNS1_3gpuE9ELNS1_3repE0EEENS1_30default_config_static_selectorELNS0_4arch9wavefront6targetE0EEEvT1_.num_named_barrier, 0
	.set _ZN7rocprim17ROCPRIM_400000_NS6detail17trampoline_kernelINS0_14default_configENS1_27scan_by_key_config_selectorIj11FixedVectorIiLj8EEEEZZNS1_16scan_by_key_implILNS1_25lookback_scan_determinismE0ELb1ES3_N6thrust23THRUST_200600_302600_NS6detail15normal_iteratorINSB_10device_ptrIjEEEENSD_INSE_IS6_EEEESI_S6_NSB_4plusIvEENSB_8equal_toIvEES6_EE10hipError_tPvRmT2_T3_T4_T5_mT6_T7_P12ihipStream_tbENKUlT_T0_E_clISt17integral_constantIbLb1EES12_IbLb0EEEEDaSY_SZ_EUlSY_E_NS1_11comp_targetILNS1_3genE5ELNS1_11target_archE942ELNS1_3gpuE9ELNS1_3repE0EEENS1_30default_config_static_selectorELNS0_4arch9wavefront6targetE0EEEvT1_.private_seg_size, 0
	.set _ZN7rocprim17ROCPRIM_400000_NS6detail17trampoline_kernelINS0_14default_configENS1_27scan_by_key_config_selectorIj11FixedVectorIiLj8EEEEZZNS1_16scan_by_key_implILNS1_25lookback_scan_determinismE0ELb1ES3_N6thrust23THRUST_200600_302600_NS6detail15normal_iteratorINSB_10device_ptrIjEEEENSD_INSE_IS6_EEEESI_S6_NSB_4plusIvEENSB_8equal_toIvEES6_EE10hipError_tPvRmT2_T3_T4_T5_mT6_T7_P12ihipStream_tbENKUlT_T0_E_clISt17integral_constantIbLb1EES12_IbLb0EEEEDaSY_SZ_EUlSY_E_NS1_11comp_targetILNS1_3genE5ELNS1_11target_archE942ELNS1_3gpuE9ELNS1_3repE0EEENS1_30default_config_static_selectorELNS0_4arch9wavefront6targetE0EEEvT1_.uses_vcc, 0
	.set _ZN7rocprim17ROCPRIM_400000_NS6detail17trampoline_kernelINS0_14default_configENS1_27scan_by_key_config_selectorIj11FixedVectorIiLj8EEEEZZNS1_16scan_by_key_implILNS1_25lookback_scan_determinismE0ELb1ES3_N6thrust23THRUST_200600_302600_NS6detail15normal_iteratorINSB_10device_ptrIjEEEENSD_INSE_IS6_EEEESI_S6_NSB_4plusIvEENSB_8equal_toIvEES6_EE10hipError_tPvRmT2_T3_T4_T5_mT6_T7_P12ihipStream_tbENKUlT_T0_E_clISt17integral_constantIbLb1EES12_IbLb0EEEEDaSY_SZ_EUlSY_E_NS1_11comp_targetILNS1_3genE5ELNS1_11target_archE942ELNS1_3gpuE9ELNS1_3repE0EEENS1_30default_config_static_selectorELNS0_4arch9wavefront6targetE0EEEvT1_.uses_flat_scratch, 0
	.set _ZN7rocprim17ROCPRIM_400000_NS6detail17trampoline_kernelINS0_14default_configENS1_27scan_by_key_config_selectorIj11FixedVectorIiLj8EEEEZZNS1_16scan_by_key_implILNS1_25lookback_scan_determinismE0ELb1ES3_N6thrust23THRUST_200600_302600_NS6detail15normal_iteratorINSB_10device_ptrIjEEEENSD_INSE_IS6_EEEESI_S6_NSB_4plusIvEENSB_8equal_toIvEES6_EE10hipError_tPvRmT2_T3_T4_T5_mT6_T7_P12ihipStream_tbENKUlT_T0_E_clISt17integral_constantIbLb1EES12_IbLb0EEEEDaSY_SZ_EUlSY_E_NS1_11comp_targetILNS1_3genE5ELNS1_11target_archE942ELNS1_3gpuE9ELNS1_3repE0EEENS1_30default_config_static_selectorELNS0_4arch9wavefront6targetE0EEEvT1_.has_dyn_sized_stack, 0
	.set _ZN7rocprim17ROCPRIM_400000_NS6detail17trampoline_kernelINS0_14default_configENS1_27scan_by_key_config_selectorIj11FixedVectorIiLj8EEEEZZNS1_16scan_by_key_implILNS1_25lookback_scan_determinismE0ELb1ES3_N6thrust23THRUST_200600_302600_NS6detail15normal_iteratorINSB_10device_ptrIjEEEENSD_INSE_IS6_EEEESI_S6_NSB_4plusIvEENSB_8equal_toIvEES6_EE10hipError_tPvRmT2_T3_T4_T5_mT6_T7_P12ihipStream_tbENKUlT_T0_E_clISt17integral_constantIbLb1EES12_IbLb0EEEEDaSY_SZ_EUlSY_E_NS1_11comp_targetILNS1_3genE5ELNS1_11target_archE942ELNS1_3gpuE9ELNS1_3repE0EEENS1_30default_config_static_selectorELNS0_4arch9wavefront6targetE0EEEvT1_.has_recursion, 0
	.set _ZN7rocprim17ROCPRIM_400000_NS6detail17trampoline_kernelINS0_14default_configENS1_27scan_by_key_config_selectorIj11FixedVectorIiLj8EEEEZZNS1_16scan_by_key_implILNS1_25lookback_scan_determinismE0ELb1ES3_N6thrust23THRUST_200600_302600_NS6detail15normal_iteratorINSB_10device_ptrIjEEEENSD_INSE_IS6_EEEESI_S6_NSB_4plusIvEENSB_8equal_toIvEES6_EE10hipError_tPvRmT2_T3_T4_T5_mT6_T7_P12ihipStream_tbENKUlT_T0_E_clISt17integral_constantIbLb1EES12_IbLb0EEEEDaSY_SZ_EUlSY_E_NS1_11comp_targetILNS1_3genE5ELNS1_11target_archE942ELNS1_3gpuE9ELNS1_3repE0EEENS1_30default_config_static_selectorELNS0_4arch9wavefront6targetE0EEEvT1_.has_indirect_call, 0
	.section	.AMDGPU.csdata,"",@progbits
; Kernel info:
; codeLenInByte = 0
; TotalNumSgprs: 0
; NumVgprs: 0
; ScratchSize: 0
; MemoryBound: 0
; FloatMode: 240
; IeeeMode: 1
; LDSByteSize: 0 bytes/workgroup (compile time only)
; SGPRBlocks: 0
; VGPRBlocks: 0
; NumSGPRsForWavesPerEU: 1
; NumVGPRsForWavesPerEU: 1
; NamedBarCnt: 0
; Occupancy: 16
; WaveLimiterHint : 0
; COMPUTE_PGM_RSRC2:SCRATCH_EN: 0
; COMPUTE_PGM_RSRC2:USER_SGPR: 2
; COMPUTE_PGM_RSRC2:TRAP_HANDLER: 0
; COMPUTE_PGM_RSRC2:TGID_X_EN: 1
; COMPUTE_PGM_RSRC2:TGID_Y_EN: 0
; COMPUTE_PGM_RSRC2:TGID_Z_EN: 0
; COMPUTE_PGM_RSRC2:TIDIG_COMP_CNT: 0
	.section	.text._ZN7rocprim17ROCPRIM_400000_NS6detail17trampoline_kernelINS0_14default_configENS1_27scan_by_key_config_selectorIj11FixedVectorIiLj8EEEEZZNS1_16scan_by_key_implILNS1_25lookback_scan_determinismE0ELb1ES3_N6thrust23THRUST_200600_302600_NS6detail15normal_iteratorINSB_10device_ptrIjEEEENSD_INSE_IS6_EEEESI_S6_NSB_4plusIvEENSB_8equal_toIvEES6_EE10hipError_tPvRmT2_T3_T4_T5_mT6_T7_P12ihipStream_tbENKUlT_T0_E_clISt17integral_constantIbLb1EES12_IbLb0EEEEDaSY_SZ_EUlSY_E_NS1_11comp_targetILNS1_3genE4ELNS1_11target_archE910ELNS1_3gpuE8ELNS1_3repE0EEENS1_30default_config_static_selectorELNS0_4arch9wavefront6targetE0EEEvT1_,"axG",@progbits,_ZN7rocprim17ROCPRIM_400000_NS6detail17trampoline_kernelINS0_14default_configENS1_27scan_by_key_config_selectorIj11FixedVectorIiLj8EEEEZZNS1_16scan_by_key_implILNS1_25lookback_scan_determinismE0ELb1ES3_N6thrust23THRUST_200600_302600_NS6detail15normal_iteratorINSB_10device_ptrIjEEEENSD_INSE_IS6_EEEESI_S6_NSB_4plusIvEENSB_8equal_toIvEES6_EE10hipError_tPvRmT2_T3_T4_T5_mT6_T7_P12ihipStream_tbENKUlT_T0_E_clISt17integral_constantIbLb1EES12_IbLb0EEEEDaSY_SZ_EUlSY_E_NS1_11comp_targetILNS1_3genE4ELNS1_11target_archE910ELNS1_3gpuE8ELNS1_3repE0EEENS1_30default_config_static_selectorELNS0_4arch9wavefront6targetE0EEEvT1_,comdat
	.protected	_ZN7rocprim17ROCPRIM_400000_NS6detail17trampoline_kernelINS0_14default_configENS1_27scan_by_key_config_selectorIj11FixedVectorIiLj8EEEEZZNS1_16scan_by_key_implILNS1_25lookback_scan_determinismE0ELb1ES3_N6thrust23THRUST_200600_302600_NS6detail15normal_iteratorINSB_10device_ptrIjEEEENSD_INSE_IS6_EEEESI_S6_NSB_4plusIvEENSB_8equal_toIvEES6_EE10hipError_tPvRmT2_T3_T4_T5_mT6_T7_P12ihipStream_tbENKUlT_T0_E_clISt17integral_constantIbLb1EES12_IbLb0EEEEDaSY_SZ_EUlSY_E_NS1_11comp_targetILNS1_3genE4ELNS1_11target_archE910ELNS1_3gpuE8ELNS1_3repE0EEENS1_30default_config_static_selectorELNS0_4arch9wavefront6targetE0EEEvT1_ ; -- Begin function _ZN7rocprim17ROCPRIM_400000_NS6detail17trampoline_kernelINS0_14default_configENS1_27scan_by_key_config_selectorIj11FixedVectorIiLj8EEEEZZNS1_16scan_by_key_implILNS1_25lookback_scan_determinismE0ELb1ES3_N6thrust23THRUST_200600_302600_NS6detail15normal_iteratorINSB_10device_ptrIjEEEENSD_INSE_IS6_EEEESI_S6_NSB_4plusIvEENSB_8equal_toIvEES6_EE10hipError_tPvRmT2_T3_T4_T5_mT6_T7_P12ihipStream_tbENKUlT_T0_E_clISt17integral_constantIbLb1EES12_IbLb0EEEEDaSY_SZ_EUlSY_E_NS1_11comp_targetILNS1_3genE4ELNS1_11target_archE910ELNS1_3gpuE8ELNS1_3repE0EEENS1_30default_config_static_selectorELNS0_4arch9wavefront6targetE0EEEvT1_
	.globl	_ZN7rocprim17ROCPRIM_400000_NS6detail17trampoline_kernelINS0_14default_configENS1_27scan_by_key_config_selectorIj11FixedVectorIiLj8EEEEZZNS1_16scan_by_key_implILNS1_25lookback_scan_determinismE0ELb1ES3_N6thrust23THRUST_200600_302600_NS6detail15normal_iteratorINSB_10device_ptrIjEEEENSD_INSE_IS6_EEEESI_S6_NSB_4plusIvEENSB_8equal_toIvEES6_EE10hipError_tPvRmT2_T3_T4_T5_mT6_T7_P12ihipStream_tbENKUlT_T0_E_clISt17integral_constantIbLb1EES12_IbLb0EEEEDaSY_SZ_EUlSY_E_NS1_11comp_targetILNS1_3genE4ELNS1_11target_archE910ELNS1_3gpuE8ELNS1_3repE0EEENS1_30default_config_static_selectorELNS0_4arch9wavefront6targetE0EEEvT1_
	.p2align	8
	.type	_ZN7rocprim17ROCPRIM_400000_NS6detail17trampoline_kernelINS0_14default_configENS1_27scan_by_key_config_selectorIj11FixedVectorIiLj8EEEEZZNS1_16scan_by_key_implILNS1_25lookback_scan_determinismE0ELb1ES3_N6thrust23THRUST_200600_302600_NS6detail15normal_iteratorINSB_10device_ptrIjEEEENSD_INSE_IS6_EEEESI_S6_NSB_4plusIvEENSB_8equal_toIvEES6_EE10hipError_tPvRmT2_T3_T4_T5_mT6_T7_P12ihipStream_tbENKUlT_T0_E_clISt17integral_constantIbLb1EES12_IbLb0EEEEDaSY_SZ_EUlSY_E_NS1_11comp_targetILNS1_3genE4ELNS1_11target_archE910ELNS1_3gpuE8ELNS1_3repE0EEENS1_30default_config_static_selectorELNS0_4arch9wavefront6targetE0EEEvT1_,@function
_ZN7rocprim17ROCPRIM_400000_NS6detail17trampoline_kernelINS0_14default_configENS1_27scan_by_key_config_selectorIj11FixedVectorIiLj8EEEEZZNS1_16scan_by_key_implILNS1_25lookback_scan_determinismE0ELb1ES3_N6thrust23THRUST_200600_302600_NS6detail15normal_iteratorINSB_10device_ptrIjEEEENSD_INSE_IS6_EEEESI_S6_NSB_4plusIvEENSB_8equal_toIvEES6_EE10hipError_tPvRmT2_T3_T4_T5_mT6_T7_P12ihipStream_tbENKUlT_T0_E_clISt17integral_constantIbLb1EES12_IbLb0EEEEDaSY_SZ_EUlSY_E_NS1_11comp_targetILNS1_3genE4ELNS1_11target_archE910ELNS1_3gpuE8ELNS1_3repE0EEENS1_30default_config_static_selectorELNS0_4arch9wavefront6targetE0EEEvT1_: ; @_ZN7rocprim17ROCPRIM_400000_NS6detail17trampoline_kernelINS0_14default_configENS1_27scan_by_key_config_selectorIj11FixedVectorIiLj8EEEEZZNS1_16scan_by_key_implILNS1_25lookback_scan_determinismE0ELb1ES3_N6thrust23THRUST_200600_302600_NS6detail15normal_iteratorINSB_10device_ptrIjEEEENSD_INSE_IS6_EEEESI_S6_NSB_4plusIvEENSB_8equal_toIvEES6_EE10hipError_tPvRmT2_T3_T4_T5_mT6_T7_P12ihipStream_tbENKUlT_T0_E_clISt17integral_constantIbLb1EES12_IbLb0EEEEDaSY_SZ_EUlSY_E_NS1_11comp_targetILNS1_3genE4ELNS1_11target_archE910ELNS1_3gpuE8ELNS1_3repE0EEENS1_30default_config_static_selectorELNS0_4arch9wavefront6targetE0EEEvT1_
; %bb.0:
	.section	.rodata,"a",@progbits
	.p2align	6, 0x0
	.amdhsa_kernel _ZN7rocprim17ROCPRIM_400000_NS6detail17trampoline_kernelINS0_14default_configENS1_27scan_by_key_config_selectorIj11FixedVectorIiLj8EEEEZZNS1_16scan_by_key_implILNS1_25lookback_scan_determinismE0ELb1ES3_N6thrust23THRUST_200600_302600_NS6detail15normal_iteratorINSB_10device_ptrIjEEEENSD_INSE_IS6_EEEESI_S6_NSB_4plusIvEENSB_8equal_toIvEES6_EE10hipError_tPvRmT2_T3_T4_T5_mT6_T7_P12ihipStream_tbENKUlT_T0_E_clISt17integral_constantIbLb1EES12_IbLb0EEEEDaSY_SZ_EUlSY_E_NS1_11comp_targetILNS1_3genE4ELNS1_11target_archE910ELNS1_3gpuE8ELNS1_3repE0EEENS1_30default_config_static_selectorELNS0_4arch9wavefront6targetE0EEEvT1_
		.amdhsa_group_segment_fixed_size 0
		.amdhsa_private_segment_fixed_size 0
		.amdhsa_kernarg_size 160
		.amdhsa_user_sgpr_count 2
		.amdhsa_user_sgpr_dispatch_ptr 0
		.amdhsa_user_sgpr_queue_ptr 0
		.amdhsa_user_sgpr_kernarg_segment_ptr 1
		.amdhsa_user_sgpr_dispatch_id 0
		.amdhsa_user_sgpr_kernarg_preload_length 0
		.amdhsa_user_sgpr_kernarg_preload_offset 0
		.amdhsa_user_sgpr_private_segment_size 0
		.amdhsa_wavefront_size32 1
		.amdhsa_uses_dynamic_stack 0
		.amdhsa_enable_private_segment 0
		.amdhsa_system_sgpr_workgroup_id_x 1
		.amdhsa_system_sgpr_workgroup_id_y 0
		.amdhsa_system_sgpr_workgroup_id_z 0
		.amdhsa_system_sgpr_workgroup_info 0
		.amdhsa_system_vgpr_workitem_id 0
		.amdhsa_next_free_vgpr 1
		.amdhsa_next_free_sgpr 1
		.amdhsa_named_barrier_count 0
		.amdhsa_reserve_vcc 0
		.amdhsa_float_round_mode_32 0
		.amdhsa_float_round_mode_16_64 0
		.amdhsa_float_denorm_mode_32 3
		.amdhsa_float_denorm_mode_16_64 3
		.amdhsa_fp16_overflow 0
		.amdhsa_memory_ordered 1
		.amdhsa_forward_progress 1
		.amdhsa_inst_pref_size 0
		.amdhsa_round_robin_scheduling 0
		.amdhsa_exception_fp_ieee_invalid_op 0
		.amdhsa_exception_fp_denorm_src 0
		.amdhsa_exception_fp_ieee_div_zero 0
		.amdhsa_exception_fp_ieee_overflow 0
		.amdhsa_exception_fp_ieee_underflow 0
		.amdhsa_exception_fp_ieee_inexact 0
		.amdhsa_exception_int_div_zero 0
	.end_amdhsa_kernel
	.section	.text._ZN7rocprim17ROCPRIM_400000_NS6detail17trampoline_kernelINS0_14default_configENS1_27scan_by_key_config_selectorIj11FixedVectorIiLj8EEEEZZNS1_16scan_by_key_implILNS1_25lookback_scan_determinismE0ELb1ES3_N6thrust23THRUST_200600_302600_NS6detail15normal_iteratorINSB_10device_ptrIjEEEENSD_INSE_IS6_EEEESI_S6_NSB_4plusIvEENSB_8equal_toIvEES6_EE10hipError_tPvRmT2_T3_T4_T5_mT6_T7_P12ihipStream_tbENKUlT_T0_E_clISt17integral_constantIbLb1EES12_IbLb0EEEEDaSY_SZ_EUlSY_E_NS1_11comp_targetILNS1_3genE4ELNS1_11target_archE910ELNS1_3gpuE8ELNS1_3repE0EEENS1_30default_config_static_selectorELNS0_4arch9wavefront6targetE0EEEvT1_,"axG",@progbits,_ZN7rocprim17ROCPRIM_400000_NS6detail17trampoline_kernelINS0_14default_configENS1_27scan_by_key_config_selectorIj11FixedVectorIiLj8EEEEZZNS1_16scan_by_key_implILNS1_25lookback_scan_determinismE0ELb1ES3_N6thrust23THRUST_200600_302600_NS6detail15normal_iteratorINSB_10device_ptrIjEEEENSD_INSE_IS6_EEEESI_S6_NSB_4plusIvEENSB_8equal_toIvEES6_EE10hipError_tPvRmT2_T3_T4_T5_mT6_T7_P12ihipStream_tbENKUlT_T0_E_clISt17integral_constantIbLb1EES12_IbLb0EEEEDaSY_SZ_EUlSY_E_NS1_11comp_targetILNS1_3genE4ELNS1_11target_archE910ELNS1_3gpuE8ELNS1_3repE0EEENS1_30default_config_static_selectorELNS0_4arch9wavefront6targetE0EEEvT1_,comdat
.Lfunc_end2178:
	.size	_ZN7rocprim17ROCPRIM_400000_NS6detail17trampoline_kernelINS0_14default_configENS1_27scan_by_key_config_selectorIj11FixedVectorIiLj8EEEEZZNS1_16scan_by_key_implILNS1_25lookback_scan_determinismE0ELb1ES3_N6thrust23THRUST_200600_302600_NS6detail15normal_iteratorINSB_10device_ptrIjEEEENSD_INSE_IS6_EEEESI_S6_NSB_4plusIvEENSB_8equal_toIvEES6_EE10hipError_tPvRmT2_T3_T4_T5_mT6_T7_P12ihipStream_tbENKUlT_T0_E_clISt17integral_constantIbLb1EES12_IbLb0EEEEDaSY_SZ_EUlSY_E_NS1_11comp_targetILNS1_3genE4ELNS1_11target_archE910ELNS1_3gpuE8ELNS1_3repE0EEENS1_30default_config_static_selectorELNS0_4arch9wavefront6targetE0EEEvT1_, .Lfunc_end2178-_ZN7rocprim17ROCPRIM_400000_NS6detail17trampoline_kernelINS0_14default_configENS1_27scan_by_key_config_selectorIj11FixedVectorIiLj8EEEEZZNS1_16scan_by_key_implILNS1_25lookback_scan_determinismE0ELb1ES3_N6thrust23THRUST_200600_302600_NS6detail15normal_iteratorINSB_10device_ptrIjEEEENSD_INSE_IS6_EEEESI_S6_NSB_4plusIvEENSB_8equal_toIvEES6_EE10hipError_tPvRmT2_T3_T4_T5_mT6_T7_P12ihipStream_tbENKUlT_T0_E_clISt17integral_constantIbLb1EES12_IbLb0EEEEDaSY_SZ_EUlSY_E_NS1_11comp_targetILNS1_3genE4ELNS1_11target_archE910ELNS1_3gpuE8ELNS1_3repE0EEENS1_30default_config_static_selectorELNS0_4arch9wavefront6targetE0EEEvT1_
                                        ; -- End function
	.set _ZN7rocprim17ROCPRIM_400000_NS6detail17trampoline_kernelINS0_14default_configENS1_27scan_by_key_config_selectorIj11FixedVectorIiLj8EEEEZZNS1_16scan_by_key_implILNS1_25lookback_scan_determinismE0ELb1ES3_N6thrust23THRUST_200600_302600_NS6detail15normal_iteratorINSB_10device_ptrIjEEEENSD_INSE_IS6_EEEESI_S6_NSB_4plusIvEENSB_8equal_toIvEES6_EE10hipError_tPvRmT2_T3_T4_T5_mT6_T7_P12ihipStream_tbENKUlT_T0_E_clISt17integral_constantIbLb1EES12_IbLb0EEEEDaSY_SZ_EUlSY_E_NS1_11comp_targetILNS1_3genE4ELNS1_11target_archE910ELNS1_3gpuE8ELNS1_3repE0EEENS1_30default_config_static_selectorELNS0_4arch9wavefront6targetE0EEEvT1_.num_vgpr, 0
	.set _ZN7rocprim17ROCPRIM_400000_NS6detail17trampoline_kernelINS0_14default_configENS1_27scan_by_key_config_selectorIj11FixedVectorIiLj8EEEEZZNS1_16scan_by_key_implILNS1_25lookback_scan_determinismE0ELb1ES3_N6thrust23THRUST_200600_302600_NS6detail15normal_iteratorINSB_10device_ptrIjEEEENSD_INSE_IS6_EEEESI_S6_NSB_4plusIvEENSB_8equal_toIvEES6_EE10hipError_tPvRmT2_T3_T4_T5_mT6_T7_P12ihipStream_tbENKUlT_T0_E_clISt17integral_constantIbLb1EES12_IbLb0EEEEDaSY_SZ_EUlSY_E_NS1_11comp_targetILNS1_3genE4ELNS1_11target_archE910ELNS1_3gpuE8ELNS1_3repE0EEENS1_30default_config_static_selectorELNS0_4arch9wavefront6targetE0EEEvT1_.num_agpr, 0
	.set _ZN7rocprim17ROCPRIM_400000_NS6detail17trampoline_kernelINS0_14default_configENS1_27scan_by_key_config_selectorIj11FixedVectorIiLj8EEEEZZNS1_16scan_by_key_implILNS1_25lookback_scan_determinismE0ELb1ES3_N6thrust23THRUST_200600_302600_NS6detail15normal_iteratorINSB_10device_ptrIjEEEENSD_INSE_IS6_EEEESI_S6_NSB_4plusIvEENSB_8equal_toIvEES6_EE10hipError_tPvRmT2_T3_T4_T5_mT6_T7_P12ihipStream_tbENKUlT_T0_E_clISt17integral_constantIbLb1EES12_IbLb0EEEEDaSY_SZ_EUlSY_E_NS1_11comp_targetILNS1_3genE4ELNS1_11target_archE910ELNS1_3gpuE8ELNS1_3repE0EEENS1_30default_config_static_selectorELNS0_4arch9wavefront6targetE0EEEvT1_.numbered_sgpr, 0
	.set _ZN7rocprim17ROCPRIM_400000_NS6detail17trampoline_kernelINS0_14default_configENS1_27scan_by_key_config_selectorIj11FixedVectorIiLj8EEEEZZNS1_16scan_by_key_implILNS1_25lookback_scan_determinismE0ELb1ES3_N6thrust23THRUST_200600_302600_NS6detail15normal_iteratorINSB_10device_ptrIjEEEENSD_INSE_IS6_EEEESI_S6_NSB_4plusIvEENSB_8equal_toIvEES6_EE10hipError_tPvRmT2_T3_T4_T5_mT6_T7_P12ihipStream_tbENKUlT_T0_E_clISt17integral_constantIbLb1EES12_IbLb0EEEEDaSY_SZ_EUlSY_E_NS1_11comp_targetILNS1_3genE4ELNS1_11target_archE910ELNS1_3gpuE8ELNS1_3repE0EEENS1_30default_config_static_selectorELNS0_4arch9wavefront6targetE0EEEvT1_.num_named_barrier, 0
	.set _ZN7rocprim17ROCPRIM_400000_NS6detail17trampoline_kernelINS0_14default_configENS1_27scan_by_key_config_selectorIj11FixedVectorIiLj8EEEEZZNS1_16scan_by_key_implILNS1_25lookback_scan_determinismE0ELb1ES3_N6thrust23THRUST_200600_302600_NS6detail15normal_iteratorINSB_10device_ptrIjEEEENSD_INSE_IS6_EEEESI_S6_NSB_4plusIvEENSB_8equal_toIvEES6_EE10hipError_tPvRmT2_T3_T4_T5_mT6_T7_P12ihipStream_tbENKUlT_T0_E_clISt17integral_constantIbLb1EES12_IbLb0EEEEDaSY_SZ_EUlSY_E_NS1_11comp_targetILNS1_3genE4ELNS1_11target_archE910ELNS1_3gpuE8ELNS1_3repE0EEENS1_30default_config_static_selectorELNS0_4arch9wavefront6targetE0EEEvT1_.private_seg_size, 0
	.set _ZN7rocprim17ROCPRIM_400000_NS6detail17trampoline_kernelINS0_14default_configENS1_27scan_by_key_config_selectorIj11FixedVectorIiLj8EEEEZZNS1_16scan_by_key_implILNS1_25lookback_scan_determinismE0ELb1ES3_N6thrust23THRUST_200600_302600_NS6detail15normal_iteratorINSB_10device_ptrIjEEEENSD_INSE_IS6_EEEESI_S6_NSB_4plusIvEENSB_8equal_toIvEES6_EE10hipError_tPvRmT2_T3_T4_T5_mT6_T7_P12ihipStream_tbENKUlT_T0_E_clISt17integral_constantIbLb1EES12_IbLb0EEEEDaSY_SZ_EUlSY_E_NS1_11comp_targetILNS1_3genE4ELNS1_11target_archE910ELNS1_3gpuE8ELNS1_3repE0EEENS1_30default_config_static_selectorELNS0_4arch9wavefront6targetE0EEEvT1_.uses_vcc, 0
	.set _ZN7rocprim17ROCPRIM_400000_NS6detail17trampoline_kernelINS0_14default_configENS1_27scan_by_key_config_selectorIj11FixedVectorIiLj8EEEEZZNS1_16scan_by_key_implILNS1_25lookback_scan_determinismE0ELb1ES3_N6thrust23THRUST_200600_302600_NS6detail15normal_iteratorINSB_10device_ptrIjEEEENSD_INSE_IS6_EEEESI_S6_NSB_4plusIvEENSB_8equal_toIvEES6_EE10hipError_tPvRmT2_T3_T4_T5_mT6_T7_P12ihipStream_tbENKUlT_T0_E_clISt17integral_constantIbLb1EES12_IbLb0EEEEDaSY_SZ_EUlSY_E_NS1_11comp_targetILNS1_3genE4ELNS1_11target_archE910ELNS1_3gpuE8ELNS1_3repE0EEENS1_30default_config_static_selectorELNS0_4arch9wavefront6targetE0EEEvT1_.uses_flat_scratch, 0
	.set _ZN7rocprim17ROCPRIM_400000_NS6detail17trampoline_kernelINS0_14default_configENS1_27scan_by_key_config_selectorIj11FixedVectorIiLj8EEEEZZNS1_16scan_by_key_implILNS1_25lookback_scan_determinismE0ELb1ES3_N6thrust23THRUST_200600_302600_NS6detail15normal_iteratorINSB_10device_ptrIjEEEENSD_INSE_IS6_EEEESI_S6_NSB_4plusIvEENSB_8equal_toIvEES6_EE10hipError_tPvRmT2_T3_T4_T5_mT6_T7_P12ihipStream_tbENKUlT_T0_E_clISt17integral_constantIbLb1EES12_IbLb0EEEEDaSY_SZ_EUlSY_E_NS1_11comp_targetILNS1_3genE4ELNS1_11target_archE910ELNS1_3gpuE8ELNS1_3repE0EEENS1_30default_config_static_selectorELNS0_4arch9wavefront6targetE0EEEvT1_.has_dyn_sized_stack, 0
	.set _ZN7rocprim17ROCPRIM_400000_NS6detail17trampoline_kernelINS0_14default_configENS1_27scan_by_key_config_selectorIj11FixedVectorIiLj8EEEEZZNS1_16scan_by_key_implILNS1_25lookback_scan_determinismE0ELb1ES3_N6thrust23THRUST_200600_302600_NS6detail15normal_iteratorINSB_10device_ptrIjEEEENSD_INSE_IS6_EEEESI_S6_NSB_4plusIvEENSB_8equal_toIvEES6_EE10hipError_tPvRmT2_T3_T4_T5_mT6_T7_P12ihipStream_tbENKUlT_T0_E_clISt17integral_constantIbLb1EES12_IbLb0EEEEDaSY_SZ_EUlSY_E_NS1_11comp_targetILNS1_3genE4ELNS1_11target_archE910ELNS1_3gpuE8ELNS1_3repE0EEENS1_30default_config_static_selectorELNS0_4arch9wavefront6targetE0EEEvT1_.has_recursion, 0
	.set _ZN7rocprim17ROCPRIM_400000_NS6detail17trampoline_kernelINS0_14default_configENS1_27scan_by_key_config_selectorIj11FixedVectorIiLj8EEEEZZNS1_16scan_by_key_implILNS1_25lookback_scan_determinismE0ELb1ES3_N6thrust23THRUST_200600_302600_NS6detail15normal_iteratorINSB_10device_ptrIjEEEENSD_INSE_IS6_EEEESI_S6_NSB_4plusIvEENSB_8equal_toIvEES6_EE10hipError_tPvRmT2_T3_T4_T5_mT6_T7_P12ihipStream_tbENKUlT_T0_E_clISt17integral_constantIbLb1EES12_IbLb0EEEEDaSY_SZ_EUlSY_E_NS1_11comp_targetILNS1_3genE4ELNS1_11target_archE910ELNS1_3gpuE8ELNS1_3repE0EEENS1_30default_config_static_selectorELNS0_4arch9wavefront6targetE0EEEvT1_.has_indirect_call, 0
	.section	.AMDGPU.csdata,"",@progbits
; Kernel info:
; codeLenInByte = 0
; TotalNumSgprs: 0
; NumVgprs: 0
; ScratchSize: 0
; MemoryBound: 0
; FloatMode: 240
; IeeeMode: 1
; LDSByteSize: 0 bytes/workgroup (compile time only)
; SGPRBlocks: 0
; VGPRBlocks: 0
; NumSGPRsForWavesPerEU: 1
; NumVGPRsForWavesPerEU: 1
; NamedBarCnt: 0
; Occupancy: 16
; WaveLimiterHint : 0
; COMPUTE_PGM_RSRC2:SCRATCH_EN: 0
; COMPUTE_PGM_RSRC2:USER_SGPR: 2
; COMPUTE_PGM_RSRC2:TRAP_HANDLER: 0
; COMPUTE_PGM_RSRC2:TGID_X_EN: 1
; COMPUTE_PGM_RSRC2:TGID_Y_EN: 0
; COMPUTE_PGM_RSRC2:TGID_Z_EN: 0
; COMPUTE_PGM_RSRC2:TIDIG_COMP_CNT: 0
	.section	.text._ZN7rocprim17ROCPRIM_400000_NS6detail17trampoline_kernelINS0_14default_configENS1_27scan_by_key_config_selectorIj11FixedVectorIiLj8EEEEZZNS1_16scan_by_key_implILNS1_25lookback_scan_determinismE0ELb1ES3_N6thrust23THRUST_200600_302600_NS6detail15normal_iteratorINSB_10device_ptrIjEEEENSD_INSE_IS6_EEEESI_S6_NSB_4plusIvEENSB_8equal_toIvEES6_EE10hipError_tPvRmT2_T3_T4_T5_mT6_T7_P12ihipStream_tbENKUlT_T0_E_clISt17integral_constantIbLb1EES12_IbLb0EEEEDaSY_SZ_EUlSY_E_NS1_11comp_targetILNS1_3genE3ELNS1_11target_archE908ELNS1_3gpuE7ELNS1_3repE0EEENS1_30default_config_static_selectorELNS0_4arch9wavefront6targetE0EEEvT1_,"axG",@progbits,_ZN7rocprim17ROCPRIM_400000_NS6detail17trampoline_kernelINS0_14default_configENS1_27scan_by_key_config_selectorIj11FixedVectorIiLj8EEEEZZNS1_16scan_by_key_implILNS1_25lookback_scan_determinismE0ELb1ES3_N6thrust23THRUST_200600_302600_NS6detail15normal_iteratorINSB_10device_ptrIjEEEENSD_INSE_IS6_EEEESI_S6_NSB_4plusIvEENSB_8equal_toIvEES6_EE10hipError_tPvRmT2_T3_T4_T5_mT6_T7_P12ihipStream_tbENKUlT_T0_E_clISt17integral_constantIbLb1EES12_IbLb0EEEEDaSY_SZ_EUlSY_E_NS1_11comp_targetILNS1_3genE3ELNS1_11target_archE908ELNS1_3gpuE7ELNS1_3repE0EEENS1_30default_config_static_selectorELNS0_4arch9wavefront6targetE0EEEvT1_,comdat
	.protected	_ZN7rocprim17ROCPRIM_400000_NS6detail17trampoline_kernelINS0_14default_configENS1_27scan_by_key_config_selectorIj11FixedVectorIiLj8EEEEZZNS1_16scan_by_key_implILNS1_25lookback_scan_determinismE0ELb1ES3_N6thrust23THRUST_200600_302600_NS6detail15normal_iteratorINSB_10device_ptrIjEEEENSD_INSE_IS6_EEEESI_S6_NSB_4plusIvEENSB_8equal_toIvEES6_EE10hipError_tPvRmT2_T3_T4_T5_mT6_T7_P12ihipStream_tbENKUlT_T0_E_clISt17integral_constantIbLb1EES12_IbLb0EEEEDaSY_SZ_EUlSY_E_NS1_11comp_targetILNS1_3genE3ELNS1_11target_archE908ELNS1_3gpuE7ELNS1_3repE0EEENS1_30default_config_static_selectorELNS0_4arch9wavefront6targetE0EEEvT1_ ; -- Begin function _ZN7rocprim17ROCPRIM_400000_NS6detail17trampoline_kernelINS0_14default_configENS1_27scan_by_key_config_selectorIj11FixedVectorIiLj8EEEEZZNS1_16scan_by_key_implILNS1_25lookback_scan_determinismE0ELb1ES3_N6thrust23THRUST_200600_302600_NS6detail15normal_iteratorINSB_10device_ptrIjEEEENSD_INSE_IS6_EEEESI_S6_NSB_4plusIvEENSB_8equal_toIvEES6_EE10hipError_tPvRmT2_T3_T4_T5_mT6_T7_P12ihipStream_tbENKUlT_T0_E_clISt17integral_constantIbLb1EES12_IbLb0EEEEDaSY_SZ_EUlSY_E_NS1_11comp_targetILNS1_3genE3ELNS1_11target_archE908ELNS1_3gpuE7ELNS1_3repE0EEENS1_30default_config_static_selectorELNS0_4arch9wavefront6targetE0EEEvT1_
	.globl	_ZN7rocprim17ROCPRIM_400000_NS6detail17trampoline_kernelINS0_14default_configENS1_27scan_by_key_config_selectorIj11FixedVectorIiLj8EEEEZZNS1_16scan_by_key_implILNS1_25lookback_scan_determinismE0ELb1ES3_N6thrust23THRUST_200600_302600_NS6detail15normal_iteratorINSB_10device_ptrIjEEEENSD_INSE_IS6_EEEESI_S6_NSB_4plusIvEENSB_8equal_toIvEES6_EE10hipError_tPvRmT2_T3_T4_T5_mT6_T7_P12ihipStream_tbENKUlT_T0_E_clISt17integral_constantIbLb1EES12_IbLb0EEEEDaSY_SZ_EUlSY_E_NS1_11comp_targetILNS1_3genE3ELNS1_11target_archE908ELNS1_3gpuE7ELNS1_3repE0EEENS1_30default_config_static_selectorELNS0_4arch9wavefront6targetE0EEEvT1_
	.p2align	8
	.type	_ZN7rocprim17ROCPRIM_400000_NS6detail17trampoline_kernelINS0_14default_configENS1_27scan_by_key_config_selectorIj11FixedVectorIiLj8EEEEZZNS1_16scan_by_key_implILNS1_25lookback_scan_determinismE0ELb1ES3_N6thrust23THRUST_200600_302600_NS6detail15normal_iteratorINSB_10device_ptrIjEEEENSD_INSE_IS6_EEEESI_S6_NSB_4plusIvEENSB_8equal_toIvEES6_EE10hipError_tPvRmT2_T3_T4_T5_mT6_T7_P12ihipStream_tbENKUlT_T0_E_clISt17integral_constantIbLb1EES12_IbLb0EEEEDaSY_SZ_EUlSY_E_NS1_11comp_targetILNS1_3genE3ELNS1_11target_archE908ELNS1_3gpuE7ELNS1_3repE0EEENS1_30default_config_static_selectorELNS0_4arch9wavefront6targetE0EEEvT1_,@function
_ZN7rocprim17ROCPRIM_400000_NS6detail17trampoline_kernelINS0_14default_configENS1_27scan_by_key_config_selectorIj11FixedVectorIiLj8EEEEZZNS1_16scan_by_key_implILNS1_25lookback_scan_determinismE0ELb1ES3_N6thrust23THRUST_200600_302600_NS6detail15normal_iteratorINSB_10device_ptrIjEEEENSD_INSE_IS6_EEEESI_S6_NSB_4plusIvEENSB_8equal_toIvEES6_EE10hipError_tPvRmT2_T3_T4_T5_mT6_T7_P12ihipStream_tbENKUlT_T0_E_clISt17integral_constantIbLb1EES12_IbLb0EEEEDaSY_SZ_EUlSY_E_NS1_11comp_targetILNS1_3genE3ELNS1_11target_archE908ELNS1_3gpuE7ELNS1_3repE0EEENS1_30default_config_static_selectorELNS0_4arch9wavefront6targetE0EEEvT1_: ; @_ZN7rocprim17ROCPRIM_400000_NS6detail17trampoline_kernelINS0_14default_configENS1_27scan_by_key_config_selectorIj11FixedVectorIiLj8EEEEZZNS1_16scan_by_key_implILNS1_25lookback_scan_determinismE0ELb1ES3_N6thrust23THRUST_200600_302600_NS6detail15normal_iteratorINSB_10device_ptrIjEEEENSD_INSE_IS6_EEEESI_S6_NSB_4plusIvEENSB_8equal_toIvEES6_EE10hipError_tPvRmT2_T3_T4_T5_mT6_T7_P12ihipStream_tbENKUlT_T0_E_clISt17integral_constantIbLb1EES12_IbLb0EEEEDaSY_SZ_EUlSY_E_NS1_11comp_targetILNS1_3genE3ELNS1_11target_archE908ELNS1_3gpuE7ELNS1_3repE0EEENS1_30default_config_static_selectorELNS0_4arch9wavefront6targetE0EEEvT1_
; %bb.0:
	.section	.rodata,"a",@progbits
	.p2align	6, 0x0
	.amdhsa_kernel _ZN7rocprim17ROCPRIM_400000_NS6detail17trampoline_kernelINS0_14default_configENS1_27scan_by_key_config_selectorIj11FixedVectorIiLj8EEEEZZNS1_16scan_by_key_implILNS1_25lookback_scan_determinismE0ELb1ES3_N6thrust23THRUST_200600_302600_NS6detail15normal_iteratorINSB_10device_ptrIjEEEENSD_INSE_IS6_EEEESI_S6_NSB_4plusIvEENSB_8equal_toIvEES6_EE10hipError_tPvRmT2_T3_T4_T5_mT6_T7_P12ihipStream_tbENKUlT_T0_E_clISt17integral_constantIbLb1EES12_IbLb0EEEEDaSY_SZ_EUlSY_E_NS1_11comp_targetILNS1_3genE3ELNS1_11target_archE908ELNS1_3gpuE7ELNS1_3repE0EEENS1_30default_config_static_selectorELNS0_4arch9wavefront6targetE0EEEvT1_
		.amdhsa_group_segment_fixed_size 0
		.amdhsa_private_segment_fixed_size 0
		.amdhsa_kernarg_size 160
		.amdhsa_user_sgpr_count 2
		.amdhsa_user_sgpr_dispatch_ptr 0
		.amdhsa_user_sgpr_queue_ptr 0
		.amdhsa_user_sgpr_kernarg_segment_ptr 1
		.amdhsa_user_sgpr_dispatch_id 0
		.amdhsa_user_sgpr_kernarg_preload_length 0
		.amdhsa_user_sgpr_kernarg_preload_offset 0
		.amdhsa_user_sgpr_private_segment_size 0
		.amdhsa_wavefront_size32 1
		.amdhsa_uses_dynamic_stack 0
		.amdhsa_enable_private_segment 0
		.amdhsa_system_sgpr_workgroup_id_x 1
		.amdhsa_system_sgpr_workgroup_id_y 0
		.amdhsa_system_sgpr_workgroup_id_z 0
		.amdhsa_system_sgpr_workgroup_info 0
		.amdhsa_system_vgpr_workitem_id 0
		.amdhsa_next_free_vgpr 1
		.amdhsa_next_free_sgpr 1
		.amdhsa_named_barrier_count 0
		.amdhsa_reserve_vcc 0
		.amdhsa_float_round_mode_32 0
		.amdhsa_float_round_mode_16_64 0
		.amdhsa_float_denorm_mode_32 3
		.amdhsa_float_denorm_mode_16_64 3
		.amdhsa_fp16_overflow 0
		.amdhsa_memory_ordered 1
		.amdhsa_forward_progress 1
		.amdhsa_inst_pref_size 0
		.amdhsa_round_robin_scheduling 0
		.amdhsa_exception_fp_ieee_invalid_op 0
		.amdhsa_exception_fp_denorm_src 0
		.amdhsa_exception_fp_ieee_div_zero 0
		.amdhsa_exception_fp_ieee_overflow 0
		.amdhsa_exception_fp_ieee_underflow 0
		.amdhsa_exception_fp_ieee_inexact 0
		.amdhsa_exception_int_div_zero 0
	.end_amdhsa_kernel
	.section	.text._ZN7rocprim17ROCPRIM_400000_NS6detail17trampoline_kernelINS0_14default_configENS1_27scan_by_key_config_selectorIj11FixedVectorIiLj8EEEEZZNS1_16scan_by_key_implILNS1_25lookback_scan_determinismE0ELb1ES3_N6thrust23THRUST_200600_302600_NS6detail15normal_iteratorINSB_10device_ptrIjEEEENSD_INSE_IS6_EEEESI_S6_NSB_4plusIvEENSB_8equal_toIvEES6_EE10hipError_tPvRmT2_T3_T4_T5_mT6_T7_P12ihipStream_tbENKUlT_T0_E_clISt17integral_constantIbLb1EES12_IbLb0EEEEDaSY_SZ_EUlSY_E_NS1_11comp_targetILNS1_3genE3ELNS1_11target_archE908ELNS1_3gpuE7ELNS1_3repE0EEENS1_30default_config_static_selectorELNS0_4arch9wavefront6targetE0EEEvT1_,"axG",@progbits,_ZN7rocprim17ROCPRIM_400000_NS6detail17trampoline_kernelINS0_14default_configENS1_27scan_by_key_config_selectorIj11FixedVectorIiLj8EEEEZZNS1_16scan_by_key_implILNS1_25lookback_scan_determinismE0ELb1ES3_N6thrust23THRUST_200600_302600_NS6detail15normal_iteratorINSB_10device_ptrIjEEEENSD_INSE_IS6_EEEESI_S6_NSB_4plusIvEENSB_8equal_toIvEES6_EE10hipError_tPvRmT2_T3_T4_T5_mT6_T7_P12ihipStream_tbENKUlT_T0_E_clISt17integral_constantIbLb1EES12_IbLb0EEEEDaSY_SZ_EUlSY_E_NS1_11comp_targetILNS1_3genE3ELNS1_11target_archE908ELNS1_3gpuE7ELNS1_3repE0EEENS1_30default_config_static_selectorELNS0_4arch9wavefront6targetE0EEEvT1_,comdat
.Lfunc_end2179:
	.size	_ZN7rocprim17ROCPRIM_400000_NS6detail17trampoline_kernelINS0_14default_configENS1_27scan_by_key_config_selectorIj11FixedVectorIiLj8EEEEZZNS1_16scan_by_key_implILNS1_25lookback_scan_determinismE0ELb1ES3_N6thrust23THRUST_200600_302600_NS6detail15normal_iteratorINSB_10device_ptrIjEEEENSD_INSE_IS6_EEEESI_S6_NSB_4plusIvEENSB_8equal_toIvEES6_EE10hipError_tPvRmT2_T3_T4_T5_mT6_T7_P12ihipStream_tbENKUlT_T0_E_clISt17integral_constantIbLb1EES12_IbLb0EEEEDaSY_SZ_EUlSY_E_NS1_11comp_targetILNS1_3genE3ELNS1_11target_archE908ELNS1_3gpuE7ELNS1_3repE0EEENS1_30default_config_static_selectorELNS0_4arch9wavefront6targetE0EEEvT1_, .Lfunc_end2179-_ZN7rocprim17ROCPRIM_400000_NS6detail17trampoline_kernelINS0_14default_configENS1_27scan_by_key_config_selectorIj11FixedVectorIiLj8EEEEZZNS1_16scan_by_key_implILNS1_25lookback_scan_determinismE0ELb1ES3_N6thrust23THRUST_200600_302600_NS6detail15normal_iteratorINSB_10device_ptrIjEEEENSD_INSE_IS6_EEEESI_S6_NSB_4plusIvEENSB_8equal_toIvEES6_EE10hipError_tPvRmT2_T3_T4_T5_mT6_T7_P12ihipStream_tbENKUlT_T0_E_clISt17integral_constantIbLb1EES12_IbLb0EEEEDaSY_SZ_EUlSY_E_NS1_11comp_targetILNS1_3genE3ELNS1_11target_archE908ELNS1_3gpuE7ELNS1_3repE0EEENS1_30default_config_static_selectorELNS0_4arch9wavefront6targetE0EEEvT1_
                                        ; -- End function
	.set _ZN7rocprim17ROCPRIM_400000_NS6detail17trampoline_kernelINS0_14default_configENS1_27scan_by_key_config_selectorIj11FixedVectorIiLj8EEEEZZNS1_16scan_by_key_implILNS1_25lookback_scan_determinismE0ELb1ES3_N6thrust23THRUST_200600_302600_NS6detail15normal_iteratorINSB_10device_ptrIjEEEENSD_INSE_IS6_EEEESI_S6_NSB_4plusIvEENSB_8equal_toIvEES6_EE10hipError_tPvRmT2_T3_T4_T5_mT6_T7_P12ihipStream_tbENKUlT_T0_E_clISt17integral_constantIbLb1EES12_IbLb0EEEEDaSY_SZ_EUlSY_E_NS1_11comp_targetILNS1_3genE3ELNS1_11target_archE908ELNS1_3gpuE7ELNS1_3repE0EEENS1_30default_config_static_selectorELNS0_4arch9wavefront6targetE0EEEvT1_.num_vgpr, 0
	.set _ZN7rocprim17ROCPRIM_400000_NS6detail17trampoline_kernelINS0_14default_configENS1_27scan_by_key_config_selectorIj11FixedVectorIiLj8EEEEZZNS1_16scan_by_key_implILNS1_25lookback_scan_determinismE0ELb1ES3_N6thrust23THRUST_200600_302600_NS6detail15normal_iteratorINSB_10device_ptrIjEEEENSD_INSE_IS6_EEEESI_S6_NSB_4plusIvEENSB_8equal_toIvEES6_EE10hipError_tPvRmT2_T3_T4_T5_mT6_T7_P12ihipStream_tbENKUlT_T0_E_clISt17integral_constantIbLb1EES12_IbLb0EEEEDaSY_SZ_EUlSY_E_NS1_11comp_targetILNS1_3genE3ELNS1_11target_archE908ELNS1_3gpuE7ELNS1_3repE0EEENS1_30default_config_static_selectorELNS0_4arch9wavefront6targetE0EEEvT1_.num_agpr, 0
	.set _ZN7rocprim17ROCPRIM_400000_NS6detail17trampoline_kernelINS0_14default_configENS1_27scan_by_key_config_selectorIj11FixedVectorIiLj8EEEEZZNS1_16scan_by_key_implILNS1_25lookback_scan_determinismE0ELb1ES3_N6thrust23THRUST_200600_302600_NS6detail15normal_iteratorINSB_10device_ptrIjEEEENSD_INSE_IS6_EEEESI_S6_NSB_4plusIvEENSB_8equal_toIvEES6_EE10hipError_tPvRmT2_T3_T4_T5_mT6_T7_P12ihipStream_tbENKUlT_T0_E_clISt17integral_constantIbLb1EES12_IbLb0EEEEDaSY_SZ_EUlSY_E_NS1_11comp_targetILNS1_3genE3ELNS1_11target_archE908ELNS1_3gpuE7ELNS1_3repE0EEENS1_30default_config_static_selectorELNS0_4arch9wavefront6targetE0EEEvT1_.numbered_sgpr, 0
	.set _ZN7rocprim17ROCPRIM_400000_NS6detail17trampoline_kernelINS0_14default_configENS1_27scan_by_key_config_selectorIj11FixedVectorIiLj8EEEEZZNS1_16scan_by_key_implILNS1_25lookback_scan_determinismE0ELb1ES3_N6thrust23THRUST_200600_302600_NS6detail15normal_iteratorINSB_10device_ptrIjEEEENSD_INSE_IS6_EEEESI_S6_NSB_4plusIvEENSB_8equal_toIvEES6_EE10hipError_tPvRmT2_T3_T4_T5_mT6_T7_P12ihipStream_tbENKUlT_T0_E_clISt17integral_constantIbLb1EES12_IbLb0EEEEDaSY_SZ_EUlSY_E_NS1_11comp_targetILNS1_3genE3ELNS1_11target_archE908ELNS1_3gpuE7ELNS1_3repE0EEENS1_30default_config_static_selectorELNS0_4arch9wavefront6targetE0EEEvT1_.num_named_barrier, 0
	.set _ZN7rocprim17ROCPRIM_400000_NS6detail17trampoline_kernelINS0_14default_configENS1_27scan_by_key_config_selectorIj11FixedVectorIiLj8EEEEZZNS1_16scan_by_key_implILNS1_25lookback_scan_determinismE0ELb1ES3_N6thrust23THRUST_200600_302600_NS6detail15normal_iteratorINSB_10device_ptrIjEEEENSD_INSE_IS6_EEEESI_S6_NSB_4plusIvEENSB_8equal_toIvEES6_EE10hipError_tPvRmT2_T3_T4_T5_mT6_T7_P12ihipStream_tbENKUlT_T0_E_clISt17integral_constantIbLb1EES12_IbLb0EEEEDaSY_SZ_EUlSY_E_NS1_11comp_targetILNS1_3genE3ELNS1_11target_archE908ELNS1_3gpuE7ELNS1_3repE0EEENS1_30default_config_static_selectorELNS0_4arch9wavefront6targetE0EEEvT1_.private_seg_size, 0
	.set _ZN7rocprim17ROCPRIM_400000_NS6detail17trampoline_kernelINS0_14default_configENS1_27scan_by_key_config_selectorIj11FixedVectorIiLj8EEEEZZNS1_16scan_by_key_implILNS1_25lookback_scan_determinismE0ELb1ES3_N6thrust23THRUST_200600_302600_NS6detail15normal_iteratorINSB_10device_ptrIjEEEENSD_INSE_IS6_EEEESI_S6_NSB_4plusIvEENSB_8equal_toIvEES6_EE10hipError_tPvRmT2_T3_T4_T5_mT6_T7_P12ihipStream_tbENKUlT_T0_E_clISt17integral_constantIbLb1EES12_IbLb0EEEEDaSY_SZ_EUlSY_E_NS1_11comp_targetILNS1_3genE3ELNS1_11target_archE908ELNS1_3gpuE7ELNS1_3repE0EEENS1_30default_config_static_selectorELNS0_4arch9wavefront6targetE0EEEvT1_.uses_vcc, 0
	.set _ZN7rocprim17ROCPRIM_400000_NS6detail17trampoline_kernelINS0_14default_configENS1_27scan_by_key_config_selectorIj11FixedVectorIiLj8EEEEZZNS1_16scan_by_key_implILNS1_25lookback_scan_determinismE0ELb1ES3_N6thrust23THRUST_200600_302600_NS6detail15normal_iteratorINSB_10device_ptrIjEEEENSD_INSE_IS6_EEEESI_S6_NSB_4plusIvEENSB_8equal_toIvEES6_EE10hipError_tPvRmT2_T3_T4_T5_mT6_T7_P12ihipStream_tbENKUlT_T0_E_clISt17integral_constantIbLb1EES12_IbLb0EEEEDaSY_SZ_EUlSY_E_NS1_11comp_targetILNS1_3genE3ELNS1_11target_archE908ELNS1_3gpuE7ELNS1_3repE0EEENS1_30default_config_static_selectorELNS0_4arch9wavefront6targetE0EEEvT1_.uses_flat_scratch, 0
	.set _ZN7rocprim17ROCPRIM_400000_NS6detail17trampoline_kernelINS0_14default_configENS1_27scan_by_key_config_selectorIj11FixedVectorIiLj8EEEEZZNS1_16scan_by_key_implILNS1_25lookback_scan_determinismE0ELb1ES3_N6thrust23THRUST_200600_302600_NS6detail15normal_iteratorINSB_10device_ptrIjEEEENSD_INSE_IS6_EEEESI_S6_NSB_4plusIvEENSB_8equal_toIvEES6_EE10hipError_tPvRmT2_T3_T4_T5_mT6_T7_P12ihipStream_tbENKUlT_T0_E_clISt17integral_constantIbLb1EES12_IbLb0EEEEDaSY_SZ_EUlSY_E_NS1_11comp_targetILNS1_3genE3ELNS1_11target_archE908ELNS1_3gpuE7ELNS1_3repE0EEENS1_30default_config_static_selectorELNS0_4arch9wavefront6targetE0EEEvT1_.has_dyn_sized_stack, 0
	.set _ZN7rocprim17ROCPRIM_400000_NS6detail17trampoline_kernelINS0_14default_configENS1_27scan_by_key_config_selectorIj11FixedVectorIiLj8EEEEZZNS1_16scan_by_key_implILNS1_25lookback_scan_determinismE0ELb1ES3_N6thrust23THRUST_200600_302600_NS6detail15normal_iteratorINSB_10device_ptrIjEEEENSD_INSE_IS6_EEEESI_S6_NSB_4plusIvEENSB_8equal_toIvEES6_EE10hipError_tPvRmT2_T3_T4_T5_mT6_T7_P12ihipStream_tbENKUlT_T0_E_clISt17integral_constantIbLb1EES12_IbLb0EEEEDaSY_SZ_EUlSY_E_NS1_11comp_targetILNS1_3genE3ELNS1_11target_archE908ELNS1_3gpuE7ELNS1_3repE0EEENS1_30default_config_static_selectorELNS0_4arch9wavefront6targetE0EEEvT1_.has_recursion, 0
	.set _ZN7rocprim17ROCPRIM_400000_NS6detail17trampoline_kernelINS0_14default_configENS1_27scan_by_key_config_selectorIj11FixedVectorIiLj8EEEEZZNS1_16scan_by_key_implILNS1_25lookback_scan_determinismE0ELb1ES3_N6thrust23THRUST_200600_302600_NS6detail15normal_iteratorINSB_10device_ptrIjEEEENSD_INSE_IS6_EEEESI_S6_NSB_4plusIvEENSB_8equal_toIvEES6_EE10hipError_tPvRmT2_T3_T4_T5_mT6_T7_P12ihipStream_tbENKUlT_T0_E_clISt17integral_constantIbLb1EES12_IbLb0EEEEDaSY_SZ_EUlSY_E_NS1_11comp_targetILNS1_3genE3ELNS1_11target_archE908ELNS1_3gpuE7ELNS1_3repE0EEENS1_30default_config_static_selectorELNS0_4arch9wavefront6targetE0EEEvT1_.has_indirect_call, 0
	.section	.AMDGPU.csdata,"",@progbits
; Kernel info:
; codeLenInByte = 0
; TotalNumSgprs: 0
; NumVgprs: 0
; ScratchSize: 0
; MemoryBound: 0
; FloatMode: 240
; IeeeMode: 1
; LDSByteSize: 0 bytes/workgroup (compile time only)
; SGPRBlocks: 0
; VGPRBlocks: 0
; NumSGPRsForWavesPerEU: 1
; NumVGPRsForWavesPerEU: 1
; NamedBarCnt: 0
; Occupancy: 16
; WaveLimiterHint : 0
; COMPUTE_PGM_RSRC2:SCRATCH_EN: 0
; COMPUTE_PGM_RSRC2:USER_SGPR: 2
; COMPUTE_PGM_RSRC2:TRAP_HANDLER: 0
; COMPUTE_PGM_RSRC2:TGID_X_EN: 1
; COMPUTE_PGM_RSRC2:TGID_Y_EN: 0
; COMPUTE_PGM_RSRC2:TGID_Z_EN: 0
; COMPUTE_PGM_RSRC2:TIDIG_COMP_CNT: 0
	.section	.text._ZN7rocprim17ROCPRIM_400000_NS6detail17trampoline_kernelINS0_14default_configENS1_27scan_by_key_config_selectorIj11FixedVectorIiLj8EEEEZZNS1_16scan_by_key_implILNS1_25lookback_scan_determinismE0ELb1ES3_N6thrust23THRUST_200600_302600_NS6detail15normal_iteratorINSB_10device_ptrIjEEEENSD_INSE_IS6_EEEESI_S6_NSB_4plusIvEENSB_8equal_toIvEES6_EE10hipError_tPvRmT2_T3_T4_T5_mT6_T7_P12ihipStream_tbENKUlT_T0_E_clISt17integral_constantIbLb1EES12_IbLb0EEEEDaSY_SZ_EUlSY_E_NS1_11comp_targetILNS1_3genE2ELNS1_11target_archE906ELNS1_3gpuE6ELNS1_3repE0EEENS1_30default_config_static_selectorELNS0_4arch9wavefront6targetE0EEEvT1_,"axG",@progbits,_ZN7rocprim17ROCPRIM_400000_NS6detail17trampoline_kernelINS0_14default_configENS1_27scan_by_key_config_selectorIj11FixedVectorIiLj8EEEEZZNS1_16scan_by_key_implILNS1_25lookback_scan_determinismE0ELb1ES3_N6thrust23THRUST_200600_302600_NS6detail15normal_iteratorINSB_10device_ptrIjEEEENSD_INSE_IS6_EEEESI_S6_NSB_4plusIvEENSB_8equal_toIvEES6_EE10hipError_tPvRmT2_T3_T4_T5_mT6_T7_P12ihipStream_tbENKUlT_T0_E_clISt17integral_constantIbLb1EES12_IbLb0EEEEDaSY_SZ_EUlSY_E_NS1_11comp_targetILNS1_3genE2ELNS1_11target_archE906ELNS1_3gpuE6ELNS1_3repE0EEENS1_30default_config_static_selectorELNS0_4arch9wavefront6targetE0EEEvT1_,comdat
	.protected	_ZN7rocprim17ROCPRIM_400000_NS6detail17trampoline_kernelINS0_14default_configENS1_27scan_by_key_config_selectorIj11FixedVectorIiLj8EEEEZZNS1_16scan_by_key_implILNS1_25lookback_scan_determinismE0ELb1ES3_N6thrust23THRUST_200600_302600_NS6detail15normal_iteratorINSB_10device_ptrIjEEEENSD_INSE_IS6_EEEESI_S6_NSB_4plusIvEENSB_8equal_toIvEES6_EE10hipError_tPvRmT2_T3_T4_T5_mT6_T7_P12ihipStream_tbENKUlT_T0_E_clISt17integral_constantIbLb1EES12_IbLb0EEEEDaSY_SZ_EUlSY_E_NS1_11comp_targetILNS1_3genE2ELNS1_11target_archE906ELNS1_3gpuE6ELNS1_3repE0EEENS1_30default_config_static_selectorELNS0_4arch9wavefront6targetE0EEEvT1_ ; -- Begin function _ZN7rocprim17ROCPRIM_400000_NS6detail17trampoline_kernelINS0_14default_configENS1_27scan_by_key_config_selectorIj11FixedVectorIiLj8EEEEZZNS1_16scan_by_key_implILNS1_25lookback_scan_determinismE0ELb1ES3_N6thrust23THRUST_200600_302600_NS6detail15normal_iteratorINSB_10device_ptrIjEEEENSD_INSE_IS6_EEEESI_S6_NSB_4plusIvEENSB_8equal_toIvEES6_EE10hipError_tPvRmT2_T3_T4_T5_mT6_T7_P12ihipStream_tbENKUlT_T0_E_clISt17integral_constantIbLb1EES12_IbLb0EEEEDaSY_SZ_EUlSY_E_NS1_11comp_targetILNS1_3genE2ELNS1_11target_archE906ELNS1_3gpuE6ELNS1_3repE0EEENS1_30default_config_static_selectorELNS0_4arch9wavefront6targetE0EEEvT1_
	.globl	_ZN7rocprim17ROCPRIM_400000_NS6detail17trampoline_kernelINS0_14default_configENS1_27scan_by_key_config_selectorIj11FixedVectorIiLj8EEEEZZNS1_16scan_by_key_implILNS1_25lookback_scan_determinismE0ELb1ES3_N6thrust23THRUST_200600_302600_NS6detail15normal_iteratorINSB_10device_ptrIjEEEENSD_INSE_IS6_EEEESI_S6_NSB_4plusIvEENSB_8equal_toIvEES6_EE10hipError_tPvRmT2_T3_T4_T5_mT6_T7_P12ihipStream_tbENKUlT_T0_E_clISt17integral_constantIbLb1EES12_IbLb0EEEEDaSY_SZ_EUlSY_E_NS1_11comp_targetILNS1_3genE2ELNS1_11target_archE906ELNS1_3gpuE6ELNS1_3repE0EEENS1_30default_config_static_selectorELNS0_4arch9wavefront6targetE0EEEvT1_
	.p2align	8
	.type	_ZN7rocprim17ROCPRIM_400000_NS6detail17trampoline_kernelINS0_14default_configENS1_27scan_by_key_config_selectorIj11FixedVectorIiLj8EEEEZZNS1_16scan_by_key_implILNS1_25lookback_scan_determinismE0ELb1ES3_N6thrust23THRUST_200600_302600_NS6detail15normal_iteratorINSB_10device_ptrIjEEEENSD_INSE_IS6_EEEESI_S6_NSB_4plusIvEENSB_8equal_toIvEES6_EE10hipError_tPvRmT2_T3_T4_T5_mT6_T7_P12ihipStream_tbENKUlT_T0_E_clISt17integral_constantIbLb1EES12_IbLb0EEEEDaSY_SZ_EUlSY_E_NS1_11comp_targetILNS1_3genE2ELNS1_11target_archE906ELNS1_3gpuE6ELNS1_3repE0EEENS1_30default_config_static_selectorELNS0_4arch9wavefront6targetE0EEEvT1_,@function
_ZN7rocprim17ROCPRIM_400000_NS6detail17trampoline_kernelINS0_14default_configENS1_27scan_by_key_config_selectorIj11FixedVectorIiLj8EEEEZZNS1_16scan_by_key_implILNS1_25lookback_scan_determinismE0ELb1ES3_N6thrust23THRUST_200600_302600_NS6detail15normal_iteratorINSB_10device_ptrIjEEEENSD_INSE_IS6_EEEESI_S6_NSB_4plusIvEENSB_8equal_toIvEES6_EE10hipError_tPvRmT2_T3_T4_T5_mT6_T7_P12ihipStream_tbENKUlT_T0_E_clISt17integral_constantIbLb1EES12_IbLb0EEEEDaSY_SZ_EUlSY_E_NS1_11comp_targetILNS1_3genE2ELNS1_11target_archE906ELNS1_3gpuE6ELNS1_3repE0EEENS1_30default_config_static_selectorELNS0_4arch9wavefront6targetE0EEEvT1_: ; @_ZN7rocprim17ROCPRIM_400000_NS6detail17trampoline_kernelINS0_14default_configENS1_27scan_by_key_config_selectorIj11FixedVectorIiLj8EEEEZZNS1_16scan_by_key_implILNS1_25lookback_scan_determinismE0ELb1ES3_N6thrust23THRUST_200600_302600_NS6detail15normal_iteratorINSB_10device_ptrIjEEEENSD_INSE_IS6_EEEESI_S6_NSB_4plusIvEENSB_8equal_toIvEES6_EE10hipError_tPvRmT2_T3_T4_T5_mT6_T7_P12ihipStream_tbENKUlT_T0_E_clISt17integral_constantIbLb1EES12_IbLb0EEEEDaSY_SZ_EUlSY_E_NS1_11comp_targetILNS1_3genE2ELNS1_11target_archE906ELNS1_3gpuE6ELNS1_3repE0EEENS1_30default_config_static_selectorELNS0_4arch9wavefront6targetE0EEEvT1_
; %bb.0:
	.section	.rodata,"a",@progbits
	.p2align	6, 0x0
	.amdhsa_kernel _ZN7rocprim17ROCPRIM_400000_NS6detail17trampoline_kernelINS0_14default_configENS1_27scan_by_key_config_selectorIj11FixedVectorIiLj8EEEEZZNS1_16scan_by_key_implILNS1_25lookback_scan_determinismE0ELb1ES3_N6thrust23THRUST_200600_302600_NS6detail15normal_iteratorINSB_10device_ptrIjEEEENSD_INSE_IS6_EEEESI_S6_NSB_4plusIvEENSB_8equal_toIvEES6_EE10hipError_tPvRmT2_T3_T4_T5_mT6_T7_P12ihipStream_tbENKUlT_T0_E_clISt17integral_constantIbLb1EES12_IbLb0EEEEDaSY_SZ_EUlSY_E_NS1_11comp_targetILNS1_3genE2ELNS1_11target_archE906ELNS1_3gpuE6ELNS1_3repE0EEENS1_30default_config_static_selectorELNS0_4arch9wavefront6targetE0EEEvT1_
		.amdhsa_group_segment_fixed_size 0
		.amdhsa_private_segment_fixed_size 0
		.amdhsa_kernarg_size 160
		.amdhsa_user_sgpr_count 2
		.amdhsa_user_sgpr_dispatch_ptr 0
		.amdhsa_user_sgpr_queue_ptr 0
		.amdhsa_user_sgpr_kernarg_segment_ptr 1
		.amdhsa_user_sgpr_dispatch_id 0
		.amdhsa_user_sgpr_kernarg_preload_length 0
		.amdhsa_user_sgpr_kernarg_preload_offset 0
		.amdhsa_user_sgpr_private_segment_size 0
		.amdhsa_wavefront_size32 1
		.amdhsa_uses_dynamic_stack 0
		.amdhsa_enable_private_segment 0
		.amdhsa_system_sgpr_workgroup_id_x 1
		.amdhsa_system_sgpr_workgroup_id_y 0
		.amdhsa_system_sgpr_workgroup_id_z 0
		.amdhsa_system_sgpr_workgroup_info 0
		.amdhsa_system_vgpr_workitem_id 0
		.amdhsa_next_free_vgpr 1
		.amdhsa_next_free_sgpr 1
		.amdhsa_named_barrier_count 0
		.amdhsa_reserve_vcc 0
		.amdhsa_float_round_mode_32 0
		.amdhsa_float_round_mode_16_64 0
		.amdhsa_float_denorm_mode_32 3
		.amdhsa_float_denorm_mode_16_64 3
		.amdhsa_fp16_overflow 0
		.amdhsa_memory_ordered 1
		.amdhsa_forward_progress 1
		.amdhsa_inst_pref_size 0
		.amdhsa_round_robin_scheduling 0
		.amdhsa_exception_fp_ieee_invalid_op 0
		.amdhsa_exception_fp_denorm_src 0
		.amdhsa_exception_fp_ieee_div_zero 0
		.amdhsa_exception_fp_ieee_overflow 0
		.amdhsa_exception_fp_ieee_underflow 0
		.amdhsa_exception_fp_ieee_inexact 0
		.amdhsa_exception_int_div_zero 0
	.end_amdhsa_kernel
	.section	.text._ZN7rocprim17ROCPRIM_400000_NS6detail17trampoline_kernelINS0_14default_configENS1_27scan_by_key_config_selectorIj11FixedVectorIiLj8EEEEZZNS1_16scan_by_key_implILNS1_25lookback_scan_determinismE0ELb1ES3_N6thrust23THRUST_200600_302600_NS6detail15normal_iteratorINSB_10device_ptrIjEEEENSD_INSE_IS6_EEEESI_S6_NSB_4plusIvEENSB_8equal_toIvEES6_EE10hipError_tPvRmT2_T3_T4_T5_mT6_T7_P12ihipStream_tbENKUlT_T0_E_clISt17integral_constantIbLb1EES12_IbLb0EEEEDaSY_SZ_EUlSY_E_NS1_11comp_targetILNS1_3genE2ELNS1_11target_archE906ELNS1_3gpuE6ELNS1_3repE0EEENS1_30default_config_static_selectorELNS0_4arch9wavefront6targetE0EEEvT1_,"axG",@progbits,_ZN7rocprim17ROCPRIM_400000_NS6detail17trampoline_kernelINS0_14default_configENS1_27scan_by_key_config_selectorIj11FixedVectorIiLj8EEEEZZNS1_16scan_by_key_implILNS1_25lookback_scan_determinismE0ELb1ES3_N6thrust23THRUST_200600_302600_NS6detail15normal_iteratorINSB_10device_ptrIjEEEENSD_INSE_IS6_EEEESI_S6_NSB_4plusIvEENSB_8equal_toIvEES6_EE10hipError_tPvRmT2_T3_T4_T5_mT6_T7_P12ihipStream_tbENKUlT_T0_E_clISt17integral_constantIbLb1EES12_IbLb0EEEEDaSY_SZ_EUlSY_E_NS1_11comp_targetILNS1_3genE2ELNS1_11target_archE906ELNS1_3gpuE6ELNS1_3repE0EEENS1_30default_config_static_selectorELNS0_4arch9wavefront6targetE0EEEvT1_,comdat
.Lfunc_end2180:
	.size	_ZN7rocprim17ROCPRIM_400000_NS6detail17trampoline_kernelINS0_14default_configENS1_27scan_by_key_config_selectorIj11FixedVectorIiLj8EEEEZZNS1_16scan_by_key_implILNS1_25lookback_scan_determinismE0ELb1ES3_N6thrust23THRUST_200600_302600_NS6detail15normal_iteratorINSB_10device_ptrIjEEEENSD_INSE_IS6_EEEESI_S6_NSB_4plusIvEENSB_8equal_toIvEES6_EE10hipError_tPvRmT2_T3_T4_T5_mT6_T7_P12ihipStream_tbENKUlT_T0_E_clISt17integral_constantIbLb1EES12_IbLb0EEEEDaSY_SZ_EUlSY_E_NS1_11comp_targetILNS1_3genE2ELNS1_11target_archE906ELNS1_3gpuE6ELNS1_3repE0EEENS1_30default_config_static_selectorELNS0_4arch9wavefront6targetE0EEEvT1_, .Lfunc_end2180-_ZN7rocprim17ROCPRIM_400000_NS6detail17trampoline_kernelINS0_14default_configENS1_27scan_by_key_config_selectorIj11FixedVectorIiLj8EEEEZZNS1_16scan_by_key_implILNS1_25lookback_scan_determinismE0ELb1ES3_N6thrust23THRUST_200600_302600_NS6detail15normal_iteratorINSB_10device_ptrIjEEEENSD_INSE_IS6_EEEESI_S6_NSB_4plusIvEENSB_8equal_toIvEES6_EE10hipError_tPvRmT2_T3_T4_T5_mT6_T7_P12ihipStream_tbENKUlT_T0_E_clISt17integral_constantIbLb1EES12_IbLb0EEEEDaSY_SZ_EUlSY_E_NS1_11comp_targetILNS1_3genE2ELNS1_11target_archE906ELNS1_3gpuE6ELNS1_3repE0EEENS1_30default_config_static_selectorELNS0_4arch9wavefront6targetE0EEEvT1_
                                        ; -- End function
	.set _ZN7rocprim17ROCPRIM_400000_NS6detail17trampoline_kernelINS0_14default_configENS1_27scan_by_key_config_selectorIj11FixedVectorIiLj8EEEEZZNS1_16scan_by_key_implILNS1_25lookback_scan_determinismE0ELb1ES3_N6thrust23THRUST_200600_302600_NS6detail15normal_iteratorINSB_10device_ptrIjEEEENSD_INSE_IS6_EEEESI_S6_NSB_4plusIvEENSB_8equal_toIvEES6_EE10hipError_tPvRmT2_T3_T4_T5_mT6_T7_P12ihipStream_tbENKUlT_T0_E_clISt17integral_constantIbLb1EES12_IbLb0EEEEDaSY_SZ_EUlSY_E_NS1_11comp_targetILNS1_3genE2ELNS1_11target_archE906ELNS1_3gpuE6ELNS1_3repE0EEENS1_30default_config_static_selectorELNS0_4arch9wavefront6targetE0EEEvT1_.num_vgpr, 0
	.set _ZN7rocprim17ROCPRIM_400000_NS6detail17trampoline_kernelINS0_14default_configENS1_27scan_by_key_config_selectorIj11FixedVectorIiLj8EEEEZZNS1_16scan_by_key_implILNS1_25lookback_scan_determinismE0ELb1ES3_N6thrust23THRUST_200600_302600_NS6detail15normal_iteratorINSB_10device_ptrIjEEEENSD_INSE_IS6_EEEESI_S6_NSB_4plusIvEENSB_8equal_toIvEES6_EE10hipError_tPvRmT2_T3_T4_T5_mT6_T7_P12ihipStream_tbENKUlT_T0_E_clISt17integral_constantIbLb1EES12_IbLb0EEEEDaSY_SZ_EUlSY_E_NS1_11comp_targetILNS1_3genE2ELNS1_11target_archE906ELNS1_3gpuE6ELNS1_3repE0EEENS1_30default_config_static_selectorELNS0_4arch9wavefront6targetE0EEEvT1_.num_agpr, 0
	.set _ZN7rocprim17ROCPRIM_400000_NS6detail17trampoline_kernelINS0_14default_configENS1_27scan_by_key_config_selectorIj11FixedVectorIiLj8EEEEZZNS1_16scan_by_key_implILNS1_25lookback_scan_determinismE0ELb1ES3_N6thrust23THRUST_200600_302600_NS6detail15normal_iteratorINSB_10device_ptrIjEEEENSD_INSE_IS6_EEEESI_S6_NSB_4plusIvEENSB_8equal_toIvEES6_EE10hipError_tPvRmT2_T3_T4_T5_mT6_T7_P12ihipStream_tbENKUlT_T0_E_clISt17integral_constantIbLb1EES12_IbLb0EEEEDaSY_SZ_EUlSY_E_NS1_11comp_targetILNS1_3genE2ELNS1_11target_archE906ELNS1_3gpuE6ELNS1_3repE0EEENS1_30default_config_static_selectorELNS0_4arch9wavefront6targetE0EEEvT1_.numbered_sgpr, 0
	.set _ZN7rocprim17ROCPRIM_400000_NS6detail17trampoline_kernelINS0_14default_configENS1_27scan_by_key_config_selectorIj11FixedVectorIiLj8EEEEZZNS1_16scan_by_key_implILNS1_25lookback_scan_determinismE0ELb1ES3_N6thrust23THRUST_200600_302600_NS6detail15normal_iteratorINSB_10device_ptrIjEEEENSD_INSE_IS6_EEEESI_S6_NSB_4plusIvEENSB_8equal_toIvEES6_EE10hipError_tPvRmT2_T3_T4_T5_mT6_T7_P12ihipStream_tbENKUlT_T0_E_clISt17integral_constantIbLb1EES12_IbLb0EEEEDaSY_SZ_EUlSY_E_NS1_11comp_targetILNS1_3genE2ELNS1_11target_archE906ELNS1_3gpuE6ELNS1_3repE0EEENS1_30default_config_static_selectorELNS0_4arch9wavefront6targetE0EEEvT1_.num_named_barrier, 0
	.set _ZN7rocprim17ROCPRIM_400000_NS6detail17trampoline_kernelINS0_14default_configENS1_27scan_by_key_config_selectorIj11FixedVectorIiLj8EEEEZZNS1_16scan_by_key_implILNS1_25lookback_scan_determinismE0ELb1ES3_N6thrust23THRUST_200600_302600_NS6detail15normal_iteratorINSB_10device_ptrIjEEEENSD_INSE_IS6_EEEESI_S6_NSB_4plusIvEENSB_8equal_toIvEES6_EE10hipError_tPvRmT2_T3_T4_T5_mT6_T7_P12ihipStream_tbENKUlT_T0_E_clISt17integral_constantIbLb1EES12_IbLb0EEEEDaSY_SZ_EUlSY_E_NS1_11comp_targetILNS1_3genE2ELNS1_11target_archE906ELNS1_3gpuE6ELNS1_3repE0EEENS1_30default_config_static_selectorELNS0_4arch9wavefront6targetE0EEEvT1_.private_seg_size, 0
	.set _ZN7rocprim17ROCPRIM_400000_NS6detail17trampoline_kernelINS0_14default_configENS1_27scan_by_key_config_selectorIj11FixedVectorIiLj8EEEEZZNS1_16scan_by_key_implILNS1_25lookback_scan_determinismE0ELb1ES3_N6thrust23THRUST_200600_302600_NS6detail15normal_iteratorINSB_10device_ptrIjEEEENSD_INSE_IS6_EEEESI_S6_NSB_4plusIvEENSB_8equal_toIvEES6_EE10hipError_tPvRmT2_T3_T4_T5_mT6_T7_P12ihipStream_tbENKUlT_T0_E_clISt17integral_constantIbLb1EES12_IbLb0EEEEDaSY_SZ_EUlSY_E_NS1_11comp_targetILNS1_3genE2ELNS1_11target_archE906ELNS1_3gpuE6ELNS1_3repE0EEENS1_30default_config_static_selectorELNS0_4arch9wavefront6targetE0EEEvT1_.uses_vcc, 0
	.set _ZN7rocprim17ROCPRIM_400000_NS6detail17trampoline_kernelINS0_14default_configENS1_27scan_by_key_config_selectorIj11FixedVectorIiLj8EEEEZZNS1_16scan_by_key_implILNS1_25lookback_scan_determinismE0ELb1ES3_N6thrust23THRUST_200600_302600_NS6detail15normal_iteratorINSB_10device_ptrIjEEEENSD_INSE_IS6_EEEESI_S6_NSB_4plusIvEENSB_8equal_toIvEES6_EE10hipError_tPvRmT2_T3_T4_T5_mT6_T7_P12ihipStream_tbENKUlT_T0_E_clISt17integral_constantIbLb1EES12_IbLb0EEEEDaSY_SZ_EUlSY_E_NS1_11comp_targetILNS1_3genE2ELNS1_11target_archE906ELNS1_3gpuE6ELNS1_3repE0EEENS1_30default_config_static_selectorELNS0_4arch9wavefront6targetE0EEEvT1_.uses_flat_scratch, 0
	.set _ZN7rocprim17ROCPRIM_400000_NS6detail17trampoline_kernelINS0_14default_configENS1_27scan_by_key_config_selectorIj11FixedVectorIiLj8EEEEZZNS1_16scan_by_key_implILNS1_25lookback_scan_determinismE0ELb1ES3_N6thrust23THRUST_200600_302600_NS6detail15normal_iteratorINSB_10device_ptrIjEEEENSD_INSE_IS6_EEEESI_S6_NSB_4plusIvEENSB_8equal_toIvEES6_EE10hipError_tPvRmT2_T3_T4_T5_mT6_T7_P12ihipStream_tbENKUlT_T0_E_clISt17integral_constantIbLb1EES12_IbLb0EEEEDaSY_SZ_EUlSY_E_NS1_11comp_targetILNS1_3genE2ELNS1_11target_archE906ELNS1_3gpuE6ELNS1_3repE0EEENS1_30default_config_static_selectorELNS0_4arch9wavefront6targetE0EEEvT1_.has_dyn_sized_stack, 0
	.set _ZN7rocprim17ROCPRIM_400000_NS6detail17trampoline_kernelINS0_14default_configENS1_27scan_by_key_config_selectorIj11FixedVectorIiLj8EEEEZZNS1_16scan_by_key_implILNS1_25lookback_scan_determinismE0ELb1ES3_N6thrust23THRUST_200600_302600_NS6detail15normal_iteratorINSB_10device_ptrIjEEEENSD_INSE_IS6_EEEESI_S6_NSB_4plusIvEENSB_8equal_toIvEES6_EE10hipError_tPvRmT2_T3_T4_T5_mT6_T7_P12ihipStream_tbENKUlT_T0_E_clISt17integral_constantIbLb1EES12_IbLb0EEEEDaSY_SZ_EUlSY_E_NS1_11comp_targetILNS1_3genE2ELNS1_11target_archE906ELNS1_3gpuE6ELNS1_3repE0EEENS1_30default_config_static_selectorELNS0_4arch9wavefront6targetE0EEEvT1_.has_recursion, 0
	.set _ZN7rocprim17ROCPRIM_400000_NS6detail17trampoline_kernelINS0_14default_configENS1_27scan_by_key_config_selectorIj11FixedVectorIiLj8EEEEZZNS1_16scan_by_key_implILNS1_25lookback_scan_determinismE0ELb1ES3_N6thrust23THRUST_200600_302600_NS6detail15normal_iteratorINSB_10device_ptrIjEEEENSD_INSE_IS6_EEEESI_S6_NSB_4plusIvEENSB_8equal_toIvEES6_EE10hipError_tPvRmT2_T3_T4_T5_mT6_T7_P12ihipStream_tbENKUlT_T0_E_clISt17integral_constantIbLb1EES12_IbLb0EEEEDaSY_SZ_EUlSY_E_NS1_11comp_targetILNS1_3genE2ELNS1_11target_archE906ELNS1_3gpuE6ELNS1_3repE0EEENS1_30default_config_static_selectorELNS0_4arch9wavefront6targetE0EEEvT1_.has_indirect_call, 0
	.section	.AMDGPU.csdata,"",@progbits
; Kernel info:
; codeLenInByte = 0
; TotalNumSgprs: 0
; NumVgprs: 0
; ScratchSize: 0
; MemoryBound: 0
; FloatMode: 240
; IeeeMode: 1
; LDSByteSize: 0 bytes/workgroup (compile time only)
; SGPRBlocks: 0
; VGPRBlocks: 0
; NumSGPRsForWavesPerEU: 1
; NumVGPRsForWavesPerEU: 1
; NamedBarCnt: 0
; Occupancy: 16
; WaveLimiterHint : 0
; COMPUTE_PGM_RSRC2:SCRATCH_EN: 0
; COMPUTE_PGM_RSRC2:USER_SGPR: 2
; COMPUTE_PGM_RSRC2:TRAP_HANDLER: 0
; COMPUTE_PGM_RSRC2:TGID_X_EN: 1
; COMPUTE_PGM_RSRC2:TGID_Y_EN: 0
; COMPUTE_PGM_RSRC2:TGID_Z_EN: 0
; COMPUTE_PGM_RSRC2:TIDIG_COMP_CNT: 0
	.section	.text._ZN7rocprim17ROCPRIM_400000_NS6detail17trampoline_kernelINS0_14default_configENS1_27scan_by_key_config_selectorIj11FixedVectorIiLj8EEEEZZNS1_16scan_by_key_implILNS1_25lookback_scan_determinismE0ELb1ES3_N6thrust23THRUST_200600_302600_NS6detail15normal_iteratorINSB_10device_ptrIjEEEENSD_INSE_IS6_EEEESI_S6_NSB_4plusIvEENSB_8equal_toIvEES6_EE10hipError_tPvRmT2_T3_T4_T5_mT6_T7_P12ihipStream_tbENKUlT_T0_E_clISt17integral_constantIbLb1EES12_IbLb0EEEEDaSY_SZ_EUlSY_E_NS1_11comp_targetILNS1_3genE10ELNS1_11target_archE1200ELNS1_3gpuE4ELNS1_3repE0EEENS1_30default_config_static_selectorELNS0_4arch9wavefront6targetE0EEEvT1_,"axG",@progbits,_ZN7rocprim17ROCPRIM_400000_NS6detail17trampoline_kernelINS0_14default_configENS1_27scan_by_key_config_selectorIj11FixedVectorIiLj8EEEEZZNS1_16scan_by_key_implILNS1_25lookback_scan_determinismE0ELb1ES3_N6thrust23THRUST_200600_302600_NS6detail15normal_iteratorINSB_10device_ptrIjEEEENSD_INSE_IS6_EEEESI_S6_NSB_4plusIvEENSB_8equal_toIvEES6_EE10hipError_tPvRmT2_T3_T4_T5_mT6_T7_P12ihipStream_tbENKUlT_T0_E_clISt17integral_constantIbLb1EES12_IbLb0EEEEDaSY_SZ_EUlSY_E_NS1_11comp_targetILNS1_3genE10ELNS1_11target_archE1200ELNS1_3gpuE4ELNS1_3repE0EEENS1_30default_config_static_selectorELNS0_4arch9wavefront6targetE0EEEvT1_,comdat
	.protected	_ZN7rocprim17ROCPRIM_400000_NS6detail17trampoline_kernelINS0_14default_configENS1_27scan_by_key_config_selectorIj11FixedVectorIiLj8EEEEZZNS1_16scan_by_key_implILNS1_25lookback_scan_determinismE0ELb1ES3_N6thrust23THRUST_200600_302600_NS6detail15normal_iteratorINSB_10device_ptrIjEEEENSD_INSE_IS6_EEEESI_S6_NSB_4plusIvEENSB_8equal_toIvEES6_EE10hipError_tPvRmT2_T3_T4_T5_mT6_T7_P12ihipStream_tbENKUlT_T0_E_clISt17integral_constantIbLb1EES12_IbLb0EEEEDaSY_SZ_EUlSY_E_NS1_11comp_targetILNS1_3genE10ELNS1_11target_archE1200ELNS1_3gpuE4ELNS1_3repE0EEENS1_30default_config_static_selectorELNS0_4arch9wavefront6targetE0EEEvT1_ ; -- Begin function _ZN7rocprim17ROCPRIM_400000_NS6detail17trampoline_kernelINS0_14default_configENS1_27scan_by_key_config_selectorIj11FixedVectorIiLj8EEEEZZNS1_16scan_by_key_implILNS1_25lookback_scan_determinismE0ELb1ES3_N6thrust23THRUST_200600_302600_NS6detail15normal_iteratorINSB_10device_ptrIjEEEENSD_INSE_IS6_EEEESI_S6_NSB_4plusIvEENSB_8equal_toIvEES6_EE10hipError_tPvRmT2_T3_T4_T5_mT6_T7_P12ihipStream_tbENKUlT_T0_E_clISt17integral_constantIbLb1EES12_IbLb0EEEEDaSY_SZ_EUlSY_E_NS1_11comp_targetILNS1_3genE10ELNS1_11target_archE1200ELNS1_3gpuE4ELNS1_3repE0EEENS1_30default_config_static_selectorELNS0_4arch9wavefront6targetE0EEEvT1_
	.globl	_ZN7rocprim17ROCPRIM_400000_NS6detail17trampoline_kernelINS0_14default_configENS1_27scan_by_key_config_selectorIj11FixedVectorIiLj8EEEEZZNS1_16scan_by_key_implILNS1_25lookback_scan_determinismE0ELb1ES3_N6thrust23THRUST_200600_302600_NS6detail15normal_iteratorINSB_10device_ptrIjEEEENSD_INSE_IS6_EEEESI_S6_NSB_4plusIvEENSB_8equal_toIvEES6_EE10hipError_tPvRmT2_T3_T4_T5_mT6_T7_P12ihipStream_tbENKUlT_T0_E_clISt17integral_constantIbLb1EES12_IbLb0EEEEDaSY_SZ_EUlSY_E_NS1_11comp_targetILNS1_3genE10ELNS1_11target_archE1200ELNS1_3gpuE4ELNS1_3repE0EEENS1_30default_config_static_selectorELNS0_4arch9wavefront6targetE0EEEvT1_
	.p2align	8
	.type	_ZN7rocprim17ROCPRIM_400000_NS6detail17trampoline_kernelINS0_14default_configENS1_27scan_by_key_config_selectorIj11FixedVectorIiLj8EEEEZZNS1_16scan_by_key_implILNS1_25lookback_scan_determinismE0ELb1ES3_N6thrust23THRUST_200600_302600_NS6detail15normal_iteratorINSB_10device_ptrIjEEEENSD_INSE_IS6_EEEESI_S6_NSB_4plusIvEENSB_8equal_toIvEES6_EE10hipError_tPvRmT2_T3_T4_T5_mT6_T7_P12ihipStream_tbENKUlT_T0_E_clISt17integral_constantIbLb1EES12_IbLb0EEEEDaSY_SZ_EUlSY_E_NS1_11comp_targetILNS1_3genE10ELNS1_11target_archE1200ELNS1_3gpuE4ELNS1_3repE0EEENS1_30default_config_static_selectorELNS0_4arch9wavefront6targetE0EEEvT1_,@function
_ZN7rocprim17ROCPRIM_400000_NS6detail17trampoline_kernelINS0_14default_configENS1_27scan_by_key_config_selectorIj11FixedVectorIiLj8EEEEZZNS1_16scan_by_key_implILNS1_25lookback_scan_determinismE0ELb1ES3_N6thrust23THRUST_200600_302600_NS6detail15normal_iteratorINSB_10device_ptrIjEEEENSD_INSE_IS6_EEEESI_S6_NSB_4plusIvEENSB_8equal_toIvEES6_EE10hipError_tPvRmT2_T3_T4_T5_mT6_T7_P12ihipStream_tbENKUlT_T0_E_clISt17integral_constantIbLb1EES12_IbLb0EEEEDaSY_SZ_EUlSY_E_NS1_11comp_targetILNS1_3genE10ELNS1_11target_archE1200ELNS1_3gpuE4ELNS1_3repE0EEENS1_30default_config_static_selectorELNS0_4arch9wavefront6targetE0EEEvT1_: ; @_ZN7rocprim17ROCPRIM_400000_NS6detail17trampoline_kernelINS0_14default_configENS1_27scan_by_key_config_selectorIj11FixedVectorIiLj8EEEEZZNS1_16scan_by_key_implILNS1_25lookback_scan_determinismE0ELb1ES3_N6thrust23THRUST_200600_302600_NS6detail15normal_iteratorINSB_10device_ptrIjEEEENSD_INSE_IS6_EEEESI_S6_NSB_4plusIvEENSB_8equal_toIvEES6_EE10hipError_tPvRmT2_T3_T4_T5_mT6_T7_P12ihipStream_tbENKUlT_T0_E_clISt17integral_constantIbLb1EES12_IbLb0EEEEDaSY_SZ_EUlSY_E_NS1_11comp_targetILNS1_3genE10ELNS1_11target_archE1200ELNS1_3gpuE4ELNS1_3repE0EEENS1_30default_config_static_selectorELNS0_4arch9wavefront6targetE0EEEvT1_
; %bb.0:
	.section	.rodata,"a",@progbits
	.p2align	6, 0x0
	.amdhsa_kernel _ZN7rocprim17ROCPRIM_400000_NS6detail17trampoline_kernelINS0_14default_configENS1_27scan_by_key_config_selectorIj11FixedVectorIiLj8EEEEZZNS1_16scan_by_key_implILNS1_25lookback_scan_determinismE0ELb1ES3_N6thrust23THRUST_200600_302600_NS6detail15normal_iteratorINSB_10device_ptrIjEEEENSD_INSE_IS6_EEEESI_S6_NSB_4plusIvEENSB_8equal_toIvEES6_EE10hipError_tPvRmT2_T3_T4_T5_mT6_T7_P12ihipStream_tbENKUlT_T0_E_clISt17integral_constantIbLb1EES12_IbLb0EEEEDaSY_SZ_EUlSY_E_NS1_11comp_targetILNS1_3genE10ELNS1_11target_archE1200ELNS1_3gpuE4ELNS1_3repE0EEENS1_30default_config_static_selectorELNS0_4arch9wavefront6targetE0EEEvT1_
		.amdhsa_group_segment_fixed_size 0
		.amdhsa_private_segment_fixed_size 0
		.amdhsa_kernarg_size 160
		.amdhsa_user_sgpr_count 2
		.amdhsa_user_sgpr_dispatch_ptr 0
		.amdhsa_user_sgpr_queue_ptr 0
		.amdhsa_user_sgpr_kernarg_segment_ptr 1
		.amdhsa_user_sgpr_dispatch_id 0
		.amdhsa_user_sgpr_kernarg_preload_length 0
		.amdhsa_user_sgpr_kernarg_preload_offset 0
		.amdhsa_user_sgpr_private_segment_size 0
		.amdhsa_wavefront_size32 1
		.amdhsa_uses_dynamic_stack 0
		.amdhsa_enable_private_segment 0
		.amdhsa_system_sgpr_workgroup_id_x 1
		.amdhsa_system_sgpr_workgroup_id_y 0
		.amdhsa_system_sgpr_workgroup_id_z 0
		.amdhsa_system_sgpr_workgroup_info 0
		.amdhsa_system_vgpr_workitem_id 0
		.amdhsa_next_free_vgpr 1
		.amdhsa_next_free_sgpr 1
		.amdhsa_named_barrier_count 0
		.amdhsa_reserve_vcc 0
		.amdhsa_float_round_mode_32 0
		.amdhsa_float_round_mode_16_64 0
		.amdhsa_float_denorm_mode_32 3
		.amdhsa_float_denorm_mode_16_64 3
		.amdhsa_fp16_overflow 0
		.amdhsa_memory_ordered 1
		.amdhsa_forward_progress 1
		.amdhsa_inst_pref_size 0
		.amdhsa_round_robin_scheduling 0
		.amdhsa_exception_fp_ieee_invalid_op 0
		.amdhsa_exception_fp_denorm_src 0
		.amdhsa_exception_fp_ieee_div_zero 0
		.amdhsa_exception_fp_ieee_overflow 0
		.amdhsa_exception_fp_ieee_underflow 0
		.amdhsa_exception_fp_ieee_inexact 0
		.amdhsa_exception_int_div_zero 0
	.end_amdhsa_kernel
	.section	.text._ZN7rocprim17ROCPRIM_400000_NS6detail17trampoline_kernelINS0_14default_configENS1_27scan_by_key_config_selectorIj11FixedVectorIiLj8EEEEZZNS1_16scan_by_key_implILNS1_25lookback_scan_determinismE0ELb1ES3_N6thrust23THRUST_200600_302600_NS6detail15normal_iteratorINSB_10device_ptrIjEEEENSD_INSE_IS6_EEEESI_S6_NSB_4plusIvEENSB_8equal_toIvEES6_EE10hipError_tPvRmT2_T3_T4_T5_mT6_T7_P12ihipStream_tbENKUlT_T0_E_clISt17integral_constantIbLb1EES12_IbLb0EEEEDaSY_SZ_EUlSY_E_NS1_11comp_targetILNS1_3genE10ELNS1_11target_archE1200ELNS1_3gpuE4ELNS1_3repE0EEENS1_30default_config_static_selectorELNS0_4arch9wavefront6targetE0EEEvT1_,"axG",@progbits,_ZN7rocprim17ROCPRIM_400000_NS6detail17trampoline_kernelINS0_14default_configENS1_27scan_by_key_config_selectorIj11FixedVectorIiLj8EEEEZZNS1_16scan_by_key_implILNS1_25lookback_scan_determinismE0ELb1ES3_N6thrust23THRUST_200600_302600_NS6detail15normal_iteratorINSB_10device_ptrIjEEEENSD_INSE_IS6_EEEESI_S6_NSB_4plusIvEENSB_8equal_toIvEES6_EE10hipError_tPvRmT2_T3_T4_T5_mT6_T7_P12ihipStream_tbENKUlT_T0_E_clISt17integral_constantIbLb1EES12_IbLb0EEEEDaSY_SZ_EUlSY_E_NS1_11comp_targetILNS1_3genE10ELNS1_11target_archE1200ELNS1_3gpuE4ELNS1_3repE0EEENS1_30default_config_static_selectorELNS0_4arch9wavefront6targetE0EEEvT1_,comdat
.Lfunc_end2181:
	.size	_ZN7rocprim17ROCPRIM_400000_NS6detail17trampoline_kernelINS0_14default_configENS1_27scan_by_key_config_selectorIj11FixedVectorIiLj8EEEEZZNS1_16scan_by_key_implILNS1_25lookback_scan_determinismE0ELb1ES3_N6thrust23THRUST_200600_302600_NS6detail15normal_iteratorINSB_10device_ptrIjEEEENSD_INSE_IS6_EEEESI_S6_NSB_4plusIvEENSB_8equal_toIvEES6_EE10hipError_tPvRmT2_T3_T4_T5_mT6_T7_P12ihipStream_tbENKUlT_T0_E_clISt17integral_constantIbLb1EES12_IbLb0EEEEDaSY_SZ_EUlSY_E_NS1_11comp_targetILNS1_3genE10ELNS1_11target_archE1200ELNS1_3gpuE4ELNS1_3repE0EEENS1_30default_config_static_selectorELNS0_4arch9wavefront6targetE0EEEvT1_, .Lfunc_end2181-_ZN7rocprim17ROCPRIM_400000_NS6detail17trampoline_kernelINS0_14default_configENS1_27scan_by_key_config_selectorIj11FixedVectorIiLj8EEEEZZNS1_16scan_by_key_implILNS1_25lookback_scan_determinismE0ELb1ES3_N6thrust23THRUST_200600_302600_NS6detail15normal_iteratorINSB_10device_ptrIjEEEENSD_INSE_IS6_EEEESI_S6_NSB_4plusIvEENSB_8equal_toIvEES6_EE10hipError_tPvRmT2_T3_T4_T5_mT6_T7_P12ihipStream_tbENKUlT_T0_E_clISt17integral_constantIbLb1EES12_IbLb0EEEEDaSY_SZ_EUlSY_E_NS1_11comp_targetILNS1_3genE10ELNS1_11target_archE1200ELNS1_3gpuE4ELNS1_3repE0EEENS1_30default_config_static_selectorELNS0_4arch9wavefront6targetE0EEEvT1_
                                        ; -- End function
	.set _ZN7rocprim17ROCPRIM_400000_NS6detail17trampoline_kernelINS0_14default_configENS1_27scan_by_key_config_selectorIj11FixedVectorIiLj8EEEEZZNS1_16scan_by_key_implILNS1_25lookback_scan_determinismE0ELb1ES3_N6thrust23THRUST_200600_302600_NS6detail15normal_iteratorINSB_10device_ptrIjEEEENSD_INSE_IS6_EEEESI_S6_NSB_4plusIvEENSB_8equal_toIvEES6_EE10hipError_tPvRmT2_T3_T4_T5_mT6_T7_P12ihipStream_tbENKUlT_T0_E_clISt17integral_constantIbLb1EES12_IbLb0EEEEDaSY_SZ_EUlSY_E_NS1_11comp_targetILNS1_3genE10ELNS1_11target_archE1200ELNS1_3gpuE4ELNS1_3repE0EEENS1_30default_config_static_selectorELNS0_4arch9wavefront6targetE0EEEvT1_.num_vgpr, 0
	.set _ZN7rocprim17ROCPRIM_400000_NS6detail17trampoline_kernelINS0_14default_configENS1_27scan_by_key_config_selectorIj11FixedVectorIiLj8EEEEZZNS1_16scan_by_key_implILNS1_25lookback_scan_determinismE0ELb1ES3_N6thrust23THRUST_200600_302600_NS6detail15normal_iteratorINSB_10device_ptrIjEEEENSD_INSE_IS6_EEEESI_S6_NSB_4plusIvEENSB_8equal_toIvEES6_EE10hipError_tPvRmT2_T3_T4_T5_mT6_T7_P12ihipStream_tbENKUlT_T0_E_clISt17integral_constantIbLb1EES12_IbLb0EEEEDaSY_SZ_EUlSY_E_NS1_11comp_targetILNS1_3genE10ELNS1_11target_archE1200ELNS1_3gpuE4ELNS1_3repE0EEENS1_30default_config_static_selectorELNS0_4arch9wavefront6targetE0EEEvT1_.num_agpr, 0
	.set _ZN7rocprim17ROCPRIM_400000_NS6detail17trampoline_kernelINS0_14default_configENS1_27scan_by_key_config_selectorIj11FixedVectorIiLj8EEEEZZNS1_16scan_by_key_implILNS1_25lookback_scan_determinismE0ELb1ES3_N6thrust23THRUST_200600_302600_NS6detail15normal_iteratorINSB_10device_ptrIjEEEENSD_INSE_IS6_EEEESI_S6_NSB_4plusIvEENSB_8equal_toIvEES6_EE10hipError_tPvRmT2_T3_T4_T5_mT6_T7_P12ihipStream_tbENKUlT_T0_E_clISt17integral_constantIbLb1EES12_IbLb0EEEEDaSY_SZ_EUlSY_E_NS1_11comp_targetILNS1_3genE10ELNS1_11target_archE1200ELNS1_3gpuE4ELNS1_3repE0EEENS1_30default_config_static_selectorELNS0_4arch9wavefront6targetE0EEEvT1_.numbered_sgpr, 0
	.set _ZN7rocprim17ROCPRIM_400000_NS6detail17trampoline_kernelINS0_14default_configENS1_27scan_by_key_config_selectorIj11FixedVectorIiLj8EEEEZZNS1_16scan_by_key_implILNS1_25lookback_scan_determinismE0ELb1ES3_N6thrust23THRUST_200600_302600_NS6detail15normal_iteratorINSB_10device_ptrIjEEEENSD_INSE_IS6_EEEESI_S6_NSB_4plusIvEENSB_8equal_toIvEES6_EE10hipError_tPvRmT2_T3_T4_T5_mT6_T7_P12ihipStream_tbENKUlT_T0_E_clISt17integral_constantIbLb1EES12_IbLb0EEEEDaSY_SZ_EUlSY_E_NS1_11comp_targetILNS1_3genE10ELNS1_11target_archE1200ELNS1_3gpuE4ELNS1_3repE0EEENS1_30default_config_static_selectorELNS0_4arch9wavefront6targetE0EEEvT1_.num_named_barrier, 0
	.set _ZN7rocprim17ROCPRIM_400000_NS6detail17trampoline_kernelINS0_14default_configENS1_27scan_by_key_config_selectorIj11FixedVectorIiLj8EEEEZZNS1_16scan_by_key_implILNS1_25lookback_scan_determinismE0ELb1ES3_N6thrust23THRUST_200600_302600_NS6detail15normal_iteratorINSB_10device_ptrIjEEEENSD_INSE_IS6_EEEESI_S6_NSB_4plusIvEENSB_8equal_toIvEES6_EE10hipError_tPvRmT2_T3_T4_T5_mT6_T7_P12ihipStream_tbENKUlT_T0_E_clISt17integral_constantIbLb1EES12_IbLb0EEEEDaSY_SZ_EUlSY_E_NS1_11comp_targetILNS1_3genE10ELNS1_11target_archE1200ELNS1_3gpuE4ELNS1_3repE0EEENS1_30default_config_static_selectorELNS0_4arch9wavefront6targetE0EEEvT1_.private_seg_size, 0
	.set _ZN7rocprim17ROCPRIM_400000_NS6detail17trampoline_kernelINS0_14default_configENS1_27scan_by_key_config_selectorIj11FixedVectorIiLj8EEEEZZNS1_16scan_by_key_implILNS1_25lookback_scan_determinismE0ELb1ES3_N6thrust23THRUST_200600_302600_NS6detail15normal_iteratorINSB_10device_ptrIjEEEENSD_INSE_IS6_EEEESI_S6_NSB_4plusIvEENSB_8equal_toIvEES6_EE10hipError_tPvRmT2_T3_T4_T5_mT6_T7_P12ihipStream_tbENKUlT_T0_E_clISt17integral_constantIbLb1EES12_IbLb0EEEEDaSY_SZ_EUlSY_E_NS1_11comp_targetILNS1_3genE10ELNS1_11target_archE1200ELNS1_3gpuE4ELNS1_3repE0EEENS1_30default_config_static_selectorELNS0_4arch9wavefront6targetE0EEEvT1_.uses_vcc, 0
	.set _ZN7rocprim17ROCPRIM_400000_NS6detail17trampoline_kernelINS0_14default_configENS1_27scan_by_key_config_selectorIj11FixedVectorIiLj8EEEEZZNS1_16scan_by_key_implILNS1_25lookback_scan_determinismE0ELb1ES3_N6thrust23THRUST_200600_302600_NS6detail15normal_iteratorINSB_10device_ptrIjEEEENSD_INSE_IS6_EEEESI_S6_NSB_4plusIvEENSB_8equal_toIvEES6_EE10hipError_tPvRmT2_T3_T4_T5_mT6_T7_P12ihipStream_tbENKUlT_T0_E_clISt17integral_constantIbLb1EES12_IbLb0EEEEDaSY_SZ_EUlSY_E_NS1_11comp_targetILNS1_3genE10ELNS1_11target_archE1200ELNS1_3gpuE4ELNS1_3repE0EEENS1_30default_config_static_selectorELNS0_4arch9wavefront6targetE0EEEvT1_.uses_flat_scratch, 0
	.set _ZN7rocprim17ROCPRIM_400000_NS6detail17trampoline_kernelINS0_14default_configENS1_27scan_by_key_config_selectorIj11FixedVectorIiLj8EEEEZZNS1_16scan_by_key_implILNS1_25lookback_scan_determinismE0ELb1ES3_N6thrust23THRUST_200600_302600_NS6detail15normal_iteratorINSB_10device_ptrIjEEEENSD_INSE_IS6_EEEESI_S6_NSB_4plusIvEENSB_8equal_toIvEES6_EE10hipError_tPvRmT2_T3_T4_T5_mT6_T7_P12ihipStream_tbENKUlT_T0_E_clISt17integral_constantIbLb1EES12_IbLb0EEEEDaSY_SZ_EUlSY_E_NS1_11comp_targetILNS1_3genE10ELNS1_11target_archE1200ELNS1_3gpuE4ELNS1_3repE0EEENS1_30default_config_static_selectorELNS0_4arch9wavefront6targetE0EEEvT1_.has_dyn_sized_stack, 0
	.set _ZN7rocprim17ROCPRIM_400000_NS6detail17trampoline_kernelINS0_14default_configENS1_27scan_by_key_config_selectorIj11FixedVectorIiLj8EEEEZZNS1_16scan_by_key_implILNS1_25lookback_scan_determinismE0ELb1ES3_N6thrust23THRUST_200600_302600_NS6detail15normal_iteratorINSB_10device_ptrIjEEEENSD_INSE_IS6_EEEESI_S6_NSB_4plusIvEENSB_8equal_toIvEES6_EE10hipError_tPvRmT2_T3_T4_T5_mT6_T7_P12ihipStream_tbENKUlT_T0_E_clISt17integral_constantIbLb1EES12_IbLb0EEEEDaSY_SZ_EUlSY_E_NS1_11comp_targetILNS1_3genE10ELNS1_11target_archE1200ELNS1_3gpuE4ELNS1_3repE0EEENS1_30default_config_static_selectorELNS0_4arch9wavefront6targetE0EEEvT1_.has_recursion, 0
	.set _ZN7rocprim17ROCPRIM_400000_NS6detail17trampoline_kernelINS0_14default_configENS1_27scan_by_key_config_selectorIj11FixedVectorIiLj8EEEEZZNS1_16scan_by_key_implILNS1_25lookback_scan_determinismE0ELb1ES3_N6thrust23THRUST_200600_302600_NS6detail15normal_iteratorINSB_10device_ptrIjEEEENSD_INSE_IS6_EEEESI_S6_NSB_4plusIvEENSB_8equal_toIvEES6_EE10hipError_tPvRmT2_T3_T4_T5_mT6_T7_P12ihipStream_tbENKUlT_T0_E_clISt17integral_constantIbLb1EES12_IbLb0EEEEDaSY_SZ_EUlSY_E_NS1_11comp_targetILNS1_3genE10ELNS1_11target_archE1200ELNS1_3gpuE4ELNS1_3repE0EEENS1_30default_config_static_selectorELNS0_4arch9wavefront6targetE0EEEvT1_.has_indirect_call, 0
	.section	.AMDGPU.csdata,"",@progbits
; Kernel info:
; codeLenInByte = 0
; TotalNumSgprs: 0
; NumVgprs: 0
; ScratchSize: 0
; MemoryBound: 0
; FloatMode: 240
; IeeeMode: 1
; LDSByteSize: 0 bytes/workgroup (compile time only)
; SGPRBlocks: 0
; VGPRBlocks: 0
; NumSGPRsForWavesPerEU: 1
; NumVGPRsForWavesPerEU: 1
; NamedBarCnt: 0
; Occupancy: 16
; WaveLimiterHint : 0
; COMPUTE_PGM_RSRC2:SCRATCH_EN: 0
; COMPUTE_PGM_RSRC2:USER_SGPR: 2
; COMPUTE_PGM_RSRC2:TRAP_HANDLER: 0
; COMPUTE_PGM_RSRC2:TGID_X_EN: 1
; COMPUTE_PGM_RSRC2:TGID_Y_EN: 0
; COMPUTE_PGM_RSRC2:TGID_Z_EN: 0
; COMPUTE_PGM_RSRC2:TIDIG_COMP_CNT: 0
	.section	.text._ZN7rocprim17ROCPRIM_400000_NS6detail17trampoline_kernelINS0_14default_configENS1_27scan_by_key_config_selectorIj11FixedVectorIiLj8EEEEZZNS1_16scan_by_key_implILNS1_25lookback_scan_determinismE0ELb1ES3_N6thrust23THRUST_200600_302600_NS6detail15normal_iteratorINSB_10device_ptrIjEEEENSD_INSE_IS6_EEEESI_S6_NSB_4plusIvEENSB_8equal_toIvEES6_EE10hipError_tPvRmT2_T3_T4_T5_mT6_T7_P12ihipStream_tbENKUlT_T0_E_clISt17integral_constantIbLb1EES12_IbLb0EEEEDaSY_SZ_EUlSY_E_NS1_11comp_targetILNS1_3genE9ELNS1_11target_archE1100ELNS1_3gpuE3ELNS1_3repE0EEENS1_30default_config_static_selectorELNS0_4arch9wavefront6targetE0EEEvT1_,"axG",@progbits,_ZN7rocprim17ROCPRIM_400000_NS6detail17trampoline_kernelINS0_14default_configENS1_27scan_by_key_config_selectorIj11FixedVectorIiLj8EEEEZZNS1_16scan_by_key_implILNS1_25lookback_scan_determinismE0ELb1ES3_N6thrust23THRUST_200600_302600_NS6detail15normal_iteratorINSB_10device_ptrIjEEEENSD_INSE_IS6_EEEESI_S6_NSB_4plusIvEENSB_8equal_toIvEES6_EE10hipError_tPvRmT2_T3_T4_T5_mT6_T7_P12ihipStream_tbENKUlT_T0_E_clISt17integral_constantIbLb1EES12_IbLb0EEEEDaSY_SZ_EUlSY_E_NS1_11comp_targetILNS1_3genE9ELNS1_11target_archE1100ELNS1_3gpuE3ELNS1_3repE0EEENS1_30default_config_static_selectorELNS0_4arch9wavefront6targetE0EEEvT1_,comdat
	.protected	_ZN7rocprim17ROCPRIM_400000_NS6detail17trampoline_kernelINS0_14default_configENS1_27scan_by_key_config_selectorIj11FixedVectorIiLj8EEEEZZNS1_16scan_by_key_implILNS1_25lookback_scan_determinismE0ELb1ES3_N6thrust23THRUST_200600_302600_NS6detail15normal_iteratorINSB_10device_ptrIjEEEENSD_INSE_IS6_EEEESI_S6_NSB_4plusIvEENSB_8equal_toIvEES6_EE10hipError_tPvRmT2_T3_T4_T5_mT6_T7_P12ihipStream_tbENKUlT_T0_E_clISt17integral_constantIbLb1EES12_IbLb0EEEEDaSY_SZ_EUlSY_E_NS1_11comp_targetILNS1_3genE9ELNS1_11target_archE1100ELNS1_3gpuE3ELNS1_3repE0EEENS1_30default_config_static_selectorELNS0_4arch9wavefront6targetE0EEEvT1_ ; -- Begin function _ZN7rocprim17ROCPRIM_400000_NS6detail17trampoline_kernelINS0_14default_configENS1_27scan_by_key_config_selectorIj11FixedVectorIiLj8EEEEZZNS1_16scan_by_key_implILNS1_25lookback_scan_determinismE0ELb1ES3_N6thrust23THRUST_200600_302600_NS6detail15normal_iteratorINSB_10device_ptrIjEEEENSD_INSE_IS6_EEEESI_S6_NSB_4plusIvEENSB_8equal_toIvEES6_EE10hipError_tPvRmT2_T3_T4_T5_mT6_T7_P12ihipStream_tbENKUlT_T0_E_clISt17integral_constantIbLb1EES12_IbLb0EEEEDaSY_SZ_EUlSY_E_NS1_11comp_targetILNS1_3genE9ELNS1_11target_archE1100ELNS1_3gpuE3ELNS1_3repE0EEENS1_30default_config_static_selectorELNS0_4arch9wavefront6targetE0EEEvT1_
	.globl	_ZN7rocprim17ROCPRIM_400000_NS6detail17trampoline_kernelINS0_14default_configENS1_27scan_by_key_config_selectorIj11FixedVectorIiLj8EEEEZZNS1_16scan_by_key_implILNS1_25lookback_scan_determinismE0ELb1ES3_N6thrust23THRUST_200600_302600_NS6detail15normal_iteratorINSB_10device_ptrIjEEEENSD_INSE_IS6_EEEESI_S6_NSB_4plusIvEENSB_8equal_toIvEES6_EE10hipError_tPvRmT2_T3_T4_T5_mT6_T7_P12ihipStream_tbENKUlT_T0_E_clISt17integral_constantIbLb1EES12_IbLb0EEEEDaSY_SZ_EUlSY_E_NS1_11comp_targetILNS1_3genE9ELNS1_11target_archE1100ELNS1_3gpuE3ELNS1_3repE0EEENS1_30default_config_static_selectorELNS0_4arch9wavefront6targetE0EEEvT1_
	.p2align	8
	.type	_ZN7rocprim17ROCPRIM_400000_NS6detail17trampoline_kernelINS0_14default_configENS1_27scan_by_key_config_selectorIj11FixedVectorIiLj8EEEEZZNS1_16scan_by_key_implILNS1_25lookback_scan_determinismE0ELb1ES3_N6thrust23THRUST_200600_302600_NS6detail15normal_iteratorINSB_10device_ptrIjEEEENSD_INSE_IS6_EEEESI_S6_NSB_4plusIvEENSB_8equal_toIvEES6_EE10hipError_tPvRmT2_T3_T4_T5_mT6_T7_P12ihipStream_tbENKUlT_T0_E_clISt17integral_constantIbLb1EES12_IbLb0EEEEDaSY_SZ_EUlSY_E_NS1_11comp_targetILNS1_3genE9ELNS1_11target_archE1100ELNS1_3gpuE3ELNS1_3repE0EEENS1_30default_config_static_selectorELNS0_4arch9wavefront6targetE0EEEvT1_,@function
_ZN7rocprim17ROCPRIM_400000_NS6detail17trampoline_kernelINS0_14default_configENS1_27scan_by_key_config_selectorIj11FixedVectorIiLj8EEEEZZNS1_16scan_by_key_implILNS1_25lookback_scan_determinismE0ELb1ES3_N6thrust23THRUST_200600_302600_NS6detail15normal_iteratorINSB_10device_ptrIjEEEENSD_INSE_IS6_EEEESI_S6_NSB_4plusIvEENSB_8equal_toIvEES6_EE10hipError_tPvRmT2_T3_T4_T5_mT6_T7_P12ihipStream_tbENKUlT_T0_E_clISt17integral_constantIbLb1EES12_IbLb0EEEEDaSY_SZ_EUlSY_E_NS1_11comp_targetILNS1_3genE9ELNS1_11target_archE1100ELNS1_3gpuE3ELNS1_3repE0EEENS1_30default_config_static_selectorELNS0_4arch9wavefront6targetE0EEEvT1_: ; @_ZN7rocprim17ROCPRIM_400000_NS6detail17trampoline_kernelINS0_14default_configENS1_27scan_by_key_config_selectorIj11FixedVectorIiLj8EEEEZZNS1_16scan_by_key_implILNS1_25lookback_scan_determinismE0ELb1ES3_N6thrust23THRUST_200600_302600_NS6detail15normal_iteratorINSB_10device_ptrIjEEEENSD_INSE_IS6_EEEESI_S6_NSB_4plusIvEENSB_8equal_toIvEES6_EE10hipError_tPvRmT2_T3_T4_T5_mT6_T7_P12ihipStream_tbENKUlT_T0_E_clISt17integral_constantIbLb1EES12_IbLb0EEEEDaSY_SZ_EUlSY_E_NS1_11comp_targetILNS1_3genE9ELNS1_11target_archE1100ELNS1_3gpuE3ELNS1_3repE0EEENS1_30default_config_static_selectorELNS0_4arch9wavefront6targetE0EEEvT1_
; %bb.0:
	.section	.rodata,"a",@progbits
	.p2align	6, 0x0
	.amdhsa_kernel _ZN7rocprim17ROCPRIM_400000_NS6detail17trampoline_kernelINS0_14default_configENS1_27scan_by_key_config_selectorIj11FixedVectorIiLj8EEEEZZNS1_16scan_by_key_implILNS1_25lookback_scan_determinismE0ELb1ES3_N6thrust23THRUST_200600_302600_NS6detail15normal_iteratorINSB_10device_ptrIjEEEENSD_INSE_IS6_EEEESI_S6_NSB_4plusIvEENSB_8equal_toIvEES6_EE10hipError_tPvRmT2_T3_T4_T5_mT6_T7_P12ihipStream_tbENKUlT_T0_E_clISt17integral_constantIbLb1EES12_IbLb0EEEEDaSY_SZ_EUlSY_E_NS1_11comp_targetILNS1_3genE9ELNS1_11target_archE1100ELNS1_3gpuE3ELNS1_3repE0EEENS1_30default_config_static_selectorELNS0_4arch9wavefront6targetE0EEEvT1_
		.amdhsa_group_segment_fixed_size 0
		.amdhsa_private_segment_fixed_size 0
		.amdhsa_kernarg_size 160
		.amdhsa_user_sgpr_count 2
		.amdhsa_user_sgpr_dispatch_ptr 0
		.amdhsa_user_sgpr_queue_ptr 0
		.amdhsa_user_sgpr_kernarg_segment_ptr 1
		.amdhsa_user_sgpr_dispatch_id 0
		.amdhsa_user_sgpr_kernarg_preload_length 0
		.amdhsa_user_sgpr_kernarg_preload_offset 0
		.amdhsa_user_sgpr_private_segment_size 0
		.amdhsa_wavefront_size32 1
		.amdhsa_uses_dynamic_stack 0
		.amdhsa_enable_private_segment 0
		.amdhsa_system_sgpr_workgroup_id_x 1
		.amdhsa_system_sgpr_workgroup_id_y 0
		.amdhsa_system_sgpr_workgroup_id_z 0
		.amdhsa_system_sgpr_workgroup_info 0
		.amdhsa_system_vgpr_workitem_id 0
		.amdhsa_next_free_vgpr 1
		.amdhsa_next_free_sgpr 1
		.amdhsa_named_barrier_count 0
		.amdhsa_reserve_vcc 0
		.amdhsa_float_round_mode_32 0
		.amdhsa_float_round_mode_16_64 0
		.amdhsa_float_denorm_mode_32 3
		.amdhsa_float_denorm_mode_16_64 3
		.amdhsa_fp16_overflow 0
		.amdhsa_memory_ordered 1
		.amdhsa_forward_progress 1
		.amdhsa_inst_pref_size 0
		.amdhsa_round_robin_scheduling 0
		.amdhsa_exception_fp_ieee_invalid_op 0
		.amdhsa_exception_fp_denorm_src 0
		.amdhsa_exception_fp_ieee_div_zero 0
		.amdhsa_exception_fp_ieee_overflow 0
		.amdhsa_exception_fp_ieee_underflow 0
		.amdhsa_exception_fp_ieee_inexact 0
		.amdhsa_exception_int_div_zero 0
	.end_amdhsa_kernel
	.section	.text._ZN7rocprim17ROCPRIM_400000_NS6detail17trampoline_kernelINS0_14default_configENS1_27scan_by_key_config_selectorIj11FixedVectorIiLj8EEEEZZNS1_16scan_by_key_implILNS1_25lookback_scan_determinismE0ELb1ES3_N6thrust23THRUST_200600_302600_NS6detail15normal_iteratorINSB_10device_ptrIjEEEENSD_INSE_IS6_EEEESI_S6_NSB_4plusIvEENSB_8equal_toIvEES6_EE10hipError_tPvRmT2_T3_T4_T5_mT6_T7_P12ihipStream_tbENKUlT_T0_E_clISt17integral_constantIbLb1EES12_IbLb0EEEEDaSY_SZ_EUlSY_E_NS1_11comp_targetILNS1_3genE9ELNS1_11target_archE1100ELNS1_3gpuE3ELNS1_3repE0EEENS1_30default_config_static_selectorELNS0_4arch9wavefront6targetE0EEEvT1_,"axG",@progbits,_ZN7rocprim17ROCPRIM_400000_NS6detail17trampoline_kernelINS0_14default_configENS1_27scan_by_key_config_selectorIj11FixedVectorIiLj8EEEEZZNS1_16scan_by_key_implILNS1_25lookback_scan_determinismE0ELb1ES3_N6thrust23THRUST_200600_302600_NS6detail15normal_iteratorINSB_10device_ptrIjEEEENSD_INSE_IS6_EEEESI_S6_NSB_4plusIvEENSB_8equal_toIvEES6_EE10hipError_tPvRmT2_T3_T4_T5_mT6_T7_P12ihipStream_tbENKUlT_T0_E_clISt17integral_constantIbLb1EES12_IbLb0EEEEDaSY_SZ_EUlSY_E_NS1_11comp_targetILNS1_3genE9ELNS1_11target_archE1100ELNS1_3gpuE3ELNS1_3repE0EEENS1_30default_config_static_selectorELNS0_4arch9wavefront6targetE0EEEvT1_,comdat
.Lfunc_end2182:
	.size	_ZN7rocprim17ROCPRIM_400000_NS6detail17trampoline_kernelINS0_14default_configENS1_27scan_by_key_config_selectorIj11FixedVectorIiLj8EEEEZZNS1_16scan_by_key_implILNS1_25lookback_scan_determinismE0ELb1ES3_N6thrust23THRUST_200600_302600_NS6detail15normal_iteratorINSB_10device_ptrIjEEEENSD_INSE_IS6_EEEESI_S6_NSB_4plusIvEENSB_8equal_toIvEES6_EE10hipError_tPvRmT2_T3_T4_T5_mT6_T7_P12ihipStream_tbENKUlT_T0_E_clISt17integral_constantIbLb1EES12_IbLb0EEEEDaSY_SZ_EUlSY_E_NS1_11comp_targetILNS1_3genE9ELNS1_11target_archE1100ELNS1_3gpuE3ELNS1_3repE0EEENS1_30default_config_static_selectorELNS0_4arch9wavefront6targetE0EEEvT1_, .Lfunc_end2182-_ZN7rocprim17ROCPRIM_400000_NS6detail17trampoline_kernelINS0_14default_configENS1_27scan_by_key_config_selectorIj11FixedVectorIiLj8EEEEZZNS1_16scan_by_key_implILNS1_25lookback_scan_determinismE0ELb1ES3_N6thrust23THRUST_200600_302600_NS6detail15normal_iteratorINSB_10device_ptrIjEEEENSD_INSE_IS6_EEEESI_S6_NSB_4plusIvEENSB_8equal_toIvEES6_EE10hipError_tPvRmT2_T3_T4_T5_mT6_T7_P12ihipStream_tbENKUlT_T0_E_clISt17integral_constantIbLb1EES12_IbLb0EEEEDaSY_SZ_EUlSY_E_NS1_11comp_targetILNS1_3genE9ELNS1_11target_archE1100ELNS1_3gpuE3ELNS1_3repE0EEENS1_30default_config_static_selectorELNS0_4arch9wavefront6targetE0EEEvT1_
                                        ; -- End function
	.set _ZN7rocprim17ROCPRIM_400000_NS6detail17trampoline_kernelINS0_14default_configENS1_27scan_by_key_config_selectorIj11FixedVectorIiLj8EEEEZZNS1_16scan_by_key_implILNS1_25lookback_scan_determinismE0ELb1ES3_N6thrust23THRUST_200600_302600_NS6detail15normal_iteratorINSB_10device_ptrIjEEEENSD_INSE_IS6_EEEESI_S6_NSB_4plusIvEENSB_8equal_toIvEES6_EE10hipError_tPvRmT2_T3_T4_T5_mT6_T7_P12ihipStream_tbENKUlT_T0_E_clISt17integral_constantIbLb1EES12_IbLb0EEEEDaSY_SZ_EUlSY_E_NS1_11comp_targetILNS1_3genE9ELNS1_11target_archE1100ELNS1_3gpuE3ELNS1_3repE0EEENS1_30default_config_static_selectorELNS0_4arch9wavefront6targetE0EEEvT1_.num_vgpr, 0
	.set _ZN7rocprim17ROCPRIM_400000_NS6detail17trampoline_kernelINS0_14default_configENS1_27scan_by_key_config_selectorIj11FixedVectorIiLj8EEEEZZNS1_16scan_by_key_implILNS1_25lookback_scan_determinismE0ELb1ES3_N6thrust23THRUST_200600_302600_NS6detail15normal_iteratorINSB_10device_ptrIjEEEENSD_INSE_IS6_EEEESI_S6_NSB_4plusIvEENSB_8equal_toIvEES6_EE10hipError_tPvRmT2_T3_T4_T5_mT6_T7_P12ihipStream_tbENKUlT_T0_E_clISt17integral_constantIbLb1EES12_IbLb0EEEEDaSY_SZ_EUlSY_E_NS1_11comp_targetILNS1_3genE9ELNS1_11target_archE1100ELNS1_3gpuE3ELNS1_3repE0EEENS1_30default_config_static_selectorELNS0_4arch9wavefront6targetE0EEEvT1_.num_agpr, 0
	.set _ZN7rocprim17ROCPRIM_400000_NS6detail17trampoline_kernelINS0_14default_configENS1_27scan_by_key_config_selectorIj11FixedVectorIiLj8EEEEZZNS1_16scan_by_key_implILNS1_25lookback_scan_determinismE0ELb1ES3_N6thrust23THRUST_200600_302600_NS6detail15normal_iteratorINSB_10device_ptrIjEEEENSD_INSE_IS6_EEEESI_S6_NSB_4plusIvEENSB_8equal_toIvEES6_EE10hipError_tPvRmT2_T3_T4_T5_mT6_T7_P12ihipStream_tbENKUlT_T0_E_clISt17integral_constantIbLb1EES12_IbLb0EEEEDaSY_SZ_EUlSY_E_NS1_11comp_targetILNS1_3genE9ELNS1_11target_archE1100ELNS1_3gpuE3ELNS1_3repE0EEENS1_30default_config_static_selectorELNS0_4arch9wavefront6targetE0EEEvT1_.numbered_sgpr, 0
	.set _ZN7rocprim17ROCPRIM_400000_NS6detail17trampoline_kernelINS0_14default_configENS1_27scan_by_key_config_selectorIj11FixedVectorIiLj8EEEEZZNS1_16scan_by_key_implILNS1_25lookback_scan_determinismE0ELb1ES3_N6thrust23THRUST_200600_302600_NS6detail15normal_iteratorINSB_10device_ptrIjEEEENSD_INSE_IS6_EEEESI_S6_NSB_4plusIvEENSB_8equal_toIvEES6_EE10hipError_tPvRmT2_T3_T4_T5_mT6_T7_P12ihipStream_tbENKUlT_T0_E_clISt17integral_constantIbLb1EES12_IbLb0EEEEDaSY_SZ_EUlSY_E_NS1_11comp_targetILNS1_3genE9ELNS1_11target_archE1100ELNS1_3gpuE3ELNS1_3repE0EEENS1_30default_config_static_selectorELNS0_4arch9wavefront6targetE0EEEvT1_.num_named_barrier, 0
	.set _ZN7rocprim17ROCPRIM_400000_NS6detail17trampoline_kernelINS0_14default_configENS1_27scan_by_key_config_selectorIj11FixedVectorIiLj8EEEEZZNS1_16scan_by_key_implILNS1_25lookback_scan_determinismE0ELb1ES3_N6thrust23THRUST_200600_302600_NS6detail15normal_iteratorINSB_10device_ptrIjEEEENSD_INSE_IS6_EEEESI_S6_NSB_4plusIvEENSB_8equal_toIvEES6_EE10hipError_tPvRmT2_T3_T4_T5_mT6_T7_P12ihipStream_tbENKUlT_T0_E_clISt17integral_constantIbLb1EES12_IbLb0EEEEDaSY_SZ_EUlSY_E_NS1_11comp_targetILNS1_3genE9ELNS1_11target_archE1100ELNS1_3gpuE3ELNS1_3repE0EEENS1_30default_config_static_selectorELNS0_4arch9wavefront6targetE0EEEvT1_.private_seg_size, 0
	.set _ZN7rocprim17ROCPRIM_400000_NS6detail17trampoline_kernelINS0_14default_configENS1_27scan_by_key_config_selectorIj11FixedVectorIiLj8EEEEZZNS1_16scan_by_key_implILNS1_25lookback_scan_determinismE0ELb1ES3_N6thrust23THRUST_200600_302600_NS6detail15normal_iteratorINSB_10device_ptrIjEEEENSD_INSE_IS6_EEEESI_S6_NSB_4plusIvEENSB_8equal_toIvEES6_EE10hipError_tPvRmT2_T3_T4_T5_mT6_T7_P12ihipStream_tbENKUlT_T0_E_clISt17integral_constantIbLb1EES12_IbLb0EEEEDaSY_SZ_EUlSY_E_NS1_11comp_targetILNS1_3genE9ELNS1_11target_archE1100ELNS1_3gpuE3ELNS1_3repE0EEENS1_30default_config_static_selectorELNS0_4arch9wavefront6targetE0EEEvT1_.uses_vcc, 0
	.set _ZN7rocprim17ROCPRIM_400000_NS6detail17trampoline_kernelINS0_14default_configENS1_27scan_by_key_config_selectorIj11FixedVectorIiLj8EEEEZZNS1_16scan_by_key_implILNS1_25lookback_scan_determinismE0ELb1ES3_N6thrust23THRUST_200600_302600_NS6detail15normal_iteratorINSB_10device_ptrIjEEEENSD_INSE_IS6_EEEESI_S6_NSB_4plusIvEENSB_8equal_toIvEES6_EE10hipError_tPvRmT2_T3_T4_T5_mT6_T7_P12ihipStream_tbENKUlT_T0_E_clISt17integral_constantIbLb1EES12_IbLb0EEEEDaSY_SZ_EUlSY_E_NS1_11comp_targetILNS1_3genE9ELNS1_11target_archE1100ELNS1_3gpuE3ELNS1_3repE0EEENS1_30default_config_static_selectorELNS0_4arch9wavefront6targetE0EEEvT1_.uses_flat_scratch, 0
	.set _ZN7rocprim17ROCPRIM_400000_NS6detail17trampoline_kernelINS0_14default_configENS1_27scan_by_key_config_selectorIj11FixedVectorIiLj8EEEEZZNS1_16scan_by_key_implILNS1_25lookback_scan_determinismE0ELb1ES3_N6thrust23THRUST_200600_302600_NS6detail15normal_iteratorINSB_10device_ptrIjEEEENSD_INSE_IS6_EEEESI_S6_NSB_4plusIvEENSB_8equal_toIvEES6_EE10hipError_tPvRmT2_T3_T4_T5_mT6_T7_P12ihipStream_tbENKUlT_T0_E_clISt17integral_constantIbLb1EES12_IbLb0EEEEDaSY_SZ_EUlSY_E_NS1_11comp_targetILNS1_3genE9ELNS1_11target_archE1100ELNS1_3gpuE3ELNS1_3repE0EEENS1_30default_config_static_selectorELNS0_4arch9wavefront6targetE0EEEvT1_.has_dyn_sized_stack, 0
	.set _ZN7rocprim17ROCPRIM_400000_NS6detail17trampoline_kernelINS0_14default_configENS1_27scan_by_key_config_selectorIj11FixedVectorIiLj8EEEEZZNS1_16scan_by_key_implILNS1_25lookback_scan_determinismE0ELb1ES3_N6thrust23THRUST_200600_302600_NS6detail15normal_iteratorINSB_10device_ptrIjEEEENSD_INSE_IS6_EEEESI_S6_NSB_4plusIvEENSB_8equal_toIvEES6_EE10hipError_tPvRmT2_T3_T4_T5_mT6_T7_P12ihipStream_tbENKUlT_T0_E_clISt17integral_constantIbLb1EES12_IbLb0EEEEDaSY_SZ_EUlSY_E_NS1_11comp_targetILNS1_3genE9ELNS1_11target_archE1100ELNS1_3gpuE3ELNS1_3repE0EEENS1_30default_config_static_selectorELNS0_4arch9wavefront6targetE0EEEvT1_.has_recursion, 0
	.set _ZN7rocprim17ROCPRIM_400000_NS6detail17trampoline_kernelINS0_14default_configENS1_27scan_by_key_config_selectorIj11FixedVectorIiLj8EEEEZZNS1_16scan_by_key_implILNS1_25lookback_scan_determinismE0ELb1ES3_N6thrust23THRUST_200600_302600_NS6detail15normal_iteratorINSB_10device_ptrIjEEEENSD_INSE_IS6_EEEESI_S6_NSB_4plusIvEENSB_8equal_toIvEES6_EE10hipError_tPvRmT2_T3_T4_T5_mT6_T7_P12ihipStream_tbENKUlT_T0_E_clISt17integral_constantIbLb1EES12_IbLb0EEEEDaSY_SZ_EUlSY_E_NS1_11comp_targetILNS1_3genE9ELNS1_11target_archE1100ELNS1_3gpuE3ELNS1_3repE0EEENS1_30default_config_static_selectorELNS0_4arch9wavefront6targetE0EEEvT1_.has_indirect_call, 0
	.section	.AMDGPU.csdata,"",@progbits
; Kernel info:
; codeLenInByte = 0
; TotalNumSgprs: 0
; NumVgprs: 0
; ScratchSize: 0
; MemoryBound: 0
; FloatMode: 240
; IeeeMode: 1
; LDSByteSize: 0 bytes/workgroup (compile time only)
; SGPRBlocks: 0
; VGPRBlocks: 0
; NumSGPRsForWavesPerEU: 1
; NumVGPRsForWavesPerEU: 1
; NamedBarCnt: 0
; Occupancy: 16
; WaveLimiterHint : 0
; COMPUTE_PGM_RSRC2:SCRATCH_EN: 0
; COMPUTE_PGM_RSRC2:USER_SGPR: 2
; COMPUTE_PGM_RSRC2:TRAP_HANDLER: 0
; COMPUTE_PGM_RSRC2:TGID_X_EN: 1
; COMPUTE_PGM_RSRC2:TGID_Y_EN: 0
; COMPUTE_PGM_RSRC2:TGID_Z_EN: 0
; COMPUTE_PGM_RSRC2:TIDIG_COMP_CNT: 0
	.section	.text._ZN7rocprim17ROCPRIM_400000_NS6detail17trampoline_kernelINS0_14default_configENS1_27scan_by_key_config_selectorIj11FixedVectorIiLj8EEEEZZNS1_16scan_by_key_implILNS1_25lookback_scan_determinismE0ELb1ES3_N6thrust23THRUST_200600_302600_NS6detail15normal_iteratorINSB_10device_ptrIjEEEENSD_INSE_IS6_EEEESI_S6_NSB_4plusIvEENSB_8equal_toIvEES6_EE10hipError_tPvRmT2_T3_T4_T5_mT6_T7_P12ihipStream_tbENKUlT_T0_E_clISt17integral_constantIbLb1EES12_IbLb0EEEEDaSY_SZ_EUlSY_E_NS1_11comp_targetILNS1_3genE8ELNS1_11target_archE1030ELNS1_3gpuE2ELNS1_3repE0EEENS1_30default_config_static_selectorELNS0_4arch9wavefront6targetE0EEEvT1_,"axG",@progbits,_ZN7rocprim17ROCPRIM_400000_NS6detail17trampoline_kernelINS0_14default_configENS1_27scan_by_key_config_selectorIj11FixedVectorIiLj8EEEEZZNS1_16scan_by_key_implILNS1_25lookback_scan_determinismE0ELb1ES3_N6thrust23THRUST_200600_302600_NS6detail15normal_iteratorINSB_10device_ptrIjEEEENSD_INSE_IS6_EEEESI_S6_NSB_4plusIvEENSB_8equal_toIvEES6_EE10hipError_tPvRmT2_T3_T4_T5_mT6_T7_P12ihipStream_tbENKUlT_T0_E_clISt17integral_constantIbLb1EES12_IbLb0EEEEDaSY_SZ_EUlSY_E_NS1_11comp_targetILNS1_3genE8ELNS1_11target_archE1030ELNS1_3gpuE2ELNS1_3repE0EEENS1_30default_config_static_selectorELNS0_4arch9wavefront6targetE0EEEvT1_,comdat
	.protected	_ZN7rocprim17ROCPRIM_400000_NS6detail17trampoline_kernelINS0_14default_configENS1_27scan_by_key_config_selectorIj11FixedVectorIiLj8EEEEZZNS1_16scan_by_key_implILNS1_25lookback_scan_determinismE0ELb1ES3_N6thrust23THRUST_200600_302600_NS6detail15normal_iteratorINSB_10device_ptrIjEEEENSD_INSE_IS6_EEEESI_S6_NSB_4plusIvEENSB_8equal_toIvEES6_EE10hipError_tPvRmT2_T3_T4_T5_mT6_T7_P12ihipStream_tbENKUlT_T0_E_clISt17integral_constantIbLb1EES12_IbLb0EEEEDaSY_SZ_EUlSY_E_NS1_11comp_targetILNS1_3genE8ELNS1_11target_archE1030ELNS1_3gpuE2ELNS1_3repE0EEENS1_30default_config_static_selectorELNS0_4arch9wavefront6targetE0EEEvT1_ ; -- Begin function _ZN7rocprim17ROCPRIM_400000_NS6detail17trampoline_kernelINS0_14default_configENS1_27scan_by_key_config_selectorIj11FixedVectorIiLj8EEEEZZNS1_16scan_by_key_implILNS1_25lookback_scan_determinismE0ELb1ES3_N6thrust23THRUST_200600_302600_NS6detail15normal_iteratorINSB_10device_ptrIjEEEENSD_INSE_IS6_EEEESI_S6_NSB_4plusIvEENSB_8equal_toIvEES6_EE10hipError_tPvRmT2_T3_T4_T5_mT6_T7_P12ihipStream_tbENKUlT_T0_E_clISt17integral_constantIbLb1EES12_IbLb0EEEEDaSY_SZ_EUlSY_E_NS1_11comp_targetILNS1_3genE8ELNS1_11target_archE1030ELNS1_3gpuE2ELNS1_3repE0EEENS1_30default_config_static_selectorELNS0_4arch9wavefront6targetE0EEEvT1_
	.globl	_ZN7rocprim17ROCPRIM_400000_NS6detail17trampoline_kernelINS0_14default_configENS1_27scan_by_key_config_selectorIj11FixedVectorIiLj8EEEEZZNS1_16scan_by_key_implILNS1_25lookback_scan_determinismE0ELb1ES3_N6thrust23THRUST_200600_302600_NS6detail15normal_iteratorINSB_10device_ptrIjEEEENSD_INSE_IS6_EEEESI_S6_NSB_4plusIvEENSB_8equal_toIvEES6_EE10hipError_tPvRmT2_T3_T4_T5_mT6_T7_P12ihipStream_tbENKUlT_T0_E_clISt17integral_constantIbLb1EES12_IbLb0EEEEDaSY_SZ_EUlSY_E_NS1_11comp_targetILNS1_3genE8ELNS1_11target_archE1030ELNS1_3gpuE2ELNS1_3repE0EEENS1_30default_config_static_selectorELNS0_4arch9wavefront6targetE0EEEvT1_
	.p2align	8
	.type	_ZN7rocprim17ROCPRIM_400000_NS6detail17trampoline_kernelINS0_14default_configENS1_27scan_by_key_config_selectorIj11FixedVectorIiLj8EEEEZZNS1_16scan_by_key_implILNS1_25lookback_scan_determinismE0ELb1ES3_N6thrust23THRUST_200600_302600_NS6detail15normal_iteratorINSB_10device_ptrIjEEEENSD_INSE_IS6_EEEESI_S6_NSB_4plusIvEENSB_8equal_toIvEES6_EE10hipError_tPvRmT2_T3_T4_T5_mT6_T7_P12ihipStream_tbENKUlT_T0_E_clISt17integral_constantIbLb1EES12_IbLb0EEEEDaSY_SZ_EUlSY_E_NS1_11comp_targetILNS1_3genE8ELNS1_11target_archE1030ELNS1_3gpuE2ELNS1_3repE0EEENS1_30default_config_static_selectorELNS0_4arch9wavefront6targetE0EEEvT1_,@function
_ZN7rocprim17ROCPRIM_400000_NS6detail17trampoline_kernelINS0_14default_configENS1_27scan_by_key_config_selectorIj11FixedVectorIiLj8EEEEZZNS1_16scan_by_key_implILNS1_25lookback_scan_determinismE0ELb1ES3_N6thrust23THRUST_200600_302600_NS6detail15normal_iteratorINSB_10device_ptrIjEEEENSD_INSE_IS6_EEEESI_S6_NSB_4plusIvEENSB_8equal_toIvEES6_EE10hipError_tPvRmT2_T3_T4_T5_mT6_T7_P12ihipStream_tbENKUlT_T0_E_clISt17integral_constantIbLb1EES12_IbLb0EEEEDaSY_SZ_EUlSY_E_NS1_11comp_targetILNS1_3genE8ELNS1_11target_archE1030ELNS1_3gpuE2ELNS1_3repE0EEENS1_30default_config_static_selectorELNS0_4arch9wavefront6targetE0EEEvT1_: ; @_ZN7rocprim17ROCPRIM_400000_NS6detail17trampoline_kernelINS0_14default_configENS1_27scan_by_key_config_selectorIj11FixedVectorIiLj8EEEEZZNS1_16scan_by_key_implILNS1_25lookback_scan_determinismE0ELb1ES3_N6thrust23THRUST_200600_302600_NS6detail15normal_iteratorINSB_10device_ptrIjEEEENSD_INSE_IS6_EEEESI_S6_NSB_4plusIvEENSB_8equal_toIvEES6_EE10hipError_tPvRmT2_T3_T4_T5_mT6_T7_P12ihipStream_tbENKUlT_T0_E_clISt17integral_constantIbLb1EES12_IbLb0EEEEDaSY_SZ_EUlSY_E_NS1_11comp_targetILNS1_3genE8ELNS1_11target_archE1030ELNS1_3gpuE2ELNS1_3repE0EEENS1_30default_config_static_selectorELNS0_4arch9wavefront6targetE0EEEvT1_
; %bb.0:
	.section	.rodata,"a",@progbits
	.p2align	6, 0x0
	.amdhsa_kernel _ZN7rocprim17ROCPRIM_400000_NS6detail17trampoline_kernelINS0_14default_configENS1_27scan_by_key_config_selectorIj11FixedVectorIiLj8EEEEZZNS1_16scan_by_key_implILNS1_25lookback_scan_determinismE0ELb1ES3_N6thrust23THRUST_200600_302600_NS6detail15normal_iteratorINSB_10device_ptrIjEEEENSD_INSE_IS6_EEEESI_S6_NSB_4plusIvEENSB_8equal_toIvEES6_EE10hipError_tPvRmT2_T3_T4_T5_mT6_T7_P12ihipStream_tbENKUlT_T0_E_clISt17integral_constantIbLb1EES12_IbLb0EEEEDaSY_SZ_EUlSY_E_NS1_11comp_targetILNS1_3genE8ELNS1_11target_archE1030ELNS1_3gpuE2ELNS1_3repE0EEENS1_30default_config_static_selectorELNS0_4arch9wavefront6targetE0EEEvT1_
		.amdhsa_group_segment_fixed_size 0
		.amdhsa_private_segment_fixed_size 0
		.amdhsa_kernarg_size 160
		.amdhsa_user_sgpr_count 2
		.amdhsa_user_sgpr_dispatch_ptr 0
		.amdhsa_user_sgpr_queue_ptr 0
		.amdhsa_user_sgpr_kernarg_segment_ptr 1
		.amdhsa_user_sgpr_dispatch_id 0
		.amdhsa_user_sgpr_kernarg_preload_length 0
		.amdhsa_user_sgpr_kernarg_preload_offset 0
		.amdhsa_user_sgpr_private_segment_size 0
		.amdhsa_wavefront_size32 1
		.amdhsa_uses_dynamic_stack 0
		.amdhsa_enable_private_segment 0
		.amdhsa_system_sgpr_workgroup_id_x 1
		.amdhsa_system_sgpr_workgroup_id_y 0
		.amdhsa_system_sgpr_workgroup_id_z 0
		.amdhsa_system_sgpr_workgroup_info 0
		.amdhsa_system_vgpr_workitem_id 0
		.amdhsa_next_free_vgpr 1
		.amdhsa_next_free_sgpr 1
		.amdhsa_named_barrier_count 0
		.amdhsa_reserve_vcc 0
		.amdhsa_float_round_mode_32 0
		.amdhsa_float_round_mode_16_64 0
		.amdhsa_float_denorm_mode_32 3
		.amdhsa_float_denorm_mode_16_64 3
		.amdhsa_fp16_overflow 0
		.amdhsa_memory_ordered 1
		.amdhsa_forward_progress 1
		.amdhsa_inst_pref_size 0
		.amdhsa_round_robin_scheduling 0
		.amdhsa_exception_fp_ieee_invalid_op 0
		.amdhsa_exception_fp_denorm_src 0
		.amdhsa_exception_fp_ieee_div_zero 0
		.amdhsa_exception_fp_ieee_overflow 0
		.amdhsa_exception_fp_ieee_underflow 0
		.amdhsa_exception_fp_ieee_inexact 0
		.amdhsa_exception_int_div_zero 0
	.end_amdhsa_kernel
	.section	.text._ZN7rocprim17ROCPRIM_400000_NS6detail17trampoline_kernelINS0_14default_configENS1_27scan_by_key_config_selectorIj11FixedVectorIiLj8EEEEZZNS1_16scan_by_key_implILNS1_25lookback_scan_determinismE0ELb1ES3_N6thrust23THRUST_200600_302600_NS6detail15normal_iteratorINSB_10device_ptrIjEEEENSD_INSE_IS6_EEEESI_S6_NSB_4plusIvEENSB_8equal_toIvEES6_EE10hipError_tPvRmT2_T3_T4_T5_mT6_T7_P12ihipStream_tbENKUlT_T0_E_clISt17integral_constantIbLb1EES12_IbLb0EEEEDaSY_SZ_EUlSY_E_NS1_11comp_targetILNS1_3genE8ELNS1_11target_archE1030ELNS1_3gpuE2ELNS1_3repE0EEENS1_30default_config_static_selectorELNS0_4arch9wavefront6targetE0EEEvT1_,"axG",@progbits,_ZN7rocprim17ROCPRIM_400000_NS6detail17trampoline_kernelINS0_14default_configENS1_27scan_by_key_config_selectorIj11FixedVectorIiLj8EEEEZZNS1_16scan_by_key_implILNS1_25lookback_scan_determinismE0ELb1ES3_N6thrust23THRUST_200600_302600_NS6detail15normal_iteratorINSB_10device_ptrIjEEEENSD_INSE_IS6_EEEESI_S6_NSB_4plusIvEENSB_8equal_toIvEES6_EE10hipError_tPvRmT2_T3_T4_T5_mT6_T7_P12ihipStream_tbENKUlT_T0_E_clISt17integral_constantIbLb1EES12_IbLb0EEEEDaSY_SZ_EUlSY_E_NS1_11comp_targetILNS1_3genE8ELNS1_11target_archE1030ELNS1_3gpuE2ELNS1_3repE0EEENS1_30default_config_static_selectorELNS0_4arch9wavefront6targetE0EEEvT1_,comdat
.Lfunc_end2183:
	.size	_ZN7rocprim17ROCPRIM_400000_NS6detail17trampoline_kernelINS0_14default_configENS1_27scan_by_key_config_selectorIj11FixedVectorIiLj8EEEEZZNS1_16scan_by_key_implILNS1_25lookback_scan_determinismE0ELb1ES3_N6thrust23THRUST_200600_302600_NS6detail15normal_iteratorINSB_10device_ptrIjEEEENSD_INSE_IS6_EEEESI_S6_NSB_4plusIvEENSB_8equal_toIvEES6_EE10hipError_tPvRmT2_T3_T4_T5_mT6_T7_P12ihipStream_tbENKUlT_T0_E_clISt17integral_constantIbLb1EES12_IbLb0EEEEDaSY_SZ_EUlSY_E_NS1_11comp_targetILNS1_3genE8ELNS1_11target_archE1030ELNS1_3gpuE2ELNS1_3repE0EEENS1_30default_config_static_selectorELNS0_4arch9wavefront6targetE0EEEvT1_, .Lfunc_end2183-_ZN7rocprim17ROCPRIM_400000_NS6detail17trampoline_kernelINS0_14default_configENS1_27scan_by_key_config_selectorIj11FixedVectorIiLj8EEEEZZNS1_16scan_by_key_implILNS1_25lookback_scan_determinismE0ELb1ES3_N6thrust23THRUST_200600_302600_NS6detail15normal_iteratorINSB_10device_ptrIjEEEENSD_INSE_IS6_EEEESI_S6_NSB_4plusIvEENSB_8equal_toIvEES6_EE10hipError_tPvRmT2_T3_T4_T5_mT6_T7_P12ihipStream_tbENKUlT_T0_E_clISt17integral_constantIbLb1EES12_IbLb0EEEEDaSY_SZ_EUlSY_E_NS1_11comp_targetILNS1_3genE8ELNS1_11target_archE1030ELNS1_3gpuE2ELNS1_3repE0EEENS1_30default_config_static_selectorELNS0_4arch9wavefront6targetE0EEEvT1_
                                        ; -- End function
	.set _ZN7rocprim17ROCPRIM_400000_NS6detail17trampoline_kernelINS0_14default_configENS1_27scan_by_key_config_selectorIj11FixedVectorIiLj8EEEEZZNS1_16scan_by_key_implILNS1_25lookback_scan_determinismE0ELb1ES3_N6thrust23THRUST_200600_302600_NS6detail15normal_iteratorINSB_10device_ptrIjEEEENSD_INSE_IS6_EEEESI_S6_NSB_4plusIvEENSB_8equal_toIvEES6_EE10hipError_tPvRmT2_T3_T4_T5_mT6_T7_P12ihipStream_tbENKUlT_T0_E_clISt17integral_constantIbLb1EES12_IbLb0EEEEDaSY_SZ_EUlSY_E_NS1_11comp_targetILNS1_3genE8ELNS1_11target_archE1030ELNS1_3gpuE2ELNS1_3repE0EEENS1_30default_config_static_selectorELNS0_4arch9wavefront6targetE0EEEvT1_.num_vgpr, 0
	.set _ZN7rocprim17ROCPRIM_400000_NS6detail17trampoline_kernelINS0_14default_configENS1_27scan_by_key_config_selectorIj11FixedVectorIiLj8EEEEZZNS1_16scan_by_key_implILNS1_25lookback_scan_determinismE0ELb1ES3_N6thrust23THRUST_200600_302600_NS6detail15normal_iteratorINSB_10device_ptrIjEEEENSD_INSE_IS6_EEEESI_S6_NSB_4plusIvEENSB_8equal_toIvEES6_EE10hipError_tPvRmT2_T3_T4_T5_mT6_T7_P12ihipStream_tbENKUlT_T0_E_clISt17integral_constantIbLb1EES12_IbLb0EEEEDaSY_SZ_EUlSY_E_NS1_11comp_targetILNS1_3genE8ELNS1_11target_archE1030ELNS1_3gpuE2ELNS1_3repE0EEENS1_30default_config_static_selectorELNS0_4arch9wavefront6targetE0EEEvT1_.num_agpr, 0
	.set _ZN7rocprim17ROCPRIM_400000_NS6detail17trampoline_kernelINS0_14default_configENS1_27scan_by_key_config_selectorIj11FixedVectorIiLj8EEEEZZNS1_16scan_by_key_implILNS1_25lookback_scan_determinismE0ELb1ES3_N6thrust23THRUST_200600_302600_NS6detail15normal_iteratorINSB_10device_ptrIjEEEENSD_INSE_IS6_EEEESI_S6_NSB_4plusIvEENSB_8equal_toIvEES6_EE10hipError_tPvRmT2_T3_T4_T5_mT6_T7_P12ihipStream_tbENKUlT_T0_E_clISt17integral_constantIbLb1EES12_IbLb0EEEEDaSY_SZ_EUlSY_E_NS1_11comp_targetILNS1_3genE8ELNS1_11target_archE1030ELNS1_3gpuE2ELNS1_3repE0EEENS1_30default_config_static_selectorELNS0_4arch9wavefront6targetE0EEEvT1_.numbered_sgpr, 0
	.set _ZN7rocprim17ROCPRIM_400000_NS6detail17trampoline_kernelINS0_14default_configENS1_27scan_by_key_config_selectorIj11FixedVectorIiLj8EEEEZZNS1_16scan_by_key_implILNS1_25lookback_scan_determinismE0ELb1ES3_N6thrust23THRUST_200600_302600_NS6detail15normal_iteratorINSB_10device_ptrIjEEEENSD_INSE_IS6_EEEESI_S6_NSB_4plusIvEENSB_8equal_toIvEES6_EE10hipError_tPvRmT2_T3_T4_T5_mT6_T7_P12ihipStream_tbENKUlT_T0_E_clISt17integral_constantIbLb1EES12_IbLb0EEEEDaSY_SZ_EUlSY_E_NS1_11comp_targetILNS1_3genE8ELNS1_11target_archE1030ELNS1_3gpuE2ELNS1_3repE0EEENS1_30default_config_static_selectorELNS0_4arch9wavefront6targetE0EEEvT1_.num_named_barrier, 0
	.set _ZN7rocprim17ROCPRIM_400000_NS6detail17trampoline_kernelINS0_14default_configENS1_27scan_by_key_config_selectorIj11FixedVectorIiLj8EEEEZZNS1_16scan_by_key_implILNS1_25lookback_scan_determinismE0ELb1ES3_N6thrust23THRUST_200600_302600_NS6detail15normal_iteratorINSB_10device_ptrIjEEEENSD_INSE_IS6_EEEESI_S6_NSB_4plusIvEENSB_8equal_toIvEES6_EE10hipError_tPvRmT2_T3_T4_T5_mT6_T7_P12ihipStream_tbENKUlT_T0_E_clISt17integral_constantIbLb1EES12_IbLb0EEEEDaSY_SZ_EUlSY_E_NS1_11comp_targetILNS1_3genE8ELNS1_11target_archE1030ELNS1_3gpuE2ELNS1_3repE0EEENS1_30default_config_static_selectorELNS0_4arch9wavefront6targetE0EEEvT1_.private_seg_size, 0
	.set _ZN7rocprim17ROCPRIM_400000_NS6detail17trampoline_kernelINS0_14default_configENS1_27scan_by_key_config_selectorIj11FixedVectorIiLj8EEEEZZNS1_16scan_by_key_implILNS1_25lookback_scan_determinismE0ELb1ES3_N6thrust23THRUST_200600_302600_NS6detail15normal_iteratorINSB_10device_ptrIjEEEENSD_INSE_IS6_EEEESI_S6_NSB_4plusIvEENSB_8equal_toIvEES6_EE10hipError_tPvRmT2_T3_T4_T5_mT6_T7_P12ihipStream_tbENKUlT_T0_E_clISt17integral_constantIbLb1EES12_IbLb0EEEEDaSY_SZ_EUlSY_E_NS1_11comp_targetILNS1_3genE8ELNS1_11target_archE1030ELNS1_3gpuE2ELNS1_3repE0EEENS1_30default_config_static_selectorELNS0_4arch9wavefront6targetE0EEEvT1_.uses_vcc, 0
	.set _ZN7rocprim17ROCPRIM_400000_NS6detail17trampoline_kernelINS0_14default_configENS1_27scan_by_key_config_selectorIj11FixedVectorIiLj8EEEEZZNS1_16scan_by_key_implILNS1_25lookback_scan_determinismE0ELb1ES3_N6thrust23THRUST_200600_302600_NS6detail15normal_iteratorINSB_10device_ptrIjEEEENSD_INSE_IS6_EEEESI_S6_NSB_4plusIvEENSB_8equal_toIvEES6_EE10hipError_tPvRmT2_T3_T4_T5_mT6_T7_P12ihipStream_tbENKUlT_T0_E_clISt17integral_constantIbLb1EES12_IbLb0EEEEDaSY_SZ_EUlSY_E_NS1_11comp_targetILNS1_3genE8ELNS1_11target_archE1030ELNS1_3gpuE2ELNS1_3repE0EEENS1_30default_config_static_selectorELNS0_4arch9wavefront6targetE0EEEvT1_.uses_flat_scratch, 0
	.set _ZN7rocprim17ROCPRIM_400000_NS6detail17trampoline_kernelINS0_14default_configENS1_27scan_by_key_config_selectorIj11FixedVectorIiLj8EEEEZZNS1_16scan_by_key_implILNS1_25lookback_scan_determinismE0ELb1ES3_N6thrust23THRUST_200600_302600_NS6detail15normal_iteratorINSB_10device_ptrIjEEEENSD_INSE_IS6_EEEESI_S6_NSB_4plusIvEENSB_8equal_toIvEES6_EE10hipError_tPvRmT2_T3_T4_T5_mT6_T7_P12ihipStream_tbENKUlT_T0_E_clISt17integral_constantIbLb1EES12_IbLb0EEEEDaSY_SZ_EUlSY_E_NS1_11comp_targetILNS1_3genE8ELNS1_11target_archE1030ELNS1_3gpuE2ELNS1_3repE0EEENS1_30default_config_static_selectorELNS0_4arch9wavefront6targetE0EEEvT1_.has_dyn_sized_stack, 0
	.set _ZN7rocprim17ROCPRIM_400000_NS6detail17trampoline_kernelINS0_14default_configENS1_27scan_by_key_config_selectorIj11FixedVectorIiLj8EEEEZZNS1_16scan_by_key_implILNS1_25lookback_scan_determinismE0ELb1ES3_N6thrust23THRUST_200600_302600_NS6detail15normal_iteratorINSB_10device_ptrIjEEEENSD_INSE_IS6_EEEESI_S6_NSB_4plusIvEENSB_8equal_toIvEES6_EE10hipError_tPvRmT2_T3_T4_T5_mT6_T7_P12ihipStream_tbENKUlT_T0_E_clISt17integral_constantIbLb1EES12_IbLb0EEEEDaSY_SZ_EUlSY_E_NS1_11comp_targetILNS1_3genE8ELNS1_11target_archE1030ELNS1_3gpuE2ELNS1_3repE0EEENS1_30default_config_static_selectorELNS0_4arch9wavefront6targetE0EEEvT1_.has_recursion, 0
	.set _ZN7rocprim17ROCPRIM_400000_NS6detail17trampoline_kernelINS0_14default_configENS1_27scan_by_key_config_selectorIj11FixedVectorIiLj8EEEEZZNS1_16scan_by_key_implILNS1_25lookback_scan_determinismE0ELb1ES3_N6thrust23THRUST_200600_302600_NS6detail15normal_iteratorINSB_10device_ptrIjEEEENSD_INSE_IS6_EEEESI_S6_NSB_4plusIvEENSB_8equal_toIvEES6_EE10hipError_tPvRmT2_T3_T4_T5_mT6_T7_P12ihipStream_tbENKUlT_T0_E_clISt17integral_constantIbLb1EES12_IbLb0EEEEDaSY_SZ_EUlSY_E_NS1_11comp_targetILNS1_3genE8ELNS1_11target_archE1030ELNS1_3gpuE2ELNS1_3repE0EEENS1_30default_config_static_selectorELNS0_4arch9wavefront6targetE0EEEvT1_.has_indirect_call, 0
	.section	.AMDGPU.csdata,"",@progbits
; Kernel info:
; codeLenInByte = 0
; TotalNumSgprs: 0
; NumVgprs: 0
; ScratchSize: 0
; MemoryBound: 0
; FloatMode: 240
; IeeeMode: 1
; LDSByteSize: 0 bytes/workgroup (compile time only)
; SGPRBlocks: 0
; VGPRBlocks: 0
; NumSGPRsForWavesPerEU: 1
; NumVGPRsForWavesPerEU: 1
; NamedBarCnt: 0
; Occupancy: 16
; WaveLimiterHint : 0
; COMPUTE_PGM_RSRC2:SCRATCH_EN: 0
; COMPUTE_PGM_RSRC2:USER_SGPR: 2
; COMPUTE_PGM_RSRC2:TRAP_HANDLER: 0
; COMPUTE_PGM_RSRC2:TGID_X_EN: 1
; COMPUTE_PGM_RSRC2:TGID_Y_EN: 0
; COMPUTE_PGM_RSRC2:TGID_Z_EN: 0
; COMPUTE_PGM_RSRC2:TIDIG_COMP_CNT: 0
	.section	.text._ZN7rocprim17ROCPRIM_400000_NS6detail17trampoline_kernelINS0_14default_configENS1_27scan_by_key_config_selectorIj11FixedVectorIiLj8EEEEZZNS1_16scan_by_key_implILNS1_25lookback_scan_determinismE0ELb1ES3_N6thrust23THRUST_200600_302600_NS6detail15normal_iteratorINSB_10device_ptrIjEEEENSD_INSE_IS6_EEEESI_S6_NSB_4plusIvEENSB_8equal_toIvEES6_EE10hipError_tPvRmT2_T3_T4_T5_mT6_T7_P12ihipStream_tbENKUlT_T0_E_clISt17integral_constantIbLb0EES12_IbLb1EEEEDaSY_SZ_EUlSY_E_NS1_11comp_targetILNS1_3genE0ELNS1_11target_archE4294967295ELNS1_3gpuE0ELNS1_3repE0EEENS1_30default_config_static_selectorELNS0_4arch9wavefront6targetE0EEEvT1_,"axG",@progbits,_ZN7rocprim17ROCPRIM_400000_NS6detail17trampoline_kernelINS0_14default_configENS1_27scan_by_key_config_selectorIj11FixedVectorIiLj8EEEEZZNS1_16scan_by_key_implILNS1_25lookback_scan_determinismE0ELb1ES3_N6thrust23THRUST_200600_302600_NS6detail15normal_iteratorINSB_10device_ptrIjEEEENSD_INSE_IS6_EEEESI_S6_NSB_4plusIvEENSB_8equal_toIvEES6_EE10hipError_tPvRmT2_T3_T4_T5_mT6_T7_P12ihipStream_tbENKUlT_T0_E_clISt17integral_constantIbLb0EES12_IbLb1EEEEDaSY_SZ_EUlSY_E_NS1_11comp_targetILNS1_3genE0ELNS1_11target_archE4294967295ELNS1_3gpuE0ELNS1_3repE0EEENS1_30default_config_static_selectorELNS0_4arch9wavefront6targetE0EEEvT1_,comdat
	.protected	_ZN7rocprim17ROCPRIM_400000_NS6detail17trampoline_kernelINS0_14default_configENS1_27scan_by_key_config_selectorIj11FixedVectorIiLj8EEEEZZNS1_16scan_by_key_implILNS1_25lookback_scan_determinismE0ELb1ES3_N6thrust23THRUST_200600_302600_NS6detail15normal_iteratorINSB_10device_ptrIjEEEENSD_INSE_IS6_EEEESI_S6_NSB_4plusIvEENSB_8equal_toIvEES6_EE10hipError_tPvRmT2_T3_T4_T5_mT6_T7_P12ihipStream_tbENKUlT_T0_E_clISt17integral_constantIbLb0EES12_IbLb1EEEEDaSY_SZ_EUlSY_E_NS1_11comp_targetILNS1_3genE0ELNS1_11target_archE4294967295ELNS1_3gpuE0ELNS1_3repE0EEENS1_30default_config_static_selectorELNS0_4arch9wavefront6targetE0EEEvT1_ ; -- Begin function _ZN7rocprim17ROCPRIM_400000_NS6detail17trampoline_kernelINS0_14default_configENS1_27scan_by_key_config_selectorIj11FixedVectorIiLj8EEEEZZNS1_16scan_by_key_implILNS1_25lookback_scan_determinismE0ELb1ES3_N6thrust23THRUST_200600_302600_NS6detail15normal_iteratorINSB_10device_ptrIjEEEENSD_INSE_IS6_EEEESI_S6_NSB_4plusIvEENSB_8equal_toIvEES6_EE10hipError_tPvRmT2_T3_T4_T5_mT6_T7_P12ihipStream_tbENKUlT_T0_E_clISt17integral_constantIbLb0EES12_IbLb1EEEEDaSY_SZ_EUlSY_E_NS1_11comp_targetILNS1_3genE0ELNS1_11target_archE4294967295ELNS1_3gpuE0ELNS1_3repE0EEENS1_30default_config_static_selectorELNS0_4arch9wavefront6targetE0EEEvT1_
	.globl	_ZN7rocprim17ROCPRIM_400000_NS6detail17trampoline_kernelINS0_14default_configENS1_27scan_by_key_config_selectorIj11FixedVectorIiLj8EEEEZZNS1_16scan_by_key_implILNS1_25lookback_scan_determinismE0ELb1ES3_N6thrust23THRUST_200600_302600_NS6detail15normal_iteratorINSB_10device_ptrIjEEEENSD_INSE_IS6_EEEESI_S6_NSB_4plusIvEENSB_8equal_toIvEES6_EE10hipError_tPvRmT2_T3_T4_T5_mT6_T7_P12ihipStream_tbENKUlT_T0_E_clISt17integral_constantIbLb0EES12_IbLb1EEEEDaSY_SZ_EUlSY_E_NS1_11comp_targetILNS1_3genE0ELNS1_11target_archE4294967295ELNS1_3gpuE0ELNS1_3repE0EEENS1_30default_config_static_selectorELNS0_4arch9wavefront6targetE0EEEvT1_
	.p2align	8
	.type	_ZN7rocprim17ROCPRIM_400000_NS6detail17trampoline_kernelINS0_14default_configENS1_27scan_by_key_config_selectorIj11FixedVectorIiLj8EEEEZZNS1_16scan_by_key_implILNS1_25lookback_scan_determinismE0ELb1ES3_N6thrust23THRUST_200600_302600_NS6detail15normal_iteratorINSB_10device_ptrIjEEEENSD_INSE_IS6_EEEESI_S6_NSB_4plusIvEENSB_8equal_toIvEES6_EE10hipError_tPvRmT2_T3_T4_T5_mT6_T7_P12ihipStream_tbENKUlT_T0_E_clISt17integral_constantIbLb0EES12_IbLb1EEEEDaSY_SZ_EUlSY_E_NS1_11comp_targetILNS1_3genE0ELNS1_11target_archE4294967295ELNS1_3gpuE0ELNS1_3repE0EEENS1_30default_config_static_selectorELNS0_4arch9wavefront6targetE0EEEvT1_,@function
_ZN7rocprim17ROCPRIM_400000_NS6detail17trampoline_kernelINS0_14default_configENS1_27scan_by_key_config_selectorIj11FixedVectorIiLj8EEEEZZNS1_16scan_by_key_implILNS1_25lookback_scan_determinismE0ELb1ES3_N6thrust23THRUST_200600_302600_NS6detail15normal_iteratorINSB_10device_ptrIjEEEENSD_INSE_IS6_EEEESI_S6_NSB_4plusIvEENSB_8equal_toIvEES6_EE10hipError_tPvRmT2_T3_T4_T5_mT6_T7_P12ihipStream_tbENKUlT_T0_E_clISt17integral_constantIbLb0EES12_IbLb1EEEEDaSY_SZ_EUlSY_E_NS1_11comp_targetILNS1_3genE0ELNS1_11target_archE4294967295ELNS1_3gpuE0ELNS1_3repE0EEENS1_30default_config_static_selectorELNS0_4arch9wavefront6targetE0EEEvT1_: ; @_ZN7rocprim17ROCPRIM_400000_NS6detail17trampoline_kernelINS0_14default_configENS1_27scan_by_key_config_selectorIj11FixedVectorIiLj8EEEEZZNS1_16scan_by_key_implILNS1_25lookback_scan_determinismE0ELb1ES3_N6thrust23THRUST_200600_302600_NS6detail15normal_iteratorINSB_10device_ptrIjEEEENSD_INSE_IS6_EEEESI_S6_NSB_4plusIvEENSB_8equal_toIvEES6_EE10hipError_tPvRmT2_T3_T4_T5_mT6_T7_P12ihipStream_tbENKUlT_T0_E_clISt17integral_constantIbLb0EES12_IbLb1EEEEDaSY_SZ_EUlSY_E_NS1_11comp_targetILNS1_3genE0ELNS1_11target_archE4294967295ELNS1_3gpuE0ELNS1_3repE0EEENS1_30default_config_static_selectorELNS0_4arch9wavefront6targetE0EEEvT1_
; %bb.0:
	s_clause 0x1
	s_load_b64 s[44:45], s[2:3], 0x68
	s_load_b256 s[8:15], s[2:3], 0x48
	v_and_b32_e32 v18, 0x3ff, v0
	s_delay_alu instid0(VALU_DEP_1)
	v_cmp_ne_u32_e64 s5, 0, v18
	v_cmp_eq_u32_e64 s4, 0, v18
	s_and_saveexec_b32 s6, s4
	s_cbranch_execz .LBB2184_4
; %bb.1:
	s_wait_kmcnt 0x0
	s_mov_b32 s15, exec_lo
	s_mov_b32 s7, exec_lo
	v_mbcnt_lo_u32_b32 v1, s15, 0
                                        ; implicit-def: $vgpr2
	s_delay_alu instid0(VALU_DEP_1)
	v_cmpx_eq_u32_e32 0, v1
	s_cbranch_execz .LBB2184_3
; %bb.2:
	s_load_b64 s[16:17], s[2:3], 0x98
	s_bcnt1_i32_b32 s15, s15
	s_delay_alu instid0(SALU_CYCLE_1)
	v_dual_mov_b32 v2, 0 :: v_dual_mov_b32 v3, s15
	s_wait_xcnt 0x0
	s_wait_kmcnt 0x0
	global_atomic_add_u32 v2, v2, v3, s[16:17] th:TH_ATOMIC_RETURN scope:SCOPE_DEV
.LBB2184_3:
	s_wait_xcnt 0x0
	s_or_b32 exec_lo, exec_lo, s7
	s_wait_loadcnt 0x0
	v_readfirstlane_b32 s7, v2
	s_delay_alu instid0(VALU_DEP_1)
	v_dual_mov_b32 v2, 0 :: v_dual_add_nc_u32 v1, s7, v1
	ds_store_b32 v2, v1
.LBB2184_4:
	s_or_b32 exec_lo, exec_lo, s6
	v_mov_b32_e32 v1, 0
	s_clause 0x3
	s_load_b256 s[16:23], s[2:3], 0x0
	s_load_b256 s[24:31], s[2:3], 0x20
	s_load_b32 s6, s[2:3], 0x70
	s_load_b128 s[36:39], s[2:3], 0x78
	s_wait_dscnt 0x0
	s_barrier_signal -1
	s_barrier_wait -1
	ds_load_b32 v8, v1
	s_mov_b32 s40, 0
	v_mov_b64_e32 v[2:3], 0
	s_mov_b32 s41, s40
	s_mov_b32 s42, s40
	;; [unrolled: 1-line block ×3, first 2 shown]
	v_mov_b64_e32 v[4:5], s[40:41]
	v_mov_b64_e32 v[6:7], s[42:43]
	s_wait_dscnt 0x0
	s_barrier_signal -1
	s_barrier_wait -1
	s_barrier_signal -1
	s_barrier_wait -1
	s_clause 0x2
	scratch_store_b32 off, v1, off offset:304
	scratch_store_b128 off, v[4:7], off offset:288
	scratch_store_b128 off, v[4:7], off offset:272
	v_readfirstlane_b32 s42, v8
.LBB2184_5:                             ; =>This Inner Loop Header: Depth=1
	s_wait_xcnt 0x0
	s_add_co_i32 s2, s40, 0x110
	s_add_co_i32 s40, s40, 8
	scratch_store_b64 off, v[2:3], s2
	s_cmp_lg_u32 s40, 32
	s_cbranch_scc1 .LBB2184_5
; %bb.6:
	s_mov_b32 s48, 0
	s_wait_xcnt 0x0
	v_mov_b64_e32 v[2:3], 0
	s_mov_b32 s49, s48
	s_mov_b32 s50, s48
	;; [unrolled: 1-line block ×3, first 2 shown]
	v_mov_b64_e32 v[4:5], s[48:49]
	v_mov_b64_e32 v[6:7], s[50:51]
	v_mov_b32_e32 v1, 0
	s_mov_b32 s2, 36
	s_wait_kmcnt 0x0
	s_movk_i32 s15, 0x134
	s_clause 0x3
	scratch_store_b8 off, v1, off offset:304
	scratch_store_b128 off, v[4:7], off offset:308
	scratch_store_b32 off, v1, off offset:340
	scratch_store_b128 off, v[4:7], off offset:324
.LBB2184_7:                             ; =>This Inner Loop Header: Depth=1
	s_wait_xcnt 0x0
	s_add_co_i32 s3, s2, 0x110
	s_add_co_i32 s2, s2, 8
	scratch_store_b64 off, v[2:3], s3
	s_cmp_lg_u32 s2, 0x44
	s_cbranch_scc1 .LBB2184_7
; %bb.8:
	s_mov_b32 s48, 0
	s_wait_xcnt 0x0
	v_mov_b64_e32 v[2:3], 0
	s_mov_b32 s49, s48
	s_mov_b32 s50, s48
	;; [unrolled: 1-line block ×3, first 2 shown]
	v_mov_b64_e32 v[4:5], s[48:49]
	v_mov_b64_e32 v[6:7], s[50:51]
	v_mov_b32_e32 v1, 0
	s_movk_i32 s2, 0x48
	s_movk_i32 s33, 0x158
	s_clause 0x3
	scratch_store_b8 off, v1, off offset:340
	scratch_store_b128 off, v[4:7], off offset:344
	scratch_store_b32 off, v1, off offset:376
	scratch_store_b128 off, v[4:7], off offset:360
.LBB2184_9:                             ; =>This Inner Loop Header: Depth=1
	s_wait_xcnt 0x0
	s_add_co_i32 s3, s2, 0x110
	s_add_co_i32 s2, s2, 8
	scratch_store_b64 off, v[2:3], s3
	s_cmp_lg_u32 s2, 0x68
	s_cbranch_scc1 .LBB2184_9
; %bb.10:
	s_wait_xcnt 0x0
	v_mov_b64_e32 v[2:3], 0
	v_dual_mov_b32 v1, 0 :: v_dual_mov_b32 v4, s24
	v_dual_mov_b32 v5, s25 :: v_dual_mov_b32 v6, s26
	v_dual_mov_b32 v7, s27 :: v_dual_mov_b32 v8, s28
	v_dual_mov_b32 v9, s29 :: v_dual_mov_b32 v10, s30
	v_mov_b32_e32 v11, s31
	s_mov_b32 s2, 0
	s_clause 0x2
	scratch_store_b8 off, v1, off offset:376
	scratch_store_b128 off, v[4:7], off offset:96
	scratch_store_b128 off, v[8:11], off offset:112
.LBB2184_11:                            ; =>This Inner Loop Header: Depth=1
	s_wait_xcnt 0x0
	s_mov_b32 s3, s2
	s_add_co_i32 s2, s2, 8
	scratch_store_b64 off, v[2:3], s3
	s_cmp_lg_u32 s2, 32
	s_cbranch_scc1 .LBB2184_11
; %bb.12:
	s_wait_xcnt 0x0
	v_mov_b64_e32 v[2:3], 0
	s_mov_b32 s2, 32
.LBB2184_13:                            ; =>This Inner Loop Header: Depth=1
	s_wait_xcnt 0x0
	s_mov_b32 s3, s2
	s_add_co_i32 s2, s2, 8
	scratch_store_b64 off, v[2:3], s3
	s_cmp_lg_u32 s2, 64
	s_cbranch_scc1 .LBB2184_13
; %bb.14:
	s_wait_xcnt 0x0
	v_mov_b64_e32 v[2:3], 0
	s_mov_b32 s2, 64
.LBB2184_15:                            ; =>This Inner Loop Header: Depth=1
	s_wait_xcnt 0x0
	s_mov_b32 s3, s2
	s_add_co_i32 s2, s2, 8
	scratch_store_b64 off, v[2:3], s3
	s_cmp_lg_u32 s2, 0x60
	s_cbranch_scc1 .LBB2184_15
; %bb.16:
	s_mov_b32 s7, 0
	s_wait_xcnt 0x0
	s_lshl_b64 s[2:3], s[18:19], 2
	s_mul_u64 s[34:35], s[44:45], s[6:7]
	s_mov_b32 s43, s7
	s_add_nc_u64 s[2:3], s[16:17], s[2:3]
	s_add_nc_u64 s[16:17], s[34:35], s[42:43]
	s_add_nc_u64 s[46:47], s[36:37], -1
	s_lshl_b64 s[34:35], s[18:19], 5
	v_cmp_ge_u64_e64 s36, s[16:17], s[46:47]
	s_mul_i32 s6, s42, 0x300
	s_add_nc_u64 s[16:17], s[20:21], s[34:35]
	s_lshl_b64 s[18:19], s[6:7], 2
	s_lshl_b64 s[20:21], s[6:7], 5
	s_mov_b32 s40, 64
	s_mov_b32 s41, 32
	s_add_nc_u64 s[18:19], s[2:3], s[18:19]
	s_add_nc_u64 s[16:17], s[16:17], s[20:21]
	s_and_b32 vcc_lo, exec_lo, s36
	s_mul_i32 s37, s46, 0xfffffd00
	s_cbranch_vccz .LBB2184_34
; %bb.17:
	v_mov_b32_e32 v1, 0
	s_add_co_i32 s43, s37, s14
	s_delay_alu instid0(SALU_CYCLE_1)
	v_cmp_gt_u32_e32 vcc_lo, s43, v18
	flat_load_b32 v1, v1, s[18:19]
	s_wait_loadcnt_dscnt 0x0
	v_mov_b32_e32 v2, v1
	s_wait_xcnt 0x0
	s_and_saveexec_b32 s2, vcc_lo
	s_cbranch_execz .LBB2184_19
; %bb.18:
	flat_load_b32 v2, v18, s[18:19] scale_offset
.LBB2184_19:
	s_wait_xcnt 0x0
	s_or_b32 exec_lo, exec_lo, s2
	v_add_nc_u32_e32 v3, 0x100, v18
	s_delay_alu instid0(VALU_DEP_1)
	v_cmp_gt_u32_e64 s3, s43, v3
	v_mov_b32_e32 v3, v1
	s_and_saveexec_b32 s2, s3
	s_cbranch_execz .LBB2184_21
; %bb.20:
	flat_load_b32 v3, v18, s[18:19] offset:1024 scale_offset
.LBB2184_21:
	s_wait_xcnt 0x0
	s_or_b32 exec_lo, exec_lo, s2
	v_add_nc_u32_e32 v4, 0x200, v18
	s_delay_alu instid0(VALU_DEP_1) | instskip(SKIP_2) | instid1(SALU_CYCLE_1)
	v_cmp_gt_u32_e64 s2, s43, v4
	v_cmp_le_u32_e64 s6, s43, v4
	s_and_saveexec_b32 s7, s6
	s_xor_b32 s6, exec_lo, s7
	s_delay_alu instid0(SALU_CYCLE_1)
	s_and_not1_saveexec_b32 s6, s6
	s_cbranch_execz .LBB2184_23
; %bb.22:
	flat_load_b32 v1, v18, s[18:19] offset:2048 scale_offset
.LBB2184_23:
	s_wait_xcnt 0x0
	s_or_b32 exec_lo, exec_lo, s6
	v_dual_lshlrev_b32 v6, 2, v18 :: v_dual_mov_b32 v4, 0
	s_mov_b32 s7, exec_lo
	s_wait_loadcnt_dscnt 0x0
	ds_store_2addr_stride64_b32 v6, v2, v3 offset1:4
	ds_store_b32 v6, v1 offset:2048
	s_wait_storecnt_dscnt 0x0
	s_barrier_signal -1
	s_barrier_wait -1
	flat_load_b32 v1, v4, s[18:19]
	v_lshl_add_u32 v2, v18, 3, v6
	s_wait_xcnt 0x0
	ds_load_b32 v4, v2
	ds_load_2addr_b32 v[2:3], v2 offset0:1 offset1:2
	s_wait_dscnt 0x1
	ds_store_b32 v6, v4 offset:4096
	s_wait_loadcnt_dscnt 0x0
	s_barrier_signal -1
	s_barrier_wait -1
	v_cmpx_ne_u32_e32 0xff, v18
; %bb.24:
	ds_load_b32 v1, v6 offset:4100
; %bb.25:
	s_or_b32 exec_lo, exec_lo, s7
	s_wait_dscnt 0x0
	s_barrier_signal -1
	s_barrier_wait -1
	s_and_saveexec_b32 s6, vcc_lo
	s_cbranch_execnz .LBB2184_422
; %bb.26:
	s_or_b32 exec_lo, exec_lo, s6
	s_and_saveexec_b32 s6, s3
	s_cbranch_execnz .LBB2184_423
.LBB2184_27:
	s_or_b32 exec_lo, exec_lo, s6
	v_mul_u32_u24_e32 v5, 3, v18
	s_and_saveexec_b32 s3, s2
	s_cbranch_execz .LBB2184_29
.LBB2184_28:
	v_lshlrev_b32_e32 v7, 5, v18
	s_clause 0x1
	flat_load_b128 v[8:11], v7, s[16:17] offset:16384
	flat_load_b128 v[12:15], v7, s[16:17] offset:16400
	s_wait_loadcnt_dscnt 0x101
	scratch_store_b128 off, v[8:11], off offset:64
	s_wait_loadcnt_dscnt 0x0
	scratch_store_b128 off, v[12:15], off offset:80
.LBB2184_29:
	s_wait_xcnt 0x0
	s_or_b32 exec_lo, exec_lo, s3
	s_clause 0x1
	scratch_load_b128 v[8:11], off, off
	scratch_load_b128 v[12:15], off, off offset:16
	s_clause 0x3
	scratch_load_b128 v[20:23], off, s41
	scratch_load_b128 v[24:27], off, s41 offset:16
	scratch_load_b128 v[28:31], off, s40
	scratch_load_b128 v[32:35], off, s40 offset:16
	v_mad_u32_u24 v6, v18, 28, v6
	s_mov_b32 s2, 0
	s_mov_b32 s7, 0
	s_mov_b32 s6, exec_lo
                                        ; implicit-def: $sgpr3
	s_wait_loadcnt 0x5
	ds_store_b128 v6, v[8:11]
	s_wait_loadcnt 0x4
	ds_store_b128 v6, v[12:15] offset:16
	s_wait_loadcnt 0x3
	ds_store_b128 v6, v[20:23] offset:8192
	;; [unrolled: 2-line block ×5, first 2 shown]
	v_lshl_add_u32 v19, v18, 6, v6
	s_wait_storecnt_dscnt 0x0
	s_barrier_signal -1
	s_barrier_wait -1
	ds_load_b128 v[6:9], v19
	ds_load_b128 v[10:13], v19 offset:16
	ds_load_b128 v[14:17], v19 offset:32
	;; [unrolled: 1-line block ×5, first 2 shown]
	s_wait_dscnt 0x5
	scratch_store_b128 off, v[6:9], off
	s_wait_dscnt 0x4
	scratch_store_b128 off, v[10:13], off offset:16
	s_wait_dscnt 0x3
	scratch_store_b128 off, v[14:17], s41
	s_wait_dscnt 0x2
	scratch_store_b128 off, v[20:23], s41 offset:16
	s_wait_dscnt 0x1
	scratch_store_b128 off, v[24:27], s40
	s_wait_dscnt 0x0
	scratch_store_b128 off, v[28:31], s40 offset:16
	s_wait_xcnt 0x0
	v_cmpx_gt_u32_e64 s43, v5
	s_cbranch_execz .LBB2184_33
; %bb.30:
	v_mov_b32_e32 v6, 0x60
	v_cmp_ne_u32_e32 vcc_lo, v4, v2
	s_mov_b32 s46, 0
	s_mov_b32 s7, exec_lo
                                        ; implicit-def: $sgpr3
	s_delay_alu instid0(VALU_DEP_2)
	v_cndmask_b32_e32 v7, 0, v6, vcc_lo
	v_cndmask_b32_e64 v4, 0, 1, vcc_lo
	s_clause 0x1
	scratch_load_b128 v[8:11], v7, off
	scratch_load_b128 v[12:15], v7, off offset:16
	s_wait_xcnt 0x0
	v_add_nc_u32_e32 v7, 1, v5
	s_wait_loadcnt 0x1
	scratch_store_b128 off, v[8:11], off offset:272
	s_wait_loadcnt 0x0
	s_clause 0x1
	scratch_store_b128 off, v[12:15], off offset:288
	scratch_store_b8 off, v4, off offset:304
	s_wait_xcnt 0x0
	v_cmpx_gt_u32_e64 s43, v7
	s_xor_b32 s7, exec_lo, s7
	s_cbranch_execz .LBB2184_32
; %bb.31:
	v_cmp_ne_u32_e32 vcc_lo, v2, v3
	v_cmp_ne_u32_e64 s3, v3, v1
	v_cndmask_b32_e32 v4, s41, v6, vcc_lo
	v_cndmask_b32_e64 v2, 0, 1, vcc_lo
	s_clause 0x1
	scratch_load_b128 v[6:9], v4, off
	scratch_load_b128 v[10:13], v4, off offset:16
	s_wait_xcnt 0x0
	v_add_nc_u32_e32 v4, 2, v5
	s_wait_loadcnt 0x1
	scratch_store_b128 off, v[6:9], s15
	s_wait_loadcnt 0x0
	scratch_store_b128 off, v[10:13], s15 offset:16
	scratch_store_b8 off, v2, off offset:340
	v_cmp_gt_u32_e32 vcc_lo, s43, v4
	s_and_b32 s46, vcc_lo, exec_lo
.LBB2184_32:
	s_wait_xcnt 0x0
	s_or_b32 exec_lo, exec_lo, s7
	s_delay_alu instid0(SALU_CYCLE_1)
	s_and_b32 s7, s46, exec_lo
.LBB2184_33:
	s_or_b32 exec_lo, exec_lo, s6
	s_delay_alu instid0(SALU_CYCLE_1)
	s_and_b32 vcc_lo, exec_lo, s2
	s_cbranch_vccnz .LBB2184_35
	s_branch .LBB2184_38
.LBB2184_34:
                                        ; implicit-def: $sgpr3
	s_cbranch_execz .LBB2184_38
.LBB2184_35:
	s_clause 0x2
	flat_load_b32 v1, v18, s[18:19] scale_offset
	flat_load_b32 v2, v18, s[18:19] offset:1024 scale_offset
	flat_load_b32 v3, v18, s[18:19] offset:2048 scale_offset
	v_dual_mov_b32 v4, 0 :: v_dual_lshlrev_b32 v5, 2, v18
	s_mov_b32 s2, exec_lo
	s_wait_loadcnt_dscnt 0x101
	ds_store_2addr_stride64_b32 v5, v1, v2 offset1:4
	s_wait_loadcnt_dscnt 0x1
	ds_store_b32 v5, v3 offset:2048
	s_wait_storecnt_dscnt 0x0
	s_barrier_signal -1
	s_barrier_wait -1
	flat_load_b32 v1, v4, s[18:19] offset:3072
	v_lshl_add_u32 v2, v18, 3, v5
	s_wait_xcnt 0x0
	ds_load_b32 v4, v2
	ds_load_2addr_b32 v[2:3], v2 offset0:1 offset1:2
	s_wait_dscnt 0x1
	ds_store_b32 v5, v4 offset:4096
	s_wait_loadcnt_dscnt 0x0
	s_barrier_signal -1
	s_barrier_wait -1
	v_cmpx_ne_u32_e32 0xff, v18
; %bb.36:
	ds_load_b32 v1, v5 offset:4100
; %bb.37:
	s_or_b32 exec_lo, exec_lo, s2
	v_lshlrev_b32_e32 v19, 5, v18
	s_wait_dscnt 0x0
	s_barrier_signal -1
	s_barrier_wait -1
	v_cmp_ne_u32_e32 vcc_lo, v4, v2
	v_mov_b32_e32 v4, 0x60
	s_clause 0x1
	flat_load_b128 v[6:9], v19, s[16:17]
	flat_load_b128 v[10:13], v19, s[16:17] offset:16
	v_mad_u32_u24 v5, v18, 28, v5
	v_cmp_ne_u32_e64 s2, v2, v3
	v_cmp_ne_u32_e64 s3, v3, v1
	s_mov_b32 s7, -1
	v_cndmask_b32_e64 v2, 0, 1, vcc_lo
	s_wait_loadcnt_dscnt 0x101
	scratch_store_b128 off, v[6:9], off
	s_wait_loadcnt_dscnt 0x0
	scratch_store_b128 off, v[10:13], off offset:16
	s_clause 0x1
	flat_load_b128 v[14:17], v19, s[16:17] offset:8192
	flat_load_b128 v[20:23], v19, s[16:17] offset:8208
	v_cndmask_b32_e64 v32, 0, 1, s2
	s_wait_loadcnt_dscnt 0x101
	scratch_store_b128 off, v[14:17], off offset:32
	s_wait_loadcnt_dscnt 0x0
	scratch_store_b128 off, v[20:23], off offset:48
	s_clause 0x1
	flat_load_b128 v[14:17], v19, s[16:17] offset:16384
	flat_load_b128 v[20:23], v19, s[16:17] offset:16400
	s_clause 0x1
	scratch_load_b128 v[24:27], off, s41
	scratch_load_b128 v[28:31], off, s41 offset:16
	s_wait_xcnt 0x2
	v_lshl_add_u32 v19, v18, 6, v5
	s_wait_loadcnt_dscnt 0x301
	scratch_store_b128 off, v[14:17], off offset:64
	s_wait_loadcnt_dscnt 0x200
	scratch_store_b128 off, v[20:23], off offset:80
	s_clause 0x1
	scratch_load_b128 v[14:17], off, s40
	scratch_load_b128 v[20:23], off, s40 offset:16
	ds_store_b128 v5, v[6:9]
	ds_store_b128 v5, v[10:13] offset:16
	s_wait_loadcnt 0x3
	ds_store_b128 v5, v[24:27] offset:8192
	s_wait_loadcnt 0x2
	;; [unrolled: 2-line block ×4, first 2 shown]
	ds_store_b128 v5, v[20:23] offset:16400
	s_wait_storecnt_dscnt 0x0
	s_barrier_signal -1
	s_barrier_wait -1
	ds_load_b128 v[6:9], v19
	ds_load_b128 v[10:13], v19 offset:16
	ds_load_b128 v[14:17], v19 offset:32
	;; [unrolled: 1-line block ×3, first 2 shown]
	v_cndmask_b32_e32 v24, 0, v4, vcc_lo
	v_cndmask_b32_e64 v25, s41, v4, s2
	s_wait_dscnt 0x3
	scratch_store_b128 off, v[6:9], off
	s_wait_dscnt 0x2
	scratch_store_b128 off, v[10:13], off offset:16
	s_wait_dscnt 0x1
	scratch_store_b128 off, v[14:17], s41
	s_wait_dscnt 0x0
	scratch_store_b128 off, v[20:23], s41 offset:16
	s_clause 0x1
	scratch_load_b128 v[4:7], v24, off offset:16
	scratch_load_b128 v[8:11], v24, off
	s_clause 0x1
	scratch_load_b128 v[12:15], v25, off offset:16
	scratch_load_b128 v[20:23], v25, off
	s_wait_xcnt 0x0
	ds_load_b128 v[24:27], v19 offset:64
	ds_load_b128 v[28:31], v19 offset:80
	s_wait_dscnt 0x1
	scratch_store_b128 off, v[24:27], s40
	s_wait_dscnt 0x0
	scratch_store_b128 off, v[28:31], s40 offset:16
	s_wait_loadcnt 0x3
	scratch_store_b128 off, v[4:7], off offset:288
	s_wait_loadcnt 0x2
	scratch_store_b128 off, v[8:11], off offset:272
	s_wait_loadcnt 0x1
	scratch_store_b128 off, v[12:15], s15 offset:16
	s_wait_loadcnt 0x0
	scratch_store_b128 off, v[20:23], s15
	s_clause 0x1
	scratch_store_b8 off, v2, off offset:304
	scratch_store_b8 off, v32, off offset:340
.LBB2184_38:
	s_wait_xcnt 0x0
	s_and_saveexec_b32 s2, s7
	s_cbranch_execz .LBB2184_40
; %bb.39:
	v_mov_b32_e32 v1, 0x60
	s_delay_alu instid0(VALU_DEP_1)
	v_cndmask_b32_e64 v1, s40, v1, s3
	s_clause 0x1
	scratch_load_b128 v[2:5], v1, off
	scratch_load_b128 v[6:9], v1, off offset:16
	s_wait_xcnt 0x0
	v_cndmask_b32_e64 v1, 0, 1, s3
	s_wait_loadcnt 0x1
	scratch_store_b128 off, v[2:5], s33
	s_wait_loadcnt 0x0
	scratch_store_b128 off, v[6:9], s33 offset:16
	scratch_store_b8 off, v1, off offset:376
.LBB2184_40:
	s_wait_xcnt 0x0
	s_or_b32 exec_lo, exec_lo, s2
	s_cmp_lg_u32 s42, 0
	s_wait_storecnt 0x0
	s_barrier_signal -1
	s_barrier_wait -1
	s_cbranch_scc0 .LBB2184_254
; %bb.41:
	s_clause 0x3
	scratch_load_u8 v1, off, off offset:340
	scratch_load_b128 v[2:5], off, off offset:272
	scratch_load_b128 v[6:9], off, off offset:288
	scratch_load_b32 v10, off, off offset:304
	s_mov_b32 s2, exec_lo
	s_wait_loadcnt 0x2
	scratch_store_b128 off, v[2:5], off offset:204
	s_wait_loadcnt 0x1
	scratch_store_b128 off, v[6:9], off offset:220
	s_wait_loadcnt 0x0
	scratch_store_b32 off, v10, off offset:236
                                        ; implicit-def: $vgpr8_vgpr9
                                        ; implicit-def: $vgpr4_vgpr5
	s_wait_xcnt 0x0
	v_cmpx_ne_u16_e32 0, v1
	s_xor_b32 s2, exec_lo, s2
	s_cbranch_execz .LBB2184_43
; %bb.42:
	s_clause 0x1
	scratch_load_b128 v[2:5], off, off offset:308
	scratch_load_b128 v[6:9], off, off offset:324
.LBB2184_43:
	s_wait_xcnt 0x0
	s_and_not1_saveexec_b32 s2, s2
	s_cbranch_execz .LBB2184_49
; %bb.44:
	s_wait_loadcnt 0x1
	v_mov_b64_e32 v[2:3], 0
	s_mov_b32 s3, 0
.LBB2184_45:                            ; =>This Inner Loop Header: Depth=1
	s_wait_xcnt 0x0
	s_mov_b32 s6, s3
	s_add_co_i32 s3, s3, 8
	scratch_store_b64 off, v[2:3], s6
	s_cmp_lg_u32 s3, 32
	s_cbranch_scc1 .LBB2184_45
; %bb.46:
	s_mov_b32 s3, 0
.LBB2184_47:                            ; =>This Inner Loop Header: Depth=1
	s_wait_xcnt 0x0
	s_add_co_i32 s6, s3, 0xcc
	s_add_co_i32 s7, s15, s3
	scratch_load_b64 v[2:3], off, s6
	scratch_load_b64 v[4:5], off, s7
	s_wait_xcnt 0x1
	s_mov_b32 s6, s3
	s_add_co_i32 s3, s3, 8
	s_delay_alu instid0(SALU_CYCLE_1)
	s_cmp_lg_u32 s3, 32
	s_wait_loadcnt 0x0
	v_dual_add_nc_u32 v3, v5, v3 :: v_dual_add_nc_u32 v2, v4, v2
	scratch_store_b64 off, v[2:3], s6
	s_cbranch_scc1 .LBB2184_47
; %bb.48:
	s_clause 0x1
	scratch_load_b128 v[2:5], off, off
	scratch_load_b128 v[6:9], off, off offset:16
.LBB2184_49:
	s_wait_xcnt 0x0
	s_or_b32 exec_lo, exec_lo, s2
	scratch_load_u8 v11, off, off offset:376
	s_mov_b32 s2, exec_lo
	s_wait_loadcnt 0x2
	scratch_store_b128 off, v[2:5], off offset:204
	s_wait_loadcnt 0x1
	scratch_store_b128 off, v[6:9], off offset:220
                                        ; implicit-def: $vgpr8_vgpr9
                                        ; implicit-def: $vgpr4_vgpr5
	s_wait_loadcnt 0x0
	v_cmpx_ne_u16_e32 0, v11
	s_xor_b32 s2, exec_lo, s2
	s_cbranch_execz .LBB2184_51
; %bb.50:
	s_clause 0x1
	scratch_load_b128 v[2:5], off, off offset:344
	scratch_load_b128 v[6:9], off, off offset:360
.LBB2184_51:
	s_wait_xcnt 0x0
	s_and_not1_saveexec_b32 s2, s2
	s_cbranch_execz .LBB2184_57
; %bb.52:
	s_wait_loadcnt 0x1
	v_mov_b64_e32 v[2:3], 0
	s_mov_b32 s3, 0
.LBB2184_53:                            ; =>This Inner Loop Header: Depth=1
	s_wait_xcnt 0x0
	s_mov_b32 s6, s3
	s_add_co_i32 s3, s3, 8
	scratch_store_b64 off, v[2:3], s6
	s_cmp_lg_u32 s3, 32
	s_cbranch_scc1 .LBB2184_53
; %bb.54:
	s_mov_b32 s3, 0
.LBB2184_55:                            ; =>This Inner Loop Header: Depth=1
	s_wait_xcnt 0x0
	s_add_co_i32 s6, s3, 0xcc
	s_add_co_i32 s7, s33, s3
	scratch_load_b64 v[2:3], off, s6
	scratch_load_b64 v[4:5], off, s7
	s_wait_xcnt 0x1
	s_mov_b32 s6, s3
	s_add_co_i32 s3, s3, 8
	s_delay_alu instid0(SALU_CYCLE_1)
	s_cmp_lg_u32 s3, 32
	s_wait_loadcnt 0x0
	v_dual_add_nc_u32 v3, v5, v3 :: v_dual_add_nc_u32 v2, v4, v2
	scratch_store_b64 off, v[2:3], s6
	s_cbranch_scc1 .LBB2184_55
; %bb.56:
	s_clause 0x1
	scratch_load_b128 v[2:5], off, off
	scratch_load_b128 v[6:9], off, off offset:16
.LBB2184_57:
	s_wait_xcnt 0x0
	s_or_b32 exec_lo, exec_lo, s2
	v_and_b32_e32 v10, 1, v10
	v_or_b32_e32 v1, v11, v1
	v_mbcnt_lo_u32_b32 v19, -1, 0
	s_wait_loadcnt 0x1
	v_mov_b32_dpp v12, v2 row_shr:1 row_mask:0xf bank_mask:0xf
	v_mov_b32_dpp v13, v3 row_shr:1 row_mask:0xf bank_mask:0xf
	v_cmp_eq_u32_e32 vcc_lo, 1, v10
	v_cmp_ne_u16_e64 s2, 0, v1
	v_and_b32_e32 v10, 15, v19
	v_mov_b32_dpp v14, v4 row_shr:1 row_mask:0xf bank_mask:0xf
	v_mov_b32_dpp v15, v5 row_shr:1 row_mask:0xf bank_mask:0xf
	s_wait_loadcnt 0x0
	v_mov_b32_dpp v20, v6 row_shr:1 row_mask:0xf bank_mask:0xf
	s_or_b32 s2, s2, vcc_lo
	v_mov_b32_dpp v21, v7 row_shr:1 row_mask:0xf bank_mask:0xf
	v_cndmask_b32_e64 v1, 0, 1, s2
	v_mov_b32_dpp v22, v8 row_shr:1 row_mask:0xf bank_mask:0xf
	v_mov_b32_dpp v23, v9 row_shr:1 row_mask:0xf bank_mask:0xf
	s_mov_b32 s2, exec_lo
	s_clause 0x1
	scratch_store_b8 off, v1, off offset:236
	scratch_load_b32 v1, off, off offset:236
	s_wait_loadcnt 0x0
	v_mov_b32_dpp v11, v1 row_shr:1 row_mask:0xf bank_mask:0xf
	s_clause 0x4
	scratch_store_b128 off, v[2:5], off offset:204
	scratch_store_b128 off, v[6:9], off offset:220
	scratch_store_b128 off, v[12:15], off
	scratch_store_b128 off, v[20:23], off offset:16
	scratch_store_b32 off, v11, off offset:32
	s_wait_xcnt 0x0
	v_cmpx_ne_u32_e32 0, v10
	s_xor_b32 s2, exec_lo, s2
	s_cbranch_execz .LBB2184_65
; %bb.58:
	v_and_b32_e32 v12, 0xff, v1
	s_mov_b32 s3, exec_lo
	s_delay_alu instid0(VALU_DEP_1)
	v_cmpx_eq_u16_e32 0, v12
	s_cbranch_execz .LBB2184_64
; %bb.59:
	v_mov_b64_e32 v[2:3], 0
	s_mov_b32 s6, 0
.LBB2184_60:                            ; =>This Inner Loop Header: Depth=1
	s_wait_xcnt 0x0
	s_add_co_i32 s7, s6, 0x60
	s_add_co_i32 s6, s6, 8
	scratch_store_b64 off, v[2:3], s7
	s_cmp_lg_u32 s6, 32
	s_cbranch_scc1 .LBB2184_60
; %bb.61:
	s_mov_b32 s6, 0
.LBB2184_62:                            ; =>This Inner Loop Header: Depth=1
	s_wait_xcnt 0x1
	s_add_co_i32 s16, s6, 0xcc
	scratch_load_b64 v[2:3], off, s6
	scratch_load_b64 v[4:5], off, s16
	s_mov_b32 s7, s6
                                        ; kill: killed $sgpr7
	s_add_co_i32 s7, s6, 0x60
	s_wait_xcnt 0x1
	s_add_co_i32 s6, s6, 8
                                        ; kill: killed $sgpr16
	s_delay_alu instid0(SALU_CYCLE_1)
	s_cmp_lg_u32 s6, 32
	s_wait_loadcnt 0x0
	v_dual_add_nc_u32 v3, v5, v3 :: v_dual_add_nc_u32 v2, v4, v2
	scratch_store_b64 off, v[2:3], s7
	s_cbranch_scc1 .LBB2184_62
; %bb.63:
	s_clause 0x1
	scratch_load_b128 v[2:5], off, off offset:96
	scratch_load_b128 v[6:9], off, off offset:112
.LBB2184_64:
	s_wait_xcnt 0x0
	s_or_b32 exec_lo, exec_lo, s3
	v_or_b32_e32 v1, v11, v1
	s_delay_alu instid0(VALU_DEP_1)
	v_and_b32_e32 v1, 1, v1
	s_clause 0x1
	scratch_store_b8 off, v1, off offset:236
	scratch_load_b32 v1, off, off offset:236
	s_wait_loadcnt 0x2
	scratch_store_b128 off, v[2:5], off offset:204
	s_wait_loadcnt 0x1
	scratch_store_b128 off, v[6:9], off offset:220
.LBB2184_65:
	s_wait_xcnt 0x0
	s_or_b32 exec_lo, exec_lo, s2
	v_mov_b32_dpp v12, v2 row_shr:2 row_mask:0xf bank_mask:0xf
	v_mov_b32_dpp v13, v3 row_shr:2 row_mask:0xf bank_mask:0xf
	;; [unrolled: 1-line block ×4, first 2 shown]
	s_wait_loadcnt 0x0
	v_mov_b32_dpp v11, v1 row_shr:2 row_mask:0xf bank_mask:0xf
	v_mov_b32_dpp v20, v6 row_shr:2 row_mask:0xf bank_mask:0xf
	;; [unrolled: 1-line block ×5, first 2 shown]
	s_mov_b32 s3, exec_lo
	s_clause 0x2
	scratch_store_b128 off, v[12:15], off
	scratch_store_b128 off, v[20:23], off offset:16
	scratch_store_b32 off, v11, off offset:32
	s_wait_xcnt 0x0
	v_cmpx_lt_u32_e32 1, v10
	s_cbranch_execz .LBB2184_73
; %bb.66:
	v_and_b32_e32 v12, 0xff, v1
	s_mov_b32 s6, 0
	s_mov_b32 s2, exec_lo
	s_delay_alu instid0(VALU_DEP_1)
	v_cmpx_eq_u16_e32 0, v12
	s_cbranch_execz .LBB2184_72
; %bb.67:
	v_mov_b64_e32 v[2:3], 0
.LBB2184_68:                            ; =>This Inner Loop Header: Depth=1
	s_wait_xcnt 0x0
	s_add_co_i32 s7, s6, 0x60
	s_add_co_i32 s6, s6, 8
	scratch_store_b64 off, v[2:3], s7
	s_cmp_lg_u32 s6, 32
	s_cbranch_scc1 .LBB2184_68
; %bb.69:
	s_mov_b32 s6, 0
.LBB2184_70:                            ; =>This Inner Loop Header: Depth=1
	s_wait_xcnt 0x1
	s_add_co_i32 s16, s6, 0xcc
	scratch_load_b64 v[2:3], off, s6
	scratch_load_b64 v[4:5], off, s16
	s_mov_b32 s7, s6
                                        ; kill: killed $sgpr7
	s_add_co_i32 s7, s6, 0x60
	s_wait_xcnt 0x1
	s_add_co_i32 s6, s6, 8
                                        ; kill: killed $sgpr16
	s_delay_alu instid0(SALU_CYCLE_1)
	s_cmp_lg_u32 s6, 32
	s_wait_loadcnt 0x0
	v_dual_add_nc_u32 v3, v5, v3 :: v_dual_add_nc_u32 v2, v4, v2
	scratch_store_b64 off, v[2:3], s7
	s_cbranch_scc1 .LBB2184_70
; %bb.71:
	s_clause 0x1
	scratch_load_b128 v[2:5], off, off offset:96
	scratch_load_b128 v[6:9], off, off offset:112
.LBB2184_72:
	s_wait_xcnt 0x0
	s_or_b32 exec_lo, exec_lo, s2
	v_and_b32_e32 v1, 1, v1
	v_and_b32_e32 v11, 1, v11
	s_delay_alu instid0(VALU_DEP_2) | instskip(NEXT) | instid1(VALU_DEP_2)
	v_cmp_eq_u32_e32 vcc_lo, 1, v1
	v_cmp_eq_u32_e64 s2, 1, v11
	s_or_b32 s2, vcc_lo, s2
	s_delay_alu instid0(SALU_CYCLE_1)
	v_cndmask_b32_e64 v1, 0, 1, s2
	s_clause 0x1
	scratch_store_b8 off, v1, off offset:236
	scratch_load_b32 v1, off, off offset:236
	s_wait_loadcnt 0x2
	scratch_store_b128 off, v[2:5], off offset:204
	s_wait_loadcnt 0x1
	scratch_store_b128 off, v[6:9], off offset:220
.LBB2184_73:
	s_wait_xcnt 0x0
	s_or_b32 exec_lo, exec_lo, s3
	v_mov_b32_dpp v12, v2 row_shr:4 row_mask:0xf bank_mask:0xf
	v_mov_b32_dpp v13, v3 row_shr:4 row_mask:0xf bank_mask:0xf
	;; [unrolled: 1-line block ×4, first 2 shown]
	s_wait_loadcnt 0x0
	v_mov_b32_dpp v11, v1 row_shr:4 row_mask:0xf bank_mask:0xf
	v_mov_b32_dpp v20, v6 row_shr:4 row_mask:0xf bank_mask:0xf
	;; [unrolled: 1-line block ×5, first 2 shown]
	s_mov_b32 s3, exec_lo
	s_clause 0x2
	scratch_store_b128 off, v[12:15], off
	scratch_store_b128 off, v[20:23], off offset:16
	scratch_store_b32 off, v11, off offset:32
	s_wait_xcnt 0x0
	v_cmpx_lt_u32_e32 3, v10
	s_cbranch_execz .LBB2184_81
; %bb.74:
	v_and_b32_e32 v12, 0xff, v1
	s_mov_b32 s6, 0
	s_mov_b32 s2, exec_lo
	s_delay_alu instid0(VALU_DEP_1)
	v_cmpx_eq_u16_e32 0, v12
	s_cbranch_execz .LBB2184_80
; %bb.75:
	v_mov_b64_e32 v[2:3], 0
.LBB2184_76:                            ; =>This Inner Loop Header: Depth=1
	s_wait_xcnt 0x0
	s_add_co_i32 s7, s6, 0x60
	s_add_co_i32 s6, s6, 8
	scratch_store_b64 off, v[2:3], s7
	s_cmp_lg_u32 s6, 32
	s_cbranch_scc1 .LBB2184_76
; %bb.77:
	s_mov_b32 s6, 0
.LBB2184_78:                            ; =>This Inner Loop Header: Depth=1
	s_wait_xcnt 0x1
	s_add_co_i32 s16, s6, 0xcc
	scratch_load_b64 v[2:3], off, s6
	scratch_load_b64 v[4:5], off, s16
	s_mov_b32 s7, s6
                                        ; kill: killed $sgpr7
	s_add_co_i32 s7, s6, 0x60
	s_wait_xcnt 0x1
	s_add_co_i32 s6, s6, 8
                                        ; kill: killed $sgpr16
	s_delay_alu instid0(SALU_CYCLE_1)
	s_cmp_lg_u32 s6, 32
	s_wait_loadcnt 0x0
	v_dual_add_nc_u32 v3, v5, v3 :: v_dual_add_nc_u32 v2, v4, v2
	scratch_store_b64 off, v[2:3], s7
	s_cbranch_scc1 .LBB2184_78
; %bb.79:
	s_clause 0x1
	scratch_load_b128 v[2:5], off, off offset:96
	scratch_load_b128 v[6:9], off, off offset:112
.LBB2184_80:
	s_wait_xcnt 0x0
	s_or_b32 exec_lo, exec_lo, s2
	v_and_b32_e32 v1, 1, v1
	v_and_b32_e32 v11, 1, v11
	s_delay_alu instid0(VALU_DEP_2) | instskip(NEXT) | instid1(VALU_DEP_2)
	v_cmp_eq_u32_e32 vcc_lo, 1, v1
	v_cmp_eq_u32_e64 s2, 1, v11
	s_or_b32 s2, vcc_lo, s2
	s_delay_alu instid0(SALU_CYCLE_1)
	v_cndmask_b32_e64 v1, 0, 1, s2
	s_clause 0x1
	scratch_store_b8 off, v1, off offset:236
	scratch_load_b32 v1, off, off offset:236
	s_wait_loadcnt 0x2
	scratch_store_b128 off, v[2:5], off offset:204
	s_wait_loadcnt 0x1
	scratch_store_b128 off, v[6:9], off offset:220
.LBB2184_81:
	s_wait_xcnt 0x0
	s_or_b32 exec_lo, exec_lo, s3
	v_mov_b32_dpp v12, v2 row_shr:8 row_mask:0xf bank_mask:0xf
	v_mov_b32_dpp v13, v3 row_shr:8 row_mask:0xf bank_mask:0xf
	;; [unrolled: 1-line block ×4, first 2 shown]
	s_wait_loadcnt 0x0
	v_mov_b32_dpp v11, v1 row_shr:8 row_mask:0xf bank_mask:0xf
	v_mov_b32_dpp v20, v6 row_shr:8 row_mask:0xf bank_mask:0xf
	;; [unrolled: 1-line block ×5, first 2 shown]
	s_mov_b32 s3, exec_lo
	s_clause 0x2
	scratch_store_b128 off, v[12:15], off
	scratch_store_b128 off, v[20:23], off offset:16
	scratch_store_b32 off, v11, off offset:32
	s_wait_xcnt 0x0
	v_cmpx_lt_u32_e32 7, v10
	s_cbranch_execz .LBB2184_89
; %bb.82:
	v_and_b32_e32 v10, 0xff, v1
	s_mov_b32 s6, 0
	s_mov_b32 s2, exec_lo
	s_delay_alu instid0(VALU_DEP_1)
	v_cmpx_eq_u16_e32 0, v10
	s_cbranch_execz .LBB2184_88
; %bb.83:
	v_mov_b64_e32 v[2:3], 0
.LBB2184_84:                            ; =>This Inner Loop Header: Depth=1
	s_wait_xcnt 0x0
	s_add_co_i32 s7, s6, 0x60
	s_add_co_i32 s6, s6, 8
	scratch_store_b64 off, v[2:3], s7
	s_cmp_lg_u32 s6, 32
	s_cbranch_scc1 .LBB2184_84
; %bb.85:
	s_mov_b32 s6, 0
.LBB2184_86:                            ; =>This Inner Loop Header: Depth=1
	s_wait_xcnt 0x1
	s_add_co_i32 s16, s6, 0xcc
	scratch_load_b64 v[2:3], off, s6
	scratch_load_b64 v[4:5], off, s16
	s_mov_b32 s7, s6
                                        ; kill: killed $sgpr7
	s_add_co_i32 s7, s6, 0x60
	s_wait_xcnt 0x1
	s_add_co_i32 s6, s6, 8
                                        ; kill: killed $sgpr16
	s_delay_alu instid0(SALU_CYCLE_1)
	s_cmp_lg_u32 s6, 32
	s_wait_loadcnt 0x0
	v_dual_add_nc_u32 v3, v5, v3 :: v_dual_add_nc_u32 v2, v4, v2
	scratch_store_b64 off, v[2:3], s7
	s_cbranch_scc1 .LBB2184_86
; %bb.87:
	s_clause 0x1
	scratch_load_b128 v[2:5], off, off offset:96
	scratch_load_b128 v[6:9], off, off offset:112
.LBB2184_88:
	s_wait_xcnt 0x0
	s_or_b32 exec_lo, exec_lo, s2
	v_and_b32_e32 v1, 1, v1
	v_and_b32_e32 v10, 1, v11
	s_delay_alu instid0(VALU_DEP_2) | instskip(NEXT) | instid1(VALU_DEP_2)
	v_cmp_eq_u32_e32 vcc_lo, 1, v1
	v_cmp_eq_u32_e64 s2, 1, v10
	s_or_b32 s2, vcc_lo, s2
	s_delay_alu instid0(SALU_CYCLE_1)
	v_cndmask_b32_e64 v1, 0, 1, s2
	s_clause 0x1
	scratch_store_b8 off, v1, off offset:236
	scratch_load_b32 v1, off, off offset:236
	s_wait_loadcnt 0x2
	scratch_store_b128 off, v[2:5], off offset:204
	s_wait_loadcnt 0x1
	scratch_store_b128 off, v[6:9], off offset:220
.LBB2184_89:
	s_wait_xcnt 0x0
	s_or_b32 exec_lo, exec_lo, s3
	ds_swizzle_b32 v12, v2 offset:swizzle(BROADCAST,32,15)
	ds_swizzle_b32 v13, v3 offset:swizzle(BROADCAST,32,15)
	;; [unrolled: 1-line block ×4, first 2 shown]
	s_wait_loadcnt 0x0
	ds_swizzle_b32 v10, v1 offset:swizzle(BROADCAST,32,15)
	ds_swizzle_b32 v20, v6 offset:swizzle(BROADCAST,32,15)
	;; [unrolled: 1-line block ×5, first 2 shown]
	v_and_b32_e32 v11, 16, v19
	s_mov_b32 s3, exec_lo
	s_wait_dscnt 0x5
	scratch_store_b128 off, v[12:15], off
	s_wait_dscnt 0x0
	s_clause 0x1
	scratch_store_b128 off, v[20:23], off offset:16
	scratch_store_b32 off, v10, off offset:32
	s_wait_xcnt 0x0
	v_cmpx_ne_u32_e32 0, v11
	s_cbranch_execz .LBB2184_97
; %bb.90:
	v_and_b32_e32 v11, 0xff, v1
	s_mov_b32 s6, 0
	s_mov_b32 s2, exec_lo
	s_delay_alu instid0(VALU_DEP_1)
	v_cmpx_eq_u16_e32 0, v11
	s_cbranch_execz .LBB2184_96
; %bb.91:
	v_mov_b64_e32 v[2:3], 0
.LBB2184_92:                            ; =>This Inner Loop Header: Depth=1
	s_wait_xcnt 0x0
	s_add_co_i32 s7, s6, 0x60
	s_add_co_i32 s6, s6, 8
	scratch_store_b64 off, v[2:3], s7
	s_cmp_lg_u32 s6, 32
	s_cbranch_scc1 .LBB2184_92
; %bb.93:
	s_mov_b32 s6, 0
.LBB2184_94:                            ; =>This Inner Loop Header: Depth=1
	s_wait_xcnt 0x1
	s_add_co_i32 s16, s6, 0xcc
	scratch_load_b64 v[2:3], off, s6
	scratch_load_b64 v[4:5], off, s16
	s_mov_b32 s7, s6
                                        ; kill: killed $sgpr7
	s_add_co_i32 s7, s6, 0x60
	s_wait_xcnt 0x1
	s_add_co_i32 s6, s6, 8
                                        ; kill: killed $sgpr16
	s_delay_alu instid0(SALU_CYCLE_1)
	s_cmp_lg_u32 s6, 32
	s_wait_loadcnt 0x0
	v_dual_add_nc_u32 v3, v5, v3 :: v_dual_add_nc_u32 v2, v4, v2
	scratch_store_b64 off, v[2:3], s7
	s_cbranch_scc1 .LBB2184_94
; %bb.95:
	s_clause 0x1
	scratch_load_b128 v[2:5], off, off offset:96
	scratch_load_b128 v[6:9], off, off offset:112
.LBB2184_96:
	s_wait_xcnt 0x0
	s_or_b32 exec_lo, exec_lo, s2
	v_and_b32_e32 v1, 1, v1
	v_and_b32_e32 v10, 1, v10
	s_delay_alu instid0(VALU_DEP_2) | instskip(NEXT) | instid1(VALU_DEP_2)
	v_cmp_eq_u32_e32 vcc_lo, 1, v1
	v_cmp_eq_u32_e64 s2, 1, v10
	s_or_b32 s2, vcc_lo, s2
	s_delay_alu instid0(SALU_CYCLE_1)
	v_cndmask_b32_e64 v1, 0, 1, s2
	s_wait_loadcnt 0x1
	scratch_store_b128 off, v[2:5], off offset:204
	s_wait_loadcnt 0x0
	s_clause 0x1
	scratch_store_b128 off, v[6:9], off offset:220
	scratch_store_b8 off, v1, off offset:236
.LBB2184_97:
	s_wait_xcnt 0x0
	s_or_b32 exec_lo, exec_lo, s3
	v_and_b32_e32 v10, 0x3e0, v18
	s_mov_b32 s2, exec_lo
	s_delay_alu instid0(VALU_DEP_1) | instskip(NEXT) | instid1(VALU_DEP_1)
	v_min_u32_e32 v10, 0xe0, v10
	v_or_b32_e32 v11, 31, v10
	v_lshrrev_b32_e32 v10, 5, v18
	s_delay_alu instid0(VALU_DEP_2)
	v_cmpx_eq_u32_e64 v18, v11
	s_cbranch_execz .LBB2184_99
; %bb.98:
	s_delay_alu instid0(VALU_DEP_2)
	v_mul_u32_u24_e32 v11, 36, v10
	ds_store_2addr_b32 v11, v2, v3 offset1:1
	ds_store_2addr_b32 v11, v4, v5 offset0:2 offset1:3
	ds_store_2addr_b32 v11, v6, v7 offset0:4 offset1:5
	;; [unrolled: 1-line block ×3, first 2 shown]
	ds_store_b8 v11, v1 offset:32
.LBB2184_99:
	s_or_b32 exec_lo, exec_lo, s2
	s_delay_alu instid0(SALU_CYCLE_1)
	s_mov_b32 s3, exec_lo
	s_wait_storecnt_dscnt 0x0
	s_barrier_signal -1
	s_barrier_wait -1
	v_cmpx_gt_u32_e32 8, v18
	s_cbranch_execz .LBB2184_125
; %bb.100:
	v_mul_u32_u24_e32 v1, 36, v18
	v_and_b32_e32 v12, 7, v19
	s_mov_b32 s2, exec_lo
	ds_load_b32 v11, v1 offset:32
	ds_load_2addr_b32 v[6:7], v1 offset0:4 offset1:5
	ds_load_2addr_b32 v[2:3], v1 offset1:1
	ds_load_2addr_b32 v[4:5], v1 offset0:2 offset1:3
	ds_load_2addr_b32 v[8:9], v1 offset0:6 offset1:7
	s_wait_dscnt 0x4
	v_mov_b32_dpp v13, v11 row_shr:1 row_mask:0xf bank_mask:0xf
	s_wait_dscnt 0x3
	v_mov_b32_dpp v20, v6 row_shr:1 row_mask:0xf bank_mask:0xf
	;; [unrolled: 2-line block ×3, first 2 shown]
	v_mov_b32_dpp v15, v3 row_shr:1 row_mask:0xf bank_mask:0xf
	s_wait_dscnt 0x1
	v_mov_b32_dpp v16, v4 row_shr:1 row_mask:0xf bank_mask:0xf
	v_mov_b32_dpp v17, v5 row_shr:1 row_mask:0xf bank_mask:0xf
	;; [unrolled: 1-line block ×3, first 2 shown]
	s_wait_dscnt 0x0
	v_mov_b32_dpp v22, v8 row_shr:1 row_mask:0xf bank_mask:0xf
	v_mov_b32_dpp v23, v9 row_shr:1 row_mask:0xf bank_mask:0xf
	s_clause 0x5
	scratch_store_b32 off, v11, off offset:128
	scratch_store_b128 off, v[2:5], off offset:96
	scratch_store_b128 off, v[6:9], off offset:112
	scratch_store_b128 off, v[14:17], off
	scratch_store_b128 off, v[20:23], off offset:16
	scratch_store_b32 off, v13, off offset:32
	s_wait_xcnt 0x0
	v_cmpx_ne_u32_e32 0, v12
	s_cbranch_execz .LBB2184_108
; %bb.101:
	v_and_b32_e32 v14, 0xff, v11
	s_mov_b32 s6, exec_lo
	s_delay_alu instid0(VALU_DEP_1)
	v_cmpx_eq_u16_e32 0, v14
	s_cbranch_execz .LBB2184_107
; %bb.102:
	v_mov_b64_e32 v[2:3], 0
	s_mov_b32 s7, 0
.LBB2184_103:                           ; =>This Inner Loop Header: Depth=1
	s_wait_xcnt 0x0
	s_add_co_i32 s16, s7, 0x84
	s_add_co_i32 s7, s7, 8
	scratch_store_b64 off, v[2:3], s16
	s_cmp_lg_u32 s7, 32
	s_cbranch_scc1 .LBB2184_103
; %bb.104:
	s_mov_b32 s7, 0
.LBB2184_105:                           ; =>This Inner Loop Header: Depth=1
	s_wait_xcnt 0x1
	s_add_co_i32 s17, s7, 0x60
	scratch_load_b64 v[2:3], off, s7
	scratch_load_b64 v[4:5], off, s17
	s_mov_b32 s16, s7
                                        ; kill: killed $sgpr16
	s_add_co_i32 s16, s7, 0x84
	s_wait_xcnt 0x1
	s_add_co_i32 s7, s7, 8
                                        ; kill: killed $sgpr17
	s_delay_alu instid0(SALU_CYCLE_1)
	s_cmp_lg_u32 s7, 32
	s_wait_loadcnt 0x0
	v_dual_add_nc_u32 v3, v5, v3 :: v_dual_add_nc_u32 v2, v4, v2
	scratch_store_b64 off, v[2:3], s16
	s_cbranch_scc1 .LBB2184_105
; %bb.106:
	s_clause 0x1
	scratch_load_b128 v[2:5], off, off offset:132
	scratch_load_b128 v[6:9], off, off offset:148
.LBB2184_107:
	s_wait_xcnt 0x0
	s_or_b32 exec_lo, exec_lo, s6
	v_or_b32_e32 v11, v13, v11
	s_delay_alu instid0(VALU_DEP_1)
	v_and_b32_e32 v11, 1, v11
	s_clause 0x1
	scratch_store_b8 off, v11, off offset:128
	scratch_load_b32 v11, off, off offset:128
	s_wait_loadcnt 0x2
	scratch_store_b128 off, v[2:5], off offset:96
	s_wait_loadcnt 0x1
	scratch_store_b128 off, v[6:9], off offset:112
.LBB2184_108:
	s_wait_xcnt 0x0
	s_or_b32 exec_lo, exec_lo, s2
	v_mov_b32_dpp v14, v2 row_shr:2 row_mask:0xf bank_mask:0xf
	v_mov_b32_dpp v15, v3 row_shr:2 row_mask:0xf bank_mask:0xf
	;; [unrolled: 1-line block ×4, first 2 shown]
	s_wait_loadcnt 0x0
	v_mov_b32_dpp v13, v11 row_shr:2 row_mask:0xf bank_mask:0xf
	v_mov_b32_dpp v20, v6 row_shr:2 row_mask:0xf bank_mask:0xf
	;; [unrolled: 1-line block ×5, first 2 shown]
	s_mov_b32 s6, exec_lo
	s_clause 0x2
	scratch_store_b128 off, v[14:17], off
	scratch_store_b128 off, v[20:23], off offset:16
	scratch_store_b32 off, v13, off offset:32
	s_wait_xcnt 0x0
	v_cmpx_lt_u32_e32 1, v12
	s_cbranch_execz .LBB2184_116
; %bb.109:
	v_and_b32_e32 v14, 0xff, v11
	s_mov_b32 s7, 0
	s_mov_b32 s2, exec_lo
	s_delay_alu instid0(VALU_DEP_1)
	v_cmpx_eq_u16_e32 0, v14
	s_cbranch_execz .LBB2184_115
; %bb.110:
	v_mov_b64_e32 v[2:3], 0
.LBB2184_111:                           ; =>This Inner Loop Header: Depth=1
	s_wait_xcnt 0x0
	s_add_co_i32 s16, s7, 0x84
	s_add_co_i32 s7, s7, 8
	scratch_store_b64 off, v[2:3], s16
	s_cmp_lg_u32 s7, 32
	s_cbranch_scc1 .LBB2184_111
; %bb.112:
	s_mov_b32 s7, 0
.LBB2184_113:                           ; =>This Inner Loop Header: Depth=1
	s_wait_xcnt 0x1
	s_add_co_i32 s17, s7, 0x60
	scratch_load_b64 v[2:3], off, s7
	scratch_load_b64 v[4:5], off, s17
	s_mov_b32 s16, s7
                                        ; kill: killed $sgpr16
	s_add_co_i32 s16, s7, 0x84
	s_wait_xcnt 0x1
	s_add_co_i32 s7, s7, 8
                                        ; kill: killed $sgpr17
	s_delay_alu instid0(SALU_CYCLE_1)
	s_cmp_lg_u32 s7, 32
	s_wait_loadcnt 0x0
	v_dual_add_nc_u32 v3, v5, v3 :: v_dual_add_nc_u32 v2, v4, v2
	scratch_store_b64 off, v[2:3], s16
	s_cbranch_scc1 .LBB2184_113
; %bb.114:
	s_clause 0x1
	scratch_load_b128 v[2:5], off, off offset:132
	scratch_load_b128 v[6:9], off, off offset:148
.LBB2184_115:
	s_wait_xcnt 0x0
	s_or_b32 exec_lo, exec_lo, s2
	v_and_b32_e32 v11, 1, v11
	v_and_b32_e32 v13, 1, v13
	s_delay_alu instid0(VALU_DEP_2) | instskip(NEXT) | instid1(VALU_DEP_2)
	v_cmp_eq_u32_e32 vcc_lo, 1, v11
	v_cmp_eq_u32_e64 s2, 1, v13
	s_or_b32 s2, vcc_lo, s2
	s_delay_alu instid0(SALU_CYCLE_1)
	v_cndmask_b32_e64 v11, 0, 1, s2
	s_clause 0x1
	scratch_store_b8 off, v11, off offset:128
	scratch_load_b32 v11, off, off offset:128
	s_wait_loadcnt 0x2
	scratch_store_b128 off, v[2:5], off offset:96
	s_wait_loadcnt 0x1
	scratch_store_b128 off, v[6:9], off offset:112
.LBB2184_116:
	s_wait_xcnt 0x0
	s_or_b32 exec_lo, exec_lo, s6
	v_mov_b32_dpp v14, v2 row_shr:4 row_mask:0xf bank_mask:0xf
	v_mov_b32_dpp v15, v3 row_shr:4 row_mask:0xf bank_mask:0xf
	;; [unrolled: 1-line block ×4, first 2 shown]
	s_wait_loadcnt 0x0
	v_mov_b32_dpp v13, v11 row_shr:4 row_mask:0xf bank_mask:0xf
	v_mov_b32_dpp v20, v6 row_shr:4 row_mask:0xf bank_mask:0xf
	;; [unrolled: 1-line block ×5, first 2 shown]
	s_mov_b32 s6, exec_lo
	s_clause 0x2
	scratch_store_b128 off, v[14:17], off
	scratch_store_b128 off, v[20:23], off offset:16
	scratch_store_b32 off, v13, off offset:32
	s_wait_xcnt 0x0
	v_cmpx_lt_u32_e32 3, v12
	s_cbranch_execz .LBB2184_124
; %bb.117:
	v_and_b32_e32 v12, 0xff, v11
	s_mov_b32 s7, 0
	s_mov_b32 s2, exec_lo
	s_delay_alu instid0(VALU_DEP_1)
	v_cmpx_eq_u16_e32 0, v12
	s_cbranch_execz .LBB2184_123
; %bb.118:
	v_mov_b64_e32 v[2:3], 0
.LBB2184_119:                           ; =>This Inner Loop Header: Depth=1
	s_wait_xcnt 0x0
	s_add_co_i32 s16, s7, 0x84
	s_add_co_i32 s7, s7, 8
	scratch_store_b64 off, v[2:3], s16
	s_cmp_lg_u32 s7, 32
	s_cbranch_scc1 .LBB2184_119
; %bb.120:
	s_mov_b32 s7, 0
.LBB2184_121:                           ; =>This Inner Loop Header: Depth=1
	s_wait_xcnt 0x1
	s_add_co_i32 s17, s7, 0x60
	scratch_load_b64 v[2:3], off, s7
	scratch_load_b64 v[4:5], off, s17
	s_mov_b32 s16, s7
                                        ; kill: killed $sgpr16
	s_add_co_i32 s16, s7, 0x84
	s_wait_xcnt 0x1
	s_add_co_i32 s7, s7, 8
                                        ; kill: killed $sgpr17
	s_delay_alu instid0(SALU_CYCLE_1)
	s_cmp_lg_u32 s7, 32
	s_wait_loadcnt 0x0
	v_dual_add_nc_u32 v3, v5, v3 :: v_dual_add_nc_u32 v2, v4, v2
	scratch_store_b64 off, v[2:3], s16
	s_cbranch_scc1 .LBB2184_121
; %bb.122:
	s_clause 0x1
	scratch_load_b128 v[2:5], off, off offset:132
	scratch_load_b128 v[6:9], off, off offset:148
.LBB2184_123:
	s_wait_xcnt 0x0
	s_or_b32 exec_lo, exec_lo, s2
	v_and_b32_e32 v11, 1, v11
	v_and_b32_e32 v12, 1, v13
	s_wait_loadcnt 0x1
	scratch_store_b128 off, v[2:5], off offset:96
	s_wait_loadcnt 0x0
	scratch_store_b128 off, v[6:9], off offset:112
	v_cmp_eq_u32_e32 vcc_lo, 1, v11
	v_cmp_eq_u32_e64 s2, 1, v12
	s_or_b32 s2, vcc_lo, s2
	s_delay_alu instid0(SALU_CYCLE_1)
	v_cndmask_b32_e64 v11, 0, 1, s2
.LBB2184_124:
	s_wait_xcnt 0x0
	s_or_b32 exec_lo, exec_lo, s6
	s_clause 0x1
	scratch_load_b128 v[2:5], off, off offset:96
	scratch_load_b128 v[6:9], off, off offset:112
	s_wait_loadcnt 0x1
	ds_store_2addr_b32 v1, v4, v5 offset0:2 offset1:3
	ds_store_2addr_b32 v1, v2, v3 offset1:1
	s_wait_loadcnt 0x0
	ds_store_2addr_b32 v1, v8, v9 offset0:6 offset1:7
	ds_store_2addr_b32 v1, v6, v7 offset0:4 offset1:5
	ds_store_b8 v1, v11 offset:32
.LBB2184_125:
	s_wait_xcnt 0x0
	s_or_b32 exec_lo, exec_lo, s3
	s_mov_b32 s16, 0
	v_mov_b64_e32 v[2:3], 0
	s_mov_b32 s17, s16
	s_mov_b32 s18, s16
	;; [unrolled: 1-line block ×3, first 2 shown]
	v_mov_b64_e32 v[4:5], s[16:17]
	v_mov_b64_e32 v[6:7], s[18:19]
	v_mov_b32_e32 v1, 0
	s_wait_storecnt_dscnt 0x0
	s_barrier_signal -1
	s_barrier_wait -1
	s_clause 0x2
	scratch_store_b32 off, v1, off offset:32
	scratch_store_b128 off, v[4:7], off offset:16
	scratch_store_b128 off, v[4:7], off
.LBB2184_126:                           ; =>This Inner Loop Header: Depth=1
	s_wait_xcnt 0x0
	s_mov_b32 s2, s16
	s_add_co_i32 s16, s16, 8
	scratch_store_b64 off, v[2:3], s2
	s_cmp_lg_u32 s16, 32
	s_cbranch_scc1 .LBB2184_126
; %bb.127:
	s_mov_b32 s3, exec_lo
	v_cmp_gt_u32_e32 vcc_lo, 32, v18
                                        ; implicit-def: $vgpr2_vgpr3
                                        ; implicit-def: $vgpr6_vgpr7
                                        ; implicit-def: $vgpr1
	s_wait_xcnt 0x0
	v_cmpx_lt_u32_e32 31, v18
	s_xor_b32 s3, exec_lo, s3
	s_cbranch_execz .LBB2184_137
; %bb.128:
	scratch_load_u8 v11, off, off offset:236
	v_mad_u32_u24 v1, v10, 36, 0xffffffdc
	v_mad_u32_u24 v10, v10, 36, -4
	ds_load_2addr_b32 v[4:5], v1 offset0:2 offset1:3
	ds_load_2addr_b32 v[6:7], v1 offset0:4 offset1:5
	ds_load_2addr_b32 v[2:3], v1 offset1:1
	ds_load_2addr_b32 v[8:9], v1 offset0:6 offset1:7
	ds_load_u8 v1, v10
	s_wait_dscnt 0x2
	scratch_store_b128 off, v[2:5], off
	s_wait_dscnt 0x1
	scratch_store_b128 off, v[6:9], off offset:16
                                        ; implicit-def: $vgpr2_vgpr3
                                        ; implicit-def: $vgpr6_vgpr7
	s_wait_loadcnt 0x0
	v_cmp_ne_u16_e64 s2, 0, v11
	s_wait_xcnt 0x0
	s_and_saveexec_b32 s6, s2
	s_delay_alu instid0(SALU_CYCLE_1)
	s_xor_b32 s2, exec_lo, s6
	s_cbranch_execz .LBB2184_130
; %bb.129:
	s_clause 0x1
	scratch_load_b128 v[2:5], off, off offset:204
	scratch_load_b128 v[6:9], off, off offset:220
.LBB2184_130:
	s_wait_xcnt 0x0
	s_and_not1_saveexec_b32 s2, s2
	s_cbranch_execz .LBB2184_136
; %bb.131:
	s_wait_loadcnt 0x1
	v_mov_b64_e32 v[2:3], 0
	s_mov_b32 s6, 0
.LBB2184_132:                           ; =>This Inner Loop Header: Depth=1
	s_wait_xcnt 0x0
	s_add_co_i32 s7, s6, 0x60
	s_add_co_i32 s6, s6, 8
	scratch_store_b64 off, v[2:3], s7
	s_cmp_lg_u32 s6, 32
	s_cbranch_scc1 .LBB2184_132
; %bb.133:
	s_mov_b32 s6, 0
.LBB2184_134:                           ; =>This Inner Loop Header: Depth=1
	s_wait_xcnt 0x1
	s_add_co_i32 s16, s6, 0xcc
	scratch_load_b64 v[2:3], off, s6
	scratch_load_b64 v[4:5], off, s16
	s_mov_b32 s7, s6
                                        ; kill: killed $sgpr7
	s_add_co_i32 s7, s6, 0x60
	s_wait_xcnt 0x1
	s_add_co_i32 s6, s6, 8
                                        ; kill: killed $sgpr16
	s_delay_alu instid0(SALU_CYCLE_1)
	s_cmp_lg_u32 s6, 32
	s_wait_loadcnt 0x0
	v_dual_add_nc_u32 v3, v5, v3 :: v_dual_add_nc_u32 v2, v4, v2
	scratch_store_b64 off, v[2:3], s7
	s_cbranch_scc1 .LBB2184_134
; %bb.135:
	s_clause 0x1
	scratch_load_b128 v[2:5], off, off offset:96
	scratch_load_b128 v[6:9], off, off offset:112
.LBB2184_136:
	s_wait_xcnt 0x0
	s_or_b32 exec_lo, exec_lo, s2
	s_wait_dscnt 0x0
	v_or_b32_e32 v10, v11, v1
	scratch_store_b8 off, v10, off offset:236
.LBB2184_137:
	s_wait_xcnt 0x0
	s_and_not1_saveexec_b32 s2, s3
	s_cbranch_execz .LBB2184_139
; %bb.138:
	s_wait_loadcnt 0x1
	scratch_load_b128 v[2:5], off, off offset:204
	s_wait_loadcnt 0x1
	scratch_load_b128 v[6:9], off, off offset:220
	v_mov_b32_e32 v1, 0
.LBB2184_139:
	s_wait_xcnt 0x0
	s_or_b32 exec_lo, exec_lo, s2
	scratch_load_b32 v10, off, off offset:236
	v_sub_co_u32 v11, s7, v19, 1
	s_delay_alu instid0(VALU_DEP_1) | instskip(NEXT) | instid1(VALU_DEP_1)
	v_cmp_gt_i32_e64 s2, 0, v11
	v_cndmask_b32_e64 v11, v11, v19, s2
	s_delay_alu instid0(VALU_DEP_1)
	v_lshlrev_b32_e32 v11, 2, v11
	s_wait_loadcnt 0x2
	ds_bpermute_b32 v2, v11, v2
	ds_bpermute_b32 v3, v11, v3
	;; [unrolled: 1-line block ×4, first 2 shown]
	s_wait_loadcnt 0x1
	ds_bpermute_b32 v6, v11, v6
	ds_bpermute_b32 v7, v11, v7
	;; [unrolled: 1-line block ×4, first 2 shown]
	s_wait_loadcnt 0x0
	ds_bpermute_b32 v10, v11, v10
	s_wait_dscnt 0x5
	scratch_store_b128 off, v[2:5], off offset:204
	s_wait_dscnt 0x1
	scratch_store_b128 off, v[6:9], off offset:220
	s_wait_dscnt 0x0
	scratch_store_b8 off, v10, off offset:236
	s_wait_xcnt 0x0
	s_and_saveexec_b32 s2, s7
	s_cbranch_execz .LBB2184_141
; %bb.140:
	s_clause 0x1
	scratch_load_b128 v[2:5], off, off
	scratch_load_b128 v[6:9], off, off offset:16
	s_wait_loadcnt 0x1
	scratch_store_b128 off, v[2:5], off offset:204
	s_wait_loadcnt 0x0
	s_clause 0x1
	scratch_store_b128 off, v[6:9], off offset:220
	scratch_store_b8 off, v1, off offset:236
.LBB2184_141:
	s_wait_xcnt 0x0
	s_or_b32 exec_lo, exec_lo, s2
	s_and_saveexec_b32 s6, vcc_lo
	s_cbranch_execz .LBB2184_265
; %bb.142:
	v_mov_b32_e32 v1, 0
	ds_load_2addr_b32 v[2:3], v1 offset0:63 offset1:64
	ds_load_2addr_b32 v[4:5], v1 offset0:65 offset1:66
	;; [unrolled: 1-line block ×4, first 2 shown]
	ds_load_b32 v22, v1 offset:284
	s_wait_dscnt 0x3
	scratch_store_b128 off, v[2:5], off offset:168
	s_wait_dscnt 0x1
	scratch_store_b128 off, v[6:9], off offset:184
	s_wait_dscnt 0x0
	scratch_store_b32 off, v22, off offset:200
	s_wait_xcnt 0x0
	s_and_saveexec_b32 s2, s7
	s_cbranch_execz .LBB2184_144
; %bb.143:
	s_add_co_i32 s16, s42, 32
	s_mov_b32 s17, 0
	v_dual_mov_b32 v10, 1 :: v_dual_mov_b32 v11, s16
	s_mul_u64 s[18:19], s[16:17], 36
	s_delay_alu instid0(SALU_CYCLE_1)
	s_add_nc_u64 s[18:19], s[8:9], s[18:19]
	s_clause 0x2
	global_store_b128 v1, v[2:5], s[18:19]
	global_store_b128 v1, v[6:9], s[18:19] offset:16
	global_store_b8 v1, v22, s[18:19] offset:32
	global_wb scope:SCOPE_DEV
	s_wait_storecnt 0x0
	global_inv scope:SCOPE_DEV
	s_wait_xcnt 0x0
	global_store_b8 v11, v10, s[12:13] scope:SCOPE_DEV
.LBB2184_144:
	s_wait_xcnt 0x0
	s_or_b32 exec_lo, exec_lo, s2
	s_load_b64 s[2:3], s[0:1], 0x4
	v_bfe_u32 v11, v0, 10, 10
	v_bfe_u32 v0, v0, 20, 10
	s_wait_kmcnt 0x0
	s_lshr_b32 s0, s2, 16
	s_delay_alu instid0(VALU_DEP_2) | instskip(SKIP_1) | instid1(SALU_CYCLE_1)
	v_mul_u32_u24_e32 v11, s3, v11
	s_mul_i32 s0, s0, s3
	v_mul_lo_u32 v10, s0, v18
	s_mov_b32 s0, 0
	s_delay_alu instid0(VALU_DEP_1) | instskip(NEXT) | instid1(VALU_DEP_1)
	v_add3_u32 v0, v10, v11, v0
	v_mul_lo_u32 v0, v0, 36
	s_delay_alu instid0(VALU_DEP_1)
	v_add_nc_u32_e32 v10, 0x6008, v0
	v_add_nc_u32_e32 v23, 0x6000, v0
	;; [unrolled: 1-line block ×4, first 2 shown]
	ds_store_2addr_b32 v10, v1, v1 offset1:1
	ds_store_2addr_b32 v23, v1, v1 offset1:1
	;; [unrolled: 1-line block ×4, first 2 shown]
	ds_store_b32 v0, v1 offset:24608
.LBB2184_145:                           ; =>This Inner Loop Header: Depth=1
	v_add_nc_u32_e32 v0, s0, v23
	s_add_co_i32 s0, s0, 8
	s_delay_alu instid0(SALU_CYCLE_1)
	s_cmp_lg_u32 s0, 32
	ds_store_2addr_b32 v0, v1, v1 offset1:1
	s_cbranch_scc1 .LBB2184_145
; %bb.146:
	s_mov_b32 s0, 0
	v_mov_b64_e32 v[0:1], 0
	s_mov_b32 s2, s0
	s_mov_b32 s3, s0
	;; [unrolled: 1-line block ×3, first 2 shown]
	v_mov_b64_e32 v[12:13], s[2:3]
	v_mov_b64_e32 v[10:11], s[0:1]
	v_mov_b32_e32 v14, 0
	ds_store_b8 v23, v14 offset:32
	s_clause 0x2
	scratch_store_b32 off, v14, off offset:128
	scratch_store_b128 off, v[10:13], off offset:112
	scratch_store_b128 off, v[10:13], off offset:96
.LBB2184_147:                           ; =>This Inner Loop Header: Depth=1
	s_wait_xcnt 0x0
	s_add_co_i32 s1, s0, 0x60
	s_add_co_i32 s0, s0, 8
	scratch_store_b64 off, v[0:1], s1
	s_cmp_lg_u32 s0, 32
	s_cbranch_scc1 .LBB2184_147
; %bb.148:
	s_wait_xcnt 0x0
	v_xad_u32 v0, v19, -1, s42
	v_mov_b32_e32 v11, 0
	s_mov_b32 s0, exec_lo
	s_delay_alu instid0(VALU_DEP_2)
	v_add_nc_u32_e32 v10, 32, v0
	scratch_store_b8 off, v11, off offset:128
	global_load_u8 v24, v10, s[12:13] scope:SCOPE_DEV
	s_wait_loadcnt 0x0
	v_cmpx_eq_u16_e32 0, v24
	s_cbranch_execz .LBB2184_152
; %bb.149:
	v_add_nc_u64_e32 v[12:13], s[12:13], v[10:11]
	s_mov_b32 s1, 0
.LBB2184_150:                           ; =>This Inner Loop Header: Depth=1
	global_load_u8 v24, v[12:13], off scope:SCOPE_DEV
	s_wait_loadcnt 0x0
	v_cmp_ne_u16_e32 vcc_lo, 0, v24
	s_or_b32 s1, vcc_lo, s1
	s_wait_xcnt 0x0
	s_and_not1_b32 exec_lo, exec_lo, s1
	s_cbranch_execnz .LBB2184_150
; %bb.151:
	s_or_b32 exec_lo, exec_lo, s1
.LBB2184_152:
	s_delay_alu instid0(SALU_CYCLE_1)
	s_or_b32 exec_lo, exec_lo, s0
	v_dual_mov_b32 v1, s9 :: v_dual_mov_b32 v11, s8
	v_cmp_eq_u16_e32 vcc_lo, 1, v24
	global_wb scope:SCOPE_DEV
	s_wait_storecnt_dscnt 0x0
	global_inv scope:SCOPE_DEV
	s_mov_b32 s0, 0
	v_dual_mov_b32 v25, 0 :: v_dual_cndmask_b32 v13, s11, v1, vcc_lo
	v_cndmask_b32_e32 v12, s10, v11, vcc_lo
	s_delay_alu instid0(VALU_DEP_1)
	v_mad_nc_u64_u32 v[20:21], v10, 36, v[12:13]
                                        ; kill: killed $vgpr20_vgpr21
	s_clause 0x2
	global_load_b128 v[10:13], v[20:21], off
	global_load_b128 v[14:17], v[20:21], off offset:16
	global_load_u8 v1, v[20:21], off offset:32
	s_wait_xcnt 0x0
	v_mov_b64_e32 v[20:21], 0
	s_wait_loadcnt 0x2
	scratch_store_b128 off, v[10:13], off offset:96
	s_wait_loadcnt 0x1
	scratch_store_b128 off, v[14:17], off offset:112
	s_wait_loadcnt 0x0
	scratch_store_b8 off, v1, off offset:128
	ds_store_2addr_b32 v23, v10, v11 offset1:1
	ds_store_2addr_b32 v23, v12, v13 offset0:2 offset1:3
	ds_store_2addr_b32 v23, v14, v15 offset0:4 offset1:5
	ds_store_2addr_b32 v23, v16, v17 offset0:6 offset1:7
	ds_store_b8 v23, v1 offset:32
	scratch_store_b32 off, v25, off offset:32
.LBB2184_153:                           ; =>This Inner Loop Header: Depth=1
	s_wait_xcnt 0x0
	s_mov_b32 s1, s0
	s_add_co_i32 s0, s0, 8
	scratch_store_b64 off, v[20:21], s1
	s_cmp_lg_u32 s0, 32
	s_cbranch_scc1 .LBB2184_153
; %bb.154:
	s_wait_xcnt 0x2
	ds_load_b32 v1, v23 offset:32
	v_cmp_ne_u32_e32 vcc_lo, 31, v19
	v_lshlrev_b32_e64 v26, v19, -1
	s_mov_b32 s0, exec_lo
	s_wait_xcnt 0x0
	v_add_co_ci_u32_e64 v20, null, 0, v19, vcc_lo
	v_cmp_eq_u16_e32 vcc_lo, 2, v24
	s_delay_alu instid0(VALU_DEP_2)
	v_lshlrev_b32_e32 v25, 2, v20
	v_and_or_b32 v20, vcc_lo, v26, 0x80000000
	ds_bpermute_b32 v28, v25, v10
	ds_bpermute_b32 v29, v25, v11
	;; [unrolled: 1-line block ×4, first 2 shown]
	s_wait_dscnt 0x4
	ds_bpermute_b32 v21, v25, v1
	ds_bpermute_b32 v32, v25, v14
	;; [unrolled: 1-line block ×5, first 2 shown]
	v_ctz_i32_b32_e32 v20, v20
	s_wait_dscnt 0x5
	scratch_store_b128 off, v[28:31], off
	s_wait_dscnt 0x0
	scratch_store_b128 off, v[32:35], off offset:16
	s_wait_xcnt 0x0
	v_cmpx_lt_u32_e64 v19, v20
	s_cbranch_execz .LBB2184_162
; %bb.155:
	v_and_b32_e32 v27, 0xff, v1
	s_mov_b32 s1, exec_lo
	s_delay_alu instid0(VALU_DEP_1)
	v_cmpx_eq_u16_e32 0, v27
	s_cbranch_execz .LBB2184_161
; %bb.156:
	v_mov_b64_e32 v[10:11], 0
	s_mov_b32 s2, 0
.LBB2184_157:                           ; =>This Inner Loop Header: Depth=1
	s_wait_xcnt 0x0
	s_add_co_i32 s3, s2, 0x84
	s_add_co_i32 s2, s2, 8
	scratch_store_b64 off, v[10:11], s3
	s_cmp_lg_u32 s2, 32
	s_cbranch_scc1 .LBB2184_157
; %bb.158:
	s_mov_b32 s2, 0
.LBB2184_159:                           ; =>This Inner Loop Header: Depth=1
	scratch_load_b64 v[10:11], off, s2
	v_add_nc_u32_e32 v12, s2, v23
	s_add_co_i32 s3, s2, 0x84
	s_wait_xcnt 0x0
	s_add_co_i32 s2, s2, 8
	s_delay_alu instid0(SALU_CYCLE_1)
	s_cmp_lg_u32 s2, 32
	ds_load_2addr_b32 v[12:13], v12 offset1:1
	s_wait_loadcnt_dscnt 0x0
	v_dual_add_nc_u32 v11, v13, v11 :: v_dual_add_nc_u32 v10, v12, v10
	scratch_store_b64 off, v[10:11], s3
	s_cbranch_scc1 .LBB2184_159
; %bb.160:
	s_clause 0x1
	scratch_load_b128 v[10:13], off, off offset:132
	scratch_load_b128 v[14:17], off, off offset:148
.LBB2184_161:
	s_wait_xcnt 0x0
	s_or_b32 exec_lo, exec_lo, s1
	v_or_b32_e32 v1, v21, v1
	s_delay_alu instid0(VALU_DEP_1)
	v_and_b32_e32 v1, 1, v1
	ds_store_b8 v23, v1 offset:32
	ds_load_b32 v1, v23 offset:32
	s_wait_loadcnt 0x1
	ds_store_2addr_b32 v23, v10, v11 offset1:1
	ds_store_2addr_b32 v23, v12, v13 offset0:2 offset1:3
	s_wait_loadcnt 0x0
	ds_store_2addr_b32 v23, v14, v15 offset0:4 offset1:5
	ds_store_2addr_b32 v23, v16, v17 offset0:6 offset1:7
.LBB2184_162:
	s_or_b32 exec_lo, exec_lo, s0
	v_cmp_gt_u32_e32 vcc_lo, 30, v19
	v_add_nc_u32_e32 v28, 2, v19
	s_mov_b32 s1, exec_lo
	v_cndmask_b32_e64 v21, 0, 2, vcc_lo
	s_delay_alu instid0(VALU_DEP_1)
	v_add_lshl_u32 v27, v21, v19, 2
	ds_bpermute_b32 v30, v27, v10
	ds_bpermute_b32 v31, v27, v11
	;; [unrolled: 1-line block ×4, first 2 shown]
	s_wait_dscnt 0x8
	ds_bpermute_b32 v21, v27, v1
	ds_bpermute_b32 v34, v27, v14
	;; [unrolled: 1-line block ×5, first 2 shown]
	s_wait_dscnt 0x5
	scratch_store_b128 off, v[30:33], off
	s_wait_dscnt 0x0
	scratch_store_b128 off, v[34:37], off offset:16
	s_wait_xcnt 0x0
	v_cmpx_le_u32_e64 v28, v20
	s_cbranch_execz .LBB2184_170
; %bb.163:
	v_and_b32_e32 v29, 0xff, v1
	s_mov_b32 s0, exec_lo
	s_delay_alu instid0(VALU_DEP_1)
	v_cmpx_eq_u16_e32 0, v29
	s_cbranch_execz .LBB2184_169
; %bb.164:
	v_mov_b64_e32 v[10:11], 0
	s_mov_b32 s2, 0
.LBB2184_165:                           ; =>This Inner Loop Header: Depth=1
	s_wait_xcnt 0x0
	s_add_co_i32 s3, s2, 0x84
	s_add_co_i32 s2, s2, 8
	scratch_store_b64 off, v[10:11], s3
	s_cmp_lg_u32 s2, 32
	s_cbranch_scc1 .LBB2184_165
; %bb.166:
	s_mov_b32 s2, 0
.LBB2184_167:                           ; =>This Inner Loop Header: Depth=1
	scratch_load_b64 v[10:11], off, s2
	v_add_nc_u32_e32 v12, s2, v23
	s_add_co_i32 s3, s2, 0x84
	s_wait_xcnt 0x0
	s_add_co_i32 s2, s2, 8
	s_delay_alu instid0(SALU_CYCLE_1)
	s_cmp_lg_u32 s2, 32
	ds_load_2addr_b32 v[12:13], v12 offset1:1
	s_wait_loadcnt_dscnt 0x0
	v_dual_add_nc_u32 v11, v13, v11 :: v_dual_add_nc_u32 v10, v12, v10
	scratch_store_b64 off, v[10:11], s3
	s_cbranch_scc1 .LBB2184_167
; %bb.168:
	s_clause 0x1
	scratch_load_b128 v[10:13], off, off offset:132
	scratch_load_b128 v[14:17], off, off offset:148
.LBB2184_169:
	s_wait_xcnt 0x0
	s_or_b32 exec_lo, exec_lo, s0
	v_and_b32_e32 v1, 1, v1
	v_and_b32_e32 v21, 1, v21
	s_delay_alu instid0(VALU_DEP_2) | instskip(NEXT) | instid1(VALU_DEP_2)
	v_cmp_eq_u32_e32 vcc_lo, 1, v1
	v_cmp_eq_u32_e64 s0, 1, v21
	s_or_b32 s0, vcc_lo, s0
	s_delay_alu instid0(SALU_CYCLE_1)
	v_cndmask_b32_e64 v1, 0, 1, s0
	ds_store_b8 v23, v1 offset:32
	ds_load_b32 v1, v23 offset:32
	s_wait_loadcnt 0x1
	ds_store_2addr_b32 v23, v10, v11 offset1:1
	ds_store_2addr_b32 v23, v12, v13 offset0:2 offset1:3
	s_wait_loadcnt 0x0
	ds_store_2addr_b32 v23, v14, v15 offset0:4 offset1:5
	ds_store_2addr_b32 v23, v16, v17 offset0:6 offset1:7
.LBB2184_170:
	s_or_b32 exec_lo, exec_lo, s1
	v_cmp_gt_u32_e32 vcc_lo, 28, v19
	v_add_nc_u32_e32 v30, 4, v19
	s_mov_b32 s1, exec_lo
	v_cndmask_b32_e64 v21, 0, 4, vcc_lo
	s_delay_alu instid0(VALU_DEP_1)
	v_add_lshl_u32 v29, v21, v19, 2
	ds_bpermute_b32 v32, v29, v10
	ds_bpermute_b32 v33, v29, v11
	;; [unrolled: 1-line block ×4, first 2 shown]
	s_wait_dscnt 0x8
	ds_bpermute_b32 v21, v29, v1
	ds_bpermute_b32 v36, v29, v14
	;; [unrolled: 1-line block ×5, first 2 shown]
	s_wait_dscnt 0x5
	scratch_store_b128 off, v[32:35], off
	s_wait_dscnt 0x0
	scratch_store_b128 off, v[36:39], off offset:16
	s_wait_xcnt 0x0
	v_cmpx_le_u32_e64 v30, v20
	s_cbranch_execz .LBB2184_178
; %bb.171:
	v_and_b32_e32 v31, 0xff, v1
	s_mov_b32 s0, exec_lo
	s_delay_alu instid0(VALU_DEP_1)
	v_cmpx_eq_u16_e32 0, v31
	s_cbranch_execz .LBB2184_177
; %bb.172:
	v_mov_b64_e32 v[10:11], 0
	s_mov_b32 s2, 0
.LBB2184_173:                           ; =>This Inner Loop Header: Depth=1
	s_wait_xcnt 0x0
	s_add_co_i32 s3, s2, 0x84
	s_add_co_i32 s2, s2, 8
	scratch_store_b64 off, v[10:11], s3
	s_cmp_lg_u32 s2, 32
	s_cbranch_scc1 .LBB2184_173
; %bb.174:
	s_mov_b32 s2, 0
.LBB2184_175:                           ; =>This Inner Loop Header: Depth=1
	scratch_load_b64 v[10:11], off, s2
	v_add_nc_u32_e32 v12, s2, v23
	s_add_co_i32 s3, s2, 0x84
	s_wait_xcnt 0x0
	s_add_co_i32 s2, s2, 8
	s_delay_alu instid0(SALU_CYCLE_1)
	s_cmp_lg_u32 s2, 32
	ds_load_2addr_b32 v[12:13], v12 offset1:1
	s_wait_loadcnt_dscnt 0x0
	v_dual_add_nc_u32 v11, v13, v11 :: v_dual_add_nc_u32 v10, v12, v10
	scratch_store_b64 off, v[10:11], s3
	s_cbranch_scc1 .LBB2184_175
; %bb.176:
	s_clause 0x1
	scratch_load_b128 v[10:13], off, off offset:132
	scratch_load_b128 v[14:17], off, off offset:148
.LBB2184_177:
	s_wait_xcnt 0x0
	s_or_b32 exec_lo, exec_lo, s0
	v_and_b32_e32 v1, 1, v1
	v_and_b32_e32 v21, 1, v21
	s_delay_alu instid0(VALU_DEP_2) | instskip(NEXT) | instid1(VALU_DEP_2)
	v_cmp_eq_u32_e32 vcc_lo, 1, v1
	v_cmp_eq_u32_e64 s0, 1, v21
	s_or_b32 s0, vcc_lo, s0
	s_delay_alu instid0(SALU_CYCLE_1)
	v_cndmask_b32_e64 v1, 0, 1, s0
	ds_store_b8 v23, v1 offset:32
	ds_load_b32 v1, v23 offset:32
	s_wait_loadcnt 0x1
	ds_store_2addr_b32 v23, v10, v11 offset1:1
	ds_store_2addr_b32 v23, v12, v13 offset0:2 offset1:3
	s_wait_loadcnt 0x0
	ds_store_2addr_b32 v23, v14, v15 offset0:4 offset1:5
	ds_store_2addr_b32 v23, v16, v17 offset0:6 offset1:7
.LBB2184_178:
	s_or_b32 exec_lo, exec_lo, s1
	v_cmp_gt_u32_e32 vcc_lo, 24, v19
	v_add_nc_u32_e32 v32, 8, v19
	s_mov_b32 s1, exec_lo
	v_cndmask_b32_e64 v21, 0, 8, vcc_lo
	s_delay_alu instid0(VALU_DEP_1)
	v_add_lshl_u32 v31, v21, v19, 2
	ds_bpermute_b32 v34, v31, v10
	ds_bpermute_b32 v35, v31, v11
	ds_bpermute_b32 v36, v31, v12
	ds_bpermute_b32 v37, v31, v13
	s_wait_dscnt 0x8
	ds_bpermute_b32 v21, v31, v1
	ds_bpermute_b32 v38, v31, v14
	;; [unrolled: 1-line block ×5, first 2 shown]
	s_wait_dscnt 0x5
	scratch_store_b128 off, v[34:37], off
	s_wait_dscnt 0x0
	scratch_store_b128 off, v[38:41], off offset:16
	s_wait_xcnt 0x0
	v_cmpx_le_u32_e64 v32, v20
	s_cbranch_execz .LBB2184_186
; %bb.179:
	v_and_b32_e32 v33, 0xff, v1
	s_mov_b32 s0, exec_lo
	s_delay_alu instid0(VALU_DEP_1)
	v_cmpx_eq_u16_e32 0, v33
	s_cbranch_execz .LBB2184_185
; %bb.180:
	v_mov_b64_e32 v[10:11], 0
	s_mov_b32 s2, 0
.LBB2184_181:                           ; =>This Inner Loop Header: Depth=1
	s_wait_xcnt 0x0
	s_add_co_i32 s3, s2, 0x84
	s_add_co_i32 s2, s2, 8
	scratch_store_b64 off, v[10:11], s3
	s_cmp_lg_u32 s2, 32
	s_cbranch_scc1 .LBB2184_181
; %bb.182:
	s_mov_b32 s2, 0
.LBB2184_183:                           ; =>This Inner Loop Header: Depth=1
	scratch_load_b64 v[10:11], off, s2
	v_add_nc_u32_e32 v12, s2, v23
	s_add_co_i32 s3, s2, 0x84
	s_wait_xcnt 0x0
	s_add_co_i32 s2, s2, 8
	s_delay_alu instid0(SALU_CYCLE_1)
	s_cmp_lg_u32 s2, 32
	ds_load_2addr_b32 v[12:13], v12 offset1:1
	s_wait_loadcnt_dscnt 0x0
	v_dual_add_nc_u32 v11, v13, v11 :: v_dual_add_nc_u32 v10, v12, v10
	scratch_store_b64 off, v[10:11], s3
	s_cbranch_scc1 .LBB2184_183
; %bb.184:
	s_clause 0x1
	scratch_load_b128 v[10:13], off, off offset:132
	scratch_load_b128 v[14:17], off, off offset:148
.LBB2184_185:
	s_wait_xcnt 0x0
	s_or_b32 exec_lo, exec_lo, s0
	v_and_b32_e32 v1, 1, v1
	v_and_b32_e32 v21, 1, v21
	s_delay_alu instid0(VALU_DEP_2) | instskip(NEXT) | instid1(VALU_DEP_2)
	v_cmp_eq_u32_e32 vcc_lo, 1, v1
	v_cmp_eq_u32_e64 s0, 1, v21
	s_or_b32 s0, vcc_lo, s0
	s_delay_alu instid0(SALU_CYCLE_1)
	v_cndmask_b32_e64 v1, 0, 1, s0
	ds_store_b8 v23, v1 offset:32
	ds_load_b32 v1, v23 offset:32
	s_wait_loadcnt 0x1
	ds_store_2addr_b32 v23, v10, v11 offset1:1
	ds_store_2addr_b32 v23, v12, v13 offset0:2 offset1:3
	s_wait_loadcnt 0x0
	ds_store_2addr_b32 v23, v14, v15 offset0:4 offset1:5
	ds_store_2addr_b32 v23, v16, v17 offset0:6 offset1:7
.LBB2184_186:
	s_or_b32 exec_lo, exec_lo, s1
	v_lshl_or_b32 v33, v19, 2, 64
	v_add_nc_u32_e32 v34, 16, v19
	s_mov_b32 s1, exec_lo
	ds_bpermute_b32 v36, v33, v10
	ds_bpermute_b32 v37, v33, v11
	;; [unrolled: 1-line block ×4, first 2 shown]
	s_wait_dscnt 0x8
	ds_bpermute_b32 v21, v33, v1
	ds_bpermute_b32 v40, v33, v14
	;; [unrolled: 1-line block ×5, first 2 shown]
	s_wait_dscnt 0x5
	scratch_store_b128 off, v[36:39], off
	s_wait_dscnt 0x0
	scratch_store_b128 off, v[40:43], off offset:16
	s_wait_xcnt 0x0
	v_cmpx_le_u32_e64 v34, v20
	s_cbranch_execz .LBB2184_194
; %bb.187:
	v_and_b32_e32 v20, 0xff, v1
	s_mov_b32 s2, 0
	s_mov_b32 s0, exec_lo
	s_delay_alu instid0(VALU_DEP_1)
	v_cmpx_eq_u16_e32 0, v20
	s_cbranch_execz .LBB2184_193
; %bb.188:
	v_mov_b64_e32 v[10:11], 0
.LBB2184_189:                           ; =>This Inner Loop Header: Depth=1
	s_wait_xcnt 0x0
	s_add_co_i32 s3, s2, 0x84
	s_add_co_i32 s2, s2, 8
	scratch_store_b64 off, v[10:11], s3
	s_cmp_lg_u32 s2, 32
	s_cbranch_scc1 .LBB2184_189
; %bb.190:
	s_mov_b32 s2, 0
.LBB2184_191:                           ; =>This Inner Loop Header: Depth=1
	scratch_load_b64 v[10:11], off, s2
	v_add_nc_u32_e32 v12, s2, v23
	s_add_co_i32 s3, s2, 0x84
	s_wait_xcnt 0x0
	s_add_co_i32 s2, s2, 8
	s_delay_alu instid0(SALU_CYCLE_1)
	s_cmp_lg_u32 s2, 32
	ds_load_2addr_b32 v[12:13], v12 offset1:1
	s_wait_loadcnt_dscnt 0x0
	v_dual_add_nc_u32 v11, v13, v11 :: v_dual_add_nc_u32 v10, v12, v10
	scratch_store_b64 off, v[10:11], s3
	s_cbranch_scc1 .LBB2184_191
; %bb.192:
	s_clause 0x1
	scratch_load_b128 v[10:13], off, off offset:132
	scratch_load_b128 v[14:17], off, off offset:148
.LBB2184_193:
	s_wait_xcnt 0x0
	s_or_b32 exec_lo, exec_lo, s0
	v_and_b32_e32 v1, 1, v1
	v_and_b32_e32 v20, 1, v21
	s_delay_alu instid0(VALU_DEP_2) | instskip(NEXT) | instid1(VALU_DEP_2)
	v_cmp_eq_u32_e32 vcc_lo, 1, v1
	v_cmp_eq_u32_e64 s0, 1, v20
	s_or_b32 s0, vcc_lo, s0
	s_delay_alu instid0(SALU_CYCLE_1)
	v_cndmask_b32_e64 v1, 0, 1, s0
	s_wait_loadcnt 0x1
	ds_store_2addr_b32 v23, v10, v11 offset1:1
	ds_store_2addr_b32 v23, v12, v13 offset0:2 offset1:3
	s_wait_loadcnt 0x0
	ds_store_2addr_b32 v23, v14, v15 offset0:4 offset1:5
	ds_store_2addr_b32 v23, v16, v17 offset0:6 offset1:7
	ds_store_b8 v23, v1 offset:32
.LBB2184_194:
	s_or_b32 exec_lo, exec_lo, s1
	ds_load_b32 v35, v23 offset:32
	ds_load_2addr_b32 v[12:13], v23 offset0:2 offset1:3
	ds_load_2addr_b32 v[14:15], v23 offset0:4 offset1:5
	ds_load_2addr_b32 v[10:11], v23 offset1:1
	ds_load_2addr_b32 v[16:17], v23 offset0:6 offset1:7
	v_mov_b64_e32 v[20:21], 0
	v_mov_b32_e32 v1, 0
	s_mov_b32 s16, 0
	s_wait_dscnt 0x4
	scratch_store_b32 off, v35, off offset:164
	s_wait_dscnt 0x1
	scratch_store_b128 off, v[10:13], off offset:132
	s_wait_dscnt 0x0
	scratch_store_b128 off, v[14:17], off offset:148
	s_branch .LBB2184_198
.LBB2184_195:                           ;   in Loop: Header=BB2184_198 Depth=1
	s_clause 0x1
	scratch_load_b128 v[10:13], off, off
	scratch_load_b128 v[14:17], off, off offset:16
.LBB2184_196:                           ;   in Loop: Header=BB2184_198 Depth=1
	s_wait_xcnt 0x0
	s_or_b32 exec_lo, exec_lo, s1
	v_and_b32_e32 v35, 1, v35
	v_subrev_nc_u32_e32 v0, 32, v0
	s_wait_loadcnt 0x1
	scratch_store_b128 off, v[10:13], off offset:132
	s_wait_loadcnt 0x0
	scratch_store_b128 off, v[14:17], off offset:148
	v_cmp_eq_u32_e32 vcc_lo, 1, v35
	s_or_b32 s0, vcc_lo, s0
	s_delay_alu instid0(SALU_CYCLE_1)
	v_cndmask_b32_e64 v35, 0, 1, s0
	s_mov_b32 s0, 0
	scratch_store_b8 off, v35, off offset:164
.LBB2184_197:                           ;   in Loop: Header=BB2184_198 Depth=1
	s_and_b32 vcc_lo, exec_lo, s0
	s_cbranch_vccnz .LBB2184_255
.LBB2184_198:                           ; =>This Loop Header: Depth=1
                                        ;     Child Loop BB2184_200 Depth 2
                                        ;     Child Loop BB2184_203 Depth 2
	;; [unrolled: 1-line block ×15, first 2 shown]
	s_wait_xcnt 0x1
	v_and_b32_e32 v10, 0xff, v24
	s_mov_b32 s0, -1
                                        ; implicit-def: $vgpr24
	s_delay_alu instid0(VALU_DEP_1)
	v_cmp_ne_u16_e32 vcc_lo, 2, v10
	s_cmp_lg_u32 vcc_lo, exec_lo
	s_cbranch_scc1 .LBB2184_197
; %bb.199:                              ;   in Loop: Header=BB2184_198 Depth=1
	s_mov_b32 s17, s16
	s_mov_b32 s18, s16
	;; [unrolled: 1-line block ×3, first 2 shown]
	v_mov_b64_e32 v[10:11], s[16:17]
	v_mov_b64_e32 v[12:13], s[18:19]
	s_mov_b32 s0, 0
	s_clause 0x2
	scratch_store_b32 off, v1, off offset:128
	scratch_store_b128 off, v[10:13], off offset:112
	scratch_store_b128 off, v[10:13], off offset:96
.LBB2184_200:                           ;   Parent Loop BB2184_198 Depth=1
                                        ; =>  This Inner Loop Header: Depth=2
	s_wait_xcnt 0x0
	s_add_co_i32 s1, s0, 0x60
	s_add_co_i32 s0, s0, 8
	scratch_store_b64 off, v[20:21], s1
	s_cmp_lg_u32 s0, 32
	s_cbranch_scc1 .LBB2184_200
; %bb.201:                              ;   in Loop: Header=BB2184_198 Depth=1
	scratch_store_b8 off, v1, off offset:128
	global_load_u8 v24, v0, s[12:13] scope:SCOPE_DEV
	s_mov_b32 s0, exec_lo
	s_wait_loadcnt 0x0
	s_wait_xcnt 0x0
	v_cmpx_eq_u16_e32 0, v24
	s_cbranch_execz .LBB2184_205
; %bb.202:                              ;   in Loop: Header=BB2184_198 Depth=1
	v_add_nc_u64_e32 v[10:11], s[12:13], v[0:1]
	s_mov_b32 s1, 0
.LBB2184_203:                           ;   Parent Loop BB2184_198 Depth=1
                                        ; =>  This Inner Loop Header: Depth=2
	global_load_u8 v24, v[10:11], off scope:SCOPE_DEV
	s_wait_loadcnt 0x0
	v_cmp_ne_u16_e32 vcc_lo, 0, v24
	s_or_b32 s1, vcc_lo, s1
	s_wait_xcnt 0x0
	s_and_not1_b32 exec_lo, exec_lo, s1
	s_cbranch_execnz .LBB2184_203
; %bb.204:                              ;   in Loop: Header=BB2184_198 Depth=1
	s_or_b32 exec_lo, exec_lo, s1
.LBB2184_205:                           ;   in Loop: Header=BB2184_198 Depth=1
	s_delay_alu instid0(SALU_CYCLE_1)
	s_or_b32 exec_lo, exec_lo, s0
	v_dual_mov_b32 v10, s9 :: v_dual_mov_b32 v12, s8
	v_cmp_eq_u16_e32 vcc_lo, 1, v24
	global_wb scope:SCOPE_DEV
	s_wait_storecnt 0x0
	global_inv scope:SCOPE_DEV
	s_mov_b32 s0, 0
	v_cndmask_b32_e32 v11, s11, v10, vcc_lo
	v_cndmask_b32_e32 v10, s10, v12, vcc_lo
	s_delay_alu instid0(VALU_DEP_1)
	v_mad_nc_u64_u32 v[36:37], v0, 36, v[10:11]
                                        ; kill: killed $vgpr36_vgpr37
	s_clause 0x2
	global_load_b128 v[10:13], v[36:37], off
	global_load_b128 v[14:17], v[36:37], off offset:16
	global_load_u8 v35, v[36:37], off offset:32
	s_wait_loadcnt 0x2
	scratch_store_b128 off, v[10:13], off offset:96
	s_wait_loadcnt 0x1
	scratch_store_b128 off, v[14:17], off offset:112
	s_wait_loadcnt 0x0
	scratch_store_b8 off, v35, off offset:128
	ds_store_2addr_b32 v23, v10, v11 offset1:1
	ds_store_2addr_b32 v23, v12, v13 offset0:2 offset1:3
	ds_store_2addr_b32 v23, v14, v15 offset0:4 offset1:5
	;; [unrolled: 1-line block ×3, first 2 shown]
	ds_store_b8 v23, v35 offset:32
	scratch_store_b32 off, v1, off offset:32
.LBB2184_206:                           ;   Parent Loop BB2184_198 Depth=1
                                        ; =>  This Inner Loop Header: Depth=2
	s_wait_xcnt 0x0
	s_mov_b32 s1, s0
	s_add_co_i32 s0, s0, 8
	scratch_store_b64 off, v[20:21], s1
	s_cmp_lg_u32 s0, 32
	s_cbranch_scc1 .LBB2184_206
; %bb.207:                              ;   in Loop: Header=BB2184_198 Depth=1
	s_wait_xcnt 0x5
	ds_load_b32 v36, v23 offset:32
	ds_bpermute_b32 v38, v25, v10
	ds_bpermute_b32 v39, v25, v11
	;; [unrolled: 1-line block ×8, first 2 shown]
	v_cmp_eq_u16_e32 vcc_lo, 2, v24
	s_mov_b32 s0, exec_lo
	s_wait_dscnt 0x4
	scratch_store_b128 off, v[38:41], off
	s_wait_dscnt 0x0
	scratch_store_b128 off, v[42:45], off offset:16
	ds_bpermute_b32 v37, v25, v36
	s_wait_xcnt 0x4
	v_and_or_b32 v35, vcc_lo, v26, 0x80000000
	s_delay_alu instid0(VALU_DEP_1) | instskip(SKIP_1) | instid1(VALU_DEP_1)
	v_ctz_i32_b32_e32 v35, v35
	s_wait_xcnt 0x0
	v_cmpx_lt_u32_e64 v19, v35
	s_cbranch_execz .LBB2184_215
; %bb.208:                              ;   in Loop: Header=BB2184_198 Depth=1
	v_and_b32_e32 v38, 0xff, v36
	s_mov_b32 s1, exec_lo
	s_delay_alu instid0(VALU_DEP_1)
	v_cmpx_eq_u16_e32 0, v38
	s_cbranch_execz .LBB2184_214
; %bb.209:                              ;   in Loop: Header=BB2184_198 Depth=1
	s_mov_b32 s2, 0
.LBB2184_210:                           ;   Parent Loop BB2184_198 Depth=1
                                        ; =>  This Inner Loop Header: Depth=2
	s_wait_xcnt 0x0
	s_add_co_i32 s3, s2, 0x17c
	s_add_co_i32 s2, s2, 8
	scratch_store_b64 off, v[20:21], s3
	s_cmp_lg_u32 s2, 32
	s_cbranch_scc1 .LBB2184_210
; %bb.211:                              ;   in Loop: Header=BB2184_198 Depth=1
	s_mov_b32 s2, 0
.LBB2184_212:                           ;   Parent Loop BB2184_198 Depth=1
                                        ; =>  This Inner Loop Header: Depth=2
	scratch_load_b64 v[10:11], off, s2
	v_add_nc_u32_e32 v12, s2, v23
	s_wait_xcnt 0x1
	s_add_co_i32 s3, s2, 0x17c
	s_wait_xcnt 0x0
	s_add_co_i32 s2, s2, 8
	s_delay_alu instid0(SALU_CYCLE_1)
	s_cmp_lg_u32 s2, 32
	ds_load_2addr_b32 v[12:13], v12 offset1:1
	s_wait_loadcnt_dscnt 0x0
	v_dual_add_nc_u32 v11, v13, v11 :: v_dual_add_nc_u32 v10, v12, v10
	scratch_store_b64 off, v[10:11], s3
	s_cbranch_scc1 .LBB2184_212
; %bb.213:                              ;   in Loop: Header=BB2184_198 Depth=1
	s_clause 0x1
	scratch_load_b128 v[10:13], off, off offset:380
	scratch_load_b128 v[14:17], off, off offset:396
.LBB2184_214:                           ;   in Loop: Header=BB2184_198 Depth=1
	s_wait_xcnt 0x0
	s_or_b32 exec_lo, exec_lo, s1
	s_wait_dscnt 0x0
	v_or_b32_e32 v36, v37, v36
	s_delay_alu instid0(VALU_DEP_1)
	v_and_b32_e32 v36, 1, v36
	ds_store_b8 v23, v36 offset:32
	ds_load_b32 v36, v23 offset:32
	s_wait_loadcnt 0x1
	ds_store_2addr_b32 v23, v10, v11 offset1:1
	ds_store_2addr_b32 v23, v12, v13 offset0:2 offset1:3
	s_wait_loadcnt 0x0
	ds_store_2addr_b32 v23, v14, v15 offset0:4 offset1:5
	ds_store_2addr_b32 v23, v16, v17 offset0:6 offset1:7
.LBB2184_215:                           ;   in Loop: Header=BB2184_198 Depth=1
	s_or_b32 exec_lo, exec_lo, s0
	ds_bpermute_b32 v38, v27, v10
	ds_bpermute_b32 v39, v27, v11
	;; [unrolled: 1-line block ×4, first 2 shown]
	s_wait_dscnt 0x4
	ds_bpermute_b32 v37, v27, v36
	ds_bpermute_b32 v42, v27, v14
	;; [unrolled: 1-line block ×5, first 2 shown]
	s_mov_b32 s1, exec_lo
	s_wait_dscnt 0x5
	scratch_store_b128 off, v[38:41], off
	s_wait_dscnt 0x0
	scratch_store_b128 off, v[42:45], off offset:16
	s_wait_xcnt 0x0
	v_cmpx_le_u32_e64 v28, v35
	s_cbranch_execz .LBB2184_223
; %bb.216:                              ;   in Loop: Header=BB2184_198 Depth=1
	v_and_b32_e32 v38, 0xff, v36
	s_mov_b32 s0, exec_lo
	s_delay_alu instid0(VALU_DEP_1)
	v_cmpx_eq_u16_e32 0, v38
	s_cbranch_execz .LBB2184_222
; %bb.217:                              ;   in Loop: Header=BB2184_198 Depth=1
	s_mov_b32 s2, 0
.LBB2184_218:                           ;   Parent Loop BB2184_198 Depth=1
                                        ; =>  This Inner Loop Header: Depth=2
	s_wait_xcnt 0x0
	s_add_co_i32 s3, s2, 0x17c
	s_add_co_i32 s2, s2, 8
	scratch_store_b64 off, v[20:21], s3
	s_cmp_lg_u32 s2, 32
	s_cbranch_scc1 .LBB2184_218
; %bb.219:                              ;   in Loop: Header=BB2184_198 Depth=1
	s_mov_b32 s2, 0
.LBB2184_220:                           ;   Parent Loop BB2184_198 Depth=1
                                        ; =>  This Inner Loop Header: Depth=2
	scratch_load_b64 v[10:11], off, s2
	v_add_nc_u32_e32 v12, s2, v23
	s_wait_xcnt 0x1
	s_add_co_i32 s3, s2, 0x17c
	s_wait_xcnt 0x0
	s_add_co_i32 s2, s2, 8
	s_delay_alu instid0(SALU_CYCLE_1)
	s_cmp_lg_u32 s2, 32
	ds_load_2addr_b32 v[12:13], v12 offset1:1
	s_wait_loadcnt_dscnt 0x0
	v_dual_add_nc_u32 v11, v13, v11 :: v_dual_add_nc_u32 v10, v12, v10
	scratch_store_b64 off, v[10:11], s3
	s_cbranch_scc1 .LBB2184_220
; %bb.221:                              ;   in Loop: Header=BB2184_198 Depth=1
	s_clause 0x1
	scratch_load_b128 v[10:13], off, off offset:380
	scratch_load_b128 v[14:17], off, off offset:396
.LBB2184_222:                           ;   in Loop: Header=BB2184_198 Depth=1
	s_wait_xcnt 0x0
	s_or_b32 exec_lo, exec_lo, s0
	v_and_b32_e32 v36, 1, v36
	v_and_b32_e32 v37, 1, v37
	s_delay_alu instid0(VALU_DEP_2) | instskip(NEXT) | instid1(VALU_DEP_2)
	v_cmp_eq_u32_e32 vcc_lo, 1, v36
	v_cmp_eq_u32_e64 s0, 1, v37
	s_or_b32 s0, vcc_lo, s0
	s_delay_alu instid0(SALU_CYCLE_1)
	v_cndmask_b32_e64 v36, 0, 1, s0
	ds_store_b8 v23, v36 offset:32
	ds_load_b32 v36, v23 offset:32
	s_wait_loadcnt 0x1
	ds_store_2addr_b32 v23, v10, v11 offset1:1
	ds_store_2addr_b32 v23, v12, v13 offset0:2 offset1:3
	s_wait_loadcnt 0x0
	ds_store_2addr_b32 v23, v14, v15 offset0:4 offset1:5
	ds_store_2addr_b32 v23, v16, v17 offset0:6 offset1:7
.LBB2184_223:                           ;   in Loop: Header=BB2184_198 Depth=1
	s_or_b32 exec_lo, exec_lo, s1
	ds_bpermute_b32 v38, v29, v10
	ds_bpermute_b32 v39, v29, v11
	;; [unrolled: 1-line block ×4, first 2 shown]
	s_wait_dscnt 0x8
	ds_bpermute_b32 v37, v29, v36
	ds_bpermute_b32 v42, v29, v14
	;; [unrolled: 1-line block ×5, first 2 shown]
	s_mov_b32 s1, exec_lo
	s_wait_dscnt 0x5
	scratch_store_b128 off, v[38:41], off
	s_wait_dscnt 0x0
	scratch_store_b128 off, v[42:45], off offset:16
	s_wait_xcnt 0x0
	v_cmpx_le_u32_e64 v30, v35
	s_cbranch_execz .LBB2184_231
; %bb.224:                              ;   in Loop: Header=BB2184_198 Depth=1
	v_and_b32_e32 v38, 0xff, v36
	s_mov_b32 s0, exec_lo
	s_delay_alu instid0(VALU_DEP_1)
	v_cmpx_eq_u16_e32 0, v38
	s_cbranch_execz .LBB2184_230
; %bb.225:                              ;   in Loop: Header=BB2184_198 Depth=1
	s_mov_b32 s2, 0
.LBB2184_226:                           ;   Parent Loop BB2184_198 Depth=1
                                        ; =>  This Inner Loop Header: Depth=2
	s_wait_xcnt 0x0
	s_add_co_i32 s3, s2, 0x17c
	s_add_co_i32 s2, s2, 8
	scratch_store_b64 off, v[20:21], s3
	s_cmp_lg_u32 s2, 32
	s_cbranch_scc1 .LBB2184_226
; %bb.227:                              ;   in Loop: Header=BB2184_198 Depth=1
	s_mov_b32 s2, 0
.LBB2184_228:                           ;   Parent Loop BB2184_198 Depth=1
                                        ; =>  This Inner Loop Header: Depth=2
	scratch_load_b64 v[10:11], off, s2
	v_add_nc_u32_e32 v12, s2, v23
	s_wait_xcnt 0x1
	s_add_co_i32 s3, s2, 0x17c
	s_wait_xcnt 0x0
	s_add_co_i32 s2, s2, 8
	s_delay_alu instid0(SALU_CYCLE_1)
	s_cmp_lg_u32 s2, 32
	ds_load_2addr_b32 v[12:13], v12 offset1:1
	s_wait_loadcnt_dscnt 0x0
	v_dual_add_nc_u32 v11, v13, v11 :: v_dual_add_nc_u32 v10, v12, v10
	scratch_store_b64 off, v[10:11], s3
	s_cbranch_scc1 .LBB2184_228
; %bb.229:                              ;   in Loop: Header=BB2184_198 Depth=1
	s_clause 0x1
	scratch_load_b128 v[10:13], off, off offset:380
	scratch_load_b128 v[14:17], off, off offset:396
.LBB2184_230:                           ;   in Loop: Header=BB2184_198 Depth=1
	s_wait_xcnt 0x0
	s_or_b32 exec_lo, exec_lo, s0
	v_and_b32_e32 v36, 1, v36
	v_and_b32_e32 v37, 1, v37
	s_delay_alu instid0(VALU_DEP_2) | instskip(NEXT) | instid1(VALU_DEP_2)
	v_cmp_eq_u32_e32 vcc_lo, 1, v36
	v_cmp_eq_u32_e64 s0, 1, v37
	s_or_b32 s0, vcc_lo, s0
	s_delay_alu instid0(SALU_CYCLE_1)
	v_cndmask_b32_e64 v36, 0, 1, s0
	ds_store_b8 v23, v36 offset:32
	ds_load_b32 v36, v23 offset:32
	s_wait_loadcnt 0x1
	ds_store_2addr_b32 v23, v10, v11 offset1:1
	ds_store_2addr_b32 v23, v12, v13 offset0:2 offset1:3
	s_wait_loadcnt 0x0
	ds_store_2addr_b32 v23, v14, v15 offset0:4 offset1:5
	ds_store_2addr_b32 v23, v16, v17 offset0:6 offset1:7
.LBB2184_231:                           ;   in Loop: Header=BB2184_198 Depth=1
	s_or_b32 exec_lo, exec_lo, s1
	ds_bpermute_b32 v38, v31, v10
	ds_bpermute_b32 v39, v31, v11
	;; [unrolled: 1-line block ×4, first 2 shown]
	s_wait_dscnt 0x8
	ds_bpermute_b32 v37, v31, v36
	ds_bpermute_b32 v42, v31, v14
	;; [unrolled: 1-line block ×5, first 2 shown]
	s_mov_b32 s1, exec_lo
	s_wait_dscnt 0x5
	scratch_store_b128 off, v[38:41], off
	s_wait_dscnt 0x0
	scratch_store_b128 off, v[42:45], off offset:16
	s_wait_xcnt 0x0
	v_cmpx_le_u32_e64 v32, v35
	s_cbranch_execz .LBB2184_239
; %bb.232:                              ;   in Loop: Header=BB2184_198 Depth=1
	v_and_b32_e32 v38, 0xff, v36
	s_mov_b32 s0, exec_lo
	s_delay_alu instid0(VALU_DEP_1)
	v_cmpx_eq_u16_e32 0, v38
	s_cbranch_execz .LBB2184_238
; %bb.233:                              ;   in Loop: Header=BB2184_198 Depth=1
	s_mov_b32 s2, 0
.LBB2184_234:                           ;   Parent Loop BB2184_198 Depth=1
                                        ; =>  This Inner Loop Header: Depth=2
	s_wait_xcnt 0x0
	s_add_co_i32 s3, s2, 0x17c
	s_add_co_i32 s2, s2, 8
	scratch_store_b64 off, v[20:21], s3
	s_cmp_lg_u32 s2, 32
	s_cbranch_scc1 .LBB2184_234
; %bb.235:                              ;   in Loop: Header=BB2184_198 Depth=1
	s_mov_b32 s2, 0
.LBB2184_236:                           ;   Parent Loop BB2184_198 Depth=1
                                        ; =>  This Inner Loop Header: Depth=2
	scratch_load_b64 v[10:11], off, s2
	v_add_nc_u32_e32 v12, s2, v23
	s_wait_xcnt 0x1
	s_add_co_i32 s3, s2, 0x17c
	s_wait_xcnt 0x0
	s_add_co_i32 s2, s2, 8
	s_delay_alu instid0(SALU_CYCLE_1)
	s_cmp_lg_u32 s2, 32
	ds_load_2addr_b32 v[12:13], v12 offset1:1
	s_wait_loadcnt_dscnt 0x0
	v_dual_add_nc_u32 v11, v13, v11 :: v_dual_add_nc_u32 v10, v12, v10
	scratch_store_b64 off, v[10:11], s3
	s_cbranch_scc1 .LBB2184_236
; %bb.237:                              ;   in Loop: Header=BB2184_198 Depth=1
	s_clause 0x1
	scratch_load_b128 v[10:13], off, off offset:380
	scratch_load_b128 v[14:17], off, off offset:396
.LBB2184_238:                           ;   in Loop: Header=BB2184_198 Depth=1
	s_wait_xcnt 0x0
	s_or_b32 exec_lo, exec_lo, s0
	v_and_b32_e32 v36, 1, v36
	v_and_b32_e32 v37, 1, v37
	s_delay_alu instid0(VALU_DEP_2) | instskip(NEXT) | instid1(VALU_DEP_2)
	v_cmp_eq_u32_e32 vcc_lo, 1, v36
	v_cmp_eq_u32_e64 s0, 1, v37
	s_or_b32 s0, vcc_lo, s0
	s_delay_alu instid0(SALU_CYCLE_1)
	v_cndmask_b32_e64 v36, 0, 1, s0
	ds_store_b8 v23, v36 offset:32
	ds_load_b32 v36, v23 offset:32
	s_wait_loadcnt 0x1
	ds_store_2addr_b32 v23, v10, v11 offset1:1
	ds_store_2addr_b32 v23, v12, v13 offset0:2 offset1:3
	s_wait_loadcnt 0x0
	ds_store_2addr_b32 v23, v14, v15 offset0:4 offset1:5
	ds_store_2addr_b32 v23, v16, v17 offset0:6 offset1:7
.LBB2184_239:                           ;   in Loop: Header=BB2184_198 Depth=1
	s_or_b32 exec_lo, exec_lo, s1
	ds_bpermute_b32 v38, v33, v10
	ds_bpermute_b32 v39, v33, v11
	;; [unrolled: 1-line block ×4, first 2 shown]
	s_wait_dscnt 0x8
	ds_bpermute_b32 v37, v33, v36
	ds_bpermute_b32 v42, v33, v14
	;; [unrolled: 1-line block ×5, first 2 shown]
	v_and_b32_e32 v46, 1, v36
	s_mov_b32 s1, exec_lo
	s_wait_dscnt 0x5
	scratch_store_b128 off, v[38:41], off
	s_wait_dscnt 0x0
	scratch_store_b128 off, v[42:45], off offset:16
	v_cmp_eq_u32_e64 s0, 1, v46
	s_wait_xcnt 0x0
	v_cmpx_le_u32_e64 v34, v35
	s_cbranch_execz .LBB2184_247
; %bb.240:                              ;   in Loop: Header=BB2184_198 Depth=1
	v_and_b32_e32 v35, 0xff, v36
	s_mov_b32 s2, exec_lo
	s_delay_alu instid0(VALU_DEP_1)
	v_cmpx_eq_u16_e32 0, v35
	s_cbranch_execz .LBB2184_246
; %bb.241:                              ;   in Loop: Header=BB2184_198 Depth=1
	s_mov_b32 s3, 0
.LBB2184_242:                           ;   Parent Loop BB2184_198 Depth=1
                                        ; =>  This Inner Loop Header: Depth=2
	s_wait_xcnt 0x0
	s_add_co_i32 s17, s3, 0x17c
	s_add_co_i32 s3, s3, 8
	scratch_store_b64 off, v[20:21], s17
	s_cmp_lg_u32 s3, 32
	s_cbranch_scc1 .LBB2184_242
; %bb.243:                              ;   in Loop: Header=BB2184_198 Depth=1
	s_mov_b32 s3, 0
.LBB2184_244:                           ;   Parent Loop BB2184_198 Depth=1
                                        ; =>  This Inner Loop Header: Depth=2
	scratch_load_b64 v[10:11], off, s3
	v_add_nc_u32_e32 v12, s3, v23
	s_wait_xcnt 0x1
	s_add_co_i32 s17, s3, 0x17c
	s_wait_xcnt 0x0
	s_add_co_i32 s3, s3, 8
	s_delay_alu instid0(SALU_CYCLE_1)
	s_cmp_lg_u32 s3, 32
	ds_load_2addr_b32 v[12:13], v12 offset1:1
	s_wait_loadcnt_dscnt 0x0
	v_dual_add_nc_u32 v11, v13, v11 :: v_dual_add_nc_u32 v10, v12, v10
	scratch_store_b64 off, v[10:11], s17
	s_cbranch_scc1 .LBB2184_244
; %bb.245:                              ;   in Loop: Header=BB2184_198 Depth=1
	s_clause 0x1
	scratch_load_b128 v[10:13], off, off offset:380
	scratch_load_b128 v[14:17], off, off offset:396
.LBB2184_246:                           ;   in Loop: Header=BB2184_198 Depth=1
	s_wait_xcnt 0x0
	s_or_b32 exec_lo, exec_lo, s2
	v_and_b32_e32 v35, 1, v37
	s_and_not1_b32 s2, s0, exec_lo
	s_wait_loadcnt 0x1
	ds_store_2addr_b32 v23, v10, v11 offset1:1
	ds_store_2addr_b32 v23, v12, v13 offset0:2 offset1:3
	s_wait_loadcnt 0x0
	ds_store_2addr_b32 v23, v14, v15 offset0:4 offset1:5
	ds_store_2addr_b32 v23, v16, v17 offset0:6 offset1:7
	v_cmp_eq_u32_e32 vcc_lo, 1, v35
	s_or_b32 s0, s0, vcc_lo
	s_delay_alu instid0(SALU_CYCLE_1) | instskip(SKIP_1) | instid1(SALU_CYCLE_1)
	v_cndmask_b32_e64 v35, 0, 1, s0
	s_and_b32 s0, s0, exec_lo
	s_or_b32 s0, s2, s0
	ds_store_b8 v23, v35 offset:32
.LBB2184_247:                           ;   in Loop: Header=BB2184_198 Depth=1
	s_or_b32 exec_lo, exec_lo, s1
	scratch_load_u8 v35, off, off offset:164
	s_mov_b32 s1, exec_lo
                                        ; implicit-def: $vgpr16_vgpr17
                                        ; implicit-def: $vgpr12_vgpr13
	s_wait_loadcnt 0x0
	v_cmpx_ne_u16_e32 0, v35
	s_xor_b32 s1, exec_lo, s1
	s_cbranch_execz .LBB2184_249
; %bb.248:                              ;   in Loop: Header=BB2184_198 Depth=1
	s_clause 0x1
	scratch_load_b128 v[10:13], off, off offset:132
	scratch_load_b128 v[14:17], off, off offset:148
.LBB2184_249:                           ;   in Loop: Header=BB2184_198 Depth=1
	s_wait_xcnt 0x0
	s_and_not1_saveexec_b32 s1, s1
	s_cbranch_execz .LBB2184_196
; %bb.250:                              ;   in Loop: Header=BB2184_198 Depth=1
	s_mov_b32 s2, 0
.LBB2184_251:                           ;   Parent Loop BB2184_198 Depth=1
                                        ; =>  This Inner Loop Header: Depth=2
	s_wait_xcnt 0x0
	s_mov_b32 s3, s2
	s_add_co_i32 s2, s2, 8
	scratch_store_b64 off, v[20:21], s3
	s_cmp_lg_u32 s2, 32
	s_cbranch_scc1 .LBB2184_251
; %bb.252:                              ;   in Loop: Header=BB2184_198 Depth=1
	s_mov_b32 s2, 0
.LBB2184_253:                           ;   Parent Loop BB2184_198 Depth=1
                                        ; =>  This Inner Loop Header: Depth=2
	s_wait_xcnt 0x0
	s_add_co_i32 s3, s2, 0x84
	s_wait_loadcnt 0x1
	scratch_load_b64 v[10:11], off, s3
	v_add_nc_u32_e32 v12, s2, v23
	s_wait_xcnt 0x0
	s_mov_b32 s3, s2
	s_add_co_i32 s2, s2, 8
	s_delay_alu instid0(SALU_CYCLE_1)
	s_cmp_lg_u32 s2, 32
	ds_load_2addr_b32 v[12:13], v12 offset1:1
	s_wait_loadcnt_dscnt 0x0
	v_dual_add_nc_u32 v11, v11, v13 :: v_dual_add_nc_u32 v10, v10, v12
	scratch_store_b64 off, v[10:11], s3
	s_cbranch_scc1 .LBB2184_253
	s_branch .LBB2184_195
.LBB2184_254:
	s_cbranch_execnz .LBB2184_294
	s_branch .LBB2184_433
.LBB2184_255:
	s_clause 0x2
	scratch_load_b128 v[14:17], off, off offset:132
	scratch_load_b128 v[10:13], off, off offset:148
	scratch_load_b32 v19, off, off offset:164
	s_wait_loadcnt 0x2
	scratch_store_b128 off, v[14:17], off
	s_wait_loadcnt 0x1
	scratch_store_b128 off, v[10:13], off offset:16
	s_wait_loadcnt 0x0
	scratch_store_b32 off, v19, off offset:32
	s_wait_xcnt 0x0
	s_and_saveexec_b32 s0, s7
	s_cbranch_execz .LBB2184_263
; %bb.256:
	v_and_b32_e32 v0, 0xff, v22
	s_mov_b32 s1, 0
	s_delay_alu instid0(VALU_DEP_1)
	v_cmp_ne_u32_e32 vcc_lo, 0, v0
	s_cbranch_vccnz .LBB2184_262
; %bb.257:
	v_mov_b64_e32 v[0:1], 0
.LBB2184_258:                           ; =>This Inner Loop Header: Depth=1
	s_wait_xcnt 0x0
	s_add_co_i32 s2, s1, 0x60
	s_add_co_i32 s1, s1, 8
	scratch_store_b64 off, v[0:1], s2
	s_cmp_lg_u32 s1, 32
	s_cbranch_scc1 .LBB2184_258
; %bb.259:
	s_mov_b32 s1, 0
.LBB2184_260:                           ; =>This Inner Loop Header: Depth=1
	s_wait_xcnt 0x1
	s_add_co_i32 s3, s1, 0xa8
	scratch_load_b64 v[0:1], off, s1
	scratch_load_b64 v[2:3], off, s3
	s_mov_b32 s2, s1
                                        ; kill: killed $sgpr2
	s_add_co_i32 s2, s1, 0x60
	s_wait_xcnt 0x1
	s_add_co_i32 s1, s1, 8
                                        ; kill: killed $sgpr3
	s_delay_alu instid0(SALU_CYCLE_1)
	s_cmp_lg_u32 s1, 32
	s_wait_loadcnt 0x0
	v_dual_add_nc_u32 v1, v3, v1 :: v_dual_add_nc_u32 v0, v2, v0
	scratch_store_b64 off, v[0:1], s2
	s_cbranch_scc1 .LBB2184_260
; %bb.261:
	s_clause 0x1
	scratch_load_b128 v[2:5], off, off offset:96
	scratch_load_b128 v[6:9], off, off offset:112
.LBB2184_262:
	s_wait_xcnt 0x2
	s_add_co_i32 s2, s42, 32
	s_mov_b32 s3, 0
	v_dual_mov_b32 v0, 0 :: v_dual_mov_b32 v20, 2
	v_mov_b32_e32 v21, s2
	s_mul_u64 s[8:9], s[2:3], 36
	v_bitop3_b16 v1, v22, 1, v19 bitop3:0xc8
	s_add_nc_u64 s[8:9], s[10:11], s[8:9]
	s_wait_loadcnt 0x1
	global_store_b128 v0, v[2:5], s[8:9]
	s_wait_loadcnt 0x0
	s_clause 0x1
	global_store_b128 v0, v[6:9], s[8:9] offset:16
	global_store_b8 v0, v1, s[8:9] offset:32
	global_wb scope:SCOPE_DEV
	s_wait_storecnt_dscnt 0x0
	global_inv scope:SCOPE_DEV
	s_wait_xcnt 0x0
	global_store_b8 v21, v20, s[12:13] scope:SCOPE_DEV
.LBB2184_263:
	s_wait_xcnt 0x0
	s_or_b32 exec_lo, exec_lo, s0
	s_delay_alu instid0(SALU_CYCLE_1)
	s_and_b32 exec_lo, exec_lo, s4
	s_cbranch_execz .LBB2184_265
; %bb.264:
	v_mov_b32_e32 v0, 0
	ds_store_2addr_b32 v0, v14, v15 offset0:63 offset1:64
	ds_store_2addr_b32 v0, v16, v17 offset0:65 offset1:66
	;; [unrolled: 1-line block ×4, first 2 shown]
	ds_store_b8 v0, v19 offset:284
.LBB2184_265:
	s_or_b32 exec_lo, exec_lo, s6
	s_wait_storecnt 0x0
	s_wait_loadcnt_dscnt 0x0
	s_barrier_signal -1
	s_barrier_wait -1
	s_clause 0x2
	scratch_load_b128 v[0:3], off, off offset:272
	scratch_load_b128 v[4:7], off, off offset:288
	scratch_load_b32 v8, off, off offset:304
	v_mov_b32_e32 v9, 0
	ds_load_2addr_b32 v[10:11], v9 offset0:63 offset1:64
	ds_load_2addr_b32 v[12:13], v9 offset0:65 offset1:66
	;; [unrolled: 1-line block ×4, first 2 shown]
	ds_load_b32 v9, v9 offset:284
	s_wait_dscnt 0x3
	scratch_store_b128 off, v[10:13], off
	s_wait_dscnt 0x1
	scratch_store_b128 off, v[14:17], off offset:16
	s_wait_dscnt 0x0
	s_clause 0x2
	scratch_store_b32 off, v9, off offset:32
	scratch_store_b128 off, v[10:13], off offset:132
	scratch_store_b128 off, v[14:17], off offset:148
	s_wait_loadcnt 0x2
	scratch_store_b128 off, v[0:3], off offset:96
	s_wait_loadcnt 0x1
	;; [unrolled: 2-line block ×3, first 2 shown]
	s_clause 0x1
	scratch_store_b32 off, v8, off offset:128
	scratch_store_b32 off, v9, off offset:164
                                        ; implicit-def: $vgpr8
	s_wait_xcnt 0x0
	s_and_saveexec_b32 s0, s5
	s_delay_alu instid0(SALU_CYCLE_1)
	s_xor_b32 s0, exec_lo, s0
	s_cbranch_execz .LBB2184_275
; %bb.266:
	scratch_load_u8 v8, off, off offset:236
	s_mov_b32 s1, exec_lo
                                        ; implicit-def: $vgpr6_vgpr7
                                        ; implicit-def: $vgpr2_vgpr3
	s_wait_loadcnt 0x0
	v_cmpx_ne_u16_e32 0, v8
	s_xor_b32 s1, exec_lo, s1
	s_cbranch_execz .LBB2184_268
; %bb.267:
	s_clause 0x1
	scratch_load_b128 v[0:3], off, off offset:204
	scratch_load_b128 v[4:7], off, off offset:220
.LBB2184_268:
	s_wait_xcnt 0x0
	s_and_not1_saveexec_b32 s1, s1
	s_cbranch_execz .LBB2184_274
; %bb.269:
	s_wait_loadcnt 0x1
	v_mov_b64_e32 v[0:1], 0
	s_mov_b32 s2, 0
.LBB2184_270:                           ; =>This Inner Loop Header: Depth=1
	s_wait_xcnt 0x0
	s_add_co_i32 s3, s2, 0xa8
	s_add_co_i32 s2, s2, 8
	scratch_store_b64 off, v[0:1], s3
	s_cmp_lg_u32 s2, 32
	s_cbranch_scc1 .LBB2184_270
; %bb.271:
	s_mov_b32 s2, 0
.LBB2184_272:                           ; =>This Inner Loop Header: Depth=1
	s_wait_xcnt 0x1
	s_add_co_i32 s6, s2, 0xcc
	scratch_load_b64 v[0:1], off, s2
	scratch_load_b64 v[2:3], off, s6
	s_mov_b32 s3, s2
                                        ; kill: killed $sgpr3
	s_add_co_i32 s3, s2, 0xa8
	s_wait_xcnt 0x1
	s_add_co_i32 s2, s2, 8
                                        ; kill: killed $sgpr6
	s_delay_alu instid0(SALU_CYCLE_1)
	s_cmp_lg_u32 s2, 32
	s_wait_loadcnt 0x0
	v_dual_add_nc_u32 v1, v3, v1 :: v_dual_add_nc_u32 v0, v2, v0
	scratch_store_b64 off, v[0:1], s3
	s_cbranch_scc1 .LBB2184_272
; %bb.273:
	s_clause 0x1
	scratch_load_b128 v[0:3], off, off offset:168
	scratch_load_b128 v[4:7], off, off offset:184
.LBB2184_274:
	s_wait_xcnt 0x0
	s_or_b32 exec_lo, exec_lo, s1
	v_bitop3_b16 v8, v8, 1, v9 bitop3:0xc8
	s_wait_loadcnt 0x1
	scratch_store_b128 off, v[0:3], off offset:132
	s_wait_loadcnt 0x0
	scratch_store_b128 off, v[4:7], off offset:148
.LBB2184_275:
	s_wait_xcnt 0x0
	s_and_not1_saveexec_b32 s0, s0
	s_cbranch_execz .LBB2184_277
; %bb.276:
	scratch_load_u8 v8, off, off offset:164
.LBB2184_277:
	s_wait_xcnt 0x0
	s_or_b32 exec_lo, exec_lo, s0
	s_clause 0x2
	scratch_load_u8 v9, off, off offset:128
	scratch_load_b128 v[0:3], off, off offset:132
	scratch_load_b128 v[4:7], off, off offset:148
	s_mov_b32 s0, exec_lo
	s_wait_loadcnt 0x1
	scratch_store_b128 off, v[0:3], off offset:272
	s_wait_loadcnt 0x0
	s_clause 0x1
	scratch_store_b128 off, v[4:7], off offset:288
	scratch_store_b8 off, v8, off offset:304
                                        ; implicit-def: $vgpr6_vgpr7
                                        ; implicit-def: $vgpr2_vgpr3
	s_wait_xcnt 0x0
	v_cmpx_ne_u16_e32 0, v9
	s_xor_b32 s0, exec_lo, s0
	s_cbranch_execz .LBB2184_279
; %bb.278:
	s_clause 0x1
	scratch_load_b128 v[0:3], off, off offset:96
	scratch_load_b128 v[4:7], off, off offset:112
.LBB2184_279:
	s_wait_xcnt 0x0
	s_and_not1_saveexec_b32 s0, s0
	s_cbranch_execz .LBB2184_285
; %bb.280:
	s_wait_loadcnt 0x1
	v_mov_b64_e32 v[0:1], 0
	s_mov_b32 s1, 0
.LBB2184_281:                           ; =>This Inner Loop Header: Depth=1
	s_wait_xcnt 0x0
	s_add_co_i32 s2, s1, 0xa8
	s_add_co_i32 s1, s1, 8
	scratch_store_b64 off, v[0:1], s2
	s_cmp_lg_u32 s1, 32
	s_cbranch_scc1 .LBB2184_281
; %bb.282:
	s_mov_b32 s1, 0
.LBB2184_283:                           ; =>This Inner Loop Header: Depth=1
	s_wait_xcnt 0x0
	s_add_co_i32 s2, s1, 0x84
	s_add_co_i32 s3, s1, 0x60
	scratch_load_b64 v[0:1], off, s2
	scratch_load_b64 v[2:3], off, s3
                                        ; kill: killed $sgpr2
	s_wait_xcnt 0x1
	s_add_co_i32 s2, s1, 0xa8
	s_add_co_i32 s1, s1, 8
                                        ; kill: killed $sgpr3
	s_delay_alu instid0(SALU_CYCLE_1)
	s_cmp_lg_u32 s1, 32
	s_wait_loadcnt 0x0
	v_dual_add_nc_u32 v1, v3, v1 :: v_dual_add_nc_u32 v0, v2, v0
	scratch_store_b64 off, v[0:1], s2
	s_cbranch_scc1 .LBB2184_283
; %bb.284:
	s_clause 0x1
	scratch_load_b128 v[0:3], off, off offset:168
	scratch_load_b128 v[4:7], off, off offset:184
.LBB2184_285:
	s_wait_xcnt 0x0
	s_or_b32 exec_lo, exec_lo, s0
	scratch_load_u8 v10, off, off offset:340
	s_clause 0x1
	scratch_load_b128 v[12:15], off, s15
	scratch_load_b128 v[20:23], off, s15 offset:16
	v_or_b32_e32 v11, v9, v8
	v_bitop3_b16 v8, v9, 1, v8 bitop3:0xc8
	s_wait_loadcnt 0x4
	scratch_store_b128 off, v[0:3], off offset:132
	s_wait_loadcnt 0x3
	scratch_store_b128 off, v[4:7], off offset:148
	;; [unrolled: 2-line block ×4, first 2 shown]
	s_clause 0x1
	scratch_store_b128 off, v[0:3], s15
	scratch_store_b128 off, v[4:7], s15 offset:16
	scratch_store_b8 off, v8, off offset:340
	v_and_b32_e32 v11, 1, v11
	v_cmp_ne_u16_e64 s0, 0, v10
                                        ; implicit-def: $vgpr6_vgpr7
                                        ; implicit-def: $vgpr2_vgpr3
	s_delay_alu instid0(VALU_DEP_2) | instskip(SKIP_2) | instid1(SALU_CYCLE_1)
	v_cmp_eq_u32_e32 vcc_lo, 1, v11
	s_wait_xcnt 0x0
	s_and_saveexec_b32 s1, s0
	s_xor_b32 s0, exec_lo, s1
	s_cbranch_execz .LBB2184_287
; %bb.286:
	s_clause 0x1
	scratch_load_b128 v[0:3], off, off offset:96
	scratch_load_b128 v[4:7], off, off offset:112
.LBB2184_287:
	s_wait_xcnt 0x0
	s_and_not1_saveexec_b32 s0, s0
	s_cbranch_execz .LBB2184_293
; %bb.288:
	s_wait_loadcnt 0x1
	v_mov_b64_e32 v[0:1], 0
	s_mov_b32 s1, 0
.LBB2184_289:                           ; =>This Inner Loop Header: Depth=1
	s_wait_xcnt 0x0
	s_add_co_i32 s2, s1, 0xa8
	s_add_co_i32 s1, s1, 8
	scratch_store_b64 off, v[0:1], s2
	s_cmp_lg_u32 s1, 32
	s_cbranch_scc1 .LBB2184_289
; %bb.290:
	s_mov_b32 s1, 0
.LBB2184_291:                           ; =>This Inner Loop Header: Depth=1
	s_wait_xcnt 0x0
	s_add_co_i32 s2, s1, 0x84
	s_add_co_i32 s3, s1, 0x60
	scratch_load_b64 v[0:1], off, s2
	scratch_load_b64 v[2:3], off, s3
                                        ; kill: killed $sgpr2
	s_wait_xcnt 0x1
	s_add_co_i32 s2, s1, 0xa8
	s_add_co_i32 s1, s1, 8
                                        ; kill: killed $sgpr3
	s_delay_alu instid0(SALU_CYCLE_1)
	s_cmp_lg_u32 s1, 32
	s_wait_loadcnt 0x0
	v_dual_add_nc_u32 v1, v3, v1 :: v_dual_add_nc_u32 v0, v2, v0
	scratch_store_b64 off, v[0:1], s2
	s_cbranch_scc1 .LBB2184_291
; %bb.292:
	s_clause 0x1
	scratch_load_b128 v[0:3], off, off offset:168
	scratch_load_b128 v[4:7], off, off offset:184
.LBB2184_293:
	s_wait_xcnt 0x0
	s_or_b32 exec_lo, exec_lo, s0
	v_and_b32_e32 v8, 1, v10
	s_wait_loadcnt 0x1
	scratch_store_b128 off, v[0:3], s33
	s_wait_loadcnt 0x0
	scratch_store_b128 off, v[4:7], s33 offset:16
	v_cmp_eq_u32_e64 s0, 1, v8
	s_or_b32 s0, s0, vcc_lo
	s_delay_alu instid0(SALU_CYCLE_1)
	v_cndmask_b32_e64 v8, 0, 1, s0
	scratch_store_b8 off, v8, off offset:376
	s_branch .LBB2184_433
.LBB2184_294:
	s_cmp_eq_u64 s[44:45], 0
	s_wait_xcnt 0x2
	v_mov_b64_e32 v[0:1], s[24:25]
	s_cselect_b32 s0, -1, 0
	s_cmp_eq_u64 s[38:39], 0
	v_mov_b64_e32 v[2:3], s[26:27]
	s_wait_xcnt 0x1
	v_mov_b64_e32 v[4:5], s[28:29]
	v_mov_b64_e32 v[6:7], s[30:31]
	s_cselect_b32 s1, -1, 0
	s_delay_alu instid0(SALU_CYCLE_1) | instskip(NEXT) | instid1(SALU_CYCLE_1)
	s_or_b32 s0, s0, s1
	s_and_b32 vcc_lo, exec_lo, s0
	s_cbranch_vccnz .LBB2184_296
; %bb.295:
	s_wait_xcnt 0x0
	v_mov_b32_e32 v8, 0
	s_clause 0x1
	global_load_b128 v[4:7], v8, s[38:39] offset:16
	global_load_b128 v[0:3], v8, s[38:39]
.LBB2184_296:
	s_mov_b32 s0, 0
	s_wait_xcnt 0x0
	v_mov_b64_e32 v[8:9], 0
	s_mov_b32 s2, s0
	s_mov_b32 s3, s0
	;; [unrolled: 1-line block ×3, first 2 shown]
	v_mov_b64_e32 v[12:13], s[2:3]
	v_mov_b64_e32 v[10:11], s[0:1]
	v_mov_b32_e32 v14, 0
	s_clause 0x2
	scratch_store_b32 off, v14, off offset:412
	scratch_store_b128 off, v[10:13], off offset:396
	scratch_store_b128 off, v[10:13], off offset:380
.LBB2184_297:                           ; =>This Inner Loop Header: Depth=1
	s_wait_xcnt 0x0
	s_add_co_i32 s1, s0, 0x17c
	s_add_co_i32 s0, s0, 8
	scratch_store_b64 off, v[8:9], s1
	s_cmp_lg_u32 s0, 32
	s_cbranch_scc1 .LBB2184_297
; %bb.298:
	s_clause 0x3
	scratch_load_u8 v16, off, off offset:340
	scratch_load_b128 v[8:11], off, off offset:272
	scratch_load_b128 v[12:15], off, off offset:288
	scratch_load_b32 v17, off, off offset:304
	v_mov_b32_e32 v19, 0
	s_mov_b32 s0, exec_lo
	scratch_store_b8 off, v19, off offset:412
	s_wait_loadcnt 0x4
	s_clause 0x2
	scratch_store_b128 off, v[0:3], off offset:204
	scratch_store_b128 off, v[4:7], off offset:220
	scratch_store_b8 off, v19, off offset:236
	s_wait_loadcnt 0x2
	scratch_store_b128 off, v[8:11], off offset:168
	s_wait_loadcnt 0x1
	scratch_store_b128 off, v[12:15], off offset:184
	s_wait_loadcnt 0x0
	scratch_store_b32 off, v17, off offset:200
                                        ; implicit-def: $vgpr14_vgpr15
                                        ; implicit-def: $vgpr10_vgpr11
	s_wait_xcnt 0x0
	v_cmpx_ne_u16_e32 0, v16
	s_xor_b32 s0, exec_lo, s0
	s_cbranch_execz .LBB2184_300
; %bb.299:
	s_clause 0x1
	scratch_load_b128 v[8:11], off, off offset:308
	scratch_load_b128 v[12:15], off, off offset:324
.LBB2184_300:
	s_wait_xcnt 0x0
	s_and_not1_saveexec_b32 s0, s0
	s_cbranch_execz .LBB2184_306
; %bb.301:
	s_wait_loadcnt 0x1
	v_mov_b64_e32 v[8:9], 0
	s_mov_b32 s1, 0
.LBB2184_302:                           ; =>This Inner Loop Header: Depth=1
	s_wait_xcnt 0x0
	s_mov_b32 s2, s1
	s_add_co_i32 s1, s1, 8
	scratch_store_b64 off, v[8:9], s2
	s_cmp_lg_u32 s1, 32
	s_cbranch_scc1 .LBB2184_302
; %bb.303:
	s_mov_b32 s1, 0
.LBB2184_304:                           ; =>This Inner Loop Header: Depth=1
	s_wait_xcnt 0x0
	s_add_co_i32 s2, s1, 0xa8
	s_add_co_i32 s3, s15, s1
	scratch_load_b64 v[8:9], off, s2
	scratch_load_b64 v[10:11], off, s3
	s_wait_xcnt 0x1
	s_mov_b32 s2, s1
	s_add_co_i32 s1, s1, 8
	s_delay_alu instid0(SALU_CYCLE_1)
	s_cmp_lg_u32 s1, 32
	s_wait_loadcnt 0x0
	v_dual_add_nc_u32 v9, v11, v9 :: v_dual_add_nc_u32 v8, v10, v8
	scratch_store_b64 off, v[8:9], s2
	s_cbranch_scc1 .LBB2184_304
; %bb.305:
	s_clause 0x1
	scratch_load_b128 v[8:11], off, off
	scratch_load_b128 v[12:15], off, off offset:16
.LBB2184_306:
	s_wait_xcnt 0x0
	s_or_b32 exec_lo, exec_lo, s0
	scratch_load_u8 v19, off, off offset:376
	s_mov_b32 s0, exec_lo
	s_wait_loadcnt 0x2
	scratch_store_b128 off, v[8:11], off offset:168
	s_wait_loadcnt 0x1
	scratch_store_b128 off, v[12:15], off offset:184
                                        ; implicit-def: $vgpr14_vgpr15
                                        ; implicit-def: $vgpr10_vgpr11
	s_wait_loadcnt 0x0
	v_cmpx_ne_u16_e32 0, v19
	s_xor_b32 s0, exec_lo, s0
	s_cbranch_execz .LBB2184_308
; %bb.307:
	s_clause 0x1
	scratch_load_b128 v[8:11], off, off offset:344
	scratch_load_b128 v[12:15], off, off offset:360
.LBB2184_308:
	s_wait_xcnt 0x0
	s_and_not1_saveexec_b32 s0, s0
	s_cbranch_execz .LBB2184_314
; %bb.309:
	s_wait_loadcnt 0x1
	v_mov_b64_e32 v[8:9], 0
	s_mov_b32 s1, 0
.LBB2184_310:                           ; =>This Inner Loop Header: Depth=1
	s_wait_xcnt 0x0
	s_mov_b32 s2, s1
	s_add_co_i32 s1, s1, 8
	scratch_store_b64 off, v[8:9], s2
	s_cmp_lg_u32 s1, 32
	s_cbranch_scc1 .LBB2184_310
; %bb.311:
	s_mov_b32 s1, 0
.LBB2184_312:                           ; =>This Inner Loop Header: Depth=1
	s_wait_xcnt 0x0
	s_add_co_i32 s2, s1, 0xa8
	s_add_co_i32 s3, s33, s1
	scratch_load_b64 v[8:9], off, s2
	scratch_load_b64 v[10:11], off, s3
	s_wait_xcnt 0x1
	s_mov_b32 s2, s1
	s_add_co_i32 s1, s1, 8
	s_delay_alu instid0(SALU_CYCLE_1)
	s_cmp_lg_u32 s1, 32
	s_wait_loadcnt 0x0
	v_dual_add_nc_u32 v9, v11, v9 :: v_dual_add_nc_u32 v8, v10, v8
	scratch_store_b64 off, v[8:9], s2
	s_cbranch_scc1 .LBB2184_312
; %bb.313:
	s_clause 0x1
	scratch_load_b128 v[8:11], off, off
	scratch_load_b128 v[12:15], off, off offset:16
.LBB2184_314:
	s_wait_xcnt 0x0
	s_or_b32 exec_lo, exec_lo, s0
	v_dual_mov_b32 v20, 0 :: v_dual_bitop2_b32 v17, 1, v17 bitop3:0x40
	v_or_b32_e32 v16, v19, v16
	v_mbcnt_lo_u32_b32 v19, -1, 0
	s_wait_loadcnt 0x1
	v_mov_b32_dpp v22, v8 row_shr:1 row_mask:0xf bank_mask:0xf
	v_cmp_eq_u32_e32 vcc_lo, 1, v17
	v_mov_b32_dpp v23, v9 row_shr:1 row_mask:0xf bank_mask:0xf
	v_cmp_ne_u16_e64 s0, 0, v16
	v_and_b32_e32 v17, 15, v19
	v_mov_b32_dpp v24, v10 row_shr:1 row_mask:0xf bank_mask:0xf
	v_mov_b32_dpp v25, v11 row_shr:1 row_mask:0xf bank_mask:0xf
	s_wait_loadcnt 0x0
	v_mov_b32_dpp v26, v12 row_shr:1 row_mask:0xf bank_mask:0xf
	s_or_b32 s0, s0, vcc_lo
	v_mov_b32_dpp v27, v13 row_shr:1 row_mask:0xf bank_mask:0xf
	v_cndmask_b32_e64 v16, 0, 1, s0
	v_mov_b32_dpp v28, v14 row_shr:1 row_mask:0xf bank_mask:0xf
	v_mov_b32_dpp v29, v15 row_shr:1 row_mask:0xf bank_mask:0xf
	s_mov_b32 s0, exec_lo
	s_clause 0x4
	scratch_store_b8 off, v16, off offset:200
	scratch_load_b32 v16, off, off offset:200
	scratch_store_b128 off, v[0:3], off offset:132
	scratch_store_b128 off, v[4:7], off offset:148
	scratch_store_b8 off, v20, off offset:164
	s_wait_loadcnt 0x0
	v_mov_b32_dpp v20, v16 row_shr:1 row_mask:0xf bank_mask:0xf
	s_clause 0x4
	scratch_store_b128 off, v[8:11], off offset:168
	scratch_store_b128 off, v[12:15], off offset:184
	scratch_store_b128 off, v[22:25], off
	scratch_store_b128 off, v[26:29], off offset:16
	scratch_store_b32 off, v20, off offset:32
	s_wait_xcnt 0x0
	v_cmpx_ne_u32_e32 0, v17
	s_xor_b32 s0, exec_lo, s0
	s_cbranch_execz .LBB2184_322
; %bb.315:
	v_and_b32_e32 v21, 0xff, v16
	s_mov_b32 s1, exec_lo
	s_delay_alu instid0(VALU_DEP_1)
	v_cmpx_eq_u16_e32 0, v21
	s_cbranch_execz .LBB2184_321
; %bb.316:
	v_mov_b64_e32 v[8:9], 0
	s_mov_b32 s2, 0
.LBB2184_317:                           ; =>This Inner Loop Header: Depth=1
	s_wait_xcnt 0x0
	s_add_co_i32 s3, s2, 0x60
	s_add_co_i32 s2, s2, 8
	scratch_store_b64 off, v[8:9], s3
	s_cmp_lg_u32 s2, 32
	s_cbranch_scc1 .LBB2184_317
; %bb.318:
	s_mov_b32 s2, 0
.LBB2184_319:                           ; =>This Inner Loop Header: Depth=1
	s_wait_xcnt 0x1
	s_add_co_i32 s6, s2, 0xa8
	scratch_load_b64 v[8:9], off, s2
	scratch_load_b64 v[10:11], off, s6
	s_mov_b32 s3, s2
                                        ; kill: killed $sgpr3
	s_add_co_i32 s3, s2, 0x60
	s_wait_xcnt 0x1
	s_add_co_i32 s2, s2, 8
	s_delay_alu instid0(SALU_CYCLE_1)
	s_cmp_lg_u32 s2, 32
	s_wait_loadcnt 0x0
	v_dual_add_nc_u32 v9, v11, v9 :: v_dual_add_nc_u32 v8, v10, v8
	scratch_store_b64 off, v[8:9], s3
	s_cbranch_scc1 .LBB2184_319
; %bb.320:
	s_clause 0x1
	scratch_load_b128 v[8:11], off, off offset:96
	scratch_load_b128 v[12:15], off, off offset:112
.LBB2184_321:
	s_wait_xcnt 0x0
	s_or_b32 exec_lo, exec_lo, s1
	v_or_b32_e32 v16, v20, v16
	s_delay_alu instid0(VALU_DEP_1)
	v_and_b32_e32 v16, 1, v16
	s_clause 0x1
	scratch_store_b8 off, v16, off offset:200
	scratch_load_b32 v16, off, off offset:200
	s_wait_loadcnt 0x2
	scratch_store_b128 off, v[8:11], off offset:168
	s_wait_loadcnt 0x1
	scratch_store_b128 off, v[12:15], off offset:184
.LBB2184_322:
	s_wait_xcnt 0x0
	s_or_b32 exec_lo, exec_lo, s0
	v_mov_b32_dpp v22, v8 row_shr:2 row_mask:0xf bank_mask:0xf
	v_mov_b32_dpp v23, v9 row_shr:2 row_mask:0xf bank_mask:0xf
	;; [unrolled: 1-line block ×4, first 2 shown]
	s_wait_loadcnt 0x0
	v_mov_b32_dpp v20, v16 row_shr:2 row_mask:0xf bank_mask:0xf
	v_mov_b32_dpp v26, v12 row_shr:2 row_mask:0xf bank_mask:0xf
	;; [unrolled: 1-line block ×5, first 2 shown]
	s_mov_b32 s1, exec_lo
	s_clause 0x2
	scratch_store_b128 off, v[22:25], off
	scratch_store_b128 off, v[26:29], off offset:16
	scratch_store_b32 off, v20, off offset:32
	s_wait_xcnt 0x0
	v_cmpx_lt_u32_e32 1, v17
	s_cbranch_execz .LBB2184_330
; %bb.323:
	v_and_b32_e32 v21, 0xff, v16
	s_mov_b32 s2, 0
	s_mov_b32 s0, exec_lo
	s_delay_alu instid0(VALU_DEP_1)
	v_cmpx_eq_u16_e32 0, v21
	s_cbranch_execz .LBB2184_329
; %bb.324:
	v_mov_b64_e32 v[8:9], 0
.LBB2184_325:                           ; =>This Inner Loop Header: Depth=1
	s_wait_xcnt 0x0
	s_add_co_i32 s3, s2, 0x60
	s_add_co_i32 s2, s2, 8
	scratch_store_b64 off, v[8:9], s3
	s_cmp_lg_u32 s2, 32
	s_cbranch_scc1 .LBB2184_325
; %bb.326:
	s_mov_b32 s2, 0
.LBB2184_327:                           ; =>This Inner Loop Header: Depth=1
	s_wait_xcnt 0x1
	s_add_co_i32 s6, s2, 0xa8
	scratch_load_b64 v[8:9], off, s2
	scratch_load_b64 v[10:11], off, s6
	s_mov_b32 s3, s2
                                        ; kill: killed $sgpr3
	s_add_co_i32 s3, s2, 0x60
	s_wait_xcnt 0x1
	s_add_co_i32 s2, s2, 8
                                        ; kill: killed $sgpr6
	s_delay_alu instid0(SALU_CYCLE_1)
	s_cmp_lg_u32 s2, 32
	s_wait_loadcnt 0x0
	v_dual_add_nc_u32 v9, v11, v9 :: v_dual_add_nc_u32 v8, v10, v8
	scratch_store_b64 off, v[8:9], s3
	s_cbranch_scc1 .LBB2184_327
; %bb.328:
	s_clause 0x1
	scratch_load_b128 v[8:11], off, off offset:96
	scratch_load_b128 v[12:15], off, off offset:112
.LBB2184_329:
	s_wait_xcnt 0x0
	s_or_b32 exec_lo, exec_lo, s0
	v_and_b32_e32 v16, 1, v16
	v_and_b32_e32 v20, 1, v20
	s_delay_alu instid0(VALU_DEP_2) | instskip(NEXT) | instid1(VALU_DEP_2)
	v_cmp_eq_u32_e32 vcc_lo, 1, v16
	v_cmp_eq_u32_e64 s0, 1, v20
	s_or_b32 s0, vcc_lo, s0
	s_delay_alu instid0(SALU_CYCLE_1)
	v_cndmask_b32_e64 v16, 0, 1, s0
	s_clause 0x1
	scratch_store_b8 off, v16, off offset:200
	scratch_load_b32 v16, off, off offset:200
	s_wait_loadcnt 0x2
	scratch_store_b128 off, v[8:11], off offset:168
	s_wait_loadcnt 0x1
	scratch_store_b128 off, v[12:15], off offset:184
.LBB2184_330:
	s_wait_xcnt 0x0
	s_or_b32 exec_lo, exec_lo, s1
	v_mov_b32_dpp v22, v8 row_shr:4 row_mask:0xf bank_mask:0xf
	v_mov_b32_dpp v23, v9 row_shr:4 row_mask:0xf bank_mask:0xf
	;; [unrolled: 1-line block ×4, first 2 shown]
	s_wait_loadcnt 0x0
	v_mov_b32_dpp v20, v16 row_shr:4 row_mask:0xf bank_mask:0xf
	v_mov_b32_dpp v26, v12 row_shr:4 row_mask:0xf bank_mask:0xf
	;; [unrolled: 1-line block ×5, first 2 shown]
	s_mov_b32 s1, exec_lo
	s_clause 0x2
	scratch_store_b128 off, v[22:25], off
	scratch_store_b128 off, v[26:29], off offset:16
	scratch_store_b32 off, v20, off offset:32
	s_wait_xcnt 0x0
	v_cmpx_lt_u32_e32 3, v17
	s_cbranch_execz .LBB2184_338
; %bb.331:
	v_and_b32_e32 v21, 0xff, v16
	s_mov_b32 s2, 0
	s_mov_b32 s0, exec_lo
	s_delay_alu instid0(VALU_DEP_1)
	v_cmpx_eq_u16_e32 0, v21
	s_cbranch_execz .LBB2184_337
; %bb.332:
	v_mov_b64_e32 v[8:9], 0
.LBB2184_333:                           ; =>This Inner Loop Header: Depth=1
	s_wait_xcnt 0x0
	s_add_co_i32 s3, s2, 0x60
	s_add_co_i32 s2, s2, 8
	scratch_store_b64 off, v[8:9], s3
	s_cmp_lg_u32 s2, 32
	s_cbranch_scc1 .LBB2184_333
; %bb.334:
	s_mov_b32 s2, 0
.LBB2184_335:                           ; =>This Inner Loop Header: Depth=1
	s_wait_xcnt 0x1
	s_add_co_i32 s6, s2, 0xa8
	scratch_load_b64 v[8:9], off, s2
	scratch_load_b64 v[10:11], off, s6
	s_mov_b32 s3, s2
                                        ; kill: killed $sgpr3
	s_add_co_i32 s3, s2, 0x60
	s_wait_xcnt 0x1
	s_add_co_i32 s2, s2, 8
                                        ; kill: killed $sgpr6
	s_delay_alu instid0(SALU_CYCLE_1)
	s_cmp_lg_u32 s2, 32
	s_wait_loadcnt 0x0
	v_dual_add_nc_u32 v9, v11, v9 :: v_dual_add_nc_u32 v8, v10, v8
	scratch_store_b64 off, v[8:9], s3
	s_cbranch_scc1 .LBB2184_335
; %bb.336:
	s_clause 0x1
	scratch_load_b128 v[8:11], off, off offset:96
	scratch_load_b128 v[12:15], off, off offset:112
.LBB2184_337:
	s_wait_xcnt 0x0
	s_or_b32 exec_lo, exec_lo, s0
	v_and_b32_e32 v16, 1, v16
	v_and_b32_e32 v20, 1, v20
	s_delay_alu instid0(VALU_DEP_2) | instskip(NEXT) | instid1(VALU_DEP_2)
	v_cmp_eq_u32_e32 vcc_lo, 1, v16
	v_cmp_eq_u32_e64 s0, 1, v20
	s_or_b32 s0, vcc_lo, s0
	s_delay_alu instid0(SALU_CYCLE_1)
	v_cndmask_b32_e64 v16, 0, 1, s0
	s_clause 0x1
	scratch_store_b8 off, v16, off offset:200
	scratch_load_b32 v16, off, off offset:200
	s_wait_loadcnt 0x2
	scratch_store_b128 off, v[8:11], off offset:168
	s_wait_loadcnt 0x1
	scratch_store_b128 off, v[12:15], off offset:184
.LBB2184_338:
	s_wait_xcnt 0x0
	s_or_b32 exec_lo, exec_lo, s1
	v_mov_b32_dpp v22, v8 row_shr:8 row_mask:0xf bank_mask:0xf
	v_mov_b32_dpp v23, v9 row_shr:8 row_mask:0xf bank_mask:0xf
	;; [unrolled: 1-line block ×4, first 2 shown]
	s_wait_loadcnt 0x0
	v_mov_b32_dpp v20, v16 row_shr:8 row_mask:0xf bank_mask:0xf
	v_mov_b32_dpp v26, v12 row_shr:8 row_mask:0xf bank_mask:0xf
	;; [unrolled: 1-line block ×5, first 2 shown]
	s_mov_b32 s1, exec_lo
	s_clause 0x2
	scratch_store_b128 off, v[22:25], off
	scratch_store_b128 off, v[26:29], off offset:16
	scratch_store_b32 off, v20, off offset:32
	s_wait_xcnt 0x0
	v_cmpx_lt_u32_e32 7, v17
	s_cbranch_execz .LBB2184_346
; %bb.339:
	v_and_b32_e32 v17, 0xff, v16
	s_mov_b32 s2, 0
	s_mov_b32 s0, exec_lo
	s_delay_alu instid0(VALU_DEP_1)
	v_cmpx_eq_u16_e32 0, v17
	s_cbranch_execz .LBB2184_345
; %bb.340:
	v_mov_b64_e32 v[8:9], 0
.LBB2184_341:                           ; =>This Inner Loop Header: Depth=1
	s_wait_xcnt 0x0
	s_add_co_i32 s3, s2, 0x60
	s_add_co_i32 s2, s2, 8
	scratch_store_b64 off, v[8:9], s3
	s_cmp_lg_u32 s2, 32
	s_cbranch_scc1 .LBB2184_341
; %bb.342:
	s_mov_b32 s2, 0
.LBB2184_343:                           ; =>This Inner Loop Header: Depth=1
	s_wait_xcnt 0x1
	s_add_co_i32 s6, s2, 0xa8
	scratch_load_b64 v[8:9], off, s2
	scratch_load_b64 v[10:11], off, s6
	s_mov_b32 s3, s2
                                        ; kill: killed $sgpr3
	s_add_co_i32 s3, s2, 0x60
	s_wait_xcnt 0x1
	s_add_co_i32 s2, s2, 8
                                        ; kill: killed $sgpr6
	s_delay_alu instid0(SALU_CYCLE_1)
	s_cmp_lg_u32 s2, 32
	s_wait_loadcnt 0x0
	v_dual_add_nc_u32 v9, v11, v9 :: v_dual_add_nc_u32 v8, v10, v8
	scratch_store_b64 off, v[8:9], s3
	s_cbranch_scc1 .LBB2184_343
; %bb.344:
	s_clause 0x1
	scratch_load_b128 v[8:11], off, off offset:96
	scratch_load_b128 v[12:15], off, off offset:112
.LBB2184_345:
	s_wait_xcnt 0x0
	s_or_b32 exec_lo, exec_lo, s0
	v_and_b32_e32 v16, 1, v16
	v_and_b32_e32 v17, 1, v20
	s_delay_alu instid0(VALU_DEP_2) | instskip(NEXT) | instid1(VALU_DEP_2)
	v_cmp_eq_u32_e32 vcc_lo, 1, v16
	v_cmp_eq_u32_e64 s0, 1, v17
	s_or_b32 s0, vcc_lo, s0
	s_delay_alu instid0(SALU_CYCLE_1)
	v_cndmask_b32_e64 v16, 0, 1, s0
	s_clause 0x1
	scratch_store_b8 off, v16, off offset:200
	scratch_load_b32 v16, off, off offset:200
	s_wait_loadcnt 0x2
	scratch_store_b128 off, v[8:11], off offset:168
	s_wait_loadcnt 0x1
	scratch_store_b128 off, v[12:15], off offset:184
.LBB2184_346:
	s_wait_xcnt 0x0
	s_or_b32 exec_lo, exec_lo, s1
	ds_swizzle_b32 v20, v8 offset:swizzle(BROADCAST,32,15)
	ds_swizzle_b32 v21, v9 offset:swizzle(BROADCAST,32,15)
	;; [unrolled: 1-line block ×4, first 2 shown]
	s_wait_loadcnt 0x0
	ds_swizzle_b32 v17, v16 offset:swizzle(BROADCAST,32,15)
	ds_swizzle_b32 v24, v12 offset:swizzle(BROADCAST,32,15)
	;; [unrolled: 1-line block ×5, first 2 shown]
	v_and_b32_e32 v28, 16, v19
	s_mov_b32 s1, exec_lo
	s_wait_dscnt 0x5
	scratch_store_b128 off, v[20:23], off
	s_wait_dscnt 0x0
	s_clause 0x1
	scratch_store_b128 off, v[24:27], off offset:16
	scratch_store_b32 off, v17, off offset:32
	s_wait_xcnt 0x0
	v_cmpx_ne_u32_e32 0, v28
	s_cbranch_execz .LBB2184_354
; %bb.347:
	v_and_b32_e32 v20, 0xff, v16
	s_mov_b32 s2, 0
	s_mov_b32 s0, exec_lo
	s_delay_alu instid0(VALU_DEP_1)
	v_cmpx_eq_u16_e32 0, v20
	s_cbranch_execz .LBB2184_353
; %bb.348:
	v_mov_b64_e32 v[8:9], 0
.LBB2184_349:                           ; =>This Inner Loop Header: Depth=1
	s_wait_xcnt 0x0
	s_add_co_i32 s3, s2, 0x60
	s_add_co_i32 s2, s2, 8
	scratch_store_b64 off, v[8:9], s3
	s_cmp_lg_u32 s2, 32
	s_cbranch_scc1 .LBB2184_349
; %bb.350:
	s_mov_b32 s2, 0
.LBB2184_351:                           ; =>This Inner Loop Header: Depth=1
	s_wait_xcnt 0x1
	s_add_co_i32 s6, s2, 0xa8
	scratch_load_b64 v[8:9], off, s2
	scratch_load_b64 v[10:11], off, s6
	s_mov_b32 s3, s2
                                        ; kill: killed $sgpr3
	s_add_co_i32 s3, s2, 0x60
	s_wait_xcnt 0x1
	s_add_co_i32 s2, s2, 8
                                        ; kill: killed $sgpr6
	s_delay_alu instid0(SALU_CYCLE_1)
	s_cmp_lg_u32 s2, 32
	s_wait_loadcnt 0x0
	v_dual_add_nc_u32 v9, v11, v9 :: v_dual_add_nc_u32 v8, v10, v8
	scratch_store_b64 off, v[8:9], s3
	s_cbranch_scc1 .LBB2184_351
; %bb.352:
	s_clause 0x1
	scratch_load_b128 v[8:11], off, off offset:96
	scratch_load_b128 v[12:15], off, off offset:112
.LBB2184_353:
	s_wait_xcnt 0x0
	s_or_b32 exec_lo, exec_lo, s0
	v_and_b32_e32 v16, 1, v16
	v_and_b32_e32 v17, 1, v17
	s_delay_alu instid0(VALU_DEP_2) | instskip(NEXT) | instid1(VALU_DEP_2)
	v_cmp_eq_u32_e32 vcc_lo, 1, v16
	v_cmp_eq_u32_e64 s0, 1, v17
	s_or_b32 s0, vcc_lo, s0
	s_delay_alu instid0(SALU_CYCLE_1)
	v_cndmask_b32_e64 v16, 0, 1, s0
	s_wait_loadcnt 0x1
	scratch_store_b128 off, v[8:11], off offset:168
	s_wait_loadcnt 0x0
	s_clause 0x1
	scratch_store_b128 off, v[12:15], off offset:184
	scratch_store_b8 off, v16, off offset:200
.LBB2184_354:
	s_wait_xcnt 0x0
	s_or_b32 exec_lo, exec_lo, s1
	v_and_b32_e32 v17, 0x3e0, v18
	s_mov_b32 s0, exec_lo
	s_delay_alu instid0(VALU_DEP_1) | instskip(NEXT) | instid1(VALU_DEP_1)
	v_min_u32_e32 v17, 0xe0, v17
	v_dual_lshrrev_b32 v17, 5, v18 :: v_dual_bitop2_b32 v20, 31, v17 bitop3:0x54
	s_delay_alu instid0(VALU_DEP_1)
	v_cmpx_eq_u32_e64 v18, v20
	s_cbranch_execz .LBB2184_356
; %bb.355:
	s_delay_alu instid0(VALU_DEP_2)
	v_mul_u32_u24_e32 v20, 36, v17
	ds_store_2addr_b32 v20, v8, v9 offset1:1
	ds_store_2addr_b32 v20, v10, v11 offset0:2 offset1:3
	ds_store_2addr_b32 v20, v12, v13 offset0:4 offset1:5
	;; [unrolled: 1-line block ×3, first 2 shown]
	ds_store_b8 v20, v16 offset:32
.LBB2184_356:
	s_or_b32 exec_lo, exec_lo, s0
	s_delay_alu instid0(SALU_CYCLE_1)
	s_mov_b32 s1, exec_lo
	s_wait_storecnt_dscnt 0x0
	s_barrier_signal -1
	s_barrier_wait -1
	v_cmpx_gt_u32_e32 8, v18
	s_cbranch_execz .LBB2184_382
; %bb.357:
	v_mul_u32_u24_e32 v16, 36, v18
	v_and_b32_e32 v21, 7, v19
	s_mov_b32 s0, exec_lo
	ds_load_b32 v20, v16 offset:32
	ds_load_2addr_b32 v[12:13], v16 offset0:4 offset1:5
	ds_load_2addr_b32 v[8:9], v16 offset1:1
	ds_load_2addr_b32 v[10:11], v16 offset0:2 offset1:3
	ds_load_2addr_b32 v[14:15], v16 offset0:6 offset1:7
	s_wait_dscnt 0x4
	v_mov_b32_dpp v22, v20 row_shr:1 row_mask:0xf bank_mask:0xf
	s_wait_dscnt 0x3
	v_mov_b32_dpp v28, v12 row_shr:1 row_mask:0xf bank_mask:0xf
	;; [unrolled: 2-line block ×3, first 2 shown]
	v_mov_b32_dpp v25, v9 row_shr:1 row_mask:0xf bank_mask:0xf
	s_wait_dscnt 0x1
	v_mov_b32_dpp v26, v10 row_shr:1 row_mask:0xf bank_mask:0xf
	v_mov_b32_dpp v27, v11 row_shr:1 row_mask:0xf bank_mask:0xf
	;; [unrolled: 1-line block ×3, first 2 shown]
	s_wait_dscnt 0x0
	v_mov_b32_dpp v30, v14 row_shr:1 row_mask:0xf bank_mask:0xf
	v_mov_b32_dpp v31, v15 row_shr:1 row_mask:0xf bank_mask:0xf
	s_clause 0x5
	scratch_store_b32 off, v20, off offset:128
	scratch_store_b128 off, v[8:11], off offset:96
	scratch_store_b128 off, v[12:15], off offset:112
	scratch_store_b128 off, v[24:27], off
	scratch_store_b128 off, v[28:31], off offset:16
	scratch_store_b32 off, v22, off offset:32
	s_wait_xcnt 0x0
	v_cmpx_ne_u32_e32 0, v21
	s_cbranch_execz .LBB2184_365
; %bb.358:
	v_and_b32_e32 v23, 0xff, v20
	s_mov_b32 s2, exec_lo
	s_delay_alu instid0(VALU_DEP_1)
	v_cmpx_eq_u16_e32 0, v23
	s_cbranch_execz .LBB2184_364
; %bb.359:
	v_mov_b64_e32 v[8:9], 0
	s_mov_b32 s3, 0
.LBB2184_360:                           ; =>This Inner Loop Header: Depth=1
	s_wait_xcnt 0x0
	s_add_co_i32 s6, s3, 0xf0
	s_add_co_i32 s3, s3, 8
	scratch_store_b64 off, v[8:9], s6
	s_cmp_lg_u32 s3, 32
	s_cbranch_scc1 .LBB2184_360
; %bb.361:
	s_mov_b32 s3, 0
.LBB2184_362:                           ; =>This Inner Loop Header: Depth=1
	s_wait_xcnt 0x1
	s_add_co_i32 s7, s3, 0x60
	scratch_load_b64 v[8:9], off, s3
	scratch_load_b64 v[10:11], off, s7
	s_mov_b32 s6, s3
                                        ; kill: killed $sgpr6
	s_add_co_i32 s6, s3, 0xf0
	s_wait_xcnt 0x1
	s_add_co_i32 s3, s3, 8
	s_delay_alu instid0(SALU_CYCLE_1)
	s_cmp_lg_u32 s3, 32
	s_wait_loadcnt 0x0
	v_dual_add_nc_u32 v9, v11, v9 :: v_dual_add_nc_u32 v8, v10, v8
	scratch_store_b64 off, v[8:9], s6
	s_cbranch_scc1 .LBB2184_362
; %bb.363:
	s_clause 0x1
	scratch_load_b128 v[8:11], off, off offset:240
	scratch_load_b128 v[12:15], off, off offset:256
.LBB2184_364:
	s_wait_xcnt 0x0
	s_or_b32 exec_lo, exec_lo, s2
	v_or_b32_e32 v20, v22, v20
	s_delay_alu instid0(VALU_DEP_1)
	v_and_b32_e32 v20, 1, v20
	s_clause 0x1
	scratch_store_b8 off, v20, off offset:128
	scratch_load_b32 v20, off, off offset:128
	s_wait_loadcnt 0x2
	scratch_store_b128 off, v[8:11], off offset:96
	s_wait_loadcnt 0x1
	scratch_store_b128 off, v[12:15], off offset:112
.LBB2184_365:
	s_wait_xcnt 0x0
	s_or_b32 exec_lo, exec_lo, s0
	v_mov_b32_dpp v24, v8 row_shr:2 row_mask:0xf bank_mask:0xf
	v_mov_b32_dpp v25, v9 row_shr:2 row_mask:0xf bank_mask:0xf
	;; [unrolled: 1-line block ×4, first 2 shown]
	s_wait_loadcnt 0x0
	v_mov_b32_dpp v22, v20 row_shr:2 row_mask:0xf bank_mask:0xf
	v_mov_b32_dpp v28, v12 row_shr:2 row_mask:0xf bank_mask:0xf
	;; [unrolled: 1-line block ×5, first 2 shown]
	s_mov_b32 s2, exec_lo
	s_clause 0x2
	scratch_store_b128 off, v[24:27], off
	scratch_store_b128 off, v[28:31], off offset:16
	scratch_store_b32 off, v22, off offset:32
	s_wait_xcnt 0x0
	v_cmpx_lt_u32_e32 1, v21
	s_cbranch_execz .LBB2184_373
; %bb.366:
	v_and_b32_e32 v23, 0xff, v20
	s_mov_b32 s3, 0
	s_mov_b32 s0, exec_lo
	s_delay_alu instid0(VALU_DEP_1)
	v_cmpx_eq_u16_e32 0, v23
	s_cbranch_execz .LBB2184_372
; %bb.367:
	v_mov_b64_e32 v[8:9], 0
.LBB2184_368:                           ; =>This Inner Loop Header: Depth=1
	s_wait_xcnt 0x0
	s_add_co_i32 s6, s3, 0xf0
	s_add_co_i32 s3, s3, 8
	scratch_store_b64 off, v[8:9], s6
	s_cmp_lg_u32 s3, 32
	s_cbranch_scc1 .LBB2184_368
; %bb.369:
	s_mov_b32 s3, 0
.LBB2184_370:                           ; =>This Inner Loop Header: Depth=1
	s_wait_xcnt 0x1
	s_add_co_i32 s7, s3, 0x60
	scratch_load_b64 v[8:9], off, s3
	scratch_load_b64 v[10:11], off, s7
	s_mov_b32 s6, s3
                                        ; kill: killed $sgpr6
	s_add_co_i32 s6, s3, 0xf0
	s_wait_xcnt 0x1
	s_add_co_i32 s3, s3, 8
                                        ; kill: killed $sgpr7
	s_delay_alu instid0(SALU_CYCLE_1)
	s_cmp_lg_u32 s3, 32
	s_wait_loadcnt 0x0
	v_dual_add_nc_u32 v9, v11, v9 :: v_dual_add_nc_u32 v8, v10, v8
	scratch_store_b64 off, v[8:9], s6
	s_cbranch_scc1 .LBB2184_370
; %bb.371:
	s_clause 0x1
	scratch_load_b128 v[8:11], off, off offset:240
	scratch_load_b128 v[12:15], off, off offset:256
.LBB2184_372:
	s_wait_xcnt 0x0
	s_or_b32 exec_lo, exec_lo, s0
	v_and_b32_e32 v20, 1, v20
	v_and_b32_e32 v22, 1, v22
	s_delay_alu instid0(VALU_DEP_2) | instskip(NEXT) | instid1(VALU_DEP_2)
	v_cmp_eq_u32_e32 vcc_lo, 1, v20
	v_cmp_eq_u32_e64 s0, 1, v22
	s_or_b32 s0, vcc_lo, s0
	s_delay_alu instid0(SALU_CYCLE_1)
	v_cndmask_b32_e64 v20, 0, 1, s0
	s_clause 0x1
	scratch_store_b8 off, v20, off offset:128
	scratch_load_b32 v20, off, off offset:128
	s_wait_loadcnt 0x2
	scratch_store_b128 off, v[8:11], off offset:96
	s_wait_loadcnt 0x1
	scratch_store_b128 off, v[12:15], off offset:112
.LBB2184_373:
	s_wait_xcnt 0x0
	s_or_b32 exec_lo, exec_lo, s2
	v_mov_b32_dpp v24, v8 row_shr:4 row_mask:0xf bank_mask:0xf
	v_mov_b32_dpp v25, v9 row_shr:4 row_mask:0xf bank_mask:0xf
	;; [unrolled: 1-line block ×4, first 2 shown]
	s_wait_loadcnt 0x0
	v_mov_b32_dpp v22, v20 row_shr:4 row_mask:0xf bank_mask:0xf
	v_mov_b32_dpp v28, v12 row_shr:4 row_mask:0xf bank_mask:0xf
	;; [unrolled: 1-line block ×5, first 2 shown]
	s_mov_b32 s2, exec_lo
	s_clause 0x2
	scratch_store_b128 off, v[24:27], off
	scratch_store_b128 off, v[28:31], off offset:16
	scratch_store_b32 off, v22, off offset:32
	s_wait_xcnt 0x0
	v_cmpx_lt_u32_e32 3, v21
	s_cbranch_execz .LBB2184_381
; %bb.374:
	v_and_b32_e32 v21, 0xff, v20
	s_mov_b32 s3, 0
	s_mov_b32 s0, exec_lo
	s_delay_alu instid0(VALU_DEP_1)
	v_cmpx_eq_u16_e32 0, v21
	s_cbranch_execz .LBB2184_380
; %bb.375:
	v_mov_b64_e32 v[8:9], 0
.LBB2184_376:                           ; =>This Inner Loop Header: Depth=1
	s_wait_xcnt 0x0
	s_add_co_i32 s6, s3, 0xf0
	s_add_co_i32 s3, s3, 8
	scratch_store_b64 off, v[8:9], s6
	s_cmp_lg_u32 s3, 32
	s_cbranch_scc1 .LBB2184_376
; %bb.377:
	s_mov_b32 s3, 0
.LBB2184_378:                           ; =>This Inner Loop Header: Depth=1
	s_wait_xcnt 0x1
	s_add_co_i32 s7, s3, 0x60
	scratch_load_b64 v[8:9], off, s3
	scratch_load_b64 v[10:11], off, s7
	s_mov_b32 s6, s3
                                        ; kill: killed $sgpr6
	s_add_co_i32 s6, s3, 0xf0
	s_wait_xcnt 0x1
	s_add_co_i32 s3, s3, 8
                                        ; kill: killed $sgpr7
	s_delay_alu instid0(SALU_CYCLE_1)
	s_cmp_lg_u32 s3, 32
	s_wait_loadcnt 0x0
	v_dual_add_nc_u32 v9, v11, v9 :: v_dual_add_nc_u32 v8, v10, v8
	scratch_store_b64 off, v[8:9], s6
	s_cbranch_scc1 .LBB2184_378
; %bb.379:
	s_clause 0x1
	scratch_load_b128 v[8:11], off, off offset:240
	scratch_load_b128 v[12:15], off, off offset:256
.LBB2184_380:
	s_wait_xcnt 0x0
	s_or_b32 exec_lo, exec_lo, s0
	v_and_b32_e32 v20, 1, v20
	v_and_b32_e32 v21, 1, v22
	s_wait_loadcnt 0x1
	scratch_store_b128 off, v[8:11], off offset:96
	s_wait_loadcnt 0x0
	scratch_store_b128 off, v[12:15], off offset:112
	v_cmp_eq_u32_e32 vcc_lo, 1, v20
	v_cmp_eq_u32_e64 s0, 1, v21
	s_or_b32 s0, vcc_lo, s0
	s_delay_alu instid0(SALU_CYCLE_1)
	v_cndmask_b32_e64 v20, 0, 1, s0
.LBB2184_381:
	s_wait_xcnt 0x0
	s_or_b32 exec_lo, exec_lo, s2
	s_clause 0x1
	scratch_load_b128 v[8:11], off, off offset:96
	scratch_load_b128 v[12:15], off, off offset:112
	s_wait_loadcnt 0x1
	ds_store_2addr_b32 v16, v10, v11 offset0:2 offset1:3
	ds_store_2addr_b32 v16, v8, v9 offset1:1
	s_wait_loadcnt 0x0
	ds_store_2addr_b32 v16, v14, v15 offset0:6 offset1:7
	ds_store_2addr_b32 v16, v12, v13 offset0:4 offset1:5
	ds_store_b8 v16, v20 offset:32
.LBB2184_382:
	s_wait_xcnt 0x0
	s_or_b32 exec_lo, exec_lo, s1
	s_wait_storecnt_dscnt 0x0
	s_barrier_signal -1
	s_barrier_wait -1
	s_clause 0x2
	scratch_load_b128 v[8:11], off, off offset:132
	scratch_load_b128 v[12:15], off, off offset:148
	scratch_load_b32 v16, off, off offset:164
	s_mov_b32 s0, exec_lo
	s_wait_loadcnt 0x2
	scratch_store_b128 off, v[8:11], off
	s_wait_loadcnt 0x1
	scratch_store_b128 off, v[12:15], off offset:16
	s_wait_loadcnt 0x0
	scratch_store_b32 off, v16, off offset:32
	s_wait_xcnt 0x0
	v_cmpx_lt_u32_e32 31, v18
	s_cbranch_execz .LBB2184_392
; %bb.383:
	v_mad_u32_u24 v8, v17, 36, -4
	v_mad_u32_u24 v20, v17, 36, 0xffffffdc
	s_mov_b32 s1, exec_lo
                                        ; implicit-def: $vgpr14_vgpr15
	ds_load_u8 v16, v8
                                        ; implicit-def: $vgpr10_vgpr11
	s_wait_dscnt 0x0
	v_cmpx_ne_u16_e32 0, v16
	s_xor_b32 s1, exec_lo, s1
	s_cbranch_execz .LBB2184_385
; %bb.384:
	v_mul_u32_u24_e32 v8, 36, v17
	s_delay_alu instid0(VALU_DEP_1)
	v_subrev_nc_u32_e32 v10, 28, v8
	v_subrev_nc_u32_e32 v12, 20, v8
	v_add_nc_u32_e32 v14, -12, v8
	ds_load_2addr_b32 v[8:9], v20 offset1:1
	ds_load_2addr_b32 v[10:11], v10 offset1:1
	;; [unrolled: 1-line block ×4, first 2 shown]
                                        ; implicit-def: $vgpr20
.LBB2184_385:
	s_and_not1_saveexec_b32 s1, s1
	s_cbranch_execz .LBB2184_391
; %bb.386:
	s_wait_dscnt 0x3
	v_mov_b64_e32 v[8:9], 0
	s_mov_b32 s2, 0
.LBB2184_387:                           ; =>This Inner Loop Header: Depth=1
	s_wait_xcnt 0x0
	s_add_co_i32 s3, s2, 0x60
	s_add_co_i32 s2, s2, 8
	scratch_store_b64 off, v[8:9], s3
	s_cmp_lg_u32 s2, 32
	s_cbranch_scc1 .LBB2184_387
; %bb.388:
	s_mov_b32 s2, 0
.LBB2184_389:                           ; =>This Inner Loop Header: Depth=1
	s_wait_xcnt 0x0
	s_add_co_i32 s3, s2, 0x84
	scratch_load_b64 v[8:9], off, s3
	s_wait_dscnt 0x2
	v_add_nc_u32_e32 v10, s2, v20
	s_wait_xcnt 0x0
	s_add_co_i32 s3, s2, 0x60
	s_add_co_i32 s2, s2, 8
	s_delay_alu instid0(SALU_CYCLE_1)
	s_cmp_lg_u32 s2, 32
	ds_load_2addr_b32 v[10:11], v10 offset1:1
	s_wait_loadcnt_dscnt 0x0
	v_dual_add_nc_u32 v9, v11, v9 :: v_dual_add_nc_u32 v8, v10, v8
	scratch_store_b64 off, v[8:9], s3
	s_cbranch_scc1 .LBB2184_389
; %bb.390:
	s_clause 0x1
	scratch_load_b128 v[8:11], off, off offset:96
	scratch_load_b128 v[12:15], off, off offset:112
.LBB2184_391:
	s_wait_xcnt 0x0
	s_or_b32 exec_lo, exec_lo, s1
	scratch_load_u8 v17, off, off offset:164
	s_wait_loadcnt 0x0
	v_bitop3_b16 v16, v16, 1, v17 bitop3:0xc8
	s_wait_dscnt 0x2
	scratch_store_b128 off, v[8:11], off
	s_wait_dscnt 0x0
	s_clause 0x1
	scratch_store_b128 off, v[12:15], off offset:16
	scratch_store_b8 off, v16, off offset:32
.LBB2184_392:
	s_wait_xcnt 0x0
	s_or_b32 exec_lo, exec_lo, s0
	scratch_load_u8 v15, off, off offset:200
	s_mov_b32 s0, exec_lo
                                        ; implicit-def: $vgpr16_vgpr17
                                        ; implicit-def: $vgpr8_vgpr9
                                        ; implicit-def: $vgpr20
                                        ; implicit-def: $vgpr12
	s_wait_loadcnt 0x0
	v_cmpx_ne_u16_e32 0, v15
	s_xor_b32 s0, exec_lo, s0
	s_cbranch_execz .LBB2184_394
; %bb.393:
	s_clause 0x2
	scratch_load_b96 v[12:14], off, off offset:168
	scratch_load_b128 v[8:11], off, off offset:180
	scratch_load_b32 v20, off, off offset:196
	s_wait_loadcnt 0x2
	v_dual_mov_b32 v16, v13 :: v_dual_mov_b32 v17, v14
.LBB2184_394:
	s_wait_xcnt 0x0
	s_and_not1_saveexec_b32 s0, s0
	s_cbranch_execz .LBB2184_400
; %bb.395:
	s_wait_loadcnt 0x1
	v_mov_b64_e32 v[8:9], 0
	s_mov_b32 s1, 0
.LBB2184_396:                           ; =>This Inner Loop Header: Depth=1
	s_wait_xcnt 0x0
	s_add_co_i32 s2, s1, 0x60
	s_add_co_i32 s1, s1, 8
	scratch_store_b64 off, v[8:9], s2
	s_cmp_lg_u32 s1, 32
	s_cbranch_scc1 .LBB2184_396
; %bb.397:
	s_mov_b32 s1, 0
.LBB2184_398:                           ; =>This Inner Loop Header: Depth=1
	s_wait_xcnt 0x1
	s_add_co_i32 s3, s1, 0xa8
	scratch_load_b64 v[8:9], off, s1
	scratch_load_b64 v[10:11], off, s3
	s_mov_b32 s2, s1
                                        ; kill: killed $sgpr2
	s_add_co_i32 s2, s1, 0x60
	s_wait_xcnt 0x1
	s_add_co_i32 s1, s1, 8
                                        ; kill: killed $sgpr3
	s_delay_alu instid0(SALU_CYCLE_1)
	s_cmp_lg_u32 s1, 32
	s_wait_loadcnt 0x0
	v_dual_add_nc_u32 v9, v11, v9 :: v_dual_add_nc_u32 v8, v10, v8
	scratch_store_b64 off, v[8:9], s2
	s_cbranch_scc1 .LBB2184_398
; %bb.399:
	s_clause 0x2
	scratch_load_b96 v[12:14], off, off offset:96
	scratch_load_b128 v[8:11], off, off offset:108
	scratch_load_b32 v20, off, off offset:124
	s_wait_loadcnt 0x2
	v_dual_mov_b32 v16, v13 :: v_dual_mov_b32 v17, v14
.LBB2184_400:
	s_wait_xcnt 0x0
	s_or_b32 exec_lo, exec_lo, s0
	scratch_load_u8 v13, off, off offset:32
	s_wait_loadcnt 0x0
	v_bitop3_b16 v14, v15, 1, v13 bitop3:0xc8
	s_clause 0x1
	scratch_store_b8 off, v14, off offset:200
	scratch_load_b32 v21, off, off offset:200
	s_wait_xcnt 0x1
	v_sub_co_u32 v14, s1, v19, 1
	s_delay_alu instid0(VALU_DEP_1) | instskip(SKIP_1) | instid1(VALU_DEP_1)
	v_cmp_gt_i32_e32 vcc_lo, 0, v14
	v_cndmask_b32_e32 v14, v14, v19, vcc_lo
	v_lshlrev_b32_e32 v19, 2, v14
	ds_bpermute_b32 v14, v19, v12
	ds_bpermute_b32 v15, v19, v16
	ds_bpermute_b32 v16, v19, v17
	ds_bpermute_b32 v17, v19, v8
	ds_bpermute_b32 v22, v19, v9
	ds_bpermute_b32 v23, v19, v10
	ds_bpermute_b32 v24, v19, v11
	ds_bpermute_b32 v25, v19, v20
	s_wait_dscnt 0x4
	scratch_store_b128 off, v[14:17], off offset:168
	s_wait_dscnt 0x0
	scratch_store_b128 off, v[22:25], off offset:184
	s_wait_loadcnt 0x0
	ds_bpermute_b32 v9, v19, v21
	s_wait_xcnt 0x0
	s_and_saveexec_b32 s0, s1
	s_cbranch_execz .LBB2184_402
; %bb.401:
	s_clause 0x1
	scratch_load_b128 v[14:17], off, off
	scratch_load_b128 v[20:23], off, off offset:16
	s_wait_dscnt 0x0
	v_mov_b32_e32 v9, v13
	s_wait_loadcnt 0x1
	scratch_store_b128 off, v[14:17], off offset:168
	s_wait_loadcnt 0x0
	scratch_store_b128 off, v[20:23], off offset:184
.LBB2184_402:
	s_wait_xcnt 0x0
	s_or_b32 exec_lo, exec_lo, s0
	s_clause 0x2
	scratch_load_b128 v[10:13], off, off offset:272
	scratch_load_b128 v[14:17], off, off offset:288
	scratch_load_b32 v19, off, off offset:304
	v_mov_b32_e32 v8, 0
	s_clause 0x1
	scratch_store_b128 off, v[0:3], off offset:96
	scratch_store_b128 off, v[4:7], off offset:112
	s_wait_loadcnt 0x2
	scratch_store_b128 off, v[10:13], off
	s_wait_loadcnt 0x1
	scratch_store_b128 off, v[14:17], off offset:16
	s_wait_loadcnt 0x0
	s_clause 0x1
	scratch_store_b32 off, v19, off offset:32
	scratch_store_b8 off, v8, off offset:128
	s_wait_xcnt 0x0
	s_and_saveexec_b32 s0, s5
	s_cbranch_execz .LBB2184_404
; %bb.403:
	s_clause 0x1
	scratch_load_b128 v[0:3], off, off offset:168
	scratch_load_b128 v[4:7], off, off offset:184
	s_wait_dscnt 0x0
	v_mov_b32_e32 v8, v9
	s_wait_loadcnt 0x1
	scratch_store_b128 off, v[0:3], off offset:96
	s_wait_loadcnt 0x0
	scratch_store_b128 off, v[4:7], off offset:112
.LBB2184_404:
	s_wait_xcnt 0x0
	s_or_b32 exec_lo, exec_lo, s0
	s_clause 0x2
	scratch_load_u8 v10, off, off offset:32
	scratch_load_b128 v[0:3], off, off offset:96
	scratch_load_b128 v[4:7], off, off offset:112
	s_mov_b32 s0, exec_lo
	s_wait_loadcnt 0x1
	scratch_store_b128 off, v[0:3], off offset:272
	s_wait_loadcnt 0x0
	s_clause 0x1
	scratch_store_b128 off, v[4:7], off offset:288
	scratch_store_b8 off, v8, off offset:304
                                        ; implicit-def: $vgpr6_vgpr7
                                        ; implicit-def: $vgpr2_vgpr3
	s_wait_xcnt 0x0
	v_cmpx_ne_u16_e32 0, v10
	s_xor_b32 s0, exec_lo, s0
	s_cbranch_execz .LBB2184_406
; %bb.405:
	s_clause 0x1
	scratch_load_b128 v[0:3], off, off
	scratch_load_b128 v[4:7], off, off offset:16
.LBB2184_406:
	s_wait_xcnt 0x0
	s_and_not1_saveexec_b32 s0, s0
	s_cbranch_execz .LBB2184_412
; %bb.407:
	s_wait_loadcnt 0x1
	v_mov_b64_e32 v[0:1], 0
	s_mov_b32 s1, 0
.LBB2184_408:                           ; =>This Inner Loop Header: Depth=1
	s_wait_xcnt 0x0
	s_add_co_i32 s2, s1, 0x84
	s_add_co_i32 s1, s1, 8
	scratch_store_b64 off, v[0:1], s2
	s_cmp_lg_u32 s1, 32
	s_cbranch_scc1 .LBB2184_408
; %bb.409:
	s_mov_b32 s1, 0
.LBB2184_410:                           ; =>This Inner Loop Header: Depth=1
	s_wait_xcnt 0x0
	s_add_co_i32 s2, s1, 0x60
	s_mov_b32 s3, s1
	scratch_load_b64 v[0:1], off, s2
	scratch_load_b64 v[2:3], off, s1
                                        ; kill: killed $sgpr2
	s_wait_xcnt 0x1
	s_add_co_i32 s2, s1, 0x84
	s_wait_xcnt 0x0
	s_add_co_i32 s1, s1, 8
                                        ; kill: killed $sgpr3
	s_delay_alu instid0(SALU_CYCLE_1)
	s_cmp_lg_u32 s1, 32
	s_wait_loadcnt 0x0
	v_dual_add_nc_u32 v1, v3, v1 :: v_dual_add_nc_u32 v0, v2, v0
	scratch_store_b64 off, v[0:1], s2
	s_cbranch_scc1 .LBB2184_410
; %bb.411:
	s_clause 0x1
	scratch_load_b128 v[0:3], off, off offset:132
	scratch_load_b128 v[4:7], off, off offset:148
.LBB2184_412:
	s_wait_xcnt 0x0
	s_or_b32 exec_lo, exec_lo, s0
	s_wait_dscnt 0x0
	scratch_load_u8 v9, off, off offset:340
	s_clause 0x1
	scratch_load_b128 v[12:15], off, s15
	scratch_load_b128 v[20:23], off, s15 offset:16
	v_or_b32_e32 v11, v10, v8
	v_bitop3_b16 v8, v10, 1, v8 bitop3:0xc8
	s_wait_loadcnt 0x4
	scratch_store_b128 off, v[0:3], off offset:96
	s_wait_loadcnt 0x3
	scratch_store_b128 off, v[4:7], off offset:112
	s_wait_loadcnt 0x1
	scratch_store_b128 off, v[12:15], off
	s_wait_loadcnt 0x0
	scratch_store_b128 off, v[20:23], off offset:16
	s_clause 0x1
	scratch_store_b128 off, v[0:3], s15
	scratch_store_b128 off, v[4:7], s15 offset:16
	scratch_store_b8 off, v8, off offset:340
	v_and_b32_e32 v11, 1, v11
	v_cmp_ne_u16_e64 s0, 0, v9
                                        ; implicit-def: $vgpr6_vgpr7
                                        ; implicit-def: $vgpr2_vgpr3
	s_delay_alu instid0(VALU_DEP_2) | instskip(SKIP_2) | instid1(SALU_CYCLE_1)
	v_cmp_eq_u32_e32 vcc_lo, 1, v11
	s_wait_xcnt 0x0
	s_and_saveexec_b32 s1, s0
	s_xor_b32 s0, exec_lo, s1
	s_cbranch_execz .LBB2184_414
; %bb.413:
	s_clause 0x1
	scratch_load_b128 v[0:3], off, off
	scratch_load_b128 v[4:7], off, off offset:16
.LBB2184_414:
	s_wait_xcnt 0x0
	s_and_not1_saveexec_b32 s0, s0
	s_cbranch_execz .LBB2184_420
; %bb.415:
	s_wait_loadcnt 0x1
	v_mov_b64_e32 v[0:1], 0
	s_mov_b32 s1, 0
.LBB2184_416:                           ; =>This Inner Loop Header: Depth=1
	s_wait_xcnt 0x0
	s_add_co_i32 s2, s1, 0x84
	s_add_co_i32 s1, s1, 8
	scratch_store_b64 off, v[0:1], s2
	s_cmp_lg_u32 s1, 32
	s_cbranch_scc1 .LBB2184_416
; %bb.417:
	s_mov_b32 s1, 0
.LBB2184_418:                           ; =>This Inner Loop Header: Depth=1
	s_wait_xcnt 0x0
	s_add_co_i32 s2, s1, 0x60
	s_mov_b32 s3, s1
	scratch_load_b64 v[0:1], off, s2
	scratch_load_b64 v[2:3], off, s1
                                        ; kill: killed $sgpr2
	s_wait_xcnt 0x1
	s_add_co_i32 s2, s1, 0x84
	s_wait_xcnt 0x0
	s_add_co_i32 s1, s1, 8
                                        ; kill: killed $sgpr3
	s_delay_alu instid0(SALU_CYCLE_1)
	s_cmp_lg_u32 s1, 32
	s_wait_loadcnt 0x0
	v_dual_add_nc_u32 v1, v3, v1 :: v_dual_add_nc_u32 v0, v2, v0
	scratch_store_b64 off, v[0:1], s2
	s_cbranch_scc1 .LBB2184_418
; %bb.419:
	s_clause 0x1
	scratch_load_b128 v[0:3], off, off offset:132
	scratch_load_b128 v[4:7], off, off offset:148
.LBB2184_420:
	s_wait_xcnt 0x0
	s_or_b32 exec_lo, exec_lo, s0
	v_dual_mov_b32 v10, 0 :: v_dual_bitop2_b32 v9, 1, v9 bitop3:0x40
	ds_load_u8 v8, v10 offset:284
	ds_load_2addr_b32 v[12:13], v10 offset0:65 offset1:66
	ds_load_2addr_b32 v[16:17], v10 offset0:69 offset1:70
	;; [unrolled: 1-line block ×4, first 2 shown]
	v_cmp_eq_u32_e64 s0, 1, v9
	s_or_b32 s0, s0, vcc_lo
	s_delay_alu instid0(SALU_CYCLE_1)
	v_cndmask_b32_e64 v19, 0, 1, s0
	s_mov_b32 s0, 0
	s_wait_loadcnt 0x1
	scratch_store_b128 off, v[0:3], s33
	s_wait_loadcnt 0x0
	scratch_store_b128 off, v[4:7], s33 offset:16
	scratch_store_b8 off, v19, off offset:376
	s_wait_dscnt 0x0
	s_clause 0x1
	scratch_store_b128 off, v[10:13], off offset:380
	scratch_store_b128 off, v[14:17], off offset:396
	v_and_b32_e32 v9, 0xffff, v8
	s_delay_alu instid0(VALU_DEP_1)
	v_cmp_ne_u32_e32 vcc_lo, 0, v9
	s_cbranch_vccz .LBB2184_424
; %bb.421:
	s_clause 0x1
	scratch_load_b128 v[0:3], off, off offset:380
	scratch_load_b128 v[4:7], off, off offset:396
	s_and_not1_b32 vcc_lo, exec_lo, s0
	s_cbranch_vccz .LBB2184_425
	s_branch .LBB2184_430
.LBB2184_422:
	v_lshlrev_b32_e32 v5, 5, v18
	s_clause 0x1
	flat_load_b128 v[8:11], v5, s[16:17]
	flat_load_b128 v[12:15], v5, s[16:17] offset:16
	s_wait_loadcnt_dscnt 0x101
	scratch_store_b128 off, v[8:11], off
	s_wait_loadcnt_dscnt 0x0
	scratch_store_b128 off, v[12:15], off offset:16
	s_wait_xcnt 0x0
	s_or_b32 exec_lo, exec_lo, s6
	s_and_saveexec_b32 s6, s3
	s_cbranch_execz .LBB2184_27
.LBB2184_423:
	v_lshlrev_b32_e32 v5, 5, v18
	s_clause 0x1
	flat_load_b128 v[8:11], v5, s[16:17] offset:8192
	flat_load_b128 v[12:15], v5, s[16:17] offset:8208
	s_wait_loadcnt_dscnt 0x101
	scratch_store_b128 off, v[8:11], off offset:32
	s_wait_loadcnt_dscnt 0x0
	scratch_store_b128 off, v[12:15], off offset:48
	s_wait_xcnt 0x0
	s_or_b32 exec_lo, exec_lo, s6
	v_mul_u32_u24_e32 v5, 3, v18
	s_and_saveexec_b32 s3, s2
	s_cbranch_execnz .LBB2184_28
	s_branch .LBB2184_29
.LBB2184_424:
                                        ; implicit-def: $vgpr6_vgpr7
                                        ; implicit-def: $vgpr2_vgpr3
.LBB2184_425:
	s_wait_loadcnt 0x1
	s_wait_xcnt 0x4
	v_mov_b64_e32 v[0:1], 0
	s_mov_b32 s0, 0
.LBB2184_426:                           ; =>This Inner Loop Header: Depth=1
	s_wait_xcnt 0x0
	s_mov_b32 s1, s0
	s_add_co_i32 s0, s0, 8
	scratch_store_b64 off, v[0:1], s1
	s_cmp_lg_u32 s0, 32
	s_cbranch_scc1 .LBB2184_426
; %bb.427:
	s_mov_b32 s0, 0
.LBB2184_428:                           ; =>This Inner Loop Header: Depth=1
	s_wait_xcnt 0x0
	s_add_co_i32 s1, s0, 0xcc
	s_add_co_i32 s2, s0, 0x17c
	scratch_load_b64 v[0:1], off, s1
	scratch_load_b64 v[2:3], off, s2
                                        ; kill: killed $sgpr1
	s_wait_xcnt 0x1
	s_mov_b32 s1, s0
	s_add_co_i32 s0, s0, 8
                                        ; kill: killed $sgpr2
	s_delay_alu instid0(SALU_CYCLE_1)
	s_cmp_lg_u32 s0, 32
	s_wait_loadcnt 0x0
	v_dual_add_nc_u32 v1, v3, v1 :: v_dual_add_nc_u32 v0, v2, v0
	scratch_store_b64 off, v[0:1], s1
	s_cbranch_scc1 .LBB2184_428
; %bb.429:
	s_clause 0x1
	scratch_load_b128 v[0:3], off, off
	scratch_load_b128 v[4:7], off, off offset:16
.LBB2184_430:
	s_wait_loadcnt 0x1
	scratch_store_b128 off, v[0:3], off offset:380
	s_wait_loadcnt 0x0
	s_clause 0x1
	scratch_store_b128 off, v[4:7], off offset:396
	scratch_store_b8 off, v8, off offset:412
	s_wait_xcnt 0x0
	s_and_saveexec_b32 s0, s4
	s_cbranch_execz .LBB2184_432
; %bb.431:
	v_dual_mov_b32 v9, 0 :: v_dual_mov_b32 v10, 2
	s_clause 0x2
	global_store_b128 v9, v[0:3], s[10:11] offset:1152
	global_store_b128 v9, v[4:7], s[10:11] offset:1168
	global_store_b8 v9, v8, s[10:11] offset:1184
	global_wb scope:SCOPE_DEV
	s_wait_storecnt 0x0
	global_inv scope:SCOPE_DEV
	s_wait_xcnt 0x0
	global_store_b8 v9, v10, s[12:13] offset:32 scope:SCOPE_DEV
.LBB2184_432:
	s_wait_xcnt 0x0
	s_or_b32 exec_lo, exec_lo, s0
.LBB2184_433:
	s_wait_xcnt 0x2
	v_mov_b64_e32 v[0:1], 0
	s_mov_b32 s0, 0
.LBB2184_434:                           ; =>This Inner Loop Header: Depth=1
	s_wait_xcnt 0x0
	s_mov_b32 s1, s0
	s_add_co_i32 s0, s0, 8
	scratch_store_b64 off, v[0:1], s1
	s_cmp_lg_u32 s0, 32
	s_cbranch_scc1 .LBB2184_434
; %bb.435:
	s_wait_xcnt 0x0
	v_mov_b64_e32 v[0:1], 0
	s_mov_b32 s0, 32
.LBB2184_436:                           ; =>This Inner Loop Header: Depth=1
	s_wait_xcnt 0x0
	s_mov_b32 s1, s0
	s_add_co_i32 s0, s0, 8
	scratch_store_b64 off, v[0:1], s1
	s_cmp_lg_u32 s0, 64
	s_cbranch_scc1 .LBB2184_436
; %bb.437:
	;; [unrolled: 11-line block ×3, first 2 shown]
	s_wait_xcnt 0x0
	s_add_nc_u64 s[0:1], s[22:23], s[34:35]
	s_and_b32 vcc_lo, exec_lo, s36
	s_add_nc_u64 s[0:1], s[0:1], s[20:21]
	s_cbranch_vccz .LBB2184_449
; %bb.440:
	v_mul_u32_u24_e32 v0, 3, v18
	s_add_co_i32 s37, s37, s14
	s_mov_b32 s2, exec_lo
	s_delay_alu instid0(VALU_DEP_1)
	v_cmpx_gt_u32_e64 s37, v0
	s_cbranch_execz .LBB2184_444
; %bb.441:
	s_clause 0x1
	scratch_load_b128 v[2:5], off, off offset:272
	scratch_load_b128 v[6:9], off, off offset:288
	v_add_nc_u32_e32 v1, 1, v0
	s_wait_loadcnt 0x1
	scratch_store_b128 off, v[2:5], off
	s_wait_loadcnt 0x0
	scratch_store_b128 off, v[6:9], off offset:16
	v_cmp_gt_u32_e32 vcc_lo, s37, v1
	s_wait_xcnt 0x0
	s_and_b32 exec_lo, exec_lo, vcc_lo
	s_cbranch_execz .LBB2184_444
; %bb.442:
	s_clause 0x1
	scratch_load_b128 v[2:5], off, s15
	scratch_load_b128 v[6:9], off, s15 offset:16
	v_add_nc_u32_e32 v1, 2, v0
	s_wait_loadcnt 0x1
	scratch_store_b128 off, v[2:5], s41
	s_wait_loadcnt 0x0
	scratch_store_b128 off, v[6:9], s41 offset:16
	v_cmp_gt_u32_e32 vcc_lo, s37, v1
	s_wait_xcnt 0x0
	s_and_b32 exec_lo, exec_lo, vcc_lo
	s_cbranch_execz .LBB2184_444
; %bb.443:
	s_clause 0x1
	scratch_load_b128 v[2:5], off, s33
	scratch_load_b128 v[6:9], off, s33 offset:16
	s_wait_loadcnt 0x1
	scratch_store_b128 off, v[2:5], s40
	s_wait_loadcnt 0x0
	scratch_store_b128 off, v[6:9], s40 offset:16
.LBB2184_444:
	s_wait_xcnt 0x0
	s_or_b32 exec_lo, exec_lo, s2
	s_wait_loadcnt 0x0
	s_wait_storecnt 0x0
	s_barrier_signal -1
	s_barrier_wait -1
	s_clause 0x1
	scratch_load_b128 v[4:7], off, off
	scratch_load_b128 v[8:11], off, off offset:16
	s_clause 0x3
	scratch_load_b128 v[12:15], off, s41
	scratch_load_b128 v[20:23], off, s41 offset:16
	scratch_load_b128 v[24:27], off, s40
	scratch_load_b128 v[28:31], off, s40 offset:16
	v_dual_lshlrev_b32 v0, 5, v0 :: v_dual_lshlrev_b32 v1, 6, v18
	s_mov_b32 s2, exec_lo
	s_wait_loadcnt 0x5
	ds_store_b128 v0, v[4:7]
	s_wait_loadcnt 0x4
	ds_store_b128 v0, v[8:11] offset:16
	s_wait_loadcnt 0x3
	ds_store_b128 v0, v[12:15] offset:32
	;; [unrolled: 2-line block ×5, first 2 shown]
	v_dual_mov_b32 v1, 0 :: v_dual_sub_nc_u32 v2, v0, v1
	s_wait_dscnt 0x0
	s_barrier_signal -1
	s_barrier_wait -1
	ds_load_b128 v[4:7], v2 offset:8192
	ds_load_b128 v[8:11], v2 offset:8208
	;; [unrolled: 1-line block ×4, first 2 shown]
	v_lshlrev_b32_e32 v0, 5, v18
	s_wait_dscnt 0x3
	scratch_store_b128 off, v[4:7], s41
	s_wait_dscnt 0x2
	scratch_store_b128 off, v[8:11], s41 offset:16
	s_wait_dscnt 0x1
	scratch_store_b128 off, v[12:15], s40
	s_wait_dscnt 0x0
	scratch_store_b128 off, v[20:23], s40 offset:16
	v_add_nc_u64_e32 v[0:1], s[0:1], v[0:1]
	s_wait_xcnt 0x0
	v_cmpx_gt_u32_e64 s37, v18
	s_cbranch_execz .LBB2184_446
; %bb.445:
	ds_load_2addr_b32 v[4:5], v2 offset0:2 offset1:3
	ds_load_2addr_b32 v[6:7], v2 offset0:4 offset1:5
	;; [unrolled: 1-line block ×3, first 2 shown]
	ds_load_2addr_b32 v[2:3], v2 offset1:1
	s_wait_dscnt 0x0
	s_clause 0x1
	flat_store_b128 v[0:1], v[2:5]
	flat_store_b128 v[0:1], v[6:9] offset:16
.LBB2184_446:
	s_wait_xcnt 0x0
	s_or_b32 exec_lo, exec_lo, s2
	v_add_nc_u32_e32 v2, 0x100, v18
	s_mov_b32 s2, exec_lo
	s_delay_alu instid0(VALU_DEP_1)
	v_cmpx_gt_u32_e64 s37, v2
	s_cbranch_execz .LBB2184_448
; %bb.447:
	scratch_load_b128 v[2:5], off, s41
	s_wait_loadcnt 0x0
	flat_store_b128 v[0:1], v[2:5] offset:8192
	scratch_load_b128 v[2:5], off, s41 offset:16
	s_wait_loadcnt 0x0
	flat_store_b128 v[0:1], v[2:5] offset:8208
.LBB2184_448:
	s_wait_xcnt 0x0
	s_or_b32 exec_lo, exec_lo, s2
	v_add_nc_u32_e32 v0, 0x200, v18
	s_delay_alu instid0(VALU_DEP_1)
	v_cmp_gt_u32_e64 s2, s37, v0
	s_branch .LBB2184_451
.LBB2184_449:
	s_mov_b32 s2, 0
	s_cbranch_execz .LBB2184_451
; %bb.450:
	s_clause 0x1
	scratch_load_b128 v[0:3], off, off offset:272
	scratch_load_b128 v[4:7], off, off offset:288
	s_clause 0x3
	scratch_load_b128 v[8:11], off, s15
	scratch_load_b128 v[12:15], off, s15 offset:16
	scratch_load_b128 v[20:23], off, s33
	scratch_load_b128 v[24:27], off, s33 offset:16
	v_mul_u32_u24_e32 v16, 0x60, v18
	v_lshlrev_b32_e32 v17, 6, v18
	s_or_b32 s2, s2, exec_lo
	s_wait_loadcnt 0x5
	scratch_store_b128 off, v[0:3], off
	s_wait_loadcnt 0x4
	scratch_store_b128 off, v[4:7], off offset:16
	s_wait_loadcnt 0x3
	scratch_store_b128 off, v[8:11], s41
	s_wait_loadcnt 0x2
	scratch_store_b128 off, v[12:15], s41 offset:16
	s_wait_loadcnt 0x1
	scratch_store_b128 off, v[20:23], s40
	s_wait_loadcnt 0x0
	scratch_store_b128 off, v[24:27], s40 offset:16
	s_wait_storecnt_dscnt 0x0
	s_barrier_signal -1
	s_barrier_wait -1
	s_clause 0x1
	scratch_load_b128 v[0:3], off, off
	scratch_load_b128 v[4:7], off, off offset:16
	s_clause 0x3
	scratch_load_b128 v[8:11], off, s41
	scratch_load_b128 v[12:15], off, s41 offset:16
	scratch_load_b128 v[20:23], off, s40
	scratch_load_b128 v[24:27], off, s40 offset:16
	v_sub_nc_u32_e32 v17, v16, v17
	s_wait_loadcnt 0x5
	ds_store_b128 v16, v[0:3]
	s_wait_loadcnt 0x4
	ds_store_b128 v16, v[4:7] offset:16
	s_wait_loadcnt 0x3
	ds_store_b128 v16, v[8:11] offset:32
	;; [unrolled: 2-line block ×5, first 2 shown]
	s_wait_dscnt 0x0
	s_barrier_signal -1
	s_barrier_wait -1
	ds_load_b128 v[0:3], v17 offset:8192
	ds_load_b128 v[4:7], v17 offset:8208
	;; [unrolled: 1-line block ×4, first 2 shown]
	ds_load_2addr_b32 v[22:23], v17 offset0:6 offset1:7
	ds_load_2addr_b32 v[20:21], v17 offset0:4 offset1:5
	ds_load_2addr_b32 v[24:25], v17 offset1:1
	ds_load_2addr_b32 v[26:27], v17 offset0:2 offset1:3
	v_lshlrev_b32_e32 v16, 5, v18
	s_wait_dscnt 0x7
	scratch_store_b128 off, v[0:3], s41
	s_wait_dscnt 0x6
	scratch_store_b128 off, v[4:7], s41 offset:16
	s_wait_dscnt 0x5
	scratch_store_b128 off, v[8:11], s40
	s_wait_dscnt 0x4
	scratch_store_b128 off, v[12:15], s40 offset:16
	s_wait_dscnt 0x2
	flat_store_b128 v16, v[20:23], s[0:1] offset:16
	s_wait_dscnt 0x1
	s_clause 0x2
	flat_store_b128 v16, v[24:27], s[0:1]
	flat_store_b128 v16, v[0:3], s[0:1] offset:8192
	flat_store_b128 v16, v[4:7], s[0:1] offset:8208
.LBB2184_451:
	s_wait_xcnt 0x0
	s_delay_alu instid0(VALU_DEP_1)
	s_and_saveexec_b32 s3, s2
	s_cbranch_execnz .LBB2184_453
; %bb.452:
	s_endpgm
.LBB2184_453:
	scratch_load_b128 v[0:3], off, s40
	v_lshlrev_b32_e32 v4, 5, v18
	s_wait_loadcnt 0x0
	flat_store_b128 v4, v[0:3], s[0:1] offset:16384
	scratch_load_b128 v[0:3], off, s40 offset:16
	s_wait_loadcnt 0x0
	flat_store_b128 v4, v[0:3], s[0:1] offset:16400
	s_endpgm
	.section	.rodata,"a",@progbits
	.p2align	6, 0x0
	.amdhsa_kernel _ZN7rocprim17ROCPRIM_400000_NS6detail17trampoline_kernelINS0_14default_configENS1_27scan_by_key_config_selectorIj11FixedVectorIiLj8EEEEZZNS1_16scan_by_key_implILNS1_25lookback_scan_determinismE0ELb1ES3_N6thrust23THRUST_200600_302600_NS6detail15normal_iteratorINSB_10device_ptrIjEEEENSD_INSE_IS6_EEEESI_S6_NSB_4plusIvEENSB_8equal_toIvEES6_EE10hipError_tPvRmT2_T3_T4_T5_mT6_T7_P12ihipStream_tbENKUlT_T0_E_clISt17integral_constantIbLb0EES12_IbLb1EEEEDaSY_SZ_EUlSY_E_NS1_11comp_targetILNS1_3genE0ELNS1_11target_archE4294967295ELNS1_3gpuE0ELNS1_3repE0EEENS1_30default_config_static_selectorELNS0_4arch9wavefront6targetE0EEEvT1_
		.amdhsa_group_segment_fixed_size 33792
		.amdhsa_private_segment_fixed_size 432
		.amdhsa_kernarg_size 160
		.amdhsa_user_sgpr_count 4
		.amdhsa_user_sgpr_dispatch_ptr 1
		.amdhsa_user_sgpr_queue_ptr 0
		.amdhsa_user_sgpr_kernarg_segment_ptr 1
		.amdhsa_user_sgpr_dispatch_id 0
		.amdhsa_user_sgpr_kernarg_preload_length 0
		.amdhsa_user_sgpr_kernarg_preload_offset 0
		.amdhsa_user_sgpr_private_segment_size 0
		.amdhsa_wavefront_size32 1
		.amdhsa_uses_dynamic_stack 0
		.amdhsa_enable_private_segment 1
		.amdhsa_system_sgpr_workgroup_id_x 1
		.amdhsa_system_sgpr_workgroup_id_y 0
		.amdhsa_system_sgpr_workgroup_id_z 0
		.amdhsa_system_sgpr_workgroup_info 0
		.amdhsa_system_vgpr_workitem_id 2
		.amdhsa_next_free_vgpr 47
		.amdhsa_next_free_sgpr 52
		.amdhsa_named_barrier_count 0
		.amdhsa_reserve_vcc 1
		.amdhsa_float_round_mode_32 0
		.amdhsa_float_round_mode_16_64 0
		.amdhsa_float_denorm_mode_32 3
		.amdhsa_float_denorm_mode_16_64 3
		.amdhsa_fp16_overflow 0
		.amdhsa_memory_ordered 1
		.amdhsa_forward_progress 1
		.amdhsa_inst_pref_size 200
		.amdhsa_round_robin_scheduling 0
		.amdhsa_exception_fp_ieee_invalid_op 0
		.amdhsa_exception_fp_denorm_src 0
		.amdhsa_exception_fp_ieee_div_zero 0
		.amdhsa_exception_fp_ieee_overflow 0
		.amdhsa_exception_fp_ieee_underflow 0
		.amdhsa_exception_fp_ieee_inexact 0
		.amdhsa_exception_int_div_zero 0
	.end_amdhsa_kernel
	.section	.text._ZN7rocprim17ROCPRIM_400000_NS6detail17trampoline_kernelINS0_14default_configENS1_27scan_by_key_config_selectorIj11FixedVectorIiLj8EEEEZZNS1_16scan_by_key_implILNS1_25lookback_scan_determinismE0ELb1ES3_N6thrust23THRUST_200600_302600_NS6detail15normal_iteratorINSB_10device_ptrIjEEEENSD_INSE_IS6_EEEESI_S6_NSB_4plusIvEENSB_8equal_toIvEES6_EE10hipError_tPvRmT2_T3_T4_T5_mT6_T7_P12ihipStream_tbENKUlT_T0_E_clISt17integral_constantIbLb0EES12_IbLb1EEEEDaSY_SZ_EUlSY_E_NS1_11comp_targetILNS1_3genE0ELNS1_11target_archE4294967295ELNS1_3gpuE0ELNS1_3repE0EEENS1_30default_config_static_selectorELNS0_4arch9wavefront6targetE0EEEvT1_,"axG",@progbits,_ZN7rocprim17ROCPRIM_400000_NS6detail17trampoline_kernelINS0_14default_configENS1_27scan_by_key_config_selectorIj11FixedVectorIiLj8EEEEZZNS1_16scan_by_key_implILNS1_25lookback_scan_determinismE0ELb1ES3_N6thrust23THRUST_200600_302600_NS6detail15normal_iteratorINSB_10device_ptrIjEEEENSD_INSE_IS6_EEEESI_S6_NSB_4plusIvEENSB_8equal_toIvEES6_EE10hipError_tPvRmT2_T3_T4_T5_mT6_T7_P12ihipStream_tbENKUlT_T0_E_clISt17integral_constantIbLb0EES12_IbLb1EEEEDaSY_SZ_EUlSY_E_NS1_11comp_targetILNS1_3genE0ELNS1_11target_archE4294967295ELNS1_3gpuE0ELNS1_3repE0EEENS1_30default_config_static_selectorELNS0_4arch9wavefront6targetE0EEEvT1_,comdat
.Lfunc_end2184:
	.size	_ZN7rocprim17ROCPRIM_400000_NS6detail17trampoline_kernelINS0_14default_configENS1_27scan_by_key_config_selectorIj11FixedVectorIiLj8EEEEZZNS1_16scan_by_key_implILNS1_25lookback_scan_determinismE0ELb1ES3_N6thrust23THRUST_200600_302600_NS6detail15normal_iteratorINSB_10device_ptrIjEEEENSD_INSE_IS6_EEEESI_S6_NSB_4plusIvEENSB_8equal_toIvEES6_EE10hipError_tPvRmT2_T3_T4_T5_mT6_T7_P12ihipStream_tbENKUlT_T0_E_clISt17integral_constantIbLb0EES12_IbLb1EEEEDaSY_SZ_EUlSY_E_NS1_11comp_targetILNS1_3genE0ELNS1_11target_archE4294967295ELNS1_3gpuE0ELNS1_3repE0EEENS1_30default_config_static_selectorELNS0_4arch9wavefront6targetE0EEEvT1_, .Lfunc_end2184-_ZN7rocprim17ROCPRIM_400000_NS6detail17trampoline_kernelINS0_14default_configENS1_27scan_by_key_config_selectorIj11FixedVectorIiLj8EEEEZZNS1_16scan_by_key_implILNS1_25lookback_scan_determinismE0ELb1ES3_N6thrust23THRUST_200600_302600_NS6detail15normal_iteratorINSB_10device_ptrIjEEEENSD_INSE_IS6_EEEESI_S6_NSB_4plusIvEENSB_8equal_toIvEES6_EE10hipError_tPvRmT2_T3_T4_T5_mT6_T7_P12ihipStream_tbENKUlT_T0_E_clISt17integral_constantIbLb0EES12_IbLb1EEEEDaSY_SZ_EUlSY_E_NS1_11comp_targetILNS1_3genE0ELNS1_11target_archE4294967295ELNS1_3gpuE0ELNS1_3repE0EEENS1_30default_config_static_selectorELNS0_4arch9wavefront6targetE0EEEvT1_
                                        ; -- End function
	.set _ZN7rocprim17ROCPRIM_400000_NS6detail17trampoline_kernelINS0_14default_configENS1_27scan_by_key_config_selectorIj11FixedVectorIiLj8EEEEZZNS1_16scan_by_key_implILNS1_25lookback_scan_determinismE0ELb1ES3_N6thrust23THRUST_200600_302600_NS6detail15normal_iteratorINSB_10device_ptrIjEEEENSD_INSE_IS6_EEEESI_S6_NSB_4plusIvEENSB_8equal_toIvEES6_EE10hipError_tPvRmT2_T3_T4_T5_mT6_T7_P12ihipStream_tbENKUlT_T0_E_clISt17integral_constantIbLb0EES12_IbLb1EEEEDaSY_SZ_EUlSY_E_NS1_11comp_targetILNS1_3genE0ELNS1_11target_archE4294967295ELNS1_3gpuE0ELNS1_3repE0EEENS1_30default_config_static_selectorELNS0_4arch9wavefront6targetE0EEEvT1_.num_vgpr, 47
	.set _ZN7rocprim17ROCPRIM_400000_NS6detail17trampoline_kernelINS0_14default_configENS1_27scan_by_key_config_selectorIj11FixedVectorIiLj8EEEEZZNS1_16scan_by_key_implILNS1_25lookback_scan_determinismE0ELb1ES3_N6thrust23THRUST_200600_302600_NS6detail15normal_iteratorINSB_10device_ptrIjEEEENSD_INSE_IS6_EEEESI_S6_NSB_4plusIvEENSB_8equal_toIvEES6_EE10hipError_tPvRmT2_T3_T4_T5_mT6_T7_P12ihipStream_tbENKUlT_T0_E_clISt17integral_constantIbLb0EES12_IbLb1EEEEDaSY_SZ_EUlSY_E_NS1_11comp_targetILNS1_3genE0ELNS1_11target_archE4294967295ELNS1_3gpuE0ELNS1_3repE0EEENS1_30default_config_static_selectorELNS0_4arch9wavefront6targetE0EEEvT1_.num_agpr, 0
	.set _ZN7rocprim17ROCPRIM_400000_NS6detail17trampoline_kernelINS0_14default_configENS1_27scan_by_key_config_selectorIj11FixedVectorIiLj8EEEEZZNS1_16scan_by_key_implILNS1_25lookback_scan_determinismE0ELb1ES3_N6thrust23THRUST_200600_302600_NS6detail15normal_iteratorINSB_10device_ptrIjEEEENSD_INSE_IS6_EEEESI_S6_NSB_4plusIvEENSB_8equal_toIvEES6_EE10hipError_tPvRmT2_T3_T4_T5_mT6_T7_P12ihipStream_tbENKUlT_T0_E_clISt17integral_constantIbLb0EES12_IbLb1EEEEDaSY_SZ_EUlSY_E_NS1_11comp_targetILNS1_3genE0ELNS1_11target_archE4294967295ELNS1_3gpuE0ELNS1_3repE0EEENS1_30default_config_static_selectorELNS0_4arch9wavefront6targetE0EEEvT1_.numbered_sgpr, 52
	.set _ZN7rocprim17ROCPRIM_400000_NS6detail17trampoline_kernelINS0_14default_configENS1_27scan_by_key_config_selectorIj11FixedVectorIiLj8EEEEZZNS1_16scan_by_key_implILNS1_25lookback_scan_determinismE0ELb1ES3_N6thrust23THRUST_200600_302600_NS6detail15normal_iteratorINSB_10device_ptrIjEEEENSD_INSE_IS6_EEEESI_S6_NSB_4plusIvEENSB_8equal_toIvEES6_EE10hipError_tPvRmT2_T3_T4_T5_mT6_T7_P12ihipStream_tbENKUlT_T0_E_clISt17integral_constantIbLb0EES12_IbLb1EEEEDaSY_SZ_EUlSY_E_NS1_11comp_targetILNS1_3genE0ELNS1_11target_archE4294967295ELNS1_3gpuE0ELNS1_3repE0EEENS1_30default_config_static_selectorELNS0_4arch9wavefront6targetE0EEEvT1_.num_named_barrier, 0
	.set _ZN7rocprim17ROCPRIM_400000_NS6detail17trampoline_kernelINS0_14default_configENS1_27scan_by_key_config_selectorIj11FixedVectorIiLj8EEEEZZNS1_16scan_by_key_implILNS1_25lookback_scan_determinismE0ELb1ES3_N6thrust23THRUST_200600_302600_NS6detail15normal_iteratorINSB_10device_ptrIjEEEENSD_INSE_IS6_EEEESI_S6_NSB_4plusIvEENSB_8equal_toIvEES6_EE10hipError_tPvRmT2_T3_T4_T5_mT6_T7_P12ihipStream_tbENKUlT_T0_E_clISt17integral_constantIbLb0EES12_IbLb1EEEEDaSY_SZ_EUlSY_E_NS1_11comp_targetILNS1_3genE0ELNS1_11target_archE4294967295ELNS1_3gpuE0ELNS1_3repE0EEENS1_30default_config_static_selectorELNS0_4arch9wavefront6targetE0EEEvT1_.private_seg_size, 432
	.set _ZN7rocprim17ROCPRIM_400000_NS6detail17trampoline_kernelINS0_14default_configENS1_27scan_by_key_config_selectorIj11FixedVectorIiLj8EEEEZZNS1_16scan_by_key_implILNS1_25lookback_scan_determinismE0ELb1ES3_N6thrust23THRUST_200600_302600_NS6detail15normal_iteratorINSB_10device_ptrIjEEEENSD_INSE_IS6_EEEESI_S6_NSB_4plusIvEENSB_8equal_toIvEES6_EE10hipError_tPvRmT2_T3_T4_T5_mT6_T7_P12ihipStream_tbENKUlT_T0_E_clISt17integral_constantIbLb0EES12_IbLb1EEEEDaSY_SZ_EUlSY_E_NS1_11comp_targetILNS1_3genE0ELNS1_11target_archE4294967295ELNS1_3gpuE0ELNS1_3repE0EEENS1_30default_config_static_selectorELNS0_4arch9wavefront6targetE0EEEvT1_.uses_vcc, 1
	.set _ZN7rocprim17ROCPRIM_400000_NS6detail17trampoline_kernelINS0_14default_configENS1_27scan_by_key_config_selectorIj11FixedVectorIiLj8EEEEZZNS1_16scan_by_key_implILNS1_25lookback_scan_determinismE0ELb1ES3_N6thrust23THRUST_200600_302600_NS6detail15normal_iteratorINSB_10device_ptrIjEEEENSD_INSE_IS6_EEEESI_S6_NSB_4plusIvEENSB_8equal_toIvEES6_EE10hipError_tPvRmT2_T3_T4_T5_mT6_T7_P12ihipStream_tbENKUlT_T0_E_clISt17integral_constantIbLb0EES12_IbLb1EEEEDaSY_SZ_EUlSY_E_NS1_11comp_targetILNS1_3genE0ELNS1_11target_archE4294967295ELNS1_3gpuE0ELNS1_3repE0EEENS1_30default_config_static_selectorELNS0_4arch9wavefront6targetE0EEEvT1_.uses_flat_scratch, 1
	.set _ZN7rocprim17ROCPRIM_400000_NS6detail17trampoline_kernelINS0_14default_configENS1_27scan_by_key_config_selectorIj11FixedVectorIiLj8EEEEZZNS1_16scan_by_key_implILNS1_25lookback_scan_determinismE0ELb1ES3_N6thrust23THRUST_200600_302600_NS6detail15normal_iteratorINSB_10device_ptrIjEEEENSD_INSE_IS6_EEEESI_S6_NSB_4plusIvEENSB_8equal_toIvEES6_EE10hipError_tPvRmT2_T3_T4_T5_mT6_T7_P12ihipStream_tbENKUlT_T0_E_clISt17integral_constantIbLb0EES12_IbLb1EEEEDaSY_SZ_EUlSY_E_NS1_11comp_targetILNS1_3genE0ELNS1_11target_archE4294967295ELNS1_3gpuE0ELNS1_3repE0EEENS1_30default_config_static_selectorELNS0_4arch9wavefront6targetE0EEEvT1_.has_dyn_sized_stack, 0
	.set _ZN7rocprim17ROCPRIM_400000_NS6detail17trampoline_kernelINS0_14default_configENS1_27scan_by_key_config_selectorIj11FixedVectorIiLj8EEEEZZNS1_16scan_by_key_implILNS1_25lookback_scan_determinismE0ELb1ES3_N6thrust23THRUST_200600_302600_NS6detail15normal_iteratorINSB_10device_ptrIjEEEENSD_INSE_IS6_EEEESI_S6_NSB_4plusIvEENSB_8equal_toIvEES6_EE10hipError_tPvRmT2_T3_T4_T5_mT6_T7_P12ihipStream_tbENKUlT_T0_E_clISt17integral_constantIbLb0EES12_IbLb1EEEEDaSY_SZ_EUlSY_E_NS1_11comp_targetILNS1_3genE0ELNS1_11target_archE4294967295ELNS1_3gpuE0ELNS1_3repE0EEENS1_30default_config_static_selectorELNS0_4arch9wavefront6targetE0EEEvT1_.has_recursion, 0
	.set _ZN7rocprim17ROCPRIM_400000_NS6detail17trampoline_kernelINS0_14default_configENS1_27scan_by_key_config_selectorIj11FixedVectorIiLj8EEEEZZNS1_16scan_by_key_implILNS1_25lookback_scan_determinismE0ELb1ES3_N6thrust23THRUST_200600_302600_NS6detail15normal_iteratorINSB_10device_ptrIjEEEENSD_INSE_IS6_EEEESI_S6_NSB_4plusIvEENSB_8equal_toIvEES6_EE10hipError_tPvRmT2_T3_T4_T5_mT6_T7_P12ihipStream_tbENKUlT_T0_E_clISt17integral_constantIbLb0EES12_IbLb1EEEEDaSY_SZ_EUlSY_E_NS1_11comp_targetILNS1_3genE0ELNS1_11target_archE4294967295ELNS1_3gpuE0ELNS1_3repE0EEENS1_30default_config_static_selectorELNS0_4arch9wavefront6targetE0EEEvT1_.has_indirect_call, 0
	.section	.AMDGPU.csdata,"",@progbits
; Kernel info:
; codeLenInByte = 25592
; TotalNumSgprs: 54
; NumVgprs: 47
; ScratchSize: 432
; MemoryBound: 1
; FloatMode: 240
; IeeeMode: 1
; LDSByteSize: 33792 bytes/workgroup (compile time only)
; SGPRBlocks: 0
; VGPRBlocks: 2
; NumSGPRsForWavesPerEU: 54
; NumVGPRsForWavesPerEU: 47
; NamedBarCnt: 0
; Occupancy: 16
; WaveLimiterHint : 1
; COMPUTE_PGM_RSRC2:SCRATCH_EN: 1
; COMPUTE_PGM_RSRC2:USER_SGPR: 4
; COMPUTE_PGM_RSRC2:TRAP_HANDLER: 0
; COMPUTE_PGM_RSRC2:TGID_X_EN: 1
; COMPUTE_PGM_RSRC2:TGID_Y_EN: 0
; COMPUTE_PGM_RSRC2:TGID_Z_EN: 0
; COMPUTE_PGM_RSRC2:TIDIG_COMP_CNT: 2
	.section	.text._ZN7rocprim17ROCPRIM_400000_NS6detail17trampoline_kernelINS0_14default_configENS1_27scan_by_key_config_selectorIj11FixedVectorIiLj8EEEEZZNS1_16scan_by_key_implILNS1_25lookback_scan_determinismE0ELb1ES3_N6thrust23THRUST_200600_302600_NS6detail15normal_iteratorINSB_10device_ptrIjEEEENSD_INSE_IS6_EEEESI_S6_NSB_4plusIvEENSB_8equal_toIvEES6_EE10hipError_tPvRmT2_T3_T4_T5_mT6_T7_P12ihipStream_tbENKUlT_T0_E_clISt17integral_constantIbLb0EES12_IbLb1EEEEDaSY_SZ_EUlSY_E_NS1_11comp_targetILNS1_3genE10ELNS1_11target_archE1201ELNS1_3gpuE5ELNS1_3repE0EEENS1_30default_config_static_selectorELNS0_4arch9wavefront6targetE0EEEvT1_,"axG",@progbits,_ZN7rocprim17ROCPRIM_400000_NS6detail17trampoline_kernelINS0_14default_configENS1_27scan_by_key_config_selectorIj11FixedVectorIiLj8EEEEZZNS1_16scan_by_key_implILNS1_25lookback_scan_determinismE0ELb1ES3_N6thrust23THRUST_200600_302600_NS6detail15normal_iteratorINSB_10device_ptrIjEEEENSD_INSE_IS6_EEEESI_S6_NSB_4plusIvEENSB_8equal_toIvEES6_EE10hipError_tPvRmT2_T3_T4_T5_mT6_T7_P12ihipStream_tbENKUlT_T0_E_clISt17integral_constantIbLb0EES12_IbLb1EEEEDaSY_SZ_EUlSY_E_NS1_11comp_targetILNS1_3genE10ELNS1_11target_archE1201ELNS1_3gpuE5ELNS1_3repE0EEENS1_30default_config_static_selectorELNS0_4arch9wavefront6targetE0EEEvT1_,comdat
	.protected	_ZN7rocprim17ROCPRIM_400000_NS6detail17trampoline_kernelINS0_14default_configENS1_27scan_by_key_config_selectorIj11FixedVectorIiLj8EEEEZZNS1_16scan_by_key_implILNS1_25lookback_scan_determinismE0ELb1ES3_N6thrust23THRUST_200600_302600_NS6detail15normal_iteratorINSB_10device_ptrIjEEEENSD_INSE_IS6_EEEESI_S6_NSB_4plusIvEENSB_8equal_toIvEES6_EE10hipError_tPvRmT2_T3_T4_T5_mT6_T7_P12ihipStream_tbENKUlT_T0_E_clISt17integral_constantIbLb0EES12_IbLb1EEEEDaSY_SZ_EUlSY_E_NS1_11comp_targetILNS1_3genE10ELNS1_11target_archE1201ELNS1_3gpuE5ELNS1_3repE0EEENS1_30default_config_static_selectorELNS0_4arch9wavefront6targetE0EEEvT1_ ; -- Begin function _ZN7rocprim17ROCPRIM_400000_NS6detail17trampoline_kernelINS0_14default_configENS1_27scan_by_key_config_selectorIj11FixedVectorIiLj8EEEEZZNS1_16scan_by_key_implILNS1_25lookback_scan_determinismE0ELb1ES3_N6thrust23THRUST_200600_302600_NS6detail15normal_iteratorINSB_10device_ptrIjEEEENSD_INSE_IS6_EEEESI_S6_NSB_4plusIvEENSB_8equal_toIvEES6_EE10hipError_tPvRmT2_T3_T4_T5_mT6_T7_P12ihipStream_tbENKUlT_T0_E_clISt17integral_constantIbLb0EES12_IbLb1EEEEDaSY_SZ_EUlSY_E_NS1_11comp_targetILNS1_3genE10ELNS1_11target_archE1201ELNS1_3gpuE5ELNS1_3repE0EEENS1_30default_config_static_selectorELNS0_4arch9wavefront6targetE0EEEvT1_
	.globl	_ZN7rocprim17ROCPRIM_400000_NS6detail17trampoline_kernelINS0_14default_configENS1_27scan_by_key_config_selectorIj11FixedVectorIiLj8EEEEZZNS1_16scan_by_key_implILNS1_25lookback_scan_determinismE0ELb1ES3_N6thrust23THRUST_200600_302600_NS6detail15normal_iteratorINSB_10device_ptrIjEEEENSD_INSE_IS6_EEEESI_S6_NSB_4plusIvEENSB_8equal_toIvEES6_EE10hipError_tPvRmT2_T3_T4_T5_mT6_T7_P12ihipStream_tbENKUlT_T0_E_clISt17integral_constantIbLb0EES12_IbLb1EEEEDaSY_SZ_EUlSY_E_NS1_11comp_targetILNS1_3genE10ELNS1_11target_archE1201ELNS1_3gpuE5ELNS1_3repE0EEENS1_30default_config_static_selectorELNS0_4arch9wavefront6targetE0EEEvT1_
	.p2align	8
	.type	_ZN7rocprim17ROCPRIM_400000_NS6detail17trampoline_kernelINS0_14default_configENS1_27scan_by_key_config_selectorIj11FixedVectorIiLj8EEEEZZNS1_16scan_by_key_implILNS1_25lookback_scan_determinismE0ELb1ES3_N6thrust23THRUST_200600_302600_NS6detail15normal_iteratorINSB_10device_ptrIjEEEENSD_INSE_IS6_EEEESI_S6_NSB_4plusIvEENSB_8equal_toIvEES6_EE10hipError_tPvRmT2_T3_T4_T5_mT6_T7_P12ihipStream_tbENKUlT_T0_E_clISt17integral_constantIbLb0EES12_IbLb1EEEEDaSY_SZ_EUlSY_E_NS1_11comp_targetILNS1_3genE10ELNS1_11target_archE1201ELNS1_3gpuE5ELNS1_3repE0EEENS1_30default_config_static_selectorELNS0_4arch9wavefront6targetE0EEEvT1_,@function
_ZN7rocprim17ROCPRIM_400000_NS6detail17trampoline_kernelINS0_14default_configENS1_27scan_by_key_config_selectorIj11FixedVectorIiLj8EEEEZZNS1_16scan_by_key_implILNS1_25lookback_scan_determinismE0ELb1ES3_N6thrust23THRUST_200600_302600_NS6detail15normal_iteratorINSB_10device_ptrIjEEEENSD_INSE_IS6_EEEESI_S6_NSB_4plusIvEENSB_8equal_toIvEES6_EE10hipError_tPvRmT2_T3_T4_T5_mT6_T7_P12ihipStream_tbENKUlT_T0_E_clISt17integral_constantIbLb0EES12_IbLb1EEEEDaSY_SZ_EUlSY_E_NS1_11comp_targetILNS1_3genE10ELNS1_11target_archE1201ELNS1_3gpuE5ELNS1_3repE0EEENS1_30default_config_static_selectorELNS0_4arch9wavefront6targetE0EEEvT1_: ; @_ZN7rocprim17ROCPRIM_400000_NS6detail17trampoline_kernelINS0_14default_configENS1_27scan_by_key_config_selectorIj11FixedVectorIiLj8EEEEZZNS1_16scan_by_key_implILNS1_25lookback_scan_determinismE0ELb1ES3_N6thrust23THRUST_200600_302600_NS6detail15normal_iteratorINSB_10device_ptrIjEEEENSD_INSE_IS6_EEEESI_S6_NSB_4plusIvEENSB_8equal_toIvEES6_EE10hipError_tPvRmT2_T3_T4_T5_mT6_T7_P12ihipStream_tbENKUlT_T0_E_clISt17integral_constantIbLb0EES12_IbLb1EEEEDaSY_SZ_EUlSY_E_NS1_11comp_targetILNS1_3genE10ELNS1_11target_archE1201ELNS1_3gpuE5ELNS1_3repE0EEENS1_30default_config_static_selectorELNS0_4arch9wavefront6targetE0EEEvT1_
; %bb.0:
	.section	.rodata,"a",@progbits
	.p2align	6, 0x0
	.amdhsa_kernel _ZN7rocprim17ROCPRIM_400000_NS6detail17trampoline_kernelINS0_14default_configENS1_27scan_by_key_config_selectorIj11FixedVectorIiLj8EEEEZZNS1_16scan_by_key_implILNS1_25lookback_scan_determinismE0ELb1ES3_N6thrust23THRUST_200600_302600_NS6detail15normal_iteratorINSB_10device_ptrIjEEEENSD_INSE_IS6_EEEESI_S6_NSB_4plusIvEENSB_8equal_toIvEES6_EE10hipError_tPvRmT2_T3_T4_T5_mT6_T7_P12ihipStream_tbENKUlT_T0_E_clISt17integral_constantIbLb0EES12_IbLb1EEEEDaSY_SZ_EUlSY_E_NS1_11comp_targetILNS1_3genE10ELNS1_11target_archE1201ELNS1_3gpuE5ELNS1_3repE0EEENS1_30default_config_static_selectorELNS0_4arch9wavefront6targetE0EEEvT1_
		.amdhsa_group_segment_fixed_size 0
		.amdhsa_private_segment_fixed_size 0
		.amdhsa_kernarg_size 160
		.amdhsa_user_sgpr_count 2
		.amdhsa_user_sgpr_dispatch_ptr 0
		.amdhsa_user_sgpr_queue_ptr 0
		.amdhsa_user_sgpr_kernarg_segment_ptr 1
		.amdhsa_user_sgpr_dispatch_id 0
		.amdhsa_user_sgpr_kernarg_preload_length 0
		.amdhsa_user_sgpr_kernarg_preload_offset 0
		.amdhsa_user_sgpr_private_segment_size 0
		.amdhsa_wavefront_size32 1
		.amdhsa_uses_dynamic_stack 0
		.amdhsa_enable_private_segment 0
		.amdhsa_system_sgpr_workgroup_id_x 1
		.amdhsa_system_sgpr_workgroup_id_y 0
		.amdhsa_system_sgpr_workgroup_id_z 0
		.amdhsa_system_sgpr_workgroup_info 0
		.amdhsa_system_vgpr_workitem_id 0
		.amdhsa_next_free_vgpr 1
		.amdhsa_next_free_sgpr 1
		.amdhsa_named_barrier_count 0
		.amdhsa_reserve_vcc 0
		.amdhsa_float_round_mode_32 0
		.amdhsa_float_round_mode_16_64 0
		.amdhsa_float_denorm_mode_32 3
		.amdhsa_float_denorm_mode_16_64 3
		.amdhsa_fp16_overflow 0
		.amdhsa_memory_ordered 1
		.amdhsa_forward_progress 1
		.amdhsa_inst_pref_size 0
		.amdhsa_round_robin_scheduling 0
		.amdhsa_exception_fp_ieee_invalid_op 0
		.amdhsa_exception_fp_denorm_src 0
		.amdhsa_exception_fp_ieee_div_zero 0
		.amdhsa_exception_fp_ieee_overflow 0
		.amdhsa_exception_fp_ieee_underflow 0
		.amdhsa_exception_fp_ieee_inexact 0
		.amdhsa_exception_int_div_zero 0
	.end_amdhsa_kernel
	.section	.text._ZN7rocprim17ROCPRIM_400000_NS6detail17trampoline_kernelINS0_14default_configENS1_27scan_by_key_config_selectorIj11FixedVectorIiLj8EEEEZZNS1_16scan_by_key_implILNS1_25lookback_scan_determinismE0ELb1ES3_N6thrust23THRUST_200600_302600_NS6detail15normal_iteratorINSB_10device_ptrIjEEEENSD_INSE_IS6_EEEESI_S6_NSB_4plusIvEENSB_8equal_toIvEES6_EE10hipError_tPvRmT2_T3_T4_T5_mT6_T7_P12ihipStream_tbENKUlT_T0_E_clISt17integral_constantIbLb0EES12_IbLb1EEEEDaSY_SZ_EUlSY_E_NS1_11comp_targetILNS1_3genE10ELNS1_11target_archE1201ELNS1_3gpuE5ELNS1_3repE0EEENS1_30default_config_static_selectorELNS0_4arch9wavefront6targetE0EEEvT1_,"axG",@progbits,_ZN7rocprim17ROCPRIM_400000_NS6detail17trampoline_kernelINS0_14default_configENS1_27scan_by_key_config_selectorIj11FixedVectorIiLj8EEEEZZNS1_16scan_by_key_implILNS1_25lookback_scan_determinismE0ELb1ES3_N6thrust23THRUST_200600_302600_NS6detail15normal_iteratorINSB_10device_ptrIjEEEENSD_INSE_IS6_EEEESI_S6_NSB_4plusIvEENSB_8equal_toIvEES6_EE10hipError_tPvRmT2_T3_T4_T5_mT6_T7_P12ihipStream_tbENKUlT_T0_E_clISt17integral_constantIbLb0EES12_IbLb1EEEEDaSY_SZ_EUlSY_E_NS1_11comp_targetILNS1_3genE10ELNS1_11target_archE1201ELNS1_3gpuE5ELNS1_3repE0EEENS1_30default_config_static_selectorELNS0_4arch9wavefront6targetE0EEEvT1_,comdat
.Lfunc_end2185:
	.size	_ZN7rocprim17ROCPRIM_400000_NS6detail17trampoline_kernelINS0_14default_configENS1_27scan_by_key_config_selectorIj11FixedVectorIiLj8EEEEZZNS1_16scan_by_key_implILNS1_25lookback_scan_determinismE0ELb1ES3_N6thrust23THRUST_200600_302600_NS6detail15normal_iteratorINSB_10device_ptrIjEEEENSD_INSE_IS6_EEEESI_S6_NSB_4plusIvEENSB_8equal_toIvEES6_EE10hipError_tPvRmT2_T3_T4_T5_mT6_T7_P12ihipStream_tbENKUlT_T0_E_clISt17integral_constantIbLb0EES12_IbLb1EEEEDaSY_SZ_EUlSY_E_NS1_11comp_targetILNS1_3genE10ELNS1_11target_archE1201ELNS1_3gpuE5ELNS1_3repE0EEENS1_30default_config_static_selectorELNS0_4arch9wavefront6targetE0EEEvT1_, .Lfunc_end2185-_ZN7rocprim17ROCPRIM_400000_NS6detail17trampoline_kernelINS0_14default_configENS1_27scan_by_key_config_selectorIj11FixedVectorIiLj8EEEEZZNS1_16scan_by_key_implILNS1_25lookback_scan_determinismE0ELb1ES3_N6thrust23THRUST_200600_302600_NS6detail15normal_iteratorINSB_10device_ptrIjEEEENSD_INSE_IS6_EEEESI_S6_NSB_4plusIvEENSB_8equal_toIvEES6_EE10hipError_tPvRmT2_T3_T4_T5_mT6_T7_P12ihipStream_tbENKUlT_T0_E_clISt17integral_constantIbLb0EES12_IbLb1EEEEDaSY_SZ_EUlSY_E_NS1_11comp_targetILNS1_3genE10ELNS1_11target_archE1201ELNS1_3gpuE5ELNS1_3repE0EEENS1_30default_config_static_selectorELNS0_4arch9wavefront6targetE0EEEvT1_
                                        ; -- End function
	.set _ZN7rocprim17ROCPRIM_400000_NS6detail17trampoline_kernelINS0_14default_configENS1_27scan_by_key_config_selectorIj11FixedVectorIiLj8EEEEZZNS1_16scan_by_key_implILNS1_25lookback_scan_determinismE0ELb1ES3_N6thrust23THRUST_200600_302600_NS6detail15normal_iteratorINSB_10device_ptrIjEEEENSD_INSE_IS6_EEEESI_S6_NSB_4plusIvEENSB_8equal_toIvEES6_EE10hipError_tPvRmT2_T3_T4_T5_mT6_T7_P12ihipStream_tbENKUlT_T0_E_clISt17integral_constantIbLb0EES12_IbLb1EEEEDaSY_SZ_EUlSY_E_NS1_11comp_targetILNS1_3genE10ELNS1_11target_archE1201ELNS1_3gpuE5ELNS1_3repE0EEENS1_30default_config_static_selectorELNS0_4arch9wavefront6targetE0EEEvT1_.num_vgpr, 0
	.set _ZN7rocprim17ROCPRIM_400000_NS6detail17trampoline_kernelINS0_14default_configENS1_27scan_by_key_config_selectorIj11FixedVectorIiLj8EEEEZZNS1_16scan_by_key_implILNS1_25lookback_scan_determinismE0ELb1ES3_N6thrust23THRUST_200600_302600_NS6detail15normal_iteratorINSB_10device_ptrIjEEEENSD_INSE_IS6_EEEESI_S6_NSB_4plusIvEENSB_8equal_toIvEES6_EE10hipError_tPvRmT2_T3_T4_T5_mT6_T7_P12ihipStream_tbENKUlT_T0_E_clISt17integral_constantIbLb0EES12_IbLb1EEEEDaSY_SZ_EUlSY_E_NS1_11comp_targetILNS1_3genE10ELNS1_11target_archE1201ELNS1_3gpuE5ELNS1_3repE0EEENS1_30default_config_static_selectorELNS0_4arch9wavefront6targetE0EEEvT1_.num_agpr, 0
	.set _ZN7rocprim17ROCPRIM_400000_NS6detail17trampoline_kernelINS0_14default_configENS1_27scan_by_key_config_selectorIj11FixedVectorIiLj8EEEEZZNS1_16scan_by_key_implILNS1_25lookback_scan_determinismE0ELb1ES3_N6thrust23THRUST_200600_302600_NS6detail15normal_iteratorINSB_10device_ptrIjEEEENSD_INSE_IS6_EEEESI_S6_NSB_4plusIvEENSB_8equal_toIvEES6_EE10hipError_tPvRmT2_T3_T4_T5_mT6_T7_P12ihipStream_tbENKUlT_T0_E_clISt17integral_constantIbLb0EES12_IbLb1EEEEDaSY_SZ_EUlSY_E_NS1_11comp_targetILNS1_3genE10ELNS1_11target_archE1201ELNS1_3gpuE5ELNS1_3repE0EEENS1_30default_config_static_selectorELNS0_4arch9wavefront6targetE0EEEvT1_.numbered_sgpr, 0
	.set _ZN7rocprim17ROCPRIM_400000_NS6detail17trampoline_kernelINS0_14default_configENS1_27scan_by_key_config_selectorIj11FixedVectorIiLj8EEEEZZNS1_16scan_by_key_implILNS1_25lookback_scan_determinismE0ELb1ES3_N6thrust23THRUST_200600_302600_NS6detail15normal_iteratorINSB_10device_ptrIjEEEENSD_INSE_IS6_EEEESI_S6_NSB_4plusIvEENSB_8equal_toIvEES6_EE10hipError_tPvRmT2_T3_T4_T5_mT6_T7_P12ihipStream_tbENKUlT_T0_E_clISt17integral_constantIbLb0EES12_IbLb1EEEEDaSY_SZ_EUlSY_E_NS1_11comp_targetILNS1_3genE10ELNS1_11target_archE1201ELNS1_3gpuE5ELNS1_3repE0EEENS1_30default_config_static_selectorELNS0_4arch9wavefront6targetE0EEEvT1_.num_named_barrier, 0
	.set _ZN7rocprim17ROCPRIM_400000_NS6detail17trampoline_kernelINS0_14default_configENS1_27scan_by_key_config_selectorIj11FixedVectorIiLj8EEEEZZNS1_16scan_by_key_implILNS1_25lookback_scan_determinismE0ELb1ES3_N6thrust23THRUST_200600_302600_NS6detail15normal_iteratorINSB_10device_ptrIjEEEENSD_INSE_IS6_EEEESI_S6_NSB_4plusIvEENSB_8equal_toIvEES6_EE10hipError_tPvRmT2_T3_T4_T5_mT6_T7_P12ihipStream_tbENKUlT_T0_E_clISt17integral_constantIbLb0EES12_IbLb1EEEEDaSY_SZ_EUlSY_E_NS1_11comp_targetILNS1_3genE10ELNS1_11target_archE1201ELNS1_3gpuE5ELNS1_3repE0EEENS1_30default_config_static_selectorELNS0_4arch9wavefront6targetE0EEEvT1_.private_seg_size, 0
	.set _ZN7rocprim17ROCPRIM_400000_NS6detail17trampoline_kernelINS0_14default_configENS1_27scan_by_key_config_selectorIj11FixedVectorIiLj8EEEEZZNS1_16scan_by_key_implILNS1_25lookback_scan_determinismE0ELb1ES3_N6thrust23THRUST_200600_302600_NS6detail15normal_iteratorINSB_10device_ptrIjEEEENSD_INSE_IS6_EEEESI_S6_NSB_4plusIvEENSB_8equal_toIvEES6_EE10hipError_tPvRmT2_T3_T4_T5_mT6_T7_P12ihipStream_tbENKUlT_T0_E_clISt17integral_constantIbLb0EES12_IbLb1EEEEDaSY_SZ_EUlSY_E_NS1_11comp_targetILNS1_3genE10ELNS1_11target_archE1201ELNS1_3gpuE5ELNS1_3repE0EEENS1_30default_config_static_selectorELNS0_4arch9wavefront6targetE0EEEvT1_.uses_vcc, 0
	.set _ZN7rocprim17ROCPRIM_400000_NS6detail17trampoline_kernelINS0_14default_configENS1_27scan_by_key_config_selectorIj11FixedVectorIiLj8EEEEZZNS1_16scan_by_key_implILNS1_25lookback_scan_determinismE0ELb1ES3_N6thrust23THRUST_200600_302600_NS6detail15normal_iteratorINSB_10device_ptrIjEEEENSD_INSE_IS6_EEEESI_S6_NSB_4plusIvEENSB_8equal_toIvEES6_EE10hipError_tPvRmT2_T3_T4_T5_mT6_T7_P12ihipStream_tbENKUlT_T0_E_clISt17integral_constantIbLb0EES12_IbLb1EEEEDaSY_SZ_EUlSY_E_NS1_11comp_targetILNS1_3genE10ELNS1_11target_archE1201ELNS1_3gpuE5ELNS1_3repE0EEENS1_30default_config_static_selectorELNS0_4arch9wavefront6targetE0EEEvT1_.uses_flat_scratch, 0
	.set _ZN7rocprim17ROCPRIM_400000_NS6detail17trampoline_kernelINS0_14default_configENS1_27scan_by_key_config_selectorIj11FixedVectorIiLj8EEEEZZNS1_16scan_by_key_implILNS1_25lookback_scan_determinismE0ELb1ES3_N6thrust23THRUST_200600_302600_NS6detail15normal_iteratorINSB_10device_ptrIjEEEENSD_INSE_IS6_EEEESI_S6_NSB_4plusIvEENSB_8equal_toIvEES6_EE10hipError_tPvRmT2_T3_T4_T5_mT6_T7_P12ihipStream_tbENKUlT_T0_E_clISt17integral_constantIbLb0EES12_IbLb1EEEEDaSY_SZ_EUlSY_E_NS1_11comp_targetILNS1_3genE10ELNS1_11target_archE1201ELNS1_3gpuE5ELNS1_3repE0EEENS1_30default_config_static_selectorELNS0_4arch9wavefront6targetE0EEEvT1_.has_dyn_sized_stack, 0
	.set _ZN7rocprim17ROCPRIM_400000_NS6detail17trampoline_kernelINS0_14default_configENS1_27scan_by_key_config_selectorIj11FixedVectorIiLj8EEEEZZNS1_16scan_by_key_implILNS1_25lookback_scan_determinismE0ELb1ES3_N6thrust23THRUST_200600_302600_NS6detail15normal_iteratorINSB_10device_ptrIjEEEENSD_INSE_IS6_EEEESI_S6_NSB_4plusIvEENSB_8equal_toIvEES6_EE10hipError_tPvRmT2_T3_T4_T5_mT6_T7_P12ihipStream_tbENKUlT_T0_E_clISt17integral_constantIbLb0EES12_IbLb1EEEEDaSY_SZ_EUlSY_E_NS1_11comp_targetILNS1_3genE10ELNS1_11target_archE1201ELNS1_3gpuE5ELNS1_3repE0EEENS1_30default_config_static_selectorELNS0_4arch9wavefront6targetE0EEEvT1_.has_recursion, 0
	.set _ZN7rocprim17ROCPRIM_400000_NS6detail17trampoline_kernelINS0_14default_configENS1_27scan_by_key_config_selectorIj11FixedVectorIiLj8EEEEZZNS1_16scan_by_key_implILNS1_25lookback_scan_determinismE0ELb1ES3_N6thrust23THRUST_200600_302600_NS6detail15normal_iteratorINSB_10device_ptrIjEEEENSD_INSE_IS6_EEEESI_S6_NSB_4plusIvEENSB_8equal_toIvEES6_EE10hipError_tPvRmT2_T3_T4_T5_mT6_T7_P12ihipStream_tbENKUlT_T0_E_clISt17integral_constantIbLb0EES12_IbLb1EEEEDaSY_SZ_EUlSY_E_NS1_11comp_targetILNS1_3genE10ELNS1_11target_archE1201ELNS1_3gpuE5ELNS1_3repE0EEENS1_30default_config_static_selectorELNS0_4arch9wavefront6targetE0EEEvT1_.has_indirect_call, 0
	.section	.AMDGPU.csdata,"",@progbits
; Kernel info:
; codeLenInByte = 0
; TotalNumSgprs: 0
; NumVgprs: 0
; ScratchSize: 0
; MemoryBound: 0
; FloatMode: 240
; IeeeMode: 1
; LDSByteSize: 0 bytes/workgroup (compile time only)
; SGPRBlocks: 0
; VGPRBlocks: 0
; NumSGPRsForWavesPerEU: 1
; NumVGPRsForWavesPerEU: 1
; NamedBarCnt: 0
; Occupancy: 16
; WaveLimiterHint : 0
; COMPUTE_PGM_RSRC2:SCRATCH_EN: 0
; COMPUTE_PGM_RSRC2:USER_SGPR: 2
; COMPUTE_PGM_RSRC2:TRAP_HANDLER: 0
; COMPUTE_PGM_RSRC2:TGID_X_EN: 1
; COMPUTE_PGM_RSRC2:TGID_Y_EN: 0
; COMPUTE_PGM_RSRC2:TGID_Z_EN: 0
; COMPUTE_PGM_RSRC2:TIDIG_COMP_CNT: 0
	.section	.text._ZN7rocprim17ROCPRIM_400000_NS6detail17trampoline_kernelINS0_14default_configENS1_27scan_by_key_config_selectorIj11FixedVectorIiLj8EEEEZZNS1_16scan_by_key_implILNS1_25lookback_scan_determinismE0ELb1ES3_N6thrust23THRUST_200600_302600_NS6detail15normal_iteratorINSB_10device_ptrIjEEEENSD_INSE_IS6_EEEESI_S6_NSB_4plusIvEENSB_8equal_toIvEES6_EE10hipError_tPvRmT2_T3_T4_T5_mT6_T7_P12ihipStream_tbENKUlT_T0_E_clISt17integral_constantIbLb0EES12_IbLb1EEEEDaSY_SZ_EUlSY_E_NS1_11comp_targetILNS1_3genE5ELNS1_11target_archE942ELNS1_3gpuE9ELNS1_3repE0EEENS1_30default_config_static_selectorELNS0_4arch9wavefront6targetE0EEEvT1_,"axG",@progbits,_ZN7rocprim17ROCPRIM_400000_NS6detail17trampoline_kernelINS0_14default_configENS1_27scan_by_key_config_selectorIj11FixedVectorIiLj8EEEEZZNS1_16scan_by_key_implILNS1_25lookback_scan_determinismE0ELb1ES3_N6thrust23THRUST_200600_302600_NS6detail15normal_iteratorINSB_10device_ptrIjEEEENSD_INSE_IS6_EEEESI_S6_NSB_4plusIvEENSB_8equal_toIvEES6_EE10hipError_tPvRmT2_T3_T4_T5_mT6_T7_P12ihipStream_tbENKUlT_T0_E_clISt17integral_constantIbLb0EES12_IbLb1EEEEDaSY_SZ_EUlSY_E_NS1_11comp_targetILNS1_3genE5ELNS1_11target_archE942ELNS1_3gpuE9ELNS1_3repE0EEENS1_30default_config_static_selectorELNS0_4arch9wavefront6targetE0EEEvT1_,comdat
	.protected	_ZN7rocprim17ROCPRIM_400000_NS6detail17trampoline_kernelINS0_14default_configENS1_27scan_by_key_config_selectorIj11FixedVectorIiLj8EEEEZZNS1_16scan_by_key_implILNS1_25lookback_scan_determinismE0ELb1ES3_N6thrust23THRUST_200600_302600_NS6detail15normal_iteratorINSB_10device_ptrIjEEEENSD_INSE_IS6_EEEESI_S6_NSB_4plusIvEENSB_8equal_toIvEES6_EE10hipError_tPvRmT2_T3_T4_T5_mT6_T7_P12ihipStream_tbENKUlT_T0_E_clISt17integral_constantIbLb0EES12_IbLb1EEEEDaSY_SZ_EUlSY_E_NS1_11comp_targetILNS1_3genE5ELNS1_11target_archE942ELNS1_3gpuE9ELNS1_3repE0EEENS1_30default_config_static_selectorELNS0_4arch9wavefront6targetE0EEEvT1_ ; -- Begin function _ZN7rocprim17ROCPRIM_400000_NS6detail17trampoline_kernelINS0_14default_configENS1_27scan_by_key_config_selectorIj11FixedVectorIiLj8EEEEZZNS1_16scan_by_key_implILNS1_25lookback_scan_determinismE0ELb1ES3_N6thrust23THRUST_200600_302600_NS6detail15normal_iteratorINSB_10device_ptrIjEEEENSD_INSE_IS6_EEEESI_S6_NSB_4plusIvEENSB_8equal_toIvEES6_EE10hipError_tPvRmT2_T3_T4_T5_mT6_T7_P12ihipStream_tbENKUlT_T0_E_clISt17integral_constantIbLb0EES12_IbLb1EEEEDaSY_SZ_EUlSY_E_NS1_11comp_targetILNS1_3genE5ELNS1_11target_archE942ELNS1_3gpuE9ELNS1_3repE0EEENS1_30default_config_static_selectorELNS0_4arch9wavefront6targetE0EEEvT1_
	.globl	_ZN7rocprim17ROCPRIM_400000_NS6detail17trampoline_kernelINS0_14default_configENS1_27scan_by_key_config_selectorIj11FixedVectorIiLj8EEEEZZNS1_16scan_by_key_implILNS1_25lookback_scan_determinismE0ELb1ES3_N6thrust23THRUST_200600_302600_NS6detail15normal_iteratorINSB_10device_ptrIjEEEENSD_INSE_IS6_EEEESI_S6_NSB_4plusIvEENSB_8equal_toIvEES6_EE10hipError_tPvRmT2_T3_T4_T5_mT6_T7_P12ihipStream_tbENKUlT_T0_E_clISt17integral_constantIbLb0EES12_IbLb1EEEEDaSY_SZ_EUlSY_E_NS1_11comp_targetILNS1_3genE5ELNS1_11target_archE942ELNS1_3gpuE9ELNS1_3repE0EEENS1_30default_config_static_selectorELNS0_4arch9wavefront6targetE0EEEvT1_
	.p2align	8
	.type	_ZN7rocprim17ROCPRIM_400000_NS6detail17trampoline_kernelINS0_14default_configENS1_27scan_by_key_config_selectorIj11FixedVectorIiLj8EEEEZZNS1_16scan_by_key_implILNS1_25lookback_scan_determinismE0ELb1ES3_N6thrust23THRUST_200600_302600_NS6detail15normal_iteratorINSB_10device_ptrIjEEEENSD_INSE_IS6_EEEESI_S6_NSB_4plusIvEENSB_8equal_toIvEES6_EE10hipError_tPvRmT2_T3_T4_T5_mT6_T7_P12ihipStream_tbENKUlT_T0_E_clISt17integral_constantIbLb0EES12_IbLb1EEEEDaSY_SZ_EUlSY_E_NS1_11comp_targetILNS1_3genE5ELNS1_11target_archE942ELNS1_3gpuE9ELNS1_3repE0EEENS1_30default_config_static_selectorELNS0_4arch9wavefront6targetE0EEEvT1_,@function
_ZN7rocprim17ROCPRIM_400000_NS6detail17trampoline_kernelINS0_14default_configENS1_27scan_by_key_config_selectorIj11FixedVectorIiLj8EEEEZZNS1_16scan_by_key_implILNS1_25lookback_scan_determinismE0ELb1ES3_N6thrust23THRUST_200600_302600_NS6detail15normal_iteratorINSB_10device_ptrIjEEEENSD_INSE_IS6_EEEESI_S6_NSB_4plusIvEENSB_8equal_toIvEES6_EE10hipError_tPvRmT2_T3_T4_T5_mT6_T7_P12ihipStream_tbENKUlT_T0_E_clISt17integral_constantIbLb0EES12_IbLb1EEEEDaSY_SZ_EUlSY_E_NS1_11comp_targetILNS1_3genE5ELNS1_11target_archE942ELNS1_3gpuE9ELNS1_3repE0EEENS1_30default_config_static_selectorELNS0_4arch9wavefront6targetE0EEEvT1_: ; @_ZN7rocprim17ROCPRIM_400000_NS6detail17trampoline_kernelINS0_14default_configENS1_27scan_by_key_config_selectorIj11FixedVectorIiLj8EEEEZZNS1_16scan_by_key_implILNS1_25lookback_scan_determinismE0ELb1ES3_N6thrust23THRUST_200600_302600_NS6detail15normal_iteratorINSB_10device_ptrIjEEEENSD_INSE_IS6_EEEESI_S6_NSB_4plusIvEENSB_8equal_toIvEES6_EE10hipError_tPvRmT2_T3_T4_T5_mT6_T7_P12ihipStream_tbENKUlT_T0_E_clISt17integral_constantIbLb0EES12_IbLb1EEEEDaSY_SZ_EUlSY_E_NS1_11comp_targetILNS1_3genE5ELNS1_11target_archE942ELNS1_3gpuE9ELNS1_3repE0EEENS1_30default_config_static_selectorELNS0_4arch9wavefront6targetE0EEEvT1_
; %bb.0:
	.section	.rodata,"a",@progbits
	.p2align	6, 0x0
	.amdhsa_kernel _ZN7rocprim17ROCPRIM_400000_NS6detail17trampoline_kernelINS0_14default_configENS1_27scan_by_key_config_selectorIj11FixedVectorIiLj8EEEEZZNS1_16scan_by_key_implILNS1_25lookback_scan_determinismE0ELb1ES3_N6thrust23THRUST_200600_302600_NS6detail15normal_iteratorINSB_10device_ptrIjEEEENSD_INSE_IS6_EEEESI_S6_NSB_4plusIvEENSB_8equal_toIvEES6_EE10hipError_tPvRmT2_T3_T4_T5_mT6_T7_P12ihipStream_tbENKUlT_T0_E_clISt17integral_constantIbLb0EES12_IbLb1EEEEDaSY_SZ_EUlSY_E_NS1_11comp_targetILNS1_3genE5ELNS1_11target_archE942ELNS1_3gpuE9ELNS1_3repE0EEENS1_30default_config_static_selectorELNS0_4arch9wavefront6targetE0EEEvT1_
		.amdhsa_group_segment_fixed_size 0
		.amdhsa_private_segment_fixed_size 0
		.amdhsa_kernarg_size 160
		.amdhsa_user_sgpr_count 2
		.amdhsa_user_sgpr_dispatch_ptr 0
		.amdhsa_user_sgpr_queue_ptr 0
		.amdhsa_user_sgpr_kernarg_segment_ptr 1
		.amdhsa_user_sgpr_dispatch_id 0
		.amdhsa_user_sgpr_kernarg_preload_length 0
		.amdhsa_user_sgpr_kernarg_preload_offset 0
		.amdhsa_user_sgpr_private_segment_size 0
		.amdhsa_wavefront_size32 1
		.amdhsa_uses_dynamic_stack 0
		.amdhsa_enable_private_segment 0
		.amdhsa_system_sgpr_workgroup_id_x 1
		.amdhsa_system_sgpr_workgroup_id_y 0
		.amdhsa_system_sgpr_workgroup_id_z 0
		.amdhsa_system_sgpr_workgroup_info 0
		.amdhsa_system_vgpr_workitem_id 0
		.amdhsa_next_free_vgpr 1
		.amdhsa_next_free_sgpr 1
		.amdhsa_named_barrier_count 0
		.amdhsa_reserve_vcc 0
		.amdhsa_float_round_mode_32 0
		.amdhsa_float_round_mode_16_64 0
		.amdhsa_float_denorm_mode_32 3
		.amdhsa_float_denorm_mode_16_64 3
		.amdhsa_fp16_overflow 0
		.amdhsa_memory_ordered 1
		.amdhsa_forward_progress 1
		.amdhsa_inst_pref_size 0
		.amdhsa_round_robin_scheduling 0
		.amdhsa_exception_fp_ieee_invalid_op 0
		.amdhsa_exception_fp_denorm_src 0
		.amdhsa_exception_fp_ieee_div_zero 0
		.amdhsa_exception_fp_ieee_overflow 0
		.amdhsa_exception_fp_ieee_underflow 0
		.amdhsa_exception_fp_ieee_inexact 0
		.amdhsa_exception_int_div_zero 0
	.end_amdhsa_kernel
	.section	.text._ZN7rocprim17ROCPRIM_400000_NS6detail17trampoline_kernelINS0_14default_configENS1_27scan_by_key_config_selectorIj11FixedVectorIiLj8EEEEZZNS1_16scan_by_key_implILNS1_25lookback_scan_determinismE0ELb1ES3_N6thrust23THRUST_200600_302600_NS6detail15normal_iteratorINSB_10device_ptrIjEEEENSD_INSE_IS6_EEEESI_S6_NSB_4plusIvEENSB_8equal_toIvEES6_EE10hipError_tPvRmT2_T3_T4_T5_mT6_T7_P12ihipStream_tbENKUlT_T0_E_clISt17integral_constantIbLb0EES12_IbLb1EEEEDaSY_SZ_EUlSY_E_NS1_11comp_targetILNS1_3genE5ELNS1_11target_archE942ELNS1_3gpuE9ELNS1_3repE0EEENS1_30default_config_static_selectorELNS0_4arch9wavefront6targetE0EEEvT1_,"axG",@progbits,_ZN7rocprim17ROCPRIM_400000_NS6detail17trampoline_kernelINS0_14default_configENS1_27scan_by_key_config_selectorIj11FixedVectorIiLj8EEEEZZNS1_16scan_by_key_implILNS1_25lookback_scan_determinismE0ELb1ES3_N6thrust23THRUST_200600_302600_NS6detail15normal_iteratorINSB_10device_ptrIjEEEENSD_INSE_IS6_EEEESI_S6_NSB_4plusIvEENSB_8equal_toIvEES6_EE10hipError_tPvRmT2_T3_T4_T5_mT6_T7_P12ihipStream_tbENKUlT_T0_E_clISt17integral_constantIbLb0EES12_IbLb1EEEEDaSY_SZ_EUlSY_E_NS1_11comp_targetILNS1_3genE5ELNS1_11target_archE942ELNS1_3gpuE9ELNS1_3repE0EEENS1_30default_config_static_selectorELNS0_4arch9wavefront6targetE0EEEvT1_,comdat
.Lfunc_end2186:
	.size	_ZN7rocprim17ROCPRIM_400000_NS6detail17trampoline_kernelINS0_14default_configENS1_27scan_by_key_config_selectorIj11FixedVectorIiLj8EEEEZZNS1_16scan_by_key_implILNS1_25lookback_scan_determinismE0ELb1ES3_N6thrust23THRUST_200600_302600_NS6detail15normal_iteratorINSB_10device_ptrIjEEEENSD_INSE_IS6_EEEESI_S6_NSB_4plusIvEENSB_8equal_toIvEES6_EE10hipError_tPvRmT2_T3_T4_T5_mT6_T7_P12ihipStream_tbENKUlT_T0_E_clISt17integral_constantIbLb0EES12_IbLb1EEEEDaSY_SZ_EUlSY_E_NS1_11comp_targetILNS1_3genE5ELNS1_11target_archE942ELNS1_3gpuE9ELNS1_3repE0EEENS1_30default_config_static_selectorELNS0_4arch9wavefront6targetE0EEEvT1_, .Lfunc_end2186-_ZN7rocprim17ROCPRIM_400000_NS6detail17trampoline_kernelINS0_14default_configENS1_27scan_by_key_config_selectorIj11FixedVectorIiLj8EEEEZZNS1_16scan_by_key_implILNS1_25lookback_scan_determinismE0ELb1ES3_N6thrust23THRUST_200600_302600_NS6detail15normal_iteratorINSB_10device_ptrIjEEEENSD_INSE_IS6_EEEESI_S6_NSB_4plusIvEENSB_8equal_toIvEES6_EE10hipError_tPvRmT2_T3_T4_T5_mT6_T7_P12ihipStream_tbENKUlT_T0_E_clISt17integral_constantIbLb0EES12_IbLb1EEEEDaSY_SZ_EUlSY_E_NS1_11comp_targetILNS1_3genE5ELNS1_11target_archE942ELNS1_3gpuE9ELNS1_3repE0EEENS1_30default_config_static_selectorELNS0_4arch9wavefront6targetE0EEEvT1_
                                        ; -- End function
	.set _ZN7rocprim17ROCPRIM_400000_NS6detail17trampoline_kernelINS0_14default_configENS1_27scan_by_key_config_selectorIj11FixedVectorIiLj8EEEEZZNS1_16scan_by_key_implILNS1_25lookback_scan_determinismE0ELb1ES3_N6thrust23THRUST_200600_302600_NS6detail15normal_iteratorINSB_10device_ptrIjEEEENSD_INSE_IS6_EEEESI_S6_NSB_4plusIvEENSB_8equal_toIvEES6_EE10hipError_tPvRmT2_T3_T4_T5_mT6_T7_P12ihipStream_tbENKUlT_T0_E_clISt17integral_constantIbLb0EES12_IbLb1EEEEDaSY_SZ_EUlSY_E_NS1_11comp_targetILNS1_3genE5ELNS1_11target_archE942ELNS1_3gpuE9ELNS1_3repE0EEENS1_30default_config_static_selectorELNS0_4arch9wavefront6targetE0EEEvT1_.num_vgpr, 0
	.set _ZN7rocprim17ROCPRIM_400000_NS6detail17trampoline_kernelINS0_14default_configENS1_27scan_by_key_config_selectorIj11FixedVectorIiLj8EEEEZZNS1_16scan_by_key_implILNS1_25lookback_scan_determinismE0ELb1ES3_N6thrust23THRUST_200600_302600_NS6detail15normal_iteratorINSB_10device_ptrIjEEEENSD_INSE_IS6_EEEESI_S6_NSB_4plusIvEENSB_8equal_toIvEES6_EE10hipError_tPvRmT2_T3_T4_T5_mT6_T7_P12ihipStream_tbENKUlT_T0_E_clISt17integral_constantIbLb0EES12_IbLb1EEEEDaSY_SZ_EUlSY_E_NS1_11comp_targetILNS1_3genE5ELNS1_11target_archE942ELNS1_3gpuE9ELNS1_3repE0EEENS1_30default_config_static_selectorELNS0_4arch9wavefront6targetE0EEEvT1_.num_agpr, 0
	.set _ZN7rocprim17ROCPRIM_400000_NS6detail17trampoline_kernelINS0_14default_configENS1_27scan_by_key_config_selectorIj11FixedVectorIiLj8EEEEZZNS1_16scan_by_key_implILNS1_25lookback_scan_determinismE0ELb1ES3_N6thrust23THRUST_200600_302600_NS6detail15normal_iteratorINSB_10device_ptrIjEEEENSD_INSE_IS6_EEEESI_S6_NSB_4plusIvEENSB_8equal_toIvEES6_EE10hipError_tPvRmT2_T3_T4_T5_mT6_T7_P12ihipStream_tbENKUlT_T0_E_clISt17integral_constantIbLb0EES12_IbLb1EEEEDaSY_SZ_EUlSY_E_NS1_11comp_targetILNS1_3genE5ELNS1_11target_archE942ELNS1_3gpuE9ELNS1_3repE0EEENS1_30default_config_static_selectorELNS0_4arch9wavefront6targetE0EEEvT1_.numbered_sgpr, 0
	.set _ZN7rocprim17ROCPRIM_400000_NS6detail17trampoline_kernelINS0_14default_configENS1_27scan_by_key_config_selectorIj11FixedVectorIiLj8EEEEZZNS1_16scan_by_key_implILNS1_25lookback_scan_determinismE0ELb1ES3_N6thrust23THRUST_200600_302600_NS6detail15normal_iteratorINSB_10device_ptrIjEEEENSD_INSE_IS6_EEEESI_S6_NSB_4plusIvEENSB_8equal_toIvEES6_EE10hipError_tPvRmT2_T3_T4_T5_mT6_T7_P12ihipStream_tbENKUlT_T0_E_clISt17integral_constantIbLb0EES12_IbLb1EEEEDaSY_SZ_EUlSY_E_NS1_11comp_targetILNS1_3genE5ELNS1_11target_archE942ELNS1_3gpuE9ELNS1_3repE0EEENS1_30default_config_static_selectorELNS0_4arch9wavefront6targetE0EEEvT1_.num_named_barrier, 0
	.set _ZN7rocprim17ROCPRIM_400000_NS6detail17trampoline_kernelINS0_14default_configENS1_27scan_by_key_config_selectorIj11FixedVectorIiLj8EEEEZZNS1_16scan_by_key_implILNS1_25lookback_scan_determinismE0ELb1ES3_N6thrust23THRUST_200600_302600_NS6detail15normal_iteratorINSB_10device_ptrIjEEEENSD_INSE_IS6_EEEESI_S6_NSB_4plusIvEENSB_8equal_toIvEES6_EE10hipError_tPvRmT2_T3_T4_T5_mT6_T7_P12ihipStream_tbENKUlT_T0_E_clISt17integral_constantIbLb0EES12_IbLb1EEEEDaSY_SZ_EUlSY_E_NS1_11comp_targetILNS1_3genE5ELNS1_11target_archE942ELNS1_3gpuE9ELNS1_3repE0EEENS1_30default_config_static_selectorELNS0_4arch9wavefront6targetE0EEEvT1_.private_seg_size, 0
	.set _ZN7rocprim17ROCPRIM_400000_NS6detail17trampoline_kernelINS0_14default_configENS1_27scan_by_key_config_selectorIj11FixedVectorIiLj8EEEEZZNS1_16scan_by_key_implILNS1_25lookback_scan_determinismE0ELb1ES3_N6thrust23THRUST_200600_302600_NS6detail15normal_iteratorINSB_10device_ptrIjEEEENSD_INSE_IS6_EEEESI_S6_NSB_4plusIvEENSB_8equal_toIvEES6_EE10hipError_tPvRmT2_T3_T4_T5_mT6_T7_P12ihipStream_tbENKUlT_T0_E_clISt17integral_constantIbLb0EES12_IbLb1EEEEDaSY_SZ_EUlSY_E_NS1_11comp_targetILNS1_3genE5ELNS1_11target_archE942ELNS1_3gpuE9ELNS1_3repE0EEENS1_30default_config_static_selectorELNS0_4arch9wavefront6targetE0EEEvT1_.uses_vcc, 0
	.set _ZN7rocprim17ROCPRIM_400000_NS6detail17trampoline_kernelINS0_14default_configENS1_27scan_by_key_config_selectorIj11FixedVectorIiLj8EEEEZZNS1_16scan_by_key_implILNS1_25lookback_scan_determinismE0ELb1ES3_N6thrust23THRUST_200600_302600_NS6detail15normal_iteratorINSB_10device_ptrIjEEEENSD_INSE_IS6_EEEESI_S6_NSB_4plusIvEENSB_8equal_toIvEES6_EE10hipError_tPvRmT2_T3_T4_T5_mT6_T7_P12ihipStream_tbENKUlT_T0_E_clISt17integral_constantIbLb0EES12_IbLb1EEEEDaSY_SZ_EUlSY_E_NS1_11comp_targetILNS1_3genE5ELNS1_11target_archE942ELNS1_3gpuE9ELNS1_3repE0EEENS1_30default_config_static_selectorELNS0_4arch9wavefront6targetE0EEEvT1_.uses_flat_scratch, 0
	.set _ZN7rocprim17ROCPRIM_400000_NS6detail17trampoline_kernelINS0_14default_configENS1_27scan_by_key_config_selectorIj11FixedVectorIiLj8EEEEZZNS1_16scan_by_key_implILNS1_25lookback_scan_determinismE0ELb1ES3_N6thrust23THRUST_200600_302600_NS6detail15normal_iteratorINSB_10device_ptrIjEEEENSD_INSE_IS6_EEEESI_S6_NSB_4plusIvEENSB_8equal_toIvEES6_EE10hipError_tPvRmT2_T3_T4_T5_mT6_T7_P12ihipStream_tbENKUlT_T0_E_clISt17integral_constantIbLb0EES12_IbLb1EEEEDaSY_SZ_EUlSY_E_NS1_11comp_targetILNS1_3genE5ELNS1_11target_archE942ELNS1_3gpuE9ELNS1_3repE0EEENS1_30default_config_static_selectorELNS0_4arch9wavefront6targetE0EEEvT1_.has_dyn_sized_stack, 0
	.set _ZN7rocprim17ROCPRIM_400000_NS6detail17trampoline_kernelINS0_14default_configENS1_27scan_by_key_config_selectorIj11FixedVectorIiLj8EEEEZZNS1_16scan_by_key_implILNS1_25lookback_scan_determinismE0ELb1ES3_N6thrust23THRUST_200600_302600_NS6detail15normal_iteratorINSB_10device_ptrIjEEEENSD_INSE_IS6_EEEESI_S6_NSB_4plusIvEENSB_8equal_toIvEES6_EE10hipError_tPvRmT2_T3_T4_T5_mT6_T7_P12ihipStream_tbENKUlT_T0_E_clISt17integral_constantIbLb0EES12_IbLb1EEEEDaSY_SZ_EUlSY_E_NS1_11comp_targetILNS1_3genE5ELNS1_11target_archE942ELNS1_3gpuE9ELNS1_3repE0EEENS1_30default_config_static_selectorELNS0_4arch9wavefront6targetE0EEEvT1_.has_recursion, 0
	.set _ZN7rocprim17ROCPRIM_400000_NS6detail17trampoline_kernelINS0_14default_configENS1_27scan_by_key_config_selectorIj11FixedVectorIiLj8EEEEZZNS1_16scan_by_key_implILNS1_25lookback_scan_determinismE0ELb1ES3_N6thrust23THRUST_200600_302600_NS6detail15normal_iteratorINSB_10device_ptrIjEEEENSD_INSE_IS6_EEEESI_S6_NSB_4plusIvEENSB_8equal_toIvEES6_EE10hipError_tPvRmT2_T3_T4_T5_mT6_T7_P12ihipStream_tbENKUlT_T0_E_clISt17integral_constantIbLb0EES12_IbLb1EEEEDaSY_SZ_EUlSY_E_NS1_11comp_targetILNS1_3genE5ELNS1_11target_archE942ELNS1_3gpuE9ELNS1_3repE0EEENS1_30default_config_static_selectorELNS0_4arch9wavefront6targetE0EEEvT1_.has_indirect_call, 0
	.section	.AMDGPU.csdata,"",@progbits
; Kernel info:
; codeLenInByte = 0
; TotalNumSgprs: 0
; NumVgprs: 0
; ScratchSize: 0
; MemoryBound: 0
; FloatMode: 240
; IeeeMode: 1
; LDSByteSize: 0 bytes/workgroup (compile time only)
; SGPRBlocks: 0
; VGPRBlocks: 0
; NumSGPRsForWavesPerEU: 1
; NumVGPRsForWavesPerEU: 1
; NamedBarCnt: 0
; Occupancy: 16
; WaveLimiterHint : 0
; COMPUTE_PGM_RSRC2:SCRATCH_EN: 0
; COMPUTE_PGM_RSRC2:USER_SGPR: 2
; COMPUTE_PGM_RSRC2:TRAP_HANDLER: 0
; COMPUTE_PGM_RSRC2:TGID_X_EN: 1
; COMPUTE_PGM_RSRC2:TGID_Y_EN: 0
; COMPUTE_PGM_RSRC2:TGID_Z_EN: 0
; COMPUTE_PGM_RSRC2:TIDIG_COMP_CNT: 0
	.section	.text._ZN7rocprim17ROCPRIM_400000_NS6detail17trampoline_kernelINS0_14default_configENS1_27scan_by_key_config_selectorIj11FixedVectorIiLj8EEEEZZNS1_16scan_by_key_implILNS1_25lookback_scan_determinismE0ELb1ES3_N6thrust23THRUST_200600_302600_NS6detail15normal_iteratorINSB_10device_ptrIjEEEENSD_INSE_IS6_EEEESI_S6_NSB_4plusIvEENSB_8equal_toIvEES6_EE10hipError_tPvRmT2_T3_T4_T5_mT6_T7_P12ihipStream_tbENKUlT_T0_E_clISt17integral_constantIbLb0EES12_IbLb1EEEEDaSY_SZ_EUlSY_E_NS1_11comp_targetILNS1_3genE4ELNS1_11target_archE910ELNS1_3gpuE8ELNS1_3repE0EEENS1_30default_config_static_selectorELNS0_4arch9wavefront6targetE0EEEvT1_,"axG",@progbits,_ZN7rocprim17ROCPRIM_400000_NS6detail17trampoline_kernelINS0_14default_configENS1_27scan_by_key_config_selectorIj11FixedVectorIiLj8EEEEZZNS1_16scan_by_key_implILNS1_25lookback_scan_determinismE0ELb1ES3_N6thrust23THRUST_200600_302600_NS6detail15normal_iteratorINSB_10device_ptrIjEEEENSD_INSE_IS6_EEEESI_S6_NSB_4plusIvEENSB_8equal_toIvEES6_EE10hipError_tPvRmT2_T3_T4_T5_mT6_T7_P12ihipStream_tbENKUlT_T0_E_clISt17integral_constantIbLb0EES12_IbLb1EEEEDaSY_SZ_EUlSY_E_NS1_11comp_targetILNS1_3genE4ELNS1_11target_archE910ELNS1_3gpuE8ELNS1_3repE0EEENS1_30default_config_static_selectorELNS0_4arch9wavefront6targetE0EEEvT1_,comdat
	.protected	_ZN7rocprim17ROCPRIM_400000_NS6detail17trampoline_kernelINS0_14default_configENS1_27scan_by_key_config_selectorIj11FixedVectorIiLj8EEEEZZNS1_16scan_by_key_implILNS1_25lookback_scan_determinismE0ELb1ES3_N6thrust23THRUST_200600_302600_NS6detail15normal_iteratorINSB_10device_ptrIjEEEENSD_INSE_IS6_EEEESI_S6_NSB_4plusIvEENSB_8equal_toIvEES6_EE10hipError_tPvRmT2_T3_T4_T5_mT6_T7_P12ihipStream_tbENKUlT_T0_E_clISt17integral_constantIbLb0EES12_IbLb1EEEEDaSY_SZ_EUlSY_E_NS1_11comp_targetILNS1_3genE4ELNS1_11target_archE910ELNS1_3gpuE8ELNS1_3repE0EEENS1_30default_config_static_selectorELNS0_4arch9wavefront6targetE0EEEvT1_ ; -- Begin function _ZN7rocprim17ROCPRIM_400000_NS6detail17trampoline_kernelINS0_14default_configENS1_27scan_by_key_config_selectorIj11FixedVectorIiLj8EEEEZZNS1_16scan_by_key_implILNS1_25lookback_scan_determinismE0ELb1ES3_N6thrust23THRUST_200600_302600_NS6detail15normal_iteratorINSB_10device_ptrIjEEEENSD_INSE_IS6_EEEESI_S6_NSB_4plusIvEENSB_8equal_toIvEES6_EE10hipError_tPvRmT2_T3_T4_T5_mT6_T7_P12ihipStream_tbENKUlT_T0_E_clISt17integral_constantIbLb0EES12_IbLb1EEEEDaSY_SZ_EUlSY_E_NS1_11comp_targetILNS1_3genE4ELNS1_11target_archE910ELNS1_3gpuE8ELNS1_3repE0EEENS1_30default_config_static_selectorELNS0_4arch9wavefront6targetE0EEEvT1_
	.globl	_ZN7rocprim17ROCPRIM_400000_NS6detail17trampoline_kernelINS0_14default_configENS1_27scan_by_key_config_selectorIj11FixedVectorIiLj8EEEEZZNS1_16scan_by_key_implILNS1_25lookback_scan_determinismE0ELb1ES3_N6thrust23THRUST_200600_302600_NS6detail15normal_iteratorINSB_10device_ptrIjEEEENSD_INSE_IS6_EEEESI_S6_NSB_4plusIvEENSB_8equal_toIvEES6_EE10hipError_tPvRmT2_T3_T4_T5_mT6_T7_P12ihipStream_tbENKUlT_T0_E_clISt17integral_constantIbLb0EES12_IbLb1EEEEDaSY_SZ_EUlSY_E_NS1_11comp_targetILNS1_3genE4ELNS1_11target_archE910ELNS1_3gpuE8ELNS1_3repE0EEENS1_30default_config_static_selectorELNS0_4arch9wavefront6targetE0EEEvT1_
	.p2align	8
	.type	_ZN7rocprim17ROCPRIM_400000_NS6detail17trampoline_kernelINS0_14default_configENS1_27scan_by_key_config_selectorIj11FixedVectorIiLj8EEEEZZNS1_16scan_by_key_implILNS1_25lookback_scan_determinismE0ELb1ES3_N6thrust23THRUST_200600_302600_NS6detail15normal_iteratorINSB_10device_ptrIjEEEENSD_INSE_IS6_EEEESI_S6_NSB_4plusIvEENSB_8equal_toIvEES6_EE10hipError_tPvRmT2_T3_T4_T5_mT6_T7_P12ihipStream_tbENKUlT_T0_E_clISt17integral_constantIbLb0EES12_IbLb1EEEEDaSY_SZ_EUlSY_E_NS1_11comp_targetILNS1_3genE4ELNS1_11target_archE910ELNS1_3gpuE8ELNS1_3repE0EEENS1_30default_config_static_selectorELNS0_4arch9wavefront6targetE0EEEvT1_,@function
_ZN7rocprim17ROCPRIM_400000_NS6detail17trampoline_kernelINS0_14default_configENS1_27scan_by_key_config_selectorIj11FixedVectorIiLj8EEEEZZNS1_16scan_by_key_implILNS1_25lookback_scan_determinismE0ELb1ES3_N6thrust23THRUST_200600_302600_NS6detail15normal_iteratorINSB_10device_ptrIjEEEENSD_INSE_IS6_EEEESI_S6_NSB_4plusIvEENSB_8equal_toIvEES6_EE10hipError_tPvRmT2_T3_T4_T5_mT6_T7_P12ihipStream_tbENKUlT_T0_E_clISt17integral_constantIbLb0EES12_IbLb1EEEEDaSY_SZ_EUlSY_E_NS1_11comp_targetILNS1_3genE4ELNS1_11target_archE910ELNS1_3gpuE8ELNS1_3repE0EEENS1_30default_config_static_selectorELNS0_4arch9wavefront6targetE0EEEvT1_: ; @_ZN7rocprim17ROCPRIM_400000_NS6detail17trampoline_kernelINS0_14default_configENS1_27scan_by_key_config_selectorIj11FixedVectorIiLj8EEEEZZNS1_16scan_by_key_implILNS1_25lookback_scan_determinismE0ELb1ES3_N6thrust23THRUST_200600_302600_NS6detail15normal_iteratorINSB_10device_ptrIjEEEENSD_INSE_IS6_EEEESI_S6_NSB_4plusIvEENSB_8equal_toIvEES6_EE10hipError_tPvRmT2_T3_T4_T5_mT6_T7_P12ihipStream_tbENKUlT_T0_E_clISt17integral_constantIbLb0EES12_IbLb1EEEEDaSY_SZ_EUlSY_E_NS1_11comp_targetILNS1_3genE4ELNS1_11target_archE910ELNS1_3gpuE8ELNS1_3repE0EEENS1_30default_config_static_selectorELNS0_4arch9wavefront6targetE0EEEvT1_
; %bb.0:
	.section	.rodata,"a",@progbits
	.p2align	6, 0x0
	.amdhsa_kernel _ZN7rocprim17ROCPRIM_400000_NS6detail17trampoline_kernelINS0_14default_configENS1_27scan_by_key_config_selectorIj11FixedVectorIiLj8EEEEZZNS1_16scan_by_key_implILNS1_25lookback_scan_determinismE0ELb1ES3_N6thrust23THRUST_200600_302600_NS6detail15normal_iteratorINSB_10device_ptrIjEEEENSD_INSE_IS6_EEEESI_S6_NSB_4plusIvEENSB_8equal_toIvEES6_EE10hipError_tPvRmT2_T3_T4_T5_mT6_T7_P12ihipStream_tbENKUlT_T0_E_clISt17integral_constantIbLb0EES12_IbLb1EEEEDaSY_SZ_EUlSY_E_NS1_11comp_targetILNS1_3genE4ELNS1_11target_archE910ELNS1_3gpuE8ELNS1_3repE0EEENS1_30default_config_static_selectorELNS0_4arch9wavefront6targetE0EEEvT1_
		.amdhsa_group_segment_fixed_size 0
		.amdhsa_private_segment_fixed_size 0
		.amdhsa_kernarg_size 160
		.amdhsa_user_sgpr_count 2
		.amdhsa_user_sgpr_dispatch_ptr 0
		.amdhsa_user_sgpr_queue_ptr 0
		.amdhsa_user_sgpr_kernarg_segment_ptr 1
		.amdhsa_user_sgpr_dispatch_id 0
		.amdhsa_user_sgpr_kernarg_preload_length 0
		.amdhsa_user_sgpr_kernarg_preload_offset 0
		.amdhsa_user_sgpr_private_segment_size 0
		.amdhsa_wavefront_size32 1
		.amdhsa_uses_dynamic_stack 0
		.amdhsa_enable_private_segment 0
		.amdhsa_system_sgpr_workgroup_id_x 1
		.amdhsa_system_sgpr_workgroup_id_y 0
		.amdhsa_system_sgpr_workgroup_id_z 0
		.amdhsa_system_sgpr_workgroup_info 0
		.amdhsa_system_vgpr_workitem_id 0
		.amdhsa_next_free_vgpr 1
		.amdhsa_next_free_sgpr 1
		.amdhsa_named_barrier_count 0
		.amdhsa_reserve_vcc 0
		.amdhsa_float_round_mode_32 0
		.amdhsa_float_round_mode_16_64 0
		.amdhsa_float_denorm_mode_32 3
		.amdhsa_float_denorm_mode_16_64 3
		.amdhsa_fp16_overflow 0
		.amdhsa_memory_ordered 1
		.amdhsa_forward_progress 1
		.amdhsa_inst_pref_size 0
		.amdhsa_round_robin_scheduling 0
		.amdhsa_exception_fp_ieee_invalid_op 0
		.amdhsa_exception_fp_denorm_src 0
		.amdhsa_exception_fp_ieee_div_zero 0
		.amdhsa_exception_fp_ieee_overflow 0
		.amdhsa_exception_fp_ieee_underflow 0
		.amdhsa_exception_fp_ieee_inexact 0
		.amdhsa_exception_int_div_zero 0
	.end_amdhsa_kernel
	.section	.text._ZN7rocprim17ROCPRIM_400000_NS6detail17trampoline_kernelINS0_14default_configENS1_27scan_by_key_config_selectorIj11FixedVectorIiLj8EEEEZZNS1_16scan_by_key_implILNS1_25lookback_scan_determinismE0ELb1ES3_N6thrust23THRUST_200600_302600_NS6detail15normal_iteratorINSB_10device_ptrIjEEEENSD_INSE_IS6_EEEESI_S6_NSB_4plusIvEENSB_8equal_toIvEES6_EE10hipError_tPvRmT2_T3_T4_T5_mT6_T7_P12ihipStream_tbENKUlT_T0_E_clISt17integral_constantIbLb0EES12_IbLb1EEEEDaSY_SZ_EUlSY_E_NS1_11comp_targetILNS1_3genE4ELNS1_11target_archE910ELNS1_3gpuE8ELNS1_3repE0EEENS1_30default_config_static_selectorELNS0_4arch9wavefront6targetE0EEEvT1_,"axG",@progbits,_ZN7rocprim17ROCPRIM_400000_NS6detail17trampoline_kernelINS0_14default_configENS1_27scan_by_key_config_selectorIj11FixedVectorIiLj8EEEEZZNS1_16scan_by_key_implILNS1_25lookback_scan_determinismE0ELb1ES3_N6thrust23THRUST_200600_302600_NS6detail15normal_iteratorINSB_10device_ptrIjEEEENSD_INSE_IS6_EEEESI_S6_NSB_4plusIvEENSB_8equal_toIvEES6_EE10hipError_tPvRmT2_T3_T4_T5_mT6_T7_P12ihipStream_tbENKUlT_T0_E_clISt17integral_constantIbLb0EES12_IbLb1EEEEDaSY_SZ_EUlSY_E_NS1_11comp_targetILNS1_3genE4ELNS1_11target_archE910ELNS1_3gpuE8ELNS1_3repE0EEENS1_30default_config_static_selectorELNS0_4arch9wavefront6targetE0EEEvT1_,comdat
.Lfunc_end2187:
	.size	_ZN7rocprim17ROCPRIM_400000_NS6detail17trampoline_kernelINS0_14default_configENS1_27scan_by_key_config_selectorIj11FixedVectorIiLj8EEEEZZNS1_16scan_by_key_implILNS1_25lookback_scan_determinismE0ELb1ES3_N6thrust23THRUST_200600_302600_NS6detail15normal_iteratorINSB_10device_ptrIjEEEENSD_INSE_IS6_EEEESI_S6_NSB_4plusIvEENSB_8equal_toIvEES6_EE10hipError_tPvRmT2_T3_T4_T5_mT6_T7_P12ihipStream_tbENKUlT_T0_E_clISt17integral_constantIbLb0EES12_IbLb1EEEEDaSY_SZ_EUlSY_E_NS1_11comp_targetILNS1_3genE4ELNS1_11target_archE910ELNS1_3gpuE8ELNS1_3repE0EEENS1_30default_config_static_selectorELNS0_4arch9wavefront6targetE0EEEvT1_, .Lfunc_end2187-_ZN7rocprim17ROCPRIM_400000_NS6detail17trampoline_kernelINS0_14default_configENS1_27scan_by_key_config_selectorIj11FixedVectorIiLj8EEEEZZNS1_16scan_by_key_implILNS1_25lookback_scan_determinismE0ELb1ES3_N6thrust23THRUST_200600_302600_NS6detail15normal_iteratorINSB_10device_ptrIjEEEENSD_INSE_IS6_EEEESI_S6_NSB_4plusIvEENSB_8equal_toIvEES6_EE10hipError_tPvRmT2_T3_T4_T5_mT6_T7_P12ihipStream_tbENKUlT_T0_E_clISt17integral_constantIbLb0EES12_IbLb1EEEEDaSY_SZ_EUlSY_E_NS1_11comp_targetILNS1_3genE4ELNS1_11target_archE910ELNS1_3gpuE8ELNS1_3repE0EEENS1_30default_config_static_selectorELNS0_4arch9wavefront6targetE0EEEvT1_
                                        ; -- End function
	.set _ZN7rocprim17ROCPRIM_400000_NS6detail17trampoline_kernelINS0_14default_configENS1_27scan_by_key_config_selectorIj11FixedVectorIiLj8EEEEZZNS1_16scan_by_key_implILNS1_25lookback_scan_determinismE0ELb1ES3_N6thrust23THRUST_200600_302600_NS6detail15normal_iteratorINSB_10device_ptrIjEEEENSD_INSE_IS6_EEEESI_S6_NSB_4plusIvEENSB_8equal_toIvEES6_EE10hipError_tPvRmT2_T3_T4_T5_mT6_T7_P12ihipStream_tbENKUlT_T0_E_clISt17integral_constantIbLb0EES12_IbLb1EEEEDaSY_SZ_EUlSY_E_NS1_11comp_targetILNS1_3genE4ELNS1_11target_archE910ELNS1_3gpuE8ELNS1_3repE0EEENS1_30default_config_static_selectorELNS0_4arch9wavefront6targetE0EEEvT1_.num_vgpr, 0
	.set _ZN7rocprim17ROCPRIM_400000_NS6detail17trampoline_kernelINS0_14default_configENS1_27scan_by_key_config_selectorIj11FixedVectorIiLj8EEEEZZNS1_16scan_by_key_implILNS1_25lookback_scan_determinismE0ELb1ES3_N6thrust23THRUST_200600_302600_NS6detail15normal_iteratorINSB_10device_ptrIjEEEENSD_INSE_IS6_EEEESI_S6_NSB_4plusIvEENSB_8equal_toIvEES6_EE10hipError_tPvRmT2_T3_T4_T5_mT6_T7_P12ihipStream_tbENKUlT_T0_E_clISt17integral_constantIbLb0EES12_IbLb1EEEEDaSY_SZ_EUlSY_E_NS1_11comp_targetILNS1_3genE4ELNS1_11target_archE910ELNS1_3gpuE8ELNS1_3repE0EEENS1_30default_config_static_selectorELNS0_4arch9wavefront6targetE0EEEvT1_.num_agpr, 0
	.set _ZN7rocprim17ROCPRIM_400000_NS6detail17trampoline_kernelINS0_14default_configENS1_27scan_by_key_config_selectorIj11FixedVectorIiLj8EEEEZZNS1_16scan_by_key_implILNS1_25lookback_scan_determinismE0ELb1ES3_N6thrust23THRUST_200600_302600_NS6detail15normal_iteratorINSB_10device_ptrIjEEEENSD_INSE_IS6_EEEESI_S6_NSB_4plusIvEENSB_8equal_toIvEES6_EE10hipError_tPvRmT2_T3_T4_T5_mT6_T7_P12ihipStream_tbENKUlT_T0_E_clISt17integral_constantIbLb0EES12_IbLb1EEEEDaSY_SZ_EUlSY_E_NS1_11comp_targetILNS1_3genE4ELNS1_11target_archE910ELNS1_3gpuE8ELNS1_3repE0EEENS1_30default_config_static_selectorELNS0_4arch9wavefront6targetE0EEEvT1_.numbered_sgpr, 0
	.set _ZN7rocprim17ROCPRIM_400000_NS6detail17trampoline_kernelINS0_14default_configENS1_27scan_by_key_config_selectorIj11FixedVectorIiLj8EEEEZZNS1_16scan_by_key_implILNS1_25lookback_scan_determinismE0ELb1ES3_N6thrust23THRUST_200600_302600_NS6detail15normal_iteratorINSB_10device_ptrIjEEEENSD_INSE_IS6_EEEESI_S6_NSB_4plusIvEENSB_8equal_toIvEES6_EE10hipError_tPvRmT2_T3_T4_T5_mT6_T7_P12ihipStream_tbENKUlT_T0_E_clISt17integral_constantIbLb0EES12_IbLb1EEEEDaSY_SZ_EUlSY_E_NS1_11comp_targetILNS1_3genE4ELNS1_11target_archE910ELNS1_3gpuE8ELNS1_3repE0EEENS1_30default_config_static_selectorELNS0_4arch9wavefront6targetE0EEEvT1_.num_named_barrier, 0
	.set _ZN7rocprim17ROCPRIM_400000_NS6detail17trampoline_kernelINS0_14default_configENS1_27scan_by_key_config_selectorIj11FixedVectorIiLj8EEEEZZNS1_16scan_by_key_implILNS1_25lookback_scan_determinismE0ELb1ES3_N6thrust23THRUST_200600_302600_NS6detail15normal_iteratorINSB_10device_ptrIjEEEENSD_INSE_IS6_EEEESI_S6_NSB_4plusIvEENSB_8equal_toIvEES6_EE10hipError_tPvRmT2_T3_T4_T5_mT6_T7_P12ihipStream_tbENKUlT_T0_E_clISt17integral_constantIbLb0EES12_IbLb1EEEEDaSY_SZ_EUlSY_E_NS1_11comp_targetILNS1_3genE4ELNS1_11target_archE910ELNS1_3gpuE8ELNS1_3repE0EEENS1_30default_config_static_selectorELNS0_4arch9wavefront6targetE0EEEvT1_.private_seg_size, 0
	.set _ZN7rocprim17ROCPRIM_400000_NS6detail17trampoline_kernelINS0_14default_configENS1_27scan_by_key_config_selectorIj11FixedVectorIiLj8EEEEZZNS1_16scan_by_key_implILNS1_25lookback_scan_determinismE0ELb1ES3_N6thrust23THRUST_200600_302600_NS6detail15normal_iteratorINSB_10device_ptrIjEEEENSD_INSE_IS6_EEEESI_S6_NSB_4plusIvEENSB_8equal_toIvEES6_EE10hipError_tPvRmT2_T3_T4_T5_mT6_T7_P12ihipStream_tbENKUlT_T0_E_clISt17integral_constantIbLb0EES12_IbLb1EEEEDaSY_SZ_EUlSY_E_NS1_11comp_targetILNS1_3genE4ELNS1_11target_archE910ELNS1_3gpuE8ELNS1_3repE0EEENS1_30default_config_static_selectorELNS0_4arch9wavefront6targetE0EEEvT1_.uses_vcc, 0
	.set _ZN7rocprim17ROCPRIM_400000_NS6detail17trampoline_kernelINS0_14default_configENS1_27scan_by_key_config_selectorIj11FixedVectorIiLj8EEEEZZNS1_16scan_by_key_implILNS1_25lookback_scan_determinismE0ELb1ES3_N6thrust23THRUST_200600_302600_NS6detail15normal_iteratorINSB_10device_ptrIjEEEENSD_INSE_IS6_EEEESI_S6_NSB_4plusIvEENSB_8equal_toIvEES6_EE10hipError_tPvRmT2_T3_T4_T5_mT6_T7_P12ihipStream_tbENKUlT_T0_E_clISt17integral_constantIbLb0EES12_IbLb1EEEEDaSY_SZ_EUlSY_E_NS1_11comp_targetILNS1_3genE4ELNS1_11target_archE910ELNS1_3gpuE8ELNS1_3repE0EEENS1_30default_config_static_selectorELNS0_4arch9wavefront6targetE0EEEvT1_.uses_flat_scratch, 0
	.set _ZN7rocprim17ROCPRIM_400000_NS6detail17trampoline_kernelINS0_14default_configENS1_27scan_by_key_config_selectorIj11FixedVectorIiLj8EEEEZZNS1_16scan_by_key_implILNS1_25lookback_scan_determinismE0ELb1ES3_N6thrust23THRUST_200600_302600_NS6detail15normal_iteratorINSB_10device_ptrIjEEEENSD_INSE_IS6_EEEESI_S6_NSB_4plusIvEENSB_8equal_toIvEES6_EE10hipError_tPvRmT2_T3_T4_T5_mT6_T7_P12ihipStream_tbENKUlT_T0_E_clISt17integral_constantIbLb0EES12_IbLb1EEEEDaSY_SZ_EUlSY_E_NS1_11comp_targetILNS1_3genE4ELNS1_11target_archE910ELNS1_3gpuE8ELNS1_3repE0EEENS1_30default_config_static_selectorELNS0_4arch9wavefront6targetE0EEEvT1_.has_dyn_sized_stack, 0
	.set _ZN7rocprim17ROCPRIM_400000_NS6detail17trampoline_kernelINS0_14default_configENS1_27scan_by_key_config_selectorIj11FixedVectorIiLj8EEEEZZNS1_16scan_by_key_implILNS1_25lookback_scan_determinismE0ELb1ES3_N6thrust23THRUST_200600_302600_NS6detail15normal_iteratorINSB_10device_ptrIjEEEENSD_INSE_IS6_EEEESI_S6_NSB_4plusIvEENSB_8equal_toIvEES6_EE10hipError_tPvRmT2_T3_T4_T5_mT6_T7_P12ihipStream_tbENKUlT_T0_E_clISt17integral_constantIbLb0EES12_IbLb1EEEEDaSY_SZ_EUlSY_E_NS1_11comp_targetILNS1_3genE4ELNS1_11target_archE910ELNS1_3gpuE8ELNS1_3repE0EEENS1_30default_config_static_selectorELNS0_4arch9wavefront6targetE0EEEvT1_.has_recursion, 0
	.set _ZN7rocprim17ROCPRIM_400000_NS6detail17trampoline_kernelINS0_14default_configENS1_27scan_by_key_config_selectorIj11FixedVectorIiLj8EEEEZZNS1_16scan_by_key_implILNS1_25lookback_scan_determinismE0ELb1ES3_N6thrust23THRUST_200600_302600_NS6detail15normal_iteratorINSB_10device_ptrIjEEEENSD_INSE_IS6_EEEESI_S6_NSB_4plusIvEENSB_8equal_toIvEES6_EE10hipError_tPvRmT2_T3_T4_T5_mT6_T7_P12ihipStream_tbENKUlT_T0_E_clISt17integral_constantIbLb0EES12_IbLb1EEEEDaSY_SZ_EUlSY_E_NS1_11comp_targetILNS1_3genE4ELNS1_11target_archE910ELNS1_3gpuE8ELNS1_3repE0EEENS1_30default_config_static_selectorELNS0_4arch9wavefront6targetE0EEEvT1_.has_indirect_call, 0
	.section	.AMDGPU.csdata,"",@progbits
; Kernel info:
; codeLenInByte = 0
; TotalNumSgprs: 0
; NumVgprs: 0
; ScratchSize: 0
; MemoryBound: 0
; FloatMode: 240
; IeeeMode: 1
; LDSByteSize: 0 bytes/workgroup (compile time only)
; SGPRBlocks: 0
; VGPRBlocks: 0
; NumSGPRsForWavesPerEU: 1
; NumVGPRsForWavesPerEU: 1
; NamedBarCnt: 0
; Occupancy: 16
; WaveLimiterHint : 0
; COMPUTE_PGM_RSRC2:SCRATCH_EN: 0
; COMPUTE_PGM_RSRC2:USER_SGPR: 2
; COMPUTE_PGM_RSRC2:TRAP_HANDLER: 0
; COMPUTE_PGM_RSRC2:TGID_X_EN: 1
; COMPUTE_PGM_RSRC2:TGID_Y_EN: 0
; COMPUTE_PGM_RSRC2:TGID_Z_EN: 0
; COMPUTE_PGM_RSRC2:TIDIG_COMP_CNT: 0
	.section	.text._ZN7rocprim17ROCPRIM_400000_NS6detail17trampoline_kernelINS0_14default_configENS1_27scan_by_key_config_selectorIj11FixedVectorIiLj8EEEEZZNS1_16scan_by_key_implILNS1_25lookback_scan_determinismE0ELb1ES3_N6thrust23THRUST_200600_302600_NS6detail15normal_iteratorINSB_10device_ptrIjEEEENSD_INSE_IS6_EEEESI_S6_NSB_4plusIvEENSB_8equal_toIvEES6_EE10hipError_tPvRmT2_T3_T4_T5_mT6_T7_P12ihipStream_tbENKUlT_T0_E_clISt17integral_constantIbLb0EES12_IbLb1EEEEDaSY_SZ_EUlSY_E_NS1_11comp_targetILNS1_3genE3ELNS1_11target_archE908ELNS1_3gpuE7ELNS1_3repE0EEENS1_30default_config_static_selectorELNS0_4arch9wavefront6targetE0EEEvT1_,"axG",@progbits,_ZN7rocprim17ROCPRIM_400000_NS6detail17trampoline_kernelINS0_14default_configENS1_27scan_by_key_config_selectorIj11FixedVectorIiLj8EEEEZZNS1_16scan_by_key_implILNS1_25lookback_scan_determinismE0ELb1ES3_N6thrust23THRUST_200600_302600_NS6detail15normal_iteratorINSB_10device_ptrIjEEEENSD_INSE_IS6_EEEESI_S6_NSB_4plusIvEENSB_8equal_toIvEES6_EE10hipError_tPvRmT2_T3_T4_T5_mT6_T7_P12ihipStream_tbENKUlT_T0_E_clISt17integral_constantIbLb0EES12_IbLb1EEEEDaSY_SZ_EUlSY_E_NS1_11comp_targetILNS1_3genE3ELNS1_11target_archE908ELNS1_3gpuE7ELNS1_3repE0EEENS1_30default_config_static_selectorELNS0_4arch9wavefront6targetE0EEEvT1_,comdat
	.protected	_ZN7rocprim17ROCPRIM_400000_NS6detail17trampoline_kernelINS0_14default_configENS1_27scan_by_key_config_selectorIj11FixedVectorIiLj8EEEEZZNS1_16scan_by_key_implILNS1_25lookback_scan_determinismE0ELb1ES3_N6thrust23THRUST_200600_302600_NS6detail15normal_iteratorINSB_10device_ptrIjEEEENSD_INSE_IS6_EEEESI_S6_NSB_4plusIvEENSB_8equal_toIvEES6_EE10hipError_tPvRmT2_T3_T4_T5_mT6_T7_P12ihipStream_tbENKUlT_T0_E_clISt17integral_constantIbLb0EES12_IbLb1EEEEDaSY_SZ_EUlSY_E_NS1_11comp_targetILNS1_3genE3ELNS1_11target_archE908ELNS1_3gpuE7ELNS1_3repE0EEENS1_30default_config_static_selectorELNS0_4arch9wavefront6targetE0EEEvT1_ ; -- Begin function _ZN7rocprim17ROCPRIM_400000_NS6detail17trampoline_kernelINS0_14default_configENS1_27scan_by_key_config_selectorIj11FixedVectorIiLj8EEEEZZNS1_16scan_by_key_implILNS1_25lookback_scan_determinismE0ELb1ES3_N6thrust23THRUST_200600_302600_NS6detail15normal_iteratorINSB_10device_ptrIjEEEENSD_INSE_IS6_EEEESI_S6_NSB_4plusIvEENSB_8equal_toIvEES6_EE10hipError_tPvRmT2_T3_T4_T5_mT6_T7_P12ihipStream_tbENKUlT_T0_E_clISt17integral_constantIbLb0EES12_IbLb1EEEEDaSY_SZ_EUlSY_E_NS1_11comp_targetILNS1_3genE3ELNS1_11target_archE908ELNS1_3gpuE7ELNS1_3repE0EEENS1_30default_config_static_selectorELNS0_4arch9wavefront6targetE0EEEvT1_
	.globl	_ZN7rocprim17ROCPRIM_400000_NS6detail17trampoline_kernelINS0_14default_configENS1_27scan_by_key_config_selectorIj11FixedVectorIiLj8EEEEZZNS1_16scan_by_key_implILNS1_25lookback_scan_determinismE0ELb1ES3_N6thrust23THRUST_200600_302600_NS6detail15normal_iteratorINSB_10device_ptrIjEEEENSD_INSE_IS6_EEEESI_S6_NSB_4plusIvEENSB_8equal_toIvEES6_EE10hipError_tPvRmT2_T3_T4_T5_mT6_T7_P12ihipStream_tbENKUlT_T0_E_clISt17integral_constantIbLb0EES12_IbLb1EEEEDaSY_SZ_EUlSY_E_NS1_11comp_targetILNS1_3genE3ELNS1_11target_archE908ELNS1_3gpuE7ELNS1_3repE0EEENS1_30default_config_static_selectorELNS0_4arch9wavefront6targetE0EEEvT1_
	.p2align	8
	.type	_ZN7rocprim17ROCPRIM_400000_NS6detail17trampoline_kernelINS0_14default_configENS1_27scan_by_key_config_selectorIj11FixedVectorIiLj8EEEEZZNS1_16scan_by_key_implILNS1_25lookback_scan_determinismE0ELb1ES3_N6thrust23THRUST_200600_302600_NS6detail15normal_iteratorINSB_10device_ptrIjEEEENSD_INSE_IS6_EEEESI_S6_NSB_4plusIvEENSB_8equal_toIvEES6_EE10hipError_tPvRmT2_T3_T4_T5_mT6_T7_P12ihipStream_tbENKUlT_T0_E_clISt17integral_constantIbLb0EES12_IbLb1EEEEDaSY_SZ_EUlSY_E_NS1_11comp_targetILNS1_3genE3ELNS1_11target_archE908ELNS1_3gpuE7ELNS1_3repE0EEENS1_30default_config_static_selectorELNS0_4arch9wavefront6targetE0EEEvT1_,@function
_ZN7rocprim17ROCPRIM_400000_NS6detail17trampoline_kernelINS0_14default_configENS1_27scan_by_key_config_selectorIj11FixedVectorIiLj8EEEEZZNS1_16scan_by_key_implILNS1_25lookback_scan_determinismE0ELb1ES3_N6thrust23THRUST_200600_302600_NS6detail15normal_iteratorINSB_10device_ptrIjEEEENSD_INSE_IS6_EEEESI_S6_NSB_4plusIvEENSB_8equal_toIvEES6_EE10hipError_tPvRmT2_T3_T4_T5_mT6_T7_P12ihipStream_tbENKUlT_T0_E_clISt17integral_constantIbLb0EES12_IbLb1EEEEDaSY_SZ_EUlSY_E_NS1_11comp_targetILNS1_3genE3ELNS1_11target_archE908ELNS1_3gpuE7ELNS1_3repE0EEENS1_30default_config_static_selectorELNS0_4arch9wavefront6targetE0EEEvT1_: ; @_ZN7rocprim17ROCPRIM_400000_NS6detail17trampoline_kernelINS0_14default_configENS1_27scan_by_key_config_selectorIj11FixedVectorIiLj8EEEEZZNS1_16scan_by_key_implILNS1_25lookback_scan_determinismE0ELb1ES3_N6thrust23THRUST_200600_302600_NS6detail15normal_iteratorINSB_10device_ptrIjEEEENSD_INSE_IS6_EEEESI_S6_NSB_4plusIvEENSB_8equal_toIvEES6_EE10hipError_tPvRmT2_T3_T4_T5_mT6_T7_P12ihipStream_tbENKUlT_T0_E_clISt17integral_constantIbLb0EES12_IbLb1EEEEDaSY_SZ_EUlSY_E_NS1_11comp_targetILNS1_3genE3ELNS1_11target_archE908ELNS1_3gpuE7ELNS1_3repE0EEENS1_30default_config_static_selectorELNS0_4arch9wavefront6targetE0EEEvT1_
; %bb.0:
	.section	.rodata,"a",@progbits
	.p2align	6, 0x0
	.amdhsa_kernel _ZN7rocprim17ROCPRIM_400000_NS6detail17trampoline_kernelINS0_14default_configENS1_27scan_by_key_config_selectorIj11FixedVectorIiLj8EEEEZZNS1_16scan_by_key_implILNS1_25lookback_scan_determinismE0ELb1ES3_N6thrust23THRUST_200600_302600_NS6detail15normal_iteratorINSB_10device_ptrIjEEEENSD_INSE_IS6_EEEESI_S6_NSB_4plusIvEENSB_8equal_toIvEES6_EE10hipError_tPvRmT2_T3_T4_T5_mT6_T7_P12ihipStream_tbENKUlT_T0_E_clISt17integral_constantIbLb0EES12_IbLb1EEEEDaSY_SZ_EUlSY_E_NS1_11comp_targetILNS1_3genE3ELNS1_11target_archE908ELNS1_3gpuE7ELNS1_3repE0EEENS1_30default_config_static_selectorELNS0_4arch9wavefront6targetE0EEEvT1_
		.amdhsa_group_segment_fixed_size 0
		.amdhsa_private_segment_fixed_size 0
		.amdhsa_kernarg_size 160
		.amdhsa_user_sgpr_count 2
		.amdhsa_user_sgpr_dispatch_ptr 0
		.amdhsa_user_sgpr_queue_ptr 0
		.amdhsa_user_sgpr_kernarg_segment_ptr 1
		.amdhsa_user_sgpr_dispatch_id 0
		.amdhsa_user_sgpr_kernarg_preload_length 0
		.amdhsa_user_sgpr_kernarg_preload_offset 0
		.amdhsa_user_sgpr_private_segment_size 0
		.amdhsa_wavefront_size32 1
		.amdhsa_uses_dynamic_stack 0
		.amdhsa_enable_private_segment 0
		.amdhsa_system_sgpr_workgroup_id_x 1
		.amdhsa_system_sgpr_workgroup_id_y 0
		.amdhsa_system_sgpr_workgroup_id_z 0
		.amdhsa_system_sgpr_workgroup_info 0
		.amdhsa_system_vgpr_workitem_id 0
		.amdhsa_next_free_vgpr 1
		.amdhsa_next_free_sgpr 1
		.amdhsa_named_barrier_count 0
		.amdhsa_reserve_vcc 0
		.amdhsa_float_round_mode_32 0
		.amdhsa_float_round_mode_16_64 0
		.amdhsa_float_denorm_mode_32 3
		.amdhsa_float_denorm_mode_16_64 3
		.amdhsa_fp16_overflow 0
		.amdhsa_memory_ordered 1
		.amdhsa_forward_progress 1
		.amdhsa_inst_pref_size 0
		.amdhsa_round_robin_scheduling 0
		.amdhsa_exception_fp_ieee_invalid_op 0
		.amdhsa_exception_fp_denorm_src 0
		.amdhsa_exception_fp_ieee_div_zero 0
		.amdhsa_exception_fp_ieee_overflow 0
		.amdhsa_exception_fp_ieee_underflow 0
		.amdhsa_exception_fp_ieee_inexact 0
		.amdhsa_exception_int_div_zero 0
	.end_amdhsa_kernel
	.section	.text._ZN7rocprim17ROCPRIM_400000_NS6detail17trampoline_kernelINS0_14default_configENS1_27scan_by_key_config_selectorIj11FixedVectorIiLj8EEEEZZNS1_16scan_by_key_implILNS1_25lookback_scan_determinismE0ELb1ES3_N6thrust23THRUST_200600_302600_NS6detail15normal_iteratorINSB_10device_ptrIjEEEENSD_INSE_IS6_EEEESI_S6_NSB_4plusIvEENSB_8equal_toIvEES6_EE10hipError_tPvRmT2_T3_T4_T5_mT6_T7_P12ihipStream_tbENKUlT_T0_E_clISt17integral_constantIbLb0EES12_IbLb1EEEEDaSY_SZ_EUlSY_E_NS1_11comp_targetILNS1_3genE3ELNS1_11target_archE908ELNS1_3gpuE7ELNS1_3repE0EEENS1_30default_config_static_selectorELNS0_4arch9wavefront6targetE0EEEvT1_,"axG",@progbits,_ZN7rocprim17ROCPRIM_400000_NS6detail17trampoline_kernelINS0_14default_configENS1_27scan_by_key_config_selectorIj11FixedVectorIiLj8EEEEZZNS1_16scan_by_key_implILNS1_25lookback_scan_determinismE0ELb1ES3_N6thrust23THRUST_200600_302600_NS6detail15normal_iteratorINSB_10device_ptrIjEEEENSD_INSE_IS6_EEEESI_S6_NSB_4plusIvEENSB_8equal_toIvEES6_EE10hipError_tPvRmT2_T3_T4_T5_mT6_T7_P12ihipStream_tbENKUlT_T0_E_clISt17integral_constantIbLb0EES12_IbLb1EEEEDaSY_SZ_EUlSY_E_NS1_11comp_targetILNS1_3genE3ELNS1_11target_archE908ELNS1_3gpuE7ELNS1_3repE0EEENS1_30default_config_static_selectorELNS0_4arch9wavefront6targetE0EEEvT1_,comdat
.Lfunc_end2188:
	.size	_ZN7rocprim17ROCPRIM_400000_NS6detail17trampoline_kernelINS0_14default_configENS1_27scan_by_key_config_selectorIj11FixedVectorIiLj8EEEEZZNS1_16scan_by_key_implILNS1_25lookback_scan_determinismE0ELb1ES3_N6thrust23THRUST_200600_302600_NS6detail15normal_iteratorINSB_10device_ptrIjEEEENSD_INSE_IS6_EEEESI_S6_NSB_4plusIvEENSB_8equal_toIvEES6_EE10hipError_tPvRmT2_T3_T4_T5_mT6_T7_P12ihipStream_tbENKUlT_T0_E_clISt17integral_constantIbLb0EES12_IbLb1EEEEDaSY_SZ_EUlSY_E_NS1_11comp_targetILNS1_3genE3ELNS1_11target_archE908ELNS1_3gpuE7ELNS1_3repE0EEENS1_30default_config_static_selectorELNS0_4arch9wavefront6targetE0EEEvT1_, .Lfunc_end2188-_ZN7rocprim17ROCPRIM_400000_NS6detail17trampoline_kernelINS0_14default_configENS1_27scan_by_key_config_selectorIj11FixedVectorIiLj8EEEEZZNS1_16scan_by_key_implILNS1_25lookback_scan_determinismE0ELb1ES3_N6thrust23THRUST_200600_302600_NS6detail15normal_iteratorINSB_10device_ptrIjEEEENSD_INSE_IS6_EEEESI_S6_NSB_4plusIvEENSB_8equal_toIvEES6_EE10hipError_tPvRmT2_T3_T4_T5_mT6_T7_P12ihipStream_tbENKUlT_T0_E_clISt17integral_constantIbLb0EES12_IbLb1EEEEDaSY_SZ_EUlSY_E_NS1_11comp_targetILNS1_3genE3ELNS1_11target_archE908ELNS1_3gpuE7ELNS1_3repE0EEENS1_30default_config_static_selectorELNS0_4arch9wavefront6targetE0EEEvT1_
                                        ; -- End function
	.set _ZN7rocprim17ROCPRIM_400000_NS6detail17trampoline_kernelINS0_14default_configENS1_27scan_by_key_config_selectorIj11FixedVectorIiLj8EEEEZZNS1_16scan_by_key_implILNS1_25lookback_scan_determinismE0ELb1ES3_N6thrust23THRUST_200600_302600_NS6detail15normal_iteratorINSB_10device_ptrIjEEEENSD_INSE_IS6_EEEESI_S6_NSB_4plusIvEENSB_8equal_toIvEES6_EE10hipError_tPvRmT2_T3_T4_T5_mT6_T7_P12ihipStream_tbENKUlT_T0_E_clISt17integral_constantIbLb0EES12_IbLb1EEEEDaSY_SZ_EUlSY_E_NS1_11comp_targetILNS1_3genE3ELNS1_11target_archE908ELNS1_3gpuE7ELNS1_3repE0EEENS1_30default_config_static_selectorELNS0_4arch9wavefront6targetE0EEEvT1_.num_vgpr, 0
	.set _ZN7rocprim17ROCPRIM_400000_NS6detail17trampoline_kernelINS0_14default_configENS1_27scan_by_key_config_selectorIj11FixedVectorIiLj8EEEEZZNS1_16scan_by_key_implILNS1_25lookback_scan_determinismE0ELb1ES3_N6thrust23THRUST_200600_302600_NS6detail15normal_iteratorINSB_10device_ptrIjEEEENSD_INSE_IS6_EEEESI_S6_NSB_4plusIvEENSB_8equal_toIvEES6_EE10hipError_tPvRmT2_T3_T4_T5_mT6_T7_P12ihipStream_tbENKUlT_T0_E_clISt17integral_constantIbLb0EES12_IbLb1EEEEDaSY_SZ_EUlSY_E_NS1_11comp_targetILNS1_3genE3ELNS1_11target_archE908ELNS1_3gpuE7ELNS1_3repE0EEENS1_30default_config_static_selectorELNS0_4arch9wavefront6targetE0EEEvT1_.num_agpr, 0
	.set _ZN7rocprim17ROCPRIM_400000_NS6detail17trampoline_kernelINS0_14default_configENS1_27scan_by_key_config_selectorIj11FixedVectorIiLj8EEEEZZNS1_16scan_by_key_implILNS1_25lookback_scan_determinismE0ELb1ES3_N6thrust23THRUST_200600_302600_NS6detail15normal_iteratorINSB_10device_ptrIjEEEENSD_INSE_IS6_EEEESI_S6_NSB_4plusIvEENSB_8equal_toIvEES6_EE10hipError_tPvRmT2_T3_T4_T5_mT6_T7_P12ihipStream_tbENKUlT_T0_E_clISt17integral_constantIbLb0EES12_IbLb1EEEEDaSY_SZ_EUlSY_E_NS1_11comp_targetILNS1_3genE3ELNS1_11target_archE908ELNS1_3gpuE7ELNS1_3repE0EEENS1_30default_config_static_selectorELNS0_4arch9wavefront6targetE0EEEvT1_.numbered_sgpr, 0
	.set _ZN7rocprim17ROCPRIM_400000_NS6detail17trampoline_kernelINS0_14default_configENS1_27scan_by_key_config_selectorIj11FixedVectorIiLj8EEEEZZNS1_16scan_by_key_implILNS1_25lookback_scan_determinismE0ELb1ES3_N6thrust23THRUST_200600_302600_NS6detail15normal_iteratorINSB_10device_ptrIjEEEENSD_INSE_IS6_EEEESI_S6_NSB_4plusIvEENSB_8equal_toIvEES6_EE10hipError_tPvRmT2_T3_T4_T5_mT6_T7_P12ihipStream_tbENKUlT_T0_E_clISt17integral_constantIbLb0EES12_IbLb1EEEEDaSY_SZ_EUlSY_E_NS1_11comp_targetILNS1_3genE3ELNS1_11target_archE908ELNS1_3gpuE7ELNS1_3repE0EEENS1_30default_config_static_selectorELNS0_4arch9wavefront6targetE0EEEvT1_.num_named_barrier, 0
	.set _ZN7rocprim17ROCPRIM_400000_NS6detail17trampoline_kernelINS0_14default_configENS1_27scan_by_key_config_selectorIj11FixedVectorIiLj8EEEEZZNS1_16scan_by_key_implILNS1_25lookback_scan_determinismE0ELb1ES3_N6thrust23THRUST_200600_302600_NS6detail15normal_iteratorINSB_10device_ptrIjEEEENSD_INSE_IS6_EEEESI_S6_NSB_4plusIvEENSB_8equal_toIvEES6_EE10hipError_tPvRmT2_T3_T4_T5_mT6_T7_P12ihipStream_tbENKUlT_T0_E_clISt17integral_constantIbLb0EES12_IbLb1EEEEDaSY_SZ_EUlSY_E_NS1_11comp_targetILNS1_3genE3ELNS1_11target_archE908ELNS1_3gpuE7ELNS1_3repE0EEENS1_30default_config_static_selectorELNS0_4arch9wavefront6targetE0EEEvT1_.private_seg_size, 0
	.set _ZN7rocprim17ROCPRIM_400000_NS6detail17trampoline_kernelINS0_14default_configENS1_27scan_by_key_config_selectorIj11FixedVectorIiLj8EEEEZZNS1_16scan_by_key_implILNS1_25lookback_scan_determinismE0ELb1ES3_N6thrust23THRUST_200600_302600_NS6detail15normal_iteratorINSB_10device_ptrIjEEEENSD_INSE_IS6_EEEESI_S6_NSB_4plusIvEENSB_8equal_toIvEES6_EE10hipError_tPvRmT2_T3_T4_T5_mT6_T7_P12ihipStream_tbENKUlT_T0_E_clISt17integral_constantIbLb0EES12_IbLb1EEEEDaSY_SZ_EUlSY_E_NS1_11comp_targetILNS1_3genE3ELNS1_11target_archE908ELNS1_3gpuE7ELNS1_3repE0EEENS1_30default_config_static_selectorELNS0_4arch9wavefront6targetE0EEEvT1_.uses_vcc, 0
	.set _ZN7rocprim17ROCPRIM_400000_NS6detail17trampoline_kernelINS0_14default_configENS1_27scan_by_key_config_selectorIj11FixedVectorIiLj8EEEEZZNS1_16scan_by_key_implILNS1_25lookback_scan_determinismE0ELb1ES3_N6thrust23THRUST_200600_302600_NS6detail15normal_iteratorINSB_10device_ptrIjEEEENSD_INSE_IS6_EEEESI_S6_NSB_4plusIvEENSB_8equal_toIvEES6_EE10hipError_tPvRmT2_T3_T4_T5_mT6_T7_P12ihipStream_tbENKUlT_T0_E_clISt17integral_constantIbLb0EES12_IbLb1EEEEDaSY_SZ_EUlSY_E_NS1_11comp_targetILNS1_3genE3ELNS1_11target_archE908ELNS1_3gpuE7ELNS1_3repE0EEENS1_30default_config_static_selectorELNS0_4arch9wavefront6targetE0EEEvT1_.uses_flat_scratch, 0
	.set _ZN7rocprim17ROCPRIM_400000_NS6detail17trampoline_kernelINS0_14default_configENS1_27scan_by_key_config_selectorIj11FixedVectorIiLj8EEEEZZNS1_16scan_by_key_implILNS1_25lookback_scan_determinismE0ELb1ES3_N6thrust23THRUST_200600_302600_NS6detail15normal_iteratorINSB_10device_ptrIjEEEENSD_INSE_IS6_EEEESI_S6_NSB_4plusIvEENSB_8equal_toIvEES6_EE10hipError_tPvRmT2_T3_T4_T5_mT6_T7_P12ihipStream_tbENKUlT_T0_E_clISt17integral_constantIbLb0EES12_IbLb1EEEEDaSY_SZ_EUlSY_E_NS1_11comp_targetILNS1_3genE3ELNS1_11target_archE908ELNS1_3gpuE7ELNS1_3repE0EEENS1_30default_config_static_selectorELNS0_4arch9wavefront6targetE0EEEvT1_.has_dyn_sized_stack, 0
	.set _ZN7rocprim17ROCPRIM_400000_NS6detail17trampoline_kernelINS0_14default_configENS1_27scan_by_key_config_selectorIj11FixedVectorIiLj8EEEEZZNS1_16scan_by_key_implILNS1_25lookback_scan_determinismE0ELb1ES3_N6thrust23THRUST_200600_302600_NS6detail15normal_iteratorINSB_10device_ptrIjEEEENSD_INSE_IS6_EEEESI_S6_NSB_4plusIvEENSB_8equal_toIvEES6_EE10hipError_tPvRmT2_T3_T4_T5_mT6_T7_P12ihipStream_tbENKUlT_T0_E_clISt17integral_constantIbLb0EES12_IbLb1EEEEDaSY_SZ_EUlSY_E_NS1_11comp_targetILNS1_3genE3ELNS1_11target_archE908ELNS1_3gpuE7ELNS1_3repE0EEENS1_30default_config_static_selectorELNS0_4arch9wavefront6targetE0EEEvT1_.has_recursion, 0
	.set _ZN7rocprim17ROCPRIM_400000_NS6detail17trampoline_kernelINS0_14default_configENS1_27scan_by_key_config_selectorIj11FixedVectorIiLj8EEEEZZNS1_16scan_by_key_implILNS1_25lookback_scan_determinismE0ELb1ES3_N6thrust23THRUST_200600_302600_NS6detail15normal_iteratorINSB_10device_ptrIjEEEENSD_INSE_IS6_EEEESI_S6_NSB_4plusIvEENSB_8equal_toIvEES6_EE10hipError_tPvRmT2_T3_T4_T5_mT6_T7_P12ihipStream_tbENKUlT_T0_E_clISt17integral_constantIbLb0EES12_IbLb1EEEEDaSY_SZ_EUlSY_E_NS1_11comp_targetILNS1_3genE3ELNS1_11target_archE908ELNS1_3gpuE7ELNS1_3repE0EEENS1_30default_config_static_selectorELNS0_4arch9wavefront6targetE0EEEvT1_.has_indirect_call, 0
	.section	.AMDGPU.csdata,"",@progbits
; Kernel info:
; codeLenInByte = 0
; TotalNumSgprs: 0
; NumVgprs: 0
; ScratchSize: 0
; MemoryBound: 0
; FloatMode: 240
; IeeeMode: 1
; LDSByteSize: 0 bytes/workgroup (compile time only)
; SGPRBlocks: 0
; VGPRBlocks: 0
; NumSGPRsForWavesPerEU: 1
; NumVGPRsForWavesPerEU: 1
; NamedBarCnt: 0
; Occupancy: 16
; WaveLimiterHint : 0
; COMPUTE_PGM_RSRC2:SCRATCH_EN: 0
; COMPUTE_PGM_RSRC2:USER_SGPR: 2
; COMPUTE_PGM_RSRC2:TRAP_HANDLER: 0
; COMPUTE_PGM_RSRC2:TGID_X_EN: 1
; COMPUTE_PGM_RSRC2:TGID_Y_EN: 0
; COMPUTE_PGM_RSRC2:TGID_Z_EN: 0
; COMPUTE_PGM_RSRC2:TIDIG_COMP_CNT: 0
	.section	.text._ZN7rocprim17ROCPRIM_400000_NS6detail17trampoline_kernelINS0_14default_configENS1_27scan_by_key_config_selectorIj11FixedVectorIiLj8EEEEZZNS1_16scan_by_key_implILNS1_25lookback_scan_determinismE0ELb1ES3_N6thrust23THRUST_200600_302600_NS6detail15normal_iteratorINSB_10device_ptrIjEEEENSD_INSE_IS6_EEEESI_S6_NSB_4plusIvEENSB_8equal_toIvEES6_EE10hipError_tPvRmT2_T3_T4_T5_mT6_T7_P12ihipStream_tbENKUlT_T0_E_clISt17integral_constantIbLb0EES12_IbLb1EEEEDaSY_SZ_EUlSY_E_NS1_11comp_targetILNS1_3genE2ELNS1_11target_archE906ELNS1_3gpuE6ELNS1_3repE0EEENS1_30default_config_static_selectorELNS0_4arch9wavefront6targetE0EEEvT1_,"axG",@progbits,_ZN7rocprim17ROCPRIM_400000_NS6detail17trampoline_kernelINS0_14default_configENS1_27scan_by_key_config_selectorIj11FixedVectorIiLj8EEEEZZNS1_16scan_by_key_implILNS1_25lookback_scan_determinismE0ELb1ES3_N6thrust23THRUST_200600_302600_NS6detail15normal_iteratorINSB_10device_ptrIjEEEENSD_INSE_IS6_EEEESI_S6_NSB_4plusIvEENSB_8equal_toIvEES6_EE10hipError_tPvRmT2_T3_T4_T5_mT6_T7_P12ihipStream_tbENKUlT_T0_E_clISt17integral_constantIbLb0EES12_IbLb1EEEEDaSY_SZ_EUlSY_E_NS1_11comp_targetILNS1_3genE2ELNS1_11target_archE906ELNS1_3gpuE6ELNS1_3repE0EEENS1_30default_config_static_selectorELNS0_4arch9wavefront6targetE0EEEvT1_,comdat
	.protected	_ZN7rocprim17ROCPRIM_400000_NS6detail17trampoline_kernelINS0_14default_configENS1_27scan_by_key_config_selectorIj11FixedVectorIiLj8EEEEZZNS1_16scan_by_key_implILNS1_25lookback_scan_determinismE0ELb1ES3_N6thrust23THRUST_200600_302600_NS6detail15normal_iteratorINSB_10device_ptrIjEEEENSD_INSE_IS6_EEEESI_S6_NSB_4plusIvEENSB_8equal_toIvEES6_EE10hipError_tPvRmT2_T3_T4_T5_mT6_T7_P12ihipStream_tbENKUlT_T0_E_clISt17integral_constantIbLb0EES12_IbLb1EEEEDaSY_SZ_EUlSY_E_NS1_11comp_targetILNS1_3genE2ELNS1_11target_archE906ELNS1_3gpuE6ELNS1_3repE0EEENS1_30default_config_static_selectorELNS0_4arch9wavefront6targetE0EEEvT1_ ; -- Begin function _ZN7rocprim17ROCPRIM_400000_NS6detail17trampoline_kernelINS0_14default_configENS1_27scan_by_key_config_selectorIj11FixedVectorIiLj8EEEEZZNS1_16scan_by_key_implILNS1_25lookback_scan_determinismE0ELb1ES3_N6thrust23THRUST_200600_302600_NS6detail15normal_iteratorINSB_10device_ptrIjEEEENSD_INSE_IS6_EEEESI_S6_NSB_4plusIvEENSB_8equal_toIvEES6_EE10hipError_tPvRmT2_T3_T4_T5_mT6_T7_P12ihipStream_tbENKUlT_T0_E_clISt17integral_constantIbLb0EES12_IbLb1EEEEDaSY_SZ_EUlSY_E_NS1_11comp_targetILNS1_3genE2ELNS1_11target_archE906ELNS1_3gpuE6ELNS1_3repE0EEENS1_30default_config_static_selectorELNS0_4arch9wavefront6targetE0EEEvT1_
	.globl	_ZN7rocprim17ROCPRIM_400000_NS6detail17trampoline_kernelINS0_14default_configENS1_27scan_by_key_config_selectorIj11FixedVectorIiLj8EEEEZZNS1_16scan_by_key_implILNS1_25lookback_scan_determinismE0ELb1ES3_N6thrust23THRUST_200600_302600_NS6detail15normal_iteratorINSB_10device_ptrIjEEEENSD_INSE_IS6_EEEESI_S6_NSB_4plusIvEENSB_8equal_toIvEES6_EE10hipError_tPvRmT2_T3_T4_T5_mT6_T7_P12ihipStream_tbENKUlT_T0_E_clISt17integral_constantIbLb0EES12_IbLb1EEEEDaSY_SZ_EUlSY_E_NS1_11comp_targetILNS1_3genE2ELNS1_11target_archE906ELNS1_3gpuE6ELNS1_3repE0EEENS1_30default_config_static_selectorELNS0_4arch9wavefront6targetE0EEEvT1_
	.p2align	8
	.type	_ZN7rocprim17ROCPRIM_400000_NS6detail17trampoline_kernelINS0_14default_configENS1_27scan_by_key_config_selectorIj11FixedVectorIiLj8EEEEZZNS1_16scan_by_key_implILNS1_25lookback_scan_determinismE0ELb1ES3_N6thrust23THRUST_200600_302600_NS6detail15normal_iteratorINSB_10device_ptrIjEEEENSD_INSE_IS6_EEEESI_S6_NSB_4plusIvEENSB_8equal_toIvEES6_EE10hipError_tPvRmT2_T3_T4_T5_mT6_T7_P12ihipStream_tbENKUlT_T0_E_clISt17integral_constantIbLb0EES12_IbLb1EEEEDaSY_SZ_EUlSY_E_NS1_11comp_targetILNS1_3genE2ELNS1_11target_archE906ELNS1_3gpuE6ELNS1_3repE0EEENS1_30default_config_static_selectorELNS0_4arch9wavefront6targetE0EEEvT1_,@function
_ZN7rocprim17ROCPRIM_400000_NS6detail17trampoline_kernelINS0_14default_configENS1_27scan_by_key_config_selectorIj11FixedVectorIiLj8EEEEZZNS1_16scan_by_key_implILNS1_25lookback_scan_determinismE0ELb1ES3_N6thrust23THRUST_200600_302600_NS6detail15normal_iteratorINSB_10device_ptrIjEEEENSD_INSE_IS6_EEEESI_S6_NSB_4plusIvEENSB_8equal_toIvEES6_EE10hipError_tPvRmT2_T3_T4_T5_mT6_T7_P12ihipStream_tbENKUlT_T0_E_clISt17integral_constantIbLb0EES12_IbLb1EEEEDaSY_SZ_EUlSY_E_NS1_11comp_targetILNS1_3genE2ELNS1_11target_archE906ELNS1_3gpuE6ELNS1_3repE0EEENS1_30default_config_static_selectorELNS0_4arch9wavefront6targetE0EEEvT1_: ; @_ZN7rocprim17ROCPRIM_400000_NS6detail17trampoline_kernelINS0_14default_configENS1_27scan_by_key_config_selectorIj11FixedVectorIiLj8EEEEZZNS1_16scan_by_key_implILNS1_25lookback_scan_determinismE0ELb1ES3_N6thrust23THRUST_200600_302600_NS6detail15normal_iteratorINSB_10device_ptrIjEEEENSD_INSE_IS6_EEEESI_S6_NSB_4plusIvEENSB_8equal_toIvEES6_EE10hipError_tPvRmT2_T3_T4_T5_mT6_T7_P12ihipStream_tbENKUlT_T0_E_clISt17integral_constantIbLb0EES12_IbLb1EEEEDaSY_SZ_EUlSY_E_NS1_11comp_targetILNS1_3genE2ELNS1_11target_archE906ELNS1_3gpuE6ELNS1_3repE0EEENS1_30default_config_static_selectorELNS0_4arch9wavefront6targetE0EEEvT1_
; %bb.0:
	.section	.rodata,"a",@progbits
	.p2align	6, 0x0
	.amdhsa_kernel _ZN7rocprim17ROCPRIM_400000_NS6detail17trampoline_kernelINS0_14default_configENS1_27scan_by_key_config_selectorIj11FixedVectorIiLj8EEEEZZNS1_16scan_by_key_implILNS1_25lookback_scan_determinismE0ELb1ES3_N6thrust23THRUST_200600_302600_NS6detail15normal_iteratorINSB_10device_ptrIjEEEENSD_INSE_IS6_EEEESI_S6_NSB_4plusIvEENSB_8equal_toIvEES6_EE10hipError_tPvRmT2_T3_T4_T5_mT6_T7_P12ihipStream_tbENKUlT_T0_E_clISt17integral_constantIbLb0EES12_IbLb1EEEEDaSY_SZ_EUlSY_E_NS1_11comp_targetILNS1_3genE2ELNS1_11target_archE906ELNS1_3gpuE6ELNS1_3repE0EEENS1_30default_config_static_selectorELNS0_4arch9wavefront6targetE0EEEvT1_
		.amdhsa_group_segment_fixed_size 0
		.amdhsa_private_segment_fixed_size 0
		.amdhsa_kernarg_size 160
		.amdhsa_user_sgpr_count 2
		.amdhsa_user_sgpr_dispatch_ptr 0
		.amdhsa_user_sgpr_queue_ptr 0
		.amdhsa_user_sgpr_kernarg_segment_ptr 1
		.amdhsa_user_sgpr_dispatch_id 0
		.amdhsa_user_sgpr_kernarg_preload_length 0
		.amdhsa_user_sgpr_kernarg_preload_offset 0
		.amdhsa_user_sgpr_private_segment_size 0
		.amdhsa_wavefront_size32 1
		.amdhsa_uses_dynamic_stack 0
		.amdhsa_enable_private_segment 0
		.amdhsa_system_sgpr_workgroup_id_x 1
		.amdhsa_system_sgpr_workgroup_id_y 0
		.amdhsa_system_sgpr_workgroup_id_z 0
		.amdhsa_system_sgpr_workgroup_info 0
		.amdhsa_system_vgpr_workitem_id 0
		.amdhsa_next_free_vgpr 1
		.amdhsa_next_free_sgpr 1
		.amdhsa_named_barrier_count 0
		.amdhsa_reserve_vcc 0
		.amdhsa_float_round_mode_32 0
		.amdhsa_float_round_mode_16_64 0
		.amdhsa_float_denorm_mode_32 3
		.amdhsa_float_denorm_mode_16_64 3
		.amdhsa_fp16_overflow 0
		.amdhsa_memory_ordered 1
		.amdhsa_forward_progress 1
		.amdhsa_inst_pref_size 0
		.amdhsa_round_robin_scheduling 0
		.amdhsa_exception_fp_ieee_invalid_op 0
		.amdhsa_exception_fp_denorm_src 0
		.amdhsa_exception_fp_ieee_div_zero 0
		.amdhsa_exception_fp_ieee_overflow 0
		.amdhsa_exception_fp_ieee_underflow 0
		.amdhsa_exception_fp_ieee_inexact 0
		.amdhsa_exception_int_div_zero 0
	.end_amdhsa_kernel
	.section	.text._ZN7rocprim17ROCPRIM_400000_NS6detail17trampoline_kernelINS0_14default_configENS1_27scan_by_key_config_selectorIj11FixedVectorIiLj8EEEEZZNS1_16scan_by_key_implILNS1_25lookback_scan_determinismE0ELb1ES3_N6thrust23THRUST_200600_302600_NS6detail15normal_iteratorINSB_10device_ptrIjEEEENSD_INSE_IS6_EEEESI_S6_NSB_4plusIvEENSB_8equal_toIvEES6_EE10hipError_tPvRmT2_T3_T4_T5_mT6_T7_P12ihipStream_tbENKUlT_T0_E_clISt17integral_constantIbLb0EES12_IbLb1EEEEDaSY_SZ_EUlSY_E_NS1_11comp_targetILNS1_3genE2ELNS1_11target_archE906ELNS1_3gpuE6ELNS1_3repE0EEENS1_30default_config_static_selectorELNS0_4arch9wavefront6targetE0EEEvT1_,"axG",@progbits,_ZN7rocprim17ROCPRIM_400000_NS6detail17trampoline_kernelINS0_14default_configENS1_27scan_by_key_config_selectorIj11FixedVectorIiLj8EEEEZZNS1_16scan_by_key_implILNS1_25lookback_scan_determinismE0ELb1ES3_N6thrust23THRUST_200600_302600_NS6detail15normal_iteratorINSB_10device_ptrIjEEEENSD_INSE_IS6_EEEESI_S6_NSB_4plusIvEENSB_8equal_toIvEES6_EE10hipError_tPvRmT2_T3_T4_T5_mT6_T7_P12ihipStream_tbENKUlT_T0_E_clISt17integral_constantIbLb0EES12_IbLb1EEEEDaSY_SZ_EUlSY_E_NS1_11comp_targetILNS1_3genE2ELNS1_11target_archE906ELNS1_3gpuE6ELNS1_3repE0EEENS1_30default_config_static_selectorELNS0_4arch9wavefront6targetE0EEEvT1_,comdat
.Lfunc_end2189:
	.size	_ZN7rocprim17ROCPRIM_400000_NS6detail17trampoline_kernelINS0_14default_configENS1_27scan_by_key_config_selectorIj11FixedVectorIiLj8EEEEZZNS1_16scan_by_key_implILNS1_25lookback_scan_determinismE0ELb1ES3_N6thrust23THRUST_200600_302600_NS6detail15normal_iteratorINSB_10device_ptrIjEEEENSD_INSE_IS6_EEEESI_S6_NSB_4plusIvEENSB_8equal_toIvEES6_EE10hipError_tPvRmT2_T3_T4_T5_mT6_T7_P12ihipStream_tbENKUlT_T0_E_clISt17integral_constantIbLb0EES12_IbLb1EEEEDaSY_SZ_EUlSY_E_NS1_11comp_targetILNS1_3genE2ELNS1_11target_archE906ELNS1_3gpuE6ELNS1_3repE0EEENS1_30default_config_static_selectorELNS0_4arch9wavefront6targetE0EEEvT1_, .Lfunc_end2189-_ZN7rocprim17ROCPRIM_400000_NS6detail17trampoline_kernelINS0_14default_configENS1_27scan_by_key_config_selectorIj11FixedVectorIiLj8EEEEZZNS1_16scan_by_key_implILNS1_25lookback_scan_determinismE0ELb1ES3_N6thrust23THRUST_200600_302600_NS6detail15normal_iteratorINSB_10device_ptrIjEEEENSD_INSE_IS6_EEEESI_S6_NSB_4plusIvEENSB_8equal_toIvEES6_EE10hipError_tPvRmT2_T3_T4_T5_mT6_T7_P12ihipStream_tbENKUlT_T0_E_clISt17integral_constantIbLb0EES12_IbLb1EEEEDaSY_SZ_EUlSY_E_NS1_11comp_targetILNS1_3genE2ELNS1_11target_archE906ELNS1_3gpuE6ELNS1_3repE0EEENS1_30default_config_static_selectorELNS0_4arch9wavefront6targetE0EEEvT1_
                                        ; -- End function
	.set _ZN7rocprim17ROCPRIM_400000_NS6detail17trampoline_kernelINS0_14default_configENS1_27scan_by_key_config_selectorIj11FixedVectorIiLj8EEEEZZNS1_16scan_by_key_implILNS1_25lookback_scan_determinismE0ELb1ES3_N6thrust23THRUST_200600_302600_NS6detail15normal_iteratorINSB_10device_ptrIjEEEENSD_INSE_IS6_EEEESI_S6_NSB_4plusIvEENSB_8equal_toIvEES6_EE10hipError_tPvRmT2_T3_T4_T5_mT6_T7_P12ihipStream_tbENKUlT_T0_E_clISt17integral_constantIbLb0EES12_IbLb1EEEEDaSY_SZ_EUlSY_E_NS1_11comp_targetILNS1_3genE2ELNS1_11target_archE906ELNS1_3gpuE6ELNS1_3repE0EEENS1_30default_config_static_selectorELNS0_4arch9wavefront6targetE0EEEvT1_.num_vgpr, 0
	.set _ZN7rocprim17ROCPRIM_400000_NS6detail17trampoline_kernelINS0_14default_configENS1_27scan_by_key_config_selectorIj11FixedVectorIiLj8EEEEZZNS1_16scan_by_key_implILNS1_25lookback_scan_determinismE0ELb1ES3_N6thrust23THRUST_200600_302600_NS6detail15normal_iteratorINSB_10device_ptrIjEEEENSD_INSE_IS6_EEEESI_S6_NSB_4plusIvEENSB_8equal_toIvEES6_EE10hipError_tPvRmT2_T3_T4_T5_mT6_T7_P12ihipStream_tbENKUlT_T0_E_clISt17integral_constantIbLb0EES12_IbLb1EEEEDaSY_SZ_EUlSY_E_NS1_11comp_targetILNS1_3genE2ELNS1_11target_archE906ELNS1_3gpuE6ELNS1_3repE0EEENS1_30default_config_static_selectorELNS0_4arch9wavefront6targetE0EEEvT1_.num_agpr, 0
	.set _ZN7rocprim17ROCPRIM_400000_NS6detail17trampoline_kernelINS0_14default_configENS1_27scan_by_key_config_selectorIj11FixedVectorIiLj8EEEEZZNS1_16scan_by_key_implILNS1_25lookback_scan_determinismE0ELb1ES3_N6thrust23THRUST_200600_302600_NS6detail15normal_iteratorINSB_10device_ptrIjEEEENSD_INSE_IS6_EEEESI_S6_NSB_4plusIvEENSB_8equal_toIvEES6_EE10hipError_tPvRmT2_T3_T4_T5_mT6_T7_P12ihipStream_tbENKUlT_T0_E_clISt17integral_constantIbLb0EES12_IbLb1EEEEDaSY_SZ_EUlSY_E_NS1_11comp_targetILNS1_3genE2ELNS1_11target_archE906ELNS1_3gpuE6ELNS1_3repE0EEENS1_30default_config_static_selectorELNS0_4arch9wavefront6targetE0EEEvT1_.numbered_sgpr, 0
	.set _ZN7rocprim17ROCPRIM_400000_NS6detail17trampoline_kernelINS0_14default_configENS1_27scan_by_key_config_selectorIj11FixedVectorIiLj8EEEEZZNS1_16scan_by_key_implILNS1_25lookback_scan_determinismE0ELb1ES3_N6thrust23THRUST_200600_302600_NS6detail15normal_iteratorINSB_10device_ptrIjEEEENSD_INSE_IS6_EEEESI_S6_NSB_4plusIvEENSB_8equal_toIvEES6_EE10hipError_tPvRmT2_T3_T4_T5_mT6_T7_P12ihipStream_tbENKUlT_T0_E_clISt17integral_constantIbLb0EES12_IbLb1EEEEDaSY_SZ_EUlSY_E_NS1_11comp_targetILNS1_3genE2ELNS1_11target_archE906ELNS1_3gpuE6ELNS1_3repE0EEENS1_30default_config_static_selectorELNS0_4arch9wavefront6targetE0EEEvT1_.num_named_barrier, 0
	.set _ZN7rocprim17ROCPRIM_400000_NS6detail17trampoline_kernelINS0_14default_configENS1_27scan_by_key_config_selectorIj11FixedVectorIiLj8EEEEZZNS1_16scan_by_key_implILNS1_25lookback_scan_determinismE0ELb1ES3_N6thrust23THRUST_200600_302600_NS6detail15normal_iteratorINSB_10device_ptrIjEEEENSD_INSE_IS6_EEEESI_S6_NSB_4plusIvEENSB_8equal_toIvEES6_EE10hipError_tPvRmT2_T3_T4_T5_mT6_T7_P12ihipStream_tbENKUlT_T0_E_clISt17integral_constantIbLb0EES12_IbLb1EEEEDaSY_SZ_EUlSY_E_NS1_11comp_targetILNS1_3genE2ELNS1_11target_archE906ELNS1_3gpuE6ELNS1_3repE0EEENS1_30default_config_static_selectorELNS0_4arch9wavefront6targetE0EEEvT1_.private_seg_size, 0
	.set _ZN7rocprim17ROCPRIM_400000_NS6detail17trampoline_kernelINS0_14default_configENS1_27scan_by_key_config_selectorIj11FixedVectorIiLj8EEEEZZNS1_16scan_by_key_implILNS1_25lookback_scan_determinismE0ELb1ES3_N6thrust23THRUST_200600_302600_NS6detail15normal_iteratorINSB_10device_ptrIjEEEENSD_INSE_IS6_EEEESI_S6_NSB_4plusIvEENSB_8equal_toIvEES6_EE10hipError_tPvRmT2_T3_T4_T5_mT6_T7_P12ihipStream_tbENKUlT_T0_E_clISt17integral_constantIbLb0EES12_IbLb1EEEEDaSY_SZ_EUlSY_E_NS1_11comp_targetILNS1_3genE2ELNS1_11target_archE906ELNS1_3gpuE6ELNS1_3repE0EEENS1_30default_config_static_selectorELNS0_4arch9wavefront6targetE0EEEvT1_.uses_vcc, 0
	.set _ZN7rocprim17ROCPRIM_400000_NS6detail17trampoline_kernelINS0_14default_configENS1_27scan_by_key_config_selectorIj11FixedVectorIiLj8EEEEZZNS1_16scan_by_key_implILNS1_25lookback_scan_determinismE0ELb1ES3_N6thrust23THRUST_200600_302600_NS6detail15normal_iteratorINSB_10device_ptrIjEEEENSD_INSE_IS6_EEEESI_S6_NSB_4plusIvEENSB_8equal_toIvEES6_EE10hipError_tPvRmT2_T3_T4_T5_mT6_T7_P12ihipStream_tbENKUlT_T0_E_clISt17integral_constantIbLb0EES12_IbLb1EEEEDaSY_SZ_EUlSY_E_NS1_11comp_targetILNS1_3genE2ELNS1_11target_archE906ELNS1_3gpuE6ELNS1_3repE0EEENS1_30default_config_static_selectorELNS0_4arch9wavefront6targetE0EEEvT1_.uses_flat_scratch, 0
	.set _ZN7rocprim17ROCPRIM_400000_NS6detail17trampoline_kernelINS0_14default_configENS1_27scan_by_key_config_selectorIj11FixedVectorIiLj8EEEEZZNS1_16scan_by_key_implILNS1_25lookback_scan_determinismE0ELb1ES3_N6thrust23THRUST_200600_302600_NS6detail15normal_iteratorINSB_10device_ptrIjEEEENSD_INSE_IS6_EEEESI_S6_NSB_4plusIvEENSB_8equal_toIvEES6_EE10hipError_tPvRmT2_T3_T4_T5_mT6_T7_P12ihipStream_tbENKUlT_T0_E_clISt17integral_constantIbLb0EES12_IbLb1EEEEDaSY_SZ_EUlSY_E_NS1_11comp_targetILNS1_3genE2ELNS1_11target_archE906ELNS1_3gpuE6ELNS1_3repE0EEENS1_30default_config_static_selectorELNS0_4arch9wavefront6targetE0EEEvT1_.has_dyn_sized_stack, 0
	.set _ZN7rocprim17ROCPRIM_400000_NS6detail17trampoline_kernelINS0_14default_configENS1_27scan_by_key_config_selectorIj11FixedVectorIiLj8EEEEZZNS1_16scan_by_key_implILNS1_25lookback_scan_determinismE0ELb1ES3_N6thrust23THRUST_200600_302600_NS6detail15normal_iteratorINSB_10device_ptrIjEEEENSD_INSE_IS6_EEEESI_S6_NSB_4plusIvEENSB_8equal_toIvEES6_EE10hipError_tPvRmT2_T3_T4_T5_mT6_T7_P12ihipStream_tbENKUlT_T0_E_clISt17integral_constantIbLb0EES12_IbLb1EEEEDaSY_SZ_EUlSY_E_NS1_11comp_targetILNS1_3genE2ELNS1_11target_archE906ELNS1_3gpuE6ELNS1_3repE0EEENS1_30default_config_static_selectorELNS0_4arch9wavefront6targetE0EEEvT1_.has_recursion, 0
	.set _ZN7rocprim17ROCPRIM_400000_NS6detail17trampoline_kernelINS0_14default_configENS1_27scan_by_key_config_selectorIj11FixedVectorIiLj8EEEEZZNS1_16scan_by_key_implILNS1_25lookback_scan_determinismE0ELb1ES3_N6thrust23THRUST_200600_302600_NS6detail15normal_iteratorINSB_10device_ptrIjEEEENSD_INSE_IS6_EEEESI_S6_NSB_4plusIvEENSB_8equal_toIvEES6_EE10hipError_tPvRmT2_T3_T4_T5_mT6_T7_P12ihipStream_tbENKUlT_T0_E_clISt17integral_constantIbLb0EES12_IbLb1EEEEDaSY_SZ_EUlSY_E_NS1_11comp_targetILNS1_3genE2ELNS1_11target_archE906ELNS1_3gpuE6ELNS1_3repE0EEENS1_30default_config_static_selectorELNS0_4arch9wavefront6targetE0EEEvT1_.has_indirect_call, 0
	.section	.AMDGPU.csdata,"",@progbits
; Kernel info:
; codeLenInByte = 0
; TotalNumSgprs: 0
; NumVgprs: 0
; ScratchSize: 0
; MemoryBound: 0
; FloatMode: 240
; IeeeMode: 1
; LDSByteSize: 0 bytes/workgroup (compile time only)
; SGPRBlocks: 0
; VGPRBlocks: 0
; NumSGPRsForWavesPerEU: 1
; NumVGPRsForWavesPerEU: 1
; NamedBarCnt: 0
; Occupancy: 16
; WaveLimiterHint : 0
; COMPUTE_PGM_RSRC2:SCRATCH_EN: 0
; COMPUTE_PGM_RSRC2:USER_SGPR: 2
; COMPUTE_PGM_RSRC2:TRAP_HANDLER: 0
; COMPUTE_PGM_RSRC2:TGID_X_EN: 1
; COMPUTE_PGM_RSRC2:TGID_Y_EN: 0
; COMPUTE_PGM_RSRC2:TGID_Z_EN: 0
; COMPUTE_PGM_RSRC2:TIDIG_COMP_CNT: 0
	.section	.text._ZN7rocprim17ROCPRIM_400000_NS6detail17trampoline_kernelINS0_14default_configENS1_27scan_by_key_config_selectorIj11FixedVectorIiLj8EEEEZZNS1_16scan_by_key_implILNS1_25lookback_scan_determinismE0ELb1ES3_N6thrust23THRUST_200600_302600_NS6detail15normal_iteratorINSB_10device_ptrIjEEEENSD_INSE_IS6_EEEESI_S6_NSB_4plusIvEENSB_8equal_toIvEES6_EE10hipError_tPvRmT2_T3_T4_T5_mT6_T7_P12ihipStream_tbENKUlT_T0_E_clISt17integral_constantIbLb0EES12_IbLb1EEEEDaSY_SZ_EUlSY_E_NS1_11comp_targetILNS1_3genE10ELNS1_11target_archE1200ELNS1_3gpuE4ELNS1_3repE0EEENS1_30default_config_static_selectorELNS0_4arch9wavefront6targetE0EEEvT1_,"axG",@progbits,_ZN7rocprim17ROCPRIM_400000_NS6detail17trampoline_kernelINS0_14default_configENS1_27scan_by_key_config_selectorIj11FixedVectorIiLj8EEEEZZNS1_16scan_by_key_implILNS1_25lookback_scan_determinismE0ELb1ES3_N6thrust23THRUST_200600_302600_NS6detail15normal_iteratorINSB_10device_ptrIjEEEENSD_INSE_IS6_EEEESI_S6_NSB_4plusIvEENSB_8equal_toIvEES6_EE10hipError_tPvRmT2_T3_T4_T5_mT6_T7_P12ihipStream_tbENKUlT_T0_E_clISt17integral_constantIbLb0EES12_IbLb1EEEEDaSY_SZ_EUlSY_E_NS1_11comp_targetILNS1_3genE10ELNS1_11target_archE1200ELNS1_3gpuE4ELNS1_3repE0EEENS1_30default_config_static_selectorELNS0_4arch9wavefront6targetE0EEEvT1_,comdat
	.protected	_ZN7rocprim17ROCPRIM_400000_NS6detail17trampoline_kernelINS0_14default_configENS1_27scan_by_key_config_selectorIj11FixedVectorIiLj8EEEEZZNS1_16scan_by_key_implILNS1_25lookback_scan_determinismE0ELb1ES3_N6thrust23THRUST_200600_302600_NS6detail15normal_iteratorINSB_10device_ptrIjEEEENSD_INSE_IS6_EEEESI_S6_NSB_4plusIvEENSB_8equal_toIvEES6_EE10hipError_tPvRmT2_T3_T4_T5_mT6_T7_P12ihipStream_tbENKUlT_T0_E_clISt17integral_constantIbLb0EES12_IbLb1EEEEDaSY_SZ_EUlSY_E_NS1_11comp_targetILNS1_3genE10ELNS1_11target_archE1200ELNS1_3gpuE4ELNS1_3repE0EEENS1_30default_config_static_selectorELNS0_4arch9wavefront6targetE0EEEvT1_ ; -- Begin function _ZN7rocprim17ROCPRIM_400000_NS6detail17trampoline_kernelINS0_14default_configENS1_27scan_by_key_config_selectorIj11FixedVectorIiLj8EEEEZZNS1_16scan_by_key_implILNS1_25lookback_scan_determinismE0ELb1ES3_N6thrust23THRUST_200600_302600_NS6detail15normal_iteratorINSB_10device_ptrIjEEEENSD_INSE_IS6_EEEESI_S6_NSB_4plusIvEENSB_8equal_toIvEES6_EE10hipError_tPvRmT2_T3_T4_T5_mT6_T7_P12ihipStream_tbENKUlT_T0_E_clISt17integral_constantIbLb0EES12_IbLb1EEEEDaSY_SZ_EUlSY_E_NS1_11comp_targetILNS1_3genE10ELNS1_11target_archE1200ELNS1_3gpuE4ELNS1_3repE0EEENS1_30default_config_static_selectorELNS0_4arch9wavefront6targetE0EEEvT1_
	.globl	_ZN7rocprim17ROCPRIM_400000_NS6detail17trampoline_kernelINS0_14default_configENS1_27scan_by_key_config_selectorIj11FixedVectorIiLj8EEEEZZNS1_16scan_by_key_implILNS1_25lookback_scan_determinismE0ELb1ES3_N6thrust23THRUST_200600_302600_NS6detail15normal_iteratorINSB_10device_ptrIjEEEENSD_INSE_IS6_EEEESI_S6_NSB_4plusIvEENSB_8equal_toIvEES6_EE10hipError_tPvRmT2_T3_T4_T5_mT6_T7_P12ihipStream_tbENKUlT_T0_E_clISt17integral_constantIbLb0EES12_IbLb1EEEEDaSY_SZ_EUlSY_E_NS1_11comp_targetILNS1_3genE10ELNS1_11target_archE1200ELNS1_3gpuE4ELNS1_3repE0EEENS1_30default_config_static_selectorELNS0_4arch9wavefront6targetE0EEEvT1_
	.p2align	8
	.type	_ZN7rocprim17ROCPRIM_400000_NS6detail17trampoline_kernelINS0_14default_configENS1_27scan_by_key_config_selectorIj11FixedVectorIiLj8EEEEZZNS1_16scan_by_key_implILNS1_25lookback_scan_determinismE0ELb1ES3_N6thrust23THRUST_200600_302600_NS6detail15normal_iteratorINSB_10device_ptrIjEEEENSD_INSE_IS6_EEEESI_S6_NSB_4plusIvEENSB_8equal_toIvEES6_EE10hipError_tPvRmT2_T3_T4_T5_mT6_T7_P12ihipStream_tbENKUlT_T0_E_clISt17integral_constantIbLb0EES12_IbLb1EEEEDaSY_SZ_EUlSY_E_NS1_11comp_targetILNS1_3genE10ELNS1_11target_archE1200ELNS1_3gpuE4ELNS1_3repE0EEENS1_30default_config_static_selectorELNS0_4arch9wavefront6targetE0EEEvT1_,@function
_ZN7rocprim17ROCPRIM_400000_NS6detail17trampoline_kernelINS0_14default_configENS1_27scan_by_key_config_selectorIj11FixedVectorIiLj8EEEEZZNS1_16scan_by_key_implILNS1_25lookback_scan_determinismE0ELb1ES3_N6thrust23THRUST_200600_302600_NS6detail15normal_iteratorINSB_10device_ptrIjEEEENSD_INSE_IS6_EEEESI_S6_NSB_4plusIvEENSB_8equal_toIvEES6_EE10hipError_tPvRmT2_T3_T4_T5_mT6_T7_P12ihipStream_tbENKUlT_T0_E_clISt17integral_constantIbLb0EES12_IbLb1EEEEDaSY_SZ_EUlSY_E_NS1_11comp_targetILNS1_3genE10ELNS1_11target_archE1200ELNS1_3gpuE4ELNS1_3repE0EEENS1_30default_config_static_selectorELNS0_4arch9wavefront6targetE0EEEvT1_: ; @_ZN7rocprim17ROCPRIM_400000_NS6detail17trampoline_kernelINS0_14default_configENS1_27scan_by_key_config_selectorIj11FixedVectorIiLj8EEEEZZNS1_16scan_by_key_implILNS1_25lookback_scan_determinismE0ELb1ES3_N6thrust23THRUST_200600_302600_NS6detail15normal_iteratorINSB_10device_ptrIjEEEENSD_INSE_IS6_EEEESI_S6_NSB_4plusIvEENSB_8equal_toIvEES6_EE10hipError_tPvRmT2_T3_T4_T5_mT6_T7_P12ihipStream_tbENKUlT_T0_E_clISt17integral_constantIbLb0EES12_IbLb1EEEEDaSY_SZ_EUlSY_E_NS1_11comp_targetILNS1_3genE10ELNS1_11target_archE1200ELNS1_3gpuE4ELNS1_3repE0EEENS1_30default_config_static_selectorELNS0_4arch9wavefront6targetE0EEEvT1_
; %bb.0:
	.section	.rodata,"a",@progbits
	.p2align	6, 0x0
	.amdhsa_kernel _ZN7rocprim17ROCPRIM_400000_NS6detail17trampoline_kernelINS0_14default_configENS1_27scan_by_key_config_selectorIj11FixedVectorIiLj8EEEEZZNS1_16scan_by_key_implILNS1_25lookback_scan_determinismE0ELb1ES3_N6thrust23THRUST_200600_302600_NS6detail15normal_iteratorINSB_10device_ptrIjEEEENSD_INSE_IS6_EEEESI_S6_NSB_4plusIvEENSB_8equal_toIvEES6_EE10hipError_tPvRmT2_T3_T4_T5_mT6_T7_P12ihipStream_tbENKUlT_T0_E_clISt17integral_constantIbLb0EES12_IbLb1EEEEDaSY_SZ_EUlSY_E_NS1_11comp_targetILNS1_3genE10ELNS1_11target_archE1200ELNS1_3gpuE4ELNS1_3repE0EEENS1_30default_config_static_selectorELNS0_4arch9wavefront6targetE0EEEvT1_
		.amdhsa_group_segment_fixed_size 0
		.amdhsa_private_segment_fixed_size 0
		.amdhsa_kernarg_size 160
		.amdhsa_user_sgpr_count 2
		.amdhsa_user_sgpr_dispatch_ptr 0
		.amdhsa_user_sgpr_queue_ptr 0
		.amdhsa_user_sgpr_kernarg_segment_ptr 1
		.amdhsa_user_sgpr_dispatch_id 0
		.amdhsa_user_sgpr_kernarg_preload_length 0
		.amdhsa_user_sgpr_kernarg_preload_offset 0
		.amdhsa_user_sgpr_private_segment_size 0
		.amdhsa_wavefront_size32 1
		.amdhsa_uses_dynamic_stack 0
		.amdhsa_enable_private_segment 0
		.amdhsa_system_sgpr_workgroup_id_x 1
		.amdhsa_system_sgpr_workgroup_id_y 0
		.amdhsa_system_sgpr_workgroup_id_z 0
		.amdhsa_system_sgpr_workgroup_info 0
		.amdhsa_system_vgpr_workitem_id 0
		.amdhsa_next_free_vgpr 1
		.amdhsa_next_free_sgpr 1
		.amdhsa_named_barrier_count 0
		.amdhsa_reserve_vcc 0
		.amdhsa_float_round_mode_32 0
		.amdhsa_float_round_mode_16_64 0
		.amdhsa_float_denorm_mode_32 3
		.amdhsa_float_denorm_mode_16_64 3
		.amdhsa_fp16_overflow 0
		.amdhsa_memory_ordered 1
		.amdhsa_forward_progress 1
		.amdhsa_inst_pref_size 0
		.amdhsa_round_robin_scheduling 0
		.amdhsa_exception_fp_ieee_invalid_op 0
		.amdhsa_exception_fp_denorm_src 0
		.amdhsa_exception_fp_ieee_div_zero 0
		.amdhsa_exception_fp_ieee_overflow 0
		.amdhsa_exception_fp_ieee_underflow 0
		.amdhsa_exception_fp_ieee_inexact 0
		.amdhsa_exception_int_div_zero 0
	.end_amdhsa_kernel
	.section	.text._ZN7rocprim17ROCPRIM_400000_NS6detail17trampoline_kernelINS0_14default_configENS1_27scan_by_key_config_selectorIj11FixedVectorIiLj8EEEEZZNS1_16scan_by_key_implILNS1_25lookback_scan_determinismE0ELb1ES3_N6thrust23THRUST_200600_302600_NS6detail15normal_iteratorINSB_10device_ptrIjEEEENSD_INSE_IS6_EEEESI_S6_NSB_4plusIvEENSB_8equal_toIvEES6_EE10hipError_tPvRmT2_T3_T4_T5_mT6_T7_P12ihipStream_tbENKUlT_T0_E_clISt17integral_constantIbLb0EES12_IbLb1EEEEDaSY_SZ_EUlSY_E_NS1_11comp_targetILNS1_3genE10ELNS1_11target_archE1200ELNS1_3gpuE4ELNS1_3repE0EEENS1_30default_config_static_selectorELNS0_4arch9wavefront6targetE0EEEvT1_,"axG",@progbits,_ZN7rocprim17ROCPRIM_400000_NS6detail17trampoline_kernelINS0_14default_configENS1_27scan_by_key_config_selectorIj11FixedVectorIiLj8EEEEZZNS1_16scan_by_key_implILNS1_25lookback_scan_determinismE0ELb1ES3_N6thrust23THRUST_200600_302600_NS6detail15normal_iteratorINSB_10device_ptrIjEEEENSD_INSE_IS6_EEEESI_S6_NSB_4plusIvEENSB_8equal_toIvEES6_EE10hipError_tPvRmT2_T3_T4_T5_mT6_T7_P12ihipStream_tbENKUlT_T0_E_clISt17integral_constantIbLb0EES12_IbLb1EEEEDaSY_SZ_EUlSY_E_NS1_11comp_targetILNS1_3genE10ELNS1_11target_archE1200ELNS1_3gpuE4ELNS1_3repE0EEENS1_30default_config_static_selectorELNS0_4arch9wavefront6targetE0EEEvT1_,comdat
.Lfunc_end2190:
	.size	_ZN7rocprim17ROCPRIM_400000_NS6detail17trampoline_kernelINS0_14default_configENS1_27scan_by_key_config_selectorIj11FixedVectorIiLj8EEEEZZNS1_16scan_by_key_implILNS1_25lookback_scan_determinismE0ELb1ES3_N6thrust23THRUST_200600_302600_NS6detail15normal_iteratorINSB_10device_ptrIjEEEENSD_INSE_IS6_EEEESI_S6_NSB_4plusIvEENSB_8equal_toIvEES6_EE10hipError_tPvRmT2_T3_T4_T5_mT6_T7_P12ihipStream_tbENKUlT_T0_E_clISt17integral_constantIbLb0EES12_IbLb1EEEEDaSY_SZ_EUlSY_E_NS1_11comp_targetILNS1_3genE10ELNS1_11target_archE1200ELNS1_3gpuE4ELNS1_3repE0EEENS1_30default_config_static_selectorELNS0_4arch9wavefront6targetE0EEEvT1_, .Lfunc_end2190-_ZN7rocprim17ROCPRIM_400000_NS6detail17trampoline_kernelINS0_14default_configENS1_27scan_by_key_config_selectorIj11FixedVectorIiLj8EEEEZZNS1_16scan_by_key_implILNS1_25lookback_scan_determinismE0ELb1ES3_N6thrust23THRUST_200600_302600_NS6detail15normal_iteratorINSB_10device_ptrIjEEEENSD_INSE_IS6_EEEESI_S6_NSB_4plusIvEENSB_8equal_toIvEES6_EE10hipError_tPvRmT2_T3_T4_T5_mT6_T7_P12ihipStream_tbENKUlT_T0_E_clISt17integral_constantIbLb0EES12_IbLb1EEEEDaSY_SZ_EUlSY_E_NS1_11comp_targetILNS1_3genE10ELNS1_11target_archE1200ELNS1_3gpuE4ELNS1_3repE0EEENS1_30default_config_static_selectorELNS0_4arch9wavefront6targetE0EEEvT1_
                                        ; -- End function
	.set _ZN7rocprim17ROCPRIM_400000_NS6detail17trampoline_kernelINS0_14default_configENS1_27scan_by_key_config_selectorIj11FixedVectorIiLj8EEEEZZNS1_16scan_by_key_implILNS1_25lookback_scan_determinismE0ELb1ES3_N6thrust23THRUST_200600_302600_NS6detail15normal_iteratorINSB_10device_ptrIjEEEENSD_INSE_IS6_EEEESI_S6_NSB_4plusIvEENSB_8equal_toIvEES6_EE10hipError_tPvRmT2_T3_T4_T5_mT6_T7_P12ihipStream_tbENKUlT_T0_E_clISt17integral_constantIbLb0EES12_IbLb1EEEEDaSY_SZ_EUlSY_E_NS1_11comp_targetILNS1_3genE10ELNS1_11target_archE1200ELNS1_3gpuE4ELNS1_3repE0EEENS1_30default_config_static_selectorELNS0_4arch9wavefront6targetE0EEEvT1_.num_vgpr, 0
	.set _ZN7rocprim17ROCPRIM_400000_NS6detail17trampoline_kernelINS0_14default_configENS1_27scan_by_key_config_selectorIj11FixedVectorIiLj8EEEEZZNS1_16scan_by_key_implILNS1_25lookback_scan_determinismE0ELb1ES3_N6thrust23THRUST_200600_302600_NS6detail15normal_iteratorINSB_10device_ptrIjEEEENSD_INSE_IS6_EEEESI_S6_NSB_4plusIvEENSB_8equal_toIvEES6_EE10hipError_tPvRmT2_T3_T4_T5_mT6_T7_P12ihipStream_tbENKUlT_T0_E_clISt17integral_constantIbLb0EES12_IbLb1EEEEDaSY_SZ_EUlSY_E_NS1_11comp_targetILNS1_3genE10ELNS1_11target_archE1200ELNS1_3gpuE4ELNS1_3repE0EEENS1_30default_config_static_selectorELNS0_4arch9wavefront6targetE0EEEvT1_.num_agpr, 0
	.set _ZN7rocprim17ROCPRIM_400000_NS6detail17trampoline_kernelINS0_14default_configENS1_27scan_by_key_config_selectorIj11FixedVectorIiLj8EEEEZZNS1_16scan_by_key_implILNS1_25lookback_scan_determinismE0ELb1ES3_N6thrust23THRUST_200600_302600_NS6detail15normal_iteratorINSB_10device_ptrIjEEEENSD_INSE_IS6_EEEESI_S6_NSB_4plusIvEENSB_8equal_toIvEES6_EE10hipError_tPvRmT2_T3_T4_T5_mT6_T7_P12ihipStream_tbENKUlT_T0_E_clISt17integral_constantIbLb0EES12_IbLb1EEEEDaSY_SZ_EUlSY_E_NS1_11comp_targetILNS1_3genE10ELNS1_11target_archE1200ELNS1_3gpuE4ELNS1_3repE0EEENS1_30default_config_static_selectorELNS0_4arch9wavefront6targetE0EEEvT1_.numbered_sgpr, 0
	.set _ZN7rocprim17ROCPRIM_400000_NS6detail17trampoline_kernelINS0_14default_configENS1_27scan_by_key_config_selectorIj11FixedVectorIiLj8EEEEZZNS1_16scan_by_key_implILNS1_25lookback_scan_determinismE0ELb1ES3_N6thrust23THRUST_200600_302600_NS6detail15normal_iteratorINSB_10device_ptrIjEEEENSD_INSE_IS6_EEEESI_S6_NSB_4plusIvEENSB_8equal_toIvEES6_EE10hipError_tPvRmT2_T3_T4_T5_mT6_T7_P12ihipStream_tbENKUlT_T0_E_clISt17integral_constantIbLb0EES12_IbLb1EEEEDaSY_SZ_EUlSY_E_NS1_11comp_targetILNS1_3genE10ELNS1_11target_archE1200ELNS1_3gpuE4ELNS1_3repE0EEENS1_30default_config_static_selectorELNS0_4arch9wavefront6targetE0EEEvT1_.num_named_barrier, 0
	.set _ZN7rocprim17ROCPRIM_400000_NS6detail17trampoline_kernelINS0_14default_configENS1_27scan_by_key_config_selectorIj11FixedVectorIiLj8EEEEZZNS1_16scan_by_key_implILNS1_25lookback_scan_determinismE0ELb1ES3_N6thrust23THRUST_200600_302600_NS6detail15normal_iteratorINSB_10device_ptrIjEEEENSD_INSE_IS6_EEEESI_S6_NSB_4plusIvEENSB_8equal_toIvEES6_EE10hipError_tPvRmT2_T3_T4_T5_mT6_T7_P12ihipStream_tbENKUlT_T0_E_clISt17integral_constantIbLb0EES12_IbLb1EEEEDaSY_SZ_EUlSY_E_NS1_11comp_targetILNS1_3genE10ELNS1_11target_archE1200ELNS1_3gpuE4ELNS1_3repE0EEENS1_30default_config_static_selectorELNS0_4arch9wavefront6targetE0EEEvT1_.private_seg_size, 0
	.set _ZN7rocprim17ROCPRIM_400000_NS6detail17trampoline_kernelINS0_14default_configENS1_27scan_by_key_config_selectorIj11FixedVectorIiLj8EEEEZZNS1_16scan_by_key_implILNS1_25lookback_scan_determinismE0ELb1ES3_N6thrust23THRUST_200600_302600_NS6detail15normal_iteratorINSB_10device_ptrIjEEEENSD_INSE_IS6_EEEESI_S6_NSB_4plusIvEENSB_8equal_toIvEES6_EE10hipError_tPvRmT2_T3_T4_T5_mT6_T7_P12ihipStream_tbENKUlT_T0_E_clISt17integral_constantIbLb0EES12_IbLb1EEEEDaSY_SZ_EUlSY_E_NS1_11comp_targetILNS1_3genE10ELNS1_11target_archE1200ELNS1_3gpuE4ELNS1_3repE0EEENS1_30default_config_static_selectorELNS0_4arch9wavefront6targetE0EEEvT1_.uses_vcc, 0
	.set _ZN7rocprim17ROCPRIM_400000_NS6detail17trampoline_kernelINS0_14default_configENS1_27scan_by_key_config_selectorIj11FixedVectorIiLj8EEEEZZNS1_16scan_by_key_implILNS1_25lookback_scan_determinismE0ELb1ES3_N6thrust23THRUST_200600_302600_NS6detail15normal_iteratorINSB_10device_ptrIjEEEENSD_INSE_IS6_EEEESI_S6_NSB_4plusIvEENSB_8equal_toIvEES6_EE10hipError_tPvRmT2_T3_T4_T5_mT6_T7_P12ihipStream_tbENKUlT_T0_E_clISt17integral_constantIbLb0EES12_IbLb1EEEEDaSY_SZ_EUlSY_E_NS1_11comp_targetILNS1_3genE10ELNS1_11target_archE1200ELNS1_3gpuE4ELNS1_3repE0EEENS1_30default_config_static_selectorELNS0_4arch9wavefront6targetE0EEEvT1_.uses_flat_scratch, 0
	.set _ZN7rocprim17ROCPRIM_400000_NS6detail17trampoline_kernelINS0_14default_configENS1_27scan_by_key_config_selectorIj11FixedVectorIiLj8EEEEZZNS1_16scan_by_key_implILNS1_25lookback_scan_determinismE0ELb1ES3_N6thrust23THRUST_200600_302600_NS6detail15normal_iteratorINSB_10device_ptrIjEEEENSD_INSE_IS6_EEEESI_S6_NSB_4plusIvEENSB_8equal_toIvEES6_EE10hipError_tPvRmT2_T3_T4_T5_mT6_T7_P12ihipStream_tbENKUlT_T0_E_clISt17integral_constantIbLb0EES12_IbLb1EEEEDaSY_SZ_EUlSY_E_NS1_11comp_targetILNS1_3genE10ELNS1_11target_archE1200ELNS1_3gpuE4ELNS1_3repE0EEENS1_30default_config_static_selectorELNS0_4arch9wavefront6targetE0EEEvT1_.has_dyn_sized_stack, 0
	.set _ZN7rocprim17ROCPRIM_400000_NS6detail17trampoline_kernelINS0_14default_configENS1_27scan_by_key_config_selectorIj11FixedVectorIiLj8EEEEZZNS1_16scan_by_key_implILNS1_25lookback_scan_determinismE0ELb1ES3_N6thrust23THRUST_200600_302600_NS6detail15normal_iteratorINSB_10device_ptrIjEEEENSD_INSE_IS6_EEEESI_S6_NSB_4plusIvEENSB_8equal_toIvEES6_EE10hipError_tPvRmT2_T3_T4_T5_mT6_T7_P12ihipStream_tbENKUlT_T0_E_clISt17integral_constantIbLb0EES12_IbLb1EEEEDaSY_SZ_EUlSY_E_NS1_11comp_targetILNS1_3genE10ELNS1_11target_archE1200ELNS1_3gpuE4ELNS1_3repE0EEENS1_30default_config_static_selectorELNS0_4arch9wavefront6targetE0EEEvT1_.has_recursion, 0
	.set _ZN7rocprim17ROCPRIM_400000_NS6detail17trampoline_kernelINS0_14default_configENS1_27scan_by_key_config_selectorIj11FixedVectorIiLj8EEEEZZNS1_16scan_by_key_implILNS1_25lookback_scan_determinismE0ELb1ES3_N6thrust23THRUST_200600_302600_NS6detail15normal_iteratorINSB_10device_ptrIjEEEENSD_INSE_IS6_EEEESI_S6_NSB_4plusIvEENSB_8equal_toIvEES6_EE10hipError_tPvRmT2_T3_T4_T5_mT6_T7_P12ihipStream_tbENKUlT_T0_E_clISt17integral_constantIbLb0EES12_IbLb1EEEEDaSY_SZ_EUlSY_E_NS1_11comp_targetILNS1_3genE10ELNS1_11target_archE1200ELNS1_3gpuE4ELNS1_3repE0EEENS1_30default_config_static_selectorELNS0_4arch9wavefront6targetE0EEEvT1_.has_indirect_call, 0
	.section	.AMDGPU.csdata,"",@progbits
; Kernel info:
; codeLenInByte = 0
; TotalNumSgprs: 0
; NumVgprs: 0
; ScratchSize: 0
; MemoryBound: 0
; FloatMode: 240
; IeeeMode: 1
; LDSByteSize: 0 bytes/workgroup (compile time only)
; SGPRBlocks: 0
; VGPRBlocks: 0
; NumSGPRsForWavesPerEU: 1
; NumVGPRsForWavesPerEU: 1
; NamedBarCnt: 0
; Occupancy: 16
; WaveLimiterHint : 0
; COMPUTE_PGM_RSRC2:SCRATCH_EN: 0
; COMPUTE_PGM_RSRC2:USER_SGPR: 2
; COMPUTE_PGM_RSRC2:TRAP_HANDLER: 0
; COMPUTE_PGM_RSRC2:TGID_X_EN: 1
; COMPUTE_PGM_RSRC2:TGID_Y_EN: 0
; COMPUTE_PGM_RSRC2:TGID_Z_EN: 0
; COMPUTE_PGM_RSRC2:TIDIG_COMP_CNT: 0
	.section	.text._ZN7rocprim17ROCPRIM_400000_NS6detail17trampoline_kernelINS0_14default_configENS1_27scan_by_key_config_selectorIj11FixedVectorIiLj8EEEEZZNS1_16scan_by_key_implILNS1_25lookback_scan_determinismE0ELb1ES3_N6thrust23THRUST_200600_302600_NS6detail15normal_iteratorINSB_10device_ptrIjEEEENSD_INSE_IS6_EEEESI_S6_NSB_4plusIvEENSB_8equal_toIvEES6_EE10hipError_tPvRmT2_T3_T4_T5_mT6_T7_P12ihipStream_tbENKUlT_T0_E_clISt17integral_constantIbLb0EES12_IbLb1EEEEDaSY_SZ_EUlSY_E_NS1_11comp_targetILNS1_3genE9ELNS1_11target_archE1100ELNS1_3gpuE3ELNS1_3repE0EEENS1_30default_config_static_selectorELNS0_4arch9wavefront6targetE0EEEvT1_,"axG",@progbits,_ZN7rocprim17ROCPRIM_400000_NS6detail17trampoline_kernelINS0_14default_configENS1_27scan_by_key_config_selectorIj11FixedVectorIiLj8EEEEZZNS1_16scan_by_key_implILNS1_25lookback_scan_determinismE0ELb1ES3_N6thrust23THRUST_200600_302600_NS6detail15normal_iteratorINSB_10device_ptrIjEEEENSD_INSE_IS6_EEEESI_S6_NSB_4plusIvEENSB_8equal_toIvEES6_EE10hipError_tPvRmT2_T3_T4_T5_mT6_T7_P12ihipStream_tbENKUlT_T0_E_clISt17integral_constantIbLb0EES12_IbLb1EEEEDaSY_SZ_EUlSY_E_NS1_11comp_targetILNS1_3genE9ELNS1_11target_archE1100ELNS1_3gpuE3ELNS1_3repE0EEENS1_30default_config_static_selectorELNS0_4arch9wavefront6targetE0EEEvT1_,comdat
	.protected	_ZN7rocprim17ROCPRIM_400000_NS6detail17trampoline_kernelINS0_14default_configENS1_27scan_by_key_config_selectorIj11FixedVectorIiLj8EEEEZZNS1_16scan_by_key_implILNS1_25lookback_scan_determinismE0ELb1ES3_N6thrust23THRUST_200600_302600_NS6detail15normal_iteratorINSB_10device_ptrIjEEEENSD_INSE_IS6_EEEESI_S6_NSB_4plusIvEENSB_8equal_toIvEES6_EE10hipError_tPvRmT2_T3_T4_T5_mT6_T7_P12ihipStream_tbENKUlT_T0_E_clISt17integral_constantIbLb0EES12_IbLb1EEEEDaSY_SZ_EUlSY_E_NS1_11comp_targetILNS1_3genE9ELNS1_11target_archE1100ELNS1_3gpuE3ELNS1_3repE0EEENS1_30default_config_static_selectorELNS0_4arch9wavefront6targetE0EEEvT1_ ; -- Begin function _ZN7rocprim17ROCPRIM_400000_NS6detail17trampoline_kernelINS0_14default_configENS1_27scan_by_key_config_selectorIj11FixedVectorIiLj8EEEEZZNS1_16scan_by_key_implILNS1_25lookback_scan_determinismE0ELb1ES3_N6thrust23THRUST_200600_302600_NS6detail15normal_iteratorINSB_10device_ptrIjEEEENSD_INSE_IS6_EEEESI_S6_NSB_4plusIvEENSB_8equal_toIvEES6_EE10hipError_tPvRmT2_T3_T4_T5_mT6_T7_P12ihipStream_tbENKUlT_T0_E_clISt17integral_constantIbLb0EES12_IbLb1EEEEDaSY_SZ_EUlSY_E_NS1_11comp_targetILNS1_3genE9ELNS1_11target_archE1100ELNS1_3gpuE3ELNS1_3repE0EEENS1_30default_config_static_selectorELNS0_4arch9wavefront6targetE0EEEvT1_
	.globl	_ZN7rocprim17ROCPRIM_400000_NS6detail17trampoline_kernelINS0_14default_configENS1_27scan_by_key_config_selectorIj11FixedVectorIiLj8EEEEZZNS1_16scan_by_key_implILNS1_25lookback_scan_determinismE0ELb1ES3_N6thrust23THRUST_200600_302600_NS6detail15normal_iteratorINSB_10device_ptrIjEEEENSD_INSE_IS6_EEEESI_S6_NSB_4plusIvEENSB_8equal_toIvEES6_EE10hipError_tPvRmT2_T3_T4_T5_mT6_T7_P12ihipStream_tbENKUlT_T0_E_clISt17integral_constantIbLb0EES12_IbLb1EEEEDaSY_SZ_EUlSY_E_NS1_11comp_targetILNS1_3genE9ELNS1_11target_archE1100ELNS1_3gpuE3ELNS1_3repE0EEENS1_30default_config_static_selectorELNS0_4arch9wavefront6targetE0EEEvT1_
	.p2align	8
	.type	_ZN7rocprim17ROCPRIM_400000_NS6detail17trampoline_kernelINS0_14default_configENS1_27scan_by_key_config_selectorIj11FixedVectorIiLj8EEEEZZNS1_16scan_by_key_implILNS1_25lookback_scan_determinismE0ELb1ES3_N6thrust23THRUST_200600_302600_NS6detail15normal_iteratorINSB_10device_ptrIjEEEENSD_INSE_IS6_EEEESI_S6_NSB_4plusIvEENSB_8equal_toIvEES6_EE10hipError_tPvRmT2_T3_T4_T5_mT6_T7_P12ihipStream_tbENKUlT_T0_E_clISt17integral_constantIbLb0EES12_IbLb1EEEEDaSY_SZ_EUlSY_E_NS1_11comp_targetILNS1_3genE9ELNS1_11target_archE1100ELNS1_3gpuE3ELNS1_3repE0EEENS1_30default_config_static_selectorELNS0_4arch9wavefront6targetE0EEEvT1_,@function
_ZN7rocprim17ROCPRIM_400000_NS6detail17trampoline_kernelINS0_14default_configENS1_27scan_by_key_config_selectorIj11FixedVectorIiLj8EEEEZZNS1_16scan_by_key_implILNS1_25lookback_scan_determinismE0ELb1ES3_N6thrust23THRUST_200600_302600_NS6detail15normal_iteratorINSB_10device_ptrIjEEEENSD_INSE_IS6_EEEESI_S6_NSB_4plusIvEENSB_8equal_toIvEES6_EE10hipError_tPvRmT2_T3_T4_T5_mT6_T7_P12ihipStream_tbENKUlT_T0_E_clISt17integral_constantIbLb0EES12_IbLb1EEEEDaSY_SZ_EUlSY_E_NS1_11comp_targetILNS1_3genE9ELNS1_11target_archE1100ELNS1_3gpuE3ELNS1_3repE0EEENS1_30default_config_static_selectorELNS0_4arch9wavefront6targetE0EEEvT1_: ; @_ZN7rocprim17ROCPRIM_400000_NS6detail17trampoline_kernelINS0_14default_configENS1_27scan_by_key_config_selectorIj11FixedVectorIiLj8EEEEZZNS1_16scan_by_key_implILNS1_25lookback_scan_determinismE0ELb1ES3_N6thrust23THRUST_200600_302600_NS6detail15normal_iteratorINSB_10device_ptrIjEEEENSD_INSE_IS6_EEEESI_S6_NSB_4plusIvEENSB_8equal_toIvEES6_EE10hipError_tPvRmT2_T3_T4_T5_mT6_T7_P12ihipStream_tbENKUlT_T0_E_clISt17integral_constantIbLb0EES12_IbLb1EEEEDaSY_SZ_EUlSY_E_NS1_11comp_targetILNS1_3genE9ELNS1_11target_archE1100ELNS1_3gpuE3ELNS1_3repE0EEENS1_30default_config_static_selectorELNS0_4arch9wavefront6targetE0EEEvT1_
; %bb.0:
	.section	.rodata,"a",@progbits
	.p2align	6, 0x0
	.amdhsa_kernel _ZN7rocprim17ROCPRIM_400000_NS6detail17trampoline_kernelINS0_14default_configENS1_27scan_by_key_config_selectorIj11FixedVectorIiLj8EEEEZZNS1_16scan_by_key_implILNS1_25lookback_scan_determinismE0ELb1ES3_N6thrust23THRUST_200600_302600_NS6detail15normal_iteratorINSB_10device_ptrIjEEEENSD_INSE_IS6_EEEESI_S6_NSB_4plusIvEENSB_8equal_toIvEES6_EE10hipError_tPvRmT2_T3_T4_T5_mT6_T7_P12ihipStream_tbENKUlT_T0_E_clISt17integral_constantIbLb0EES12_IbLb1EEEEDaSY_SZ_EUlSY_E_NS1_11comp_targetILNS1_3genE9ELNS1_11target_archE1100ELNS1_3gpuE3ELNS1_3repE0EEENS1_30default_config_static_selectorELNS0_4arch9wavefront6targetE0EEEvT1_
		.amdhsa_group_segment_fixed_size 0
		.amdhsa_private_segment_fixed_size 0
		.amdhsa_kernarg_size 160
		.amdhsa_user_sgpr_count 2
		.amdhsa_user_sgpr_dispatch_ptr 0
		.amdhsa_user_sgpr_queue_ptr 0
		.amdhsa_user_sgpr_kernarg_segment_ptr 1
		.amdhsa_user_sgpr_dispatch_id 0
		.amdhsa_user_sgpr_kernarg_preload_length 0
		.amdhsa_user_sgpr_kernarg_preload_offset 0
		.amdhsa_user_sgpr_private_segment_size 0
		.amdhsa_wavefront_size32 1
		.amdhsa_uses_dynamic_stack 0
		.amdhsa_enable_private_segment 0
		.amdhsa_system_sgpr_workgroup_id_x 1
		.amdhsa_system_sgpr_workgroup_id_y 0
		.amdhsa_system_sgpr_workgroup_id_z 0
		.amdhsa_system_sgpr_workgroup_info 0
		.amdhsa_system_vgpr_workitem_id 0
		.amdhsa_next_free_vgpr 1
		.amdhsa_next_free_sgpr 1
		.amdhsa_named_barrier_count 0
		.amdhsa_reserve_vcc 0
		.amdhsa_float_round_mode_32 0
		.amdhsa_float_round_mode_16_64 0
		.amdhsa_float_denorm_mode_32 3
		.amdhsa_float_denorm_mode_16_64 3
		.amdhsa_fp16_overflow 0
		.amdhsa_memory_ordered 1
		.amdhsa_forward_progress 1
		.amdhsa_inst_pref_size 0
		.amdhsa_round_robin_scheduling 0
		.amdhsa_exception_fp_ieee_invalid_op 0
		.amdhsa_exception_fp_denorm_src 0
		.amdhsa_exception_fp_ieee_div_zero 0
		.amdhsa_exception_fp_ieee_overflow 0
		.amdhsa_exception_fp_ieee_underflow 0
		.amdhsa_exception_fp_ieee_inexact 0
		.amdhsa_exception_int_div_zero 0
	.end_amdhsa_kernel
	.section	.text._ZN7rocprim17ROCPRIM_400000_NS6detail17trampoline_kernelINS0_14default_configENS1_27scan_by_key_config_selectorIj11FixedVectorIiLj8EEEEZZNS1_16scan_by_key_implILNS1_25lookback_scan_determinismE0ELb1ES3_N6thrust23THRUST_200600_302600_NS6detail15normal_iteratorINSB_10device_ptrIjEEEENSD_INSE_IS6_EEEESI_S6_NSB_4plusIvEENSB_8equal_toIvEES6_EE10hipError_tPvRmT2_T3_T4_T5_mT6_T7_P12ihipStream_tbENKUlT_T0_E_clISt17integral_constantIbLb0EES12_IbLb1EEEEDaSY_SZ_EUlSY_E_NS1_11comp_targetILNS1_3genE9ELNS1_11target_archE1100ELNS1_3gpuE3ELNS1_3repE0EEENS1_30default_config_static_selectorELNS0_4arch9wavefront6targetE0EEEvT1_,"axG",@progbits,_ZN7rocprim17ROCPRIM_400000_NS6detail17trampoline_kernelINS0_14default_configENS1_27scan_by_key_config_selectorIj11FixedVectorIiLj8EEEEZZNS1_16scan_by_key_implILNS1_25lookback_scan_determinismE0ELb1ES3_N6thrust23THRUST_200600_302600_NS6detail15normal_iteratorINSB_10device_ptrIjEEEENSD_INSE_IS6_EEEESI_S6_NSB_4plusIvEENSB_8equal_toIvEES6_EE10hipError_tPvRmT2_T3_T4_T5_mT6_T7_P12ihipStream_tbENKUlT_T0_E_clISt17integral_constantIbLb0EES12_IbLb1EEEEDaSY_SZ_EUlSY_E_NS1_11comp_targetILNS1_3genE9ELNS1_11target_archE1100ELNS1_3gpuE3ELNS1_3repE0EEENS1_30default_config_static_selectorELNS0_4arch9wavefront6targetE0EEEvT1_,comdat
.Lfunc_end2191:
	.size	_ZN7rocprim17ROCPRIM_400000_NS6detail17trampoline_kernelINS0_14default_configENS1_27scan_by_key_config_selectorIj11FixedVectorIiLj8EEEEZZNS1_16scan_by_key_implILNS1_25lookback_scan_determinismE0ELb1ES3_N6thrust23THRUST_200600_302600_NS6detail15normal_iteratorINSB_10device_ptrIjEEEENSD_INSE_IS6_EEEESI_S6_NSB_4plusIvEENSB_8equal_toIvEES6_EE10hipError_tPvRmT2_T3_T4_T5_mT6_T7_P12ihipStream_tbENKUlT_T0_E_clISt17integral_constantIbLb0EES12_IbLb1EEEEDaSY_SZ_EUlSY_E_NS1_11comp_targetILNS1_3genE9ELNS1_11target_archE1100ELNS1_3gpuE3ELNS1_3repE0EEENS1_30default_config_static_selectorELNS0_4arch9wavefront6targetE0EEEvT1_, .Lfunc_end2191-_ZN7rocprim17ROCPRIM_400000_NS6detail17trampoline_kernelINS0_14default_configENS1_27scan_by_key_config_selectorIj11FixedVectorIiLj8EEEEZZNS1_16scan_by_key_implILNS1_25lookback_scan_determinismE0ELb1ES3_N6thrust23THRUST_200600_302600_NS6detail15normal_iteratorINSB_10device_ptrIjEEEENSD_INSE_IS6_EEEESI_S6_NSB_4plusIvEENSB_8equal_toIvEES6_EE10hipError_tPvRmT2_T3_T4_T5_mT6_T7_P12ihipStream_tbENKUlT_T0_E_clISt17integral_constantIbLb0EES12_IbLb1EEEEDaSY_SZ_EUlSY_E_NS1_11comp_targetILNS1_3genE9ELNS1_11target_archE1100ELNS1_3gpuE3ELNS1_3repE0EEENS1_30default_config_static_selectorELNS0_4arch9wavefront6targetE0EEEvT1_
                                        ; -- End function
	.set _ZN7rocprim17ROCPRIM_400000_NS6detail17trampoline_kernelINS0_14default_configENS1_27scan_by_key_config_selectorIj11FixedVectorIiLj8EEEEZZNS1_16scan_by_key_implILNS1_25lookback_scan_determinismE0ELb1ES3_N6thrust23THRUST_200600_302600_NS6detail15normal_iteratorINSB_10device_ptrIjEEEENSD_INSE_IS6_EEEESI_S6_NSB_4plusIvEENSB_8equal_toIvEES6_EE10hipError_tPvRmT2_T3_T4_T5_mT6_T7_P12ihipStream_tbENKUlT_T0_E_clISt17integral_constantIbLb0EES12_IbLb1EEEEDaSY_SZ_EUlSY_E_NS1_11comp_targetILNS1_3genE9ELNS1_11target_archE1100ELNS1_3gpuE3ELNS1_3repE0EEENS1_30default_config_static_selectorELNS0_4arch9wavefront6targetE0EEEvT1_.num_vgpr, 0
	.set _ZN7rocprim17ROCPRIM_400000_NS6detail17trampoline_kernelINS0_14default_configENS1_27scan_by_key_config_selectorIj11FixedVectorIiLj8EEEEZZNS1_16scan_by_key_implILNS1_25lookback_scan_determinismE0ELb1ES3_N6thrust23THRUST_200600_302600_NS6detail15normal_iteratorINSB_10device_ptrIjEEEENSD_INSE_IS6_EEEESI_S6_NSB_4plusIvEENSB_8equal_toIvEES6_EE10hipError_tPvRmT2_T3_T4_T5_mT6_T7_P12ihipStream_tbENKUlT_T0_E_clISt17integral_constantIbLb0EES12_IbLb1EEEEDaSY_SZ_EUlSY_E_NS1_11comp_targetILNS1_3genE9ELNS1_11target_archE1100ELNS1_3gpuE3ELNS1_3repE0EEENS1_30default_config_static_selectorELNS0_4arch9wavefront6targetE0EEEvT1_.num_agpr, 0
	.set _ZN7rocprim17ROCPRIM_400000_NS6detail17trampoline_kernelINS0_14default_configENS1_27scan_by_key_config_selectorIj11FixedVectorIiLj8EEEEZZNS1_16scan_by_key_implILNS1_25lookback_scan_determinismE0ELb1ES3_N6thrust23THRUST_200600_302600_NS6detail15normal_iteratorINSB_10device_ptrIjEEEENSD_INSE_IS6_EEEESI_S6_NSB_4plusIvEENSB_8equal_toIvEES6_EE10hipError_tPvRmT2_T3_T4_T5_mT6_T7_P12ihipStream_tbENKUlT_T0_E_clISt17integral_constantIbLb0EES12_IbLb1EEEEDaSY_SZ_EUlSY_E_NS1_11comp_targetILNS1_3genE9ELNS1_11target_archE1100ELNS1_3gpuE3ELNS1_3repE0EEENS1_30default_config_static_selectorELNS0_4arch9wavefront6targetE0EEEvT1_.numbered_sgpr, 0
	.set _ZN7rocprim17ROCPRIM_400000_NS6detail17trampoline_kernelINS0_14default_configENS1_27scan_by_key_config_selectorIj11FixedVectorIiLj8EEEEZZNS1_16scan_by_key_implILNS1_25lookback_scan_determinismE0ELb1ES3_N6thrust23THRUST_200600_302600_NS6detail15normal_iteratorINSB_10device_ptrIjEEEENSD_INSE_IS6_EEEESI_S6_NSB_4plusIvEENSB_8equal_toIvEES6_EE10hipError_tPvRmT2_T3_T4_T5_mT6_T7_P12ihipStream_tbENKUlT_T0_E_clISt17integral_constantIbLb0EES12_IbLb1EEEEDaSY_SZ_EUlSY_E_NS1_11comp_targetILNS1_3genE9ELNS1_11target_archE1100ELNS1_3gpuE3ELNS1_3repE0EEENS1_30default_config_static_selectorELNS0_4arch9wavefront6targetE0EEEvT1_.num_named_barrier, 0
	.set _ZN7rocprim17ROCPRIM_400000_NS6detail17trampoline_kernelINS0_14default_configENS1_27scan_by_key_config_selectorIj11FixedVectorIiLj8EEEEZZNS1_16scan_by_key_implILNS1_25lookback_scan_determinismE0ELb1ES3_N6thrust23THRUST_200600_302600_NS6detail15normal_iteratorINSB_10device_ptrIjEEEENSD_INSE_IS6_EEEESI_S6_NSB_4plusIvEENSB_8equal_toIvEES6_EE10hipError_tPvRmT2_T3_T4_T5_mT6_T7_P12ihipStream_tbENKUlT_T0_E_clISt17integral_constantIbLb0EES12_IbLb1EEEEDaSY_SZ_EUlSY_E_NS1_11comp_targetILNS1_3genE9ELNS1_11target_archE1100ELNS1_3gpuE3ELNS1_3repE0EEENS1_30default_config_static_selectorELNS0_4arch9wavefront6targetE0EEEvT1_.private_seg_size, 0
	.set _ZN7rocprim17ROCPRIM_400000_NS6detail17trampoline_kernelINS0_14default_configENS1_27scan_by_key_config_selectorIj11FixedVectorIiLj8EEEEZZNS1_16scan_by_key_implILNS1_25lookback_scan_determinismE0ELb1ES3_N6thrust23THRUST_200600_302600_NS6detail15normal_iteratorINSB_10device_ptrIjEEEENSD_INSE_IS6_EEEESI_S6_NSB_4plusIvEENSB_8equal_toIvEES6_EE10hipError_tPvRmT2_T3_T4_T5_mT6_T7_P12ihipStream_tbENKUlT_T0_E_clISt17integral_constantIbLb0EES12_IbLb1EEEEDaSY_SZ_EUlSY_E_NS1_11comp_targetILNS1_3genE9ELNS1_11target_archE1100ELNS1_3gpuE3ELNS1_3repE0EEENS1_30default_config_static_selectorELNS0_4arch9wavefront6targetE0EEEvT1_.uses_vcc, 0
	.set _ZN7rocprim17ROCPRIM_400000_NS6detail17trampoline_kernelINS0_14default_configENS1_27scan_by_key_config_selectorIj11FixedVectorIiLj8EEEEZZNS1_16scan_by_key_implILNS1_25lookback_scan_determinismE0ELb1ES3_N6thrust23THRUST_200600_302600_NS6detail15normal_iteratorINSB_10device_ptrIjEEEENSD_INSE_IS6_EEEESI_S6_NSB_4plusIvEENSB_8equal_toIvEES6_EE10hipError_tPvRmT2_T3_T4_T5_mT6_T7_P12ihipStream_tbENKUlT_T0_E_clISt17integral_constantIbLb0EES12_IbLb1EEEEDaSY_SZ_EUlSY_E_NS1_11comp_targetILNS1_3genE9ELNS1_11target_archE1100ELNS1_3gpuE3ELNS1_3repE0EEENS1_30default_config_static_selectorELNS0_4arch9wavefront6targetE0EEEvT1_.uses_flat_scratch, 0
	.set _ZN7rocprim17ROCPRIM_400000_NS6detail17trampoline_kernelINS0_14default_configENS1_27scan_by_key_config_selectorIj11FixedVectorIiLj8EEEEZZNS1_16scan_by_key_implILNS1_25lookback_scan_determinismE0ELb1ES3_N6thrust23THRUST_200600_302600_NS6detail15normal_iteratorINSB_10device_ptrIjEEEENSD_INSE_IS6_EEEESI_S6_NSB_4plusIvEENSB_8equal_toIvEES6_EE10hipError_tPvRmT2_T3_T4_T5_mT6_T7_P12ihipStream_tbENKUlT_T0_E_clISt17integral_constantIbLb0EES12_IbLb1EEEEDaSY_SZ_EUlSY_E_NS1_11comp_targetILNS1_3genE9ELNS1_11target_archE1100ELNS1_3gpuE3ELNS1_3repE0EEENS1_30default_config_static_selectorELNS0_4arch9wavefront6targetE0EEEvT1_.has_dyn_sized_stack, 0
	.set _ZN7rocprim17ROCPRIM_400000_NS6detail17trampoline_kernelINS0_14default_configENS1_27scan_by_key_config_selectorIj11FixedVectorIiLj8EEEEZZNS1_16scan_by_key_implILNS1_25lookback_scan_determinismE0ELb1ES3_N6thrust23THRUST_200600_302600_NS6detail15normal_iteratorINSB_10device_ptrIjEEEENSD_INSE_IS6_EEEESI_S6_NSB_4plusIvEENSB_8equal_toIvEES6_EE10hipError_tPvRmT2_T3_T4_T5_mT6_T7_P12ihipStream_tbENKUlT_T0_E_clISt17integral_constantIbLb0EES12_IbLb1EEEEDaSY_SZ_EUlSY_E_NS1_11comp_targetILNS1_3genE9ELNS1_11target_archE1100ELNS1_3gpuE3ELNS1_3repE0EEENS1_30default_config_static_selectorELNS0_4arch9wavefront6targetE0EEEvT1_.has_recursion, 0
	.set _ZN7rocprim17ROCPRIM_400000_NS6detail17trampoline_kernelINS0_14default_configENS1_27scan_by_key_config_selectorIj11FixedVectorIiLj8EEEEZZNS1_16scan_by_key_implILNS1_25lookback_scan_determinismE0ELb1ES3_N6thrust23THRUST_200600_302600_NS6detail15normal_iteratorINSB_10device_ptrIjEEEENSD_INSE_IS6_EEEESI_S6_NSB_4plusIvEENSB_8equal_toIvEES6_EE10hipError_tPvRmT2_T3_T4_T5_mT6_T7_P12ihipStream_tbENKUlT_T0_E_clISt17integral_constantIbLb0EES12_IbLb1EEEEDaSY_SZ_EUlSY_E_NS1_11comp_targetILNS1_3genE9ELNS1_11target_archE1100ELNS1_3gpuE3ELNS1_3repE0EEENS1_30default_config_static_selectorELNS0_4arch9wavefront6targetE0EEEvT1_.has_indirect_call, 0
	.section	.AMDGPU.csdata,"",@progbits
; Kernel info:
; codeLenInByte = 0
; TotalNumSgprs: 0
; NumVgprs: 0
; ScratchSize: 0
; MemoryBound: 0
; FloatMode: 240
; IeeeMode: 1
; LDSByteSize: 0 bytes/workgroup (compile time only)
; SGPRBlocks: 0
; VGPRBlocks: 0
; NumSGPRsForWavesPerEU: 1
; NumVGPRsForWavesPerEU: 1
; NamedBarCnt: 0
; Occupancy: 16
; WaveLimiterHint : 0
; COMPUTE_PGM_RSRC2:SCRATCH_EN: 0
; COMPUTE_PGM_RSRC2:USER_SGPR: 2
; COMPUTE_PGM_RSRC2:TRAP_HANDLER: 0
; COMPUTE_PGM_RSRC2:TGID_X_EN: 1
; COMPUTE_PGM_RSRC2:TGID_Y_EN: 0
; COMPUTE_PGM_RSRC2:TGID_Z_EN: 0
; COMPUTE_PGM_RSRC2:TIDIG_COMP_CNT: 0
	.section	.text._ZN7rocprim17ROCPRIM_400000_NS6detail17trampoline_kernelINS0_14default_configENS1_27scan_by_key_config_selectorIj11FixedVectorIiLj8EEEEZZNS1_16scan_by_key_implILNS1_25lookback_scan_determinismE0ELb1ES3_N6thrust23THRUST_200600_302600_NS6detail15normal_iteratorINSB_10device_ptrIjEEEENSD_INSE_IS6_EEEESI_S6_NSB_4plusIvEENSB_8equal_toIvEES6_EE10hipError_tPvRmT2_T3_T4_T5_mT6_T7_P12ihipStream_tbENKUlT_T0_E_clISt17integral_constantIbLb0EES12_IbLb1EEEEDaSY_SZ_EUlSY_E_NS1_11comp_targetILNS1_3genE8ELNS1_11target_archE1030ELNS1_3gpuE2ELNS1_3repE0EEENS1_30default_config_static_selectorELNS0_4arch9wavefront6targetE0EEEvT1_,"axG",@progbits,_ZN7rocprim17ROCPRIM_400000_NS6detail17trampoline_kernelINS0_14default_configENS1_27scan_by_key_config_selectorIj11FixedVectorIiLj8EEEEZZNS1_16scan_by_key_implILNS1_25lookback_scan_determinismE0ELb1ES3_N6thrust23THRUST_200600_302600_NS6detail15normal_iteratorINSB_10device_ptrIjEEEENSD_INSE_IS6_EEEESI_S6_NSB_4plusIvEENSB_8equal_toIvEES6_EE10hipError_tPvRmT2_T3_T4_T5_mT6_T7_P12ihipStream_tbENKUlT_T0_E_clISt17integral_constantIbLb0EES12_IbLb1EEEEDaSY_SZ_EUlSY_E_NS1_11comp_targetILNS1_3genE8ELNS1_11target_archE1030ELNS1_3gpuE2ELNS1_3repE0EEENS1_30default_config_static_selectorELNS0_4arch9wavefront6targetE0EEEvT1_,comdat
	.protected	_ZN7rocprim17ROCPRIM_400000_NS6detail17trampoline_kernelINS0_14default_configENS1_27scan_by_key_config_selectorIj11FixedVectorIiLj8EEEEZZNS1_16scan_by_key_implILNS1_25lookback_scan_determinismE0ELb1ES3_N6thrust23THRUST_200600_302600_NS6detail15normal_iteratorINSB_10device_ptrIjEEEENSD_INSE_IS6_EEEESI_S6_NSB_4plusIvEENSB_8equal_toIvEES6_EE10hipError_tPvRmT2_T3_T4_T5_mT6_T7_P12ihipStream_tbENKUlT_T0_E_clISt17integral_constantIbLb0EES12_IbLb1EEEEDaSY_SZ_EUlSY_E_NS1_11comp_targetILNS1_3genE8ELNS1_11target_archE1030ELNS1_3gpuE2ELNS1_3repE0EEENS1_30default_config_static_selectorELNS0_4arch9wavefront6targetE0EEEvT1_ ; -- Begin function _ZN7rocprim17ROCPRIM_400000_NS6detail17trampoline_kernelINS0_14default_configENS1_27scan_by_key_config_selectorIj11FixedVectorIiLj8EEEEZZNS1_16scan_by_key_implILNS1_25lookback_scan_determinismE0ELb1ES3_N6thrust23THRUST_200600_302600_NS6detail15normal_iteratorINSB_10device_ptrIjEEEENSD_INSE_IS6_EEEESI_S6_NSB_4plusIvEENSB_8equal_toIvEES6_EE10hipError_tPvRmT2_T3_T4_T5_mT6_T7_P12ihipStream_tbENKUlT_T0_E_clISt17integral_constantIbLb0EES12_IbLb1EEEEDaSY_SZ_EUlSY_E_NS1_11comp_targetILNS1_3genE8ELNS1_11target_archE1030ELNS1_3gpuE2ELNS1_3repE0EEENS1_30default_config_static_selectorELNS0_4arch9wavefront6targetE0EEEvT1_
	.globl	_ZN7rocprim17ROCPRIM_400000_NS6detail17trampoline_kernelINS0_14default_configENS1_27scan_by_key_config_selectorIj11FixedVectorIiLj8EEEEZZNS1_16scan_by_key_implILNS1_25lookback_scan_determinismE0ELb1ES3_N6thrust23THRUST_200600_302600_NS6detail15normal_iteratorINSB_10device_ptrIjEEEENSD_INSE_IS6_EEEESI_S6_NSB_4plusIvEENSB_8equal_toIvEES6_EE10hipError_tPvRmT2_T3_T4_T5_mT6_T7_P12ihipStream_tbENKUlT_T0_E_clISt17integral_constantIbLb0EES12_IbLb1EEEEDaSY_SZ_EUlSY_E_NS1_11comp_targetILNS1_3genE8ELNS1_11target_archE1030ELNS1_3gpuE2ELNS1_3repE0EEENS1_30default_config_static_selectorELNS0_4arch9wavefront6targetE0EEEvT1_
	.p2align	8
	.type	_ZN7rocprim17ROCPRIM_400000_NS6detail17trampoline_kernelINS0_14default_configENS1_27scan_by_key_config_selectorIj11FixedVectorIiLj8EEEEZZNS1_16scan_by_key_implILNS1_25lookback_scan_determinismE0ELb1ES3_N6thrust23THRUST_200600_302600_NS6detail15normal_iteratorINSB_10device_ptrIjEEEENSD_INSE_IS6_EEEESI_S6_NSB_4plusIvEENSB_8equal_toIvEES6_EE10hipError_tPvRmT2_T3_T4_T5_mT6_T7_P12ihipStream_tbENKUlT_T0_E_clISt17integral_constantIbLb0EES12_IbLb1EEEEDaSY_SZ_EUlSY_E_NS1_11comp_targetILNS1_3genE8ELNS1_11target_archE1030ELNS1_3gpuE2ELNS1_3repE0EEENS1_30default_config_static_selectorELNS0_4arch9wavefront6targetE0EEEvT1_,@function
_ZN7rocprim17ROCPRIM_400000_NS6detail17trampoline_kernelINS0_14default_configENS1_27scan_by_key_config_selectorIj11FixedVectorIiLj8EEEEZZNS1_16scan_by_key_implILNS1_25lookback_scan_determinismE0ELb1ES3_N6thrust23THRUST_200600_302600_NS6detail15normal_iteratorINSB_10device_ptrIjEEEENSD_INSE_IS6_EEEESI_S6_NSB_4plusIvEENSB_8equal_toIvEES6_EE10hipError_tPvRmT2_T3_T4_T5_mT6_T7_P12ihipStream_tbENKUlT_T0_E_clISt17integral_constantIbLb0EES12_IbLb1EEEEDaSY_SZ_EUlSY_E_NS1_11comp_targetILNS1_3genE8ELNS1_11target_archE1030ELNS1_3gpuE2ELNS1_3repE0EEENS1_30default_config_static_selectorELNS0_4arch9wavefront6targetE0EEEvT1_: ; @_ZN7rocprim17ROCPRIM_400000_NS6detail17trampoline_kernelINS0_14default_configENS1_27scan_by_key_config_selectorIj11FixedVectorIiLj8EEEEZZNS1_16scan_by_key_implILNS1_25lookback_scan_determinismE0ELb1ES3_N6thrust23THRUST_200600_302600_NS6detail15normal_iteratorINSB_10device_ptrIjEEEENSD_INSE_IS6_EEEESI_S6_NSB_4plusIvEENSB_8equal_toIvEES6_EE10hipError_tPvRmT2_T3_T4_T5_mT6_T7_P12ihipStream_tbENKUlT_T0_E_clISt17integral_constantIbLb0EES12_IbLb1EEEEDaSY_SZ_EUlSY_E_NS1_11comp_targetILNS1_3genE8ELNS1_11target_archE1030ELNS1_3gpuE2ELNS1_3repE0EEENS1_30default_config_static_selectorELNS0_4arch9wavefront6targetE0EEEvT1_
; %bb.0:
	.section	.rodata,"a",@progbits
	.p2align	6, 0x0
	.amdhsa_kernel _ZN7rocprim17ROCPRIM_400000_NS6detail17trampoline_kernelINS0_14default_configENS1_27scan_by_key_config_selectorIj11FixedVectorIiLj8EEEEZZNS1_16scan_by_key_implILNS1_25lookback_scan_determinismE0ELb1ES3_N6thrust23THRUST_200600_302600_NS6detail15normal_iteratorINSB_10device_ptrIjEEEENSD_INSE_IS6_EEEESI_S6_NSB_4plusIvEENSB_8equal_toIvEES6_EE10hipError_tPvRmT2_T3_T4_T5_mT6_T7_P12ihipStream_tbENKUlT_T0_E_clISt17integral_constantIbLb0EES12_IbLb1EEEEDaSY_SZ_EUlSY_E_NS1_11comp_targetILNS1_3genE8ELNS1_11target_archE1030ELNS1_3gpuE2ELNS1_3repE0EEENS1_30default_config_static_selectorELNS0_4arch9wavefront6targetE0EEEvT1_
		.amdhsa_group_segment_fixed_size 0
		.amdhsa_private_segment_fixed_size 0
		.amdhsa_kernarg_size 160
		.amdhsa_user_sgpr_count 2
		.amdhsa_user_sgpr_dispatch_ptr 0
		.amdhsa_user_sgpr_queue_ptr 0
		.amdhsa_user_sgpr_kernarg_segment_ptr 1
		.amdhsa_user_sgpr_dispatch_id 0
		.amdhsa_user_sgpr_kernarg_preload_length 0
		.amdhsa_user_sgpr_kernarg_preload_offset 0
		.amdhsa_user_sgpr_private_segment_size 0
		.amdhsa_wavefront_size32 1
		.amdhsa_uses_dynamic_stack 0
		.amdhsa_enable_private_segment 0
		.amdhsa_system_sgpr_workgroup_id_x 1
		.amdhsa_system_sgpr_workgroup_id_y 0
		.amdhsa_system_sgpr_workgroup_id_z 0
		.amdhsa_system_sgpr_workgroup_info 0
		.amdhsa_system_vgpr_workitem_id 0
		.amdhsa_next_free_vgpr 1
		.amdhsa_next_free_sgpr 1
		.amdhsa_named_barrier_count 0
		.amdhsa_reserve_vcc 0
		.amdhsa_float_round_mode_32 0
		.amdhsa_float_round_mode_16_64 0
		.amdhsa_float_denorm_mode_32 3
		.amdhsa_float_denorm_mode_16_64 3
		.amdhsa_fp16_overflow 0
		.amdhsa_memory_ordered 1
		.amdhsa_forward_progress 1
		.amdhsa_inst_pref_size 0
		.amdhsa_round_robin_scheduling 0
		.amdhsa_exception_fp_ieee_invalid_op 0
		.amdhsa_exception_fp_denorm_src 0
		.amdhsa_exception_fp_ieee_div_zero 0
		.amdhsa_exception_fp_ieee_overflow 0
		.amdhsa_exception_fp_ieee_underflow 0
		.amdhsa_exception_fp_ieee_inexact 0
		.amdhsa_exception_int_div_zero 0
	.end_amdhsa_kernel
	.section	.text._ZN7rocprim17ROCPRIM_400000_NS6detail17trampoline_kernelINS0_14default_configENS1_27scan_by_key_config_selectorIj11FixedVectorIiLj8EEEEZZNS1_16scan_by_key_implILNS1_25lookback_scan_determinismE0ELb1ES3_N6thrust23THRUST_200600_302600_NS6detail15normal_iteratorINSB_10device_ptrIjEEEENSD_INSE_IS6_EEEESI_S6_NSB_4plusIvEENSB_8equal_toIvEES6_EE10hipError_tPvRmT2_T3_T4_T5_mT6_T7_P12ihipStream_tbENKUlT_T0_E_clISt17integral_constantIbLb0EES12_IbLb1EEEEDaSY_SZ_EUlSY_E_NS1_11comp_targetILNS1_3genE8ELNS1_11target_archE1030ELNS1_3gpuE2ELNS1_3repE0EEENS1_30default_config_static_selectorELNS0_4arch9wavefront6targetE0EEEvT1_,"axG",@progbits,_ZN7rocprim17ROCPRIM_400000_NS6detail17trampoline_kernelINS0_14default_configENS1_27scan_by_key_config_selectorIj11FixedVectorIiLj8EEEEZZNS1_16scan_by_key_implILNS1_25lookback_scan_determinismE0ELb1ES3_N6thrust23THRUST_200600_302600_NS6detail15normal_iteratorINSB_10device_ptrIjEEEENSD_INSE_IS6_EEEESI_S6_NSB_4plusIvEENSB_8equal_toIvEES6_EE10hipError_tPvRmT2_T3_T4_T5_mT6_T7_P12ihipStream_tbENKUlT_T0_E_clISt17integral_constantIbLb0EES12_IbLb1EEEEDaSY_SZ_EUlSY_E_NS1_11comp_targetILNS1_3genE8ELNS1_11target_archE1030ELNS1_3gpuE2ELNS1_3repE0EEENS1_30default_config_static_selectorELNS0_4arch9wavefront6targetE0EEEvT1_,comdat
.Lfunc_end2192:
	.size	_ZN7rocprim17ROCPRIM_400000_NS6detail17trampoline_kernelINS0_14default_configENS1_27scan_by_key_config_selectorIj11FixedVectorIiLj8EEEEZZNS1_16scan_by_key_implILNS1_25lookback_scan_determinismE0ELb1ES3_N6thrust23THRUST_200600_302600_NS6detail15normal_iteratorINSB_10device_ptrIjEEEENSD_INSE_IS6_EEEESI_S6_NSB_4plusIvEENSB_8equal_toIvEES6_EE10hipError_tPvRmT2_T3_T4_T5_mT6_T7_P12ihipStream_tbENKUlT_T0_E_clISt17integral_constantIbLb0EES12_IbLb1EEEEDaSY_SZ_EUlSY_E_NS1_11comp_targetILNS1_3genE8ELNS1_11target_archE1030ELNS1_3gpuE2ELNS1_3repE0EEENS1_30default_config_static_selectorELNS0_4arch9wavefront6targetE0EEEvT1_, .Lfunc_end2192-_ZN7rocprim17ROCPRIM_400000_NS6detail17trampoline_kernelINS0_14default_configENS1_27scan_by_key_config_selectorIj11FixedVectorIiLj8EEEEZZNS1_16scan_by_key_implILNS1_25lookback_scan_determinismE0ELb1ES3_N6thrust23THRUST_200600_302600_NS6detail15normal_iteratorINSB_10device_ptrIjEEEENSD_INSE_IS6_EEEESI_S6_NSB_4plusIvEENSB_8equal_toIvEES6_EE10hipError_tPvRmT2_T3_T4_T5_mT6_T7_P12ihipStream_tbENKUlT_T0_E_clISt17integral_constantIbLb0EES12_IbLb1EEEEDaSY_SZ_EUlSY_E_NS1_11comp_targetILNS1_3genE8ELNS1_11target_archE1030ELNS1_3gpuE2ELNS1_3repE0EEENS1_30default_config_static_selectorELNS0_4arch9wavefront6targetE0EEEvT1_
                                        ; -- End function
	.set _ZN7rocprim17ROCPRIM_400000_NS6detail17trampoline_kernelINS0_14default_configENS1_27scan_by_key_config_selectorIj11FixedVectorIiLj8EEEEZZNS1_16scan_by_key_implILNS1_25lookback_scan_determinismE0ELb1ES3_N6thrust23THRUST_200600_302600_NS6detail15normal_iteratorINSB_10device_ptrIjEEEENSD_INSE_IS6_EEEESI_S6_NSB_4plusIvEENSB_8equal_toIvEES6_EE10hipError_tPvRmT2_T3_T4_T5_mT6_T7_P12ihipStream_tbENKUlT_T0_E_clISt17integral_constantIbLb0EES12_IbLb1EEEEDaSY_SZ_EUlSY_E_NS1_11comp_targetILNS1_3genE8ELNS1_11target_archE1030ELNS1_3gpuE2ELNS1_3repE0EEENS1_30default_config_static_selectorELNS0_4arch9wavefront6targetE0EEEvT1_.num_vgpr, 0
	.set _ZN7rocprim17ROCPRIM_400000_NS6detail17trampoline_kernelINS0_14default_configENS1_27scan_by_key_config_selectorIj11FixedVectorIiLj8EEEEZZNS1_16scan_by_key_implILNS1_25lookback_scan_determinismE0ELb1ES3_N6thrust23THRUST_200600_302600_NS6detail15normal_iteratorINSB_10device_ptrIjEEEENSD_INSE_IS6_EEEESI_S6_NSB_4plusIvEENSB_8equal_toIvEES6_EE10hipError_tPvRmT2_T3_T4_T5_mT6_T7_P12ihipStream_tbENKUlT_T0_E_clISt17integral_constantIbLb0EES12_IbLb1EEEEDaSY_SZ_EUlSY_E_NS1_11comp_targetILNS1_3genE8ELNS1_11target_archE1030ELNS1_3gpuE2ELNS1_3repE0EEENS1_30default_config_static_selectorELNS0_4arch9wavefront6targetE0EEEvT1_.num_agpr, 0
	.set _ZN7rocprim17ROCPRIM_400000_NS6detail17trampoline_kernelINS0_14default_configENS1_27scan_by_key_config_selectorIj11FixedVectorIiLj8EEEEZZNS1_16scan_by_key_implILNS1_25lookback_scan_determinismE0ELb1ES3_N6thrust23THRUST_200600_302600_NS6detail15normal_iteratorINSB_10device_ptrIjEEEENSD_INSE_IS6_EEEESI_S6_NSB_4plusIvEENSB_8equal_toIvEES6_EE10hipError_tPvRmT2_T3_T4_T5_mT6_T7_P12ihipStream_tbENKUlT_T0_E_clISt17integral_constantIbLb0EES12_IbLb1EEEEDaSY_SZ_EUlSY_E_NS1_11comp_targetILNS1_3genE8ELNS1_11target_archE1030ELNS1_3gpuE2ELNS1_3repE0EEENS1_30default_config_static_selectorELNS0_4arch9wavefront6targetE0EEEvT1_.numbered_sgpr, 0
	.set _ZN7rocprim17ROCPRIM_400000_NS6detail17trampoline_kernelINS0_14default_configENS1_27scan_by_key_config_selectorIj11FixedVectorIiLj8EEEEZZNS1_16scan_by_key_implILNS1_25lookback_scan_determinismE0ELb1ES3_N6thrust23THRUST_200600_302600_NS6detail15normal_iteratorINSB_10device_ptrIjEEEENSD_INSE_IS6_EEEESI_S6_NSB_4plusIvEENSB_8equal_toIvEES6_EE10hipError_tPvRmT2_T3_T4_T5_mT6_T7_P12ihipStream_tbENKUlT_T0_E_clISt17integral_constantIbLb0EES12_IbLb1EEEEDaSY_SZ_EUlSY_E_NS1_11comp_targetILNS1_3genE8ELNS1_11target_archE1030ELNS1_3gpuE2ELNS1_3repE0EEENS1_30default_config_static_selectorELNS0_4arch9wavefront6targetE0EEEvT1_.num_named_barrier, 0
	.set _ZN7rocprim17ROCPRIM_400000_NS6detail17trampoline_kernelINS0_14default_configENS1_27scan_by_key_config_selectorIj11FixedVectorIiLj8EEEEZZNS1_16scan_by_key_implILNS1_25lookback_scan_determinismE0ELb1ES3_N6thrust23THRUST_200600_302600_NS6detail15normal_iteratorINSB_10device_ptrIjEEEENSD_INSE_IS6_EEEESI_S6_NSB_4plusIvEENSB_8equal_toIvEES6_EE10hipError_tPvRmT2_T3_T4_T5_mT6_T7_P12ihipStream_tbENKUlT_T0_E_clISt17integral_constantIbLb0EES12_IbLb1EEEEDaSY_SZ_EUlSY_E_NS1_11comp_targetILNS1_3genE8ELNS1_11target_archE1030ELNS1_3gpuE2ELNS1_3repE0EEENS1_30default_config_static_selectorELNS0_4arch9wavefront6targetE0EEEvT1_.private_seg_size, 0
	.set _ZN7rocprim17ROCPRIM_400000_NS6detail17trampoline_kernelINS0_14default_configENS1_27scan_by_key_config_selectorIj11FixedVectorIiLj8EEEEZZNS1_16scan_by_key_implILNS1_25lookback_scan_determinismE0ELb1ES3_N6thrust23THRUST_200600_302600_NS6detail15normal_iteratorINSB_10device_ptrIjEEEENSD_INSE_IS6_EEEESI_S6_NSB_4plusIvEENSB_8equal_toIvEES6_EE10hipError_tPvRmT2_T3_T4_T5_mT6_T7_P12ihipStream_tbENKUlT_T0_E_clISt17integral_constantIbLb0EES12_IbLb1EEEEDaSY_SZ_EUlSY_E_NS1_11comp_targetILNS1_3genE8ELNS1_11target_archE1030ELNS1_3gpuE2ELNS1_3repE0EEENS1_30default_config_static_selectorELNS0_4arch9wavefront6targetE0EEEvT1_.uses_vcc, 0
	.set _ZN7rocprim17ROCPRIM_400000_NS6detail17trampoline_kernelINS0_14default_configENS1_27scan_by_key_config_selectorIj11FixedVectorIiLj8EEEEZZNS1_16scan_by_key_implILNS1_25lookback_scan_determinismE0ELb1ES3_N6thrust23THRUST_200600_302600_NS6detail15normal_iteratorINSB_10device_ptrIjEEEENSD_INSE_IS6_EEEESI_S6_NSB_4plusIvEENSB_8equal_toIvEES6_EE10hipError_tPvRmT2_T3_T4_T5_mT6_T7_P12ihipStream_tbENKUlT_T0_E_clISt17integral_constantIbLb0EES12_IbLb1EEEEDaSY_SZ_EUlSY_E_NS1_11comp_targetILNS1_3genE8ELNS1_11target_archE1030ELNS1_3gpuE2ELNS1_3repE0EEENS1_30default_config_static_selectorELNS0_4arch9wavefront6targetE0EEEvT1_.uses_flat_scratch, 0
	.set _ZN7rocprim17ROCPRIM_400000_NS6detail17trampoline_kernelINS0_14default_configENS1_27scan_by_key_config_selectorIj11FixedVectorIiLj8EEEEZZNS1_16scan_by_key_implILNS1_25lookback_scan_determinismE0ELb1ES3_N6thrust23THRUST_200600_302600_NS6detail15normal_iteratorINSB_10device_ptrIjEEEENSD_INSE_IS6_EEEESI_S6_NSB_4plusIvEENSB_8equal_toIvEES6_EE10hipError_tPvRmT2_T3_T4_T5_mT6_T7_P12ihipStream_tbENKUlT_T0_E_clISt17integral_constantIbLb0EES12_IbLb1EEEEDaSY_SZ_EUlSY_E_NS1_11comp_targetILNS1_3genE8ELNS1_11target_archE1030ELNS1_3gpuE2ELNS1_3repE0EEENS1_30default_config_static_selectorELNS0_4arch9wavefront6targetE0EEEvT1_.has_dyn_sized_stack, 0
	.set _ZN7rocprim17ROCPRIM_400000_NS6detail17trampoline_kernelINS0_14default_configENS1_27scan_by_key_config_selectorIj11FixedVectorIiLj8EEEEZZNS1_16scan_by_key_implILNS1_25lookback_scan_determinismE0ELb1ES3_N6thrust23THRUST_200600_302600_NS6detail15normal_iteratorINSB_10device_ptrIjEEEENSD_INSE_IS6_EEEESI_S6_NSB_4plusIvEENSB_8equal_toIvEES6_EE10hipError_tPvRmT2_T3_T4_T5_mT6_T7_P12ihipStream_tbENKUlT_T0_E_clISt17integral_constantIbLb0EES12_IbLb1EEEEDaSY_SZ_EUlSY_E_NS1_11comp_targetILNS1_3genE8ELNS1_11target_archE1030ELNS1_3gpuE2ELNS1_3repE0EEENS1_30default_config_static_selectorELNS0_4arch9wavefront6targetE0EEEvT1_.has_recursion, 0
	.set _ZN7rocprim17ROCPRIM_400000_NS6detail17trampoline_kernelINS0_14default_configENS1_27scan_by_key_config_selectorIj11FixedVectorIiLj8EEEEZZNS1_16scan_by_key_implILNS1_25lookback_scan_determinismE0ELb1ES3_N6thrust23THRUST_200600_302600_NS6detail15normal_iteratorINSB_10device_ptrIjEEEENSD_INSE_IS6_EEEESI_S6_NSB_4plusIvEENSB_8equal_toIvEES6_EE10hipError_tPvRmT2_T3_T4_T5_mT6_T7_P12ihipStream_tbENKUlT_T0_E_clISt17integral_constantIbLb0EES12_IbLb1EEEEDaSY_SZ_EUlSY_E_NS1_11comp_targetILNS1_3genE8ELNS1_11target_archE1030ELNS1_3gpuE2ELNS1_3repE0EEENS1_30default_config_static_selectorELNS0_4arch9wavefront6targetE0EEEvT1_.has_indirect_call, 0
	.section	.AMDGPU.csdata,"",@progbits
; Kernel info:
; codeLenInByte = 0
; TotalNumSgprs: 0
; NumVgprs: 0
; ScratchSize: 0
; MemoryBound: 0
; FloatMode: 240
; IeeeMode: 1
; LDSByteSize: 0 bytes/workgroup (compile time only)
; SGPRBlocks: 0
; VGPRBlocks: 0
; NumSGPRsForWavesPerEU: 1
; NumVGPRsForWavesPerEU: 1
; NamedBarCnt: 0
; Occupancy: 16
; WaveLimiterHint : 0
; COMPUTE_PGM_RSRC2:SCRATCH_EN: 0
; COMPUTE_PGM_RSRC2:USER_SGPR: 2
; COMPUTE_PGM_RSRC2:TRAP_HANDLER: 0
; COMPUTE_PGM_RSRC2:TGID_X_EN: 1
; COMPUTE_PGM_RSRC2:TGID_Y_EN: 0
; COMPUTE_PGM_RSRC2:TGID_Z_EN: 0
; COMPUTE_PGM_RSRC2:TIDIG_COMP_CNT: 0
	.section	.text._ZN7rocprim17ROCPRIM_400000_NS6detail30init_device_scan_by_key_kernelINS1_19lookback_scan_stateINS0_5tupleIJibEEELb0ELb1EEEN6thrust23THRUST_200600_302600_NS10device_ptrIiEEjNS1_16block_id_wrapperIjLb0EEEEEvT_jjPNSD_10value_typeET0_PNSt15iterator_traitsISG_E10value_typeEmT1_T2_,"axG",@progbits,_ZN7rocprim17ROCPRIM_400000_NS6detail30init_device_scan_by_key_kernelINS1_19lookback_scan_stateINS0_5tupleIJibEEELb0ELb1EEEN6thrust23THRUST_200600_302600_NS10device_ptrIiEEjNS1_16block_id_wrapperIjLb0EEEEEvT_jjPNSD_10value_typeET0_PNSt15iterator_traitsISG_E10value_typeEmT1_T2_,comdat
	.protected	_ZN7rocprim17ROCPRIM_400000_NS6detail30init_device_scan_by_key_kernelINS1_19lookback_scan_stateINS0_5tupleIJibEEELb0ELb1EEEN6thrust23THRUST_200600_302600_NS10device_ptrIiEEjNS1_16block_id_wrapperIjLb0EEEEEvT_jjPNSD_10value_typeET0_PNSt15iterator_traitsISG_E10value_typeEmT1_T2_ ; -- Begin function _ZN7rocprim17ROCPRIM_400000_NS6detail30init_device_scan_by_key_kernelINS1_19lookback_scan_stateINS0_5tupleIJibEEELb0ELb1EEEN6thrust23THRUST_200600_302600_NS10device_ptrIiEEjNS1_16block_id_wrapperIjLb0EEEEEvT_jjPNSD_10value_typeET0_PNSt15iterator_traitsISG_E10value_typeEmT1_T2_
	.globl	_ZN7rocprim17ROCPRIM_400000_NS6detail30init_device_scan_by_key_kernelINS1_19lookback_scan_stateINS0_5tupleIJibEEELb0ELb1EEEN6thrust23THRUST_200600_302600_NS10device_ptrIiEEjNS1_16block_id_wrapperIjLb0EEEEEvT_jjPNSD_10value_typeET0_PNSt15iterator_traitsISG_E10value_typeEmT1_T2_
	.p2align	8
	.type	_ZN7rocprim17ROCPRIM_400000_NS6detail30init_device_scan_by_key_kernelINS1_19lookback_scan_stateINS0_5tupleIJibEEELb0ELb1EEEN6thrust23THRUST_200600_302600_NS10device_ptrIiEEjNS1_16block_id_wrapperIjLb0EEEEEvT_jjPNSD_10value_typeET0_PNSt15iterator_traitsISG_E10value_typeEmT1_T2_,@function
_ZN7rocprim17ROCPRIM_400000_NS6detail30init_device_scan_by_key_kernelINS1_19lookback_scan_stateINS0_5tupleIJibEEELb0ELb1EEEN6thrust23THRUST_200600_302600_NS10device_ptrIiEEjNS1_16block_id_wrapperIjLb0EEEEEvT_jjPNSD_10value_typeET0_PNSt15iterator_traitsISG_E10value_typeEmT1_T2_: ; @_ZN7rocprim17ROCPRIM_400000_NS6detail30init_device_scan_by_key_kernelINS1_19lookback_scan_stateINS0_5tupleIJibEEELb0ELb1EEEN6thrust23THRUST_200600_302600_NS10device_ptrIiEEjNS1_16block_id_wrapperIjLb0EEEEEvT_jjPNSD_10value_typeET0_PNSt15iterator_traitsISG_E10value_typeEmT1_T2_
; %bb.0:
	s_clause 0x2
	s_load_b32 s2, s[0:1], 0x44
	s_load_b32 s14, s[0:1], 0x38
	s_load_b256 s[4:11], s[0:1], 0x0
	s_bfe_u32 s3, ttmp6, 0x4000c
	s_and_b32 s12, ttmp6, 15
	s_add_co_i32 s3, s3, 1
	s_getreg_b32 s13, hwreg(HW_REG_IB_STS2, 6, 4)
	s_mul_i32 s3, ttmp9, s3
	s_delay_alu instid0(SALU_CYCLE_1)
	s_add_co_i32 s12, s12, s3
	s_wait_kmcnt 0x0
	s_and_b32 s15, s2, 0xffff
	s_cmp_eq_u32 s13, 0
	s_cselect_b32 s2, ttmp9, s12
	s_cmp_eq_u64 s[8:9], 0
	v_mad_u32 v4, s2, s15, v0
	s_cbranch_scc1 .LBB2193_8
; %bb.1:
	s_cmp_lt_u32 s7, s6
	s_mov_b32 s16, exec_lo
	s_cselect_b32 s2, s7, 0
	s_delay_alu instid0(VALU_DEP_1) | instid1(SALU_CYCLE_1)
	v_cmpx_eq_u32_e64 s2, v4
	s_cbranch_execz .LBB2193_7
; %bb.2:
	s_add_co_i32 s2, s7, 32
	s_mov_b32 s3, 0
	v_mov_b32_e32 v7, 0
	s_lshl_b64 s[12:13], s[2:3], 4
	s_mov_b32 s2, exec_lo
	s_add_nc_u64 s[12:13], s[4:5], s[12:13]
	s_delay_alu instid0(SALU_CYCLE_1) | instskip(SKIP_2) | instid1(VALU_DEP_1)
	v_mov_b64_e32 v[0:1], s[12:13]
	;;#ASMSTART
	global_load_b128 v[0:3], v[0:1] off scope:SCOPE_DEV	
s_wait_loadcnt 0x0
	;;#ASMEND
	v_and_b32_e32 v6, 0xff, v2
	v_cmpx_eq_u64_e32 0, v[6:7]
	s_cbranch_execz .LBB2193_6
; %bb.3:
	v_mov_b64_e32 v[8:9], s[12:13]
.LBB2193_4:                             ; =>This Inner Loop Header: Depth=1
	;;#ASMSTART
	global_load_b128 v[0:3], v[8:9] off scope:SCOPE_DEV	
s_wait_loadcnt 0x0
	;;#ASMEND
	v_and_b32_e32 v6, 0xff, v2
	s_delay_alu instid0(VALU_DEP_1) | instskip(SKIP_1) | instid1(SALU_CYCLE_1)
	v_cmp_ne_u64_e32 vcc_lo, 0, v[6:7]
	s_or_b32 s3, vcc_lo, s3
	s_and_not1_b32 exec_lo, exec_lo, s3
	s_cbranch_execnz .LBB2193_4
; %bb.5:
	s_or_b32 exec_lo, exec_lo, s3
.LBB2193_6:
	s_delay_alu instid0(SALU_CYCLE_1)
	s_or_b32 exec_lo, exec_lo, s2
	v_mov_b32_e32 v2, 0
	s_clause 0x1
	global_store_b32 v2, v0, s[8:9]
	global_store_b8 v2, v1, s[8:9] offset:4
.LBB2193_7:
	s_wait_xcnt 0x0
	s_or_b32 exec_lo, exec_lo, s16
.LBB2193_8:
	s_delay_alu instid0(SALU_CYCLE_1) | instskip(NEXT) | instid1(VALU_DEP_1)
	s_mov_b32 s2, exec_lo
	v_cmpx_gt_u32_e64 s6, v4
	s_cbranch_execz .LBB2193_10
; %bb.9:
	v_dual_mov_b32 v0, 0 :: v_dual_add_nc_u32 v5, 32, v4
	s_delay_alu instid0(VALU_DEP_1)
	v_dual_mov_b32 v1, v0 :: v_dual_mov_b32 v2, v0
	v_mov_b32_e32 v3, v0
	global_store_b128 v5, v[0:3], s[4:5] scale_offset
.LBB2193_10:
	s_wait_xcnt 0x0
	s_or_b32 exec_lo, exec_lo, s2
	v_mov_b32_e32 v5, 0
	s_mov_b32 s2, exec_lo
	v_cmpx_gt_u32_e32 32, v4
	s_cbranch_execz .LBB2193_12
; %bb.11:
	s_delay_alu instid0(VALU_DEP_2)
	v_lshl_add_u64 v[6:7], v[4:5], 4, s[4:5]
	v_dual_mov_b32 v2, 0xff :: v_dual_mov_b32 v1, v5
	v_dual_mov_b32 v0, v5 :: v_dual_mov_b32 v3, v5
	global_store_b128 v[6:7], v[0:3], off
.LBB2193_12:
	s_wait_xcnt 0x0
	s_or_b32 exec_lo, exec_lo, s2
	s_load_b64 s[2:3], s[0:1], 0x28
	s_mov_b32 s4, exec_lo
	s_wait_kmcnt 0x0
	v_cmpx_gt_u64_e64 s[2:3], v[4:5]
	s_cbranch_execz .LBB2193_15
; %bb.13:
	s_clause 0x1
	s_load_b32 s4, s[0:1], 0x30
	s_load_b64 s[6:7], s[0:1], 0x20
	s_mov_b32 s5, 0
	s_wait_xcnt 0x0
	s_mul_i32 s0, s14, s15
	s_mov_b32 s9, s5
	s_mov_b32 s1, s5
	s_wait_kmcnt 0x0
	v_mul_u64_e32 v[0:1], s[4:5], v[4:5]
	s_add_co_i32 s8, s4, -1
	v_lshl_add_u64 v[2:3], v[4:5], 2, s[6:7]
	s_lshl_b64 s[8:9], s[8:9], 2
	s_delay_alu instid0(SALU_CYCLE_1) | instskip(SKIP_1) | instid1(SALU_CYCLE_1)
	s_add_nc_u64 s[8:9], s[10:11], s[8:9]
	s_mul_u64 s[10:11], s[4:5], s[0:1]
	s_lshl_b64 s[6:7], s[10:11], 2
	s_delay_alu instid0(VALU_DEP_2)
	v_lshl_add_u64 v[0:1], v[0:1], 2, s[8:9]
	s_lshl_b64 s[8:9], s[0:1], 2
.LBB2193_14:                            ; =>This Inner Loop Header: Depth=1
	global_load_b32 v6, v[0:1], off
	v_add_nc_u64_e32 v[4:5], s[0:1], v[4:5]
	s_wait_xcnt 0x0
	v_add_nc_u64_e32 v[0:1], s[6:7], v[0:1]
	s_delay_alu instid0(VALU_DEP_2)
	v_cmp_le_u64_e32 vcc_lo, s[2:3], v[4:5]
	s_or_b32 s5, vcc_lo, s5
	s_wait_loadcnt 0x0
	global_store_b32 v[2:3], v6, off
	s_wait_xcnt 0x0
	v_add_nc_u64_e32 v[2:3], s[8:9], v[2:3]
	s_and_not1_b32 exec_lo, exec_lo, s5
	s_cbranch_execnz .LBB2193_14
.LBB2193_15:
	s_endpgm
	.section	.rodata,"a",@progbits
	.p2align	6, 0x0
	.amdhsa_kernel _ZN7rocprim17ROCPRIM_400000_NS6detail30init_device_scan_by_key_kernelINS1_19lookback_scan_stateINS0_5tupleIJibEEELb0ELb1EEEN6thrust23THRUST_200600_302600_NS10device_ptrIiEEjNS1_16block_id_wrapperIjLb0EEEEEvT_jjPNSD_10value_typeET0_PNSt15iterator_traitsISG_E10value_typeEmT1_T2_
		.amdhsa_group_segment_fixed_size 0
		.amdhsa_private_segment_fixed_size 0
		.amdhsa_kernarg_size 312
		.amdhsa_user_sgpr_count 2
		.amdhsa_user_sgpr_dispatch_ptr 0
		.amdhsa_user_sgpr_queue_ptr 0
		.amdhsa_user_sgpr_kernarg_segment_ptr 1
		.amdhsa_user_sgpr_dispatch_id 0
		.amdhsa_user_sgpr_kernarg_preload_length 0
		.amdhsa_user_sgpr_kernarg_preload_offset 0
		.amdhsa_user_sgpr_private_segment_size 0
		.amdhsa_wavefront_size32 1
		.amdhsa_uses_dynamic_stack 0
		.amdhsa_enable_private_segment 0
		.amdhsa_system_sgpr_workgroup_id_x 1
		.amdhsa_system_sgpr_workgroup_id_y 0
		.amdhsa_system_sgpr_workgroup_id_z 0
		.amdhsa_system_sgpr_workgroup_info 0
		.amdhsa_system_vgpr_workitem_id 0
		.amdhsa_next_free_vgpr 10
		.amdhsa_next_free_sgpr 17
		.amdhsa_named_barrier_count 0
		.amdhsa_reserve_vcc 1
		.amdhsa_float_round_mode_32 0
		.amdhsa_float_round_mode_16_64 0
		.amdhsa_float_denorm_mode_32 3
		.amdhsa_float_denorm_mode_16_64 3
		.amdhsa_fp16_overflow 0
		.amdhsa_memory_ordered 1
		.amdhsa_forward_progress 1
		.amdhsa_inst_pref_size 5
		.amdhsa_round_robin_scheduling 0
		.amdhsa_exception_fp_ieee_invalid_op 0
		.amdhsa_exception_fp_denorm_src 0
		.amdhsa_exception_fp_ieee_div_zero 0
		.amdhsa_exception_fp_ieee_overflow 0
		.amdhsa_exception_fp_ieee_underflow 0
		.amdhsa_exception_fp_ieee_inexact 0
		.amdhsa_exception_int_div_zero 0
	.end_amdhsa_kernel
	.section	.text._ZN7rocprim17ROCPRIM_400000_NS6detail30init_device_scan_by_key_kernelINS1_19lookback_scan_stateINS0_5tupleIJibEEELb0ELb1EEEN6thrust23THRUST_200600_302600_NS10device_ptrIiEEjNS1_16block_id_wrapperIjLb0EEEEEvT_jjPNSD_10value_typeET0_PNSt15iterator_traitsISG_E10value_typeEmT1_T2_,"axG",@progbits,_ZN7rocprim17ROCPRIM_400000_NS6detail30init_device_scan_by_key_kernelINS1_19lookback_scan_stateINS0_5tupleIJibEEELb0ELb1EEEN6thrust23THRUST_200600_302600_NS10device_ptrIiEEjNS1_16block_id_wrapperIjLb0EEEEEvT_jjPNSD_10value_typeET0_PNSt15iterator_traitsISG_E10value_typeEmT1_T2_,comdat
.Lfunc_end2193:
	.size	_ZN7rocprim17ROCPRIM_400000_NS6detail30init_device_scan_by_key_kernelINS1_19lookback_scan_stateINS0_5tupleIJibEEELb0ELb1EEEN6thrust23THRUST_200600_302600_NS10device_ptrIiEEjNS1_16block_id_wrapperIjLb0EEEEEvT_jjPNSD_10value_typeET0_PNSt15iterator_traitsISG_E10value_typeEmT1_T2_, .Lfunc_end2193-_ZN7rocprim17ROCPRIM_400000_NS6detail30init_device_scan_by_key_kernelINS1_19lookback_scan_stateINS0_5tupleIJibEEELb0ELb1EEEN6thrust23THRUST_200600_302600_NS10device_ptrIiEEjNS1_16block_id_wrapperIjLb0EEEEEvT_jjPNSD_10value_typeET0_PNSt15iterator_traitsISG_E10value_typeEmT1_T2_
                                        ; -- End function
	.set _ZN7rocprim17ROCPRIM_400000_NS6detail30init_device_scan_by_key_kernelINS1_19lookback_scan_stateINS0_5tupleIJibEEELb0ELb1EEEN6thrust23THRUST_200600_302600_NS10device_ptrIiEEjNS1_16block_id_wrapperIjLb0EEEEEvT_jjPNSD_10value_typeET0_PNSt15iterator_traitsISG_E10value_typeEmT1_T2_.num_vgpr, 10
	.set _ZN7rocprim17ROCPRIM_400000_NS6detail30init_device_scan_by_key_kernelINS1_19lookback_scan_stateINS0_5tupleIJibEEELb0ELb1EEEN6thrust23THRUST_200600_302600_NS10device_ptrIiEEjNS1_16block_id_wrapperIjLb0EEEEEvT_jjPNSD_10value_typeET0_PNSt15iterator_traitsISG_E10value_typeEmT1_T2_.num_agpr, 0
	.set _ZN7rocprim17ROCPRIM_400000_NS6detail30init_device_scan_by_key_kernelINS1_19lookback_scan_stateINS0_5tupleIJibEEELb0ELb1EEEN6thrust23THRUST_200600_302600_NS10device_ptrIiEEjNS1_16block_id_wrapperIjLb0EEEEEvT_jjPNSD_10value_typeET0_PNSt15iterator_traitsISG_E10value_typeEmT1_T2_.numbered_sgpr, 17
	.set _ZN7rocprim17ROCPRIM_400000_NS6detail30init_device_scan_by_key_kernelINS1_19lookback_scan_stateINS0_5tupleIJibEEELb0ELb1EEEN6thrust23THRUST_200600_302600_NS10device_ptrIiEEjNS1_16block_id_wrapperIjLb0EEEEEvT_jjPNSD_10value_typeET0_PNSt15iterator_traitsISG_E10value_typeEmT1_T2_.num_named_barrier, 0
	.set _ZN7rocprim17ROCPRIM_400000_NS6detail30init_device_scan_by_key_kernelINS1_19lookback_scan_stateINS0_5tupleIJibEEELb0ELb1EEEN6thrust23THRUST_200600_302600_NS10device_ptrIiEEjNS1_16block_id_wrapperIjLb0EEEEEvT_jjPNSD_10value_typeET0_PNSt15iterator_traitsISG_E10value_typeEmT1_T2_.private_seg_size, 0
	.set _ZN7rocprim17ROCPRIM_400000_NS6detail30init_device_scan_by_key_kernelINS1_19lookback_scan_stateINS0_5tupleIJibEEELb0ELb1EEEN6thrust23THRUST_200600_302600_NS10device_ptrIiEEjNS1_16block_id_wrapperIjLb0EEEEEvT_jjPNSD_10value_typeET0_PNSt15iterator_traitsISG_E10value_typeEmT1_T2_.uses_vcc, 1
	.set _ZN7rocprim17ROCPRIM_400000_NS6detail30init_device_scan_by_key_kernelINS1_19lookback_scan_stateINS0_5tupleIJibEEELb0ELb1EEEN6thrust23THRUST_200600_302600_NS10device_ptrIiEEjNS1_16block_id_wrapperIjLb0EEEEEvT_jjPNSD_10value_typeET0_PNSt15iterator_traitsISG_E10value_typeEmT1_T2_.uses_flat_scratch, 0
	.set _ZN7rocprim17ROCPRIM_400000_NS6detail30init_device_scan_by_key_kernelINS1_19lookback_scan_stateINS0_5tupleIJibEEELb0ELb1EEEN6thrust23THRUST_200600_302600_NS10device_ptrIiEEjNS1_16block_id_wrapperIjLb0EEEEEvT_jjPNSD_10value_typeET0_PNSt15iterator_traitsISG_E10value_typeEmT1_T2_.has_dyn_sized_stack, 0
	.set _ZN7rocprim17ROCPRIM_400000_NS6detail30init_device_scan_by_key_kernelINS1_19lookback_scan_stateINS0_5tupleIJibEEELb0ELb1EEEN6thrust23THRUST_200600_302600_NS10device_ptrIiEEjNS1_16block_id_wrapperIjLb0EEEEEvT_jjPNSD_10value_typeET0_PNSt15iterator_traitsISG_E10value_typeEmT1_T2_.has_recursion, 0
	.set _ZN7rocprim17ROCPRIM_400000_NS6detail30init_device_scan_by_key_kernelINS1_19lookback_scan_stateINS0_5tupleIJibEEELb0ELb1EEEN6thrust23THRUST_200600_302600_NS10device_ptrIiEEjNS1_16block_id_wrapperIjLb0EEEEEvT_jjPNSD_10value_typeET0_PNSt15iterator_traitsISG_E10value_typeEmT1_T2_.has_indirect_call, 0
	.section	.AMDGPU.csdata,"",@progbits
; Kernel info:
; codeLenInByte = 584
; TotalNumSgprs: 19
; NumVgprs: 10
; ScratchSize: 0
; MemoryBound: 0
; FloatMode: 240
; IeeeMode: 1
; LDSByteSize: 0 bytes/workgroup (compile time only)
; SGPRBlocks: 0
; VGPRBlocks: 0
; NumSGPRsForWavesPerEU: 19
; NumVGPRsForWavesPerEU: 10
; NamedBarCnt: 0
; Occupancy: 16
; WaveLimiterHint : 0
; COMPUTE_PGM_RSRC2:SCRATCH_EN: 0
; COMPUTE_PGM_RSRC2:USER_SGPR: 2
; COMPUTE_PGM_RSRC2:TRAP_HANDLER: 0
; COMPUTE_PGM_RSRC2:TGID_X_EN: 1
; COMPUTE_PGM_RSRC2:TGID_Y_EN: 0
; COMPUTE_PGM_RSRC2:TGID_Z_EN: 0
; COMPUTE_PGM_RSRC2:TIDIG_COMP_CNT: 0
	.section	.text._ZN7rocprim17ROCPRIM_400000_NS6detail17trampoline_kernelINS0_14default_configENS1_27scan_by_key_config_selectorIiiEEZZNS1_16scan_by_key_implILNS1_25lookback_scan_determinismE0ELb0ES3_N6thrust23THRUST_200600_302600_NS10device_ptrIiEESB_SB_iNS9_4plusIvEENS9_8equal_toIvEEiEE10hipError_tPvRmT2_T3_T4_T5_mT6_T7_P12ihipStream_tbENKUlT_T0_E_clISt17integral_constantIbLb0EESW_EEDaSR_SS_EUlSR_E_NS1_11comp_targetILNS1_3genE0ELNS1_11target_archE4294967295ELNS1_3gpuE0ELNS1_3repE0EEENS1_30default_config_static_selectorELNS0_4arch9wavefront6targetE0EEEvT1_,"axG",@progbits,_ZN7rocprim17ROCPRIM_400000_NS6detail17trampoline_kernelINS0_14default_configENS1_27scan_by_key_config_selectorIiiEEZZNS1_16scan_by_key_implILNS1_25lookback_scan_determinismE0ELb0ES3_N6thrust23THRUST_200600_302600_NS10device_ptrIiEESB_SB_iNS9_4plusIvEENS9_8equal_toIvEEiEE10hipError_tPvRmT2_T3_T4_T5_mT6_T7_P12ihipStream_tbENKUlT_T0_E_clISt17integral_constantIbLb0EESW_EEDaSR_SS_EUlSR_E_NS1_11comp_targetILNS1_3genE0ELNS1_11target_archE4294967295ELNS1_3gpuE0ELNS1_3repE0EEENS1_30default_config_static_selectorELNS0_4arch9wavefront6targetE0EEEvT1_,comdat
	.protected	_ZN7rocprim17ROCPRIM_400000_NS6detail17trampoline_kernelINS0_14default_configENS1_27scan_by_key_config_selectorIiiEEZZNS1_16scan_by_key_implILNS1_25lookback_scan_determinismE0ELb0ES3_N6thrust23THRUST_200600_302600_NS10device_ptrIiEESB_SB_iNS9_4plusIvEENS9_8equal_toIvEEiEE10hipError_tPvRmT2_T3_T4_T5_mT6_T7_P12ihipStream_tbENKUlT_T0_E_clISt17integral_constantIbLb0EESW_EEDaSR_SS_EUlSR_E_NS1_11comp_targetILNS1_3genE0ELNS1_11target_archE4294967295ELNS1_3gpuE0ELNS1_3repE0EEENS1_30default_config_static_selectorELNS0_4arch9wavefront6targetE0EEEvT1_ ; -- Begin function _ZN7rocprim17ROCPRIM_400000_NS6detail17trampoline_kernelINS0_14default_configENS1_27scan_by_key_config_selectorIiiEEZZNS1_16scan_by_key_implILNS1_25lookback_scan_determinismE0ELb0ES3_N6thrust23THRUST_200600_302600_NS10device_ptrIiEESB_SB_iNS9_4plusIvEENS9_8equal_toIvEEiEE10hipError_tPvRmT2_T3_T4_T5_mT6_T7_P12ihipStream_tbENKUlT_T0_E_clISt17integral_constantIbLb0EESW_EEDaSR_SS_EUlSR_E_NS1_11comp_targetILNS1_3genE0ELNS1_11target_archE4294967295ELNS1_3gpuE0ELNS1_3repE0EEENS1_30default_config_static_selectorELNS0_4arch9wavefront6targetE0EEEvT1_
	.globl	_ZN7rocprim17ROCPRIM_400000_NS6detail17trampoline_kernelINS0_14default_configENS1_27scan_by_key_config_selectorIiiEEZZNS1_16scan_by_key_implILNS1_25lookback_scan_determinismE0ELb0ES3_N6thrust23THRUST_200600_302600_NS10device_ptrIiEESB_SB_iNS9_4plusIvEENS9_8equal_toIvEEiEE10hipError_tPvRmT2_T3_T4_T5_mT6_T7_P12ihipStream_tbENKUlT_T0_E_clISt17integral_constantIbLb0EESW_EEDaSR_SS_EUlSR_E_NS1_11comp_targetILNS1_3genE0ELNS1_11target_archE4294967295ELNS1_3gpuE0ELNS1_3repE0EEENS1_30default_config_static_selectorELNS0_4arch9wavefront6targetE0EEEvT1_
	.p2align	8
	.type	_ZN7rocprim17ROCPRIM_400000_NS6detail17trampoline_kernelINS0_14default_configENS1_27scan_by_key_config_selectorIiiEEZZNS1_16scan_by_key_implILNS1_25lookback_scan_determinismE0ELb0ES3_N6thrust23THRUST_200600_302600_NS10device_ptrIiEESB_SB_iNS9_4plusIvEENS9_8equal_toIvEEiEE10hipError_tPvRmT2_T3_T4_T5_mT6_T7_P12ihipStream_tbENKUlT_T0_E_clISt17integral_constantIbLb0EESW_EEDaSR_SS_EUlSR_E_NS1_11comp_targetILNS1_3genE0ELNS1_11target_archE4294967295ELNS1_3gpuE0ELNS1_3repE0EEENS1_30default_config_static_selectorELNS0_4arch9wavefront6targetE0EEEvT1_,@function
_ZN7rocprim17ROCPRIM_400000_NS6detail17trampoline_kernelINS0_14default_configENS1_27scan_by_key_config_selectorIiiEEZZNS1_16scan_by_key_implILNS1_25lookback_scan_determinismE0ELb0ES3_N6thrust23THRUST_200600_302600_NS10device_ptrIiEESB_SB_iNS9_4plusIvEENS9_8equal_toIvEEiEE10hipError_tPvRmT2_T3_T4_T5_mT6_T7_P12ihipStream_tbENKUlT_T0_E_clISt17integral_constantIbLb0EESW_EEDaSR_SS_EUlSR_E_NS1_11comp_targetILNS1_3genE0ELNS1_11target_archE4294967295ELNS1_3gpuE0ELNS1_3repE0EEENS1_30default_config_static_selectorELNS0_4arch9wavefront6targetE0EEEvT1_: ; @_ZN7rocprim17ROCPRIM_400000_NS6detail17trampoline_kernelINS0_14default_configENS1_27scan_by_key_config_selectorIiiEEZZNS1_16scan_by_key_implILNS1_25lookback_scan_determinismE0ELb0ES3_N6thrust23THRUST_200600_302600_NS10device_ptrIiEESB_SB_iNS9_4plusIvEENS9_8equal_toIvEEiEE10hipError_tPvRmT2_T3_T4_T5_mT6_T7_P12ihipStream_tbENKUlT_T0_E_clISt17integral_constantIbLb0EESW_EEDaSR_SS_EUlSR_E_NS1_11comp_targetILNS1_3genE0ELNS1_11target_archE4294967295ELNS1_3gpuE0ELNS1_3repE0EEENS1_30default_config_static_selectorELNS0_4arch9wavefront6targetE0EEEvT1_
; %bb.0:
	s_clause 0x3
	s_load_b256 s[8:15], s[0:1], 0x0
	s_load_b256 s[16:23], s[0:1], 0x48
	s_load_b96 s[28:30], s[0:1], 0x38
	s_load_b128 s[24:27], s[0:1], 0x28
	s_getreg_b32 s4, hwreg(HW_REG_IB_STS2, 6, 4)
	s_wait_xcnt 0x0
	s_mov_b32 s1, 0
	s_barrier_signal -1
	s_barrier_wait -1
	s_wait_kmcnt 0x0
	s_lshl_b64 s[34:35], s[10:11], 2
	s_cmp_lg_u64 s[20:21], 0
	s_mov_b32 s0, s30
	s_cselect_b32 s33, -1, 0
	s_bfe_u32 s2, ttmp6, 0x4000c
	s_and_b32 s5, ttmp6, 15
	s_add_co_i32 s2, s2, 1
	s_mov_b32 s21, s1
	s_mul_i32 s6, ttmp9, s2
	s_add_nc_u64 s[2:3], s[8:9], s[34:35]
	s_add_co_i32 s6, s5, s6
	s_cmp_eq_u32 s4, 0
	s_mul_u64 s[4:5], s[28:29], s[0:1]
	s_cselect_b32 s20, ttmp9, s6
	s_add_nc_u64 s[6:7], s[12:13], s[34:35]
	s_add_nc_u64 s[36:37], s[4:5], s[20:21]
	s_add_nc_u64 s[4:5], s[16:17], -1
	s_mul_i32 s0, s20, 0xc00
	v_cmp_ge_u64_e64 s21, s[36:37], s[4:5]
	s_lshl_b64 s[16:17], s[0:1], 2
	s_mul_i32 s27, s4, 0xfffff400
	s_add_nc_u64 s[30:31], s[2:3], s[16:17]
	s_add_nc_u64 s[12:13], s[6:7], s[16:17]
	s_and_b32 vcc_lo, exec_lo, s21
	s_cbranch_vccz .LBB2194_28
; %bb.1:
	v_mov_b32_e32 v1, 0
	s_add_co_i32 s40, s27, s26
	s_delay_alu instid0(SALU_CYCLE_1)
	v_cmp_gt_u32_e64 s0, s40, v0
	flat_load_b32 v1, v1, s[30:31]
	s_wait_loadcnt_dscnt 0x0
	v_mov_b32_e32 v2, v1
	s_and_saveexec_b32 s1, s0
	s_cbranch_execz .LBB2194_3
; %bb.2:
	flat_load_b32 v2, v0, s[30:31] scale_offset
.LBB2194_3:
	s_wait_xcnt 0x0
	s_or_b32 exec_lo, exec_lo, s1
	v_or_b32_e32 v3, 0x100, v0
	v_mov_b32_e32 v4, v1
	s_delay_alu instid0(VALU_DEP_2)
	v_cmp_gt_u32_e64 s1, s40, v3
	s_and_saveexec_b32 s2, s1
	s_cbranch_execz .LBB2194_5
; %bb.4:
	flat_load_b32 v4, v0, s[30:31] offset:1024 scale_offset
.LBB2194_5:
	s_wait_xcnt 0x0
	s_or_b32 exec_lo, exec_lo, s2
	v_or_b32_e32 v3, 0x200, v0
	v_mov_b32_e32 v5, v1
	s_delay_alu instid0(VALU_DEP_2)
	v_cmp_gt_u32_e64 s2, s40, v3
	s_and_saveexec_b32 s3, s2
	s_cbranch_execz .LBB2194_7
; %bb.6:
	flat_load_b32 v5, v0, s[30:31] offset:2048 scale_offset
.LBB2194_7:
	s_wait_xcnt 0x0
	s_or_b32 exec_lo, exec_lo, s3
	v_or_b32_e32 v3, 0x300, v0
	v_mov_b32_e32 v6, v1
	s_delay_alu instid0(VALU_DEP_2)
	v_cmp_gt_u32_e64 s3, s40, v3
	s_and_saveexec_b32 s4, s3
	s_cbranch_execz .LBB2194_9
; %bb.8:
	flat_load_b32 v6, v0, s[30:31] offset:3072 scale_offset
.LBB2194_9:
	s_wait_xcnt 0x0
	s_or_b32 exec_lo, exec_lo, s4
	v_or_b32_e32 v3, 0x400, v0
	v_mov_b32_e32 v7, v1
	s_delay_alu instid0(VALU_DEP_2)
	v_cmp_gt_u32_e64 s4, s40, v3
	s_and_saveexec_b32 s5, s4
	s_cbranch_execz .LBB2194_11
; %bb.10:
	flat_load_b32 v7, v0, s[30:31] offset:4096 scale_offset
.LBB2194_11:
	s_wait_xcnt 0x0
	s_or_b32 exec_lo, exec_lo, s5
	v_or_b32_e32 v3, 0x500, v0
	v_mov_b32_e32 v8, v1
	s_delay_alu instid0(VALU_DEP_2)
	v_cmp_gt_u32_e64 s5, s40, v3
	s_and_saveexec_b32 s6, s5
	s_cbranch_execz .LBB2194_13
; %bb.12:
	flat_load_b32 v8, v0, s[30:31] offset:5120 scale_offset
.LBB2194_13:
	s_wait_xcnt 0x0
	s_or_b32 exec_lo, exec_lo, s6
	v_or_b32_e32 v3, 0x600, v0
	v_mov_b32_e32 v9, v1
	s_delay_alu instid0(VALU_DEP_2)
	v_cmp_gt_u32_e64 s6, s40, v3
	s_and_saveexec_b32 s7, s6
	s_cbranch_execz .LBB2194_15
; %bb.14:
	flat_load_b32 v9, v0, s[30:31] offset:6144 scale_offset
.LBB2194_15:
	s_wait_xcnt 0x0
	s_or_b32 exec_lo, exec_lo, s7
	v_or_b32_e32 v3, 0x700, v0
	v_mov_b32_e32 v10, v1
	s_delay_alu instid0(VALU_DEP_2)
	v_cmp_gt_u32_e64 s7, s40, v3
	s_and_saveexec_b32 s8, s7
	s_cbranch_execz .LBB2194_17
; %bb.16:
	flat_load_b32 v10, v0, s[30:31] offset:7168 scale_offset
.LBB2194_17:
	s_wait_xcnt 0x0
	s_or_b32 exec_lo, exec_lo, s8
	v_or_b32_e32 v3, 0x800, v0
	v_mov_b32_e32 v11, v1
	s_delay_alu instid0(VALU_DEP_2)
	v_cmp_gt_u32_e64 s8, s40, v3
	s_and_saveexec_b32 s9, s8
	s_cbranch_execz .LBB2194_19
; %bb.18:
	flat_load_b32 v11, v0, s[30:31] offset:8192 scale_offset
.LBB2194_19:
	s_wait_xcnt 0x0
	s_or_b32 exec_lo, exec_lo, s9
	v_or_b32_e32 v3, 0x900, v0
	v_mov_b32_e32 v12, v1
	s_delay_alu instid0(VALU_DEP_2)
	v_cmp_gt_u32_e64 s9, s40, v3
	s_and_saveexec_b32 s10, s9
	s_cbranch_execz .LBB2194_21
; %bb.20:
	flat_load_b32 v12, v0, s[30:31] offset:9216 scale_offset
.LBB2194_21:
	s_wait_xcnt 0x0
	s_or_b32 exec_lo, exec_lo, s10
	v_or_b32_e32 v3, 0xa00, v0
	v_mov_b32_e32 v13, v1
	s_delay_alu instid0(VALU_DEP_2)
	v_cmp_gt_u32_e64 s10, s40, v3
	s_and_saveexec_b32 s11, s10
	s_cbranch_execz .LBB2194_23
; %bb.22:
	flat_load_b32 v13, v0, s[30:31] offset:10240 scale_offset
.LBB2194_23:
	s_wait_xcnt 0x0
	s_or_b32 exec_lo, exec_lo, s11
	v_or_b32_e32 v3, 0xb00, v0
	s_mov_b32 s38, exec_lo
	s_delay_alu instid0(VALU_DEP_1) | instskip(SKIP_2) | instid1(SALU_CYCLE_1)
	v_cmp_gt_u32_e64 s11, s40, v3
	v_cmpx_le_u32_e64 s40, v3
	s_xor_b32 s38, exec_lo, s38
	s_and_not1_saveexec_b32 s38, s38
	s_cbranch_execz .LBB2194_25
; %bb.24:
	flat_load_b32 v1, v0, s[30:31] offset:11264 scale_offset
.LBB2194_25:
	s_wait_xcnt 0x0
	s_or_b32 exec_lo, exec_lo, s38
	v_lshlrev_b32_e32 v3, 2, v0
	s_cmp_eq_u64 s[36:37], 0
	s_mov_b64 s[38:39], s[30:31]
	s_wait_loadcnt_dscnt 0x0
	ds_store_2addr_stride64_b32 v3, v2, v4 offset1:4
	ds_store_2addr_stride64_b32 v3, v5, v6 offset0:8 offset1:12
	ds_store_2addr_stride64_b32 v3, v7, v8 offset0:16 offset1:20
	;; [unrolled: 1-line block ×5, first 2 shown]
	v_mad_u32_u24 v1, v0, 44, v3
	s_wait_dscnt 0x0
	s_barrier_signal -1
	s_barrier_wait -1
	ds_load_b128 v[14:17], v1
	ds_load_b128 v[10:13], v1 offset:16
	ds_load_b128 v[6:9], v1 offset:32
	s_cbranch_scc1 .LBB2194_31
; %bb.26:
	s_and_not1_b32 vcc_lo, exec_lo, s33
	s_cbranch_vccnz .LBB2194_29
; %bb.27:
	s_lshl_b64 s[38:39], s[36:37], 2
	s_mov_b32 s41, 0
	s_add_nc_u64 s[38:39], s[22:23], s[38:39]
	s_delay_alu instid0(SALU_CYCLE_1)
	s_add_nc_u64 s[38:39], s[38:39], -4
	s_branch .LBB2194_30
.LBB2194_28:
                                        ; implicit-def: $sgpr3
                                        ; implicit-def: $vgpr5
                                        ; implicit-def: $vgpr18_vgpr19
                                        ; implicit-def: $vgpr42_vgpr43
                                        ; implicit-def: $vgpr46_vgpr47
                                        ; implicit-def: $vgpr44_vgpr45
                                        ; implicit-def: $vgpr48_vgpr49
                                        ; implicit-def: $vgpr50_vgpr51
                                        ; implicit-def: $vgpr52_vgpr53
                                        ; implicit-def: $vgpr54_vgpr55
                                        ; implicit-def: $vgpr56_vgpr57
                                        ; implicit-def: $vgpr58_vgpr59
                                        ; implicit-def: $vgpr38_vgpr39
                                        ; implicit-def: $vgpr36_vgpr37
                                        ; implicit-def: $vgpr34_vgpr35
                                        ; implicit-def: $vgpr32_vgpr33
                                        ; implicit-def: $vgpr30_vgpr31
                                        ; implicit-def: $vgpr28_vgpr29
                                        ; implicit-def: $vgpr26_vgpr27
                                        ; implicit-def: $vgpr24_vgpr25
                                        ; implicit-def: $vgpr22_vgpr23
                                        ; implicit-def: $vgpr20_vgpr21
	v_lshlrev_b32_e32 v16, 2, v0
	s_cbranch_execnz .LBB2194_69
	s_branch .LBB2194_88
.LBB2194_29:
	s_add_nc_u64 s[38:39], s[30:31], -4
	s_mov_b32 s41, -1
.LBB2194_30:
	s_delay_alu instid0(SALU_CYCLE_1)
	s_and_not1_b32 vcc_lo, exec_lo, s41
.LBB2194_31:
	v_mov_b32_e32 v2, 0
	v_mad_i32_i24 v4, 0xffffffd4, v0, v1
	flat_load_b32 v2, v2, s[38:39]
	s_wait_xcnt 0x0
	s_mov_b32 s38, exec_lo
	s_wait_dscnt 0x1
	ds_store_b32 v4, v9 offset:12288
	s_wait_loadcnt_dscnt 0x0
	s_barrier_signal -1
	s_barrier_wait -1
	v_cmpx_ne_u32_e32 0, v0
; %bb.32:
	v_mul_i32_i24_e32 v2, 0xffffffd4, v0
	s_delay_alu instid0(VALU_DEP_1)
	v_add_nc_u32_e32 v2, v1, v2
	ds_load_b32 v2, v2 offset:12284
; %bb.33:
	s_or_b32 exec_lo, exec_lo, s38
	s_wait_dscnt 0x0
	s_barrier_signal -1
	s_barrier_wait -1
                                        ; implicit-def: $vgpr5
	s_and_saveexec_b32 s38, s0
	s_cbranch_execnz .LBB2194_72
; %bb.34:
	s_or_b32 exec_lo, exec_lo, s38
                                        ; implicit-def: $vgpr18
	s_and_saveexec_b32 s0, s1
	s_cbranch_execnz .LBB2194_73
.LBB2194_35:
	s_or_b32 exec_lo, exec_lo, s0
                                        ; implicit-def: $vgpr19
	s_and_saveexec_b32 s0, s2
	s_cbranch_execnz .LBB2194_74
.LBB2194_36:
	s_or_b32 exec_lo, exec_lo, s0
                                        ; implicit-def: $vgpr20
	s_and_saveexec_b32 s0, s3
	s_cbranch_execnz .LBB2194_75
.LBB2194_37:
	s_or_b32 exec_lo, exec_lo, s0
                                        ; implicit-def: $vgpr21
	s_and_saveexec_b32 s0, s4
	s_cbranch_execnz .LBB2194_76
.LBB2194_38:
	s_or_b32 exec_lo, exec_lo, s0
                                        ; implicit-def: $vgpr22
	s_and_saveexec_b32 s0, s5
	s_cbranch_execnz .LBB2194_77
.LBB2194_39:
	s_or_b32 exec_lo, exec_lo, s0
                                        ; implicit-def: $vgpr23
	s_and_saveexec_b32 s0, s6
	s_cbranch_execnz .LBB2194_78
.LBB2194_40:
	s_or_b32 exec_lo, exec_lo, s0
                                        ; implicit-def: $vgpr24
	s_and_saveexec_b32 s0, s7
	s_cbranch_execnz .LBB2194_79
.LBB2194_41:
	s_or_b32 exec_lo, exec_lo, s0
                                        ; implicit-def: $vgpr25
	s_and_saveexec_b32 s0, s8
	s_cbranch_execnz .LBB2194_80
.LBB2194_42:
	s_or_b32 exec_lo, exec_lo, s0
                                        ; implicit-def: $vgpr26
	s_and_saveexec_b32 s0, s9
	s_cbranch_execnz .LBB2194_81
.LBB2194_43:
	s_or_b32 exec_lo, exec_lo, s0
                                        ; implicit-def: $vgpr27
	s_and_saveexec_b32 s0, s10
	s_cbranch_execnz .LBB2194_82
.LBB2194_44:
	s_or_b32 exec_lo, exec_lo, s0
                                        ; implicit-def: $vgpr28
	s_and_saveexec_b32 s0, s11
	s_cbranch_execz .LBB2194_46
.LBB2194_45:
	flat_load_b32 v28, v0, s[12:13] offset:11264 scale_offset
.LBB2194_46:
	s_wait_xcnt 0x0
	s_or_b32 exec_lo, exec_lo, s0
	s_wait_loadcnt_dscnt 0x0
	ds_store_2addr_stride64_b32 v3, v5, v18 offset1:4
	ds_store_2addr_stride64_b32 v3, v19, v20 offset0:8 offset1:12
	ds_store_2addr_stride64_b32 v3, v21, v22 offset0:16 offset1:20
	;; [unrolled: 1-line block ×5, first 2 shown]
	v_mov_b64_e32 v[18:19], 0
	v_mov_b64_e32 v[42:43], 0
	;; [unrolled: 1-line block ×20, first 2 shown]
	v_mul_u32_u24_e32 v4, 12, v0
	s_mov_b32 s2, 0
	s_mov_b32 s1, 0
	s_mov_b32 s4, exec_lo
	s_wait_dscnt 0x0
	s_barrier_signal -1
	s_barrier_wait -1
                                        ; implicit-def: $sgpr3
                                        ; implicit-def: $vgpr5
	v_cmpx_gt_u32_e64 s40, v4
	s_cbranch_execz .LBB2194_68
; %bb.47:
	ds_load_b32 v18, v1
	v_cmp_ne_u32_e32 vcc_lo, v2, v14
	v_mov_b64_e32 v[42:43], 0
	v_mov_b64_e32 v[46:47], 0
	;; [unrolled: 1-line block ×18, first 2 shown]
	v_or_b32_e32 v3, 1, v4
	v_cndmask_b32_e64 v19, 0, 1, vcc_lo
	s_mov_b32 s0, 0
	s_mov_b32 s1, exec_lo
                                        ; implicit-def: $sgpr3
                                        ; implicit-def: $vgpr5
	s_delay_alu instid0(VALU_DEP_2)
	v_cmpx_gt_u32_e64 s40, v3
	s_cbranch_execz .LBB2194_67
; %bb.48:
	ds_load_2addr_b32 v[42:43], v1 offset0:1 offset1:2
	v_cmp_ne_u32_e32 vcc_lo, v14, v15
	v_mov_b64_e32 v[46:47], 0
	v_mov_b64_e32 v[44:45], 0
	v_mov_b64_e32 v[48:49], 0
	v_mov_b64_e32 v[50:51], 0
	v_mov_b64_e32 v[52:53], 0
	v_mov_b64_e32 v[54:55], 0
	v_mov_b64_e32 v[56:57], 0
	v_mov_b64_e32 v[58:59], 0
	v_mov_b64_e32 v[34:35], 0
	v_mov_b64_e32 v[32:33], 0
	v_mov_b64_e32 v[30:31], 0
	v_mov_b64_e32 v[28:29], 0
	v_mov_b64_e32 v[26:27], 0
	v_mov_b64_e32 v[24:25], 0
	v_mov_b64_e32 v[22:23], 0
	v_mov_b64_e32 v[20:21], 0
	v_or_b32_e32 v3, 2, v4
	v_cndmask_b32_e64 v2, 0, 1, vcc_lo
	s_mov_b32 s5, exec_lo
                                        ; implicit-def: $sgpr3
                                        ; implicit-def: $vgpr5
	s_delay_alu instid0(VALU_DEP_2)
	v_cmpx_gt_u32_e64 s40, v3
	s_cbranch_execz .LBB2194_66
; %bb.49:
	v_cmp_ne_u32_e32 vcc_lo, v15, v16
	v_mov_b64_e32 v[44:45], 0
	v_mov_b64_e32 v[48:49], 0
	;; [unrolled: 1-line block ×14, first 2 shown]
	v_or_b32_e32 v3, 3, v4
	v_cndmask_b32_e64 v47, 0, 1, vcc_lo
	s_mov_b32 s6, exec_lo
                                        ; implicit-def: $sgpr3
                                        ; implicit-def: $vgpr5
	s_delay_alu instid0(VALU_DEP_2)
	v_cmpx_gt_u32_e64 s40, v3
	s_cbranch_execz .LBB2194_65
; %bb.50:
	ds_load_2addr_b32 v[44:45], v1 offset0:3 offset1:4
	v_add_nc_u32_e32 v5, 4, v4
	v_cmp_ne_u32_e32 vcc_lo, v16, v17
	v_mov_b64_e32 v[48:49], 0
	v_mov_b64_e32 v[50:51], 0
	;; [unrolled: 1-line block ×12, first 2 shown]
	v_cndmask_b32_e64 v3, 0, 1, vcc_lo
	v_cmp_gt_u32_e32 vcc_lo, s40, v5
                                        ; implicit-def: $sgpr3
                                        ; implicit-def: $vgpr5
	s_and_saveexec_b32 s7, vcc_lo
	s_cbranch_execz .LBB2194_64
; %bb.51:
	v_add_nc_u32_e32 v5, 5, v4
	v_cmp_ne_u32_e32 vcc_lo, v17, v10
	v_mov_b64_e32 v[50:51], 0
	v_mov_b64_e32 v[52:53], 0
	;; [unrolled: 1-line block ×10, first 2 shown]
	v_cndmask_b32_e64 v49, 0, 1, vcc_lo
	v_cmp_gt_u32_e32 vcc_lo, s40, v5
                                        ; implicit-def: $sgpr3
                                        ; implicit-def: $vgpr5
	s_and_saveexec_b32 s8, vcc_lo
	s_cbranch_execz .LBB2194_63
; %bb.52:
	ds_load_2addr_b32 v[50:51], v1 offset0:5 offset1:6
	v_add_nc_u32_e32 v5, 6, v4
	v_cmp_ne_u32_e32 vcc_lo, v10, v11
	v_mov_b64_e32 v[52:53], 0
	v_mov_b64_e32 v[54:55], 0
	;; [unrolled: 1-line block ×8, first 2 shown]
	v_cndmask_b32_e64 v10, 0, 1, vcc_lo
	v_cmp_gt_u32_e32 vcc_lo, s40, v5
                                        ; implicit-def: $sgpr3
                                        ; implicit-def: $vgpr5
	s_and_saveexec_b32 s9, vcc_lo
	s_cbranch_execz .LBB2194_62
; %bb.53:
	v_add_nc_u32_e32 v5, 7, v4
	v_cmp_ne_u32_e32 vcc_lo, v11, v12
	v_mov_b64_e32 v[54:55], 0
	v_mov_b64_e32 v[56:57], 0
	;; [unrolled: 1-line block ×6, first 2 shown]
	v_cndmask_b32_e64 v53, 0, 1, vcc_lo
	v_cmp_gt_u32_e32 vcc_lo, s40, v5
                                        ; implicit-def: $sgpr3
                                        ; implicit-def: $vgpr5
	s_and_saveexec_b32 s10, vcc_lo
	s_cbranch_execz .LBB2194_61
; %bb.54:
	ds_load_2addr_b32 v[54:55], v1 offset0:7 offset1:8
	v_add_nc_u32_e32 v5, 8, v4
	v_cmp_ne_u32_e32 vcc_lo, v12, v13
	v_mov_b64_e32 v[56:57], 0
	v_mov_b64_e32 v[58:59], 0
	;; [unrolled: 1-line block ×4, first 2 shown]
	v_cndmask_b32_e64 v11, 0, 1, vcc_lo
	v_cmp_gt_u32_e32 vcc_lo, s40, v5
                                        ; implicit-def: $sgpr3
                                        ; implicit-def: $vgpr5
	s_and_saveexec_b32 s11, vcc_lo
	s_cbranch_execz .LBB2194_60
; %bb.55:
	v_add_nc_u32_e32 v5, 9, v4
	v_cmp_ne_u32_e32 vcc_lo, v13, v6
	v_mov_b64_e32 v[58:59], 0
	v_mov_b64_e32 v[20:21], 0
                                        ; implicit-def: $sgpr3
	v_cndmask_b32_e64 v57, 0, 1, vcc_lo
	v_cmp_gt_u32_e32 vcc_lo, s40, v5
                                        ; implicit-def: $vgpr5
	s_and_saveexec_b32 s38, vcc_lo
	s_cbranch_execz .LBB2194_59
; %bb.56:
	ds_load_2addr_b32 v[58:59], v1 offset0:9 offset1:10
	v_add_nc_u32_e32 v5, 10, v4
	v_cmp_ne_u32_e32 vcc_lo, v6, v7
	v_mov_b64_e32 v[20:21], 0
                                        ; implicit-def: $sgpr3
	v_cndmask_b32_e64 v6, 0, 1, vcc_lo
	s_delay_alu instid0(VALU_DEP_4) | instskip(SKIP_1) | instid1(SALU_CYCLE_1)
	v_cmp_gt_u32_e32 vcc_lo, s40, v5
                                        ; implicit-def: $vgpr5
	s_and_saveexec_b32 s39, vcc_lo
	s_xor_b32 s39, exec_lo, s39
	s_cbranch_execz .LBB2194_58
; %bb.57:
	ds_load_b32 v5, v1 offset:44
	s_wait_dscnt 0x1
	v_dual_mov_b32 v20, v59 :: v_dual_add_nc_u32 v1, 11, v4
	v_cmp_ne_u32_e64 s0, v7, v8
	v_cmp_ne_u32_e64 s3, v8, v9
	s_delay_alu instid0(VALU_DEP_3) | instskip(NEXT) | instid1(VALU_DEP_3)
	v_cmp_gt_u32_e32 vcc_lo, s40, v1
	v_cndmask_b32_e64 v21, 0, 1, s0
	s_and_b32 s0, vcc_lo, exec_lo
.LBB2194_58:
	s_or_b32 exec_lo, exec_lo, s39
	s_wait_dscnt 0x0
	v_mov_b32_e32 v59, v6
	s_and_b32 s0, s0, exec_lo
.LBB2194_59:
	s_or_b32 exec_lo, exec_lo, s38
	s_delay_alu instid0(VALU_DEP_1)
	v_mov_b64_e32 v[22:23], v[58:59]
	s_wait_dscnt 0x0
	v_mov_b32_e32 v56, v55
	s_and_b32 s0, s0, exec_lo
.LBB2194_60:
	s_or_b32 exec_lo, exec_lo, s11
	s_delay_alu instid0(VALU_DEP_1)
	v_mov_b64_e32 v[24:25], v[56:57]
	s_wait_dscnt 0x0
	v_mov_b32_e32 v55, v11
	s_and_b32 s0, s0, exec_lo
.LBB2194_61:
	s_or_b32 exec_lo, exec_lo, s10
	s_delay_alu instid0(VALU_DEP_1)
	v_mov_b64_e32 v[26:27], v[54:55]
	s_wait_dscnt 0x0
	v_mov_b32_e32 v52, v51
	s_and_b32 s0, s0, exec_lo
.LBB2194_62:
	s_or_b32 exec_lo, exec_lo, s9
	s_delay_alu instid0(VALU_DEP_1)
	v_mov_b64_e32 v[28:29], v[52:53]
	s_wait_dscnt 0x0
	v_mov_b32_e32 v51, v10
	s_and_b32 s0, s0, exec_lo
.LBB2194_63:
	s_or_b32 exec_lo, exec_lo, s8
	s_delay_alu instid0(VALU_DEP_1)
	v_mov_b64_e32 v[30:31], v[50:51]
	s_wait_dscnt 0x0
	v_mov_b32_e32 v48, v45
	s_and_b32 s0, s0, exec_lo
.LBB2194_64:
	s_or_b32 exec_lo, exec_lo, s7
	s_delay_alu instid0(VALU_DEP_1)
	v_mov_b64_e32 v[32:33], v[48:49]
	s_wait_dscnt 0x0
	v_mov_b32_e32 v45, v3
	s_and_b32 s0, s0, exec_lo
.LBB2194_65:
	s_or_b32 exec_lo, exec_lo, s6
	s_delay_alu instid0(VALU_DEP_1)
	v_mov_b64_e32 v[34:35], v[44:45]
	s_wait_dscnt 0x0
	v_mov_b32_e32 v46, v43
	s_and_b32 s0, s0, exec_lo
.LBB2194_66:
	s_or_b32 exec_lo, exec_lo, s5
	s_delay_alu instid0(VALU_DEP_1)
	v_mov_b64_e32 v[36:37], v[46:47]
	s_wait_dscnt 0x0
	v_mov_b32_e32 v43, v2
	s_and_b32 s0, s0, exec_lo
.LBB2194_67:
	s_or_b32 exec_lo, exec_lo, s1
	s_delay_alu instid0(VALU_DEP_1)
	v_mov_b64_e32 v[38:39], v[42:43]
	s_and_b32 s1, s0, exec_lo
.LBB2194_68:
	s_or_b32 exec_lo, exec_lo, s4
	v_lshlrev_b32_e32 v16, 2, v0
	s_and_b32 vcc_lo, exec_lo, s2
	s_cbranch_vccz .LBB2194_88
.LBB2194_69:
	s_clause 0xb
	flat_load_b32 v2, v0, s[30:31] scale_offset
	flat_load_b32 v3, v0, s[30:31] offset:1024 scale_offset
	flat_load_b32 v4, v0, s[30:31] offset:2048 scale_offset
	;; [unrolled: 1-line block ×11, first 2 shown]
	v_mad_u32_u24 v1, v0, 44, v16
	v_mov_b32_e32 v14, 0
	s_cmp_eq_u64 s[36:37], 0
	s_wait_loadcnt_dscnt 0xa0a
	ds_store_2addr_stride64_b32 v16, v2, v3 offset1:4
	s_wait_loadcnt_dscnt 0x809
	ds_store_2addr_stride64_b32 v16, v4, v5 offset0:8 offset1:12
	s_wait_loadcnt_dscnt 0x608
	ds_store_2addr_stride64_b32 v16, v6, v7 offset0:16 offset1:20
	;; [unrolled: 2-line block ×5, first 2 shown]
	s_wait_dscnt 0x0
	s_barrier_signal -1
	s_barrier_wait -1
	ds_load_b128 v[2:5], v1
	ds_load_b128 v[10:13], v1 offset:16
	ds_load_b128 v[6:9], v1 offset:32
	s_cbranch_scc1 .LBB2194_85
; %bb.70:
	s_and_not1_b32 vcc_lo, exec_lo, s33
	s_cbranch_vccnz .LBB2194_83
; %bb.71:
	s_lshl_b64 s[0:1], s[36:37], 2
	s_delay_alu instid0(SALU_CYCLE_1) | instskip(NEXT) | instid1(SALU_CYCLE_1)
	s_add_nc_u64 s[0:1], s[22:23], s[0:1]
	s_add_nc_u64 s[30:31], s[0:1], -4
	s_mov_b32 s0, 0
	s_branch .LBB2194_84
.LBB2194_72:
	flat_load_b32 v5, v0, s[12:13] scale_offset
	s_wait_xcnt 0x0
	s_or_b32 exec_lo, exec_lo, s38
                                        ; implicit-def: $vgpr18
	s_and_saveexec_b32 s0, s1
	s_cbranch_execz .LBB2194_35
.LBB2194_73:
	flat_load_b32 v18, v0, s[12:13] offset:1024 scale_offset
	s_wait_xcnt 0x0
	s_or_b32 exec_lo, exec_lo, s0
                                        ; implicit-def: $vgpr19
	s_and_saveexec_b32 s0, s2
	s_cbranch_execz .LBB2194_36
.LBB2194_74:
	flat_load_b32 v19, v0, s[12:13] offset:2048 scale_offset
	s_wait_xcnt 0x0
	s_or_b32 exec_lo, exec_lo, s0
                                        ; implicit-def: $vgpr20
	s_and_saveexec_b32 s0, s3
	s_cbranch_execz .LBB2194_37
.LBB2194_75:
	flat_load_b32 v20, v0, s[12:13] offset:3072 scale_offset
	s_wait_xcnt 0x0
	s_or_b32 exec_lo, exec_lo, s0
                                        ; implicit-def: $vgpr21
	s_and_saveexec_b32 s0, s4
	s_cbranch_execz .LBB2194_38
.LBB2194_76:
	flat_load_b32 v21, v0, s[12:13] offset:4096 scale_offset
	s_wait_xcnt 0x0
	s_or_b32 exec_lo, exec_lo, s0
                                        ; implicit-def: $vgpr22
	s_and_saveexec_b32 s0, s5
	s_cbranch_execz .LBB2194_39
.LBB2194_77:
	flat_load_b32 v22, v0, s[12:13] offset:5120 scale_offset
	s_wait_xcnt 0x0
	s_or_b32 exec_lo, exec_lo, s0
                                        ; implicit-def: $vgpr23
	s_and_saveexec_b32 s0, s6
	s_cbranch_execz .LBB2194_40
.LBB2194_78:
	flat_load_b32 v23, v0, s[12:13] offset:6144 scale_offset
	s_wait_xcnt 0x0
	s_or_b32 exec_lo, exec_lo, s0
                                        ; implicit-def: $vgpr24
	s_and_saveexec_b32 s0, s7
	s_cbranch_execz .LBB2194_41
.LBB2194_79:
	flat_load_b32 v24, v0, s[12:13] offset:7168 scale_offset
	s_wait_xcnt 0x0
	s_or_b32 exec_lo, exec_lo, s0
                                        ; implicit-def: $vgpr25
	s_and_saveexec_b32 s0, s8
	s_cbranch_execz .LBB2194_42
.LBB2194_80:
	flat_load_b32 v25, v0, s[12:13] offset:8192 scale_offset
	s_wait_xcnt 0x0
	s_or_b32 exec_lo, exec_lo, s0
                                        ; implicit-def: $vgpr26
	s_and_saveexec_b32 s0, s9
	s_cbranch_execz .LBB2194_43
.LBB2194_81:
	flat_load_b32 v26, v0, s[12:13] offset:9216 scale_offset
	s_wait_xcnt 0x0
	s_or_b32 exec_lo, exec_lo, s0
                                        ; implicit-def: $vgpr27
	s_and_saveexec_b32 s0, s10
	s_cbranch_execz .LBB2194_44
.LBB2194_82:
	flat_load_b32 v27, v0, s[12:13] offset:10240 scale_offset
	s_wait_xcnt 0x0
	s_or_b32 exec_lo, exec_lo, s0
                                        ; implicit-def: $vgpr28
	s_and_saveexec_b32 s0, s11
	s_cbranch_execnz .LBB2194_45
	s_branch .LBB2194_46
.LBB2194_83:
	s_add_nc_u64 s[30:31], s[30:31], -4
	s_mov_b32 s0, -1
.LBB2194_84:
	s_delay_alu instid0(SALU_CYCLE_1)
	s_and_not1_b32 vcc_lo, exec_lo, s0
.LBB2194_85:
	flat_load_b32 v14, v14, s[30:31]
	v_mad_i32_i24 v15, 0xffffffd4, v0, v1
	s_mov_b32 s0, exec_lo
	s_wait_dscnt 0x1
	ds_store_b32 v15, v9 offset:12288
	s_wait_loadcnt_dscnt 0x0
	s_barrier_signal -1
	s_barrier_wait -1
	v_cmpx_ne_u32_e32 0, v0
; %bb.86:
	v_mul_i32_i24_e32 v14, 0xffffffd4, v0
	s_delay_alu instid0(VALU_DEP_1)
	v_add_nc_u32_e32 v14, v1, v14
	ds_load_b32 v14, v14 offset:12284
; %bb.87:
	s_or_b32 exec_lo, exec_lo, s0
	s_wait_dscnt 0x0
	s_barrier_signal -1
	s_barrier_wait -1
	s_clause 0xb
	flat_load_b32 v15, v0, s[12:13] scale_offset
	flat_load_b32 v17, v0, s[12:13] offset:1024 scale_offset
	flat_load_b32 v18, v0, s[12:13] offset:2048 scale_offset
	;; [unrolled: 1-line block ×11, first 2 shown]
	v_cmp_ne_u32_e32 vcc_lo, v14, v2
	v_cmp_ne_u32_e64 s3, v8, v9
	s_mov_b32 s1, -1
	s_wait_loadcnt_dscnt 0xa0a
	ds_store_2addr_stride64_b32 v16, v15, v17 offset1:4
	s_wait_loadcnt_dscnt 0x809
	ds_store_2addr_stride64_b32 v16, v18, v20 offset0:8 offset1:12
	s_wait_loadcnt_dscnt 0x608
	ds_store_2addr_stride64_b32 v16, v21, v22 offset0:16 offset1:20
	;; [unrolled: 2-line block ×5, first 2 shown]
	v_cndmask_b32_e64 v19, 0, 1, vcc_lo
	v_cmp_ne_u32_e32 vcc_lo, v2, v3
	s_wait_dscnt 0x0
	s_barrier_signal -1
	s_barrier_wait -1
	v_cndmask_b32_e64 v43, 0, 1, vcc_lo
	v_cmp_ne_u32_e32 vcc_lo, v3, v4
	ds_load_b128 v[22:25], v1
	ds_load_b128 v[26:29], v1 offset:16
	v_cndmask_b32_e64 v47, 0, 1, vcc_lo
	v_cmp_ne_u32_e32 vcc_lo, v4, v5
	v_cndmask_b32_e64 v45, 0, 1, vcc_lo
	v_cmp_ne_u32_e32 vcc_lo, v5, v10
	ds_load_b128 v[2:5], v1 offset:32
	v_cndmask_b32_e64 v49, 0, 1, vcc_lo
	v_cmp_ne_u32_e32 vcc_lo, v10, v11
	s_wait_dscnt 0x2
	v_dual_mov_b32 v18, v22 :: v_dual_mov_b32 v42, v23
	v_cndmask_b32_e64 v51, 0, 1, vcc_lo
	v_cmp_ne_u32_e32 vcc_lo, v11, v12
	v_dual_mov_b32 v46, v24 :: v_dual_mov_b32 v44, v25
	s_wait_dscnt 0x1
	v_dual_mov_b32 v48, v26 :: v_dual_mov_b32 v50, v27
	v_cndmask_b32_e64 v53, 0, 1, vcc_lo
	v_cmp_ne_u32_e32 vcc_lo, v12, v13
	v_dual_mov_b32 v52, v28 :: v_dual_mov_b32 v54, v29
	s_wait_dscnt 0x0
	v_dual_mov_b32 v56, v2 :: v_dual_mov_b32 v58, v3
	v_cndmask_b32_e64 v55, 0, 1, vcc_lo
	v_cmp_ne_u32_e32 vcc_lo, v13, v6
	v_mov_b64_e32 v[38:39], v[42:43]
	v_mov_b64_e32 v[36:37], v[46:47]
	;; [unrolled: 1-line block ×4, first 2 shown]
	v_cndmask_b32_e64 v57, 0, 1, vcc_lo
	v_cmp_ne_u32_e32 vcc_lo, v6, v7
	v_mov_b64_e32 v[30:31], v[50:51]
	v_mov_b64_e32 v[28:29], v[52:53]
	;; [unrolled: 1-line block ×4, first 2 shown]
	v_cndmask_b32_e64 v59, 0, 1, vcc_lo
	v_cmp_ne_u32_e32 vcc_lo, v7, v8
	v_mov_b32_e32 v20, v4
	s_delay_alu instid0(VALU_DEP_3)
	v_mov_b64_e32 v[22:23], v[58:59]
	v_cndmask_b32_e64 v21, 0, 1, vcc_lo
.LBB2194_88:
	v_mov_b64_e32 v[40:41], 0
	s_and_saveexec_b32 s0, s1
	s_cbranch_execz .LBB2194_90
; %bb.89:
	v_mov_b64_e32 v[22:23], v[58:59]
	v_mov_b64_e32 v[24:25], v[56:57]
	;; [unrolled: 1-line block ×9, first 2 shown]
	v_cndmask_b32_e64 v41, 0, 1, s3
	v_mov_b32_e32 v40, v5
.LBB2194_90:
	s_or_b32 exec_lo, exec_lo, s0
	v_dual_lshrrev_b32 v1, 2, v0 :: v_dual_bitop2_b32 v42, v27, v25 bitop3:0x54
	v_or_b32_e32 v17, v23, v21
	s_cmp_lg_u32 s20, 0
	s_wait_dscnt 0x0
	v_cmp_gt_u32_e32 vcc_lo, 32, v0
	s_barrier_signal -1
	s_barrier_wait -1
	s_cbranch_scc0 .LBB2194_118
; %bb.91:
	s_mov_b64 s[10:11], 0x100000000
	v_or3_b32 v3, v42, v29, v31
	v_cmp_gt_u64_e64 s0, s[10:11], v[38:39]
	v_cmp_gt_u64_e64 s1, s[10:11], v[36:37]
	;; [unrolled: 1-line block ×7, first 2 shown]
	v_dual_cndmask_b32 v2, 0, v18, s0 :: v_dual_bitop2_b32 v5, 56, v1 bitop3:0x40
	v_cmp_gt_u64_e64 s7, s[10:11], v[24:25]
	v_cmp_gt_u64_e64 s8, s[10:11], v[22:23]
	;; [unrolled: 1-line block ×4, first 2 shown]
	v_add_nc_u32_e32 v2, v2, v38
	v_or3_b32 v3, v3, v33, v35
	v_lshl_add_u32 v5, v0, 3, v5
	s_delay_alu instid0(VALU_DEP_3) | instskip(NEXT) | instid1(VALU_DEP_3)
	v_cndmask_b32_e64 v2, 0, v2, s1
	v_or3_b32 v3, v3, v37, v39
	s_delay_alu instid0(VALU_DEP_2) | instskip(NEXT) | instid1(VALU_DEP_2)
	v_add_nc_u32_e32 v2, v2, v36
	v_or3_b32 v3, v41, v17, v3
	s_delay_alu instid0(VALU_DEP_2) | instskip(NEXT) | instid1(VALU_DEP_2)
	v_cndmask_b32_e64 v2, 0, v2, s2
	v_and_b32_e32 v3, 0xff, v3
	s_delay_alu instid0(VALU_DEP_2) | instskip(NEXT) | instid1(VALU_DEP_1)
	v_add_nc_u32_e32 v2, v2, v34
	v_cndmask_b32_e64 v2, 0, v2, s3
	s_delay_alu instid0(VALU_DEP_1) | instskip(NEXT) | instid1(VALU_DEP_1)
	v_add_nc_u32_e32 v2, v2, v32
	v_cndmask_b32_e64 v2, 0, v2, s4
	s_delay_alu instid0(VALU_DEP_1) | instskip(NEXT) | instid1(VALU_DEP_1)
	v_add_nc_u32_e32 v2, v2, v30
	v_cndmask_b32_e64 v2, 0, v2, s5
	s_delay_alu instid0(VALU_DEP_1) | instskip(NEXT) | instid1(VALU_DEP_1)
	v_add_nc_u32_e32 v2, v2, v28
	v_cndmask_b32_e64 v2, 0, v2, s6
	s_delay_alu instid0(VALU_DEP_1) | instskip(NEXT) | instid1(VALU_DEP_1)
	v_add_nc_u32_e32 v2, v2, v26
	v_cndmask_b32_e64 v2, 0, v2, s7
	s_delay_alu instid0(VALU_DEP_1) | instskip(NEXT) | instid1(VALU_DEP_1)
	v_add_nc_u32_e32 v2, v2, v24
	v_cndmask_b32_e64 v2, 0, v2, s8
	s_delay_alu instid0(VALU_DEP_1) | instskip(NEXT) | instid1(VALU_DEP_1)
	v_add_nc_u32_e32 v2, v2, v22
	v_cndmask_b32_e64 v2, 0, v2, s9
	s_delay_alu instid0(VALU_DEP_1) | instskip(NEXT) | instid1(VALU_DEP_1)
	v_dual_add_nc_u32 v4, v2, v20 :: v_dual_mov_b32 v2, 0
	v_cndmask_b32_e64 v4, 0, v4, s10
	s_delay_alu instid0(VALU_DEP_2) | instskip(NEXT) | instid1(VALU_DEP_1)
	v_cmp_eq_u64_e64 s11, 0, v[2:3]
	v_dual_add_nc_u32 v12, v4, v40 :: v_dual_cndmask_b32 v13, 1, v19, s11
	ds_store_b32 v5, v12
	ds_store_b8 v5, v13 offset:4
	s_wait_dscnt 0x0
	s_barrier_signal -1
	s_barrier_wait -1
	s_and_saveexec_b32 s12, vcc_lo
	s_cbranch_execz .LBB2194_101
; %bb.92:
	v_dual_lshlrev_b32 v2, 1, v0 :: v_dual_lshlrev_b32 v3, 6, v0
	s_mov_b32 s13, exec_lo
	s_delay_alu instid0(VALU_DEP_1) | instskip(NEXT) | instid1(VALU_DEP_1)
	v_and_b32_e32 v2, 0x1f8, v2
	v_add_nc_u32_e32 v4, v2, v3
	ds_load_u8 v5, v4 offset:12
	ds_load_b64 v[2:3], v4
	ds_load_2addr_b32 v[6:7], v4 offset0:2 offset1:4
	ds_load_u8 v10, v4 offset:20
	ds_load_u8 v11, v4 offset:28
	;; [unrolled: 1-line block ×5, first 2 shown]
	ds_load_b32 v44, v4 offset:56
	s_wait_dscnt 0x8
	v_cmp_eq_u16_e64 s11, 0, v5
	s_wait_dscnt 0x5
	s_delay_alu instid0(VALU_DEP_1)
	v_dual_cndmask_b32 v45, 0, v2, s11 :: v_dual_bitop2_b32 v5, v10, v5 bitop3:0x54
	ds_load_2addr_b32 v[8:9], v4 offset0:6 offset1:8
	v_cmp_eq_u16_e64 s11, 0, v10
	s_wait_dscnt 0x4
	v_bitop3_b16 v5, v5, v14, v11 bitop3:0xfe
	v_add_nc_u32_e32 v6, v45, v6
	s_delay_alu instid0(VALU_DEP_1) | instskip(SKIP_1) | instid1(VALU_DEP_2)
	v_cndmask_b32_e64 v6, 0, v6, s11
	v_cmp_eq_u16_e64 s11, 0, v11
	v_add_nc_u32_e32 v6, v6, v7
	s_delay_alu instid0(VALU_DEP_1)
	v_cndmask_b32_e64 v45, 0, v6, s11
	ds_load_2addr_b32 v[6:7], v4 offset0:10 offset1:12
	v_cmp_eq_u16_e64 s11, 0, v14
	s_wait_dscnt 0x1
	v_add_nc_u32_e32 v8, v45, v8
	ds_load_u8 v45, v4 offset:60
	v_cndmask_b32_e64 v8, 0, v8, s11
	v_cmp_eq_u16_e64 s11, 0, v15
	s_delay_alu instid0(VALU_DEP_2) | instskip(SKIP_1) | instid1(VALU_DEP_2)
	v_add_nc_u32_e32 v8, v8, v9
	v_bitop3_b16 v9, v5, v43, v15 bitop3:0xfe
	v_dual_cndmask_b32 v8, 0, v8, s11 :: v_dual_bitop2_b32 v5, 1, v3 bitop3:0x40
	s_delay_alu instid0(VALU_DEP_2) | instskip(SKIP_1) | instid1(VALU_DEP_2)
	v_cmp_eq_u16_e64 s11, 0, v9
	s_wait_dscnt 0x0
	v_dual_add_nc_u32 v6, v8, v6 :: v_dual_bitop2_b32 v8, 1, v45 bitop3:0x40
	s_delay_alu instid0(VALU_DEP_2) | instskip(SKIP_1) | instid1(VALU_DEP_1)
	v_cndmask_b32_e64 v9, 1, v5, s11
	v_cmp_eq_u16_e64 s11, 0, v43
	v_cndmask_b32_e64 v6, 0, v6, s11
	s_delay_alu instid0(VALU_DEP_4) | instskip(SKIP_1) | instid1(VALU_DEP_2)
	v_cmp_eq_u32_e64 s11, 1, v8
	v_mbcnt_lo_u32_b32 v8, -1, 0
	v_cndmask_b32_e64 v9, v9, 1, s11
	v_cmp_eq_u16_e64 s11, 0, v45
	s_delay_alu instid0(VALU_DEP_2) | instskip(SKIP_2) | instid1(VALU_DEP_1)
	v_and_b32_e32 v10, 0xffff, v9
	v_add_nc_u32_e32 v7, v6, v7
	v_and_b32_e32 v6, 0xffffff00, v3
	v_dual_cndmask_b32 v7, 0, v7, s11 :: v_dual_bitop2_b32 v11, v6, v10 bitop3:0x54
	v_and_b32_e32 v10, 15, v8
	s_delay_alu instid0(VALU_DEP_2) | instskip(NEXT) | instid1(VALU_DEP_3)
	v_mov_b32_dpp v15, v11 row_shr:1 row_mask:0xf bank_mask:0xf
	v_add_nc_u32_e32 v7, v7, v44
	s_delay_alu instid0(VALU_DEP_1) | instskip(NEXT) | instid1(VALU_DEP_4)
	v_mov_b32_dpp v14, v7 row_shr:1 row_mask:0xf bank_mask:0xf
	v_cmpx_ne_u32_e32 0, v10
	s_cbranch_execz .LBB2194_94
; %bb.93:
	v_and_b32_e32 v11, 1, v9
	v_and_b32_e32 v15, 1, v15
	s_delay_alu instid0(VALU_DEP_2) | instskip(NEXT) | instid1(VALU_DEP_1)
	v_cmp_eq_u32_e64 s11, 1, v11
	v_cndmask_b32_e64 v15, v15, 1, s11
	v_cmp_eq_u16_e64 s11, 0, v9
	s_delay_alu instid0(VALU_DEP_2) | instskip(NEXT) | instid1(VALU_DEP_1)
	v_and_b32_e32 v11, 0xffff, v15
	v_dual_cndmask_b32 v9, 0, v14, s11 :: v_dual_bitop2_b32 v11, v6, v11 bitop3:0x54
	s_delay_alu instid0(VALU_DEP_1)
	v_dual_add_nc_u32 v7, v9, v7 :: v_dual_mov_b32 v9, v15
.LBB2194_94:
	s_or_b32 exec_lo, exec_lo, s13
	s_delay_alu instid0(VALU_DEP_1) | instskip(NEXT) | instid1(VALU_DEP_3)
	v_mov_b32_dpp v14, v7 row_shr:2 row_mask:0xf bank_mask:0xf
	v_mov_b32_dpp v15, v11 row_shr:2 row_mask:0xf bank_mask:0xf
	s_mov_b32 s13, exec_lo
	v_cmpx_lt_u32_e32 1, v10
	s_cbranch_execz .LBB2194_96
; %bb.95:
	v_and_b32_e32 v11, 1, v9
	v_and_b32_e32 v15, 1, v15
	s_delay_alu instid0(VALU_DEP_2) | instskip(NEXT) | instid1(VALU_DEP_1)
	v_cmp_eq_u32_e64 s11, 1, v11
	v_cndmask_b32_e64 v15, v15, 1, s11
	v_cmp_eq_u16_e64 s11, 0, v9
	s_delay_alu instid0(VALU_DEP_2) | instskip(NEXT) | instid1(VALU_DEP_1)
	v_and_b32_e32 v11, 0xffff, v15
	v_dual_cndmask_b32 v9, 0, v14, s11 :: v_dual_bitop2_b32 v11, v6, v11 bitop3:0x54
	s_delay_alu instid0(VALU_DEP_1)
	v_dual_add_nc_u32 v7, v9, v7 :: v_dual_mov_b32 v9, v15
.LBB2194_96:
	s_or_b32 exec_lo, exec_lo, s13
	s_delay_alu instid0(VALU_DEP_1) | instskip(NEXT) | instid1(VALU_DEP_3)
	v_mov_b32_dpp v14, v7 row_shr:4 row_mask:0xf bank_mask:0xf
	v_mov_b32_dpp v15, v11 row_shr:4 row_mask:0xf bank_mask:0xf
	s_mov_b32 s13, exec_lo
	v_cmpx_lt_u32_e32 3, v10
	;; [unrolled: 20-line block ×3, first 2 shown]
	s_cbranch_execz .LBB2194_100
; %bb.99:
	v_and_b32_e32 v10, 1, v9
	v_and_b32_e32 v11, 1, v15
	s_delay_alu instid0(VALU_DEP_2) | instskip(NEXT) | instid1(VALU_DEP_1)
	v_cmp_eq_u32_e64 s11, 1, v10
	v_cndmask_b32_e64 v10, v11, 1, s11
	v_cmp_eq_u16_e64 s11, 0, v9
	s_delay_alu instid0(VALU_DEP_2) | instskip(NEXT) | instid1(VALU_DEP_1)
	v_and_b32_e32 v11, 0xffff, v10
	v_dual_cndmask_b32 v9, 0, v14, s11 :: v_dual_bitop2_b32 v11, v6, v11 bitop3:0x54
	s_delay_alu instid0(VALU_DEP_1)
	v_dual_add_nc_u32 v7, v9, v7 :: v_dual_mov_b32 v9, v10
.LBB2194_100:
	s_or_b32 exec_lo, exec_lo, s13
	ds_swizzle_b32 v10, v11 offset:swizzle(BROADCAST,32,15)
	ds_swizzle_b32 v11, v7 offset:swizzle(BROADCAST,32,15)
	v_and_b32_e32 v14, 1, v9
	v_bfe_i32 v43, v8, 4, 1
	v_and_b32_e32 v3, 0xff, v3
	; wave barrier
	s_delay_alu instid0(VALU_DEP_3) | instskip(SKIP_2) | instid1(VALU_DEP_1)
	v_cmp_eq_u32_e64 s11, 1, v14
	s_wait_dscnt 0x1
	v_dual_add_nc_u32 v14, -1, v8 :: v_dual_bitop2_b32 v10, 1, v10 bitop3:0x40
	v_cndmask_b32_e64 v10, v10, 1, s11
	v_and_b32_e32 v15, 16, v8
	v_cmp_eq_u16_e64 s11, 0, v9
	s_wait_dscnt 0x0
	s_delay_alu instid0(VALU_DEP_1) | instskip(NEXT) | instid1(VALU_DEP_3)
	v_cndmask_b32_e64 v11, 0, v11, s11
	v_cmp_eq_u32_e64 s11, 0, v15
	s_delay_alu instid0(VALU_DEP_1) | instskip(SKIP_1) | instid1(VALU_DEP_4)
	v_cndmask_b32_e64 v9, v10, v9, s11
	v_cmp_gt_i32_e64 s11, 0, v14
	v_and_b32_e32 v10, v43, v11
	s_delay_alu instid0(VALU_DEP_3) | instskip(NEXT) | instid1(VALU_DEP_3)
	v_and_b32_e32 v9, 0xffff, v9
	v_cndmask_b32_e64 v8, v14, v8, s11
	s_delay_alu instid0(VALU_DEP_3) | instskip(SKIP_1) | instid1(VALU_DEP_3)
	v_add_nc_u32_e32 v7, v10, v7
	v_cmp_eq_u16_e64 s11, 0, v3
	v_lshlrev_b32_e32 v8, 2, v8
	ds_bpermute_b32 v7, v8, v7
	s_wait_dscnt 0x0
	v_dual_cndmask_b32 v3, 0, v7, s11 :: v_dual_bitop2_b32 v6, v6, v9 bitop3:0x54
	ds_bpermute_b32 v6, v8, v6
	v_cmp_eq_u32_e64 s11, 1, v5
	v_add_nc_u32_e32 v2, v3, v2
	s_wait_dscnt 0x0
	v_and_b32_e32 v6, 1, v6
	s_delay_alu instid0(VALU_DEP_1) | instskip(SKIP_1) | instid1(VALU_DEP_1)
	v_cndmask_b32_e64 v3, v6, 1, s11
	v_cmp_eq_u32_e64 s11, 0, v0
	v_dual_cndmask_b32 v8, v3, v13, s11 :: v_dual_cndmask_b32 v5, v2, v12, s11
	ds_store_b32 v4, v5
	ds_store_b8 v4, v8 offset:4
	; wave barrier
	ds_load_u8 v9, v4 offset:12
	ds_load_2addr_b32 v[2:3], v4 offset0:2 offset1:4
	ds_load_u8 v10, v4 offset:20
	ds_load_u8 v11, v4 offset:28
	;; [unrolled: 1-line block ×5, first 2 shown]
	ds_load_b32 v44, v4 offset:56
	ds_load_u8 v45, v4 offset:60
	ds_load_2addr_b32 v[6:7], v4 offset0:6 offset1:8
	s_wait_dscnt 0x9
	v_cmp_eq_u16_e64 s11, 0, v9
	v_and_b32_e32 v9, 1, v9
	s_delay_alu instid0(VALU_DEP_2) | instskip(SKIP_2) | instid1(VALU_DEP_2)
	v_cndmask_b32_e64 v5, 0, v5, s11
	s_wait_dscnt 0x7
	v_cmp_eq_u16_e64 s11, 0, v10
	v_add_nc_u32_e32 v5, v5, v2
	s_delay_alu instid0(VALU_DEP_1) | instskip(SKIP_2) | instid1(VALU_DEP_2)
	v_cndmask_b32_e64 v2, 0, v5, s11
	s_wait_dscnt 0x6
	v_cmp_eq_u16_e64 s11, 0, v11
	v_add_nc_u32_e32 v46, v2, v3
	ds_load_2addr_b32 v[2:3], v4 offset0:10 offset1:12
	v_cndmask_b32_e64 v47, 0, v46, s11
	s_wait_dscnt 0x6
	v_cmp_eq_u16_e64 s11, 0, v14
	ds_store_2addr_b32 v4, v5, v46 offset0:2 offset1:4
	s_wait_dscnt 0x2
	v_add_nc_u32_e32 v6, v47, v6
	s_delay_alu instid0(VALU_DEP_1) | instskip(SKIP_3) | instid1(VALU_DEP_4)
	v_cndmask_b32_e64 v47, 0, v6, s11
	v_and_b32_e32 v10, 1, v10
	v_cmp_eq_u32_e64 s11, 1, v9
	v_and_b32_e32 v9, 1, v11
	v_dual_add_nc_u32 v7, v47, v7 :: v_dual_bitop2_b32 v11, 1, v14 bitop3:0x40
	s_delay_alu instid0(VALU_DEP_3) | instskip(SKIP_1) | instid1(VALU_DEP_1)
	v_cndmask_b32_e64 v8, v8, 1, s11
	v_cmp_eq_u32_e64 s11, 1, v10
	v_cndmask_b32_e64 v10, v8, 1, s11
	v_cmp_eq_u16_e64 s11, 0, v15
	s_delay_alu instid0(VALU_DEP_1) | instskip(SKIP_2) | instid1(VALU_DEP_2)
	v_cndmask_b32_e64 v14, 0, v7, s11
	v_cmp_eq_u32_e64 s11, 1, v9
	s_wait_dscnt 0x1
	v_dual_add_nc_u32 v2, v14, v2 :: v_dual_bitop2_b32 v15, 1, v15 bitop3:0x40
	s_delay_alu instid0(VALU_DEP_2) | instskip(SKIP_1) | instid1(VALU_DEP_1)
	v_cndmask_b32_e64 v9, v10, 1, s11
	v_cmp_eq_u32_e64 s11, 1, v11
	v_cndmask_b32_e64 v11, v9, 1, s11
	v_cmp_eq_u16_e64 s11, 0, v43
	s_delay_alu instid0(VALU_DEP_1) | instskip(SKIP_1) | instid1(VALU_DEP_2)
	v_dual_cndmask_b32 v43, 0, v2, s11 :: v_dual_bitop2_b32 v14, 1, v43 bitop3:0x40
	v_cmp_eq_u32_e64 s11, 1, v15
	v_add_nc_u32_e32 v3, v43, v3
	s_delay_alu instid0(VALU_DEP_2) | instskip(NEXT) | instid1(VALU_DEP_4)
	v_cndmask_b32_e64 v15, v11, 1, s11
	v_cmp_eq_u32_e64 s11, 1, v14
	ds_store_2addr_b32 v4, v6, v7 offset0:6 offset1:8
	ds_store_2addr_b32 v4, v2, v3 offset0:10 offset1:12
	v_cndmask_b32_e64 v14, v15, 1, s11
	v_cmp_eq_u16_e64 s11, 0, v45
	s_delay_alu instid0(VALU_DEP_1) | instskip(NEXT) | instid1(VALU_DEP_1)
	v_dual_cndmask_b32 v5, 0, v3, s11 :: v_dual_bitop2_b32 v47, 1, v45 bitop3:0x40
	v_cmp_eq_u32_e64 s11, 1, v47
	s_delay_alu instid0(VALU_DEP_2) | instskip(NEXT) | instid1(VALU_DEP_2)
	v_add_nc_u32_e32 v2, v5, v44
	v_cndmask_b32_e64 v43, v14, 1, s11
	ds_store_b8 v4, v8 offset:12
	ds_store_b8 v4, v10 offset:20
	ds_store_b8 v4, v9 offset:28
	ds_store_b8 v4, v11 offset:36
	ds_store_b8 v4, v15 offset:44
	ds_store_b8 v4, v14 offset:52
	ds_store_b32 v4, v2 offset:56
	ds_store_b8 v4, v43 offset:60
.LBB2194_101:
	s_or_b32 exec_lo, exec_lo, s12
	v_cmp_eq_u32_e64 s11, 0, v0
	s_mov_b32 s13, exec_lo
	s_wait_dscnt 0x0
	s_barrier_signal -1
	s_barrier_wait -1
	v_cmpx_ne_u32_e32 0, v0
	s_cbranch_execz .LBB2194_103
; %bb.102:
	v_add_nc_u32_e32 v2, -1, v0
	s_delay_alu instid0(VALU_DEP_1) | instskip(NEXT) | instid1(VALU_DEP_1)
	v_lshrrev_b32_e32 v3, 2, v2
	v_and_b32_e32 v3, 0x3ffffff8, v3
	s_delay_alu instid0(VALU_DEP_1)
	v_lshl_add_u32 v2, v2, 3, v3
	ds_load_b32 v12, v2
	ds_load_u8 v13, v2 offset:4
.LBB2194_103:
	s_or_b32 exec_lo, exec_lo, s13
	s_and_saveexec_b32 s30, vcc_lo
	s_cbranch_execz .LBB2194_163
; %bb.104:
	v_mov_b32_e32 v5, 0
	v_mbcnt_lo_u32_b32 v14, -1, 0
	s_mov_b32 s23, 0
	ds_load_b64 v[2:3], v5 offset:2096
	v_cmp_eq_u32_e64 s12, 0, v14
	s_and_saveexec_b32 s13, s12
	s_cbranch_execz .LBB2194_106
; %bb.105:
	s_add_co_i32 s22, s20, 32
	v_mov_b32_e32 v4, 1
	s_lshl_b64 s[22:23], s[22:23], 4
	s_delay_alu instid0(SALU_CYCLE_1) | instskip(NEXT) | instid1(SALU_CYCLE_1)
	s_add_nc_u64 s[22:23], s[24:25], s[22:23]
	v_mov_b64_e32 v[6:7], s[22:23]
	s_wait_dscnt 0x0
	;;#ASMSTART
	global_store_b128 v[6:7], v[2:5] off scope:SCOPE_DEV	
s_wait_storecnt 0x0
	;;#ASMEND
.LBB2194_106:
	s_or_b32 exec_lo, exec_lo, s13
	v_xad_u32 v8, v14, -1, s20
	s_mov_b32 s13, exec_lo
	s_delay_alu instid0(VALU_DEP_1) | instskip(NEXT) | instid1(VALU_DEP_1)
	v_add_nc_u32_e32 v4, 32, v8
	v_lshl_add_u64 v[10:11], v[4:5], 4, s[24:25]
	;;#ASMSTART
	global_load_b128 v[4:7], v[10:11] off scope:SCOPE_DEV	
s_wait_loadcnt 0x0
	;;#ASMEND
	v_and_b32_e32 v7, 0xff, v6
	v_and_b32_e32 v5, 0xff, v5
	s_delay_alu instid0(VALU_DEP_2)
	v_cmpx_eq_u16_e32 0, v7
	s_cbranch_execz .LBB2194_110
; %bb.107:
	s_mov_b32 s22, 0
.LBB2194_108:                           ; =>This Inner Loop Header: Depth=1
	;;#ASMSTART
	global_load_b128 v[4:7], v[10:11] off scope:SCOPE_DEV	
s_wait_loadcnt 0x0
	;;#ASMEND
	v_and_b32_e32 v7, 0xff, v6
	s_delay_alu instid0(VALU_DEP_1) | instskip(SKIP_1) | instid1(SALU_CYCLE_1)
	v_cmp_ne_u16_e32 vcc_lo, 0, v7
	s_or_b32 s22, vcc_lo, s22
	s_and_not1_b32 exec_lo, exec_lo, s22
	s_cbranch_execnz .LBB2194_108
; %bb.109:
	s_or_b32 exec_lo, exec_lo, s22
	v_and_b32_e32 v5, 0xff, v5
.LBB2194_110:
	s_or_b32 exec_lo, exec_lo, s13
	v_cmp_ne_u32_e32 vcc_lo, 31, v14
	v_and_b32_e32 v9, 0xff, v6
	v_lshlrev_b32_e64 v43, v14, -1
	s_mov_b64 s[22:23], 0x100000000
	v_lshl_or_b32 v52, v14, 2, 64
	v_add_co_ci_u32_e64 v7, null, 0, v14, vcc_lo
	v_cmp_eq_u16_e32 vcc_lo, 2, v9
	v_cmp_gt_u64_e64 s13, s[22:23], v[4:5]
	s_delay_alu instid0(VALU_DEP_3) | instskip(SKIP_1) | instid1(VALU_DEP_2)
	v_dual_lshlrev_b32 v15, 2, v7 :: v_dual_bitop2_b32 v10, 1, v5 bitop3:0x40
	v_and_or_b32 v9, vcc_lo, v43, 0x80000000
	v_cmp_eq_u32_e32 vcc_lo, 1, v10
	ds_bpermute_b32 v7, v15, v5
	ds_bpermute_b32 v10, v15, v4
	v_ctz_i32_b32_e32 v9, v9
	s_wait_dscnt 0x1
	v_and_b32_e32 v7, 1, v7
	s_delay_alu instid0(VALU_DEP_1) | instskip(SKIP_1) | instid1(VALU_DEP_2)
	v_cndmask_b32_e64 v7, v7, 1, vcc_lo
	v_cmp_gt_u32_e32 vcc_lo, 30, v14
	v_and_b32_e32 v45, 0xffff, v7
	v_cndmask_b32_e64 v11, 0, 2, vcc_lo
	v_cmp_lt_u32_e32 vcc_lo, v14, v9
	s_delay_alu instid0(VALU_DEP_2) | instskip(NEXT) | instid1(VALU_DEP_4)
	v_add_lshl_u32 v44, v11, v14, 2
	v_dual_cndmask_b32 v11, v5, v45, vcc_lo :: v_dual_cndmask_b32 v7, v5, v7, vcc_lo
	s_and_b32 vcc_lo, vcc_lo, s13
	v_add_nc_u32_e32 v45, 2, v14
	s_wait_dscnt 0x0
	v_cndmask_b32_e32 v10, 0, v10, vcc_lo
	ds_bpermute_b32 v5, v44, v11
	v_and_b32_e32 v46, 1, v7
	v_and_b32_e32 v48, 0xff, v7
	v_add_nc_u32_e32 v4, v10, v4
	s_delay_alu instid0(VALU_DEP_3) | instskip(NEXT) | instid1(VALU_DEP_3)
	v_cmp_eq_u32_e32 vcc_lo, 1, v46
	v_cmp_eq_u16_e64 s13, 0, v48
	ds_bpermute_b32 v10, v44, v4
	s_wait_dscnt 0x1
	v_and_b32_e32 v5, 1, v5
	s_delay_alu instid0(VALU_DEP_1) | instskip(SKIP_3) | instid1(VALU_DEP_3)
	v_cndmask_b32_e64 v5, v5, 1, vcc_lo
	v_cmp_gt_u32_e32 vcc_lo, 28, v14
	s_wait_dscnt 0x0
	v_cndmask_b32_e64 v10, 0, v10, s13
	v_and_b32_e32 v47, 0xffff, v5
	v_cndmask_b32_e64 v46, 0, 4, vcc_lo
	v_cmp_gt_u32_e32 vcc_lo, v45, v9
	s_delay_alu instid0(VALU_DEP_2) | instskip(SKIP_3) | instid1(VALU_DEP_2)
	v_add_lshl_u32 v46, v46, v14, 2
	v_cndmask_b32_e32 v5, v5, v7, vcc_lo
	v_cndmask_b32_e64 v10, v10, 0, vcc_lo
	v_dual_cndmask_b32 v7, v47, v11, vcc_lo :: v_dual_add_nc_u32 v47, 4, v14
	v_dual_add_nc_u32 v4, v10, v4 :: v_dual_bitop2_b32 v48, 1, v5 bitop3:0x40
	ds_bpermute_b32 v11, v46, v7
	v_cmp_eq_u32_e32 vcc_lo, 1, v48
	ds_bpermute_b32 v10, v46, v4
	v_and_b32_e32 v48, 0xff, v5
	s_delay_alu instid0(VALU_DEP_1) | instskip(SKIP_1) | instid1(VALU_DEP_1)
	v_cmp_eq_u16_e64 s13, 0, v48
	s_wait_dscnt 0x0
	v_dual_cndmask_b32 v10, 0, v10, s13 :: v_dual_bitop2_b32 v11, 1, v11 bitop3:0x40
	s_delay_alu instid0(VALU_DEP_1) | instskip(SKIP_1) | instid1(VALU_DEP_2)
	v_cndmask_b32_e64 v11, v11, 1, vcc_lo
	v_cmp_gt_u32_e32 vcc_lo, 24, v14
	v_and_b32_e32 v50, 0xffff, v11
	v_cndmask_b32_e64 v49, 0, 8, vcc_lo
	v_cmp_gt_u32_e32 vcc_lo, v47, v9
	s_delay_alu instid0(VALU_DEP_2) | instskip(NEXT) | instid1(VALU_DEP_4)
	v_add_lshl_u32 v48, v49, v14, 2
	v_dual_cndmask_b32 v5, v11, v5, vcc_lo :: v_dual_cndmask_b32 v7, v50, v7, vcc_lo
	v_cndmask_b32_e64 v10, v10, 0, vcc_lo
	s_delay_alu instid0(VALU_DEP_2)
	v_dual_add_nc_u32 v49, 8, v14 :: v_dual_bitop2_b32 v50, 1, v5 bitop3:0x40
	ds_bpermute_b32 v11, v48, v7
	v_add_nc_u32_e32 v4, v10, v4
	v_and_b32_e32 v51, 0xff, v5
	v_cmp_eq_u32_e32 vcc_lo, 1, v50
	ds_bpermute_b32 v10, v48, v4
	s_wait_dscnt 0x1
	v_and_b32_e32 v11, 1, v11
	s_delay_alu instid0(VALU_DEP_1) | instskip(SKIP_1) | instid1(VALU_DEP_2)
	v_cndmask_b32_e64 v11, v11, 1, vcc_lo
	v_cmp_eq_u16_e32 vcc_lo, 0, v51
	v_and_b32_e32 v50, 0xffff, v11
	s_wait_dscnt 0x0
	v_cndmask_b32_e32 v10, 0, v10, vcc_lo
	v_cmp_gt_u32_e32 vcc_lo, v49, v9
	s_delay_alu instid0(VALU_DEP_3) | instskip(NEXT) | instid1(VALU_DEP_3)
	v_dual_cndmask_b32 v5, v11, v5, vcc_lo :: v_dual_cndmask_b32 v7, v50, v7, vcc_lo
	v_cndmask_b32_e64 v10, v10, 0, vcc_lo
	s_delay_alu instid0(VALU_DEP_2) | instskip(SKIP_3) | instid1(VALU_DEP_1)
	v_and_b32_e32 v50, 1, v5
	ds_bpermute_b32 v7, v52, v7
	v_add_nc_u32_e32 v4, v10, v4
	v_and_b32_e32 v11, 0xff, v5
	v_cmp_eq_u16_e32 vcc_lo, 0, v11
	s_wait_dscnt 0x0
	v_and_b32_e32 v7, 1, v7
	ds_bpermute_b32 v10, v52, v4
	s_wait_dscnt 0x0
	v_cndmask_b32_e32 v10, 0, v10, vcc_lo
	v_cmp_eq_u32_e32 vcc_lo, 1, v50
	v_cndmask_b32_e64 v7, v7, 1, vcc_lo
	v_add_nc_u32_e32 v53, 16, v14
	s_delay_alu instid0(VALU_DEP_1) | instskip(NEXT) | instid1(VALU_DEP_3)
	v_cmp_gt_u32_e32 vcc_lo, v53, v9
	v_dual_mov_b32 v9, 0 :: v_dual_cndmask_b32 v5, v7, v5, vcc_lo
	v_cndmask_b32_e64 v7, v10, 0, vcc_lo
	s_delay_alu instid0(VALU_DEP_1)
	v_add_nc_u32_e32 v4, v7, v4
	s_branch .LBB2194_114
.LBB2194_111:                           ;   in Loop: Header=BB2194_114 Depth=1
	s_or_b32 exec_lo, exec_lo, s31
	v_and_b32_e32 v5, 0xff, v5
.LBB2194_112:                           ;   in Loop: Header=BB2194_114 Depth=1
	s_or_b32 exec_lo, exec_lo, s13
	ds_bpermute_b32 v7, v15, v5
	v_and_b32_e32 v10, 0xff, v6
	v_cmp_gt_u64_e64 s13, s[22:23], v[4:5]
	v_subrev_nc_u32_e32 v8, 32, v8
	s_delay_alu instid0(VALU_DEP_3) | instskip(SKIP_2) | instid1(VALU_DEP_2)
	v_cmp_eq_u16_e32 vcc_lo, 2, v10
	v_and_b32_e32 v10, 1, v5
	v_and_or_b32 v11, vcc_lo, v43, 0x80000000
	v_cmp_eq_u32_e32 vcc_lo, 1, v10
	s_delay_alu instid0(VALU_DEP_2) | instskip(SKIP_3) | instid1(VALU_DEP_1)
	v_ctz_i32_b32_e32 v10, v11
	ds_bpermute_b32 v11, v15, v4
	s_wait_dscnt 0x1
	v_and_b32_e32 v7, 1, v7
	v_cndmask_b32_e64 v7, v7, 1, vcc_lo
	v_cmp_lt_u32_e32 vcc_lo, v14, v10
	s_delay_alu instid0(VALU_DEP_2) | instskip(NEXT) | instid1(VALU_DEP_1)
	v_and_b32_e32 v54, 0xffff, v7
	v_dual_cndmask_b32 v7, v5, v7 :: v_dual_cndmask_b32 v54, v5, v54
	s_and_b32 vcc_lo, vcc_lo, s13
	s_delay_alu instid0(VALU_DEP_1)
	v_and_b32_e32 v56, 0xff, v7
	v_and_b32_e32 v55, 1, v7
	ds_bpermute_b32 v5, v44, v54
	s_wait_dscnt 0x1
	v_cndmask_b32_e32 v11, 0, v11, vcc_lo
	v_cmp_eq_u16_e64 s13, 0, v56
	v_cmp_eq_u32_e32 vcc_lo, 1, v55
	s_wait_dscnt 0x0
	s_delay_alu instid0(VALU_DEP_3) | instskip(NEXT) | instid1(VALU_DEP_1)
	v_dual_add_nc_u32 v4, v11, v4 :: v_dual_bitop2_b32 v5, 1, v5 bitop3:0x40
	v_cndmask_b32_e64 v5, v5, 1, vcc_lo
	ds_bpermute_b32 v11, v44, v4
	v_cmp_gt_u32_e32 vcc_lo, v45, v10
	v_and_b32_e32 v55, 0xffff, v5
	s_delay_alu instid0(VALU_DEP_1) | instskip(NEXT) | instid1(VALU_DEP_1)
	v_dual_cndmask_b32 v5, v5, v7, vcc_lo :: v_dual_cndmask_b32 v7, v55, v54, vcc_lo
	v_and_b32_e32 v55, 1, v5
	ds_bpermute_b32 v54, v46, v7
	s_wait_dscnt 0x1
	v_cndmask_b32_e64 v11, 0, v11, s13
	s_delay_alu instid0(VALU_DEP_1) | instskip(SKIP_2) | instid1(VALU_DEP_3)
	v_cndmask_b32_e64 v11, v11, 0, vcc_lo
	v_cmp_eq_u32_e32 vcc_lo, 1, v55
	v_and_b32_e32 v55, 0xff, v5
	v_add_nc_u32_e32 v4, v11, v4
	s_delay_alu instid0(VALU_DEP_2)
	v_cmp_eq_u16_e64 s13, 0, v55
	s_wait_dscnt 0x0
	v_and_b32_e32 v54, 1, v54
	ds_bpermute_b32 v11, v46, v4
	v_cndmask_b32_e64 v54, v54, 1, vcc_lo
	v_cmp_gt_u32_e32 vcc_lo, v47, v10
	s_delay_alu instid0(VALU_DEP_2) | instskip(SKIP_3) | instid1(VALU_DEP_1)
	v_and_b32_e32 v56, 0xffff, v54
	s_wait_dscnt 0x0
	v_dual_cndmask_b32 v5, v54, v5, vcc_lo :: v_dual_cndmask_b32 v11, 0, v11, s13
	s_mov_b32 s13, 0
	v_cndmask_b32_e64 v11, v11, 0, vcc_lo
	v_cndmask_b32_e32 v7, v56, v7, vcc_lo
	s_delay_alu instid0(VALU_DEP_3) | instskip(NEXT) | instid1(VALU_DEP_3)
	v_and_b32_e32 v56, 0xff, v5
	v_add_nc_u32_e32 v4, v11, v4
	ds_bpermute_b32 v54, v48, v7
	ds_bpermute_b32 v11, v48, v4
	v_and_b32_e32 v55, 1, v5
	s_delay_alu instid0(VALU_DEP_1) | instskip(SKIP_2) | instid1(VALU_DEP_1)
	v_cmp_eq_u32_e32 vcc_lo, 1, v55
	s_wait_dscnt 0x1
	v_and_b32_e32 v54, 1, v54
	v_cndmask_b32_e64 v54, v54, 1, vcc_lo
	v_cmp_eq_u16_e32 vcc_lo, 0, v56
	s_delay_alu instid0(VALU_DEP_2) | instskip(SKIP_3) | instid1(VALU_DEP_2)
	v_and_b32_e32 v55, 0xffff, v54
	s_wait_dscnt 0x0
	v_cndmask_b32_e32 v11, 0, v11, vcc_lo
	v_cmp_gt_u32_e32 vcc_lo, v49, v10
	v_cndmask_b32_e64 v11, v11, 0, vcc_lo
	v_dual_cndmask_b32 v7, v55, v7, vcc_lo :: v_dual_cndmask_b32 v5, v54, v5, vcc_lo
	s_delay_alu instid0(VALU_DEP_2) | instskip(SKIP_4) | instid1(VALU_DEP_1)
	v_add_nc_u32_e32 v4, v11, v4
	ds_bpermute_b32 v7, v52, v7
	v_and_b32_e32 v55, 0xff, v5
	ds_bpermute_b32 v11, v52, v4
	v_and_b32_e32 v54, 1, v5
	v_cmp_eq_u32_e32 vcc_lo, 1, v54
	s_wait_dscnt 0x1
	v_cndmask_b32_e64 v7, v7, 1, vcc_lo
	v_cmp_eq_u16_e32 vcc_lo, 0, v55
	s_wait_dscnt 0x0
	v_cndmask_b32_e32 v11, 0, v11, vcc_lo
	v_cmp_gt_u32_e32 vcc_lo, v53, v10
	v_and_b32_e32 v10, 0xff, v50
	v_cndmask_b32_e32 v5, v7, v5, vcc_lo
	s_delay_alu instid0(VALU_DEP_4) | instskip(NEXT) | instid1(VALU_DEP_3)
	v_cndmask_b32_e64 v7, v11, 0, vcc_lo
	v_cmp_eq_u16_e32 vcc_lo, 0, v10
	s_delay_alu instid0(VALU_DEP_2) | instskip(NEXT) | instid1(VALU_DEP_1)
	v_dual_add_nc_u32 v4, v7, v4 :: v_dual_bitop2_b32 v7, 1, v50 bitop3:0x40
	v_dual_cndmask_b32 v4, 0, v4, vcc_lo :: v_dual_bitop2_b32 v5, 1, v5 bitop3:0x40
	s_delay_alu instid0(VALU_DEP_2) | instskip(NEXT) | instid1(VALU_DEP_2)
	v_cmp_eq_u32_e32 vcc_lo, 1, v7
	v_add_nc_u32_e32 v4, v4, v51
	s_delay_alu instid0(VALU_DEP_3)
	v_cndmask_b32_e64 v5, v5, 1, vcc_lo
.LBB2194_113:                           ;   in Loop: Header=BB2194_114 Depth=1
	s_and_b32 vcc_lo, exec_lo, s13
	s_cbranch_vccnz .LBB2194_159
.LBB2194_114:                           ; =>This Loop Header: Depth=1
                                        ;     Child Loop BB2194_117 Depth 2
	v_and_b32_e32 v6, 0xff, v6
	s_delay_alu instid0(VALU_DEP_2) | instskip(SKIP_1) | instid1(VALU_DEP_2)
	v_dual_mov_b32 v50, v5 :: v_dual_mov_b32 v51, v4
	s_mov_b32 s13, -1
                                        ; implicit-def: $vgpr5
                                        ; implicit-def: $vgpr4
	v_cmp_ne_u16_e32 vcc_lo, 2, v6
                                        ; implicit-def: $vgpr6
	s_cmp_lg_u32 vcc_lo, exec_lo
	s_cbranch_scc1 .LBB2194_113
; %bb.115:                              ;   in Loop: Header=BB2194_114 Depth=1
	v_lshl_add_u64 v[10:11], v[8:9], 4, s[24:25]
	;;#ASMSTART
	global_load_b128 v[4:7], v[10:11] off scope:SCOPE_DEV	
s_wait_loadcnt 0x0
	;;#ASMEND
	v_and_b32_e32 v7, 0xff, v6
	v_and_b32_e32 v5, 0xff, v5
	s_mov_b32 s13, exec_lo
	s_delay_alu instid0(VALU_DEP_2)
	v_cmpx_eq_u16_e32 0, v7
	s_cbranch_execz .LBB2194_112
; %bb.116:                              ;   in Loop: Header=BB2194_114 Depth=1
	s_mov_b32 s31, 0
.LBB2194_117:                           ;   Parent Loop BB2194_114 Depth=1
                                        ; =>  This Inner Loop Header: Depth=2
	;;#ASMSTART
	global_load_b128 v[4:7], v[10:11] off scope:SCOPE_DEV	
s_wait_loadcnt 0x0
	;;#ASMEND
	v_and_b32_e32 v7, 0xff, v6
	s_delay_alu instid0(VALU_DEP_1) | instskip(SKIP_1) | instid1(SALU_CYCLE_1)
	v_cmp_ne_u16_e32 vcc_lo, 0, v7
	s_or_b32 s31, vcc_lo, s31
	s_and_not1_b32 exec_lo, exec_lo, s31
	s_cbranch_execnz .LBB2194_117
	s_branch .LBB2194_111
.LBB2194_118:
                                        ; implicit-def: $vgpr13
                                        ; implicit-def: $vgpr5
                                        ; implicit-def: $vgpr9
                                        ; implicit-def: $vgpr14_vgpr15
	s_cbranch_execnz .LBB2194_164
.LBB2194_119:
	s_add_nc_u64 s[0:1], s[14:15], s[34:35]
	s_and_b32 vcc_lo, exec_lo, s21
	s_add_nc_u64 s[0:1], s[0:1], s[16:17]
	s_cbranch_vccz .LBB2194_181
.LBB2194_120:
	v_mul_u32_u24_e32 v1, 12, v0
	s_add_co_i32 s27, s27, s26
	s_mov_b32 s2, exec_lo
	s_delay_alu instid0(VALU_DEP_1)
	v_cmpx_gt_u32_e64 s27, v1
	s_cbranch_execz .LBB2194_136
; %bb.121:
	v_or_b32_e32 v17, 1, v1
	s_mov_b32 s3, exec_lo
	s_delay_alu instid0(VALU_DEP_1)
	v_cmpx_gt_u32_e64 s27, v17
	s_cbranch_execz .LBB2194_135
; %bb.122:
	v_or_b32_e32 v17, 2, v1
	;; [unrolled: 6-line block ×3, first 2 shown]
	s_mov_b32 s5, exec_lo
	s_delay_alu instid0(VALU_DEP_1)
	v_cmpx_gt_u32_e64 s27, v17
	s_cbranch_execz .LBB2194_133
; %bb.124:
	v_add_nc_u32_e32 v17, 4, v1
	s_mov_b32 s6, exec_lo
	s_delay_alu instid0(VALU_DEP_1)
	v_cmpx_gt_u32_e64 s27, v17
	s_cbranch_execz .LBB2194_132
; %bb.125:
	v_add_nc_u32_e32 v17, 5, v1
	;; [unrolled: 6-line block ×4, first 2 shown]
	s_mov_b32 s9, exec_lo
	s_delay_alu instid0(VALU_DEP_1)
	v_cmpx_gt_u32_e64 s27, v17
; %bb.128:
	v_add_nc_u32_e32 v17, 8, v1
	s_mov_b32 s10, exec_lo
	s_delay_alu instid0(VALU_DEP_1)
	v_cmpx_gt_u32_e64 s27, v17
	s_or_b32 exec_lo, exec_lo, s10
; %bb.129:
	s_delay_alu instid0(SALU_CYCLE_1)
	s_or_b32 exec_lo, exec_lo, s9
.LBB2194_130:
	s_delay_alu instid0(SALU_CYCLE_1)
	s_or_b32 exec_lo, exec_lo, s8
.LBB2194_131:
	s_delay_alu instid0(SALU_CYCLE_1)
	s_or_b32 exec_lo, exec_lo, s7
.LBB2194_132:
	s_delay_alu instid0(SALU_CYCLE_1)
	s_or_b32 exec_lo, exec_lo, s6
.LBB2194_133:
	s_delay_alu instid0(SALU_CYCLE_1)
	s_or_b32 exec_lo, exec_lo, s5
.LBB2194_134:
	s_delay_alu instid0(SALU_CYCLE_1)
	s_or_b32 exec_lo, exec_lo, s4
.LBB2194_135:
	s_delay_alu instid0(SALU_CYCLE_1)
	s_or_b32 exec_lo, exec_lo, s3
.LBB2194_136:
	s_delay_alu instid0(SALU_CYCLE_1)
	s_or_b32 exec_lo, exec_lo, s2
	v_dual_lshlrev_b32 v1, 2, v1 :: v_dual_mov_b32 v17, 0
	s_barrier_signal -1
	s_barrier_wait -1
	ds_store_b128 v1, v[6:9]
	ds_store_b128 v1, v[2:5] offset:16
	ds_store_b128 v1, v[10:13] offset:32
	v_mad_i32_i24 v6, 0xffffffd4, v0, v1
	s_wait_dscnt 0x0
	s_barrier_signal -1
	s_barrier_wait -1
	ds_load_2addr_stride64_b32 v[26:27], v6 offset0:4 offset1:8
	ds_load_2addr_stride64_b32 v[24:25], v6 offset0:12 offset1:16
	;; [unrolled: 1-line block ×5, first 2 shown]
	ds_load_b32 v7, v6 offset:11264
	v_add_nc_u64_e32 v[16:17], s[0:1], v[16:17]
	s_mov_b32 s2, exec_lo
	v_cmpx_gt_u32_e64 s27, v0
	s_cbranch_execz .LBB2194_138
; %bb.137:
	v_mul_i32_i24_e32 v6, 0xffffffd4, v0
	s_delay_alu instid0(VALU_DEP_1)
	v_add_nc_u32_e32 v1, v1, v6
	ds_load_b32 v1, v1
	s_wait_dscnt 0x0
	flat_store_b32 v[16:17], v1
.LBB2194_138:
	s_wait_xcnt 0x0
	s_or_b32 exec_lo, exec_lo, s2
	v_or_b32_e32 v1, 0x100, v0
	s_mov_b32 s2, exec_lo
	s_delay_alu instid0(VALU_DEP_1)
	v_cmpx_gt_u32_e64 s27, v1
	s_cbranch_execz .LBB2194_140
; %bb.139:
	s_wait_dscnt 0x5
	flat_store_b32 v[16:17], v26 offset:1024
.LBB2194_140:
	s_wait_xcnt 0x0
	s_or_b32 exec_lo, exec_lo, s2
	v_or_b32_e32 v1, 0x200, v0
	s_mov_b32 s2, exec_lo
	s_delay_alu instid0(VALU_DEP_1)
	v_cmpx_gt_u32_e64 s27, v1
	s_cbranch_execz .LBB2194_142
; %bb.141:
	s_wait_dscnt 0x5
	flat_store_b32 v[16:17], v27 offset:2048
.LBB2194_142:
	;; [unrolled: 11-line block ×10, first 2 shown]
	s_wait_xcnt 0x0
	s_or_b32 exec_lo, exec_lo, s2
	v_or_b32_e32 v1, 0xb00, v0
	s_delay_alu instid0(VALU_DEP_1)
	v_cmp_gt_u32_e64 s2, s27, v1
	s_branch .LBB2194_183
.LBB2194_159:
	s_and_saveexec_b32 s13, s12
	s_cbranch_execz .LBB2194_161
; %bb.160:
	v_and_b32_e32 v4, 0xff, v3
	s_mov_b32 s23, 0
	s_add_co_i32 s22, s20, 32
	v_and_b32_e32 v5, 1, v50
	s_lshl_b64 s[22:23], s[22:23], 4
	v_cmp_eq_u32_e32 vcc_lo, 0, v4
	s_add_nc_u64 s[22:23], s[24:25], s[22:23]
	s_delay_alu instid0(SALU_CYCLE_1) | instskip(SKIP_1) | instid1(VALU_DEP_1)
	v_mov_b64_e32 v[6:7], s[22:23]
	v_cndmask_b32_e32 v4, 0, v51, vcc_lo
	v_dual_add_nc_u32 v2, v4, v2 :: v_dual_bitop2_b32 v3, 1, v3 bitop3:0x40
	s_delay_alu instid0(VALU_DEP_1)
	v_cmp_eq_u32_e32 vcc_lo, 1, v3
	v_mov_b32_e32 v4, 2
	v_cndmask_b32_e64 v3, v5, 1, vcc_lo
	v_mov_b32_e32 v5, 0
	;;#ASMSTART
	global_store_b128 v[6:7], v[2:5] off scope:SCOPE_DEV	
s_wait_storecnt 0x0
	;;#ASMEND
.LBB2194_161:
	s_or_b32 exec_lo, exec_lo, s13
	s_delay_alu instid0(SALU_CYCLE_1)
	s_and_b32 exec_lo, exec_lo, s11
	s_cbranch_execz .LBB2194_163
; %bb.162:
	v_mov_b32_e32 v2, 0
	ds_store_b32 v2, v51
	ds_store_b8 v2, v50 offset:4
.LBB2194_163:
	s_or_b32 exec_lo, exec_lo, s30
	v_dual_mov_b32 v2, 0 :: v_dual_bitop2_b32 v3, 1, v19 bitop3:0x40
	s_wait_dscnt 0x0
	s_barrier_signal -1
	s_barrier_wait -1
	s_delay_alu instid0(VALU_DEP_1) | instskip(SKIP_4) | instid1(VALU_DEP_2)
	v_cmp_eq_u32_e32 vcc_lo, 1, v3
	ds_load_b32 v2, v2
	s_mov_b64 s[12:13], 0x100000000
	v_cndmask_b32_e64 v3, v13, 1, vcc_lo
	v_cmp_gt_u64_e32 vcc_lo, s[12:13], v[18:19]
	v_dual_cndmask_b32 v3, v3, v19, s11 :: v_dual_cndmask_b32 v4, 0, v12, vcc_lo
	s_delay_alu instid0(VALU_DEP_1) | instskip(NEXT) | instid1(VALU_DEP_2)
	v_and_b32_e32 v3, 0xff, v3
	v_cndmask_b32_e64 v4, v4, 0, s11
	s_delay_alu instid0(VALU_DEP_2) | instskip(SKIP_2) | instid1(VALU_DEP_1)
	v_cmp_eq_u16_e32 vcc_lo, 0, v3
	s_wait_dscnt 0x0
	v_cndmask_b32_e32 v2, 0, v2, vcc_lo
	v_add3_u32 v6, v4, v18, v2
	s_delay_alu instid0(VALU_DEP_1) | instskip(NEXT) | instid1(VALU_DEP_1)
	v_cndmask_b32_e64 v2, 0, v6, s0
	v_add_nc_u32_e32 v7, v2, v38
	s_delay_alu instid0(VALU_DEP_1) | instskip(NEXT) | instid1(VALU_DEP_1)
	v_cndmask_b32_e64 v2, 0, v7, s1
	v_add_nc_u32_e32 v8, v2, v36
	v_mov_b64_e32 v[14:15], v[6:7]
	s_delay_alu instid0(VALU_DEP_2) | instskip(NEXT) | instid1(VALU_DEP_1)
	v_cndmask_b32_e64 v2, 0, v8, s2
	v_add_nc_u32_e32 v9, v2, v34
	s_delay_alu instid0(VALU_DEP_1) | instskip(NEXT) | instid1(VALU_DEP_1)
	v_cndmask_b32_e64 v2, 0, v9, s3
	v_add_nc_u32_e32 v2, v2, v32
	s_delay_alu instid0(VALU_DEP_1) | instskip(NEXT) | instid1(VALU_DEP_1)
	;; [unrolled: 3-line block ×8, first 2 shown]
	v_cndmask_b32_e64 v13, 0, v12, s10
	v_add_nc_u32_e32 v13, v13, v40
	s_branch .LBB2194_119
.LBB2194_164:
	s_cmp_lg_u64 s[28:29], 0
	v_cmp_eq_u32_e32 vcc_lo, 0, v0
	s_cselect_b32 s1, -1, 0
	s_cmp_lg_u64 s[18:19], 0
	v_cmp_ne_u32_e64 s0, 0, v0
	s_cselect_b32 s2, -1, 0
	s_delay_alu instid0(SALU_CYCLE_1) | instskip(NEXT) | instid1(SALU_CYCLE_1)
	s_and_b32 s1, s1, s2
	s_and_b32 s1, vcc_lo, s1
	s_delay_alu instid0(SALU_CYCLE_1)
	s_and_saveexec_b32 s2, s1
	s_cbranch_execz .LBB2194_166
; %bb.165:
	s_mov_b64 s[4:5], 0x100000000
	s_delay_alu instid0(SALU_CYCLE_1)
	v_cmp_gt_u64_e64 s1, s[4:5], v[18:19]
	v_mov_b32_e32 v2, 0
	s_clause 0x1
	global_load_b32 v3, v2, s[18:19]
	global_load_u8 v4, v2, s[18:19] offset:4
	s_wait_loadcnt 0x1
	v_cndmask_b32_e64 v5, 0, v3, s1
	v_and_b32_e32 v3, 1, v19
	s_wait_loadcnt 0x0
	s_delay_alu instid0(VALU_DEP_2) | instskip(NEXT) | instid1(VALU_DEP_2)
	v_dual_add_nc_u32 v18, v5, v18 :: v_dual_bitop2_b32 v4, 1, v4 bitop3:0x40
	v_cmp_eq_u64_e64 s1, 0, v[2:3]
	s_delay_alu instid0(VALU_DEP_1)
	v_cndmask_b32_e64 v19, 1, v4, s1
.LBB2194_166:
	s_or_b32 exec_lo, exec_lo, s2
	s_mov_b64 s[12:13], 0x100000000
	v_or3_b32 v12, v42, v29, v31
	v_cmp_gt_u64_e64 s1, s[12:13], v[38:39]
	v_cmp_gt_u64_e64 s6, s[12:13], v[28:29]
	;; [unrolled: 1-line block ×7, first 2 shown]
	v_cndmask_b32_e64 v2, 0, v18, s1
	v_cmp_gt_u64_e64 s8, s[12:13], v[24:25]
	v_cmp_gt_u64_e64 s10, s[12:13], v[20:21]
	;; [unrolled: 1-line block ×3, first 2 shown]
	v_dual_mov_b32 v14, 0 :: v_dual_bitop2_b32 v1, 56, v1 bitop3:0x40
	v_add_nc_u32_e32 v7, v2, v38
	v_cmp_gt_u64_e64 s11, s[12:13], v[40:41]
	s_mov_b32 s13, exec_lo
	v_lshl_add_u32 v1, v0, 3, v1
	v_cndmask_b32_e64 v2, 0, v7, s2
	s_delay_alu instid0(VALU_DEP_1) | instskip(NEXT) | instid1(VALU_DEP_1)
	v_add_nc_u32_e32 v8, v2, v36
	v_cndmask_b32_e64 v2, 0, v8, s3
	s_delay_alu instid0(VALU_DEP_1) | instskip(NEXT) | instid1(VALU_DEP_1)
	v_add_nc_u32_e32 v9, v2, v34
	;; [unrolled: 3-line block ×7, first 2 shown]
	v_cndmask_b32_e64 v6, 0, v10, s9
	s_delay_alu instid0(VALU_DEP_1) | instskip(SKIP_1) | instid1(VALU_DEP_2)
	v_add_nc_u32_e32 v11, v6, v22
	v_or3_b32 v6, v12, v33, v35
	v_cndmask_b32_e64 v12, 0, v11, s10
	s_delay_alu instid0(VALU_DEP_2) | instskip(NEXT) | instid1(VALU_DEP_2)
	v_or3_b32 v6, v6, v37, v39
	v_add_nc_u32_e32 v12, v12, v20
	s_delay_alu instid0(VALU_DEP_2) | instskip(NEXT) | instid1(VALU_DEP_1)
	v_or3_b32 v6, v41, v17, v6
	v_and_b32_e32 v15, 0xff, v6
	s_delay_alu instid0(VALU_DEP_1) | instskip(NEXT) | instid1(VALU_DEP_1)
	v_cmp_eq_u64_e64 s12, 0, v[14:15]
	v_dual_cndmask_b32 v13, 0, v12, s11 :: v_dual_cndmask_b32 v6, 1, v19, s12
	s_delay_alu instid0(VALU_DEP_1)
	v_add_nc_u32_e32 v13, v13, v40
	ds_store_b32 v1, v13
	ds_store_b8 v1, v6 offset:4
	s_wait_dscnt 0x0
	s_barrier_signal -1
	s_barrier_wait -1
	v_cmpx_gt_u32_e32 32, v0
	s_cbranch_execz .LBB2194_176
; %bb.167:
	v_dual_lshlrev_b32 v1, 1, v0 :: v_dual_lshlrev_b32 v14, 6, v0
	s_mov_b32 s18, exec_lo
	s_delay_alu instid0(VALU_DEP_1) | instskip(NEXT) | instid1(VALU_DEP_1)
	v_and_b32_e32 v1, 0x1f8, v1
	v_add_nc_u32_e32 v1, v1, v14
	ds_load_u8 v17, v1 offset:12
	ds_load_b64 v[14:15], v1
	ds_load_2addr_b32 v[42:43], v1 offset0:2 offset1:4
	ds_load_u8 v21, v1 offset:20
	ds_load_u8 v23, v1 offset:28
	;; [unrolled: 1-line block ×5, first 2 shown]
	ds_load_b32 v33, v1 offset:56
	s_wait_dscnt 0x8
	v_cmp_eq_u16_e64 s12, 0, v17
	s_wait_dscnt 0x5
	s_delay_alu instid0(VALU_DEP_1)
	v_dual_cndmask_b32 v31, 0, v14, s12 :: v_dual_bitop2_b32 v17, v21, v17 bitop3:0x54
	ds_load_2addr_b32 v[44:45], v1 offset0:6 offset1:8
	v_cmp_eq_u16_e64 s12, 0, v21
	ds_load_u8 v35, v1 offset:60
	s_wait_dscnt 0x5
	v_bitop3_b16 v17, v17, v25, v23 bitop3:0xfe
	v_add_nc_u32_e32 v31, v31, v42
	s_delay_alu instid0(VALU_DEP_1)
	v_cndmask_b32_e64 v31, 0, v31, s12
	v_cmp_eq_u16_e64 s12, 0, v23
	s_wait_dscnt 0x3
	v_bitop3_b16 v23, v17, v29, v27 bitop3:0xfe
	v_and_b32_e32 v17, 1, v15
	v_add_nc_u32_e32 v31, v31, v43
	ds_load_2addr_b32 v[42:43], v1 offset0:10 offset1:12
	v_cndmask_b32_e64 v31, 0, v31, s12
	v_cmp_eq_u16_e64 s12, 0, v25
	s_wait_dscnt 0x1
	s_delay_alu instid0(VALU_DEP_2) | instskip(NEXT) | instid1(VALU_DEP_1)
	v_dual_add_nc_u32 v31, v31, v44 :: v_dual_bitop2_b32 v25, 1, v35 bitop3:0x40
	v_cndmask_b32_e64 v31, 0, v31, s12
	v_cmp_eq_u16_e64 s12, 0, v27
	s_delay_alu instid0(VALU_DEP_2) | instskip(NEXT) | instid1(VALU_DEP_1)
	v_add_nc_u32_e32 v21, v31, v45
	v_cndmask_b32_e64 v21, 0, v21, s12
	v_cmp_eq_u16_e64 s12, 0, v23
	s_wait_dscnt 0x0
	s_delay_alu instid0(VALU_DEP_1) | instskip(SKIP_1) | instid1(VALU_DEP_1)
	v_dual_add_nc_u32 v21, v21, v42 :: v_dual_cndmask_b32 v23, 1, v17, s12
	v_cmp_eq_u16_e64 s12, 0, v29
	v_cndmask_b32_e64 v21, 0, v21, s12
	v_cmp_eq_u32_e64 s12, 1, v25
	v_mbcnt_lo_u32_b32 v25, -1, 0
	s_delay_alu instid0(VALU_DEP_2) | instskip(SKIP_1) | instid1(VALU_DEP_2)
	v_cndmask_b32_e64 v27, v23, 1, s12
	v_cmp_eq_u16_e64 s12, 0, v35
	v_and_b32_e32 v29, 0xffff, v27
	v_add_nc_u32_e32 v23, v21, v43
	v_and_b32_e32 v21, 0xffffff00, v15
	s_delay_alu instid0(VALU_DEP_1) | instskip(SKIP_1) | instid1(VALU_DEP_2)
	v_dual_cndmask_b32 v23, 0, v23, s12 :: v_dual_bitop2_b32 v31, v21, v29 bitop3:0x54
	v_and_b32_e32 v29, 15, v25
	v_mov_b32_dpp v35, v31 row_shr:1 row_mask:0xf bank_mask:0xf
	s_delay_alu instid0(VALU_DEP_3) | instskip(NEXT) | instid1(VALU_DEP_1)
	v_add_nc_u32_e32 v23, v23, v33
	v_mov_b32_dpp v33, v23 row_shr:1 row_mask:0xf bank_mask:0xf
	s_delay_alu instid0(VALU_DEP_4)
	v_cmpx_ne_u32_e32 0, v29
	s_cbranch_execz .LBB2194_169
; %bb.168:
	v_and_b32_e32 v31, 1, v27
	v_and_b32_e32 v35, 1, v35
	s_delay_alu instid0(VALU_DEP_2) | instskip(NEXT) | instid1(VALU_DEP_1)
	v_cmp_eq_u32_e64 s12, 1, v31
	v_cndmask_b32_e64 v35, v35, 1, s12
	v_cmp_eq_u16_e64 s12, 0, v27
	s_delay_alu instid0(VALU_DEP_2) | instskip(NEXT) | instid1(VALU_DEP_1)
	v_and_b32_e32 v31, 0xffff, v35
	v_dual_cndmask_b32 v27, 0, v33, s12 :: v_dual_bitop2_b32 v31, v21, v31 bitop3:0x54
	s_delay_alu instid0(VALU_DEP_1)
	v_add_nc_u32_e32 v23, v27, v23
	v_mov_b32_e32 v27, v35
.LBB2194_169:
	s_or_b32 exec_lo, exec_lo, s18
	s_delay_alu instid0(VALU_DEP_2)
	v_mov_b32_dpp v33, v23 row_shr:2 row_mask:0xf bank_mask:0xf
	v_mov_b32_dpp v35, v31 row_shr:2 row_mask:0xf bank_mask:0xf
	s_mov_b32 s18, exec_lo
	v_cmpx_lt_u32_e32 1, v29
	s_cbranch_execz .LBB2194_171
; %bb.170:
	v_and_b32_e32 v31, 1, v27
	v_and_b32_e32 v35, 1, v35
	s_delay_alu instid0(VALU_DEP_2) | instskip(NEXT) | instid1(VALU_DEP_1)
	v_cmp_eq_u32_e64 s12, 1, v31
	v_cndmask_b32_e64 v35, v35, 1, s12
	v_cmp_eq_u16_e64 s12, 0, v27
	s_delay_alu instid0(VALU_DEP_2) | instskip(NEXT) | instid1(VALU_DEP_1)
	v_and_b32_e32 v31, 0xffff, v35
	v_dual_cndmask_b32 v27, 0, v33, s12 :: v_dual_bitop2_b32 v31, v21, v31 bitop3:0x54
	s_delay_alu instid0(VALU_DEP_1)
	v_add_nc_u32_e32 v23, v27, v23
	v_mov_b32_e32 v27, v35
.LBB2194_171:
	s_or_b32 exec_lo, exec_lo, s18
	s_delay_alu instid0(VALU_DEP_2)
	v_mov_b32_dpp v33, v23 row_shr:4 row_mask:0xf bank_mask:0xf
	v_mov_b32_dpp v35, v31 row_shr:4 row_mask:0xf bank_mask:0xf
	s_mov_b32 s18, exec_lo
	v_cmpx_lt_u32_e32 3, v29
	;; [unrolled: 21-line block ×3, first 2 shown]
	s_cbranch_execz .LBB2194_175
; %bb.174:
	v_and_b32_e32 v29, 1, v27
	v_and_b32_e32 v31, 1, v35
	s_delay_alu instid0(VALU_DEP_2) | instskip(NEXT) | instid1(VALU_DEP_1)
	v_cmp_eq_u32_e64 s12, 1, v29
	v_cndmask_b32_e64 v29, v31, 1, s12
	v_cmp_eq_u16_e64 s12, 0, v27
	s_delay_alu instid0(VALU_DEP_2) | instskip(NEXT) | instid1(VALU_DEP_1)
	v_and_b32_e32 v31, 0xffff, v29
	v_dual_cndmask_b32 v27, 0, v33, s12 :: v_dual_bitop2_b32 v31, v21, v31 bitop3:0x54
	s_delay_alu instid0(VALU_DEP_1)
	v_dual_add_nc_u32 v23, v27, v23 :: v_dual_mov_b32 v27, v29
.LBB2194_175:
	s_or_b32 exec_lo, exec_lo, s18
	ds_swizzle_b32 v29, v31 offset:swizzle(BROADCAST,32,15)
	ds_swizzle_b32 v31, v23 offset:swizzle(BROADCAST,32,15)
	v_and_b32_e32 v33, 1, v27
	v_and_b32_e32 v35, 16, v25
	v_bfe_i32 v37, v25, 4, 1
	v_and_b32_e32 v15, 0xff, v15
	s_delay_alu instid0(VALU_DEP_4) | instskip(SKIP_3) | instid1(VALU_DEP_1)
	v_cmp_eq_u32_e64 s12, 1, v33
	v_add_nc_u32_e32 v33, -1, v25
	; wave barrier
	s_wait_dscnt 0x1
	v_and_b32_e32 v29, 1, v29
	v_cndmask_b32_e64 v29, v29, 1, s12
	v_cmp_eq_u16_e64 s12, 0, v27
	s_wait_dscnt 0x0
	s_delay_alu instid0(VALU_DEP_1) | instskip(SKIP_1) | instid1(VALU_DEP_1)
	v_cndmask_b32_e64 v31, 0, v31, s12
	v_cmp_eq_u32_e64 s12, 0, v35
	v_cndmask_b32_e64 v27, v29, v27, s12
	v_cmp_gt_i32_e64 s12, 0, v33
	s_delay_alu instid0(VALU_DEP_2) | instskip(NEXT) | instid1(VALU_DEP_2)
	v_and_b32_e32 v27, 0xffff, v27
	v_cndmask_b32_e64 v25, v33, v25, s12
	v_and_b32_e32 v29, v37, v31
	v_cmp_eq_u16_e64 s12, 0, v15
	s_delay_alu instid0(VALU_DEP_3)
	v_dual_lshlrev_b32 v25, 2, v25 :: v_dual_bitop2_b32 v21, v21, v27 bitop3:0x54
	ds_bpermute_b32 v21, v25, v21
	s_wait_dscnt 0x0
	v_dual_add_nc_u32 v23, v29, v23 :: v_dual_bitop2_b32 v21, 1, v21 bitop3:0x40
	ds_bpermute_b32 v23, v25, v23
	s_wait_dscnt 0x0
	v_cndmask_b32_e64 v15, 0, v23, s12
	v_cmp_eq_u32_e64 s12, 1, v17
	s_delay_alu instid0(VALU_DEP_2) | instskip(NEXT) | instid1(VALU_DEP_2)
	v_add_nc_u32_e32 v14, v15, v14
	v_cndmask_b32_e64 v15, v21, 1, s12
	s_delay_alu instid0(VALU_DEP_1)
	v_dual_cndmask_b32 v17, v14, v13 :: v_dual_cndmask_b32 v6, v15, v6
	ds_store_b32 v1, v17
	ds_store_b8 v1, v6 offset:4
	; wave barrier
	ds_load_u8 v21, v1 offset:12
	ds_load_2addr_b32 v[14:15], v1 offset0:2 offset1:4
	ds_load_u8 v23, v1 offset:20
	ds_load_u8 v25, v1 offset:28
	;; [unrolled: 1-line block ×5, first 2 shown]
	ds_load_b32 v33, v1 offset:56
	ds_load_u8 v35, v1 offset:60
	ds_load_2addr_b32 v[42:43], v1 offset0:6 offset1:8
	s_wait_dscnt 0x9
	v_cmp_eq_u16_e64 s12, 0, v21
	s_delay_alu instid0(VALU_DEP_1) | instskip(SKIP_2) | instid1(VALU_DEP_2)
	v_cndmask_b32_e64 v17, 0, v17, s12
	s_wait_dscnt 0x7
	v_cmp_eq_u16_e64 s12, 0, v23
	v_add_nc_u32_e32 v17, v17, v14
	s_delay_alu instid0(VALU_DEP_1) | instskip(SKIP_2) | instid1(VALU_DEP_2)
	v_cndmask_b32_e64 v14, 0, v17, s12
	s_wait_dscnt 0x6
	v_cmp_eq_u16_e64 s12, 0, v25
	v_add_nc_u32_e32 v37, v14, v15
	ds_load_2addr_b32 v[14:15], v1 offset0:10 offset1:12
	v_cndmask_b32_e64 v39, 0, v37, s12
	s_wait_dscnt 0x6
	v_cmp_eq_u16_e64 s12, 0, v27
	ds_store_2addr_b32 v1, v17, v37 offset0:2 offset1:4
	s_wait_dscnt 0x2
	v_dual_add_nc_u32 v39, v39, v42 :: v_dual_bitop2_b32 v21, 1, v21 bitop3:0x40
	v_and_b32_e32 v42, 1, v35
	s_delay_alu instid0(VALU_DEP_2) | instskip(NEXT) | instid1(VALU_DEP_3)
	v_cndmask_b32_e64 v41, 0, v39, s12
	v_cmp_eq_u32_e64 s12, 1, v21
	s_delay_alu instid0(VALU_DEP_2) | instskip(SKIP_1) | instid1(VALU_DEP_3)
	v_dual_add_nc_u32 v25, v41, v43 :: v_dual_bitop2_b32 v21, 1, v25 bitop3:0x40
	v_and_b32_e32 v23, 1, v23
	v_cndmask_b32_e64 v6, v6, 1, s12
	s_delay_alu instid0(VALU_DEP_2) | instskip(NEXT) | instid1(VALU_DEP_1)
	v_cmp_eq_u32_e64 s12, 1, v23
	v_cndmask_b32_e64 v23, v6, 1, s12
	v_cmp_eq_u16_e64 s12, 0, v29
	s_delay_alu instid0(VALU_DEP_1) | instskip(SKIP_2) | instid1(VALU_DEP_2)
	v_dual_cndmask_b32 v41, 0, v25, s12 :: v_dual_bitop2_b32 v27, 1, v27 bitop3:0x40
	v_cmp_eq_u32_e64 s12, 1, v21
	s_wait_dscnt 0x1
	v_dual_add_nc_u32 v14, v41, v14 :: v_dual_bitop2_b32 v41, 1, v31 bitop3:0x40
	s_delay_alu instid0(VALU_DEP_2) | instskip(SKIP_1) | instid1(VALU_DEP_1)
	v_cndmask_b32_e64 v21, v23, 1, s12
	v_cmp_eq_u32_e64 s12, 1, v27
	v_cndmask_b32_e64 v27, v21, 1, s12
	v_cmp_eq_u16_e64 s12, 0, v31
	s_delay_alu instid0(VALU_DEP_1) | instskip(NEXT) | instid1(VALU_DEP_1)
	v_dual_cndmask_b32 v31, 0, v14, s12 :: v_dual_bitop2_b32 v29, 1, v29 bitop3:0x40
	v_cmp_eq_u32_e64 s12, 1, v29
	s_delay_alu instid0(VALU_DEP_2) | instskip(NEXT) | instid1(VALU_DEP_2)
	v_add_nc_u32_e32 v15, v31, v15
	v_cndmask_b32_e64 v29, v27, 1, s12
	v_cmp_eq_u32_e64 s12, 1, v41
	ds_store_2addr_b32 v1, v39, v25 offset0:6 offset1:8
	ds_store_2addr_b32 v1, v14, v15 offset0:10 offset1:12
	v_cndmask_b32_e64 v31, v29, 1, s12
	v_cmp_eq_u16_e64 s12, 0, v35
	s_delay_alu instid0(VALU_DEP_1) | instskip(SKIP_1) | instid1(VALU_DEP_2)
	v_cndmask_b32_e64 v17, 0, v15, s12
	v_cmp_eq_u32_e64 s12, 1, v42
	v_add_nc_u32_e32 v14, v17, v33
	s_delay_alu instid0(VALU_DEP_2)
	v_cndmask_b32_e64 v35, v31, 1, s12
	ds_store_b8 v1, v6 offset:12
	ds_store_b8 v1, v23 offset:20
	;; [unrolled: 1-line block ×6, first 2 shown]
	ds_store_b32 v1, v14 offset:56
	ds_store_b8 v1, v35 offset:60
.LBB2194_176:
	s_or_b32 exec_lo, exec_lo, s13
	v_mov_b32_e32 v6, v18
	s_wait_dscnt 0x0
	s_barrier_signal -1
	s_barrier_wait -1
	s_delay_alu instid0(VALU_DEP_1)
	v_mov_b64_e32 v[14:15], v[6:7]
	s_and_saveexec_b32 s12, s0
	s_cbranch_execz .LBB2194_178
; %bb.177:
	v_add_nc_u32_e32 v1, -1, v0
	v_and_b32_e32 v3, 0xff, v19
	s_delay_alu instid0(VALU_DEP_2) | instskip(NEXT) | instid1(VALU_DEP_1)
	v_lshrrev_b32_e32 v2, 2, v1
	v_and_b32_e32 v2, 0x3ffffff8, v2
	s_delay_alu instid0(VALU_DEP_1)
	v_lshl_add_u32 v1, v1, 3, v2
	v_mov_b32_e32 v2, 0
	ds_load_b32 v1, v1
	v_cmp_eq_u64_e64 s0, 0, v[2:3]
	;;#ASMSTART
	;;#ASMEND
	s_wait_dscnt 0x0
	s_delay_alu instid0(VALU_DEP_1) | instskip(NEXT) | instid1(VALU_DEP_1)
	v_cndmask_b32_e64 v1, 0, v1, s0
	v_add_nc_u32_e32 v14, v1, v18
	s_delay_alu instid0(VALU_DEP_1) | instskip(NEXT) | instid1(VALU_DEP_1)
	v_cndmask_b32_e64 v1, 0, v14, s1
	v_add_nc_u32_e32 v15, v1, v38
	s_delay_alu instid0(VALU_DEP_1) | instskip(NEXT) | instid1(VALU_DEP_1)
	v_dual_cndmask_b32 v1, 0, v15, s2 :: v_dual_mov_b32 v18, v14
	v_dual_mov_b32 v7, v15 :: v_dual_add_nc_u32 v8, v1, v36
	s_delay_alu instid0(VALU_DEP_1) | instskip(NEXT) | instid1(VALU_DEP_1)
	v_cndmask_b32_e64 v1, 0, v8, s3
	v_add_nc_u32_e32 v9, v1, v34
	s_delay_alu instid0(VALU_DEP_1) | instskip(NEXT) | instid1(VALU_DEP_1)
	v_cndmask_b32_e64 v1, 0, v9, s4
	v_add_nc_u32_e32 v2, v1, v32
	;; [unrolled: 3-line block ×9, first 2 shown]
.LBB2194_178:
	s_or_b32 exec_lo, exec_lo, s12
	s_and_saveexec_b32 s0, vcc_lo
	s_cbranch_execz .LBB2194_180
; %bb.179:
	v_dual_mov_b32 v23, 0 :: v_dual_mov_b32 v22, 2
	s_add_nc_u64 s[2:3], s[24:25], 0x200
	ds_load_b32 v20, v23 offset:2096
	ds_load_u8 v21, v23 offset:2100
	v_mov_b64_e32 v[24:25], s[2:3]
	s_wait_dscnt 0x0
	;;#ASMSTART
	global_store_b128 v[24:25], v[20:23] off scope:SCOPE_DEV	
s_wait_storecnt 0x0
	;;#ASMEND
.LBB2194_180:
	s_or_b32 exec_lo, exec_lo, s0
	v_mov_b32_e32 v6, v18
	s_add_nc_u64 s[0:1], s[14:15], s[34:35]
	s_and_b32 vcc_lo, exec_lo, s21
	s_add_nc_u64 s[0:1], s[0:1], s[16:17]
	s_cbranch_vccnz .LBB2194_120
.LBB2194_181:
	s_mov_b32 s2, 0
                                        ; implicit-def: $vgpr7
	s_cbranch_execz .LBB2194_183
; %bb.182:
	v_mul_u32_u24_e32 v1, 48, v0
	v_dual_mov_b32 v16, v8 :: v_dual_mov_b32 v17, v9
	v_mul_i32_i24_e32 v6, 0xffffffd4, v0
	s_wait_storecnt_dscnt 0x0
	s_barrier_signal -1
	s_barrier_wait -1
	ds_store_b128 v1, v[14:17]
	ds_store_b128 v1, v[2:5] offset:16
	ds_store_b128 v1, v[10:13] offset:32
	v_mad_u32_u24 v1, v0, 48, v6
	s_wait_dscnt 0x0
	s_barrier_signal -1
	s_barrier_wait -1
	ds_load_2addr_stride64_b32 v[2:3], v1 offset1:4
	ds_load_2addr_stride64_b32 v[4:5], v1 offset0:8 offset1:12
	ds_load_2addr_stride64_b32 v[8:9], v1 offset0:16 offset1:20
	;; [unrolled: 1-line block ×5, first 2 shown]
	s_or_b32 s2, s2, exec_lo
	s_wait_dscnt 0x5
	s_clause 0x1
	flat_store_b32 v0, v2, s[0:1] scale_offset
	flat_store_b32 v0, v3, s[0:1] offset:1024 scale_offset
	s_wait_dscnt 0x6
	s_clause 0x1
	flat_store_b32 v0, v4, s[0:1] offset:2048 scale_offset
	flat_store_b32 v0, v5, s[0:1] offset:3072 scale_offset
	s_wait_dscnt 0x7
	s_clause 0x1
	flat_store_b32 v0, v8, s[0:1] offset:4096 scale_offset
	;; [unrolled: 4-line block ×4, first 2 shown]
	flat_store_b32 v0, v13, s[0:1] offset:9216 scale_offset
	s_wait_dscnt 0xa
	flat_store_b32 v0, v6, s[0:1] offset:10240 scale_offset
.LBB2194_183:
	s_wait_xcnt 0x0
	s_delay_alu instid0(VALU_DEP_1)
	s_and_saveexec_b32 s3, s2
	s_cbranch_execnz .LBB2194_185
; %bb.184:
	s_endpgm
.LBB2194_185:
	s_wait_dscnt 0x0
	flat_store_b32 v0, v7, s[0:1] offset:11264 scale_offset
	s_endpgm
	.section	.rodata,"a",@progbits
	.p2align	6, 0x0
	.amdhsa_kernel _ZN7rocprim17ROCPRIM_400000_NS6detail17trampoline_kernelINS0_14default_configENS1_27scan_by_key_config_selectorIiiEEZZNS1_16scan_by_key_implILNS1_25lookback_scan_determinismE0ELb0ES3_N6thrust23THRUST_200600_302600_NS10device_ptrIiEESB_SB_iNS9_4plusIvEENS9_8equal_toIvEEiEE10hipError_tPvRmT2_T3_T4_T5_mT6_T7_P12ihipStream_tbENKUlT_T0_E_clISt17integral_constantIbLb0EESW_EEDaSR_SS_EUlSR_E_NS1_11comp_targetILNS1_3genE0ELNS1_11target_archE4294967295ELNS1_3gpuE0ELNS1_3repE0EEENS1_30default_config_static_selectorELNS0_4arch9wavefront6targetE0EEEvT1_
		.amdhsa_group_segment_fixed_size 14336
		.amdhsa_private_segment_fixed_size 0
		.amdhsa_kernarg_size 112
		.amdhsa_user_sgpr_count 2
		.amdhsa_user_sgpr_dispatch_ptr 0
		.amdhsa_user_sgpr_queue_ptr 0
		.amdhsa_user_sgpr_kernarg_segment_ptr 1
		.amdhsa_user_sgpr_dispatch_id 0
		.amdhsa_user_sgpr_kernarg_preload_length 0
		.amdhsa_user_sgpr_kernarg_preload_offset 0
		.amdhsa_user_sgpr_private_segment_size 0
		.amdhsa_wavefront_size32 1
		.amdhsa_uses_dynamic_stack 0
		.amdhsa_enable_private_segment 0
		.amdhsa_system_sgpr_workgroup_id_x 1
		.amdhsa_system_sgpr_workgroup_id_y 0
		.amdhsa_system_sgpr_workgroup_id_z 0
		.amdhsa_system_sgpr_workgroup_info 0
		.amdhsa_system_vgpr_workitem_id 0
		.amdhsa_next_free_vgpr 60
		.amdhsa_next_free_sgpr 42
		.amdhsa_named_barrier_count 0
		.amdhsa_reserve_vcc 1
		.amdhsa_float_round_mode_32 0
		.amdhsa_float_round_mode_16_64 0
		.amdhsa_float_denorm_mode_32 3
		.amdhsa_float_denorm_mode_16_64 3
		.amdhsa_fp16_overflow 0
		.amdhsa_memory_ordered 1
		.amdhsa_forward_progress 1
		.amdhsa_inst_pref_size 94
		.amdhsa_round_robin_scheduling 0
		.amdhsa_exception_fp_ieee_invalid_op 0
		.amdhsa_exception_fp_denorm_src 0
		.amdhsa_exception_fp_ieee_div_zero 0
		.amdhsa_exception_fp_ieee_overflow 0
		.amdhsa_exception_fp_ieee_underflow 0
		.amdhsa_exception_fp_ieee_inexact 0
		.amdhsa_exception_int_div_zero 0
	.end_amdhsa_kernel
	.section	.text._ZN7rocprim17ROCPRIM_400000_NS6detail17trampoline_kernelINS0_14default_configENS1_27scan_by_key_config_selectorIiiEEZZNS1_16scan_by_key_implILNS1_25lookback_scan_determinismE0ELb0ES3_N6thrust23THRUST_200600_302600_NS10device_ptrIiEESB_SB_iNS9_4plusIvEENS9_8equal_toIvEEiEE10hipError_tPvRmT2_T3_T4_T5_mT6_T7_P12ihipStream_tbENKUlT_T0_E_clISt17integral_constantIbLb0EESW_EEDaSR_SS_EUlSR_E_NS1_11comp_targetILNS1_3genE0ELNS1_11target_archE4294967295ELNS1_3gpuE0ELNS1_3repE0EEENS1_30default_config_static_selectorELNS0_4arch9wavefront6targetE0EEEvT1_,"axG",@progbits,_ZN7rocprim17ROCPRIM_400000_NS6detail17trampoline_kernelINS0_14default_configENS1_27scan_by_key_config_selectorIiiEEZZNS1_16scan_by_key_implILNS1_25lookback_scan_determinismE0ELb0ES3_N6thrust23THRUST_200600_302600_NS10device_ptrIiEESB_SB_iNS9_4plusIvEENS9_8equal_toIvEEiEE10hipError_tPvRmT2_T3_T4_T5_mT6_T7_P12ihipStream_tbENKUlT_T0_E_clISt17integral_constantIbLb0EESW_EEDaSR_SS_EUlSR_E_NS1_11comp_targetILNS1_3genE0ELNS1_11target_archE4294967295ELNS1_3gpuE0ELNS1_3repE0EEENS1_30default_config_static_selectorELNS0_4arch9wavefront6targetE0EEEvT1_,comdat
.Lfunc_end2194:
	.size	_ZN7rocprim17ROCPRIM_400000_NS6detail17trampoline_kernelINS0_14default_configENS1_27scan_by_key_config_selectorIiiEEZZNS1_16scan_by_key_implILNS1_25lookback_scan_determinismE0ELb0ES3_N6thrust23THRUST_200600_302600_NS10device_ptrIiEESB_SB_iNS9_4plusIvEENS9_8equal_toIvEEiEE10hipError_tPvRmT2_T3_T4_T5_mT6_T7_P12ihipStream_tbENKUlT_T0_E_clISt17integral_constantIbLb0EESW_EEDaSR_SS_EUlSR_E_NS1_11comp_targetILNS1_3genE0ELNS1_11target_archE4294967295ELNS1_3gpuE0ELNS1_3repE0EEENS1_30default_config_static_selectorELNS0_4arch9wavefront6targetE0EEEvT1_, .Lfunc_end2194-_ZN7rocprim17ROCPRIM_400000_NS6detail17trampoline_kernelINS0_14default_configENS1_27scan_by_key_config_selectorIiiEEZZNS1_16scan_by_key_implILNS1_25lookback_scan_determinismE0ELb0ES3_N6thrust23THRUST_200600_302600_NS10device_ptrIiEESB_SB_iNS9_4plusIvEENS9_8equal_toIvEEiEE10hipError_tPvRmT2_T3_T4_T5_mT6_T7_P12ihipStream_tbENKUlT_T0_E_clISt17integral_constantIbLb0EESW_EEDaSR_SS_EUlSR_E_NS1_11comp_targetILNS1_3genE0ELNS1_11target_archE4294967295ELNS1_3gpuE0ELNS1_3repE0EEENS1_30default_config_static_selectorELNS0_4arch9wavefront6targetE0EEEvT1_
                                        ; -- End function
	.set _ZN7rocprim17ROCPRIM_400000_NS6detail17trampoline_kernelINS0_14default_configENS1_27scan_by_key_config_selectorIiiEEZZNS1_16scan_by_key_implILNS1_25lookback_scan_determinismE0ELb0ES3_N6thrust23THRUST_200600_302600_NS10device_ptrIiEESB_SB_iNS9_4plusIvEENS9_8equal_toIvEEiEE10hipError_tPvRmT2_T3_T4_T5_mT6_T7_P12ihipStream_tbENKUlT_T0_E_clISt17integral_constantIbLb0EESW_EEDaSR_SS_EUlSR_E_NS1_11comp_targetILNS1_3genE0ELNS1_11target_archE4294967295ELNS1_3gpuE0ELNS1_3repE0EEENS1_30default_config_static_selectorELNS0_4arch9wavefront6targetE0EEEvT1_.num_vgpr, 60
	.set _ZN7rocprim17ROCPRIM_400000_NS6detail17trampoline_kernelINS0_14default_configENS1_27scan_by_key_config_selectorIiiEEZZNS1_16scan_by_key_implILNS1_25lookback_scan_determinismE0ELb0ES3_N6thrust23THRUST_200600_302600_NS10device_ptrIiEESB_SB_iNS9_4plusIvEENS9_8equal_toIvEEiEE10hipError_tPvRmT2_T3_T4_T5_mT6_T7_P12ihipStream_tbENKUlT_T0_E_clISt17integral_constantIbLb0EESW_EEDaSR_SS_EUlSR_E_NS1_11comp_targetILNS1_3genE0ELNS1_11target_archE4294967295ELNS1_3gpuE0ELNS1_3repE0EEENS1_30default_config_static_selectorELNS0_4arch9wavefront6targetE0EEEvT1_.num_agpr, 0
	.set _ZN7rocprim17ROCPRIM_400000_NS6detail17trampoline_kernelINS0_14default_configENS1_27scan_by_key_config_selectorIiiEEZZNS1_16scan_by_key_implILNS1_25lookback_scan_determinismE0ELb0ES3_N6thrust23THRUST_200600_302600_NS10device_ptrIiEESB_SB_iNS9_4plusIvEENS9_8equal_toIvEEiEE10hipError_tPvRmT2_T3_T4_T5_mT6_T7_P12ihipStream_tbENKUlT_T0_E_clISt17integral_constantIbLb0EESW_EEDaSR_SS_EUlSR_E_NS1_11comp_targetILNS1_3genE0ELNS1_11target_archE4294967295ELNS1_3gpuE0ELNS1_3repE0EEENS1_30default_config_static_selectorELNS0_4arch9wavefront6targetE0EEEvT1_.numbered_sgpr, 42
	.set _ZN7rocprim17ROCPRIM_400000_NS6detail17trampoline_kernelINS0_14default_configENS1_27scan_by_key_config_selectorIiiEEZZNS1_16scan_by_key_implILNS1_25lookback_scan_determinismE0ELb0ES3_N6thrust23THRUST_200600_302600_NS10device_ptrIiEESB_SB_iNS9_4plusIvEENS9_8equal_toIvEEiEE10hipError_tPvRmT2_T3_T4_T5_mT6_T7_P12ihipStream_tbENKUlT_T0_E_clISt17integral_constantIbLb0EESW_EEDaSR_SS_EUlSR_E_NS1_11comp_targetILNS1_3genE0ELNS1_11target_archE4294967295ELNS1_3gpuE0ELNS1_3repE0EEENS1_30default_config_static_selectorELNS0_4arch9wavefront6targetE0EEEvT1_.num_named_barrier, 0
	.set _ZN7rocprim17ROCPRIM_400000_NS6detail17trampoline_kernelINS0_14default_configENS1_27scan_by_key_config_selectorIiiEEZZNS1_16scan_by_key_implILNS1_25lookback_scan_determinismE0ELb0ES3_N6thrust23THRUST_200600_302600_NS10device_ptrIiEESB_SB_iNS9_4plusIvEENS9_8equal_toIvEEiEE10hipError_tPvRmT2_T3_T4_T5_mT6_T7_P12ihipStream_tbENKUlT_T0_E_clISt17integral_constantIbLb0EESW_EEDaSR_SS_EUlSR_E_NS1_11comp_targetILNS1_3genE0ELNS1_11target_archE4294967295ELNS1_3gpuE0ELNS1_3repE0EEENS1_30default_config_static_selectorELNS0_4arch9wavefront6targetE0EEEvT1_.private_seg_size, 0
	.set _ZN7rocprim17ROCPRIM_400000_NS6detail17trampoline_kernelINS0_14default_configENS1_27scan_by_key_config_selectorIiiEEZZNS1_16scan_by_key_implILNS1_25lookback_scan_determinismE0ELb0ES3_N6thrust23THRUST_200600_302600_NS10device_ptrIiEESB_SB_iNS9_4plusIvEENS9_8equal_toIvEEiEE10hipError_tPvRmT2_T3_T4_T5_mT6_T7_P12ihipStream_tbENKUlT_T0_E_clISt17integral_constantIbLb0EESW_EEDaSR_SS_EUlSR_E_NS1_11comp_targetILNS1_3genE0ELNS1_11target_archE4294967295ELNS1_3gpuE0ELNS1_3repE0EEENS1_30default_config_static_selectorELNS0_4arch9wavefront6targetE0EEEvT1_.uses_vcc, 1
	.set _ZN7rocprim17ROCPRIM_400000_NS6detail17trampoline_kernelINS0_14default_configENS1_27scan_by_key_config_selectorIiiEEZZNS1_16scan_by_key_implILNS1_25lookback_scan_determinismE0ELb0ES3_N6thrust23THRUST_200600_302600_NS10device_ptrIiEESB_SB_iNS9_4plusIvEENS9_8equal_toIvEEiEE10hipError_tPvRmT2_T3_T4_T5_mT6_T7_P12ihipStream_tbENKUlT_T0_E_clISt17integral_constantIbLb0EESW_EEDaSR_SS_EUlSR_E_NS1_11comp_targetILNS1_3genE0ELNS1_11target_archE4294967295ELNS1_3gpuE0ELNS1_3repE0EEENS1_30default_config_static_selectorELNS0_4arch9wavefront6targetE0EEEvT1_.uses_flat_scratch, 1
	.set _ZN7rocprim17ROCPRIM_400000_NS6detail17trampoline_kernelINS0_14default_configENS1_27scan_by_key_config_selectorIiiEEZZNS1_16scan_by_key_implILNS1_25lookback_scan_determinismE0ELb0ES3_N6thrust23THRUST_200600_302600_NS10device_ptrIiEESB_SB_iNS9_4plusIvEENS9_8equal_toIvEEiEE10hipError_tPvRmT2_T3_T4_T5_mT6_T7_P12ihipStream_tbENKUlT_T0_E_clISt17integral_constantIbLb0EESW_EEDaSR_SS_EUlSR_E_NS1_11comp_targetILNS1_3genE0ELNS1_11target_archE4294967295ELNS1_3gpuE0ELNS1_3repE0EEENS1_30default_config_static_selectorELNS0_4arch9wavefront6targetE0EEEvT1_.has_dyn_sized_stack, 0
	.set _ZN7rocprim17ROCPRIM_400000_NS6detail17trampoline_kernelINS0_14default_configENS1_27scan_by_key_config_selectorIiiEEZZNS1_16scan_by_key_implILNS1_25lookback_scan_determinismE0ELb0ES3_N6thrust23THRUST_200600_302600_NS10device_ptrIiEESB_SB_iNS9_4plusIvEENS9_8equal_toIvEEiEE10hipError_tPvRmT2_T3_T4_T5_mT6_T7_P12ihipStream_tbENKUlT_T0_E_clISt17integral_constantIbLb0EESW_EEDaSR_SS_EUlSR_E_NS1_11comp_targetILNS1_3genE0ELNS1_11target_archE4294967295ELNS1_3gpuE0ELNS1_3repE0EEENS1_30default_config_static_selectorELNS0_4arch9wavefront6targetE0EEEvT1_.has_recursion, 0
	.set _ZN7rocprim17ROCPRIM_400000_NS6detail17trampoline_kernelINS0_14default_configENS1_27scan_by_key_config_selectorIiiEEZZNS1_16scan_by_key_implILNS1_25lookback_scan_determinismE0ELb0ES3_N6thrust23THRUST_200600_302600_NS10device_ptrIiEESB_SB_iNS9_4plusIvEENS9_8equal_toIvEEiEE10hipError_tPvRmT2_T3_T4_T5_mT6_T7_P12ihipStream_tbENKUlT_T0_E_clISt17integral_constantIbLb0EESW_EEDaSR_SS_EUlSR_E_NS1_11comp_targetILNS1_3genE0ELNS1_11target_archE4294967295ELNS1_3gpuE0ELNS1_3repE0EEENS1_30default_config_static_selectorELNS0_4arch9wavefront6targetE0EEEvT1_.has_indirect_call, 0
	.section	.AMDGPU.csdata,"",@progbits
; Kernel info:
; codeLenInByte = 11992
; TotalNumSgprs: 44
; NumVgprs: 60
; ScratchSize: 0
; MemoryBound: 0
; FloatMode: 240
; IeeeMode: 1
; LDSByteSize: 14336 bytes/workgroup (compile time only)
; SGPRBlocks: 0
; VGPRBlocks: 3
; NumSGPRsForWavesPerEU: 44
; NumVGPRsForWavesPerEU: 60
; NamedBarCnt: 0
; Occupancy: 16
; WaveLimiterHint : 1
; COMPUTE_PGM_RSRC2:SCRATCH_EN: 0
; COMPUTE_PGM_RSRC2:USER_SGPR: 2
; COMPUTE_PGM_RSRC2:TRAP_HANDLER: 0
; COMPUTE_PGM_RSRC2:TGID_X_EN: 1
; COMPUTE_PGM_RSRC2:TGID_Y_EN: 0
; COMPUTE_PGM_RSRC2:TGID_Z_EN: 0
; COMPUTE_PGM_RSRC2:TIDIG_COMP_CNT: 0
	.section	.text._ZN7rocprim17ROCPRIM_400000_NS6detail17trampoline_kernelINS0_14default_configENS1_27scan_by_key_config_selectorIiiEEZZNS1_16scan_by_key_implILNS1_25lookback_scan_determinismE0ELb0ES3_N6thrust23THRUST_200600_302600_NS10device_ptrIiEESB_SB_iNS9_4plusIvEENS9_8equal_toIvEEiEE10hipError_tPvRmT2_T3_T4_T5_mT6_T7_P12ihipStream_tbENKUlT_T0_E_clISt17integral_constantIbLb0EESW_EEDaSR_SS_EUlSR_E_NS1_11comp_targetILNS1_3genE10ELNS1_11target_archE1201ELNS1_3gpuE5ELNS1_3repE0EEENS1_30default_config_static_selectorELNS0_4arch9wavefront6targetE0EEEvT1_,"axG",@progbits,_ZN7rocprim17ROCPRIM_400000_NS6detail17trampoline_kernelINS0_14default_configENS1_27scan_by_key_config_selectorIiiEEZZNS1_16scan_by_key_implILNS1_25lookback_scan_determinismE0ELb0ES3_N6thrust23THRUST_200600_302600_NS10device_ptrIiEESB_SB_iNS9_4plusIvEENS9_8equal_toIvEEiEE10hipError_tPvRmT2_T3_T4_T5_mT6_T7_P12ihipStream_tbENKUlT_T0_E_clISt17integral_constantIbLb0EESW_EEDaSR_SS_EUlSR_E_NS1_11comp_targetILNS1_3genE10ELNS1_11target_archE1201ELNS1_3gpuE5ELNS1_3repE0EEENS1_30default_config_static_selectorELNS0_4arch9wavefront6targetE0EEEvT1_,comdat
	.protected	_ZN7rocprim17ROCPRIM_400000_NS6detail17trampoline_kernelINS0_14default_configENS1_27scan_by_key_config_selectorIiiEEZZNS1_16scan_by_key_implILNS1_25lookback_scan_determinismE0ELb0ES3_N6thrust23THRUST_200600_302600_NS10device_ptrIiEESB_SB_iNS9_4plusIvEENS9_8equal_toIvEEiEE10hipError_tPvRmT2_T3_T4_T5_mT6_T7_P12ihipStream_tbENKUlT_T0_E_clISt17integral_constantIbLb0EESW_EEDaSR_SS_EUlSR_E_NS1_11comp_targetILNS1_3genE10ELNS1_11target_archE1201ELNS1_3gpuE5ELNS1_3repE0EEENS1_30default_config_static_selectorELNS0_4arch9wavefront6targetE0EEEvT1_ ; -- Begin function _ZN7rocprim17ROCPRIM_400000_NS6detail17trampoline_kernelINS0_14default_configENS1_27scan_by_key_config_selectorIiiEEZZNS1_16scan_by_key_implILNS1_25lookback_scan_determinismE0ELb0ES3_N6thrust23THRUST_200600_302600_NS10device_ptrIiEESB_SB_iNS9_4plusIvEENS9_8equal_toIvEEiEE10hipError_tPvRmT2_T3_T4_T5_mT6_T7_P12ihipStream_tbENKUlT_T0_E_clISt17integral_constantIbLb0EESW_EEDaSR_SS_EUlSR_E_NS1_11comp_targetILNS1_3genE10ELNS1_11target_archE1201ELNS1_3gpuE5ELNS1_3repE0EEENS1_30default_config_static_selectorELNS0_4arch9wavefront6targetE0EEEvT1_
	.globl	_ZN7rocprim17ROCPRIM_400000_NS6detail17trampoline_kernelINS0_14default_configENS1_27scan_by_key_config_selectorIiiEEZZNS1_16scan_by_key_implILNS1_25lookback_scan_determinismE0ELb0ES3_N6thrust23THRUST_200600_302600_NS10device_ptrIiEESB_SB_iNS9_4plusIvEENS9_8equal_toIvEEiEE10hipError_tPvRmT2_T3_T4_T5_mT6_T7_P12ihipStream_tbENKUlT_T0_E_clISt17integral_constantIbLb0EESW_EEDaSR_SS_EUlSR_E_NS1_11comp_targetILNS1_3genE10ELNS1_11target_archE1201ELNS1_3gpuE5ELNS1_3repE0EEENS1_30default_config_static_selectorELNS0_4arch9wavefront6targetE0EEEvT1_
	.p2align	8
	.type	_ZN7rocprim17ROCPRIM_400000_NS6detail17trampoline_kernelINS0_14default_configENS1_27scan_by_key_config_selectorIiiEEZZNS1_16scan_by_key_implILNS1_25lookback_scan_determinismE0ELb0ES3_N6thrust23THRUST_200600_302600_NS10device_ptrIiEESB_SB_iNS9_4plusIvEENS9_8equal_toIvEEiEE10hipError_tPvRmT2_T3_T4_T5_mT6_T7_P12ihipStream_tbENKUlT_T0_E_clISt17integral_constantIbLb0EESW_EEDaSR_SS_EUlSR_E_NS1_11comp_targetILNS1_3genE10ELNS1_11target_archE1201ELNS1_3gpuE5ELNS1_3repE0EEENS1_30default_config_static_selectorELNS0_4arch9wavefront6targetE0EEEvT1_,@function
_ZN7rocprim17ROCPRIM_400000_NS6detail17trampoline_kernelINS0_14default_configENS1_27scan_by_key_config_selectorIiiEEZZNS1_16scan_by_key_implILNS1_25lookback_scan_determinismE0ELb0ES3_N6thrust23THRUST_200600_302600_NS10device_ptrIiEESB_SB_iNS9_4plusIvEENS9_8equal_toIvEEiEE10hipError_tPvRmT2_T3_T4_T5_mT6_T7_P12ihipStream_tbENKUlT_T0_E_clISt17integral_constantIbLb0EESW_EEDaSR_SS_EUlSR_E_NS1_11comp_targetILNS1_3genE10ELNS1_11target_archE1201ELNS1_3gpuE5ELNS1_3repE0EEENS1_30default_config_static_selectorELNS0_4arch9wavefront6targetE0EEEvT1_: ; @_ZN7rocprim17ROCPRIM_400000_NS6detail17trampoline_kernelINS0_14default_configENS1_27scan_by_key_config_selectorIiiEEZZNS1_16scan_by_key_implILNS1_25lookback_scan_determinismE0ELb0ES3_N6thrust23THRUST_200600_302600_NS10device_ptrIiEESB_SB_iNS9_4plusIvEENS9_8equal_toIvEEiEE10hipError_tPvRmT2_T3_T4_T5_mT6_T7_P12ihipStream_tbENKUlT_T0_E_clISt17integral_constantIbLb0EESW_EEDaSR_SS_EUlSR_E_NS1_11comp_targetILNS1_3genE10ELNS1_11target_archE1201ELNS1_3gpuE5ELNS1_3repE0EEENS1_30default_config_static_selectorELNS0_4arch9wavefront6targetE0EEEvT1_
; %bb.0:
	.section	.rodata,"a",@progbits
	.p2align	6, 0x0
	.amdhsa_kernel _ZN7rocprim17ROCPRIM_400000_NS6detail17trampoline_kernelINS0_14default_configENS1_27scan_by_key_config_selectorIiiEEZZNS1_16scan_by_key_implILNS1_25lookback_scan_determinismE0ELb0ES3_N6thrust23THRUST_200600_302600_NS10device_ptrIiEESB_SB_iNS9_4plusIvEENS9_8equal_toIvEEiEE10hipError_tPvRmT2_T3_T4_T5_mT6_T7_P12ihipStream_tbENKUlT_T0_E_clISt17integral_constantIbLb0EESW_EEDaSR_SS_EUlSR_E_NS1_11comp_targetILNS1_3genE10ELNS1_11target_archE1201ELNS1_3gpuE5ELNS1_3repE0EEENS1_30default_config_static_selectorELNS0_4arch9wavefront6targetE0EEEvT1_
		.amdhsa_group_segment_fixed_size 0
		.amdhsa_private_segment_fixed_size 0
		.amdhsa_kernarg_size 112
		.amdhsa_user_sgpr_count 2
		.amdhsa_user_sgpr_dispatch_ptr 0
		.amdhsa_user_sgpr_queue_ptr 0
		.amdhsa_user_sgpr_kernarg_segment_ptr 1
		.amdhsa_user_sgpr_dispatch_id 0
		.amdhsa_user_sgpr_kernarg_preload_length 0
		.amdhsa_user_sgpr_kernarg_preload_offset 0
		.amdhsa_user_sgpr_private_segment_size 0
		.amdhsa_wavefront_size32 1
		.amdhsa_uses_dynamic_stack 0
		.amdhsa_enable_private_segment 0
		.amdhsa_system_sgpr_workgroup_id_x 1
		.amdhsa_system_sgpr_workgroup_id_y 0
		.amdhsa_system_sgpr_workgroup_id_z 0
		.amdhsa_system_sgpr_workgroup_info 0
		.amdhsa_system_vgpr_workitem_id 0
		.amdhsa_next_free_vgpr 1
		.amdhsa_next_free_sgpr 1
		.amdhsa_named_barrier_count 0
		.amdhsa_reserve_vcc 0
		.amdhsa_float_round_mode_32 0
		.amdhsa_float_round_mode_16_64 0
		.amdhsa_float_denorm_mode_32 3
		.amdhsa_float_denorm_mode_16_64 3
		.amdhsa_fp16_overflow 0
		.amdhsa_memory_ordered 1
		.amdhsa_forward_progress 1
		.amdhsa_inst_pref_size 0
		.amdhsa_round_robin_scheduling 0
		.amdhsa_exception_fp_ieee_invalid_op 0
		.amdhsa_exception_fp_denorm_src 0
		.amdhsa_exception_fp_ieee_div_zero 0
		.amdhsa_exception_fp_ieee_overflow 0
		.amdhsa_exception_fp_ieee_underflow 0
		.amdhsa_exception_fp_ieee_inexact 0
		.amdhsa_exception_int_div_zero 0
	.end_amdhsa_kernel
	.section	.text._ZN7rocprim17ROCPRIM_400000_NS6detail17trampoline_kernelINS0_14default_configENS1_27scan_by_key_config_selectorIiiEEZZNS1_16scan_by_key_implILNS1_25lookback_scan_determinismE0ELb0ES3_N6thrust23THRUST_200600_302600_NS10device_ptrIiEESB_SB_iNS9_4plusIvEENS9_8equal_toIvEEiEE10hipError_tPvRmT2_T3_T4_T5_mT6_T7_P12ihipStream_tbENKUlT_T0_E_clISt17integral_constantIbLb0EESW_EEDaSR_SS_EUlSR_E_NS1_11comp_targetILNS1_3genE10ELNS1_11target_archE1201ELNS1_3gpuE5ELNS1_3repE0EEENS1_30default_config_static_selectorELNS0_4arch9wavefront6targetE0EEEvT1_,"axG",@progbits,_ZN7rocprim17ROCPRIM_400000_NS6detail17trampoline_kernelINS0_14default_configENS1_27scan_by_key_config_selectorIiiEEZZNS1_16scan_by_key_implILNS1_25lookback_scan_determinismE0ELb0ES3_N6thrust23THRUST_200600_302600_NS10device_ptrIiEESB_SB_iNS9_4plusIvEENS9_8equal_toIvEEiEE10hipError_tPvRmT2_T3_T4_T5_mT6_T7_P12ihipStream_tbENKUlT_T0_E_clISt17integral_constantIbLb0EESW_EEDaSR_SS_EUlSR_E_NS1_11comp_targetILNS1_3genE10ELNS1_11target_archE1201ELNS1_3gpuE5ELNS1_3repE0EEENS1_30default_config_static_selectorELNS0_4arch9wavefront6targetE0EEEvT1_,comdat
.Lfunc_end2195:
	.size	_ZN7rocprim17ROCPRIM_400000_NS6detail17trampoline_kernelINS0_14default_configENS1_27scan_by_key_config_selectorIiiEEZZNS1_16scan_by_key_implILNS1_25lookback_scan_determinismE0ELb0ES3_N6thrust23THRUST_200600_302600_NS10device_ptrIiEESB_SB_iNS9_4plusIvEENS9_8equal_toIvEEiEE10hipError_tPvRmT2_T3_T4_T5_mT6_T7_P12ihipStream_tbENKUlT_T0_E_clISt17integral_constantIbLb0EESW_EEDaSR_SS_EUlSR_E_NS1_11comp_targetILNS1_3genE10ELNS1_11target_archE1201ELNS1_3gpuE5ELNS1_3repE0EEENS1_30default_config_static_selectorELNS0_4arch9wavefront6targetE0EEEvT1_, .Lfunc_end2195-_ZN7rocprim17ROCPRIM_400000_NS6detail17trampoline_kernelINS0_14default_configENS1_27scan_by_key_config_selectorIiiEEZZNS1_16scan_by_key_implILNS1_25lookback_scan_determinismE0ELb0ES3_N6thrust23THRUST_200600_302600_NS10device_ptrIiEESB_SB_iNS9_4plusIvEENS9_8equal_toIvEEiEE10hipError_tPvRmT2_T3_T4_T5_mT6_T7_P12ihipStream_tbENKUlT_T0_E_clISt17integral_constantIbLb0EESW_EEDaSR_SS_EUlSR_E_NS1_11comp_targetILNS1_3genE10ELNS1_11target_archE1201ELNS1_3gpuE5ELNS1_3repE0EEENS1_30default_config_static_selectorELNS0_4arch9wavefront6targetE0EEEvT1_
                                        ; -- End function
	.set _ZN7rocprim17ROCPRIM_400000_NS6detail17trampoline_kernelINS0_14default_configENS1_27scan_by_key_config_selectorIiiEEZZNS1_16scan_by_key_implILNS1_25lookback_scan_determinismE0ELb0ES3_N6thrust23THRUST_200600_302600_NS10device_ptrIiEESB_SB_iNS9_4plusIvEENS9_8equal_toIvEEiEE10hipError_tPvRmT2_T3_T4_T5_mT6_T7_P12ihipStream_tbENKUlT_T0_E_clISt17integral_constantIbLb0EESW_EEDaSR_SS_EUlSR_E_NS1_11comp_targetILNS1_3genE10ELNS1_11target_archE1201ELNS1_3gpuE5ELNS1_3repE0EEENS1_30default_config_static_selectorELNS0_4arch9wavefront6targetE0EEEvT1_.num_vgpr, 0
	.set _ZN7rocprim17ROCPRIM_400000_NS6detail17trampoline_kernelINS0_14default_configENS1_27scan_by_key_config_selectorIiiEEZZNS1_16scan_by_key_implILNS1_25lookback_scan_determinismE0ELb0ES3_N6thrust23THRUST_200600_302600_NS10device_ptrIiEESB_SB_iNS9_4plusIvEENS9_8equal_toIvEEiEE10hipError_tPvRmT2_T3_T4_T5_mT6_T7_P12ihipStream_tbENKUlT_T0_E_clISt17integral_constantIbLb0EESW_EEDaSR_SS_EUlSR_E_NS1_11comp_targetILNS1_3genE10ELNS1_11target_archE1201ELNS1_3gpuE5ELNS1_3repE0EEENS1_30default_config_static_selectorELNS0_4arch9wavefront6targetE0EEEvT1_.num_agpr, 0
	.set _ZN7rocprim17ROCPRIM_400000_NS6detail17trampoline_kernelINS0_14default_configENS1_27scan_by_key_config_selectorIiiEEZZNS1_16scan_by_key_implILNS1_25lookback_scan_determinismE0ELb0ES3_N6thrust23THRUST_200600_302600_NS10device_ptrIiEESB_SB_iNS9_4plusIvEENS9_8equal_toIvEEiEE10hipError_tPvRmT2_T3_T4_T5_mT6_T7_P12ihipStream_tbENKUlT_T0_E_clISt17integral_constantIbLb0EESW_EEDaSR_SS_EUlSR_E_NS1_11comp_targetILNS1_3genE10ELNS1_11target_archE1201ELNS1_3gpuE5ELNS1_3repE0EEENS1_30default_config_static_selectorELNS0_4arch9wavefront6targetE0EEEvT1_.numbered_sgpr, 0
	.set _ZN7rocprim17ROCPRIM_400000_NS6detail17trampoline_kernelINS0_14default_configENS1_27scan_by_key_config_selectorIiiEEZZNS1_16scan_by_key_implILNS1_25lookback_scan_determinismE0ELb0ES3_N6thrust23THRUST_200600_302600_NS10device_ptrIiEESB_SB_iNS9_4plusIvEENS9_8equal_toIvEEiEE10hipError_tPvRmT2_T3_T4_T5_mT6_T7_P12ihipStream_tbENKUlT_T0_E_clISt17integral_constantIbLb0EESW_EEDaSR_SS_EUlSR_E_NS1_11comp_targetILNS1_3genE10ELNS1_11target_archE1201ELNS1_3gpuE5ELNS1_3repE0EEENS1_30default_config_static_selectorELNS0_4arch9wavefront6targetE0EEEvT1_.num_named_barrier, 0
	.set _ZN7rocprim17ROCPRIM_400000_NS6detail17trampoline_kernelINS0_14default_configENS1_27scan_by_key_config_selectorIiiEEZZNS1_16scan_by_key_implILNS1_25lookback_scan_determinismE0ELb0ES3_N6thrust23THRUST_200600_302600_NS10device_ptrIiEESB_SB_iNS9_4plusIvEENS9_8equal_toIvEEiEE10hipError_tPvRmT2_T3_T4_T5_mT6_T7_P12ihipStream_tbENKUlT_T0_E_clISt17integral_constantIbLb0EESW_EEDaSR_SS_EUlSR_E_NS1_11comp_targetILNS1_3genE10ELNS1_11target_archE1201ELNS1_3gpuE5ELNS1_3repE0EEENS1_30default_config_static_selectorELNS0_4arch9wavefront6targetE0EEEvT1_.private_seg_size, 0
	.set _ZN7rocprim17ROCPRIM_400000_NS6detail17trampoline_kernelINS0_14default_configENS1_27scan_by_key_config_selectorIiiEEZZNS1_16scan_by_key_implILNS1_25lookback_scan_determinismE0ELb0ES3_N6thrust23THRUST_200600_302600_NS10device_ptrIiEESB_SB_iNS9_4plusIvEENS9_8equal_toIvEEiEE10hipError_tPvRmT2_T3_T4_T5_mT6_T7_P12ihipStream_tbENKUlT_T0_E_clISt17integral_constantIbLb0EESW_EEDaSR_SS_EUlSR_E_NS1_11comp_targetILNS1_3genE10ELNS1_11target_archE1201ELNS1_3gpuE5ELNS1_3repE0EEENS1_30default_config_static_selectorELNS0_4arch9wavefront6targetE0EEEvT1_.uses_vcc, 0
	.set _ZN7rocprim17ROCPRIM_400000_NS6detail17trampoline_kernelINS0_14default_configENS1_27scan_by_key_config_selectorIiiEEZZNS1_16scan_by_key_implILNS1_25lookback_scan_determinismE0ELb0ES3_N6thrust23THRUST_200600_302600_NS10device_ptrIiEESB_SB_iNS9_4plusIvEENS9_8equal_toIvEEiEE10hipError_tPvRmT2_T3_T4_T5_mT6_T7_P12ihipStream_tbENKUlT_T0_E_clISt17integral_constantIbLb0EESW_EEDaSR_SS_EUlSR_E_NS1_11comp_targetILNS1_3genE10ELNS1_11target_archE1201ELNS1_3gpuE5ELNS1_3repE0EEENS1_30default_config_static_selectorELNS0_4arch9wavefront6targetE0EEEvT1_.uses_flat_scratch, 0
	.set _ZN7rocprim17ROCPRIM_400000_NS6detail17trampoline_kernelINS0_14default_configENS1_27scan_by_key_config_selectorIiiEEZZNS1_16scan_by_key_implILNS1_25lookback_scan_determinismE0ELb0ES3_N6thrust23THRUST_200600_302600_NS10device_ptrIiEESB_SB_iNS9_4plusIvEENS9_8equal_toIvEEiEE10hipError_tPvRmT2_T3_T4_T5_mT6_T7_P12ihipStream_tbENKUlT_T0_E_clISt17integral_constantIbLb0EESW_EEDaSR_SS_EUlSR_E_NS1_11comp_targetILNS1_3genE10ELNS1_11target_archE1201ELNS1_3gpuE5ELNS1_3repE0EEENS1_30default_config_static_selectorELNS0_4arch9wavefront6targetE0EEEvT1_.has_dyn_sized_stack, 0
	.set _ZN7rocprim17ROCPRIM_400000_NS6detail17trampoline_kernelINS0_14default_configENS1_27scan_by_key_config_selectorIiiEEZZNS1_16scan_by_key_implILNS1_25lookback_scan_determinismE0ELb0ES3_N6thrust23THRUST_200600_302600_NS10device_ptrIiEESB_SB_iNS9_4plusIvEENS9_8equal_toIvEEiEE10hipError_tPvRmT2_T3_T4_T5_mT6_T7_P12ihipStream_tbENKUlT_T0_E_clISt17integral_constantIbLb0EESW_EEDaSR_SS_EUlSR_E_NS1_11comp_targetILNS1_3genE10ELNS1_11target_archE1201ELNS1_3gpuE5ELNS1_3repE0EEENS1_30default_config_static_selectorELNS0_4arch9wavefront6targetE0EEEvT1_.has_recursion, 0
	.set _ZN7rocprim17ROCPRIM_400000_NS6detail17trampoline_kernelINS0_14default_configENS1_27scan_by_key_config_selectorIiiEEZZNS1_16scan_by_key_implILNS1_25lookback_scan_determinismE0ELb0ES3_N6thrust23THRUST_200600_302600_NS10device_ptrIiEESB_SB_iNS9_4plusIvEENS9_8equal_toIvEEiEE10hipError_tPvRmT2_T3_T4_T5_mT6_T7_P12ihipStream_tbENKUlT_T0_E_clISt17integral_constantIbLb0EESW_EEDaSR_SS_EUlSR_E_NS1_11comp_targetILNS1_3genE10ELNS1_11target_archE1201ELNS1_3gpuE5ELNS1_3repE0EEENS1_30default_config_static_selectorELNS0_4arch9wavefront6targetE0EEEvT1_.has_indirect_call, 0
	.section	.AMDGPU.csdata,"",@progbits
; Kernel info:
; codeLenInByte = 0
; TotalNumSgprs: 0
; NumVgprs: 0
; ScratchSize: 0
; MemoryBound: 0
; FloatMode: 240
; IeeeMode: 1
; LDSByteSize: 0 bytes/workgroup (compile time only)
; SGPRBlocks: 0
; VGPRBlocks: 0
; NumSGPRsForWavesPerEU: 1
; NumVGPRsForWavesPerEU: 1
; NamedBarCnt: 0
; Occupancy: 16
; WaveLimiterHint : 0
; COMPUTE_PGM_RSRC2:SCRATCH_EN: 0
; COMPUTE_PGM_RSRC2:USER_SGPR: 2
; COMPUTE_PGM_RSRC2:TRAP_HANDLER: 0
; COMPUTE_PGM_RSRC2:TGID_X_EN: 1
; COMPUTE_PGM_RSRC2:TGID_Y_EN: 0
; COMPUTE_PGM_RSRC2:TGID_Z_EN: 0
; COMPUTE_PGM_RSRC2:TIDIG_COMP_CNT: 0
	.section	.text._ZN7rocprim17ROCPRIM_400000_NS6detail17trampoline_kernelINS0_14default_configENS1_27scan_by_key_config_selectorIiiEEZZNS1_16scan_by_key_implILNS1_25lookback_scan_determinismE0ELb0ES3_N6thrust23THRUST_200600_302600_NS10device_ptrIiEESB_SB_iNS9_4plusIvEENS9_8equal_toIvEEiEE10hipError_tPvRmT2_T3_T4_T5_mT6_T7_P12ihipStream_tbENKUlT_T0_E_clISt17integral_constantIbLb0EESW_EEDaSR_SS_EUlSR_E_NS1_11comp_targetILNS1_3genE5ELNS1_11target_archE942ELNS1_3gpuE9ELNS1_3repE0EEENS1_30default_config_static_selectorELNS0_4arch9wavefront6targetE0EEEvT1_,"axG",@progbits,_ZN7rocprim17ROCPRIM_400000_NS6detail17trampoline_kernelINS0_14default_configENS1_27scan_by_key_config_selectorIiiEEZZNS1_16scan_by_key_implILNS1_25lookback_scan_determinismE0ELb0ES3_N6thrust23THRUST_200600_302600_NS10device_ptrIiEESB_SB_iNS9_4plusIvEENS9_8equal_toIvEEiEE10hipError_tPvRmT2_T3_T4_T5_mT6_T7_P12ihipStream_tbENKUlT_T0_E_clISt17integral_constantIbLb0EESW_EEDaSR_SS_EUlSR_E_NS1_11comp_targetILNS1_3genE5ELNS1_11target_archE942ELNS1_3gpuE9ELNS1_3repE0EEENS1_30default_config_static_selectorELNS0_4arch9wavefront6targetE0EEEvT1_,comdat
	.protected	_ZN7rocprim17ROCPRIM_400000_NS6detail17trampoline_kernelINS0_14default_configENS1_27scan_by_key_config_selectorIiiEEZZNS1_16scan_by_key_implILNS1_25lookback_scan_determinismE0ELb0ES3_N6thrust23THRUST_200600_302600_NS10device_ptrIiEESB_SB_iNS9_4plusIvEENS9_8equal_toIvEEiEE10hipError_tPvRmT2_T3_T4_T5_mT6_T7_P12ihipStream_tbENKUlT_T0_E_clISt17integral_constantIbLb0EESW_EEDaSR_SS_EUlSR_E_NS1_11comp_targetILNS1_3genE5ELNS1_11target_archE942ELNS1_3gpuE9ELNS1_3repE0EEENS1_30default_config_static_selectorELNS0_4arch9wavefront6targetE0EEEvT1_ ; -- Begin function _ZN7rocprim17ROCPRIM_400000_NS6detail17trampoline_kernelINS0_14default_configENS1_27scan_by_key_config_selectorIiiEEZZNS1_16scan_by_key_implILNS1_25lookback_scan_determinismE0ELb0ES3_N6thrust23THRUST_200600_302600_NS10device_ptrIiEESB_SB_iNS9_4plusIvEENS9_8equal_toIvEEiEE10hipError_tPvRmT2_T3_T4_T5_mT6_T7_P12ihipStream_tbENKUlT_T0_E_clISt17integral_constantIbLb0EESW_EEDaSR_SS_EUlSR_E_NS1_11comp_targetILNS1_3genE5ELNS1_11target_archE942ELNS1_3gpuE9ELNS1_3repE0EEENS1_30default_config_static_selectorELNS0_4arch9wavefront6targetE0EEEvT1_
	.globl	_ZN7rocprim17ROCPRIM_400000_NS6detail17trampoline_kernelINS0_14default_configENS1_27scan_by_key_config_selectorIiiEEZZNS1_16scan_by_key_implILNS1_25lookback_scan_determinismE0ELb0ES3_N6thrust23THRUST_200600_302600_NS10device_ptrIiEESB_SB_iNS9_4plusIvEENS9_8equal_toIvEEiEE10hipError_tPvRmT2_T3_T4_T5_mT6_T7_P12ihipStream_tbENKUlT_T0_E_clISt17integral_constantIbLb0EESW_EEDaSR_SS_EUlSR_E_NS1_11comp_targetILNS1_3genE5ELNS1_11target_archE942ELNS1_3gpuE9ELNS1_3repE0EEENS1_30default_config_static_selectorELNS0_4arch9wavefront6targetE0EEEvT1_
	.p2align	8
	.type	_ZN7rocprim17ROCPRIM_400000_NS6detail17trampoline_kernelINS0_14default_configENS1_27scan_by_key_config_selectorIiiEEZZNS1_16scan_by_key_implILNS1_25lookback_scan_determinismE0ELb0ES3_N6thrust23THRUST_200600_302600_NS10device_ptrIiEESB_SB_iNS9_4plusIvEENS9_8equal_toIvEEiEE10hipError_tPvRmT2_T3_T4_T5_mT6_T7_P12ihipStream_tbENKUlT_T0_E_clISt17integral_constantIbLb0EESW_EEDaSR_SS_EUlSR_E_NS1_11comp_targetILNS1_3genE5ELNS1_11target_archE942ELNS1_3gpuE9ELNS1_3repE0EEENS1_30default_config_static_selectorELNS0_4arch9wavefront6targetE0EEEvT1_,@function
_ZN7rocprim17ROCPRIM_400000_NS6detail17trampoline_kernelINS0_14default_configENS1_27scan_by_key_config_selectorIiiEEZZNS1_16scan_by_key_implILNS1_25lookback_scan_determinismE0ELb0ES3_N6thrust23THRUST_200600_302600_NS10device_ptrIiEESB_SB_iNS9_4plusIvEENS9_8equal_toIvEEiEE10hipError_tPvRmT2_T3_T4_T5_mT6_T7_P12ihipStream_tbENKUlT_T0_E_clISt17integral_constantIbLb0EESW_EEDaSR_SS_EUlSR_E_NS1_11comp_targetILNS1_3genE5ELNS1_11target_archE942ELNS1_3gpuE9ELNS1_3repE0EEENS1_30default_config_static_selectorELNS0_4arch9wavefront6targetE0EEEvT1_: ; @_ZN7rocprim17ROCPRIM_400000_NS6detail17trampoline_kernelINS0_14default_configENS1_27scan_by_key_config_selectorIiiEEZZNS1_16scan_by_key_implILNS1_25lookback_scan_determinismE0ELb0ES3_N6thrust23THRUST_200600_302600_NS10device_ptrIiEESB_SB_iNS9_4plusIvEENS9_8equal_toIvEEiEE10hipError_tPvRmT2_T3_T4_T5_mT6_T7_P12ihipStream_tbENKUlT_T0_E_clISt17integral_constantIbLb0EESW_EEDaSR_SS_EUlSR_E_NS1_11comp_targetILNS1_3genE5ELNS1_11target_archE942ELNS1_3gpuE9ELNS1_3repE0EEENS1_30default_config_static_selectorELNS0_4arch9wavefront6targetE0EEEvT1_
; %bb.0:
	.section	.rodata,"a",@progbits
	.p2align	6, 0x0
	.amdhsa_kernel _ZN7rocprim17ROCPRIM_400000_NS6detail17trampoline_kernelINS0_14default_configENS1_27scan_by_key_config_selectorIiiEEZZNS1_16scan_by_key_implILNS1_25lookback_scan_determinismE0ELb0ES3_N6thrust23THRUST_200600_302600_NS10device_ptrIiEESB_SB_iNS9_4plusIvEENS9_8equal_toIvEEiEE10hipError_tPvRmT2_T3_T4_T5_mT6_T7_P12ihipStream_tbENKUlT_T0_E_clISt17integral_constantIbLb0EESW_EEDaSR_SS_EUlSR_E_NS1_11comp_targetILNS1_3genE5ELNS1_11target_archE942ELNS1_3gpuE9ELNS1_3repE0EEENS1_30default_config_static_selectorELNS0_4arch9wavefront6targetE0EEEvT1_
		.amdhsa_group_segment_fixed_size 0
		.amdhsa_private_segment_fixed_size 0
		.amdhsa_kernarg_size 112
		.amdhsa_user_sgpr_count 2
		.amdhsa_user_sgpr_dispatch_ptr 0
		.amdhsa_user_sgpr_queue_ptr 0
		.amdhsa_user_sgpr_kernarg_segment_ptr 1
		.amdhsa_user_sgpr_dispatch_id 0
		.amdhsa_user_sgpr_kernarg_preload_length 0
		.amdhsa_user_sgpr_kernarg_preload_offset 0
		.amdhsa_user_sgpr_private_segment_size 0
		.amdhsa_wavefront_size32 1
		.amdhsa_uses_dynamic_stack 0
		.amdhsa_enable_private_segment 0
		.amdhsa_system_sgpr_workgroup_id_x 1
		.amdhsa_system_sgpr_workgroup_id_y 0
		.amdhsa_system_sgpr_workgroup_id_z 0
		.amdhsa_system_sgpr_workgroup_info 0
		.amdhsa_system_vgpr_workitem_id 0
		.amdhsa_next_free_vgpr 1
		.amdhsa_next_free_sgpr 1
		.amdhsa_named_barrier_count 0
		.amdhsa_reserve_vcc 0
		.amdhsa_float_round_mode_32 0
		.amdhsa_float_round_mode_16_64 0
		.amdhsa_float_denorm_mode_32 3
		.amdhsa_float_denorm_mode_16_64 3
		.amdhsa_fp16_overflow 0
		.amdhsa_memory_ordered 1
		.amdhsa_forward_progress 1
		.amdhsa_inst_pref_size 0
		.amdhsa_round_robin_scheduling 0
		.amdhsa_exception_fp_ieee_invalid_op 0
		.amdhsa_exception_fp_denorm_src 0
		.amdhsa_exception_fp_ieee_div_zero 0
		.amdhsa_exception_fp_ieee_overflow 0
		.amdhsa_exception_fp_ieee_underflow 0
		.amdhsa_exception_fp_ieee_inexact 0
		.amdhsa_exception_int_div_zero 0
	.end_amdhsa_kernel
	.section	.text._ZN7rocprim17ROCPRIM_400000_NS6detail17trampoline_kernelINS0_14default_configENS1_27scan_by_key_config_selectorIiiEEZZNS1_16scan_by_key_implILNS1_25lookback_scan_determinismE0ELb0ES3_N6thrust23THRUST_200600_302600_NS10device_ptrIiEESB_SB_iNS9_4plusIvEENS9_8equal_toIvEEiEE10hipError_tPvRmT2_T3_T4_T5_mT6_T7_P12ihipStream_tbENKUlT_T0_E_clISt17integral_constantIbLb0EESW_EEDaSR_SS_EUlSR_E_NS1_11comp_targetILNS1_3genE5ELNS1_11target_archE942ELNS1_3gpuE9ELNS1_3repE0EEENS1_30default_config_static_selectorELNS0_4arch9wavefront6targetE0EEEvT1_,"axG",@progbits,_ZN7rocprim17ROCPRIM_400000_NS6detail17trampoline_kernelINS0_14default_configENS1_27scan_by_key_config_selectorIiiEEZZNS1_16scan_by_key_implILNS1_25lookback_scan_determinismE0ELb0ES3_N6thrust23THRUST_200600_302600_NS10device_ptrIiEESB_SB_iNS9_4plusIvEENS9_8equal_toIvEEiEE10hipError_tPvRmT2_T3_T4_T5_mT6_T7_P12ihipStream_tbENKUlT_T0_E_clISt17integral_constantIbLb0EESW_EEDaSR_SS_EUlSR_E_NS1_11comp_targetILNS1_3genE5ELNS1_11target_archE942ELNS1_3gpuE9ELNS1_3repE0EEENS1_30default_config_static_selectorELNS0_4arch9wavefront6targetE0EEEvT1_,comdat
.Lfunc_end2196:
	.size	_ZN7rocprim17ROCPRIM_400000_NS6detail17trampoline_kernelINS0_14default_configENS1_27scan_by_key_config_selectorIiiEEZZNS1_16scan_by_key_implILNS1_25lookback_scan_determinismE0ELb0ES3_N6thrust23THRUST_200600_302600_NS10device_ptrIiEESB_SB_iNS9_4plusIvEENS9_8equal_toIvEEiEE10hipError_tPvRmT2_T3_T4_T5_mT6_T7_P12ihipStream_tbENKUlT_T0_E_clISt17integral_constantIbLb0EESW_EEDaSR_SS_EUlSR_E_NS1_11comp_targetILNS1_3genE5ELNS1_11target_archE942ELNS1_3gpuE9ELNS1_3repE0EEENS1_30default_config_static_selectorELNS0_4arch9wavefront6targetE0EEEvT1_, .Lfunc_end2196-_ZN7rocprim17ROCPRIM_400000_NS6detail17trampoline_kernelINS0_14default_configENS1_27scan_by_key_config_selectorIiiEEZZNS1_16scan_by_key_implILNS1_25lookback_scan_determinismE0ELb0ES3_N6thrust23THRUST_200600_302600_NS10device_ptrIiEESB_SB_iNS9_4plusIvEENS9_8equal_toIvEEiEE10hipError_tPvRmT2_T3_T4_T5_mT6_T7_P12ihipStream_tbENKUlT_T0_E_clISt17integral_constantIbLb0EESW_EEDaSR_SS_EUlSR_E_NS1_11comp_targetILNS1_3genE5ELNS1_11target_archE942ELNS1_3gpuE9ELNS1_3repE0EEENS1_30default_config_static_selectorELNS0_4arch9wavefront6targetE0EEEvT1_
                                        ; -- End function
	.set _ZN7rocprim17ROCPRIM_400000_NS6detail17trampoline_kernelINS0_14default_configENS1_27scan_by_key_config_selectorIiiEEZZNS1_16scan_by_key_implILNS1_25lookback_scan_determinismE0ELb0ES3_N6thrust23THRUST_200600_302600_NS10device_ptrIiEESB_SB_iNS9_4plusIvEENS9_8equal_toIvEEiEE10hipError_tPvRmT2_T3_T4_T5_mT6_T7_P12ihipStream_tbENKUlT_T0_E_clISt17integral_constantIbLb0EESW_EEDaSR_SS_EUlSR_E_NS1_11comp_targetILNS1_3genE5ELNS1_11target_archE942ELNS1_3gpuE9ELNS1_3repE0EEENS1_30default_config_static_selectorELNS0_4arch9wavefront6targetE0EEEvT1_.num_vgpr, 0
	.set _ZN7rocprim17ROCPRIM_400000_NS6detail17trampoline_kernelINS0_14default_configENS1_27scan_by_key_config_selectorIiiEEZZNS1_16scan_by_key_implILNS1_25lookback_scan_determinismE0ELb0ES3_N6thrust23THRUST_200600_302600_NS10device_ptrIiEESB_SB_iNS9_4plusIvEENS9_8equal_toIvEEiEE10hipError_tPvRmT2_T3_T4_T5_mT6_T7_P12ihipStream_tbENKUlT_T0_E_clISt17integral_constantIbLb0EESW_EEDaSR_SS_EUlSR_E_NS1_11comp_targetILNS1_3genE5ELNS1_11target_archE942ELNS1_3gpuE9ELNS1_3repE0EEENS1_30default_config_static_selectorELNS0_4arch9wavefront6targetE0EEEvT1_.num_agpr, 0
	.set _ZN7rocprim17ROCPRIM_400000_NS6detail17trampoline_kernelINS0_14default_configENS1_27scan_by_key_config_selectorIiiEEZZNS1_16scan_by_key_implILNS1_25lookback_scan_determinismE0ELb0ES3_N6thrust23THRUST_200600_302600_NS10device_ptrIiEESB_SB_iNS9_4plusIvEENS9_8equal_toIvEEiEE10hipError_tPvRmT2_T3_T4_T5_mT6_T7_P12ihipStream_tbENKUlT_T0_E_clISt17integral_constantIbLb0EESW_EEDaSR_SS_EUlSR_E_NS1_11comp_targetILNS1_3genE5ELNS1_11target_archE942ELNS1_3gpuE9ELNS1_3repE0EEENS1_30default_config_static_selectorELNS0_4arch9wavefront6targetE0EEEvT1_.numbered_sgpr, 0
	.set _ZN7rocprim17ROCPRIM_400000_NS6detail17trampoline_kernelINS0_14default_configENS1_27scan_by_key_config_selectorIiiEEZZNS1_16scan_by_key_implILNS1_25lookback_scan_determinismE0ELb0ES3_N6thrust23THRUST_200600_302600_NS10device_ptrIiEESB_SB_iNS9_4plusIvEENS9_8equal_toIvEEiEE10hipError_tPvRmT2_T3_T4_T5_mT6_T7_P12ihipStream_tbENKUlT_T0_E_clISt17integral_constantIbLb0EESW_EEDaSR_SS_EUlSR_E_NS1_11comp_targetILNS1_3genE5ELNS1_11target_archE942ELNS1_3gpuE9ELNS1_3repE0EEENS1_30default_config_static_selectorELNS0_4arch9wavefront6targetE0EEEvT1_.num_named_barrier, 0
	.set _ZN7rocprim17ROCPRIM_400000_NS6detail17trampoline_kernelINS0_14default_configENS1_27scan_by_key_config_selectorIiiEEZZNS1_16scan_by_key_implILNS1_25lookback_scan_determinismE0ELb0ES3_N6thrust23THRUST_200600_302600_NS10device_ptrIiEESB_SB_iNS9_4plusIvEENS9_8equal_toIvEEiEE10hipError_tPvRmT2_T3_T4_T5_mT6_T7_P12ihipStream_tbENKUlT_T0_E_clISt17integral_constantIbLb0EESW_EEDaSR_SS_EUlSR_E_NS1_11comp_targetILNS1_3genE5ELNS1_11target_archE942ELNS1_3gpuE9ELNS1_3repE0EEENS1_30default_config_static_selectorELNS0_4arch9wavefront6targetE0EEEvT1_.private_seg_size, 0
	.set _ZN7rocprim17ROCPRIM_400000_NS6detail17trampoline_kernelINS0_14default_configENS1_27scan_by_key_config_selectorIiiEEZZNS1_16scan_by_key_implILNS1_25lookback_scan_determinismE0ELb0ES3_N6thrust23THRUST_200600_302600_NS10device_ptrIiEESB_SB_iNS9_4plusIvEENS9_8equal_toIvEEiEE10hipError_tPvRmT2_T3_T4_T5_mT6_T7_P12ihipStream_tbENKUlT_T0_E_clISt17integral_constantIbLb0EESW_EEDaSR_SS_EUlSR_E_NS1_11comp_targetILNS1_3genE5ELNS1_11target_archE942ELNS1_3gpuE9ELNS1_3repE0EEENS1_30default_config_static_selectorELNS0_4arch9wavefront6targetE0EEEvT1_.uses_vcc, 0
	.set _ZN7rocprim17ROCPRIM_400000_NS6detail17trampoline_kernelINS0_14default_configENS1_27scan_by_key_config_selectorIiiEEZZNS1_16scan_by_key_implILNS1_25lookback_scan_determinismE0ELb0ES3_N6thrust23THRUST_200600_302600_NS10device_ptrIiEESB_SB_iNS9_4plusIvEENS9_8equal_toIvEEiEE10hipError_tPvRmT2_T3_T4_T5_mT6_T7_P12ihipStream_tbENKUlT_T0_E_clISt17integral_constantIbLb0EESW_EEDaSR_SS_EUlSR_E_NS1_11comp_targetILNS1_3genE5ELNS1_11target_archE942ELNS1_3gpuE9ELNS1_3repE0EEENS1_30default_config_static_selectorELNS0_4arch9wavefront6targetE0EEEvT1_.uses_flat_scratch, 0
	.set _ZN7rocprim17ROCPRIM_400000_NS6detail17trampoline_kernelINS0_14default_configENS1_27scan_by_key_config_selectorIiiEEZZNS1_16scan_by_key_implILNS1_25lookback_scan_determinismE0ELb0ES3_N6thrust23THRUST_200600_302600_NS10device_ptrIiEESB_SB_iNS9_4plusIvEENS9_8equal_toIvEEiEE10hipError_tPvRmT2_T3_T4_T5_mT6_T7_P12ihipStream_tbENKUlT_T0_E_clISt17integral_constantIbLb0EESW_EEDaSR_SS_EUlSR_E_NS1_11comp_targetILNS1_3genE5ELNS1_11target_archE942ELNS1_3gpuE9ELNS1_3repE0EEENS1_30default_config_static_selectorELNS0_4arch9wavefront6targetE0EEEvT1_.has_dyn_sized_stack, 0
	.set _ZN7rocprim17ROCPRIM_400000_NS6detail17trampoline_kernelINS0_14default_configENS1_27scan_by_key_config_selectorIiiEEZZNS1_16scan_by_key_implILNS1_25lookback_scan_determinismE0ELb0ES3_N6thrust23THRUST_200600_302600_NS10device_ptrIiEESB_SB_iNS9_4plusIvEENS9_8equal_toIvEEiEE10hipError_tPvRmT2_T3_T4_T5_mT6_T7_P12ihipStream_tbENKUlT_T0_E_clISt17integral_constantIbLb0EESW_EEDaSR_SS_EUlSR_E_NS1_11comp_targetILNS1_3genE5ELNS1_11target_archE942ELNS1_3gpuE9ELNS1_3repE0EEENS1_30default_config_static_selectorELNS0_4arch9wavefront6targetE0EEEvT1_.has_recursion, 0
	.set _ZN7rocprim17ROCPRIM_400000_NS6detail17trampoline_kernelINS0_14default_configENS1_27scan_by_key_config_selectorIiiEEZZNS1_16scan_by_key_implILNS1_25lookback_scan_determinismE0ELb0ES3_N6thrust23THRUST_200600_302600_NS10device_ptrIiEESB_SB_iNS9_4plusIvEENS9_8equal_toIvEEiEE10hipError_tPvRmT2_T3_T4_T5_mT6_T7_P12ihipStream_tbENKUlT_T0_E_clISt17integral_constantIbLb0EESW_EEDaSR_SS_EUlSR_E_NS1_11comp_targetILNS1_3genE5ELNS1_11target_archE942ELNS1_3gpuE9ELNS1_3repE0EEENS1_30default_config_static_selectorELNS0_4arch9wavefront6targetE0EEEvT1_.has_indirect_call, 0
	.section	.AMDGPU.csdata,"",@progbits
; Kernel info:
; codeLenInByte = 0
; TotalNumSgprs: 0
; NumVgprs: 0
; ScratchSize: 0
; MemoryBound: 0
; FloatMode: 240
; IeeeMode: 1
; LDSByteSize: 0 bytes/workgroup (compile time only)
; SGPRBlocks: 0
; VGPRBlocks: 0
; NumSGPRsForWavesPerEU: 1
; NumVGPRsForWavesPerEU: 1
; NamedBarCnt: 0
; Occupancy: 16
; WaveLimiterHint : 0
; COMPUTE_PGM_RSRC2:SCRATCH_EN: 0
; COMPUTE_PGM_RSRC2:USER_SGPR: 2
; COMPUTE_PGM_RSRC2:TRAP_HANDLER: 0
; COMPUTE_PGM_RSRC2:TGID_X_EN: 1
; COMPUTE_PGM_RSRC2:TGID_Y_EN: 0
; COMPUTE_PGM_RSRC2:TGID_Z_EN: 0
; COMPUTE_PGM_RSRC2:TIDIG_COMP_CNT: 0
	.section	.text._ZN7rocprim17ROCPRIM_400000_NS6detail17trampoline_kernelINS0_14default_configENS1_27scan_by_key_config_selectorIiiEEZZNS1_16scan_by_key_implILNS1_25lookback_scan_determinismE0ELb0ES3_N6thrust23THRUST_200600_302600_NS10device_ptrIiEESB_SB_iNS9_4plusIvEENS9_8equal_toIvEEiEE10hipError_tPvRmT2_T3_T4_T5_mT6_T7_P12ihipStream_tbENKUlT_T0_E_clISt17integral_constantIbLb0EESW_EEDaSR_SS_EUlSR_E_NS1_11comp_targetILNS1_3genE4ELNS1_11target_archE910ELNS1_3gpuE8ELNS1_3repE0EEENS1_30default_config_static_selectorELNS0_4arch9wavefront6targetE0EEEvT1_,"axG",@progbits,_ZN7rocprim17ROCPRIM_400000_NS6detail17trampoline_kernelINS0_14default_configENS1_27scan_by_key_config_selectorIiiEEZZNS1_16scan_by_key_implILNS1_25lookback_scan_determinismE0ELb0ES3_N6thrust23THRUST_200600_302600_NS10device_ptrIiEESB_SB_iNS9_4plusIvEENS9_8equal_toIvEEiEE10hipError_tPvRmT2_T3_T4_T5_mT6_T7_P12ihipStream_tbENKUlT_T0_E_clISt17integral_constantIbLb0EESW_EEDaSR_SS_EUlSR_E_NS1_11comp_targetILNS1_3genE4ELNS1_11target_archE910ELNS1_3gpuE8ELNS1_3repE0EEENS1_30default_config_static_selectorELNS0_4arch9wavefront6targetE0EEEvT1_,comdat
	.protected	_ZN7rocprim17ROCPRIM_400000_NS6detail17trampoline_kernelINS0_14default_configENS1_27scan_by_key_config_selectorIiiEEZZNS1_16scan_by_key_implILNS1_25lookback_scan_determinismE0ELb0ES3_N6thrust23THRUST_200600_302600_NS10device_ptrIiEESB_SB_iNS9_4plusIvEENS9_8equal_toIvEEiEE10hipError_tPvRmT2_T3_T4_T5_mT6_T7_P12ihipStream_tbENKUlT_T0_E_clISt17integral_constantIbLb0EESW_EEDaSR_SS_EUlSR_E_NS1_11comp_targetILNS1_3genE4ELNS1_11target_archE910ELNS1_3gpuE8ELNS1_3repE0EEENS1_30default_config_static_selectorELNS0_4arch9wavefront6targetE0EEEvT1_ ; -- Begin function _ZN7rocprim17ROCPRIM_400000_NS6detail17trampoline_kernelINS0_14default_configENS1_27scan_by_key_config_selectorIiiEEZZNS1_16scan_by_key_implILNS1_25lookback_scan_determinismE0ELb0ES3_N6thrust23THRUST_200600_302600_NS10device_ptrIiEESB_SB_iNS9_4plusIvEENS9_8equal_toIvEEiEE10hipError_tPvRmT2_T3_T4_T5_mT6_T7_P12ihipStream_tbENKUlT_T0_E_clISt17integral_constantIbLb0EESW_EEDaSR_SS_EUlSR_E_NS1_11comp_targetILNS1_3genE4ELNS1_11target_archE910ELNS1_3gpuE8ELNS1_3repE0EEENS1_30default_config_static_selectorELNS0_4arch9wavefront6targetE0EEEvT1_
	.globl	_ZN7rocprim17ROCPRIM_400000_NS6detail17trampoline_kernelINS0_14default_configENS1_27scan_by_key_config_selectorIiiEEZZNS1_16scan_by_key_implILNS1_25lookback_scan_determinismE0ELb0ES3_N6thrust23THRUST_200600_302600_NS10device_ptrIiEESB_SB_iNS9_4plusIvEENS9_8equal_toIvEEiEE10hipError_tPvRmT2_T3_T4_T5_mT6_T7_P12ihipStream_tbENKUlT_T0_E_clISt17integral_constantIbLb0EESW_EEDaSR_SS_EUlSR_E_NS1_11comp_targetILNS1_3genE4ELNS1_11target_archE910ELNS1_3gpuE8ELNS1_3repE0EEENS1_30default_config_static_selectorELNS0_4arch9wavefront6targetE0EEEvT1_
	.p2align	8
	.type	_ZN7rocprim17ROCPRIM_400000_NS6detail17trampoline_kernelINS0_14default_configENS1_27scan_by_key_config_selectorIiiEEZZNS1_16scan_by_key_implILNS1_25lookback_scan_determinismE0ELb0ES3_N6thrust23THRUST_200600_302600_NS10device_ptrIiEESB_SB_iNS9_4plusIvEENS9_8equal_toIvEEiEE10hipError_tPvRmT2_T3_T4_T5_mT6_T7_P12ihipStream_tbENKUlT_T0_E_clISt17integral_constantIbLb0EESW_EEDaSR_SS_EUlSR_E_NS1_11comp_targetILNS1_3genE4ELNS1_11target_archE910ELNS1_3gpuE8ELNS1_3repE0EEENS1_30default_config_static_selectorELNS0_4arch9wavefront6targetE0EEEvT1_,@function
_ZN7rocprim17ROCPRIM_400000_NS6detail17trampoline_kernelINS0_14default_configENS1_27scan_by_key_config_selectorIiiEEZZNS1_16scan_by_key_implILNS1_25lookback_scan_determinismE0ELb0ES3_N6thrust23THRUST_200600_302600_NS10device_ptrIiEESB_SB_iNS9_4plusIvEENS9_8equal_toIvEEiEE10hipError_tPvRmT2_T3_T4_T5_mT6_T7_P12ihipStream_tbENKUlT_T0_E_clISt17integral_constantIbLb0EESW_EEDaSR_SS_EUlSR_E_NS1_11comp_targetILNS1_3genE4ELNS1_11target_archE910ELNS1_3gpuE8ELNS1_3repE0EEENS1_30default_config_static_selectorELNS0_4arch9wavefront6targetE0EEEvT1_: ; @_ZN7rocprim17ROCPRIM_400000_NS6detail17trampoline_kernelINS0_14default_configENS1_27scan_by_key_config_selectorIiiEEZZNS1_16scan_by_key_implILNS1_25lookback_scan_determinismE0ELb0ES3_N6thrust23THRUST_200600_302600_NS10device_ptrIiEESB_SB_iNS9_4plusIvEENS9_8equal_toIvEEiEE10hipError_tPvRmT2_T3_T4_T5_mT6_T7_P12ihipStream_tbENKUlT_T0_E_clISt17integral_constantIbLb0EESW_EEDaSR_SS_EUlSR_E_NS1_11comp_targetILNS1_3genE4ELNS1_11target_archE910ELNS1_3gpuE8ELNS1_3repE0EEENS1_30default_config_static_selectorELNS0_4arch9wavefront6targetE0EEEvT1_
; %bb.0:
	.section	.rodata,"a",@progbits
	.p2align	6, 0x0
	.amdhsa_kernel _ZN7rocprim17ROCPRIM_400000_NS6detail17trampoline_kernelINS0_14default_configENS1_27scan_by_key_config_selectorIiiEEZZNS1_16scan_by_key_implILNS1_25lookback_scan_determinismE0ELb0ES3_N6thrust23THRUST_200600_302600_NS10device_ptrIiEESB_SB_iNS9_4plusIvEENS9_8equal_toIvEEiEE10hipError_tPvRmT2_T3_T4_T5_mT6_T7_P12ihipStream_tbENKUlT_T0_E_clISt17integral_constantIbLb0EESW_EEDaSR_SS_EUlSR_E_NS1_11comp_targetILNS1_3genE4ELNS1_11target_archE910ELNS1_3gpuE8ELNS1_3repE0EEENS1_30default_config_static_selectorELNS0_4arch9wavefront6targetE0EEEvT1_
		.amdhsa_group_segment_fixed_size 0
		.amdhsa_private_segment_fixed_size 0
		.amdhsa_kernarg_size 112
		.amdhsa_user_sgpr_count 2
		.amdhsa_user_sgpr_dispatch_ptr 0
		.amdhsa_user_sgpr_queue_ptr 0
		.amdhsa_user_sgpr_kernarg_segment_ptr 1
		.amdhsa_user_sgpr_dispatch_id 0
		.amdhsa_user_sgpr_kernarg_preload_length 0
		.amdhsa_user_sgpr_kernarg_preload_offset 0
		.amdhsa_user_sgpr_private_segment_size 0
		.amdhsa_wavefront_size32 1
		.amdhsa_uses_dynamic_stack 0
		.amdhsa_enable_private_segment 0
		.amdhsa_system_sgpr_workgroup_id_x 1
		.amdhsa_system_sgpr_workgroup_id_y 0
		.amdhsa_system_sgpr_workgroup_id_z 0
		.amdhsa_system_sgpr_workgroup_info 0
		.amdhsa_system_vgpr_workitem_id 0
		.amdhsa_next_free_vgpr 1
		.amdhsa_next_free_sgpr 1
		.amdhsa_named_barrier_count 0
		.amdhsa_reserve_vcc 0
		.amdhsa_float_round_mode_32 0
		.amdhsa_float_round_mode_16_64 0
		.amdhsa_float_denorm_mode_32 3
		.amdhsa_float_denorm_mode_16_64 3
		.amdhsa_fp16_overflow 0
		.amdhsa_memory_ordered 1
		.amdhsa_forward_progress 1
		.amdhsa_inst_pref_size 0
		.amdhsa_round_robin_scheduling 0
		.amdhsa_exception_fp_ieee_invalid_op 0
		.amdhsa_exception_fp_denorm_src 0
		.amdhsa_exception_fp_ieee_div_zero 0
		.amdhsa_exception_fp_ieee_overflow 0
		.amdhsa_exception_fp_ieee_underflow 0
		.amdhsa_exception_fp_ieee_inexact 0
		.amdhsa_exception_int_div_zero 0
	.end_amdhsa_kernel
	.section	.text._ZN7rocprim17ROCPRIM_400000_NS6detail17trampoline_kernelINS0_14default_configENS1_27scan_by_key_config_selectorIiiEEZZNS1_16scan_by_key_implILNS1_25lookback_scan_determinismE0ELb0ES3_N6thrust23THRUST_200600_302600_NS10device_ptrIiEESB_SB_iNS9_4plusIvEENS9_8equal_toIvEEiEE10hipError_tPvRmT2_T3_T4_T5_mT6_T7_P12ihipStream_tbENKUlT_T0_E_clISt17integral_constantIbLb0EESW_EEDaSR_SS_EUlSR_E_NS1_11comp_targetILNS1_3genE4ELNS1_11target_archE910ELNS1_3gpuE8ELNS1_3repE0EEENS1_30default_config_static_selectorELNS0_4arch9wavefront6targetE0EEEvT1_,"axG",@progbits,_ZN7rocprim17ROCPRIM_400000_NS6detail17trampoline_kernelINS0_14default_configENS1_27scan_by_key_config_selectorIiiEEZZNS1_16scan_by_key_implILNS1_25lookback_scan_determinismE0ELb0ES3_N6thrust23THRUST_200600_302600_NS10device_ptrIiEESB_SB_iNS9_4plusIvEENS9_8equal_toIvEEiEE10hipError_tPvRmT2_T3_T4_T5_mT6_T7_P12ihipStream_tbENKUlT_T0_E_clISt17integral_constantIbLb0EESW_EEDaSR_SS_EUlSR_E_NS1_11comp_targetILNS1_3genE4ELNS1_11target_archE910ELNS1_3gpuE8ELNS1_3repE0EEENS1_30default_config_static_selectorELNS0_4arch9wavefront6targetE0EEEvT1_,comdat
.Lfunc_end2197:
	.size	_ZN7rocprim17ROCPRIM_400000_NS6detail17trampoline_kernelINS0_14default_configENS1_27scan_by_key_config_selectorIiiEEZZNS1_16scan_by_key_implILNS1_25lookback_scan_determinismE0ELb0ES3_N6thrust23THRUST_200600_302600_NS10device_ptrIiEESB_SB_iNS9_4plusIvEENS9_8equal_toIvEEiEE10hipError_tPvRmT2_T3_T4_T5_mT6_T7_P12ihipStream_tbENKUlT_T0_E_clISt17integral_constantIbLb0EESW_EEDaSR_SS_EUlSR_E_NS1_11comp_targetILNS1_3genE4ELNS1_11target_archE910ELNS1_3gpuE8ELNS1_3repE0EEENS1_30default_config_static_selectorELNS0_4arch9wavefront6targetE0EEEvT1_, .Lfunc_end2197-_ZN7rocprim17ROCPRIM_400000_NS6detail17trampoline_kernelINS0_14default_configENS1_27scan_by_key_config_selectorIiiEEZZNS1_16scan_by_key_implILNS1_25lookback_scan_determinismE0ELb0ES3_N6thrust23THRUST_200600_302600_NS10device_ptrIiEESB_SB_iNS9_4plusIvEENS9_8equal_toIvEEiEE10hipError_tPvRmT2_T3_T4_T5_mT6_T7_P12ihipStream_tbENKUlT_T0_E_clISt17integral_constantIbLb0EESW_EEDaSR_SS_EUlSR_E_NS1_11comp_targetILNS1_3genE4ELNS1_11target_archE910ELNS1_3gpuE8ELNS1_3repE0EEENS1_30default_config_static_selectorELNS0_4arch9wavefront6targetE0EEEvT1_
                                        ; -- End function
	.set _ZN7rocprim17ROCPRIM_400000_NS6detail17trampoline_kernelINS0_14default_configENS1_27scan_by_key_config_selectorIiiEEZZNS1_16scan_by_key_implILNS1_25lookback_scan_determinismE0ELb0ES3_N6thrust23THRUST_200600_302600_NS10device_ptrIiEESB_SB_iNS9_4plusIvEENS9_8equal_toIvEEiEE10hipError_tPvRmT2_T3_T4_T5_mT6_T7_P12ihipStream_tbENKUlT_T0_E_clISt17integral_constantIbLb0EESW_EEDaSR_SS_EUlSR_E_NS1_11comp_targetILNS1_3genE4ELNS1_11target_archE910ELNS1_3gpuE8ELNS1_3repE0EEENS1_30default_config_static_selectorELNS0_4arch9wavefront6targetE0EEEvT1_.num_vgpr, 0
	.set _ZN7rocprim17ROCPRIM_400000_NS6detail17trampoline_kernelINS0_14default_configENS1_27scan_by_key_config_selectorIiiEEZZNS1_16scan_by_key_implILNS1_25lookback_scan_determinismE0ELb0ES3_N6thrust23THRUST_200600_302600_NS10device_ptrIiEESB_SB_iNS9_4plusIvEENS9_8equal_toIvEEiEE10hipError_tPvRmT2_T3_T4_T5_mT6_T7_P12ihipStream_tbENKUlT_T0_E_clISt17integral_constantIbLb0EESW_EEDaSR_SS_EUlSR_E_NS1_11comp_targetILNS1_3genE4ELNS1_11target_archE910ELNS1_3gpuE8ELNS1_3repE0EEENS1_30default_config_static_selectorELNS0_4arch9wavefront6targetE0EEEvT1_.num_agpr, 0
	.set _ZN7rocprim17ROCPRIM_400000_NS6detail17trampoline_kernelINS0_14default_configENS1_27scan_by_key_config_selectorIiiEEZZNS1_16scan_by_key_implILNS1_25lookback_scan_determinismE0ELb0ES3_N6thrust23THRUST_200600_302600_NS10device_ptrIiEESB_SB_iNS9_4plusIvEENS9_8equal_toIvEEiEE10hipError_tPvRmT2_T3_T4_T5_mT6_T7_P12ihipStream_tbENKUlT_T0_E_clISt17integral_constantIbLb0EESW_EEDaSR_SS_EUlSR_E_NS1_11comp_targetILNS1_3genE4ELNS1_11target_archE910ELNS1_3gpuE8ELNS1_3repE0EEENS1_30default_config_static_selectorELNS0_4arch9wavefront6targetE0EEEvT1_.numbered_sgpr, 0
	.set _ZN7rocprim17ROCPRIM_400000_NS6detail17trampoline_kernelINS0_14default_configENS1_27scan_by_key_config_selectorIiiEEZZNS1_16scan_by_key_implILNS1_25lookback_scan_determinismE0ELb0ES3_N6thrust23THRUST_200600_302600_NS10device_ptrIiEESB_SB_iNS9_4plusIvEENS9_8equal_toIvEEiEE10hipError_tPvRmT2_T3_T4_T5_mT6_T7_P12ihipStream_tbENKUlT_T0_E_clISt17integral_constantIbLb0EESW_EEDaSR_SS_EUlSR_E_NS1_11comp_targetILNS1_3genE4ELNS1_11target_archE910ELNS1_3gpuE8ELNS1_3repE0EEENS1_30default_config_static_selectorELNS0_4arch9wavefront6targetE0EEEvT1_.num_named_barrier, 0
	.set _ZN7rocprim17ROCPRIM_400000_NS6detail17trampoline_kernelINS0_14default_configENS1_27scan_by_key_config_selectorIiiEEZZNS1_16scan_by_key_implILNS1_25lookback_scan_determinismE0ELb0ES3_N6thrust23THRUST_200600_302600_NS10device_ptrIiEESB_SB_iNS9_4plusIvEENS9_8equal_toIvEEiEE10hipError_tPvRmT2_T3_T4_T5_mT6_T7_P12ihipStream_tbENKUlT_T0_E_clISt17integral_constantIbLb0EESW_EEDaSR_SS_EUlSR_E_NS1_11comp_targetILNS1_3genE4ELNS1_11target_archE910ELNS1_3gpuE8ELNS1_3repE0EEENS1_30default_config_static_selectorELNS0_4arch9wavefront6targetE0EEEvT1_.private_seg_size, 0
	.set _ZN7rocprim17ROCPRIM_400000_NS6detail17trampoline_kernelINS0_14default_configENS1_27scan_by_key_config_selectorIiiEEZZNS1_16scan_by_key_implILNS1_25lookback_scan_determinismE0ELb0ES3_N6thrust23THRUST_200600_302600_NS10device_ptrIiEESB_SB_iNS9_4plusIvEENS9_8equal_toIvEEiEE10hipError_tPvRmT2_T3_T4_T5_mT6_T7_P12ihipStream_tbENKUlT_T0_E_clISt17integral_constantIbLb0EESW_EEDaSR_SS_EUlSR_E_NS1_11comp_targetILNS1_3genE4ELNS1_11target_archE910ELNS1_3gpuE8ELNS1_3repE0EEENS1_30default_config_static_selectorELNS0_4arch9wavefront6targetE0EEEvT1_.uses_vcc, 0
	.set _ZN7rocprim17ROCPRIM_400000_NS6detail17trampoline_kernelINS0_14default_configENS1_27scan_by_key_config_selectorIiiEEZZNS1_16scan_by_key_implILNS1_25lookback_scan_determinismE0ELb0ES3_N6thrust23THRUST_200600_302600_NS10device_ptrIiEESB_SB_iNS9_4plusIvEENS9_8equal_toIvEEiEE10hipError_tPvRmT2_T3_T4_T5_mT6_T7_P12ihipStream_tbENKUlT_T0_E_clISt17integral_constantIbLb0EESW_EEDaSR_SS_EUlSR_E_NS1_11comp_targetILNS1_3genE4ELNS1_11target_archE910ELNS1_3gpuE8ELNS1_3repE0EEENS1_30default_config_static_selectorELNS0_4arch9wavefront6targetE0EEEvT1_.uses_flat_scratch, 0
	.set _ZN7rocprim17ROCPRIM_400000_NS6detail17trampoline_kernelINS0_14default_configENS1_27scan_by_key_config_selectorIiiEEZZNS1_16scan_by_key_implILNS1_25lookback_scan_determinismE0ELb0ES3_N6thrust23THRUST_200600_302600_NS10device_ptrIiEESB_SB_iNS9_4plusIvEENS9_8equal_toIvEEiEE10hipError_tPvRmT2_T3_T4_T5_mT6_T7_P12ihipStream_tbENKUlT_T0_E_clISt17integral_constantIbLb0EESW_EEDaSR_SS_EUlSR_E_NS1_11comp_targetILNS1_3genE4ELNS1_11target_archE910ELNS1_3gpuE8ELNS1_3repE0EEENS1_30default_config_static_selectorELNS0_4arch9wavefront6targetE0EEEvT1_.has_dyn_sized_stack, 0
	.set _ZN7rocprim17ROCPRIM_400000_NS6detail17trampoline_kernelINS0_14default_configENS1_27scan_by_key_config_selectorIiiEEZZNS1_16scan_by_key_implILNS1_25lookback_scan_determinismE0ELb0ES3_N6thrust23THRUST_200600_302600_NS10device_ptrIiEESB_SB_iNS9_4plusIvEENS9_8equal_toIvEEiEE10hipError_tPvRmT2_T3_T4_T5_mT6_T7_P12ihipStream_tbENKUlT_T0_E_clISt17integral_constantIbLb0EESW_EEDaSR_SS_EUlSR_E_NS1_11comp_targetILNS1_3genE4ELNS1_11target_archE910ELNS1_3gpuE8ELNS1_3repE0EEENS1_30default_config_static_selectorELNS0_4arch9wavefront6targetE0EEEvT1_.has_recursion, 0
	.set _ZN7rocprim17ROCPRIM_400000_NS6detail17trampoline_kernelINS0_14default_configENS1_27scan_by_key_config_selectorIiiEEZZNS1_16scan_by_key_implILNS1_25lookback_scan_determinismE0ELb0ES3_N6thrust23THRUST_200600_302600_NS10device_ptrIiEESB_SB_iNS9_4plusIvEENS9_8equal_toIvEEiEE10hipError_tPvRmT2_T3_T4_T5_mT6_T7_P12ihipStream_tbENKUlT_T0_E_clISt17integral_constantIbLb0EESW_EEDaSR_SS_EUlSR_E_NS1_11comp_targetILNS1_3genE4ELNS1_11target_archE910ELNS1_3gpuE8ELNS1_3repE0EEENS1_30default_config_static_selectorELNS0_4arch9wavefront6targetE0EEEvT1_.has_indirect_call, 0
	.section	.AMDGPU.csdata,"",@progbits
; Kernel info:
; codeLenInByte = 0
; TotalNumSgprs: 0
; NumVgprs: 0
; ScratchSize: 0
; MemoryBound: 0
; FloatMode: 240
; IeeeMode: 1
; LDSByteSize: 0 bytes/workgroup (compile time only)
; SGPRBlocks: 0
; VGPRBlocks: 0
; NumSGPRsForWavesPerEU: 1
; NumVGPRsForWavesPerEU: 1
; NamedBarCnt: 0
; Occupancy: 16
; WaveLimiterHint : 0
; COMPUTE_PGM_RSRC2:SCRATCH_EN: 0
; COMPUTE_PGM_RSRC2:USER_SGPR: 2
; COMPUTE_PGM_RSRC2:TRAP_HANDLER: 0
; COMPUTE_PGM_RSRC2:TGID_X_EN: 1
; COMPUTE_PGM_RSRC2:TGID_Y_EN: 0
; COMPUTE_PGM_RSRC2:TGID_Z_EN: 0
; COMPUTE_PGM_RSRC2:TIDIG_COMP_CNT: 0
	.section	.text._ZN7rocprim17ROCPRIM_400000_NS6detail17trampoline_kernelINS0_14default_configENS1_27scan_by_key_config_selectorIiiEEZZNS1_16scan_by_key_implILNS1_25lookback_scan_determinismE0ELb0ES3_N6thrust23THRUST_200600_302600_NS10device_ptrIiEESB_SB_iNS9_4plusIvEENS9_8equal_toIvEEiEE10hipError_tPvRmT2_T3_T4_T5_mT6_T7_P12ihipStream_tbENKUlT_T0_E_clISt17integral_constantIbLb0EESW_EEDaSR_SS_EUlSR_E_NS1_11comp_targetILNS1_3genE3ELNS1_11target_archE908ELNS1_3gpuE7ELNS1_3repE0EEENS1_30default_config_static_selectorELNS0_4arch9wavefront6targetE0EEEvT1_,"axG",@progbits,_ZN7rocprim17ROCPRIM_400000_NS6detail17trampoline_kernelINS0_14default_configENS1_27scan_by_key_config_selectorIiiEEZZNS1_16scan_by_key_implILNS1_25lookback_scan_determinismE0ELb0ES3_N6thrust23THRUST_200600_302600_NS10device_ptrIiEESB_SB_iNS9_4plusIvEENS9_8equal_toIvEEiEE10hipError_tPvRmT2_T3_T4_T5_mT6_T7_P12ihipStream_tbENKUlT_T0_E_clISt17integral_constantIbLb0EESW_EEDaSR_SS_EUlSR_E_NS1_11comp_targetILNS1_3genE3ELNS1_11target_archE908ELNS1_3gpuE7ELNS1_3repE0EEENS1_30default_config_static_selectorELNS0_4arch9wavefront6targetE0EEEvT1_,comdat
	.protected	_ZN7rocprim17ROCPRIM_400000_NS6detail17trampoline_kernelINS0_14default_configENS1_27scan_by_key_config_selectorIiiEEZZNS1_16scan_by_key_implILNS1_25lookback_scan_determinismE0ELb0ES3_N6thrust23THRUST_200600_302600_NS10device_ptrIiEESB_SB_iNS9_4plusIvEENS9_8equal_toIvEEiEE10hipError_tPvRmT2_T3_T4_T5_mT6_T7_P12ihipStream_tbENKUlT_T0_E_clISt17integral_constantIbLb0EESW_EEDaSR_SS_EUlSR_E_NS1_11comp_targetILNS1_3genE3ELNS1_11target_archE908ELNS1_3gpuE7ELNS1_3repE0EEENS1_30default_config_static_selectorELNS0_4arch9wavefront6targetE0EEEvT1_ ; -- Begin function _ZN7rocprim17ROCPRIM_400000_NS6detail17trampoline_kernelINS0_14default_configENS1_27scan_by_key_config_selectorIiiEEZZNS1_16scan_by_key_implILNS1_25lookback_scan_determinismE0ELb0ES3_N6thrust23THRUST_200600_302600_NS10device_ptrIiEESB_SB_iNS9_4plusIvEENS9_8equal_toIvEEiEE10hipError_tPvRmT2_T3_T4_T5_mT6_T7_P12ihipStream_tbENKUlT_T0_E_clISt17integral_constantIbLb0EESW_EEDaSR_SS_EUlSR_E_NS1_11comp_targetILNS1_3genE3ELNS1_11target_archE908ELNS1_3gpuE7ELNS1_3repE0EEENS1_30default_config_static_selectorELNS0_4arch9wavefront6targetE0EEEvT1_
	.globl	_ZN7rocprim17ROCPRIM_400000_NS6detail17trampoline_kernelINS0_14default_configENS1_27scan_by_key_config_selectorIiiEEZZNS1_16scan_by_key_implILNS1_25lookback_scan_determinismE0ELb0ES3_N6thrust23THRUST_200600_302600_NS10device_ptrIiEESB_SB_iNS9_4plusIvEENS9_8equal_toIvEEiEE10hipError_tPvRmT2_T3_T4_T5_mT6_T7_P12ihipStream_tbENKUlT_T0_E_clISt17integral_constantIbLb0EESW_EEDaSR_SS_EUlSR_E_NS1_11comp_targetILNS1_3genE3ELNS1_11target_archE908ELNS1_3gpuE7ELNS1_3repE0EEENS1_30default_config_static_selectorELNS0_4arch9wavefront6targetE0EEEvT1_
	.p2align	8
	.type	_ZN7rocprim17ROCPRIM_400000_NS6detail17trampoline_kernelINS0_14default_configENS1_27scan_by_key_config_selectorIiiEEZZNS1_16scan_by_key_implILNS1_25lookback_scan_determinismE0ELb0ES3_N6thrust23THRUST_200600_302600_NS10device_ptrIiEESB_SB_iNS9_4plusIvEENS9_8equal_toIvEEiEE10hipError_tPvRmT2_T3_T4_T5_mT6_T7_P12ihipStream_tbENKUlT_T0_E_clISt17integral_constantIbLb0EESW_EEDaSR_SS_EUlSR_E_NS1_11comp_targetILNS1_3genE3ELNS1_11target_archE908ELNS1_3gpuE7ELNS1_3repE0EEENS1_30default_config_static_selectorELNS0_4arch9wavefront6targetE0EEEvT1_,@function
_ZN7rocprim17ROCPRIM_400000_NS6detail17trampoline_kernelINS0_14default_configENS1_27scan_by_key_config_selectorIiiEEZZNS1_16scan_by_key_implILNS1_25lookback_scan_determinismE0ELb0ES3_N6thrust23THRUST_200600_302600_NS10device_ptrIiEESB_SB_iNS9_4plusIvEENS9_8equal_toIvEEiEE10hipError_tPvRmT2_T3_T4_T5_mT6_T7_P12ihipStream_tbENKUlT_T0_E_clISt17integral_constantIbLb0EESW_EEDaSR_SS_EUlSR_E_NS1_11comp_targetILNS1_3genE3ELNS1_11target_archE908ELNS1_3gpuE7ELNS1_3repE0EEENS1_30default_config_static_selectorELNS0_4arch9wavefront6targetE0EEEvT1_: ; @_ZN7rocprim17ROCPRIM_400000_NS6detail17trampoline_kernelINS0_14default_configENS1_27scan_by_key_config_selectorIiiEEZZNS1_16scan_by_key_implILNS1_25lookback_scan_determinismE0ELb0ES3_N6thrust23THRUST_200600_302600_NS10device_ptrIiEESB_SB_iNS9_4plusIvEENS9_8equal_toIvEEiEE10hipError_tPvRmT2_T3_T4_T5_mT6_T7_P12ihipStream_tbENKUlT_T0_E_clISt17integral_constantIbLb0EESW_EEDaSR_SS_EUlSR_E_NS1_11comp_targetILNS1_3genE3ELNS1_11target_archE908ELNS1_3gpuE7ELNS1_3repE0EEENS1_30default_config_static_selectorELNS0_4arch9wavefront6targetE0EEEvT1_
; %bb.0:
	.section	.rodata,"a",@progbits
	.p2align	6, 0x0
	.amdhsa_kernel _ZN7rocprim17ROCPRIM_400000_NS6detail17trampoline_kernelINS0_14default_configENS1_27scan_by_key_config_selectorIiiEEZZNS1_16scan_by_key_implILNS1_25lookback_scan_determinismE0ELb0ES3_N6thrust23THRUST_200600_302600_NS10device_ptrIiEESB_SB_iNS9_4plusIvEENS9_8equal_toIvEEiEE10hipError_tPvRmT2_T3_T4_T5_mT6_T7_P12ihipStream_tbENKUlT_T0_E_clISt17integral_constantIbLb0EESW_EEDaSR_SS_EUlSR_E_NS1_11comp_targetILNS1_3genE3ELNS1_11target_archE908ELNS1_3gpuE7ELNS1_3repE0EEENS1_30default_config_static_selectorELNS0_4arch9wavefront6targetE0EEEvT1_
		.amdhsa_group_segment_fixed_size 0
		.amdhsa_private_segment_fixed_size 0
		.amdhsa_kernarg_size 112
		.amdhsa_user_sgpr_count 2
		.amdhsa_user_sgpr_dispatch_ptr 0
		.amdhsa_user_sgpr_queue_ptr 0
		.amdhsa_user_sgpr_kernarg_segment_ptr 1
		.amdhsa_user_sgpr_dispatch_id 0
		.amdhsa_user_sgpr_kernarg_preload_length 0
		.amdhsa_user_sgpr_kernarg_preload_offset 0
		.amdhsa_user_sgpr_private_segment_size 0
		.amdhsa_wavefront_size32 1
		.amdhsa_uses_dynamic_stack 0
		.amdhsa_enable_private_segment 0
		.amdhsa_system_sgpr_workgroup_id_x 1
		.amdhsa_system_sgpr_workgroup_id_y 0
		.amdhsa_system_sgpr_workgroup_id_z 0
		.amdhsa_system_sgpr_workgroup_info 0
		.amdhsa_system_vgpr_workitem_id 0
		.amdhsa_next_free_vgpr 1
		.amdhsa_next_free_sgpr 1
		.amdhsa_named_barrier_count 0
		.amdhsa_reserve_vcc 0
		.amdhsa_float_round_mode_32 0
		.amdhsa_float_round_mode_16_64 0
		.amdhsa_float_denorm_mode_32 3
		.amdhsa_float_denorm_mode_16_64 3
		.amdhsa_fp16_overflow 0
		.amdhsa_memory_ordered 1
		.amdhsa_forward_progress 1
		.amdhsa_inst_pref_size 0
		.amdhsa_round_robin_scheduling 0
		.amdhsa_exception_fp_ieee_invalid_op 0
		.amdhsa_exception_fp_denorm_src 0
		.amdhsa_exception_fp_ieee_div_zero 0
		.amdhsa_exception_fp_ieee_overflow 0
		.amdhsa_exception_fp_ieee_underflow 0
		.amdhsa_exception_fp_ieee_inexact 0
		.amdhsa_exception_int_div_zero 0
	.end_amdhsa_kernel
	.section	.text._ZN7rocprim17ROCPRIM_400000_NS6detail17trampoline_kernelINS0_14default_configENS1_27scan_by_key_config_selectorIiiEEZZNS1_16scan_by_key_implILNS1_25lookback_scan_determinismE0ELb0ES3_N6thrust23THRUST_200600_302600_NS10device_ptrIiEESB_SB_iNS9_4plusIvEENS9_8equal_toIvEEiEE10hipError_tPvRmT2_T3_T4_T5_mT6_T7_P12ihipStream_tbENKUlT_T0_E_clISt17integral_constantIbLb0EESW_EEDaSR_SS_EUlSR_E_NS1_11comp_targetILNS1_3genE3ELNS1_11target_archE908ELNS1_3gpuE7ELNS1_3repE0EEENS1_30default_config_static_selectorELNS0_4arch9wavefront6targetE0EEEvT1_,"axG",@progbits,_ZN7rocprim17ROCPRIM_400000_NS6detail17trampoline_kernelINS0_14default_configENS1_27scan_by_key_config_selectorIiiEEZZNS1_16scan_by_key_implILNS1_25lookback_scan_determinismE0ELb0ES3_N6thrust23THRUST_200600_302600_NS10device_ptrIiEESB_SB_iNS9_4plusIvEENS9_8equal_toIvEEiEE10hipError_tPvRmT2_T3_T4_T5_mT6_T7_P12ihipStream_tbENKUlT_T0_E_clISt17integral_constantIbLb0EESW_EEDaSR_SS_EUlSR_E_NS1_11comp_targetILNS1_3genE3ELNS1_11target_archE908ELNS1_3gpuE7ELNS1_3repE0EEENS1_30default_config_static_selectorELNS0_4arch9wavefront6targetE0EEEvT1_,comdat
.Lfunc_end2198:
	.size	_ZN7rocprim17ROCPRIM_400000_NS6detail17trampoline_kernelINS0_14default_configENS1_27scan_by_key_config_selectorIiiEEZZNS1_16scan_by_key_implILNS1_25lookback_scan_determinismE0ELb0ES3_N6thrust23THRUST_200600_302600_NS10device_ptrIiEESB_SB_iNS9_4plusIvEENS9_8equal_toIvEEiEE10hipError_tPvRmT2_T3_T4_T5_mT6_T7_P12ihipStream_tbENKUlT_T0_E_clISt17integral_constantIbLb0EESW_EEDaSR_SS_EUlSR_E_NS1_11comp_targetILNS1_3genE3ELNS1_11target_archE908ELNS1_3gpuE7ELNS1_3repE0EEENS1_30default_config_static_selectorELNS0_4arch9wavefront6targetE0EEEvT1_, .Lfunc_end2198-_ZN7rocprim17ROCPRIM_400000_NS6detail17trampoline_kernelINS0_14default_configENS1_27scan_by_key_config_selectorIiiEEZZNS1_16scan_by_key_implILNS1_25lookback_scan_determinismE0ELb0ES3_N6thrust23THRUST_200600_302600_NS10device_ptrIiEESB_SB_iNS9_4plusIvEENS9_8equal_toIvEEiEE10hipError_tPvRmT2_T3_T4_T5_mT6_T7_P12ihipStream_tbENKUlT_T0_E_clISt17integral_constantIbLb0EESW_EEDaSR_SS_EUlSR_E_NS1_11comp_targetILNS1_3genE3ELNS1_11target_archE908ELNS1_3gpuE7ELNS1_3repE0EEENS1_30default_config_static_selectorELNS0_4arch9wavefront6targetE0EEEvT1_
                                        ; -- End function
	.set _ZN7rocprim17ROCPRIM_400000_NS6detail17trampoline_kernelINS0_14default_configENS1_27scan_by_key_config_selectorIiiEEZZNS1_16scan_by_key_implILNS1_25lookback_scan_determinismE0ELb0ES3_N6thrust23THRUST_200600_302600_NS10device_ptrIiEESB_SB_iNS9_4plusIvEENS9_8equal_toIvEEiEE10hipError_tPvRmT2_T3_T4_T5_mT6_T7_P12ihipStream_tbENKUlT_T0_E_clISt17integral_constantIbLb0EESW_EEDaSR_SS_EUlSR_E_NS1_11comp_targetILNS1_3genE3ELNS1_11target_archE908ELNS1_3gpuE7ELNS1_3repE0EEENS1_30default_config_static_selectorELNS0_4arch9wavefront6targetE0EEEvT1_.num_vgpr, 0
	.set _ZN7rocprim17ROCPRIM_400000_NS6detail17trampoline_kernelINS0_14default_configENS1_27scan_by_key_config_selectorIiiEEZZNS1_16scan_by_key_implILNS1_25lookback_scan_determinismE0ELb0ES3_N6thrust23THRUST_200600_302600_NS10device_ptrIiEESB_SB_iNS9_4plusIvEENS9_8equal_toIvEEiEE10hipError_tPvRmT2_T3_T4_T5_mT6_T7_P12ihipStream_tbENKUlT_T0_E_clISt17integral_constantIbLb0EESW_EEDaSR_SS_EUlSR_E_NS1_11comp_targetILNS1_3genE3ELNS1_11target_archE908ELNS1_3gpuE7ELNS1_3repE0EEENS1_30default_config_static_selectorELNS0_4arch9wavefront6targetE0EEEvT1_.num_agpr, 0
	.set _ZN7rocprim17ROCPRIM_400000_NS6detail17trampoline_kernelINS0_14default_configENS1_27scan_by_key_config_selectorIiiEEZZNS1_16scan_by_key_implILNS1_25lookback_scan_determinismE0ELb0ES3_N6thrust23THRUST_200600_302600_NS10device_ptrIiEESB_SB_iNS9_4plusIvEENS9_8equal_toIvEEiEE10hipError_tPvRmT2_T3_T4_T5_mT6_T7_P12ihipStream_tbENKUlT_T0_E_clISt17integral_constantIbLb0EESW_EEDaSR_SS_EUlSR_E_NS1_11comp_targetILNS1_3genE3ELNS1_11target_archE908ELNS1_3gpuE7ELNS1_3repE0EEENS1_30default_config_static_selectorELNS0_4arch9wavefront6targetE0EEEvT1_.numbered_sgpr, 0
	.set _ZN7rocprim17ROCPRIM_400000_NS6detail17trampoline_kernelINS0_14default_configENS1_27scan_by_key_config_selectorIiiEEZZNS1_16scan_by_key_implILNS1_25lookback_scan_determinismE0ELb0ES3_N6thrust23THRUST_200600_302600_NS10device_ptrIiEESB_SB_iNS9_4plusIvEENS9_8equal_toIvEEiEE10hipError_tPvRmT2_T3_T4_T5_mT6_T7_P12ihipStream_tbENKUlT_T0_E_clISt17integral_constantIbLb0EESW_EEDaSR_SS_EUlSR_E_NS1_11comp_targetILNS1_3genE3ELNS1_11target_archE908ELNS1_3gpuE7ELNS1_3repE0EEENS1_30default_config_static_selectorELNS0_4arch9wavefront6targetE0EEEvT1_.num_named_barrier, 0
	.set _ZN7rocprim17ROCPRIM_400000_NS6detail17trampoline_kernelINS0_14default_configENS1_27scan_by_key_config_selectorIiiEEZZNS1_16scan_by_key_implILNS1_25lookback_scan_determinismE0ELb0ES3_N6thrust23THRUST_200600_302600_NS10device_ptrIiEESB_SB_iNS9_4plusIvEENS9_8equal_toIvEEiEE10hipError_tPvRmT2_T3_T4_T5_mT6_T7_P12ihipStream_tbENKUlT_T0_E_clISt17integral_constantIbLb0EESW_EEDaSR_SS_EUlSR_E_NS1_11comp_targetILNS1_3genE3ELNS1_11target_archE908ELNS1_3gpuE7ELNS1_3repE0EEENS1_30default_config_static_selectorELNS0_4arch9wavefront6targetE0EEEvT1_.private_seg_size, 0
	.set _ZN7rocprim17ROCPRIM_400000_NS6detail17trampoline_kernelINS0_14default_configENS1_27scan_by_key_config_selectorIiiEEZZNS1_16scan_by_key_implILNS1_25lookback_scan_determinismE0ELb0ES3_N6thrust23THRUST_200600_302600_NS10device_ptrIiEESB_SB_iNS9_4plusIvEENS9_8equal_toIvEEiEE10hipError_tPvRmT2_T3_T4_T5_mT6_T7_P12ihipStream_tbENKUlT_T0_E_clISt17integral_constantIbLb0EESW_EEDaSR_SS_EUlSR_E_NS1_11comp_targetILNS1_3genE3ELNS1_11target_archE908ELNS1_3gpuE7ELNS1_3repE0EEENS1_30default_config_static_selectorELNS0_4arch9wavefront6targetE0EEEvT1_.uses_vcc, 0
	.set _ZN7rocprim17ROCPRIM_400000_NS6detail17trampoline_kernelINS0_14default_configENS1_27scan_by_key_config_selectorIiiEEZZNS1_16scan_by_key_implILNS1_25lookback_scan_determinismE0ELb0ES3_N6thrust23THRUST_200600_302600_NS10device_ptrIiEESB_SB_iNS9_4plusIvEENS9_8equal_toIvEEiEE10hipError_tPvRmT2_T3_T4_T5_mT6_T7_P12ihipStream_tbENKUlT_T0_E_clISt17integral_constantIbLb0EESW_EEDaSR_SS_EUlSR_E_NS1_11comp_targetILNS1_3genE3ELNS1_11target_archE908ELNS1_3gpuE7ELNS1_3repE0EEENS1_30default_config_static_selectorELNS0_4arch9wavefront6targetE0EEEvT1_.uses_flat_scratch, 0
	.set _ZN7rocprim17ROCPRIM_400000_NS6detail17trampoline_kernelINS0_14default_configENS1_27scan_by_key_config_selectorIiiEEZZNS1_16scan_by_key_implILNS1_25lookback_scan_determinismE0ELb0ES3_N6thrust23THRUST_200600_302600_NS10device_ptrIiEESB_SB_iNS9_4plusIvEENS9_8equal_toIvEEiEE10hipError_tPvRmT2_T3_T4_T5_mT6_T7_P12ihipStream_tbENKUlT_T0_E_clISt17integral_constantIbLb0EESW_EEDaSR_SS_EUlSR_E_NS1_11comp_targetILNS1_3genE3ELNS1_11target_archE908ELNS1_3gpuE7ELNS1_3repE0EEENS1_30default_config_static_selectorELNS0_4arch9wavefront6targetE0EEEvT1_.has_dyn_sized_stack, 0
	.set _ZN7rocprim17ROCPRIM_400000_NS6detail17trampoline_kernelINS0_14default_configENS1_27scan_by_key_config_selectorIiiEEZZNS1_16scan_by_key_implILNS1_25lookback_scan_determinismE0ELb0ES3_N6thrust23THRUST_200600_302600_NS10device_ptrIiEESB_SB_iNS9_4plusIvEENS9_8equal_toIvEEiEE10hipError_tPvRmT2_T3_T4_T5_mT6_T7_P12ihipStream_tbENKUlT_T0_E_clISt17integral_constantIbLb0EESW_EEDaSR_SS_EUlSR_E_NS1_11comp_targetILNS1_3genE3ELNS1_11target_archE908ELNS1_3gpuE7ELNS1_3repE0EEENS1_30default_config_static_selectorELNS0_4arch9wavefront6targetE0EEEvT1_.has_recursion, 0
	.set _ZN7rocprim17ROCPRIM_400000_NS6detail17trampoline_kernelINS0_14default_configENS1_27scan_by_key_config_selectorIiiEEZZNS1_16scan_by_key_implILNS1_25lookback_scan_determinismE0ELb0ES3_N6thrust23THRUST_200600_302600_NS10device_ptrIiEESB_SB_iNS9_4plusIvEENS9_8equal_toIvEEiEE10hipError_tPvRmT2_T3_T4_T5_mT6_T7_P12ihipStream_tbENKUlT_T0_E_clISt17integral_constantIbLb0EESW_EEDaSR_SS_EUlSR_E_NS1_11comp_targetILNS1_3genE3ELNS1_11target_archE908ELNS1_3gpuE7ELNS1_3repE0EEENS1_30default_config_static_selectorELNS0_4arch9wavefront6targetE0EEEvT1_.has_indirect_call, 0
	.section	.AMDGPU.csdata,"",@progbits
; Kernel info:
; codeLenInByte = 0
; TotalNumSgprs: 0
; NumVgprs: 0
; ScratchSize: 0
; MemoryBound: 0
; FloatMode: 240
; IeeeMode: 1
; LDSByteSize: 0 bytes/workgroup (compile time only)
; SGPRBlocks: 0
; VGPRBlocks: 0
; NumSGPRsForWavesPerEU: 1
; NumVGPRsForWavesPerEU: 1
; NamedBarCnt: 0
; Occupancy: 16
; WaveLimiterHint : 0
; COMPUTE_PGM_RSRC2:SCRATCH_EN: 0
; COMPUTE_PGM_RSRC2:USER_SGPR: 2
; COMPUTE_PGM_RSRC2:TRAP_HANDLER: 0
; COMPUTE_PGM_RSRC2:TGID_X_EN: 1
; COMPUTE_PGM_RSRC2:TGID_Y_EN: 0
; COMPUTE_PGM_RSRC2:TGID_Z_EN: 0
; COMPUTE_PGM_RSRC2:TIDIG_COMP_CNT: 0
	.section	.text._ZN7rocprim17ROCPRIM_400000_NS6detail17trampoline_kernelINS0_14default_configENS1_27scan_by_key_config_selectorIiiEEZZNS1_16scan_by_key_implILNS1_25lookback_scan_determinismE0ELb0ES3_N6thrust23THRUST_200600_302600_NS10device_ptrIiEESB_SB_iNS9_4plusIvEENS9_8equal_toIvEEiEE10hipError_tPvRmT2_T3_T4_T5_mT6_T7_P12ihipStream_tbENKUlT_T0_E_clISt17integral_constantIbLb0EESW_EEDaSR_SS_EUlSR_E_NS1_11comp_targetILNS1_3genE2ELNS1_11target_archE906ELNS1_3gpuE6ELNS1_3repE0EEENS1_30default_config_static_selectorELNS0_4arch9wavefront6targetE0EEEvT1_,"axG",@progbits,_ZN7rocprim17ROCPRIM_400000_NS6detail17trampoline_kernelINS0_14default_configENS1_27scan_by_key_config_selectorIiiEEZZNS1_16scan_by_key_implILNS1_25lookback_scan_determinismE0ELb0ES3_N6thrust23THRUST_200600_302600_NS10device_ptrIiEESB_SB_iNS9_4plusIvEENS9_8equal_toIvEEiEE10hipError_tPvRmT2_T3_T4_T5_mT6_T7_P12ihipStream_tbENKUlT_T0_E_clISt17integral_constantIbLb0EESW_EEDaSR_SS_EUlSR_E_NS1_11comp_targetILNS1_3genE2ELNS1_11target_archE906ELNS1_3gpuE6ELNS1_3repE0EEENS1_30default_config_static_selectorELNS0_4arch9wavefront6targetE0EEEvT1_,comdat
	.protected	_ZN7rocprim17ROCPRIM_400000_NS6detail17trampoline_kernelINS0_14default_configENS1_27scan_by_key_config_selectorIiiEEZZNS1_16scan_by_key_implILNS1_25lookback_scan_determinismE0ELb0ES3_N6thrust23THRUST_200600_302600_NS10device_ptrIiEESB_SB_iNS9_4plusIvEENS9_8equal_toIvEEiEE10hipError_tPvRmT2_T3_T4_T5_mT6_T7_P12ihipStream_tbENKUlT_T0_E_clISt17integral_constantIbLb0EESW_EEDaSR_SS_EUlSR_E_NS1_11comp_targetILNS1_3genE2ELNS1_11target_archE906ELNS1_3gpuE6ELNS1_3repE0EEENS1_30default_config_static_selectorELNS0_4arch9wavefront6targetE0EEEvT1_ ; -- Begin function _ZN7rocprim17ROCPRIM_400000_NS6detail17trampoline_kernelINS0_14default_configENS1_27scan_by_key_config_selectorIiiEEZZNS1_16scan_by_key_implILNS1_25lookback_scan_determinismE0ELb0ES3_N6thrust23THRUST_200600_302600_NS10device_ptrIiEESB_SB_iNS9_4plusIvEENS9_8equal_toIvEEiEE10hipError_tPvRmT2_T3_T4_T5_mT6_T7_P12ihipStream_tbENKUlT_T0_E_clISt17integral_constantIbLb0EESW_EEDaSR_SS_EUlSR_E_NS1_11comp_targetILNS1_3genE2ELNS1_11target_archE906ELNS1_3gpuE6ELNS1_3repE0EEENS1_30default_config_static_selectorELNS0_4arch9wavefront6targetE0EEEvT1_
	.globl	_ZN7rocprim17ROCPRIM_400000_NS6detail17trampoline_kernelINS0_14default_configENS1_27scan_by_key_config_selectorIiiEEZZNS1_16scan_by_key_implILNS1_25lookback_scan_determinismE0ELb0ES3_N6thrust23THRUST_200600_302600_NS10device_ptrIiEESB_SB_iNS9_4plusIvEENS9_8equal_toIvEEiEE10hipError_tPvRmT2_T3_T4_T5_mT6_T7_P12ihipStream_tbENKUlT_T0_E_clISt17integral_constantIbLb0EESW_EEDaSR_SS_EUlSR_E_NS1_11comp_targetILNS1_3genE2ELNS1_11target_archE906ELNS1_3gpuE6ELNS1_3repE0EEENS1_30default_config_static_selectorELNS0_4arch9wavefront6targetE0EEEvT1_
	.p2align	8
	.type	_ZN7rocprim17ROCPRIM_400000_NS6detail17trampoline_kernelINS0_14default_configENS1_27scan_by_key_config_selectorIiiEEZZNS1_16scan_by_key_implILNS1_25lookback_scan_determinismE0ELb0ES3_N6thrust23THRUST_200600_302600_NS10device_ptrIiEESB_SB_iNS9_4plusIvEENS9_8equal_toIvEEiEE10hipError_tPvRmT2_T3_T4_T5_mT6_T7_P12ihipStream_tbENKUlT_T0_E_clISt17integral_constantIbLb0EESW_EEDaSR_SS_EUlSR_E_NS1_11comp_targetILNS1_3genE2ELNS1_11target_archE906ELNS1_3gpuE6ELNS1_3repE0EEENS1_30default_config_static_selectorELNS0_4arch9wavefront6targetE0EEEvT1_,@function
_ZN7rocprim17ROCPRIM_400000_NS6detail17trampoline_kernelINS0_14default_configENS1_27scan_by_key_config_selectorIiiEEZZNS1_16scan_by_key_implILNS1_25lookback_scan_determinismE0ELb0ES3_N6thrust23THRUST_200600_302600_NS10device_ptrIiEESB_SB_iNS9_4plusIvEENS9_8equal_toIvEEiEE10hipError_tPvRmT2_T3_T4_T5_mT6_T7_P12ihipStream_tbENKUlT_T0_E_clISt17integral_constantIbLb0EESW_EEDaSR_SS_EUlSR_E_NS1_11comp_targetILNS1_3genE2ELNS1_11target_archE906ELNS1_3gpuE6ELNS1_3repE0EEENS1_30default_config_static_selectorELNS0_4arch9wavefront6targetE0EEEvT1_: ; @_ZN7rocprim17ROCPRIM_400000_NS6detail17trampoline_kernelINS0_14default_configENS1_27scan_by_key_config_selectorIiiEEZZNS1_16scan_by_key_implILNS1_25lookback_scan_determinismE0ELb0ES3_N6thrust23THRUST_200600_302600_NS10device_ptrIiEESB_SB_iNS9_4plusIvEENS9_8equal_toIvEEiEE10hipError_tPvRmT2_T3_T4_T5_mT6_T7_P12ihipStream_tbENKUlT_T0_E_clISt17integral_constantIbLb0EESW_EEDaSR_SS_EUlSR_E_NS1_11comp_targetILNS1_3genE2ELNS1_11target_archE906ELNS1_3gpuE6ELNS1_3repE0EEENS1_30default_config_static_selectorELNS0_4arch9wavefront6targetE0EEEvT1_
; %bb.0:
	.section	.rodata,"a",@progbits
	.p2align	6, 0x0
	.amdhsa_kernel _ZN7rocprim17ROCPRIM_400000_NS6detail17trampoline_kernelINS0_14default_configENS1_27scan_by_key_config_selectorIiiEEZZNS1_16scan_by_key_implILNS1_25lookback_scan_determinismE0ELb0ES3_N6thrust23THRUST_200600_302600_NS10device_ptrIiEESB_SB_iNS9_4plusIvEENS9_8equal_toIvEEiEE10hipError_tPvRmT2_T3_T4_T5_mT6_T7_P12ihipStream_tbENKUlT_T0_E_clISt17integral_constantIbLb0EESW_EEDaSR_SS_EUlSR_E_NS1_11comp_targetILNS1_3genE2ELNS1_11target_archE906ELNS1_3gpuE6ELNS1_3repE0EEENS1_30default_config_static_selectorELNS0_4arch9wavefront6targetE0EEEvT1_
		.amdhsa_group_segment_fixed_size 0
		.amdhsa_private_segment_fixed_size 0
		.amdhsa_kernarg_size 112
		.amdhsa_user_sgpr_count 2
		.amdhsa_user_sgpr_dispatch_ptr 0
		.amdhsa_user_sgpr_queue_ptr 0
		.amdhsa_user_sgpr_kernarg_segment_ptr 1
		.amdhsa_user_sgpr_dispatch_id 0
		.amdhsa_user_sgpr_kernarg_preload_length 0
		.amdhsa_user_sgpr_kernarg_preload_offset 0
		.amdhsa_user_sgpr_private_segment_size 0
		.amdhsa_wavefront_size32 1
		.amdhsa_uses_dynamic_stack 0
		.amdhsa_enable_private_segment 0
		.amdhsa_system_sgpr_workgroup_id_x 1
		.amdhsa_system_sgpr_workgroup_id_y 0
		.amdhsa_system_sgpr_workgroup_id_z 0
		.amdhsa_system_sgpr_workgroup_info 0
		.amdhsa_system_vgpr_workitem_id 0
		.amdhsa_next_free_vgpr 1
		.amdhsa_next_free_sgpr 1
		.amdhsa_named_barrier_count 0
		.amdhsa_reserve_vcc 0
		.amdhsa_float_round_mode_32 0
		.amdhsa_float_round_mode_16_64 0
		.amdhsa_float_denorm_mode_32 3
		.amdhsa_float_denorm_mode_16_64 3
		.amdhsa_fp16_overflow 0
		.amdhsa_memory_ordered 1
		.amdhsa_forward_progress 1
		.amdhsa_inst_pref_size 0
		.amdhsa_round_robin_scheduling 0
		.amdhsa_exception_fp_ieee_invalid_op 0
		.amdhsa_exception_fp_denorm_src 0
		.amdhsa_exception_fp_ieee_div_zero 0
		.amdhsa_exception_fp_ieee_overflow 0
		.amdhsa_exception_fp_ieee_underflow 0
		.amdhsa_exception_fp_ieee_inexact 0
		.amdhsa_exception_int_div_zero 0
	.end_amdhsa_kernel
	.section	.text._ZN7rocprim17ROCPRIM_400000_NS6detail17trampoline_kernelINS0_14default_configENS1_27scan_by_key_config_selectorIiiEEZZNS1_16scan_by_key_implILNS1_25lookback_scan_determinismE0ELb0ES3_N6thrust23THRUST_200600_302600_NS10device_ptrIiEESB_SB_iNS9_4plusIvEENS9_8equal_toIvEEiEE10hipError_tPvRmT2_T3_T4_T5_mT6_T7_P12ihipStream_tbENKUlT_T0_E_clISt17integral_constantIbLb0EESW_EEDaSR_SS_EUlSR_E_NS1_11comp_targetILNS1_3genE2ELNS1_11target_archE906ELNS1_3gpuE6ELNS1_3repE0EEENS1_30default_config_static_selectorELNS0_4arch9wavefront6targetE0EEEvT1_,"axG",@progbits,_ZN7rocprim17ROCPRIM_400000_NS6detail17trampoline_kernelINS0_14default_configENS1_27scan_by_key_config_selectorIiiEEZZNS1_16scan_by_key_implILNS1_25lookback_scan_determinismE0ELb0ES3_N6thrust23THRUST_200600_302600_NS10device_ptrIiEESB_SB_iNS9_4plusIvEENS9_8equal_toIvEEiEE10hipError_tPvRmT2_T3_T4_T5_mT6_T7_P12ihipStream_tbENKUlT_T0_E_clISt17integral_constantIbLb0EESW_EEDaSR_SS_EUlSR_E_NS1_11comp_targetILNS1_3genE2ELNS1_11target_archE906ELNS1_3gpuE6ELNS1_3repE0EEENS1_30default_config_static_selectorELNS0_4arch9wavefront6targetE0EEEvT1_,comdat
.Lfunc_end2199:
	.size	_ZN7rocprim17ROCPRIM_400000_NS6detail17trampoline_kernelINS0_14default_configENS1_27scan_by_key_config_selectorIiiEEZZNS1_16scan_by_key_implILNS1_25lookback_scan_determinismE0ELb0ES3_N6thrust23THRUST_200600_302600_NS10device_ptrIiEESB_SB_iNS9_4plusIvEENS9_8equal_toIvEEiEE10hipError_tPvRmT2_T3_T4_T5_mT6_T7_P12ihipStream_tbENKUlT_T0_E_clISt17integral_constantIbLb0EESW_EEDaSR_SS_EUlSR_E_NS1_11comp_targetILNS1_3genE2ELNS1_11target_archE906ELNS1_3gpuE6ELNS1_3repE0EEENS1_30default_config_static_selectorELNS0_4arch9wavefront6targetE0EEEvT1_, .Lfunc_end2199-_ZN7rocprim17ROCPRIM_400000_NS6detail17trampoline_kernelINS0_14default_configENS1_27scan_by_key_config_selectorIiiEEZZNS1_16scan_by_key_implILNS1_25lookback_scan_determinismE0ELb0ES3_N6thrust23THRUST_200600_302600_NS10device_ptrIiEESB_SB_iNS9_4plusIvEENS9_8equal_toIvEEiEE10hipError_tPvRmT2_T3_T4_T5_mT6_T7_P12ihipStream_tbENKUlT_T0_E_clISt17integral_constantIbLb0EESW_EEDaSR_SS_EUlSR_E_NS1_11comp_targetILNS1_3genE2ELNS1_11target_archE906ELNS1_3gpuE6ELNS1_3repE0EEENS1_30default_config_static_selectorELNS0_4arch9wavefront6targetE0EEEvT1_
                                        ; -- End function
	.set _ZN7rocprim17ROCPRIM_400000_NS6detail17trampoline_kernelINS0_14default_configENS1_27scan_by_key_config_selectorIiiEEZZNS1_16scan_by_key_implILNS1_25lookback_scan_determinismE0ELb0ES3_N6thrust23THRUST_200600_302600_NS10device_ptrIiEESB_SB_iNS9_4plusIvEENS9_8equal_toIvEEiEE10hipError_tPvRmT2_T3_T4_T5_mT6_T7_P12ihipStream_tbENKUlT_T0_E_clISt17integral_constantIbLb0EESW_EEDaSR_SS_EUlSR_E_NS1_11comp_targetILNS1_3genE2ELNS1_11target_archE906ELNS1_3gpuE6ELNS1_3repE0EEENS1_30default_config_static_selectorELNS0_4arch9wavefront6targetE0EEEvT1_.num_vgpr, 0
	.set _ZN7rocprim17ROCPRIM_400000_NS6detail17trampoline_kernelINS0_14default_configENS1_27scan_by_key_config_selectorIiiEEZZNS1_16scan_by_key_implILNS1_25lookback_scan_determinismE0ELb0ES3_N6thrust23THRUST_200600_302600_NS10device_ptrIiEESB_SB_iNS9_4plusIvEENS9_8equal_toIvEEiEE10hipError_tPvRmT2_T3_T4_T5_mT6_T7_P12ihipStream_tbENKUlT_T0_E_clISt17integral_constantIbLb0EESW_EEDaSR_SS_EUlSR_E_NS1_11comp_targetILNS1_3genE2ELNS1_11target_archE906ELNS1_3gpuE6ELNS1_3repE0EEENS1_30default_config_static_selectorELNS0_4arch9wavefront6targetE0EEEvT1_.num_agpr, 0
	.set _ZN7rocprim17ROCPRIM_400000_NS6detail17trampoline_kernelINS0_14default_configENS1_27scan_by_key_config_selectorIiiEEZZNS1_16scan_by_key_implILNS1_25lookback_scan_determinismE0ELb0ES3_N6thrust23THRUST_200600_302600_NS10device_ptrIiEESB_SB_iNS9_4plusIvEENS9_8equal_toIvEEiEE10hipError_tPvRmT2_T3_T4_T5_mT6_T7_P12ihipStream_tbENKUlT_T0_E_clISt17integral_constantIbLb0EESW_EEDaSR_SS_EUlSR_E_NS1_11comp_targetILNS1_3genE2ELNS1_11target_archE906ELNS1_3gpuE6ELNS1_3repE0EEENS1_30default_config_static_selectorELNS0_4arch9wavefront6targetE0EEEvT1_.numbered_sgpr, 0
	.set _ZN7rocprim17ROCPRIM_400000_NS6detail17trampoline_kernelINS0_14default_configENS1_27scan_by_key_config_selectorIiiEEZZNS1_16scan_by_key_implILNS1_25lookback_scan_determinismE0ELb0ES3_N6thrust23THRUST_200600_302600_NS10device_ptrIiEESB_SB_iNS9_4plusIvEENS9_8equal_toIvEEiEE10hipError_tPvRmT2_T3_T4_T5_mT6_T7_P12ihipStream_tbENKUlT_T0_E_clISt17integral_constantIbLb0EESW_EEDaSR_SS_EUlSR_E_NS1_11comp_targetILNS1_3genE2ELNS1_11target_archE906ELNS1_3gpuE6ELNS1_3repE0EEENS1_30default_config_static_selectorELNS0_4arch9wavefront6targetE0EEEvT1_.num_named_barrier, 0
	.set _ZN7rocprim17ROCPRIM_400000_NS6detail17trampoline_kernelINS0_14default_configENS1_27scan_by_key_config_selectorIiiEEZZNS1_16scan_by_key_implILNS1_25lookback_scan_determinismE0ELb0ES3_N6thrust23THRUST_200600_302600_NS10device_ptrIiEESB_SB_iNS9_4plusIvEENS9_8equal_toIvEEiEE10hipError_tPvRmT2_T3_T4_T5_mT6_T7_P12ihipStream_tbENKUlT_T0_E_clISt17integral_constantIbLb0EESW_EEDaSR_SS_EUlSR_E_NS1_11comp_targetILNS1_3genE2ELNS1_11target_archE906ELNS1_3gpuE6ELNS1_3repE0EEENS1_30default_config_static_selectorELNS0_4arch9wavefront6targetE0EEEvT1_.private_seg_size, 0
	.set _ZN7rocprim17ROCPRIM_400000_NS6detail17trampoline_kernelINS0_14default_configENS1_27scan_by_key_config_selectorIiiEEZZNS1_16scan_by_key_implILNS1_25lookback_scan_determinismE0ELb0ES3_N6thrust23THRUST_200600_302600_NS10device_ptrIiEESB_SB_iNS9_4plusIvEENS9_8equal_toIvEEiEE10hipError_tPvRmT2_T3_T4_T5_mT6_T7_P12ihipStream_tbENKUlT_T0_E_clISt17integral_constantIbLb0EESW_EEDaSR_SS_EUlSR_E_NS1_11comp_targetILNS1_3genE2ELNS1_11target_archE906ELNS1_3gpuE6ELNS1_3repE0EEENS1_30default_config_static_selectorELNS0_4arch9wavefront6targetE0EEEvT1_.uses_vcc, 0
	.set _ZN7rocprim17ROCPRIM_400000_NS6detail17trampoline_kernelINS0_14default_configENS1_27scan_by_key_config_selectorIiiEEZZNS1_16scan_by_key_implILNS1_25lookback_scan_determinismE0ELb0ES3_N6thrust23THRUST_200600_302600_NS10device_ptrIiEESB_SB_iNS9_4plusIvEENS9_8equal_toIvEEiEE10hipError_tPvRmT2_T3_T4_T5_mT6_T7_P12ihipStream_tbENKUlT_T0_E_clISt17integral_constantIbLb0EESW_EEDaSR_SS_EUlSR_E_NS1_11comp_targetILNS1_3genE2ELNS1_11target_archE906ELNS1_3gpuE6ELNS1_3repE0EEENS1_30default_config_static_selectorELNS0_4arch9wavefront6targetE0EEEvT1_.uses_flat_scratch, 0
	.set _ZN7rocprim17ROCPRIM_400000_NS6detail17trampoline_kernelINS0_14default_configENS1_27scan_by_key_config_selectorIiiEEZZNS1_16scan_by_key_implILNS1_25lookback_scan_determinismE0ELb0ES3_N6thrust23THRUST_200600_302600_NS10device_ptrIiEESB_SB_iNS9_4plusIvEENS9_8equal_toIvEEiEE10hipError_tPvRmT2_T3_T4_T5_mT6_T7_P12ihipStream_tbENKUlT_T0_E_clISt17integral_constantIbLb0EESW_EEDaSR_SS_EUlSR_E_NS1_11comp_targetILNS1_3genE2ELNS1_11target_archE906ELNS1_3gpuE6ELNS1_3repE0EEENS1_30default_config_static_selectorELNS0_4arch9wavefront6targetE0EEEvT1_.has_dyn_sized_stack, 0
	.set _ZN7rocprim17ROCPRIM_400000_NS6detail17trampoline_kernelINS0_14default_configENS1_27scan_by_key_config_selectorIiiEEZZNS1_16scan_by_key_implILNS1_25lookback_scan_determinismE0ELb0ES3_N6thrust23THRUST_200600_302600_NS10device_ptrIiEESB_SB_iNS9_4plusIvEENS9_8equal_toIvEEiEE10hipError_tPvRmT2_T3_T4_T5_mT6_T7_P12ihipStream_tbENKUlT_T0_E_clISt17integral_constantIbLb0EESW_EEDaSR_SS_EUlSR_E_NS1_11comp_targetILNS1_3genE2ELNS1_11target_archE906ELNS1_3gpuE6ELNS1_3repE0EEENS1_30default_config_static_selectorELNS0_4arch9wavefront6targetE0EEEvT1_.has_recursion, 0
	.set _ZN7rocprim17ROCPRIM_400000_NS6detail17trampoline_kernelINS0_14default_configENS1_27scan_by_key_config_selectorIiiEEZZNS1_16scan_by_key_implILNS1_25lookback_scan_determinismE0ELb0ES3_N6thrust23THRUST_200600_302600_NS10device_ptrIiEESB_SB_iNS9_4plusIvEENS9_8equal_toIvEEiEE10hipError_tPvRmT2_T3_T4_T5_mT6_T7_P12ihipStream_tbENKUlT_T0_E_clISt17integral_constantIbLb0EESW_EEDaSR_SS_EUlSR_E_NS1_11comp_targetILNS1_3genE2ELNS1_11target_archE906ELNS1_3gpuE6ELNS1_3repE0EEENS1_30default_config_static_selectorELNS0_4arch9wavefront6targetE0EEEvT1_.has_indirect_call, 0
	.section	.AMDGPU.csdata,"",@progbits
; Kernel info:
; codeLenInByte = 0
; TotalNumSgprs: 0
; NumVgprs: 0
; ScratchSize: 0
; MemoryBound: 0
; FloatMode: 240
; IeeeMode: 1
; LDSByteSize: 0 bytes/workgroup (compile time only)
; SGPRBlocks: 0
; VGPRBlocks: 0
; NumSGPRsForWavesPerEU: 1
; NumVGPRsForWavesPerEU: 1
; NamedBarCnt: 0
; Occupancy: 16
; WaveLimiterHint : 0
; COMPUTE_PGM_RSRC2:SCRATCH_EN: 0
; COMPUTE_PGM_RSRC2:USER_SGPR: 2
; COMPUTE_PGM_RSRC2:TRAP_HANDLER: 0
; COMPUTE_PGM_RSRC2:TGID_X_EN: 1
; COMPUTE_PGM_RSRC2:TGID_Y_EN: 0
; COMPUTE_PGM_RSRC2:TGID_Z_EN: 0
; COMPUTE_PGM_RSRC2:TIDIG_COMP_CNT: 0
	.section	.text._ZN7rocprim17ROCPRIM_400000_NS6detail17trampoline_kernelINS0_14default_configENS1_27scan_by_key_config_selectorIiiEEZZNS1_16scan_by_key_implILNS1_25lookback_scan_determinismE0ELb0ES3_N6thrust23THRUST_200600_302600_NS10device_ptrIiEESB_SB_iNS9_4plusIvEENS9_8equal_toIvEEiEE10hipError_tPvRmT2_T3_T4_T5_mT6_T7_P12ihipStream_tbENKUlT_T0_E_clISt17integral_constantIbLb0EESW_EEDaSR_SS_EUlSR_E_NS1_11comp_targetILNS1_3genE10ELNS1_11target_archE1200ELNS1_3gpuE4ELNS1_3repE0EEENS1_30default_config_static_selectorELNS0_4arch9wavefront6targetE0EEEvT1_,"axG",@progbits,_ZN7rocprim17ROCPRIM_400000_NS6detail17trampoline_kernelINS0_14default_configENS1_27scan_by_key_config_selectorIiiEEZZNS1_16scan_by_key_implILNS1_25lookback_scan_determinismE0ELb0ES3_N6thrust23THRUST_200600_302600_NS10device_ptrIiEESB_SB_iNS9_4plusIvEENS9_8equal_toIvEEiEE10hipError_tPvRmT2_T3_T4_T5_mT6_T7_P12ihipStream_tbENKUlT_T0_E_clISt17integral_constantIbLb0EESW_EEDaSR_SS_EUlSR_E_NS1_11comp_targetILNS1_3genE10ELNS1_11target_archE1200ELNS1_3gpuE4ELNS1_3repE0EEENS1_30default_config_static_selectorELNS0_4arch9wavefront6targetE0EEEvT1_,comdat
	.protected	_ZN7rocprim17ROCPRIM_400000_NS6detail17trampoline_kernelINS0_14default_configENS1_27scan_by_key_config_selectorIiiEEZZNS1_16scan_by_key_implILNS1_25lookback_scan_determinismE0ELb0ES3_N6thrust23THRUST_200600_302600_NS10device_ptrIiEESB_SB_iNS9_4plusIvEENS9_8equal_toIvEEiEE10hipError_tPvRmT2_T3_T4_T5_mT6_T7_P12ihipStream_tbENKUlT_T0_E_clISt17integral_constantIbLb0EESW_EEDaSR_SS_EUlSR_E_NS1_11comp_targetILNS1_3genE10ELNS1_11target_archE1200ELNS1_3gpuE4ELNS1_3repE0EEENS1_30default_config_static_selectorELNS0_4arch9wavefront6targetE0EEEvT1_ ; -- Begin function _ZN7rocprim17ROCPRIM_400000_NS6detail17trampoline_kernelINS0_14default_configENS1_27scan_by_key_config_selectorIiiEEZZNS1_16scan_by_key_implILNS1_25lookback_scan_determinismE0ELb0ES3_N6thrust23THRUST_200600_302600_NS10device_ptrIiEESB_SB_iNS9_4plusIvEENS9_8equal_toIvEEiEE10hipError_tPvRmT2_T3_T4_T5_mT6_T7_P12ihipStream_tbENKUlT_T0_E_clISt17integral_constantIbLb0EESW_EEDaSR_SS_EUlSR_E_NS1_11comp_targetILNS1_3genE10ELNS1_11target_archE1200ELNS1_3gpuE4ELNS1_3repE0EEENS1_30default_config_static_selectorELNS0_4arch9wavefront6targetE0EEEvT1_
	.globl	_ZN7rocprim17ROCPRIM_400000_NS6detail17trampoline_kernelINS0_14default_configENS1_27scan_by_key_config_selectorIiiEEZZNS1_16scan_by_key_implILNS1_25lookback_scan_determinismE0ELb0ES3_N6thrust23THRUST_200600_302600_NS10device_ptrIiEESB_SB_iNS9_4plusIvEENS9_8equal_toIvEEiEE10hipError_tPvRmT2_T3_T4_T5_mT6_T7_P12ihipStream_tbENKUlT_T0_E_clISt17integral_constantIbLb0EESW_EEDaSR_SS_EUlSR_E_NS1_11comp_targetILNS1_3genE10ELNS1_11target_archE1200ELNS1_3gpuE4ELNS1_3repE0EEENS1_30default_config_static_selectorELNS0_4arch9wavefront6targetE0EEEvT1_
	.p2align	8
	.type	_ZN7rocprim17ROCPRIM_400000_NS6detail17trampoline_kernelINS0_14default_configENS1_27scan_by_key_config_selectorIiiEEZZNS1_16scan_by_key_implILNS1_25lookback_scan_determinismE0ELb0ES3_N6thrust23THRUST_200600_302600_NS10device_ptrIiEESB_SB_iNS9_4plusIvEENS9_8equal_toIvEEiEE10hipError_tPvRmT2_T3_T4_T5_mT6_T7_P12ihipStream_tbENKUlT_T0_E_clISt17integral_constantIbLb0EESW_EEDaSR_SS_EUlSR_E_NS1_11comp_targetILNS1_3genE10ELNS1_11target_archE1200ELNS1_3gpuE4ELNS1_3repE0EEENS1_30default_config_static_selectorELNS0_4arch9wavefront6targetE0EEEvT1_,@function
_ZN7rocprim17ROCPRIM_400000_NS6detail17trampoline_kernelINS0_14default_configENS1_27scan_by_key_config_selectorIiiEEZZNS1_16scan_by_key_implILNS1_25lookback_scan_determinismE0ELb0ES3_N6thrust23THRUST_200600_302600_NS10device_ptrIiEESB_SB_iNS9_4plusIvEENS9_8equal_toIvEEiEE10hipError_tPvRmT2_T3_T4_T5_mT6_T7_P12ihipStream_tbENKUlT_T0_E_clISt17integral_constantIbLb0EESW_EEDaSR_SS_EUlSR_E_NS1_11comp_targetILNS1_3genE10ELNS1_11target_archE1200ELNS1_3gpuE4ELNS1_3repE0EEENS1_30default_config_static_selectorELNS0_4arch9wavefront6targetE0EEEvT1_: ; @_ZN7rocprim17ROCPRIM_400000_NS6detail17trampoline_kernelINS0_14default_configENS1_27scan_by_key_config_selectorIiiEEZZNS1_16scan_by_key_implILNS1_25lookback_scan_determinismE0ELb0ES3_N6thrust23THRUST_200600_302600_NS10device_ptrIiEESB_SB_iNS9_4plusIvEENS9_8equal_toIvEEiEE10hipError_tPvRmT2_T3_T4_T5_mT6_T7_P12ihipStream_tbENKUlT_T0_E_clISt17integral_constantIbLb0EESW_EEDaSR_SS_EUlSR_E_NS1_11comp_targetILNS1_3genE10ELNS1_11target_archE1200ELNS1_3gpuE4ELNS1_3repE0EEENS1_30default_config_static_selectorELNS0_4arch9wavefront6targetE0EEEvT1_
; %bb.0:
	.section	.rodata,"a",@progbits
	.p2align	6, 0x0
	.amdhsa_kernel _ZN7rocprim17ROCPRIM_400000_NS6detail17trampoline_kernelINS0_14default_configENS1_27scan_by_key_config_selectorIiiEEZZNS1_16scan_by_key_implILNS1_25lookback_scan_determinismE0ELb0ES3_N6thrust23THRUST_200600_302600_NS10device_ptrIiEESB_SB_iNS9_4plusIvEENS9_8equal_toIvEEiEE10hipError_tPvRmT2_T3_T4_T5_mT6_T7_P12ihipStream_tbENKUlT_T0_E_clISt17integral_constantIbLb0EESW_EEDaSR_SS_EUlSR_E_NS1_11comp_targetILNS1_3genE10ELNS1_11target_archE1200ELNS1_3gpuE4ELNS1_3repE0EEENS1_30default_config_static_selectorELNS0_4arch9wavefront6targetE0EEEvT1_
		.amdhsa_group_segment_fixed_size 0
		.amdhsa_private_segment_fixed_size 0
		.amdhsa_kernarg_size 112
		.amdhsa_user_sgpr_count 2
		.amdhsa_user_sgpr_dispatch_ptr 0
		.amdhsa_user_sgpr_queue_ptr 0
		.amdhsa_user_sgpr_kernarg_segment_ptr 1
		.amdhsa_user_sgpr_dispatch_id 0
		.amdhsa_user_sgpr_kernarg_preload_length 0
		.amdhsa_user_sgpr_kernarg_preload_offset 0
		.amdhsa_user_sgpr_private_segment_size 0
		.amdhsa_wavefront_size32 1
		.amdhsa_uses_dynamic_stack 0
		.amdhsa_enable_private_segment 0
		.amdhsa_system_sgpr_workgroup_id_x 1
		.amdhsa_system_sgpr_workgroup_id_y 0
		.amdhsa_system_sgpr_workgroup_id_z 0
		.amdhsa_system_sgpr_workgroup_info 0
		.amdhsa_system_vgpr_workitem_id 0
		.amdhsa_next_free_vgpr 1
		.amdhsa_next_free_sgpr 1
		.amdhsa_named_barrier_count 0
		.amdhsa_reserve_vcc 0
		.amdhsa_float_round_mode_32 0
		.amdhsa_float_round_mode_16_64 0
		.amdhsa_float_denorm_mode_32 3
		.amdhsa_float_denorm_mode_16_64 3
		.amdhsa_fp16_overflow 0
		.amdhsa_memory_ordered 1
		.amdhsa_forward_progress 1
		.amdhsa_inst_pref_size 0
		.amdhsa_round_robin_scheduling 0
		.amdhsa_exception_fp_ieee_invalid_op 0
		.amdhsa_exception_fp_denorm_src 0
		.amdhsa_exception_fp_ieee_div_zero 0
		.amdhsa_exception_fp_ieee_overflow 0
		.amdhsa_exception_fp_ieee_underflow 0
		.amdhsa_exception_fp_ieee_inexact 0
		.amdhsa_exception_int_div_zero 0
	.end_amdhsa_kernel
	.section	.text._ZN7rocprim17ROCPRIM_400000_NS6detail17trampoline_kernelINS0_14default_configENS1_27scan_by_key_config_selectorIiiEEZZNS1_16scan_by_key_implILNS1_25lookback_scan_determinismE0ELb0ES3_N6thrust23THRUST_200600_302600_NS10device_ptrIiEESB_SB_iNS9_4plusIvEENS9_8equal_toIvEEiEE10hipError_tPvRmT2_T3_T4_T5_mT6_T7_P12ihipStream_tbENKUlT_T0_E_clISt17integral_constantIbLb0EESW_EEDaSR_SS_EUlSR_E_NS1_11comp_targetILNS1_3genE10ELNS1_11target_archE1200ELNS1_3gpuE4ELNS1_3repE0EEENS1_30default_config_static_selectorELNS0_4arch9wavefront6targetE0EEEvT1_,"axG",@progbits,_ZN7rocprim17ROCPRIM_400000_NS6detail17trampoline_kernelINS0_14default_configENS1_27scan_by_key_config_selectorIiiEEZZNS1_16scan_by_key_implILNS1_25lookback_scan_determinismE0ELb0ES3_N6thrust23THRUST_200600_302600_NS10device_ptrIiEESB_SB_iNS9_4plusIvEENS9_8equal_toIvEEiEE10hipError_tPvRmT2_T3_T4_T5_mT6_T7_P12ihipStream_tbENKUlT_T0_E_clISt17integral_constantIbLb0EESW_EEDaSR_SS_EUlSR_E_NS1_11comp_targetILNS1_3genE10ELNS1_11target_archE1200ELNS1_3gpuE4ELNS1_3repE0EEENS1_30default_config_static_selectorELNS0_4arch9wavefront6targetE0EEEvT1_,comdat
.Lfunc_end2200:
	.size	_ZN7rocprim17ROCPRIM_400000_NS6detail17trampoline_kernelINS0_14default_configENS1_27scan_by_key_config_selectorIiiEEZZNS1_16scan_by_key_implILNS1_25lookback_scan_determinismE0ELb0ES3_N6thrust23THRUST_200600_302600_NS10device_ptrIiEESB_SB_iNS9_4plusIvEENS9_8equal_toIvEEiEE10hipError_tPvRmT2_T3_T4_T5_mT6_T7_P12ihipStream_tbENKUlT_T0_E_clISt17integral_constantIbLb0EESW_EEDaSR_SS_EUlSR_E_NS1_11comp_targetILNS1_3genE10ELNS1_11target_archE1200ELNS1_3gpuE4ELNS1_3repE0EEENS1_30default_config_static_selectorELNS0_4arch9wavefront6targetE0EEEvT1_, .Lfunc_end2200-_ZN7rocprim17ROCPRIM_400000_NS6detail17trampoline_kernelINS0_14default_configENS1_27scan_by_key_config_selectorIiiEEZZNS1_16scan_by_key_implILNS1_25lookback_scan_determinismE0ELb0ES3_N6thrust23THRUST_200600_302600_NS10device_ptrIiEESB_SB_iNS9_4plusIvEENS9_8equal_toIvEEiEE10hipError_tPvRmT2_T3_T4_T5_mT6_T7_P12ihipStream_tbENKUlT_T0_E_clISt17integral_constantIbLb0EESW_EEDaSR_SS_EUlSR_E_NS1_11comp_targetILNS1_3genE10ELNS1_11target_archE1200ELNS1_3gpuE4ELNS1_3repE0EEENS1_30default_config_static_selectorELNS0_4arch9wavefront6targetE0EEEvT1_
                                        ; -- End function
	.set _ZN7rocprim17ROCPRIM_400000_NS6detail17trampoline_kernelINS0_14default_configENS1_27scan_by_key_config_selectorIiiEEZZNS1_16scan_by_key_implILNS1_25lookback_scan_determinismE0ELb0ES3_N6thrust23THRUST_200600_302600_NS10device_ptrIiEESB_SB_iNS9_4plusIvEENS9_8equal_toIvEEiEE10hipError_tPvRmT2_T3_T4_T5_mT6_T7_P12ihipStream_tbENKUlT_T0_E_clISt17integral_constantIbLb0EESW_EEDaSR_SS_EUlSR_E_NS1_11comp_targetILNS1_3genE10ELNS1_11target_archE1200ELNS1_3gpuE4ELNS1_3repE0EEENS1_30default_config_static_selectorELNS0_4arch9wavefront6targetE0EEEvT1_.num_vgpr, 0
	.set _ZN7rocprim17ROCPRIM_400000_NS6detail17trampoline_kernelINS0_14default_configENS1_27scan_by_key_config_selectorIiiEEZZNS1_16scan_by_key_implILNS1_25lookback_scan_determinismE0ELb0ES3_N6thrust23THRUST_200600_302600_NS10device_ptrIiEESB_SB_iNS9_4plusIvEENS9_8equal_toIvEEiEE10hipError_tPvRmT2_T3_T4_T5_mT6_T7_P12ihipStream_tbENKUlT_T0_E_clISt17integral_constantIbLb0EESW_EEDaSR_SS_EUlSR_E_NS1_11comp_targetILNS1_3genE10ELNS1_11target_archE1200ELNS1_3gpuE4ELNS1_3repE0EEENS1_30default_config_static_selectorELNS0_4arch9wavefront6targetE0EEEvT1_.num_agpr, 0
	.set _ZN7rocprim17ROCPRIM_400000_NS6detail17trampoline_kernelINS0_14default_configENS1_27scan_by_key_config_selectorIiiEEZZNS1_16scan_by_key_implILNS1_25lookback_scan_determinismE0ELb0ES3_N6thrust23THRUST_200600_302600_NS10device_ptrIiEESB_SB_iNS9_4plusIvEENS9_8equal_toIvEEiEE10hipError_tPvRmT2_T3_T4_T5_mT6_T7_P12ihipStream_tbENKUlT_T0_E_clISt17integral_constantIbLb0EESW_EEDaSR_SS_EUlSR_E_NS1_11comp_targetILNS1_3genE10ELNS1_11target_archE1200ELNS1_3gpuE4ELNS1_3repE0EEENS1_30default_config_static_selectorELNS0_4arch9wavefront6targetE0EEEvT1_.numbered_sgpr, 0
	.set _ZN7rocprim17ROCPRIM_400000_NS6detail17trampoline_kernelINS0_14default_configENS1_27scan_by_key_config_selectorIiiEEZZNS1_16scan_by_key_implILNS1_25lookback_scan_determinismE0ELb0ES3_N6thrust23THRUST_200600_302600_NS10device_ptrIiEESB_SB_iNS9_4plusIvEENS9_8equal_toIvEEiEE10hipError_tPvRmT2_T3_T4_T5_mT6_T7_P12ihipStream_tbENKUlT_T0_E_clISt17integral_constantIbLb0EESW_EEDaSR_SS_EUlSR_E_NS1_11comp_targetILNS1_3genE10ELNS1_11target_archE1200ELNS1_3gpuE4ELNS1_3repE0EEENS1_30default_config_static_selectorELNS0_4arch9wavefront6targetE0EEEvT1_.num_named_barrier, 0
	.set _ZN7rocprim17ROCPRIM_400000_NS6detail17trampoline_kernelINS0_14default_configENS1_27scan_by_key_config_selectorIiiEEZZNS1_16scan_by_key_implILNS1_25lookback_scan_determinismE0ELb0ES3_N6thrust23THRUST_200600_302600_NS10device_ptrIiEESB_SB_iNS9_4plusIvEENS9_8equal_toIvEEiEE10hipError_tPvRmT2_T3_T4_T5_mT6_T7_P12ihipStream_tbENKUlT_T0_E_clISt17integral_constantIbLb0EESW_EEDaSR_SS_EUlSR_E_NS1_11comp_targetILNS1_3genE10ELNS1_11target_archE1200ELNS1_3gpuE4ELNS1_3repE0EEENS1_30default_config_static_selectorELNS0_4arch9wavefront6targetE0EEEvT1_.private_seg_size, 0
	.set _ZN7rocprim17ROCPRIM_400000_NS6detail17trampoline_kernelINS0_14default_configENS1_27scan_by_key_config_selectorIiiEEZZNS1_16scan_by_key_implILNS1_25lookback_scan_determinismE0ELb0ES3_N6thrust23THRUST_200600_302600_NS10device_ptrIiEESB_SB_iNS9_4plusIvEENS9_8equal_toIvEEiEE10hipError_tPvRmT2_T3_T4_T5_mT6_T7_P12ihipStream_tbENKUlT_T0_E_clISt17integral_constantIbLb0EESW_EEDaSR_SS_EUlSR_E_NS1_11comp_targetILNS1_3genE10ELNS1_11target_archE1200ELNS1_3gpuE4ELNS1_3repE0EEENS1_30default_config_static_selectorELNS0_4arch9wavefront6targetE0EEEvT1_.uses_vcc, 0
	.set _ZN7rocprim17ROCPRIM_400000_NS6detail17trampoline_kernelINS0_14default_configENS1_27scan_by_key_config_selectorIiiEEZZNS1_16scan_by_key_implILNS1_25lookback_scan_determinismE0ELb0ES3_N6thrust23THRUST_200600_302600_NS10device_ptrIiEESB_SB_iNS9_4plusIvEENS9_8equal_toIvEEiEE10hipError_tPvRmT2_T3_T4_T5_mT6_T7_P12ihipStream_tbENKUlT_T0_E_clISt17integral_constantIbLb0EESW_EEDaSR_SS_EUlSR_E_NS1_11comp_targetILNS1_3genE10ELNS1_11target_archE1200ELNS1_3gpuE4ELNS1_3repE0EEENS1_30default_config_static_selectorELNS0_4arch9wavefront6targetE0EEEvT1_.uses_flat_scratch, 0
	.set _ZN7rocprim17ROCPRIM_400000_NS6detail17trampoline_kernelINS0_14default_configENS1_27scan_by_key_config_selectorIiiEEZZNS1_16scan_by_key_implILNS1_25lookback_scan_determinismE0ELb0ES3_N6thrust23THRUST_200600_302600_NS10device_ptrIiEESB_SB_iNS9_4plusIvEENS9_8equal_toIvEEiEE10hipError_tPvRmT2_T3_T4_T5_mT6_T7_P12ihipStream_tbENKUlT_T0_E_clISt17integral_constantIbLb0EESW_EEDaSR_SS_EUlSR_E_NS1_11comp_targetILNS1_3genE10ELNS1_11target_archE1200ELNS1_3gpuE4ELNS1_3repE0EEENS1_30default_config_static_selectorELNS0_4arch9wavefront6targetE0EEEvT1_.has_dyn_sized_stack, 0
	.set _ZN7rocprim17ROCPRIM_400000_NS6detail17trampoline_kernelINS0_14default_configENS1_27scan_by_key_config_selectorIiiEEZZNS1_16scan_by_key_implILNS1_25lookback_scan_determinismE0ELb0ES3_N6thrust23THRUST_200600_302600_NS10device_ptrIiEESB_SB_iNS9_4plusIvEENS9_8equal_toIvEEiEE10hipError_tPvRmT2_T3_T4_T5_mT6_T7_P12ihipStream_tbENKUlT_T0_E_clISt17integral_constantIbLb0EESW_EEDaSR_SS_EUlSR_E_NS1_11comp_targetILNS1_3genE10ELNS1_11target_archE1200ELNS1_3gpuE4ELNS1_3repE0EEENS1_30default_config_static_selectorELNS0_4arch9wavefront6targetE0EEEvT1_.has_recursion, 0
	.set _ZN7rocprim17ROCPRIM_400000_NS6detail17trampoline_kernelINS0_14default_configENS1_27scan_by_key_config_selectorIiiEEZZNS1_16scan_by_key_implILNS1_25lookback_scan_determinismE0ELb0ES3_N6thrust23THRUST_200600_302600_NS10device_ptrIiEESB_SB_iNS9_4plusIvEENS9_8equal_toIvEEiEE10hipError_tPvRmT2_T3_T4_T5_mT6_T7_P12ihipStream_tbENKUlT_T0_E_clISt17integral_constantIbLb0EESW_EEDaSR_SS_EUlSR_E_NS1_11comp_targetILNS1_3genE10ELNS1_11target_archE1200ELNS1_3gpuE4ELNS1_3repE0EEENS1_30default_config_static_selectorELNS0_4arch9wavefront6targetE0EEEvT1_.has_indirect_call, 0
	.section	.AMDGPU.csdata,"",@progbits
; Kernel info:
; codeLenInByte = 0
; TotalNumSgprs: 0
; NumVgprs: 0
; ScratchSize: 0
; MemoryBound: 0
; FloatMode: 240
; IeeeMode: 1
; LDSByteSize: 0 bytes/workgroup (compile time only)
; SGPRBlocks: 0
; VGPRBlocks: 0
; NumSGPRsForWavesPerEU: 1
; NumVGPRsForWavesPerEU: 1
; NamedBarCnt: 0
; Occupancy: 16
; WaveLimiterHint : 0
; COMPUTE_PGM_RSRC2:SCRATCH_EN: 0
; COMPUTE_PGM_RSRC2:USER_SGPR: 2
; COMPUTE_PGM_RSRC2:TRAP_HANDLER: 0
; COMPUTE_PGM_RSRC2:TGID_X_EN: 1
; COMPUTE_PGM_RSRC2:TGID_Y_EN: 0
; COMPUTE_PGM_RSRC2:TGID_Z_EN: 0
; COMPUTE_PGM_RSRC2:TIDIG_COMP_CNT: 0
	.section	.text._ZN7rocprim17ROCPRIM_400000_NS6detail17trampoline_kernelINS0_14default_configENS1_27scan_by_key_config_selectorIiiEEZZNS1_16scan_by_key_implILNS1_25lookback_scan_determinismE0ELb0ES3_N6thrust23THRUST_200600_302600_NS10device_ptrIiEESB_SB_iNS9_4plusIvEENS9_8equal_toIvEEiEE10hipError_tPvRmT2_T3_T4_T5_mT6_T7_P12ihipStream_tbENKUlT_T0_E_clISt17integral_constantIbLb0EESW_EEDaSR_SS_EUlSR_E_NS1_11comp_targetILNS1_3genE9ELNS1_11target_archE1100ELNS1_3gpuE3ELNS1_3repE0EEENS1_30default_config_static_selectorELNS0_4arch9wavefront6targetE0EEEvT1_,"axG",@progbits,_ZN7rocprim17ROCPRIM_400000_NS6detail17trampoline_kernelINS0_14default_configENS1_27scan_by_key_config_selectorIiiEEZZNS1_16scan_by_key_implILNS1_25lookback_scan_determinismE0ELb0ES3_N6thrust23THRUST_200600_302600_NS10device_ptrIiEESB_SB_iNS9_4plusIvEENS9_8equal_toIvEEiEE10hipError_tPvRmT2_T3_T4_T5_mT6_T7_P12ihipStream_tbENKUlT_T0_E_clISt17integral_constantIbLb0EESW_EEDaSR_SS_EUlSR_E_NS1_11comp_targetILNS1_3genE9ELNS1_11target_archE1100ELNS1_3gpuE3ELNS1_3repE0EEENS1_30default_config_static_selectorELNS0_4arch9wavefront6targetE0EEEvT1_,comdat
	.protected	_ZN7rocprim17ROCPRIM_400000_NS6detail17trampoline_kernelINS0_14default_configENS1_27scan_by_key_config_selectorIiiEEZZNS1_16scan_by_key_implILNS1_25lookback_scan_determinismE0ELb0ES3_N6thrust23THRUST_200600_302600_NS10device_ptrIiEESB_SB_iNS9_4plusIvEENS9_8equal_toIvEEiEE10hipError_tPvRmT2_T3_T4_T5_mT6_T7_P12ihipStream_tbENKUlT_T0_E_clISt17integral_constantIbLb0EESW_EEDaSR_SS_EUlSR_E_NS1_11comp_targetILNS1_3genE9ELNS1_11target_archE1100ELNS1_3gpuE3ELNS1_3repE0EEENS1_30default_config_static_selectorELNS0_4arch9wavefront6targetE0EEEvT1_ ; -- Begin function _ZN7rocprim17ROCPRIM_400000_NS6detail17trampoline_kernelINS0_14default_configENS1_27scan_by_key_config_selectorIiiEEZZNS1_16scan_by_key_implILNS1_25lookback_scan_determinismE0ELb0ES3_N6thrust23THRUST_200600_302600_NS10device_ptrIiEESB_SB_iNS9_4plusIvEENS9_8equal_toIvEEiEE10hipError_tPvRmT2_T3_T4_T5_mT6_T7_P12ihipStream_tbENKUlT_T0_E_clISt17integral_constantIbLb0EESW_EEDaSR_SS_EUlSR_E_NS1_11comp_targetILNS1_3genE9ELNS1_11target_archE1100ELNS1_3gpuE3ELNS1_3repE0EEENS1_30default_config_static_selectorELNS0_4arch9wavefront6targetE0EEEvT1_
	.globl	_ZN7rocprim17ROCPRIM_400000_NS6detail17trampoline_kernelINS0_14default_configENS1_27scan_by_key_config_selectorIiiEEZZNS1_16scan_by_key_implILNS1_25lookback_scan_determinismE0ELb0ES3_N6thrust23THRUST_200600_302600_NS10device_ptrIiEESB_SB_iNS9_4plusIvEENS9_8equal_toIvEEiEE10hipError_tPvRmT2_T3_T4_T5_mT6_T7_P12ihipStream_tbENKUlT_T0_E_clISt17integral_constantIbLb0EESW_EEDaSR_SS_EUlSR_E_NS1_11comp_targetILNS1_3genE9ELNS1_11target_archE1100ELNS1_3gpuE3ELNS1_3repE0EEENS1_30default_config_static_selectorELNS0_4arch9wavefront6targetE0EEEvT1_
	.p2align	8
	.type	_ZN7rocprim17ROCPRIM_400000_NS6detail17trampoline_kernelINS0_14default_configENS1_27scan_by_key_config_selectorIiiEEZZNS1_16scan_by_key_implILNS1_25lookback_scan_determinismE0ELb0ES3_N6thrust23THRUST_200600_302600_NS10device_ptrIiEESB_SB_iNS9_4plusIvEENS9_8equal_toIvEEiEE10hipError_tPvRmT2_T3_T4_T5_mT6_T7_P12ihipStream_tbENKUlT_T0_E_clISt17integral_constantIbLb0EESW_EEDaSR_SS_EUlSR_E_NS1_11comp_targetILNS1_3genE9ELNS1_11target_archE1100ELNS1_3gpuE3ELNS1_3repE0EEENS1_30default_config_static_selectorELNS0_4arch9wavefront6targetE0EEEvT1_,@function
_ZN7rocprim17ROCPRIM_400000_NS6detail17trampoline_kernelINS0_14default_configENS1_27scan_by_key_config_selectorIiiEEZZNS1_16scan_by_key_implILNS1_25lookback_scan_determinismE0ELb0ES3_N6thrust23THRUST_200600_302600_NS10device_ptrIiEESB_SB_iNS9_4plusIvEENS9_8equal_toIvEEiEE10hipError_tPvRmT2_T3_T4_T5_mT6_T7_P12ihipStream_tbENKUlT_T0_E_clISt17integral_constantIbLb0EESW_EEDaSR_SS_EUlSR_E_NS1_11comp_targetILNS1_3genE9ELNS1_11target_archE1100ELNS1_3gpuE3ELNS1_3repE0EEENS1_30default_config_static_selectorELNS0_4arch9wavefront6targetE0EEEvT1_: ; @_ZN7rocprim17ROCPRIM_400000_NS6detail17trampoline_kernelINS0_14default_configENS1_27scan_by_key_config_selectorIiiEEZZNS1_16scan_by_key_implILNS1_25lookback_scan_determinismE0ELb0ES3_N6thrust23THRUST_200600_302600_NS10device_ptrIiEESB_SB_iNS9_4plusIvEENS9_8equal_toIvEEiEE10hipError_tPvRmT2_T3_T4_T5_mT6_T7_P12ihipStream_tbENKUlT_T0_E_clISt17integral_constantIbLb0EESW_EEDaSR_SS_EUlSR_E_NS1_11comp_targetILNS1_3genE9ELNS1_11target_archE1100ELNS1_3gpuE3ELNS1_3repE0EEENS1_30default_config_static_selectorELNS0_4arch9wavefront6targetE0EEEvT1_
; %bb.0:
	.section	.rodata,"a",@progbits
	.p2align	6, 0x0
	.amdhsa_kernel _ZN7rocprim17ROCPRIM_400000_NS6detail17trampoline_kernelINS0_14default_configENS1_27scan_by_key_config_selectorIiiEEZZNS1_16scan_by_key_implILNS1_25lookback_scan_determinismE0ELb0ES3_N6thrust23THRUST_200600_302600_NS10device_ptrIiEESB_SB_iNS9_4plusIvEENS9_8equal_toIvEEiEE10hipError_tPvRmT2_T3_T4_T5_mT6_T7_P12ihipStream_tbENKUlT_T0_E_clISt17integral_constantIbLb0EESW_EEDaSR_SS_EUlSR_E_NS1_11comp_targetILNS1_3genE9ELNS1_11target_archE1100ELNS1_3gpuE3ELNS1_3repE0EEENS1_30default_config_static_selectorELNS0_4arch9wavefront6targetE0EEEvT1_
		.amdhsa_group_segment_fixed_size 0
		.amdhsa_private_segment_fixed_size 0
		.amdhsa_kernarg_size 112
		.amdhsa_user_sgpr_count 2
		.amdhsa_user_sgpr_dispatch_ptr 0
		.amdhsa_user_sgpr_queue_ptr 0
		.amdhsa_user_sgpr_kernarg_segment_ptr 1
		.amdhsa_user_sgpr_dispatch_id 0
		.amdhsa_user_sgpr_kernarg_preload_length 0
		.amdhsa_user_sgpr_kernarg_preload_offset 0
		.amdhsa_user_sgpr_private_segment_size 0
		.amdhsa_wavefront_size32 1
		.amdhsa_uses_dynamic_stack 0
		.amdhsa_enable_private_segment 0
		.amdhsa_system_sgpr_workgroup_id_x 1
		.amdhsa_system_sgpr_workgroup_id_y 0
		.amdhsa_system_sgpr_workgroup_id_z 0
		.amdhsa_system_sgpr_workgroup_info 0
		.amdhsa_system_vgpr_workitem_id 0
		.amdhsa_next_free_vgpr 1
		.amdhsa_next_free_sgpr 1
		.amdhsa_named_barrier_count 0
		.amdhsa_reserve_vcc 0
		.amdhsa_float_round_mode_32 0
		.amdhsa_float_round_mode_16_64 0
		.amdhsa_float_denorm_mode_32 3
		.amdhsa_float_denorm_mode_16_64 3
		.amdhsa_fp16_overflow 0
		.amdhsa_memory_ordered 1
		.amdhsa_forward_progress 1
		.amdhsa_inst_pref_size 0
		.amdhsa_round_robin_scheduling 0
		.amdhsa_exception_fp_ieee_invalid_op 0
		.amdhsa_exception_fp_denorm_src 0
		.amdhsa_exception_fp_ieee_div_zero 0
		.amdhsa_exception_fp_ieee_overflow 0
		.amdhsa_exception_fp_ieee_underflow 0
		.amdhsa_exception_fp_ieee_inexact 0
		.amdhsa_exception_int_div_zero 0
	.end_amdhsa_kernel
	.section	.text._ZN7rocprim17ROCPRIM_400000_NS6detail17trampoline_kernelINS0_14default_configENS1_27scan_by_key_config_selectorIiiEEZZNS1_16scan_by_key_implILNS1_25lookback_scan_determinismE0ELb0ES3_N6thrust23THRUST_200600_302600_NS10device_ptrIiEESB_SB_iNS9_4plusIvEENS9_8equal_toIvEEiEE10hipError_tPvRmT2_T3_T4_T5_mT6_T7_P12ihipStream_tbENKUlT_T0_E_clISt17integral_constantIbLb0EESW_EEDaSR_SS_EUlSR_E_NS1_11comp_targetILNS1_3genE9ELNS1_11target_archE1100ELNS1_3gpuE3ELNS1_3repE0EEENS1_30default_config_static_selectorELNS0_4arch9wavefront6targetE0EEEvT1_,"axG",@progbits,_ZN7rocprim17ROCPRIM_400000_NS6detail17trampoline_kernelINS0_14default_configENS1_27scan_by_key_config_selectorIiiEEZZNS1_16scan_by_key_implILNS1_25lookback_scan_determinismE0ELb0ES3_N6thrust23THRUST_200600_302600_NS10device_ptrIiEESB_SB_iNS9_4plusIvEENS9_8equal_toIvEEiEE10hipError_tPvRmT2_T3_T4_T5_mT6_T7_P12ihipStream_tbENKUlT_T0_E_clISt17integral_constantIbLb0EESW_EEDaSR_SS_EUlSR_E_NS1_11comp_targetILNS1_3genE9ELNS1_11target_archE1100ELNS1_3gpuE3ELNS1_3repE0EEENS1_30default_config_static_selectorELNS0_4arch9wavefront6targetE0EEEvT1_,comdat
.Lfunc_end2201:
	.size	_ZN7rocprim17ROCPRIM_400000_NS6detail17trampoline_kernelINS0_14default_configENS1_27scan_by_key_config_selectorIiiEEZZNS1_16scan_by_key_implILNS1_25lookback_scan_determinismE0ELb0ES3_N6thrust23THRUST_200600_302600_NS10device_ptrIiEESB_SB_iNS9_4plusIvEENS9_8equal_toIvEEiEE10hipError_tPvRmT2_T3_T4_T5_mT6_T7_P12ihipStream_tbENKUlT_T0_E_clISt17integral_constantIbLb0EESW_EEDaSR_SS_EUlSR_E_NS1_11comp_targetILNS1_3genE9ELNS1_11target_archE1100ELNS1_3gpuE3ELNS1_3repE0EEENS1_30default_config_static_selectorELNS0_4arch9wavefront6targetE0EEEvT1_, .Lfunc_end2201-_ZN7rocprim17ROCPRIM_400000_NS6detail17trampoline_kernelINS0_14default_configENS1_27scan_by_key_config_selectorIiiEEZZNS1_16scan_by_key_implILNS1_25lookback_scan_determinismE0ELb0ES3_N6thrust23THRUST_200600_302600_NS10device_ptrIiEESB_SB_iNS9_4plusIvEENS9_8equal_toIvEEiEE10hipError_tPvRmT2_T3_T4_T5_mT6_T7_P12ihipStream_tbENKUlT_T0_E_clISt17integral_constantIbLb0EESW_EEDaSR_SS_EUlSR_E_NS1_11comp_targetILNS1_3genE9ELNS1_11target_archE1100ELNS1_3gpuE3ELNS1_3repE0EEENS1_30default_config_static_selectorELNS0_4arch9wavefront6targetE0EEEvT1_
                                        ; -- End function
	.set _ZN7rocprim17ROCPRIM_400000_NS6detail17trampoline_kernelINS0_14default_configENS1_27scan_by_key_config_selectorIiiEEZZNS1_16scan_by_key_implILNS1_25lookback_scan_determinismE0ELb0ES3_N6thrust23THRUST_200600_302600_NS10device_ptrIiEESB_SB_iNS9_4plusIvEENS9_8equal_toIvEEiEE10hipError_tPvRmT2_T3_T4_T5_mT6_T7_P12ihipStream_tbENKUlT_T0_E_clISt17integral_constantIbLb0EESW_EEDaSR_SS_EUlSR_E_NS1_11comp_targetILNS1_3genE9ELNS1_11target_archE1100ELNS1_3gpuE3ELNS1_3repE0EEENS1_30default_config_static_selectorELNS0_4arch9wavefront6targetE0EEEvT1_.num_vgpr, 0
	.set _ZN7rocprim17ROCPRIM_400000_NS6detail17trampoline_kernelINS0_14default_configENS1_27scan_by_key_config_selectorIiiEEZZNS1_16scan_by_key_implILNS1_25lookback_scan_determinismE0ELb0ES3_N6thrust23THRUST_200600_302600_NS10device_ptrIiEESB_SB_iNS9_4plusIvEENS9_8equal_toIvEEiEE10hipError_tPvRmT2_T3_T4_T5_mT6_T7_P12ihipStream_tbENKUlT_T0_E_clISt17integral_constantIbLb0EESW_EEDaSR_SS_EUlSR_E_NS1_11comp_targetILNS1_3genE9ELNS1_11target_archE1100ELNS1_3gpuE3ELNS1_3repE0EEENS1_30default_config_static_selectorELNS0_4arch9wavefront6targetE0EEEvT1_.num_agpr, 0
	.set _ZN7rocprim17ROCPRIM_400000_NS6detail17trampoline_kernelINS0_14default_configENS1_27scan_by_key_config_selectorIiiEEZZNS1_16scan_by_key_implILNS1_25lookback_scan_determinismE0ELb0ES3_N6thrust23THRUST_200600_302600_NS10device_ptrIiEESB_SB_iNS9_4plusIvEENS9_8equal_toIvEEiEE10hipError_tPvRmT2_T3_T4_T5_mT6_T7_P12ihipStream_tbENKUlT_T0_E_clISt17integral_constantIbLb0EESW_EEDaSR_SS_EUlSR_E_NS1_11comp_targetILNS1_3genE9ELNS1_11target_archE1100ELNS1_3gpuE3ELNS1_3repE0EEENS1_30default_config_static_selectorELNS0_4arch9wavefront6targetE0EEEvT1_.numbered_sgpr, 0
	.set _ZN7rocprim17ROCPRIM_400000_NS6detail17trampoline_kernelINS0_14default_configENS1_27scan_by_key_config_selectorIiiEEZZNS1_16scan_by_key_implILNS1_25lookback_scan_determinismE0ELb0ES3_N6thrust23THRUST_200600_302600_NS10device_ptrIiEESB_SB_iNS9_4plusIvEENS9_8equal_toIvEEiEE10hipError_tPvRmT2_T3_T4_T5_mT6_T7_P12ihipStream_tbENKUlT_T0_E_clISt17integral_constantIbLb0EESW_EEDaSR_SS_EUlSR_E_NS1_11comp_targetILNS1_3genE9ELNS1_11target_archE1100ELNS1_3gpuE3ELNS1_3repE0EEENS1_30default_config_static_selectorELNS0_4arch9wavefront6targetE0EEEvT1_.num_named_barrier, 0
	.set _ZN7rocprim17ROCPRIM_400000_NS6detail17trampoline_kernelINS0_14default_configENS1_27scan_by_key_config_selectorIiiEEZZNS1_16scan_by_key_implILNS1_25lookback_scan_determinismE0ELb0ES3_N6thrust23THRUST_200600_302600_NS10device_ptrIiEESB_SB_iNS9_4plusIvEENS9_8equal_toIvEEiEE10hipError_tPvRmT2_T3_T4_T5_mT6_T7_P12ihipStream_tbENKUlT_T0_E_clISt17integral_constantIbLb0EESW_EEDaSR_SS_EUlSR_E_NS1_11comp_targetILNS1_3genE9ELNS1_11target_archE1100ELNS1_3gpuE3ELNS1_3repE0EEENS1_30default_config_static_selectorELNS0_4arch9wavefront6targetE0EEEvT1_.private_seg_size, 0
	.set _ZN7rocprim17ROCPRIM_400000_NS6detail17trampoline_kernelINS0_14default_configENS1_27scan_by_key_config_selectorIiiEEZZNS1_16scan_by_key_implILNS1_25lookback_scan_determinismE0ELb0ES3_N6thrust23THRUST_200600_302600_NS10device_ptrIiEESB_SB_iNS9_4plusIvEENS9_8equal_toIvEEiEE10hipError_tPvRmT2_T3_T4_T5_mT6_T7_P12ihipStream_tbENKUlT_T0_E_clISt17integral_constantIbLb0EESW_EEDaSR_SS_EUlSR_E_NS1_11comp_targetILNS1_3genE9ELNS1_11target_archE1100ELNS1_3gpuE3ELNS1_3repE0EEENS1_30default_config_static_selectorELNS0_4arch9wavefront6targetE0EEEvT1_.uses_vcc, 0
	.set _ZN7rocprim17ROCPRIM_400000_NS6detail17trampoline_kernelINS0_14default_configENS1_27scan_by_key_config_selectorIiiEEZZNS1_16scan_by_key_implILNS1_25lookback_scan_determinismE0ELb0ES3_N6thrust23THRUST_200600_302600_NS10device_ptrIiEESB_SB_iNS9_4plusIvEENS9_8equal_toIvEEiEE10hipError_tPvRmT2_T3_T4_T5_mT6_T7_P12ihipStream_tbENKUlT_T0_E_clISt17integral_constantIbLb0EESW_EEDaSR_SS_EUlSR_E_NS1_11comp_targetILNS1_3genE9ELNS1_11target_archE1100ELNS1_3gpuE3ELNS1_3repE0EEENS1_30default_config_static_selectorELNS0_4arch9wavefront6targetE0EEEvT1_.uses_flat_scratch, 0
	.set _ZN7rocprim17ROCPRIM_400000_NS6detail17trampoline_kernelINS0_14default_configENS1_27scan_by_key_config_selectorIiiEEZZNS1_16scan_by_key_implILNS1_25lookback_scan_determinismE0ELb0ES3_N6thrust23THRUST_200600_302600_NS10device_ptrIiEESB_SB_iNS9_4plusIvEENS9_8equal_toIvEEiEE10hipError_tPvRmT2_T3_T4_T5_mT6_T7_P12ihipStream_tbENKUlT_T0_E_clISt17integral_constantIbLb0EESW_EEDaSR_SS_EUlSR_E_NS1_11comp_targetILNS1_3genE9ELNS1_11target_archE1100ELNS1_3gpuE3ELNS1_3repE0EEENS1_30default_config_static_selectorELNS0_4arch9wavefront6targetE0EEEvT1_.has_dyn_sized_stack, 0
	.set _ZN7rocprim17ROCPRIM_400000_NS6detail17trampoline_kernelINS0_14default_configENS1_27scan_by_key_config_selectorIiiEEZZNS1_16scan_by_key_implILNS1_25lookback_scan_determinismE0ELb0ES3_N6thrust23THRUST_200600_302600_NS10device_ptrIiEESB_SB_iNS9_4plusIvEENS9_8equal_toIvEEiEE10hipError_tPvRmT2_T3_T4_T5_mT6_T7_P12ihipStream_tbENKUlT_T0_E_clISt17integral_constantIbLb0EESW_EEDaSR_SS_EUlSR_E_NS1_11comp_targetILNS1_3genE9ELNS1_11target_archE1100ELNS1_3gpuE3ELNS1_3repE0EEENS1_30default_config_static_selectorELNS0_4arch9wavefront6targetE0EEEvT1_.has_recursion, 0
	.set _ZN7rocprim17ROCPRIM_400000_NS6detail17trampoline_kernelINS0_14default_configENS1_27scan_by_key_config_selectorIiiEEZZNS1_16scan_by_key_implILNS1_25lookback_scan_determinismE0ELb0ES3_N6thrust23THRUST_200600_302600_NS10device_ptrIiEESB_SB_iNS9_4plusIvEENS9_8equal_toIvEEiEE10hipError_tPvRmT2_T3_T4_T5_mT6_T7_P12ihipStream_tbENKUlT_T0_E_clISt17integral_constantIbLb0EESW_EEDaSR_SS_EUlSR_E_NS1_11comp_targetILNS1_3genE9ELNS1_11target_archE1100ELNS1_3gpuE3ELNS1_3repE0EEENS1_30default_config_static_selectorELNS0_4arch9wavefront6targetE0EEEvT1_.has_indirect_call, 0
	.section	.AMDGPU.csdata,"",@progbits
; Kernel info:
; codeLenInByte = 0
; TotalNumSgprs: 0
; NumVgprs: 0
; ScratchSize: 0
; MemoryBound: 0
; FloatMode: 240
; IeeeMode: 1
; LDSByteSize: 0 bytes/workgroup (compile time only)
; SGPRBlocks: 0
; VGPRBlocks: 0
; NumSGPRsForWavesPerEU: 1
; NumVGPRsForWavesPerEU: 1
; NamedBarCnt: 0
; Occupancy: 16
; WaveLimiterHint : 0
; COMPUTE_PGM_RSRC2:SCRATCH_EN: 0
; COMPUTE_PGM_RSRC2:USER_SGPR: 2
; COMPUTE_PGM_RSRC2:TRAP_HANDLER: 0
; COMPUTE_PGM_RSRC2:TGID_X_EN: 1
; COMPUTE_PGM_RSRC2:TGID_Y_EN: 0
; COMPUTE_PGM_RSRC2:TGID_Z_EN: 0
; COMPUTE_PGM_RSRC2:TIDIG_COMP_CNT: 0
	.section	.text._ZN7rocprim17ROCPRIM_400000_NS6detail17trampoline_kernelINS0_14default_configENS1_27scan_by_key_config_selectorIiiEEZZNS1_16scan_by_key_implILNS1_25lookback_scan_determinismE0ELb0ES3_N6thrust23THRUST_200600_302600_NS10device_ptrIiEESB_SB_iNS9_4plusIvEENS9_8equal_toIvEEiEE10hipError_tPvRmT2_T3_T4_T5_mT6_T7_P12ihipStream_tbENKUlT_T0_E_clISt17integral_constantIbLb0EESW_EEDaSR_SS_EUlSR_E_NS1_11comp_targetILNS1_3genE8ELNS1_11target_archE1030ELNS1_3gpuE2ELNS1_3repE0EEENS1_30default_config_static_selectorELNS0_4arch9wavefront6targetE0EEEvT1_,"axG",@progbits,_ZN7rocprim17ROCPRIM_400000_NS6detail17trampoline_kernelINS0_14default_configENS1_27scan_by_key_config_selectorIiiEEZZNS1_16scan_by_key_implILNS1_25lookback_scan_determinismE0ELb0ES3_N6thrust23THRUST_200600_302600_NS10device_ptrIiEESB_SB_iNS9_4plusIvEENS9_8equal_toIvEEiEE10hipError_tPvRmT2_T3_T4_T5_mT6_T7_P12ihipStream_tbENKUlT_T0_E_clISt17integral_constantIbLb0EESW_EEDaSR_SS_EUlSR_E_NS1_11comp_targetILNS1_3genE8ELNS1_11target_archE1030ELNS1_3gpuE2ELNS1_3repE0EEENS1_30default_config_static_selectorELNS0_4arch9wavefront6targetE0EEEvT1_,comdat
	.protected	_ZN7rocprim17ROCPRIM_400000_NS6detail17trampoline_kernelINS0_14default_configENS1_27scan_by_key_config_selectorIiiEEZZNS1_16scan_by_key_implILNS1_25lookback_scan_determinismE0ELb0ES3_N6thrust23THRUST_200600_302600_NS10device_ptrIiEESB_SB_iNS9_4plusIvEENS9_8equal_toIvEEiEE10hipError_tPvRmT2_T3_T4_T5_mT6_T7_P12ihipStream_tbENKUlT_T0_E_clISt17integral_constantIbLb0EESW_EEDaSR_SS_EUlSR_E_NS1_11comp_targetILNS1_3genE8ELNS1_11target_archE1030ELNS1_3gpuE2ELNS1_3repE0EEENS1_30default_config_static_selectorELNS0_4arch9wavefront6targetE0EEEvT1_ ; -- Begin function _ZN7rocprim17ROCPRIM_400000_NS6detail17trampoline_kernelINS0_14default_configENS1_27scan_by_key_config_selectorIiiEEZZNS1_16scan_by_key_implILNS1_25lookback_scan_determinismE0ELb0ES3_N6thrust23THRUST_200600_302600_NS10device_ptrIiEESB_SB_iNS9_4plusIvEENS9_8equal_toIvEEiEE10hipError_tPvRmT2_T3_T4_T5_mT6_T7_P12ihipStream_tbENKUlT_T0_E_clISt17integral_constantIbLb0EESW_EEDaSR_SS_EUlSR_E_NS1_11comp_targetILNS1_3genE8ELNS1_11target_archE1030ELNS1_3gpuE2ELNS1_3repE0EEENS1_30default_config_static_selectorELNS0_4arch9wavefront6targetE0EEEvT1_
	.globl	_ZN7rocprim17ROCPRIM_400000_NS6detail17trampoline_kernelINS0_14default_configENS1_27scan_by_key_config_selectorIiiEEZZNS1_16scan_by_key_implILNS1_25lookback_scan_determinismE0ELb0ES3_N6thrust23THRUST_200600_302600_NS10device_ptrIiEESB_SB_iNS9_4plusIvEENS9_8equal_toIvEEiEE10hipError_tPvRmT2_T3_T4_T5_mT6_T7_P12ihipStream_tbENKUlT_T0_E_clISt17integral_constantIbLb0EESW_EEDaSR_SS_EUlSR_E_NS1_11comp_targetILNS1_3genE8ELNS1_11target_archE1030ELNS1_3gpuE2ELNS1_3repE0EEENS1_30default_config_static_selectorELNS0_4arch9wavefront6targetE0EEEvT1_
	.p2align	8
	.type	_ZN7rocprim17ROCPRIM_400000_NS6detail17trampoline_kernelINS0_14default_configENS1_27scan_by_key_config_selectorIiiEEZZNS1_16scan_by_key_implILNS1_25lookback_scan_determinismE0ELb0ES3_N6thrust23THRUST_200600_302600_NS10device_ptrIiEESB_SB_iNS9_4plusIvEENS9_8equal_toIvEEiEE10hipError_tPvRmT2_T3_T4_T5_mT6_T7_P12ihipStream_tbENKUlT_T0_E_clISt17integral_constantIbLb0EESW_EEDaSR_SS_EUlSR_E_NS1_11comp_targetILNS1_3genE8ELNS1_11target_archE1030ELNS1_3gpuE2ELNS1_3repE0EEENS1_30default_config_static_selectorELNS0_4arch9wavefront6targetE0EEEvT1_,@function
_ZN7rocprim17ROCPRIM_400000_NS6detail17trampoline_kernelINS0_14default_configENS1_27scan_by_key_config_selectorIiiEEZZNS1_16scan_by_key_implILNS1_25lookback_scan_determinismE0ELb0ES3_N6thrust23THRUST_200600_302600_NS10device_ptrIiEESB_SB_iNS9_4plusIvEENS9_8equal_toIvEEiEE10hipError_tPvRmT2_T3_T4_T5_mT6_T7_P12ihipStream_tbENKUlT_T0_E_clISt17integral_constantIbLb0EESW_EEDaSR_SS_EUlSR_E_NS1_11comp_targetILNS1_3genE8ELNS1_11target_archE1030ELNS1_3gpuE2ELNS1_3repE0EEENS1_30default_config_static_selectorELNS0_4arch9wavefront6targetE0EEEvT1_: ; @_ZN7rocprim17ROCPRIM_400000_NS6detail17trampoline_kernelINS0_14default_configENS1_27scan_by_key_config_selectorIiiEEZZNS1_16scan_by_key_implILNS1_25lookback_scan_determinismE0ELb0ES3_N6thrust23THRUST_200600_302600_NS10device_ptrIiEESB_SB_iNS9_4plusIvEENS9_8equal_toIvEEiEE10hipError_tPvRmT2_T3_T4_T5_mT6_T7_P12ihipStream_tbENKUlT_T0_E_clISt17integral_constantIbLb0EESW_EEDaSR_SS_EUlSR_E_NS1_11comp_targetILNS1_3genE8ELNS1_11target_archE1030ELNS1_3gpuE2ELNS1_3repE0EEENS1_30default_config_static_selectorELNS0_4arch9wavefront6targetE0EEEvT1_
; %bb.0:
	.section	.rodata,"a",@progbits
	.p2align	6, 0x0
	.amdhsa_kernel _ZN7rocprim17ROCPRIM_400000_NS6detail17trampoline_kernelINS0_14default_configENS1_27scan_by_key_config_selectorIiiEEZZNS1_16scan_by_key_implILNS1_25lookback_scan_determinismE0ELb0ES3_N6thrust23THRUST_200600_302600_NS10device_ptrIiEESB_SB_iNS9_4plusIvEENS9_8equal_toIvEEiEE10hipError_tPvRmT2_T3_T4_T5_mT6_T7_P12ihipStream_tbENKUlT_T0_E_clISt17integral_constantIbLb0EESW_EEDaSR_SS_EUlSR_E_NS1_11comp_targetILNS1_3genE8ELNS1_11target_archE1030ELNS1_3gpuE2ELNS1_3repE0EEENS1_30default_config_static_selectorELNS0_4arch9wavefront6targetE0EEEvT1_
		.amdhsa_group_segment_fixed_size 0
		.amdhsa_private_segment_fixed_size 0
		.amdhsa_kernarg_size 112
		.amdhsa_user_sgpr_count 2
		.amdhsa_user_sgpr_dispatch_ptr 0
		.amdhsa_user_sgpr_queue_ptr 0
		.amdhsa_user_sgpr_kernarg_segment_ptr 1
		.amdhsa_user_sgpr_dispatch_id 0
		.amdhsa_user_sgpr_kernarg_preload_length 0
		.amdhsa_user_sgpr_kernarg_preload_offset 0
		.amdhsa_user_sgpr_private_segment_size 0
		.amdhsa_wavefront_size32 1
		.amdhsa_uses_dynamic_stack 0
		.amdhsa_enable_private_segment 0
		.amdhsa_system_sgpr_workgroup_id_x 1
		.amdhsa_system_sgpr_workgroup_id_y 0
		.amdhsa_system_sgpr_workgroup_id_z 0
		.amdhsa_system_sgpr_workgroup_info 0
		.amdhsa_system_vgpr_workitem_id 0
		.amdhsa_next_free_vgpr 1
		.amdhsa_next_free_sgpr 1
		.amdhsa_named_barrier_count 0
		.amdhsa_reserve_vcc 0
		.amdhsa_float_round_mode_32 0
		.amdhsa_float_round_mode_16_64 0
		.amdhsa_float_denorm_mode_32 3
		.amdhsa_float_denorm_mode_16_64 3
		.amdhsa_fp16_overflow 0
		.amdhsa_memory_ordered 1
		.amdhsa_forward_progress 1
		.amdhsa_inst_pref_size 0
		.amdhsa_round_robin_scheduling 0
		.amdhsa_exception_fp_ieee_invalid_op 0
		.amdhsa_exception_fp_denorm_src 0
		.amdhsa_exception_fp_ieee_div_zero 0
		.amdhsa_exception_fp_ieee_overflow 0
		.amdhsa_exception_fp_ieee_underflow 0
		.amdhsa_exception_fp_ieee_inexact 0
		.amdhsa_exception_int_div_zero 0
	.end_amdhsa_kernel
	.section	.text._ZN7rocprim17ROCPRIM_400000_NS6detail17trampoline_kernelINS0_14default_configENS1_27scan_by_key_config_selectorIiiEEZZNS1_16scan_by_key_implILNS1_25lookback_scan_determinismE0ELb0ES3_N6thrust23THRUST_200600_302600_NS10device_ptrIiEESB_SB_iNS9_4plusIvEENS9_8equal_toIvEEiEE10hipError_tPvRmT2_T3_T4_T5_mT6_T7_P12ihipStream_tbENKUlT_T0_E_clISt17integral_constantIbLb0EESW_EEDaSR_SS_EUlSR_E_NS1_11comp_targetILNS1_3genE8ELNS1_11target_archE1030ELNS1_3gpuE2ELNS1_3repE0EEENS1_30default_config_static_selectorELNS0_4arch9wavefront6targetE0EEEvT1_,"axG",@progbits,_ZN7rocprim17ROCPRIM_400000_NS6detail17trampoline_kernelINS0_14default_configENS1_27scan_by_key_config_selectorIiiEEZZNS1_16scan_by_key_implILNS1_25lookback_scan_determinismE0ELb0ES3_N6thrust23THRUST_200600_302600_NS10device_ptrIiEESB_SB_iNS9_4plusIvEENS9_8equal_toIvEEiEE10hipError_tPvRmT2_T3_T4_T5_mT6_T7_P12ihipStream_tbENKUlT_T0_E_clISt17integral_constantIbLb0EESW_EEDaSR_SS_EUlSR_E_NS1_11comp_targetILNS1_3genE8ELNS1_11target_archE1030ELNS1_3gpuE2ELNS1_3repE0EEENS1_30default_config_static_selectorELNS0_4arch9wavefront6targetE0EEEvT1_,comdat
.Lfunc_end2202:
	.size	_ZN7rocprim17ROCPRIM_400000_NS6detail17trampoline_kernelINS0_14default_configENS1_27scan_by_key_config_selectorIiiEEZZNS1_16scan_by_key_implILNS1_25lookback_scan_determinismE0ELb0ES3_N6thrust23THRUST_200600_302600_NS10device_ptrIiEESB_SB_iNS9_4plusIvEENS9_8equal_toIvEEiEE10hipError_tPvRmT2_T3_T4_T5_mT6_T7_P12ihipStream_tbENKUlT_T0_E_clISt17integral_constantIbLb0EESW_EEDaSR_SS_EUlSR_E_NS1_11comp_targetILNS1_3genE8ELNS1_11target_archE1030ELNS1_3gpuE2ELNS1_3repE0EEENS1_30default_config_static_selectorELNS0_4arch9wavefront6targetE0EEEvT1_, .Lfunc_end2202-_ZN7rocprim17ROCPRIM_400000_NS6detail17trampoline_kernelINS0_14default_configENS1_27scan_by_key_config_selectorIiiEEZZNS1_16scan_by_key_implILNS1_25lookback_scan_determinismE0ELb0ES3_N6thrust23THRUST_200600_302600_NS10device_ptrIiEESB_SB_iNS9_4plusIvEENS9_8equal_toIvEEiEE10hipError_tPvRmT2_T3_T4_T5_mT6_T7_P12ihipStream_tbENKUlT_T0_E_clISt17integral_constantIbLb0EESW_EEDaSR_SS_EUlSR_E_NS1_11comp_targetILNS1_3genE8ELNS1_11target_archE1030ELNS1_3gpuE2ELNS1_3repE0EEENS1_30default_config_static_selectorELNS0_4arch9wavefront6targetE0EEEvT1_
                                        ; -- End function
	.set _ZN7rocprim17ROCPRIM_400000_NS6detail17trampoline_kernelINS0_14default_configENS1_27scan_by_key_config_selectorIiiEEZZNS1_16scan_by_key_implILNS1_25lookback_scan_determinismE0ELb0ES3_N6thrust23THRUST_200600_302600_NS10device_ptrIiEESB_SB_iNS9_4plusIvEENS9_8equal_toIvEEiEE10hipError_tPvRmT2_T3_T4_T5_mT6_T7_P12ihipStream_tbENKUlT_T0_E_clISt17integral_constantIbLb0EESW_EEDaSR_SS_EUlSR_E_NS1_11comp_targetILNS1_3genE8ELNS1_11target_archE1030ELNS1_3gpuE2ELNS1_3repE0EEENS1_30default_config_static_selectorELNS0_4arch9wavefront6targetE0EEEvT1_.num_vgpr, 0
	.set _ZN7rocprim17ROCPRIM_400000_NS6detail17trampoline_kernelINS0_14default_configENS1_27scan_by_key_config_selectorIiiEEZZNS1_16scan_by_key_implILNS1_25lookback_scan_determinismE0ELb0ES3_N6thrust23THRUST_200600_302600_NS10device_ptrIiEESB_SB_iNS9_4plusIvEENS9_8equal_toIvEEiEE10hipError_tPvRmT2_T3_T4_T5_mT6_T7_P12ihipStream_tbENKUlT_T0_E_clISt17integral_constantIbLb0EESW_EEDaSR_SS_EUlSR_E_NS1_11comp_targetILNS1_3genE8ELNS1_11target_archE1030ELNS1_3gpuE2ELNS1_3repE0EEENS1_30default_config_static_selectorELNS0_4arch9wavefront6targetE0EEEvT1_.num_agpr, 0
	.set _ZN7rocprim17ROCPRIM_400000_NS6detail17trampoline_kernelINS0_14default_configENS1_27scan_by_key_config_selectorIiiEEZZNS1_16scan_by_key_implILNS1_25lookback_scan_determinismE0ELb0ES3_N6thrust23THRUST_200600_302600_NS10device_ptrIiEESB_SB_iNS9_4plusIvEENS9_8equal_toIvEEiEE10hipError_tPvRmT2_T3_T4_T5_mT6_T7_P12ihipStream_tbENKUlT_T0_E_clISt17integral_constantIbLb0EESW_EEDaSR_SS_EUlSR_E_NS1_11comp_targetILNS1_3genE8ELNS1_11target_archE1030ELNS1_3gpuE2ELNS1_3repE0EEENS1_30default_config_static_selectorELNS0_4arch9wavefront6targetE0EEEvT1_.numbered_sgpr, 0
	.set _ZN7rocprim17ROCPRIM_400000_NS6detail17trampoline_kernelINS0_14default_configENS1_27scan_by_key_config_selectorIiiEEZZNS1_16scan_by_key_implILNS1_25lookback_scan_determinismE0ELb0ES3_N6thrust23THRUST_200600_302600_NS10device_ptrIiEESB_SB_iNS9_4plusIvEENS9_8equal_toIvEEiEE10hipError_tPvRmT2_T3_T4_T5_mT6_T7_P12ihipStream_tbENKUlT_T0_E_clISt17integral_constantIbLb0EESW_EEDaSR_SS_EUlSR_E_NS1_11comp_targetILNS1_3genE8ELNS1_11target_archE1030ELNS1_3gpuE2ELNS1_3repE0EEENS1_30default_config_static_selectorELNS0_4arch9wavefront6targetE0EEEvT1_.num_named_barrier, 0
	.set _ZN7rocprim17ROCPRIM_400000_NS6detail17trampoline_kernelINS0_14default_configENS1_27scan_by_key_config_selectorIiiEEZZNS1_16scan_by_key_implILNS1_25lookback_scan_determinismE0ELb0ES3_N6thrust23THRUST_200600_302600_NS10device_ptrIiEESB_SB_iNS9_4plusIvEENS9_8equal_toIvEEiEE10hipError_tPvRmT2_T3_T4_T5_mT6_T7_P12ihipStream_tbENKUlT_T0_E_clISt17integral_constantIbLb0EESW_EEDaSR_SS_EUlSR_E_NS1_11comp_targetILNS1_3genE8ELNS1_11target_archE1030ELNS1_3gpuE2ELNS1_3repE0EEENS1_30default_config_static_selectorELNS0_4arch9wavefront6targetE0EEEvT1_.private_seg_size, 0
	.set _ZN7rocprim17ROCPRIM_400000_NS6detail17trampoline_kernelINS0_14default_configENS1_27scan_by_key_config_selectorIiiEEZZNS1_16scan_by_key_implILNS1_25lookback_scan_determinismE0ELb0ES3_N6thrust23THRUST_200600_302600_NS10device_ptrIiEESB_SB_iNS9_4plusIvEENS9_8equal_toIvEEiEE10hipError_tPvRmT2_T3_T4_T5_mT6_T7_P12ihipStream_tbENKUlT_T0_E_clISt17integral_constantIbLb0EESW_EEDaSR_SS_EUlSR_E_NS1_11comp_targetILNS1_3genE8ELNS1_11target_archE1030ELNS1_3gpuE2ELNS1_3repE0EEENS1_30default_config_static_selectorELNS0_4arch9wavefront6targetE0EEEvT1_.uses_vcc, 0
	.set _ZN7rocprim17ROCPRIM_400000_NS6detail17trampoline_kernelINS0_14default_configENS1_27scan_by_key_config_selectorIiiEEZZNS1_16scan_by_key_implILNS1_25lookback_scan_determinismE0ELb0ES3_N6thrust23THRUST_200600_302600_NS10device_ptrIiEESB_SB_iNS9_4plusIvEENS9_8equal_toIvEEiEE10hipError_tPvRmT2_T3_T4_T5_mT6_T7_P12ihipStream_tbENKUlT_T0_E_clISt17integral_constantIbLb0EESW_EEDaSR_SS_EUlSR_E_NS1_11comp_targetILNS1_3genE8ELNS1_11target_archE1030ELNS1_3gpuE2ELNS1_3repE0EEENS1_30default_config_static_selectorELNS0_4arch9wavefront6targetE0EEEvT1_.uses_flat_scratch, 0
	.set _ZN7rocprim17ROCPRIM_400000_NS6detail17trampoline_kernelINS0_14default_configENS1_27scan_by_key_config_selectorIiiEEZZNS1_16scan_by_key_implILNS1_25lookback_scan_determinismE0ELb0ES3_N6thrust23THRUST_200600_302600_NS10device_ptrIiEESB_SB_iNS9_4plusIvEENS9_8equal_toIvEEiEE10hipError_tPvRmT2_T3_T4_T5_mT6_T7_P12ihipStream_tbENKUlT_T0_E_clISt17integral_constantIbLb0EESW_EEDaSR_SS_EUlSR_E_NS1_11comp_targetILNS1_3genE8ELNS1_11target_archE1030ELNS1_3gpuE2ELNS1_3repE0EEENS1_30default_config_static_selectorELNS0_4arch9wavefront6targetE0EEEvT1_.has_dyn_sized_stack, 0
	.set _ZN7rocprim17ROCPRIM_400000_NS6detail17trampoline_kernelINS0_14default_configENS1_27scan_by_key_config_selectorIiiEEZZNS1_16scan_by_key_implILNS1_25lookback_scan_determinismE0ELb0ES3_N6thrust23THRUST_200600_302600_NS10device_ptrIiEESB_SB_iNS9_4plusIvEENS9_8equal_toIvEEiEE10hipError_tPvRmT2_T3_T4_T5_mT6_T7_P12ihipStream_tbENKUlT_T0_E_clISt17integral_constantIbLb0EESW_EEDaSR_SS_EUlSR_E_NS1_11comp_targetILNS1_3genE8ELNS1_11target_archE1030ELNS1_3gpuE2ELNS1_3repE0EEENS1_30default_config_static_selectorELNS0_4arch9wavefront6targetE0EEEvT1_.has_recursion, 0
	.set _ZN7rocprim17ROCPRIM_400000_NS6detail17trampoline_kernelINS0_14default_configENS1_27scan_by_key_config_selectorIiiEEZZNS1_16scan_by_key_implILNS1_25lookback_scan_determinismE0ELb0ES3_N6thrust23THRUST_200600_302600_NS10device_ptrIiEESB_SB_iNS9_4plusIvEENS9_8equal_toIvEEiEE10hipError_tPvRmT2_T3_T4_T5_mT6_T7_P12ihipStream_tbENKUlT_T0_E_clISt17integral_constantIbLb0EESW_EEDaSR_SS_EUlSR_E_NS1_11comp_targetILNS1_3genE8ELNS1_11target_archE1030ELNS1_3gpuE2ELNS1_3repE0EEENS1_30default_config_static_selectorELNS0_4arch9wavefront6targetE0EEEvT1_.has_indirect_call, 0
	.section	.AMDGPU.csdata,"",@progbits
; Kernel info:
; codeLenInByte = 0
; TotalNumSgprs: 0
; NumVgprs: 0
; ScratchSize: 0
; MemoryBound: 0
; FloatMode: 240
; IeeeMode: 1
; LDSByteSize: 0 bytes/workgroup (compile time only)
; SGPRBlocks: 0
; VGPRBlocks: 0
; NumSGPRsForWavesPerEU: 1
; NumVGPRsForWavesPerEU: 1
; NamedBarCnt: 0
; Occupancy: 16
; WaveLimiterHint : 0
; COMPUTE_PGM_RSRC2:SCRATCH_EN: 0
; COMPUTE_PGM_RSRC2:USER_SGPR: 2
; COMPUTE_PGM_RSRC2:TRAP_HANDLER: 0
; COMPUTE_PGM_RSRC2:TGID_X_EN: 1
; COMPUTE_PGM_RSRC2:TGID_Y_EN: 0
; COMPUTE_PGM_RSRC2:TGID_Z_EN: 0
; COMPUTE_PGM_RSRC2:TIDIG_COMP_CNT: 0
	.section	.text._ZN7rocprim17ROCPRIM_400000_NS6detail30init_device_scan_by_key_kernelINS1_19lookback_scan_stateINS0_5tupleIJibEEELb1ELb1EEEN6thrust23THRUST_200600_302600_NS10device_ptrIiEEjNS1_16block_id_wrapperIjLb1EEEEEvT_jjPNSD_10value_typeET0_PNSt15iterator_traitsISG_E10value_typeEmT1_T2_,"axG",@progbits,_ZN7rocprim17ROCPRIM_400000_NS6detail30init_device_scan_by_key_kernelINS1_19lookback_scan_stateINS0_5tupleIJibEEELb1ELb1EEEN6thrust23THRUST_200600_302600_NS10device_ptrIiEEjNS1_16block_id_wrapperIjLb1EEEEEvT_jjPNSD_10value_typeET0_PNSt15iterator_traitsISG_E10value_typeEmT1_T2_,comdat
	.protected	_ZN7rocprim17ROCPRIM_400000_NS6detail30init_device_scan_by_key_kernelINS1_19lookback_scan_stateINS0_5tupleIJibEEELb1ELb1EEEN6thrust23THRUST_200600_302600_NS10device_ptrIiEEjNS1_16block_id_wrapperIjLb1EEEEEvT_jjPNSD_10value_typeET0_PNSt15iterator_traitsISG_E10value_typeEmT1_T2_ ; -- Begin function _ZN7rocprim17ROCPRIM_400000_NS6detail30init_device_scan_by_key_kernelINS1_19lookback_scan_stateINS0_5tupleIJibEEELb1ELb1EEEN6thrust23THRUST_200600_302600_NS10device_ptrIiEEjNS1_16block_id_wrapperIjLb1EEEEEvT_jjPNSD_10value_typeET0_PNSt15iterator_traitsISG_E10value_typeEmT1_T2_
	.globl	_ZN7rocprim17ROCPRIM_400000_NS6detail30init_device_scan_by_key_kernelINS1_19lookback_scan_stateINS0_5tupleIJibEEELb1ELb1EEEN6thrust23THRUST_200600_302600_NS10device_ptrIiEEjNS1_16block_id_wrapperIjLb1EEEEEvT_jjPNSD_10value_typeET0_PNSt15iterator_traitsISG_E10value_typeEmT1_T2_
	.p2align	8
	.type	_ZN7rocprim17ROCPRIM_400000_NS6detail30init_device_scan_by_key_kernelINS1_19lookback_scan_stateINS0_5tupleIJibEEELb1ELb1EEEN6thrust23THRUST_200600_302600_NS10device_ptrIiEEjNS1_16block_id_wrapperIjLb1EEEEEvT_jjPNSD_10value_typeET0_PNSt15iterator_traitsISG_E10value_typeEmT1_T2_,@function
_ZN7rocprim17ROCPRIM_400000_NS6detail30init_device_scan_by_key_kernelINS1_19lookback_scan_stateINS0_5tupleIJibEEELb1ELb1EEEN6thrust23THRUST_200600_302600_NS10device_ptrIiEEjNS1_16block_id_wrapperIjLb1EEEEEvT_jjPNSD_10value_typeET0_PNSt15iterator_traitsISG_E10value_typeEmT1_T2_: ; @_ZN7rocprim17ROCPRIM_400000_NS6detail30init_device_scan_by_key_kernelINS1_19lookback_scan_stateINS0_5tupleIJibEEELb1ELb1EEEN6thrust23THRUST_200600_302600_NS10device_ptrIiEEjNS1_16block_id_wrapperIjLb1EEEEEvT_jjPNSD_10value_typeET0_PNSt15iterator_traitsISG_E10value_typeEmT1_T2_
; %bb.0:
	s_clause 0x2
	s_load_b32 s2, s[0:1], 0x4c
	s_load_b32 s14, s[0:1], 0x40
	s_load_b256 s[4:11], s[0:1], 0x0
	s_bfe_u32 s3, ttmp6, 0x4000c
	s_and_b32 s12, ttmp6, 15
	s_add_co_i32 s3, s3, 1
	s_getreg_b32 s13, hwreg(HW_REG_IB_STS2, 6, 4)
	s_mul_i32 s3, ttmp9, s3
	s_delay_alu instid0(SALU_CYCLE_1)
	s_add_co_i32 s12, s12, s3
	s_wait_kmcnt 0x0
	s_and_b32 s15, s2, 0xffff
	s_cmp_eq_u32 s13, 0
	s_cselect_b32 s2, ttmp9, s12
	s_cmp_eq_u64 s[8:9], 0
	v_mad_u32 v4, s2, s15, v0
	s_cbranch_scc1 .LBB2203_10
; %bb.1:
	s_cmp_lt_u32 s7, s6
	s_mov_b32 s16, exec_lo
	s_cselect_b32 s2, s7, 0
	s_delay_alu instid0(VALU_DEP_1) | instid1(SALU_CYCLE_1)
	v_cmpx_eq_u32_e64 s2, v4
	s_cbranch_execz .LBB2203_9
; %bb.2:
	s_add_co_i32 s2, s7, 32
	s_mov_b32 s3, 0
	v_mov_b32_e32 v7, 0
	s_lshl_b64 s[12:13], s[2:3], 4
	s_mov_b32 s2, exec_lo
	s_add_nc_u64 s[12:13], s[4:5], s[12:13]
	s_delay_alu instid0(SALU_CYCLE_1) | instskip(SKIP_2) | instid1(VALU_DEP_1)
	v_mov_b64_e32 v[0:1], s[12:13]
	;;#ASMSTART
	global_load_b128 v[0:3], v[0:1] off scope:SCOPE_DEV	
s_wait_loadcnt 0x0
	;;#ASMEND
	v_and_b32_e32 v6, 0xff, v2
	v_cmpx_eq_u64_e32 0, v[6:7]
	s_cbranch_execz .LBB2203_8
; %bb.3:
	v_mov_b64_e32 v[8:9], s[12:13]
	s_mov_b32 s7, 1
.LBB2203_4:                             ; =>This Loop Header: Depth=1
                                        ;     Child Loop BB2203_5 Depth 2
	s_delay_alu instid0(SALU_CYCLE_1)
	s_mov_b32 s12, s7
.LBB2203_5:                             ;   Parent Loop BB2203_4 Depth=1
                                        ; =>  This Inner Loop Header: Depth=2
	s_delay_alu instid0(SALU_CYCLE_1)
	s_add_co_i32 s12, s12, -1
	s_sleep 1
	s_cmp_eq_u32 s12, 0
	s_cbranch_scc0 .LBB2203_5
; %bb.6:                                ;   in Loop: Header=BB2203_4 Depth=1
	;;#ASMSTART
	global_load_b128 v[0:3], v[8:9] off scope:SCOPE_DEV	
s_wait_loadcnt 0x0
	;;#ASMEND
	v_and_b32_e32 v6, 0xff, v2
	s_cmp_lt_u32 s7, 32
	s_cselect_b32 s12, -1, 0
	s_delay_alu instid0(VALU_DEP_1) | instskip(SKIP_3) | instid1(SALU_CYCLE_1)
	v_cmp_ne_u64_e32 vcc_lo, 0, v[6:7]
	s_cmp_lg_u32 s12, 0
	s_add_co_ci_u32 s7, s7, 0
	s_or_b32 s3, vcc_lo, s3
	s_and_not1_b32 exec_lo, exec_lo, s3
	s_cbranch_execnz .LBB2203_4
; %bb.7:
	s_or_b32 exec_lo, exec_lo, s3
.LBB2203_8:
	s_delay_alu instid0(SALU_CYCLE_1)
	s_or_b32 exec_lo, exec_lo, s2
	v_mov_b32_e32 v2, 0
	s_clause 0x1
	global_store_b32 v2, v0, s[8:9]
	global_store_b8 v2, v1, s[8:9] offset:4
.LBB2203_9:
	s_wait_xcnt 0x0
	s_or_b32 exec_lo, exec_lo, s16
.LBB2203_10:
	s_delay_alu instid0(SALU_CYCLE_1) | instskip(NEXT) | instid1(VALU_DEP_1)
	s_mov_b32 s2, exec_lo
	v_cmpx_eq_u32_e32 0, v4
	s_cbranch_execz .LBB2203_12
; %bb.11:
	s_load_b64 s[8:9], s[0:1], 0x38
	v_mov_b32_e32 v0, 0
	s_wait_kmcnt 0x0
	global_store_b32 v0, v0, s[8:9]
.LBB2203_12:
	s_wait_xcnt 0x0
	s_or_b32 exec_lo, exec_lo, s2
	s_delay_alu instid0(SALU_CYCLE_1)
	s_mov_b32 s2, exec_lo
	v_cmpx_gt_u32_e64 s6, v4
	s_cbranch_execz .LBB2203_14
; %bb.13:
	v_dual_mov_b32 v0, 0 :: v_dual_add_nc_u32 v5, 32, v4
	s_delay_alu instid0(VALU_DEP_1)
	v_dual_mov_b32 v1, v0 :: v_dual_mov_b32 v2, v0
	v_mov_b32_e32 v3, v0
	global_store_b128 v5, v[0:3], s[4:5] scale_offset
.LBB2203_14:
	s_wait_xcnt 0x0
	s_or_b32 exec_lo, exec_lo, s2
	v_mov_b32_e32 v5, 0
	s_mov_b32 s2, exec_lo
	v_cmpx_gt_u32_e32 32, v4
	s_cbranch_execz .LBB2203_16
; %bb.15:
	s_delay_alu instid0(VALU_DEP_2)
	v_lshl_add_u64 v[6:7], v[4:5], 4, s[4:5]
	v_dual_mov_b32 v2, 0xff :: v_dual_mov_b32 v1, v5
	v_dual_mov_b32 v0, v5 :: v_dual_mov_b32 v3, v5
	global_store_b128 v[6:7], v[0:3], off
.LBB2203_16:
	s_wait_xcnt 0x0
	s_or_b32 exec_lo, exec_lo, s2
	s_load_b64 s[2:3], s[0:1], 0x28
	s_mov_b32 s4, exec_lo
	s_wait_kmcnt 0x0
	v_cmpx_gt_u64_e64 s[2:3], v[4:5]
	s_cbranch_execz .LBB2203_19
; %bb.17:
	s_clause 0x1
	s_load_b32 s4, s[0:1], 0x30
	s_load_b64 s[6:7], s[0:1], 0x20
	s_mov_b32 s5, 0
	s_wait_xcnt 0x0
	s_mul_i32 s0, s14, s15
	s_mov_b32 s9, s5
	s_mov_b32 s1, s5
	s_wait_kmcnt 0x0
	v_mul_u64_e32 v[0:1], s[4:5], v[4:5]
	s_add_co_i32 s8, s4, -1
	v_lshl_add_u64 v[2:3], v[4:5], 2, s[6:7]
	s_lshl_b64 s[8:9], s[8:9], 2
	s_delay_alu instid0(SALU_CYCLE_1) | instskip(SKIP_1) | instid1(SALU_CYCLE_1)
	s_add_nc_u64 s[8:9], s[10:11], s[8:9]
	s_mul_u64 s[10:11], s[4:5], s[0:1]
	s_lshl_b64 s[6:7], s[10:11], 2
	s_delay_alu instid0(VALU_DEP_2)
	v_lshl_add_u64 v[0:1], v[0:1], 2, s[8:9]
	s_lshl_b64 s[8:9], s[0:1], 2
.LBB2203_18:                            ; =>This Inner Loop Header: Depth=1
	global_load_b32 v6, v[0:1], off
	v_add_nc_u64_e32 v[4:5], s[0:1], v[4:5]
	s_wait_xcnt 0x0
	v_add_nc_u64_e32 v[0:1], s[6:7], v[0:1]
	s_delay_alu instid0(VALU_DEP_2)
	v_cmp_le_u64_e32 vcc_lo, s[2:3], v[4:5]
	s_or_b32 s5, vcc_lo, s5
	s_wait_loadcnt 0x0
	global_store_b32 v[2:3], v6, off
	s_wait_xcnt 0x0
	v_add_nc_u64_e32 v[2:3], s[8:9], v[2:3]
	s_and_not1_b32 exec_lo, exec_lo, s5
	s_cbranch_execnz .LBB2203_18
.LBB2203_19:
	s_endpgm
	.section	.rodata,"a",@progbits
	.p2align	6, 0x0
	.amdhsa_kernel _ZN7rocprim17ROCPRIM_400000_NS6detail30init_device_scan_by_key_kernelINS1_19lookback_scan_stateINS0_5tupleIJibEEELb1ELb1EEEN6thrust23THRUST_200600_302600_NS10device_ptrIiEEjNS1_16block_id_wrapperIjLb1EEEEEvT_jjPNSD_10value_typeET0_PNSt15iterator_traitsISG_E10value_typeEmT1_T2_
		.amdhsa_group_segment_fixed_size 0
		.amdhsa_private_segment_fixed_size 0
		.amdhsa_kernarg_size 320
		.amdhsa_user_sgpr_count 2
		.amdhsa_user_sgpr_dispatch_ptr 0
		.amdhsa_user_sgpr_queue_ptr 0
		.amdhsa_user_sgpr_kernarg_segment_ptr 1
		.amdhsa_user_sgpr_dispatch_id 0
		.amdhsa_user_sgpr_kernarg_preload_length 0
		.amdhsa_user_sgpr_kernarg_preload_offset 0
		.amdhsa_user_sgpr_private_segment_size 0
		.amdhsa_wavefront_size32 1
		.amdhsa_uses_dynamic_stack 0
		.amdhsa_enable_private_segment 0
		.amdhsa_system_sgpr_workgroup_id_x 1
		.amdhsa_system_sgpr_workgroup_id_y 0
		.amdhsa_system_sgpr_workgroup_id_z 0
		.amdhsa_system_sgpr_workgroup_info 0
		.amdhsa_system_vgpr_workitem_id 0
		.amdhsa_next_free_vgpr 10
		.amdhsa_next_free_sgpr 17
		.amdhsa_named_barrier_count 0
		.amdhsa_reserve_vcc 1
		.amdhsa_float_round_mode_32 0
		.amdhsa_float_round_mode_16_64 0
		.amdhsa_float_denorm_mode_32 3
		.amdhsa_float_denorm_mode_16_64 3
		.amdhsa_fp16_overflow 0
		.amdhsa_memory_ordered 1
		.amdhsa_forward_progress 1
		.amdhsa_inst_pref_size 6
		.amdhsa_round_robin_scheduling 0
		.amdhsa_exception_fp_ieee_invalid_op 0
		.amdhsa_exception_fp_denorm_src 0
		.amdhsa_exception_fp_ieee_div_zero 0
		.amdhsa_exception_fp_ieee_overflow 0
		.amdhsa_exception_fp_ieee_underflow 0
		.amdhsa_exception_fp_ieee_inexact 0
		.amdhsa_exception_int_div_zero 0
	.end_amdhsa_kernel
	.section	.text._ZN7rocprim17ROCPRIM_400000_NS6detail30init_device_scan_by_key_kernelINS1_19lookback_scan_stateINS0_5tupleIJibEEELb1ELb1EEEN6thrust23THRUST_200600_302600_NS10device_ptrIiEEjNS1_16block_id_wrapperIjLb1EEEEEvT_jjPNSD_10value_typeET0_PNSt15iterator_traitsISG_E10value_typeEmT1_T2_,"axG",@progbits,_ZN7rocprim17ROCPRIM_400000_NS6detail30init_device_scan_by_key_kernelINS1_19lookback_scan_stateINS0_5tupleIJibEEELb1ELb1EEEN6thrust23THRUST_200600_302600_NS10device_ptrIiEEjNS1_16block_id_wrapperIjLb1EEEEEvT_jjPNSD_10value_typeET0_PNSt15iterator_traitsISG_E10value_typeEmT1_T2_,comdat
.Lfunc_end2203:
	.size	_ZN7rocprim17ROCPRIM_400000_NS6detail30init_device_scan_by_key_kernelINS1_19lookback_scan_stateINS0_5tupleIJibEEELb1ELb1EEEN6thrust23THRUST_200600_302600_NS10device_ptrIiEEjNS1_16block_id_wrapperIjLb1EEEEEvT_jjPNSD_10value_typeET0_PNSt15iterator_traitsISG_E10value_typeEmT1_T2_, .Lfunc_end2203-_ZN7rocprim17ROCPRIM_400000_NS6detail30init_device_scan_by_key_kernelINS1_19lookback_scan_stateINS0_5tupleIJibEEELb1ELb1EEEN6thrust23THRUST_200600_302600_NS10device_ptrIiEEjNS1_16block_id_wrapperIjLb1EEEEEvT_jjPNSD_10value_typeET0_PNSt15iterator_traitsISG_E10value_typeEmT1_T2_
                                        ; -- End function
	.set _ZN7rocprim17ROCPRIM_400000_NS6detail30init_device_scan_by_key_kernelINS1_19lookback_scan_stateINS0_5tupleIJibEEELb1ELb1EEEN6thrust23THRUST_200600_302600_NS10device_ptrIiEEjNS1_16block_id_wrapperIjLb1EEEEEvT_jjPNSD_10value_typeET0_PNSt15iterator_traitsISG_E10value_typeEmT1_T2_.num_vgpr, 10
	.set _ZN7rocprim17ROCPRIM_400000_NS6detail30init_device_scan_by_key_kernelINS1_19lookback_scan_stateINS0_5tupleIJibEEELb1ELb1EEEN6thrust23THRUST_200600_302600_NS10device_ptrIiEEjNS1_16block_id_wrapperIjLb1EEEEEvT_jjPNSD_10value_typeET0_PNSt15iterator_traitsISG_E10value_typeEmT1_T2_.num_agpr, 0
	.set _ZN7rocprim17ROCPRIM_400000_NS6detail30init_device_scan_by_key_kernelINS1_19lookback_scan_stateINS0_5tupleIJibEEELb1ELb1EEEN6thrust23THRUST_200600_302600_NS10device_ptrIiEEjNS1_16block_id_wrapperIjLb1EEEEEvT_jjPNSD_10value_typeET0_PNSt15iterator_traitsISG_E10value_typeEmT1_T2_.numbered_sgpr, 17
	.set _ZN7rocprim17ROCPRIM_400000_NS6detail30init_device_scan_by_key_kernelINS1_19lookback_scan_stateINS0_5tupleIJibEEELb1ELb1EEEN6thrust23THRUST_200600_302600_NS10device_ptrIiEEjNS1_16block_id_wrapperIjLb1EEEEEvT_jjPNSD_10value_typeET0_PNSt15iterator_traitsISG_E10value_typeEmT1_T2_.num_named_barrier, 0
	.set _ZN7rocprim17ROCPRIM_400000_NS6detail30init_device_scan_by_key_kernelINS1_19lookback_scan_stateINS0_5tupleIJibEEELb1ELb1EEEN6thrust23THRUST_200600_302600_NS10device_ptrIiEEjNS1_16block_id_wrapperIjLb1EEEEEvT_jjPNSD_10value_typeET0_PNSt15iterator_traitsISG_E10value_typeEmT1_T2_.private_seg_size, 0
	.set _ZN7rocprim17ROCPRIM_400000_NS6detail30init_device_scan_by_key_kernelINS1_19lookback_scan_stateINS0_5tupleIJibEEELb1ELb1EEEN6thrust23THRUST_200600_302600_NS10device_ptrIiEEjNS1_16block_id_wrapperIjLb1EEEEEvT_jjPNSD_10value_typeET0_PNSt15iterator_traitsISG_E10value_typeEmT1_T2_.uses_vcc, 1
	.set _ZN7rocprim17ROCPRIM_400000_NS6detail30init_device_scan_by_key_kernelINS1_19lookback_scan_stateINS0_5tupleIJibEEELb1ELb1EEEN6thrust23THRUST_200600_302600_NS10device_ptrIiEEjNS1_16block_id_wrapperIjLb1EEEEEvT_jjPNSD_10value_typeET0_PNSt15iterator_traitsISG_E10value_typeEmT1_T2_.uses_flat_scratch, 0
	.set _ZN7rocprim17ROCPRIM_400000_NS6detail30init_device_scan_by_key_kernelINS1_19lookback_scan_stateINS0_5tupleIJibEEELb1ELb1EEEN6thrust23THRUST_200600_302600_NS10device_ptrIiEEjNS1_16block_id_wrapperIjLb1EEEEEvT_jjPNSD_10value_typeET0_PNSt15iterator_traitsISG_E10value_typeEmT1_T2_.has_dyn_sized_stack, 0
	.set _ZN7rocprim17ROCPRIM_400000_NS6detail30init_device_scan_by_key_kernelINS1_19lookback_scan_stateINS0_5tupleIJibEEELb1ELb1EEEN6thrust23THRUST_200600_302600_NS10device_ptrIiEEjNS1_16block_id_wrapperIjLb1EEEEEvT_jjPNSD_10value_typeET0_PNSt15iterator_traitsISG_E10value_typeEmT1_T2_.has_recursion, 0
	.set _ZN7rocprim17ROCPRIM_400000_NS6detail30init_device_scan_by_key_kernelINS1_19lookback_scan_stateINS0_5tupleIJibEEELb1ELb1EEEN6thrust23THRUST_200600_302600_NS10device_ptrIiEEjNS1_16block_id_wrapperIjLb1EEEEEvT_jjPNSD_10value_typeET0_PNSt15iterator_traitsISG_E10value_typeEmT1_T2_.has_indirect_call, 0
	.section	.AMDGPU.csdata,"",@progbits
; Kernel info:
; codeLenInByte = 684
; TotalNumSgprs: 19
; NumVgprs: 10
; ScratchSize: 0
; MemoryBound: 0
; FloatMode: 240
; IeeeMode: 1
; LDSByteSize: 0 bytes/workgroup (compile time only)
; SGPRBlocks: 0
; VGPRBlocks: 0
; NumSGPRsForWavesPerEU: 19
; NumVGPRsForWavesPerEU: 10
; NamedBarCnt: 0
; Occupancy: 16
; WaveLimiterHint : 0
; COMPUTE_PGM_RSRC2:SCRATCH_EN: 0
; COMPUTE_PGM_RSRC2:USER_SGPR: 2
; COMPUTE_PGM_RSRC2:TRAP_HANDLER: 0
; COMPUTE_PGM_RSRC2:TGID_X_EN: 1
; COMPUTE_PGM_RSRC2:TGID_Y_EN: 0
; COMPUTE_PGM_RSRC2:TGID_Z_EN: 0
; COMPUTE_PGM_RSRC2:TIDIG_COMP_CNT: 0
	.section	.text._ZN7rocprim17ROCPRIM_400000_NS6detail17trampoline_kernelINS0_14default_configENS1_27scan_by_key_config_selectorIiiEEZZNS1_16scan_by_key_implILNS1_25lookback_scan_determinismE0ELb0ES3_N6thrust23THRUST_200600_302600_NS10device_ptrIiEESB_SB_iNS9_4plusIvEENS9_8equal_toIvEEiEE10hipError_tPvRmT2_T3_T4_T5_mT6_T7_P12ihipStream_tbENKUlT_T0_E_clISt17integral_constantIbLb1EESW_EEDaSR_SS_EUlSR_E_NS1_11comp_targetILNS1_3genE0ELNS1_11target_archE4294967295ELNS1_3gpuE0ELNS1_3repE0EEENS1_30default_config_static_selectorELNS0_4arch9wavefront6targetE0EEEvT1_,"axG",@progbits,_ZN7rocprim17ROCPRIM_400000_NS6detail17trampoline_kernelINS0_14default_configENS1_27scan_by_key_config_selectorIiiEEZZNS1_16scan_by_key_implILNS1_25lookback_scan_determinismE0ELb0ES3_N6thrust23THRUST_200600_302600_NS10device_ptrIiEESB_SB_iNS9_4plusIvEENS9_8equal_toIvEEiEE10hipError_tPvRmT2_T3_T4_T5_mT6_T7_P12ihipStream_tbENKUlT_T0_E_clISt17integral_constantIbLb1EESW_EEDaSR_SS_EUlSR_E_NS1_11comp_targetILNS1_3genE0ELNS1_11target_archE4294967295ELNS1_3gpuE0ELNS1_3repE0EEENS1_30default_config_static_selectorELNS0_4arch9wavefront6targetE0EEEvT1_,comdat
	.protected	_ZN7rocprim17ROCPRIM_400000_NS6detail17trampoline_kernelINS0_14default_configENS1_27scan_by_key_config_selectorIiiEEZZNS1_16scan_by_key_implILNS1_25lookback_scan_determinismE0ELb0ES3_N6thrust23THRUST_200600_302600_NS10device_ptrIiEESB_SB_iNS9_4plusIvEENS9_8equal_toIvEEiEE10hipError_tPvRmT2_T3_T4_T5_mT6_T7_P12ihipStream_tbENKUlT_T0_E_clISt17integral_constantIbLb1EESW_EEDaSR_SS_EUlSR_E_NS1_11comp_targetILNS1_3genE0ELNS1_11target_archE4294967295ELNS1_3gpuE0ELNS1_3repE0EEENS1_30default_config_static_selectorELNS0_4arch9wavefront6targetE0EEEvT1_ ; -- Begin function _ZN7rocprim17ROCPRIM_400000_NS6detail17trampoline_kernelINS0_14default_configENS1_27scan_by_key_config_selectorIiiEEZZNS1_16scan_by_key_implILNS1_25lookback_scan_determinismE0ELb0ES3_N6thrust23THRUST_200600_302600_NS10device_ptrIiEESB_SB_iNS9_4plusIvEENS9_8equal_toIvEEiEE10hipError_tPvRmT2_T3_T4_T5_mT6_T7_P12ihipStream_tbENKUlT_T0_E_clISt17integral_constantIbLb1EESW_EEDaSR_SS_EUlSR_E_NS1_11comp_targetILNS1_3genE0ELNS1_11target_archE4294967295ELNS1_3gpuE0ELNS1_3repE0EEENS1_30default_config_static_selectorELNS0_4arch9wavefront6targetE0EEEvT1_
	.globl	_ZN7rocprim17ROCPRIM_400000_NS6detail17trampoline_kernelINS0_14default_configENS1_27scan_by_key_config_selectorIiiEEZZNS1_16scan_by_key_implILNS1_25lookback_scan_determinismE0ELb0ES3_N6thrust23THRUST_200600_302600_NS10device_ptrIiEESB_SB_iNS9_4plusIvEENS9_8equal_toIvEEiEE10hipError_tPvRmT2_T3_T4_T5_mT6_T7_P12ihipStream_tbENKUlT_T0_E_clISt17integral_constantIbLb1EESW_EEDaSR_SS_EUlSR_E_NS1_11comp_targetILNS1_3genE0ELNS1_11target_archE4294967295ELNS1_3gpuE0ELNS1_3repE0EEENS1_30default_config_static_selectorELNS0_4arch9wavefront6targetE0EEEvT1_
	.p2align	8
	.type	_ZN7rocprim17ROCPRIM_400000_NS6detail17trampoline_kernelINS0_14default_configENS1_27scan_by_key_config_selectorIiiEEZZNS1_16scan_by_key_implILNS1_25lookback_scan_determinismE0ELb0ES3_N6thrust23THRUST_200600_302600_NS10device_ptrIiEESB_SB_iNS9_4plusIvEENS9_8equal_toIvEEiEE10hipError_tPvRmT2_T3_T4_T5_mT6_T7_P12ihipStream_tbENKUlT_T0_E_clISt17integral_constantIbLb1EESW_EEDaSR_SS_EUlSR_E_NS1_11comp_targetILNS1_3genE0ELNS1_11target_archE4294967295ELNS1_3gpuE0ELNS1_3repE0EEENS1_30default_config_static_selectorELNS0_4arch9wavefront6targetE0EEEvT1_,@function
_ZN7rocprim17ROCPRIM_400000_NS6detail17trampoline_kernelINS0_14default_configENS1_27scan_by_key_config_selectorIiiEEZZNS1_16scan_by_key_implILNS1_25lookback_scan_determinismE0ELb0ES3_N6thrust23THRUST_200600_302600_NS10device_ptrIiEESB_SB_iNS9_4plusIvEENS9_8equal_toIvEEiEE10hipError_tPvRmT2_T3_T4_T5_mT6_T7_P12ihipStream_tbENKUlT_T0_E_clISt17integral_constantIbLb1EESW_EEDaSR_SS_EUlSR_E_NS1_11comp_targetILNS1_3genE0ELNS1_11target_archE4294967295ELNS1_3gpuE0ELNS1_3repE0EEENS1_30default_config_static_selectorELNS0_4arch9wavefront6targetE0EEEvT1_: ; @_ZN7rocprim17ROCPRIM_400000_NS6detail17trampoline_kernelINS0_14default_configENS1_27scan_by_key_config_selectorIiiEEZZNS1_16scan_by_key_implILNS1_25lookback_scan_determinismE0ELb0ES3_N6thrust23THRUST_200600_302600_NS10device_ptrIiEESB_SB_iNS9_4plusIvEENS9_8equal_toIvEEiEE10hipError_tPvRmT2_T3_T4_T5_mT6_T7_P12ihipStream_tbENKUlT_T0_E_clISt17integral_constantIbLb1EESW_EEDaSR_SS_EUlSR_E_NS1_11comp_targetILNS1_3genE0ELNS1_11target_archE4294967295ELNS1_3gpuE0ELNS1_3repE0EEENS1_30default_config_static_selectorELNS0_4arch9wavefront6targetE0EEEvT1_
; %bb.0:
	s_endpgm
	.section	.rodata,"a",@progbits
	.p2align	6, 0x0
	.amdhsa_kernel _ZN7rocprim17ROCPRIM_400000_NS6detail17trampoline_kernelINS0_14default_configENS1_27scan_by_key_config_selectorIiiEEZZNS1_16scan_by_key_implILNS1_25lookback_scan_determinismE0ELb0ES3_N6thrust23THRUST_200600_302600_NS10device_ptrIiEESB_SB_iNS9_4plusIvEENS9_8equal_toIvEEiEE10hipError_tPvRmT2_T3_T4_T5_mT6_T7_P12ihipStream_tbENKUlT_T0_E_clISt17integral_constantIbLb1EESW_EEDaSR_SS_EUlSR_E_NS1_11comp_targetILNS1_3genE0ELNS1_11target_archE4294967295ELNS1_3gpuE0ELNS1_3repE0EEENS1_30default_config_static_selectorELNS0_4arch9wavefront6targetE0EEEvT1_
		.amdhsa_group_segment_fixed_size 0
		.amdhsa_private_segment_fixed_size 0
		.amdhsa_kernarg_size 112
		.amdhsa_user_sgpr_count 2
		.amdhsa_user_sgpr_dispatch_ptr 0
		.amdhsa_user_sgpr_queue_ptr 0
		.amdhsa_user_sgpr_kernarg_segment_ptr 1
		.amdhsa_user_sgpr_dispatch_id 0
		.amdhsa_user_sgpr_kernarg_preload_length 0
		.amdhsa_user_sgpr_kernarg_preload_offset 0
		.amdhsa_user_sgpr_private_segment_size 0
		.amdhsa_wavefront_size32 1
		.amdhsa_uses_dynamic_stack 0
		.amdhsa_enable_private_segment 0
		.amdhsa_system_sgpr_workgroup_id_x 1
		.amdhsa_system_sgpr_workgroup_id_y 0
		.amdhsa_system_sgpr_workgroup_id_z 0
		.amdhsa_system_sgpr_workgroup_info 0
		.amdhsa_system_vgpr_workitem_id 0
		.amdhsa_next_free_vgpr 1
		.amdhsa_next_free_sgpr 1
		.amdhsa_named_barrier_count 0
		.amdhsa_reserve_vcc 0
		.amdhsa_float_round_mode_32 0
		.amdhsa_float_round_mode_16_64 0
		.amdhsa_float_denorm_mode_32 3
		.amdhsa_float_denorm_mode_16_64 3
		.amdhsa_fp16_overflow 0
		.amdhsa_memory_ordered 1
		.amdhsa_forward_progress 1
		.amdhsa_inst_pref_size 1
		.amdhsa_round_robin_scheduling 0
		.amdhsa_exception_fp_ieee_invalid_op 0
		.amdhsa_exception_fp_denorm_src 0
		.amdhsa_exception_fp_ieee_div_zero 0
		.amdhsa_exception_fp_ieee_overflow 0
		.amdhsa_exception_fp_ieee_underflow 0
		.amdhsa_exception_fp_ieee_inexact 0
		.amdhsa_exception_int_div_zero 0
	.end_amdhsa_kernel
	.section	.text._ZN7rocprim17ROCPRIM_400000_NS6detail17trampoline_kernelINS0_14default_configENS1_27scan_by_key_config_selectorIiiEEZZNS1_16scan_by_key_implILNS1_25lookback_scan_determinismE0ELb0ES3_N6thrust23THRUST_200600_302600_NS10device_ptrIiEESB_SB_iNS9_4plusIvEENS9_8equal_toIvEEiEE10hipError_tPvRmT2_T3_T4_T5_mT6_T7_P12ihipStream_tbENKUlT_T0_E_clISt17integral_constantIbLb1EESW_EEDaSR_SS_EUlSR_E_NS1_11comp_targetILNS1_3genE0ELNS1_11target_archE4294967295ELNS1_3gpuE0ELNS1_3repE0EEENS1_30default_config_static_selectorELNS0_4arch9wavefront6targetE0EEEvT1_,"axG",@progbits,_ZN7rocprim17ROCPRIM_400000_NS6detail17trampoline_kernelINS0_14default_configENS1_27scan_by_key_config_selectorIiiEEZZNS1_16scan_by_key_implILNS1_25lookback_scan_determinismE0ELb0ES3_N6thrust23THRUST_200600_302600_NS10device_ptrIiEESB_SB_iNS9_4plusIvEENS9_8equal_toIvEEiEE10hipError_tPvRmT2_T3_T4_T5_mT6_T7_P12ihipStream_tbENKUlT_T0_E_clISt17integral_constantIbLb1EESW_EEDaSR_SS_EUlSR_E_NS1_11comp_targetILNS1_3genE0ELNS1_11target_archE4294967295ELNS1_3gpuE0ELNS1_3repE0EEENS1_30default_config_static_selectorELNS0_4arch9wavefront6targetE0EEEvT1_,comdat
.Lfunc_end2204:
	.size	_ZN7rocprim17ROCPRIM_400000_NS6detail17trampoline_kernelINS0_14default_configENS1_27scan_by_key_config_selectorIiiEEZZNS1_16scan_by_key_implILNS1_25lookback_scan_determinismE0ELb0ES3_N6thrust23THRUST_200600_302600_NS10device_ptrIiEESB_SB_iNS9_4plusIvEENS9_8equal_toIvEEiEE10hipError_tPvRmT2_T3_T4_T5_mT6_T7_P12ihipStream_tbENKUlT_T0_E_clISt17integral_constantIbLb1EESW_EEDaSR_SS_EUlSR_E_NS1_11comp_targetILNS1_3genE0ELNS1_11target_archE4294967295ELNS1_3gpuE0ELNS1_3repE0EEENS1_30default_config_static_selectorELNS0_4arch9wavefront6targetE0EEEvT1_, .Lfunc_end2204-_ZN7rocprim17ROCPRIM_400000_NS6detail17trampoline_kernelINS0_14default_configENS1_27scan_by_key_config_selectorIiiEEZZNS1_16scan_by_key_implILNS1_25lookback_scan_determinismE0ELb0ES3_N6thrust23THRUST_200600_302600_NS10device_ptrIiEESB_SB_iNS9_4plusIvEENS9_8equal_toIvEEiEE10hipError_tPvRmT2_T3_T4_T5_mT6_T7_P12ihipStream_tbENKUlT_T0_E_clISt17integral_constantIbLb1EESW_EEDaSR_SS_EUlSR_E_NS1_11comp_targetILNS1_3genE0ELNS1_11target_archE4294967295ELNS1_3gpuE0ELNS1_3repE0EEENS1_30default_config_static_selectorELNS0_4arch9wavefront6targetE0EEEvT1_
                                        ; -- End function
	.set _ZN7rocprim17ROCPRIM_400000_NS6detail17trampoline_kernelINS0_14default_configENS1_27scan_by_key_config_selectorIiiEEZZNS1_16scan_by_key_implILNS1_25lookback_scan_determinismE0ELb0ES3_N6thrust23THRUST_200600_302600_NS10device_ptrIiEESB_SB_iNS9_4plusIvEENS9_8equal_toIvEEiEE10hipError_tPvRmT2_T3_T4_T5_mT6_T7_P12ihipStream_tbENKUlT_T0_E_clISt17integral_constantIbLb1EESW_EEDaSR_SS_EUlSR_E_NS1_11comp_targetILNS1_3genE0ELNS1_11target_archE4294967295ELNS1_3gpuE0ELNS1_3repE0EEENS1_30default_config_static_selectorELNS0_4arch9wavefront6targetE0EEEvT1_.num_vgpr, 0
	.set _ZN7rocprim17ROCPRIM_400000_NS6detail17trampoline_kernelINS0_14default_configENS1_27scan_by_key_config_selectorIiiEEZZNS1_16scan_by_key_implILNS1_25lookback_scan_determinismE0ELb0ES3_N6thrust23THRUST_200600_302600_NS10device_ptrIiEESB_SB_iNS9_4plusIvEENS9_8equal_toIvEEiEE10hipError_tPvRmT2_T3_T4_T5_mT6_T7_P12ihipStream_tbENKUlT_T0_E_clISt17integral_constantIbLb1EESW_EEDaSR_SS_EUlSR_E_NS1_11comp_targetILNS1_3genE0ELNS1_11target_archE4294967295ELNS1_3gpuE0ELNS1_3repE0EEENS1_30default_config_static_selectorELNS0_4arch9wavefront6targetE0EEEvT1_.num_agpr, 0
	.set _ZN7rocprim17ROCPRIM_400000_NS6detail17trampoline_kernelINS0_14default_configENS1_27scan_by_key_config_selectorIiiEEZZNS1_16scan_by_key_implILNS1_25lookback_scan_determinismE0ELb0ES3_N6thrust23THRUST_200600_302600_NS10device_ptrIiEESB_SB_iNS9_4plusIvEENS9_8equal_toIvEEiEE10hipError_tPvRmT2_T3_T4_T5_mT6_T7_P12ihipStream_tbENKUlT_T0_E_clISt17integral_constantIbLb1EESW_EEDaSR_SS_EUlSR_E_NS1_11comp_targetILNS1_3genE0ELNS1_11target_archE4294967295ELNS1_3gpuE0ELNS1_3repE0EEENS1_30default_config_static_selectorELNS0_4arch9wavefront6targetE0EEEvT1_.numbered_sgpr, 0
	.set _ZN7rocprim17ROCPRIM_400000_NS6detail17trampoline_kernelINS0_14default_configENS1_27scan_by_key_config_selectorIiiEEZZNS1_16scan_by_key_implILNS1_25lookback_scan_determinismE0ELb0ES3_N6thrust23THRUST_200600_302600_NS10device_ptrIiEESB_SB_iNS9_4plusIvEENS9_8equal_toIvEEiEE10hipError_tPvRmT2_T3_T4_T5_mT6_T7_P12ihipStream_tbENKUlT_T0_E_clISt17integral_constantIbLb1EESW_EEDaSR_SS_EUlSR_E_NS1_11comp_targetILNS1_3genE0ELNS1_11target_archE4294967295ELNS1_3gpuE0ELNS1_3repE0EEENS1_30default_config_static_selectorELNS0_4arch9wavefront6targetE0EEEvT1_.num_named_barrier, 0
	.set _ZN7rocprim17ROCPRIM_400000_NS6detail17trampoline_kernelINS0_14default_configENS1_27scan_by_key_config_selectorIiiEEZZNS1_16scan_by_key_implILNS1_25lookback_scan_determinismE0ELb0ES3_N6thrust23THRUST_200600_302600_NS10device_ptrIiEESB_SB_iNS9_4plusIvEENS9_8equal_toIvEEiEE10hipError_tPvRmT2_T3_T4_T5_mT6_T7_P12ihipStream_tbENKUlT_T0_E_clISt17integral_constantIbLb1EESW_EEDaSR_SS_EUlSR_E_NS1_11comp_targetILNS1_3genE0ELNS1_11target_archE4294967295ELNS1_3gpuE0ELNS1_3repE0EEENS1_30default_config_static_selectorELNS0_4arch9wavefront6targetE0EEEvT1_.private_seg_size, 0
	.set _ZN7rocprim17ROCPRIM_400000_NS6detail17trampoline_kernelINS0_14default_configENS1_27scan_by_key_config_selectorIiiEEZZNS1_16scan_by_key_implILNS1_25lookback_scan_determinismE0ELb0ES3_N6thrust23THRUST_200600_302600_NS10device_ptrIiEESB_SB_iNS9_4plusIvEENS9_8equal_toIvEEiEE10hipError_tPvRmT2_T3_T4_T5_mT6_T7_P12ihipStream_tbENKUlT_T0_E_clISt17integral_constantIbLb1EESW_EEDaSR_SS_EUlSR_E_NS1_11comp_targetILNS1_3genE0ELNS1_11target_archE4294967295ELNS1_3gpuE0ELNS1_3repE0EEENS1_30default_config_static_selectorELNS0_4arch9wavefront6targetE0EEEvT1_.uses_vcc, 0
	.set _ZN7rocprim17ROCPRIM_400000_NS6detail17trampoline_kernelINS0_14default_configENS1_27scan_by_key_config_selectorIiiEEZZNS1_16scan_by_key_implILNS1_25lookback_scan_determinismE0ELb0ES3_N6thrust23THRUST_200600_302600_NS10device_ptrIiEESB_SB_iNS9_4plusIvEENS9_8equal_toIvEEiEE10hipError_tPvRmT2_T3_T4_T5_mT6_T7_P12ihipStream_tbENKUlT_T0_E_clISt17integral_constantIbLb1EESW_EEDaSR_SS_EUlSR_E_NS1_11comp_targetILNS1_3genE0ELNS1_11target_archE4294967295ELNS1_3gpuE0ELNS1_3repE0EEENS1_30default_config_static_selectorELNS0_4arch9wavefront6targetE0EEEvT1_.uses_flat_scratch, 0
	.set _ZN7rocprim17ROCPRIM_400000_NS6detail17trampoline_kernelINS0_14default_configENS1_27scan_by_key_config_selectorIiiEEZZNS1_16scan_by_key_implILNS1_25lookback_scan_determinismE0ELb0ES3_N6thrust23THRUST_200600_302600_NS10device_ptrIiEESB_SB_iNS9_4plusIvEENS9_8equal_toIvEEiEE10hipError_tPvRmT2_T3_T4_T5_mT6_T7_P12ihipStream_tbENKUlT_T0_E_clISt17integral_constantIbLb1EESW_EEDaSR_SS_EUlSR_E_NS1_11comp_targetILNS1_3genE0ELNS1_11target_archE4294967295ELNS1_3gpuE0ELNS1_3repE0EEENS1_30default_config_static_selectorELNS0_4arch9wavefront6targetE0EEEvT1_.has_dyn_sized_stack, 0
	.set _ZN7rocprim17ROCPRIM_400000_NS6detail17trampoline_kernelINS0_14default_configENS1_27scan_by_key_config_selectorIiiEEZZNS1_16scan_by_key_implILNS1_25lookback_scan_determinismE0ELb0ES3_N6thrust23THRUST_200600_302600_NS10device_ptrIiEESB_SB_iNS9_4plusIvEENS9_8equal_toIvEEiEE10hipError_tPvRmT2_T3_T4_T5_mT6_T7_P12ihipStream_tbENKUlT_T0_E_clISt17integral_constantIbLb1EESW_EEDaSR_SS_EUlSR_E_NS1_11comp_targetILNS1_3genE0ELNS1_11target_archE4294967295ELNS1_3gpuE0ELNS1_3repE0EEENS1_30default_config_static_selectorELNS0_4arch9wavefront6targetE0EEEvT1_.has_recursion, 0
	.set _ZN7rocprim17ROCPRIM_400000_NS6detail17trampoline_kernelINS0_14default_configENS1_27scan_by_key_config_selectorIiiEEZZNS1_16scan_by_key_implILNS1_25lookback_scan_determinismE0ELb0ES3_N6thrust23THRUST_200600_302600_NS10device_ptrIiEESB_SB_iNS9_4plusIvEENS9_8equal_toIvEEiEE10hipError_tPvRmT2_T3_T4_T5_mT6_T7_P12ihipStream_tbENKUlT_T0_E_clISt17integral_constantIbLb1EESW_EEDaSR_SS_EUlSR_E_NS1_11comp_targetILNS1_3genE0ELNS1_11target_archE4294967295ELNS1_3gpuE0ELNS1_3repE0EEENS1_30default_config_static_selectorELNS0_4arch9wavefront6targetE0EEEvT1_.has_indirect_call, 0
	.section	.AMDGPU.csdata,"",@progbits
; Kernel info:
; codeLenInByte = 4
; TotalNumSgprs: 0
; NumVgprs: 0
; ScratchSize: 0
; MemoryBound: 0
; FloatMode: 240
; IeeeMode: 1
; LDSByteSize: 0 bytes/workgroup (compile time only)
; SGPRBlocks: 0
; VGPRBlocks: 0
; NumSGPRsForWavesPerEU: 1
; NumVGPRsForWavesPerEU: 1
; NamedBarCnt: 0
; Occupancy: 16
; WaveLimiterHint : 0
; COMPUTE_PGM_RSRC2:SCRATCH_EN: 0
; COMPUTE_PGM_RSRC2:USER_SGPR: 2
; COMPUTE_PGM_RSRC2:TRAP_HANDLER: 0
; COMPUTE_PGM_RSRC2:TGID_X_EN: 1
; COMPUTE_PGM_RSRC2:TGID_Y_EN: 0
; COMPUTE_PGM_RSRC2:TGID_Z_EN: 0
; COMPUTE_PGM_RSRC2:TIDIG_COMP_CNT: 0
	.section	.text._ZN7rocprim17ROCPRIM_400000_NS6detail17trampoline_kernelINS0_14default_configENS1_27scan_by_key_config_selectorIiiEEZZNS1_16scan_by_key_implILNS1_25lookback_scan_determinismE0ELb0ES3_N6thrust23THRUST_200600_302600_NS10device_ptrIiEESB_SB_iNS9_4plusIvEENS9_8equal_toIvEEiEE10hipError_tPvRmT2_T3_T4_T5_mT6_T7_P12ihipStream_tbENKUlT_T0_E_clISt17integral_constantIbLb1EESW_EEDaSR_SS_EUlSR_E_NS1_11comp_targetILNS1_3genE10ELNS1_11target_archE1201ELNS1_3gpuE5ELNS1_3repE0EEENS1_30default_config_static_selectorELNS0_4arch9wavefront6targetE0EEEvT1_,"axG",@progbits,_ZN7rocprim17ROCPRIM_400000_NS6detail17trampoline_kernelINS0_14default_configENS1_27scan_by_key_config_selectorIiiEEZZNS1_16scan_by_key_implILNS1_25lookback_scan_determinismE0ELb0ES3_N6thrust23THRUST_200600_302600_NS10device_ptrIiEESB_SB_iNS9_4plusIvEENS9_8equal_toIvEEiEE10hipError_tPvRmT2_T3_T4_T5_mT6_T7_P12ihipStream_tbENKUlT_T0_E_clISt17integral_constantIbLb1EESW_EEDaSR_SS_EUlSR_E_NS1_11comp_targetILNS1_3genE10ELNS1_11target_archE1201ELNS1_3gpuE5ELNS1_3repE0EEENS1_30default_config_static_selectorELNS0_4arch9wavefront6targetE0EEEvT1_,comdat
	.protected	_ZN7rocprim17ROCPRIM_400000_NS6detail17trampoline_kernelINS0_14default_configENS1_27scan_by_key_config_selectorIiiEEZZNS1_16scan_by_key_implILNS1_25lookback_scan_determinismE0ELb0ES3_N6thrust23THRUST_200600_302600_NS10device_ptrIiEESB_SB_iNS9_4plusIvEENS9_8equal_toIvEEiEE10hipError_tPvRmT2_T3_T4_T5_mT6_T7_P12ihipStream_tbENKUlT_T0_E_clISt17integral_constantIbLb1EESW_EEDaSR_SS_EUlSR_E_NS1_11comp_targetILNS1_3genE10ELNS1_11target_archE1201ELNS1_3gpuE5ELNS1_3repE0EEENS1_30default_config_static_selectorELNS0_4arch9wavefront6targetE0EEEvT1_ ; -- Begin function _ZN7rocprim17ROCPRIM_400000_NS6detail17trampoline_kernelINS0_14default_configENS1_27scan_by_key_config_selectorIiiEEZZNS1_16scan_by_key_implILNS1_25lookback_scan_determinismE0ELb0ES3_N6thrust23THRUST_200600_302600_NS10device_ptrIiEESB_SB_iNS9_4plusIvEENS9_8equal_toIvEEiEE10hipError_tPvRmT2_T3_T4_T5_mT6_T7_P12ihipStream_tbENKUlT_T0_E_clISt17integral_constantIbLb1EESW_EEDaSR_SS_EUlSR_E_NS1_11comp_targetILNS1_3genE10ELNS1_11target_archE1201ELNS1_3gpuE5ELNS1_3repE0EEENS1_30default_config_static_selectorELNS0_4arch9wavefront6targetE0EEEvT1_
	.globl	_ZN7rocprim17ROCPRIM_400000_NS6detail17trampoline_kernelINS0_14default_configENS1_27scan_by_key_config_selectorIiiEEZZNS1_16scan_by_key_implILNS1_25lookback_scan_determinismE0ELb0ES3_N6thrust23THRUST_200600_302600_NS10device_ptrIiEESB_SB_iNS9_4plusIvEENS9_8equal_toIvEEiEE10hipError_tPvRmT2_T3_T4_T5_mT6_T7_P12ihipStream_tbENKUlT_T0_E_clISt17integral_constantIbLb1EESW_EEDaSR_SS_EUlSR_E_NS1_11comp_targetILNS1_3genE10ELNS1_11target_archE1201ELNS1_3gpuE5ELNS1_3repE0EEENS1_30default_config_static_selectorELNS0_4arch9wavefront6targetE0EEEvT1_
	.p2align	8
	.type	_ZN7rocprim17ROCPRIM_400000_NS6detail17trampoline_kernelINS0_14default_configENS1_27scan_by_key_config_selectorIiiEEZZNS1_16scan_by_key_implILNS1_25lookback_scan_determinismE0ELb0ES3_N6thrust23THRUST_200600_302600_NS10device_ptrIiEESB_SB_iNS9_4plusIvEENS9_8equal_toIvEEiEE10hipError_tPvRmT2_T3_T4_T5_mT6_T7_P12ihipStream_tbENKUlT_T0_E_clISt17integral_constantIbLb1EESW_EEDaSR_SS_EUlSR_E_NS1_11comp_targetILNS1_3genE10ELNS1_11target_archE1201ELNS1_3gpuE5ELNS1_3repE0EEENS1_30default_config_static_selectorELNS0_4arch9wavefront6targetE0EEEvT1_,@function
_ZN7rocprim17ROCPRIM_400000_NS6detail17trampoline_kernelINS0_14default_configENS1_27scan_by_key_config_selectorIiiEEZZNS1_16scan_by_key_implILNS1_25lookback_scan_determinismE0ELb0ES3_N6thrust23THRUST_200600_302600_NS10device_ptrIiEESB_SB_iNS9_4plusIvEENS9_8equal_toIvEEiEE10hipError_tPvRmT2_T3_T4_T5_mT6_T7_P12ihipStream_tbENKUlT_T0_E_clISt17integral_constantIbLb1EESW_EEDaSR_SS_EUlSR_E_NS1_11comp_targetILNS1_3genE10ELNS1_11target_archE1201ELNS1_3gpuE5ELNS1_3repE0EEENS1_30default_config_static_selectorELNS0_4arch9wavefront6targetE0EEEvT1_: ; @_ZN7rocprim17ROCPRIM_400000_NS6detail17trampoline_kernelINS0_14default_configENS1_27scan_by_key_config_selectorIiiEEZZNS1_16scan_by_key_implILNS1_25lookback_scan_determinismE0ELb0ES3_N6thrust23THRUST_200600_302600_NS10device_ptrIiEESB_SB_iNS9_4plusIvEENS9_8equal_toIvEEiEE10hipError_tPvRmT2_T3_T4_T5_mT6_T7_P12ihipStream_tbENKUlT_T0_E_clISt17integral_constantIbLb1EESW_EEDaSR_SS_EUlSR_E_NS1_11comp_targetILNS1_3genE10ELNS1_11target_archE1201ELNS1_3gpuE5ELNS1_3repE0EEENS1_30default_config_static_selectorELNS0_4arch9wavefront6targetE0EEEvT1_
; %bb.0:
	.section	.rodata,"a",@progbits
	.p2align	6, 0x0
	.amdhsa_kernel _ZN7rocprim17ROCPRIM_400000_NS6detail17trampoline_kernelINS0_14default_configENS1_27scan_by_key_config_selectorIiiEEZZNS1_16scan_by_key_implILNS1_25lookback_scan_determinismE0ELb0ES3_N6thrust23THRUST_200600_302600_NS10device_ptrIiEESB_SB_iNS9_4plusIvEENS9_8equal_toIvEEiEE10hipError_tPvRmT2_T3_T4_T5_mT6_T7_P12ihipStream_tbENKUlT_T0_E_clISt17integral_constantIbLb1EESW_EEDaSR_SS_EUlSR_E_NS1_11comp_targetILNS1_3genE10ELNS1_11target_archE1201ELNS1_3gpuE5ELNS1_3repE0EEENS1_30default_config_static_selectorELNS0_4arch9wavefront6targetE0EEEvT1_
		.amdhsa_group_segment_fixed_size 0
		.amdhsa_private_segment_fixed_size 0
		.amdhsa_kernarg_size 112
		.amdhsa_user_sgpr_count 2
		.amdhsa_user_sgpr_dispatch_ptr 0
		.amdhsa_user_sgpr_queue_ptr 0
		.amdhsa_user_sgpr_kernarg_segment_ptr 1
		.amdhsa_user_sgpr_dispatch_id 0
		.amdhsa_user_sgpr_kernarg_preload_length 0
		.amdhsa_user_sgpr_kernarg_preload_offset 0
		.amdhsa_user_sgpr_private_segment_size 0
		.amdhsa_wavefront_size32 1
		.amdhsa_uses_dynamic_stack 0
		.amdhsa_enable_private_segment 0
		.amdhsa_system_sgpr_workgroup_id_x 1
		.amdhsa_system_sgpr_workgroup_id_y 0
		.amdhsa_system_sgpr_workgroup_id_z 0
		.amdhsa_system_sgpr_workgroup_info 0
		.amdhsa_system_vgpr_workitem_id 0
		.amdhsa_next_free_vgpr 1
		.amdhsa_next_free_sgpr 1
		.amdhsa_named_barrier_count 0
		.amdhsa_reserve_vcc 0
		.amdhsa_float_round_mode_32 0
		.amdhsa_float_round_mode_16_64 0
		.amdhsa_float_denorm_mode_32 3
		.amdhsa_float_denorm_mode_16_64 3
		.amdhsa_fp16_overflow 0
		.amdhsa_memory_ordered 1
		.amdhsa_forward_progress 1
		.amdhsa_inst_pref_size 0
		.amdhsa_round_robin_scheduling 0
		.amdhsa_exception_fp_ieee_invalid_op 0
		.amdhsa_exception_fp_denorm_src 0
		.amdhsa_exception_fp_ieee_div_zero 0
		.amdhsa_exception_fp_ieee_overflow 0
		.amdhsa_exception_fp_ieee_underflow 0
		.amdhsa_exception_fp_ieee_inexact 0
		.amdhsa_exception_int_div_zero 0
	.end_amdhsa_kernel
	.section	.text._ZN7rocprim17ROCPRIM_400000_NS6detail17trampoline_kernelINS0_14default_configENS1_27scan_by_key_config_selectorIiiEEZZNS1_16scan_by_key_implILNS1_25lookback_scan_determinismE0ELb0ES3_N6thrust23THRUST_200600_302600_NS10device_ptrIiEESB_SB_iNS9_4plusIvEENS9_8equal_toIvEEiEE10hipError_tPvRmT2_T3_T4_T5_mT6_T7_P12ihipStream_tbENKUlT_T0_E_clISt17integral_constantIbLb1EESW_EEDaSR_SS_EUlSR_E_NS1_11comp_targetILNS1_3genE10ELNS1_11target_archE1201ELNS1_3gpuE5ELNS1_3repE0EEENS1_30default_config_static_selectorELNS0_4arch9wavefront6targetE0EEEvT1_,"axG",@progbits,_ZN7rocprim17ROCPRIM_400000_NS6detail17trampoline_kernelINS0_14default_configENS1_27scan_by_key_config_selectorIiiEEZZNS1_16scan_by_key_implILNS1_25lookback_scan_determinismE0ELb0ES3_N6thrust23THRUST_200600_302600_NS10device_ptrIiEESB_SB_iNS9_4plusIvEENS9_8equal_toIvEEiEE10hipError_tPvRmT2_T3_T4_T5_mT6_T7_P12ihipStream_tbENKUlT_T0_E_clISt17integral_constantIbLb1EESW_EEDaSR_SS_EUlSR_E_NS1_11comp_targetILNS1_3genE10ELNS1_11target_archE1201ELNS1_3gpuE5ELNS1_3repE0EEENS1_30default_config_static_selectorELNS0_4arch9wavefront6targetE0EEEvT1_,comdat
.Lfunc_end2205:
	.size	_ZN7rocprim17ROCPRIM_400000_NS6detail17trampoline_kernelINS0_14default_configENS1_27scan_by_key_config_selectorIiiEEZZNS1_16scan_by_key_implILNS1_25lookback_scan_determinismE0ELb0ES3_N6thrust23THRUST_200600_302600_NS10device_ptrIiEESB_SB_iNS9_4plusIvEENS9_8equal_toIvEEiEE10hipError_tPvRmT2_T3_T4_T5_mT6_T7_P12ihipStream_tbENKUlT_T0_E_clISt17integral_constantIbLb1EESW_EEDaSR_SS_EUlSR_E_NS1_11comp_targetILNS1_3genE10ELNS1_11target_archE1201ELNS1_3gpuE5ELNS1_3repE0EEENS1_30default_config_static_selectorELNS0_4arch9wavefront6targetE0EEEvT1_, .Lfunc_end2205-_ZN7rocprim17ROCPRIM_400000_NS6detail17trampoline_kernelINS0_14default_configENS1_27scan_by_key_config_selectorIiiEEZZNS1_16scan_by_key_implILNS1_25lookback_scan_determinismE0ELb0ES3_N6thrust23THRUST_200600_302600_NS10device_ptrIiEESB_SB_iNS9_4plusIvEENS9_8equal_toIvEEiEE10hipError_tPvRmT2_T3_T4_T5_mT6_T7_P12ihipStream_tbENKUlT_T0_E_clISt17integral_constantIbLb1EESW_EEDaSR_SS_EUlSR_E_NS1_11comp_targetILNS1_3genE10ELNS1_11target_archE1201ELNS1_3gpuE5ELNS1_3repE0EEENS1_30default_config_static_selectorELNS0_4arch9wavefront6targetE0EEEvT1_
                                        ; -- End function
	.set _ZN7rocprim17ROCPRIM_400000_NS6detail17trampoline_kernelINS0_14default_configENS1_27scan_by_key_config_selectorIiiEEZZNS1_16scan_by_key_implILNS1_25lookback_scan_determinismE0ELb0ES3_N6thrust23THRUST_200600_302600_NS10device_ptrIiEESB_SB_iNS9_4plusIvEENS9_8equal_toIvEEiEE10hipError_tPvRmT2_T3_T4_T5_mT6_T7_P12ihipStream_tbENKUlT_T0_E_clISt17integral_constantIbLb1EESW_EEDaSR_SS_EUlSR_E_NS1_11comp_targetILNS1_3genE10ELNS1_11target_archE1201ELNS1_3gpuE5ELNS1_3repE0EEENS1_30default_config_static_selectorELNS0_4arch9wavefront6targetE0EEEvT1_.num_vgpr, 0
	.set _ZN7rocprim17ROCPRIM_400000_NS6detail17trampoline_kernelINS0_14default_configENS1_27scan_by_key_config_selectorIiiEEZZNS1_16scan_by_key_implILNS1_25lookback_scan_determinismE0ELb0ES3_N6thrust23THRUST_200600_302600_NS10device_ptrIiEESB_SB_iNS9_4plusIvEENS9_8equal_toIvEEiEE10hipError_tPvRmT2_T3_T4_T5_mT6_T7_P12ihipStream_tbENKUlT_T0_E_clISt17integral_constantIbLb1EESW_EEDaSR_SS_EUlSR_E_NS1_11comp_targetILNS1_3genE10ELNS1_11target_archE1201ELNS1_3gpuE5ELNS1_3repE0EEENS1_30default_config_static_selectorELNS0_4arch9wavefront6targetE0EEEvT1_.num_agpr, 0
	.set _ZN7rocprim17ROCPRIM_400000_NS6detail17trampoline_kernelINS0_14default_configENS1_27scan_by_key_config_selectorIiiEEZZNS1_16scan_by_key_implILNS1_25lookback_scan_determinismE0ELb0ES3_N6thrust23THRUST_200600_302600_NS10device_ptrIiEESB_SB_iNS9_4plusIvEENS9_8equal_toIvEEiEE10hipError_tPvRmT2_T3_T4_T5_mT6_T7_P12ihipStream_tbENKUlT_T0_E_clISt17integral_constantIbLb1EESW_EEDaSR_SS_EUlSR_E_NS1_11comp_targetILNS1_3genE10ELNS1_11target_archE1201ELNS1_3gpuE5ELNS1_3repE0EEENS1_30default_config_static_selectorELNS0_4arch9wavefront6targetE0EEEvT1_.numbered_sgpr, 0
	.set _ZN7rocprim17ROCPRIM_400000_NS6detail17trampoline_kernelINS0_14default_configENS1_27scan_by_key_config_selectorIiiEEZZNS1_16scan_by_key_implILNS1_25lookback_scan_determinismE0ELb0ES3_N6thrust23THRUST_200600_302600_NS10device_ptrIiEESB_SB_iNS9_4plusIvEENS9_8equal_toIvEEiEE10hipError_tPvRmT2_T3_T4_T5_mT6_T7_P12ihipStream_tbENKUlT_T0_E_clISt17integral_constantIbLb1EESW_EEDaSR_SS_EUlSR_E_NS1_11comp_targetILNS1_3genE10ELNS1_11target_archE1201ELNS1_3gpuE5ELNS1_3repE0EEENS1_30default_config_static_selectorELNS0_4arch9wavefront6targetE0EEEvT1_.num_named_barrier, 0
	.set _ZN7rocprim17ROCPRIM_400000_NS6detail17trampoline_kernelINS0_14default_configENS1_27scan_by_key_config_selectorIiiEEZZNS1_16scan_by_key_implILNS1_25lookback_scan_determinismE0ELb0ES3_N6thrust23THRUST_200600_302600_NS10device_ptrIiEESB_SB_iNS9_4plusIvEENS9_8equal_toIvEEiEE10hipError_tPvRmT2_T3_T4_T5_mT6_T7_P12ihipStream_tbENKUlT_T0_E_clISt17integral_constantIbLb1EESW_EEDaSR_SS_EUlSR_E_NS1_11comp_targetILNS1_3genE10ELNS1_11target_archE1201ELNS1_3gpuE5ELNS1_3repE0EEENS1_30default_config_static_selectorELNS0_4arch9wavefront6targetE0EEEvT1_.private_seg_size, 0
	.set _ZN7rocprim17ROCPRIM_400000_NS6detail17trampoline_kernelINS0_14default_configENS1_27scan_by_key_config_selectorIiiEEZZNS1_16scan_by_key_implILNS1_25lookback_scan_determinismE0ELb0ES3_N6thrust23THRUST_200600_302600_NS10device_ptrIiEESB_SB_iNS9_4plusIvEENS9_8equal_toIvEEiEE10hipError_tPvRmT2_T3_T4_T5_mT6_T7_P12ihipStream_tbENKUlT_T0_E_clISt17integral_constantIbLb1EESW_EEDaSR_SS_EUlSR_E_NS1_11comp_targetILNS1_3genE10ELNS1_11target_archE1201ELNS1_3gpuE5ELNS1_3repE0EEENS1_30default_config_static_selectorELNS0_4arch9wavefront6targetE0EEEvT1_.uses_vcc, 0
	.set _ZN7rocprim17ROCPRIM_400000_NS6detail17trampoline_kernelINS0_14default_configENS1_27scan_by_key_config_selectorIiiEEZZNS1_16scan_by_key_implILNS1_25lookback_scan_determinismE0ELb0ES3_N6thrust23THRUST_200600_302600_NS10device_ptrIiEESB_SB_iNS9_4plusIvEENS9_8equal_toIvEEiEE10hipError_tPvRmT2_T3_T4_T5_mT6_T7_P12ihipStream_tbENKUlT_T0_E_clISt17integral_constantIbLb1EESW_EEDaSR_SS_EUlSR_E_NS1_11comp_targetILNS1_3genE10ELNS1_11target_archE1201ELNS1_3gpuE5ELNS1_3repE0EEENS1_30default_config_static_selectorELNS0_4arch9wavefront6targetE0EEEvT1_.uses_flat_scratch, 0
	.set _ZN7rocprim17ROCPRIM_400000_NS6detail17trampoline_kernelINS0_14default_configENS1_27scan_by_key_config_selectorIiiEEZZNS1_16scan_by_key_implILNS1_25lookback_scan_determinismE0ELb0ES3_N6thrust23THRUST_200600_302600_NS10device_ptrIiEESB_SB_iNS9_4plusIvEENS9_8equal_toIvEEiEE10hipError_tPvRmT2_T3_T4_T5_mT6_T7_P12ihipStream_tbENKUlT_T0_E_clISt17integral_constantIbLb1EESW_EEDaSR_SS_EUlSR_E_NS1_11comp_targetILNS1_3genE10ELNS1_11target_archE1201ELNS1_3gpuE5ELNS1_3repE0EEENS1_30default_config_static_selectorELNS0_4arch9wavefront6targetE0EEEvT1_.has_dyn_sized_stack, 0
	.set _ZN7rocprim17ROCPRIM_400000_NS6detail17trampoline_kernelINS0_14default_configENS1_27scan_by_key_config_selectorIiiEEZZNS1_16scan_by_key_implILNS1_25lookback_scan_determinismE0ELb0ES3_N6thrust23THRUST_200600_302600_NS10device_ptrIiEESB_SB_iNS9_4plusIvEENS9_8equal_toIvEEiEE10hipError_tPvRmT2_T3_T4_T5_mT6_T7_P12ihipStream_tbENKUlT_T0_E_clISt17integral_constantIbLb1EESW_EEDaSR_SS_EUlSR_E_NS1_11comp_targetILNS1_3genE10ELNS1_11target_archE1201ELNS1_3gpuE5ELNS1_3repE0EEENS1_30default_config_static_selectorELNS0_4arch9wavefront6targetE0EEEvT1_.has_recursion, 0
	.set _ZN7rocprim17ROCPRIM_400000_NS6detail17trampoline_kernelINS0_14default_configENS1_27scan_by_key_config_selectorIiiEEZZNS1_16scan_by_key_implILNS1_25lookback_scan_determinismE0ELb0ES3_N6thrust23THRUST_200600_302600_NS10device_ptrIiEESB_SB_iNS9_4plusIvEENS9_8equal_toIvEEiEE10hipError_tPvRmT2_T3_T4_T5_mT6_T7_P12ihipStream_tbENKUlT_T0_E_clISt17integral_constantIbLb1EESW_EEDaSR_SS_EUlSR_E_NS1_11comp_targetILNS1_3genE10ELNS1_11target_archE1201ELNS1_3gpuE5ELNS1_3repE0EEENS1_30default_config_static_selectorELNS0_4arch9wavefront6targetE0EEEvT1_.has_indirect_call, 0
	.section	.AMDGPU.csdata,"",@progbits
; Kernel info:
; codeLenInByte = 0
; TotalNumSgprs: 0
; NumVgprs: 0
; ScratchSize: 0
; MemoryBound: 0
; FloatMode: 240
; IeeeMode: 1
; LDSByteSize: 0 bytes/workgroup (compile time only)
; SGPRBlocks: 0
; VGPRBlocks: 0
; NumSGPRsForWavesPerEU: 1
; NumVGPRsForWavesPerEU: 1
; NamedBarCnt: 0
; Occupancy: 16
; WaveLimiterHint : 0
; COMPUTE_PGM_RSRC2:SCRATCH_EN: 0
; COMPUTE_PGM_RSRC2:USER_SGPR: 2
; COMPUTE_PGM_RSRC2:TRAP_HANDLER: 0
; COMPUTE_PGM_RSRC2:TGID_X_EN: 1
; COMPUTE_PGM_RSRC2:TGID_Y_EN: 0
; COMPUTE_PGM_RSRC2:TGID_Z_EN: 0
; COMPUTE_PGM_RSRC2:TIDIG_COMP_CNT: 0
	.section	.text._ZN7rocprim17ROCPRIM_400000_NS6detail17trampoline_kernelINS0_14default_configENS1_27scan_by_key_config_selectorIiiEEZZNS1_16scan_by_key_implILNS1_25lookback_scan_determinismE0ELb0ES3_N6thrust23THRUST_200600_302600_NS10device_ptrIiEESB_SB_iNS9_4plusIvEENS9_8equal_toIvEEiEE10hipError_tPvRmT2_T3_T4_T5_mT6_T7_P12ihipStream_tbENKUlT_T0_E_clISt17integral_constantIbLb1EESW_EEDaSR_SS_EUlSR_E_NS1_11comp_targetILNS1_3genE5ELNS1_11target_archE942ELNS1_3gpuE9ELNS1_3repE0EEENS1_30default_config_static_selectorELNS0_4arch9wavefront6targetE0EEEvT1_,"axG",@progbits,_ZN7rocprim17ROCPRIM_400000_NS6detail17trampoline_kernelINS0_14default_configENS1_27scan_by_key_config_selectorIiiEEZZNS1_16scan_by_key_implILNS1_25lookback_scan_determinismE0ELb0ES3_N6thrust23THRUST_200600_302600_NS10device_ptrIiEESB_SB_iNS9_4plusIvEENS9_8equal_toIvEEiEE10hipError_tPvRmT2_T3_T4_T5_mT6_T7_P12ihipStream_tbENKUlT_T0_E_clISt17integral_constantIbLb1EESW_EEDaSR_SS_EUlSR_E_NS1_11comp_targetILNS1_3genE5ELNS1_11target_archE942ELNS1_3gpuE9ELNS1_3repE0EEENS1_30default_config_static_selectorELNS0_4arch9wavefront6targetE0EEEvT1_,comdat
	.protected	_ZN7rocprim17ROCPRIM_400000_NS6detail17trampoline_kernelINS0_14default_configENS1_27scan_by_key_config_selectorIiiEEZZNS1_16scan_by_key_implILNS1_25lookback_scan_determinismE0ELb0ES3_N6thrust23THRUST_200600_302600_NS10device_ptrIiEESB_SB_iNS9_4plusIvEENS9_8equal_toIvEEiEE10hipError_tPvRmT2_T3_T4_T5_mT6_T7_P12ihipStream_tbENKUlT_T0_E_clISt17integral_constantIbLb1EESW_EEDaSR_SS_EUlSR_E_NS1_11comp_targetILNS1_3genE5ELNS1_11target_archE942ELNS1_3gpuE9ELNS1_3repE0EEENS1_30default_config_static_selectorELNS0_4arch9wavefront6targetE0EEEvT1_ ; -- Begin function _ZN7rocprim17ROCPRIM_400000_NS6detail17trampoline_kernelINS0_14default_configENS1_27scan_by_key_config_selectorIiiEEZZNS1_16scan_by_key_implILNS1_25lookback_scan_determinismE0ELb0ES3_N6thrust23THRUST_200600_302600_NS10device_ptrIiEESB_SB_iNS9_4plusIvEENS9_8equal_toIvEEiEE10hipError_tPvRmT2_T3_T4_T5_mT6_T7_P12ihipStream_tbENKUlT_T0_E_clISt17integral_constantIbLb1EESW_EEDaSR_SS_EUlSR_E_NS1_11comp_targetILNS1_3genE5ELNS1_11target_archE942ELNS1_3gpuE9ELNS1_3repE0EEENS1_30default_config_static_selectorELNS0_4arch9wavefront6targetE0EEEvT1_
	.globl	_ZN7rocprim17ROCPRIM_400000_NS6detail17trampoline_kernelINS0_14default_configENS1_27scan_by_key_config_selectorIiiEEZZNS1_16scan_by_key_implILNS1_25lookback_scan_determinismE0ELb0ES3_N6thrust23THRUST_200600_302600_NS10device_ptrIiEESB_SB_iNS9_4plusIvEENS9_8equal_toIvEEiEE10hipError_tPvRmT2_T3_T4_T5_mT6_T7_P12ihipStream_tbENKUlT_T0_E_clISt17integral_constantIbLb1EESW_EEDaSR_SS_EUlSR_E_NS1_11comp_targetILNS1_3genE5ELNS1_11target_archE942ELNS1_3gpuE9ELNS1_3repE0EEENS1_30default_config_static_selectorELNS0_4arch9wavefront6targetE0EEEvT1_
	.p2align	8
	.type	_ZN7rocprim17ROCPRIM_400000_NS6detail17trampoline_kernelINS0_14default_configENS1_27scan_by_key_config_selectorIiiEEZZNS1_16scan_by_key_implILNS1_25lookback_scan_determinismE0ELb0ES3_N6thrust23THRUST_200600_302600_NS10device_ptrIiEESB_SB_iNS9_4plusIvEENS9_8equal_toIvEEiEE10hipError_tPvRmT2_T3_T4_T5_mT6_T7_P12ihipStream_tbENKUlT_T0_E_clISt17integral_constantIbLb1EESW_EEDaSR_SS_EUlSR_E_NS1_11comp_targetILNS1_3genE5ELNS1_11target_archE942ELNS1_3gpuE9ELNS1_3repE0EEENS1_30default_config_static_selectorELNS0_4arch9wavefront6targetE0EEEvT1_,@function
_ZN7rocprim17ROCPRIM_400000_NS6detail17trampoline_kernelINS0_14default_configENS1_27scan_by_key_config_selectorIiiEEZZNS1_16scan_by_key_implILNS1_25lookback_scan_determinismE0ELb0ES3_N6thrust23THRUST_200600_302600_NS10device_ptrIiEESB_SB_iNS9_4plusIvEENS9_8equal_toIvEEiEE10hipError_tPvRmT2_T3_T4_T5_mT6_T7_P12ihipStream_tbENKUlT_T0_E_clISt17integral_constantIbLb1EESW_EEDaSR_SS_EUlSR_E_NS1_11comp_targetILNS1_3genE5ELNS1_11target_archE942ELNS1_3gpuE9ELNS1_3repE0EEENS1_30default_config_static_selectorELNS0_4arch9wavefront6targetE0EEEvT1_: ; @_ZN7rocprim17ROCPRIM_400000_NS6detail17trampoline_kernelINS0_14default_configENS1_27scan_by_key_config_selectorIiiEEZZNS1_16scan_by_key_implILNS1_25lookback_scan_determinismE0ELb0ES3_N6thrust23THRUST_200600_302600_NS10device_ptrIiEESB_SB_iNS9_4plusIvEENS9_8equal_toIvEEiEE10hipError_tPvRmT2_T3_T4_T5_mT6_T7_P12ihipStream_tbENKUlT_T0_E_clISt17integral_constantIbLb1EESW_EEDaSR_SS_EUlSR_E_NS1_11comp_targetILNS1_3genE5ELNS1_11target_archE942ELNS1_3gpuE9ELNS1_3repE0EEENS1_30default_config_static_selectorELNS0_4arch9wavefront6targetE0EEEvT1_
; %bb.0:
	.section	.rodata,"a",@progbits
	.p2align	6, 0x0
	.amdhsa_kernel _ZN7rocprim17ROCPRIM_400000_NS6detail17trampoline_kernelINS0_14default_configENS1_27scan_by_key_config_selectorIiiEEZZNS1_16scan_by_key_implILNS1_25lookback_scan_determinismE0ELb0ES3_N6thrust23THRUST_200600_302600_NS10device_ptrIiEESB_SB_iNS9_4plusIvEENS9_8equal_toIvEEiEE10hipError_tPvRmT2_T3_T4_T5_mT6_T7_P12ihipStream_tbENKUlT_T0_E_clISt17integral_constantIbLb1EESW_EEDaSR_SS_EUlSR_E_NS1_11comp_targetILNS1_3genE5ELNS1_11target_archE942ELNS1_3gpuE9ELNS1_3repE0EEENS1_30default_config_static_selectorELNS0_4arch9wavefront6targetE0EEEvT1_
		.amdhsa_group_segment_fixed_size 0
		.amdhsa_private_segment_fixed_size 0
		.amdhsa_kernarg_size 112
		.amdhsa_user_sgpr_count 2
		.amdhsa_user_sgpr_dispatch_ptr 0
		.amdhsa_user_sgpr_queue_ptr 0
		.amdhsa_user_sgpr_kernarg_segment_ptr 1
		.amdhsa_user_sgpr_dispatch_id 0
		.amdhsa_user_sgpr_kernarg_preload_length 0
		.amdhsa_user_sgpr_kernarg_preload_offset 0
		.amdhsa_user_sgpr_private_segment_size 0
		.amdhsa_wavefront_size32 1
		.amdhsa_uses_dynamic_stack 0
		.amdhsa_enable_private_segment 0
		.amdhsa_system_sgpr_workgroup_id_x 1
		.amdhsa_system_sgpr_workgroup_id_y 0
		.amdhsa_system_sgpr_workgroup_id_z 0
		.amdhsa_system_sgpr_workgroup_info 0
		.amdhsa_system_vgpr_workitem_id 0
		.amdhsa_next_free_vgpr 1
		.amdhsa_next_free_sgpr 1
		.amdhsa_named_barrier_count 0
		.amdhsa_reserve_vcc 0
		.amdhsa_float_round_mode_32 0
		.amdhsa_float_round_mode_16_64 0
		.amdhsa_float_denorm_mode_32 3
		.amdhsa_float_denorm_mode_16_64 3
		.amdhsa_fp16_overflow 0
		.amdhsa_memory_ordered 1
		.amdhsa_forward_progress 1
		.amdhsa_inst_pref_size 0
		.amdhsa_round_robin_scheduling 0
		.amdhsa_exception_fp_ieee_invalid_op 0
		.amdhsa_exception_fp_denorm_src 0
		.amdhsa_exception_fp_ieee_div_zero 0
		.amdhsa_exception_fp_ieee_overflow 0
		.amdhsa_exception_fp_ieee_underflow 0
		.amdhsa_exception_fp_ieee_inexact 0
		.amdhsa_exception_int_div_zero 0
	.end_amdhsa_kernel
	.section	.text._ZN7rocprim17ROCPRIM_400000_NS6detail17trampoline_kernelINS0_14default_configENS1_27scan_by_key_config_selectorIiiEEZZNS1_16scan_by_key_implILNS1_25lookback_scan_determinismE0ELb0ES3_N6thrust23THRUST_200600_302600_NS10device_ptrIiEESB_SB_iNS9_4plusIvEENS9_8equal_toIvEEiEE10hipError_tPvRmT2_T3_T4_T5_mT6_T7_P12ihipStream_tbENKUlT_T0_E_clISt17integral_constantIbLb1EESW_EEDaSR_SS_EUlSR_E_NS1_11comp_targetILNS1_3genE5ELNS1_11target_archE942ELNS1_3gpuE9ELNS1_3repE0EEENS1_30default_config_static_selectorELNS0_4arch9wavefront6targetE0EEEvT1_,"axG",@progbits,_ZN7rocprim17ROCPRIM_400000_NS6detail17trampoline_kernelINS0_14default_configENS1_27scan_by_key_config_selectorIiiEEZZNS1_16scan_by_key_implILNS1_25lookback_scan_determinismE0ELb0ES3_N6thrust23THRUST_200600_302600_NS10device_ptrIiEESB_SB_iNS9_4plusIvEENS9_8equal_toIvEEiEE10hipError_tPvRmT2_T3_T4_T5_mT6_T7_P12ihipStream_tbENKUlT_T0_E_clISt17integral_constantIbLb1EESW_EEDaSR_SS_EUlSR_E_NS1_11comp_targetILNS1_3genE5ELNS1_11target_archE942ELNS1_3gpuE9ELNS1_3repE0EEENS1_30default_config_static_selectorELNS0_4arch9wavefront6targetE0EEEvT1_,comdat
.Lfunc_end2206:
	.size	_ZN7rocprim17ROCPRIM_400000_NS6detail17trampoline_kernelINS0_14default_configENS1_27scan_by_key_config_selectorIiiEEZZNS1_16scan_by_key_implILNS1_25lookback_scan_determinismE0ELb0ES3_N6thrust23THRUST_200600_302600_NS10device_ptrIiEESB_SB_iNS9_4plusIvEENS9_8equal_toIvEEiEE10hipError_tPvRmT2_T3_T4_T5_mT6_T7_P12ihipStream_tbENKUlT_T0_E_clISt17integral_constantIbLb1EESW_EEDaSR_SS_EUlSR_E_NS1_11comp_targetILNS1_3genE5ELNS1_11target_archE942ELNS1_3gpuE9ELNS1_3repE0EEENS1_30default_config_static_selectorELNS0_4arch9wavefront6targetE0EEEvT1_, .Lfunc_end2206-_ZN7rocprim17ROCPRIM_400000_NS6detail17trampoline_kernelINS0_14default_configENS1_27scan_by_key_config_selectorIiiEEZZNS1_16scan_by_key_implILNS1_25lookback_scan_determinismE0ELb0ES3_N6thrust23THRUST_200600_302600_NS10device_ptrIiEESB_SB_iNS9_4plusIvEENS9_8equal_toIvEEiEE10hipError_tPvRmT2_T3_T4_T5_mT6_T7_P12ihipStream_tbENKUlT_T0_E_clISt17integral_constantIbLb1EESW_EEDaSR_SS_EUlSR_E_NS1_11comp_targetILNS1_3genE5ELNS1_11target_archE942ELNS1_3gpuE9ELNS1_3repE0EEENS1_30default_config_static_selectorELNS0_4arch9wavefront6targetE0EEEvT1_
                                        ; -- End function
	.set _ZN7rocprim17ROCPRIM_400000_NS6detail17trampoline_kernelINS0_14default_configENS1_27scan_by_key_config_selectorIiiEEZZNS1_16scan_by_key_implILNS1_25lookback_scan_determinismE0ELb0ES3_N6thrust23THRUST_200600_302600_NS10device_ptrIiEESB_SB_iNS9_4plusIvEENS9_8equal_toIvEEiEE10hipError_tPvRmT2_T3_T4_T5_mT6_T7_P12ihipStream_tbENKUlT_T0_E_clISt17integral_constantIbLb1EESW_EEDaSR_SS_EUlSR_E_NS1_11comp_targetILNS1_3genE5ELNS1_11target_archE942ELNS1_3gpuE9ELNS1_3repE0EEENS1_30default_config_static_selectorELNS0_4arch9wavefront6targetE0EEEvT1_.num_vgpr, 0
	.set _ZN7rocprim17ROCPRIM_400000_NS6detail17trampoline_kernelINS0_14default_configENS1_27scan_by_key_config_selectorIiiEEZZNS1_16scan_by_key_implILNS1_25lookback_scan_determinismE0ELb0ES3_N6thrust23THRUST_200600_302600_NS10device_ptrIiEESB_SB_iNS9_4plusIvEENS9_8equal_toIvEEiEE10hipError_tPvRmT2_T3_T4_T5_mT6_T7_P12ihipStream_tbENKUlT_T0_E_clISt17integral_constantIbLb1EESW_EEDaSR_SS_EUlSR_E_NS1_11comp_targetILNS1_3genE5ELNS1_11target_archE942ELNS1_3gpuE9ELNS1_3repE0EEENS1_30default_config_static_selectorELNS0_4arch9wavefront6targetE0EEEvT1_.num_agpr, 0
	.set _ZN7rocprim17ROCPRIM_400000_NS6detail17trampoline_kernelINS0_14default_configENS1_27scan_by_key_config_selectorIiiEEZZNS1_16scan_by_key_implILNS1_25lookback_scan_determinismE0ELb0ES3_N6thrust23THRUST_200600_302600_NS10device_ptrIiEESB_SB_iNS9_4plusIvEENS9_8equal_toIvEEiEE10hipError_tPvRmT2_T3_T4_T5_mT6_T7_P12ihipStream_tbENKUlT_T0_E_clISt17integral_constantIbLb1EESW_EEDaSR_SS_EUlSR_E_NS1_11comp_targetILNS1_3genE5ELNS1_11target_archE942ELNS1_3gpuE9ELNS1_3repE0EEENS1_30default_config_static_selectorELNS0_4arch9wavefront6targetE0EEEvT1_.numbered_sgpr, 0
	.set _ZN7rocprim17ROCPRIM_400000_NS6detail17trampoline_kernelINS0_14default_configENS1_27scan_by_key_config_selectorIiiEEZZNS1_16scan_by_key_implILNS1_25lookback_scan_determinismE0ELb0ES3_N6thrust23THRUST_200600_302600_NS10device_ptrIiEESB_SB_iNS9_4plusIvEENS9_8equal_toIvEEiEE10hipError_tPvRmT2_T3_T4_T5_mT6_T7_P12ihipStream_tbENKUlT_T0_E_clISt17integral_constantIbLb1EESW_EEDaSR_SS_EUlSR_E_NS1_11comp_targetILNS1_3genE5ELNS1_11target_archE942ELNS1_3gpuE9ELNS1_3repE0EEENS1_30default_config_static_selectorELNS0_4arch9wavefront6targetE0EEEvT1_.num_named_barrier, 0
	.set _ZN7rocprim17ROCPRIM_400000_NS6detail17trampoline_kernelINS0_14default_configENS1_27scan_by_key_config_selectorIiiEEZZNS1_16scan_by_key_implILNS1_25lookback_scan_determinismE0ELb0ES3_N6thrust23THRUST_200600_302600_NS10device_ptrIiEESB_SB_iNS9_4plusIvEENS9_8equal_toIvEEiEE10hipError_tPvRmT2_T3_T4_T5_mT6_T7_P12ihipStream_tbENKUlT_T0_E_clISt17integral_constantIbLb1EESW_EEDaSR_SS_EUlSR_E_NS1_11comp_targetILNS1_3genE5ELNS1_11target_archE942ELNS1_3gpuE9ELNS1_3repE0EEENS1_30default_config_static_selectorELNS0_4arch9wavefront6targetE0EEEvT1_.private_seg_size, 0
	.set _ZN7rocprim17ROCPRIM_400000_NS6detail17trampoline_kernelINS0_14default_configENS1_27scan_by_key_config_selectorIiiEEZZNS1_16scan_by_key_implILNS1_25lookback_scan_determinismE0ELb0ES3_N6thrust23THRUST_200600_302600_NS10device_ptrIiEESB_SB_iNS9_4plusIvEENS9_8equal_toIvEEiEE10hipError_tPvRmT2_T3_T4_T5_mT6_T7_P12ihipStream_tbENKUlT_T0_E_clISt17integral_constantIbLb1EESW_EEDaSR_SS_EUlSR_E_NS1_11comp_targetILNS1_3genE5ELNS1_11target_archE942ELNS1_3gpuE9ELNS1_3repE0EEENS1_30default_config_static_selectorELNS0_4arch9wavefront6targetE0EEEvT1_.uses_vcc, 0
	.set _ZN7rocprim17ROCPRIM_400000_NS6detail17trampoline_kernelINS0_14default_configENS1_27scan_by_key_config_selectorIiiEEZZNS1_16scan_by_key_implILNS1_25lookback_scan_determinismE0ELb0ES3_N6thrust23THRUST_200600_302600_NS10device_ptrIiEESB_SB_iNS9_4plusIvEENS9_8equal_toIvEEiEE10hipError_tPvRmT2_T3_T4_T5_mT6_T7_P12ihipStream_tbENKUlT_T0_E_clISt17integral_constantIbLb1EESW_EEDaSR_SS_EUlSR_E_NS1_11comp_targetILNS1_3genE5ELNS1_11target_archE942ELNS1_3gpuE9ELNS1_3repE0EEENS1_30default_config_static_selectorELNS0_4arch9wavefront6targetE0EEEvT1_.uses_flat_scratch, 0
	.set _ZN7rocprim17ROCPRIM_400000_NS6detail17trampoline_kernelINS0_14default_configENS1_27scan_by_key_config_selectorIiiEEZZNS1_16scan_by_key_implILNS1_25lookback_scan_determinismE0ELb0ES3_N6thrust23THRUST_200600_302600_NS10device_ptrIiEESB_SB_iNS9_4plusIvEENS9_8equal_toIvEEiEE10hipError_tPvRmT2_T3_T4_T5_mT6_T7_P12ihipStream_tbENKUlT_T0_E_clISt17integral_constantIbLb1EESW_EEDaSR_SS_EUlSR_E_NS1_11comp_targetILNS1_3genE5ELNS1_11target_archE942ELNS1_3gpuE9ELNS1_3repE0EEENS1_30default_config_static_selectorELNS0_4arch9wavefront6targetE0EEEvT1_.has_dyn_sized_stack, 0
	.set _ZN7rocprim17ROCPRIM_400000_NS6detail17trampoline_kernelINS0_14default_configENS1_27scan_by_key_config_selectorIiiEEZZNS1_16scan_by_key_implILNS1_25lookback_scan_determinismE0ELb0ES3_N6thrust23THRUST_200600_302600_NS10device_ptrIiEESB_SB_iNS9_4plusIvEENS9_8equal_toIvEEiEE10hipError_tPvRmT2_T3_T4_T5_mT6_T7_P12ihipStream_tbENKUlT_T0_E_clISt17integral_constantIbLb1EESW_EEDaSR_SS_EUlSR_E_NS1_11comp_targetILNS1_3genE5ELNS1_11target_archE942ELNS1_3gpuE9ELNS1_3repE0EEENS1_30default_config_static_selectorELNS0_4arch9wavefront6targetE0EEEvT1_.has_recursion, 0
	.set _ZN7rocprim17ROCPRIM_400000_NS6detail17trampoline_kernelINS0_14default_configENS1_27scan_by_key_config_selectorIiiEEZZNS1_16scan_by_key_implILNS1_25lookback_scan_determinismE0ELb0ES3_N6thrust23THRUST_200600_302600_NS10device_ptrIiEESB_SB_iNS9_4plusIvEENS9_8equal_toIvEEiEE10hipError_tPvRmT2_T3_T4_T5_mT6_T7_P12ihipStream_tbENKUlT_T0_E_clISt17integral_constantIbLb1EESW_EEDaSR_SS_EUlSR_E_NS1_11comp_targetILNS1_3genE5ELNS1_11target_archE942ELNS1_3gpuE9ELNS1_3repE0EEENS1_30default_config_static_selectorELNS0_4arch9wavefront6targetE0EEEvT1_.has_indirect_call, 0
	.section	.AMDGPU.csdata,"",@progbits
; Kernel info:
; codeLenInByte = 0
; TotalNumSgprs: 0
; NumVgprs: 0
; ScratchSize: 0
; MemoryBound: 0
; FloatMode: 240
; IeeeMode: 1
; LDSByteSize: 0 bytes/workgroup (compile time only)
; SGPRBlocks: 0
; VGPRBlocks: 0
; NumSGPRsForWavesPerEU: 1
; NumVGPRsForWavesPerEU: 1
; NamedBarCnt: 0
; Occupancy: 16
; WaveLimiterHint : 0
; COMPUTE_PGM_RSRC2:SCRATCH_EN: 0
; COMPUTE_PGM_RSRC2:USER_SGPR: 2
; COMPUTE_PGM_RSRC2:TRAP_HANDLER: 0
; COMPUTE_PGM_RSRC2:TGID_X_EN: 1
; COMPUTE_PGM_RSRC2:TGID_Y_EN: 0
; COMPUTE_PGM_RSRC2:TGID_Z_EN: 0
; COMPUTE_PGM_RSRC2:TIDIG_COMP_CNT: 0
	.section	.text._ZN7rocprim17ROCPRIM_400000_NS6detail17trampoline_kernelINS0_14default_configENS1_27scan_by_key_config_selectorIiiEEZZNS1_16scan_by_key_implILNS1_25lookback_scan_determinismE0ELb0ES3_N6thrust23THRUST_200600_302600_NS10device_ptrIiEESB_SB_iNS9_4plusIvEENS9_8equal_toIvEEiEE10hipError_tPvRmT2_T3_T4_T5_mT6_T7_P12ihipStream_tbENKUlT_T0_E_clISt17integral_constantIbLb1EESW_EEDaSR_SS_EUlSR_E_NS1_11comp_targetILNS1_3genE4ELNS1_11target_archE910ELNS1_3gpuE8ELNS1_3repE0EEENS1_30default_config_static_selectorELNS0_4arch9wavefront6targetE0EEEvT1_,"axG",@progbits,_ZN7rocprim17ROCPRIM_400000_NS6detail17trampoline_kernelINS0_14default_configENS1_27scan_by_key_config_selectorIiiEEZZNS1_16scan_by_key_implILNS1_25lookback_scan_determinismE0ELb0ES3_N6thrust23THRUST_200600_302600_NS10device_ptrIiEESB_SB_iNS9_4plusIvEENS9_8equal_toIvEEiEE10hipError_tPvRmT2_T3_T4_T5_mT6_T7_P12ihipStream_tbENKUlT_T0_E_clISt17integral_constantIbLb1EESW_EEDaSR_SS_EUlSR_E_NS1_11comp_targetILNS1_3genE4ELNS1_11target_archE910ELNS1_3gpuE8ELNS1_3repE0EEENS1_30default_config_static_selectorELNS0_4arch9wavefront6targetE0EEEvT1_,comdat
	.protected	_ZN7rocprim17ROCPRIM_400000_NS6detail17trampoline_kernelINS0_14default_configENS1_27scan_by_key_config_selectorIiiEEZZNS1_16scan_by_key_implILNS1_25lookback_scan_determinismE0ELb0ES3_N6thrust23THRUST_200600_302600_NS10device_ptrIiEESB_SB_iNS9_4plusIvEENS9_8equal_toIvEEiEE10hipError_tPvRmT2_T3_T4_T5_mT6_T7_P12ihipStream_tbENKUlT_T0_E_clISt17integral_constantIbLb1EESW_EEDaSR_SS_EUlSR_E_NS1_11comp_targetILNS1_3genE4ELNS1_11target_archE910ELNS1_3gpuE8ELNS1_3repE0EEENS1_30default_config_static_selectorELNS0_4arch9wavefront6targetE0EEEvT1_ ; -- Begin function _ZN7rocprim17ROCPRIM_400000_NS6detail17trampoline_kernelINS0_14default_configENS1_27scan_by_key_config_selectorIiiEEZZNS1_16scan_by_key_implILNS1_25lookback_scan_determinismE0ELb0ES3_N6thrust23THRUST_200600_302600_NS10device_ptrIiEESB_SB_iNS9_4plusIvEENS9_8equal_toIvEEiEE10hipError_tPvRmT2_T3_T4_T5_mT6_T7_P12ihipStream_tbENKUlT_T0_E_clISt17integral_constantIbLb1EESW_EEDaSR_SS_EUlSR_E_NS1_11comp_targetILNS1_3genE4ELNS1_11target_archE910ELNS1_3gpuE8ELNS1_3repE0EEENS1_30default_config_static_selectorELNS0_4arch9wavefront6targetE0EEEvT1_
	.globl	_ZN7rocprim17ROCPRIM_400000_NS6detail17trampoline_kernelINS0_14default_configENS1_27scan_by_key_config_selectorIiiEEZZNS1_16scan_by_key_implILNS1_25lookback_scan_determinismE0ELb0ES3_N6thrust23THRUST_200600_302600_NS10device_ptrIiEESB_SB_iNS9_4plusIvEENS9_8equal_toIvEEiEE10hipError_tPvRmT2_T3_T4_T5_mT6_T7_P12ihipStream_tbENKUlT_T0_E_clISt17integral_constantIbLb1EESW_EEDaSR_SS_EUlSR_E_NS1_11comp_targetILNS1_3genE4ELNS1_11target_archE910ELNS1_3gpuE8ELNS1_3repE0EEENS1_30default_config_static_selectorELNS0_4arch9wavefront6targetE0EEEvT1_
	.p2align	8
	.type	_ZN7rocprim17ROCPRIM_400000_NS6detail17trampoline_kernelINS0_14default_configENS1_27scan_by_key_config_selectorIiiEEZZNS1_16scan_by_key_implILNS1_25lookback_scan_determinismE0ELb0ES3_N6thrust23THRUST_200600_302600_NS10device_ptrIiEESB_SB_iNS9_4plusIvEENS9_8equal_toIvEEiEE10hipError_tPvRmT2_T3_T4_T5_mT6_T7_P12ihipStream_tbENKUlT_T0_E_clISt17integral_constantIbLb1EESW_EEDaSR_SS_EUlSR_E_NS1_11comp_targetILNS1_3genE4ELNS1_11target_archE910ELNS1_3gpuE8ELNS1_3repE0EEENS1_30default_config_static_selectorELNS0_4arch9wavefront6targetE0EEEvT1_,@function
_ZN7rocprim17ROCPRIM_400000_NS6detail17trampoline_kernelINS0_14default_configENS1_27scan_by_key_config_selectorIiiEEZZNS1_16scan_by_key_implILNS1_25lookback_scan_determinismE0ELb0ES3_N6thrust23THRUST_200600_302600_NS10device_ptrIiEESB_SB_iNS9_4plusIvEENS9_8equal_toIvEEiEE10hipError_tPvRmT2_T3_T4_T5_mT6_T7_P12ihipStream_tbENKUlT_T0_E_clISt17integral_constantIbLb1EESW_EEDaSR_SS_EUlSR_E_NS1_11comp_targetILNS1_3genE4ELNS1_11target_archE910ELNS1_3gpuE8ELNS1_3repE0EEENS1_30default_config_static_selectorELNS0_4arch9wavefront6targetE0EEEvT1_: ; @_ZN7rocprim17ROCPRIM_400000_NS6detail17trampoline_kernelINS0_14default_configENS1_27scan_by_key_config_selectorIiiEEZZNS1_16scan_by_key_implILNS1_25lookback_scan_determinismE0ELb0ES3_N6thrust23THRUST_200600_302600_NS10device_ptrIiEESB_SB_iNS9_4plusIvEENS9_8equal_toIvEEiEE10hipError_tPvRmT2_T3_T4_T5_mT6_T7_P12ihipStream_tbENKUlT_T0_E_clISt17integral_constantIbLb1EESW_EEDaSR_SS_EUlSR_E_NS1_11comp_targetILNS1_3genE4ELNS1_11target_archE910ELNS1_3gpuE8ELNS1_3repE0EEENS1_30default_config_static_selectorELNS0_4arch9wavefront6targetE0EEEvT1_
; %bb.0:
	.section	.rodata,"a",@progbits
	.p2align	6, 0x0
	.amdhsa_kernel _ZN7rocprim17ROCPRIM_400000_NS6detail17trampoline_kernelINS0_14default_configENS1_27scan_by_key_config_selectorIiiEEZZNS1_16scan_by_key_implILNS1_25lookback_scan_determinismE0ELb0ES3_N6thrust23THRUST_200600_302600_NS10device_ptrIiEESB_SB_iNS9_4plusIvEENS9_8equal_toIvEEiEE10hipError_tPvRmT2_T3_T4_T5_mT6_T7_P12ihipStream_tbENKUlT_T0_E_clISt17integral_constantIbLb1EESW_EEDaSR_SS_EUlSR_E_NS1_11comp_targetILNS1_3genE4ELNS1_11target_archE910ELNS1_3gpuE8ELNS1_3repE0EEENS1_30default_config_static_selectorELNS0_4arch9wavefront6targetE0EEEvT1_
		.amdhsa_group_segment_fixed_size 0
		.amdhsa_private_segment_fixed_size 0
		.amdhsa_kernarg_size 112
		.amdhsa_user_sgpr_count 2
		.amdhsa_user_sgpr_dispatch_ptr 0
		.amdhsa_user_sgpr_queue_ptr 0
		.amdhsa_user_sgpr_kernarg_segment_ptr 1
		.amdhsa_user_sgpr_dispatch_id 0
		.amdhsa_user_sgpr_kernarg_preload_length 0
		.amdhsa_user_sgpr_kernarg_preload_offset 0
		.amdhsa_user_sgpr_private_segment_size 0
		.amdhsa_wavefront_size32 1
		.amdhsa_uses_dynamic_stack 0
		.amdhsa_enable_private_segment 0
		.amdhsa_system_sgpr_workgroup_id_x 1
		.amdhsa_system_sgpr_workgroup_id_y 0
		.amdhsa_system_sgpr_workgroup_id_z 0
		.amdhsa_system_sgpr_workgroup_info 0
		.amdhsa_system_vgpr_workitem_id 0
		.amdhsa_next_free_vgpr 1
		.amdhsa_next_free_sgpr 1
		.amdhsa_named_barrier_count 0
		.amdhsa_reserve_vcc 0
		.amdhsa_float_round_mode_32 0
		.amdhsa_float_round_mode_16_64 0
		.amdhsa_float_denorm_mode_32 3
		.amdhsa_float_denorm_mode_16_64 3
		.amdhsa_fp16_overflow 0
		.amdhsa_memory_ordered 1
		.amdhsa_forward_progress 1
		.amdhsa_inst_pref_size 0
		.amdhsa_round_robin_scheduling 0
		.amdhsa_exception_fp_ieee_invalid_op 0
		.amdhsa_exception_fp_denorm_src 0
		.amdhsa_exception_fp_ieee_div_zero 0
		.amdhsa_exception_fp_ieee_overflow 0
		.amdhsa_exception_fp_ieee_underflow 0
		.amdhsa_exception_fp_ieee_inexact 0
		.amdhsa_exception_int_div_zero 0
	.end_amdhsa_kernel
	.section	.text._ZN7rocprim17ROCPRIM_400000_NS6detail17trampoline_kernelINS0_14default_configENS1_27scan_by_key_config_selectorIiiEEZZNS1_16scan_by_key_implILNS1_25lookback_scan_determinismE0ELb0ES3_N6thrust23THRUST_200600_302600_NS10device_ptrIiEESB_SB_iNS9_4plusIvEENS9_8equal_toIvEEiEE10hipError_tPvRmT2_T3_T4_T5_mT6_T7_P12ihipStream_tbENKUlT_T0_E_clISt17integral_constantIbLb1EESW_EEDaSR_SS_EUlSR_E_NS1_11comp_targetILNS1_3genE4ELNS1_11target_archE910ELNS1_3gpuE8ELNS1_3repE0EEENS1_30default_config_static_selectorELNS0_4arch9wavefront6targetE0EEEvT1_,"axG",@progbits,_ZN7rocprim17ROCPRIM_400000_NS6detail17trampoline_kernelINS0_14default_configENS1_27scan_by_key_config_selectorIiiEEZZNS1_16scan_by_key_implILNS1_25lookback_scan_determinismE0ELb0ES3_N6thrust23THRUST_200600_302600_NS10device_ptrIiEESB_SB_iNS9_4plusIvEENS9_8equal_toIvEEiEE10hipError_tPvRmT2_T3_T4_T5_mT6_T7_P12ihipStream_tbENKUlT_T0_E_clISt17integral_constantIbLb1EESW_EEDaSR_SS_EUlSR_E_NS1_11comp_targetILNS1_3genE4ELNS1_11target_archE910ELNS1_3gpuE8ELNS1_3repE0EEENS1_30default_config_static_selectorELNS0_4arch9wavefront6targetE0EEEvT1_,comdat
.Lfunc_end2207:
	.size	_ZN7rocprim17ROCPRIM_400000_NS6detail17trampoline_kernelINS0_14default_configENS1_27scan_by_key_config_selectorIiiEEZZNS1_16scan_by_key_implILNS1_25lookback_scan_determinismE0ELb0ES3_N6thrust23THRUST_200600_302600_NS10device_ptrIiEESB_SB_iNS9_4plusIvEENS9_8equal_toIvEEiEE10hipError_tPvRmT2_T3_T4_T5_mT6_T7_P12ihipStream_tbENKUlT_T0_E_clISt17integral_constantIbLb1EESW_EEDaSR_SS_EUlSR_E_NS1_11comp_targetILNS1_3genE4ELNS1_11target_archE910ELNS1_3gpuE8ELNS1_3repE0EEENS1_30default_config_static_selectorELNS0_4arch9wavefront6targetE0EEEvT1_, .Lfunc_end2207-_ZN7rocprim17ROCPRIM_400000_NS6detail17trampoline_kernelINS0_14default_configENS1_27scan_by_key_config_selectorIiiEEZZNS1_16scan_by_key_implILNS1_25lookback_scan_determinismE0ELb0ES3_N6thrust23THRUST_200600_302600_NS10device_ptrIiEESB_SB_iNS9_4plusIvEENS9_8equal_toIvEEiEE10hipError_tPvRmT2_T3_T4_T5_mT6_T7_P12ihipStream_tbENKUlT_T0_E_clISt17integral_constantIbLb1EESW_EEDaSR_SS_EUlSR_E_NS1_11comp_targetILNS1_3genE4ELNS1_11target_archE910ELNS1_3gpuE8ELNS1_3repE0EEENS1_30default_config_static_selectorELNS0_4arch9wavefront6targetE0EEEvT1_
                                        ; -- End function
	.set _ZN7rocprim17ROCPRIM_400000_NS6detail17trampoline_kernelINS0_14default_configENS1_27scan_by_key_config_selectorIiiEEZZNS1_16scan_by_key_implILNS1_25lookback_scan_determinismE0ELb0ES3_N6thrust23THRUST_200600_302600_NS10device_ptrIiEESB_SB_iNS9_4plusIvEENS9_8equal_toIvEEiEE10hipError_tPvRmT2_T3_T4_T5_mT6_T7_P12ihipStream_tbENKUlT_T0_E_clISt17integral_constantIbLb1EESW_EEDaSR_SS_EUlSR_E_NS1_11comp_targetILNS1_3genE4ELNS1_11target_archE910ELNS1_3gpuE8ELNS1_3repE0EEENS1_30default_config_static_selectorELNS0_4arch9wavefront6targetE0EEEvT1_.num_vgpr, 0
	.set _ZN7rocprim17ROCPRIM_400000_NS6detail17trampoline_kernelINS0_14default_configENS1_27scan_by_key_config_selectorIiiEEZZNS1_16scan_by_key_implILNS1_25lookback_scan_determinismE0ELb0ES3_N6thrust23THRUST_200600_302600_NS10device_ptrIiEESB_SB_iNS9_4plusIvEENS9_8equal_toIvEEiEE10hipError_tPvRmT2_T3_T4_T5_mT6_T7_P12ihipStream_tbENKUlT_T0_E_clISt17integral_constantIbLb1EESW_EEDaSR_SS_EUlSR_E_NS1_11comp_targetILNS1_3genE4ELNS1_11target_archE910ELNS1_3gpuE8ELNS1_3repE0EEENS1_30default_config_static_selectorELNS0_4arch9wavefront6targetE0EEEvT1_.num_agpr, 0
	.set _ZN7rocprim17ROCPRIM_400000_NS6detail17trampoline_kernelINS0_14default_configENS1_27scan_by_key_config_selectorIiiEEZZNS1_16scan_by_key_implILNS1_25lookback_scan_determinismE0ELb0ES3_N6thrust23THRUST_200600_302600_NS10device_ptrIiEESB_SB_iNS9_4plusIvEENS9_8equal_toIvEEiEE10hipError_tPvRmT2_T3_T4_T5_mT6_T7_P12ihipStream_tbENKUlT_T0_E_clISt17integral_constantIbLb1EESW_EEDaSR_SS_EUlSR_E_NS1_11comp_targetILNS1_3genE4ELNS1_11target_archE910ELNS1_3gpuE8ELNS1_3repE0EEENS1_30default_config_static_selectorELNS0_4arch9wavefront6targetE0EEEvT1_.numbered_sgpr, 0
	.set _ZN7rocprim17ROCPRIM_400000_NS6detail17trampoline_kernelINS0_14default_configENS1_27scan_by_key_config_selectorIiiEEZZNS1_16scan_by_key_implILNS1_25lookback_scan_determinismE0ELb0ES3_N6thrust23THRUST_200600_302600_NS10device_ptrIiEESB_SB_iNS9_4plusIvEENS9_8equal_toIvEEiEE10hipError_tPvRmT2_T3_T4_T5_mT6_T7_P12ihipStream_tbENKUlT_T0_E_clISt17integral_constantIbLb1EESW_EEDaSR_SS_EUlSR_E_NS1_11comp_targetILNS1_3genE4ELNS1_11target_archE910ELNS1_3gpuE8ELNS1_3repE0EEENS1_30default_config_static_selectorELNS0_4arch9wavefront6targetE0EEEvT1_.num_named_barrier, 0
	.set _ZN7rocprim17ROCPRIM_400000_NS6detail17trampoline_kernelINS0_14default_configENS1_27scan_by_key_config_selectorIiiEEZZNS1_16scan_by_key_implILNS1_25lookback_scan_determinismE0ELb0ES3_N6thrust23THRUST_200600_302600_NS10device_ptrIiEESB_SB_iNS9_4plusIvEENS9_8equal_toIvEEiEE10hipError_tPvRmT2_T3_T4_T5_mT6_T7_P12ihipStream_tbENKUlT_T0_E_clISt17integral_constantIbLb1EESW_EEDaSR_SS_EUlSR_E_NS1_11comp_targetILNS1_3genE4ELNS1_11target_archE910ELNS1_3gpuE8ELNS1_3repE0EEENS1_30default_config_static_selectorELNS0_4arch9wavefront6targetE0EEEvT1_.private_seg_size, 0
	.set _ZN7rocprim17ROCPRIM_400000_NS6detail17trampoline_kernelINS0_14default_configENS1_27scan_by_key_config_selectorIiiEEZZNS1_16scan_by_key_implILNS1_25lookback_scan_determinismE0ELb0ES3_N6thrust23THRUST_200600_302600_NS10device_ptrIiEESB_SB_iNS9_4plusIvEENS9_8equal_toIvEEiEE10hipError_tPvRmT2_T3_T4_T5_mT6_T7_P12ihipStream_tbENKUlT_T0_E_clISt17integral_constantIbLb1EESW_EEDaSR_SS_EUlSR_E_NS1_11comp_targetILNS1_3genE4ELNS1_11target_archE910ELNS1_3gpuE8ELNS1_3repE0EEENS1_30default_config_static_selectorELNS0_4arch9wavefront6targetE0EEEvT1_.uses_vcc, 0
	.set _ZN7rocprim17ROCPRIM_400000_NS6detail17trampoline_kernelINS0_14default_configENS1_27scan_by_key_config_selectorIiiEEZZNS1_16scan_by_key_implILNS1_25lookback_scan_determinismE0ELb0ES3_N6thrust23THRUST_200600_302600_NS10device_ptrIiEESB_SB_iNS9_4plusIvEENS9_8equal_toIvEEiEE10hipError_tPvRmT2_T3_T4_T5_mT6_T7_P12ihipStream_tbENKUlT_T0_E_clISt17integral_constantIbLb1EESW_EEDaSR_SS_EUlSR_E_NS1_11comp_targetILNS1_3genE4ELNS1_11target_archE910ELNS1_3gpuE8ELNS1_3repE0EEENS1_30default_config_static_selectorELNS0_4arch9wavefront6targetE0EEEvT1_.uses_flat_scratch, 0
	.set _ZN7rocprim17ROCPRIM_400000_NS6detail17trampoline_kernelINS0_14default_configENS1_27scan_by_key_config_selectorIiiEEZZNS1_16scan_by_key_implILNS1_25lookback_scan_determinismE0ELb0ES3_N6thrust23THRUST_200600_302600_NS10device_ptrIiEESB_SB_iNS9_4plusIvEENS9_8equal_toIvEEiEE10hipError_tPvRmT2_T3_T4_T5_mT6_T7_P12ihipStream_tbENKUlT_T0_E_clISt17integral_constantIbLb1EESW_EEDaSR_SS_EUlSR_E_NS1_11comp_targetILNS1_3genE4ELNS1_11target_archE910ELNS1_3gpuE8ELNS1_3repE0EEENS1_30default_config_static_selectorELNS0_4arch9wavefront6targetE0EEEvT1_.has_dyn_sized_stack, 0
	.set _ZN7rocprim17ROCPRIM_400000_NS6detail17trampoline_kernelINS0_14default_configENS1_27scan_by_key_config_selectorIiiEEZZNS1_16scan_by_key_implILNS1_25lookback_scan_determinismE0ELb0ES3_N6thrust23THRUST_200600_302600_NS10device_ptrIiEESB_SB_iNS9_4plusIvEENS9_8equal_toIvEEiEE10hipError_tPvRmT2_T3_T4_T5_mT6_T7_P12ihipStream_tbENKUlT_T0_E_clISt17integral_constantIbLb1EESW_EEDaSR_SS_EUlSR_E_NS1_11comp_targetILNS1_3genE4ELNS1_11target_archE910ELNS1_3gpuE8ELNS1_3repE0EEENS1_30default_config_static_selectorELNS0_4arch9wavefront6targetE0EEEvT1_.has_recursion, 0
	.set _ZN7rocprim17ROCPRIM_400000_NS6detail17trampoline_kernelINS0_14default_configENS1_27scan_by_key_config_selectorIiiEEZZNS1_16scan_by_key_implILNS1_25lookback_scan_determinismE0ELb0ES3_N6thrust23THRUST_200600_302600_NS10device_ptrIiEESB_SB_iNS9_4plusIvEENS9_8equal_toIvEEiEE10hipError_tPvRmT2_T3_T4_T5_mT6_T7_P12ihipStream_tbENKUlT_T0_E_clISt17integral_constantIbLb1EESW_EEDaSR_SS_EUlSR_E_NS1_11comp_targetILNS1_3genE4ELNS1_11target_archE910ELNS1_3gpuE8ELNS1_3repE0EEENS1_30default_config_static_selectorELNS0_4arch9wavefront6targetE0EEEvT1_.has_indirect_call, 0
	.section	.AMDGPU.csdata,"",@progbits
; Kernel info:
; codeLenInByte = 0
; TotalNumSgprs: 0
; NumVgprs: 0
; ScratchSize: 0
; MemoryBound: 0
; FloatMode: 240
; IeeeMode: 1
; LDSByteSize: 0 bytes/workgroup (compile time only)
; SGPRBlocks: 0
; VGPRBlocks: 0
; NumSGPRsForWavesPerEU: 1
; NumVGPRsForWavesPerEU: 1
; NamedBarCnt: 0
; Occupancy: 16
; WaveLimiterHint : 0
; COMPUTE_PGM_RSRC2:SCRATCH_EN: 0
; COMPUTE_PGM_RSRC2:USER_SGPR: 2
; COMPUTE_PGM_RSRC2:TRAP_HANDLER: 0
; COMPUTE_PGM_RSRC2:TGID_X_EN: 1
; COMPUTE_PGM_RSRC2:TGID_Y_EN: 0
; COMPUTE_PGM_RSRC2:TGID_Z_EN: 0
; COMPUTE_PGM_RSRC2:TIDIG_COMP_CNT: 0
	.section	.text._ZN7rocprim17ROCPRIM_400000_NS6detail17trampoline_kernelINS0_14default_configENS1_27scan_by_key_config_selectorIiiEEZZNS1_16scan_by_key_implILNS1_25lookback_scan_determinismE0ELb0ES3_N6thrust23THRUST_200600_302600_NS10device_ptrIiEESB_SB_iNS9_4plusIvEENS9_8equal_toIvEEiEE10hipError_tPvRmT2_T3_T4_T5_mT6_T7_P12ihipStream_tbENKUlT_T0_E_clISt17integral_constantIbLb1EESW_EEDaSR_SS_EUlSR_E_NS1_11comp_targetILNS1_3genE3ELNS1_11target_archE908ELNS1_3gpuE7ELNS1_3repE0EEENS1_30default_config_static_selectorELNS0_4arch9wavefront6targetE0EEEvT1_,"axG",@progbits,_ZN7rocprim17ROCPRIM_400000_NS6detail17trampoline_kernelINS0_14default_configENS1_27scan_by_key_config_selectorIiiEEZZNS1_16scan_by_key_implILNS1_25lookback_scan_determinismE0ELb0ES3_N6thrust23THRUST_200600_302600_NS10device_ptrIiEESB_SB_iNS9_4plusIvEENS9_8equal_toIvEEiEE10hipError_tPvRmT2_T3_T4_T5_mT6_T7_P12ihipStream_tbENKUlT_T0_E_clISt17integral_constantIbLb1EESW_EEDaSR_SS_EUlSR_E_NS1_11comp_targetILNS1_3genE3ELNS1_11target_archE908ELNS1_3gpuE7ELNS1_3repE0EEENS1_30default_config_static_selectorELNS0_4arch9wavefront6targetE0EEEvT1_,comdat
	.protected	_ZN7rocprim17ROCPRIM_400000_NS6detail17trampoline_kernelINS0_14default_configENS1_27scan_by_key_config_selectorIiiEEZZNS1_16scan_by_key_implILNS1_25lookback_scan_determinismE0ELb0ES3_N6thrust23THRUST_200600_302600_NS10device_ptrIiEESB_SB_iNS9_4plusIvEENS9_8equal_toIvEEiEE10hipError_tPvRmT2_T3_T4_T5_mT6_T7_P12ihipStream_tbENKUlT_T0_E_clISt17integral_constantIbLb1EESW_EEDaSR_SS_EUlSR_E_NS1_11comp_targetILNS1_3genE3ELNS1_11target_archE908ELNS1_3gpuE7ELNS1_3repE0EEENS1_30default_config_static_selectorELNS0_4arch9wavefront6targetE0EEEvT1_ ; -- Begin function _ZN7rocprim17ROCPRIM_400000_NS6detail17trampoline_kernelINS0_14default_configENS1_27scan_by_key_config_selectorIiiEEZZNS1_16scan_by_key_implILNS1_25lookback_scan_determinismE0ELb0ES3_N6thrust23THRUST_200600_302600_NS10device_ptrIiEESB_SB_iNS9_4plusIvEENS9_8equal_toIvEEiEE10hipError_tPvRmT2_T3_T4_T5_mT6_T7_P12ihipStream_tbENKUlT_T0_E_clISt17integral_constantIbLb1EESW_EEDaSR_SS_EUlSR_E_NS1_11comp_targetILNS1_3genE3ELNS1_11target_archE908ELNS1_3gpuE7ELNS1_3repE0EEENS1_30default_config_static_selectorELNS0_4arch9wavefront6targetE0EEEvT1_
	.globl	_ZN7rocprim17ROCPRIM_400000_NS6detail17trampoline_kernelINS0_14default_configENS1_27scan_by_key_config_selectorIiiEEZZNS1_16scan_by_key_implILNS1_25lookback_scan_determinismE0ELb0ES3_N6thrust23THRUST_200600_302600_NS10device_ptrIiEESB_SB_iNS9_4plusIvEENS9_8equal_toIvEEiEE10hipError_tPvRmT2_T3_T4_T5_mT6_T7_P12ihipStream_tbENKUlT_T0_E_clISt17integral_constantIbLb1EESW_EEDaSR_SS_EUlSR_E_NS1_11comp_targetILNS1_3genE3ELNS1_11target_archE908ELNS1_3gpuE7ELNS1_3repE0EEENS1_30default_config_static_selectorELNS0_4arch9wavefront6targetE0EEEvT1_
	.p2align	8
	.type	_ZN7rocprim17ROCPRIM_400000_NS6detail17trampoline_kernelINS0_14default_configENS1_27scan_by_key_config_selectorIiiEEZZNS1_16scan_by_key_implILNS1_25lookback_scan_determinismE0ELb0ES3_N6thrust23THRUST_200600_302600_NS10device_ptrIiEESB_SB_iNS9_4plusIvEENS9_8equal_toIvEEiEE10hipError_tPvRmT2_T3_T4_T5_mT6_T7_P12ihipStream_tbENKUlT_T0_E_clISt17integral_constantIbLb1EESW_EEDaSR_SS_EUlSR_E_NS1_11comp_targetILNS1_3genE3ELNS1_11target_archE908ELNS1_3gpuE7ELNS1_3repE0EEENS1_30default_config_static_selectorELNS0_4arch9wavefront6targetE0EEEvT1_,@function
_ZN7rocprim17ROCPRIM_400000_NS6detail17trampoline_kernelINS0_14default_configENS1_27scan_by_key_config_selectorIiiEEZZNS1_16scan_by_key_implILNS1_25lookback_scan_determinismE0ELb0ES3_N6thrust23THRUST_200600_302600_NS10device_ptrIiEESB_SB_iNS9_4plusIvEENS9_8equal_toIvEEiEE10hipError_tPvRmT2_T3_T4_T5_mT6_T7_P12ihipStream_tbENKUlT_T0_E_clISt17integral_constantIbLb1EESW_EEDaSR_SS_EUlSR_E_NS1_11comp_targetILNS1_3genE3ELNS1_11target_archE908ELNS1_3gpuE7ELNS1_3repE0EEENS1_30default_config_static_selectorELNS0_4arch9wavefront6targetE0EEEvT1_: ; @_ZN7rocprim17ROCPRIM_400000_NS6detail17trampoline_kernelINS0_14default_configENS1_27scan_by_key_config_selectorIiiEEZZNS1_16scan_by_key_implILNS1_25lookback_scan_determinismE0ELb0ES3_N6thrust23THRUST_200600_302600_NS10device_ptrIiEESB_SB_iNS9_4plusIvEENS9_8equal_toIvEEiEE10hipError_tPvRmT2_T3_T4_T5_mT6_T7_P12ihipStream_tbENKUlT_T0_E_clISt17integral_constantIbLb1EESW_EEDaSR_SS_EUlSR_E_NS1_11comp_targetILNS1_3genE3ELNS1_11target_archE908ELNS1_3gpuE7ELNS1_3repE0EEENS1_30default_config_static_selectorELNS0_4arch9wavefront6targetE0EEEvT1_
; %bb.0:
	.section	.rodata,"a",@progbits
	.p2align	6, 0x0
	.amdhsa_kernel _ZN7rocprim17ROCPRIM_400000_NS6detail17trampoline_kernelINS0_14default_configENS1_27scan_by_key_config_selectorIiiEEZZNS1_16scan_by_key_implILNS1_25lookback_scan_determinismE0ELb0ES3_N6thrust23THRUST_200600_302600_NS10device_ptrIiEESB_SB_iNS9_4plusIvEENS9_8equal_toIvEEiEE10hipError_tPvRmT2_T3_T4_T5_mT6_T7_P12ihipStream_tbENKUlT_T0_E_clISt17integral_constantIbLb1EESW_EEDaSR_SS_EUlSR_E_NS1_11comp_targetILNS1_3genE3ELNS1_11target_archE908ELNS1_3gpuE7ELNS1_3repE0EEENS1_30default_config_static_selectorELNS0_4arch9wavefront6targetE0EEEvT1_
		.amdhsa_group_segment_fixed_size 0
		.amdhsa_private_segment_fixed_size 0
		.amdhsa_kernarg_size 112
		.amdhsa_user_sgpr_count 2
		.amdhsa_user_sgpr_dispatch_ptr 0
		.amdhsa_user_sgpr_queue_ptr 0
		.amdhsa_user_sgpr_kernarg_segment_ptr 1
		.amdhsa_user_sgpr_dispatch_id 0
		.amdhsa_user_sgpr_kernarg_preload_length 0
		.amdhsa_user_sgpr_kernarg_preload_offset 0
		.amdhsa_user_sgpr_private_segment_size 0
		.amdhsa_wavefront_size32 1
		.amdhsa_uses_dynamic_stack 0
		.amdhsa_enable_private_segment 0
		.amdhsa_system_sgpr_workgroup_id_x 1
		.amdhsa_system_sgpr_workgroup_id_y 0
		.amdhsa_system_sgpr_workgroup_id_z 0
		.amdhsa_system_sgpr_workgroup_info 0
		.amdhsa_system_vgpr_workitem_id 0
		.amdhsa_next_free_vgpr 1
		.amdhsa_next_free_sgpr 1
		.amdhsa_named_barrier_count 0
		.amdhsa_reserve_vcc 0
		.amdhsa_float_round_mode_32 0
		.amdhsa_float_round_mode_16_64 0
		.amdhsa_float_denorm_mode_32 3
		.amdhsa_float_denorm_mode_16_64 3
		.amdhsa_fp16_overflow 0
		.amdhsa_memory_ordered 1
		.amdhsa_forward_progress 1
		.amdhsa_inst_pref_size 0
		.amdhsa_round_robin_scheduling 0
		.amdhsa_exception_fp_ieee_invalid_op 0
		.amdhsa_exception_fp_denorm_src 0
		.amdhsa_exception_fp_ieee_div_zero 0
		.amdhsa_exception_fp_ieee_overflow 0
		.amdhsa_exception_fp_ieee_underflow 0
		.amdhsa_exception_fp_ieee_inexact 0
		.amdhsa_exception_int_div_zero 0
	.end_amdhsa_kernel
	.section	.text._ZN7rocprim17ROCPRIM_400000_NS6detail17trampoline_kernelINS0_14default_configENS1_27scan_by_key_config_selectorIiiEEZZNS1_16scan_by_key_implILNS1_25lookback_scan_determinismE0ELb0ES3_N6thrust23THRUST_200600_302600_NS10device_ptrIiEESB_SB_iNS9_4plusIvEENS9_8equal_toIvEEiEE10hipError_tPvRmT2_T3_T4_T5_mT6_T7_P12ihipStream_tbENKUlT_T0_E_clISt17integral_constantIbLb1EESW_EEDaSR_SS_EUlSR_E_NS1_11comp_targetILNS1_3genE3ELNS1_11target_archE908ELNS1_3gpuE7ELNS1_3repE0EEENS1_30default_config_static_selectorELNS0_4arch9wavefront6targetE0EEEvT1_,"axG",@progbits,_ZN7rocprim17ROCPRIM_400000_NS6detail17trampoline_kernelINS0_14default_configENS1_27scan_by_key_config_selectorIiiEEZZNS1_16scan_by_key_implILNS1_25lookback_scan_determinismE0ELb0ES3_N6thrust23THRUST_200600_302600_NS10device_ptrIiEESB_SB_iNS9_4plusIvEENS9_8equal_toIvEEiEE10hipError_tPvRmT2_T3_T4_T5_mT6_T7_P12ihipStream_tbENKUlT_T0_E_clISt17integral_constantIbLb1EESW_EEDaSR_SS_EUlSR_E_NS1_11comp_targetILNS1_3genE3ELNS1_11target_archE908ELNS1_3gpuE7ELNS1_3repE0EEENS1_30default_config_static_selectorELNS0_4arch9wavefront6targetE0EEEvT1_,comdat
.Lfunc_end2208:
	.size	_ZN7rocprim17ROCPRIM_400000_NS6detail17trampoline_kernelINS0_14default_configENS1_27scan_by_key_config_selectorIiiEEZZNS1_16scan_by_key_implILNS1_25lookback_scan_determinismE0ELb0ES3_N6thrust23THRUST_200600_302600_NS10device_ptrIiEESB_SB_iNS9_4plusIvEENS9_8equal_toIvEEiEE10hipError_tPvRmT2_T3_T4_T5_mT6_T7_P12ihipStream_tbENKUlT_T0_E_clISt17integral_constantIbLb1EESW_EEDaSR_SS_EUlSR_E_NS1_11comp_targetILNS1_3genE3ELNS1_11target_archE908ELNS1_3gpuE7ELNS1_3repE0EEENS1_30default_config_static_selectorELNS0_4arch9wavefront6targetE0EEEvT1_, .Lfunc_end2208-_ZN7rocprim17ROCPRIM_400000_NS6detail17trampoline_kernelINS0_14default_configENS1_27scan_by_key_config_selectorIiiEEZZNS1_16scan_by_key_implILNS1_25lookback_scan_determinismE0ELb0ES3_N6thrust23THRUST_200600_302600_NS10device_ptrIiEESB_SB_iNS9_4plusIvEENS9_8equal_toIvEEiEE10hipError_tPvRmT2_T3_T4_T5_mT6_T7_P12ihipStream_tbENKUlT_T0_E_clISt17integral_constantIbLb1EESW_EEDaSR_SS_EUlSR_E_NS1_11comp_targetILNS1_3genE3ELNS1_11target_archE908ELNS1_3gpuE7ELNS1_3repE0EEENS1_30default_config_static_selectorELNS0_4arch9wavefront6targetE0EEEvT1_
                                        ; -- End function
	.set _ZN7rocprim17ROCPRIM_400000_NS6detail17trampoline_kernelINS0_14default_configENS1_27scan_by_key_config_selectorIiiEEZZNS1_16scan_by_key_implILNS1_25lookback_scan_determinismE0ELb0ES3_N6thrust23THRUST_200600_302600_NS10device_ptrIiEESB_SB_iNS9_4plusIvEENS9_8equal_toIvEEiEE10hipError_tPvRmT2_T3_T4_T5_mT6_T7_P12ihipStream_tbENKUlT_T0_E_clISt17integral_constantIbLb1EESW_EEDaSR_SS_EUlSR_E_NS1_11comp_targetILNS1_3genE3ELNS1_11target_archE908ELNS1_3gpuE7ELNS1_3repE0EEENS1_30default_config_static_selectorELNS0_4arch9wavefront6targetE0EEEvT1_.num_vgpr, 0
	.set _ZN7rocprim17ROCPRIM_400000_NS6detail17trampoline_kernelINS0_14default_configENS1_27scan_by_key_config_selectorIiiEEZZNS1_16scan_by_key_implILNS1_25lookback_scan_determinismE0ELb0ES3_N6thrust23THRUST_200600_302600_NS10device_ptrIiEESB_SB_iNS9_4plusIvEENS9_8equal_toIvEEiEE10hipError_tPvRmT2_T3_T4_T5_mT6_T7_P12ihipStream_tbENKUlT_T0_E_clISt17integral_constantIbLb1EESW_EEDaSR_SS_EUlSR_E_NS1_11comp_targetILNS1_3genE3ELNS1_11target_archE908ELNS1_3gpuE7ELNS1_3repE0EEENS1_30default_config_static_selectorELNS0_4arch9wavefront6targetE0EEEvT1_.num_agpr, 0
	.set _ZN7rocprim17ROCPRIM_400000_NS6detail17trampoline_kernelINS0_14default_configENS1_27scan_by_key_config_selectorIiiEEZZNS1_16scan_by_key_implILNS1_25lookback_scan_determinismE0ELb0ES3_N6thrust23THRUST_200600_302600_NS10device_ptrIiEESB_SB_iNS9_4plusIvEENS9_8equal_toIvEEiEE10hipError_tPvRmT2_T3_T4_T5_mT6_T7_P12ihipStream_tbENKUlT_T0_E_clISt17integral_constantIbLb1EESW_EEDaSR_SS_EUlSR_E_NS1_11comp_targetILNS1_3genE3ELNS1_11target_archE908ELNS1_3gpuE7ELNS1_3repE0EEENS1_30default_config_static_selectorELNS0_4arch9wavefront6targetE0EEEvT1_.numbered_sgpr, 0
	.set _ZN7rocprim17ROCPRIM_400000_NS6detail17trampoline_kernelINS0_14default_configENS1_27scan_by_key_config_selectorIiiEEZZNS1_16scan_by_key_implILNS1_25lookback_scan_determinismE0ELb0ES3_N6thrust23THRUST_200600_302600_NS10device_ptrIiEESB_SB_iNS9_4plusIvEENS9_8equal_toIvEEiEE10hipError_tPvRmT2_T3_T4_T5_mT6_T7_P12ihipStream_tbENKUlT_T0_E_clISt17integral_constantIbLb1EESW_EEDaSR_SS_EUlSR_E_NS1_11comp_targetILNS1_3genE3ELNS1_11target_archE908ELNS1_3gpuE7ELNS1_3repE0EEENS1_30default_config_static_selectorELNS0_4arch9wavefront6targetE0EEEvT1_.num_named_barrier, 0
	.set _ZN7rocprim17ROCPRIM_400000_NS6detail17trampoline_kernelINS0_14default_configENS1_27scan_by_key_config_selectorIiiEEZZNS1_16scan_by_key_implILNS1_25lookback_scan_determinismE0ELb0ES3_N6thrust23THRUST_200600_302600_NS10device_ptrIiEESB_SB_iNS9_4plusIvEENS9_8equal_toIvEEiEE10hipError_tPvRmT2_T3_T4_T5_mT6_T7_P12ihipStream_tbENKUlT_T0_E_clISt17integral_constantIbLb1EESW_EEDaSR_SS_EUlSR_E_NS1_11comp_targetILNS1_3genE3ELNS1_11target_archE908ELNS1_3gpuE7ELNS1_3repE0EEENS1_30default_config_static_selectorELNS0_4arch9wavefront6targetE0EEEvT1_.private_seg_size, 0
	.set _ZN7rocprim17ROCPRIM_400000_NS6detail17trampoline_kernelINS0_14default_configENS1_27scan_by_key_config_selectorIiiEEZZNS1_16scan_by_key_implILNS1_25lookback_scan_determinismE0ELb0ES3_N6thrust23THRUST_200600_302600_NS10device_ptrIiEESB_SB_iNS9_4plusIvEENS9_8equal_toIvEEiEE10hipError_tPvRmT2_T3_T4_T5_mT6_T7_P12ihipStream_tbENKUlT_T0_E_clISt17integral_constantIbLb1EESW_EEDaSR_SS_EUlSR_E_NS1_11comp_targetILNS1_3genE3ELNS1_11target_archE908ELNS1_3gpuE7ELNS1_3repE0EEENS1_30default_config_static_selectorELNS0_4arch9wavefront6targetE0EEEvT1_.uses_vcc, 0
	.set _ZN7rocprim17ROCPRIM_400000_NS6detail17trampoline_kernelINS0_14default_configENS1_27scan_by_key_config_selectorIiiEEZZNS1_16scan_by_key_implILNS1_25lookback_scan_determinismE0ELb0ES3_N6thrust23THRUST_200600_302600_NS10device_ptrIiEESB_SB_iNS9_4plusIvEENS9_8equal_toIvEEiEE10hipError_tPvRmT2_T3_T4_T5_mT6_T7_P12ihipStream_tbENKUlT_T0_E_clISt17integral_constantIbLb1EESW_EEDaSR_SS_EUlSR_E_NS1_11comp_targetILNS1_3genE3ELNS1_11target_archE908ELNS1_3gpuE7ELNS1_3repE0EEENS1_30default_config_static_selectorELNS0_4arch9wavefront6targetE0EEEvT1_.uses_flat_scratch, 0
	.set _ZN7rocprim17ROCPRIM_400000_NS6detail17trampoline_kernelINS0_14default_configENS1_27scan_by_key_config_selectorIiiEEZZNS1_16scan_by_key_implILNS1_25lookback_scan_determinismE0ELb0ES3_N6thrust23THRUST_200600_302600_NS10device_ptrIiEESB_SB_iNS9_4plusIvEENS9_8equal_toIvEEiEE10hipError_tPvRmT2_T3_T4_T5_mT6_T7_P12ihipStream_tbENKUlT_T0_E_clISt17integral_constantIbLb1EESW_EEDaSR_SS_EUlSR_E_NS1_11comp_targetILNS1_3genE3ELNS1_11target_archE908ELNS1_3gpuE7ELNS1_3repE0EEENS1_30default_config_static_selectorELNS0_4arch9wavefront6targetE0EEEvT1_.has_dyn_sized_stack, 0
	.set _ZN7rocprim17ROCPRIM_400000_NS6detail17trampoline_kernelINS0_14default_configENS1_27scan_by_key_config_selectorIiiEEZZNS1_16scan_by_key_implILNS1_25lookback_scan_determinismE0ELb0ES3_N6thrust23THRUST_200600_302600_NS10device_ptrIiEESB_SB_iNS9_4plusIvEENS9_8equal_toIvEEiEE10hipError_tPvRmT2_T3_T4_T5_mT6_T7_P12ihipStream_tbENKUlT_T0_E_clISt17integral_constantIbLb1EESW_EEDaSR_SS_EUlSR_E_NS1_11comp_targetILNS1_3genE3ELNS1_11target_archE908ELNS1_3gpuE7ELNS1_3repE0EEENS1_30default_config_static_selectorELNS0_4arch9wavefront6targetE0EEEvT1_.has_recursion, 0
	.set _ZN7rocprim17ROCPRIM_400000_NS6detail17trampoline_kernelINS0_14default_configENS1_27scan_by_key_config_selectorIiiEEZZNS1_16scan_by_key_implILNS1_25lookback_scan_determinismE0ELb0ES3_N6thrust23THRUST_200600_302600_NS10device_ptrIiEESB_SB_iNS9_4plusIvEENS9_8equal_toIvEEiEE10hipError_tPvRmT2_T3_T4_T5_mT6_T7_P12ihipStream_tbENKUlT_T0_E_clISt17integral_constantIbLb1EESW_EEDaSR_SS_EUlSR_E_NS1_11comp_targetILNS1_3genE3ELNS1_11target_archE908ELNS1_3gpuE7ELNS1_3repE0EEENS1_30default_config_static_selectorELNS0_4arch9wavefront6targetE0EEEvT1_.has_indirect_call, 0
	.section	.AMDGPU.csdata,"",@progbits
; Kernel info:
; codeLenInByte = 0
; TotalNumSgprs: 0
; NumVgprs: 0
; ScratchSize: 0
; MemoryBound: 0
; FloatMode: 240
; IeeeMode: 1
; LDSByteSize: 0 bytes/workgroup (compile time only)
; SGPRBlocks: 0
; VGPRBlocks: 0
; NumSGPRsForWavesPerEU: 1
; NumVGPRsForWavesPerEU: 1
; NamedBarCnt: 0
; Occupancy: 16
; WaveLimiterHint : 0
; COMPUTE_PGM_RSRC2:SCRATCH_EN: 0
; COMPUTE_PGM_RSRC2:USER_SGPR: 2
; COMPUTE_PGM_RSRC2:TRAP_HANDLER: 0
; COMPUTE_PGM_RSRC2:TGID_X_EN: 1
; COMPUTE_PGM_RSRC2:TGID_Y_EN: 0
; COMPUTE_PGM_RSRC2:TGID_Z_EN: 0
; COMPUTE_PGM_RSRC2:TIDIG_COMP_CNT: 0
	.section	.text._ZN7rocprim17ROCPRIM_400000_NS6detail17trampoline_kernelINS0_14default_configENS1_27scan_by_key_config_selectorIiiEEZZNS1_16scan_by_key_implILNS1_25lookback_scan_determinismE0ELb0ES3_N6thrust23THRUST_200600_302600_NS10device_ptrIiEESB_SB_iNS9_4plusIvEENS9_8equal_toIvEEiEE10hipError_tPvRmT2_T3_T4_T5_mT6_T7_P12ihipStream_tbENKUlT_T0_E_clISt17integral_constantIbLb1EESW_EEDaSR_SS_EUlSR_E_NS1_11comp_targetILNS1_3genE2ELNS1_11target_archE906ELNS1_3gpuE6ELNS1_3repE0EEENS1_30default_config_static_selectorELNS0_4arch9wavefront6targetE0EEEvT1_,"axG",@progbits,_ZN7rocprim17ROCPRIM_400000_NS6detail17trampoline_kernelINS0_14default_configENS1_27scan_by_key_config_selectorIiiEEZZNS1_16scan_by_key_implILNS1_25lookback_scan_determinismE0ELb0ES3_N6thrust23THRUST_200600_302600_NS10device_ptrIiEESB_SB_iNS9_4plusIvEENS9_8equal_toIvEEiEE10hipError_tPvRmT2_T3_T4_T5_mT6_T7_P12ihipStream_tbENKUlT_T0_E_clISt17integral_constantIbLb1EESW_EEDaSR_SS_EUlSR_E_NS1_11comp_targetILNS1_3genE2ELNS1_11target_archE906ELNS1_3gpuE6ELNS1_3repE0EEENS1_30default_config_static_selectorELNS0_4arch9wavefront6targetE0EEEvT1_,comdat
	.protected	_ZN7rocprim17ROCPRIM_400000_NS6detail17trampoline_kernelINS0_14default_configENS1_27scan_by_key_config_selectorIiiEEZZNS1_16scan_by_key_implILNS1_25lookback_scan_determinismE0ELb0ES3_N6thrust23THRUST_200600_302600_NS10device_ptrIiEESB_SB_iNS9_4plusIvEENS9_8equal_toIvEEiEE10hipError_tPvRmT2_T3_T4_T5_mT6_T7_P12ihipStream_tbENKUlT_T0_E_clISt17integral_constantIbLb1EESW_EEDaSR_SS_EUlSR_E_NS1_11comp_targetILNS1_3genE2ELNS1_11target_archE906ELNS1_3gpuE6ELNS1_3repE0EEENS1_30default_config_static_selectorELNS0_4arch9wavefront6targetE0EEEvT1_ ; -- Begin function _ZN7rocprim17ROCPRIM_400000_NS6detail17trampoline_kernelINS0_14default_configENS1_27scan_by_key_config_selectorIiiEEZZNS1_16scan_by_key_implILNS1_25lookback_scan_determinismE0ELb0ES3_N6thrust23THRUST_200600_302600_NS10device_ptrIiEESB_SB_iNS9_4plusIvEENS9_8equal_toIvEEiEE10hipError_tPvRmT2_T3_T4_T5_mT6_T7_P12ihipStream_tbENKUlT_T0_E_clISt17integral_constantIbLb1EESW_EEDaSR_SS_EUlSR_E_NS1_11comp_targetILNS1_3genE2ELNS1_11target_archE906ELNS1_3gpuE6ELNS1_3repE0EEENS1_30default_config_static_selectorELNS0_4arch9wavefront6targetE0EEEvT1_
	.globl	_ZN7rocprim17ROCPRIM_400000_NS6detail17trampoline_kernelINS0_14default_configENS1_27scan_by_key_config_selectorIiiEEZZNS1_16scan_by_key_implILNS1_25lookback_scan_determinismE0ELb0ES3_N6thrust23THRUST_200600_302600_NS10device_ptrIiEESB_SB_iNS9_4plusIvEENS9_8equal_toIvEEiEE10hipError_tPvRmT2_T3_T4_T5_mT6_T7_P12ihipStream_tbENKUlT_T0_E_clISt17integral_constantIbLb1EESW_EEDaSR_SS_EUlSR_E_NS1_11comp_targetILNS1_3genE2ELNS1_11target_archE906ELNS1_3gpuE6ELNS1_3repE0EEENS1_30default_config_static_selectorELNS0_4arch9wavefront6targetE0EEEvT1_
	.p2align	8
	.type	_ZN7rocprim17ROCPRIM_400000_NS6detail17trampoline_kernelINS0_14default_configENS1_27scan_by_key_config_selectorIiiEEZZNS1_16scan_by_key_implILNS1_25lookback_scan_determinismE0ELb0ES3_N6thrust23THRUST_200600_302600_NS10device_ptrIiEESB_SB_iNS9_4plusIvEENS9_8equal_toIvEEiEE10hipError_tPvRmT2_T3_T4_T5_mT6_T7_P12ihipStream_tbENKUlT_T0_E_clISt17integral_constantIbLb1EESW_EEDaSR_SS_EUlSR_E_NS1_11comp_targetILNS1_3genE2ELNS1_11target_archE906ELNS1_3gpuE6ELNS1_3repE0EEENS1_30default_config_static_selectorELNS0_4arch9wavefront6targetE0EEEvT1_,@function
_ZN7rocprim17ROCPRIM_400000_NS6detail17trampoline_kernelINS0_14default_configENS1_27scan_by_key_config_selectorIiiEEZZNS1_16scan_by_key_implILNS1_25lookback_scan_determinismE0ELb0ES3_N6thrust23THRUST_200600_302600_NS10device_ptrIiEESB_SB_iNS9_4plusIvEENS9_8equal_toIvEEiEE10hipError_tPvRmT2_T3_T4_T5_mT6_T7_P12ihipStream_tbENKUlT_T0_E_clISt17integral_constantIbLb1EESW_EEDaSR_SS_EUlSR_E_NS1_11comp_targetILNS1_3genE2ELNS1_11target_archE906ELNS1_3gpuE6ELNS1_3repE0EEENS1_30default_config_static_selectorELNS0_4arch9wavefront6targetE0EEEvT1_: ; @_ZN7rocprim17ROCPRIM_400000_NS6detail17trampoline_kernelINS0_14default_configENS1_27scan_by_key_config_selectorIiiEEZZNS1_16scan_by_key_implILNS1_25lookback_scan_determinismE0ELb0ES3_N6thrust23THRUST_200600_302600_NS10device_ptrIiEESB_SB_iNS9_4plusIvEENS9_8equal_toIvEEiEE10hipError_tPvRmT2_T3_T4_T5_mT6_T7_P12ihipStream_tbENKUlT_T0_E_clISt17integral_constantIbLb1EESW_EEDaSR_SS_EUlSR_E_NS1_11comp_targetILNS1_3genE2ELNS1_11target_archE906ELNS1_3gpuE6ELNS1_3repE0EEENS1_30default_config_static_selectorELNS0_4arch9wavefront6targetE0EEEvT1_
; %bb.0:
	.section	.rodata,"a",@progbits
	.p2align	6, 0x0
	.amdhsa_kernel _ZN7rocprim17ROCPRIM_400000_NS6detail17trampoline_kernelINS0_14default_configENS1_27scan_by_key_config_selectorIiiEEZZNS1_16scan_by_key_implILNS1_25lookback_scan_determinismE0ELb0ES3_N6thrust23THRUST_200600_302600_NS10device_ptrIiEESB_SB_iNS9_4plusIvEENS9_8equal_toIvEEiEE10hipError_tPvRmT2_T3_T4_T5_mT6_T7_P12ihipStream_tbENKUlT_T0_E_clISt17integral_constantIbLb1EESW_EEDaSR_SS_EUlSR_E_NS1_11comp_targetILNS1_3genE2ELNS1_11target_archE906ELNS1_3gpuE6ELNS1_3repE0EEENS1_30default_config_static_selectorELNS0_4arch9wavefront6targetE0EEEvT1_
		.amdhsa_group_segment_fixed_size 0
		.amdhsa_private_segment_fixed_size 0
		.amdhsa_kernarg_size 112
		.amdhsa_user_sgpr_count 2
		.amdhsa_user_sgpr_dispatch_ptr 0
		.amdhsa_user_sgpr_queue_ptr 0
		.amdhsa_user_sgpr_kernarg_segment_ptr 1
		.amdhsa_user_sgpr_dispatch_id 0
		.amdhsa_user_sgpr_kernarg_preload_length 0
		.amdhsa_user_sgpr_kernarg_preload_offset 0
		.amdhsa_user_sgpr_private_segment_size 0
		.amdhsa_wavefront_size32 1
		.amdhsa_uses_dynamic_stack 0
		.amdhsa_enable_private_segment 0
		.amdhsa_system_sgpr_workgroup_id_x 1
		.amdhsa_system_sgpr_workgroup_id_y 0
		.amdhsa_system_sgpr_workgroup_id_z 0
		.amdhsa_system_sgpr_workgroup_info 0
		.amdhsa_system_vgpr_workitem_id 0
		.amdhsa_next_free_vgpr 1
		.amdhsa_next_free_sgpr 1
		.amdhsa_named_barrier_count 0
		.amdhsa_reserve_vcc 0
		.amdhsa_float_round_mode_32 0
		.amdhsa_float_round_mode_16_64 0
		.amdhsa_float_denorm_mode_32 3
		.amdhsa_float_denorm_mode_16_64 3
		.amdhsa_fp16_overflow 0
		.amdhsa_memory_ordered 1
		.amdhsa_forward_progress 1
		.amdhsa_inst_pref_size 0
		.amdhsa_round_robin_scheduling 0
		.amdhsa_exception_fp_ieee_invalid_op 0
		.amdhsa_exception_fp_denorm_src 0
		.amdhsa_exception_fp_ieee_div_zero 0
		.amdhsa_exception_fp_ieee_overflow 0
		.amdhsa_exception_fp_ieee_underflow 0
		.amdhsa_exception_fp_ieee_inexact 0
		.amdhsa_exception_int_div_zero 0
	.end_amdhsa_kernel
	.section	.text._ZN7rocprim17ROCPRIM_400000_NS6detail17trampoline_kernelINS0_14default_configENS1_27scan_by_key_config_selectorIiiEEZZNS1_16scan_by_key_implILNS1_25lookback_scan_determinismE0ELb0ES3_N6thrust23THRUST_200600_302600_NS10device_ptrIiEESB_SB_iNS9_4plusIvEENS9_8equal_toIvEEiEE10hipError_tPvRmT2_T3_T4_T5_mT6_T7_P12ihipStream_tbENKUlT_T0_E_clISt17integral_constantIbLb1EESW_EEDaSR_SS_EUlSR_E_NS1_11comp_targetILNS1_3genE2ELNS1_11target_archE906ELNS1_3gpuE6ELNS1_3repE0EEENS1_30default_config_static_selectorELNS0_4arch9wavefront6targetE0EEEvT1_,"axG",@progbits,_ZN7rocprim17ROCPRIM_400000_NS6detail17trampoline_kernelINS0_14default_configENS1_27scan_by_key_config_selectorIiiEEZZNS1_16scan_by_key_implILNS1_25lookback_scan_determinismE0ELb0ES3_N6thrust23THRUST_200600_302600_NS10device_ptrIiEESB_SB_iNS9_4plusIvEENS9_8equal_toIvEEiEE10hipError_tPvRmT2_T3_T4_T5_mT6_T7_P12ihipStream_tbENKUlT_T0_E_clISt17integral_constantIbLb1EESW_EEDaSR_SS_EUlSR_E_NS1_11comp_targetILNS1_3genE2ELNS1_11target_archE906ELNS1_3gpuE6ELNS1_3repE0EEENS1_30default_config_static_selectorELNS0_4arch9wavefront6targetE0EEEvT1_,comdat
.Lfunc_end2209:
	.size	_ZN7rocprim17ROCPRIM_400000_NS6detail17trampoline_kernelINS0_14default_configENS1_27scan_by_key_config_selectorIiiEEZZNS1_16scan_by_key_implILNS1_25lookback_scan_determinismE0ELb0ES3_N6thrust23THRUST_200600_302600_NS10device_ptrIiEESB_SB_iNS9_4plusIvEENS9_8equal_toIvEEiEE10hipError_tPvRmT2_T3_T4_T5_mT6_T7_P12ihipStream_tbENKUlT_T0_E_clISt17integral_constantIbLb1EESW_EEDaSR_SS_EUlSR_E_NS1_11comp_targetILNS1_3genE2ELNS1_11target_archE906ELNS1_3gpuE6ELNS1_3repE0EEENS1_30default_config_static_selectorELNS0_4arch9wavefront6targetE0EEEvT1_, .Lfunc_end2209-_ZN7rocprim17ROCPRIM_400000_NS6detail17trampoline_kernelINS0_14default_configENS1_27scan_by_key_config_selectorIiiEEZZNS1_16scan_by_key_implILNS1_25lookback_scan_determinismE0ELb0ES3_N6thrust23THRUST_200600_302600_NS10device_ptrIiEESB_SB_iNS9_4plusIvEENS9_8equal_toIvEEiEE10hipError_tPvRmT2_T3_T4_T5_mT6_T7_P12ihipStream_tbENKUlT_T0_E_clISt17integral_constantIbLb1EESW_EEDaSR_SS_EUlSR_E_NS1_11comp_targetILNS1_3genE2ELNS1_11target_archE906ELNS1_3gpuE6ELNS1_3repE0EEENS1_30default_config_static_selectorELNS0_4arch9wavefront6targetE0EEEvT1_
                                        ; -- End function
	.set _ZN7rocprim17ROCPRIM_400000_NS6detail17trampoline_kernelINS0_14default_configENS1_27scan_by_key_config_selectorIiiEEZZNS1_16scan_by_key_implILNS1_25lookback_scan_determinismE0ELb0ES3_N6thrust23THRUST_200600_302600_NS10device_ptrIiEESB_SB_iNS9_4plusIvEENS9_8equal_toIvEEiEE10hipError_tPvRmT2_T3_T4_T5_mT6_T7_P12ihipStream_tbENKUlT_T0_E_clISt17integral_constantIbLb1EESW_EEDaSR_SS_EUlSR_E_NS1_11comp_targetILNS1_3genE2ELNS1_11target_archE906ELNS1_3gpuE6ELNS1_3repE0EEENS1_30default_config_static_selectorELNS0_4arch9wavefront6targetE0EEEvT1_.num_vgpr, 0
	.set _ZN7rocprim17ROCPRIM_400000_NS6detail17trampoline_kernelINS0_14default_configENS1_27scan_by_key_config_selectorIiiEEZZNS1_16scan_by_key_implILNS1_25lookback_scan_determinismE0ELb0ES3_N6thrust23THRUST_200600_302600_NS10device_ptrIiEESB_SB_iNS9_4plusIvEENS9_8equal_toIvEEiEE10hipError_tPvRmT2_T3_T4_T5_mT6_T7_P12ihipStream_tbENKUlT_T0_E_clISt17integral_constantIbLb1EESW_EEDaSR_SS_EUlSR_E_NS1_11comp_targetILNS1_3genE2ELNS1_11target_archE906ELNS1_3gpuE6ELNS1_3repE0EEENS1_30default_config_static_selectorELNS0_4arch9wavefront6targetE0EEEvT1_.num_agpr, 0
	.set _ZN7rocprim17ROCPRIM_400000_NS6detail17trampoline_kernelINS0_14default_configENS1_27scan_by_key_config_selectorIiiEEZZNS1_16scan_by_key_implILNS1_25lookback_scan_determinismE0ELb0ES3_N6thrust23THRUST_200600_302600_NS10device_ptrIiEESB_SB_iNS9_4plusIvEENS9_8equal_toIvEEiEE10hipError_tPvRmT2_T3_T4_T5_mT6_T7_P12ihipStream_tbENKUlT_T0_E_clISt17integral_constantIbLb1EESW_EEDaSR_SS_EUlSR_E_NS1_11comp_targetILNS1_3genE2ELNS1_11target_archE906ELNS1_3gpuE6ELNS1_3repE0EEENS1_30default_config_static_selectorELNS0_4arch9wavefront6targetE0EEEvT1_.numbered_sgpr, 0
	.set _ZN7rocprim17ROCPRIM_400000_NS6detail17trampoline_kernelINS0_14default_configENS1_27scan_by_key_config_selectorIiiEEZZNS1_16scan_by_key_implILNS1_25lookback_scan_determinismE0ELb0ES3_N6thrust23THRUST_200600_302600_NS10device_ptrIiEESB_SB_iNS9_4plusIvEENS9_8equal_toIvEEiEE10hipError_tPvRmT2_T3_T4_T5_mT6_T7_P12ihipStream_tbENKUlT_T0_E_clISt17integral_constantIbLb1EESW_EEDaSR_SS_EUlSR_E_NS1_11comp_targetILNS1_3genE2ELNS1_11target_archE906ELNS1_3gpuE6ELNS1_3repE0EEENS1_30default_config_static_selectorELNS0_4arch9wavefront6targetE0EEEvT1_.num_named_barrier, 0
	.set _ZN7rocprim17ROCPRIM_400000_NS6detail17trampoline_kernelINS0_14default_configENS1_27scan_by_key_config_selectorIiiEEZZNS1_16scan_by_key_implILNS1_25lookback_scan_determinismE0ELb0ES3_N6thrust23THRUST_200600_302600_NS10device_ptrIiEESB_SB_iNS9_4plusIvEENS9_8equal_toIvEEiEE10hipError_tPvRmT2_T3_T4_T5_mT6_T7_P12ihipStream_tbENKUlT_T0_E_clISt17integral_constantIbLb1EESW_EEDaSR_SS_EUlSR_E_NS1_11comp_targetILNS1_3genE2ELNS1_11target_archE906ELNS1_3gpuE6ELNS1_3repE0EEENS1_30default_config_static_selectorELNS0_4arch9wavefront6targetE0EEEvT1_.private_seg_size, 0
	.set _ZN7rocprim17ROCPRIM_400000_NS6detail17trampoline_kernelINS0_14default_configENS1_27scan_by_key_config_selectorIiiEEZZNS1_16scan_by_key_implILNS1_25lookback_scan_determinismE0ELb0ES3_N6thrust23THRUST_200600_302600_NS10device_ptrIiEESB_SB_iNS9_4plusIvEENS9_8equal_toIvEEiEE10hipError_tPvRmT2_T3_T4_T5_mT6_T7_P12ihipStream_tbENKUlT_T0_E_clISt17integral_constantIbLb1EESW_EEDaSR_SS_EUlSR_E_NS1_11comp_targetILNS1_3genE2ELNS1_11target_archE906ELNS1_3gpuE6ELNS1_3repE0EEENS1_30default_config_static_selectorELNS0_4arch9wavefront6targetE0EEEvT1_.uses_vcc, 0
	.set _ZN7rocprim17ROCPRIM_400000_NS6detail17trampoline_kernelINS0_14default_configENS1_27scan_by_key_config_selectorIiiEEZZNS1_16scan_by_key_implILNS1_25lookback_scan_determinismE0ELb0ES3_N6thrust23THRUST_200600_302600_NS10device_ptrIiEESB_SB_iNS9_4plusIvEENS9_8equal_toIvEEiEE10hipError_tPvRmT2_T3_T4_T5_mT6_T7_P12ihipStream_tbENKUlT_T0_E_clISt17integral_constantIbLb1EESW_EEDaSR_SS_EUlSR_E_NS1_11comp_targetILNS1_3genE2ELNS1_11target_archE906ELNS1_3gpuE6ELNS1_3repE0EEENS1_30default_config_static_selectorELNS0_4arch9wavefront6targetE0EEEvT1_.uses_flat_scratch, 0
	.set _ZN7rocprim17ROCPRIM_400000_NS6detail17trampoline_kernelINS0_14default_configENS1_27scan_by_key_config_selectorIiiEEZZNS1_16scan_by_key_implILNS1_25lookback_scan_determinismE0ELb0ES3_N6thrust23THRUST_200600_302600_NS10device_ptrIiEESB_SB_iNS9_4plusIvEENS9_8equal_toIvEEiEE10hipError_tPvRmT2_T3_T4_T5_mT6_T7_P12ihipStream_tbENKUlT_T0_E_clISt17integral_constantIbLb1EESW_EEDaSR_SS_EUlSR_E_NS1_11comp_targetILNS1_3genE2ELNS1_11target_archE906ELNS1_3gpuE6ELNS1_3repE0EEENS1_30default_config_static_selectorELNS0_4arch9wavefront6targetE0EEEvT1_.has_dyn_sized_stack, 0
	.set _ZN7rocprim17ROCPRIM_400000_NS6detail17trampoline_kernelINS0_14default_configENS1_27scan_by_key_config_selectorIiiEEZZNS1_16scan_by_key_implILNS1_25lookback_scan_determinismE0ELb0ES3_N6thrust23THRUST_200600_302600_NS10device_ptrIiEESB_SB_iNS9_4plusIvEENS9_8equal_toIvEEiEE10hipError_tPvRmT2_T3_T4_T5_mT6_T7_P12ihipStream_tbENKUlT_T0_E_clISt17integral_constantIbLb1EESW_EEDaSR_SS_EUlSR_E_NS1_11comp_targetILNS1_3genE2ELNS1_11target_archE906ELNS1_3gpuE6ELNS1_3repE0EEENS1_30default_config_static_selectorELNS0_4arch9wavefront6targetE0EEEvT1_.has_recursion, 0
	.set _ZN7rocprim17ROCPRIM_400000_NS6detail17trampoline_kernelINS0_14default_configENS1_27scan_by_key_config_selectorIiiEEZZNS1_16scan_by_key_implILNS1_25lookback_scan_determinismE0ELb0ES3_N6thrust23THRUST_200600_302600_NS10device_ptrIiEESB_SB_iNS9_4plusIvEENS9_8equal_toIvEEiEE10hipError_tPvRmT2_T3_T4_T5_mT6_T7_P12ihipStream_tbENKUlT_T0_E_clISt17integral_constantIbLb1EESW_EEDaSR_SS_EUlSR_E_NS1_11comp_targetILNS1_3genE2ELNS1_11target_archE906ELNS1_3gpuE6ELNS1_3repE0EEENS1_30default_config_static_selectorELNS0_4arch9wavefront6targetE0EEEvT1_.has_indirect_call, 0
	.section	.AMDGPU.csdata,"",@progbits
; Kernel info:
; codeLenInByte = 0
; TotalNumSgprs: 0
; NumVgprs: 0
; ScratchSize: 0
; MemoryBound: 0
; FloatMode: 240
; IeeeMode: 1
; LDSByteSize: 0 bytes/workgroup (compile time only)
; SGPRBlocks: 0
; VGPRBlocks: 0
; NumSGPRsForWavesPerEU: 1
; NumVGPRsForWavesPerEU: 1
; NamedBarCnt: 0
; Occupancy: 16
; WaveLimiterHint : 0
; COMPUTE_PGM_RSRC2:SCRATCH_EN: 0
; COMPUTE_PGM_RSRC2:USER_SGPR: 2
; COMPUTE_PGM_RSRC2:TRAP_HANDLER: 0
; COMPUTE_PGM_RSRC2:TGID_X_EN: 1
; COMPUTE_PGM_RSRC2:TGID_Y_EN: 0
; COMPUTE_PGM_RSRC2:TGID_Z_EN: 0
; COMPUTE_PGM_RSRC2:TIDIG_COMP_CNT: 0
	.section	.text._ZN7rocprim17ROCPRIM_400000_NS6detail17trampoline_kernelINS0_14default_configENS1_27scan_by_key_config_selectorIiiEEZZNS1_16scan_by_key_implILNS1_25lookback_scan_determinismE0ELb0ES3_N6thrust23THRUST_200600_302600_NS10device_ptrIiEESB_SB_iNS9_4plusIvEENS9_8equal_toIvEEiEE10hipError_tPvRmT2_T3_T4_T5_mT6_T7_P12ihipStream_tbENKUlT_T0_E_clISt17integral_constantIbLb1EESW_EEDaSR_SS_EUlSR_E_NS1_11comp_targetILNS1_3genE10ELNS1_11target_archE1200ELNS1_3gpuE4ELNS1_3repE0EEENS1_30default_config_static_selectorELNS0_4arch9wavefront6targetE0EEEvT1_,"axG",@progbits,_ZN7rocprim17ROCPRIM_400000_NS6detail17trampoline_kernelINS0_14default_configENS1_27scan_by_key_config_selectorIiiEEZZNS1_16scan_by_key_implILNS1_25lookback_scan_determinismE0ELb0ES3_N6thrust23THRUST_200600_302600_NS10device_ptrIiEESB_SB_iNS9_4plusIvEENS9_8equal_toIvEEiEE10hipError_tPvRmT2_T3_T4_T5_mT6_T7_P12ihipStream_tbENKUlT_T0_E_clISt17integral_constantIbLb1EESW_EEDaSR_SS_EUlSR_E_NS1_11comp_targetILNS1_3genE10ELNS1_11target_archE1200ELNS1_3gpuE4ELNS1_3repE0EEENS1_30default_config_static_selectorELNS0_4arch9wavefront6targetE0EEEvT1_,comdat
	.protected	_ZN7rocprim17ROCPRIM_400000_NS6detail17trampoline_kernelINS0_14default_configENS1_27scan_by_key_config_selectorIiiEEZZNS1_16scan_by_key_implILNS1_25lookback_scan_determinismE0ELb0ES3_N6thrust23THRUST_200600_302600_NS10device_ptrIiEESB_SB_iNS9_4plusIvEENS9_8equal_toIvEEiEE10hipError_tPvRmT2_T3_T4_T5_mT6_T7_P12ihipStream_tbENKUlT_T0_E_clISt17integral_constantIbLb1EESW_EEDaSR_SS_EUlSR_E_NS1_11comp_targetILNS1_3genE10ELNS1_11target_archE1200ELNS1_3gpuE4ELNS1_3repE0EEENS1_30default_config_static_selectorELNS0_4arch9wavefront6targetE0EEEvT1_ ; -- Begin function _ZN7rocprim17ROCPRIM_400000_NS6detail17trampoline_kernelINS0_14default_configENS1_27scan_by_key_config_selectorIiiEEZZNS1_16scan_by_key_implILNS1_25lookback_scan_determinismE0ELb0ES3_N6thrust23THRUST_200600_302600_NS10device_ptrIiEESB_SB_iNS9_4plusIvEENS9_8equal_toIvEEiEE10hipError_tPvRmT2_T3_T4_T5_mT6_T7_P12ihipStream_tbENKUlT_T0_E_clISt17integral_constantIbLb1EESW_EEDaSR_SS_EUlSR_E_NS1_11comp_targetILNS1_3genE10ELNS1_11target_archE1200ELNS1_3gpuE4ELNS1_3repE0EEENS1_30default_config_static_selectorELNS0_4arch9wavefront6targetE0EEEvT1_
	.globl	_ZN7rocprim17ROCPRIM_400000_NS6detail17trampoline_kernelINS0_14default_configENS1_27scan_by_key_config_selectorIiiEEZZNS1_16scan_by_key_implILNS1_25lookback_scan_determinismE0ELb0ES3_N6thrust23THRUST_200600_302600_NS10device_ptrIiEESB_SB_iNS9_4plusIvEENS9_8equal_toIvEEiEE10hipError_tPvRmT2_T3_T4_T5_mT6_T7_P12ihipStream_tbENKUlT_T0_E_clISt17integral_constantIbLb1EESW_EEDaSR_SS_EUlSR_E_NS1_11comp_targetILNS1_3genE10ELNS1_11target_archE1200ELNS1_3gpuE4ELNS1_3repE0EEENS1_30default_config_static_selectorELNS0_4arch9wavefront6targetE0EEEvT1_
	.p2align	8
	.type	_ZN7rocprim17ROCPRIM_400000_NS6detail17trampoline_kernelINS0_14default_configENS1_27scan_by_key_config_selectorIiiEEZZNS1_16scan_by_key_implILNS1_25lookback_scan_determinismE0ELb0ES3_N6thrust23THRUST_200600_302600_NS10device_ptrIiEESB_SB_iNS9_4plusIvEENS9_8equal_toIvEEiEE10hipError_tPvRmT2_T3_T4_T5_mT6_T7_P12ihipStream_tbENKUlT_T0_E_clISt17integral_constantIbLb1EESW_EEDaSR_SS_EUlSR_E_NS1_11comp_targetILNS1_3genE10ELNS1_11target_archE1200ELNS1_3gpuE4ELNS1_3repE0EEENS1_30default_config_static_selectorELNS0_4arch9wavefront6targetE0EEEvT1_,@function
_ZN7rocprim17ROCPRIM_400000_NS6detail17trampoline_kernelINS0_14default_configENS1_27scan_by_key_config_selectorIiiEEZZNS1_16scan_by_key_implILNS1_25lookback_scan_determinismE0ELb0ES3_N6thrust23THRUST_200600_302600_NS10device_ptrIiEESB_SB_iNS9_4plusIvEENS9_8equal_toIvEEiEE10hipError_tPvRmT2_T3_T4_T5_mT6_T7_P12ihipStream_tbENKUlT_T0_E_clISt17integral_constantIbLb1EESW_EEDaSR_SS_EUlSR_E_NS1_11comp_targetILNS1_3genE10ELNS1_11target_archE1200ELNS1_3gpuE4ELNS1_3repE0EEENS1_30default_config_static_selectorELNS0_4arch9wavefront6targetE0EEEvT1_: ; @_ZN7rocprim17ROCPRIM_400000_NS6detail17trampoline_kernelINS0_14default_configENS1_27scan_by_key_config_selectorIiiEEZZNS1_16scan_by_key_implILNS1_25lookback_scan_determinismE0ELb0ES3_N6thrust23THRUST_200600_302600_NS10device_ptrIiEESB_SB_iNS9_4plusIvEENS9_8equal_toIvEEiEE10hipError_tPvRmT2_T3_T4_T5_mT6_T7_P12ihipStream_tbENKUlT_T0_E_clISt17integral_constantIbLb1EESW_EEDaSR_SS_EUlSR_E_NS1_11comp_targetILNS1_3genE10ELNS1_11target_archE1200ELNS1_3gpuE4ELNS1_3repE0EEENS1_30default_config_static_selectorELNS0_4arch9wavefront6targetE0EEEvT1_
; %bb.0:
	.section	.rodata,"a",@progbits
	.p2align	6, 0x0
	.amdhsa_kernel _ZN7rocprim17ROCPRIM_400000_NS6detail17trampoline_kernelINS0_14default_configENS1_27scan_by_key_config_selectorIiiEEZZNS1_16scan_by_key_implILNS1_25lookback_scan_determinismE0ELb0ES3_N6thrust23THRUST_200600_302600_NS10device_ptrIiEESB_SB_iNS9_4plusIvEENS9_8equal_toIvEEiEE10hipError_tPvRmT2_T3_T4_T5_mT6_T7_P12ihipStream_tbENKUlT_T0_E_clISt17integral_constantIbLb1EESW_EEDaSR_SS_EUlSR_E_NS1_11comp_targetILNS1_3genE10ELNS1_11target_archE1200ELNS1_3gpuE4ELNS1_3repE0EEENS1_30default_config_static_selectorELNS0_4arch9wavefront6targetE0EEEvT1_
		.amdhsa_group_segment_fixed_size 0
		.amdhsa_private_segment_fixed_size 0
		.amdhsa_kernarg_size 112
		.amdhsa_user_sgpr_count 2
		.amdhsa_user_sgpr_dispatch_ptr 0
		.amdhsa_user_sgpr_queue_ptr 0
		.amdhsa_user_sgpr_kernarg_segment_ptr 1
		.amdhsa_user_sgpr_dispatch_id 0
		.amdhsa_user_sgpr_kernarg_preload_length 0
		.amdhsa_user_sgpr_kernarg_preload_offset 0
		.amdhsa_user_sgpr_private_segment_size 0
		.amdhsa_wavefront_size32 1
		.amdhsa_uses_dynamic_stack 0
		.amdhsa_enable_private_segment 0
		.amdhsa_system_sgpr_workgroup_id_x 1
		.amdhsa_system_sgpr_workgroup_id_y 0
		.amdhsa_system_sgpr_workgroup_id_z 0
		.amdhsa_system_sgpr_workgroup_info 0
		.amdhsa_system_vgpr_workitem_id 0
		.amdhsa_next_free_vgpr 1
		.amdhsa_next_free_sgpr 1
		.amdhsa_named_barrier_count 0
		.amdhsa_reserve_vcc 0
		.amdhsa_float_round_mode_32 0
		.amdhsa_float_round_mode_16_64 0
		.amdhsa_float_denorm_mode_32 3
		.amdhsa_float_denorm_mode_16_64 3
		.amdhsa_fp16_overflow 0
		.amdhsa_memory_ordered 1
		.amdhsa_forward_progress 1
		.amdhsa_inst_pref_size 0
		.amdhsa_round_robin_scheduling 0
		.amdhsa_exception_fp_ieee_invalid_op 0
		.amdhsa_exception_fp_denorm_src 0
		.amdhsa_exception_fp_ieee_div_zero 0
		.amdhsa_exception_fp_ieee_overflow 0
		.amdhsa_exception_fp_ieee_underflow 0
		.amdhsa_exception_fp_ieee_inexact 0
		.amdhsa_exception_int_div_zero 0
	.end_amdhsa_kernel
	.section	.text._ZN7rocprim17ROCPRIM_400000_NS6detail17trampoline_kernelINS0_14default_configENS1_27scan_by_key_config_selectorIiiEEZZNS1_16scan_by_key_implILNS1_25lookback_scan_determinismE0ELb0ES3_N6thrust23THRUST_200600_302600_NS10device_ptrIiEESB_SB_iNS9_4plusIvEENS9_8equal_toIvEEiEE10hipError_tPvRmT2_T3_T4_T5_mT6_T7_P12ihipStream_tbENKUlT_T0_E_clISt17integral_constantIbLb1EESW_EEDaSR_SS_EUlSR_E_NS1_11comp_targetILNS1_3genE10ELNS1_11target_archE1200ELNS1_3gpuE4ELNS1_3repE0EEENS1_30default_config_static_selectorELNS0_4arch9wavefront6targetE0EEEvT1_,"axG",@progbits,_ZN7rocprim17ROCPRIM_400000_NS6detail17trampoline_kernelINS0_14default_configENS1_27scan_by_key_config_selectorIiiEEZZNS1_16scan_by_key_implILNS1_25lookback_scan_determinismE0ELb0ES3_N6thrust23THRUST_200600_302600_NS10device_ptrIiEESB_SB_iNS9_4plusIvEENS9_8equal_toIvEEiEE10hipError_tPvRmT2_T3_T4_T5_mT6_T7_P12ihipStream_tbENKUlT_T0_E_clISt17integral_constantIbLb1EESW_EEDaSR_SS_EUlSR_E_NS1_11comp_targetILNS1_3genE10ELNS1_11target_archE1200ELNS1_3gpuE4ELNS1_3repE0EEENS1_30default_config_static_selectorELNS0_4arch9wavefront6targetE0EEEvT1_,comdat
.Lfunc_end2210:
	.size	_ZN7rocprim17ROCPRIM_400000_NS6detail17trampoline_kernelINS0_14default_configENS1_27scan_by_key_config_selectorIiiEEZZNS1_16scan_by_key_implILNS1_25lookback_scan_determinismE0ELb0ES3_N6thrust23THRUST_200600_302600_NS10device_ptrIiEESB_SB_iNS9_4plusIvEENS9_8equal_toIvEEiEE10hipError_tPvRmT2_T3_T4_T5_mT6_T7_P12ihipStream_tbENKUlT_T0_E_clISt17integral_constantIbLb1EESW_EEDaSR_SS_EUlSR_E_NS1_11comp_targetILNS1_3genE10ELNS1_11target_archE1200ELNS1_3gpuE4ELNS1_3repE0EEENS1_30default_config_static_selectorELNS0_4arch9wavefront6targetE0EEEvT1_, .Lfunc_end2210-_ZN7rocprim17ROCPRIM_400000_NS6detail17trampoline_kernelINS0_14default_configENS1_27scan_by_key_config_selectorIiiEEZZNS1_16scan_by_key_implILNS1_25lookback_scan_determinismE0ELb0ES3_N6thrust23THRUST_200600_302600_NS10device_ptrIiEESB_SB_iNS9_4plusIvEENS9_8equal_toIvEEiEE10hipError_tPvRmT2_T3_T4_T5_mT6_T7_P12ihipStream_tbENKUlT_T0_E_clISt17integral_constantIbLb1EESW_EEDaSR_SS_EUlSR_E_NS1_11comp_targetILNS1_3genE10ELNS1_11target_archE1200ELNS1_3gpuE4ELNS1_3repE0EEENS1_30default_config_static_selectorELNS0_4arch9wavefront6targetE0EEEvT1_
                                        ; -- End function
	.set _ZN7rocprim17ROCPRIM_400000_NS6detail17trampoline_kernelINS0_14default_configENS1_27scan_by_key_config_selectorIiiEEZZNS1_16scan_by_key_implILNS1_25lookback_scan_determinismE0ELb0ES3_N6thrust23THRUST_200600_302600_NS10device_ptrIiEESB_SB_iNS9_4plusIvEENS9_8equal_toIvEEiEE10hipError_tPvRmT2_T3_T4_T5_mT6_T7_P12ihipStream_tbENKUlT_T0_E_clISt17integral_constantIbLb1EESW_EEDaSR_SS_EUlSR_E_NS1_11comp_targetILNS1_3genE10ELNS1_11target_archE1200ELNS1_3gpuE4ELNS1_3repE0EEENS1_30default_config_static_selectorELNS0_4arch9wavefront6targetE0EEEvT1_.num_vgpr, 0
	.set _ZN7rocprim17ROCPRIM_400000_NS6detail17trampoline_kernelINS0_14default_configENS1_27scan_by_key_config_selectorIiiEEZZNS1_16scan_by_key_implILNS1_25lookback_scan_determinismE0ELb0ES3_N6thrust23THRUST_200600_302600_NS10device_ptrIiEESB_SB_iNS9_4plusIvEENS9_8equal_toIvEEiEE10hipError_tPvRmT2_T3_T4_T5_mT6_T7_P12ihipStream_tbENKUlT_T0_E_clISt17integral_constantIbLb1EESW_EEDaSR_SS_EUlSR_E_NS1_11comp_targetILNS1_3genE10ELNS1_11target_archE1200ELNS1_3gpuE4ELNS1_3repE0EEENS1_30default_config_static_selectorELNS0_4arch9wavefront6targetE0EEEvT1_.num_agpr, 0
	.set _ZN7rocprim17ROCPRIM_400000_NS6detail17trampoline_kernelINS0_14default_configENS1_27scan_by_key_config_selectorIiiEEZZNS1_16scan_by_key_implILNS1_25lookback_scan_determinismE0ELb0ES3_N6thrust23THRUST_200600_302600_NS10device_ptrIiEESB_SB_iNS9_4plusIvEENS9_8equal_toIvEEiEE10hipError_tPvRmT2_T3_T4_T5_mT6_T7_P12ihipStream_tbENKUlT_T0_E_clISt17integral_constantIbLb1EESW_EEDaSR_SS_EUlSR_E_NS1_11comp_targetILNS1_3genE10ELNS1_11target_archE1200ELNS1_3gpuE4ELNS1_3repE0EEENS1_30default_config_static_selectorELNS0_4arch9wavefront6targetE0EEEvT1_.numbered_sgpr, 0
	.set _ZN7rocprim17ROCPRIM_400000_NS6detail17trampoline_kernelINS0_14default_configENS1_27scan_by_key_config_selectorIiiEEZZNS1_16scan_by_key_implILNS1_25lookback_scan_determinismE0ELb0ES3_N6thrust23THRUST_200600_302600_NS10device_ptrIiEESB_SB_iNS9_4plusIvEENS9_8equal_toIvEEiEE10hipError_tPvRmT2_T3_T4_T5_mT6_T7_P12ihipStream_tbENKUlT_T0_E_clISt17integral_constantIbLb1EESW_EEDaSR_SS_EUlSR_E_NS1_11comp_targetILNS1_3genE10ELNS1_11target_archE1200ELNS1_3gpuE4ELNS1_3repE0EEENS1_30default_config_static_selectorELNS0_4arch9wavefront6targetE0EEEvT1_.num_named_barrier, 0
	.set _ZN7rocprim17ROCPRIM_400000_NS6detail17trampoline_kernelINS0_14default_configENS1_27scan_by_key_config_selectorIiiEEZZNS1_16scan_by_key_implILNS1_25lookback_scan_determinismE0ELb0ES3_N6thrust23THRUST_200600_302600_NS10device_ptrIiEESB_SB_iNS9_4plusIvEENS9_8equal_toIvEEiEE10hipError_tPvRmT2_T3_T4_T5_mT6_T7_P12ihipStream_tbENKUlT_T0_E_clISt17integral_constantIbLb1EESW_EEDaSR_SS_EUlSR_E_NS1_11comp_targetILNS1_3genE10ELNS1_11target_archE1200ELNS1_3gpuE4ELNS1_3repE0EEENS1_30default_config_static_selectorELNS0_4arch9wavefront6targetE0EEEvT1_.private_seg_size, 0
	.set _ZN7rocprim17ROCPRIM_400000_NS6detail17trampoline_kernelINS0_14default_configENS1_27scan_by_key_config_selectorIiiEEZZNS1_16scan_by_key_implILNS1_25lookback_scan_determinismE0ELb0ES3_N6thrust23THRUST_200600_302600_NS10device_ptrIiEESB_SB_iNS9_4plusIvEENS9_8equal_toIvEEiEE10hipError_tPvRmT2_T3_T4_T5_mT6_T7_P12ihipStream_tbENKUlT_T0_E_clISt17integral_constantIbLb1EESW_EEDaSR_SS_EUlSR_E_NS1_11comp_targetILNS1_3genE10ELNS1_11target_archE1200ELNS1_3gpuE4ELNS1_3repE0EEENS1_30default_config_static_selectorELNS0_4arch9wavefront6targetE0EEEvT1_.uses_vcc, 0
	.set _ZN7rocprim17ROCPRIM_400000_NS6detail17trampoline_kernelINS0_14default_configENS1_27scan_by_key_config_selectorIiiEEZZNS1_16scan_by_key_implILNS1_25lookback_scan_determinismE0ELb0ES3_N6thrust23THRUST_200600_302600_NS10device_ptrIiEESB_SB_iNS9_4plusIvEENS9_8equal_toIvEEiEE10hipError_tPvRmT2_T3_T4_T5_mT6_T7_P12ihipStream_tbENKUlT_T0_E_clISt17integral_constantIbLb1EESW_EEDaSR_SS_EUlSR_E_NS1_11comp_targetILNS1_3genE10ELNS1_11target_archE1200ELNS1_3gpuE4ELNS1_3repE0EEENS1_30default_config_static_selectorELNS0_4arch9wavefront6targetE0EEEvT1_.uses_flat_scratch, 0
	.set _ZN7rocprim17ROCPRIM_400000_NS6detail17trampoline_kernelINS0_14default_configENS1_27scan_by_key_config_selectorIiiEEZZNS1_16scan_by_key_implILNS1_25lookback_scan_determinismE0ELb0ES3_N6thrust23THRUST_200600_302600_NS10device_ptrIiEESB_SB_iNS9_4plusIvEENS9_8equal_toIvEEiEE10hipError_tPvRmT2_T3_T4_T5_mT6_T7_P12ihipStream_tbENKUlT_T0_E_clISt17integral_constantIbLb1EESW_EEDaSR_SS_EUlSR_E_NS1_11comp_targetILNS1_3genE10ELNS1_11target_archE1200ELNS1_3gpuE4ELNS1_3repE0EEENS1_30default_config_static_selectorELNS0_4arch9wavefront6targetE0EEEvT1_.has_dyn_sized_stack, 0
	.set _ZN7rocprim17ROCPRIM_400000_NS6detail17trampoline_kernelINS0_14default_configENS1_27scan_by_key_config_selectorIiiEEZZNS1_16scan_by_key_implILNS1_25lookback_scan_determinismE0ELb0ES3_N6thrust23THRUST_200600_302600_NS10device_ptrIiEESB_SB_iNS9_4plusIvEENS9_8equal_toIvEEiEE10hipError_tPvRmT2_T3_T4_T5_mT6_T7_P12ihipStream_tbENKUlT_T0_E_clISt17integral_constantIbLb1EESW_EEDaSR_SS_EUlSR_E_NS1_11comp_targetILNS1_3genE10ELNS1_11target_archE1200ELNS1_3gpuE4ELNS1_3repE0EEENS1_30default_config_static_selectorELNS0_4arch9wavefront6targetE0EEEvT1_.has_recursion, 0
	.set _ZN7rocprim17ROCPRIM_400000_NS6detail17trampoline_kernelINS0_14default_configENS1_27scan_by_key_config_selectorIiiEEZZNS1_16scan_by_key_implILNS1_25lookback_scan_determinismE0ELb0ES3_N6thrust23THRUST_200600_302600_NS10device_ptrIiEESB_SB_iNS9_4plusIvEENS9_8equal_toIvEEiEE10hipError_tPvRmT2_T3_T4_T5_mT6_T7_P12ihipStream_tbENKUlT_T0_E_clISt17integral_constantIbLb1EESW_EEDaSR_SS_EUlSR_E_NS1_11comp_targetILNS1_3genE10ELNS1_11target_archE1200ELNS1_3gpuE4ELNS1_3repE0EEENS1_30default_config_static_selectorELNS0_4arch9wavefront6targetE0EEEvT1_.has_indirect_call, 0
	.section	.AMDGPU.csdata,"",@progbits
; Kernel info:
; codeLenInByte = 0
; TotalNumSgprs: 0
; NumVgprs: 0
; ScratchSize: 0
; MemoryBound: 0
; FloatMode: 240
; IeeeMode: 1
; LDSByteSize: 0 bytes/workgroup (compile time only)
; SGPRBlocks: 0
; VGPRBlocks: 0
; NumSGPRsForWavesPerEU: 1
; NumVGPRsForWavesPerEU: 1
; NamedBarCnt: 0
; Occupancy: 16
; WaveLimiterHint : 0
; COMPUTE_PGM_RSRC2:SCRATCH_EN: 0
; COMPUTE_PGM_RSRC2:USER_SGPR: 2
; COMPUTE_PGM_RSRC2:TRAP_HANDLER: 0
; COMPUTE_PGM_RSRC2:TGID_X_EN: 1
; COMPUTE_PGM_RSRC2:TGID_Y_EN: 0
; COMPUTE_PGM_RSRC2:TGID_Z_EN: 0
; COMPUTE_PGM_RSRC2:TIDIG_COMP_CNT: 0
	.section	.text._ZN7rocprim17ROCPRIM_400000_NS6detail17trampoline_kernelINS0_14default_configENS1_27scan_by_key_config_selectorIiiEEZZNS1_16scan_by_key_implILNS1_25lookback_scan_determinismE0ELb0ES3_N6thrust23THRUST_200600_302600_NS10device_ptrIiEESB_SB_iNS9_4plusIvEENS9_8equal_toIvEEiEE10hipError_tPvRmT2_T3_T4_T5_mT6_T7_P12ihipStream_tbENKUlT_T0_E_clISt17integral_constantIbLb1EESW_EEDaSR_SS_EUlSR_E_NS1_11comp_targetILNS1_3genE9ELNS1_11target_archE1100ELNS1_3gpuE3ELNS1_3repE0EEENS1_30default_config_static_selectorELNS0_4arch9wavefront6targetE0EEEvT1_,"axG",@progbits,_ZN7rocprim17ROCPRIM_400000_NS6detail17trampoline_kernelINS0_14default_configENS1_27scan_by_key_config_selectorIiiEEZZNS1_16scan_by_key_implILNS1_25lookback_scan_determinismE0ELb0ES3_N6thrust23THRUST_200600_302600_NS10device_ptrIiEESB_SB_iNS9_4plusIvEENS9_8equal_toIvEEiEE10hipError_tPvRmT2_T3_T4_T5_mT6_T7_P12ihipStream_tbENKUlT_T0_E_clISt17integral_constantIbLb1EESW_EEDaSR_SS_EUlSR_E_NS1_11comp_targetILNS1_3genE9ELNS1_11target_archE1100ELNS1_3gpuE3ELNS1_3repE0EEENS1_30default_config_static_selectorELNS0_4arch9wavefront6targetE0EEEvT1_,comdat
	.protected	_ZN7rocprim17ROCPRIM_400000_NS6detail17trampoline_kernelINS0_14default_configENS1_27scan_by_key_config_selectorIiiEEZZNS1_16scan_by_key_implILNS1_25lookback_scan_determinismE0ELb0ES3_N6thrust23THRUST_200600_302600_NS10device_ptrIiEESB_SB_iNS9_4plusIvEENS9_8equal_toIvEEiEE10hipError_tPvRmT2_T3_T4_T5_mT6_T7_P12ihipStream_tbENKUlT_T0_E_clISt17integral_constantIbLb1EESW_EEDaSR_SS_EUlSR_E_NS1_11comp_targetILNS1_3genE9ELNS1_11target_archE1100ELNS1_3gpuE3ELNS1_3repE0EEENS1_30default_config_static_selectorELNS0_4arch9wavefront6targetE0EEEvT1_ ; -- Begin function _ZN7rocprim17ROCPRIM_400000_NS6detail17trampoline_kernelINS0_14default_configENS1_27scan_by_key_config_selectorIiiEEZZNS1_16scan_by_key_implILNS1_25lookback_scan_determinismE0ELb0ES3_N6thrust23THRUST_200600_302600_NS10device_ptrIiEESB_SB_iNS9_4plusIvEENS9_8equal_toIvEEiEE10hipError_tPvRmT2_T3_T4_T5_mT6_T7_P12ihipStream_tbENKUlT_T0_E_clISt17integral_constantIbLb1EESW_EEDaSR_SS_EUlSR_E_NS1_11comp_targetILNS1_3genE9ELNS1_11target_archE1100ELNS1_3gpuE3ELNS1_3repE0EEENS1_30default_config_static_selectorELNS0_4arch9wavefront6targetE0EEEvT1_
	.globl	_ZN7rocprim17ROCPRIM_400000_NS6detail17trampoline_kernelINS0_14default_configENS1_27scan_by_key_config_selectorIiiEEZZNS1_16scan_by_key_implILNS1_25lookback_scan_determinismE0ELb0ES3_N6thrust23THRUST_200600_302600_NS10device_ptrIiEESB_SB_iNS9_4plusIvEENS9_8equal_toIvEEiEE10hipError_tPvRmT2_T3_T4_T5_mT6_T7_P12ihipStream_tbENKUlT_T0_E_clISt17integral_constantIbLb1EESW_EEDaSR_SS_EUlSR_E_NS1_11comp_targetILNS1_3genE9ELNS1_11target_archE1100ELNS1_3gpuE3ELNS1_3repE0EEENS1_30default_config_static_selectorELNS0_4arch9wavefront6targetE0EEEvT1_
	.p2align	8
	.type	_ZN7rocprim17ROCPRIM_400000_NS6detail17trampoline_kernelINS0_14default_configENS1_27scan_by_key_config_selectorIiiEEZZNS1_16scan_by_key_implILNS1_25lookback_scan_determinismE0ELb0ES3_N6thrust23THRUST_200600_302600_NS10device_ptrIiEESB_SB_iNS9_4plusIvEENS9_8equal_toIvEEiEE10hipError_tPvRmT2_T3_T4_T5_mT6_T7_P12ihipStream_tbENKUlT_T0_E_clISt17integral_constantIbLb1EESW_EEDaSR_SS_EUlSR_E_NS1_11comp_targetILNS1_3genE9ELNS1_11target_archE1100ELNS1_3gpuE3ELNS1_3repE0EEENS1_30default_config_static_selectorELNS0_4arch9wavefront6targetE0EEEvT1_,@function
_ZN7rocprim17ROCPRIM_400000_NS6detail17trampoline_kernelINS0_14default_configENS1_27scan_by_key_config_selectorIiiEEZZNS1_16scan_by_key_implILNS1_25lookback_scan_determinismE0ELb0ES3_N6thrust23THRUST_200600_302600_NS10device_ptrIiEESB_SB_iNS9_4plusIvEENS9_8equal_toIvEEiEE10hipError_tPvRmT2_T3_T4_T5_mT6_T7_P12ihipStream_tbENKUlT_T0_E_clISt17integral_constantIbLb1EESW_EEDaSR_SS_EUlSR_E_NS1_11comp_targetILNS1_3genE9ELNS1_11target_archE1100ELNS1_3gpuE3ELNS1_3repE0EEENS1_30default_config_static_selectorELNS0_4arch9wavefront6targetE0EEEvT1_: ; @_ZN7rocprim17ROCPRIM_400000_NS6detail17trampoline_kernelINS0_14default_configENS1_27scan_by_key_config_selectorIiiEEZZNS1_16scan_by_key_implILNS1_25lookback_scan_determinismE0ELb0ES3_N6thrust23THRUST_200600_302600_NS10device_ptrIiEESB_SB_iNS9_4plusIvEENS9_8equal_toIvEEiEE10hipError_tPvRmT2_T3_T4_T5_mT6_T7_P12ihipStream_tbENKUlT_T0_E_clISt17integral_constantIbLb1EESW_EEDaSR_SS_EUlSR_E_NS1_11comp_targetILNS1_3genE9ELNS1_11target_archE1100ELNS1_3gpuE3ELNS1_3repE0EEENS1_30default_config_static_selectorELNS0_4arch9wavefront6targetE0EEEvT1_
; %bb.0:
	.section	.rodata,"a",@progbits
	.p2align	6, 0x0
	.amdhsa_kernel _ZN7rocprim17ROCPRIM_400000_NS6detail17trampoline_kernelINS0_14default_configENS1_27scan_by_key_config_selectorIiiEEZZNS1_16scan_by_key_implILNS1_25lookback_scan_determinismE0ELb0ES3_N6thrust23THRUST_200600_302600_NS10device_ptrIiEESB_SB_iNS9_4plusIvEENS9_8equal_toIvEEiEE10hipError_tPvRmT2_T3_T4_T5_mT6_T7_P12ihipStream_tbENKUlT_T0_E_clISt17integral_constantIbLb1EESW_EEDaSR_SS_EUlSR_E_NS1_11comp_targetILNS1_3genE9ELNS1_11target_archE1100ELNS1_3gpuE3ELNS1_3repE0EEENS1_30default_config_static_selectorELNS0_4arch9wavefront6targetE0EEEvT1_
		.amdhsa_group_segment_fixed_size 0
		.amdhsa_private_segment_fixed_size 0
		.amdhsa_kernarg_size 112
		.amdhsa_user_sgpr_count 2
		.amdhsa_user_sgpr_dispatch_ptr 0
		.amdhsa_user_sgpr_queue_ptr 0
		.amdhsa_user_sgpr_kernarg_segment_ptr 1
		.amdhsa_user_sgpr_dispatch_id 0
		.amdhsa_user_sgpr_kernarg_preload_length 0
		.amdhsa_user_sgpr_kernarg_preload_offset 0
		.amdhsa_user_sgpr_private_segment_size 0
		.amdhsa_wavefront_size32 1
		.amdhsa_uses_dynamic_stack 0
		.amdhsa_enable_private_segment 0
		.amdhsa_system_sgpr_workgroup_id_x 1
		.amdhsa_system_sgpr_workgroup_id_y 0
		.amdhsa_system_sgpr_workgroup_id_z 0
		.amdhsa_system_sgpr_workgroup_info 0
		.amdhsa_system_vgpr_workitem_id 0
		.amdhsa_next_free_vgpr 1
		.amdhsa_next_free_sgpr 1
		.amdhsa_named_barrier_count 0
		.amdhsa_reserve_vcc 0
		.amdhsa_float_round_mode_32 0
		.amdhsa_float_round_mode_16_64 0
		.amdhsa_float_denorm_mode_32 3
		.amdhsa_float_denorm_mode_16_64 3
		.amdhsa_fp16_overflow 0
		.amdhsa_memory_ordered 1
		.amdhsa_forward_progress 1
		.amdhsa_inst_pref_size 0
		.amdhsa_round_robin_scheduling 0
		.amdhsa_exception_fp_ieee_invalid_op 0
		.amdhsa_exception_fp_denorm_src 0
		.amdhsa_exception_fp_ieee_div_zero 0
		.amdhsa_exception_fp_ieee_overflow 0
		.amdhsa_exception_fp_ieee_underflow 0
		.amdhsa_exception_fp_ieee_inexact 0
		.amdhsa_exception_int_div_zero 0
	.end_amdhsa_kernel
	.section	.text._ZN7rocprim17ROCPRIM_400000_NS6detail17trampoline_kernelINS0_14default_configENS1_27scan_by_key_config_selectorIiiEEZZNS1_16scan_by_key_implILNS1_25lookback_scan_determinismE0ELb0ES3_N6thrust23THRUST_200600_302600_NS10device_ptrIiEESB_SB_iNS9_4plusIvEENS9_8equal_toIvEEiEE10hipError_tPvRmT2_T3_T4_T5_mT6_T7_P12ihipStream_tbENKUlT_T0_E_clISt17integral_constantIbLb1EESW_EEDaSR_SS_EUlSR_E_NS1_11comp_targetILNS1_3genE9ELNS1_11target_archE1100ELNS1_3gpuE3ELNS1_3repE0EEENS1_30default_config_static_selectorELNS0_4arch9wavefront6targetE0EEEvT1_,"axG",@progbits,_ZN7rocprim17ROCPRIM_400000_NS6detail17trampoline_kernelINS0_14default_configENS1_27scan_by_key_config_selectorIiiEEZZNS1_16scan_by_key_implILNS1_25lookback_scan_determinismE0ELb0ES3_N6thrust23THRUST_200600_302600_NS10device_ptrIiEESB_SB_iNS9_4plusIvEENS9_8equal_toIvEEiEE10hipError_tPvRmT2_T3_T4_T5_mT6_T7_P12ihipStream_tbENKUlT_T0_E_clISt17integral_constantIbLb1EESW_EEDaSR_SS_EUlSR_E_NS1_11comp_targetILNS1_3genE9ELNS1_11target_archE1100ELNS1_3gpuE3ELNS1_3repE0EEENS1_30default_config_static_selectorELNS0_4arch9wavefront6targetE0EEEvT1_,comdat
.Lfunc_end2211:
	.size	_ZN7rocprim17ROCPRIM_400000_NS6detail17trampoline_kernelINS0_14default_configENS1_27scan_by_key_config_selectorIiiEEZZNS1_16scan_by_key_implILNS1_25lookback_scan_determinismE0ELb0ES3_N6thrust23THRUST_200600_302600_NS10device_ptrIiEESB_SB_iNS9_4plusIvEENS9_8equal_toIvEEiEE10hipError_tPvRmT2_T3_T4_T5_mT6_T7_P12ihipStream_tbENKUlT_T0_E_clISt17integral_constantIbLb1EESW_EEDaSR_SS_EUlSR_E_NS1_11comp_targetILNS1_3genE9ELNS1_11target_archE1100ELNS1_3gpuE3ELNS1_3repE0EEENS1_30default_config_static_selectorELNS0_4arch9wavefront6targetE0EEEvT1_, .Lfunc_end2211-_ZN7rocprim17ROCPRIM_400000_NS6detail17trampoline_kernelINS0_14default_configENS1_27scan_by_key_config_selectorIiiEEZZNS1_16scan_by_key_implILNS1_25lookback_scan_determinismE0ELb0ES3_N6thrust23THRUST_200600_302600_NS10device_ptrIiEESB_SB_iNS9_4plusIvEENS9_8equal_toIvEEiEE10hipError_tPvRmT2_T3_T4_T5_mT6_T7_P12ihipStream_tbENKUlT_T0_E_clISt17integral_constantIbLb1EESW_EEDaSR_SS_EUlSR_E_NS1_11comp_targetILNS1_3genE9ELNS1_11target_archE1100ELNS1_3gpuE3ELNS1_3repE0EEENS1_30default_config_static_selectorELNS0_4arch9wavefront6targetE0EEEvT1_
                                        ; -- End function
	.set _ZN7rocprim17ROCPRIM_400000_NS6detail17trampoline_kernelINS0_14default_configENS1_27scan_by_key_config_selectorIiiEEZZNS1_16scan_by_key_implILNS1_25lookback_scan_determinismE0ELb0ES3_N6thrust23THRUST_200600_302600_NS10device_ptrIiEESB_SB_iNS9_4plusIvEENS9_8equal_toIvEEiEE10hipError_tPvRmT2_T3_T4_T5_mT6_T7_P12ihipStream_tbENKUlT_T0_E_clISt17integral_constantIbLb1EESW_EEDaSR_SS_EUlSR_E_NS1_11comp_targetILNS1_3genE9ELNS1_11target_archE1100ELNS1_3gpuE3ELNS1_3repE0EEENS1_30default_config_static_selectorELNS0_4arch9wavefront6targetE0EEEvT1_.num_vgpr, 0
	.set _ZN7rocprim17ROCPRIM_400000_NS6detail17trampoline_kernelINS0_14default_configENS1_27scan_by_key_config_selectorIiiEEZZNS1_16scan_by_key_implILNS1_25lookback_scan_determinismE0ELb0ES3_N6thrust23THRUST_200600_302600_NS10device_ptrIiEESB_SB_iNS9_4plusIvEENS9_8equal_toIvEEiEE10hipError_tPvRmT2_T3_T4_T5_mT6_T7_P12ihipStream_tbENKUlT_T0_E_clISt17integral_constantIbLb1EESW_EEDaSR_SS_EUlSR_E_NS1_11comp_targetILNS1_3genE9ELNS1_11target_archE1100ELNS1_3gpuE3ELNS1_3repE0EEENS1_30default_config_static_selectorELNS0_4arch9wavefront6targetE0EEEvT1_.num_agpr, 0
	.set _ZN7rocprim17ROCPRIM_400000_NS6detail17trampoline_kernelINS0_14default_configENS1_27scan_by_key_config_selectorIiiEEZZNS1_16scan_by_key_implILNS1_25lookback_scan_determinismE0ELb0ES3_N6thrust23THRUST_200600_302600_NS10device_ptrIiEESB_SB_iNS9_4plusIvEENS9_8equal_toIvEEiEE10hipError_tPvRmT2_T3_T4_T5_mT6_T7_P12ihipStream_tbENKUlT_T0_E_clISt17integral_constantIbLb1EESW_EEDaSR_SS_EUlSR_E_NS1_11comp_targetILNS1_3genE9ELNS1_11target_archE1100ELNS1_3gpuE3ELNS1_3repE0EEENS1_30default_config_static_selectorELNS0_4arch9wavefront6targetE0EEEvT1_.numbered_sgpr, 0
	.set _ZN7rocprim17ROCPRIM_400000_NS6detail17trampoline_kernelINS0_14default_configENS1_27scan_by_key_config_selectorIiiEEZZNS1_16scan_by_key_implILNS1_25lookback_scan_determinismE0ELb0ES3_N6thrust23THRUST_200600_302600_NS10device_ptrIiEESB_SB_iNS9_4plusIvEENS9_8equal_toIvEEiEE10hipError_tPvRmT2_T3_T4_T5_mT6_T7_P12ihipStream_tbENKUlT_T0_E_clISt17integral_constantIbLb1EESW_EEDaSR_SS_EUlSR_E_NS1_11comp_targetILNS1_3genE9ELNS1_11target_archE1100ELNS1_3gpuE3ELNS1_3repE0EEENS1_30default_config_static_selectorELNS0_4arch9wavefront6targetE0EEEvT1_.num_named_barrier, 0
	.set _ZN7rocprim17ROCPRIM_400000_NS6detail17trampoline_kernelINS0_14default_configENS1_27scan_by_key_config_selectorIiiEEZZNS1_16scan_by_key_implILNS1_25lookback_scan_determinismE0ELb0ES3_N6thrust23THRUST_200600_302600_NS10device_ptrIiEESB_SB_iNS9_4plusIvEENS9_8equal_toIvEEiEE10hipError_tPvRmT2_T3_T4_T5_mT6_T7_P12ihipStream_tbENKUlT_T0_E_clISt17integral_constantIbLb1EESW_EEDaSR_SS_EUlSR_E_NS1_11comp_targetILNS1_3genE9ELNS1_11target_archE1100ELNS1_3gpuE3ELNS1_3repE0EEENS1_30default_config_static_selectorELNS0_4arch9wavefront6targetE0EEEvT1_.private_seg_size, 0
	.set _ZN7rocprim17ROCPRIM_400000_NS6detail17trampoline_kernelINS0_14default_configENS1_27scan_by_key_config_selectorIiiEEZZNS1_16scan_by_key_implILNS1_25lookback_scan_determinismE0ELb0ES3_N6thrust23THRUST_200600_302600_NS10device_ptrIiEESB_SB_iNS9_4plusIvEENS9_8equal_toIvEEiEE10hipError_tPvRmT2_T3_T4_T5_mT6_T7_P12ihipStream_tbENKUlT_T0_E_clISt17integral_constantIbLb1EESW_EEDaSR_SS_EUlSR_E_NS1_11comp_targetILNS1_3genE9ELNS1_11target_archE1100ELNS1_3gpuE3ELNS1_3repE0EEENS1_30default_config_static_selectorELNS0_4arch9wavefront6targetE0EEEvT1_.uses_vcc, 0
	.set _ZN7rocprim17ROCPRIM_400000_NS6detail17trampoline_kernelINS0_14default_configENS1_27scan_by_key_config_selectorIiiEEZZNS1_16scan_by_key_implILNS1_25lookback_scan_determinismE0ELb0ES3_N6thrust23THRUST_200600_302600_NS10device_ptrIiEESB_SB_iNS9_4plusIvEENS9_8equal_toIvEEiEE10hipError_tPvRmT2_T3_T4_T5_mT6_T7_P12ihipStream_tbENKUlT_T0_E_clISt17integral_constantIbLb1EESW_EEDaSR_SS_EUlSR_E_NS1_11comp_targetILNS1_3genE9ELNS1_11target_archE1100ELNS1_3gpuE3ELNS1_3repE0EEENS1_30default_config_static_selectorELNS0_4arch9wavefront6targetE0EEEvT1_.uses_flat_scratch, 0
	.set _ZN7rocprim17ROCPRIM_400000_NS6detail17trampoline_kernelINS0_14default_configENS1_27scan_by_key_config_selectorIiiEEZZNS1_16scan_by_key_implILNS1_25lookback_scan_determinismE0ELb0ES3_N6thrust23THRUST_200600_302600_NS10device_ptrIiEESB_SB_iNS9_4plusIvEENS9_8equal_toIvEEiEE10hipError_tPvRmT2_T3_T4_T5_mT6_T7_P12ihipStream_tbENKUlT_T0_E_clISt17integral_constantIbLb1EESW_EEDaSR_SS_EUlSR_E_NS1_11comp_targetILNS1_3genE9ELNS1_11target_archE1100ELNS1_3gpuE3ELNS1_3repE0EEENS1_30default_config_static_selectorELNS0_4arch9wavefront6targetE0EEEvT1_.has_dyn_sized_stack, 0
	.set _ZN7rocprim17ROCPRIM_400000_NS6detail17trampoline_kernelINS0_14default_configENS1_27scan_by_key_config_selectorIiiEEZZNS1_16scan_by_key_implILNS1_25lookback_scan_determinismE0ELb0ES3_N6thrust23THRUST_200600_302600_NS10device_ptrIiEESB_SB_iNS9_4plusIvEENS9_8equal_toIvEEiEE10hipError_tPvRmT2_T3_T4_T5_mT6_T7_P12ihipStream_tbENKUlT_T0_E_clISt17integral_constantIbLb1EESW_EEDaSR_SS_EUlSR_E_NS1_11comp_targetILNS1_3genE9ELNS1_11target_archE1100ELNS1_3gpuE3ELNS1_3repE0EEENS1_30default_config_static_selectorELNS0_4arch9wavefront6targetE0EEEvT1_.has_recursion, 0
	.set _ZN7rocprim17ROCPRIM_400000_NS6detail17trampoline_kernelINS0_14default_configENS1_27scan_by_key_config_selectorIiiEEZZNS1_16scan_by_key_implILNS1_25lookback_scan_determinismE0ELb0ES3_N6thrust23THRUST_200600_302600_NS10device_ptrIiEESB_SB_iNS9_4plusIvEENS9_8equal_toIvEEiEE10hipError_tPvRmT2_T3_T4_T5_mT6_T7_P12ihipStream_tbENKUlT_T0_E_clISt17integral_constantIbLb1EESW_EEDaSR_SS_EUlSR_E_NS1_11comp_targetILNS1_3genE9ELNS1_11target_archE1100ELNS1_3gpuE3ELNS1_3repE0EEENS1_30default_config_static_selectorELNS0_4arch9wavefront6targetE0EEEvT1_.has_indirect_call, 0
	.section	.AMDGPU.csdata,"",@progbits
; Kernel info:
; codeLenInByte = 0
; TotalNumSgprs: 0
; NumVgprs: 0
; ScratchSize: 0
; MemoryBound: 0
; FloatMode: 240
; IeeeMode: 1
; LDSByteSize: 0 bytes/workgroup (compile time only)
; SGPRBlocks: 0
; VGPRBlocks: 0
; NumSGPRsForWavesPerEU: 1
; NumVGPRsForWavesPerEU: 1
; NamedBarCnt: 0
; Occupancy: 16
; WaveLimiterHint : 0
; COMPUTE_PGM_RSRC2:SCRATCH_EN: 0
; COMPUTE_PGM_RSRC2:USER_SGPR: 2
; COMPUTE_PGM_RSRC2:TRAP_HANDLER: 0
; COMPUTE_PGM_RSRC2:TGID_X_EN: 1
; COMPUTE_PGM_RSRC2:TGID_Y_EN: 0
; COMPUTE_PGM_RSRC2:TGID_Z_EN: 0
; COMPUTE_PGM_RSRC2:TIDIG_COMP_CNT: 0
	.section	.text._ZN7rocprim17ROCPRIM_400000_NS6detail17trampoline_kernelINS0_14default_configENS1_27scan_by_key_config_selectorIiiEEZZNS1_16scan_by_key_implILNS1_25lookback_scan_determinismE0ELb0ES3_N6thrust23THRUST_200600_302600_NS10device_ptrIiEESB_SB_iNS9_4plusIvEENS9_8equal_toIvEEiEE10hipError_tPvRmT2_T3_T4_T5_mT6_T7_P12ihipStream_tbENKUlT_T0_E_clISt17integral_constantIbLb1EESW_EEDaSR_SS_EUlSR_E_NS1_11comp_targetILNS1_3genE8ELNS1_11target_archE1030ELNS1_3gpuE2ELNS1_3repE0EEENS1_30default_config_static_selectorELNS0_4arch9wavefront6targetE0EEEvT1_,"axG",@progbits,_ZN7rocprim17ROCPRIM_400000_NS6detail17trampoline_kernelINS0_14default_configENS1_27scan_by_key_config_selectorIiiEEZZNS1_16scan_by_key_implILNS1_25lookback_scan_determinismE0ELb0ES3_N6thrust23THRUST_200600_302600_NS10device_ptrIiEESB_SB_iNS9_4plusIvEENS9_8equal_toIvEEiEE10hipError_tPvRmT2_T3_T4_T5_mT6_T7_P12ihipStream_tbENKUlT_T0_E_clISt17integral_constantIbLb1EESW_EEDaSR_SS_EUlSR_E_NS1_11comp_targetILNS1_3genE8ELNS1_11target_archE1030ELNS1_3gpuE2ELNS1_3repE0EEENS1_30default_config_static_selectorELNS0_4arch9wavefront6targetE0EEEvT1_,comdat
	.protected	_ZN7rocprim17ROCPRIM_400000_NS6detail17trampoline_kernelINS0_14default_configENS1_27scan_by_key_config_selectorIiiEEZZNS1_16scan_by_key_implILNS1_25lookback_scan_determinismE0ELb0ES3_N6thrust23THRUST_200600_302600_NS10device_ptrIiEESB_SB_iNS9_4plusIvEENS9_8equal_toIvEEiEE10hipError_tPvRmT2_T3_T4_T5_mT6_T7_P12ihipStream_tbENKUlT_T0_E_clISt17integral_constantIbLb1EESW_EEDaSR_SS_EUlSR_E_NS1_11comp_targetILNS1_3genE8ELNS1_11target_archE1030ELNS1_3gpuE2ELNS1_3repE0EEENS1_30default_config_static_selectorELNS0_4arch9wavefront6targetE0EEEvT1_ ; -- Begin function _ZN7rocprim17ROCPRIM_400000_NS6detail17trampoline_kernelINS0_14default_configENS1_27scan_by_key_config_selectorIiiEEZZNS1_16scan_by_key_implILNS1_25lookback_scan_determinismE0ELb0ES3_N6thrust23THRUST_200600_302600_NS10device_ptrIiEESB_SB_iNS9_4plusIvEENS9_8equal_toIvEEiEE10hipError_tPvRmT2_T3_T4_T5_mT6_T7_P12ihipStream_tbENKUlT_T0_E_clISt17integral_constantIbLb1EESW_EEDaSR_SS_EUlSR_E_NS1_11comp_targetILNS1_3genE8ELNS1_11target_archE1030ELNS1_3gpuE2ELNS1_3repE0EEENS1_30default_config_static_selectorELNS0_4arch9wavefront6targetE0EEEvT1_
	.globl	_ZN7rocprim17ROCPRIM_400000_NS6detail17trampoline_kernelINS0_14default_configENS1_27scan_by_key_config_selectorIiiEEZZNS1_16scan_by_key_implILNS1_25lookback_scan_determinismE0ELb0ES3_N6thrust23THRUST_200600_302600_NS10device_ptrIiEESB_SB_iNS9_4plusIvEENS9_8equal_toIvEEiEE10hipError_tPvRmT2_T3_T4_T5_mT6_T7_P12ihipStream_tbENKUlT_T0_E_clISt17integral_constantIbLb1EESW_EEDaSR_SS_EUlSR_E_NS1_11comp_targetILNS1_3genE8ELNS1_11target_archE1030ELNS1_3gpuE2ELNS1_3repE0EEENS1_30default_config_static_selectorELNS0_4arch9wavefront6targetE0EEEvT1_
	.p2align	8
	.type	_ZN7rocprim17ROCPRIM_400000_NS6detail17trampoline_kernelINS0_14default_configENS1_27scan_by_key_config_selectorIiiEEZZNS1_16scan_by_key_implILNS1_25lookback_scan_determinismE0ELb0ES3_N6thrust23THRUST_200600_302600_NS10device_ptrIiEESB_SB_iNS9_4plusIvEENS9_8equal_toIvEEiEE10hipError_tPvRmT2_T3_T4_T5_mT6_T7_P12ihipStream_tbENKUlT_T0_E_clISt17integral_constantIbLb1EESW_EEDaSR_SS_EUlSR_E_NS1_11comp_targetILNS1_3genE8ELNS1_11target_archE1030ELNS1_3gpuE2ELNS1_3repE0EEENS1_30default_config_static_selectorELNS0_4arch9wavefront6targetE0EEEvT1_,@function
_ZN7rocprim17ROCPRIM_400000_NS6detail17trampoline_kernelINS0_14default_configENS1_27scan_by_key_config_selectorIiiEEZZNS1_16scan_by_key_implILNS1_25lookback_scan_determinismE0ELb0ES3_N6thrust23THRUST_200600_302600_NS10device_ptrIiEESB_SB_iNS9_4plusIvEENS9_8equal_toIvEEiEE10hipError_tPvRmT2_T3_T4_T5_mT6_T7_P12ihipStream_tbENKUlT_T0_E_clISt17integral_constantIbLb1EESW_EEDaSR_SS_EUlSR_E_NS1_11comp_targetILNS1_3genE8ELNS1_11target_archE1030ELNS1_3gpuE2ELNS1_3repE0EEENS1_30default_config_static_selectorELNS0_4arch9wavefront6targetE0EEEvT1_: ; @_ZN7rocprim17ROCPRIM_400000_NS6detail17trampoline_kernelINS0_14default_configENS1_27scan_by_key_config_selectorIiiEEZZNS1_16scan_by_key_implILNS1_25lookback_scan_determinismE0ELb0ES3_N6thrust23THRUST_200600_302600_NS10device_ptrIiEESB_SB_iNS9_4plusIvEENS9_8equal_toIvEEiEE10hipError_tPvRmT2_T3_T4_T5_mT6_T7_P12ihipStream_tbENKUlT_T0_E_clISt17integral_constantIbLb1EESW_EEDaSR_SS_EUlSR_E_NS1_11comp_targetILNS1_3genE8ELNS1_11target_archE1030ELNS1_3gpuE2ELNS1_3repE0EEENS1_30default_config_static_selectorELNS0_4arch9wavefront6targetE0EEEvT1_
; %bb.0:
	.section	.rodata,"a",@progbits
	.p2align	6, 0x0
	.amdhsa_kernel _ZN7rocprim17ROCPRIM_400000_NS6detail17trampoline_kernelINS0_14default_configENS1_27scan_by_key_config_selectorIiiEEZZNS1_16scan_by_key_implILNS1_25lookback_scan_determinismE0ELb0ES3_N6thrust23THRUST_200600_302600_NS10device_ptrIiEESB_SB_iNS9_4plusIvEENS9_8equal_toIvEEiEE10hipError_tPvRmT2_T3_T4_T5_mT6_T7_P12ihipStream_tbENKUlT_T0_E_clISt17integral_constantIbLb1EESW_EEDaSR_SS_EUlSR_E_NS1_11comp_targetILNS1_3genE8ELNS1_11target_archE1030ELNS1_3gpuE2ELNS1_3repE0EEENS1_30default_config_static_selectorELNS0_4arch9wavefront6targetE0EEEvT1_
		.amdhsa_group_segment_fixed_size 0
		.amdhsa_private_segment_fixed_size 0
		.amdhsa_kernarg_size 112
		.amdhsa_user_sgpr_count 2
		.amdhsa_user_sgpr_dispatch_ptr 0
		.amdhsa_user_sgpr_queue_ptr 0
		.amdhsa_user_sgpr_kernarg_segment_ptr 1
		.amdhsa_user_sgpr_dispatch_id 0
		.amdhsa_user_sgpr_kernarg_preload_length 0
		.amdhsa_user_sgpr_kernarg_preload_offset 0
		.amdhsa_user_sgpr_private_segment_size 0
		.amdhsa_wavefront_size32 1
		.amdhsa_uses_dynamic_stack 0
		.amdhsa_enable_private_segment 0
		.amdhsa_system_sgpr_workgroup_id_x 1
		.amdhsa_system_sgpr_workgroup_id_y 0
		.amdhsa_system_sgpr_workgroup_id_z 0
		.amdhsa_system_sgpr_workgroup_info 0
		.amdhsa_system_vgpr_workitem_id 0
		.amdhsa_next_free_vgpr 1
		.amdhsa_next_free_sgpr 1
		.amdhsa_named_barrier_count 0
		.amdhsa_reserve_vcc 0
		.amdhsa_float_round_mode_32 0
		.amdhsa_float_round_mode_16_64 0
		.amdhsa_float_denorm_mode_32 3
		.amdhsa_float_denorm_mode_16_64 3
		.amdhsa_fp16_overflow 0
		.amdhsa_memory_ordered 1
		.amdhsa_forward_progress 1
		.amdhsa_inst_pref_size 0
		.amdhsa_round_robin_scheduling 0
		.amdhsa_exception_fp_ieee_invalid_op 0
		.amdhsa_exception_fp_denorm_src 0
		.amdhsa_exception_fp_ieee_div_zero 0
		.amdhsa_exception_fp_ieee_overflow 0
		.amdhsa_exception_fp_ieee_underflow 0
		.amdhsa_exception_fp_ieee_inexact 0
		.amdhsa_exception_int_div_zero 0
	.end_amdhsa_kernel
	.section	.text._ZN7rocprim17ROCPRIM_400000_NS6detail17trampoline_kernelINS0_14default_configENS1_27scan_by_key_config_selectorIiiEEZZNS1_16scan_by_key_implILNS1_25lookback_scan_determinismE0ELb0ES3_N6thrust23THRUST_200600_302600_NS10device_ptrIiEESB_SB_iNS9_4plusIvEENS9_8equal_toIvEEiEE10hipError_tPvRmT2_T3_T4_T5_mT6_T7_P12ihipStream_tbENKUlT_T0_E_clISt17integral_constantIbLb1EESW_EEDaSR_SS_EUlSR_E_NS1_11comp_targetILNS1_3genE8ELNS1_11target_archE1030ELNS1_3gpuE2ELNS1_3repE0EEENS1_30default_config_static_selectorELNS0_4arch9wavefront6targetE0EEEvT1_,"axG",@progbits,_ZN7rocprim17ROCPRIM_400000_NS6detail17trampoline_kernelINS0_14default_configENS1_27scan_by_key_config_selectorIiiEEZZNS1_16scan_by_key_implILNS1_25lookback_scan_determinismE0ELb0ES3_N6thrust23THRUST_200600_302600_NS10device_ptrIiEESB_SB_iNS9_4plusIvEENS9_8equal_toIvEEiEE10hipError_tPvRmT2_T3_T4_T5_mT6_T7_P12ihipStream_tbENKUlT_T0_E_clISt17integral_constantIbLb1EESW_EEDaSR_SS_EUlSR_E_NS1_11comp_targetILNS1_3genE8ELNS1_11target_archE1030ELNS1_3gpuE2ELNS1_3repE0EEENS1_30default_config_static_selectorELNS0_4arch9wavefront6targetE0EEEvT1_,comdat
.Lfunc_end2212:
	.size	_ZN7rocprim17ROCPRIM_400000_NS6detail17trampoline_kernelINS0_14default_configENS1_27scan_by_key_config_selectorIiiEEZZNS1_16scan_by_key_implILNS1_25lookback_scan_determinismE0ELb0ES3_N6thrust23THRUST_200600_302600_NS10device_ptrIiEESB_SB_iNS9_4plusIvEENS9_8equal_toIvEEiEE10hipError_tPvRmT2_T3_T4_T5_mT6_T7_P12ihipStream_tbENKUlT_T0_E_clISt17integral_constantIbLb1EESW_EEDaSR_SS_EUlSR_E_NS1_11comp_targetILNS1_3genE8ELNS1_11target_archE1030ELNS1_3gpuE2ELNS1_3repE0EEENS1_30default_config_static_selectorELNS0_4arch9wavefront6targetE0EEEvT1_, .Lfunc_end2212-_ZN7rocprim17ROCPRIM_400000_NS6detail17trampoline_kernelINS0_14default_configENS1_27scan_by_key_config_selectorIiiEEZZNS1_16scan_by_key_implILNS1_25lookback_scan_determinismE0ELb0ES3_N6thrust23THRUST_200600_302600_NS10device_ptrIiEESB_SB_iNS9_4plusIvEENS9_8equal_toIvEEiEE10hipError_tPvRmT2_T3_T4_T5_mT6_T7_P12ihipStream_tbENKUlT_T0_E_clISt17integral_constantIbLb1EESW_EEDaSR_SS_EUlSR_E_NS1_11comp_targetILNS1_3genE8ELNS1_11target_archE1030ELNS1_3gpuE2ELNS1_3repE0EEENS1_30default_config_static_selectorELNS0_4arch9wavefront6targetE0EEEvT1_
                                        ; -- End function
	.set _ZN7rocprim17ROCPRIM_400000_NS6detail17trampoline_kernelINS0_14default_configENS1_27scan_by_key_config_selectorIiiEEZZNS1_16scan_by_key_implILNS1_25lookback_scan_determinismE0ELb0ES3_N6thrust23THRUST_200600_302600_NS10device_ptrIiEESB_SB_iNS9_4plusIvEENS9_8equal_toIvEEiEE10hipError_tPvRmT2_T3_T4_T5_mT6_T7_P12ihipStream_tbENKUlT_T0_E_clISt17integral_constantIbLb1EESW_EEDaSR_SS_EUlSR_E_NS1_11comp_targetILNS1_3genE8ELNS1_11target_archE1030ELNS1_3gpuE2ELNS1_3repE0EEENS1_30default_config_static_selectorELNS0_4arch9wavefront6targetE0EEEvT1_.num_vgpr, 0
	.set _ZN7rocprim17ROCPRIM_400000_NS6detail17trampoline_kernelINS0_14default_configENS1_27scan_by_key_config_selectorIiiEEZZNS1_16scan_by_key_implILNS1_25lookback_scan_determinismE0ELb0ES3_N6thrust23THRUST_200600_302600_NS10device_ptrIiEESB_SB_iNS9_4plusIvEENS9_8equal_toIvEEiEE10hipError_tPvRmT2_T3_T4_T5_mT6_T7_P12ihipStream_tbENKUlT_T0_E_clISt17integral_constantIbLb1EESW_EEDaSR_SS_EUlSR_E_NS1_11comp_targetILNS1_3genE8ELNS1_11target_archE1030ELNS1_3gpuE2ELNS1_3repE0EEENS1_30default_config_static_selectorELNS0_4arch9wavefront6targetE0EEEvT1_.num_agpr, 0
	.set _ZN7rocprim17ROCPRIM_400000_NS6detail17trampoline_kernelINS0_14default_configENS1_27scan_by_key_config_selectorIiiEEZZNS1_16scan_by_key_implILNS1_25lookback_scan_determinismE0ELb0ES3_N6thrust23THRUST_200600_302600_NS10device_ptrIiEESB_SB_iNS9_4plusIvEENS9_8equal_toIvEEiEE10hipError_tPvRmT2_T3_T4_T5_mT6_T7_P12ihipStream_tbENKUlT_T0_E_clISt17integral_constantIbLb1EESW_EEDaSR_SS_EUlSR_E_NS1_11comp_targetILNS1_3genE8ELNS1_11target_archE1030ELNS1_3gpuE2ELNS1_3repE0EEENS1_30default_config_static_selectorELNS0_4arch9wavefront6targetE0EEEvT1_.numbered_sgpr, 0
	.set _ZN7rocprim17ROCPRIM_400000_NS6detail17trampoline_kernelINS0_14default_configENS1_27scan_by_key_config_selectorIiiEEZZNS1_16scan_by_key_implILNS1_25lookback_scan_determinismE0ELb0ES3_N6thrust23THRUST_200600_302600_NS10device_ptrIiEESB_SB_iNS9_4plusIvEENS9_8equal_toIvEEiEE10hipError_tPvRmT2_T3_T4_T5_mT6_T7_P12ihipStream_tbENKUlT_T0_E_clISt17integral_constantIbLb1EESW_EEDaSR_SS_EUlSR_E_NS1_11comp_targetILNS1_3genE8ELNS1_11target_archE1030ELNS1_3gpuE2ELNS1_3repE0EEENS1_30default_config_static_selectorELNS0_4arch9wavefront6targetE0EEEvT1_.num_named_barrier, 0
	.set _ZN7rocprim17ROCPRIM_400000_NS6detail17trampoline_kernelINS0_14default_configENS1_27scan_by_key_config_selectorIiiEEZZNS1_16scan_by_key_implILNS1_25lookback_scan_determinismE0ELb0ES3_N6thrust23THRUST_200600_302600_NS10device_ptrIiEESB_SB_iNS9_4plusIvEENS9_8equal_toIvEEiEE10hipError_tPvRmT2_T3_T4_T5_mT6_T7_P12ihipStream_tbENKUlT_T0_E_clISt17integral_constantIbLb1EESW_EEDaSR_SS_EUlSR_E_NS1_11comp_targetILNS1_3genE8ELNS1_11target_archE1030ELNS1_3gpuE2ELNS1_3repE0EEENS1_30default_config_static_selectorELNS0_4arch9wavefront6targetE0EEEvT1_.private_seg_size, 0
	.set _ZN7rocprim17ROCPRIM_400000_NS6detail17trampoline_kernelINS0_14default_configENS1_27scan_by_key_config_selectorIiiEEZZNS1_16scan_by_key_implILNS1_25lookback_scan_determinismE0ELb0ES3_N6thrust23THRUST_200600_302600_NS10device_ptrIiEESB_SB_iNS9_4plusIvEENS9_8equal_toIvEEiEE10hipError_tPvRmT2_T3_T4_T5_mT6_T7_P12ihipStream_tbENKUlT_T0_E_clISt17integral_constantIbLb1EESW_EEDaSR_SS_EUlSR_E_NS1_11comp_targetILNS1_3genE8ELNS1_11target_archE1030ELNS1_3gpuE2ELNS1_3repE0EEENS1_30default_config_static_selectorELNS0_4arch9wavefront6targetE0EEEvT1_.uses_vcc, 0
	.set _ZN7rocprim17ROCPRIM_400000_NS6detail17trampoline_kernelINS0_14default_configENS1_27scan_by_key_config_selectorIiiEEZZNS1_16scan_by_key_implILNS1_25lookback_scan_determinismE0ELb0ES3_N6thrust23THRUST_200600_302600_NS10device_ptrIiEESB_SB_iNS9_4plusIvEENS9_8equal_toIvEEiEE10hipError_tPvRmT2_T3_T4_T5_mT6_T7_P12ihipStream_tbENKUlT_T0_E_clISt17integral_constantIbLb1EESW_EEDaSR_SS_EUlSR_E_NS1_11comp_targetILNS1_3genE8ELNS1_11target_archE1030ELNS1_3gpuE2ELNS1_3repE0EEENS1_30default_config_static_selectorELNS0_4arch9wavefront6targetE0EEEvT1_.uses_flat_scratch, 0
	.set _ZN7rocprim17ROCPRIM_400000_NS6detail17trampoline_kernelINS0_14default_configENS1_27scan_by_key_config_selectorIiiEEZZNS1_16scan_by_key_implILNS1_25lookback_scan_determinismE0ELb0ES3_N6thrust23THRUST_200600_302600_NS10device_ptrIiEESB_SB_iNS9_4plusIvEENS9_8equal_toIvEEiEE10hipError_tPvRmT2_T3_T4_T5_mT6_T7_P12ihipStream_tbENKUlT_T0_E_clISt17integral_constantIbLb1EESW_EEDaSR_SS_EUlSR_E_NS1_11comp_targetILNS1_3genE8ELNS1_11target_archE1030ELNS1_3gpuE2ELNS1_3repE0EEENS1_30default_config_static_selectorELNS0_4arch9wavefront6targetE0EEEvT1_.has_dyn_sized_stack, 0
	.set _ZN7rocprim17ROCPRIM_400000_NS6detail17trampoline_kernelINS0_14default_configENS1_27scan_by_key_config_selectorIiiEEZZNS1_16scan_by_key_implILNS1_25lookback_scan_determinismE0ELb0ES3_N6thrust23THRUST_200600_302600_NS10device_ptrIiEESB_SB_iNS9_4plusIvEENS9_8equal_toIvEEiEE10hipError_tPvRmT2_T3_T4_T5_mT6_T7_P12ihipStream_tbENKUlT_T0_E_clISt17integral_constantIbLb1EESW_EEDaSR_SS_EUlSR_E_NS1_11comp_targetILNS1_3genE8ELNS1_11target_archE1030ELNS1_3gpuE2ELNS1_3repE0EEENS1_30default_config_static_selectorELNS0_4arch9wavefront6targetE0EEEvT1_.has_recursion, 0
	.set _ZN7rocprim17ROCPRIM_400000_NS6detail17trampoline_kernelINS0_14default_configENS1_27scan_by_key_config_selectorIiiEEZZNS1_16scan_by_key_implILNS1_25lookback_scan_determinismE0ELb0ES3_N6thrust23THRUST_200600_302600_NS10device_ptrIiEESB_SB_iNS9_4plusIvEENS9_8equal_toIvEEiEE10hipError_tPvRmT2_T3_T4_T5_mT6_T7_P12ihipStream_tbENKUlT_T0_E_clISt17integral_constantIbLb1EESW_EEDaSR_SS_EUlSR_E_NS1_11comp_targetILNS1_3genE8ELNS1_11target_archE1030ELNS1_3gpuE2ELNS1_3repE0EEENS1_30default_config_static_selectorELNS0_4arch9wavefront6targetE0EEEvT1_.has_indirect_call, 0
	.section	.AMDGPU.csdata,"",@progbits
; Kernel info:
; codeLenInByte = 0
; TotalNumSgprs: 0
; NumVgprs: 0
; ScratchSize: 0
; MemoryBound: 0
; FloatMode: 240
; IeeeMode: 1
; LDSByteSize: 0 bytes/workgroup (compile time only)
; SGPRBlocks: 0
; VGPRBlocks: 0
; NumSGPRsForWavesPerEU: 1
; NumVGPRsForWavesPerEU: 1
; NamedBarCnt: 0
; Occupancy: 16
; WaveLimiterHint : 0
; COMPUTE_PGM_RSRC2:SCRATCH_EN: 0
; COMPUTE_PGM_RSRC2:USER_SGPR: 2
; COMPUTE_PGM_RSRC2:TRAP_HANDLER: 0
; COMPUTE_PGM_RSRC2:TGID_X_EN: 1
; COMPUTE_PGM_RSRC2:TGID_Y_EN: 0
; COMPUTE_PGM_RSRC2:TGID_Z_EN: 0
; COMPUTE_PGM_RSRC2:TIDIG_COMP_CNT: 0
	.section	.text._ZN7rocprim17ROCPRIM_400000_NS6detail30init_device_scan_by_key_kernelINS1_19lookback_scan_stateINS0_5tupleIJibEEELb1ELb1EEEN6thrust23THRUST_200600_302600_NS10device_ptrIiEEjNS1_16block_id_wrapperIjLb0EEEEEvT_jjPNSD_10value_typeET0_PNSt15iterator_traitsISG_E10value_typeEmT1_T2_,"axG",@progbits,_ZN7rocprim17ROCPRIM_400000_NS6detail30init_device_scan_by_key_kernelINS1_19lookback_scan_stateINS0_5tupleIJibEEELb1ELb1EEEN6thrust23THRUST_200600_302600_NS10device_ptrIiEEjNS1_16block_id_wrapperIjLb0EEEEEvT_jjPNSD_10value_typeET0_PNSt15iterator_traitsISG_E10value_typeEmT1_T2_,comdat
	.protected	_ZN7rocprim17ROCPRIM_400000_NS6detail30init_device_scan_by_key_kernelINS1_19lookback_scan_stateINS0_5tupleIJibEEELb1ELb1EEEN6thrust23THRUST_200600_302600_NS10device_ptrIiEEjNS1_16block_id_wrapperIjLb0EEEEEvT_jjPNSD_10value_typeET0_PNSt15iterator_traitsISG_E10value_typeEmT1_T2_ ; -- Begin function _ZN7rocprim17ROCPRIM_400000_NS6detail30init_device_scan_by_key_kernelINS1_19lookback_scan_stateINS0_5tupleIJibEEELb1ELb1EEEN6thrust23THRUST_200600_302600_NS10device_ptrIiEEjNS1_16block_id_wrapperIjLb0EEEEEvT_jjPNSD_10value_typeET0_PNSt15iterator_traitsISG_E10value_typeEmT1_T2_
	.globl	_ZN7rocprim17ROCPRIM_400000_NS6detail30init_device_scan_by_key_kernelINS1_19lookback_scan_stateINS0_5tupleIJibEEELb1ELb1EEEN6thrust23THRUST_200600_302600_NS10device_ptrIiEEjNS1_16block_id_wrapperIjLb0EEEEEvT_jjPNSD_10value_typeET0_PNSt15iterator_traitsISG_E10value_typeEmT1_T2_
	.p2align	8
	.type	_ZN7rocprim17ROCPRIM_400000_NS6detail30init_device_scan_by_key_kernelINS1_19lookback_scan_stateINS0_5tupleIJibEEELb1ELb1EEEN6thrust23THRUST_200600_302600_NS10device_ptrIiEEjNS1_16block_id_wrapperIjLb0EEEEEvT_jjPNSD_10value_typeET0_PNSt15iterator_traitsISG_E10value_typeEmT1_T2_,@function
_ZN7rocprim17ROCPRIM_400000_NS6detail30init_device_scan_by_key_kernelINS1_19lookback_scan_stateINS0_5tupleIJibEEELb1ELb1EEEN6thrust23THRUST_200600_302600_NS10device_ptrIiEEjNS1_16block_id_wrapperIjLb0EEEEEvT_jjPNSD_10value_typeET0_PNSt15iterator_traitsISG_E10value_typeEmT1_T2_: ; @_ZN7rocprim17ROCPRIM_400000_NS6detail30init_device_scan_by_key_kernelINS1_19lookback_scan_stateINS0_5tupleIJibEEELb1ELb1EEEN6thrust23THRUST_200600_302600_NS10device_ptrIiEEjNS1_16block_id_wrapperIjLb0EEEEEvT_jjPNSD_10value_typeET0_PNSt15iterator_traitsISG_E10value_typeEmT1_T2_
; %bb.0:
	s_clause 0x2
	s_load_b32 s2, s[0:1], 0x44
	s_load_b32 s14, s[0:1], 0x38
	s_load_b256 s[4:11], s[0:1], 0x0
	s_bfe_u32 s3, ttmp6, 0x4000c
	s_and_b32 s12, ttmp6, 15
	s_add_co_i32 s3, s3, 1
	s_getreg_b32 s13, hwreg(HW_REG_IB_STS2, 6, 4)
	s_mul_i32 s3, ttmp9, s3
	s_delay_alu instid0(SALU_CYCLE_1)
	s_add_co_i32 s12, s12, s3
	s_wait_kmcnt 0x0
	s_and_b32 s15, s2, 0xffff
	s_cmp_eq_u32 s13, 0
	s_cselect_b32 s2, ttmp9, s12
	s_cmp_eq_u64 s[8:9], 0
	v_mad_u32 v4, s2, s15, v0
	s_cbranch_scc1 .LBB2213_10
; %bb.1:
	s_cmp_lt_u32 s7, s6
	s_mov_b32 s16, exec_lo
	s_cselect_b32 s2, s7, 0
	s_delay_alu instid0(VALU_DEP_1) | instid1(SALU_CYCLE_1)
	v_cmpx_eq_u32_e64 s2, v4
	s_cbranch_execz .LBB2213_9
; %bb.2:
	s_add_co_i32 s2, s7, 32
	s_mov_b32 s3, 0
	v_mov_b32_e32 v7, 0
	s_lshl_b64 s[12:13], s[2:3], 4
	s_mov_b32 s2, exec_lo
	s_add_nc_u64 s[12:13], s[4:5], s[12:13]
	s_delay_alu instid0(SALU_CYCLE_1) | instskip(SKIP_2) | instid1(VALU_DEP_1)
	v_mov_b64_e32 v[0:1], s[12:13]
	;;#ASMSTART
	global_load_b128 v[0:3], v[0:1] off scope:SCOPE_DEV	
s_wait_loadcnt 0x0
	;;#ASMEND
	v_and_b32_e32 v6, 0xff, v2
	v_cmpx_eq_u64_e32 0, v[6:7]
	s_cbranch_execz .LBB2213_8
; %bb.3:
	v_mov_b64_e32 v[8:9], s[12:13]
	s_mov_b32 s7, 1
.LBB2213_4:                             ; =>This Loop Header: Depth=1
                                        ;     Child Loop BB2213_5 Depth 2
	s_delay_alu instid0(SALU_CYCLE_1)
	s_mov_b32 s12, s7
.LBB2213_5:                             ;   Parent Loop BB2213_4 Depth=1
                                        ; =>  This Inner Loop Header: Depth=2
	s_delay_alu instid0(SALU_CYCLE_1)
	s_add_co_i32 s12, s12, -1
	s_sleep 1
	s_cmp_eq_u32 s12, 0
	s_cbranch_scc0 .LBB2213_5
; %bb.6:                                ;   in Loop: Header=BB2213_4 Depth=1
	;;#ASMSTART
	global_load_b128 v[0:3], v[8:9] off scope:SCOPE_DEV	
s_wait_loadcnt 0x0
	;;#ASMEND
	v_and_b32_e32 v6, 0xff, v2
	s_cmp_lt_u32 s7, 32
	s_cselect_b32 s12, -1, 0
	s_delay_alu instid0(VALU_DEP_1) | instskip(SKIP_3) | instid1(SALU_CYCLE_1)
	v_cmp_ne_u64_e32 vcc_lo, 0, v[6:7]
	s_cmp_lg_u32 s12, 0
	s_add_co_ci_u32 s7, s7, 0
	s_or_b32 s3, vcc_lo, s3
	s_and_not1_b32 exec_lo, exec_lo, s3
	s_cbranch_execnz .LBB2213_4
; %bb.7:
	s_or_b32 exec_lo, exec_lo, s3
.LBB2213_8:
	s_delay_alu instid0(SALU_CYCLE_1)
	s_or_b32 exec_lo, exec_lo, s2
	v_mov_b32_e32 v2, 0
	s_clause 0x1
	global_store_b32 v2, v0, s[8:9]
	global_store_b8 v2, v1, s[8:9] offset:4
.LBB2213_9:
	s_wait_xcnt 0x0
	s_or_b32 exec_lo, exec_lo, s16
.LBB2213_10:
	s_delay_alu instid0(SALU_CYCLE_1) | instskip(NEXT) | instid1(VALU_DEP_1)
	s_mov_b32 s2, exec_lo
	v_cmpx_gt_u32_e64 s6, v4
	s_cbranch_execz .LBB2213_12
; %bb.11:
	v_dual_mov_b32 v0, 0 :: v_dual_add_nc_u32 v5, 32, v4
	s_delay_alu instid0(VALU_DEP_1)
	v_dual_mov_b32 v1, v0 :: v_dual_mov_b32 v2, v0
	v_mov_b32_e32 v3, v0
	global_store_b128 v5, v[0:3], s[4:5] scale_offset
.LBB2213_12:
	s_wait_xcnt 0x0
	s_or_b32 exec_lo, exec_lo, s2
	v_mov_b32_e32 v5, 0
	s_mov_b32 s2, exec_lo
	v_cmpx_gt_u32_e32 32, v4
	s_cbranch_execz .LBB2213_14
; %bb.13:
	s_delay_alu instid0(VALU_DEP_2)
	v_lshl_add_u64 v[6:7], v[4:5], 4, s[4:5]
	v_dual_mov_b32 v2, 0xff :: v_dual_mov_b32 v1, v5
	v_dual_mov_b32 v0, v5 :: v_dual_mov_b32 v3, v5
	global_store_b128 v[6:7], v[0:3], off
.LBB2213_14:
	s_wait_xcnt 0x0
	s_or_b32 exec_lo, exec_lo, s2
	s_load_b64 s[2:3], s[0:1], 0x28
	s_mov_b32 s4, exec_lo
	s_wait_kmcnt 0x0
	v_cmpx_gt_u64_e64 s[2:3], v[4:5]
	s_cbranch_execz .LBB2213_17
; %bb.15:
	s_clause 0x1
	s_load_b32 s4, s[0:1], 0x30
	s_load_b64 s[6:7], s[0:1], 0x20
	s_mov_b32 s5, 0
	s_wait_xcnt 0x0
	s_mul_i32 s0, s14, s15
	s_mov_b32 s9, s5
	s_mov_b32 s1, s5
	s_wait_kmcnt 0x0
	v_mul_u64_e32 v[0:1], s[4:5], v[4:5]
	s_add_co_i32 s8, s4, -1
	v_lshl_add_u64 v[2:3], v[4:5], 2, s[6:7]
	s_lshl_b64 s[8:9], s[8:9], 2
	s_delay_alu instid0(SALU_CYCLE_1) | instskip(SKIP_1) | instid1(SALU_CYCLE_1)
	s_add_nc_u64 s[8:9], s[10:11], s[8:9]
	s_mul_u64 s[10:11], s[4:5], s[0:1]
	s_lshl_b64 s[6:7], s[10:11], 2
	s_delay_alu instid0(VALU_DEP_2)
	v_lshl_add_u64 v[0:1], v[0:1], 2, s[8:9]
	s_lshl_b64 s[8:9], s[0:1], 2
.LBB2213_16:                            ; =>This Inner Loop Header: Depth=1
	global_load_b32 v6, v[0:1], off
	v_add_nc_u64_e32 v[4:5], s[0:1], v[4:5]
	s_wait_xcnt 0x0
	v_add_nc_u64_e32 v[0:1], s[6:7], v[0:1]
	s_delay_alu instid0(VALU_DEP_2)
	v_cmp_le_u64_e32 vcc_lo, s[2:3], v[4:5]
	s_or_b32 s5, vcc_lo, s5
	s_wait_loadcnt 0x0
	global_store_b32 v[2:3], v6, off
	s_wait_xcnt 0x0
	v_add_nc_u64_e32 v[2:3], s[8:9], v[2:3]
	s_and_not1_b32 exec_lo, exec_lo, s5
	s_cbranch_execnz .LBB2213_16
.LBB2213_17:
	s_endpgm
	.section	.rodata,"a",@progbits
	.p2align	6, 0x0
	.amdhsa_kernel _ZN7rocprim17ROCPRIM_400000_NS6detail30init_device_scan_by_key_kernelINS1_19lookback_scan_stateINS0_5tupleIJibEEELb1ELb1EEEN6thrust23THRUST_200600_302600_NS10device_ptrIiEEjNS1_16block_id_wrapperIjLb0EEEEEvT_jjPNSD_10value_typeET0_PNSt15iterator_traitsISG_E10value_typeEmT1_T2_
		.amdhsa_group_segment_fixed_size 0
		.amdhsa_private_segment_fixed_size 0
		.amdhsa_kernarg_size 312
		.amdhsa_user_sgpr_count 2
		.amdhsa_user_sgpr_dispatch_ptr 0
		.amdhsa_user_sgpr_queue_ptr 0
		.amdhsa_user_sgpr_kernarg_segment_ptr 1
		.amdhsa_user_sgpr_dispatch_id 0
		.amdhsa_user_sgpr_kernarg_preload_length 0
		.amdhsa_user_sgpr_kernarg_preload_offset 0
		.amdhsa_user_sgpr_private_segment_size 0
		.amdhsa_wavefront_size32 1
		.amdhsa_uses_dynamic_stack 0
		.amdhsa_enable_private_segment 0
		.amdhsa_system_sgpr_workgroup_id_x 1
		.amdhsa_system_sgpr_workgroup_id_y 0
		.amdhsa_system_sgpr_workgroup_id_z 0
		.amdhsa_system_sgpr_workgroup_info 0
		.amdhsa_system_vgpr_workitem_id 0
		.amdhsa_next_free_vgpr 10
		.amdhsa_next_free_sgpr 17
		.amdhsa_named_barrier_count 0
		.amdhsa_reserve_vcc 1
		.amdhsa_float_round_mode_32 0
		.amdhsa_float_round_mode_16_64 0
		.amdhsa_float_denorm_mode_32 3
		.amdhsa_float_denorm_mode_16_64 3
		.amdhsa_fp16_overflow 0
		.amdhsa_memory_ordered 1
		.amdhsa_forward_progress 1
		.amdhsa_inst_pref_size 5
		.amdhsa_round_robin_scheduling 0
		.amdhsa_exception_fp_ieee_invalid_op 0
		.amdhsa_exception_fp_denorm_src 0
		.amdhsa_exception_fp_ieee_div_zero 0
		.amdhsa_exception_fp_ieee_overflow 0
		.amdhsa_exception_fp_ieee_underflow 0
		.amdhsa_exception_fp_ieee_inexact 0
		.amdhsa_exception_int_div_zero 0
	.end_amdhsa_kernel
	.section	.text._ZN7rocprim17ROCPRIM_400000_NS6detail30init_device_scan_by_key_kernelINS1_19lookback_scan_stateINS0_5tupleIJibEEELb1ELb1EEEN6thrust23THRUST_200600_302600_NS10device_ptrIiEEjNS1_16block_id_wrapperIjLb0EEEEEvT_jjPNSD_10value_typeET0_PNSt15iterator_traitsISG_E10value_typeEmT1_T2_,"axG",@progbits,_ZN7rocprim17ROCPRIM_400000_NS6detail30init_device_scan_by_key_kernelINS1_19lookback_scan_stateINS0_5tupleIJibEEELb1ELb1EEEN6thrust23THRUST_200600_302600_NS10device_ptrIiEEjNS1_16block_id_wrapperIjLb0EEEEEvT_jjPNSD_10value_typeET0_PNSt15iterator_traitsISG_E10value_typeEmT1_T2_,comdat
.Lfunc_end2213:
	.size	_ZN7rocprim17ROCPRIM_400000_NS6detail30init_device_scan_by_key_kernelINS1_19lookback_scan_stateINS0_5tupleIJibEEELb1ELb1EEEN6thrust23THRUST_200600_302600_NS10device_ptrIiEEjNS1_16block_id_wrapperIjLb0EEEEEvT_jjPNSD_10value_typeET0_PNSt15iterator_traitsISG_E10value_typeEmT1_T2_, .Lfunc_end2213-_ZN7rocprim17ROCPRIM_400000_NS6detail30init_device_scan_by_key_kernelINS1_19lookback_scan_stateINS0_5tupleIJibEEELb1ELb1EEEN6thrust23THRUST_200600_302600_NS10device_ptrIiEEjNS1_16block_id_wrapperIjLb0EEEEEvT_jjPNSD_10value_typeET0_PNSt15iterator_traitsISG_E10value_typeEmT1_T2_
                                        ; -- End function
	.set _ZN7rocprim17ROCPRIM_400000_NS6detail30init_device_scan_by_key_kernelINS1_19lookback_scan_stateINS0_5tupleIJibEEELb1ELb1EEEN6thrust23THRUST_200600_302600_NS10device_ptrIiEEjNS1_16block_id_wrapperIjLb0EEEEEvT_jjPNSD_10value_typeET0_PNSt15iterator_traitsISG_E10value_typeEmT1_T2_.num_vgpr, 10
	.set _ZN7rocprim17ROCPRIM_400000_NS6detail30init_device_scan_by_key_kernelINS1_19lookback_scan_stateINS0_5tupleIJibEEELb1ELb1EEEN6thrust23THRUST_200600_302600_NS10device_ptrIiEEjNS1_16block_id_wrapperIjLb0EEEEEvT_jjPNSD_10value_typeET0_PNSt15iterator_traitsISG_E10value_typeEmT1_T2_.num_agpr, 0
	.set _ZN7rocprim17ROCPRIM_400000_NS6detail30init_device_scan_by_key_kernelINS1_19lookback_scan_stateINS0_5tupleIJibEEELb1ELb1EEEN6thrust23THRUST_200600_302600_NS10device_ptrIiEEjNS1_16block_id_wrapperIjLb0EEEEEvT_jjPNSD_10value_typeET0_PNSt15iterator_traitsISG_E10value_typeEmT1_T2_.numbered_sgpr, 17
	.set _ZN7rocprim17ROCPRIM_400000_NS6detail30init_device_scan_by_key_kernelINS1_19lookback_scan_stateINS0_5tupleIJibEEELb1ELb1EEEN6thrust23THRUST_200600_302600_NS10device_ptrIiEEjNS1_16block_id_wrapperIjLb0EEEEEvT_jjPNSD_10value_typeET0_PNSt15iterator_traitsISG_E10value_typeEmT1_T2_.num_named_barrier, 0
	.set _ZN7rocprim17ROCPRIM_400000_NS6detail30init_device_scan_by_key_kernelINS1_19lookback_scan_stateINS0_5tupleIJibEEELb1ELb1EEEN6thrust23THRUST_200600_302600_NS10device_ptrIiEEjNS1_16block_id_wrapperIjLb0EEEEEvT_jjPNSD_10value_typeET0_PNSt15iterator_traitsISG_E10value_typeEmT1_T2_.private_seg_size, 0
	.set _ZN7rocprim17ROCPRIM_400000_NS6detail30init_device_scan_by_key_kernelINS1_19lookback_scan_stateINS0_5tupleIJibEEELb1ELb1EEEN6thrust23THRUST_200600_302600_NS10device_ptrIiEEjNS1_16block_id_wrapperIjLb0EEEEEvT_jjPNSD_10value_typeET0_PNSt15iterator_traitsISG_E10value_typeEmT1_T2_.uses_vcc, 1
	.set _ZN7rocprim17ROCPRIM_400000_NS6detail30init_device_scan_by_key_kernelINS1_19lookback_scan_stateINS0_5tupleIJibEEELb1ELb1EEEN6thrust23THRUST_200600_302600_NS10device_ptrIiEEjNS1_16block_id_wrapperIjLb0EEEEEvT_jjPNSD_10value_typeET0_PNSt15iterator_traitsISG_E10value_typeEmT1_T2_.uses_flat_scratch, 0
	.set _ZN7rocprim17ROCPRIM_400000_NS6detail30init_device_scan_by_key_kernelINS1_19lookback_scan_stateINS0_5tupleIJibEEELb1ELb1EEEN6thrust23THRUST_200600_302600_NS10device_ptrIiEEjNS1_16block_id_wrapperIjLb0EEEEEvT_jjPNSD_10value_typeET0_PNSt15iterator_traitsISG_E10value_typeEmT1_T2_.has_dyn_sized_stack, 0
	.set _ZN7rocprim17ROCPRIM_400000_NS6detail30init_device_scan_by_key_kernelINS1_19lookback_scan_stateINS0_5tupleIJibEEELb1ELb1EEEN6thrust23THRUST_200600_302600_NS10device_ptrIiEEjNS1_16block_id_wrapperIjLb0EEEEEvT_jjPNSD_10value_typeET0_PNSt15iterator_traitsISG_E10value_typeEmT1_T2_.has_recursion, 0
	.set _ZN7rocprim17ROCPRIM_400000_NS6detail30init_device_scan_by_key_kernelINS1_19lookback_scan_stateINS0_5tupleIJibEEELb1ELb1EEEN6thrust23THRUST_200600_302600_NS10device_ptrIiEEjNS1_16block_id_wrapperIjLb0EEEEEvT_jjPNSD_10value_typeET0_PNSt15iterator_traitsISG_E10value_typeEmT1_T2_.has_indirect_call, 0
	.section	.AMDGPU.csdata,"",@progbits
; Kernel info:
; codeLenInByte = 632
; TotalNumSgprs: 19
; NumVgprs: 10
; ScratchSize: 0
; MemoryBound: 0
; FloatMode: 240
; IeeeMode: 1
; LDSByteSize: 0 bytes/workgroup (compile time only)
; SGPRBlocks: 0
; VGPRBlocks: 0
; NumSGPRsForWavesPerEU: 19
; NumVGPRsForWavesPerEU: 10
; NamedBarCnt: 0
; Occupancy: 16
; WaveLimiterHint : 0
; COMPUTE_PGM_RSRC2:SCRATCH_EN: 0
; COMPUTE_PGM_RSRC2:USER_SGPR: 2
; COMPUTE_PGM_RSRC2:TRAP_HANDLER: 0
; COMPUTE_PGM_RSRC2:TGID_X_EN: 1
; COMPUTE_PGM_RSRC2:TGID_Y_EN: 0
; COMPUTE_PGM_RSRC2:TGID_Z_EN: 0
; COMPUTE_PGM_RSRC2:TIDIG_COMP_CNT: 0
	.section	.text._ZN7rocprim17ROCPRIM_400000_NS6detail17trampoline_kernelINS0_14default_configENS1_27scan_by_key_config_selectorIiiEEZZNS1_16scan_by_key_implILNS1_25lookback_scan_determinismE0ELb0ES3_N6thrust23THRUST_200600_302600_NS10device_ptrIiEESB_SB_iNS9_4plusIvEENS9_8equal_toIvEEiEE10hipError_tPvRmT2_T3_T4_T5_mT6_T7_P12ihipStream_tbENKUlT_T0_E_clISt17integral_constantIbLb1EESV_IbLb0EEEEDaSR_SS_EUlSR_E_NS1_11comp_targetILNS1_3genE0ELNS1_11target_archE4294967295ELNS1_3gpuE0ELNS1_3repE0EEENS1_30default_config_static_selectorELNS0_4arch9wavefront6targetE0EEEvT1_,"axG",@progbits,_ZN7rocprim17ROCPRIM_400000_NS6detail17trampoline_kernelINS0_14default_configENS1_27scan_by_key_config_selectorIiiEEZZNS1_16scan_by_key_implILNS1_25lookback_scan_determinismE0ELb0ES3_N6thrust23THRUST_200600_302600_NS10device_ptrIiEESB_SB_iNS9_4plusIvEENS9_8equal_toIvEEiEE10hipError_tPvRmT2_T3_T4_T5_mT6_T7_P12ihipStream_tbENKUlT_T0_E_clISt17integral_constantIbLb1EESV_IbLb0EEEEDaSR_SS_EUlSR_E_NS1_11comp_targetILNS1_3genE0ELNS1_11target_archE4294967295ELNS1_3gpuE0ELNS1_3repE0EEENS1_30default_config_static_selectorELNS0_4arch9wavefront6targetE0EEEvT1_,comdat
	.protected	_ZN7rocprim17ROCPRIM_400000_NS6detail17trampoline_kernelINS0_14default_configENS1_27scan_by_key_config_selectorIiiEEZZNS1_16scan_by_key_implILNS1_25lookback_scan_determinismE0ELb0ES3_N6thrust23THRUST_200600_302600_NS10device_ptrIiEESB_SB_iNS9_4plusIvEENS9_8equal_toIvEEiEE10hipError_tPvRmT2_T3_T4_T5_mT6_T7_P12ihipStream_tbENKUlT_T0_E_clISt17integral_constantIbLb1EESV_IbLb0EEEEDaSR_SS_EUlSR_E_NS1_11comp_targetILNS1_3genE0ELNS1_11target_archE4294967295ELNS1_3gpuE0ELNS1_3repE0EEENS1_30default_config_static_selectorELNS0_4arch9wavefront6targetE0EEEvT1_ ; -- Begin function _ZN7rocprim17ROCPRIM_400000_NS6detail17trampoline_kernelINS0_14default_configENS1_27scan_by_key_config_selectorIiiEEZZNS1_16scan_by_key_implILNS1_25lookback_scan_determinismE0ELb0ES3_N6thrust23THRUST_200600_302600_NS10device_ptrIiEESB_SB_iNS9_4plusIvEENS9_8equal_toIvEEiEE10hipError_tPvRmT2_T3_T4_T5_mT6_T7_P12ihipStream_tbENKUlT_T0_E_clISt17integral_constantIbLb1EESV_IbLb0EEEEDaSR_SS_EUlSR_E_NS1_11comp_targetILNS1_3genE0ELNS1_11target_archE4294967295ELNS1_3gpuE0ELNS1_3repE0EEENS1_30default_config_static_selectorELNS0_4arch9wavefront6targetE0EEEvT1_
	.globl	_ZN7rocprim17ROCPRIM_400000_NS6detail17trampoline_kernelINS0_14default_configENS1_27scan_by_key_config_selectorIiiEEZZNS1_16scan_by_key_implILNS1_25lookback_scan_determinismE0ELb0ES3_N6thrust23THRUST_200600_302600_NS10device_ptrIiEESB_SB_iNS9_4plusIvEENS9_8equal_toIvEEiEE10hipError_tPvRmT2_T3_T4_T5_mT6_T7_P12ihipStream_tbENKUlT_T0_E_clISt17integral_constantIbLb1EESV_IbLb0EEEEDaSR_SS_EUlSR_E_NS1_11comp_targetILNS1_3genE0ELNS1_11target_archE4294967295ELNS1_3gpuE0ELNS1_3repE0EEENS1_30default_config_static_selectorELNS0_4arch9wavefront6targetE0EEEvT1_
	.p2align	8
	.type	_ZN7rocprim17ROCPRIM_400000_NS6detail17trampoline_kernelINS0_14default_configENS1_27scan_by_key_config_selectorIiiEEZZNS1_16scan_by_key_implILNS1_25lookback_scan_determinismE0ELb0ES3_N6thrust23THRUST_200600_302600_NS10device_ptrIiEESB_SB_iNS9_4plusIvEENS9_8equal_toIvEEiEE10hipError_tPvRmT2_T3_T4_T5_mT6_T7_P12ihipStream_tbENKUlT_T0_E_clISt17integral_constantIbLb1EESV_IbLb0EEEEDaSR_SS_EUlSR_E_NS1_11comp_targetILNS1_3genE0ELNS1_11target_archE4294967295ELNS1_3gpuE0ELNS1_3repE0EEENS1_30default_config_static_selectorELNS0_4arch9wavefront6targetE0EEEvT1_,@function
_ZN7rocprim17ROCPRIM_400000_NS6detail17trampoline_kernelINS0_14default_configENS1_27scan_by_key_config_selectorIiiEEZZNS1_16scan_by_key_implILNS1_25lookback_scan_determinismE0ELb0ES3_N6thrust23THRUST_200600_302600_NS10device_ptrIiEESB_SB_iNS9_4plusIvEENS9_8equal_toIvEEiEE10hipError_tPvRmT2_T3_T4_T5_mT6_T7_P12ihipStream_tbENKUlT_T0_E_clISt17integral_constantIbLb1EESV_IbLb0EEEEDaSR_SS_EUlSR_E_NS1_11comp_targetILNS1_3genE0ELNS1_11target_archE4294967295ELNS1_3gpuE0ELNS1_3repE0EEENS1_30default_config_static_selectorELNS0_4arch9wavefront6targetE0EEEvT1_: ; @_ZN7rocprim17ROCPRIM_400000_NS6detail17trampoline_kernelINS0_14default_configENS1_27scan_by_key_config_selectorIiiEEZZNS1_16scan_by_key_implILNS1_25lookback_scan_determinismE0ELb0ES3_N6thrust23THRUST_200600_302600_NS10device_ptrIiEESB_SB_iNS9_4plusIvEENS9_8equal_toIvEEiEE10hipError_tPvRmT2_T3_T4_T5_mT6_T7_P12ihipStream_tbENKUlT_T0_E_clISt17integral_constantIbLb1EESV_IbLb0EEEEDaSR_SS_EUlSR_E_NS1_11comp_targetILNS1_3genE0ELNS1_11target_archE4294967295ELNS1_3gpuE0ELNS1_3repE0EEENS1_30default_config_static_selectorELNS0_4arch9wavefront6targetE0EEEvT1_
; %bb.0:
	s_endpgm
	.section	.rodata,"a",@progbits
	.p2align	6, 0x0
	.amdhsa_kernel _ZN7rocprim17ROCPRIM_400000_NS6detail17trampoline_kernelINS0_14default_configENS1_27scan_by_key_config_selectorIiiEEZZNS1_16scan_by_key_implILNS1_25lookback_scan_determinismE0ELb0ES3_N6thrust23THRUST_200600_302600_NS10device_ptrIiEESB_SB_iNS9_4plusIvEENS9_8equal_toIvEEiEE10hipError_tPvRmT2_T3_T4_T5_mT6_T7_P12ihipStream_tbENKUlT_T0_E_clISt17integral_constantIbLb1EESV_IbLb0EEEEDaSR_SS_EUlSR_E_NS1_11comp_targetILNS1_3genE0ELNS1_11target_archE4294967295ELNS1_3gpuE0ELNS1_3repE0EEENS1_30default_config_static_selectorELNS0_4arch9wavefront6targetE0EEEvT1_
		.amdhsa_group_segment_fixed_size 0
		.amdhsa_private_segment_fixed_size 0
		.amdhsa_kernarg_size 112
		.amdhsa_user_sgpr_count 2
		.amdhsa_user_sgpr_dispatch_ptr 0
		.amdhsa_user_sgpr_queue_ptr 0
		.amdhsa_user_sgpr_kernarg_segment_ptr 1
		.amdhsa_user_sgpr_dispatch_id 0
		.amdhsa_user_sgpr_kernarg_preload_length 0
		.amdhsa_user_sgpr_kernarg_preload_offset 0
		.amdhsa_user_sgpr_private_segment_size 0
		.amdhsa_wavefront_size32 1
		.amdhsa_uses_dynamic_stack 0
		.amdhsa_enable_private_segment 0
		.amdhsa_system_sgpr_workgroup_id_x 1
		.amdhsa_system_sgpr_workgroup_id_y 0
		.amdhsa_system_sgpr_workgroup_id_z 0
		.amdhsa_system_sgpr_workgroup_info 0
		.amdhsa_system_vgpr_workitem_id 0
		.amdhsa_next_free_vgpr 1
		.amdhsa_next_free_sgpr 1
		.amdhsa_named_barrier_count 0
		.amdhsa_reserve_vcc 0
		.amdhsa_float_round_mode_32 0
		.amdhsa_float_round_mode_16_64 0
		.amdhsa_float_denorm_mode_32 3
		.amdhsa_float_denorm_mode_16_64 3
		.amdhsa_fp16_overflow 0
		.amdhsa_memory_ordered 1
		.amdhsa_forward_progress 1
		.amdhsa_inst_pref_size 1
		.amdhsa_round_robin_scheduling 0
		.amdhsa_exception_fp_ieee_invalid_op 0
		.amdhsa_exception_fp_denorm_src 0
		.amdhsa_exception_fp_ieee_div_zero 0
		.amdhsa_exception_fp_ieee_overflow 0
		.amdhsa_exception_fp_ieee_underflow 0
		.amdhsa_exception_fp_ieee_inexact 0
		.amdhsa_exception_int_div_zero 0
	.end_amdhsa_kernel
	.section	.text._ZN7rocprim17ROCPRIM_400000_NS6detail17trampoline_kernelINS0_14default_configENS1_27scan_by_key_config_selectorIiiEEZZNS1_16scan_by_key_implILNS1_25lookback_scan_determinismE0ELb0ES3_N6thrust23THRUST_200600_302600_NS10device_ptrIiEESB_SB_iNS9_4plusIvEENS9_8equal_toIvEEiEE10hipError_tPvRmT2_T3_T4_T5_mT6_T7_P12ihipStream_tbENKUlT_T0_E_clISt17integral_constantIbLb1EESV_IbLb0EEEEDaSR_SS_EUlSR_E_NS1_11comp_targetILNS1_3genE0ELNS1_11target_archE4294967295ELNS1_3gpuE0ELNS1_3repE0EEENS1_30default_config_static_selectorELNS0_4arch9wavefront6targetE0EEEvT1_,"axG",@progbits,_ZN7rocprim17ROCPRIM_400000_NS6detail17trampoline_kernelINS0_14default_configENS1_27scan_by_key_config_selectorIiiEEZZNS1_16scan_by_key_implILNS1_25lookback_scan_determinismE0ELb0ES3_N6thrust23THRUST_200600_302600_NS10device_ptrIiEESB_SB_iNS9_4plusIvEENS9_8equal_toIvEEiEE10hipError_tPvRmT2_T3_T4_T5_mT6_T7_P12ihipStream_tbENKUlT_T0_E_clISt17integral_constantIbLb1EESV_IbLb0EEEEDaSR_SS_EUlSR_E_NS1_11comp_targetILNS1_3genE0ELNS1_11target_archE4294967295ELNS1_3gpuE0ELNS1_3repE0EEENS1_30default_config_static_selectorELNS0_4arch9wavefront6targetE0EEEvT1_,comdat
.Lfunc_end2214:
	.size	_ZN7rocprim17ROCPRIM_400000_NS6detail17trampoline_kernelINS0_14default_configENS1_27scan_by_key_config_selectorIiiEEZZNS1_16scan_by_key_implILNS1_25lookback_scan_determinismE0ELb0ES3_N6thrust23THRUST_200600_302600_NS10device_ptrIiEESB_SB_iNS9_4plusIvEENS9_8equal_toIvEEiEE10hipError_tPvRmT2_T3_T4_T5_mT6_T7_P12ihipStream_tbENKUlT_T0_E_clISt17integral_constantIbLb1EESV_IbLb0EEEEDaSR_SS_EUlSR_E_NS1_11comp_targetILNS1_3genE0ELNS1_11target_archE4294967295ELNS1_3gpuE0ELNS1_3repE0EEENS1_30default_config_static_selectorELNS0_4arch9wavefront6targetE0EEEvT1_, .Lfunc_end2214-_ZN7rocprim17ROCPRIM_400000_NS6detail17trampoline_kernelINS0_14default_configENS1_27scan_by_key_config_selectorIiiEEZZNS1_16scan_by_key_implILNS1_25lookback_scan_determinismE0ELb0ES3_N6thrust23THRUST_200600_302600_NS10device_ptrIiEESB_SB_iNS9_4plusIvEENS9_8equal_toIvEEiEE10hipError_tPvRmT2_T3_T4_T5_mT6_T7_P12ihipStream_tbENKUlT_T0_E_clISt17integral_constantIbLb1EESV_IbLb0EEEEDaSR_SS_EUlSR_E_NS1_11comp_targetILNS1_3genE0ELNS1_11target_archE4294967295ELNS1_3gpuE0ELNS1_3repE0EEENS1_30default_config_static_selectorELNS0_4arch9wavefront6targetE0EEEvT1_
                                        ; -- End function
	.set _ZN7rocprim17ROCPRIM_400000_NS6detail17trampoline_kernelINS0_14default_configENS1_27scan_by_key_config_selectorIiiEEZZNS1_16scan_by_key_implILNS1_25lookback_scan_determinismE0ELb0ES3_N6thrust23THRUST_200600_302600_NS10device_ptrIiEESB_SB_iNS9_4plusIvEENS9_8equal_toIvEEiEE10hipError_tPvRmT2_T3_T4_T5_mT6_T7_P12ihipStream_tbENKUlT_T0_E_clISt17integral_constantIbLb1EESV_IbLb0EEEEDaSR_SS_EUlSR_E_NS1_11comp_targetILNS1_3genE0ELNS1_11target_archE4294967295ELNS1_3gpuE0ELNS1_3repE0EEENS1_30default_config_static_selectorELNS0_4arch9wavefront6targetE0EEEvT1_.num_vgpr, 0
	.set _ZN7rocprim17ROCPRIM_400000_NS6detail17trampoline_kernelINS0_14default_configENS1_27scan_by_key_config_selectorIiiEEZZNS1_16scan_by_key_implILNS1_25lookback_scan_determinismE0ELb0ES3_N6thrust23THRUST_200600_302600_NS10device_ptrIiEESB_SB_iNS9_4plusIvEENS9_8equal_toIvEEiEE10hipError_tPvRmT2_T3_T4_T5_mT6_T7_P12ihipStream_tbENKUlT_T0_E_clISt17integral_constantIbLb1EESV_IbLb0EEEEDaSR_SS_EUlSR_E_NS1_11comp_targetILNS1_3genE0ELNS1_11target_archE4294967295ELNS1_3gpuE0ELNS1_3repE0EEENS1_30default_config_static_selectorELNS0_4arch9wavefront6targetE0EEEvT1_.num_agpr, 0
	.set _ZN7rocprim17ROCPRIM_400000_NS6detail17trampoline_kernelINS0_14default_configENS1_27scan_by_key_config_selectorIiiEEZZNS1_16scan_by_key_implILNS1_25lookback_scan_determinismE0ELb0ES3_N6thrust23THRUST_200600_302600_NS10device_ptrIiEESB_SB_iNS9_4plusIvEENS9_8equal_toIvEEiEE10hipError_tPvRmT2_T3_T4_T5_mT6_T7_P12ihipStream_tbENKUlT_T0_E_clISt17integral_constantIbLb1EESV_IbLb0EEEEDaSR_SS_EUlSR_E_NS1_11comp_targetILNS1_3genE0ELNS1_11target_archE4294967295ELNS1_3gpuE0ELNS1_3repE0EEENS1_30default_config_static_selectorELNS0_4arch9wavefront6targetE0EEEvT1_.numbered_sgpr, 0
	.set _ZN7rocprim17ROCPRIM_400000_NS6detail17trampoline_kernelINS0_14default_configENS1_27scan_by_key_config_selectorIiiEEZZNS1_16scan_by_key_implILNS1_25lookback_scan_determinismE0ELb0ES3_N6thrust23THRUST_200600_302600_NS10device_ptrIiEESB_SB_iNS9_4plusIvEENS9_8equal_toIvEEiEE10hipError_tPvRmT2_T3_T4_T5_mT6_T7_P12ihipStream_tbENKUlT_T0_E_clISt17integral_constantIbLb1EESV_IbLb0EEEEDaSR_SS_EUlSR_E_NS1_11comp_targetILNS1_3genE0ELNS1_11target_archE4294967295ELNS1_3gpuE0ELNS1_3repE0EEENS1_30default_config_static_selectorELNS0_4arch9wavefront6targetE0EEEvT1_.num_named_barrier, 0
	.set _ZN7rocprim17ROCPRIM_400000_NS6detail17trampoline_kernelINS0_14default_configENS1_27scan_by_key_config_selectorIiiEEZZNS1_16scan_by_key_implILNS1_25lookback_scan_determinismE0ELb0ES3_N6thrust23THRUST_200600_302600_NS10device_ptrIiEESB_SB_iNS9_4plusIvEENS9_8equal_toIvEEiEE10hipError_tPvRmT2_T3_T4_T5_mT6_T7_P12ihipStream_tbENKUlT_T0_E_clISt17integral_constantIbLb1EESV_IbLb0EEEEDaSR_SS_EUlSR_E_NS1_11comp_targetILNS1_3genE0ELNS1_11target_archE4294967295ELNS1_3gpuE0ELNS1_3repE0EEENS1_30default_config_static_selectorELNS0_4arch9wavefront6targetE0EEEvT1_.private_seg_size, 0
	.set _ZN7rocprim17ROCPRIM_400000_NS6detail17trampoline_kernelINS0_14default_configENS1_27scan_by_key_config_selectorIiiEEZZNS1_16scan_by_key_implILNS1_25lookback_scan_determinismE0ELb0ES3_N6thrust23THRUST_200600_302600_NS10device_ptrIiEESB_SB_iNS9_4plusIvEENS9_8equal_toIvEEiEE10hipError_tPvRmT2_T3_T4_T5_mT6_T7_P12ihipStream_tbENKUlT_T0_E_clISt17integral_constantIbLb1EESV_IbLb0EEEEDaSR_SS_EUlSR_E_NS1_11comp_targetILNS1_3genE0ELNS1_11target_archE4294967295ELNS1_3gpuE0ELNS1_3repE0EEENS1_30default_config_static_selectorELNS0_4arch9wavefront6targetE0EEEvT1_.uses_vcc, 0
	.set _ZN7rocprim17ROCPRIM_400000_NS6detail17trampoline_kernelINS0_14default_configENS1_27scan_by_key_config_selectorIiiEEZZNS1_16scan_by_key_implILNS1_25lookback_scan_determinismE0ELb0ES3_N6thrust23THRUST_200600_302600_NS10device_ptrIiEESB_SB_iNS9_4plusIvEENS9_8equal_toIvEEiEE10hipError_tPvRmT2_T3_T4_T5_mT6_T7_P12ihipStream_tbENKUlT_T0_E_clISt17integral_constantIbLb1EESV_IbLb0EEEEDaSR_SS_EUlSR_E_NS1_11comp_targetILNS1_3genE0ELNS1_11target_archE4294967295ELNS1_3gpuE0ELNS1_3repE0EEENS1_30default_config_static_selectorELNS0_4arch9wavefront6targetE0EEEvT1_.uses_flat_scratch, 0
	.set _ZN7rocprim17ROCPRIM_400000_NS6detail17trampoline_kernelINS0_14default_configENS1_27scan_by_key_config_selectorIiiEEZZNS1_16scan_by_key_implILNS1_25lookback_scan_determinismE0ELb0ES3_N6thrust23THRUST_200600_302600_NS10device_ptrIiEESB_SB_iNS9_4plusIvEENS9_8equal_toIvEEiEE10hipError_tPvRmT2_T3_T4_T5_mT6_T7_P12ihipStream_tbENKUlT_T0_E_clISt17integral_constantIbLb1EESV_IbLb0EEEEDaSR_SS_EUlSR_E_NS1_11comp_targetILNS1_3genE0ELNS1_11target_archE4294967295ELNS1_3gpuE0ELNS1_3repE0EEENS1_30default_config_static_selectorELNS0_4arch9wavefront6targetE0EEEvT1_.has_dyn_sized_stack, 0
	.set _ZN7rocprim17ROCPRIM_400000_NS6detail17trampoline_kernelINS0_14default_configENS1_27scan_by_key_config_selectorIiiEEZZNS1_16scan_by_key_implILNS1_25lookback_scan_determinismE0ELb0ES3_N6thrust23THRUST_200600_302600_NS10device_ptrIiEESB_SB_iNS9_4plusIvEENS9_8equal_toIvEEiEE10hipError_tPvRmT2_T3_T4_T5_mT6_T7_P12ihipStream_tbENKUlT_T0_E_clISt17integral_constantIbLb1EESV_IbLb0EEEEDaSR_SS_EUlSR_E_NS1_11comp_targetILNS1_3genE0ELNS1_11target_archE4294967295ELNS1_3gpuE0ELNS1_3repE0EEENS1_30default_config_static_selectorELNS0_4arch9wavefront6targetE0EEEvT1_.has_recursion, 0
	.set _ZN7rocprim17ROCPRIM_400000_NS6detail17trampoline_kernelINS0_14default_configENS1_27scan_by_key_config_selectorIiiEEZZNS1_16scan_by_key_implILNS1_25lookback_scan_determinismE0ELb0ES3_N6thrust23THRUST_200600_302600_NS10device_ptrIiEESB_SB_iNS9_4plusIvEENS9_8equal_toIvEEiEE10hipError_tPvRmT2_T3_T4_T5_mT6_T7_P12ihipStream_tbENKUlT_T0_E_clISt17integral_constantIbLb1EESV_IbLb0EEEEDaSR_SS_EUlSR_E_NS1_11comp_targetILNS1_3genE0ELNS1_11target_archE4294967295ELNS1_3gpuE0ELNS1_3repE0EEENS1_30default_config_static_selectorELNS0_4arch9wavefront6targetE0EEEvT1_.has_indirect_call, 0
	.section	.AMDGPU.csdata,"",@progbits
; Kernel info:
; codeLenInByte = 4
; TotalNumSgprs: 0
; NumVgprs: 0
; ScratchSize: 0
; MemoryBound: 0
; FloatMode: 240
; IeeeMode: 1
; LDSByteSize: 0 bytes/workgroup (compile time only)
; SGPRBlocks: 0
; VGPRBlocks: 0
; NumSGPRsForWavesPerEU: 1
; NumVGPRsForWavesPerEU: 1
; NamedBarCnt: 0
; Occupancy: 16
; WaveLimiterHint : 0
; COMPUTE_PGM_RSRC2:SCRATCH_EN: 0
; COMPUTE_PGM_RSRC2:USER_SGPR: 2
; COMPUTE_PGM_RSRC2:TRAP_HANDLER: 0
; COMPUTE_PGM_RSRC2:TGID_X_EN: 1
; COMPUTE_PGM_RSRC2:TGID_Y_EN: 0
; COMPUTE_PGM_RSRC2:TGID_Z_EN: 0
; COMPUTE_PGM_RSRC2:TIDIG_COMP_CNT: 0
	.section	.text._ZN7rocprim17ROCPRIM_400000_NS6detail17trampoline_kernelINS0_14default_configENS1_27scan_by_key_config_selectorIiiEEZZNS1_16scan_by_key_implILNS1_25lookback_scan_determinismE0ELb0ES3_N6thrust23THRUST_200600_302600_NS10device_ptrIiEESB_SB_iNS9_4plusIvEENS9_8equal_toIvEEiEE10hipError_tPvRmT2_T3_T4_T5_mT6_T7_P12ihipStream_tbENKUlT_T0_E_clISt17integral_constantIbLb1EESV_IbLb0EEEEDaSR_SS_EUlSR_E_NS1_11comp_targetILNS1_3genE10ELNS1_11target_archE1201ELNS1_3gpuE5ELNS1_3repE0EEENS1_30default_config_static_selectorELNS0_4arch9wavefront6targetE0EEEvT1_,"axG",@progbits,_ZN7rocprim17ROCPRIM_400000_NS6detail17trampoline_kernelINS0_14default_configENS1_27scan_by_key_config_selectorIiiEEZZNS1_16scan_by_key_implILNS1_25lookback_scan_determinismE0ELb0ES3_N6thrust23THRUST_200600_302600_NS10device_ptrIiEESB_SB_iNS9_4plusIvEENS9_8equal_toIvEEiEE10hipError_tPvRmT2_T3_T4_T5_mT6_T7_P12ihipStream_tbENKUlT_T0_E_clISt17integral_constantIbLb1EESV_IbLb0EEEEDaSR_SS_EUlSR_E_NS1_11comp_targetILNS1_3genE10ELNS1_11target_archE1201ELNS1_3gpuE5ELNS1_3repE0EEENS1_30default_config_static_selectorELNS0_4arch9wavefront6targetE0EEEvT1_,comdat
	.protected	_ZN7rocprim17ROCPRIM_400000_NS6detail17trampoline_kernelINS0_14default_configENS1_27scan_by_key_config_selectorIiiEEZZNS1_16scan_by_key_implILNS1_25lookback_scan_determinismE0ELb0ES3_N6thrust23THRUST_200600_302600_NS10device_ptrIiEESB_SB_iNS9_4plusIvEENS9_8equal_toIvEEiEE10hipError_tPvRmT2_T3_T4_T5_mT6_T7_P12ihipStream_tbENKUlT_T0_E_clISt17integral_constantIbLb1EESV_IbLb0EEEEDaSR_SS_EUlSR_E_NS1_11comp_targetILNS1_3genE10ELNS1_11target_archE1201ELNS1_3gpuE5ELNS1_3repE0EEENS1_30default_config_static_selectorELNS0_4arch9wavefront6targetE0EEEvT1_ ; -- Begin function _ZN7rocprim17ROCPRIM_400000_NS6detail17trampoline_kernelINS0_14default_configENS1_27scan_by_key_config_selectorIiiEEZZNS1_16scan_by_key_implILNS1_25lookback_scan_determinismE0ELb0ES3_N6thrust23THRUST_200600_302600_NS10device_ptrIiEESB_SB_iNS9_4plusIvEENS9_8equal_toIvEEiEE10hipError_tPvRmT2_T3_T4_T5_mT6_T7_P12ihipStream_tbENKUlT_T0_E_clISt17integral_constantIbLb1EESV_IbLb0EEEEDaSR_SS_EUlSR_E_NS1_11comp_targetILNS1_3genE10ELNS1_11target_archE1201ELNS1_3gpuE5ELNS1_3repE0EEENS1_30default_config_static_selectorELNS0_4arch9wavefront6targetE0EEEvT1_
	.globl	_ZN7rocprim17ROCPRIM_400000_NS6detail17trampoline_kernelINS0_14default_configENS1_27scan_by_key_config_selectorIiiEEZZNS1_16scan_by_key_implILNS1_25lookback_scan_determinismE0ELb0ES3_N6thrust23THRUST_200600_302600_NS10device_ptrIiEESB_SB_iNS9_4plusIvEENS9_8equal_toIvEEiEE10hipError_tPvRmT2_T3_T4_T5_mT6_T7_P12ihipStream_tbENKUlT_T0_E_clISt17integral_constantIbLb1EESV_IbLb0EEEEDaSR_SS_EUlSR_E_NS1_11comp_targetILNS1_3genE10ELNS1_11target_archE1201ELNS1_3gpuE5ELNS1_3repE0EEENS1_30default_config_static_selectorELNS0_4arch9wavefront6targetE0EEEvT1_
	.p2align	8
	.type	_ZN7rocprim17ROCPRIM_400000_NS6detail17trampoline_kernelINS0_14default_configENS1_27scan_by_key_config_selectorIiiEEZZNS1_16scan_by_key_implILNS1_25lookback_scan_determinismE0ELb0ES3_N6thrust23THRUST_200600_302600_NS10device_ptrIiEESB_SB_iNS9_4plusIvEENS9_8equal_toIvEEiEE10hipError_tPvRmT2_T3_T4_T5_mT6_T7_P12ihipStream_tbENKUlT_T0_E_clISt17integral_constantIbLb1EESV_IbLb0EEEEDaSR_SS_EUlSR_E_NS1_11comp_targetILNS1_3genE10ELNS1_11target_archE1201ELNS1_3gpuE5ELNS1_3repE0EEENS1_30default_config_static_selectorELNS0_4arch9wavefront6targetE0EEEvT1_,@function
_ZN7rocprim17ROCPRIM_400000_NS6detail17trampoline_kernelINS0_14default_configENS1_27scan_by_key_config_selectorIiiEEZZNS1_16scan_by_key_implILNS1_25lookback_scan_determinismE0ELb0ES3_N6thrust23THRUST_200600_302600_NS10device_ptrIiEESB_SB_iNS9_4plusIvEENS9_8equal_toIvEEiEE10hipError_tPvRmT2_T3_T4_T5_mT6_T7_P12ihipStream_tbENKUlT_T0_E_clISt17integral_constantIbLb1EESV_IbLb0EEEEDaSR_SS_EUlSR_E_NS1_11comp_targetILNS1_3genE10ELNS1_11target_archE1201ELNS1_3gpuE5ELNS1_3repE0EEENS1_30default_config_static_selectorELNS0_4arch9wavefront6targetE0EEEvT1_: ; @_ZN7rocprim17ROCPRIM_400000_NS6detail17trampoline_kernelINS0_14default_configENS1_27scan_by_key_config_selectorIiiEEZZNS1_16scan_by_key_implILNS1_25lookback_scan_determinismE0ELb0ES3_N6thrust23THRUST_200600_302600_NS10device_ptrIiEESB_SB_iNS9_4plusIvEENS9_8equal_toIvEEiEE10hipError_tPvRmT2_T3_T4_T5_mT6_T7_P12ihipStream_tbENKUlT_T0_E_clISt17integral_constantIbLb1EESV_IbLb0EEEEDaSR_SS_EUlSR_E_NS1_11comp_targetILNS1_3genE10ELNS1_11target_archE1201ELNS1_3gpuE5ELNS1_3repE0EEENS1_30default_config_static_selectorELNS0_4arch9wavefront6targetE0EEEvT1_
; %bb.0:
	.section	.rodata,"a",@progbits
	.p2align	6, 0x0
	.amdhsa_kernel _ZN7rocprim17ROCPRIM_400000_NS6detail17trampoline_kernelINS0_14default_configENS1_27scan_by_key_config_selectorIiiEEZZNS1_16scan_by_key_implILNS1_25lookback_scan_determinismE0ELb0ES3_N6thrust23THRUST_200600_302600_NS10device_ptrIiEESB_SB_iNS9_4plusIvEENS9_8equal_toIvEEiEE10hipError_tPvRmT2_T3_T4_T5_mT6_T7_P12ihipStream_tbENKUlT_T0_E_clISt17integral_constantIbLb1EESV_IbLb0EEEEDaSR_SS_EUlSR_E_NS1_11comp_targetILNS1_3genE10ELNS1_11target_archE1201ELNS1_3gpuE5ELNS1_3repE0EEENS1_30default_config_static_selectorELNS0_4arch9wavefront6targetE0EEEvT1_
		.amdhsa_group_segment_fixed_size 0
		.amdhsa_private_segment_fixed_size 0
		.amdhsa_kernarg_size 112
		.amdhsa_user_sgpr_count 2
		.amdhsa_user_sgpr_dispatch_ptr 0
		.amdhsa_user_sgpr_queue_ptr 0
		.amdhsa_user_sgpr_kernarg_segment_ptr 1
		.amdhsa_user_sgpr_dispatch_id 0
		.amdhsa_user_sgpr_kernarg_preload_length 0
		.amdhsa_user_sgpr_kernarg_preload_offset 0
		.amdhsa_user_sgpr_private_segment_size 0
		.amdhsa_wavefront_size32 1
		.amdhsa_uses_dynamic_stack 0
		.amdhsa_enable_private_segment 0
		.amdhsa_system_sgpr_workgroup_id_x 1
		.amdhsa_system_sgpr_workgroup_id_y 0
		.amdhsa_system_sgpr_workgroup_id_z 0
		.amdhsa_system_sgpr_workgroup_info 0
		.amdhsa_system_vgpr_workitem_id 0
		.amdhsa_next_free_vgpr 1
		.amdhsa_next_free_sgpr 1
		.amdhsa_named_barrier_count 0
		.amdhsa_reserve_vcc 0
		.amdhsa_float_round_mode_32 0
		.amdhsa_float_round_mode_16_64 0
		.amdhsa_float_denorm_mode_32 3
		.amdhsa_float_denorm_mode_16_64 3
		.amdhsa_fp16_overflow 0
		.amdhsa_memory_ordered 1
		.amdhsa_forward_progress 1
		.amdhsa_inst_pref_size 0
		.amdhsa_round_robin_scheduling 0
		.amdhsa_exception_fp_ieee_invalid_op 0
		.amdhsa_exception_fp_denorm_src 0
		.amdhsa_exception_fp_ieee_div_zero 0
		.amdhsa_exception_fp_ieee_overflow 0
		.amdhsa_exception_fp_ieee_underflow 0
		.amdhsa_exception_fp_ieee_inexact 0
		.amdhsa_exception_int_div_zero 0
	.end_amdhsa_kernel
	.section	.text._ZN7rocprim17ROCPRIM_400000_NS6detail17trampoline_kernelINS0_14default_configENS1_27scan_by_key_config_selectorIiiEEZZNS1_16scan_by_key_implILNS1_25lookback_scan_determinismE0ELb0ES3_N6thrust23THRUST_200600_302600_NS10device_ptrIiEESB_SB_iNS9_4plusIvEENS9_8equal_toIvEEiEE10hipError_tPvRmT2_T3_T4_T5_mT6_T7_P12ihipStream_tbENKUlT_T0_E_clISt17integral_constantIbLb1EESV_IbLb0EEEEDaSR_SS_EUlSR_E_NS1_11comp_targetILNS1_3genE10ELNS1_11target_archE1201ELNS1_3gpuE5ELNS1_3repE0EEENS1_30default_config_static_selectorELNS0_4arch9wavefront6targetE0EEEvT1_,"axG",@progbits,_ZN7rocprim17ROCPRIM_400000_NS6detail17trampoline_kernelINS0_14default_configENS1_27scan_by_key_config_selectorIiiEEZZNS1_16scan_by_key_implILNS1_25lookback_scan_determinismE0ELb0ES3_N6thrust23THRUST_200600_302600_NS10device_ptrIiEESB_SB_iNS9_4plusIvEENS9_8equal_toIvEEiEE10hipError_tPvRmT2_T3_T4_T5_mT6_T7_P12ihipStream_tbENKUlT_T0_E_clISt17integral_constantIbLb1EESV_IbLb0EEEEDaSR_SS_EUlSR_E_NS1_11comp_targetILNS1_3genE10ELNS1_11target_archE1201ELNS1_3gpuE5ELNS1_3repE0EEENS1_30default_config_static_selectorELNS0_4arch9wavefront6targetE0EEEvT1_,comdat
.Lfunc_end2215:
	.size	_ZN7rocprim17ROCPRIM_400000_NS6detail17trampoline_kernelINS0_14default_configENS1_27scan_by_key_config_selectorIiiEEZZNS1_16scan_by_key_implILNS1_25lookback_scan_determinismE0ELb0ES3_N6thrust23THRUST_200600_302600_NS10device_ptrIiEESB_SB_iNS9_4plusIvEENS9_8equal_toIvEEiEE10hipError_tPvRmT2_T3_T4_T5_mT6_T7_P12ihipStream_tbENKUlT_T0_E_clISt17integral_constantIbLb1EESV_IbLb0EEEEDaSR_SS_EUlSR_E_NS1_11comp_targetILNS1_3genE10ELNS1_11target_archE1201ELNS1_3gpuE5ELNS1_3repE0EEENS1_30default_config_static_selectorELNS0_4arch9wavefront6targetE0EEEvT1_, .Lfunc_end2215-_ZN7rocprim17ROCPRIM_400000_NS6detail17trampoline_kernelINS0_14default_configENS1_27scan_by_key_config_selectorIiiEEZZNS1_16scan_by_key_implILNS1_25lookback_scan_determinismE0ELb0ES3_N6thrust23THRUST_200600_302600_NS10device_ptrIiEESB_SB_iNS9_4plusIvEENS9_8equal_toIvEEiEE10hipError_tPvRmT2_T3_T4_T5_mT6_T7_P12ihipStream_tbENKUlT_T0_E_clISt17integral_constantIbLb1EESV_IbLb0EEEEDaSR_SS_EUlSR_E_NS1_11comp_targetILNS1_3genE10ELNS1_11target_archE1201ELNS1_3gpuE5ELNS1_3repE0EEENS1_30default_config_static_selectorELNS0_4arch9wavefront6targetE0EEEvT1_
                                        ; -- End function
	.set _ZN7rocprim17ROCPRIM_400000_NS6detail17trampoline_kernelINS0_14default_configENS1_27scan_by_key_config_selectorIiiEEZZNS1_16scan_by_key_implILNS1_25lookback_scan_determinismE0ELb0ES3_N6thrust23THRUST_200600_302600_NS10device_ptrIiEESB_SB_iNS9_4plusIvEENS9_8equal_toIvEEiEE10hipError_tPvRmT2_T3_T4_T5_mT6_T7_P12ihipStream_tbENKUlT_T0_E_clISt17integral_constantIbLb1EESV_IbLb0EEEEDaSR_SS_EUlSR_E_NS1_11comp_targetILNS1_3genE10ELNS1_11target_archE1201ELNS1_3gpuE5ELNS1_3repE0EEENS1_30default_config_static_selectorELNS0_4arch9wavefront6targetE0EEEvT1_.num_vgpr, 0
	.set _ZN7rocprim17ROCPRIM_400000_NS6detail17trampoline_kernelINS0_14default_configENS1_27scan_by_key_config_selectorIiiEEZZNS1_16scan_by_key_implILNS1_25lookback_scan_determinismE0ELb0ES3_N6thrust23THRUST_200600_302600_NS10device_ptrIiEESB_SB_iNS9_4plusIvEENS9_8equal_toIvEEiEE10hipError_tPvRmT2_T3_T4_T5_mT6_T7_P12ihipStream_tbENKUlT_T0_E_clISt17integral_constantIbLb1EESV_IbLb0EEEEDaSR_SS_EUlSR_E_NS1_11comp_targetILNS1_3genE10ELNS1_11target_archE1201ELNS1_3gpuE5ELNS1_3repE0EEENS1_30default_config_static_selectorELNS0_4arch9wavefront6targetE0EEEvT1_.num_agpr, 0
	.set _ZN7rocprim17ROCPRIM_400000_NS6detail17trampoline_kernelINS0_14default_configENS1_27scan_by_key_config_selectorIiiEEZZNS1_16scan_by_key_implILNS1_25lookback_scan_determinismE0ELb0ES3_N6thrust23THRUST_200600_302600_NS10device_ptrIiEESB_SB_iNS9_4plusIvEENS9_8equal_toIvEEiEE10hipError_tPvRmT2_T3_T4_T5_mT6_T7_P12ihipStream_tbENKUlT_T0_E_clISt17integral_constantIbLb1EESV_IbLb0EEEEDaSR_SS_EUlSR_E_NS1_11comp_targetILNS1_3genE10ELNS1_11target_archE1201ELNS1_3gpuE5ELNS1_3repE0EEENS1_30default_config_static_selectorELNS0_4arch9wavefront6targetE0EEEvT1_.numbered_sgpr, 0
	.set _ZN7rocprim17ROCPRIM_400000_NS6detail17trampoline_kernelINS0_14default_configENS1_27scan_by_key_config_selectorIiiEEZZNS1_16scan_by_key_implILNS1_25lookback_scan_determinismE0ELb0ES3_N6thrust23THRUST_200600_302600_NS10device_ptrIiEESB_SB_iNS9_4plusIvEENS9_8equal_toIvEEiEE10hipError_tPvRmT2_T3_T4_T5_mT6_T7_P12ihipStream_tbENKUlT_T0_E_clISt17integral_constantIbLb1EESV_IbLb0EEEEDaSR_SS_EUlSR_E_NS1_11comp_targetILNS1_3genE10ELNS1_11target_archE1201ELNS1_3gpuE5ELNS1_3repE0EEENS1_30default_config_static_selectorELNS0_4arch9wavefront6targetE0EEEvT1_.num_named_barrier, 0
	.set _ZN7rocprim17ROCPRIM_400000_NS6detail17trampoline_kernelINS0_14default_configENS1_27scan_by_key_config_selectorIiiEEZZNS1_16scan_by_key_implILNS1_25lookback_scan_determinismE0ELb0ES3_N6thrust23THRUST_200600_302600_NS10device_ptrIiEESB_SB_iNS9_4plusIvEENS9_8equal_toIvEEiEE10hipError_tPvRmT2_T3_T4_T5_mT6_T7_P12ihipStream_tbENKUlT_T0_E_clISt17integral_constantIbLb1EESV_IbLb0EEEEDaSR_SS_EUlSR_E_NS1_11comp_targetILNS1_3genE10ELNS1_11target_archE1201ELNS1_3gpuE5ELNS1_3repE0EEENS1_30default_config_static_selectorELNS0_4arch9wavefront6targetE0EEEvT1_.private_seg_size, 0
	.set _ZN7rocprim17ROCPRIM_400000_NS6detail17trampoline_kernelINS0_14default_configENS1_27scan_by_key_config_selectorIiiEEZZNS1_16scan_by_key_implILNS1_25lookback_scan_determinismE0ELb0ES3_N6thrust23THRUST_200600_302600_NS10device_ptrIiEESB_SB_iNS9_4plusIvEENS9_8equal_toIvEEiEE10hipError_tPvRmT2_T3_T4_T5_mT6_T7_P12ihipStream_tbENKUlT_T0_E_clISt17integral_constantIbLb1EESV_IbLb0EEEEDaSR_SS_EUlSR_E_NS1_11comp_targetILNS1_3genE10ELNS1_11target_archE1201ELNS1_3gpuE5ELNS1_3repE0EEENS1_30default_config_static_selectorELNS0_4arch9wavefront6targetE0EEEvT1_.uses_vcc, 0
	.set _ZN7rocprim17ROCPRIM_400000_NS6detail17trampoline_kernelINS0_14default_configENS1_27scan_by_key_config_selectorIiiEEZZNS1_16scan_by_key_implILNS1_25lookback_scan_determinismE0ELb0ES3_N6thrust23THRUST_200600_302600_NS10device_ptrIiEESB_SB_iNS9_4plusIvEENS9_8equal_toIvEEiEE10hipError_tPvRmT2_T3_T4_T5_mT6_T7_P12ihipStream_tbENKUlT_T0_E_clISt17integral_constantIbLb1EESV_IbLb0EEEEDaSR_SS_EUlSR_E_NS1_11comp_targetILNS1_3genE10ELNS1_11target_archE1201ELNS1_3gpuE5ELNS1_3repE0EEENS1_30default_config_static_selectorELNS0_4arch9wavefront6targetE0EEEvT1_.uses_flat_scratch, 0
	.set _ZN7rocprim17ROCPRIM_400000_NS6detail17trampoline_kernelINS0_14default_configENS1_27scan_by_key_config_selectorIiiEEZZNS1_16scan_by_key_implILNS1_25lookback_scan_determinismE0ELb0ES3_N6thrust23THRUST_200600_302600_NS10device_ptrIiEESB_SB_iNS9_4plusIvEENS9_8equal_toIvEEiEE10hipError_tPvRmT2_T3_T4_T5_mT6_T7_P12ihipStream_tbENKUlT_T0_E_clISt17integral_constantIbLb1EESV_IbLb0EEEEDaSR_SS_EUlSR_E_NS1_11comp_targetILNS1_3genE10ELNS1_11target_archE1201ELNS1_3gpuE5ELNS1_3repE0EEENS1_30default_config_static_selectorELNS0_4arch9wavefront6targetE0EEEvT1_.has_dyn_sized_stack, 0
	.set _ZN7rocprim17ROCPRIM_400000_NS6detail17trampoline_kernelINS0_14default_configENS1_27scan_by_key_config_selectorIiiEEZZNS1_16scan_by_key_implILNS1_25lookback_scan_determinismE0ELb0ES3_N6thrust23THRUST_200600_302600_NS10device_ptrIiEESB_SB_iNS9_4plusIvEENS9_8equal_toIvEEiEE10hipError_tPvRmT2_T3_T4_T5_mT6_T7_P12ihipStream_tbENKUlT_T0_E_clISt17integral_constantIbLb1EESV_IbLb0EEEEDaSR_SS_EUlSR_E_NS1_11comp_targetILNS1_3genE10ELNS1_11target_archE1201ELNS1_3gpuE5ELNS1_3repE0EEENS1_30default_config_static_selectorELNS0_4arch9wavefront6targetE0EEEvT1_.has_recursion, 0
	.set _ZN7rocprim17ROCPRIM_400000_NS6detail17trampoline_kernelINS0_14default_configENS1_27scan_by_key_config_selectorIiiEEZZNS1_16scan_by_key_implILNS1_25lookback_scan_determinismE0ELb0ES3_N6thrust23THRUST_200600_302600_NS10device_ptrIiEESB_SB_iNS9_4plusIvEENS9_8equal_toIvEEiEE10hipError_tPvRmT2_T3_T4_T5_mT6_T7_P12ihipStream_tbENKUlT_T0_E_clISt17integral_constantIbLb1EESV_IbLb0EEEEDaSR_SS_EUlSR_E_NS1_11comp_targetILNS1_3genE10ELNS1_11target_archE1201ELNS1_3gpuE5ELNS1_3repE0EEENS1_30default_config_static_selectorELNS0_4arch9wavefront6targetE0EEEvT1_.has_indirect_call, 0
	.section	.AMDGPU.csdata,"",@progbits
; Kernel info:
; codeLenInByte = 0
; TotalNumSgprs: 0
; NumVgprs: 0
; ScratchSize: 0
; MemoryBound: 0
; FloatMode: 240
; IeeeMode: 1
; LDSByteSize: 0 bytes/workgroup (compile time only)
; SGPRBlocks: 0
; VGPRBlocks: 0
; NumSGPRsForWavesPerEU: 1
; NumVGPRsForWavesPerEU: 1
; NamedBarCnt: 0
; Occupancy: 16
; WaveLimiterHint : 0
; COMPUTE_PGM_RSRC2:SCRATCH_EN: 0
; COMPUTE_PGM_RSRC2:USER_SGPR: 2
; COMPUTE_PGM_RSRC2:TRAP_HANDLER: 0
; COMPUTE_PGM_RSRC2:TGID_X_EN: 1
; COMPUTE_PGM_RSRC2:TGID_Y_EN: 0
; COMPUTE_PGM_RSRC2:TGID_Z_EN: 0
; COMPUTE_PGM_RSRC2:TIDIG_COMP_CNT: 0
	.section	.text._ZN7rocprim17ROCPRIM_400000_NS6detail17trampoline_kernelINS0_14default_configENS1_27scan_by_key_config_selectorIiiEEZZNS1_16scan_by_key_implILNS1_25lookback_scan_determinismE0ELb0ES3_N6thrust23THRUST_200600_302600_NS10device_ptrIiEESB_SB_iNS9_4plusIvEENS9_8equal_toIvEEiEE10hipError_tPvRmT2_T3_T4_T5_mT6_T7_P12ihipStream_tbENKUlT_T0_E_clISt17integral_constantIbLb1EESV_IbLb0EEEEDaSR_SS_EUlSR_E_NS1_11comp_targetILNS1_3genE5ELNS1_11target_archE942ELNS1_3gpuE9ELNS1_3repE0EEENS1_30default_config_static_selectorELNS0_4arch9wavefront6targetE0EEEvT1_,"axG",@progbits,_ZN7rocprim17ROCPRIM_400000_NS6detail17trampoline_kernelINS0_14default_configENS1_27scan_by_key_config_selectorIiiEEZZNS1_16scan_by_key_implILNS1_25lookback_scan_determinismE0ELb0ES3_N6thrust23THRUST_200600_302600_NS10device_ptrIiEESB_SB_iNS9_4plusIvEENS9_8equal_toIvEEiEE10hipError_tPvRmT2_T3_T4_T5_mT6_T7_P12ihipStream_tbENKUlT_T0_E_clISt17integral_constantIbLb1EESV_IbLb0EEEEDaSR_SS_EUlSR_E_NS1_11comp_targetILNS1_3genE5ELNS1_11target_archE942ELNS1_3gpuE9ELNS1_3repE0EEENS1_30default_config_static_selectorELNS0_4arch9wavefront6targetE0EEEvT1_,comdat
	.protected	_ZN7rocprim17ROCPRIM_400000_NS6detail17trampoline_kernelINS0_14default_configENS1_27scan_by_key_config_selectorIiiEEZZNS1_16scan_by_key_implILNS1_25lookback_scan_determinismE0ELb0ES3_N6thrust23THRUST_200600_302600_NS10device_ptrIiEESB_SB_iNS9_4plusIvEENS9_8equal_toIvEEiEE10hipError_tPvRmT2_T3_T4_T5_mT6_T7_P12ihipStream_tbENKUlT_T0_E_clISt17integral_constantIbLb1EESV_IbLb0EEEEDaSR_SS_EUlSR_E_NS1_11comp_targetILNS1_3genE5ELNS1_11target_archE942ELNS1_3gpuE9ELNS1_3repE0EEENS1_30default_config_static_selectorELNS0_4arch9wavefront6targetE0EEEvT1_ ; -- Begin function _ZN7rocprim17ROCPRIM_400000_NS6detail17trampoline_kernelINS0_14default_configENS1_27scan_by_key_config_selectorIiiEEZZNS1_16scan_by_key_implILNS1_25lookback_scan_determinismE0ELb0ES3_N6thrust23THRUST_200600_302600_NS10device_ptrIiEESB_SB_iNS9_4plusIvEENS9_8equal_toIvEEiEE10hipError_tPvRmT2_T3_T4_T5_mT6_T7_P12ihipStream_tbENKUlT_T0_E_clISt17integral_constantIbLb1EESV_IbLb0EEEEDaSR_SS_EUlSR_E_NS1_11comp_targetILNS1_3genE5ELNS1_11target_archE942ELNS1_3gpuE9ELNS1_3repE0EEENS1_30default_config_static_selectorELNS0_4arch9wavefront6targetE0EEEvT1_
	.globl	_ZN7rocprim17ROCPRIM_400000_NS6detail17trampoline_kernelINS0_14default_configENS1_27scan_by_key_config_selectorIiiEEZZNS1_16scan_by_key_implILNS1_25lookback_scan_determinismE0ELb0ES3_N6thrust23THRUST_200600_302600_NS10device_ptrIiEESB_SB_iNS9_4plusIvEENS9_8equal_toIvEEiEE10hipError_tPvRmT2_T3_T4_T5_mT6_T7_P12ihipStream_tbENKUlT_T0_E_clISt17integral_constantIbLb1EESV_IbLb0EEEEDaSR_SS_EUlSR_E_NS1_11comp_targetILNS1_3genE5ELNS1_11target_archE942ELNS1_3gpuE9ELNS1_3repE0EEENS1_30default_config_static_selectorELNS0_4arch9wavefront6targetE0EEEvT1_
	.p2align	8
	.type	_ZN7rocprim17ROCPRIM_400000_NS6detail17trampoline_kernelINS0_14default_configENS1_27scan_by_key_config_selectorIiiEEZZNS1_16scan_by_key_implILNS1_25lookback_scan_determinismE0ELb0ES3_N6thrust23THRUST_200600_302600_NS10device_ptrIiEESB_SB_iNS9_4plusIvEENS9_8equal_toIvEEiEE10hipError_tPvRmT2_T3_T4_T5_mT6_T7_P12ihipStream_tbENKUlT_T0_E_clISt17integral_constantIbLb1EESV_IbLb0EEEEDaSR_SS_EUlSR_E_NS1_11comp_targetILNS1_3genE5ELNS1_11target_archE942ELNS1_3gpuE9ELNS1_3repE0EEENS1_30default_config_static_selectorELNS0_4arch9wavefront6targetE0EEEvT1_,@function
_ZN7rocprim17ROCPRIM_400000_NS6detail17trampoline_kernelINS0_14default_configENS1_27scan_by_key_config_selectorIiiEEZZNS1_16scan_by_key_implILNS1_25lookback_scan_determinismE0ELb0ES3_N6thrust23THRUST_200600_302600_NS10device_ptrIiEESB_SB_iNS9_4plusIvEENS9_8equal_toIvEEiEE10hipError_tPvRmT2_T3_T4_T5_mT6_T7_P12ihipStream_tbENKUlT_T0_E_clISt17integral_constantIbLb1EESV_IbLb0EEEEDaSR_SS_EUlSR_E_NS1_11comp_targetILNS1_3genE5ELNS1_11target_archE942ELNS1_3gpuE9ELNS1_3repE0EEENS1_30default_config_static_selectorELNS0_4arch9wavefront6targetE0EEEvT1_: ; @_ZN7rocprim17ROCPRIM_400000_NS6detail17trampoline_kernelINS0_14default_configENS1_27scan_by_key_config_selectorIiiEEZZNS1_16scan_by_key_implILNS1_25lookback_scan_determinismE0ELb0ES3_N6thrust23THRUST_200600_302600_NS10device_ptrIiEESB_SB_iNS9_4plusIvEENS9_8equal_toIvEEiEE10hipError_tPvRmT2_T3_T4_T5_mT6_T7_P12ihipStream_tbENKUlT_T0_E_clISt17integral_constantIbLb1EESV_IbLb0EEEEDaSR_SS_EUlSR_E_NS1_11comp_targetILNS1_3genE5ELNS1_11target_archE942ELNS1_3gpuE9ELNS1_3repE0EEENS1_30default_config_static_selectorELNS0_4arch9wavefront6targetE0EEEvT1_
; %bb.0:
	.section	.rodata,"a",@progbits
	.p2align	6, 0x0
	.amdhsa_kernel _ZN7rocprim17ROCPRIM_400000_NS6detail17trampoline_kernelINS0_14default_configENS1_27scan_by_key_config_selectorIiiEEZZNS1_16scan_by_key_implILNS1_25lookback_scan_determinismE0ELb0ES3_N6thrust23THRUST_200600_302600_NS10device_ptrIiEESB_SB_iNS9_4plusIvEENS9_8equal_toIvEEiEE10hipError_tPvRmT2_T3_T4_T5_mT6_T7_P12ihipStream_tbENKUlT_T0_E_clISt17integral_constantIbLb1EESV_IbLb0EEEEDaSR_SS_EUlSR_E_NS1_11comp_targetILNS1_3genE5ELNS1_11target_archE942ELNS1_3gpuE9ELNS1_3repE0EEENS1_30default_config_static_selectorELNS0_4arch9wavefront6targetE0EEEvT1_
		.amdhsa_group_segment_fixed_size 0
		.amdhsa_private_segment_fixed_size 0
		.amdhsa_kernarg_size 112
		.amdhsa_user_sgpr_count 2
		.amdhsa_user_sgpr_dispatch_ptr 0
		.amdhsa_user_sgpr_queue_ptr 0
		.amdhsa_user_sgpr_kernarg_segment_ptr 1
		.amdhsa_user_sgpr_dispatch_id 0
		.amdhsa_user_sgpr_kernarg_preload_length 0
		.amdhsa_user_sgpr_kernarg_preload_offset 0
		.amdhsa_user_sgpr_private_segment_size 0
		.amdhsa_wavefront_size32 1
		.amdhsa_uses_dynamic_stack 0
		.amdhsa_enable_private_segment 0
		.amdhsa_system_sgpr_workgroup_id_x 1
		.amdhsa_system_sgpr_workgroup_id_y 0
		.amdhsa_system_sgpr_workgroup_id_z 0
		.amdhsa_system_sgpr_workgroup_info 0
		.amdhsa_system_vgpr_workitem_id 0
		.amdhsa_next_free_vgpr 1
		.amdhsa_next_free_sgpr 1
		.amdhsa_named_barrier_count 0
		.amdhsa_reserve_vcc 0
		.amdhsa_float_round_mode_32 0
		.amdhsa_float_round_mode_16_64 0
		.amdhsa_float_denorm_mode_32 3
		.amdhsa_float_denorm_mode_16_64 3
		.amdhsa_fp16_overflow 0
		.amdhsa_memory_ordered 1
		.amdhsa_forward_progress 1
		.amdhsa_inst_pref_size 0
		.amdhsa_round_robin_scheduling 0
		.amdhsa_exception_fp_ieee_invalid_op 0
		.amdhsa_exception_fp_denorm_src 0
		.amdhsa_exception_fp_ieee_div_zero 0
		.amdhsa_exception_fp_ieee_overflow 0
		.amdhsa_exception_fp_ieee_underflow 0
		.amdhsa_exception_fp_ieee_inexact 0
		.amdhsa_exception_int_div_zero 0
	.end_amdhsa_kernel
	.section	.text._ZN7rocprim17ROCPRIM_400000_NS6detail17trampoline_kernelINS0_14default_configENS1_27scan_by_key_config_selectorIiiEEZZNS1_16scan_by_key_implILNS1_25lookback_scan_determinismE0ELb0ES3_N6thrust23THRUST_200600_302600_NS10device_ptrIiEESB_SB_iNS9_4plusIvEENS9_8equal_toIvEEiEE10hipError_tPvRmT2_T3_T4_T5_mT6_T7_P12ihipStream_tbENKUlT_T0_E_clISt17integral_constantIbLb1EESV_IbLb0EEEEDaSR_SS_EUlSR_E_NS1_11comp_targetILNS1_3genE5ELNS1_11target_archE942ELNS1_3gpuE9ELNS1_3repE0EEENS1_30default_config_static_selectorELNS0_4arch9wavefront6targetE0EEEvT1_,"axG",@progbits,_ZN7rocprim17ROCPRIM_400000_NS6detail17trampoline_kernelINS0_14default_configENS1_27scan_by_key_config_selectorIiiEEZZNS1_16scan_by_key_implILNS1_25lookback_scan_determinismE0ELb0ES3_N6thrust23THRUST_200600_302600_NS10device_ptrIiEESB_SB_iNS9_4plusIvEENS9_8equal_toIvEEiEE10hipError_tPvRmT2_T3_T4_T5_mT6_T7_P12ihipStream_tbENKUlT_T0_E_clISt17integral_constantIbLb1EESV_IbLb0EEEEDaSR_SS_EUlSR_E_NS1_11comp_targetILNS1_3genE5ELNS1_11target_archE942ELNS1_3gpuE9ELNS1_3repE0EEENS1_30default_config_static_selectorELNS0_4arch9wavefront6targetE0EEEvT1_,comdat
.Lfunc_end2216:
	.size	_ZN7rocprim17ROCPRIM_400000_NS6detail17trampoline_kernelINS0_14default_configENS1_27scan_by_key_config_selectorIiiEEZZNS1_16scan_by_key_implILNS1_25lookback_scan_determinismE0ELb0ES3_N6thrust23THRUST_200600_302600_NS10device_ptrIiEESB_SB_iNS9_4plusIvEENS9_8equal_toIvEEiEE10hipError_tPvRmT2_T3_T4_T5_mT6_T7_P12ihipStream_tbENKUlT_T0_E_clISt17integral_constantIbLb1EESV_IbLb0EEEEDaSR_SS_EUlSR_E_NS1_11comp_targetILNS1_3genE5ELNS1_11target_archE942ELNS1_3gpuE9ELNS1_3repE0EEENS1_30default_config_static_selectorELNS0_4arch9wavefront6targetE0EEEvT1_, .Lfunc_end2216-_ZN7rocprim17ROCPRIM_400000_NS6detail17trampoline_kernelINS0_14default_configENS1_27scan_by_key_config_selectorIiiEEZZNS1_16scan_by_key_implILNS1_25lookback_scan_determinismE0ELb0ES3_N6thrust23THRUST_200600_302600_NS10device_ptrIiEESB_SB_iNS9_4plusIvEENS9_8equal_toIvEEiEE10hipError_tPvRmT2_T3_T4_T5_mT6_T7_P12ihipStream_tbENKUlT_T0_E_clISt17integral_constantIbLb1EESV_IbLb0EEEEDaSR_SS_EUlSR_E_NS1_11comp_targetILNS1_3genE5ELNS1_11target_archE942ELNS1_3gpuE9ELNS1_3repE0EEENS1_30default_config_static_selectorELNS0_4arch9wavefront6targetE0EEEvT1_
                                        ; -- End function
	.set _ZN7rocprim17ROCPRIM_400000_NS6detail17trampoline_kernelINS0_14default_configENS1_27scan_by_key_config_selectorIiiEEZZNS1_16scan_by_key_implILNS1_25lookback_scan_determinismE0ELb0ES3_N6thrust23THRUST_200600_302600_NS10device_ptrIiEESB_SB_iNS9_4plusIvEENS9_8equal_toIvEEiEE10hipError_tPvRmT2_T3_T4_T5_mT6_T7_P12ihipStream_tbENKUlT_T0_E_clISt17integral_constantIbLb1EESV_IbLb0EEEEDaSR_SS_EUlSR_E_NS1_11comp_targetILNS1_3genE5ELNS1_11target_archE942ELNS1_3gpuE9ELNS1_3repE0EEENS1_30default_config_static_selectorELNS0_4arch9wavefront6targetE0EEEvT1_.num_vgpr, 0
	.set _ZN7rocprim17ROCPRIM_400000_NS6detail17trampoline_kernelINS0_14default_configENS1_27scan_by_key_config_selectorIiiEEZZNS1_16scan_by_key_implILNS1_25lookback_scan_determinismE0ELb0ES3_N6thrust23THRUST_200600_302600_NS10device_ptrIiEESB_SB_iNS9_4plusIvEENS9_8equal_toIvEEiEE10hipError_tPvRmT2_T3_T4_T5_mT6_T7_P12ihipStream_tbENKUlT_T0_E_clISt17integral_constantIbLb1EESV_IbLb0EEEEDaSR_SS_EUlSR_E_NS1_11comp_targetILNS1_3genE5ELNS1_11target_archE942ELNS1_3gpuE9ELNS1_3repE0EEENS1_30default_config_static_selectorELNS0_4arch9wavefront6targetE0EEEvT1_.num_agpr, 0
	.set _ZN7rocprim17ROCPRIM_400000_NS6detail17trampoline_kernelINS0_14default_configENS1_27scan_by_key_config_selectorIiiEEZZNS1_16scan_by_key_implILNS1_25lookback_scan_determinismE0ELb0ES3_N6thrust23THRUST_200600_302600_NS10device_ptrIiEESB_SB_iNS9_4plusIvEENS9_8equal_toIvEEiEE10hipError_tPvRmT2_T3_T4_T5_mT6_T7_P12ihipStream_tbENKUlT_T0_E_clISt17integral_constantIbLb1EESV_IbLb0EEEEDaSR_SS_EUlSR_E_NS1_11comp_targetILNS1_3genE5ELNS1_11target_archE942ELNS1_3gpuE9ELNS1_3repE0EEENS1_30default_config_static_selectorELNS0_4arch9wavefront6targetE0EEEvT1_.numbered_sgpr, 0
	.set _ZN7rocprim17ROCPRIM_400000_NS6detail17trampoline_kernelINS0_14default_configENS1_27scan_by_key_config_selectorIiiEEZZNS1_16scan_by_key_implILNS1_25lookback_scan_determinismE0ELb0ES3_N6thrust23THRUST_200600_302600_NS10device_ptrIiEESB_SB_iNS9_4plusIvEENS9_8equal_toIvEEiEE10hipError_tPvRmT2_T3_T4_T5_mT6_T7_P12ihipStream_tbENKUlT_T0_E_clISt17integral_constantIbLb1EESV_IbLb0EEEEDaSR_SS_EUlSR_E_NS1_11comp_targetILNS1_3genE5ELNS1_11target_archE942ELNS1_3gpuE9ELNS1_3repE0EEENS1_30default_config_static_selectorELNS0_4arch9wavefront6targetE0EEEvT1_.num_named_barrier, 0
	.set _ZN7rocprim17ROCPRIM_400000_NS6detail17trampoline_kernelINS0_14default_configENS1_27scan_by_key_config_selectorIiiEEZZNS1_16scan_by_key_implILNS1_25lookback_scan_determinismE0ELb0ES3_N6thrust23THRUST_200600_302600_NS10device_ptrIiEESB_SB_iNS9_4plusIvEENS9_8equal_toIvEEiEE10hipError_tPvRmT2_T3_T4_T5_mT6_T7_P12ihipStream_tbENKUlT_T0_E_clISt17integral_constantIbLb1EESV_IbLb0EEEEDaSR_SS_EUlSR_E_NS1_11comp_targetILNS1_3genE5ELNS1_11target_archE942ELNS1_3gpuE9ELNS1_3repE0EEENS1_30default_config_static_selectorELNS0_4arch9wavefront6targetE0EEEvT1_.private_seg_size, 0
	.set _ZN7rocprim17ROCPRIM_400000_NS6detail17trampoline_kernelINS0_14default_configENS1_27scan_by_key_config_selectorIiiEEZZNS1_16scan_by_key_implILNS1_25lookback_scan_determinismE0ELb0ES3_N6thrust23THRUST_200600_302600_NS10device_ptrIiEESB_SB_iNS9_4plusIvEENS9_8equal_toIvEEiEE10hipError_tPvRmT2_T3_T4_T5_mT6_T7_P12ihipStream_tbENKUlT_T0_E_clISt17integral_constantIbLb1EESV_IbLb0EEEEDaSR_SS_EUlSR_E_NS1_11comp_targetILNS1_3genE5ELNS1_11target_archE942ELNS1_3gpuE9ELNS1_3repE0EEENS1_30default_config_static_selectorELNS0_4arch9wavefront6targetE0EEEvT1_.uses_vcc, 0
	.set _ZN7rocprim17ROCPRIM_400000_NS6detail17trampoline_kernelINS0_14default_configENS1_27scan_by_key_config_selectorIiiEEZZNS1_16scan_by_key_implILNS1_25lookback_scan_determinismE0ELb0ES3_N6thrust23THRUST_200600_302600_NS10device_ptrIiEESB_SB_iNS9_4plusIvEENS9_8equal_toIvEEiEE10hipError_tPvRmT2_T3_T4_T5_mT6_T7_P12ihipStream_tbENKUlT_T0_E_clISt17integral_constantIbLb1EESV_IbLb0EEEEDaSR_SS_EUlSR_E_NS1_11comp_targetILNS1_3genE5ELNS1_11target_archE942ELNS1_3gpuE9ELNS1_3repE0EEENS1_30default_config_static_selectorELNS0_4arch9wavefront6targetE0EEEvT1_.uses_flat_scratch, 0
	.set _ZN7rocprim17ROCPRIM_400000_NS6detail17trampoline_kernelINS0_14default_configENS1_27scan_by_key_config_selectorIiiEEZZNS1_16scan_by_key_implILNS1_25lookback_scan_determinismE0ELb0ES3_N6thrust23THRUST_200600_302600_NS10device_ptrIiEESB_SB_iNS9_4plusIvEENS9_8equal_toIvEEiEE10hipError_tPvRmT2_T3_T4_T5_mT6_T7_P12ihipStream_tbENKUlT_T0_E_clISt17integral_constantIbLb1EESV_IbLb0EEEEDaSR_SS_EUlSR_E_NS1_11comp_targetILNS1_3genE5ELNS1_11target_archE942ELNS1_3gpuE9ELNS1_3repE0EEENS1_30default_config_static_selectorELNS0_4arch9wavefront6targetE0EEEvT1_.has_dyn_sized_stack, 0
	.set _ZN7rocprim17ROCPRIM_400000_NS6detail17trampoline_kernelINS0_14default_configENS1_27scan_by_key_config_selectorIiiEEZZNS1_16scan_by_key_implILNS1_25lookback_scan_determinismE0ELb0ES3_N6thrust23THRUST_200600_302600_NS10device_ptrIiEESB_SB_iNS9_4plusIvEENS9_8equal_toIvEEiEE10hipError_tPvRmT2_T3_T4_T5_mT6_T7_P12ihipStream_tbENKUlT_T0_E_clISt17integral_constantIbLb1EESV_IbLb0EEEEDaSR_SS_EUlSR_E_NS1_11comp_targetILNS1_3genE5ELNS1_11target_archE942ELNS1_3gpuE9ELNS1_3repE0EEENS1_30default_config_static_selectorELNS0_4arch9wavefront6targetE0EEEvT1_.has_recursion, 0
	.set _ZN7rocprim17ROCPRIM_400000_NS6detail17trampoline_kernelINS0_14default_configENS1_27scan_by_key_config_selectorIiiEEZZNS1_16scan_by_key_implILNS1_25lookback_scan_determinismE0ELb0ES3_N6thrust23THRUST_200600_302600_NS10device_ptrIiEESB_SB_iNS9_4plusIvEENS9_8equal_toIvEEiEE10hipError_tPvRmT2_T3_T4_T5_mT6_T7_P12ihipStream_tbENKUlT_T0_E_clISt17integral_constantIbLb1EESV_IbLb0EEEEDaSR_SS_EUlSR_E_NS1_11comp_targetILNS1_3genE5ELNS1_11target_archE942ELNS1_3gpuE9ELNS1_3repE0EEENS1_30default_config_static_selectorELNS0_4arch9wavefront6targetE0EEEvT1_.has_indirect_call, 0
	.section	.AMDGPU.csdata,"",@progbits
; Kernel info:
; codeLenInByte = 0
; TotalNumSgprs: 0
; NumVgprs: 0
; ScratchSize: 0
; MemoryBound: 0
; FloatMode: 240
; IeeeMode: 1
; LDSByteSize: 0 bytes/workgroup (compile time only)
; SGPRBlocks: 0
; VGPRBlocks: 0
; NumSGPRsForWavesPerEU: 1
; NumVGPRsForWavesPerEU: 1
; NamedBarCnt: 0
; Occupancy: 16
; WaveLimiterHint : 0
; COMPUTE_PGM_RSRC2:SCRATCH_EN: 0
; COMPUTE_PGM_RSRC2:USER_SGPR: 2
; COMPUTE_PGM_RSRC2:TRAP_HANDLER: 0
; COMPUTE_PGM_RSRC2:TGID_X_EN: 1
; COMPUTE_PGM_RSRC2:TGID_Y_EN: 0
; COMPUTE_PGM_RSRC2:TGID_Z_EN: 0
; COMPUTE_PGM_RSRC2:TIDIG_COMP_CNT: 0
	.section	.text._ZN7rocprim17ROCPRIM_400000_NS6detail17trampoline_kernelINS0_14default_configENS1_27scan_by_key_config_selectorIiiEEZZNS1_16scan_by_key_implILNS1_25lookback_scan_determinismE0ELb0ES3_N6thrust23THRUST_200600_302600_NS10device_ptrIiEESB_SB_iNS9_4plusIvEENS9_8equal_toIvEEiEE10hipError_tPvRmT2_T3_T4_T5_mT6_T7_P12ihipStream_tbENKUlT_T0_E_clISt17integral_constantIbLb1EESV_IbLb0EEEEDaSR_SS_EUlSR_E_NS1_11comp_targetILNS1_3genE4ELNS1_11target_archE910ELNS1_3gpuE8ELNS1_3repE0EEENS1_30default_config_static_selectorELNS0_4arch9wavefront6targetE0EEEvT1_,"axG",@progbits,_ZN7rocprim17ROCPRIM_400000_NS6detail17trampoline_kernelINS0_14default_configENS1_27scan_by_key_config_selectorIiiEEZZNS1_16scan_by_key_implILNS1_25lookback_scan_determinismE0ELb0ES3_N6thrust23THRUST_200600_302600_NS10device_ptrIiEESB_SB_iNS9_4plusIvEENS9_8equal_toIvEEiEE10hipError_tPvRmT2_T3_T4_T5_mT6_T7_P12ihipStream_tbENKUlT_T0_E_clISt17integral_constantIbLb1EESV_IbLb0EEEEDaSR_SS_EUlSR_E_NS1_11comp_targetILNS1_3genE4ELNS1_11target_archE910ELNS1_3gpuE8ELNS1_3repE0EEENS1_30default_config_static_selectorELNS0_4arch9wavefront6targetE0EEEvT1_,comdat
	.protected	_ZN7rocprim17ROCPRIM_400000_NS6detail17trampoline_kernelINS0_14default_configENS1_27scan_by_key_config_selectorIiiEEZZNS1_16scan_by_key_implILNS1_25lookback_scan_determinismE0ELb0ES3_N6thrust23THRUST_200600_302600_NS10device_ptrIiEESB_SB_iNS9_4plusIvEENS9_8equal_toIvEEiEE10hipError_tPvRmT2_T3_T4_T5_mT6_T7_P12ihipStream_tbENKUlT_T0_E_clISt17integral_constantIbLb1EESV_IbLb0EEEEDaSR_SS_EUlSR_E_NS1_11comp_targetILNS1_3genE4ELNS1_11target_archE910ELNS1_3gpuE8ELNS1_3repE0EEENS1_30default_config_static_selectorELNS0_4arch9wavefront6targetE0EEEvT1_ ; -- Begin function _ZN7rocprim17ROCPRIM_400000_NS6detail17trampoline_kernelINS0_14default_configENS1_27scan_by_key_config_selectorIiiEEZZNS1_16scan_by_key_implILNS1_25lookback_scan_determinismE0ELb0ES3_N6thrust23THRUST_200600_302600_NS10device_ptrIiEESB_SB_iNS9_4plusIvEENS9_8equal_toIvEEiEE10hipError_tPvRmT2_T3_T4_T5_mT6_T7_P12ihipStream_tbENKUlT_T0_E_clISt17integral_constantIbLb1EESV_IbLb0EEEEDaSR_SS_EUlSR_E_NS1_11comp_targetILNS1_3genE4ELNS1_11target_archE910ELNS1_3gpuE8ELNS1_3repE0EEENS1_30default_config_static_selectorELNS0_4arch9wavefront6targetE0EEEvT1_
	.globl	_ZN7rocprim17ROCPRIM_400000_NS6detail17trampoline_kernelINS0_14default_configENS1_27scan_by_key_config_selectorIiiEEZZNS1_16scan_by_key_implILNS1_25lookback_scan_determinismE0ELb0ES3_N6thrust23THRUST_200600_302600_NS10device_ptrIiEESB_SB_iNS9_4plusIvEENS9_8equal_toIvEEiEE10hipError_tPvRmT2_T3_T4_T5_mT6_T7_P12ihipStream_tbENKUlT_T0_E_clISt17integral_constantIbLb1EESV_IbLb0EEEEDaSR_SS_EUlSR_E_NS1_11comp_targetILNS1_3genE4ELNS1_11target_archE910ELNS1_3gpuE8ELNS1_3repE0EEENS1_30default_config_static_selectorELNS0_4arch9wavefront6targetE0EEEvT1_
	.p2align	8
	.type	_ZN7rocprim17ROCPRIM_400000_NS6detail17trampoline_kernelINS0_14default_configENS1_27scan_by_key_config_selectorIiiEEZZNS1_16scan_by_key_implILNS1_25lookback_scan_determinismE0ELb0ES3_N6thrust23THRUST_200600_302600_NS10device_ptrIiEESB_SB_iNS9_4plusIvEENS9_8equal_toIvEEiEE10hipError_tPvRmT2_T3_T4_T5_mT6_T7_P12ihipStream_tbENKUlT_T0_E_clISt17integral_constantIbLb1EESV_IbLb0EEEEDaSR_SS_EUlSR_E_NS1_11comp_targetILNS1_3genE4ELNS1_11target_archE910ELNS1_3gpuE8ELNS1_3repE0EEENS1_30default_config_static_selectorELNS0_4arch9wavefront6targetE0EEEvT1_,@function
_ZN7rocprim17ROCPRIM_400000_NS6detail17trampoline_kernelINS0_14default_configENS1_27scan_by_key_config_selectorIiiEEZZNS1_16scan_by_key_implILNS1_25lookback_scan_determinismE0ELb0ES3_N6thrust23THRUST_200600_302600_NS10device_ptrIiEESB_SB_iNS9_4plusIvEENS9_8equal_toIvEEiEE10hipError_tPvRmT2_T3_T4_T5_mT6_T7_P12ihipStream_tbENKUlT_T0_E_clISt17integral_constantIbLb1EESV_IbLb0EEEEDaSR_SS_EUlSR_E_NS1_11comp_targetILNS1_3genE4ELNS1_11target_archE910ELNS1_3gpuE8ELNS1_3repE0EEENS1_30default_config_static_selectorELNS0_4arch9wavefront6targetE0EEEvT1_: ; @_ZN7rocprim17ROCPRIM_400000_NS6detail17trampoline_kernelINS0_14default_configENS1_27scan_by_key_config_selectorIiiEEZZNS1_16scan_by_key_implILNS1_25lookback_scan_determinismE0ELb0ES3_N6thrust23THRUST_200600_302600_NS10device_ptrIiEESB_SB_iNS9_4plusIvEENS9_8equal_toIvEEiEE10hipError_tPvRmT2_T3_T4_T5_mT6_T7_P12ihipStream_tbENKUlT_T0_E_clISt17integral_constantIbLb1EESV_IbLb0EEEEDaSR_SS_EUlSR_E_NS1_11comp_targetILNS1_3genE4ELNS1_11target_archE910ELNS1_3gpuE8ELNS1_3repE0EEENS1_30default_config_static_selectorELNS0_4arch9wavefront6targetE0EEEvT1_
; %bb.0:
	.section	.rodata,"a",@progbits
	.p2align	6, 0x0
	.amdhsa_kernel _ZN7rocprim17ROCPRIM_400000_NS6detail17trampoline_kernelINS0_14default_configENS1_27scan_by_key_config_selectorIiiEEZZNS1_16scan_by_key_implILNS1_25lookback_scan_determinismE0ELb0ES3_N6thrust23THRUST_200600_302600_NS10device_ptrIiEESB_SB_iNS9_4plusIvEENS9_8equal_toIvEEiEE10hipError_tPvRmT2_T3_T4_T5_mT6_T7_P12ihipStream_tbENKUlT_T0_E_clISt17integral_constantIbLb1EESV_IbLb0EEEEDaSR_SS_EUlSR_E_NS1_11comp_targetILNS1_3genE4ELNS1_11target_archE910ELNS1_3gpuE8ELNS1_3repE0EEENS1_30default_config_static_selectorELNS0_4arch9wavefront6targetE0EEEvT1_
		.amdhsa_group_segment_fixed_size 0
		.amdhsa_private_segment_fixed_size 0
		.amdhsa_kernarg_size 112
		.amdhsa_user_sgpr_count 2
		.amdhsa_user_sgpr_dispatch_ptr 0
		.amdhsa_user_sgpr_queue_ptr 0
		.amdhsa_user_sgpr_kernarg_segment_ptr 1
		.amdhsa_user_sgpr_dispatch_id 0
		.amdhsa_user_sgpr_kernarg_preload_length 0
		.amdhsa_user_sgpr_kernarg_preload_offset 0
		.amdhsa_user_sgpr_private_segment_size 0
		.amdhsa_wavefront_size32 1
		.amdhsa_uses_dynamic_stack 0
		.amdhsa_enable_private_segment 0
		.amdhsa_system_sgpr_workgroup_id_x 1
		.amdhsa_system_sgpr_workgroup_id_y 0
		.amdhsa_system_sgpr_workgroup_id_z 0
		.amdhsa_system_sgpr_workgroup_info 0
		.amdhsa_system_vgpr_workitem_id 0
		.amdhsa_next_free_vgpr 1
		.amdhsa_next_free_sgpr 1
		.amdhsa_named_barrier_count 0
		.amdhsa_reserve_vcc 0
		.amdhsa_float_round_mode_32 0
		.amdhsa_float_round_mode_16_64 0
		.amdhsa_float_denorm_mode_32 3
		.amdhsa_float_denorm_mode_16_64 3
		.amdhsa_fp16_overflow 0
		.amdhsa_memory_ordered 1
		.amdhsa_forward_progress 1
		.amdhsa_inst_pref_size 0
		.amdhsa_round_robin_scheduling 0
		.amdhsa_exception_fp_ieee_invalid_op 0
		.amdhsa_exception_fp_denorm_src 0
		.amdhsa_exception_fp_ieee_div_zero 0
		.amdhsa_exception_fp_ieee_overflow 0
		.amdhsa_exception_fp_ieee_underflow 0
		.amdhsa_exception_fp_ieee_inexact 0
		.amdhsa_exception_int_div_zero 0
	.end_amdhsa_kernel
	.section	.text._ZN7rocprim17ROCPRIM_400000_NS6detail17trampoline_kernelINS0_14default_configENS1_27scan_by_key_config_selectorIiiEEZZNS1_16scan_by_key_implILNS1_25lookback_scan_determinismE0ELb0ES3_N6thrust23THRUST_200600_302600_NS10device_ptrIiEESB_SB_iNS9_4plusIvEENS9_8equal_toIvEEiEE10hipError_tPvRmT2_T3_T4_T5_mT6_T7_P12ihipStream_tbENKUlT_T0_E_clISt17integral_constantIbLb1EESV_IbLb0EEEEDaSR_SS_EUlSR_E_NS1_11comp_targetILNS1_3genE4ELNS1_11target_archE910ELNS1_3gpuE8ELNS1_3repE0EEENS1_30default_config_static_selectorELNS0_4arch9wavefront6targetE0EEEvT1_,"axG",@progbits,_ZN7rocprim17ROCPRIM_400000_NS6detail17trampoline_kernelINS0_14default_configENS1_27scan_by_key_config_selectorIiiEEZZNS1_16scan_by_key_implILNS1_25lookback_scan_determinismE0ELb0ES3_N6thrust23THRUST_200600_302600_NS10device_ptrIiEESB_SB_iNS9_4plusIvEENS9_8equal_toIvEEiEE10hipError_tPvRmT2_T3_T4_T5_mT6_T7_P12ihipStream_tbENKUlT_T0_E_clISt17integral_constantIbLb1EESV_IbLb0EEEEDaSR_SS_EUlSR_E_NS1_11comp_targetILNS1_3genE4ELNS1_11target_archE910ELNS1_3gpuE8ELNS1_3repE0EEENS1_30default_config_static_selectorELNS0_4arch9wavefront6targetE0EEEvT1_,comdat
.Lfunc_end2217:
	.size	_ZN7rocprim17ROCPRIM_400000_NS6detail17trampoline_kernelINS0_14default_configENS1_27scan_by_key_config_selectorIiiEEZZNS1_16scan_by_key_implILNS1_25lookback_scan_determinismE0ELb0ES3_N6thrust23THRUST_200600_302600_NS10device_ptrIiEESB_SB_iNS9_4plusIvEENS9_8equal_toIvEEiEE10hipError_tPvRmT2_T3_T4_T5_mT6_T7_P12ihipStream_tbENKUlT_T0_E_clISt17integral_constantIbLb1EESV_IbLb0EEEEDaSR_SS_EUlSR_E_NS1_11comp_targetILNS1_3genE4ELNS1_11target_archE910ELNS1_3gpuE8ELNS1_3repE0EEENS1_30default_config_static_selectorELNS0_4arch9wavefront6targetE0EEEvT1_, .Lfunc_end2217-_ZN7rocprim17ROCPRIM_400000_NS6detail17trampoline_kernelINS0_14default_configENS1_27scan_by_key_config_selectorIiiEEZZNS1_16scan_by_key_implILNS1_25lookback_scan_determinismE0ELb0ES3_N6thrust23THRUST_200600_302600_NS10device_ptrIiEESB_SB_iNS9_4plusIvEENS9_8equal_toIvEEiEE10hipError_tPvRmT2_T3_T4_T5_mT6_T7_P12ihipStream_tbENKUlT_T0_E_clISt17integral_constantIbLb1EESV_IbLb0EEEEDaSR_SS_EUlSR_E_NS1_11comp_targetILNS1_3genE4ELNS1_11target_archE910ELNS1_3gpuE8ELNS1_3repE0EEENS1_30default_config_static_selectorELNS0_4arch9wavefront6targetE0EEEvT1_
                                        ; -- End function
	.set _ZN7rocprim17ROCPRIM_400000_NS6detail17trampoline_kernelINS0_14default_configENS1_27scan_by_key_config_selectorIiiEEZZNS1_16scan_by_key_implILNS1_25lookback_scan_determinismE0ELb0ES3_N6thrust23THRUST_200600_302600_NS10device_ptrIiEESB_SB_iNS9_4plusIvEENS9_8equal_toIvEEiEE10hipError_tPvRmT2_T3_T4_T5_mT6_T7_P12ihipStream_tbENKUlT_T0_E_clISt17integral_constantIbLb1EESV_IbLb0EEEEDaSR_SS_EUlSR_E_NS1_11comp_targetILNS1_3genE4ELNS1_11target_archE910ELNS1_3gpuE8ELNS1_3repE0EEENS1_30default_config_static_selectorELNS0_4arch9wavefront6targetE0EEEvT1_.num_vgpr, 0
	.set _ZN7rocprim17ROCPRIM_400000_NS6detail17trampoline_kernelINS0_14default_configENS1_27scan_by_key_config_selectorIiiEEZZNS1_16scan_by_key_implILNS1_25lookback_scan_determinismE0ELb0ES3_N6thrust23THRUST_200600_302600_NS10device_ptrIiEESB_SB_iNS9_4plusIvEENS9_8equal_toIvEEiEE10hipError_tPvRmT2_T3_T4_T5_mT6_T7_P12ihipStream_tbENKUlT_T0_E_clISt17integral_constantIbLb1EESV_IbLb0EEEEDaSR_SS_EUlSR_E_NS1_11comp_targetILNS1_3genE4ELNS1_11target_archE910ELNS1_3gpuE8ELNS1_3repE0EEENS1_30default_config_static_selectorELNS0_4arch9wavefront6targetE0EEEvT1_.num_agpr, 0
	.set _ZN7rocprim17ROCPRIM_400000_NS6detail17trampoline_kernelINS0_14default_configENS1_27scan_by_key_config_selectorIiiEEZZNS1_16scan_by_key_implILNS1_25lookback_scan_determinismE0ELb0ES3_N6thrust23THRUST_200600_302600_NS10device_ptrIiEESB_SB_iNS9_4plusIvEENS9_8equal_toIvEEiEE10hipError_tPvRmT2_T3_T4_T5_mT6_T7_P12ihipStream_tbENKUlT_T0_E_clISt17integral_constantIbLb1EESV_IbLb0EEEEDaSR_SS_EUlSR_E_NS1_11comp_targetILNS1_3genE4ELNS1_11target_archE910ELNS1_3gpuE8ELNS1_3repE0EEENS1_30default_config_static_selectorELNS0_4arch9wavefront6targetE0EEEvT1_.numbered_sgpr, 0
	.set _ZN7rocprim17ROCPRIM_400000_NS6detail17trampoline_kernelINS0_14default_configENS1_27scan_by_key_config_selectorIiiEEZZNS1_16scan_by_key_implILNS1_25lookback_scan_determinismE0ELb0ES3_N6thrust23THRUST_200600_302600_NS10device_ptrIiEESB_SB_iNS9_4plusIvEENS9_8equal_toIvEEiEE10hipError_tPvRmT2_T3_T4_T5_mT6_T7_P12ihipStream_tbENKUlT_T0_E_clISt17integral_constantIbLb1EESV_IbLb0EEEEDaSR_SS_EUlSR_E_NS1_11comp_targetILNS1_3genE4ELNS1_11target_archE910ELNS1_3gpuE8ELNS1_3repE0EEENS1_30default_config_static_selectorELNS0_4arch9wavefront6targetE0EEEvT1_.num_named_barrier, 0
	.set _ZN7rocprim17ROCPRIM_400000_NS6detail17trampoline_kernelINS0_14default_configENS1_27scan_by_key_config_selectorIiiEEZZNS1_16scan_by_key_implILNS1_25lookback_scan_determinismE0ELb0ES3_N6thrust23THRUST_200600_302600_NS10device_ptrIiEESB_SB_iNS9_4plusIvEENS9_8equal_toIvEEiEE10hipError_tPvRmT2_T3_T4_T5_mT6_T7_P12ihipStream_tbENKUlT_T0_E_clISt17integral_constantIbLb1EESV_IbLb0EEEEDaSR_SS_EUlSR_E_NS1_11comp_targetILNS1_3genE4ELNS1_11target_archE910ELNS1_3gpuE8ELNS1_3repE0EEENS1_30default_config_static_selectorELNS0_4arch9wavefront6targetE0EEEvT1_.private_seg_size, 0
	.set _ZN7rocprim17ROCPRIM_400000_NS6detail17trampoline_kernelINS0_14default_configENS1_27scan_by_key_config_selectorIiiEEZZNS1_16scan_by_key_implILNS1_25lookback_scan_determinismE0ELb0ES3_N6thrust23THRUST_200600_302600_NS10device_ptrIiEESB_SB_iNS9_4plusIvEENS9_8equal_toIvEEiEE10hipError_tPvRmT2_T3_T4_T5_mT6_T7_P12ihipStream_tbENKUlT_T0_E_clISt17integral_constantIbLb1EESV_IbLb0EEEEDaSR_SS_EUlSR_E_NS1_11comp_targetILNS1_3genE4ELNS1_11target_archE910ELNS1_3gpuE8ELNS1_3repE0EEENS1_30default_config_static_selectorELNS0_4arch9wavefront6targetE0EEEvT1_.uses_vcc, 0
	.set _ZN7rocprim17ROCPRIM_400000_NS6detail17trampoline_kernelINS0_14default_configENS1_27scan_by_key_config_selectorIiiEEZZNS1_16scan_by_key_implILNS1_25lookback_scan_determinismE0ELb0ES3_N6thrust23THRUST_200600_302600_NS10device_ptrIiEESB_SB_iNS9_4plusIvEENS9_8equal_toIvEEiEE10hipError_tPvRmT2_T3_T4_T5_mT6_T7_P12ihipStream_tbENKUlT_T0_E_clISt17integral_constantIbLb1EESV_IbLb0EEEEDaSR_SS_EUlSR_E_NS1_11comp_targetILNS1_3genE4ELNS1_11target_archE910ELNS1_3gpuE8ELNS1_3repE0EEENS1_30default_config_static_selectorELNS0_4arch9wavefront6targetE0EEEvT1_.uses_flat_scratch, 0
	.set _ZN7rocprim17ROCPRIM_400000_NS6detail17trampoline_kernelINS0_14default_configENS1_27scan_by_key_config_selectorIiiEEZZNS1_16scan_by_key_implILNS1_25lookback_scan_determinismE0ELb0ES3_N6thrust23THRUST_200600_302600_NS10device_ptrIiEESB_SB_iNS9_4plusIvEENS9_8equal_toIvEEiEE10hipError_tPvRmT2_T3_T4_T5_mT6_T7_P12ihipStream_tbENKUlT_T0_E_clISt17integral_constantIbLb1EESV_IbLb0EEEEDaSR_SS_EUlSR_E_NS1_11comp_targetILNS1_3genE4ELNS1_11target_archE910ELNS1_3gpuE8ELNS1_3repE0EEENS1_30default_config_static_selectorELNS0_4arch9wavefront6targetE0EEEvT1_.has_dyn_sized_stack, 0
	.set _ZN7rocprim17ROCPRIM_400000_NS6detail17trampoline_kernelINS0_14default_configENS1_27scan_by_key_config_selectorIiiEEZZNS1_16scan_by_key_implILNS1_25lookback_scan_determinismE0ELb0ES3_N6thrust23THRUST_200600_302600_NS10device_ptrIiEESB_SB_iNS9_4plusIvEENS9_8equal_toIvEEiEE10hipError_tPvRmT2_T3_T4_T5_mT6_T7_P12ihipStream_tbENKUlT_T0_E_clISt17integral_constantIbLb1EESV_IbLb0EEEEDaSR_SS_EUlSR_E_NS1_11comp_targetILNS1_3genE4ELNS1_11target_archE910ELNS1_3gpuE8ELNS1_3repE0EEENS1_30default_config_static_selectorELNS0_4arch9wavefront6targetE0EEEvT1_.has_recursion, 0
	.set _ZN7rocprim17ROCPRIM_400000_NS6detail17trampoline_kernelINS0_14default_configENS1_27scan_by_key_config_selectorIiiEEZZNS1_16scan_by_key_implILNS1_25lookback_scan_determinismE0ELb0ES3_N6thrust23THRUST_200600_302600_NS10device_ptrIiEESB_SB_iNS9_4plusIvEENS9_8equal_toIvEEiEE10hipError_tPvRmT2_T3_T4_T5_mT6_T7_P12ihipStream_tbENKUlT_T0_E_clISt17integral_constantIbLb1EESV_IbLb0EEEEDaSR_SS_EUlSR_E_NS1_11comp_targetILNS1_3genE4ELNS1_11target_archE910ELNS1_3gpuE8ELNS1_3repE0EEENS1_30default_config_static_selectorELNS0_4arch9wavefront6targetE0EEEvT1_.has_indirect_call, 0
	.section	.AMDGPU.csdata,"",@progbits
; Kernel info:
; codeLenInByte = 0
; TotalNumSgprs: 0
; NumVgprs: 0
; ScratchSize: 0
; MemoryBound: 0
; FloatMode: 240
; IeeeMode: 1
; LDSByteSize: 0 bytes/workgroup (compile time only)
; SGPRBlocks: 0
; VGPRBlocks: 0
; NumSGPRsForWavesPerEU: 1
; NumVGPRsForWavesPerEU: 1
; NamedBarCnt: 0
; Occupancy: 16
; WaveLimiterHint : 0
; COMPUTE_PGM_RSRC2:SCRATCH_EN: 0
; COMPUTE_PGM_RSRC2:USER_SGPR: 2
; COMPUTE_PGM_RSRC2:TRAP_HANDLER: 0
; COMPUTE_PGM_RSRC2:TGID_X_EN: 1
; COMPUTE_PGM_RSRC2:TGID_Y_EN: 0
; COMPUTE_PGM_RSRC2:TGID_Z_EN: 0
; COMPUTE_PGM_RSRC2:TIDIG_COMP_CNT: 0
	.section	.text._ZN7rocprim17ROCPRIM_400000_NS6detail17trampoline_kernelINS0_14default_configENS1_27scan_by_key_config_selectorIiiEEZZNS1_16scan_by_key_implILNS1_25lookback_scan_determinismE0ELb0ES3_N6thrust23THRUST_200600_302600_NS10device_ptrIiEESB_SB_iNS9_4plusIvEENS9_8equal_toIvEEiEE10hipError_tPvRmT2_T3_T4_T5_mT6_T7_P12ihipStream_tbENKUlT_T0_E_clISt17integral_constantIbLb1EESV_IbLb0EEEEDaSR_SS_EUlSR_E_NS1_11comp_targetILNS1_3genE3ELNS1_11target_archE908ELNS1_3gpuE7ELNS1_3repE0EEENS1_30default_config_static_selectorELNS0_4arch9wavefront6targetE0EEEvT1_,"axG",@progbits,_ZN7rocprim17ROCPRIM_400000_NS6detail17trampoline_kernelINS0_14default_configENS1_27scan_by_key_config_selectorIiiEEZZNS1_16scan_by_key_implILNS1_25lookback_scan_determinismE0ELb0ES3_N6thrust23THRUST_200600_302600_NS10device_ptrIiEESB_SB_iNS9_4plusIvEENS9_8equal_toIvEEiEE10hipError_tPvRmT2_T3_T4_T5_mT6_T7_P12ihipStream_tbENKUlT_T0_E_clISt17integral_constantIbLb1EESV_IbLb0EEEEDaSR_SS_EUlSR_E_NS1_11comp_targetILNS1_3genE3ELNS1_11target_archE908ELNS1_3gpuE7ELNS1_3repE0EEENS1_30default_config_static_selectorELNS0_4arch9wavefront6targetE0EEEvT1_,comdat
	.protected	_ZN7rocprim17ROCPRIM_400000_NS6detail17trampoline_kernelINS0_14default_configENS1_27scan_by_key_config_selectorIiiEEZZNS1_16scan_by_key_implILNS1_25lookback_scan_determinismE0ELb0ES3_N6thrust23THRUST_200600_302600_NS10device_ptrIiEESB_SB_iNS9_4plusIvEENS9_8equal_toIvEEiEE10hipError_tPvRmT2_T3_T4_T5_mT6_T7_P12ihipStream_tbENKUlT_T0_E_clISt17integral_constantIbLb1EESV_IbLb0EEEEDaSR_SS_EUlSR_E_NS1_11comp_targetILNS1_3genE3ELNS1_11target_archE908ELNS1_3gpuE7ELNS1_3repE0EEENS1_30default_config_static_selectorELNS0_4arch9wavefront6targetE0EEEvT1_ ; -- Begin function _ZN7rocprim17ROCPRIM_400000_NS6detail17trampoline_kernelINS0_14default_configENS1_27scan_by_key_config_selectorIiiEEZZNS1_16scan_by_key_implILNS1_25lookback_scan_determinismE0ELb0ES3_N6thrust23THRUST_200600_302600_NS10device_ptrIiEESB_SB_iNS9_4plusIvEENS9_8equal_toIvEEiEE10hipError_tPvRmT2_T3_T4_T5_mT6_T7_P12ihipStream_tbENKUlT_T0_E_clISt17integral_constantIbLb1EESV_IbLb0EEEEDaSR_SS_EUlSR_E_NS1_11comp_targetILNS1_3genE3ELNS1_11target_archE908ELNS1_3gpuE7ELNS1_3repE0EEENS1_30default_config_static_selectorELNS0_4arch9wavefront6targetE0EEEvT1_
	.globl	_ZN7rocprim17ROCPRIM_400000_NS6detail17trampoline_kernelINS0_14default_configENS1_27scan_by_key_config_selectorIiiEEZZNS1_16scan_by_key_implILNS1_25lookback_scan_determinismE0ELb0ES3_N6thrust23THRUST_200600_302600_NS10device_ptrIiEESB_SB_iNS9_4plusIvEENS9_8equal_toIvEEiEE10hipError_tPvRmT2_T3_T4_T5_mT6_T7_P12ihipStream_tbENKUlT_T0_E_clISt17integral_constantIbLb1EESV_IbLb0EEEEDaSR_SS_EUlSR_E_NS1_11comp_targetILNS1_3genE3ELNS1_11target_archE908ELNS1_3gpuE7ELNS1_3repE0EEENS1_30default_config_static_selectorELNS0_4arch9wavefront6targetE0EEEvT1_
	.p2align	8
	.type	_ZN7rocprim17ROCPRIM_400000_NS6detail17trampoline_kernelINS0_14default_configENS1_27scan_by_key_config_selectorIiiEEZZNS1_16scan_by_key_implILNS1_25lookback_scan_determinismE0ELb0ES3_N6thrust23THRUST_200600_302600_NS10device_ptrIiEESB_SB_iNS9_4plusIvEENS9_8equal_toIvEEiEE10hipError_tPvRmT2_T3_T4_T5_mT6_T7_P12ihipStream_tbENKUlT_T0_E_clISt17integral_constantIbLb1EESV_IbLb0EEEEDaSR_SS_EUlSR_E_NS1_11comp_targetILNS1_3genE3ELNS1_11target_archE908ELNS1_3gpuE7ELNS1_3repE0EEENS1_30default_config_static_selectorELNS0_4arch9wavefront6targetE0EEEvT1_,@function
_ZN7rocprim17ROCPRIM_400000_NS6detail17trampoline_kernelINS0_14default_configENS1_27scan_by_key_config_selectorIiiEEZZNS1_16scan_by_key_implILNS1_25lookback_scan_determinismE0ELb0ES3_N6thrust23THRUST_200600_302600_NS10device_ptrIiEESB_SB_iNS9_4plusIvEENS9_8equal_toIvEEiEE10hipError_tPvRmT2_T3_T4_T5_mT6_T7_P12ihipStream_tbENKUlT_T0_E_clISt17integral_constantIbLb1EESV_IbLb0EEEEDaSR_SS_EUlSR_E_NS1_11comp_targetILNS1_3genE3ELNS1_11target_archE908ELNS1_3gpuE7ELNS1_3repE0EEENS1_30default_config_static_selectorELNS0_4arch9wavefront6targetE0EEEvT1_: ; @_ZN7rocprim17ROCPRIM_400000_NS6detail17trampoline_kernelINS0_14default_configENS1_27scan_by_key_config_selectorIiiEEZZNS1_16scan_by_key_implILNS1_25lookback_scan_determinismE0ELb0ES3_N6thrust23THRUST_200600_302600_NS10device_ptrIiEESB_SB_iNS9_4plusIvEENS9_8equal_toIvEEiEE10hipError_tPvRmT2_T3_T4_T5_mT6_T7_P12ihipStream_tbENKUlT_T0_E_clISt17integral_constantIbLb1EESV_IbLb0EEEEDaSR_SS_EUlSR_E_NS1_11comp_targetILNS1_3genE3ELNS1_11target_archE908ELNS1_3gpuE7ELNS1_3repE0EEENS1_30default_config_static_selectorELNS0_4arch9wavefront6targetE0EEEvT1_
; %bb.0:
	.section	.rodata,"a",@progbits
	.p2align	6, 0x0
	.amdhsa_kernel _ZN7rocprim17ROCPRIM_400000_NS6detail17trampoline_kernelINS0_14default_configENS1_27scan_by_key_config_selectorIiiEEZZNS1_16scan_by_key_implILNS1_25lookback_scan_determinismE0ELb0ES3_N6thrust23THRUST_200600_302600_NS10device_ptrIiEESB_SB_iNS9_4plusIvEENS9_8equal_toIvEEiEE10hipError_tPvRmT2_T3_T4_T5_mT6_T7_P12ihipStream_tbENKUlT_T0_E_clISt17integral_constantIbLb1EESV_IbLb0EEEEDaSR_SS_EUlSR_E_NS1_11comp_targetILNS1_3genE3ELNS1_11target_archE908ELNS1_3gpuE7ELNS1_3repE0EEENS1_30default_config_static_selectorELNS0_4arch9wavefront6targetE0EEEvT1_
		.amdhsa_group_segment_fixed_size 0
		.amdhsa_private_segment_fixed_size 0
		.amdhsa_kernarg_size 112
		.amdhsa_user_sgpr_count 2
		.amdhsa_user_sgpr_dispatch_ptr 0
		.amdhsa_user_sgpr_queue_ptr 0
		.amdhsa_user_sgpr_kernarg_segment_ptr 1
		.amdhsa_user_sgpr_dispatch_id 0
		.amdhsa_user_sgpr_kernarg_preload_length 0
		.amdhsa_user_sgpr_kernarg_preload_offset 0
		.amdhsa_user_sgpr_private_segment_size 0
		.amdhsa_wavefront_size32 1
		.amdhsa_uses_dynamic_stack 0
		.amdhsa_enable_private_segment 0
		.amdhsa_system_sgpr_workgroup_id_x 1
		.amdhsa_system_sgpr_workgroup_id_y 0
		.amdhsa_system_sgpr_workgroup_id_z 0
		.amdhsa_system_sgpr_workgroup_info 0
		.amdhsa_system_vgpr_workitem_id 0
		.amdhsa_next_free_vgpr 1
		.amdhsa_next_free_sgpr 1
		.amdhsa_named_barrier_count 0
		.amdhsa_reserve_vcc 0
		.amdhsa_float_round_mode_32 0
		.amdhsa_float_round_mode_16_64 0
		.amdhsa_float_denorm_mode_32 3
		.amdhsa_float_denorm_mode_16_64 3
		.amdhsa_fp16_overflow 0
		.amdhsa_memory_ordered 1
		.amdhsa_forward_progress 1
		.amdhsa_inst_pref_size 0
		.amdhsa_round_robin_scheduling 0
		.amdhsa_exception_fp_ieee_invalid_op 0
		.amdhsa_exception_fp_denorm_src 0
		.amdhsa_exception_fp_ieee_div_zero 0
		.amdhsa_exception_fp_ieee_overflow 0
		.amdhsa_exception_fp_ieee_underflow 0
		.amdhsa_exception_fp_ieee_inexact 0
		.amdhsa_exception_int_div_zero 0
	.end_amdhsa_kernel
	.section	.text._ZN7rocprim17ROCPRIM_400000_NS6detail17trampoline_kernelINS0_14default_configENS1_27scan_by_key_config_selectorIiiEEZZNS1_16scan_by_key_implILNS1_25lookback_scan_determinismE0ELb0ES3_N6thrust23THRUST_200600_302600_NS10device_ptrIiEESB_SB_iNS9_4plusIvEENS9_8equal_toIvEEiEE10hipError_tPvRmT2_T3_T4_T5_mT6_T7_P12ihipStream_tbENKUlT_T0_E_clISt17integral_constantIbLb1EESV_IbLb0EEEEDaSR_SS_EUlSR_E_NS1_11comp_targetILNS1_3genE3ELNS1_11target_archE908ELNS1_3gpuE7ELNS1_3repE0EEENS1_30default_config_static_selectorELNS0_4arch9wavefront6targetE0EEEvT1_,"axG",@progbits,_ZN7rocprim17ROCPRIM_400000_NS6detail17trampoline_kernelINS0_14default_configENS1_27scan_by_key_config_selectorIiiEEZZNS1_16scan_by_key_implILNS1_25lookback_scan_determinismE0ELb0ES3_N6thrust23THRUST_200600_302600_NS10device_ptrIiEESB_SB_iNS9_4plusIvEENS9_8equal_toIvEEiEE10hipError_tPvRmT2_T3_T4_T5_mT6_T7_P12ihipStream_tbENKUlT_T0_E_clISt17integral_constantIbLb1EESV_IbLb0EEEEDaSR_SS_EUlSR_E_NS1_11comp_targetILNS1_3genE3ELNS1_11target_archE908ELNS1_3gpuE7ELNS1_3repE0EEENS1_30default_config_static_selectorELNS0_4arch9wavefront6targetE0EEEvT1_,comdat
.Lfunc_end2218:
	.size	_ZN7rocprim17ROCPRIM_400000_NS6detail17trampoline_kernelINS0_14default_configENS1_27scan_by_key_config_selectorIiiEEZZNS1_16scan_by_key_implILNS1_25lookback_scan_determinismE0ELb0ES3_N6thrust23THRUST_200600_302600_NS10device_ptrIiEESB_SB_iNS9_4plusIvEENS9_8equal_toIvEEiEE10hipError_tPvRmT2_T3_T4_T5_mT6_T7_P12ihipStream_tbENKUlT_T0_E_clISt17integral_constantIbLb1EESV_IbLb0EEEEDaSR_SS_EUlSR_E_NS1_11comp_targetILNS1_3genE3ELNS1_11target_archE908ELNS1_3gpuE7ELNS1_3repE0EEENS1_30default_config_static_selectorELNS0_4arch9wavefront6targetE0EEEvT1_, .Lfunc_end2218-_ZN7rocprim17ROCPRIM_400000_NS6detail17trampoline_kernelINS0_14default_configENS1_27scan_by_key_config_selectorIiiEEZZNS1_16scan_by_key_implILNS1_25lookback_scan_determinismE0ELb0ES3_N6thrust23THRUST_200600_302600_NS10device_ptrIiEESB_SB_iNS9_4plusIvEENS9_8equal_toIvEEiEE10hipError_tPvRmT2_T3_T4_T5_mT6_T7_P12ihipStream_tbENKUlT_T0_E_clISt17integral_constantIbLb1EESV_IbLb0EEEEDaSR_SS_EUlSR_E_NS1_11comp_targetILNS1_3genE3ELNS1_11target_archE908ELNS1_3gpuE7ELNS1_3repE0EEENS1_30default_config_static_selectorELNS0_4arch9wavefront6targetE0EEEvT1_
                                        ; -- End function
	.set _ZN7rocprim17ROCPRIM_400000_NS6detail17trampoline_kernelINS0_14default_configENS1_27scan_by_key_config_selectorIiiEEZZNS1_16scan_by_key_implILNS1_25lookback_scan_determinismE0ELb0ES3_N6thrust23THRUST_200600_302600_NS10device_ptrIiEESB_SB_iNS9_4plusIvEENS9_8equal_toIvEEiEE10hipError_tPvRmT2_T3_T4_T5_mT6_T7_P12ihipStream_tbENKUlT_T0_E_clISt17integral_constantIbLb1EESV_IbLb0EEEEDaSR_SS_EUlSR_E_NS1_11comp_targetILNS1_3genE3ELNS1_11target_archE908ELNS1_3gpuE7ELNS1_3repE0EEENS1_30default_config_static_selectorELNS0_4arch9wavefront6targetE0EEEvT1_.num_vgpr, 0
	.set _ZN7rocprim17ROCPRIM_400000_NS6detail17trampoline_kernelINS0_14default_configENS1_27scan_by_key_config_selectorIiiEEZZNS1_16scan_by_key_implILNS1_25lookback_scan_determinismE0ELb0ES3_N6thrust23THRUST_200600_302600_NS10device_ptrIiEESB_SB_iNS9_4plusIvEENS9_8equal_toIvEEiEE10hipError_tPvRmT2_T3_T4_T5_mT6_T7_P12ihipStream_tbENKUlT_T0_E_clISt17integral_constantIbLb1EESV_IbLb0EEEEDaSR_SS_EUlSR_E_NS1_11comp_targetILNS1_3genE3ELNS1_11target_archE908ELNS1_3gpuE7ELNS1_3repE0EEENS1_30default_config_static_selectorELNS0_4arch9wavefront6targetE0EEEvT1_.num_agpr, 0
	.set _ZN7rocprim17ROCPRIM_400000_NS6detail17trampoline_kernelINS0_14default_configENS1_27scan_by_key_config_selectorIiiEEZZNS1_16scan_by_key_implILNS1_25lookback_scan_determinismE0ELb0ES3_N6thrust23THRUST_200600_302600_NS10device_ptrIiEESB_SB_iNS9_4plusIvEENS9_8equal_toIvEEiEE10hipError_tPvRmT2_T3_T4_T5_mT6_T7_P12ihipStream_tbENKUlT_T0_E_clISt17integral_constantIbLb1EESV_IbLb0EEEEDaSR_SS_EUlSR_E_NS1_11comp_targetILNS1_3genE3ELNS1_11target_archE908ELNS1_3gpuE7ELNS1_3repE0EEENS1_30default_config_static_selectorELNS0_4arch9wavefront6targetE0EEEvT1_.numbered_sgpr, 0
	.set _ZN7rocprim17ROCPRIM_400000_NS6detail17trampoline_kernelINS0_14default_configENS1_27scan_by_key_config_selectorIiiEEZZNS1_16scan_by_key_implILNS1_25lookback_scan_determinismE0ELb0ES3_N6thrust23THRUST_200600_302600_NS10device_ptrIiEESB_SB_iNS9_4plusIvEENS9_8equal_toIvEEiEE10hipError_tPvRmT2_T3_T4_T5_mT6_T7_P12ihipStream_tbENKUlT_T0_E_clISt17integral_constantIbLb1EESV_IbLb0EEEEDaSR_SS_EUlSR_E_NS1_11comp_targetILNS1_3genE3ELNS1_11target_archE908ELNS1_3gpuE7ELNS1_3repE0EEENS1_30default_config_static_selectorELNS0_4arch9wavefront6targetE0EEEvT1_.num_named_barrier, 0
	.set _ZN7rocprim17ROCPRIM_400000_NS6detail17trampoline_kernelINS0_14default_configENS1_27scan_by_key_config_selectorIiiEEZZNS1_16scan_by_key_implILNS1_25lookback_scan_determinismE0ELb0ES3_N6thrust23THRUST_200600_302600_NS10device_ptrIiEESB_SB_iNS9_4plusIvEENS9_8equal_toIvEEiEE10hipError_tPvRmT2_T3_T4_T5_mT6_T7_P12ihipStream_tbENKUlT_T0_E_clISt17integral_constantIbLb1EESV_IbLb0EEEEDaSR_SS_EUlSR_E_NS1_11comp_targetILNS1_3genE3ELNS1_11target_archE908ELNS1_3gpuE7ELNS1_3repE0EEENS1_30default_config_static_selectorELNS0_4arch9wavefront6targetE0EEEvT1_.private_seg_size, 0
	.set _ZN7rocprim17ROCPRIM_400000_NS6detail17trampoline_kernelINS0_14default_configENS1_27scan_by_key_config_selectorIiiEEZZNS1_16scan_by_key_implILNS1_25lookback_scan_determinismE0ELb0ES3_N6thrust23THRUST_200600_302600_NS10device_ptrIiEESB_SB_iNS9_4plusIvEENS9_8equal_toIvEEiEE10hipError_tPvRmT2_T3_T4_T5_mT6_T7_P12ihipStream_tbENKUlT_T0_E_clISt17integral_constantIbLb1EESV_IbLb0EEEEDaSR_SS_EUlSR_E_NS1_11comp_targetILNS1_3genE3ELNS1_11target_archE908ELNS1_3gpuE7ELNS1_3repE0EEENS1_30default_config_static_selectorELNS0_4arch9wavefront6targetE0EEEvT1_.uses_vcc, 0
	.set _ZN7rocprim17ROCPRIM_400000_NS6detail17trampoline_kernelINS0_14default_configENS1_27scan_by_key_config_selectorIiiEEZZNS1_16scan_by_key_implILNS1_25lookback_scan_determinismE0ELb0ES3_N6thrust23THRUST_200600_302600_NS10device_ptrIiEESB_SB_iNS9_4plusIvEENS9_8equal_toIvEEiEE10hipError_tPvRmT2_T3_T4_T5_mT6_T7_P12ihipStream_tbENKUlT_T0_E_clISt17integral_constantIbLb1EESV_IbLb0EEEEDaSR_SS_EUlSR_E_NS1_11comp_targetILNS1_3genE3ELNS1_11target_archE908ELNS1_3gpuE7ELNS1_3repE0EEENS1_30default_config_static_selectorELNS0_4arch9wavefront6targetE0EEEvT1_.uses_flat_scratch, 0
	.set _ZN7rocprim17ROCPRIM_400000_NS6detail17trampoline_kernelINS0_14default_configENS1_27scan_by_key_config_selectorIiiEEZZNS1_16scan_by_key_implILNS1_25lookback_scan_determinismE0ELb0ES3_N6thrust23THRUST_200600_302600_NS10device_ptrIiEESB_SB_iNS9_4plusIvEENS9_8equal_toIvEEiEE10hipError_tPvRmT2_T3_T4_T5_mT6_T7_P12ihipStream_tbENKUlT_T0_E_clISt17integral_constantIbLb1EESV_IbLb0EEEEDaSR_SS_EUlSR_E_NS1_11comp_targetILNS1_3genE3ELNS1_11target_archE908ELNS1_3gpuE7ELNS1_3repE0EEENS1_30default_config_static_selectorELNS0_4arch9wavefront6targetE0EEEvT1_.has_dyn_sized_stack, 0
	.set _ZN7rocprim17ROCPRIM_400000_NS6detail17trampoline_kernelINS0_14default_configENS1_27scan_by_key_config_selectorIiiEEZZNS1_16scan_by_key_implILNS1_25lookback_scan_determinismE0ELb0ES3_N6thrust23THRUST_200600_302600_NS10device_ptrIiEESB_SB_iNS9_4plusIvEENS9_8equal_toIvEEiEE10hipError_tPvRmT2_T3_T4_T5_mT6_T7_P12ihipStream_tbENKUlT_T0_E_clISt17integral_constantIbLb1EESV_IbLb0EEEEDaSR_SS_EUlSR_E_NS1_11comp_targetILNS1_3genE3ELNS1_11target_archE908ELNS1_3gpuE7ELNS1_3repE0EEENS1_30default_config_static_selectorELNS0_4arch9wavefront6targetE0EEEvT1_.has_recursion, 0
	.set _ZN7rocprim17ROCPRIM_400000_NS6detail17trampoline_kernelINS0_14default_configENS1_27scan_by_key_config_selectorIiiEEZZNS1_16scan_by_key_implILNS1_25lookback_scan_determinismE0ELb0ES3_N6thrust23THRUST_200600_302600_NS10device_ptrIiEESB_SB_iNS9_4plusIvEENS9_8equal_toIvEEiEE10hipError_tPvRmT2_T3_T4_T5_mT6_T7_P12ihipStream_tbENKUlT_T0_E_clISt17integral_constantIbLb1EESV_IbLb0EEEEDaSR_SS_EUlSR_E_NS1_11comp_targetILNS1_3genE3ELNS1_11target_archE908ELNS1_3gpuE7ELNS1_3repE0EEENS1_30default_config_static_selectorELNS0_4arch9wavefront6targetE0EEEvT1_.has_indirect_call, 0
	.section	.AMDGPU.csdata,"",@progbits
; Kernel info:
; codeLenInByte = 0
; TotalNumSgprs: 0
; NumVgprs: 0
; ScratchSize: 0
; MemoryBound: 0
; FloatMode: 240
; IeeeMode: 1
; LDSByteSize: 0 bytes/workgroup (compile time only)
; SGPRBlocks: 0
; VGPRBlocks: 0
; NumSGPRsForWavesPerEU: 1
; NumVGPRsForWavesPerEU: 1
; NamedBarCnt: 0
; Occupancy: 16
; WaveLimiterHint : 0
; COMPUTE_PGM_RSRC2:SCRATCH_EN: 0
; COMPUTE_PGM_RSRC2:USER_SGPR: 2
; COMPUTE_PGM_RSRC2:TRAP_HANDLER: 0
; COMPUTE_PGM_RSRC2:TGID_X_EN: 1
; COMPUTE_PGM_RSRC2:TGID_Y_EN: 0
; COMPUTE_PGM_RSRC2:TGID_Z_EN: 0
; COMPUTE_PGM_RSRC2:TIDIG_COMP_CNT: 0
	.section	.text._ZN7rocprim17ROCPRIM_400000_NS6detail17trampoline_kernelINS0_14default_configENS1_27scan_by_key_config_selectorIiiEEZZNS1_16scan_by_key_implILNS1_25lookback_scan_determinismE0ELb0ES3_N6thrust23THRUST_200600_302600_NS10device_ptrIiEESB_SB_iNS9_4plusIvEENS9_8equal_toIvEEiEE10hipError_tPvRmT2_T3_T4_T5_mT6_T7_P12ihipStream_tbENKUlT_T0_E_clISt17integral_constantIbLb1EESV_IbLb0EEEEDaSR_SS_EUlSR_E_NS1_11comp_targetILNS1_3genE2ELNS1_11target_archE906ELNS1_3gpuE6ELNS1_3repE0EEENS1_30default_config_static_selectorELNS0_4arch9wavefront6targetE0EEEvT1_,"axG",@progbits,_ZN7rocprim17ROCPRIM_400000_NS6detail17trampoline_kernelINS0_14default_configENS1_27scan_by_key_config_selectorIiiEEZZNS1_16scan_by_key_implILNS1_25lookback_scan_determinismE0ELb0ES3_N6thrust23THRUST_200600_302600_NS10device_ptrIiEESB_SB_iNS9_4plusIvEENS9_8equal_toIvEEiEE10hipError_tPvRmT2_T3_T4_T5_mT6_T7_P12ihipStream_tbENKUlT_T0_E_clISt17integral_constantIbLb1EESV_IbLb0EEEEDaSR_SS_EUlSR_E_NS1_11comp_targetILNS1_3genE2ELNS1_11target_archE906ELNS1_3gpuE6ELNS1_3repE0EEENS1_30default_config_static_selectorELNS0_4arch9wavefront6targetE0EEEvT1_,comdat
	.protected	_ZN7rocprim17ROCPRIM_400000_NS6detail17trampoline_kernelINS0_14default_configENS1_27scan_by_key_config_selectorIiiEEZZNS1_16scan_by_key_implILNS1_25lookback_scan_determinismE0ELb0ES3_N6thrust23THRUST_200600_302600_NS10device_ptrIiEESB_SB_iNS9_4plusIvEENS9_8equal_toIvEEiEE10hipError_tPvRmT2_T3_T4_T5_mT6_T7_P12ihipStream_tbENKUlT_T0_E_clISt17integral_constantIbLb1EESV_IbLb0EEEEDaSR_SS_EUlSR_E_NS1_11comp_targetILNS1_3genE2ELNS1_11target_archE906ELNS1_3gpuE6ELNS1_3repE0EEENS1_30default_config_static_selectorELNS0_4arch9wavefront6targetE0EEEvT1_ ; -- Begin function _ZN7rocprim17ROCPRIM_400000_NS6detail17trampoline_kernelINS0_14default_configENS1_27scan_by_key_config_selectorIiiEEZZNS1_16scan_by_key_implILNS1_25lookback_scan_determinismE0ELb0ES3_N6thrust23THRUST_200600_302600_NS10device_ptrIiEESB_SB_iNS9_4plusIvEENS9_8equal_toIvEEiEE10hipError_tPvRmT2_T3_T4_T5_mT6_T7_P12ihipStream_tbENKUlT_T0_E_clISt17integral_constantIbLb1EESV_IbLb0EEEEDaSR_SS_EUlSR_E_NS1_11comp_targetILNS1_3genE2ELNS1_11target_archE906ELNS1_3gpuE6ELNS1_3repE0EEENS1_30default_config_static_selectorELNS0_4arch9wavefront6targetE0EEEvT1_
	.globl	_ZN7rocprim17ROCPRIM_400000_NS6detail17trampoline_kernelINS0_14default_configENS1_27scan_by_key_config_selectorIiiEEZZNS1_16scan_by_key_implILNS1_25lookback_scan_determinismE0ELb0ES3_N6thrust23THRUST_200600_302600_NS10device_ptrIiEESB_SB_iNS9_4plusIvEENS9_8equal_toIvEEiEE10hipError_tPvRmT2_T3_T4_T5_mT6_T7_P12ihipStream_tbENKUlT_T0_E_clISt17integral_constantIbLb1EESV_IbLb0EEEEDaSR_SS_EUlSR_E_NS1_11comp_targetILNS1_3genE2ELNS1_11target_archE906ELNS1_3gpuE6ELNS1_3repE0EEENS1_30default_config_static_selectorELNS0_4arch9wavefront6targetE0EEEvT1_
	.p2align	8
	.type	_ZN7rocprim17ROCPRIM_400000_NS6detail17trampoline_kernelINS0_14default_configENS1_27scan_by_key_config_selectorIiiEEZZNS1_16scan_by_key_implILNS1_25lookback_scan_determinismE0ELb0ES3_N6thrust23THRUST_200600_302600_NS10device_ptrIiEESB_SB_iNS9_4plusIvEENS9_8equal_toIvEEiEE10hipError_tPvRmT2_T3_T4_T5_mT6_T7_P12ihipStream_tbENKUlT_T0_E_clISt17integral_constantIbLb1EESV_IbLb0EEEEDaSR_SS_EUlSR_E_NS1_11comp_targetILNS1_3genE2ELNS1_11target_archE906ELNS1_3gpuE6ELNS1_3repE0EEENS1_30default_config_static_selectorELNS0_4arch9wavefront6targetE0EEEvT1_,@function
_ZN7rocprim17ROCPRIM_400000_NS6detail17trampoline_kernelINS0_14default_configENS1_27scan_by_key_config_selectorIiiEEZZNS1_16scan_by_key_implILNS1_25lookback_scan_determinismE0ELb0ES3_N6thrust23THRUST_200600_302600_NS10device_ptrIiEESB_SB_iNS9_4plusIvEENS9_8equal_toIvEEiEE10hipError_tPvRmT2_T3_T4_T5_mT6_T7_P12ihipStream_tbENKUlT_T0_E_clISt17integral_constantIbLb1EESV_IbLb0EEEEDaSR_SS_EUlSR_E_NS1_11comp_targetILNS1_3genE2ELNS1_11target_archE906ELNS1_3gpuE6ELNS1_3repE0EEENS1_30default_config_static_selectorELNS0_4arch9wavefront6targetE0EEEvT1_: ; @_ZN7rocprim17ROCPRIM_400000_NS6detail17trampoline_kernelINS0_14default_configENS1_27scan_by_key_config_selectorIiiEEZZNS1_16scan_by_key_implILNS1_25lookback_scan_determinismE0ELb0ES3_N6thrust23THRUST_200600_302600_NS10device_ptrIiEESB_SB_iNS9_4plusIvEENS9_8equal_toIvEEiEE10hipError_tPvRmT2_T3_T4_T5_mT6_T7_P12ihipStream_tbENKUlT_T0_E_clISt17integral_constantIbLb1EESV_IbLb0EEEEDaSR_SS_EUlSR_E_NS1_11comp_targetILNS1_3genE2ELNS1_11target_archE906ELNS1_3gpuE6ELNS1_3repE0EEENS1_30default_config_static_selectorELNS0_4arch9wavefront6targetE0EEEvT1_
; %bb.0:
	.section	.rodata,"a",@progbits
	.p2align	6, 0x0
	.amdhsa_kernel _ZN7rocprim17ROCPRIM_400000_NS6detail17trampoline_kernelINS0_14default_configENS1_27scan_by_key_config_selectorIiiEEZZNS1_16scan_by_key_implILNS1_25lookback_scan_determinismE0ELb0ES3_N6thrust23THRUST_200600_302600_NS10device_ptrIiEESB_SB_iNS9_4plusIvEENS9_8equal_toIvEEiEE10hipError_tPvRmT2_T3_T4_T5_mT6_T7_P12ihipStream_tbENKUlT_T0_E_clISt17integral_constantIbLb1EESV_IbLb0EEEEDaSR_SS_EUlSR_E_NS1_11comp_targetILNS1_3genE2ELNS1_11target_archE906ELNS1_3gpuE6ELNS1_3repE0EEENS1_30default_config_static_selectorELNS0_4arch9wavefront6targetE0EEEvT1_
		.amdhsa_group_segment_fixed_size 0
		.amdhsa_private_segment_fixed_size 0
		.amdhsa_kernarg_size 112
		.amdhsa_user_sgpr_count 2
		.amdhsa_user_sgpr_dispatch_ptr 0
		.amdhsa_user_sgpr_queue_ptr 0
		.amdhsa_user_sgpr_kernarg_segment_ptr 1
		.amdhsa_user_sgpr_dispatch_id 0
		.amdhsa_user_sgpr_kernarg_preload_length 0
		.amdhsa_user_sgpr_kernarg_preload_offset 0
		.amdhsa_user_sgpr_private_segment_size 0
		.amdhsa_wavefront_size32 1
		.amdhsa_uses_dynamic_stack 0
		.amdhsa_enable_private_segment 0
		.amdhsa_system_sgpr_workgroup_id_x 1
		.amdhsa_system_sgpr_workgroup_id_y 0
		.amdhsa_system_sgpr_workgroup_id_z 0
		.amdhsa_system_sgpr_workgroup_info 0
		.amdhsa_system_vgpr_workitem_id 0
		.amdhsa_next_free_vgpr 1
		.amdhsa_next_free_sgpr 1
		.amdhsa_named_barrier_count 0
		.amdhsa_reserve_vcc 0
		.amdhsa_float_round_mode_32 0
		.amdhsa_float_round_mode_16_64 0
		.amdhsa_float_denorm_mode_32 3
		.amdhsa_float_denorm_mode_16_64 3
		.amdhsa_fp16_overflow 0
		.amdhsa_memory_ordered 1
		.amdhsa_forward_progress 1
		.amdhsa_inst_pref_size 0
		.amdhsa_round_robin_scheduling 0
		.amdhsa_exception_fp_ieee_invalid_op 0
		.amdhsa_exception_fp_denorm_src 0
		.amdhsa_exception_fp_ieee_div_zero 0
		.amdhsa_exception_fp_ieee_overflow 0
		.amdhsa_exception_fp_ieee_underflow 0
		.amdhsa_exception_fp_ieee_inexact 0
		.amdhsa_exception_int_div_zero 0
	.end_amdhsa_kernel
	.section	.text._ZN7rocprim17ROCPRIM_400000_NS6detail17trampoline_kernelINS0_14default_configENS1_27scan_by_key_config_selectorIiiEEZZNS1_16scan_by_key_implILNS1_25lookback_scan_determinismE0ELb0ES3_N6thrust23THRUST_200600_302600_NS10device_ptrIiEESB_SB_iNS9_4plusIvEENS9_8equal_toIvEEiEE10hipError_tPvRmT2_T3_T4_T5_mT6_T7_P12ihipStream_tbENKUlT_T0_E_clISt17integral_constantIbLb1EESV_IbLb0EEEEDaSR_SS_EUlSR_E_NS1_11comp_targetILNS1_3genE2ELNS1_11target_archE906ELNS1_3gpuE6ELNS1_3repE0EEENS1_30default_config_static_selectorELNS0_4arch9wavefront6targetE0EEEvT1_,"axG",@progbits,_ZN7rocprim17ROCPRIM_400000_NS6detail17trampoline_kernelINS0_14default_configENS1_27scan_by_key_config_selectorIiiEEZZNS1_16scan_by_key_implILNS1_25lookback_scan_determinismE0ELb0ES3_N6thrust23THRUST_200600_302600_NS10device_ptrIiEESB_SB_iNS9_4plusIvEENS9_8equal_toIvEEiEE10hipError_tPvRmT2_T3_T4_T5_mT6_T7_P12ihipStream_tbENKUlT_T0_E_clISt17integral_constantIbLb1EESV_IbLb0EEEEDaSR_SS_EUlSR_E_NS1_11comp_targetILNS1_3genE2ELNS1_11target_archE906ELNS1_3gpuE6ELNS1_3repE0EEENS1_30default_config_static_selectorELNS0_4arch9wavefront6targetE0EEEvT1_,comdat
.Lfunc_end2219:
	.size	_ZN7rocprim17ROCPRIM_400000_NS6detail17trampoline_kernelINS0_14default_configENS1_27scan_by_key_config_selectorIiiEEZZNS1_16scan_by_key_implILNS1_25lookback_scan_determinismE0ELb0ES3_N6thrust23THRUST_200600_302600_NS10device_ptrIiEESB_SB_iNS9_4plusIvEENS9_8equal_toIvEEiEE10hipError_tPvRmT2_T3_T4_T5_mT6_T7_P12ihipStream_tbENKUlT_T0_E_clISt17integral_constantIbLb1EESV_IbLb0EEEEDaSR_SS_EUlSR_E_NS1_11comp_targetILNS1_3genE2ELNS1_11target_archE906ELNS1_3gpuE6ELNS1_3repE0EEENS1_30default_config_static_selectorELNS0_4arch9wavefront6targetE0EEEvT1_, .Lfunc_end2219-_ZN7rocprim17ROCPRIM_400000_NS6detail17trampoline_kernelINS0_14default_configENS1_27scan_by_key_config_selectorIiiEEZZNS1_16scan_by_key_implILNS1_25lookback_scan_determinismE0ELb0ES3_N6thrust23THRUST_200600_302600_NS10device_ptrIiEESB_SB_iNS9_4plusIvEENS9_8equal_toIvEEiEE10hipError_tPvRmT2_T3_T4_T5_mT6_T7_P12ihipStream_tbENKUlT_T0_E_clISt17integral_constantIbLb1EESV_IbLb0EEEEDaSR_SS_EUlSR_E_NS1_11comp_targetILNS1_3genE2ELNS1_11target_archE906ELNS1_3gpuE6ELNS1_3repE0EEENS1_30default_config_static_selectorELNS0_4arch9wavefront6targetE0EEEvT1_
                                        ; -- End function
	.set _ZN7rocprim17ROCPRIM_400000_NS6detail17trampoline_kernelINS0_14default_configENS1_27scan_by_key_config_selectorIiiEEZZNS1_16scan_by_key_implILNS1_25lookback_scan_determinismE0ELb0ES3_N6thrust23THRUST_200600_302600_NS10device_ptrIiEESB_SB_iNS9_4plusIvEENS9_8equal_toIvEEiEE10hipError_tPvRmT2_T3_T4_T5_mT6_T7_P12ihipStream_tbENKUlT_T0_E_clISt17integral_constantIbLb1EESV_IbLb0EEEEDaSR_SS_EUlSR_E_NS1_11comp_targetILNS1_3genE2ELNS1_11target_archE906ELNS1_3gpuE6ELNS1_3repE0EEENS1_30default_config_static_selectorELNS0_4arch9wavefront6targetE0EEEvT1_.num_vgpr, 0
	.set _ZN7rocprim17ROCPRIM_400000_NS6detail17trampoline_kernelINS0_14default_configENS1_27scan_by_key_config_selectorIiiEEZZNS1_16scan_by_key_implILNS1_25lookback_scan_determinismE0ELb0ES3_N6thrust23THRUST_200600_302600_NS10device_ptrIiEESB_SB_iNS9_4plusIvEENS9_8equal_toIvEEiEE10hipError_tPvRmT2_T3_T4_T5_mT6_T7_P12ihipStream_tbENKUlT_T0_E_clISt17integral_constantIbLb1EESV_IbLb0EEEEDaSR_SS_EUlSR_E_NS1_11comp_targetILNS1_3genE2ELNS1_11target_archE906ELNS1_3gpuE6ELNS1_3repE0EEENS1_30default_config_static_selectorELNS0_4arch9wavefront6targetE0EEEvT1_.num_agpr, 0
	.set _ZN7rocprim17ROCPRIM_400000_NS6detail17trampoline_kernelINS0_14default_configENS1_27scan_by_key_config_selectorIiiEEZZNS1_16scan_by_key_implILNS1_25lookback_scan_determinismE0ELb0ES3_N6thrust23THRUST_200600_302600_NS10device_ptrIiEESB_SB_iNS9_4plusIvEENS9_8equal_toIvEEiEE10hipError_tPvRmT2_T3_T4_T5_mT6_T7_P12ihipStream_tbENKUlT_T0_E_clISt17integral_constantIbLb1EESV_IbLb0EEEEDaSR_SS_EUlSR_E_NS1_11comp_targetILNS1_3genE2ELNS1_11target_archE906ELNS1_3gpuE6ELNS1_3repE0EEENS1_30default_config_static_selectorELNS0_4arch9wavefront6targetE0EEEvT1_.numbered_sgpr, 0
	.set _ZN7rocprim17ROCPRIM_400000_NS6detail17trampoline_kernelINS0_14default_configENS1_27scan_by_key_config_selectorIiiEEZZNS1_16scan_by_key_implILNS1_25lookback_scan_determinismE0ELb0ES3_N6thrust23THRUST_200600_302600_NS10device_ptrIiEESB_SB_iNS9_4plusIvEENS9_8equal_toIvEEiEE10hipError_tPvRmT2_T3_T4_T5_mT6_T7_P12ihipStream_tbENKUlT_T0_E_clISt17integral_constantIbLb1EESV_IbLb0EEEEDaSR_SS_EUlSR_E_NS1_11comp_targetILNS1_3genE2ELNS1_11target_archE906ELNS1_3gpuE6ELNS1_3repE0EEENS1_30default_config_static_selectorELNS0_4arch9wavefront6targetE0EEEvT1_.num_named_barrier, 0
	.set _ZN7rocprim17ROCPRIM_400000_NS6detail17trampoline_kernelINS0_14default_configENS1_27scan_by_key_config_selectorIiiEEZZNS1_16scan_by_key_implILNS1_25lookback_scan_determinismE0ELb0ES3_N6thrust23THRUST_200600_302600_NS10device_ptrIiEESB_SB_iNS9_4plusIvEENS9_8equal_toIvEEiEE10hipError_tPvRmT2_T3_T4_T5_mT6_T7_P12ihipStream_tbENKUlT_T0_E_clISt17integral_constantIbLb1EESV_IbLb0EEEEDaSR_SS_EUlSR_E_NS1_11comp_targetILNS1_3genE2ELNS1_11target_archE906ELNS1_3gpuE6ELNS1_3repE0EEENS1_30default_config_static_selectorELNS0_4arch9wavefront6targetE0EEEvT1_.private_seg_size, 0
	.set _ZN7rocprim17ROCPRIM_400000_NS6detail17trampoline_kernelINS0_14default_configENS1_27scan_by_key_config_selectorIiiEEZZNS1_16scan_by_key_implILNS1_25lookback_scan_determinismE0ELb0ES3_N6thrust23THRUST_200600_302600_NS10device_ptrIiEESB_SB_iNS9_4plusIvEENS9_8equal_toIvEEiEE10hipError_tPvRmT2_T3_T4_T5_mT6_T7_P12ihipStream_tbENKUlT_T0_E_clISt17integral_constantIbLb1EESV_IbLb0EEEEDaSR_SS_EUlSR_E_NS1_11comp_targetILNS1_3genE2ELNS1_11target_archE906ELNS1_3gpuE6ELNS1_3repE0EEENS1_30default_config_static_selectorELNS0_4arch9wavefront6targetE0EEEvT1_.uses_vcc, 0
	.set _ZN7rocprim17ROCPRIM_400000_NS6detail17trampoline_kernelINS0_14default_configENS1_27scan_by_key_config_selectorIiiEEZZNS1_16scan_by_key_implILNS1_25lookback_scan_determinismE0ELb0ES3_N6thrust23THRUST_200600_302600_NS10device_ptrIiEESB_SB_iNS9_4plusIvEENS9_8equal_toIvEEiEE10hipError_tPvRmT2_T3_T4_T5_mT6_T7_P12ihipStream_tbENKUlT_T0_E_clISt17integral_constantIbLb1EESV_IbLb0EEEEDaSR_SS_EUlSR_E_NS1_11comp_targetILNS1_3genE2ELNS1_11target_archE906ELNS1_3gpuE6ELNS1_3repE0EEENS1_30default_config_static_selectorELNS0_4arch9wavefront6targetE0EEEvT1_.uses_flat_scratch, 0
	.set _ZN7rocprim17ROCPRIM_400000_NS6detail17trampoline_kernelINS0_14default_configENS1_27scan_by_key_config_selectorIiiEEZZNS1_16scan_by_key_implILNS1_25lookback_scan_determinismE0ELb0ES3_N6thrust23THRUST_200600_302600_NS10device_ptrIiEESB_SB_iNS9_4plusIvEENS9_8equal_toIvEEiEE10hipError_tPvRmT2_T3_T4_T5_mT6_T7_P12ihipStream_tbENKUlT_T0_E_clISt17integral_constantIbLb1EESV_IbLb0EEEEDaSR_SS_EUlSR_E_NS1_11comp_targetILNS1_3genE2ELNS1_11target_archE906ELNS1_3gpuE6ELNS1_3repE0EEENS1_30default_config_static_selectorELNS0_4arch9wavefront6targetE0EEEvT1_.has_dyn_sized_stack, 0
	.set _ZN7rocprim17ROCPRIM_400000_NS6detail17trampoline_kernelINS0_14default_configENS1_27scan_by_key_config_selectorIiiEEZZNS1_16scan_by_key_implILNS1_25lookback_scan_determinismE0ELb0ES3_N6thrust23THRUST_200600_302600_NS10device_ptrIiEESB_SB_iNS9_4plusIvEENS9_8equal_toIvEEiEE10hipError_tPvRmT2_T3_T4_T5_mT6_T7_P12ihipStream_tbENKUlT_T0_E_clISt17integral_constantIbLb1EESV_IbLb0EEEEDaSR_SS_EUlSR_E_NS1_11comp_targetILNS1_3genE2ELNS1_11target_archE906ELNS1_3gpuE6ELNS1_3repE0EEENS1_30default_config_static_selectorELNS0_4arch9wavefront6targetE0EEEvT1_.has_recursion, 0
	.set _ZN7rocprim17ROCPRIM_400000_NS6detail17trampoline_kernelINS0_14default_configENS1_27scan_by_key_config_selectorIiiEEZZNS1_16scan_by_key_implILNS1_25lookback_scan_determinismE0ELb0ES3_N6thrust23THRUST_200600_302600_NS10device_ptrIiEESB_SB_iNS9_4plusIvEENS9_8equal_toIvEEiEE10hipError_tPvRmT2_T3_T4_T5_mT6_T7_P12ihipStream_tbENKUlT_T0_E_clISt17integral_constantIbLb1EESV_IbLb0EEEEDaSR_SS_EUlSR_E_NS1_11comp_targetILNS1_3genE2ELNS1_11target_archE906ELNS1_3gpuE6ELNS1_3repE0EEENS1_30default_config_static_selectorELNS0_4arch9wavefront6targetE0EEEvT1_.has_indirect_call, 0
	.section	.AMDGPU.csdata,"",@progbits
; Kernel info:
; codeLenInByte = 0
; TotalNumSgprs: 0
; NumVgprs: 0
; ScratchSize: 0
; MemoryBound: 0
; FloatMode: 240
; IeeeMode: 1
; LDSByteSize: 0 bytes/workgroup (compile time only)
; SGPRBlocks: 0
; VGPRBlocks: 0
; NumSGPRsForWavesPerEU: 1
; NumVGPRsForWavesPerEU: 1
; NamedBarCnt: 0
; Occupancy: 16
; WaveLimiterHint : 0
; COMPUTE_PGM_RSRC2:SCRATCH_EN: 0
; COMPUTE_PGM_RSRC2:USER_SGPR: 2
; COMPUTE_PGM_RSRC2:TRAP_HANDLER: 0
; COMPUTE_PGM_RSRC2:TGID_X_EN: 1
; COMPUTE_PGM_RSRC2:TGID_Y_EN: 0
; COMPUTE_PGM_RSRC2:TGID_Z_EN: 0
; COMPUTE_PGM_RSRC2:TIDIG_COMP_CNT: 0
	.section	.text._ZN7rocprim17ROCPRIM_400000_NS6detail17trampoline_kernelINS0_14default_configENS1_27scan_by_key_config_selectorIiiEEZZNS1_16scan_by_key_implILNS1_25lookback_scan_determinismE0ELb0ES3_N6thrust23THRUST_200600_302600_NS10device_ptrIiEESB_SB_iNS9_4plusIvEENS9_8equal_toIvEEiEE10hipError_tPvRmT2_T3_T4_T5_mT6_T7_P12ihipStream_tbENKUlT_T0_E_clISt17integral_constantIbLb1EESV_IbLb0EEEEDaSR_SS_EUlSR_E_NS1_11comp_targetILNS1_3genE10ELNS1_11target_archE1200ELNS1_3gpuE4ELNS1_3repE0EEENS1_30default_config_static_selectorELNS0_4arch9wavefront6targetE0EEEvT1_,"axG",@progbits,_ZN7rocprim17ROCPRIM_400000_NS6detail17trampoline_kernelINS0_14default_configENS1_27scan_by_key_config_selectorIiiEEZZNS1_16scan_by_key_implILNS1_25lookback_scan_determinismE0ELb0ES3_N6thrust23THRUST_200600_302600_NS10device_ptrIiEESB_SB_iNS9_4plusIvEENS9_8equal_toIvEEiEE10hipError_tPvRmT2_T3_T4_T5_mT6_T7_P12ihipStream_tbENKUlT_T0_E_clISt17integral_constantIbLb1EESV_IbLb0EEEEDaSR_SS_EUlSR_E_NS1_11comp_targetILNS1_3genE10ELNS1_11target_archE1200ELNS1_3gpuE4ELNS1_3repE0EEENS1_30default_config_static_selectorELNS0_4arch9wavefront6targetE0EEEvT1_,comdat
	.protected	_ZN7rocprim17ROCPRIM_400000_NS6detail17trampoline_kernelINS0_14default_configENS1_27scan_by_key_config_selectorIiiEEZZNS1_16scan_by_key_implILNS1_25lookback_scan_determinismE0ELb0ES3_N6thrust23THRUST_200600_302600_NS10device_ptrIiEESB_SB_iNS9_4plusIvEENS9_8equal_toIvEEiEE10hipError_tPvRmT2_T3_T4_T5_mT6_T7_P12ihipStream_tbENKUlT_T0_E_clISt17integral_constantIbLb1EESV_IbLb0EEEEDaSR_SS_EUlSR_E_NS1_11comp_targetILNS1_3genE10ELNS1_11target_archE1200ELNS1_3gpuE4ELNS1_3repE0EEENS1_30default_config_static_selectorELNS0_4arch9wavefront6targetE0EEEvT1_ ; -- Begin function _ZN7rocprim17ROCPRIM_400000_NS6detail17trampoline_kernelINS0_14default_configENS1_27scan_by_key_config_selectorIiiEEZZNS1_16scan_by_key_implILNS1_25lookback_scan_determinismE0ELb0ES3_N6thrust23THRUST_200600_302600_NS10device_ptrIiEESB_SB_iNS9_4plusIvEENS9_8equal_toIvEEiEE10hipError_tPvRmT2_T3_T4_T5_mT6_T7_P12ihipStream_tbENKUlT_T0_E_clISt17integral_constantIbLb1EESV_IbLb0EEEEDaSR_SS_EUlSR_E_NS1_11comp_targetILNS1_3genE10ELNS1_11target_archE1200ELNS1_3gpuE4ELNS1_3repE0EEENS1_30default_config_static_selectorELNS0_4arch9wavefront6targetE0EEEvT1_
	.globl	_ZN7rocprim17ROCPRIM_400000_NS6detail17trampoline_kernelINS0_14default_configENS1_27scan_by_key_config_selectorIiiEEZZNS1_16scan_by_key_implILNS1_25lookback_scan_determinismE0ELb0ES3_N6thrust23THRUST_200600_302600_NS10device_ptrIiEESB_SB_iNS9_4plusIvEENS9_8equal_toIvEEiEE10hipError_tPvRmT2_T3_T4_T5_mT6_T7_P12ihipStream_tbENKUlT_T0_E_clISt17integral_constantIbLb1EESV_IbLb0EEEEDaSR_SS_EUlSR_E_NS1_11comp_targetILNS1_3genE10ELNS1_11target_archE1200ELNS1_3gpuE4ELNS1_3repE0EEENS1_30default_config_static_selectorELNS0_4arch9wavefront6targetE0EEEvT1_
	.p2align	8
	.type	_ZN7rocprim17ROCPRIM_400000_NS6detail17trampoline_kernelINS0_14default_configENS1_27scan_by_key_config_selectorIiiEEZZNS1_16scan_by_key_implILNS1_25lookback_scan_determinismE0ELb0ES3_N6thrust23THRUST_200600_302600_NS10device_ptrIiEESB_SB_iNS9_4plusIvEENS9_8equal_toIvEEiEE10hipError_tPvRmT2_T3_T4_T5_mT6_T7_P12ihipStream_tbENKUlT_T0_E_clISt17integral_constantIbLb1EESV_IbLb0EEEEDaSR_SS_EUlSR_E_NS1_11comp_targetILNS1_3genE10ELNS1_11target_archE1200ELNS1_3gpuE4ELNS1_3repE0EEENS1_30default_config_static_selectorELNS0_4arch9wavefront6targetE0EEEvT1_,@function
_ZN7rocprim17ROCPRIM_400000_NS6detail17trampoline_kernelINS0_14default_configENS1_27scan_by_key_config_selectorIiiEEZZNS1_16scan_by_key_implILNS1_25lookback_scan_determinismE0ELb0ES3_N6thrust23THRUST_200600_302600_NS10device_ptrIiEESB_SB_iNS9_4plusIvEENS9_8equal_toIvEEiEE10hipError_tPvRmT2_T3_T4_T5_mT6_T7_P12ihipStream_tbENKUlT_T0_E_clISt17integral_constantIbLb1EESV_IbLb0EEEEDaSR_SS_EUlSR_E_NS1_11comp_targetILNS1_3genE10ELNS1_11target_archE1200ELNS1_3gpuE4ELNS1_3repE0EEENS1_30default_config_static_selectorELNS0_4arch9wavefront6targetE0EEEvT1_: ; @_ZN7rocprim17ROCPRIM_400000_NS6detail17trampoline_kernelINS0_14default_configENS1_27scan_by_key_config_selectorIiiEEZZNS1_16scan_by_key_implILNS1_25lookback_scan_determinismE0ELb0ES3_N6thrust23THRUST_200600_302600_NS10device_ptrIiEESB_SB_iNS9_4plusIvEENS9_8equal_toIvEEiEE10hipError_tPvRmT2_T3_T4_T5_mT6_T7_P12ihipStream_tbENKUlT_T0_E_clISt17integral_constantIbLb1EESV_IbLb0EEEEDaSR_SS_EUlSR_E_NS1_11comp_targetILNS1_3genE10ELNS1_11target_archE1200ELNS1_3gpuE4ELNS1_3repE0EEENS1_30default_config_static_selectorELNS0_4arch9wavefront6targetE0EEEvT1_
; %bb.0:
	.section	.rodata,"a",@progbits
	.p2align	6, 0x0
	.amdhsa_kernel _ZN7rocprim17ROCPRIM_400000_NS6detail17trampoline_kernelINS0_14default_configENS1_27scan_by_key_config_selectorIiiEEZZNS1_16scan_by_key_implILNS1_25lookback_scan_determinismE0ELb0ES3_N6thrust23THRUST_200600_302600_NS10device_ptrIiEESB_SB_iNS9_4plusIvEENS9_8equal_toIvEEiEE10hipError_tPvRmT2_T3_T4_T5_mT6_T7_P12ihipStream_tbENKUlT_T0_E_clISt17integral_constantIbLb1EESV_IbLb0EEEEDaSR_SS_EUlSR_E_NS1_11comp_targetILNS1_3genE10ELNS1_11target_archE1200ELNS1_3gpuE4ELNS1_3repE0EEENS1_30default_config_static_selectorELNS0_4arch9wavefront6targetE0EEEvT1_
		.amdhsa_group_segment_fixed_size 0
		.amdhsa_private_segment_fixed_size 0
		.amdhsa_kernarg_size 112
		.amdhsa_user_sgpr_count 2
		.amdhsa_user_sgpr_dispatch_ptr 0
		.amdhsa_user_sgpr_queue_ptr 0
		.amdhsa_user_sgpr_kernarg_segment_ptr 1
		.amdhsa_user_sgpr_dispatch_id 0
		.amdhsa_user_sgpr_kernarg_preload_length 0
		.amdhsa_user_sgpr_kernarg_preload_offset 0
		.amdhsa_user_sgpr_private_segment_size 0
		.amdhsa_wavefront_size32 1
		.amdhsa_uses_dynamic_stack 0
		.amdhsa_enable_private_segment 0
		.amdhsa_system_sgpr_workgroup_id_x 1
		.amdhsa_system_sgpr_workgroup_id_y 0
		.amdhsa_system_sgpr_workgroup_id_z 0
		.amdhsa_system_sgpr_workgroup_info 0
		.amdhsa_system_vgpr_workitem_id 0
		.amdhsa_next_free_vgpr 1
		.amdhsa_next_free_sgpr 1
		.amdhsa_named_barrier_count 0
		.amdhsa_reserve_vcc 0
		.amdhsa_float_round_mode_32 0
		.amdhsa_float_round_mode_16_64 0
		.amdhsa_float_denorm_mode_32 3
		.amdhsa_float_denorm_mode_16_64 3
		.amdhsa_fp16_overflow 0
		.amdhsa_memory_ordered 1
		.amdhsa_forward_progress 1
		.amdhsa_inst_pref_size 0
		.amdhsa_round_robin_scheduling 0
		.amdhsa_exception_fp_ieee_invalid_op 0
		.amdhsa_exception_fp_denorm_src 0
		.amdhsa_exception_fp_ieee_div_zero 0
		.amdhsa_exception_fp_ieee_overflow 0
		.amdhsa_exception_fp_ieee_underflow 0
		.amdhsa_exception_fp_ieee_inexact 0
		.amdhsa_exception_int_div_zero 0
	.end_amdhsa_kernel
	.section	.text._ZN7rocprim17ROCPRIM_400000_NS6detail17trampoline_kernelINS0_14default_configENS1_27scan_by_key_config_selectorIiiEEZZNS1_16scan_by_key_implILNS1_25lookback_scan_determinismE0ELb0ES3_N6thrust23THRUST_200600_302600_NS10device_ptrIiEESB_SB_iNS9_4plusIvEENS9_8equal_toIvEEiEE10hipError_tPvRmT2_T3_T4_T5_mT6_T7_P12ihipStream_tbENKUlT_T0_E_clISt17integral_constantIbLb1EESV_IbLb0EEEEDaSR_SS_EUlSR_E_NS1_11comp_targetILNS1_3genE10ELNS1_11target_archE1200ELNS1_3gpuE4ELNS1_3repE0EEENS1_30default_config_static_selectorELNS0_4arch9wavefront6targetE0EEEvT1_,"axG",@progbits,_ZN7rocprim17ROCPRIM_400000_NS6detail17trampoline_kernelINS0_14default_configENS1_27scan_by_key_config_selectorIiiEEZZNS1_16scan_by_key_implILNS1_25lookback_scan_determinismE0ELb0ES3_N6thrust23THRUST_200600_302600_NS10device_ptrIiEESB_SB_iNS9_4plusIvEENS9_8equal_toIvEEiEE10hipError_tPvRmT2_T3_T4_T5_mT6_T7_P12ihipStream_tbENKUlT_T0_E_clISt17integral_constantIbLb1EESV_IbLb0EEEEDaSR_SS_EUlSR_E_NS1_11comp_targetILNS1_3genE10ELNS1_11target_archE1200ELNS1_3gpuE4ELNS1_3repE0EEENS1_30default_config_static_selectorELNS0_4arch9wavefront6targetE0EEEvT1_,comdat
.Lfunc_end2220:
	.size	_ZN7rocprim17ROCPRIM_400000_NS6detail17trampoline_kernelINS0_14default_configENS1_27scan_by_key_config_selectorIiiEEZZNS1_16scan_by_key_implILNS1_25lookback_scan_determinismE0ELb0ES3_N6thrust23THRUST_200600_302600_NS10device_ptrIiEESB_SB_iNS9_4plusIvEENS9_8equal_toIvEEiEE10hipError_tPvRmT2_T3_T4_T5_mT6_T7_P12ihipStream_tbENKUlT_T0_E_clISt17integral_constantIbLb1EESV_IbLb0EEEEDaSR_SS_EUlSR_E_NS1_11comp_targetILNS1_3genE10ELNS1_11target_archE1200ELNS1_3gpuE4ELNS1_3repE0EEENS1_30default_config_static_selectorELNS0_4arch9wavefront6targetE0EEEvT1_, .Lfunc_end2220-_ZN7rocprim17ROCPRIM_400000_NS6detail17trampoline_kernelINS0_14default_configENS1_27scan_by_key_config_selectorIiiEEZZNS1_16scan_by_key_implILNS1_25lookback_scan_determinismE0ELb0ES3_N6thrust23THRUST_200600_302600_NS10device_ptrIiEESB_SB_iNS9_4plusIvEENS9_8equal_toIvEEiEE10hipError_tPvRmT2_T3_T4_T5_mT6_T7_P12ihipStream_tbENKUlT_T0_E_clISt17integral_constantIbLb1EESV_IbLb0EEEEDaSR_SS_EUlSR_E_NS1_11comp_targetILNS1_3genE10ELNS1_11target_archE1200ELNS1_3gpuE4ELNS1_3repE0EEENS1_30default_config_static_selectorELNS0_4arch9wavefront6targetE0EEEvT1_
                                        ; -- End function
	.set _ZN7rocprim17ROCPRIM_400000_NS6detail17trampoline_kernelINS0_14default_configENS1_27scan_by_key_config_selectorIiiEEZZNS1_16scan_by_key_implILNS1_25lookback_scan_determinismE0ELb0ES3_N6thrust23THRUST_200600_302600_NS10device_ptrIiEESB_SB_iNS9_4plusIvEENS9_8equal_toIvEEiEE10hipError_tPvRmT2_T3_T4_T5_mT6_T7_P12ihipStream_tbENKUlT_T0_E_clISt17integral_constantIbLb1EESV_IbLb0EEEEDaSR_SS_EUlSR_E_NS1_11comp_targetILNS1_3genE10ELNS1_11target_archE1200ELNS1_3gpuE4ELNS1_3repE0EEENS1_30default_config_static_selectorELNS0_4arch9wavefront6targetE0EEEvT1_.num_vgpr, 0
	.set _ZN7rocprim17ROCPRIM_400000_NS6detail17trampoline_kernelINS0_14default_configENS1_27scan_by_key_config_selectorIiiEEZZNS1_16scan_by_key_implILNS1_25lookback_scan_determinismE0ELb0ES3_N6thrust23THRUST_200600_302600_NS10device_ptrIiEESB_SB_iNS9_4plusIvEENS9_8equal_toIvEEiEE10hipError_tPvRmT2_T3_T4_T5_mT6_T7_P12ihipStream_tbENKUlT_T0_E_clISt17integral_constantIbLb1EESV_IbLb0EEEEDaSR_SS_EUlSR_E_NS1_11comp_targetILNS1_3genE10ELNS1_11target_archE1200ELNS1_3gpuE4ELNS1_3repE0EEENS1_30default_config_static_selectorELNS0_4arch9wavefront6targetE0EEEvT1_.num_agpr, 0
	.set _ZN7rocprim17ROCPRIM_400000_NS6detail17trampoline_kernelINS0_14default_configENS1_27scan_by_key_config_selectorIiiEEZZNS1_16scan_by_key_implILNS1_25lookback_scan_determinismE0ELb0ES3_N6thrust23THRUST_200600_302600_NS10device_ptrIiEESB_SB_iNS9_4plusIvEENS9_8equal_toIvEEiEE10hipError_tPvRmT2_T3_T4_T5_mT6_T7_P12ihipStream_tbENKUlT_T0_E_clISt17integral_constantIbLb1EESV_IbLb0EEEEDaSR_SS_EUlSR_E_NS1_11comp_targetILNS1_3genE10ELNS1_11target_archE1200ELNS1_3gpuE4ELNS1_3repE0EEENS1_30default_config_static_selectorELNS0_4arch9wavefront6targetE0EEEvT1_.numbered_sgpr, 0
	.set _ZN7rocprim17ROCPRIM_400000_NS6detail17trampoline_kernelINS0_14default_configENS1_27scan_by_key_config_selectorIiiEEZZNS1_16scan_by_key_implILNS1_25lookback_scan_determinismE0ELb0ES3_N6thrust23THRUST_200600_302600_NS10device_ptrIiEESB_SB_iNS9_4plusIvEENS9_8equal_toIvEEiEE10hipError_tPvRmT2_T3_T4_T5_mT6_T7_P12ihipStream_tbENKUlT_T0_E_clISt17integral_constantIbLb1EESV_IbLb0EEEEDaSR_SS_EUlSR_E_NS1_11comp_targetILNS1_3genE10ELNS1_11target_archE1200ELNS1_3gpuE4ELNS1_3repE0EEENS1_30default_config_static_selectorELNS0_4arch9wavefront6targetE0EEEvT1_.num_named_barrier, 0
	.set _ZN7rocprim17ROCPRIM_400000_NS6detail17trampoline_kernelINS0_14default_configENS1_27scan_by_key_config_selectorIiiEEZZNS1_16scan_by_key_implILNS1_25lookback_scan_determinismE0ELb0ES3_N6thrust23THRUST_200600_302600_NS10device_ptrIiEESB_SB_iNS9_4plusIvEENS9_8equal_toIvEEiEE10hipError_tPvRmT2_T3_T4_T5_mT6_T7_P12ihipStream_tbENKUlT_T0_E_clISt17integral_constantIbLb1EESV_IbLb0EEEEDaSR_SS_EUlSR_E_NS1_11comp_targetILNS1_3genE10ELNS1_11target_archE1200ELNS1_3gpuE4ELNS1_3repE0EEENS1_30default_config_static_selectorELNS0_4arch9wavefront6targetE0EEEvT1_.private_seg_size, 0
	.set _ZN7rocprim17ROCPRIM_400000_NS6detail17trampoline_kernelINS0_14default_configENS1_27scan_by_key_config_selectorIiiEEZZNS1_16scan_by_key_implILNS1_25lookback_scan_determinismE0ELb0ES3_N6thrust23THRUST_200600_302600_NS10device_ptrIiEESB_SB_iNS9_4plusIvEENS9_8equal_toIvEEiEE10hipError_tPvRmT2_T3_T4_T5_mT6_T7_P12ihipStream_tbENKUlT_T0_E_clISt17integral_constantIbLb1EESV_IbLb0EEEEDaSR_SS_EUlSR_E_NS1_11comp_targetILNS1_3genE10ELNS1_11target_archE1200ELNS1_3gpuE4ELNS1_3repE0EEENS1_30default_config_static_selectorELNS0_4arch9wavefront6targetE0EEEvT1_.uses_vcc, 0
	.set _ZN7rocprim17ROCPRIM_400000_NS6detail17trampoline_kernelINS0_14default_configENS1_27scan_by_key_config_selectorIiiEEZZNS1_16scan_by_key_implILNS1_25lookback_scan_determinismE0ELb0ES3_N6thrust23THRUST_200600_302600_NS10device_ptrIiEESB_SB_iNS9_4plusIvEENS9_8equal_toIvEEiEE10hipError_tPvRmT2_T3_T4_T5_mT6_T7_P12ihipStream_tbENKUlT_T0_E_clISt17integral_constantIbLb1EESV_IbLb0EEEEDaSR_SS_EUlSR_E_NS1_11comp_targetILNS1_3genE10ELNS1_11target_archE1200ELNS1_3gpuE4ELNS1_3repE0EEENS1_30default_config_static_selectorELNS0_4arch9wavefront6targetE0EEEvT1_.uses_flat_scratch, 0
	.set _ZN7rocprim17ROCPRIM_400000_NS6detail17trampoline_kernelINS0_14default_configENS1_27scan_by_key_config_selectorIiiEEZZNS1_16scan_by_key_implILNS1_25lookback_scan_determinismE0ELb0ES3_N6thrust23THRUST_200600_302600_NS10device_ptrIiEESB_SB_iNS9_4plusIvEENS9_8equal_toIvEEiEE10hipError_tPvRmT2_T3_T4_T5_mT6_T7_P12ihipStream_tbENKUlT_T0_E_clISt17integral_constantIbLb1EESV_IbLb0EEEEDaSR_SS_EUlSR_E_NS1_11comp_targetILNS1_3genE10ELNS1_11target_archE1200ELNS1_3gpuE4ELNS1_3repE0EEENS1_30default_config_static_selectorELNS0_4arch9wavefront6targetE0EEEvT1_.has_dyn_sized_stack, 0
	.set _ZN7rocprim17ROCPRIM_400000_NS6detail17trampoline_kernelINS0_14default_configENS1_27scan_by_key_config_selectorIiiEEZZNS1_16scan_by_key_implILNS1_25lookback_scan_determinismE0ELb0ES3_N6thrust23THRUST_200600_302600_NS10device_ptrIiEESB_SB_iNS9_4plusIvEENS9_8equal_toIvEEiEE10hipError_tPvRmT2_T3_T4_T5_mT6_T7_P12ihipStream_tbENKUlT_T0_E_clISt17integral_constantIbLb1EESV_IbLb0EEEEDaSR_SS_EUlSR_E_NS1_11comp_targetILNS1_3genE10ELNS1_11target_archE1200ELNS1_3gpuE4ELNS1_3repE0EEENS1_30default_config_static_selectorELNS0_4arch9wavefront6targetE0EEEvT1_.has_recursion, 0
	.set _ZN7rocprim17ROCPRIM_400000_NS6detail17trampoline_kernelINS0_14default_configENS1_27scan_by_key_config_selectorIiiEEZZNS1_16scan_by_key_implILNS1_25lookback_scan_determinismE0ELb0ES3_N6thrust23THRUST_200600_302600_NS10device_ptrIiEESB_SB_iNS9_4plusIvEENS9_8equal_toIvEEiEE10hipError_tPvRmT2_T3_T4_T5_mT6_T7_P12ihipStream_tbENKUlT_T0_E_clISt17integral_constantIbLb1EESV_IbLb0EEEEDaSR_SS_EUlSR_E_NS1_11comp_targetILNS1_3genE10ELNS1_11target_archE1200ELNS1_3gpuE4ELNS1_3repE0EEENS1_30default_config_static_selectorELNS0_4arch9wavefront6targetE0EEEvT1_.has_indirect_call, 0
	.section	.AMDGPU.csdata,"",@progbits
; Kernel info:
; codeLenInByte = 0
; TotalNumSgprs: 0
; NumVgprs: 0
; ScratchSize: 0
; MemoryBound: 0
; FloatMode: 240
; IeeeMode: 1
; LDSByteSize: 0 bytes/workgroup (compile time only)
; SGPRBlocks: 0
; VGPRBlocks: 0
; NumSGPRsForWavesPerEU: 1
; NumVGPRsForWavesPerEU: 1
; NamedBarCnt: 0
; Occupancy: 16
; WaveLimiterHint : 0
; COMPUTE_PGM_RSRC2:SCRATCH_EN: 0
; COMPUTE_PGM_RSRC2:USER_SGPR: 2
; COMPUTE_PGM_RSRC2:TRAP_HANDLER: 0
; COMPUTE_PGM_RSRC2:TGID_X_EN: 1
; COMPUTE_PGM_RSRC2:TGID_Y_EN: 0
; COMPUTE_PGM_RSRC2:TGID_Z_EN: 0
; COMPUTE_PGM_RSRC2:TIDIG_COMP_CNT: 0
	.section	.text._ZN7rocprim17ROCPRIM_400000_NS6detail17trampoline_kernelINS0_14default_configENS1_27scan_by_key_config_selectorIiiEEZZNS1_16scan_by_key_implILNS1_25lookback_scan_determinismE0ELb0ES3_N6thrust23THRUST_200600_302600_NS10device_ptrIiEESB_SB_iNS9_4plusIvEENS9_8equal_toIvEEiEE10hipError_tPvRmT2_T3_T4_T5_mT6_T7_P12ihipStream_tbENKUlT_T0_E_clISt17integral_constantIbLb1EESV_IbLb0EEEEDaSR_SS_EUlSR_E_NS1_11comp_targetILNS1_3genE9ELNS1_11target_archE1100ELNS1_3gpuE3ELNS1_3repE0EEENS1_30default_config_static_selectorELNS0_4arch9wavefront6targetE0EEEvT1_,"axG",@progbits,_ZN7rocprim17ROCPRIM_400000_NS6detail17trampoline_kernelINS0_14default_configENS1_27scan_by_key_config_selectorIiiEEZZNS1_16scan_by_key_implILNS1_25lookback_scan_determinismE0ELb0ES3_N6thrust23THRUST_200600_302600_NS10device_ptrIiEESB_SB_iNS9_4plusIvEENS9_8equal_toIvEEiEE10hipError_tPvRmT2_T3_T4_T5_mT6_T7_P12ihipStream_tbENKUlT_T0_E_clISt17integral_constantIbLb1EESV_IbLb0EEEEDaSR_SS_EUlSR_E_NS1_11comp_targetILNS1_3genE9ELNS1_11target_archE1100ELNS1_3gpuE3ELNS1_3repE0EEENS1_30default_config_static_selectorELNS0_4arch9wavefront6targetE0EEEvT1_,comdat
	.protected	_ZN7rocprim17ROCPRIM_400000_NS6detail17trampoline_kernelINS0_14default_configENS1_27scan_by_key_config_selectorIiiEEZZNS1_16scan_by_key_implILNS1_25lookback_scan_determinismE0ELb0ES3_N6thrust23THRUST_200600_302600_NS10device_ptrIiEESB_SB_iNS9_4plusIvEENS9_8equal_toIvEEiEE10hipError_tPvRmT2_T3_T4_T5_mT6_T7_P12ihipStream_tbENKUlT_T0_E_clISt17integral_constantIbLb1EESV_IbLb0EEEEDaSR_SS_EUlSR_E_NS1_11comp_targetILNS1_3genE9ELNS1_11target_archE1100ELNS1_3gpuE3ELNS1_3repE0EEENS1_30default_config_static_selectorELNS0_4arch9wavefront6targetE0EEEvT1_ ; -- Begin function _ZN7rocprim17ROCPRIM_400000_NS6detail17trampoline_kernelINS0_14default_configENS1_27scan_by_key_config_selectorIiiEEZZNS1_16scan_by_key_implILNS1_25lookback_scan_determinismE0ELb0ES3_N6thrust23THRUST_200600_302600_NS10device_ptrIiEESB_SB_iNS9_4plusIvEENS9_8equal_toIvEEiEE10hipError_tPvRmT2_T3_T4_T5_mT6_T7_P12ihipStream_tbENKUlT_T0_E_clISt17integral_constantIbLb1EESV_IbLb0EEEEDaSR_SS_EUlSR_E_NS1_11comp_targetILNS1_3genE9ELNS1_11target_archE1100ELNS1_3gpuE3ELNS1_3repE0EEENS1_30default_config_static_selectorELNS0_4arch9wavefront6targetE0EEEvT1_
	.globl	_ZN7rocprim17ROCPRIM_400000_NS6detail17trampoline_kernelINS0_14default_configENS1_27scan_by_key_config_selectorIiiEEZZNS1_16scan_by_key_implILNS1_25lookback_scan_determinismE0ELb0ES3_N6thrust23THRUST_200600_302600_NS10device_ptrIiEESB_SB_iNS9_4plusIvEENS9_8equal_toIvEEiEE10hipError_tPvRmT2_T3_T4_T5_mT6_T7_P12ihipStream_tbENKUlT_T0_E_clISt17integral_constantIbLb1EESV_IbLb0EEEEDaSR_SS_EUlSR_E_NS1_11comp_targetILNS1_3genE9ELNS1_11target_archE1100ELNS1_3gpuE3ELNS1_3repE0EEENS1_30default_config_static_selectorELNS0_4arch9wavefront6targetE0EEEvT1_
	.p2align	8
	.type	_ZN7rocprim17ROCPRIM_400000_NS6detail17trampoline_kernelINS0_14default_configENS1_27scan_by_key_config_selectorIiiEEZZNS1_16scan_by_key_implILNS1_25lookback_scan_determinismE0ELb0ES3_N6thrust23THRUST_200600_302600_NS10device_ptrIiEESB_SB_iNS9_4plusIvEENS9_8equal_toIvEEiEE10hipError_tPvRmT2_T3_T4_T5_mT6_T7_P12ihipStream_tbENKUlT_T0_E_clISt17integral_constantIbLb1EESV_IbLb0EEEEDaSR_SS_EUlSR_E_NS1_11comp_targetILNS1_3genE9ELNS1_11target_archE1100ELNS1_3gpuE3ELNS1_3repE0EEENS1_30default_config_static_selectorELNS0_4arch9wavefront6targetE0EEEvT1_,@function
_ZN7rocprim17ROCPRIM_400000_NS6detail17trampoline_kernelINS0_14default_configENS1_27scan_by_key_config_selectorIiiEEZZNS1_16scan_by_key_implILNS1_25lookback_scan_determinismE0ELb0ES3_N6thrust23THRUST_200600_302600_NS10device_ptrIiEESB_SB_iNS9_4plusIvEENS9_8equal_toIvEEiEE10hipError_tPvRmT2_T3_T4_T5_mT6_T7_P12ihipStream_tbENKUlT_T0_E_clISt17integral_constantIbLb1EESV_IbLb0EEEEDaSR_SS_EUlSR_E_NS1_11comp_targetILNS1_3genE9ELNS1_11target_archE1100ELNS1_3gpuE3ELNS1_3repE0EEENS1_30default_config_static_selectorELNS0_4arch9wavefront6targetE0EEEvT1_: ; @_ZN7rocprim17ROCPRIM_400000_NS6detail17trampoline_kernelINS0_14default_configENS1_27scan_by_key_config_selectorIiiEEZZNS1_16scan_by_key_implILNS1_25lookback_scan_determinismE0ELb0ES3_N6thrust23THRUST_200600_302600_NS10device_ptrIiEESB_SB_iNS9_4plusIvEENS9_8equal_toIvEEiEE10hipError_tPvRmT2_T3_T4_T5_mT6_T7_P12ihipStream_tbENKUlT_T0_E_clISt17integral_constantIbLb1EESV_IbLb0EEEEDaSR_SS_EUlSR_E_NS1_11comp_targetILNS1_3genE9ELNS1_11target_archE1100ELNS1_3gpuE3ELNS1_3repE0EEENS1_30default_config_static_selectorELNS0_4arch9wavefront6targetE0EEEvT1_
; %bb.0:
	.section	.rodata,"a",@progbits
	.p2align	6, 0x0
	.amdhsa_kernel _ZN7rocprim17ROCPRIM_400000_NS6detail17trampoline_kernelINS0_14default_configENS1_27scan_by_key_config_selectorIiiEEZZNS1_16scan_by_key_implILNS1_25lookback_scan_determinismE0ELb0ES3_N6thrust23THRUST_200600_302600_NS10device_ptrIiEESB_SB_iNS9_4plusIvEENS9_8equal_toIvEEiEE10hipError_tPvRmT2_T3_T4_T5_mT6_T7_P12ihipStream_tbENKUlT_T0_E_clISt17integral_constantIbLb1EESV_IbLb0EEEEDaSR_SS_EUlSR_E_NS1_11comp_targetILNS1_3genE9ELNS1_11target_archE1100ELNS1_3gpuE3ELNS1_3repE0EEENS1_30default_config_static_selectorELNS0_4arch9wavefront6targetE0EEEvT1_
		.amdhsa_group_segment_fixed_size 0
		.amdhsa_private_segment_fixed_size 0
		.amdhsa_kernarg_size 112
		.amdhsa_user_sgpr_count 2
		.amdhsa_user_sgpr_dispatch_ptr 0
		.amdhsa_user_sgpr_queue_ptr 0
		.amdhsa_user_sgpr_kernarg_segment_ptr 1
		.amdhsa_user_sgpr_dispatch_id 0
		.amdhsa_user_sgpr_kernarg_preload_length 0
		.amdhsa_user_sgpr_kernarg_preload_offset 0
		.amdhsa_user_sgpr_private_segment_size 0
		.amdhsa_wavefront_size32 1
		.amdhsa_uses_dynamic_stack 0
		.amdhsa_enable_private_segment 0
		.amdhsa_system_sgpr_workgroup_id_x 1
		.amdhsa_system_sgpr_workgroup_id_y 0
		.amdhsa_system_sgpr_workgroup_id_z 0
		.amdhsa_system_sgpr_workgroup_info 0
		.amdhsa_system_vgpr_workitem_id 0
		.amdhsa_next_free_vgpr 1
		.amdhsa_next_free_sgpr 1
		.amdhsa_named_barrier_count 0
		.amdhsa_reserve_vcc 0
		.amdhsa_float_round_mode_32 0
		.amdhsa_float_round_mode_16_64 0
		.amdhsa_float_denorm_mode_32 3
		.amdhsa_float_denorm_mode_16_64 3
		.amdhsa_fp16_overflow 0
		.amdhsa_memory_ordered 1
		.amdhsa_forward_progress 1
		.amdhsa_inst_pref_size 0
		.amdhsa_round_robin_scheduling 0
		.amdhsa_exception_fp_ieee_invalid_op 0
		.amdhsa_exception_fp_denorm_src 0
		.amdhsa_exception_fp_ieee_div_zero 0
		.amdhsa_exception_fp_ieee_overflow 0
		.amdhsa_exception_fp_ieee_underflow 0
		.amdhsa_exception_fp_ieee_inexact 0
		.amdhsa_exception_int_div_zero 0
	.end_amdhsa_kernel
	.section	.text._ZN7rocprim17ROCPRIM_400000_NS6detail17trampoline_kernelINS0_14default_configENS1_27scan_by_key_config_selectorIiiEEZZNS1_16scan_by_key_implILNS1_25lookback_scan_determinismE0ELb0ES3_N6thrust23THRUST_200600_302600_NS10device_ptrIiEESB_SB_iNS9_4plusIvEENS9_8equal_toIvEEiEE10hipError_tPvRmT2_T3_T4_T5_mT6_T7_P12ihipStream_tbENKUlT_T0_E_clISt17integral_constantIbLb1EESV_IbLb0EEEEDaSR_SS_EUlSR_E_NS1_11comp_targetILNS1_3genE9ELNS1_11target_archE1100ELNS1_3gpuE3ELNS1_3repE0EEENS1_30default_config_static_selectorELNS0_4arch9wavefront6targetE0EEEvT1_,"axG",@progbits,_ZN7rocprim17ROCPRIM_400000_NS6detail17trampoline_kernelINS0_14default_configENS1_27scan_by_key_config_selectorIiiEEZZNS1_16scan_by_key_implILNS1_25lookback_scan_determinismE0ELb0ES3_N6thrust23THRUST_200600_302600_NS10device_ptrIiEESB_SB_iNS9_4plusIvEENS9_8equal_toIvEEiEE10hipError_tPvRmT2_T3_T4_T5_mT6_T7_P12ihipStream_tbENKUlT_T0_E_clISt17integral_constantIbLb1EESV_IbLb0EEEEDaSR_SS_EUlSR_E_NS1_11comp_targetILNS1_3genE9ELNS1_11target_archE1100ELNS1_3gpuE3ELNS1_3repE0EEENS1_30default_config_static_selectorELNS0_4arch9wavefront6targetE0EEEvT1_,comdat
.Lfunc_end2221:
	.size	_ZN7rocprim17ROCPRIM_400000_NS6detail17trampoline_kernelINS0_14default_configENS1_27scan_by_key_config_selectorIiiEEZZNS1_16scan_by_key_implILNS1_25lookback_scan_determinismE0ELb0ES3_N6thrust23THRUST_200600_302600_NS10device_ptrIiEESB_SB_iNS9_4plusIvEENS9_8equal_toIvEEiEE10hipError_tPvRmT2_T3_T4_T5_mT6_T7_P12ihipStream_tbENKUlT_T0_E_clISt17integral_constantIbLb1EESV_IbLb0EEEEDaSR_SS_EUlSR_E_NS1_11comp_targetILNS1_3genE9ELNS1_11target_archE1100ELNS1_3gpuE3ELNS1_3repE0EEENS1_30default_config_static_selectorELNS0_4arch9wavefront6targetE0EEEvT1_, .Lfunc_end2221-_ZN7rocprim17ROCPRIM_400000_NS6detail17trampoline_kernelINS0_14default_configENS1_27scan_by_key_config_selectorIiiEEZZNS1_16scan_by_key_implILNS1_25lookback_scan_determinismE0ELb0ES3_N6thrust23THRUST_200600_302600_NS10device_ptrIiEESB_SB_iNS9_4plusIvEENS9_8equal_toIvEEiEE10hipError_tPvRmT2_T3_T4_T5_mT6_T7_P12ihipStream_tbENKUlT_T0_E_clISt17integral_constantIbLb1EESV_IbLb0EEEEDaSR_SS_EUlSR_E_NS1_11comp_targetILNS1_3genE9ELNS1_11target_archE1100ELNS1_3gpuE3ELNS1_3repE0EEENS1_30default_config_static_selectorELNS0_4arch9wavefront6targetE0EEEvT1_
                                        ; -- End function
	.set _ZN7rocprim17ROCPRIM_400000_NS6detail17trampoline_kernelINS0_14default_configENS1_27scan_by_key_config_selectorIiiEEZZNS1_16scan_by_key_implILNS1_25lookback_scan_determinismE0ELb0ES3_N6thrust23THRUST_200600_302600_NS10device_ptrIiEESB_SB_iNS9_4plusIvEENS9_8equal_toIvEEiEE10hipError_tPvRmT2_T3_T4_T5_mT6_T7_P12ihipStream_tbENKUlT_T0_E_clISt17integral_constantIbLb1EESV_IbLb0EEEEDaSR_SS_EUlSR_E_NS1_11comp_targetILNS1_3genE9ELNS1_11target_archE1100ELNS1_3gpuE3ELNS1_3repE0EEENS1_30default_config_static_selectorELNS0_4arch9wavefront6targetE0EEEvT1_.num_vgpr, 0
	.set _ZN7rocprim17ROCPRIM_400000_NS6detail17trampoline_kernelINS0_14default_configENS1_27scan_by_key_config_selectorIiiEEZZNS1_16scan_by_key_implILNS1_25lookback_scan_determinismE0ELb0ES3_N6thrust23THRUST_200600_302600_NS10device_ptrIiEESB_SB_iNS9_4plusIvEENS9_8equal_toIvEEiEE10hipError_tPvRmT2_T3_T4_T5_mT6_T7_P12ihipStream_tbENKUlT_T0_E_clISt17integral_constantIbLb1EESV_IbLb0EEEEDaSR_SS_EUlSR_E_NS1_11comp_targetILNS1_3genE9ELNS1_11target_archE1100ELNS1_3gpuE3ELNS1_3repE0EEENS1_30default_config_static_selectorELNS0_4arch9wavefront6targetE0EEEvT1_.num_agpr, 0
	.set _ZN7rocprim17ROCPRIM_400000_NS6detail17trampoline_kernelINS0_14default_configENS1_27scan_by_key_config_selectorIiiEEZZNS1_16scan_by_key_implILNS1_25lookback_scan_determinismE0ELb0ES3_N6thrust23THRUST_200600_302600_NS10device_ptrIiEESB_SB_iNS9_4plusIvEENS9_8equal_toIvEEiEE10hipError_tPvRmT2_T3_T4_T5_mT6_T7_P12ihipStream_tbENKUlT_T0_E_clISt17integral_constantIbLb1EESV_IbLb0EEEEDaSR_SS_EUlSR_E_NS1_11comp_targetILNS1_3genE9ELNS1_11target_archE1100ELNS1_3gpuE3ELNS1_3repE0EEENS1_30default_config_static_selectorELNS0_4arch9wavefront6targetE0EEEvT1_.numbered_sgpr, 0
	.set _ZN7rocprim17ROCPRIM_400000_NS6detail17trampoline_kernelINS0_14default_configENS1_27scan_by_key_config_selectorIiiEEZZNS1_16scan_by_key_implILNS1_25lookback_scan_determinismE0ELb0ES3_N6thrust23THRUST_200600_302600_NS10device_ptrIiEESB_SB_iNS9_4plusIvEENS9_8equal_toIvEEiEE10hipError_tPvRmT2_T3_T4_T5_mT6_T7_P12ihipStream_tbENKUlT_T0_E_clISt17integral_constantIbLb1EESV_IbLb0EEEEDaSR_SS_EUlSR_E_NS1_11comp_targetILNS1_3genE9ELNS1_11target_archE1100ELNS1_3gpuE3ELNS1_3repE0EEENS1_30default_config_static_selectorELNS0_4arch9wavefront6targetE0EEEvT1_.num_named_barrier, 0
	.set _ZN7rocprim17ROCPRIM_400000_NS6detail17trampoline_kernelINS0_14default_configENS1_27scan_by_key_config_selectorIiiEEZZNS1_16scan_by_key_implILNS1_25lookback_scan_determinismE0ELb0ES3_N6thrust23THRUST_200600_302600_NS10device_ptrIiEESB_SB_iNS9_4plusIvEENS9_8equal_toIvEEiEE10hipError_tPvRmT2_T3_T4_T5_mT6_T7_P12ihipStream_tbENKUlT_T0_E_clISt17integral_constantIbLb1EESV_IbLb0EEEEDaSR_SS_EUlSR_E_NS1_11comp_targetILNS1_3genE9ELNS1_11target_archE1100ELNS1_3gpuE3ELNS1_3repE0EEENS1_30default_config_static_selectorELNS0_4arch9wavefront6targetE0EEEvT1_.private_seg_size, 0
	.set _ZN7rocprim17ROCPRIM_400000_NS6detail17trampoline_kernelINS0_14default_configENS1_27scan_by_key_config_selectorIiiEEZZNS1_16scan_by_key_implILNS1_25lookback_scan_determinismE0ELb0ES3_N6thrust23THRUST_200600_302600_NS10device_ptrIiEESB_SB_iNS9_4plusIvEENS9_8equal_toIvEEiEE10hipError_tPvRmT2_T3_T4_T5_mT6_T7_P12ihipStream_tbENKUlT_T0_E_clISt17integral_constantIbLb1EESV_IbLb0EEEEDaSR_SS_EUlSR_E_NS1_11comp_targetILNS1_3genE9ELNS1_11target_archE1100ELNS1_3gpuE3ELNS1_3repE0EEENS1_30default_config_static_selectorELNS0_4arch9wavefront6targetE0EEEvT1_.uses_vcc, 0
	.set _ZN7rocprim17ROCPRIM_400000_NS6detail17trampoline_kernelINS0_14default_configENS1_27scan_by_key_config_selectorIiiEEZZNS1_16scan_by_key_implILNS1_25lookback_scan_determinismE0ELb0ES3_N6thrust23THRUST_200600_302600_NS10device_ptrIiEESB_SB_iNS9_4plusIvEENS9_8equal_toIvEEiEE10hipError_tPvRmT2_T3_T4_T5_mT6_T7_P12ihipStream_tbENKUlT_T0_E_clISt17integral_constantIbLb1EESV_IbLb0EEEEDaSR_SS_EUlSR_E_NS1_11comp_targetILNS1_3genE9ELNS1_11target_archE1100ELNS1_3gpuE3ELNS1_3repE0EEENS1_30default_config_static_selectorELNS0_4arch9wavefront6targetE0EEEvT1_.uses_flat_scratch, 0
	.set _ZN7rocprim17ROCPRIM_400000_NS6detail17trampoline_kernelINS0_14default_configENS1_27scan_by_key_config_selectorIiiEEZZNS1_16scan_by_key_implILNS1_25lookback_scan_determinismE0ELb0ES3_N6thrust23THRUST_200600_302600_NS10device_ptrIiEESB_SB_iNS9_4plusIvEENS9_8equal_toIvEEiEE10hipError_tPvRmT2_T3_T4_T5_mT6_T7_P12ihipStream_tbENKUlT_T0_E_clISt17integral_constantIbLb1EESV_IbLb0EEEEDaSR_SS_EUlSR_E_NS1_11comp_targetILNS1_3genE9ELNS1_11target_archE1100ELNS1_3gpuE3ELNS1_3repE0EEENS1_30default_config_static_selectorELNS0_4arch9wavefront6targetE0EEEvT1_.has_dyn_sized_stack, 0
	.set _ZN7rocprim17ROCPRIM_400000_NS6detail17trampoline_kernelINS0_14default_configENS1_27scan_by_key_config_selectorIiiEEZZNS1_16scan_by_key_implILNS1_25lookback_scan_determinismE0ELb0ES3_N6thrust23THRUST_200600_302600_NS10device_ptrIiEESB_SB_iNS9_4plusIvEENS9_8equal_toIvEEiEE10hipError_tPvRmT2_T3_T4_T5_mT6_T7_P12ihipStream_tbENKUlT_T0_E_clISt17integral_constantIbLb1EESV_IbLb0EEEEDaSR_SS_EUlSR_E_NS1_11comp_targetILNS1_3genE9ELNS1_11target_archE1100ELNS1_3gpuE3ELNS1_3repE0EEENS1_30default_config_static_selectorELNS0_4arch9wavefront6targetE0EEEvT1_.has_recursion, 0
	.set _ZN7rocprim17ROCPRIM_400000_NS6detail17trampoline_kernelINS0_14default_configENS1_27scan_by_key_config_selectorIiiEEZZNS1_16scan_by_key_implILNS1_25lookback_scan_determinismE0ELb0ES3_N6thrust23THRUST_200600_302600_NS10device_ptrIiEESB_SB_iNS9_4plusIvEENS9_8equal_toIvEEiEE10hipError_tPvRmT2_T3_T4_T5_mT6_T7_P12ihipStream_tbENKUlT_T0_E_clISt17integral_constantIbLb1EESV_IbLb0EEEEDaSR_SS_EUlSR_E_NS1_11comp_targetILNS1_3genE9ELNS1_11target_archE1100ELNS1_3gpuE3ELNS1_3repE0EEENS1_30default_config_static_selectorELNS0_4arch9wavefront6targetE0EEEvT1_.has_indirect_call, 0
	.section	.AMDGPU.csdata,"",@progbits
; Kernel info:
; codeLenInByte = 0
; TotalNumSgprs: 0
; NumVgprs: 0
; ScratchSize: 0
; MemoryBound: 0
; FloatMode: 240
; IeeeMode: 1
; LDSByteSize: 0 bytes/workgroup (compile time only)
; SGPRBlocks: 0
; VGPRBlocks: 0
; NumSGPRsForWavesPerEU: 1
; NumVGPRsForWavesPerEU: 1
; NamedBarCnt: 0
; Occupancy: 16
; WaveLimiterHint : 0
; COMPUTE_PGM_RSRC2:SCRATCH_EN: 0
; COMPUTE_PGM_RSRC2:USER_SGPR: 2
; COMPUTE_PGM_RSRC2:TRAP_HANDLER: 0
; COMPUTE_PGM_RSRC2:TGID_X_EN: 1
; COMPUTE_PGM_RSRC2:TGID_Y_EN: 0
; COMPUTE_PGM_RSRC2:TGID_Z_EN: 0
; COMPUTE_PGM_RSRC2:TIDIG_COMP_CNT: 0
	.section	.text._ZN7rocprim17ROCPRIM_400000_NS6detail17trampoline_kernelINS0_14default_configENS1_27scan_by_key_config_selectorIiiEEZZNS1_16scan_by_key_implILNS1_25lookback_scan_determinismE0ELb0ES3_N6thrust23THRUST_200600_302600_NS10device_ptrIiEESB_SB_iNS9_4plusIvEENS9_8equal_toIvEEiEE10hipError_tPvRmT2_T3_T4_T5_mT6_T7_P12ihipStream_tbENKUlT_T0_E_clISt17integral_constantIbLb1EESV_IbLb0EEEEDaSR_SS_EUlSR_E_NS1_11comp_targetILNS1_3genE8ELNS1_11target_archE1030ELNS1_3gpuE2ELNS1_3repE0EEENS1_30default_config_static_selectorELNS0_4arch9wavefront6targetE0EEEvT1_,"axG",@progbits,_ZN7rocprim17ROCPRIM_400000_NS6detail17trampoline_kernelINS0_14default_configENS1_27scan_by_key_config_selectorIiiEEZZNS1_16scan_by_key_implILNS1_25lookback_scan_determinismE0ELb0ES3_N6thrust23THRUST_200600_302600_NS10device_ptrIiEESB_SB_iNS9_4plusIvEENS9_8equal_toIvEEiEE10hipError_tPvRmT2_T3_T4_T5_mT6_T7_P12ihipStream_tbENKUlT_T0_E_clISt17integral_constantIbLb1EESV_IbLb0EEEEDaSR_SS_EUlSR_E_NS1_11comp_targetILNS1_3genE8ELNS1_11target_archE1030ELNS1_3gpuE2ELNS1_3repE0EEENS1_30default_config_static_selectorELNS0_4arch9wavefront6targetE0EEEvT1_,comdat
	.protected	_ZN7rocprim17ROCPRIM_400000_NS6detail17trampoline_kernelINS0_14default_configENS1_27scan_by_key_config_selectorIiiEEZZNS1_16scan_by_key_implILNS1_25lookback_scan_determinismE0ELb0ES3_N6thrust23THRUST_200600_302600_NS10device_ptrIiEESB_SB_iNS9_4plusIvEENS9_8equal_toIvEEiEE10hipError_tPvRmT2_T3_T4_T5_mT6_T7_P12ihipStream_tbENKUlT_T0_E_clISt17integral_constantIbLb1EESV_IbLb0EEEEDaSR_SS_EUlSR_E_NS1_11comp_targetILNS1_3genE8ELNS1_11target_archE1030ELNS1_3gpuE2ELNS1_3repE0EEENS1_30default_config_static_selectorELNS0_4arch9wavefront6targetE0EEEvT1_ ; -- Begin function _ZN7rocprim17ROCPRIM_400000_NS6detail17trampoline_kernelINS0_14default_configENS1_27scan_by_key_config_selectorIiiEEZZNS1_16scan_by_key_implILNS1_25lookback_scan_determinismE0ELb0ES3_N6thrust23THRUST_200600_302600_NS10device_ptrIiEESB_SB_iNS9_4plusIvEENS9_8equal_toIvEEiEE10hipError_tPvRmT2_T3_T4_T5_mT6_T7_P12ihipStream_tbENKUlT_T0_E_clISt17integral_constantIbLb1EESV_IbLb0EEEEDaSR_SS_EUlSR_E_NS1_11comp_targetILNS1_3genE8ELNS1_11target_archE1030ELNS1_3gpuE2ELNS1_3repE0EEENS1_30default_config_static_selectorELNS0_4arch9wavefront6targetE0EEEvT1_
	.globl	_ZN7rocprim17ROCPRIM_400000_NS6detail17trampoline_kernelINS0_14default_configENS1_27scan_by_key_config_selectorIiiEEZZNS1_16scan_by_key_implILNS1_25lookback_scan_determinismE0ELb0ES3_N6thrust23THRUST_200600_302600_NS10device_ptrIiEESB_SB_iNS9_4plusIvEENS9_8equal_toIvEEiEE10hipError_tPvRmT2_T3_T4_T5_mT6_T7_P12ihipStream_tbENKUlT_T0_E_clISt17integral_constantIbLb1EESV_IbLb0EEEEDaSR_SS_EUlSR_E_NS1_11comp_targetILNS1_3genE8ELNS1_11target_archE1030ELNS1_3gpuE2ELNS1_3repE0EEENS1_30default_config_static_selectorELNS0_4arch9wavefront6targetE0EEEvT1_
	.p2align	8
	.type	_ZN7rocprim17ROCPRIM_400000_NS6detail17trampoline_kernelINS0_14default_configENS1_27scan_by_key_config_selectorIiiEEZZNS1_16scan_by_key_implILNS1_25lookback_scan_determinismE0ELb0ES3_N6thrust23THRUST_200600_302600_NS10device_ptrIiEESB_SB_iNS9_4plusIvEENS9_8equal_toIvEEiEE10hipError_tPvRmT2_T3_T4_T5_mT6_T7_P12ihipStream_tbENKUlT_T0_E_clISt17integral_constantIbLb1EESV_IbLb0EEEEDaSR_SS_EUlSR_E_NS1_11comp_targetILNS1_3genE8ELNS1_11target_archE1030ELNS1_3gpuE2ELNS1_3repE0EEENS1_30default_config_static_selectorELNS0_4arch9wavefront6targetE0EEEvT1_,@function
_ZN7rocprim17ROCPRIM_400000_NS6detail17trampoline_kernelINS0_14default_configENS1_27scan_by_key_config_selectorIiiEEZZNS1_16scan_by_key_implILNS1_25lookback_scan_determinismE0ELb0ES3_N6thrust23THRUST_200600_302600_NS10device_ptrIiEESB_SB_iNS9_4plusIvEENS9_8equal_toIvEEiEE10hipError_tPvRmT2_T3_T4_T5_mT6_T7_P12ihipStream_tbENKUlT_T0_E_clISt17integral_constantIbLb1EESV_IbLb0EEEEDaSR_SS_EUlSR_E_NS1_11comp_targetILNS1_3genE8ELNS1_11target_archE1030ELNS1_3gpuE2ELNS1_3repE0EEENS1_30default_config_static_selectorELNS0_4arch9wavefront6targetE0EEEvT1_: ; @_ZN7rocprim17ROCPRIM_400000_NS6detail17trampoline_kernelINS0_14default_configENS1_27scan_by_key_config_selectorIiiEEZZNS1_16scan_by_key_implILNS1_25lookback_scan_determinismE0ELb0ES3_N6thrust23THRUST_200600_302600_NS10device_ptrIiEESB_SB_iNS9_4plusIvEENS9_8equal_toIvEEiEE10hipError_tPvRmT2_T3_T4_T5_mT6_T7_P12ihipStream_tbENKUlT_T0_E_clISt17integral_constantIbLb1EESV_IbLb0EEEEDaSR_SS_EUlSR_E_NS1_11comp_targetILNS1_3genE8ELNS1_11target_archE1030ELNS1_3gpuE2ELNS1_3repE0EEENS1_30default_config_static_selectorELNS0_4arch9wavefront6targetE0EEEvT1_
; %bb.0:
	.section	.rodata,"a",@progbits
	.p2align	6, 0x0
	.amdhsa_kernel _ZN7rocprim17ROCPRIM_400000_NS6detail17trampoline_kernelINS0_14default_configENS1_27scan_by_key_config_selectorIiiEEZZNS1_16scan_by_key_implILNS1_25lookback_scan_determinismE0ELb0ES3_N6thrust23THRUST_200600_302600_NS10device_ptrIiEESB_SB_iNS9_4plusIvEENS9_8equal_toIvEEiEE10hipError_tPvRmT2_T3_T4_T5_mT6_T7_P12ihipStream_tbENKUlT_T0_E_clISt17integral_constantIbLb1EESV_IbLb0EEEEDaSR_SS_EUlSR_E_NS1_11comp_targetILNS1_3genE8ELNS1_11target_archE1030ELNS1_3gpuE2ELNS1_3repE0EEENS1_30default_config_static_selectorELNS0_4arch9wavefront6targetE0EEEvT1_
		.amdhsa_group_segment_fixed_size 0
		.amdhsa_private_segment_fixed_size 0
		.amdhsa_kernarg_size 112
		.amdhsa_user_sgpr_count 2
		.amdhsa_user_sgpr_dispatch_ptr 0
		.amdhsa_user_sgpr_queue_ptr 0
		.amdhsa_user_sgpr_kernarg_segment_ptr 1
		.amdhsa_user_sgpr_dispatch_id 0
		.amdhsa_user_sgpr_kernarg_preload_length 0
		.amdhsa_user_sgpr_kernarg_preload_offset 0
		.amdhsa_user_sgpr_private_segment_size 0
		.amdhsa_wavefront_size32 1
		.amdhsa_uses_dynamic_stack 0
		.amdhsa_enable_private_segment 0
		.amdhsa_system_sgpr_workgroup_id_x 1
		.amdhsa_system_sgpr_workgroup_id_y 0
		.amdhsa_system_sgpr_workgroup_id_z 0
		.amdhsa_system_sgpr_workgroup_info 0
		.amdhsa_system_vgpr_workitem_id 0
		.amdhsa_next_free_vgpr 1
		.amdhsa_next_free_sgpr 1
		.amdhsa_named_barrier_count 0
		.amdhsa_reserve_vcc 0
		.amdhsa_float_round_mode_32 0
		.amdhsa_float_round_mode_16_64 0
		.amdhsa_float_denorm_mode_32 3
		.amdhsa_float_denorm_mode_16_64 3
		.amdhsa_fp16_overflow 0
		.amdhsa_memory_ordered 1
		.amdhsa_forward_progress 1
		.amdhsa_inst_pref_size 0
		.amdhsa_round_robin_scheduling 0
		.amdhsa_exception_fp_ieee_invalid_op 0
		.amdhsa_exception_fp_denorm_src 0
		.amdhsa_exception_fp_ieee_div_zero 0
		.amdhsa_exception_fp_ieee_overflow 0
		.amdhsa_exception_fp_ieee_underflow 0
		.amdhsa_exception_fp_ieee_inexact 0
		.amdhsa_exception_int_div_zero 0
	.end_amdhsa_kernel
	.section	.text._ZN7rocprim17ROCPRIM_400000_NS6detail17trampoline_kernelINS0_14default_configENS1_27scan_by_key_config_selectorIiiEEZZNS1_16scan_by_key_implILNS1_25lookback_scan_determinismE0ELb0ES3_N6thrust23THRUST_200600_302600_NS10device_ptrIiEESB_SB_iNS9_4plusIvEENS9_8equal_toIvEEiEE10hipError_tPvRmT2_T3_T4_T5_mT6_T7_P12ihipStream_tbENKUlT_T0_E_clISt17integral_constantIbLb1EESV_IbLb0EEEEDaSR_SS_EUlSR_E_NS1_11comp_targetILNS1_3genE8ELNS1_11target_archE1030ELNS1_3gpuE2ELNS1_3repE0EEENS1_30default_config_static_selectorELNS0_4arch9wavefront6targetE0EEEvT1_,"axG",@progbits,_ZN7rocprim17ROCPRIM_400000_NS6detail17trampoline_kernelINS0_14default_configENS1_27scan_by_key_config_selectorIiiEEZZNS1_16scan_by_key_implILNS1_25lookback_scan_determinismE0ELb0ES3_N6thrust23THRUST_200600_302600_NS10device_ptrIiEESB_SB_iNS9_4plusIvEENS9_8equal_toIvEEiEE10hipError_tPvRmT2_T3_T4_T5_mT6_T7_P12ihipStream_tbENKUlT_T0_E_clISt17integral_constantIbLb1EESV_IbLb0EEEEDaSR_SS_EUlSR_E_NS1_11comp_targetILNS1_3genE8ELNS1_11target_archE1030ELNS1_3gpuE2ELNS1_3repE0EEENS1_30default_config_static_selectorELNS0_4arch9wavefront6targetE0EEEvT1_,comdat
.Lfunc_end2222:
	.size	_ZN7rocprim17ROCPRIM_400000_NS6detail17trampoline_kernelINS0_14default_configENS1_27scan_by_key_config_selectorIiiEEZZNS1_16scan_by_key_implILNS1_25lookback_scan_determinismE0ELb0ES3_N6thrust23THRUST_200600_302600_NS10device_ptrIiEESB_SB_iNS9_4plusIvEENS9_8equal_toIvEEiEE10hipError_tPvRmT2_T3_T4_T5_mT6_T7_P12ihipStream_tbENKUlT_T0_E_clISt17integral_constantIbLb1EESV_IbLb0EEEEDaSR_SS_EUlSR_E_NS1_11comp_targetILNS1_3genE8ELNS1_11target_archE1030ELNS1_3gpuE2ELNS1_3repE0EEENS1_30default_config_static_selectorELNS0_4arch9wavefront6targetE0EEEvT1_, .Lfunc_end2222-_ZN7rocprim17ROCPRIM_400000_NS6detail17trampoline_kernelINS0_14default_configENS1_27scan_by_key_config_selectorIiiEEZZNS1_16scan_by_key_implILNS1_25lookback_scan_determinismE0ELb0ES3_N6thrust23THRUST_200600_302600_NS10device_ptrIiEESB_SB_iNS9_4plusIvEENS9_8equal_toIvEEiEE10hipError_tPvRmT2_T3_T4_T5_mT6_T7_P12ihipStream_tbENKUlT_T0_E_clISt17integral_constantIbLb1EESV_IbLb0EEEEDaSR_SS_EUlSR_E_NS1_11comp_targetILNS1_3genE8ELNS1_11target_archE1030ELNS1_3gpuE2ELNS1_3repE0EEENS1_30default_config_static_selectorELNS0_4arch9wavefront6targetE0EEEvT1_
                                        ; -- End function
	.set _ZN7rocprim17ROCPRIM_400000_NS6detail17trampoline_kernelINS0_14default_configENS1_27scan_by_key_config_selectorIiiEEZZNS1_16scan_by_key_implILNS1_25lookback_scan_determinismE0ELb0ES3_N6thrust23THRUST_200600_302600_NS10device_ptrIiEESB_SB_iNS9_4plusIvEENS9_8equal_toIvEEiEE10hipError_tPvRmT2_T3_T4_T5_mT6_T7_P12ihipStream_tbENKUlT_T0_E_clISt17integral_constantIbLb1EESV_IbLb0EEEEDaSR_SS_EUlSR_E_NS1_11comp_targetILNS1_3genE8ELNS1_11target_archE1030ELNS1_3gpuE2ELNS1_3repE0EEENS1_30default_config_static_selectorELNS0_4arch9wavefront6targetE0EEEvT1_.num_vgpr, 0
	.set _ZN7rocprim17ROCPRIM_400000_NS6detail17trampoline_kernelINS0_14default_configENS1_27scan_by_key_config_selectorIiiEEZZNS1_16scan_by_key_implILNS1_25lookback_scan_determinismE0ELb0ES3_N6thrust23THRUST_200600_302600_NS10device_ptrIiEESB_SB_iNS9_4plusIvEENS9_8equal_toIvEEiEE10hipError_tPvRmT2_T3_T4_T5_mT6_T7_P12ihipStream_tbENKUlT_T0_E_clISt17integral_constantIbLb1EESV_IbLb0EEEEDaSR_SS_EUlSR_E_NS1_11comp_targetILNS1_3genE8ELNS1_11target_archE1030ELNS1_3gpuE2ELNS1_3repE0EEENS1_30default_config_static_selectorELNS0_4arch9wavefront6targetE0EEEvT1_.num_agpr, 0
	.set _ZN7rocprim17ROCPRIM_400000_NS6detail17trampoline_kernelINS0_14default_configENS1_27scan_by_key_config_selectorIiiEEZZNS1_16scan_by_key_implILNS1_25lookback_scan_determinismE0ELb0ES3_N6thrust23THRUST_200600_302600_NS10device_ptrIiEESB_SB_iNS9_4plusIvEENS9_8equal_toIvEEiEE10hipError_tPvRmT2_T3_T4_T5_mT6_T7_P12ihipStream_tbENKUlT_T0_E_clISt17integral_constantIbLb1EESV_IbLb0EEEEDaSR_SS_EUlSR_E_NS1_11comp_targetILNS1_3genE8ELNS1_11target_archE1030ELNS1_3gpuE2ELNS1_3repE0EEENS1_30default_config_static_selectorELNS0_4arch9wavefront6targetE0EEEvT1_.numbered_sgpr, 0
	.set _ZN7rocprim17ROCPRIM_400000_NS6detail17trampoline_kernelINS0_14default_configENS1_27scan_by_key_config_selectorIiiEEZZNS1_16scan_by_key_implILNS1_25lookback_scan_determinismE0ELb0ES3_N6thrust23THRUST_200600_302600_NS10device_ptrIiEESB_SB_iNS9_4plusIvEENS9_8equal_toIvEEiEE10hipError_tPvRmT2_T3_T4_T5_mT6_T7_P12ihipStream_tbENKUlT_T0_E_clISt17integral_constantIbLb1EESV_IbLb0EEEEDaSR_SS_EUlSR_E_NS1_11comp_targetILNS1_3genE8ELNS1_11target_archE1030ELNS1_3gpuE2ELNS1_3repE0EEENS1_30default_config_static_selectorELNS0_4arch9wavefront6targetE0EEEvT1_.num_named_barrier, 0
	.set _ZN7rocprim17ROCPRIM_400000_NS6detail17trampoline_kernelINS0_14default_configENS1_27scan_by_key_config_selectorIiiEEZZNS1_16scan_by_key_implILNS1_25lookback_scan_determinismE0ELb0ES3_N6thrust23THRUST_200600_302600_NS10device_ptrIiEESB_SB_iNS9_4plusIvEENS9_8equal_toIvEEiEE10hipError_tPvRmT2_T3_T4_T5_mT6_T7_P12ihipStream_tbENKUlT_T0_E_clISt17integral_constantIbLb1EESV_IbLb0EEEEDaSR_SS_EUlSR_E_NS1_11comp_targetILNS1_3genE8ELNS1_11target_archE1030ELNS1_3gpuE2ELNS1_3repE0EEENS1_30default_config_static_selectorELNS0_4arch9wavefront6targetE0EEEvT1_.private_seg_size, 0
	.set _ZN7rocprim17ROCPRIM_400000_NS6detail17trampoline_kernelINS0_14default_configENS1_27scan_by_key_config_selectorIiiEEZZNS1_16scan_by_key_implILNS1_25lookback_scan_determinismE0ELb0ES3_N6thrust23THRUST_200600_302600_NS10device_ptrIiEESB_SB_iNS9_4plusIvEENS9_8equal_toIvEEiEE10hipError_tPvRmT2_T3_T4_T5_mT6_T7_P12ihipStream_tbENKUlT_T0_E_clISt17integral_constantIbLb1EESV_IbLb0EEEEDaSR_SS_EUlSR_E_NS1_11comp_targetILNS1_3genE8ELNS1_11target_archE1030ELNS1_3gpuE2ELNS1_3repE0EEENS1_30default_config_static_selectorELNS0_4arch9wavefront6targetE0EEEvT1_.uses_vcc, 0
	.set _ZN7rocprim17ROCPRIM_400000_NS6detail17trampoline_kernelINS0_14default_configENS1_27scan_by_key_config_selectorIiiEEZZNS1_16scan_by_key_implILNS1_25lookback_scan_determinismE0ELb0ES3_N6thrust23THRUST_200600_302600_NS10device_ptrIiEESB_SB_iNS9_4plusIvEENS9_8equal_toIvEEiEE10hipError_tPvRmT2_T3_T4_T5_mT6_T7_P12ihipStream_tbENKUlT_T0_E_clISt17integral_constantIbLb1EESV_IbLb0EEEEDaSR_SS_EUlSR_E_NS1_11comp_targetILNS1_3genE8ELNS1_11target_archE1030ELNS1_3gpuE2ELNS1_3repE0EEENS1_30default_config_static_selectorELNS0_4arch9wavefront6targetE0EEEvT1_.uses_flat_scratch, 0
	.set _ZN7rocprim17ROCPRIM_400000_NS6detail17trampoline_kernelINS0_14default_configENS1_27scan_by_key_config_selectorIiiEEZZNS1_16scan_by_key_implILNS1_25lookback_scan_determinismE0ELb0ES3_N6thrust23THRUST_200600_302600_NS10device_ptrIiEESB_SB_iNS9_4plusIvEENS9_8equal_toIvEEiEE10hipError_tPvRmT2_T3_T4_T5_mT6_T7_P12ihipStream_tbENKUlT_T0_E_clISt17integral_constantIbLb1EESV_IbLb0EEEEDaSR_SS_EUlSR_E_NS1_11comp_targetILNS1_3genE8ELNS1_11target_archE1030ELNS1_3gpuE2ELNS1_3repE0EEENS1_30default_config_static_selectorELNS0_4arch9wavefront6targetE0EEEvT1_.has_dyn_sized_stack, 0
	.set _ZN7rocprim17ROCPRIM_400000_NS6detail17trampoline_kernelINS0_14default_configENS1_27scan_by_key_config_selectorIiiEEZZNS1_16scan_by_key_implILNS1_25lookback_scan_determinismE0ELb0ES3_N6thrust23THRUST_200600_302600_NS10device_ptrIiEESB_SB_iNS9_4plusIvEENS9_8equal_toIvEEiEE10hipError_tPvRmT2_T3_T4_T5_mT6_T7_P12ihipStream_tbENKUlT_T0_E_clISt17integral_constantIbLb1EESV_IbLb0EEEEDaSR_SS_EUlSR_E_NS1_11comp_targetILNS1_3genE8ELNS1_11target_archE1030ELNS1_3gpuE2ELNS1_3repE0EEENS1_30default_config_static_selectorELNS0_4arch9wavefront6targetE0EEEvT1_.has_recursion, 0
	.set _ZN7rocprim17ROCPRIM_400000_NS6detail17trampoline_kernelINS0_14default_configENS1_27scan_by_key_config_selectorIiiEEZZNS1_16scan_by_key_implILNS1_25lookback_scan_determinismE0ELb0ES3_N6thrust23THRUST_200600_302600_NS10device_ptrIiEESB_SB_iNS9_4plusIvEENS9_8equal_toIvEEiEE10hipError_tPvRmT2_T3_T4_T5_mT6_T7_P12ihipStream_tbENKUlT_T0_E_clISt17integral_constantIbLb1EESV_IbLb0EEEEDaSR_SS_EUlSR_E_NS1_11comp_targetILNS1_3genE8ELNS1_11target_archE1030ELNS1_3gpuE2ELNS1_3repE0EEENS1_30default_config_static_selectorELNS0_4arch9wavefront6targetE0EEEvT1_.has_indirect_call, 0
	.section	.AMDGPU.csdata,"",@progbits
; Kernel info:
; codeLenInByte = 0
; TotalNumSgprs: 0
; NumVgprs: 0
; ScratchSize: 0
; MemoryBound: 0
; FloatMode: 240
; IeeeMode: 1
; LDSByteSize: 0 bytes/workgroup (compile time only)
; SGPRBlocks: 0
; VGPRBlocks: 0
; NumSGPRsForWavesPerEU: 1
; NumVGPRsForWavesPerEU: 1
; NamedBarCnt: 0
; Occupancy: 16
; WaveLimiterHint : 0
; COMPUTE_PGM_RSRC2:SCRATCH_EN: 0
; COMPUTE_PGM_RSRC2:USER_SGPR: 2
; COMPUTE_PGM_RSRC2:TRAP_HANDLER: 0
; COMPUTE_PGM_RSRC2:TGID_X_EN: 1
; COMPUTE_PGM_RSRC2:TGID_Y_EN: 0
; COMPUTE_PGM_RSRC2:TGID_Z_EN: 0
; COMPUTE_PGM_RSRC2:TIDIG_COMP_CNT: 0
	.section	.text._ZN7rocprim17ROCPRIM_400000_NS6detail30init_device_scan_by_key_kernelINS1_19lookback_scan_stateINS0_5tupleIJibEEELb0ELb1EEEN6thrust23THRUST_200600_302600_NS10device_ptrIiEEjNS1_16block_id_wrapperIjLb1EEEEEvT_jjPNSD_10value_typeET0_PNSt15iterator_traitsISG_E10value_typeEmT1_T2_,"axG",@progbits,_ZN7rocprim17ROCPRIM_400000_NS6detail30init_device_scan_by_key_kernelINS1_19lookback_scan_stateINS0_5tupleIJibEEELb0ELb1EEEN6thrust23THRUST_200600_302600_NS10device_ptrIiEEjNS1_16block_id_wrapperIjLb1EEEEEvT_jjPNSD_10value_typeET0_PNSt15iterator_traitsISG_E10value_typeEmT1_T2_,comdat
	.protected	_ZN7rocprim17ROCPRIM_400000_NS6detail30init_device_scan_by_key_kernelINS1_19lookback_scan_stateINS0_5tupleIJibEEELb0ELb1EEEN6thrust23THRUST_200600_302600_NS10device_ptrIiEEjNS1_16block_id_wrapperIjLb1EEEEEvT_jjPNSD_10value_typeET0_PNSt15iterator_traitsISG_E10value_typeEmT1_T2_ ; -- Begin function _ZN7rocprim17ROCPRIM_400000_NS6detail30init_device_scan_by_key_kernelINS1_19lookback_scan_stateINS0_5tupleIJibEEELb0ELb1EEEN6thrust23THRUST_200600_302600_NS10device_ptrIiEEjNS1_16block_id_wrapperIjLb1EEEEEvT_jjPNSD_10value_typeET0_PNSt15iterator_traitsISG_E10value_typeEmT1_T2_
	.globl	_ZN7rocprim17ROCPRIM_400000_NS6detail30init_device_scan_by_key_kernelINS1_19lookback_scan_stateINS0_5tupleIJibEEELb0ELb1EEEN6thrust23THRUST_200600_302600_NS10device_ptrIiEEjNS1_16block_id_wrapperIjLb1EEEEEvT_jjPNSD_10value_typeET0_PNSt15iterator_traitsISG_E10value_typeEmT1_T2_
	.p2align	8
	.type	_ZN7rocprim17ROCPRIM_400000_NS6detail30init_device_scan_by_key_kernelINS1_19lookback_scan_stateINS0_5tupleIJibEEELb0ELb1EEEN6thrust23THRUST_200600_302600_NS10device_ptrIiEEjNS1_16block_id_wrapperIjLb1EEEEEvT_jjPNSD_10value_typeET0_PNSt15iterator_traitsISG_E10value_typeEmT1_T2_,@function
_ZN7rocprim17ROCPRIM_400000_NS6detail30init_device_scan_by_key_kernelINS1_19lookback_scan_stateINS0_5tupleIJibEEELb0ELb1EEEN6thrust23THRUST_200600_302600_NS10device_ptrIiEEjNS1_16block_id_wrapperIjLb1EEEEEvT_jjPNSD_10value_typeET0_PNSt15iterator_traitsISG_E10value_typeEmT1_T2_: ; @_ZN7rocprim17ROCPRIM_400000_NS6detail30init_device_scan_by_key_kernelINS1_19lookback_scan_stateINS0_5tupleIJibEEELb0ELb1EEEN6thrust23THRUST_200600_302600_NS10device_ptrIiEEjNS1_16block_id_wrapperIjLb1EEEEEvT_jjPNSD_10value_typeET0_PNSt15iterator_traitsISG_E10value_typeEmT1_T2_
; %bb.0:
	s_clause 0x2
	s_load_b32 s2, s[0:1], 0x4c
	s_load_b32 s14, s[0:1], 0x40
	s_load_b256 s[4:11], s[0:1], 0x0
	s_bfe_u32 s3, ttmp6, 0x4000c
	s_and_b32 s12, ttmp6, 15
	s_add_co_i32 s3, s3, 1
	s_getreg_b32 s13, hwreg(HW_REG_IB_STS2, 6, 4)
	s_mul_i32 s3, ttmp9, s3
	s_delay_alu instid0(SALU_CYCLE_1)
	s_add_co_i32 s12, s12, s3
	s_wait_kmcnt 0x0
	s_and_b32 s15, s2, 0xffff
	s_cmp_eq_u32 s13, 0
	s_cselect_b32 s2, ttmp9, s12
	s_cmp_eq_u64 s[8:9], 0
	v_mad_u32 v4, s2, s15, v0
	s_cbranch_scc1 .LBB2223_8
; %bb.1:
	s_cmp_lt_u32 s7, s6
	s_mov_b32 s16, exec_lo
	s_cselect_b32 s2, s7, 0
	s_delay_alu instid0(VALU_DEP_1) | instid1(SALU_CYCLE_1)
	v_cmpx_eq_u32_e64 s2, v4
	s_cbranch_execz .LBB2223_7
; %bb.2:
	s_add_co_i32 s2, s7, 32
	s_mov_b32 s3, 0
	v_mov_b32_e32 v7, 0
	s_lshl_b64 s[12:13], s[2:3], 4
	s_mov_b32 s2, exec_lo
	s_add_nc_u64 s[12:13], s[4:5], s[12:13]
	s_delay_alu instid0(SALU_CYCLE_1) | instskip(SKIP_2) | instid1(VALU_DEP_1)
	v_mov_b64_e32 v[0:1], s[12:13]
	;;#ASMSTART
	global_load_b128 v[0:3], v[0:1] off scope:SCOPE_DEV	
s_wait_loadcnt 0x0
	;;#ASMEND
	v_and_b32_e32 v6, 0xff, v2
	v_cmpx_eq_u64_e32 0, v[6:7]
	s_cbranch_execz .LBB2223_6
; %bb.3:
	v_mov_b64_e32 v[8:9], s[12:13]
.LBB2223_4:                             ; =>This Inner Loop Header: Depth=1
	;;#ASMSTART
	global_load_b128 v[0:3], v[8:9] off scope:SCOPE_DEV	
s_wait_loadcnt 0x0
	;;#ASMEND
	v_and_b32_e32 v6, 0xff, v2
	s_delay_alu instid0(VALU_DEP_1) | instskip(SKIP_1) | instid1(SALU_CYCLE_1)
	v_cmp_ne_u64_e32 vcc_lo, 0, v[6:7]
	s_or_b32 s3, vcc_lo, s3
	s_and_not1_b32 exec_lo, exec_lo, s3
	s_cbranch_execnz .LBB2223_4
; %bb.5:
	s_or_b32 exec_lo, exec_lo, s3
.LBB2223_6:
	s_delay_alu instid0(SALU_CYCLE_1)
	s_or_b32 exec_lo, exec_lo, s2
	v_mov_b32_e32 v2, 0
	s_clause 0x1
	global_store_b32 v2, v0, s[8:9]
	global_store_b8 v2, v1, s[8:9] offset:4
.LBB2223_7:
	s_wait_xcnt 0x0
	s_or_b32 exec_lo, exec_lo, s16
.LBB2223_8:
	s_delay_alu instid0(SALU_CYCLE_1) | instskip(NEXT) | instid1(VALU_DEP_1)
	s_mov_b32 s2, exec_lo
	v_cmpx_eq_u32_e32 0, v4
	s_cbranch_execz .LBB2223_10
; %bb.9:
	s_load_b64 s[8:9], s[0:1], 0x38
	v_mov_b32_e32 v0, 0
	s_wait_kmcnt 0x0
	global_store_b32 v0, v0, s[8:9]
.LBB2223_10:
	s_wait_xcnt 0x0
	s_or_b32 exec_lo, exec_lo, s2
	s_delay_alu instid0(SALU_CYCLE_1)
	s_mov_b32 s2, exec_lo
	v_cmpx_gt_u32_e64 s6, v4
	s_cbranch_execz .LBB2223_12
; %bb.11:
	v_dual_mov_b32 v0, 0 :: v_dual_add_nc_u32 v5, 32, v4
	s_delay_alu instid0(VALU_DEP_1)
	v_dual_mov_b32 v1, v0 :: v_dual_mov_b32 v2, v0
	v_mov_b32_e32 v3, v0
	global_store_b128 v5, v[0:3], s[4:5] scale_offset
.LBB2223_12:
	s_wait_xcnt 0x0
	s_or_b32 exec_lo, exec_lo, s2
	v_mov_b32_e32 v5, 0
	s_mov_b32 s2, exec_lo
	v_cmpx_gt_u32_e32 32, v4
	s_cbranch_execz .LBB2223_14
; %bb.13:
	s_delay_alu instid0(VALU_DEP_2)
	v_lshl_add_u64 v[6:7], v[4:5], 4, s[4:5]
	v_dual_mov_b32 v2, 0xff :: v_dual_mov_b32 v1, v5
	v_dual_mov_b32 v0, v5 :: v_dual_mov_b32 v3, v5
	global_store_b128 v[6:7], v[0:3], off
.LBB2223_14:
	s_wait_xcnt 0x0
	s_or_b32 exec_lo, exec_lo, s2
	s_load_b64 s[2:3], s[0:1], 0x28
	s_mov_b32 s4, exec_lo
	s_wait_kmcnt 0x0
	v_cmpx_gt_u64_e64 s[2:3], v[4:5]
	s_cbranch_execz .LBB2223_17
; %bb.15:
	s_clause 0x1
	s_load_b32 s4, s[0:1], 0x30
	s_load_b64 s[6:7], s[0:1], 0x20
	s_mov_b32 s5, 0
	s_wait_xcnt 0x0
	s_mul_i32 s0, s14, s15
	s_mov_b32 s9, s5
	s_mov_b32 s1, s5
	s_wait_kmcnt 0x0
	v_mul_u64_e32 v[0:1], s[4:5], v[4:5]
	s_add_co_i32 s8, s4, -1
	v_lshl_add_u64 v[2:3], v[4:5], 2, s[6:7]
	s_lshl_b64 s[8:9], s[8:9], 2
	s_delay_alu instid0(SALU_CYCLE_1) | instskip(SKIP_1) | instid1(SALU_CYCLE_1)
	s_add_nc_u64 s[8:9], s[10:11], s[8:9]
	s_mul_u64 s[10:11], s[4:5], s[0:1]
	s_lshl_b64 s[6:7], s[10:11], 2
	s_delay_alu instid0(VALU_DEP_2)
	v_lshl_add_u64 v[0:1], v[0:1], 2, s[8:9]
	s_lshl_b64 s[8:9], s[0:1], 2
.LBB2223_16:                            ; =>This Inner Loop Header: Depth=1
	global_load_b32 v6, v[0:1], off
	v_add_nc_u64_e32 v[4:5], s[0:1], v[4:5]
	s_wait_xcnt 0x0
	v_add_nc_u64_e32 v[0:1], s[6:7], v[0:1]
	s_delay_alu instid0(VALU_DEP_2)
	v_cmp_le_u64_e32 vcc_lo, s[2:3], v[4:5]
	s_or_b32 s5, vcc_lo, s5
	s_wait_loadcnt 0x0
	global_store_b32 v[2:3], v6, off
	s_wait_xcnt 0x0
	v_add_nc_u64_e32 v[2:3], s[8:9], v[2:3]
	s_and_not1_b32 exec_lo, exec_lo, s5
	s_cbranch_execnz .LBB2223_16
.LBB2223_17:
	s_endpgm
	.section	.rodata,"a",@progbits
	.p2align	6, 0x0
	.amdhsa_kernel _ZN7rocprim17ROCPRIM_400000_NS6detail30init_device_scan_by_key_kernelINS1_19lookback_scan_stateINS0_5tupleIJibEEELb0ELb1EEEN6thrust23THRUST_200600_302600_NS10device_ptrIiEEjNS1_16block_id_wrapperIjLb1EEEEEvT_jjPNSD_10value_typeET0_PNSt15iterator_traitsISG_E10value_typeEmT1_T2_
		.amdhsa_group_segment_fixed_size 0
		.amdhsa_private_segment_fixed_size 0
		.amdhsa_kernarg_size 320
		.amdhsa_user_sgpr_count 2
		.amdhsa_user_sgpr_dispatch_ptr 0
		.amdhsa_user_sgpr_queue_ptr 0
		.amdhsa_user_sgpr_kernarg_segment_ptr 1
		.amdhsa_user_sgpr_dispatch_id 0
		.amdhsa_user_sgpr_kernarg_preload_length 0
		.amdhsa_user_sgpr_kernarg_preload_offset 0
		.amdhsa_user_sgpr_private_segment_size 0
		.amdhsa_wavefront_size32 1
		.amdhsa_uses_dynamic_stack 0
		.amdhsa_enable_private_segment 0
		.amdhsa_system_sgpr_workgroup_id_x 1
		.amdhsa_system_sgpr_workgroup_id_y 0
		.amdhsa_system_sgpr_workgroup_id_z 0
		.amdhsa_system_sgpr_workgroup_info 0
		.amdhsa_system_vgpr_workitem_id 0
		.amdhsa_next_free_vgpr 10
		.amdhsa_next_free_sgpr 17
		.amdhsa_named_barrier_count 0
		.amdhsa_reserve_vcc 1
		.amdhsa_float_round_mode_32 0
		.amdhsa_float_round_mode_16_64 0
		.amdhsa_float_denorm_mode_32 3
		.amdhsa_float_denorm_mode_16_64 3
		.amdhsa_fp16_overflow 0
		.amdhsa_memory_ordered 1
		.amdhsa_forward_progress 1
		.amdhsa_inst_pref_size 5
		.amdhsa_round_robin_scheduling 0
		.amdhsa_exception_fp_ieee_invalid_op 0
		.amdhsa_exception_fp_denorm_src 0
		.amdhsa_exception_fp_ieee_div_zero 0
		.amdhsa_exception_fp_ieee_overflow 0
		.amdhsa_exception_fp_ieee_underflow 0
		.amdhsa_exception_fp_ieee_inexact 0
		.amdhsa_exception_int_div_zero 0
	.end_amdhsa_kernel
	.section	.text._ZN7rocprim17ROCPRIM_400000_NS6detail30init_device_scan_by_key_kernelINS1_19lookback_scan_stateINS0_5tupleIJibEEELb0ELb1EEEN6thrust23THRUST_200600_302600_NS10device_ptrIiEEjNS1_16block_id_wrapperIjLb1EEEEEvT_jjPNSD_10value_typeET0_PNSt15iterator_traitsISG_E10value_typeEmT1_T2_,"axG",@progbits,_ZN7rocprim17ROCPRIM_400000_NS6detail30init_device_scan_by_key_kernelINS1_19lookback_scan_stateINS0_5tupleIJibEEELb0ELb1EEEN6thrust23THRUST_200600_302600_NS10device_ptrIiEEjNS1_16block_id_wrapperIjLb1EEEEEvT_jjPNSD_10value_typeET0_PNSt15iterator_traitsISG_E10value_typeEmT1_T2_,comdat
.Lfunc_end2223:
	.size	_ZN7rocprim17ROCPRIM_400000_NS6detail30init_device_scan_by_key_kernelINS1_19lookback_scan_stateINS0_5tupleIJibEEELb0ELb1EEEN6thrust23THRUST_200600_302600_NS10device_ptrIiEEjNS1_16block_id_wrapperIjLb1EEEEEvT_jjPNSD_10value_typeET0_PNSt15iterator_traitsISG_E10value_typeEmT1_T2_, .Lfunc_end2223-_ZN7rocprim17ROCPRIM_400000_NS6detail30init_device_scan_by_key_kernelINS1_19lookback_scan_stateINS0_5tupleIJibEEELb0ELb1EEEN6thrust23THRUST_200600_302600_NS10device_ptrIiEEjNS1_16block_id_wrapperIjLb1EEEEEvT_jjPNSD_10value_typeET0_PNSt15iterator_traitsISG_E10value_typeEmT1_T2_
                                        ; -- End function
	.set _ZN7rocprim17ROCPRIM_400000_NS6detail30init_device_scan_by_key_kernelINS1_19lookback_scan_stateINS0_5tupleIJibEEELb0ELb1EEEN6thrust23THRUST_200600_302600_NS10device_ptrIiEEjNS1_16block_id_wrapperIjLb1EEEEEvT_jjPNSD_10value_typeET0_PNSt15iterator_traitsISG_E10value_typeEmT1_T2_.num_vgpr, 10
	.set _ZN7rocprim17ROCPRIM_400000_NS6detail30init_device_scan_by_key_kernelINS1_19lookback_scan_stateINS0_5tupleIJibEEELb0ELb1EEEN6thrust23THRUST_200600_302600_NS10device_ptrIiEEjNS1_16block_id_wrapperIjLb1EEEEEvT_jjPNSD_10value_typeET0_PNSt15iterator_traitsISG_E10value_typeEmT1_T2_.num_agpr, 0
	.set _ZN7rocprim17ROCPRIM_400000_NS6detail30init_device_scan_by_key_kernelINS1_19lookback_scan_stateINS0_5tupleIJibEEELb0ELb1EEEN6thrust23THRUST_200600_302600_NS10device_ptrIiEEjNS1_16block_id_wrapperIjLb1EEEEEvT_jjPNSD_10value_typeET0_PNSt15iterator_traitsISG_E10value_typeEmT1_T2_.numbered_sgpr, 17
	.set _ZN7rocprim17ROCPRIM_400000_NS6detail30init_device_scan_by_key_kernelINS1_19lookback_scan_stateINS0_5tupleIJibEEELb0ELb1EEEN6thrust23THRUST_200600_302600_NS10device_ptrIiEEjNS1_16block_id_wrapperIjLb1EEEEEvT_jjPNSD_10value_typeET0_PNSt15iterator_traitsISG_E10value_typeEmT1_T2_.num_named_barrier, 0
	.set _ZN7rocprim17ROCPRIM_400000_NS6detail30init_device_scan_by_key_kernelINS1_19lookback_scan_stateINS0_5tupleIJibEEELb0ELb1EEEN6thrust23THRUST_200600_302600_NS10device_ptrIiEEjNS1_16block_id_wrapperIjLb1EEEEEvT_jjPNSD_10value_typeET0_PNSt15iterator_traitsISG_E10value_typeEmT1_T2_.private_seg_size, 0
	.set _ZN7rocprim17ROCPRIM_400000_NS6detail30init_device_scan_by_key_kernelINS1_19lookback_scan_stateINS0_5tupleIJibEEELb0ELb1EEEN6thrust23THRUST_200600_302600_NS10device_ptrIiEEjNS1_16block_id_wrapperIjLb1EEEEEvT_jjPNSD_10value_typeET0_PNSt15iterator_traitsISG_E10value_typeEmT1_T2_.uses_vcc, 1
	.set _ZN7rocprim17ROCPRIM_400000_NS6detail30init_device_scan_by_key_kernelINS1_19lookback_scan_stateINS0_5tupleIJibEEELb0ELb1EEEN6thrust23THRUST_200600_302600_NS10device_ptrIiEEjNS1_16block_id_wrapperIjLb1EEEEEvT_jjPNSD_10value_typeET0_PNSt15iterator_traitsISG_E10value_typeEmT1_T2_.uses_flat_scratch, 0
	.set _ZN7rocprim17ROCPRIM_400000_NS6detail30init_device_scan_by_key_kernelINS1_19lookback_scan_stateINS0_5tupleIJibEEELb0ELb1EEEN6thrust23THRUST_200600_302600_NS10device_ptrIiEEjNS1_16block_id_wrapperIjLb1EEEEEvT_jjPNSD_10value_typeET0_PNSt15iterator_traitsISG_E10value_typeEmT1_T2_.has_dyn_sized_stack, 0
	.set _ZN7rocprim17ROCPRIM_400000_NS6detail30init_device_scan_by_key_kernelINS1_19lookback_scan_stateINS0_5tupleIJibEEELb0ELb1EEEN6thrust23THRUST_200600_302600_NS10device_ptrIiEEjNS1_16block_id_wrapperIjLb1EEEEEvT_jjPNSD_10value_typeET0_PNSt15iterator_traitsISG_E10value_typeEmT1_T2_.has_recursion, 0
	.set _ZN7rocprim17ROCPRIM_400000_NS6detail30init_device_scan_by_key_kernelINS1_19lookback_scan_stateINS0_5tupleIJibEEELb0ELb1EEEN6thrust23THRUST_200600_302600_NS10device_ptrIiEEjNS1_16block_id_wrapperIjLb1EEEEEvT_jjPNSD_10value_typeET0_PNSt15iterator_traitsISG_E10value_typeEmT1_T2_.has_indirect_call, 0
	.section	.AMDGPU.csdata,"",@progbits
; Kernel info:
; codeLenInByte = 636
; TotalNumSgprs: 19
; NumVgprs: 10
; ScratchSize: 0
; MemoryBound: 0
; FloatMode: 240
; IeeeMode: 1
; LDSByteSize: 0 bytes/workgroup (compile time only)
; SGPRBlocks: 0
; VGPRBlocks: 0
; NumSGPRsForWavesPerEU: 19
; NumVGPRsForWavesPerEU: 10
; NamedBarCnt: 0
; Occupancy: 16
; WaveLimiterHint : 0
; COMPUTE_PGM_RSRC2:SCRATCH_EN: 0
; COMPUTE_PGM_RSRC2:USER_SGPR: 2
; COMPUTE_PGM_RSRC2:TRAP_HANDLER: 0
; COMPUTE_PGM_RSRC2:TGID_X_EN: 1
; COMPUTE_PGM_RSRC2:TGID_Y_EN: 0
; COMPUTE_PGM_RSRC2:TGID_Z_EN: 0
; COMPUTE_PGM_RSRC2:TIDIG_COMP_CNT: 0
	.section	.text._ZN7rocprim17ROCPRIM_400000_NS6detail17trampoline_kernelINS0_14default_configENS1_27scan_by_key_config_selectorIiiEEZZNS1_16scan_by_key_implILNS1_25lookback_scan_determinismE0ELb0ES3_N6thrust23THRUST_200600_302600_NS10device_ptrIiEESB_SB_iNS9_4plusIvEENS9_8equal_toIvEEiEE10hipError_tPvRmT2_T3_T4_T5_mT6_T7_P12ihipStream_tbENKUlT_T0_E_clISt17integral_constantIbLb0EESV_IbLb1EEEEDaSR_SS_EUlSR_E_NS1_11comp_targetILNS1_3genE0ELNS1_11target_archE4294967295ELNS1_3gpuE0ELNS1_3repE0EEENS1_30default_config_static_selectorELNS0_4arch9wavefront6targetE0EEEvT1_,"axG",@progbits,_ZN7rocprim17ROCPRIM_400000_NS6detail17trampoline_kernelINS0_14default_configENS1_27scan_by_key_config_selectorIiiEEZZNS1_16scan_by_key_implILNS1_25lookback_scan_determinismE0ELb0ES3_N6thrust23THRUST_200600_302600_NS10device_ptrIiEESB_SB_iNS9_4plusIvEENS9_8equal_toIvEEiEE10hipError_tPvRmT2_T3_T4_T5_mT6_T7_P12ihipStream_tbENKUlT_T0_E_clISt17integral_constantIbLb0EESV_IbLb1EEEEDaSR_SS_EUlSR_E_NS1_11comp_targetILNS1_3genE0ELNS1_11target_archE4294967295ELNS1_3gpuE0ELNS1_3repE0EEENS1_30default_config_static_selectorELNS0_4arch9wavefront6targetE0EEEvT1_,comdat
	.protected	_ZN7rocprim17ROCPRIM_400000_NS6detail17trampoline_kernelINS0_14default_configENS1_27scan_by_key_config_selectorIiiEEZZNS1_16scan_by_key_implILNS1_25lookback_scan_determinismE0ELb0ES3_N6thrust23THRUST_200600_302600_NS10device_ptrIiEESB_SB_iNS9_4plusIvEENS9_8equal_toIvEEiEE10hipError_tPvRmT2_T3_T4_T5_mT6_T7_P12ihipStream_tbENKUlT_T0_E_clISt17integral_constantIbLb0EESV_IbLb1EEEEDaSR_SS_EUlSR_E_NS1_11comp_targetILNS1_3genE0ELNS1_11target_archE4294967295ELNS1_3gpuE0ELNS1_3repE0EEENS1_30default_config_static_selectorELNS0_4arch9wavefront6targetE0EEEvT1_ ; -- Begin function _ZN7rocprim17ROCPRIM_400000_NS6detail17trampoline_kernelINS0_14default_configENS1_27scan_by_key_config_selectorIiiEEZZNS1_16scan_by_key_implILNS1_25lookback_scan_determinismE0ELb0ES3_N6thrust23THRUST_200600_302600_NS10device_ptrIiEESB_SB_iNS9_4plusIvEENS9_8equal_toIvEEiEE10hipError_tPvRmT2_T3_T4_T5_mT6_T7_P12ihipStream_tbENKUlT_T0_E_clISt17integral_constantIbLb0EESV_IbLb1EEEEDaSR_SS_EUlSR_E_NS1_11comp_targetILNS1_3genE0ELNS1_11target_archE4294967295ELNS1_3gpuE0ELNS1_3repE0EEENS1_30default_config_static_selectorELNS0_4arch9wavefront6targetE0EEEvT1_
	.globl	_ZN7rocprim17ROCPRIM_400000_NS6detail17trampoline_kernelINS0_14default_configENS1_27scan_by_key_config_selectorIiiEEZZNS1_16scan_by_key_implILNS1_25lookback_scan_determinismE0ELb0ES3_N6thrust23THRUST_200600_302600_NS10device_ptrIiEESB_SB_iNS9_4plusIvEENS9_8equal_toIvEEiEE10hipError_tPvRmT2_T3_T4_T5_mT6_T7_P12ihipStream_tbENKUlT_T0_E_clISt17integral_constantIbLb0EESV_IbLb1EEEEDaSR_SS_EUlSR_E_NS1_11comp_targetILNS1_3genE0ELNS1_11target_archE4294967295ELNS1_3gpuE0ELNS1_3repE0EEENS1_30default_config_static_selectorELNS0_4arch9wavefront6targetE0EEEvT1_
	.p2align	8
	.type	_ZN7rocprim17ROCPRIM_400000_NS6detail17trampoline_kernelINS0_14default_configENS1_27scan_by_key_config_selectorIiiEEZZNS1_16scan_by_key_implILNS1_25lookback_scan_determinismE0ELb0ES3_N6thrust23THRUST_200600_302600_NS10device_ptrIiEESB_SB_iNS9_4plusIvEENS9_8equal_toIvEEiEE10hipError_tPvRmT2_T3_T4_T5_mT6_T7_P12ihipStream_tbENKUlT_T0_E_clISt17integral_constantIbLb0EESV_IbLb1EEEEDaSR_SS_EUlSR_E_NS1_11comp_targetILNS1_3genE0ELNS1_11target_archE4294967295ELNS1_3gpuE0ELNS1_3repE0EEENS1_30default_config_static_selectorELNS0_4arch9wavefront6targetE0EEEvT1_,@function
_ZN7rocprim17ROCPRIM_400000_NS6detail17trampoline_kernelINS0_14default_configENS1_27scan_by_key_config_selectorIiiEEZZNS1_16scan_by_key_implILNS1_25lookback_scan_determinismE0ELb0ES3_N6thrust23THRUST_200600_302600_NS10device_ptrIiEESB_SB_iNS9_4plusIvEENS9_8equal_toIvEEiEE10hipError_tPvRmT2_T3_T4_T5_mT6_T7_P12ihipStream_tbENKUlT_T0_E_clISt17integral_constantIbLb0EESV_IbLb1EEEEDaSR_SS_EUlSR_E_NS1_11comp_targetILNS1_3genE0ELNS1_11target_archE4294967295ELNS1_3gpuE0ELNS1_3repE0EEENS1_30default_config_static_selectorELNS0_4arch9wavefront6targetE0EEEvT1_: ; @_ZN7rocprim17ROCPRIM_400000_NS6detail17trampoline_kernelINS0_14default_configENS1_27scan_by_key_config_selectorIiiEEZZNS1_16scan_by_key_implILNS1_25lookback_scan_determinismE0ELb0ES3_N6thrust23THRUST_200600_302600_NS10device_ptrIiEESB_SB_iNS9_4plusIvEENS9_8equal_toIvEEiEE10hipError_tPvRmT2_T3_T4_T5_mT6_T7_P12ihipStream_tbENKUlT_T0_E_clISt17integral_constantIbLb0EESV_IbLb1EEEEDaSR_SS_EUlSR_E_NS1_11comp_targetILNS1_3genE0ELNS1_11target_archE4294967295ELNS1_3gpuE0ELNS1_3repE0EEENS1_30default_config_static_selectorELNS0_4arch9wavefront6targetE0EEEvT1_
; %bb.0:
	s_clause 0x1
	s_load_b128 s[28:31], s[0:1], 0x28
	s_load_b64 s[36:37], s[0:1], 0x38
	v_cmp_ne_u32_e64 s3, 0, v0
	v_cmp_eq_u32_e64 s2, 0, v0
	s_and_saveexec_b32 s4, s2
	s_cbranch_execz .LBB2224_4
; %bb.1:
	s_mov_b32 s6, exec_lo
	s_mov_b32 s5, exec_lo
	v_mbcnt_lo_u32_b32 v1, s6, 0
                                        ; implicit-def: $vgpr2
	s_delay_alu instid0(VALU_DEP_1)
	v_cmpx_eq_u32_e32 0, v1
	s_cbranch_execz .LBB2224_3
; %bb.2:
	s_load_b64 s[8:9], s[0:1], 0x68
	s_bcnt1_i32_b32 s6, s6
	s_delay_alu instid0(SALU_CYCLE_1)
	v_dual_mov_b32 v2, 0 :: v_dual_mov_b32 v3, s6
	s_wait_xcnt 0x0
	s_wait_kmcnt 0x0
	global_atomic_add_u32 v2, v2, v3, s[8:9] th:TH_ATOMIC_RETURN scope:SCOPE_DEV
.LBB2224_3:
	s_wait_xcnt 0x0
	s_or_b32 exec_lo, exec_lo, s5
	s_wait_loadcnt 0x0
	v_readfirstlane_b32 s5, v2
	s_delay_alu instid0(VALU_DEP_1)
	v_dual_mov_b32 v2, 0 :: v_dual_add_nc_u32 v1, s5, v1
	ds_store_b32 v2, v1
.LBB2224_4:
	s_or_b32 exec_lo, exec_lo, s4
	v_mov_b32_e32 v1, 0
	s_clause 0x2
	s_load_b256 s[12:19], s[0:1], 0x0
	s_load_b32 s38, s[0:1], 0x40
	s_load_b256 s[20:27], s[0:1], 0x48
	s_wait_dscnt 0x0
	s_barrier_signal -1
	s_barrier_wait -1
	ds_load_b32 v2, v1
	s_mov_b32 s39, 0
	s_wait_dscnt 0x0
	s_mov_b32 s9, s39
	s_barrier_signal -1
	s_barrier_wait -1
	s_barrier_signal -1
	s_barrier_wait -1
	s_wait_kmcnt 0x0
	s_lshl_b64 s[34:35], s[14:15], 2
	s_mul_u64 s[6:7], s[36:37], s[38:39]
	s_cmp_lg_u64 s[24:25], 0
	s_add_nc_u64 s[0:1], s[12:13], s[34:35]
	s_add_nc_u64 s[4:5], s[16:17], s[34:35]
	s_cselect_b32 s42, -1, 0
	v_readfirstlane_b32 s38, v2
	s_add_nc_u64 s[24:25], s[6:7], s[38:39]
	s_add_nc_u64 s[6:7], s[20:21], -1
	s_mul_i32 s8, s38, 0xc00
	v_cmp_ge_u64_e64 s31, s[24:25], s[6:7]
	s_lshl_b64 s[16:17], s[8:9], 2
	s_mul_i32 s33, s6, 0xfffff400
	s_add_nc_u64 s[20:21], s[0:1], s[16:17]
	s_add_nc_u64 s[14:15], s[4:5], s[16:17]
	s_and_b32 vcc_lo, exec_lo, s31
	s_cbranch_vccz .LBB2224_32
; %bb.5:
	flat_load_b32 v1, v1, s[20:21]
	s_add_co_i32 s43, s33, s30
	s_delay_alu instid0(SALU_CYCLE_1)
	v_cmp_gt_u32_e64 s0, s43, v0
	s_wait_loadcnt_dscnt 0x0
	v_mov_b32_e32 v2, v1
	s_and_saveexec_b32 s1, s0
	s_cbranch_execz .LBB2224_7
; %bb.6:
	flat_load_b32 v2, v0, s[20:21] scale_offset
.LBB2224_7:
	s_wait_xcnt 0x0
	s_or_b32 exec_lo, exec_lo, s1
	v_or_b32_e32 v3, 0x100, v0
	v_mov_b32_e32 v4, v1
	s_delay_alu instid0(VALU_DEP_2)
	v_cmp_gt_u32_e64 s1, s43, v3
	s_and_saveexec_b32 s4, s1
	s_cbranch_execz .LBB2224_9
; %bb.8:
	flat_load_b32 v4, v0, s[20:21] offset:1024 scale_offset
.LBB2224_9:
	s_wait_xcnt 0x0
	s_or_b32 exec_lo, exec_lo, s4
	v_or_b32_e32 v3, 0x200, v0
	v_mov_b32_e32 v5, v1
	s_delay_alu instid0(VALU_DEP_2)
	v_cmp_gt_u32_e64 s4, s43, v3
	s_and_saveexec_b32 s5, s4
	s_cbranch_execz .LBB2224_11
; %bb.10:
	flat_load_b32 v5, v0, s[20:21] offset:2048 scale_offset
.LBB2224_11:
	;; [unrolled: 11-line block ×10, first 2 shown]
	s_wait_xcnt 0x0
	s_or_b32 exec_lo, exec_lo, s13
	v_or_b32_e32 v3, 0xb00, v0
	s_mov_b32 s39, exec_lo
	s_delay_alu instid0(VALU_DEP_1) | instskip(SKIP_2) | instid1(SALU_CYCLE_1)
	v_cmp_gt_u32_e64 s13, s43, v3
	v_cmpx_le_u32_e64 s43, v3
	s_xor_b32 s39, exec_lo, s39
	s_and_not1_saveexec_b32 s39, s39
	s_cbranch_execz .LBB2224_29
; %bb.28:
	flat_load_b32 v1, v0, s[20:21] offset:11264 scale_offset
.LBB2224_29:
	s_wait_xcnt 0x0
	s_or_b32 exec_lo, exec_lo, s39
	v_lshlrev_b32_e32 v3, 2, v0
	s_cmp_eq_u64 s[24:25], 0
	s_mov_b64 s[40:41], s[20:21]
	s_wait_loadcnt_dscnt 0x0
	ds_store_2addr_stride64_b32 v3, v2, v4 offset1:4
	ds_store_2addr_stride64_b32 v3, v5, v6 offset0:8 offset1:12
	ds_store_2addr_stride64_b32 v3, v7, v8 offset0:16 offset1:20
	;; [unrolled: 1-line block ×5, first 2 shown]
	v_mad_u32_u24 v1, v0, 44, v3
	s_wait_dscnt 0x0
	s_barrier_signal -1
	s_barrier_wait -1
	ds_load_b128 v[14:17], v1
	ds_load_b128 v[10:13], v1 offset:16
	ds_load_b128 v[6:9], v1 offset:32
	s_cbranch_scc1 .LBB2224_35
; %bb.30:
	s_and_not1_b32 vcc_lo, exec_lo, s42
	s_cbranch_vccnz .LBB2224_33
; %bb.31:
	s_lshl_b64 s[40:41], s[24:25], 2
	s_mov_b32 s39, 0
	s_add_nc_u64 s[40:41], s[26:27], s[40:41]
	s_delay_alu instid0(SALU_CYCLE_1)
	s_add_nc_u64 s[40:41], s[40:41], -4
	s_branch .LBB2224_34
.LBB2224_32:
                                        ; implicit-def: $sgpr4
                                        ; implicit-def: $vgpr5
                                        ; implicit-def: $vgpr18_vgpr19
                                        ; implicit-def: $vgpr42_vgpr43
                                        ; implicit-def: $vgpr46_vgpr47
                                        ; implicit-def: $vgpr44_vgpr45
                                        ; implicit-def: $vgpr48_vgpr49
                                        ; implicit-def: $vgpr50_vgpr51
                                        ; implicit-def: $vgpr52_vgpr53
                                        ; implicit-def: $vgpr54_vgpr55
                                        ; implicit-def: $vgpr56_vgpr57
                                        ; implicit-def: $vgpr58_vgpr59
                                        ; implicit-def: $vgpr38_vgpr39
                                        ; implicit-def: $vgpr36_vgpr37
                                        ; implicit-def: $vgpr34_vgpr35
                                        ; implicit-def: $vgpr32_vgpr33
                                        ; implicit-def: $vgpr30_vgpr31
                                        ; implicit-def: $vgpr28_vgpr29
                                        ; implicit-def: $vgpr26_vgpr27
                                        ; implicit-def: $vgpr24_vgpr25
                                        ; implicit-def: $vgpr22_vgpr23
                                        ; implicit-def: $vgpr20_vgpr21
	v_lshlrev_b32_e32 v16, 2, v0
	s_cbranch_execnz .LBB2224_73
	s_branch .LBB2224_92
.LBB2224_33:
	s_add_nc_u64 s[40:41], s[20:21], -4
	s_mov_b32 s39, -1
.LBB2224_34:
	s_delay_alu instid0(SALU_CYCLE_1)
	s_and_not1_b32 vcc_lo, exec_lo, s39
.LBB2224_35:
	v_mov_b32_e32 v2, 0
	v_mad_i32_i24 v4, 0xffffffd4, v0, v1
	flat_load_b32 v2, v2, s[40:41]
	s_wait_dscnt 0x1
	ds_store_b32 v4, v9 offset:12288
	s_wait_loadcnt_dscnt 0x0
	s_barrier_signal -1
	s_barrier_wait -1
	s_and_saveexec_b32 s39, s3
; %bb.36:
	v_mul_i32_i24_e32 v2, 0xffffffd4, v0
	s_delay_alu instid0(VALU_DEP_1)
	v_add_nc_u32_e32 v2, v1, v2
	ds_load_b32 v2, v2 offset:12284
; %bb.37:
	s_or_b32 exec_lo, exec_lo, s39
	s_wait_dscnt 0x0
	s_barrier_signal -1
	s_barrier_wait -1
                                        ; implicit-def: $vgpr5
	s_and_saveexec_b32 s39, s0
	s_cbranch_execnz .LBB2224_76
; %bb.38:
	s_or_b32 exec_lo, exec_lo, s39
                                        ; implicit-def: $vgpr18
	s_and_saveexec_b32 s0, s1
	s_cbranch_execnz .LBB2224_77
.LBB2224_39:
	s_or_b32 exec_lo, exec_lo, s0
                                        ; implicit-def: $vgpr19
	s_and_saveexec_b32 s0, s4
	s_cbranch_execnz .LBB2224_78
.LBB2224_40:
	s_or_b32 exec_lo, exec_lo, s0
                                        ; implicit-def: $vgpr20
	s_and_saveexec_b32 s0, s5
	s_cbranch_execnz .LBB2224_79
.LBB2224_41:
	s_or_b32 exec_lo, exec_lo, s0
                                        ; implicit-def: $vgpr21
	s_and_saveexec_b32 s0, s6
	s_cbranch_execnz .LBB2224_80
.LBB2224_42:
	s_or_b32 exec_lo, exec_lo, s0
                                        ; implicit-def: $vgpr22
	s_and_saveexec_b32 s0, s7
	s_cbranch_execnz .LBB2224_81
.LBB2224_43:
	s_or_b32 exec_lo, exec_lo, s0
                                        ; implicit-def: $vgpr23
	s_and_saveexec_b32 s0, s8
	s_cbranch_execnz .LBB2224_82
.LBB2224_44:
	s_or_b32 exec_lo, exec_lo, s0
                                        ; implicit-def: $vgpr24
	s_and_saveexec_b32 s0, s9
	s_cbranch_execnz .LBB2224_83
.LBB2224_45:
	s_or_b32 exec_lo, exec_lo, s0
                                        ; implicit-def: $vgpr25
	s_and_saveexec_b32 s0, s10
	s_cbranch_execnz .LBB2224_84
.LBB2224_46:
	s_or_b32 exec_lo, exec_lo, s0
                                        ; implicit-def: $vgpr26
	s_and_saveexec_b32 s0, s11
	s_cbranch_execnz .LBB2224_85
.LBB2224_47:
	s_or_b32 exec_lo, exec_lo, s0
                                        ; implicit-def: $vgpr27
	s_and_saveexec_b32 s0, s12
	s_cbranch_execnz .LBB2224_86
.LBB2224_48:
	s_or_b32 exec_lo, exec_lo, s0
                                        ; implicit-def: $vgpr28
	s_and_saveexec_b32 s0, s13
	s_cbranch_execz .LBB2224_50
.LBB2224_49:
	flat_load_b32 v28, v0, s[14:15] offset:11264 scale_offset
.LBB2224_50:
	s_wait_xcnt 0x0
	s_or_b32 exec_lo, exec_lo, s0
	s_wait_loadcnt_dscnt 0x0
	ds_store_2addr_stride64_b32 v3, v5, v18 offset1:4
	ds_store_2addr_stride64_b32 v3, v19, v20 offset0:8 offset1:12
	ds_store_2addr_stride64_b32 v3, v21, v22 offset0:16 offset1:20
	;; [unrolled: 1-line block ×5, first 2 shown]
	v_mov_b64_e32 v[18:19], 0
	v_mov_b64_e32 v[42:43], 0
	;; [unrolled: 1-line block ×20, first 2 shown]
	v_mul_u32_u24_e32 v4, 12, v0
	s_mov_b32 s1, 0
	s_mov_b32 s39, 0
	s_mov_b32 s5, exec_lo
	s_wait_dscnt 0x0
	s_barrier_signal -1
	s_barrier_wait -1
                                        ; implicit-def: $sgpr4
                                        ; implicit-def: $vgpr5
	v_cmpx_gt_u32_e64 s43, v4
	s_cbranch_execz .LBB2224_72
; %bb.51:
	ds_load_b32 v18, v1
	v_cmp_ne_u32_e32 vcc_lo, v2, v14
	v_mov_b64_e32 v[42:43], 0
	v_mov_b64_e32 v[46:47], 0
	;; [unrolled: 1-line block ×18, first 2 shown]
	v_or_b32_e32 v3, 1, v4
	v_cndmask_b32_e64 v19, 0, 1, vcc_lo
	s_mov_b32 s0, 0
	s_mov_b32 s6, exec_lo
                                        ; implicit-def: $sgpr4
                                        ; implicit-def: $vgpr5
	s_delay_alu instid0(VALU_DEP_2)
	v_cmpx_gt_u32_e64 s43, v3
	s_cbranch_execz .LBB2224_71
; %bb.52:
	ds_load_2addr_b32 v[42:43], v1 offset0:1 offset1:2
	v_cmp_ne_u32_e32 vcc_lo, v14, v15
	v_mov_b64_e32 v[46:47], 0
	v_mov_b64_e32 v[44:45], 0
	;; [unrolled: 1-line block ×16, first 2 shown]
	v_or_b32_e32 v3, 2, v4
	v_cndmask_b32_e64 v2, 0, 1, vcc_lo
	s_mov_b32 s7, exec_lo
                                        ; implicit-def: $sgpr4
                                        ; implicit-def: $vgpr5
	s_delay_alu instid0(VALU_DEP_2)
	v_cmpx_gt_u32_e64 s43, v3
	s_cbranch_execz .LBB2224_70
; %bb.53:
	v_cmp_ne_u32_e32 vcc_lo, v15, v16
	v_mov_b64_e32 v[44:45], 0
	v_mov_b64_e32 v[48:49], 0
	v_mov_b64_e32 v[50:51], 0
	v_mov_b64_e32 v[52:53], 0
	v_mov_b64_e32 v[54:55], 0
	v_mov_b64_e32 v[56:57], 0
	v_mov_b64_e32 v[58:59], 0
	v_mov_b64_e32 v[32:33], 0
	v_mov_b64_e32 v[30:31], 0
	v_mov_b64_e32 v[28:29], 0
	v_mov_b64_e32 v[26:27], 0
	v_mov_b64_e32 v[24:25], 0
	v_mov_b64_e32 v[22:23], 0
	v_mov_b64_e32 v[20:21], 0
	v_or_b32_e32 v3, 3, v4
	v_cndmask_b32_e64 v47, 0, 1, vcc_lo
	s_mov_b32 s8, exec_lo
                                        ; implicit-def: $sgpr4
                                        ; implicit-def: $vgpr5
	s_delay_alu instid0(VALU_DEP_2)
	v_cmpx_gt_u32_e64 s43, v3
	s_cbranch_execz .LBB2224_69
; %bb.54:
	ds_load_2addr_b32 v[44:45], v1 offset0:3 offset1:4
	v_add_nc_u32_e32 v5, 4, v4
	v_cmp_ne_u32_e32 vcc_lo, v16, v17
	v_mov_b64_e32 v[48:49], 0
	v_mov_b64_e32 v[50:51], 0
	;; [unrolled: 1-line block ×12, first 2 shown]
	v_cndmask_b32_e64 v3, 0, 1, vcc_lo
	v_cmp_gt_u32_e32 vcc_lo, s43, v5
                                        ; implicit-def: $sgpr4
                                        ; implicit-def: $vgpr5
	s_and_saveexec_b32 s9, vcc_lo
	s_cbranch_execz .LBB2224_68
; %bb.55:
	v_add_nc_u32_e32 v5, 5, v4
	v_cmp_ne_u32_e32 vcc_lo, v17, v10
	v_mov_b64_e32 v[50:51], 0
	v_mov_b64_e32 v[52:53], 0
	;; [unrolled: 1-line block ×10, first 2 shown]
	v_cndmask_b32_e64 v49, 0, 1, vcc_lo
	v_cmp_gt_u32_e32 vcc_lo, s43, v5
                                        ; implicit-def: $sgpr4
                                        ; implicit-def: $vgpr5
	s_and_saveexec_b32 s10, vcc_lo
	s_cbranch_execz .LBB2224_67
; %bb.56:
	ds_load_2addr_b32 v[50:51], v1 offset0:5 offset1:6
	v_add_nc_u32_e32 v5, 6, v4
	v_cmp_ne_u32_e32 vcc_lo, v10, v11
	v_mov_b64_e32 v[52:53], 0
	v_mov_b64_e32 v[54:55], 0
	;; [unrolled: 1-line block ×8, first 2 shown]
	v_cndmask_b32_e64 v10, 0, 1, vcc_lo
	v_cmp_gt_u32_e32 vcc_lo, s43, v5
                                        ; implicit-def: $sgpr4
                                        ; implicit-def: $vgpr5
	s_and_saveexec_b32 s11, vcc_lo
	s_cbranch_execz .LBB2224_66
; %bb.57:
	v_add_nc_u32_e32 v5, 7, v4
	v_cmp_ne_u32_e32 vcc_lo, v11, v12
	v_mov_b64_e32 v[54:55], 0
	v_mov_b64_e32 v[56:57], 0
	v_mov_b64_e32 v[58:59], 0
	v_mov_b64_e32 v[24:25], 0
	v_mov_b64_e32 v[22:23], 0
	v_mov_b64_e32 v[20:21], 0
	v_cndmask_b32_e64 v53, 0, 1, vcc_lo
	v_cmp_gt_u32_e32 vcc_lo, s43, v5
                                        ; implicit-def: $sgpr4
                                        ; implicit-def: $vgpr5
	s_and_saveexec_b32 s12, vcc_lo
	s_cbranch_execz .LBB2224_65
; %bb.58:
	ds_load_2addr_b32 v[54:55], v1 offset0:7 offset1:8
	v_add_nc_u32_e32 v5, 8, v4
	v_cmp_ne_u32_e32 vcc_lo, v12, v13
	v_mov_b64_e32 v[56:57], 0
	v_mov_b64_e32 v[58:59], 0
	;; [unrolled: 1-line block ×4, first 2 shown]
	v_cndmask_b32_e64 v11, 0, 1, vcc_lo
	v_cmp_gt_u32_e32 vcc_lo, s43, v5
                                        ; implicit-def: $sgpr4
                                        ; implicit-def: $vgpr5
	s_and_saveexec_b32 s13, vcc_lo
	s_cbranch_execz .LBB2224_64
; %bb.59:
	v_add_nc_u32_e32 v5, 9, v4
	v_cmp_ne_u32_e32 vcc_lo, v13, v6
	v_mov_b64_e32 v[58:59], 0
	v_mov_b64_e32 v[20:21], 0
                                        ; implicit-def: $sgpr4
	v_cndmask_b32_e64 v57, 0, 1, vcc_lo
	v_cmp_gt_u32_e32 vcc_lo, s43, v5
                                        ; implicit-def: $vgpr5
	s_and_saveexec_b32 s39, vcc_lo
	s_cbranch_execz .LBB2224_63
; %bb.60:
	ds_load_2addr_b32 v[58:59], v1 offset0:9 offset1:10
	v_add_nc_u32_e32 v5, 10, v4
	v_cmp_ne_u32_e32 vcc_lo, v6, v7
	v_mov_b64_e32 v[20:21], 0
                                        ; implicit-def: $sgpr4
	v_cndmask_b32_e64 v6, 0, 1, vcc_lo
	s_delay_alu instid0(VALU_DEP_4) | instskip(SKIP_1) | instid1(SALU_CYCLE_1)
	v_cmp_gt_u32_e32 vcc_lo, s43, v5
                                        ; implicit-def: $vgpr5
	s_and_saveexec_b32 s40, vcc_lo
	s_xor_b32 s40, exec_lo, s40
	s_cbranch_execz .LBB2224_62
; %bb.61:
	ds_load_b32 v5, v1 offset:44
	s_wait_dscnt 0x1
	v_dual_mov_b32 v20, v59 :: v_dual_add_nc_u32 v1, 11, v4
	v_cmp_ne_u32_e64 s0, v7, v8
	v_cmp_ne_u32_e64 s4, v8, v9
	s_delay_alu instid0(VALU_DEP_3) | instskip(NEXT) | instid1(VALU_DEP_3)
	v_cmp_gt_u32_e32 vcc_lo, s43, v1
	v_cndmask_b32_e64 v21, 0, 1, s0
	s_and_b32 s0, vcc_lo, exec_lo
.LBB2224_62:
	s_or_b32 exec_lo, exec_lo, s40
	s_wait_dscnt 0x0
	v_mov_b32_e32 v59, v6
	s_and_b32 s0, s0, exec_lo
.LBB2224_63:
	s_or_b32 exec_lo, exec_lo, s39
	s_delay_alu instid0(VALU_DEP_1)
	v_mov_b64_e32 v[22:23], v[58:59]
	s_wait_dscnt 0x0
	v_mov_b32_e32 v56, v55
	s_and_b32 s0, s0, exec_lo
.LBB2224_64:
	s_or_b32 exec_lo, exec_lo, s13
	s_delay_alu instid0(VALU_DEP_1)
	v_mov_b64_e32 v[24:25], v[56:57]
	s_wait_dscnt 0x0
	v_mov_b32_e32 v55, v11
	s_and_b32 s0, s0, exec_lo
.LBB2224_65:
	s_or_b32 exec_lo, exec_lo, s12
	s_delay_alu instid0(VALU_DEP_1)
	v_mov_b64_e32 v[26:27], v[54:55]
	s_wait_dscnt 0x0
	v_mov_b32_e32 v52, v51
	s_and_b32 s0, s0, exec_lo
.LBB2224_66:
	s_or_b32 exec_lo, exec_lo, s11
	s_delay_alu instid0(VALU_DEP_1)
	v_mov_b64_e32 v[28:29], v[52:53]
	s_wait_dscnt 0x0
	v_mov_b32_e32 v51, v10
	s_and_b32 s0, s0, exec_lo
.LBB2224_67:
	s_or_b32 exec_lo, exec_lo, s10
	s_delay_alu instid0(VALU_DEP_1)
	v_mov_b64_e32 v[30:31], v[50:51]
	s_wait_dscnt 0x0
	v_mov_b32_e32 v48, v45
	s_and_b32 s0, s0, exec_lo
.LBB2224_68:
	s_or_b32 exec_lo, exec_lo, s9
	s_delay_alu instid0(VALU_DEP_1)
	v_mov_b64_e32 v[32:33], v[48:49]
	s_wait_dscnt 0x0
	v_mov_b32_e32 v45, v3
	s_and_b32 s0, s0, exec_lo
.LBB2224_69:
	s_or_b32 exec_lo, exec_lo, s8
	s_delay_alu instid0(VALU_DEP_1)
	v_mov_b64_e32 v[34:35], v[44:45]
	s_wait_dscnt 0x0
	v_mov_b32_e32 v46, v43
	s_and_b32 s0, s0, exec_lo
.LBB2224_70:
	s_or_b32 exec_lo, exec_lo, s7
	s_delay_alu instid0(VALU_DEP_1)
	v_mov_b64_e32 v[36:37], v[46:47]
	s_wait_dscnt 0x0
	v_mov_b32_e32 v43, v2
	s_and_b32 s0, s0, exec_lo
.LBB2224_71:
	s_or_b32 exec_lo, exec_lo, s6
	s_delay_alu instid0(VALU_DEP_1)
	v_mov_b64_e32 v[38:39], v[42:43]
	s_and_b32 s39, s0, exec_lo
.LBB2224_72:
	s_or_b32 exec_lo, exec_lo, s5
	v_lshlrev_b32_e32 v16, 2, v0
	s_and_b32 vcc_lo, exec_lo, s1
	s_cbranch_vccz .LBB2224_92
.LBB2224_73:
	s_clause 0xb
	flat_load_b32 v2, v0, s[20:21] scale_offset
	flat_load_b32 v3, v0, s[20:21] offset:1024 scale_offset
	flat_load_b32 v4, v0, s[20:21] offset:2048 scale_offset
	;; [unrolled: 1-line block ×11, first 2 shown]
	v_mad_u32_u24 v1, v0, 44, v16
	v_mov_b32_e32 v14, 0
	s_cmp_eq_u64 s[24:25], 0
	s_wait_loadcnt_dscnt 0xa0a
	ds_store_2addr_stride64_b32 v16, v2, v3 offset1:4
	s_wait_loadcnt_dscnt 0x809
	ds_store_2addr_stride64_b32 v16, v4, v5 offset0:8 offset1:12
	s_wait_loadcnt_dscnt 0x608
	ds_store_2addr_stride64_b32 v16, v6, v7 offset0:16 offset1:20
	;; [unrolled: 2-line block ×5, first 2 shown]
	s_wait_dscnt 0x0
	s_barrier_signal -1
	s_barrier_wait -1
	ds_load_b128 v[2:5], v1
	ds_load_b128 v[10:13], v1 offset:16
	ds_load_b128 v[6:9], v1 offset:32
	s_cbranch_scc1 .LBB2224_89
; %bb.74:
	s_and_not1_b32 vcc_lo, exec_lo, s42
	s_cbranch_vccnz .LBB2224_87
; %bb.75:
	s_lshl_b64 s[0:1], s[24:25], 2
	s_delay_alu instid0(SALU_CYCLE_1) | instskip(NEXT) | instid1(SALU_CYCLE_1)
	s_add_nc_u64 s[0:1], s[26:27], s[0:1]
	s_add_nc_u64 s[20:21], s[0:1], -4
	s_mov_b32 s0, 0
	s_branch .LBB2224_88
.LBB2224_76:
	flat_load_b32 v5, v0, s[14:15] scale_offset
	s_wait_xcnt 0x0
	s_or_b32 exec_lo, exec_lo, s39
                                        ; implicit-def: $vgpr18
	s_and_saveexec_b32 s0, s1
	s_cbranch_execz .LBB2224_39
.LBB2224_77:
	flat_load_b32 v18, v0, s[14:15] offset:1024 scale_offset
	s_wait_xcnt 0x0
	s_or_b32 exec_lo, exec_lo, s0
                                        ; implicit-def: $vgpr19
	s_and_saveexec_b32 s0, s4
	s_cbranch_execz .LBB2224_40
.LBB2224_78:
	flat_load_b32 v19, v0, s[14:15] offset:2048 scale_offset
	s_wait_xcnt 0x0
	s_or_b32 exec_lo, exec_lo, s0
                                        ; implicit-def: $vgpr20
	s_and_saveexec_b32 s0, s5
	s_cbranch_execz .LBB2224_41
.LBB2224_79:
	flat_load_b32 v20, v0, s[14:15] offset:3072 scale_offset
	s_wait_xcnt 0x0
	s_or_b32 exec_lo, exec_lo, s0
                                        ; implicit-def: $vgpr21
	s_and_saveexec_b32 s0, s6
	s_cbranch_execz .LBB2224_42
.LBB2224_80:
	flat_load_b32 v21, v0, s[14:15] offset:4096 scale_offset
	s_wait_xcnt 0x0
	s_or_b32 exec_lo, exec_lo, s0
                                        ; implicit-def: $vgpr22
	s_and_saveexec_b32 s0, s7
	s_cbranch_execz .LBB2224_43
.LBB2224_81:
	flat_load_b32 v22, v0, s[14:15] offset:5120 scale_offset
	s_wait_xcnt 0x0
	s_or_b32 exec_lo, exec_lo, s0
                                        ; implicit-def: $vgpr23
	s_and_saveexec_b32 s0, s8
	s_cbranch_execz .LBB2224_44
.LBB2224_82:
	flat_load_b32 v23, v0, s[14:15] offset:6144 scale_offset
	s_wait_xcnt 0x0
	s_or_b32 exec_lo, exec_lo, s0
                                        ; implicit-def: $vgpr24
	s_and_saveexec_b32 s0, s9
	s_cbranch_execz .LBB2224_45
.LBB2224_83:
	flat_load_b32 v24, v0, s[14:15] offset:7168 scale_offset
	s_wait_xcnt 0x0
	s_or_b32 exec_lo, exec_lo, s0
                                        ; implicit-def: $vgpr25
	s_and_saveexec_b32 s0, s10
	s_cbranch_execz .LBB2224_46
.LBB2224_84:
	flat_load_b32 v25, v0, s[14:15] offset:8192 scale_offset
	s_wait_xcnt 0x0
	s_or_b32 exec_lo, exec_lo, s0
                                        ; implicit-def: $vgpr26
	s_and_saveexec_b32 s0, s11
	s_cbranch_execz .LBB2224_47
.LBB2224_85:
	flat_load_b32 v26, v0, s[14:15] offset:9216 scale_offset
	s_wait_xcnt 0x0
	s_or_b32 exec_lo, exec_lo, s0
                                        ; implicit-def: $vgpr27
	s_and_saveexec_b32 s0, s12
	s_cbranch_execz .LBB2224_48
.LBB2224_86:
	flat_load_b32 v27, v0, s[14:15] offset:10240 scale_offset
	s_wait_xcnt 0x0
	s_or_b32 exec_lo, exec_lo, s0
                                        ; implicit-def: $vgpr28
	s_and_saveexec_b32 s0, s13
	s_cbranch_execnz .LBB2224_49
	s_branch .LBB2224_50
.LBB2224_87:
	s_add_nc_u64 s[20:21], s[20:21], -4
	s_mov_b32 s0, -1
.LBB2224_88:
	s_delay_alu instid0(SALU_CYCLE_1)
	s_and_not1_b32 vcc_lo, exec_lo, s0
.LBB2224_89:
	flat_load_b32 v14, v14, s[20:21]
	v_mad_i32_i24 v15, 0xffffffd4, v0, v1
	s_wait_dscnt 0x1
	ds_store_b32 v15, v9 offset:12288
	s_wait_loadcnt_dscnt 0x0
	s_barrier_signal -1
	s_barrier_wait -1
	s_and_saveexec_b32 s0, s3
; %bb.90:
	v_mul_i32_i24_e32 v14, 0xffffffd4, v0
	s_delay_alu instid0(VALU_DEP_1)
	v_add_nc_u32_e32 v14, v1, v14
	ds_load_b32 v14, v14 offset:12284
; %bb.91:
	s_or_b32 exec_lo, exec_lo, s0
	s_wait_dscnt 0x0
	s_barrier_signal -1
	s_barrier_wait -1
	s_clause 0xb
	flat_load_b32 v15, v0, s[14:15] scale_offset
	flat_load_b32 v17, v0, s[14:15] offset:1024 scale_offset
	flat_load_b32 v18, v0, s[14:15] offset:2048 scale_offset
	;; [unrolled: 1-line block ×11, first 2 shown]
	v_cmp_ne_u32_e32 vcc_lo, v14, v2
	v_cmp_ne_u32_e64 s4, v8, v9
	s_mov_b32 s39, -1
	s_wait_loadcnt_dscnt 0xa0a
	ds_store_2addr_stride64_b32 v16, v15, v17 offset1:4
	s_wait_loadcnt_dscnt 0x809
	ds_store_2addr_stride64_b32 v16, v18, v20 offset0:8 offset1:12
	s_wait_loadcnt_dscnt 0x608
	ds_store_2addr_stride64_b32 v16, v21, v22 offset0:16 offset1:20
	s_wait_loadcnt_dscnt 0x407
	ds_store_2addr_stride64_b32 v16, v23, v24 offset0:24 offset1:28
	s_wait_loadcnt_dscnt 0x206
	ds_store_2addr_stride64_b32 v16, v25, v26 offset0:32 offset1:36
	s_wait_loadcnt_dscnt 0x5
	ds_store_2addr_stride64_b32 v16, v27, v28 offset0:40 offset1:44
	v_cndmask_b32_e64 v19, 0, 1, vcc_lo
	v_cmp_ne_u32_e32 vcc_lo, v2, v3
	s_wait_dscnt 0x0
	s_barrier_signal -1
	s_barrier_wait -1
	v_cndmask_b32_e64 v43, 0, 1, vcc_lo
	v_cmp_ne_u32_e32 vcc_lo, v3, v4
	ds_load_b128 v[22:25], v1
	ds_load_b128 v[26:29], v1 offset:16
	v_cndmask_b32_e64 v47, 0, 1, vcc_lo
	v_cmp_ne_u32_e32 vcc_lo, v4, v5
	v_cndmask_b32_e64 v45, 0, 1, vcc_lo
	v_cmp_ne_u32_e32 vcc_lo, v5, v10
	ds_load_b128 v[2:5], v1 offset:32
	v_cndmask_b32_e64 v49, 0, 1, vcc_lo
	v_cmp_ne_u32_e32 vcc_lo, v10, v11
	s_wait_dscnt 0x2
	v_dual_mov_b32 v18, v22 :: v_dual_mov_b32 v42, v23
	v_cndmask_b32_e64 v51, 0, 1, vcc_lo
	v_cmp_ne_u32_e32 vcc_lo, v11, v12
	v_dual_mov_b32 v46, v24 :: v_dual_mov_b32 v44, v25
	s_wait_dscnt 0x1
	v_dual_mov_b32 v48, v26 :: v_dual_mov_b32 v50, v27
	v_cndmask_b32_e64 v53, 0, 1, vcc_lo
	v_cmp_ne_u32_e32 vcc_lo, v12, v13
	v_dual_mov_b32 v52, v28 :: v_dual_mov_b32 v54, v29
	s_wait_dscnt 0x0
	v_dual_mov_b32 v56, v2 :: v_dual_mov_b32 v58, v3
	v_cndmask_b32_e64 v55, 0, 1, vcc_lo
	v_cmp_ne_u32_e32 vcc_lo, v13, v6
	v_mov_b64_e32 v[38:39], v[42:43]
	v_mov_b64_e32 v[36:37], v[46:47]
	;; [unrolled: 1-line block ×4, first 2 shown]
	v_cndmask_b32_e64 v57, 0, 1, vcc_lo
	v_cmp_ne_u32_e32 vcc_lo, v6, v7
	v_mov_b64_e32 v[30:31], v[50:51]
	v_mov_b64_e32 v[28:29], v[52:53]
	;; [unrolled: 1-line block ×4, first 2 shown]
	v_cndmask_b32_e64 v59, 0, 1, vcc_lo
	v_cmp_ne_u32_e32 vcc_lo, v7, v8
	v_mov_b32_e32 v20, v4
	s_delay_alu instid0(VALU_DEP_3)
	v_mov_b64_e32 v[22:23], v[58:59]
	v_cndmask_b32_e64 v21, 0, 1, vcc_lo
.LBB2224_92:
	v_mov_b64_e32 v[40:41], 0
	s_and_saveexec_b32 s0, s39
	s_cbranch_execz .LBB2224_94
; %bb.93:
	v_mov_b64_e32 v[22:23], v[58:59]
	v_mov_b64_e32 v[24:25], v[56:57]
	;; [unrolled: 1-line block ×9, first 2 shown]
	v_cndmask_b32_e64 v41, 0, 1, s4
	v_mov_b32_e32 v40, v5
.LBB2224_94:
	s_or_b32 exec_lo, exec_lo, s0
	v_dual_lshrrev_b32 v1, 2, v0 :: v_dual_bitop2_b32 v42, v27, v25 bitop3:0x54
	v_or_b32_e32 v17, v23, v21
	s_cmp_lg_u32 s38, 0
	s_wait_dscnt 0x0
	v_cmp_gt_u32_e32 vcc_lo, 32, v0
	s_barrier_signal -1
	s_barrier_wait -1
	s_cbranch_scc0 .LBB2224_122
; %bb.95:
	s_mov_b64 s[12:13], 0x100000000
	v_or3_b32 v3, v42, v29, v31
	v_cmp_gt_u64_e64 s0, s[12:13], v[38:39]
	v_cmp_gt_u64_e64 s1, s[12:13], v[36:37]
	;; [unrolled: 1-line block ×7, first 2 shown]
	v_dual_cndmask_b32 v2, 0, v18, s0 :: v_dual_bitop2_b32 v5, 56, v1 bitop3:0x40
	v_cmp_gt_u64_e64 s9, s[12:13], v[24:25]
	v_cmp_gt_u64_e64 s10, s[12:13], v[22:23]
	;; [unrolled: 1-line block ×4, first 2 shown]
	v_add_nc_u32_e32 v2, v2, v38
	v_or3_b32 v3, v3, v33, v35
	v_lshl_add_u32 v5, v0, 3, v5
	s_delay_alu instid0(VALU_DEP_3) | instskip(NEXT) | instid1(VALU_DEP_3)
	v_cndmask_b32_e64 v2, 0, v2, s1
	v_or3_b32 v3, v3, v37, v39
	s_delay_alu instid0(VALU_DEP_2) | instskip(NEXT) | instid1(VALU_DEP_2)
	v_add_nc_u32_e32 v2, v2, v36
	v_or3_b32 v3, v41, v17, v3
	s_delay_alu instid0(VALU_DEP_2) | instskip(NEXT) | instid1(VALU_DEP_2)
	v_cndmask_b32_e64 v2, 0, v2, s4
	v_and_b32_e32 v3, 0xff, v3
	s_delay_alu instid0(VALU_DEP_2) | instskip(NEXT) | instid1(VALU_DEP_1)
	v_add_nc_u32_e32 v2, v2, v34
	v_cndmask_b32_e64 v2, 0, v2, s5
	s_delay_alu instid0(VALU_DEP_1) | instskip(NEXT) | instid1(VALU_DEP_1)
	v_add_nc_u32_e32 v2, v2, v32
	v_cndmask_b32_e64 v2, 0, v2, s6
	s_delay_alu instid0(VALU_DEP_1) | instskip(NEXT) | instid1(VALU_DEP_1)
	v_add_nc_u32_e32 v2, v2, v30
	v_cndmask_b32_e64 v2, 0, v2, s7
	s_delay_alu instid0(VALU_DEP_1) | instskip(NEXT) | instid1(VALU_DEP_1)
	v_add_nc_u32_e32 v2, v2, v28
	v_cndmask_b32_e64 v2, 0, v2, s8
	s_delay_alu instid0(VALU_DEP_1) | instskip(NEXT) | instid1(VALU_DEP_1)
	v_add_nc_u32_e32 v2, v2, v26
	v_cndmask_b32_e64 v2, 0, v2, s9
	s_delay_alu instid0(VALU_DEP_1) | instskip(NEXT) | instid1(VALU_DEP_1)
	v_add_nc_u32_e32 v2, v2, v24
	v_cndmask_b32_e64 v2, 0, v2, s10
	s_delay_alu instid0(VALU_DEP_1) | instskip(NEXT) | instid1(VALU_DEP_1)
	v_add_nc_u32_e32 v2, v2, v22
	v_cndmask_b32_e64 v2, 0, v2, s11
	s_delay_alu instid0(VALU_DEP_1) | instskip(NEXT) | instid1(VALU_DEP_1)
	v_dual_add_nc_u32 v4, v2, v20 :: v_dual_mov_b32 v2, 0
	v_cndmask_b32_e64 v4, 0, v4, s12
	s_delay_alu instid0(VALU_DEP_2) | instskip(NEXT) | instid1(VALU_DEP_1)
	v_cmp_eq_u64_e64 s13, 0, v[2:3]
	v_dual_add_nc_u32 v12, v4, v40 :: v_dual_cndmask_b32 v13, 1, v19, s13
	ds_store_b32 v5, v12
	ds_store_b8 v5, v13 offset:4
	s_wait_dscnt 0x0
	s_barrier_signal -1
	s_barrier_wait -1
	s_and_saveexec_b32 s14, vcc_lo
	s_cbranch_execz .LBB2224_105
; %bb.96:
	v_dual_lshlrev_b32 v2, 1, v0 :: v_dual_lshlrev_b32 v3, 6, v0
	s_mov_b32 s15, exec_lo
	s_delay_alu instid0(VALU_DEP_1) | instskip(NEXT) | instid1(VALU_DEP_1)
	v_and_b32_e32 v2, 0x1f8, v2
	v_add_nc_u32_e32 v4, v2, v3
	ds_load_u8 v5, v4 offset:12
	ds_load_b64 v[2:3], v4
	ds_load_2addr_b32 v[6:7], v4 offset0:2 offset1:4
	ds_load_u8 v10, v4 offset:20
	ds_load_u8 v11, v4 offset:28
	ds_load_u8 v14, v4 offset:36
	ds_load_u8 v15, v4 offset:44
	ds_load_u8 v43, v4 offset:52
	ds_load_b32 v44, v4 offset:56
	s_wait_dscnt 0x8
	v_cmp_eq_u16_e64 s13, 0, v5
	s_wait_dscnt 0x5
	s_delay_alu instid0(VALU_DEP_1)
	v_dual_cndmask_b32 v45, 0, v2, s13 :: v_dual_bitop2_b32 v5, v10, v5 bitop3:0x54
	ds_load_2addr_b32 v[8:9], v4 offset0:6 offset1:8
	v_cmp_eq_u16_e64 s13, 0, v10
	s_wait_dscnt 0x4
	v_bitop3_b16 v5, v5, v14, v11 bitop3:0xfe
	v_add_nc_u32_e32 v6, v45, v6
	s_delay_alu instid0(VALU_DEP_1) | instskip(SKIP_1) | instid1(VALU_DEP_2)
	v_cndmask_b32_e64 v6, 0, v6, s13
	v_cmp_eq_u16_e64 s13, 0, v11
	v_add_nc_u32_e32 v6, v6, v7
	s_delay_alu instid0(VALU_DEP_1)
	v_cndmask_b32_e64 v45, 0, v6, s13
	ds_load_2addr_b32 v[6:7], v4 offset0:10 offset1:12
	v_cmp_eq_u16_e64 s13, 0, v14
	s_wait_dscnt 0x1
	v_add_nc_u32_e32 v8, v45, v8
	ds_load_u8 v45, v4 offset:60
	v_cndmask_b32_e64 v8, 0, v8, s13
	v_cmp_eq_u16_e64 s13, 0, v15
	s_delay_alu instid0(VALU_DEP_2) | instskip(SKIP_1) | instid1(VALU_DEP_2)
	v_add_nc_u32_e32 v8, v8, v9
	v_bitop3_b16 v9, v5, v43, v15 bitop3:0xfe
	v_dual_cndmask_b32 v8, 0, v8, s13 :: v_dual_bitop2_b32 v5, 1, v3 bitop3:0x40
	s_delay_alu instid0(VALU_DEP_2) | instskip(SKIP_1) | instid1(VALU_DEP_2)
	v_cmp_eq_u16_e64 s13, 0, v9
	s_wait_dscnt 0x0
	v_dual_add_nc_u32 v6, v8, v6 :: v_dual_bitop2_b32 v8, 1, v45 bitop3:0x40
	s_delay_alu instid0(VALU_DEP_2) | instskip(SKIP_1) | instid1(VALU_DEP_1)
	v_cndmask_b32_e64 v9, 1, v5, s13
	v_cmp_eq_u16_e64 s13, 0, v43
	v_cndmask_b32_e64 v6, 0, v6, s13
	s_delay_alu instid0(VALU_DEP_4) | instskip(SKIP_1) | instid1(VALU_DEP_2)
	v_cmp_eq_u32_e64 s13, 1, v8
	v_mbcnt_lo_u32_b32 v8, -1, 0
	v_cndmask_b32_e64 v9, v9, 1, s13
	v_cmp_eq_u16_e64 s13, 0, v45
	s_delay_alu instid0(VALU_DEP_2) | instskip(SKIP_2) | instid1(VALU_DEP_1)
	v_and_b32_e32 v10, 0xffff, v9
	v_add_nc_u32_e32 v7, v6, v7
	v_and_b32_e32 v6, 0xffffff00, v3
	v_dual_cndmask_b32 v7, 0, v7, s13 :: v_dual_bitop2_b32 v11, v6, v10 bitop3:0x54
	v_and_b32_e32 v10, 15, v8
	s_delay_alu instid0(VALU_DEP_2) | instskip(NEXT) | instid1(VALU_DEP_3)
	v_mov_b32_dpp v15, v11 row_shr:1 row_mask:0xf bank_mask:0xf
	v_add_nc_u32_e32 v7, v7, v44
	s_delay_alu instid0(VALU_DEP_1) | instskip(NEXT) | instid1(VALU_DEP_4)
	v_mov_b32_dpp v14, v7 row_shr:1 row_mask:0xf bank_mask:0xf
	v_cmpx_ne_u32_e32 0, v10
	s_cbranch_execz .LBB2224_98
; %bb.97:
	v_and_b32_e32 v11, 1, v9
	v_and_b32_e32 v15, 1, v15
	s_delay_alu instid0(VALU_DEP_2) | instskip(NEXT) | instid1(VALU_DEP_1)
	v_cmp_eq_u32_e64 s13, 1, v11
	v_cndmask_b32_e64 v15, v15, 1, s13
	v_cmp_eq_u16_e64 s13, 0, v9
	s_delay_alu instid0(VALU_DEP_2) | instskip(NEXT) | instid1(VALU_DEP_1)
	v_and_b32_e32 v11, 0xffff, v15
	v_dual_cndmask_b32 v9, 0, v14, s13 :: v_dual_bitop2_b32 v11, v6, v11 bitop3:0x54
	s_delay_alu instid0(VALU_DEP_1)
	v_dual_add_nc_u32 v7, v9, v7 :: v_dual_mov_b32 v9, v15
.LBB2224_98:
	s_or_b32 exec_lo, exec_lo, s15
	s_delay_alu instid0(VALU_DEP_1) | instskip(NEXT) | instid1(VALU_DEP_3)
	v_mov_b32_dpp v14, v7 row_shr:2 row_mask:0xf bank_mask:0xf
	v_mov_b32_dpp v15, v11 row_shr:2 row_mask:0xf bank_mask:0xf
	s_mov_b32 s15, exec_lo
	v_cmpx_lt_u32_e32 1, v10
	s_cbranch_execz .LBB2224_100
; %bb.99:
	v_and_b32_e32 v11, 1, v9
	v_and_b32_e32 v15, 1, v15
	s_delay_alu instid0(VALU_DEP_2) | instskip(NEXT) | instid1(VALU_DEP_1)
	v_cmp_eq_u32_e64 s13, 1, v11
	v_cndmask_b32_e64 v15, v15, 1, s13
	v_cmp_eq_u16_e64 s13, 0, v9
	s_delay_alu instid0(VALU_DEP_2) | instskip(NEXT) | instid1(VALU_DEP_1)
	v_and_b32_e32 v11, 0xffff, v15
	v_dual_cndmask_b32 v9, 0, v14, s13 :: v_dual_bitop2_b32 v11, v6, v11 bitop3:0x54
	s_delay_alu instid0(VALU_DEP_1)
	v_dual_add_nc_u32 v7, v9, v7 :: v_dual_mov_b32 v9, v15
.LBB2224_100:
	s_or_b32 exec_lo, exec_lo, s15
	s_delay_alu instid0(VALU_DEP_1) | instskip(NEXT) | instid1(VALU_DEP_3)
	v_mov_b32_dpp v14, v7 row_shr:4 row_mask:0xf bank_mask:0xf
	v_mov_b32_dpp v15, v11 row_shr:4 row_mask:0xf bank_mask:0xf
	s_mov_b32 s15, exec_lo
	v_cmpx_lt_u32_e32 3, v10
	;; [unrolled: 20-line block ×3, first 2 shown]
	s_cbranch_execz .LBB2224_104
; %bb.103:
	v_and_b32_e32 v10, 1, v9
	v_and_b32_e32 v11, 1, v15
	s_delay_alu instid0(VALU_DEP_2) | instskip(NEXT) | instid1(VALU_DEP_1)
	v_cmp_eq_u32_e64 s13, 1, v10
	v_cndmask_b32_e64 v10, v11, 1, s13
	v_cmp_eq_u16_e64 s13, 0, v9
	s_delay_alu instid0(VALU_DEP_2) | instskip(NEXT) | instid1(VALU_DEP_1)
	v_and_b32_e32 v11, 0xffff, v10
	v_dual_cndmask_b32 v9, 0, v14, s13 :: v_dual_bitop2_b32 v11, v6, v11 bitop3:0x54
	s_delay_alu instid0(VALU_DEP_1)
	v_dual_add_nc_u32 v7, v9, v7 :: v_dual_mov_b32 v9, v10
.LBB2224_104:
	s_or_b32 exec_lo, exec_lo, s15
	ds_swizzle_b32 v10, v11 offset:swizzle(BROADCAST,32,15)
	ds_swizzle_b32 v11, v7 offset:swizzle(BROADCAST,32,15)
	v_and_b32_e32 v14, 1, v9
	v_bfe_i32 v43, v8, 4, 1
	v_and_b32_e32 v3, 0xff, v3
	; wave barrier
	s_delay_alu instid0(VALU_DEP_3) | instskip(SKIP_2) | instid1(VALU_DEP_1)
	v_cmp_eq_u32_e64 s13, 1, v14
	s_wait_dscnt 0x1
	v_dual_add_nc_u32 v14, -1, v8 :: v_dual_bitop2_b32 v10, 1, v10 bitop3:0x40
	v_cndmask_b32_e64 v10, v10, 1, s13
	v_and_b32_e32 v15, 16, v8
	v_cmp_eq_u16_e64 s13, 0, v9
	s_wait_dscnt 0x0
	s_delay_alu instid0(VALU_DEP_1) | instskip(NEXT) | instid1(VALU_DEP_3)
	v_cndmask_b32_e64 v11, 0, v11, s13
	v_cmp_eq_u32_e64 s13, 0, v15
	s_delay_alu instid0(VALU_DEP_1) | instskip(SKIP_1) | instid1(VALU_DEP_4)
	v_cndmask_b32_e64 v9, v10, v9, s13
	v_cmp_gt_i32_e64 s13, 0, v14
	v_and_b32_e32 v10, v43, v11
	s_delay_alu instid0(VALU_DEP_3) | instskip(NEXT) | instid1(VALU_DEP_3)
	v_and_b32_e32 v9, 0xffff, v9
	v_cndmask_b32_e64 v8, v14, v8, s13
	s_delay_alu instid0(VALU_DEP_3) | instskip(SKIP_1) | instid1(VALU_DEP_3)
	v_add_nc_u32_e32 v7, v10, v7
	v_cmp_eq_u16_e64 s13, 0, v3
	v_lshlrev_b32_e32 v8, 2, v8
	ds_bpermute_b32 v7, v8, v7
	s_wait_dscnt 0x0
	v_dual_cndmask_b32 v3, 0, v7, s13 :: v_dual_bitop2_b32 v6, v6, v9 bitop3:0x54
	ds_bpermute_b32 v6, v8, v6
	v_cmp_eq_u32_e64 s13, 1, v5
	v_add_nc_u32_e32 v2, v3, v2
	s_wait_dscnt 0x0
	s_delay_alu instid0(VALU_DEP_1) | instskip(NEXT) | instid1(VALU_DEP_1)
	v_dual_cndmask_b32 v5, v2, v12, s2 :: v_dual_bitop2_b32 v6, 1, v6 bitop3:0x40
	v_cndmask_b32_e64 v3, v6, 1, s13
	s_delay_alu instid0(VALU_DEP_1)
	v_cndmask_b32_e64 v8, v3, v13, s2
	ds_store_b32 v4, v5
	ds_store_b8 v4, v8 offset:4
	; wave barrier
	ds_load_u8 v9, v4 offset:12
	ds_load_2addr_b32 v[2:3], v4 offset0:2 offset1:4
	ds_load_u8 v10, v4 offset:20
	ds_load_u8 v11, v4 offset:28
	;; [unrolled: 1-line block ×5, first 2 shown]
	ds_load_b32 v44, v4 offset:56
	ds_load_u8 v45, v4 offset:60
	ds_load_2addr_b32 v[6:7], v4 offset0:6 offset1:8
	s_wait_dscnt 0x9
	v_cmp_eq_u16_e64 s13, 0, v9
	v_and_b32_e32 v9, 1, v9
	s_delay_alu instid0(VALU_DEP_2) | instskip(SKIP_2) | instid1(VALU_DEP_2)
	v_cndmask_b32_e64 v5, 0, v5, s13
	s_wait_dscnt 0x7
	v_cmp_eq_u16_e64 s13, 0, v10
	v_add_nc_u32_e32 v5, v5, v2
	s_delay_alu instid0(VALU_DEP_1) | instskip(SKIP_2) | instid1(VALU_DEP_2)
	v_cndmask_b32_e64 v2, 0, v5, s13
	s_wait_dscnt 0x6
	v_cmp_eq_u16_e64 s13, 0, v11
	v_add_nc_u32_e32 v46, v2, v3
	ds_load_2addr_b32 v[2:3], v4 offset0:10 offset1:12
	v_cndmask_b32_e64 v47, 0, v46, s13
	s_wait_dscnt 0x6
	v_cmp_eq_u16_e64 s13, 0, v14
	ds_store_2addr_b32 v4, v5, v46 offset0:2 offset1:4
	s_wait_dscnt 0x2
	v_add_nc_u32_e32 v6, v47, v6
	s_delay_alu instid0(VALU_DEP_1) | instskip(SKIP_3) | instid1(VALU_DEP_4)
	v_cndmask_b32_e64 v47, 0, v6, s13
	v_and_b32_e32 v10, 1, v10
	v_cmp_eq_u32_e64 s13, 1, v9
	v_and_b32_e32 v9, 1, v11
	v_dual_add_nc_u32 v7, v47, v7 :: v_dual_bitop2_b32 v11, 1, v14 bitop3:0x40
	s_delay_alu instid0(VALU_DEP_3) | instskip(SKIP_1) | instid1(VALU_DEP_1)
	v_cndmask_b32_e64 v8, v8, 1, s13
	v_cmp_eq_u32_e64 s13, 1, v10
	v_cndmask_b32_e64 v10, v8, 1, s13
	v_cmp_eq_u16_e64 s13, 0, v15
	s_delay_alu instid0(VALU_DEP_1) | instskip(SKIP_2) | instid1(VALU_DEP_2)
	v_cndmask_b32_e64 v14, 0, v7, s13
	v_cmp_eq_u32_e64 s13, 1, v9
	s_wait_dscnt 0x1
	v_dual_add_nc_u32 v2, v14, v2 :: v_dual_bitop2_b32 v15, 1, v15 bitop3:0x40
	s_delay_alu instid0(VALU_DEP_2) | instskip(SKIP_1) | instid1(VALU_DEP_1)
	v_cndmask_b32_e64 v9, v10, 1, s13
	v_cmp_eq_u32_e64 s13, 1, v11
	v_cndmask_b32_e64 v11, v9, 1, s13
	v_cmp_eq_u16_e64 s13, 0, v43
	s_delay_alu instid0(VALU_DEP_1) | instskip(SKIP_1) | instid1(VALU_DEP_2)
	v_dual_cndmask_b32 v43, 0, v2, s13 :: v_dual_bitop2_b32 v14, 1, v43 bitop3:0x40
	v_cmp_eq_u32_e64 s13, 1, v15
	v_add_nc_u32_e32 v3, v43, v3
	s_delay_alu instid0(VALU_DEP_2) | instskip(NEXT) | instid1(VALU_DEP_4)
	v_cndmask_b32_e64 v15, v11, 1, s13
	v_cmp_eq_u32_e64 s13, 1, v14
	ds_store_2addr_b32 v4, v6, v7 offset0:6 offset1:8
	ds_store_2addr_b32 v4, v2, v3 offset0:10 offset1:12
	v_cndmask_b32_e64 v14, v15, 1, s13
	v_cmp_eq_u16_e64 s13, 0, v45
	s_delay_alu instid0(VALU_DEP_1) | instskip(NEXT) | instid1(VALU_DEP_1)
	v_dual_cndmask_b32 v5, 0, v3, s13 :: v_dual_bitop2_b32 v47, 1, v45 bitop3:0x40
	v_cmp_eq_u32_e64 s13, 1, v47
	s_delay_alu instid0(VALU_DEP_2) | instskip(NEXT) | instid1(VALU_DEP_2)
	v_add_nc_u32_e32 v2, v5, v44
	v_cndmask_b32_e64 v43, v14, 1, s13
	ds_store_b8 v4, v8 offset:12
	ds_store_b8 v4, v10 offset:20
	;; [unrolled: 1-line block ×6, first 2 shown]
	ds_store_b32 v4, v2 offset:56
	ds_store_b8 v4, v43 offset:60
.LBB2224_105:
	s_or_b32 exec_lo, exec_lo, s14
	s_wait_dscnt 0x0
	s_barrier_signal -1
	s_barrier_wait -1
	s_and_saveexec_b32 s13, s3
	s_cbranch_execz .LBB2224_107
; %bb.106:
	v_add_nc_u32_e32 v2, -1, v0
	s_delay_alu instid0(VALU_DEP_1) | instskip(NEXT) | instid1(VALU_DEP_1)
	v_lshrrev_b32_e32 v3, 2, v2
	v_and_b32_e32 v3, 0x3ffffff8, v3
	s_delay_alu instid0(VALU_DEP_1)
	v_lshl_add_u32 v2, v2, 3, v3
	ds_load_b32 v12, v2
	ds_load_u8 v13, v2 offset:4
.LBB2224_107:
	s_or_b32 exec_lo, exec_lo, s13
	s_and_saveexec_b32 s24, vcc_lo
	s_cbranch_execz .LBB2224_167
; %bb.108:
	v_mov_b32_e32 v5, 0
	v_mbcnt_lo_u32_b32 v14, -1, 0
	s_mov_b32 s15, 0
	ds_load_b64 v[2:3], v5 offset:2096
	v_cmp_eq_u32_e64 s13, 0, v14
	s_and_saveexec_b32 s20, s13
	s_cbranch_execz .LBB2224_110
; %bb.109:
	s_add_co_i32 s14, s38, 32
	v_mov_b32_e32 v4, 1
	s_lshl_b64 s[14:15], s[14:15], 4
	s_delay_alu instid0(SALU_CYCLE_1) | instskip(NEXT) | instid1(SALU_CYCLE_1)
	s_add_nc_u64 s[14:15], s[28:29], s[14:15]
	v_mov_b64_e32 v[6:7], s[14:15]
	s_wait_dscnt 0x0
	;;#ASMSTART
	global_store_b128 v[6:7], v[2:5] off scope:SCOPE_DEV	
s_wait_storecnt 0x0
	;;#ASMEND
.LBB2224_110:
	s_or_b32 exec_lo, exec_lo, s20
	v_xad_u32 v8, v14, -1, s38
	s_mov_b32 s14, exec_lo
	s_delay_alu instid0(VALU_DEP_1) | instskip(NEXT) | instid1(VALU_DEP_1)
	v_add_nc_u32_e32 v4, 32, v8
	v_lshl_add_u64 v[10:11], v[4:5], 4, s[28:29]
	;;#ASMSTART
	global_load_b128 v[4:7], v[10:11] off scope:SCOPE_DEV	
s_wait_loadcnt 0x0
	;;#ASMEND
	v_and_b32_e32 v7, 0xff, v6
	v_and_b32_e32 v5, 0xff, v5
	s_delay_alu instid0(VALU_DEP_2)
	v_cmpx_eq_u16_e32 0, v7
	s_cbranch_execz .LBB2224_114
; %bb.111:
	s_mov_b32 s15, 0
.LBB2224_112:                           ; =>This Inner Loop Header: Depth=1
	;;#ASMSTART
	global_load_b128 v[4:7], v[10:11] off scope:SCOPE_DEV	
s_wait_loadcnt 0x0
	;;#ASMEND
	v_and_b32_e32 v7, 0xff, v6
	s_delay_alu instid0(VALU_DEP_1) | instskip(SKIP_1) | instid1(SALU_CYCLE_1)
	v_cmp_ne_u16_e32 vcc_lo, 0, v7
	s_or_b32 s15, vcc_lo, s15
	s_and_not1_b32 exec_lo, exec_lo, s15
	s_cbranch_execnz .LBB2224_112
; %bb.113:
	s_or_b32 exec_lo, exec_lo, s15
	v_and_b32_e32 v5, 0xff, v5
.LBB2224_114:
	s_or_b32 exec_lo, exec_lo, s14
	v_cmp_ne_u32_e32 vcc_lo, 31, v14
	v_and_b32_e32 v9, 0xff, v6
	v_lshlrev_b32_e64 v43, v14, -1
	s_mov_b64 s[20:21], 0x100000000
	v_lshl_or_b32 v52, v14, 2, 64
	v_add_co_ci_u32_e64 v7, null, 0, v14, vcc_lo
	v_cmp_eq_u16_e32 vcc_lo, 2, v9
	v_cmp_gt_u64_e64 s14, s[20:21], v[4:5]
	s_delay_alu instid0(VALU_DEP_3) | instskip(SKIP_1) | instid1(VALU_DEP_2)
	v_dual_lshlrev_b32 v15, 2, v7 :: v_dual_bitop2_b32 v10, 1, v5 bitop3:0x40
	v_and_or_b32 v9, vcc_lo, v43, 0x80000000
	v_cmp_eq_u32_e32 vcc_lo, 1, v10
	ds_bpermute_b32 v7, v15, v5
	ds_bpermute_b32 v10, v15, v4
	v_ctz_i32_b32_e32 v9, v9
	s_wait_dscnt 0x1
	v_and_b32_e32 v7, 1, v7
	s_delay_alu instid0(VALU_DEP_1) | instskip(SKIP_1) | instid1(VALU_DEP_2)
	v_cndmask_b32_e64 v7, v7, 1, vcc_lo
	v_cmp_gt_u32_e32 vcc_lo, 30, v14
	v_and_b32_e32 v45, 0xffff, v7
	v_cndmask_b32_e64 v11, 0, 2, vcc_lo
	v_cmp_lt_u32_e32 vcc_lo, v14, v9
	s_delay_alu instid0(VALU_DEP_2) | instskip(NEXT) | instid1(VALU_DEP_4)
	v_add_lshl_u32 v44, v11, v14, 2
	v_dual_cndmask_b32 v11, v5, v45, vcc_lo :: v_dual_cndmask_b32 v7, v5, v7, vcc_lo
	s_and_b32 vcc_lo, vcc_lo, s14
	v_add_nc_u32_e32 v45, 2, v14
	s_wait_dscnt 0x0
	v_cndmask_b32_e32 v10, 0, v10, vcc_lo
	ds_bpermute_b32 v5, v44, v11
	v_and_b32_e32 v46, 1, v7
	v_and_b32_e32 v48, 0xff, v7
	v_add_nc_u32_e32 v4, v10, v4
	s_delay_alu instid0(VALU_DEP_3) | instskip(NEXT) | instid1(VALU_DEP_3)
	v_cmp_eq_u32_e32 vcc_lo, 1, v46
	v_cmp_eq_u16_e64 s14, 0, v48
	ds_bpermute_b32 v10, v44, v4
	s_wait_dscnt 0x1
	v_and_b32_e32 v5, 1, v5
	s_delay_alu instid0(VALU_DEP_1) | instskip(SKIP_3) | instid1(VALU_DEP_3)
	v_cndmask_b32_e64 v5, v5, 1, vcc_lo
	v_cmp_gt_u32_e32 vcc_lo, 28, v14
	s_wait_dscnt 0x0
	v_cndmask_b32_e64 v10, 0, v10, s14
	v_and_b32_e32 v47, 0xffff, v5
	v_cndmask_b32_e64 v46, 0, 4, vcc_lo
	v_cmp_gt_u32_e32 vcc_lo, v45, v9
	s_delay_alu instid0(VALU_DEP_2) | instskip(SKIP_3) | instid1(VALU_DEP_2)
	v_add_lshl_u32 v46, v46, v14, 2
	v_cndmask_b32_e32 v5, v5, v7, vcc_lo
	v_cndmask_b32_e64 v10, v10, 0, vcc_lo
	v_dual_cndmask_b32 v7, v47, v11, vcc_lo :: v_dual_add_nc_u32 v47, 4, v14
	v_dual_add_nc_u32 v4, v10, v4 :: v_dual_bitop2_b32 v48, 1, v5 bitop3:0x40
	ds_bpermute_b32 v11, v46, v7
	v_cmp_eq_u32_e32 vcc_lo, 1, v48
	ds_bpermute_b32 v10, v46, v4
	v_and_b32_e32 v48, 0xff, v5
	s_delay_alu instid0(VALU_DEP_1) | instskip(SKIP_1) | instid1(VALU_DEP_1)
	v_cmp_eq_u16_e64 s14, 0, v48
	s_wait_dscnt 0x0
	v_dual_cndmask_b32 v10, 0, v10, s14 :: v_dual_bitop2_b32 v11, 1, v11 bitop3:0x40
	s_delay_alu instid0(VALU_DEP_1) | instskip(SKIP_1) | instid1(VALU_DEP_2)
	v_cndmask_b32_e64 v11, v11, 1, vcc_lo
	v_cmp_gt_u32_e32 vcc_lo, 24, v14
	v_and_b32_e32 v50, 0xffff, v11
	v_cndmask_b32_e64 v49, 0, 8, vcc_lo
	v_cmp_gt_u32_e32 vcc_lo, v47, v9
	s_delay_alu instid0(VALU_DEP_2) | instskip(NEXT) | instid1(VALU_DEP_4)
	v_add_lshl_u32 v48, v49, v14, 2
	v_dual_cndmask_b32 v5, v11, v5, vcc_lo :: v_dual_cndmask_b32 v7, v50, v7, vcc_lo
	v_cndmask_b32_e64 v10, v10, 0, vcc_lo
	s_delay_alu instid0(VALU_DEP_2)
	v_dual_add_nc_u32 v49, 8, v14 :: v_dual_bitop2_b32 v50, 1, v5 bitop3:0x40
	ds_bpermute_b32 v11, v48, v7
	v_add_nc_u32_e32 v4, v10, v4
	v_and_b32_e32 v51, 0xff, v5
	v_cmp_eq_u32_e32 vcc_lo, 1, v50
	ds_bpermute_b32 v10, v48, v4
	s_wait_dscnt 0x1
	v_and_b32_e32 v11, 1, v11
	s_delay_alu instid0(VALU_DEP_1) | instskip(SKIP_1) | instid1(VALU_DEP_2)
	v_cndmask_b32_e64 v11, v11, 1, vcc_lo
	v_cmp_eq_u16_e32 vcc_lo, 0, v51
	v_and_b32_e32 v50, 0xffff, v11
	s_wait_dscnt 0x0
	v_cndmask_b32_e32 v10, 0, v10, vcc_lo
	v_cmp_gt_u32_e32 vcc_lo, v49, v9
	s_delay_alu instid0(VALU_DEP_3) | instskip(NEXT) | instid1(VALU_DEP_3)
	v_dual_cndmask_b32 v5, v11, v5, vcc_lo :: v_dual_cndmask_b32 v7, v50, v7, vcc_lo
	v_cndmask_b32_e64 v10, v10, 0, vcc_lo
	s_delay_alu instid0(VALU_DEP_2) | instskip(SKIP_3) | instid1(VALU_DEP_1)
	v_and_b32_e32 v50, 1, v5
	ds_bpermute_b32 v7, v52, v7
	v_add_nc_u32_e32 v4, v10, v4
	v_and_b32_e32 v11, 0xff, v5
	v_cmp_eq_u16_e32 vcc_lo, 0, v11
	s_wait_dscnt 0x0
	v_and_b32_e32 v7, 1, v7
	ds_bpermute_b32 v10, v52, v4
	s_wait_dscnt 0x0
	v_cndmask_b32_e32 v10, 0, v10, vcc_lo
	v_cmp_eq_u32_e32 vcc_lo, 1, v50
	v_cndmask_b32_e64 v7, v7, 1, vcc_lo
	v_add_nc_u32_e32 v53, 16, v14
	s_delay_alu instid0(VALU_DEP_1) | instskip(NEXT) | instid1(VALU_DEP_3)
	v_cmp_gt_u32_e32 vcc_lo, v53, v9
	v_dual_mov_b32 v9, 0 :: v_dual_cndmask_b32 v5, v7, v5, vcc_lo
	v_cndmask_b32_e64 v7, v10, 0, vcc_lo
	s_delay_alu instid0(VALU_DEP_1)
	v_add_nc_u32_e32 v4, v7, v4
	s_branch .LBB2224_118
.LBB2224_115:                           ;   in Loop: Header=BB2224_118 Depth=1
	s_or_b32 exec_lo, exec_lo, s15
	v_and_b32_e32 v5, 0xff, v5
.LBB2224_116:                           ;   in Loop: Header=BB2224_118 Depth=1
	s_or_b32 exec_lo, exec_lo, s14
	ds_bpermute_b32 v7, v15, v5
	v_and_b32_e32 v10, 0xff, v6
	v_cmp_gt_u64_e64 s14, s[20:21], v[4:5]
	v_subrev_nc_u32_e32 v8, 32, v8
	s_delay_alu instid0(VALU_DEP_3) | instskip(SKIP_2) | instid1(VALU_DEP_2)
	v_cmp_eq_u16_e32 vcc_lo, 2, v10
	v_and_b32_e32 v10, 1, v5
	v_and_or_b32 v11, vcc_lo, v43, 0x80000000
	v_cmp_eq_u32_e32 vcc_lo, 1, v10
	s_delay_alu instid0(VALU_DEP_2) | instskip(SKIP_3) | instid1(VALU_DEP_1)
	v_ctz_i32_b32_e32 v10, v11
	ds_bpermute_b32 v11, v15, v4
	s_wait_dscnt 0x1
	v_and_b32_e32 v7, 1, v7
	v_cndmask_b32_e64 v7, v7, 1, vcc_lo
	v_cmp_lt_u32_e32 vcc_lo, v14, v10
	s_delay_alu instid0(VALU_DEP_2) | instskip(NEXT) | instid1(VALU_DEP_1)
	v_and_b32_e32 v54, 0xffff, v7
	v_dual_cndmask_b32 v7, v5, v7 :: v_dual_cndmask_b32 v54, v5, v54
	s_and_b32 vcc_lo, vcc_lo, s14
	s_delay_alu instid0(VALU_DEP_1)
	v_and_b32_e32 v56, 0xff, v7
	v_and_b32_e32 v55, 1, v7
	ds_bpermute_b32 v5, v44, v54
	s_wait_dscnt 0x1
	v_cndmask_b32_e32 v11, 0, v11, vcc_lo
	v_cmp_eq_u16_e64 s14, 0, v56
	v_cmp_eq_u32_e32 vcc_lo, 1, v55
	s_wait_dscnt 0x0
	s_delay_alu instid0(VALU_DEP_3) | instskip(NEXT) | instid1(VALU_DEP_1)
	v_dual_add_nc_u32 v4, v11, v4 :: v_dual_bitop2_b32 v5, 1, v5 bitop3:0x40
	v_cndmask_b32_e64 v5, v5, 1, vcc_lo
	ds_bpermute_b32 v11, v44, v4
	v_cmp_gt_u32_e32 vcc_lo, v45, v10
	v_and_b32_e32 v55, 0xffff, v5
	s_delay_alu instid0(VALU_DEP_1) | instskip(NEXT) | instid1(VALU_DEP_1)
	v_dual_cndmask_b32 v5, v5, v7, vcc_lo :: v_dual_cndmask_b32 v7, v55, v54, vcc_lo
	v_and_b32_e32 v55, 1, v5
	ds_bpermute_b32 v54, v46, v7
	s_wait_dscnt 0x1
	v_cndmask_b32_e64 v11, 0, v11, s14
	s_delay_alu instid0(VALU_DEP_1) | instskip(SKIP_2) | instid1(VALU_DEP_3)
	v_cndmask_b32_e64 v11, v11, 0, vcc_lo
	v_cmp_eq_u32_e32 vcc_lo, 1, v55
	v_and_b32_e32 v55, 0xff, v5
	v_add_nc_u32_e32 v4, v11, v4
	s_delay_alu instid0(VALU_DEP_2)
	v_cmp_eq_u16_e64 s14, 0, v55
	s_wait_dscnt 0x0
	v_and_b32_e32 v54, 1, v54
	ds_bpermute_b32 v11, v46, v4
	v_cndmask_b32_e64 v54, v54, 1, vcc_lo
	v_cmp_gt_u32_e32 vcc_lo, v47, v10
	s_delay_alu instid0(VALU_DEP_2) | instskip(SKIP_3) | instid1(VALU_DEP_1)
	v_and_b32_e32 v56, 0xffff, v54
	s_wait_dscnt 0x0
	v_dual_cndmask_b32 v5, v54, v5, vcc_lo :: v_dual_cndmask_b32 v11, 0, v11, s14
	s_mov_b32 s14, 0
	v_cndmask_b32_e64 v11, v11, 0, vcc_lo
	v_cndmask_b32_e32 v7, v56, v7, vcc_lo
	s_delay_alu instid0(VALU_DEP_3) | instskip(NEXT) | instid1(VALU_DEP_3)
	v_and_b32_e32 v56, 0xff, v5
	v_add_nc_u32_e32 v4, v11, v4
	ds_bpermute_b32 v54, v48, v7
	ds_bpermute_b32 v11, v48, v4
	v_and_b32_e32 v55, 1, v5
	s_delay_alu instid0(VALU_DEP_1) | instskip(SKIP_2) | instid1(VALU_DEP_1)
	v_cmp_eq_u32_e32 vcc_lo, 1, v55
	s_wait_dscnt 0x1
	v_and_b32_e32 v54, 1, v54
	v_cndmask_b32_e64 v54, v54, 1, vcc_lo
	v_cmp_eq_u16_e32 vcc_lo, 0, v56
	s_delay_alu instid0(VALU_DEP_2) | instskip(SKIP_3) | instid1(VALU_DEP_2)
	v_and_b32_e32 v55, 0xffff, v54
	s_wait_dscnt 0x0
	v_cndmask_b32_e32 v11, 0, v11, vcc_lo
	v_cmp_gt_u32_e32 vcc_lo, v49, v10
	v_cndmask_b32_e64 v11, v11, 0, vcc_lo
	v_dual_cndmask_b32 v7, v55, v7, vcc_lo :: v_dual_cndmask_b32 v5, v54, v5, vcc_lo
	s_delay_alu instid0(VALU_DEP_2) | instskip(SKIP_4) | instid1(VALU_DEP_1)
	v_add_nc_u32_e32 v4, v11, v4
	ds_bpermute_b32 v7, v52, v7
	v_and_b32_e32 v55, 0xff, v5
	ds_bpermute_b32 v11, v52, v4
	v_and_b32_e32 v54, 1, v5
	v_cmp_eq_u32_e32 vcc_lo, 1, v54
	s_wait_dscnt 0x1
	v_cndmask_b32_e64 v7, v7, 1, vcc_lo
	v_cmp_eq_u16_e32 vcc_lo, 0, v55
	s_wait_dscnt 0x0
	v_cndmask_b32_e32 v11, 0, v11, vcc_lo
	v_cmp_gt_u32_e32 vcc_lo, v53, v10
	v_and_b32_e32 v10, 0xff, v50
	v_cndmask_b32_e32 v5, v7, v5, vcc_lo
	s_delay_alu instid0(VALU_DEP_4) | instskip(NEXT) | instid1(VALU_DEP_3)
	v_cndmask_b32_e64 v7, v11, 0, vcc_lo
	v_cmp_eq_u16_e32 vcc_lo, 0, v10
	s_delay_alu instid0(VALU_DEP_2) | instskip(NEXT) | instid1(VALU_DEP_1)
	v_dual_add_nc_u32 v4, v7, v4 :: v_dual_bitop2_b32 v7, 1, v50 bitop3:0x40
	v_dual_cndmask_b32 v4, 0, v4, vcc_lo :: v_dual_bitop2_b32 v5, 1, v5 bitop3:0x40
	s_delay_alu instid0(VALU_DEP_2) | instskip(NEXT) | instid1(VALU_DEP_2)
	v_cmp_eq_u32_e32 vcc_lo, 1, v7
	v_add_nc_u32_e32 v4, v4, v51
	s_delay_alu instid0(VALU_DEP_3)
	v_cndmask_b32_e64 v5, v5, 1, vcc_lo
.LBB2224_117:                           ;   in Loop: Header=BB2224_118 Depth=1
	s_and_b32 vcc_lo, exec_lo, s14
	s_cbranch_vccnz .LBB2224_163
.LBB2224_118:                           ; =>This Loop Header: Depth=1
                                        ;     Child Loop BB2224_121 Depth 2
	v_and_b32_e32 v6, 0xff, v6
	s_delay_alu instid0(VALU_DEP_2) | instskip(SKIP_1) | instid1(VALU_DEP_2)
	v_dual_mov_b32 v50, v5 :: v_dual_mov_b32 v51, v4
	s_mov_b32 s14, -1
                                        ; implicit-def: $vgpr5
                                        ; implicit-def: $vgpr4
	v_cmp_ne_u16_e32 vcc_lo, 2, v6
                                        ; implicit-def: $vgpr6
	s_cmp_lg_u32 vcc_lo, exec_lo
	s_cbranch_scc1 .LBB2224_117
; %bb.119:                              ;   in Loop: Header=BB2224_118 Depth=1
	v_lshl_add_u64 v[10:11], v[8:9], 4, s[28:29]
	;;#ASMSTART
	global_load_b128 v[4:7], v[10:11] off scope:SCOPE_DEV	
s_wait_loadcnt 0x0
	;;#ASMEND
	v_and_b32_e32 v7, 0xff, v6
	v_and_b32_e32 v5, 0xff, v5
	s_mov_b32 s14, exec_lo
	s_delay_alu instid0(VALU_DEP_2)
	v_cmpx_eq_u16_e32 0, v7
	s_cbranch_execz .LBB2224_116
; %bb.120:                              ;   in Loop: Header=BB2224_118 Depth=1
	s_mov_b32 s15, 0
.LBB2224_121:                           ;   Parent Loop BB2224_118 Depth=1
                                        ; =>  This Inner Loop Header: Depth=2
	;;#ASMSTART
	global_load_b128 v[4:7], v[10:11] off scope:SCOPE_DEV	
s_wait_loadcnt 0x0
	;;#ASMEND
	v_and_b32_e32 v7, 0xff, v6
	s_delay_alu instid0(VALU_DEP_1) | instskip(SKIP_1) | instid1(SALU_CYCLE_1)
	v_cmp_ne_u16_e32 vcc_lo, 0, v7
	s_or_b32 s15, vcc_lo, s15
	s_and_not1_b32 exec_lo, exec_lo, s15
	s_cbranch_execnz .LBB2224_121
	s_branch .LBB2224_115
.LBB2224_122:
                                        ; implicit-def: $vgpr13
                                        ; implicit-def: $vgpr5
                                        ; implicit-def: $vgpr9
                                        ; implicit-def: $vgpr14_vgpr15
	s_cbranch_execnz .LBB2224_168
.LBB2224_123:
	s_add_nc_u64 s[0:1], s[18:19], s[34:35]
	s_and_b32 vcc_lo, exec_lo, s31
	s_add_nc_u64 s[0:1], s[0:1], s[16:17]
	s_cbranch_vccz .LBB2224_185
.LBB2224_124:
	v_mul_u32_u24_e32 v1, 12, v0
	s_add_co_i32 s33, s33, s30
	s_mov_b32 s2, exec_lo
	s_delay_alu instid0(VALU_DEP_1)
	v_cmpx_gt_u32_e64 s33, v1
	s_cbranch_execz .LBB2224_140
; %bb.125:
	v_or_b32_e32 v17, 1, v1
	s_mov_b32 s3, exec_lo
	s_delay_alu instid0(VALU_DEP_1)
	v_cmpx_gt_u32_e64 s33, v17
	s_cbranch_execz .LBB2224_139
; %bb.126:
	v_or_b32_e32 v17, 2, v1
	;; [unrolled: 6-line block ×3, first 2 shown]
	s_mov_b32 s5, exec_lo
	s_delay_alu instid0(VALU_DEP_1)
	v_cmpx_gt_u32_e64 s33, v17
	s_cbranch_execz .LBB2224_137
; %bb.128:
	v_add_nc_u32_e32 v17, 4, v1
	s_mov_b32 s6, exec_lo
	s_delay_alu instid0(VALU_DEP_1)
	v_cmpx_gt_u32_e64 s33, v17
	s_cbranch_execz .LBB2224_136
; %bb.129:
	v_add_nc_u32_e32 v17, 5, v1
	;; [unrolled: 6-line block ×4, first 2 shown]
	s_mov_b32 s9, exec_lo
	s_delay_alu instid0(VALU_DEP_1)
	v_cmpx_gt_u32_e64 s33, v17
; %bb.132:
	v_add_nc_u32_e32 v17, 8, v1
	s_mov_b32 s10, exec_lo
	s_delay_alu instid0(VALU_DEP_1)
	v_cmpx_gt_u32_e64 s33, v17
	s_or_b32 exec_lo, exec_lo, s10
; %bb.133:
	s_delay_alu instid0(SALU_CYCLE_1)
	s_or_b32 exec_lo, exec_lo, s9
.LBB2224_134:
	s_delay_alu instid0(SALU_CYCLE_1)
	s_or_b32 exec_lo, exec_lo, s8
.LBB2224_135:
	s_delay_alu instid0(SALU_CYCLE_1)
	s_or_b32 exec_lo, exec_lo, s7
.LBB2224_136:
	s_delay_alu instid0(SALU_CYCLE_1)
	s_or_b32 exec_lo, exec_lo, s6
.LBB2224_137:
	s_delay_alu instid0(SALU_CYCLE_1)
	s_or_b32 exec_lo, exec_lo, s5
.LBB2224_138:
	s_delay_alu instid0(SALU_CYCLE_1)
	s_or_b32 exec_lo, exec_lo, s4
.LBB2224_139:
	s_delay_alu instid0(SALU_CYCLE_1)
	s_or_b32 exec_lo, exec_lo, s3
.LBB2224_140:
	s_delay_alu instid0(SALU_CYCLE_1)
	s_or_b32 exec_lo, exec_lo, s2
	v_dual_lshlrev_b32 v1, 2, v1 :: v_dual_mov_b32 v17, 0
	s_barrier_signal -1
	s_barrier_wait -1
	ds_store_b128 v1, v[6:9]
	ds_store_b128 v1, v[2:5] offset:16
	ds_store_b128 v1, v[10:13] offset:32
	v_mad_i32_i24 v6, 0xffffffd4, v0, v1
	s_wait_dscnt 0x0
	s_barrier_signal -1
	s_barrier_wait -1
	ds_load_2addr_stride64_b32 v[26:27], v6 offset0:4 offset1:8
	ds_load_2addr_stride64_b32 v[24:25], v6 offset0:12 offset1:16
	;; [unrolled: 1-line block ×5, first 2 shown]
	ds_load_b32 v7, v6 offset:11264
	v_add_nc_u64_e32 v[16:17], s[0:1], v[16:17]
	s_mov_b32 s2, exec_lo
	v_cmpx_gt_u32_e64 s33, v0
	s_cbranch_execz .LBB2224_142
; %bb.141:
	v_mul_i32_i24_e32 v6, 0xffffffd4, v0
	s_delay_alu instid0(VALU_DEP_1)
	v_add_nc_u32_e32 v1, v1, v6
	ds_load_b32 v1, v1
	s_wait_dscnt 0x0
	flat_store_b32 v[16:17], v1
.LBB2224_142:
	s_wait_xcnt 0x0
	s_or_b32 exec_lo, exec_lo, s2
	v_or_b32_e32 v1, 0x100, v0
	s_mov_b32 s2, exec_lo
	s_delay_alu instid0(VALU_DEP_1)
	v_cmpx_gt_u32_e64 s33, v1
	s_cbranch_execz .LBB2224_144
; %bb.143:
	s_wait_dscnt 0x5
	flat_store_b32 v[16:17], v26 offset:1024
.LBB2224_144:
	s_wait_xcnt 0x0
	s_or_b32 exec_lo, exec_lo, s2
	v_or_b32_e32 v1, 0x200, v0
	s_mov_b32 s2, exec_lo
	s_delay_alu instid0(VALU_DEP_1)
	v_cmpx_gt_u32_e64 s33, v1
	s_cbranch_execz .LBB2224_146
; %bb.145:
	s_wait_dscnt 0x5
	flat_store_b32 v[16:17], v27 offset:2048
.LBB2224_146:
	;; [unrolled: 11-line block ×10, first 2 shown]
	s_wait_xcnt 0x0
	s_or_b32 exec_lo, exec_lo, s2
	v_or_b32_e32 v1, 0xb00, v0
	s_delay_alu instid0(VALU_DEP_1)
	v_cmp_gt_u32_e64 s2, s33, v1
	s_branch .LBB2224_187
.LBB2224_163:
	s_and_saveexec_b32 s14, s13
	s_cbranch_execz .LBB2224_165
; %bb.164:
	v_and_b32_e32 v4, 0xff, v3
	s_mov_b32 s21, 0
	s_add_co_i32 s20, s38, 32
	v_and_b32_e32 v5, 1, v50
	s_lshl_b64 s[20:21], s[20:21], 4
	v_cmp_eq_u32_e32 vcc_lo, 0, v4
	s_add_nc_u64 s[20:21], s[28:29], s[20:21]
	s_delay_alu instid0(SALU_CYCLE_1) | instskip(SKIP_1) | instid1(VALU_DEP_1)
	v_mov_b64_e32 v[6:7], s[20:21]
	v_cndmask_b32_e32 v4, 0, v51, vcc_lo
	v_dual_add_nc_u32 v2, v4, v2 :: v_dual_bitop2_b32 v3, 1, v3 bitop3:0x40
	s_delay_alu instid0(VALU_DEP_1)
	v_cmp_eq_u32_e32 vcc_lo, 1, v3
	v_mov_b32_e32 v4, 2
	v_cndmask_b32_e64 v3, v5, 1, vcc_lo
	v_mov_b32_e32 v5, 0
	;;#ASMSTART
	global_store_b128 v[6:7], v[2:5] off scope:SCOPE_DEV	
s_wait_storecnt 0x0
	;;#ASMEND
.LBB2224_165:
	s_or_b32 exec_lo, exec_lo, s14
	s_delay_alu instid0(SALU_CYCLE_1)
	s_and_b32 exec_lo, exec_lo, s2
	s_cbranch_execz .LBB2224_167
; %bb.166:
	v_mov_b32_e32 v2, 0
	ds_store_b32 v2, v51
	ds_store_b8 v2, v50 offset:4
.LBB2224_167:
	s_or_b32 exec_lo, exec_lo, s24
	v_dual_mov_b32 v2, 0 :: v_dual_bitop2_b32 v3, 1, v19 bitop3:0x40
	s_wait_dscnt 0x0
	s_barrier_signal -1
	s_barrier_wait -1
	s_delay_alu instid0(VALU_DEP_1) | instskip(SKIP_4) | instid1(VALU_DEP_2)
	v_cmp_eq_u32_e32 vcc_lo, 1, v3
	ds_load_b32 v2, v2
	s_mov_b64 s[14:15], 0x100000000
	v_cndmask_b32_e64 v3, v13, 1, vcc_lo
	v_cmp_gt_u64_e32 vcc_lo, s[14:15], v[18:19]
	v_dual_cndmask_b32 v3, v3, v19, s2 :: v_dual_cndmask_b32 v4, 0, v12, vcc_lo
	s_delay_alu instid0(VALU_DEP_1) | instskip(NEXT) | instid1(VALU_DEP_2)
	v_and_b32_e32 v3, 0xff, v3
	v_cndmask_b32_e64 v4, v4, 0, s2
	s_delay_alu instid0(VALU_DEP_2) | instskip(SKIP_2) | instid1(VALU_DEP_1)
	v_cmp_eq_u16_e32 vcc_lo, 0, v3
	s_wait_dscnt 0x0
	v_cndmask_b32_e32 v2, 0, v2, vcc_lo
	v_add3_u32 v6, v4, v18, v2
	s_delay_alu instid0(VALU_DEP_1) | instskip(NEXT) | instid1(VALU_DEP_1)
	v_cndmask_b32_e64 v2, 0, v6, s0
	v_add_nc_u32_e32 v7, v2, v38
	s_delay_alu instid0(VALU_DEP_1) | instskip(NEXT) | instid1(VALU_DEP_1)
	v_cndmask_b32_e64 v2, 0, v7, s1
	v_add_nc_u32_e32 v8, v2, v36
	v_mov_b64_e32 v[14:15], v[6:7]
	s_delay_alu instid0(VALU_DEP_2) | instskip(NEXT) | instid1(VALU_DEP_1)
	v_cndmask_b32_e64 v2, 0, v8, s4
	v_add_nc_u32_e32 v9, v2, v34
	s_delay_alu instid0(VALU_DEP_1) | instskip(NEXT) | instid1(VALU_DEP_1)
	v_cndmask_b32_e64 v2, 0, v9, s5
	v_add_nc_u32_e32 v2, v2, v32
	s_delay_alu instid0(VALU_DEP_1) | instskip(NEXT) | instid1(VALU_DEP_1)
	v_cndmask_b32_e64 v3, 0, v2, s6
	v_add_nc_u32_e32 v3, v3, v30
	s_delay_alu instid0(VALU_DEP_1) | instskip(NEXT) | instid1(VALU_DEP_1)
	v_cndmask_b32_e64 v4, 0, v3, s7
	v_add_nc_u32_e32 v4, v4, v28
	s_delay_alu instid0(VALU_DEP_1) | instskip(NEXT) | instid1(VALU_DEP_1)
	v_cndmask_b32_e64 v5, 0, v4, s8
	v_add_nc_u32_e32 v5, v5, v26
	s_delay_alu instid0(VALU_DEP_1) | instskip(NEXT) | instid1(VALU_DEP_1)
	v_cndmask_b32_e64 v10, 0, v5, s9
	v_add_nc_u32_e32 v10, v10, v24
	s_delay_alu instid0(VALU_DEP_1) | instskip(NEXT) | instid1(VALU_DEP_1)
	v_cndmask_b32_e64 v11, 0, v10, s10
	v_add_nc_u32_e32 v11, v11, v22
	s_delay_alu instid0(VALU_DEP_1) | instskip(NEXT) | instid1(VALU_DEP_1)
	v_cndmask_b32_e64 v12, 0, v11, s11
	v_add_nc_u32_e32 v12, v12, v20
	s_delay_alu instid0(VALU_DEP_1) | instskip(NEXT) | instid1(VALU_DEP_1)
	v_cndmask_b32_e64 v13, 0, v12, s12
	v_add_nc_u32_e32 v13, v13, v40
	s_branch .LBB2224_123
.LBB2224_168:
	s_cmp_lg_u64 s[36:37], 0
	s_cselect_b32 s0, -1, 0
	s_cmp_lg_u64 s[22:23], 0
	s_cselect_b32 s1, -1, 0
	s_delay_alu instid0(SALU_CYCLE_1) | instskip(NEXT) | instid1(SALU_CYCLE_1)
	s_and_b32 s0, s0, s1
	s_and_b32 s1, s2, s0
	s_delay_alu instid0(SALU_CYCLE_1)
	s_and_saveexec_b32 s0, s1
	s_cbranch_execz .LBB2224_170
; %bb.169:
	s_mov_b64 s[4:5], 0x100000000
	s_delay_alu instid0(SALU_CYCLE_1)
	v_cmp_gt_u64_e32 vcc_lo, s[4:5], v[18:19]
	v_mov_b32_e32 v2, 0
	s_clause 0x1
	global_load_b32 v3, v2, s[22:23]
	global_load_u8 v4, v2, s[22:23] offset:4
	s_wait_loadcnt 0x1
	v_cndmask_b32_e32 v5, 0, v3, vcc_lo
	v_and_b32_e32 v3, 1, v19
	s_wait_loadcnt 0x0
	s_delay_alu instid0(VALU_DEP_2) | instskip(NEXT) | instid1(VALU_DEP_2)
	v_dual_add_nc_u32 v18, v5, v18 :: v_dual_bitop2_b32 v4, 1, v4 bitop3:0x40
	v_cmp_eq_u64_e32 vcc_lo, 0, v[2:3]
	s_delay_alu instid0(VALU_DEP_2)
	v_cndmask_b32_e32 v19, 1, v4, vcc_lo
.LBB2224_170:
	s_or_b32 exec_lo, exec_lo, s0
	s_mov_b64 s[12:13], 0x100000000
	v_or3_b32 v12, v42, v29, v31
	v_cmp_gt_u64_e32 vcc_lo, s[12:13], v[38:39]
	v_cmp_gt_u64_e64 s6, s[12:13], v[28:29]
	v_cmp_gt_u64_e64 s0, s[12:13], v[36:37]
	;; [unrolled: 1-line block ×6, first 2 shown]
	v_cndmask_b32_e32 v2, 0, v18, vcc_lo
	v_cmp_gt_u64_e64 s8, s[12:13], v[24:25]
	v_cmp_gt_u64_e64 s10, s[12:13], v[20:21]
	;; [unrolled: 1-line block ×3, first 2 shown]
	v_dual_mov_b32 v14, 0 :: v_dual_bitop2_b32 v1, 56, v1 bitop3:0x40
	v_add_nc_u32_e32 v7, v2, v38
	v_cmp_gt_u64_e64 s11, s[12:13], v[40:41]
	s_mov_b32 s13, exec_lo
	v_lshl_add_u32 v1, v0, 3, v1
	v_cndmask_b32_e64 v2, 0, v7, s0
	s_delay_alu instid0(VALU_DEP_1) | instskip(NEXT) | instid1(VALU_DEP_1)
	v_add_nc_u32_e32 v8, v2, v36
	v_cndmask_b32_e64 v2, 0, v8, s1
	s_delay_alu instid0(VALU_DEP_1) | instskip(NEXT) | instid1(VALU_DEP_1)
	v_add_nc_u32_e32 v9, v2, v34
	;; [unrolled: 3-line block ×7, first 2 shown]
	v_cndmask_b32_e64 v6, 0, v10, s9
	s_delay_alu instid0(VALU_DEP_1) | instskip(SKIP_1) | instid1(VALU_DEP_2)
	v_add_nc_u32_e32 v11, v6, v22
	v_or3_b32 v6, v12, v33, v35
	v_cndmask_b32_e64 v12, 0, v11, s10
	s_delay_alu instid0(VALU_DEP_2) | instskip(NEXT) | instid1(VALU_DEP_2)
	v_or3_b32 v6, v6, v37, v39
	v_add_nc_u32_e32 v12, v12, v20
	s_delay_alu instid0(VALU_DEP_2) | instskip(NEXT) | instid1(VALU_DEP_1)
	v_or3_b32 v6, v41, v17, v6
	v_and_b32_e32 v15, 0xff, v6
	s_delay_alu instid0(VALU_DEP_1) | instskip(NEXT) | instid1(VALU_DEP_1)
	v_cmp_eq_u64_e64 s12, 0, v[14:15]
	v_dual_cndmask_b32 v13, 0, v12, s11 :: v_dual_cndmask_b32 v6, 1, v19, s12
	s_delay_alu instid0(VALU_DEP_1)
	v_add_nc_u32_e32 v13, v13, v40
	ds_store_b32 v1, v13
	ds_store_b8 v1, v6 offset:4
	s_wait_dscnt 0x0
	s_barrier_signal -1
	s_barrier_wait -1
	v_cmpx_gt_u32_e32 32, v0
	s_cbranch_execz .LBB2224_180
; %bb.171:
	v_dual_lshlrev_b32 v1, 1, v0 :: v_dual_lshlrev_b32 v14, 6, v0
	s_mov_b32 s14, exec_lo
	s_delay_alu instid0(VALU_DEP_1) | instskip(NEXT) | instid1(VALU_DEP_1)
	v_and_b32_e32 v1, 0x1f8, v1
	v_add_nc_u32_e32 v1, v1, v14
	ds_load_u8 v17, v1 offset:12
	ds_load_b64 v[14:15], v1
	ds_load_2addr_b32 v[42:43], v1 offset0:2 offset1:4
	ds_load_u8 v21, v1 offset:20
	ds_load_u8 v23, v1 offset:28
	;; [unrolled: 1-line block ×5, first 2 shown]
	ds_load_b32 v33, v1 offset:56
	s_wait_dscnt 0x8
	v_cmp_eq_u16_e64 s12, 0, v17
	s_wait_dscnt 0x5
	s_delay_alu instid0(VALU_DEP_1)
	v_dual_cndmask_b32 v31, 0, v14, s12 :: v_dual_bitop2_b32 v17, v21, v17 bitop3:0x54
	ds_load_2addr_b32 v[44:45], v1 offset0:6 offset1:8
	v_cmp_eq_u16_e64 s12, 0, v21
	ds_load_u8 v35, v1 offset:60
	s_wait_dscnt 0x5
	v_bitop3_b16 v17, v17, v25, v23 bitop3:0xfe
	v_add_nc_u32_e32 v31, v31, v42
	s_delay_alu instid0(VALU_DEP_1)
	v_cndmask_b32_e64 v31, 0, v31, s12
	v_cmp_eq_u16_e64 s12, 0, v23
	s_wait_dscnt 0x3
	v_bitop3_b16 v23, v17, v29, v27 bitop3:0xfe
	v_and_b32_e32 v17, 1, v15
	v_add_nc_u32_e32 v31, v31, v43
	ds_load_2addr_b32 v[42:43], v1 offset0:10 offset1:12
	v_cndmask_b32_e64 v31, 0, v31, s12
	v_cmp_eq_u16_e64 s12, 0, v25
	s_wait_dscnt 0x1
	s_delay_alu instid0(VALU_DEP_2) | instskip(NEXT) | instid1(VALU_DEP_1)
	v_dual_add_nc_u32 v31, v31, v44 :: v_dual_bitop2_b32 v25, 1, v35 bitop3:0x40
	v_cndmask_b32_e64 v31, 0, v31, s12
	v_cmp_eq_u16_e64 s12, 0, v27
	s_delay_alu instid0(VALU_DEP_2) | instskip(NEXT) | instid1(VALU_DEP_1)
	v_add_nc_u32_e32 v21, v31, v45
	v_cndmask_b32_e64 v21, 0, v21, s12
	v_cmp_eq_u16_e64 s12, 0, v23
	s_wait_dscnt 0x0
	s_delay_alu instid0(VALU_DEP_1) | instskip(SKIP_1) | instid1(VALU_DEP_1)
	v_dual_add_nc_u32 v21, v21, v42 :: v_dual_cndmask_b32 v23, 1, v17, s12
	v_cmp_eq_u16_e64 s12, 0, v29
	v_cndmask_b32_e64 v21, 0, v21, s12
	v_cmp_eq_u32_e64 s12, 1, v25
	v_mbcnt_lo_u32_b32 v25, -1, 0
	s_delay_alu instid0(VALU_DEP_2) | instskip(SKIP_1) | instid1(VALU_DEP_2)
	v_cndmask_b32_e64 v27, v23, 1, s12
	v_cmp_eq_u16_e64 s12, 0, v35
	v_and_b32_e32 v29, 0xffff, v27
	v_add_nc_u32_e32 v23, v21, v43
	v_and_b32_e32 v21, 0xffffff00, v15
	s_delay_alu instid0(VALU_DEP_1) | instskip(SKIP_1) | instid1(VALU_DEP_2)
	v_dual_cndmask_b32 v23, 0, v23, s12 :: v_dual_bitop2_b32 v31, v21, v29 bitop3:0x54
	v_and_b32_e32 v29, 15, v25
	v_mov_b32_dpp v35, v31 row_shr:1 row_mask:0xf bank_mask:0xf
	s_delay_alu instid0(VALU_DEP_3) | instskip(NEXT) | instid1(VALU_DEP_1)
	v_add_nc_u32_e32 v23, v23, v33
	v_mov_b32_dpp v33, v23 row_shr:1 row_mask:0xf bank_mask:0xf
	s_delay_alu instid0(VALU_DEP_4)
	v_cmpx_ne_u32_e32 0, v29
	s_cbranch_execz .LBB2224_173
; %bb.172:
	v_and_b32_e32 v31, 1, v27
	v_and_b32_e32 v35, 1, v35
	s_delay_alu instid0(VALU_DEP_2) | instskip(NEXT) | instid1(VALU_DEP_1)
	v_cmp_eq_u32_e64 s12, 1, v31
	v_cndmask_b32_e64 v35, v35, 1, s12
	v_cmp_eq_u16_e64 s12, 0, v27
	s_delay_alu instid0(VALU_DEP_2) | instskip(NEXT) | instid1(VALU_DEP_1)
	v_and_b32_e32 v31, 0xffff, v35
	v_dual_cndmask_b32 v27, 0, v33, s12 :: v_dual_bitop2_b32 v31, v21, v31 bitop3:0x54
	s_delay_alu instid0(VALU_DEP_1)
	v_add_nc_u32_e32 v23, v27, v23
	v_mov_b32_e32 v27, v35
.LBB2224_173:
	s_or_b32 exec_lo, exec_lo, s14
	s_delay_alu instid0(VALU_DEP_2)
	v_mov_b32_dpp v33, v23 row_shr:2 row_mask:0xf bank_mask:0xf
	v_mov_b32_dpp v35, v31 row_shr:2 row_mask:0xf bank_mask:0xf
	s_mov_b32 s14, exec_lo
	v_cmpx_lt_u32_e32 1, v29
	s_cbranch_execz .LBB2224_175
; %bb.174:
	v_and_b32_e32 v31, 1, v27
	v_and_b32_e32 v35, 1, v35
	s_delay_alu instid0(VALU_DEP_2) | instskip(NEXT) | instid1(VALU_DEP_1)
	v_cmp_eq_u32_e64 s12, 1, v31
	v_cndmask_b32_e64 v35, v35, 1, s12
	v_cmp_eq_u16_e64 s12, 0, v27
	s_delay_alu instid0(VALU_DEP_2) | instskip(NEXT) | instid1(VALU_DEP_1)
	v_and_b32_e32 v31, 0xffff, v35
	v_dual_cndmask_b32 v27, 0, v33, s12 :: v_dual_bitop2_b32 v31, v21, v31 bitop3:0x54
	s_delay_alu instid0(VALU_DEP_1)
	v_add_nc_u32_e32 v23, v27, v23
	v_mov_b32_e32 v27, v35
.LBB2224_175:
	s_or_b32 exec_lo, exec_lo, s14
	s_delay_alu instid0(VALU_DEP_2)
	v_mov_b32_dpp v33, v23 row_shr:4 row_mask:0xf bank_mask:0xf
	v_mov_b32_dpp v35, v31 row_shr:4 row_mask:0xf bank_mask:0xf
	s_mov_b32 s14, exec_lo
	v_cmpx_lt_u32_e32 3, v29
	;; [unrolled: 21-line block ×3, first 2 shown]
	s_cbranch_execz .LBB2224_179
; %bb.178:
	v_and_b32_e32 v29, 1, v27
	v_and_b32_e32 v31, 1, v35
	s_delay_alu instid0(VALU_DEP_2) | instskip(NEXT) | instid1(VALU_DEP_1)
	v_cmp_eq_u32_e64 s12, 1, v29
	v_cndmask_b32_e64 v29, v31, 1, s12
	v_cmp_eq_u16_e64 s12, 0, v27
	s_delay_alu instid0(VALU_DEP_2) | instskip(NEXT) | instid1(VALU_DEP_1)
	v_and_b32_e32 v31, 0xffff, v29
	v_dual_cndmask_b32 v27, 0, v33, s12 :: v_dual_bitop2_b32 v31, v21, v31 bitop3:0x54
	s_delay_alu instid0(VALU_DEP_1)
	v_dual_add_nc_u32 v23, v27, v23 :: v_dual_mov_b32 v27, v29
.LBB2224_179:
	s_or_b32 exec_lo, exec_lo, s14
	ds_swizzle_b32 v29, v31 offset:swizzle(BROADCAST,32,15)
	ds_swizzle_b32 v31, v23 offset:swizzle(BROADCAST,32,15)
	v_and_b32_e32 v33, 1, v27
	v_and_b32_e32 v35, 16, v25
	v_bfe_i32 v37, v25, 4, 1
	v_and_b32_e32 v15, 0xff, v15
	s_delay_alu instid0(VALU_DEP_4) | instskip(SKIP_3) | instid1(VALU_DEP_1)
	v_cmp_eq_u32_e64 s12, 1, v33
	v_add_nc_u32_e32 v33, -1, v25
	; wave barrier
	s_wait_dscnt 0x1
	v_and_b32_e32 v29, 1, v29
	v_cndmask_b32_e64 v29, v29, 1, s12
	v_cmp_eq_u16_e64 s12, 0, v27
	s_wait_dscnt 0x0
	s_delay_alu instid0(VALU_DEP_1) | instskip(SKIP_1) | instid1(VALU_DEP_1)
	v_cndmask_b32_e64 v31, 0, v31, s12
	v_cmp_eq_u32_e64 s12, 0, v35
	v_cndmask_b32_e64 v27, v29, v27, s12
	v_cmp_gt_i32_e64 s12, 0, v33
	s_delay_alu instid0(VALU_DEP_2) | instskip(NEXT) | instid1(VALU_DEP_2)
	v_and_b32_e32 v27, 0xffff, v27
	v_cndmask_b32_e64 v25, v33, v25, s12
	v_and_b32_e32 v29, v37, v31
	v_cmp_eq_u16_e64 s12, 0, v15
	s_delay_alu instid0(VALU_DEP_3)
	v_dual_lshlrev_b32 v25, 2, v25 :: v_dual_bitop2_b32 v21, v21, v27 bitop3:0x54
	ds_bpermute_b32 v21, v25, v21
	s_wait_dscnt 0x0
	v_dual_add_nc_u32 v23, v29, v23 :: v_dual_bitop2_b32 v21, 1, v21 bitop3:0x40
	ds_bpermute_b32 v23, v25, v23
	s_wait_dscnt 0x0
	v_cndmask_b32_e64 v15, 0, v23, s12
	v_cmp_eq_u32_e64 s12, 1, v17
	s_delay_alu instid0(VALU_DEP_2) | instskip(NEXT) | instid1(VALU_DEP_2)
	v_add_nc_u32_e32 v14, v15, v14
	v_cndmask_b32_e64 v15, v21, 1, s12
	s_delay_alu instid0(VALU_DEP_1)
	v_dual_cndmask_b32 v17, v14, v13, s2 :: v_dual_cndmask_b32 v6, v15, v6, s2
	ds_store_b32 v1, v17
	ds_store_b8 v1, v6 offset:4
	; wave barrier
	ds_load_u8 v21, v1 offset:12
	ds_load_2addr_b32 v[14:15], v1 offset0:2 offset1:4
	ds_load_u8 v23, v1 offset:20
	ds_load_u8 v25, v1 offset:28
	;; [unrolled: 1-line block ×5, first 2 shown]
	ds_load_b32 v33, v1 offset:56
	ds_load_u8 v35, v1 offset:60
	ds_load_2addr_b32 v[42:43], v1 offset0:6 offset1:8
	s_wait_dscnt 0x9
	v_cmp_eq_u16_e64 s12, 0, v21
	s_delay_alu instid0(VALU_DEP_1) | instskip(SKIP_2) | instid1(VALU_DEP_2)
	v_cndmask_b32_e64 v17, 0, v17, s12
	s_wait_dscnt 0x7
	v_cmp_eq_u16_e64 s12, 0, v23
	v_add_nc_u32_e32 v17, v17, v14
	s_delay_alu instid0(VALU_DEP_1) | instskip(SKIP_2) | instid1(VALU_DEP_2)
	v_cndmask_b32_e64 v14, 0, v17, s12
	s_wait_dscnt 0x6
	v_cmp_eq_u16_e64 s12, 0, v25
	v_add_nc_u32_e32 v37, v14, v15
	ds_load_2addr_b32 v[14:15], v1 offset0:10 offset1:12
	v_cndmask_b32_e64 v39, 0, v37, s12
	s_wait_dscnt 0x6
	v_cmp_eq_u16_e64 s12, 0, v27
	ds_store_2addr_b32 v1, v17, v37 offset0:2 offset1:4
	s_wait_dscnt 0x2
	v_dual_add_nc_u32 v39, v39, v42 :: v_dual_bitop2_b32 v21, 1, v21 bitop3:0x40
	v_and_b32_e32 v42, 1, v35
	s_delay_alu instid0(VALU_DEP_2) | instskip(NEXT) | instid1(VALU_DEP_3)
	v_cndmask_b32_e64 v41, 0, v39, s12
	v_cmp_eq_u32_e64 s12, 1, v21
	s_delay_alu instid0(VALU_DEP_2) | instskip(SKIP_1) | instid1(VALU_DEP_3)
	v_dual_add_nc_u32 v25, v41, v43 :: v_dual_bitop2_b32 v21, 1, v25 bitop3:0x40
	v_and_b32_e32 v23, 1, v23
	v_cndmask_b32_e64 v6, v6, 1, s12
	s_delay_alu instid0(VALU_DEP_2) | instskip(NEXT) | instid1(VALU_DEP_1)
	v_cmp_eq_u32_e64 s12, 1, v23
	v_cndmask_b32_e64 v23, v6, 1, s12
	v_cmp_eq_u16_e64 s12, 0, v29
	s_delay_alu instid0(VALU_DEP_1) | instskip(SKIP_2) | instid1(VALU_DEP_2)
	v_dual_cndmask_b32 v41, 0, v25, s12 :: v_dual_bitop2_b32 v27, 1, v27 bitop3:0x40
	v_cmp_eq_u32_e64 s12, 1, v21
	s_wait_dscnt 0x1
	v_dual_add_nc_u32 v14, v41, v14 :: v_dual_bitop2_b32 v41, 1, v31 bitop3:0x40
	s_delay_alu instid0(VALU_DEP_2) | instskip(SKIP_1) | instid1(VALU_DEP_1)
	v_cndmask_b32_e64 v21, v23, 1, s12
	v_cmp_eq_u32_e64 s12, 1, v27
	v_cndmask_b32_e64 v27, v21, 1, s12
	v_cmp_eq_u16_e64 s12, 0, v31
	s_delay_alu instid0(VALU_DEP_1) | instskip(NEXT) | instid1(VALU_DEP_1)
	v_dual_cndmask_b32 v31, 0, v14, s12 :: v_dual_bitop2_b32 v29, 1, v29 bitop3:0x40
	v_cmp_eq_u32_e64 s12, 1, v29
	s_delay_alu instid0(VALU_DEP_2) | instskip(NEXT) | instid1(VALU_DEP_2)
	v_add_nc_u32_e32 v15, v31, v15
	v_cndmask_b32_e64 v29, v27, 1, s12
	v_cmp_eq_u32_e64 s12, 1, v41
	ds_store_2addr_b32 v1, v39, v25 offset0:6 offset1:8
	ds_store_2addr_b32 v1, v14, v15 offset0:10 offset1:12
	v_cndmask_b32_e64 v31, v29, 1, s12
	v_cmp_eq_u16_e64 s12, 0, v35
	s_delay_alu instid0(VALU_DEP_1) | instskip(SKIP_1) | instid1(VALU_DEP_2)
	v_cndmask_b32_e64 v17, 0, v15, s12
	v_cmp_eq_u32_e64 s12, 1, v42
	v_add_nc_u32_e32 v14, v17, v33
	s_delay_alu instid0(VALU_DEP_2)
	v_cndmask_b32_e64 v35, v31, 1, s12
	ds_store_b8 v1, v6 offset:12
	ds_store_b8 v1, v23 offset:20
	;; [unrolled: 1-line block ×6, first 2 shown]
	ds_store_b32 v1, v14 offset:56
	ds_store_b8 v1, v35 offset:60
.LBB2224_180:
	s_or_b32 exec_lo, exec_lo, s13
	v_mov_b32_e32 v6, v18
	s_wait_dscnt 0x0
	s_barrier_signal -1
	s_barrier_wait -1
	s_delay_alu instid0(VALU_DEP_1)
	v_mov_b64_e32 v[14:15], v[6:7]
	s_and_saveexec_b32 s12, s3
	s_cbranch_execz .LBB2224_182
; %bb.181:
	v_add_nc_u32_e32 v1, -1, v0
	v_and_b32_e32 v3, 0xff, v19
	s_delay_alu instid0(VALU_DEP_2) | instskip(NEXT) | instid1(VALU_DEP_1)
	v_lshrrev_b32_e32 v2, 2, v1
	v_and_b32_e32 v2, 0x3ffffff8, v2
	s_delay_alu instid0(VALU_DEP_1)
	v_lshl_add_u32 v1, v1, 3, v2
	v_mov_b32_e32 v2, 0
	ds_load_b32 v1, v1
	v_cmp_eq_u64_e64 s3, 0, v[2:3]
	;;#ASMSTART
	;;#ASMEND
	s_wait_dscnt 0x0
	s_delay_alu instid0(VALU_DEP_1) | instskip(NEXT) | instid1(VALU_DEP_1)
	v_cndmask_b32_e64 v1, 0, v1, s3
	v_add_nc_u32_e32 v14, v1, v18
	s_delay_alu instid0(VALU_DEP_1) | instskip(NEXT) | instid1(VALU_DEP_1)
	v_cndmask_b32_e32 v1, 0, v14, vcc_lo
	v_add_nc_u32_e32 v15, v1, v38
	s_delay_alu instid0(VALU_DEP_1) | instskip(NEXT) | instid1(VALU_DEP_1)
	v_dual_cndmask_b32 v1, 0, v15, s0 :: v_dual_mov_b32 v18, v14
	v_dual_mov_b32 v7, v15 :: v_dual_add_nc_u32 v8, v1, v36
	s_delay_alu instid0(VALU_DEP_1) | instskip(NEXT) | instid1(VALU_DEP_1)
	v_cndmask_b32_e64 v1, 0, v8, s1
	v_add_nc_u32_e32 v9, v1, v34
	s_delay_alu instid0(VALU_DEP_1) | instskip(NEXT) | instid1(VALU_DEP_1)
	v_cndmask_b32_e64 v1, 0, v9, s4
	v_add_nc_u32_e32 v2, v1, v32
	;; [unrolled: 3-line block ×9, first 2 shown]
.LBB2224_182:
	s_or_b32 exec_lo, exec_lo, s12
	s_and_saveexec_b32 s0, s2
	s_cbranch_execz .LBB2224_184
; %bb.183:
	v_dual_mov_b32 v23, 0 :: v_dual_mov_b32 v22, 2
	s_add_nc_u64 s[2:3], s[28:29], 0x200
	ds_load_b32 v20, v23 offset:2096
	ds_load_u8 v21, v23 offset:2100
	v_mov_b64_e32 v[24:25], s[2:3]
	s_wait_dscnt 0x0
	;;#ASMSTART
	global_store_b128 v[24:25], v[20:23] off scope:SCOPE_DEV	
s_wait_storecnt 0x0
	;;#ASMEND
.LBB2224_184:
	s_or_b32 exec_lo, exec_lo, s0
	v_mov_b32_e32 v6, v18
	s_add_nc_u64 s[0:1], s[18:19], s[34:35]
	s_and_b32 vcc_lo, exec_lo, s31
	s_add_nc_u64 s[0:1], s[0:1], s[16:17]
	s_cbranch_vccnz .LBB2224_124
.LBB2224_185:
	s_mov_b32 s2, 0
                                        ; implicit-def: $vgpr7
	s_cbranch_execz .LBB2224_187
; %bb.186:
	v_mul_u32_u24_e32 v1, 48, v0
	v_dual_mov_b32 v16, v8 :: v_dual_mov_b32 v17, v9
	v_mul_i32_i24_e32 v6, 0xffffffd4, v0
	s_wait_storecnt_dscnt 0x0
	s_barrier_signal -1
	s_barrier_wait -1
	ds_store_b128 v1, v[14:17]
	ds_store_b128 v1, v[2:5] offset:16
	ds_store_b128 v1, v[10:13] offset:32
	v_mad_u32_u24 v1, v0, 48, v6
	s_wait_dscnt 0x0
	s_barrier_signal -1
	s_barrier_wait -1
	ds_load_2addr_stride64_b32 v[2:3], v1 offset1:4
	ds_load_2addr_stride64_b32 v[4:5], v1 offset0:8 offset1:12
	ds_load_2addr_stride64_b32 v[8:9], v1 offset0:16 offset1:20
	;; [unrolled: 1-line block ×5, first 2 shown]
	s_or_b32 s2, s2, exec_lo
	s_wait_dscnt 0x5
	s_clause 0x1
	flat_store_b32 v0, v2, s[0:1] scale_offset
	flat_store_b32 v0, v3, s[0:1] offset:1024 scale_offset
	s_wait_dscnt 0x6
	s_clause 0x1
	flat_store_b32 v0, v4, s[0:1] offset:2048 scale_offset
	flat_store_b32 v0, v5, s[0:1] offset:3072 scale_offset
	s_wait_dscnt 0x7
	s_clause 0x1
	flat_store_b32 v0, v8, s[0:1] offset:4096 scale_offset
	;; [unrolled: 4-line block ×4, first 2 shown]
	flat_store_b32 v0, v13, s[0:1] offset:9216 scale_offset
	s_wait_dscnt 0xa
	flat_store_b32 v0, v6, s[0:1] offset:10240 scale_offset
.LBB2224_187:
	s_wait_xcnt 0x0
	s_delay_alu instid0(VALU_DEP_1)
	s_and_saveexec_b32 s3, s2
	s_cbranch_execnz .LBB2224_189
; %bb.188:
	s_endpgm
.LBB2224_189:
	s_wait_dscnt 0x0
	flat_store_b32 v0, v7, s[0:1] offset:11264 scale_offset
	s_endpgm
	.section	.rodata,"a",@progbits
	.p2align	6, 0x0
	.amdhsa_kernel _ZN7rocprim17ROCPRIM_400000_NS6detail17trampoline_kernelINS0_14default_configENS1_27scan_by_key_config_selectorIiiEEZZNS1_16scan_by_key_implILNS1_25lookback_scan_determinismE0ELb0ES3_N6thrust23THRUST_200600_302600_NS10device_ptrIiEESB_SB_iNS9_4plusIvEENS9_8equal_toIvEEiEE10hipError_tPvRmT2_T3_T4_T5_mT6_T7_P12ihipStream_tbENKUlT_T0_E_clISt17integral_constantIbLb0EESV_IbLb1EEEEDaSR_SS_EUlSR_E_NS1_11comp_targetILNS1_3genE0ELNS1_11target_archE4294967295ELNS1_3gpuE0ELNS1_3repE0EEENS1_30default_config_static_selectorELNS0_4arch9wavefront6targetE0EEEvT1_
		.amdhsa_group_segment_fixed_size 14336
		.amdhsa_private_segment_fixed_size 0
		.amdhsa_kernarg_size 112
		.amdhsa_user_sgpr_count 2
		.amdhsa_user_sgpr_dispatch_ptr 0
		.amdhsa_user_sgpr_queue_ptr 0
		.amdhsa_user_sgpr_kernarg_segment_ptr 1
		.amdhsa_user_sgpr_dispatch_id 0
		.amdhsa_user_sgpr_kernarg_preload_length 0
		.amdhsa_user_sgpr_kernarg_preload_offset 0
		.amdhsa_user_sgpr_private_segment_size 0
		.amdhsa_wavefront_size32 1
		.amdhsa_uses_dynamic_stack 0
		.amdhsa_enable_private_segment 0
		.amdhsa_system_sgpr_workgroup_id_x 1
		.amdhsa_system_sgpr_workgroup_id_y 0
		.amdhsa_system_sgpr_workgroup_id_z 0
		.amdhsa_system_sgpr_workgroup_info 0
		.amdhsa_system_vgpr_workitem_id 0
		.amdhsa_next_free_vgpr 60
		.amdhsa_next_free_sgpr 44
		.amdhsa_named_barrier_count 0
		.amdhsa_reserve_vcc 1
		.amdhsa_float_round_mode_32 0
		.amdhsa_float_round_mode_16_64 0
		.amdhsa_float_denorm_mode_32 3
		.amdhsa_float_denorm_mode_16_64 3
		.amdhsa_fp16_overflow 0
		.amdhsa_memory_ordered 1
		.amdhsa_forward_progress 1
		.amdhsa_inst_pref_size 95
		.amdhsa_round_robin_scheduling 0
		.amdhsa_exception_fp_ieee_invalid_op 0
		.amdhsa_exception_fp_denorm_src 0
		.amdhsa_exception_fp_ieee_div_zero 0
		.amdhsa_exception_fp_ieee_overflow 0
		.amdhsa_exception_fp_ieee_underflow 0
		.amdhsa_exception_fp_ieee_inexact 0
		.amdhsa_exception_int_div_zero 0
	.end_amdhsa_kernel
	.section	.text._ZN7rocprim17ROCPRIM_400000_NS6detail17trampoline_kernelINS0_14default_configENS1_27scan_by_key_config_selectorIiiEEZZNS1_16scan_by_key_implILNS1_25lookback_scan_determinismE0ELb0ES3_N6thrust23THRUST_200600_302600_NS10device_ptrIiEESB_SB_iNS9_4plusIvEENS9_8equal_toIvEEiEE10hipError_tPvRmT2_T3_T4_T5_mT6_T7_P12ihipStream_tbENKUlT_T0_E_clISt17integral_constantIbLb0EESV_IbLb1EEEEDaSR_SS_EUlSR_E_NS1_11comp_targetILNS1_3genE0ELNS1_11target_archE4294967295ELNS1_3gpuE0ELNS1_3repE0EEENS1_30default_config_static_selectorELNS0_4arch9wavefront6targetE0EEEvT1_,"axG",@progbits,_ZN7rocprim17ROCPRIM_400000_NS6detail17trampoline_kernelINS0_14default_configENS1_27scan_by_key_config_selectorIiiEEZZNS1_16scan_by_key_implILNS1_25lookback_scan_determinismE0ELb0ES3_N6thrust23THRUST_200600_302600_NS10device_ptrIiEESB_SB_iNS9_4plusIvEENS9_8equal_toIvEEiEE10hipError_tPvRmT2_T3_T4_T5_mT6_T7_P12ihipStream_tbENKUlT_T0_E_clISt17integral_constantIbLb0EESV_IbLb1EEEEDaSR_SS_EUlSR_E_NS1_11comp_targetILNS1_3genE0ELNS1_11target_archE4294967295ELNS1_3gpuE0ELNS1_3repE0EEENS1_30default_config_static_selectorELNS0_4arch9wavefront6targetE0EEEvT1_,comdat
.Lfunc_end2224:
	.size	_ZN7rocprim17ROCPRIM_400000_NS6detail17trampoline_kernelINS0_14default_configENS1_27scan_by_key_config_selectorIiiEEZZNS1_16scan_by_key_implILNS1_25lookback_scan_determinismE0ELb0ES3_N6thrust23THRUST_200600_302600_NS10device_ptrIiEESB_SB_iNS9_4plusIvEENS9_8equal_toIvEEiEE10hipError_tPvRmT2_T3_T4_T5_mT6_T7_P12ihipStream_tbENKUlT_T0_E_clISt17integral_constantIbLb0EESV_IbLb1EEEEDaSR_SS_EUlSR_E_NS1_11comp_targetILNS1_3genE0ELNS1_11target_archE4294967295ELNS1_3gpuE0ELNS1_3repE0EEENS1_30default_config_static_selectorELNS0_4arch9wavefront6targetE0EEEvT1_, .Lfunc_end2224-_ZN7rocprim17ROCPRIM_400000_NS6detail17trampoline_kernelINS0_14default_configENS1_27scan_by_key_config_selectorIiiEEZZNS1_16scan_by_key_implILNS1_25lookback_scan_determinismE0ELb0ES3_N6thrust23THRUST_200600_302600_NS10device_ptrIiEESB_SB_iNS9_4plusIvEENS9_8equal_toIvEEiEE10hipError_tPvRmT2_T3_T4_T5_mT6_T7_P12ihipStream_tbENKUlT_T0_E_clISt17integral_constantIbLb0EESV_IbLb1EEEEDaSR_SS_EUlSR_E_NS1_11comp_targetILNS1_3genE0ELNS1_11target_archE4294967295ELNS1_3gpuE0ELNS1_3repE0EEENS1_30default_config_static_selectorELNS0_4arch9wavefront6targetE0EEEvT1_
                                        ; -- End function
	.set _ZN7rocprim17ROCPRIM_400000_NS6detail17trampoline_kernelINS0_14default_configENS1_27scan_by_key_config_selectorIiiEEZZNS1_16scan_by_key_implILNS1_25lookback_scan_determinismE0ELb0ES3_N6thrust23THRUST_200600_302600_NS10device_ptrIiEESB_SB_iNS9_4plusIvEENS9_8equal_toIvEEiEE10hipError_tPvRmT2_T3_T4_T5_mT6_T7_P12ihipStream_tbENKUlT_T0_E_clISt17integral_constantIbLb0EESV_IbLb1EEEEDaSR_SS_EUlSR_E_NS1_11comp_targetILNS1_3genE0ELNS1_11target_archE4294967295ELNS1_3gpuE0ELNS1_3repE0EEENS1_30default_config_static_selectorELNS0_4arch9wavefront6targetE0EEEvT1_.num_vgpr, 60
	.set _ZN7rocprim17ROCPRIM_400000_NS6detail17trampoline_kernelINS0_14default_configENS1_27scan_by_key_config_selectorIiiEEZZNS1_16scan_by_key_implILNS1_25lookback_scan_determinismE0ELb0ES3_N6thrust23THRUST_200600_302600_NS10device_ptrIiEESB_SB_iNS9_4plusIvEENS9_8equal_toIvEEiEE10hipError_tPvRmT2_T3_T4_T5_mT6_T7_P12ihipStream_tbENKUlT_T0_E_clISt17integral_constantIbLb0EESV_IbLb1EEEEDaSR_SS_EUlSR_E_NS1_11comp_targetILNS1_3genE0ELNS1_11target_archE4294967295ELNS1_3gpuE0ELNS1_3repE0EEENS1_30default_config_static_selectorELNS0_4arch9wavefront6targetE0EEEvT1_.num_agpr, 0
	.set _ZN7rocprim17ROCPRIM_400000_NS6detail17trampoline_kernelINS0_14default_configENS1_27scan_by_key_config_selectorIiiEEZZNS1_16scan_by_key_implILNS1_25lookback_scan_determinismE0ELb0ES3_N6thrust23THRUST_200600_302600_NS10device_ptrIiEESB_SB_iNS9_4plusIvEENS9_8equal_toIvEEiEE10hipError_tPvRmT2_T3_T4_T5_mT6_T7_P12ihipStream_tbENKUlT_T0_E_clISt17integral_constantIbLb0EESV_IbLb1EEEEDaSR_SS_EUlSR_E_NS1_11comp_targetILNS1_3genE0ELNS1_11target_archE4294967295ELNS1_3gpuE0ELNS1_3repE0EEENS1_30default_config_static_selectorELNS0_4arch9wavefront6targetE0EEEvT1_.numbered_sgpr, 44
	.set _ZN7rocprim17ROCPRIM_400000_NS6detail17trampoline_kernelINS0_14default_configENS1_27scan_by_key_config_selectorIiiEEZZNS1_16scan_by_key_implILNS1_25lookback_scan_determinismE0ELb0ES3_N6thrust23THRUST_200600_302600_NS10device_ptrIiEESB_SB_iNS9_4plusIvEENS9_8equal_toIvEEiEE10hipError_tPvRmT2_T3_T4_T5_mT6_T7_P12ihipStream_tbENKUlT_T0_E_clISt17integral_constantIbLb0EESV_IbLb1EEEEDaSR_SS_EUlSR_E_NS1_11comp_targetILNS1_3genE0ELNS1_11target_archE4294967295ELNS1_3gpuE0ELNS1_3repE0EEENS1_30default_config_static_selectorELNS0_4arch9wavefront6targetE0EEEvT1_.num_named_barrier, 0
	.set _ZN7rocprim17ROCPRIM_400000_NS6detail17trampoline_kernelINS0_14default_configENS1_27scan_by_key_config_selectorIiiEEZZNS1_16scan_by_key_implILNS1_25lookback_scan_determinismE0ELb0ES3_N6thrust23THRUST_200600_302600_NS10device_ptrIiEESB_SB_iNS9_4plusIvEENS9_8equal_toIvEEiEE10hipError_tPvRmT2_T3_T4_T5_mT6_T7_P12ihipStream_tbENKUlT_T0_E_clISt17integral_constantIbLb0EESV_IbLb1EEEEDaSR_SS_EUlSR_E_NS1_11comp_targetILNS1_3genE0ELNS1_11target_archE4294967295ELNS1_3gpuE0ELNS1_3repE0EEENS1_30default_config_static_selectorELNS0_4arch9wavefront6targetE0EEEvT1_.private_seg_size, 0
	.set _ZN7rocprim17ROCPRIM_400000_NS6detail17trampoline_kernelINS0_14default_configENS1_27scan_by_key_config_selectorIiiEEZZNS1_16scan_by_key_implILNS1_25lookback_scan_determinismE0ELb0ES3_N6thrust23THRUST_200600_302600_NS10device_ptrIiEESB_SB_iNS9_4plusIvEENS9_8equal_toIvEEiEE10hipError_tPvRmT2_T3_T4_T5_mT6_T7_P12ihipStream_tbENKUlT_T0_E_clISt17integral_constantIbLb0EESV_IbLb1EEEEDaSR_SS_EUlSR_E_NS1_11comp_targetILNS1_3genE0ELNS1_11target_archE4294967295ELNS1_3gpuE0ELNS1_3repE0EEENS1_30default_config_static_selectorELNS0_4arch9wavefront6targetE0EEEvT1_.uses_vcc, 1
	.set _ZN7rocprim17ROCPRIM_400000_NS6detail17trampoline_kernelINS0_14default_configENS1_27scan_by_key_config_selectorIiiEEZZNS1_16scan_by_key_implILNS1_25lookback_scan_determinismE0ELb0ES3_N6thrust23THRUST_200600_302600_NS10device_ptrIiEESB_SB_iNS9_4plusIvEENS9_8equal_toIvEEiEE10hipError_tPvRmT2_T3_T4_T5_mT6_T7_P12ihipStream_tbENKUlT_T0_E_clISt17integral_constantIbLb0EESV_IbLb1EEEEDaSR_SS_EUlSR_E_NS1_11comp_targetILNS1_3genE0ELNS1_11target_archE4294967295ELNS1_3gpuE0ELNS1_3repE0EEENS1_30default_config_static_selectorELNS0_4arch9wavefront6targetE0EEEvT1_.uses_flat_scratch, 1
	.set _ZN7rocprim17ROCPRIM_400000_NS6detail17trampoline_kernelINS0_14default_configENS1_27scan_by_key_config_selectorIiiEEZZNS1_16scan_by_key_implILNS1_25lookback_scan_determinismE0ELb0ES3_N6thrust23THRUST_200600_302600_NS10device_ptrIiEESB_SB_iNS9_4plusIvEENS9_8equal_toIvEEiEE10hipError_tPvRmT2_T3_T4_T5_mT6_T7_P12ihipStream_tbENKUlT_T0_E_clISt17integral_constantIbLb0EESV_IbLb1EEEEDaSR_SS_EUlSR_E_NS1_11comp_targetILNS1_3genE0ELNS1_11target_archE4294967295ELNS1_3gpuE0ELNS1_3repE0EEENS1_30default_config_static_selectorELNS0_4arch9wavefront6targetE0EEEvT1_.has_dyn_sized_stack, 0
	.set _ZN7rocprim17ROCPRIM_400000_NS6detail17trampoline_kernelINS0_14default_configENS1_27scan_by_key_config_selectorIiiEEZZNS1_16scan_by_key_implILNS1_25lookback_scan_determinismE0ELb0ES3_N6thrust23THRUST_200600_302600_NS10device_ptrIiEESB_SB_iNS9_4plusIvEENS9_8equal_toIvEEiEE10hipError_tPvRmT2_T3_T4_T5_mT6_T7_P12ihipStream_tbENKUlT_T0_E_clISt17integral_constantIbLb0EESV_IbLb1EEEEDaSR_SS_EUlSR_E_NS1_11comp_targetILNS1_3genE0ELNS1_11target_archE4294967295ELNS1_3gpuE0ELNS1_3repE0EEENS1_30default_config_static_selectorELNS0_4arch9wavefront6targetE0EEEvT1_.has_recursion, 0
	.set _ZN7rocprim17ROCPRIM_400000_NS6detail17trampoline_kernelINS0_14default_configENS1_27scan_by_key_config_selectorIiiEEZZNS1_16scan_by_key_implILNS1_25lookback_scan_determinismE0ELb0ES3_N6thrust23THRUST_200600_302600_NS10device_ptrIiEESB_SB_iNS9_4plusIvEENS9_8equal_toIvEEiEE10hipError_tPvRmT2_T3_T4_T5_mT6_T7_P12ihipStream_tbENKUlT_T0_E_clISt17integral_constantIbLb0EESV_IbLb1EEEEDaSR_SS_EUlSR_E_NS1_11comp_targetILNS1_3genE0ELNS1_11target_archE4294967295ELNS1_3gpuE0ELNS1_3repE0EEENS1_30default_config_static_selectorELNS0_4arch9wavefront6targetE0EEEvT1_.has_indirect_call, 0
	.section	.AMDGPU.csdata,"",@progbits
; Kernel info:
; codeLenInByte = 12072
; TotalNumSgprs: 46
; NumVgprs: 60
; ScratchSize: 0
; MemoryBound: 0
; FloatMode: 240
; IeeeMode: 1
; LDSByteSize: 14336 bytes/workgroup (compile time only)
; SGPRBlocks: 0
; VGPRBlocks: 3
; NumSGPRsForWavesPerEU: 46
; NumVGPRsForWavesPerEU: 60
; NamedBarCnt: 0
; Occupancy: 16
; WaveLimiterHint : 1
; COMPUTE_PGM_RSRC2:SCRATCH_EN: 0
; COMPUTE_PGM_RSRC2:USER_SGPR: 2
; COMPUTE_PGM_RSRC2:TRAP_HANDLER: 0
; COMPUTE_PGM_RSRC2:TGID_X_EN: 1
; COMPUTE_PGM_RSRC2:TGID_Y_EN: 0
; COMPUTE_PGM_RSRC2:TGID_Z_EN: 0
; COMPUTE_PGM_RSRC2:TIDIG_COMP_CNT: 0
	.section	.text._ZN7rocprim17ROCPRIM_400000_NS6detail17trampoline_kernelINS0_14default_configENS1_27scan_by_key_config_selectorIiiEEZZNS1_16scan_by_key_implILNS1_25lookback_scan_determinismE0ELb0ES3_N6thrust23THRUST_200600_302600_NS10device_ptrIiEESB_SB_iNS9_4plusIvEENS9_8equal_toIvEEiEE10hipError_tPvRmT2_T3_T4_T5_mT6_T7_P12ihipStream_tbENKUlT_T0_E_clISt17integral_constantIbLb0EESV_IbLb1EEEEDaSR_SS_EUlSR_E_NS1_11comp_targetILNS1_3genE10ELNS1_11target_archE1201ELNS1_3gpuE5ELNS1_3repE0EEENS1_30default_config_static_selectorELNS0_4arch9wavefront6targetE0EEEvT1_,"axG",@progbits,_ZN7rocprim17ROCPRIM_400000_NS6detail17trampoline_kernelINS0_14default_configENS1_27scan_by_key_config_selectorIiiEEZZNS1_16scan_by_key_implILNS1_25lookback_scan_determinismE0ELb0ES3_N6thrust23THRUST_200600_302600_NS10device_ptrIiEESB_SB_iNS9_4plusIvEENS9_8equal_toIvEEiEE10hipError_tPvRmT2_T3_T4_T5_mT6_T7_P12ihipStream_tbENKUlT_T0_E_clISt17integral_constantIbLb0EESV_IbLb1EEEEDaSR_SS_EUlSR_E_NS1_11comp_targetILNS1_3genE10ELNS1_11target_archE1201ELNS1_3gpuE5ELNS1_3repE0EEENS1_30default_config_static_selectorELNS0_4arch9wavefront6targetE0EEEvT1_,comdat
	.protected	_ZN7rocprim17ROCPRIM_400000_NS6detail17trampoline_kernelINS0_14default_configENS1_27scan_by_key_config_selectorIiiEEZZNS1_16scan_by_key_implILNS1_25lookback_scan_determinismE0ELb0ES3_N6thrust23THRUST_200600_302600_NS10device_ptrIiEESB_SB_iNS9_4plusIvEENS9_8equal_toIvEEiEE10hipError_tPvRmT2_T3_T4_T5_mT6_T7_P12ihipStream_tbENKUlT_T0_E_clISt17integral_constantIbLb0EESV_IbLb1EEEEDaSR_SS_EUlSR_E_NS1_11comp_targetILNS1_3genE10ELNS1_11target_archE1201ELNS1_3gpuE5ELNS1_3repE0EEENS1_30default_config_static_selectorELNS0_4arch9wavefront6targetE0EEEvT1_ ; -- Begin function _ZN7rocprim17ROCPRIM_400000_NS6detail17trampoline_kernelINS0_14default_configENS1_27scan_by_key_config_selectorIiiEEZZNS1_16scan_by_key_implILNS1_25lookback_scan_determinismE0ELb0ES3_N6thrust23THRUST_200600_302600_NS10device_ptrIiEESB_SB_iNS9_4plusIvEENS9_8equal_toIvEEiEE10hipError_tPvRmT2_T3_T4_T5_mT6_T7_P12ihipStream_tbENKUlT_T0_E_clISt17integral_constantIbLb0EESV_IbLb1EEEEDaSR_SS_EUlSR_E_NS1_11comp_targetILNS1_3genE10ELNS1_11target_archE1201ELNS1_3gpuE5ELNS1_3repE0EEENS1_30default_config_static_selectorELNS0_4arch9wavefront6targetE0EEEvT1_
	.globl	_ZN7rocprim17ROCPRIM_400000_NS6detail17trampoline_kernelINS0_14default_configENS1_27scan_by_key_config_selectorIiiEEZZNS1_16scan_by_key_implILNS1_25lookback_scan_determinismE0ELb0ES3_N6thrust23THRUST_200600_302600_NS10device_ptrIiEESB_SB_iNS9_4plusIvEENS9_8equal_toIvEEiEE10hipError_tPvRmT2_T3_T4_T5_mT6_T7_P12ihipStream_tbENKUlT_T0_E_clISt17integral_constantIbLb0EESV_IbLb1EEEEDaSR_SS_EUlSR_E_NS1_11comp_targetILNS1_3genE10ELNS1_11target_archE1201ELNS1_3gpuE5ELNS1_3repE0EEENS1_30default_config_static_selectorELNS0_4arch9wavefront6targetE0EEEvT1_
	.p2align	8
	.type	_ZN7rocprim17ROCPRIM_400000_NS6detail17trampoline_kernelINS0_14default_configENS1_27scan_by_key_config_selectorIiiEEZZNS1_16scan_by_key_implILNS1_25lookback_scan_determinismE0ELb0ES3_N6thrust23THRUST_200600_302600_NS10device_ptrIiEESB_SB_iNS9_4plusIvEENS9_8equal_toIvEEiEE10hipError_tPvRmT2_T3_T4_T5_mT6_T7_P12ihipStream_tbENKUlT_T0_E_clISt17integral_constantIbLb0EESV_IbLb1EEEEDaSR_SS_EUlSR_E_NS1_11comp_targetILNS1_3genE10ELNS1_11target_archE1201ELNS1_3gpuE5ELNS1_3repE0EEENS1_30default_config_static_selectorELNS0_4arch9wavefront6targetE0EEEvT1_,@function
_ZN7rocprim17ROCPRIM_400000_NS6detail17trampoline_kernelINS0_14default_configENS1_27scan_by_key_config_selectorIiiEEZZNS1_16scan_by_key_implILNS1_25lookback_scan_determinismE0ELb0ES3_N6thrust23THRUST_200600_302600_NS10device_ptrIiEESB_SB_iNS9_4plusIvEENS9_8equal_toIvEEiEE10hipError_tPvRmT2_T3_T4_T5_mT6_T7_P12ihipStream_tbENKUlT_T0_E_clISt17integral_constantIbLb0EESV_IbLb1EEEEDaSR_SS_EUlSR_E_NS1_11comp_targetILNS1_3genE10ELNS1_11target_archE1201ELNS1_3gpuE5ELNS1_3repE0EEENS1_30default_config_static_selectorELNS0_4arch9wavefront6targetE0EEEvT1_: ; @_ZN7rocprim17ROCPRIM_400000_NS6detail17trampoline_kernelINS0_14default_configENS1_27scan_by_key_config_selectorIiiEEZZNS1_16scan_by_key_implILNS1_25lookback_scan_determinismE0ELb0ES3_N6thrust23THRUST_200600_302600_NS10device_ptrIiEESB_SB_iNS9_4plusIvEENS9_8equal_toIvEEiEE10hipError_tPvRmT2_T3_T4_T5_mT6_T7_P12ihipStream_tbENKUlT_T0_E_clISt17integral_constantIbLb0EESV_IbLb1EEEEDaSR_SS_EUlSR_E_NS1_11comp_targetILNS1_3genE10ELNS1_11target_archE1201ELNS1_3gpuE5ELNS1_3repE0EEENS1_30default_config_static_selectorELNS0_4arch9wavefront6targetE0EEEvT1_
; %bb.0:
	.section	.rodata,"a",@progbits
	.p2align	6, 0x0
	.amdhsa_kernel _ZN7rocprim17ROCPRIM_400000_NS6detail17trampoline_kernelINS0_14default_configENS1_27scan_by_key_config_selectorIiiEEZZNS1_16scan_by_key_implILNS1_25lookback_scan_determinismE0ELb0ES3_N6thrust23THRUST_200600_302600_NS10device_ptrIiEESB_SB_iNS9_4plusIvEENS9_8equal_toIvEEiEE10hipError_tPvRmT2_T3_T4_T5_mT6_T7_P12ihipStream_tbENKUlT_T0_E_clISt17integral_constantIbLb0EESV_IbLb1EEEEDaSR_SS_EUlSR_E_NS1_11comp_targetILNS1_3genE10ELNS1_11target_archE1201ELNS1_3gpuE5ELNS1_3repE0EEENS1_30default_config_static_selectorELNS0_4arch9wavefront6targetE0EEEvT1_
		.amdhsa_group_segment_fixed_size 0
		.amdhsa_private_segment_fixed_size 0
		.amdhsa_kernarg_size 112
		.amdhsa_user_sgpr_count 2
		.amdhsa_user_sgpr_dispatch_ptr 0
		.amdhsa_user_sgpr_queue_ptr 0
		.amdhsa_user_sgpr_kernarg_segment_ptr 1
		.amdhsa_user_sgpr_dispatch_id 0
		.amdhsa_user_sgpr_kernarg_preload_length 0
		.amdhsa_user_sgpr_kernarg_preload_offset 0
		.amdhsa_user_sgpr_private_segment_size 0
		.amdhsa_wavefront_size32 1
		.amdhsa_uses_dynamic_stack 0
		.amdhsa_enable_private_segment 0
		.amdhsa_system_sgpr_workgroup_id_x 1
		.amdhsa_system_sgpr_workgroup_id_y 0
		.amdhsa_system_sgpr_workgroup_id_z 0
		.amdhsa_system_sgpr_workgroup_info 0
		.amdhsa_system_vgpr_workitem_id 0
		.amdhsa_next_free_vgpr 1
		.amdhsa_next_free_sgpr 1
		.amdhsa_named_barrier_count 0
		.amdhsa_reserve_vcc 0
		.amdhsa_float_round_mode_32 0
		.amdhsa_float_round_mode_16_64 0
		.amdhsa_float_denorm_mode_32 3
		.amdhsa_float_denorm_mode_16_64 3
		.amdhsa_fp16_overflow 0
		.amdhsa_memory_ordered 1
		.amdhsa_forward_progress 1
		.amdhsa_inst_pref_size 0
		.amdhsa_round_robin_scheduling 0
		.amdhsa_exception_fp_ieee_invalid_op 0
		.amdhsa_exception_fp_denorm_src 0
		.amdhsa_exception_fp_ieee_div_zero 0
		.amdhsa_exception_fp_ieee_overflow 0
		.amdhsa_exception_fp_ieee_underflow 0
		.amdhsa_exception_fp_ieee_inexact 0
		.amdhsa_exception_int_div_zero 0
	.end_amdhsa_kernel
	.section	.text._ZN7rocprim17ROCPRIM_400000_NS6detail17trampoline_kernelINS0_14default_configENS1_27scan_by_key_config_selectorIiiEEZZNS1_16scan_by_key_implILNS1_25lookback_scan_determinismE0ELb0ES3_N6thrust23THRUST_200600_302600_NS10device_ptrIiEESB_SB_iNS9_4plusIvEENS9_8equal_toIvEEiEE10hipError_tPvRmT2_T3_T4_T5_mT6_T7_P12ihipStream_tbENKUlT_T0_E_clISt17integral_constantIbLb0EESV_IbLb1EEEEDaSR_SS_EUlSR_E_NS1_11comp_targetILNS1_3genE10ELNS1_11target_archE1201ELNS1_3gpuE5ELNS1_3repE0EEENS1_30default_config_static_selectorELNS0_4arch9wavefront6targetE0EEEvT1_,"axG",@progbits,_ZN7rocprim17ROCPRIM_400000_NS6detail17trampoline_kernelINS0_14default_configENS1_27scan_by_key_config_selectorIiiEEZZNS1_16scan_by_key_implILNS1_25lookback_scan_determinismE0ELb0ES3_N6thrust23THRUST_200600_302600_NS10device_ptrIiEESB_SB_iNS9_4plusIvEENS9_8equal_toIvEEiEE10hipError_tPvRmT2_T3_T4_T5_mT6_T7_P12ihipStream_tbENKUlT_T0_E_clISt17integral_constantIbLb0EESV_IbLb1EEEEDaSR_SS_EUlSR_E_NS1_11comp_targetILNS1_3genE10ELNS1_11target_archE1201ELNS1_3gpuE5ELNS1_3repE0EEENS1_30default_config_static_selectorELNS0_4arch9wavefront6targetE0EEEvT1_,comdat
.Lfunc_end2225:
	.size	_ZN7rocprim17ROCPRIM_400000_NS6detail17trampoline_kernelINS0_14default_configENS1_27scan_by_key_config_selectorIiiEEZZNS1_16scan_by_key_implILNS1_25lookback_scan_determinismE0ELb0ES3_N6thrust23THRUST_200600_302600_NS10device_ptrIiEESB_SB_iNS9_4plusIvEENS9_8equal_toIvEEiEE10hipError_tPvRmT2_T3_T4_T5_mT6_T7_P12ihipStream_tbENKUlT_T0_E_clISt17integral_constantIbLb0EESV_IbLb1EEEEDaSR_SS_EUlSR_E_NS1_11comp_targetILNS1_3genE10ELNS1_11target_archE1201ELNS1_3gpuE5ELNS1_3repE0EEENS1_30default_config_static_selectorELNS0_4arch9wavefront6targetE0EEEvT1_, .Lfunc_end2225-_ZN7rocprim17ROCPRIM_400000_NS6detail17trampoline_kernelINS0_14default_configENS1_27scan_by_key_config_selectorIiiEEZZNS1_16scan_by_key_implILNS1_25lookback_scan_determinismE0ELb0ES3_N6thrust23THRUST_200600_302600_NS10device_ptrIiEESB_SB_iNS9_4plusIvEENS9_8equal_toIvEEiEE10hipError_tPvRmT2_T3_T4_T5_mT6_T7_P12ihipStream_tbENKUlT_T0_E_clISt17integral_constantIbLb0EESV_IbLb1EEEEDaSR_SS_EUlSR_E_NS1_11comp_targetILNS1_3genE10ELNS1_11target_archE1201ELNS1_3gpuE5ELNS1_3repE0EEENS1_30default_config_static_selectorELNS0_4arch9wavefront6targetE0EEEvT1_
                                        ; -- End function
	.set _ZN7rocprim17ROCPRIM_400000_NS6detail17trampoline_kernelINS0_14default_configENS1_27scan_by_key_config_selectorIiiEEZZNS1_16scan_by_key_implILNS1_25lookback_scan_determinismE0ELb0ES3_N6thrust23THRUST_200600_302600_NS10device_ptrIiEESB_SB_iNS9_4plusIvEENS9_8equal_toIvEEiEE10hipError_tPvRmT2_T3_T4_T5_mT6_T7_P12ihipStream_tbENKUlT_T0_E_clISt17integral_constantIbLb0EESV_IbLb1EEEEDaSR_SS_EUlSR_E_NS1_11comp_targetILNS1_3genE10ELNS1_11target_archE1201ELNS1_3gpuE5ELNS1_3repE0EEENS1_30default_config_static_selectorELNS0_4arch9wavefront6targetE0EEEvT1_.num_vgpr, 0
	.set _ZN7rocprim17ROCPRIM_400000_NS6detail17trampoline_kernelINS0_14default_configENS1_27scan_by_key_config_selectorIiiEEZZNS1_16scan_by_key_implILNS1_25lookback_scan_determinismE0ELb0ES3_N6thrust23THRUST_200600_302600_NS10device_ptrIiEESB_SB_iNS9_4plusIvEENS9_8equal_toIvEEiEE10hipError_tPvRmT2_T3_T4_T5_mT6_T7_P12ihipStream_tbENKUlT_T0_E_clISt17integral_constantIbLb0EESV_IbLb1EEEEDaSR_SS_EUlSR_E_NS1_11comp_targetILNS1_3genE10ELNS1_11target_archE1201ELNS1_3gpuE5ELNS1_3repE0EEENS1_30default_config_static_selectorELNS0_4arch9wavefront6targetE0EEEvT1_.num_agpr, 0
	.set _ZN7rocprim17ROCPRIM_400000_NS6detail17trampoline_kernelINS0_14default_configENS1_27scan_by_key_config_selectorIiiEEZZNS1_16scan_by_key_implILNS1_25lookback_scan_determinismE0ELb0ES3_N6thrust23THRUST_200600_302600_NS10device_ptrIiEESB_SB_iNS9_4plusIvEENS9_8equal_toIvEEiEE10hipError_tPvRmT2_T3_T4_T5_mT6_T7_P12ihipStream_tbENKUlT_T0_E_clISt17integral_constantIbLb0EESV_IbLb1EEEEDaSR_SS_EUlSR_E_NS1_11comp_targetILNS1_3genE10ELNS1_11target_archE1201ELNS1_3gpuE5ELNS1_3repE0EEENS1_30default_config_static_selectorELNS0_4arch9wavefront6targetE0EEEvT1_.numbered_sgpr, 0
	.set _ZN7rocprim17ROCPRIM_400000_NS6detail17trampoline_kernelINS0_14default_configENS1_27scan_by_key_config_selectorIiiEEZZNS1_16scan_by_key_implILNS1_25lookback_scan_determinismE0ELb0ES3_N6thrust23THRUST_200600_302600_NS10device_ptrIiEESB_SB_iNS9_4plusIvEENS9_8equal_toIvEEiEE10hipError_tPvRmT2_T3_T4_T5_mT6_T7_P12ihipStream_tbENKUlT_T0_E_clISt17integral_constantIbLb0EESV_IbLb1EEEEDaSR_SS_EUlSR_E_NS1_11comp_targetILNS1_3genE10ELNS1_11target_archE1201ELNS1_3gpuE5ELNS1_3repE0EEENS1_30default_config_static_selectorELNS0_4arch9wavefront6targetE0EEEvT1_.num_named_barrier, 0
	.set _ZN7rocprim17ROCPRIM_400000_NS6detail17trampoline_kernelINS0_14default_configENS1_27scan_by_key_config_selectorIiiEEZZNS1_16scan_by_key_implILNS1_25lookback_scan_determinismE0ELb0ES3_N6thrust23THRUST_200600_302600_NS10device_ptrIiEESB_SB_iNS9_4plusIvEENS9_8equal_toIvEEiEE10hipError_tPvRmT2_T3_T4_T5_mT6_T7_P12ihipStream_tbENKUlT_T0_E_clISt17integral_constantIbLb0EESV_IbLb1EEEEDaSR_SS_EUlSR_E_NS1_11comp_targetILNS1_3genE10ELNS1_11target_archE1201ELNS1_3gpuE5ELNS1_3repE0EEENS1_30default_config_static_selectorELNS0_4arch9wavefront6targetE0EEEvT1_.private_seg_size, 0
	.set _ZN7rocprim17ROCPRIM_400000_NS6detail17trampoline_kernelINS0_14default_configENS1_27scan_by_key_config_selectorIiiEEZZNS1_16scan_by_key_implILNS1_25lookback_scan_determinismE0ELb0ES3_N6thrust23THRUST_200600_302600_NS10device_ptrIiEESB_SB_iNS9_4plusIvEENS9_8equal_toIvEEiEE10hipError_tPvRmT2_T3_T4_T5_mT6_T7_P12ihipStream_tbENKUlT_T0_E_clISt17integral_constantIbLb0EESV_IbLb1EEEEDaSR_SS_EUlSR_E_NS1_11comp_targetILNS1_3genE10ELNS1_11target_archE1201ELNS1_3gpuE5ELNS1_3repE0EEENS1_30default_config_static_selectorELNS0_4arch9wavefront6targetE0EEEvT1_.uses_vcc, 0
	.set _ZN7rocprim17ROCPRIM_400000_NS6detail17trampoline_kernelINS0_14default_configENS1_27scan_by_key_config_selectorIiiEEZZNS1_16scan_by_key_implILNS1_25lookback_scan_determinismE0ELb0ES3_N6thrust23THRUST_200600_302600_NS10device_ptrIiEESB_SB_iNS9_4plusIvEENS9_8equal_toIvEEiEE10hipError_tPvRmT2_T3_T4_T5_mT6_T7_P12ihipStream_tbENKUlT_T0_E_clISt17integral_constantIbLb0EESV_IbLb1EEEEDaSR_SS_EUlSR_E_NS1_11comp_targetILNS1_3genE10ELNS1_11target_archE1201ELNS1_3gpuE5ELNS1_3repE0EEENS1_30default_config_static_selectorELNS0_4arch9wavefront6targetE0EEEvT1_.uses_flat_scratch, 0
	.set _ZN7rocprim17ROCPRIM_400000_NS6detail17trampoline_kernelINS0_14default_configENS1_27scan_by_key_config_selectorIiiEEZZNS1_16scan_by_key_implILNS1_25lookback_scan_determinismE0ELb0ES3_N6thrust23THRUST_200600_302600_NS10device_ptrIiEESB_SB_iNS9_4plusIvEENS9_8equal_toIvEEiEE10hipError_tPvRmT2_T3_T4_T5_mT6_T7_P12ihipStream_tbENKUlT_T0_E_clISt17integral_constantIbLb0EESV_IbLb1EEEEDaSR_SS_EUlSR_E_NS1_11comp_targetILNS1_3genE10ELNS1_11target_archE1201ELNS1_3gpuE5ELNS1_3repE0EEENS1_30default_config_static_selectorELNS0_4arch9wavefront6targetE0EEEvT1_.has_dyn_sized_stack, 0
	.set _ZN7rocprim17ROCPRIM_400000_NS6detail17trampoline_kernelINS0_14default_configENS1_27scan_by_key_config_selectorIiiEEZZNS1_16scan_by_key_implILNS1_25lookback_scan_determinismE0ELb0ES3_N6thrust23THRUST_200600_302600_NS10device_ptrIiEESB_SB_iNS9_4plusIvEENS9_8equal_toIvEEiEE10hipError_tPvRmT2_T3_T4_T5_mT6_T7_P12ihipStream_tbENKUlT_T0_E_clISt17integral_constantIbLb0EESV_IbLb1EEEEDaSR_SS_EUlSR_E_NS1_11comp_targetILNS1_3genE10ELNS1_11target_archE1201ELNS1_3gpuE5ELNS1_3repE0EEENS1_30default_config_static_selectorELNS0_4arch9wavefront6targetE0EEEvT1_.has_recursion, 0
	.set _ZN7rocprim17ROCPRIM_400000_NS6detail17trampoline_kernelINS0_14default_configENS1_27scan_by_key_config_selectorIiiEEZZNS1_16scan_by_key_implILNS1_25lookback_scan_determinismE0ELb0ES3_N6thrust23THRUST_200600_302600_NS10device_ptrIiEESB_SB_iNS9_4plusIvEENS9_8equal_toIvEEiEE10hipError_tPvRmT2_T3_T4_T5_mT6_T7_P12ihipStream_tbENKUlT_T0_E_clISt17integral_constantIbLb0EESV_IbLb1EEEEDaSR_SS_EUlSR_E_NS1_11comp_targetILNS1_3genE10ELNS1_11target_archE1201ELNS1_3gpuE5ELNS1_3repE0EEENS1_30default_config_static_selectorELNS0_4arch9wavefront6targetE0EEEvT1_.has_indirect_call, 0
	.section	.AMDGPU.csdata,"",@progbits
; Kernel info:
; codeLenInByte = 0
; TotalNumSgprs: 0
; NumVgprs: 0
; ScratchSize: 0
; MemoryBound: 0
; FloatMode: 240
; IeeeMode: 1
; LDSByteSize: 0 bytes/workgroup (compile time only)
; SGPRBlocks: 0
; VGPRBlocks: 0
; NumSGPRsForWavesPerEU: 1
; NumVGPRsForWavesPerEU: 1
; NamedBarCnt: 0
; Occupancy: 16
; WaveLimiterHint : 0
; COMPUTE_PGM_RSRC2:SCRATCH_EN: 0
; COMPUTE_PGM_RSRC2:USER_SGPR: 2
; COMPUTE_PGM_RSRC2:TRAP_HANDLER: 0
; COMPUTE_PGM_RSRC2:TGID_X_EN: 1
; COMPUTE_PGM_RSRC2:TGID_Y_EN: 0
; COMPUTE_PGM_RSRC2:TGID_Z_EN: 0
; COMPUTE_PGM_RSRC2:TIDIG_COMP_CNT: 0
	.section	.text._ZN7rocprim17ROCPRIM_400000_NS6detail17trampoline_kernelINS0_14default_configENS1_27scan_by_key_config_selectorIiiEEZZNS1_16scan_by_key_implILNS1_25lookback_scan_determinismE0ELb0ES3_N6thrust23THRUST_200600_302600_NS10device_ptrIiEESB_SB_iNS9_4plusIvEENS9_8equal_toIvEEiEE10hipError_tPvRmT2_T3_T4_T5_mT6_T7_P12ihipStream_tbENKUlT_T0_E_clISt17integral_constantIbLb0EESV_IbLb1EEEEDaSR_SS_EUlSR_E_NS1_11comp_targetILNS1_3genE5ELNS1_11target_archE942ELNS1_3gpuE9ELNS1_3repE0EEENS1_30default_config_static_selectorELNS0_4arch9wavefront6targetE0EEEvT1_,"axG",@progbits,_ZN7rocprim17ROCPRIM_400000_NS6detail17trampoline_kernelINS0_14default_configENS1_27scan_by_key_config_selectorIiiEEZZNS1_16scan_by_key_implILNS1_25lookback_scan_determinismE0ELb0ES3_N6thrust23THRUST_200600_302600_NS10device_ptrIiEESB_SB_iNS9_4plusIvEENS9_8equal_toIvEEiEE10hipError_tPvRmT2_T3_T4_T5_mT6_T7_P12ihipStream_tbENKUlT_T0_E_clISt17integral_constantIbLb0EESV_IbLb1EEEEDaSR_SS_EUlSR_E_NS1_11comp_targetILNS1_3genE5ELNS1_11target_archE942ELNS1_3gpuE9ELNS1_3repE0EEENS1_30default_config_static_selectorELNS0_4arch9wavefront6targetE0EEEvT1_,comdat
	.protected	_ZN7rocprim17ROCPRIM_400000_NS6detail17trampoline_kernelINS0_14default_configENS1_27scan_by_key_config_selectorIiiEEZZNS1_16scan_by_key_implILNS1_25lookback_scan_determinismE0ELb0ES3_N6thrust23THRUST_200600_302600_NS10device_ptrIiEESB_SB_iNS9_4plusIvEENS9_8equal_toIvEEiEE10hipError_tPvRmT2_T3_T4_T5_mT6_T7_P12ihipStream_tbENKUlT_T0_E_clISt17integral_constantIbLb0EESV_IbLb1EEEEDaSR_SS_EUlSR_E_NS1_11comp_targetILNS1_3genE5ELNS1_11target_archE942ELNS1_3gpuE9ELNS1_3repE0EEENS1_30default_config_static_selectorELNS0_4arch9wavefront6targetE0EEEvT1_ ; -- Begin function _ZN7rocprim17ROCPRIM_400000_NS6detail17trampoline_kernelINS0_14default_configENS1_27scan_by_key_config_selectorIiiEEZZNS1_16scan_by_key_implILNS1_25lookback_scan_determinismE0ELb0ES3_N6thrust23THRUST_200600_302600_NS10device_ptrIiEESB_SB_iNS9_4plusIvEENS9_8equal_toIvEEiEE10hipError_tPvRmT2_T3_T4_T5_mT6_T7_P12ihipStream_tbENKUlT_T0_E_clISt17integral_constantIbLb0EESV_IbLb1EEEEDaSR_SS_EUlSR_E_NS1_11comp_targetILNS1_3genE5ELNS1_11target_archE942ELNS1_3gpuE9ELNS1_3repE0EEENS1_30default_config_static_selectorELNS0_4arch9wavefront6targetE0EEEvT1_
	.globl	_ZN7rocprim17ROCPRIM_400000_NS6detail17trampoline_kernelINS0_14default_configENS1_27scan_by_key_config_selectorIiiEEZZNS1_16scan_by_key_implILNS1_25lookback_scan_determinismE0ELb0ES3_N6thrust23THRUST_200600_302600_NS10device_ptrIiEESB_SB_iNS9_4plusIvEENS9_8equal_toIvEEiEE10hipError_tPvRmT2_T3_T4_T5_mT6_T7_P12ihipStream_tbENKUlT_T0_E_clISt17integral_constantIbLb0EESV_IbLb1EEEEDaSR_SS_EUlSR_E_NS1_11comp_targetILNS1_3genE5ELNS1_11target_archE942ELNS1_3gpuE9ELNS1_3repE0EEENS1_30default_config_static_selectorELNS0_4arch9wavefront6targetE0EEEvT1_
	.p2align	8
	.type	_ZN7rocprim17ROCPRIM_400000_NS6detail17trampoline_kernelINS0_14default_configENS1_27scan_by_key_config_selectorIiiEEZZNS1_16scan_by_key_implILNS1_25lookback_scan_determinismE0ELb0ES3_N6thrust23THRUST_200600_302600_NS10device_ptrIiEESB_SB_iNS9_4plusIvEENS9_8equal_toIvEEiEE10hipError_tPvRmT2_T3_T4_T5_mT6_T7_P12ihipStream_tbENKUlT_T0_E_clISt17integral_constantIbLb0EESV_IbLb1EEEEDaSR_SS_EUlSR_E_NS1_11comp_targetILNS1_3genE5ELNS1_11target_archE942ELNS1_3gpuE9ELNS1_3repE0EEENS1_30default_config_static_selectorELNS0_4arch9wavefront6targetE0EEEvT1_,@function
_ZN7rocprim17ROCPRIM_400000_NS6detail17trampoline_kernelINS0_14default_configENS1_27scan_by_key_config_selectorIiiEEZZNS1_16scan_by_key_implILNS1_25lookback_scan_determinismE0ELb0ES3_N6thrust23THRUST_200600_302600_NS10device_ptrIiEESB_SB_iNS9_4plusIvEENS9_8equal_toIvEEiEE10hipError_tPvRmT2_T3_T4_T5_mT6_T7_P12ihipStream_tbENKUlT_T0_E_clISt17integral_constantIbLb0EESV_IbLb1EEEEDaSR_SS_EUlSR_E_NS1_11comp_targetILNS1_3genE5ELNS1_11target_archE942ELNS1_3gpuE9ELNS1_3repE0EEENS1_30default_config_static_selectorELNS0_4arch9wavefront6targetE0EEEvT1_: ; @_ZN7rocprim17ROCPRIM_400000_NS6detail17trampoline_kernelINS0_14default_configENS1_27scan_by_key_config_selectorIiiEEZZNS1_16scan_by_key_implILNS1_25lookback_scan_determinismE0ELb0ES3_N6thrust23THRUST_200600_302600_NS10device_ptrIiEESB_SB_iNS9_4plusIvEENS9_8equal_toIvEEiEE10hipError_tPvRmT2_T3_T4_T5_mT6_T7_P12ihipStream_tbENKUlT_T0_E_clISt17integral_constantIbLb0EESV_IbLb1EEEEDaSR_SS_EUlSR_E_NS1_11comp_targetILNS1_3genE5ELNS1_11target_archE942ELNS1_3gpuE9ELNS1_3repE0EEENS1_30default_config_static_selectorELNS0_4arch9wavefront6targetE0EEEvT1_
; %bb.0:
	.section	.rodata,"a",@progbits
	.p2align	6, 0x0
	.amdhsa_kernel _ZN7rocprim17ROCPRIM_400000_NS6detail17trampoline_kernelINS0_14default_configENS1_27scan_by_key_config_selectorIiiEEZZNS1_16scan_by_key_implILNS1_25lookback_scan_determinismE0ELb0ES3_N6thrust23THRUST_200600_302600_NS10device_ptrIiEESB_SB_iNS9_4plusIvEENS9_8equal_toIvEEiEE10hipError_tPvRmT2_T3_T4_T5_mT6_T7_P12ihipStream_tbENKUlT_T0_E_clISt17integral_constantIbLb0EESV_IbLb1EEEEDaSR_SS_EUlSR_E_NS1_11comp_targetILNS1_3genE5ELNS1_11target_archE942ELNS1_3gpuE9ELNS1_3repE0EEENS1_30default_config_static_selectorELNS0_4arch9wavefront6targetE0EEEvT1_
		.amdhsa_group_segment_fixed_size 0
		.amdhsa_private_segment_fixed_size 0
		.amdhsa_kernarg_size 112
		.amdhsa_user_sgpr_count 2
		.amdhsa_user_sgpr_dispatch_ptr 0
		.amdhsa_user_sgpr_queue_ptr 0
		.amdhsa_user_sgpr_kernarg_segment_ptr 1
		.amdhsa_user_sgpr_dispatch_id 0
		.amdhsa_user_sgpr_kernarg_preload_length 0
		.amdhsa_user_sgpr_kernarg_preload_offset 0
		.amdhsa_user_sgpr_private_segment_size 0
		.amdhsa_wavefront_size32 1
		.amdhsa_uses_dynamic_stack 0
		.amdhsa_enable_private_segment 0
		.amdhsa_system_sgpr_workgroup_id_x 1
		.amdhsa_system_sgpr_workgroup_id_y 0
		.amdhsa_system_sgpr_workgroup_id_z 0
		.amdhsa_system_sgpr_workgroup_info 0
		.amdhsa_system_vgpr_workitem_id 0
		.amdhsa_next_free_vgpr 1
		.amdhsa_next_free_sgpr 1
		.amdhsa_named_barrier_count 0
		.amdhsa_reserve_vcc 0
		.amdhsa_float_round_mode_32 0
		.amdhsa_float_round_mode_16_64 0
		.amdhsa_float_denorm_mode_32 3
		.amdhsa_float_denorm_mode_16_64 3
		.amdhsa_fp16_overflow 0
		.amdhsa_memory_ordered 1
		.amdhsa_forward_progress 1
		.amdhsa_inst_pref_size 0
		.amdhsa_round_robin_scheduling 0
		.amdhsa_exception_fp_ieee_invalid_op 0
		.amdhsa_exception_fp_denorm_src 0
		.amdhsa_exception_fp_ieee_div_zero 0
		.amdhsa_exception_fp_ieee_overflow 0
		.amdhsa_exception_fp_ieee_underflow 0
		.amdhsa_exception_fp_ieee_inexact 0
		.amdhsa_exception_int_div_zero 0
	.end_amdhsa_kernel
	.section	.text._ZN7rocprim17ROCPRIM_400000_NS6detail17trampoline_kernelINS0_14default_configENS1_27scan_by_key_config_selectorIiiEEZZNS1_16scan_by_key_implILNS1_25lookback_scan_determinismE0ELb0ES3_N6thrust23THRUST_200600_302600_NS10device_ptrIiEESB_SB_iNS9_4plusIvEENS9_8equal_toIvEEiEE10hipError_tPvRmT2_T3_T4_T5_mT6_T7_P12ihipStream_tbENKUlT_T0_E_clISt17integral_constantIbLb0EESV_IbLb1EEEEDaSR_SS_EUlSR_E_NS1_11comp_targetILNS1_3genE5ELNS1_11target_archE942ELNS1_3gpuE9ELNS1_3repE0EEENS1_30default_config_static_selectorELNS0_4arch9wavefront6targetE0EEEvT1_,"axG",@progbits,_ZN7rocprim17ROCPRIM_400000_NS6detail17trampoline_kernelINS0_14default_configENS1_27scan_by_key_config_selectorIiiEEZZNS1_16scan_by_key_implILNS1_25lookback_scan_determinismE0ELb0ES3_N6thrust23THRUST_200600_302600_NS10device_ptrIiEESB_SB_iNS9_4plusIvEENS9_8equal_toIvEEiEE10hipError_tPvRmT2_T3_T4_T5_mT6_T7_P12ihipStream_tbENKUlT_T0_E_clISt17integral_constantIbLb0EESV_IbLb1EEEEDaSR_SS_EUlSR_E_NS1_11comp_targetILNS1_3genE5ELNS1_11target_archE942ELNS1_3gpuE9ELNS1_3repE0EEENS1_30default_config_static_selectorELNS0_4arch9wavefront6targetE0EEEvT1_,comdat
.Lfunc_end2226:
	.size	_ZN7rocprim17ROCPRIM_400000_NS6detail17trampoline_kernelINS0_14default_configENS1_27scan_by_key_config_selectorIiiEEZZNS1_16scan_by_key_implILNS1_25lookback_scan_determinismE0ELb0ES3_N6thrust23THRUST_200600_302600_NS10device_ptrIiEESB_SB_iNS9_4plusIvEENS9_8equal_toIvEEiEE10hipError_tPvRmT2_T3_T4_T5_mT6_T7_P12ihipStream_tbENKUlT_T0_E_clISt17integral_constantIbLb0EESV_IbLb1EEEEDaSR_SS_EUlSR_E_NS1_11comp_targetILNS1_3genE5ELNS1_11target_archE942ELNS1_3gpuE9ELNS1_3repE0EEENS1_30default_config_static_selectorELNS0_4arch9wavefront6targetE0EEEvT1_, .Lfunc_end2226-_ZN7rocprim17ROCPRIM_400000_NS6detail17trampoline_kernelINS0_14default_configENS1_27scan_by_key_config_selectorIiiEEZZNS1_16scan_by_key_implILNS1_25lookback_scan_determinismE0ELb0ES3_N6thrust23THRUST_200600_302600_NS10device_ptrIiEESB_SB_iNS9_4plusIvEENS9_8equal_toIvEEiEE10hipError_tPvRmT2_T3_T4_T5_mT6_T7_P12ihipStream_tbENKUlT_T0_E_clISt17integral_constantIbLb0EESV_IbLb1EEEEDaSR_SS_EUlSR_E_NS1_11comp_targetILNS1_3genE5ELNS1_11target_archE942ELNS1_3gpuE9ELNS1_3repE0EEENS1_30default_config_static_selectorELNS0_4arch9wavefront6targetE0EEEvT1_
                                        ; -- End function
	.set _ZN7rocprim17ROCPRIM_400000_NS6detail17trampoline_kernelINS0_14default_configENS1_27scan_by_key_config_selectorIiiEEZZNS1_16scan_by_key_implILNS1_25lookback_scan_determinismE0ELb0ES3_N6thrust23THRUST_200600_302600_NS10device_ptrIiEESB_SB_iNS9_4plusIvEENS9_8equal_toIvEEiEE10hipError_tPvRmT2_T3_T4_T5_mT6_T7_P12ihipStream_tbENKUlT_T0_E_clISt17integral_constantIbLb0EESV_IbLb1EEEEDaSR_SS_EUlSR_E_NS1_11comp_targetILNS1_3genE5ELNS1_11target_archE942ELNS1_3gpuE9ELNS1_3repE0EEENS1_30default_config_static_selectorELNS0_4arch9wavefront6targetE0EEEvT1_.num_vgpr, 0
	.set _ZN7rocprim17ROCPRIM_400000_NS6detail17trampoline_kernelINS0_14default_configENS1_27scan_by_key_config_selectorIiiEEZZNS1_16scan_by_key_implILNS1_25lookback_scan_determinismE0ELb0ES3_N6thrust23THRUST_200600_302600_NS10device_ptrIiEESB_SB_iNS9_4plusIvEENS9_8equal_toIvEEiEE10hipError_tPvRmT2_T3_T4_T5_mT6_T7_P12ihipStream_tbENKUlT_T0_E_clISt17integral_constantIbLb0EESV_IbLb1EEEEDaSR_SS_EUlSR_E_NS1_11comp_targetILNS1_3genE5ELNS1_11target_archE942ELNS1_3gpuE9ELNS1_3repE0EEENS1_30default_config_static_selectorELNS0_4arch9wavefront6targetE0EEEvT1_.num_agpr, 0
	.set _ZN7rocprim17ROCPRIM_400000_NS6detail17trampoline_kernelINS0_14default_configENS1_27scan_by_key_config_selectorIiiEEZZNS1_16scan_by_key_implILNS1_25lookback_scan_determinismE0ELb0ES3_N6thrust23THRUST_200600_302600_NS10device_ptrIiEESB_SB_iNS9_4plusIvEENS9_8equal_toIvEEiEE10hipError_tPvRmT2_T3_T4_T5_mT6_T7_P12ihipStream_tbENKUlT_T0_E_clISt17integral_constantIbLb0EESV_IbLb1EEEEDaSR_SS_EUlSR_E_NS1_11comp_targetILNS1_3genE5ELNS1_11target_archE942ELNS1_3gpuE9ELNS1_3repE0EEENS1_30default_config_static_selectorELNS0_4arch9wavefront6targetE0EEEvT1_.numbered_sgpr, 0
	.set _ZN7rocprim17ROCPRIM_400000_NS6detail17trampoline_kernelINS0_14default_configENS1_27scan_by_key_config_selectorIiiEEZZNS1_16scan_by_key_implILNS1_25lookback_scan_determinismE0ELb0ES3_N6thrust23THRUST_200600_302600_NS10device_ptrIiEESB_SB_iNS9_4plusIvEENS9_8equal_toIvEEiEE10hipError_tPvRmT2_T3_T4_T5_mT6_T7_P12ihipStream_tbENKUlT_T0_E_clISt17integral_constantIbLb0EESV_IbLb1EEEEDaSR_SS_EUlSR_E_NS1_11comp_targetILNS1_3genE5ELNS1_11target_archE942ELNS1_3gpuE9ELNS1_3repE0EEENS1_30default_config_static_selectorELNS0_4arch9wavefront6targetE0EEEvT1_.num_named_barrier, 0
	.set _ZN7rocprim17ROCPRIM_400000_NS6detail17trampoline_kernelINS0_14default_configENS1_27scan_by_key_config_selectorIiiEEZZNS1_16scan_by_key_implILNS1_25lookback_scan_determinismE0ELb0ES3_N6thrust23THRUST_200600_302600_NS10device_ptrIiEESB_SB_iNS9_4plusIvEENS9_8equal_toIvEEiEE10hipError_tPvRmT2_T3_T4_T5_mT6_T7_P12ihipStream_tbENKUlT_T0_E_clISt17integral_constantIbLb0EESV_IbLb1EEEEDaSR_SS_EUlSR_E_NS1_11comp_targetILNS1_3genE5ELNS1_11target_archE942ELNS1_3gpuE9ELNS1_3repE0EEENS1_30default_config_static_selectorELNS0_4arch9wavefront6targetE0EEEvT1_.private_seg_size, 0
	.set _ZN7rocprim17ROCPRIM_400000_NS6detail17trampoline_kernelINS0_14default_configENS1_27scan_by_key_config_selectorIiiEEZZNS1_16scan_by_key_implILNS1_25lookback_scan_determinismE0ELb0ES3_N6thrust23THRUST_200600_302600_NS10device_ptrIiEESB_SB_iNS9_4plusIvEENS9_8equal_toIvEEiEE10hipError_tPvRmT2_T3_T4_T5_mT6_T7_P12ihipStream_tbENKUlT_T0_E_clISt17integral_constantIbLb0EESV_IbLb1EEEEDaSR_SS_EUlSR_E_NS1_11comp_targetILNS1_3genE5ELNS1_11target_archE942ELNS1_3gpuE9ELNS1_3repE0EEENS1_30default_config_static_selectorELNS0_4arch9wavefront6targetE0EEEvT1_.uses_vcc, 0
	.set _ZN7rocprim17ROCPRIM_400000_NS6detail17trampoline_kernelINS0_14default_configENS1_27scan_by_key_config_selectorIiiEEZZNS1_16scan_by_key_implILNS1_25lookback_scan_determinismE0ELb0ES3_N6thrust23THRUST_200600_302600_NS10device_ptrIiEESB_SB_iNS9_4plusIvEENS9_8equal_toIvEEiEE10hipError_tPvRmT2_T3_T4_T5_mT6_T7_P12ihipStream_tbENKUlT_T0_E_clISt17integral_constantIbLb0EESV_IbLb1EEEEDaSR_SS_EUlSR_E_NS1_11comp_targetILNS1_3genE5ELNS1_11target_archE942ELNS1_3gpuE9ELNS1_3repE0EEENS1_30default_config_static_selectorELNS0_4arch9wavefront6targetE0EEEvT1_.uses_flat_scratch, 0
	.set _ZN7rocprim17ROCPRIM_400000_NS6detail17trampoline_kernelINS0_14default_configENS1_27scan_by_key_config_selectorIiiEEZZNS1_16scan_by_key_implILNS1_25lookback_scan_determinismE0ELb0ES3_N6thrust23THRUST_200600_302600_NS10device_ptrIiEESB_SB_iNS9_4plusIvEENS9_8equal_toIvEEiEE10hipError_tPvRmT2_T3_T4_T5_mT6_T7_P12ihipStream_tbENKUlT_T0_E_clISt17integral_constantIbLb0EESV_IbLb1EEEEDaSR_SS_EUlSR_E_NS1_11comp_targetILNS1_3genE5ELNS1_11target_archE942ELNS1_3gpuE9ELNS1_3repE0EEENS1_30default_config_static_selectorELNS0_4arch9wavefront6targetE0EEEvT1_.has_dyn_sized_stack, 0
	.set _ZN7rocprim17ROCPRIM_400000_NS6detail17trampoline_kernelINS0_14default_configENS1_27scan_by_key_config_selectorIiiEEZZNS1_16scan_by_key_implILNS1_25lookback_scan_determinismE0ELb0ES3_N6thrust23THRUST_200600_302600_NS10device_ptrIiEESB_SB_iNS9_4plusIvEENS9_8equal_toIvEEiEE10hipError_tPvRmT2_T3_T4_T5_mT6_T7_P12ihipStream_tbENKUlT_T0_E_clISt17integral_constantIbLb0EESV_IbLb1EEEEDaSR_SS_EUlSR_E_NS1_11comp_targetILNS1_3genE5ELNS1_11target_archE942ELNS1_3gpuE9ELNS1_3repE0EEENS1_30default_config_static_selectorELNS0_4arch9wavefront6targetE0EEEvT1_.has_recursion, 0
	.set _ZN7rocprim17ROCPRIM_400000_NS6detail17trampoline_kernelINS0_14default_configENS1_27scan_by_key_config_selectorIiiEEZZNS1_16scan_by_key_implILNS1_25lookback_scan_determinismE0ELb0ES3_N6thrust23THRUST_200600_302600_NS10device_ptrIiEESB_SB_iNS9_4plusIvEENS9_8equal_toIvEEiEE10hipError_tPvRmT2_T3_T4_T5_mT6_T7_P12ihipStream_tbENKUlT_T0_E_clISt17integral_constantIbLb0EESV_IbLb1EEEEDaSR_SS_EUlSR_E_NS1_11comp_targetILNS1_3genE5ELNS1_11target_archE942ELNS1_3gpuE9ELNS1_3repE0EEENS1_30default_config_static_selectorELNS0_4arch9wavefront6targetE0EEEvT1_.has_indirect_call, 0
	.section	.AMDGPU.csdata,"",@progbits
; Kernel info:
; codeLenInByte = 0
; TotalNumSgprs: 0
; NumVgprs: 0
; ScratchSize: 0
; MemoryBound: 0
; FloatMode: 240
; IeeeMode: 1
; LDSByteSize: 0 bytes/workgroup (compile time only)
; SGPRBlocks: 0
; VGPRBlocks: 0
; NumSGPRsForWavesPerEU: 1
; NumVGPRsForWavesPerEU: 1
; NamedBarCnt: 0
; Occupancy: 16
; WaveLimiterHint : 0
; COMPUTE_PGM_RSRC2:SCRATCH_EN: 0
; COMPUTE_PGM_RSRC2:USER_SGPR: 2
; COMPUTE_PGM_RSRC2:TRAP_HANDLER: 0
; COMPUTE_PGM_RSRC2:TGID_X_EN: 1
; COMPUTE_PGM_RSRC2:TGID_Y_EN: 0
; COMPUTE_PGM_RSRC2:TGID_Z_EN: 0
; COMPUTE_PGM_RSRC2:TIDIG_COMP_CNT: 0
	.section	.text._ZN7rocprim17ROCPRIM_400000_NS6detail17trampoline_kernelINS0_14default_configENS1_27scan_by_key_config_selectorIiiEEZZNS1_16scan_by_key_implILNS1_25lookback_scan_determinismE0ELb0ES3_N6thrust23THRUST_200600_302600_NS10device_ptrIiEESB_SB_iNS9_4plusIvEENS9_8equal_toIvEEiEE10hipError_tPvRmT2_T3_T4_T5_mT6_T7_P12ihipStream_tbENKUlT_T0_E_clISt17integral_constantIbLb0EESV_IbLb1EEEEDaSR_SS_EUlSR_E_NS1_11comp_targetILNS1_3genE4ELNS1_11target_archE910ELNS1_3gpuE8ELNS1_3repE0EEENS1_30default_config_static_selectorELNS0_4arch9wavefront6targetE0EEEvT1_,"axG",@progbits,_ZN7rocprim17ROCPRIM_400000_NS6detail17trampoline_kernelINS0_14default_configENS1_27scan_by_key_config_selectorIiiEEZZNS1_16scan_by_key_implILNS1_25lookback_scan_determinismE0ELb0ES3_N6thrust23THRUST_200600_302600_NS10device_ptrIiEESB_SB_iNS9_4plusIvEENS9_8equal_toIvEEiEE10hipError_tPvRmT2_T3_T4_T5_mT6_T7_P12ihipStream_tbENKUlT_T0_E_clISt17integral_constantIbLb0EESV_IbLb1EEEEDaSR_SS_EUlSR_E_NS1_11comp_targetILNS1_3genE4ELNS1_11target_archE910ELNS1_3gpuE8ELNS1_3repE0EEENS1_30default_config_static_selectorELNS0_4arch9wavefront6targetE0EEEvT1_,comdat
	.protected	_ZN7rocprim17ROCPRIM_400000_NS6detail17trampoline_kernelINS0_14default_configENS1_27scan_by_key_config_selectorIiiEEZZNS1_16scan_by_key_implILNS1_25lookback_scan_determinismE0ELb0ES3_N6thrust23THRUST_200600_302600_NS10device_ptrIiEESB_SB_iNS9_4plusIvEENS9_8equal_toIvEEiEE10hipError_tPvRmT2_T3_T4_T5_mT6_T7_P12ihipStream_tbENKUlT_T0_E_clISt17integral_constantIbLb0EESV_IbLb1EEEEDaSR_SS_EUlSR_E_NS1_11comp_targetILNS1_3genE4ELNS1_11target_archE910ELNS1_3gpuE8ELNS1_3repE0EEENS1_30default_config_static_selectorELNS0_4arch9wavefront6targetE0EEEvT1_ ; -- Begin function _ZN7rocprim17ROCPRIM_400000_NS6detail17trampoline_kernelINS0_14default_configENS1_27scan_by_key_config_selectorIiiEEZZNS1_16scan_by_key_implILNS1_25lookback_scan_determinismE0ELb0ES3_N6thrust23THRUST_200600_302600_NS10device_ptrIiEESB_SB_iNS9_4plusIvEENS9_8equal_toIvEEiEE10hipError_tPvRmT2_T3_T4_T5_mT6_T7_P12ihipStream_tbENKUlT_T0_E_clISt17integral_constantIbLb0EESV_IbLb1EEEEDaSR_SS_EUlSR_E_NS1_11comp_targetILNS1_3genE4ELNS1_11target_archE910ELNS1_3gpuE8ELNS1_3repE0EEENS1_30default_config_static_selectorELNS0_4arch9wavefront6targetE0EEEvT1_
	.globl	_ZN7rocprim17ROCPRIM_400000_NS6detail17trampoline_kernelINS0_14default_configENS1_27scan_by_key_config_selectorIiiEEZZNS1_16scan_by_key_implILNS1_25lookback_scan_determinismE0ELb0ES3_N6thrust23THRUST_200600_302600_NS10device_ptrIiEESB_SB_iNS9_4plusIvEENS9_8equal_toIvEEiEE10hipError_tPvRmT2_T3_T4_T5_mT6_T7_P12ihipStream_tbENKUlT_T0_E_clISt17integral_constantIbLb0EESV_IbLb1EEEEDaSR_SS_EUlSR_E_NS1_11comp_targetILNS1_3genE4ELNS1_11target_archE910ELNS1_3gpuE8ELNS1_3repE0EEENS1_30default_config_static_selectorELNS0_4arch9wavefront6targetE0EEEvT1_
	.p2align	8
	.type	_ZN7rocprim17ROCPRIM_400000_NS6detail17trampoline_kernelINS0_14default_configENS1_27scan_by_key_config_selectorIiiEEZZNS1_16scan_by_key_implILNS1_25lookback_scan_determinismE0ELb0ES3_N6thrust23THRUST_200600_302600_NS10device_ptrIiEESB_SB_iNS9_4plusIvEENS9_8equal_toIvEEiEE10hipError_tPvRmT2_T3_T4_T5_mT6_T7_P12ihipStream_tbENKUlT_T0_E_clISt17integral_constantIbLb0EESV_IbLb1EEEEDaSR_SS_EUlSR_E_NS1_11comp_targetILNS1_3genE4ELNS1_11target_archE910ELNS1_3gpuE8ELNS1_3repE0EEENS1_30default_config_static_selectorELNS0_4arch9wavefront6targetE0EEEvT1_,@function
_ZN7rocprim17ROCPRIM_400000_NS6detail17trampoline_kernelINS0_14default_configENS1_27scan_by_key_config_selectorIiiEEZZNS1_16scan_by_key_implILNS1_25lookback_scan_determinismE0ELb0ES3_N6thrust23THRUST_200600_302600_NS10device_ptrIiEESB_SB_iNS9_4plusIvEENS9_8equal_toIvEEiEE10hipError_tPvRmT2_T3_T4_T5_mT6_T7_P12ihipStream_tbENKUlT_T0_E_clISt17integral_constantIbLb0EESV_IbLb1EEEEDaSR_SS_EUlSR_E_NS1_11comp_targetILNS1_3genE4ELNS1_11target_archE910ELNS1_3gpuE8ELNS1_3repE0EEENS1_30default_config_static_selectorELNS0_4arch9wavefront6targetE0EEEvT1_: ; @_ZN7rocprim17ROCPRIM_400000_NS6detail17trampoline_kernelINS0_14default_configENS1_27scan_by_key_config_selectorIiiEEZZNS1_16scan_by_key_implILNS1_25lookback_scan_determinismE0ELb0ES3_N6thrust23THRUST_200600_302600_NS10device_ptrIiEESB_SB_iNS9_4plusIvEENS9_8equal_toIvEEiEE10hipError_tPvRmT2_T3_T4_T5_mT6_T7_P12ihipStream_tbENKUlT_T0_E_clISt17integral_constantIbLb0EESV_IbLb1EEEEDaSR_SS_EUlSR_E_NS1_11comp_targetILNS1_3genE4ELNS1_11target_archE910ELNS1_3gpuE8ELNS1_3repE0EEENS1_30default_config_static_selectorELNS0_4arch9wavefront6targetE0EEEvT1_
; %bb.0:
	.section	.rodata,"a",@progbits
	.p2align	6, 0x0
	.amdhsa_kernel _ZN7rocprim17ROCPRIM_400000_NS6detail17trampoline_kernelINS0_14default_configENS1_27scan_by_key_config_selectorIiiEEZZNS1_16scan_by_key_implILNS1_25lookback_scan_determinismE0ELb0ES3_N6thrust23THRUST_200600_302600_NS10device_ptrIiEESB_SB_iNS9_4plusIvEENS9_8equal_toIvEEiEE10hipError_tPvRmT2_T3_T4_T5_mT6_T7_P12ihipStream_tbENKUlT_T0_E_clISt17integral_constantIbLb0EESV_IbLb1EEEEDaSR_SS_EUlSR_E_NS1_11comp_targetILNS1_3genE4ELNS1_11target_archE910ELNS1_3gpuE8ELNS1_3repE0EEENS1_30default_config_static_selectorELNS0_4arch9wavefront6targetE0EEEvT1_
		.amdhsa_group_segment_fixed_size 0
		.amdhsa_private_segment_fixed_size 0
		.amdhsa_kernarg_size 112
		.amdhsa_user_sgpr_count 2
		.amdhsa_user_sgpr_dispatch_ptr 0
		.amdhsa_user_sgpr_queue_ptr 0
		.amdhsa_user_sgpr_kernarg_segment_ptr 1
		.amdhsa_user_sgpr_dispatch_id 0
		.amdhsa_user_sgpr_kernarg_preload_length 0
		.amdhsa_user_sgpr_kernarg_preload_offset 0
		.amdhsa_user_sgpr_private_segment_size 0
		.amdhsa_wavefront_size32 1
		.amdhsa_uses_dynamic_stack 0
		.amdhsa_enable_private_segment 0
		.amdhsa_system_sgpr_workgroup_id_x 1
		.amdhsa_system_sgpr_workgroup_id_y 0
		.amdhsa_system_sgpr_workgroup_id_z 0
		.amdhsa_system_sgpr_workgroup_info 0
		.amdhsa_system_vgpr_workitem_id 0
		.amdhsa_next_free_vgpr 1
		.amdhsa_next_free_sgpr 1
		.amdhsa_named_barrier_count 0
		.amdhsa_reserve_vcc 0
		.amdhsa_float_round_mode_32 0
		.amdhsa_float_round_mode_16_64 0
		.amdhsa_float_denorm_mode_32 3
		.amdhsa_float_denorm_mode_16_64 3
		.amdhsa_fp16_overflow 0
		.amdhsa_memory_ordered 1
		.amdhsa_forward_progress 1
		.amdhsa_inst_pref_size 0
		.amdhsa_round_robin_scheduling 0
		.amdhsa_exception_fp_ieee_invalid_op 0
		.amdhsa_exception_fp_denorm_src 0
		.amdhsa_exception_fp_ieee_div_zero 0
		.amdhsa_exception_fp_ieee_overflow 0
		.amdhsa_exception_fp_ieee_underflow 0
		.amdhsa_exception_fp_ieee_inexact 0
		.amdhsa_exception_int_div_zero 0
	.end_amdhsa_kernel
	.section	.text._ZN7rocprim17ROCPRIM_400000_NS6detail17trampoline_kernelINS0_14default_configENS1_27scan_by_key_config_selectorIiiEEZZNS1_16scan_by_key_implILNS1_25lookback_scan_determinismE0ELb0ES3_N6thrust23THRUST_200600_302600_NS10device_ptrIiEESB_SB_iNS9_4plusIvEENS9_8equal_toIvEEiEE10hipError_tPvRmT2_T3_T4_T5_mT6_T7_P12ihipStream_tbENKUlT_T0_E_clISt17integral_constantIbLb0EESV_IbLb1EEEEDaSR_SS_EUlSR_E_NS1_11comp_targetILNS1_3genE4ELNS1_11target_archE910ELNS1_3gpuE8ELNS1_3repE0EEENS1_30default_config_static_selectorELNS0_4arch9wavefront6targetE0EEEvT1_,"axG",@progbits,_ZN7rocprim17ROCPRIM_400000_NS6detail17trampoline_kernelINS0_14default_configENS1_27scan_by_key_config_selectorIiiEEZZNS1_16scan_by_key_implILNS1_25lookback_scan_determinismE0ELb0ES3_N6thrust23THRUST_200600_302600_NS10device_ptrIiEESB_SB_iNS9_4plusIvEENS9_8equal_toIvEEiEE10hipError_tPvRmT2_T3_T4_T5_mT6_T7_P12ihipStream_tbENKUlT_T0_E_clISt17integral_constantIbLb0EESV_IbLb1EEEEDaSR_SS_EUlSR_E_NS1_11comp_targetILNS1_3genE4ELNS1_11target_archE910ELNS1_3gpuE8ELNS1_3repE0EEENS1_30default_config_static_selectorELNS0_4arch9wavefront6targetE0EEEvT1_,comdat
.Lfunc_end2227:
	.size	_ZN7rocprim17ROCPRIM_400000_NS6detail17trampoline_kernelINS0_14default_configENS1_27scan_by_key_config_selectorIiiEEZZNS1_16scan_by_key_implILNS1_25lookback_scan_determinismE0ELb0ES3_N6thrust23THRUST_200600_302600_NS10device_ptrIiEESB_SB_iNS9_4plusIvEENS9_8equal_toIvEEiEE10hipError_tPvRmT2_T3_T4_T5_mT6_T7_P12ihipStream_tbENKUlT_T0_E_clISt17integral_constantIbLb0EESV_IbLb1EEEEDaSR_SS_EUlSR_E_NS1_11comp_targetILNS1_3genE4ELNS1_11target_archE910ELNS1_3gpuE8ELNS1_3repE0EEENS1_30default_config_static_selectorELNS0_4arch9wavefront6targetE0EEEvT1_, .Lfunc_end2227-_ZN7rocprim17ROCPRIM_400000_NS6detail17trampoline_kernelINS0_14default_configENS1_27scan_by_key_config_selectorIiiEEZZNS1_16scan_by_key_implILNS1_25lookback_scan_determinismE0ELb0ES3_N6thrust23THRUST_200600_302600_NS10device_ptrIiEESB_SB_iNS9_4plusIvEENS9_8equal_toIvEEiEE10hipError_tPvRmT2_T3_T4_T5_mT6_T7_P12ihipStream_tbENKUlT_T0_E_clISt17integral_constantIbLb0EESV_IbLb1EEEEDaSR_SS_EUlSR_E_NS1_11comp_targetILNS1_3genE4ELNS1_11target_archE910ELNS1_3gpuE8ELNS1_3repE0EEENS1_30default_config_static_selectorELNS0_4arch9wavefront6targetE0EEEvT1_
                                        ; -- End function
	.set _ZN7rocprim17ROCPRIM_400000_NS6detail17trampoline_kernelINS0_14default_configENS1_27scan_by_key_config_selectorIiiEEZZNS1_16scan_by_key_implILNS1_25lookback_scan_determinismE0ELb0ES3_N6thrust23THRUST_200600_302600_NS10device_ptrIiEESB_SB_iNS9_4plusIvEENS9_8equal_toIvEEiEE10hipError_tPvRmT2_T3_T4_T5_mT6_T7_P12ihipStream_tbENKUlT_T0_E_clISt17integral_constantIbLb0EESV_IbLb1EEEEDaSR_SS_EUlSR_E_NS1_11comp_targetILNS1_3genE4ELNS1_11target_archE910ELNS1_3gpuE8ELNS1_3repE0EEENS1_30default_config_static_selectorELNS0_4arch9wavefront6targetE0EEEvT1_.num_vgpr, 0
	.set _ZN7rocprim17ROCPRIM_400000_NS6detail17trampoline_kernelINS0_14default_configENS1_27scan_by_key_config_selectorIiiEEZZNS1_16scan_by_key_implILNS1_25lookback_scan_determinismE0ELb0ES3_N6thrust23THRUST_200600_302600_NS10device_ptrIiEESB_SB_iNS9_4plusIvEENS9_8equal_toIvEEiEE10hipError_tPvRmT2_T3_T4_T5_mT6_T7_P12ihipStream_tbENKUlT_T0_E_clISt17integral_constantIbLb0EESV_IbLb1EEEEDaSR_SS_EUlSR_E_NS1_11comp_targetILNS1_3genE4ELNS1_11target_archE910ELNS1_3gpuE8ELNS1_3repE0EEENS1_30default_config_static_selectorELNS0_4arch9wavefront6targetE0EEEvT1_.num_agpr, 0
	.set _ZN7rocprim17ROCPRIM_400000_NS6detail17trampoline_kernelINS0_14default_configENS1_27scan_by_key_config_selectorIiiEEZZNS1_16scan_by_key_implILNS1_25lookback_scan_determinismE0ELb0ES3_N6thrust23THRUST_200600_302600_NS10device_ptrIiEESB_SB_iNS9_4plusIvEENS9_8equal_toIvEEiEE10hipError_tPvRmT2_T3_T4_T5_mT6_T7_P12ihipStream_tbENKUlT_T0_E_clISt17integral_constantIbLb0EESV_IbLb1EEEEDaSR_SS_EUlSR_E_NS1_11comp_targetILNS1_3genE4ELNS1_11target_archE910ELNS1_3gpuE8ELNS1_3repE0EEENS1_30default_config_static_selectorELNS0_4arch9wavefront6targetE0EEEvT1_.numbered_sgpr, 0
	.set _ZN7rocprim17ROCPRIM_400000_NS6detail17trampoline_kernelINS0_14default_configENS1_27scan_by_key_config_selectorIiiEEZZNS1_16scan_by_key_implILNS1_25lookback_scan_determinismE0ELb0ES3_N6thrust23THRUST_200600_302600_NS10device_ptrIiEESB_SB_iNS9_4plusIvEENS9_8equal_toIvEEiEE10hipError_tPvRmT2_T3_T4_T5_mT6_T7_P12ihipStream_tbENKUlT_T0_E_clISt17integral_constantIbLb0EESV_IbLb1EEEEDaSR_SS_EUlSR_E_NS1_11comp_targetILNS1_3genE4ELNS1_11target_archE910ELNS1_3gpuE8ELNS1_3repE0EEENS1_30default_config_static_selectorELNS0_4arch9wavefront6targetE0EEEvT1_.num_named_barrier, 0
	.set _ZN7rocprim17ROCPRIM_400000_NS6detail17trampoline_kernelINS0_14default_configENS1_27scan_by_key_config_selectorIiiEEZZNS1_16scan_by_key_implILNS1_25lookback_scan_determinismE0ELb0ES3_N6thrust23THRUST_200600_302600_NS10device_ptrIiEESB_SB_iNS9_4plusIvEENS9_8equal_toIvEEiEE10hipError_tPvRmT2_T3_T4_T5_mT6_T7_P12ihipStream_tbENKUlT_T0_E_clISt17integral_constantIbLb0EESV_IbLb1EEEEDaSR_SS_EUlSR_E_NS1_11comp_targetILNS1_3genE4ELNS1_11target_archE910ELNS1_3gpuE8ELNS1_3repE0EEENS1_30default_config_static_selectorELNS0_4arch9wavefront6targetE0EEEvT1_.private_seg_size, 0
	.set _ZN7rocprim17ROCPRIM_400000_NS6detail17trampoline_kernelINS0_14default_configENS1_27scan_by_key_config_selectorIiiEEZZNS1_16scan_by_key_implILNS1_25lookback_scan_determinismE0ELb0ES3_N6thrust23THRUST_200600_302600_NS10device_ptrIiEESB_SB_iNS9_4plusIvEENS9_8equal_toIvEEiEE10hipError_tPvRmT2_T3_T4_T5_mT6_T7_P12ihipStream_tbENKUlT_T0_E_clISt17integral_constantIbLb0EESV_IbLb1EEEEDaSR_SS_EUlSR_E_NS1_11comp_targetILNS1_3genE4ELNS1_11target_archE910ELNS1_3gpuE8ELNS1_3repE0EEENS1_30default_config_static_selectorELNS0_4arch9wavefront6targetE0EEEvT1_.uses_vcc, 0
	.set _ZN7rocprim17ROCPRIM_400000_NS6detail17trampoline_kernelINS0_14default_configENS1_27scan_by_key_config_selectorIiiEEZZNS1_16scan_by_key_implILNS1_25lookback_scan_determinismE0ELb0ES3_N6thrust23THRUST_200600_302600_NS10device_ptrIiEESB_SB_iNS9_4plusIvEENS9_8equal_toIvEEiEE10hipError_tPvRmT2_T3_T4_T5_mT6_T7_P12ihipStream_tbENKUlT_T0_E_clISt17integral_constantIbLb0EESV_IbLb1EEEEDaSR_SS_EUlSR_E_NS1_11comp_targetILNS1_3genE4ELNS1_11target_archE910ELNS1_3gpuE8ELNS1_3repE0EEENS1_30default_config_static_selectorELNS0_4arch9wavefront6targetE0EEEvT1_.uses_flat_scratch, 0
	.set _ZN7rocprim17ROCPRIM_400000_NS6detail17trampoline_kernelINS0_14default_configENS1_27scan_by_key_config_selectorIiiEEZZNS1_16scan_by_key_implILNS1_25lookback_scan_determinismE0ELb0ES3_N6thrust23THRUST_200600_302600_NS10device_ptrIiEESB_SB_iNS9_4plusIvEENS9_8equal_toIvEEiEE10hipError_tPvRmT2_T3_T4_T5_mT6_T7_P12ihipStream_tbENKUlT_T0_E_clISt17integral_constantIbLb0EESV_IbLb1EEEEDaSR_SS_EUlSR_E_NS1_11comp_targetILNS1_3genE4ELNS1_11target_archE910ELNS1_3gpuE8ELNS1_3repE0EEENS1_30default_config_static_selectorELNS0_4arch9wavefront6targetE0EEEvT1_.has_dyn_sized_stack, 0
	.set _ZN7rocprim17ROCPRIM_400000_NS6detail17trampoline_kernelINS0_14default_configENS1_27scan_by_key_config_selectorIiiEEZZNS1_16scan_by_key_implILNS1_25lookback_scan_determinismE0ELb0ES3_N6thrust23THRUST_200600_302600_NS10device_ptrIiEESB_SB_iNS9_4plusIvEENS9_8equal_toIvEEiEE10hipError_tPvRmT2_T3_T4_T5_mT6_T7_P12ihipStream_tbENKUlT_T0_E_clISt17integral_constantIbLb0EESV_IbLb1EEEEDaSR_SS_EUlSR_E_NS1_11comp_targetILNS1_3genE4ELNS1_11target_archE910ELNS1_3gpuE8ELNS1_3repE0EEENS1_30default_config_static_selectorELNS0_4arch9wavefront6targetE0EEEvT1_.has_recursion, 0
	.set _ZN7rocprim17ROCPRIM_400000_NS6detail17trampoline_kernelINS0_14default_configENS1_27scan_by_key_config_selectorIiiEEZZNS1_16scan_by_key_implILNS1_25lookback_scan_determinismE0ELb0ES3_N6thrust23THRUST_200600_302600_NS10device_ptrIiEESB_SB_iNS9_4plusIvEENS9_8equal_toIvEEiEE10hipError_tPvRmT2_T3_T4_T5_mT6_T7_P12ihipStream_tbENKUlT_T0_E_clISt17integral_constantIbLb0EESV_IbLb1EEEEDaSR_SS_EUlSR_E_NS1_11comp_targetILNS1_3genE4ELNS1_11target_archE910ELNS1_3gpuE8ELNS1_3repE0EEENS1_30default_config_static_selectorELNS0_4arch9wavefront6targetE0EEEvT1_.has_indirect_call, 0
	.section	.AMDGPU.csdata,"",@progbits
; Kernel info:
; codeLenInByte = 0
; TotalNumSgprs: 0
; NumVgprs: 0
; ScratchSize: 0
; MemoryBound: 0
; FloatMode: 240
; IeeeMode: 1
; LDSByteSize: 0 bytes/workgroup (compile time only)
; SGPRBlocks: 0
; VGPRBlocks: 0
; NumSGPRsForWavesPerEU: 1
; NumVGPRsForWavesPerEU: 1
; NamedBarCnt: 0
; Occupancy: 16
; WaveLimiterHint : 0
; COMPUTE_PGM_RSRC2:SCRATCH_EN: 0
; COMPUTE_PGM_RSRC2:USER_SGPR: 2
; COMPUTE_PGM_RSRC2:TRAP_HANDLER: 0
; COMPUTE_PGM_RSRC2:TGID_X_EN: 1
; COMPUTE_PGM_RSRC2:TGID_Y_EN: 0
; COMPUTE_PGM_RSRC2:TGID_Z_EN: 0
; COMPUTE_PGM_RSRC2:TIDIG_COMP_CNT: 0
	.section	.text._ZN7rocprim17ROCPRIM_400000_NS6detail17trampoline_kernelINS0_14default_configENS1_27scan_by_key_config_selectorIiiEEZZNS1_16scan_by_key_implILNS1_25lookback_scan_determinismE0ELb0ES3_N6thrust23THRUST_200600_302600_NS10device_ptrIiEESB_SB_iNS9_4plusIvEENS9_8equal_toIvEEiEE10hipError_tPvRmT2_T3_T4_T5_mT6_T7_P12ihipStream_tbENKUlT_T0_E_clISt17integral_constantIbLb0EESV_IbLb1EEEEDaSR_SS_EUlSR_E_NS1_11comp_targetILNS1_3genE3ELNS1_11target_archE908ELNS1_3gpuE7ELNS1_3repE0EEENS1_30default_config_static_selectorELNS0_4arch9wavefront6targetE0EEEvT1_,"axG",@progbits,_ZN7rocprim17ROCPRIM_400000_NS6detail17trampoline_kernelINS0_14default_configENS1_27scan_by_key_config_selectorIiiEEZZNS1_16scan_by_key_implILNS1_25lookback_scan_determinismE0ELb0ES3_N6thrust23THRUST_200600_302600_NS10device_ptrIiEESB_SB_iNS9_4plusIvEENS9_8equal_toIvEEiEE10hipError_tPvRmT2_T3_T4_T5_mT6_T7_P12ihipStream_tbENKUlT_T0_E_clISt17integral_constantIbLb0EESV_IbLb1EEEEDaSR_SS_EUlSR_E_NS1_11comp_targetILNS1_3genE3ELNS1_11target_archE908ELNS1_3gpuE7ELNS1_3repE0EEENS1_30default_config_static_selectorELNS0_4arch9wavefront6targetE0EEEvT1_,comdat
	.protected	_ZN7rocprim17ROCPRIM_400000_NS6detail17trampoline_kernelINS0_14default_configENS1_27scan_by_key_config_selectorIiiEEZZNS1_16scan_by_key_implILNS1_25lookback_scan_determinismE0ELb0ES3_N6thrust23THRUST_200600_302600_NS10device_ptrIiEESB_SB_iNS9_4plusIvEENS9_8equal_toIvEEiEE10hipError_tPvRmT2_T3_T4_T5_mT6_T7_P12ihipStream_tbENKUlT_T0_E_clISt17integral_constantIbLb0EESV_IbLb1EEEEDaSR_SS_EUlSR_E_NS1_11comp_targetILNS1_3genE3ELNS1_11target_archE908ELNS1_3gpuE7ELNS1_3repE0EEENS1_30default_config_static_selectorELNS0_4arch9wavefront6targetE0EEEvT1_ ; -- Begin function _ZN7rocprim17ROCPRIM_400000_NS6detail17trampoline_kernelINS0_14default_configENS1_27scan_by_key_config_selectorIiiEEZZNS1_16scan_by_key_implILNS1_25lookback_scan_determinismE0ELb0ES3_N6thrust23THRUST_200600_302600_NS10device_ptrIiEESB_SB_iNS9_4plusIvEENS9_8equal_toIvEEiEE10hipError_tPvRmT2_T3_T4_T5_mT6_T7_P12ihipStream_tbENKUlT_T0_E_clISt17integral_constantIbLb0EESV_IbLb1EEEEDaSR_SS_EUlSR_E_NS1_11comp_targetILNS1_3genE3ELNS1_11target_archE908ELNS1_3gpuE7ELNS1_3repE0EEENS1_30default_config_static_selectorELNS0_4arch9wavefront6targetE0EEEvT1_
	.globl	_ZN7rocprim17ROCPRIM_400000_NS6detail17trampoline_kernelINS0_14default_configENS1_27scan_by_key_config_selectorIiiEEZZNS1_16scan_by_key_implILNS1_25lookback_scan_determinismE0ELb0ES3_N6thrust23THRUST_200600_302600_NS10device_ptrIiEESB_SB_iNS9_4plusIvEENS9_8equal_toIvEEiEE10hipError_tPvRmT2_T3_T4_T5_mT6_T7_P12ihipStream_tbENKUlT_T0_E_clISt17integral_constantIbLb0EESV_IbLb1EEEEDaSR_SS_EUlSR_E_NS1_11comp_targetILNS1_3genE3ELNS1_11target_archE908ELNS1_3gpuE7ELNS1_3repE0EEENS1_30default_config_static_selectorELNS0_4arch9wavefront6targetE0EEEvT1_
	.p2align	8
	.type	_ZN7rocprim17ROCPRIM_400000_NS6detail17trampoline_kernelINS0_14default_configENS1_27scan_by_key_config_selectorIiiEEZZNS1_16scan_by_key_implILNS1_25lookback_scan_determinismE0ELb0ES3_N6thrust23THRUST_200600_302600_NS10device_ptrIiEESB_SB_iNS9_4plusIvEENS9_8equal_toIvEEiEE10hipError_tPvRmT2_T3_T4_T5_mT6_T7_P12ihipStream_tbENKUlT_T0_E_clISt17integral_constantIbLb0EESV_IbLb1EEEEDaSR_SS_EUlSR_E_NS1_11comp_targetILNS1_3genE3ELNS1_11target_archE908ELNS1_3gpuE7ELNS1_3repE0EEENS1_30default_config_static_selectorELNS0_4arch9wavefront6targetE0EEEvT1_,@function
_ZN7rocprim17ROCPRIM_400000_NS6detail17trampoline_kernelINS0_14default_configENS1_27scan_by_key_config_selectorIiiEEZZNS1_16scan_by_key_implILNS1_25lookback_scan_determinismE0ELb0ES3_N6thrust23THRUST_200600_302600_NS10device_ptrIiEESB_SB_iNS9_4plusIvEENS9_8equal_toIvEEiEE10hipError_tPvRmT2_T3_T4_T5_mT6_T7_P12ihipStream_tbENKUlT_T0_E_clISt17integral_constantIbLb0EESV_IbLb1EEEEDaSR_SS_EUlSR_E_NS1_11comp_targetILNS1_3genE3ELNS1_11target_archE908ELNS1_3gpuE7ELNS1_3repE0EEENS1_30default_config_static_selectorELNS0_4arch9wavefront6targetE0EEEvT1_: ; @_ZN7rocprim17ROCPRIM_400000_NS6detail17trampoline_kernelINS0_14default_configENS1_27scan_by_key_config_selectorIiiEEZZNS1_16scan_by_key_implILNS1_25lookback_scan_determinismE0ELb0ES3_N6thrust23THRUST_200600_302600_NS10device_ptrIiEESB_SB_iNS9_4plusIvEENS9_8equal_toIvEEiEE10hipError_tPvRmT2_T3_T4_T5_mT6_T7_P12ihipStream_tbENKUlT_T0_E_clISt17integral_constantIbLb0EESV_IbLb1EEEEDaSR_SS_EUlSR_E_NS1_11comp_targetILNS1_3genE3ELNS1_11target_archE908ELNS1_3gpuE7ELNS1_3repE0EEENS1_30default_config_static_selectorELNS0_4arch9wavefront6targetE0EEEvT1_
; %bb.0:
	.section	.rodata,"a",@progbits
	.p2align	6, 0x0
	.amdhsa_kernel _ZN7rocprim17ROCPRIM_400000_NS6detail17trampoline_kernelINS0_14default_configENS1_27scan_by_key_config_selectorIiiEEZZNS1_16scan_by_key_implILNS1_25lookback_scan_determinismE0ELb0ES3_N6thrust23THRUST_200600_302600_NS10device_ptrIiEESB_SB_iNS9_4plusIvEENS9_8equal_toIvEEiEE10hipError_tPvRmT2_T3_T4_T5_mT6_T7_P12ihipStream_tbENKUlT_T0_E_clISt17integral_constantIbLb0EESV_IbLb1EEEEDaSR_SS_EUlSR_E_NS1_11comp_targetILNS1_3genE3ELNS1_11target_archE908ELNS1_3gpuE7ELNS1_3repE0EEENS1_30default_config_static_selectorELNS0_4arch9wavefront6targetE0EEEvT1_
		.amdhsa_group_segment_fixed_size 0
		.amdhsa_private_segment_fixed_size 0
		.amdhsa_kernarg_size 112
		.amdhsa_user_sgpr_count 2
		.amdhsa_user_sgpr_dispatch_ptr 0
		.amdhsa_user_sgpr_queue_ptr 0
		.amdhsa_user_sgpr_kernarg_segment_ptr 1
		.amdhsa_user_sgpr_dispatch_id 0
		.amdhsa_user_sgpr_kernarg_preload_length 0
		.amdhsa_user_sgpr_kernarg_preload_offset 0
		.amdhsa_user_sgpr_private_segment_size 0
		.amdhsa_wavefront_size32 1
		.amdhsa_uses_dynamic_stack 0
		.amdhsa_enable_private_segment 0
		.amdhsa_system_sgpr_workgroup_id_x 1
		.amdhsa_system_sgpr_workgroup_id_y 0
		.amdhsa_system_sgpr_workgroup_id_z 0
		.amdhsa_system_sgpr_workgroup_info 0
		.amdhsa_system_vgpr_workitem_id 0
		.amdhsa_next_free_vgpr 1
		.amdhsa_next_free_sgpr 1
		.amdhsa_named_barrier_count 0
		.amdhsa_reserve_vcc 0
		.amdhsa_float_round_mode_32 0
		.amdhsa_float_round_mode_16_64 0
		.amdhsa_float_denorm_mode_32 3
		.amdhsa_float_denorm_mode_16_64 3
		.amdhsa_fp16_overflow 0
		.amdhsa_memory_ordered 1
		.amdhsa_forward_progress 1
		.amdhsa_inst_pref_size 0
		.amdhsa_round_robin_scheduling 0
		.amdhsa_exception_fp_ieee_invalid_op 0
		.amdhsa_exception_fp_denorm_src 0
		.amdhsa_exception_fp_ieee_div_zero 0
		.amdhsa_exception_fp_ieee_overflow 0
		.amdhsa_exception_fp_ieee_underflow 0
		.amdhsa_exception_fp_ieee_inexact 0
		.amdhsa_exception_int_div_zero 0
	.end_amdhsa_kernel
	.section	.text._ZN7rocprim17ROCPRIM_400000_NS6detail17trampoline_kernelINS0_14default_configENS1_27scan_by_key_config_selectorIiiEEZZNS1_16scan_by_key_implILNS1_25lookback_scan_determinismE0ELb0ES3_N6thrust23THRUST_200600_302600_NS10device_ptrIiEESB_SB_iNS9_4plusIvEENS9_8equal_toIvEEiEE10hipError_tPvRmT2_T3_T4_T5_mT6_T7_P12ihipStream_tbENKUlT_T0_E_clISt17integral_constantIbLb0EESV_IbLb1EEEEDaSR_SS_EUlSR_E_NS1_11comp_targetILNS1_3genE3ELNS1_11target_archE908ELNS1_3gpuE7ELNS1_3repE0EEENS1_30default_config_static_selectorELNS0_4arch9wavefront6targetE0EEEvT1_,"axG",@progbits,_ZN7rocprim17ROCPRIM_400000_NS6detail17trampoline_kernelINS0_14default_configENS1_27scan_by_key_config_selectorIiiEEZZNS1_16scan_by_key_implILNS1_25lookback_scan_determinismE0ELb0ES3_N6thrust23THRUST_200600_302600_NS10device_ptrIiEESB_SB_iNS9_4plusIvEENS9_8equal_toIvEEiEE10hipError_tPvRmT2_T3_T4_T5_mT6_T7_P12ihipStream_tbENKUlT_T0_E_clISt17integral_constantIbLb0EESV_IbLb1EEEEDaSR_SS_EUlSR_E_NS1_11comp_targetILNS1_3genE3ELNS1_11target_archE908ELNS1_3gpuE7ELNS1_3repE0EEENS1_30default_config_static_selectorELNS0_4arch9wavefront6targetE0EEEvT1_,comdat
.Lfunc_end2228:
	.size	_ZN7rocprim17ROCPRIM_400000_NS6detail17trampoline_kernelINS0_14default_configENS1_27scan_by_key_config_selectorIiiEEZZNS1_16scan_by_key_implILNS1_25lookback_scan_determinismE0ELb0ES3_N6thrust23THRUST_200600_302600_NS10device_ptrIiEESB_SB_iNS9_4plusIvEENS9_8equal_toIvEEiEE10hipError_tPvRmT2_T3_T4_T5_mT6_T7_P12ihipStream_tbENKUlT_T0_E_clISt17integral_constantIbLb0EESV_IbLb1EEEEDaSR_SS_EUlSR_E_NS1_11comp_targetILNS1_3genE3ELNS1_11target_archE908ELNS1_3gpuE7ELNS1_3repE0EEENS1_30default_config_static_selectorELNS0_4arch9wavefront6targetE0EEEvT1_, .Lfunc_end2228-_ZN7rocprim17ROCPRIM_400000_NS6detail17trampoline_kernelINS0_14default_configENS1_27scan_by_key_config_selectorIiiEEZZNS1_16scan_by_key_implILNS1_25lookback_scan_determinismE0ELb0ES3_N6thrust23THRUST_200600_302600_NS10device_ptrIiEESB_SB_iNS9_4plusIvEENS9_8equal_toIvEEiEE10hipError_tPvRmT2_T3_T4_T5_mT6_T7_P12ihipStream_tbENKUlT_T0_E_clISt17integral_constantIbLb0EESV_IbLb1EEEEDaSR_SS_EUlSR_E_NS1_11comp_targetILNS1_3genE3ELNS1_11target_archE908ELNS1_3gpuE7ELNS1_3repE0EEENS1_30default_config_static_selectorELNS0_4arch9wavefront6targetE0EEEvT1_
                                        ; -- End function
	.set _ZN7rocprim17ROCPRIM_400000_NS6detail17trampoline_kernelINS0_14default_configENS1_27scan_by_key_config_selectorIiiEEZZNS1_16scan_by_key_implILNS1_25lookback_scan_determinismE0ELb0ES3_N6thrust23THRUST_200600_302600_NS10device_ptrIiEESB_SB_iNS9_4plusIvEENS9_8equal_toIvEEiEE10hipError_tPvRmT2_T3_T4_T5_mT6_T7_P12ihipStream_tbENKUlT_T0_E_clISt17integral_constantIbLb0EESV_IbLb1EEEEDaSR_SS_EUlSR_E_NS1_11comp_targetILNS1_3genE3ELNS1_11target_archE908ELNS1_3gpuE7ELNS1_3repE0EEENS1_30default_config_static_selectorELNS0_4arch9wavefront6targetE0EEEvT1_.num_vgpr, 0
	.set _ZN7rocprim17ROCPRIM_400000_NS6detail17trampoline_kernelINS0_14default_configENS1_27scan_by_key_config_selectorIiiEEZZNS1_16scan_by_key_implILNS1_25lookback_scan_determinismE0ELb0ES3_N6thrust23THRUST_200600_302600_NS10device_ptrIiEESB_SB_iNS9_4plusIvEENS9_8equal_toIvEEiEE10hipError_tPvRmT2_T3_T4_T5_mT6_T7_P12ihipStream_tbENKUlT_T0_E_clISt17integral_constantIbLb0EESV_IbLb1EEEEDaSR_SS_EUlSR_E_NS1_11comp_targetILNS1_3genE3ELNS1_11target_archE908ELNS1_3gpuE7ELNS1_3repE0EEENS1_30default_config_static_selectorELNS0_4arch9wavefront6targetE0EEEvT1_.num_agpr, 0
	.set _ZN7rocprim17ROCPRIM_400000_NS6detail17trampoline_kernelINS0_14default_configENS1_27scan_by_key_config_selectorIiiEEZZNS1_16scan_by_key_implILNS1_25lookback_scan_determinismE0ELb0ES3_N6thrust23THRUST_200600_302600_NS10device_ptrIiEESB_SB_iNS9_4plusIvEENS9_8equal_toIvEEiEE10hipError_tPvRmT2_T3_T4_T5_mT6_T7_P12ihipStream_tbENKUlT_T0_E_clISt17integral_constantIbLb0EESV_IbLb1EEEEDaSR_SS_EUlSR_E_NS1_11comp_targetILNS1_3genE3ELNS1_11target_archE908ELNS1_3gpuE7ELNS1_3repE0EEENS1_30default_config_static_selectorELNS0_4arch9wavefront6targetE0EEEvT1_.numbered_sgpr, 0
	.set _ZN7rocprim17ROCPRIM_400000_NS6detail17trampoline_kernelINS0_14default_configENS1_27scan_by_key_config_selectorIiiEEZZNS1_16scan_by_key_implILNS1_25lookback_scan_determinismE0ELb0ES3_N6thrust23THRUST_200600_302600_NS10device_ptrIiEESB_SB_iNS9_4plusIvEENS9_8equal_toIvEEiEE10hipError_tPvRmT2_T3_T4_T5_mT6_T7_P12ihipStream_tbENKUlT_T0_E_clISt17integral_constantIbLb0EESV_IbLb1EEEEDaSR_SS_EUlSR_E_NS1_11comp_targetILNS1_3genE3ELNS1_11target_archE908ELNS1_3gpuE7ELNS1_3repE0EEENS1_30default_config_static_selectorELNS0_4arch9wavefront6targetE0EEEvT1_.num_named_barrier, 0
	.set _ZN7rocprim17ROCPRIM_400000_NS6detail17trampoline_kernelINS0_14default_configENS1_27scan_by_key_config_selectorIiiEEZZNS1_16scan_by_key_implILNS1_25lookback_scan_determinismE0ELb0ES3_N6thrust23THRUST_200600_302600_NS10device_ptrIiEESB_SB_iNS9_4plusIvEENS9_8equal_toIvEEiEE10hipError_tPvRmT2_T3_T4_T5_mT6_T7_P12ihipStream_tbENKUlT_T0_E_clISt17integral_constantIbLb0EESV_IbLb1EEEEDaSR_SS_EUlSR_E_NS1_11comp_targetILNS1_3genE3ELNS1_11target_archE908ELNS1_3gpuE7ELNS1_3repE0EEENS1_30default_config_static_selectorELNS0_4arch9wavefront6targetE0EEEvT1_.private_seg_size, 0
	.set _ZN7rocprim17ROCPRIM_400000_NS6detail17trampoline_kernelINS0_14default_configENS1_27scan_by_key_config_selectorIiiEEZZNS1_16scan_by_key_implILNS1_25lookback_scan_determinismE0ELb0ES3_N6thrust23THRUST_200600_302600_NS10device_ptrIiEESB_SB_iNS9_4plusIvEENS9_8equal_toIvEEiEE10hipError_tPvRmT2_T3_T4_T5_mT6_T7_P12ihipStream_tbENKUlT_T0_E_clISt17integral_constantIbLb0EESV_IbLb1EEEEDaSR_SS_EUlSR_E_NS1_11comp_targetILNS1_3genE3ELNS1_11target_archE908ELNS1_3gpuE7ELNS1_3repE0EEENS1_30default_config_static_selectorELNS0_4arch9wavefront6targetE0EEEvT1_.uses_vcc, 0
	.set _ZN7rocprim17ROCPRIM_400000_NS6detail17trampoline_kernelINS0_14default_configENS1_27scan_by_key_config_selectorIiiEEZZNS1_16scan_by_key_implILNS1_25lookback_scan_determinismE0ELb0ES3_N6thrust23THRUST_200600_302600_NS10device_ptrIiEESB_SB_iNS9_4plusIvEENS9_8equal_toIvEEiEE10hipError_tPvRmT2_T3_T4_T5_mT6_T7_P12ihipStream_tbENKUlT_T0_E_clISt17integral_constantIbLb0EESV_IbLb1EEEEDaSR_SS_EUlSR_E_NS1_11comp_targetILNS1_3genE3ELNS1_11target_archE908ELNS1_3gpuE7ELNS1_3repE0EEENS1_30default_config_static_selectorELNS0_4arch9wavefront6targetE0EEEvT1_.uses_flat_scratch, 0
	.set _ZN7rocprim17ROCPRIM_400000_NS6detail17trampoline_kernelINS0_14default_configENS1_27scan_by_key_config_selectorIiiEEZZNS1_16scan_by_key_implILNS1_25lookback_scan_determinismE0ELb0ES3_N6thrust23THRUST_200600_302600_NS10device_ptrIiEESB_SB_iNS9_4plusIvEENS9_8equal_toIvEEiEE10hipError_tPvRmT2_T3_T4_T5_mT6_T7_P12ihipStream_tbENKUlT_T0_E_clISt17integral_constantIbLb0EESV_IbLb1EEEEDaSR_SS_EUlSR_E_NS1_11comp_targetILNS1_3genE3ELNS1_11target_archE908ELNS1_3gpuE7ELNS1_3repE0EEENS1_30default_config_static_selectorELNS0_4arch9wavefront6targetE0EEEvT1_.has_dyn_sized_stack, 0
	.set _ZN7rocprim17ROCPRIM_400000_NS6detail17trampoline_kernelINS0_14default_configENS1_27scan_by_key_config_selectorIiiEEZZNS1_16scan_by_key_implILNS1_25lookback_scan_determinismE0ELb0ES3_N6thrust23THRUST_200600_302600_NS10device_ptrIiEESB_SB_iNS9_4plusIvEENS9_8equal_toIvEEiEE10hipError_tPvRmT2_T3_T4_T5_mT6_T7_P12ihipStream_tbENKUlT_T0_E_clISt17integral_constantIbLb0EESV_IbLb1EEEEDaSR_SS_EUlSR_E_NS1_11comp_targetILNS1_3genE3ELNS1_11target_archE908ELNS1_3gpuE7ELNS1_3repE0EEENS1_30default_config_static_selectorELNS0_4arch9wavefront6targetE0EEEvT1_.has_recursion, 0
	.set _ZN7rocprim17ROCPRIM_400000_NS6detail17trampoline_kernelINS0_14default_configENS1_27scan_by_key_config_selectorIiiEEZZNS1_16scan_by_key_implILNS1_25lookback_scan_determinismE0ELb0ES3_N6thrust23THRUST_200600_302600_NS10device_ptrIiEESB_SB_iNS9_4plusIvEENS9_8equal_toIvEEiEE10hipError_tPvRmT2_T3_T4_T5_mT6_T7_P12ihipStream_tbENKUlT_T0_E_clISt17integral_constantIbLb0EESV_IbLb1EEEEDaSR_SS_EUlSR_E_NS1_11comp_targetILNS1_3genE3ELNS1_11target_archE908ELNS1_3gpuE7ELNS1_3repE0EEENS1_30default_config_static_selectorELNS0_4arch9wavefront6targetE0EEEvT1_.has_indirect_call, 0
	.section	.AMDGPU.csdata,"",@progbits
; Kernel info:
; codeLenInByte = 0
; TotalNumSgprs: 0
; NumVgprs: 0
; ScratchSize: 0
; MemoryBound: 0
; FloatMode: 240
; IeeeMode: 1
; LDSByteSize: 0 bytes/workgroup (compile time only)
; SGPRBlocks: 0
; VGPRBlocks: 0
; NumSGPRsForWavesPerEU: 1
; NumVGPRsForWavesPerEU: 1
; NamedBarCnt: 0
; Occupancy: 16
; WaveLimiterHint : 0
; COMPUTE_PGM_RSRC2:SCRATCH_EN: 0
; COMPUTE_PGM_RSRC2:USER_SGPR: 2
; COMPUTE_PGM_RSRC2:TRAP_HANDLER: 0
; COMPUTE_PGM_RSRC2:TGID_X_EN: 1
; COMPUTE_PGM_RSRC2:TGID_Y_EN: 0
; COMPUTE_PGM_RSRC2:TGID_Z_EN: 0
; COMPUTE_PGM_RSRC2:TIDIG_COMP_CNT: 0
	.section	.text._ZN7rocprim17ROCPRIM_400000_NS6detail17trampoline_kernelINS0_14default_configENS1_27scan_by_key_config_selectorIiiEEZZNS1_16scan_by_key_implILNS1_25lookback_scan_determinismE0ELb0ES3_N6thrust23THRUST_200600_302600_NS10device_ptrIiEESB_SB_iNS9_4plusIvEENS9_8equal_toIvEEiEE10hipError_tPvRmT2_T3_T4_T5_mT6_T7_P12ihipStream_tbENKUlT_T0_E_clISt17integral_constantIbLb0EESV_IbLb1EEEEDaSR_SS_EUlSR_E_NS1_11comp_targetILNS1_3genE2ELNS1_11target_archE906ELNS1_3gpuE6ELNS1_3repE0EEENS1_30default_config_static_selectorELNS0_4arch9wavefront6targetE0EEEvT1_,"axG",@progbits,_ZN7rocprim17ROCPRIM_400000_NS6detail17trampoline_kernelINS0_14default_configENS1_27scan_by_key_config_selectorIiiEEZZNS1_16scan_by_key_implILNS1_25lookback_scan_determinismE0ELb0ES3_N6thrust23THRUST_200600_302600_NS10device_ptrIiEESB_SB_iNS9_4plusIvEENS9_8equal_toIvEEiEE10hipError_tPvRmT2_T3_T4_T5_mT6_T7_P12ihipStream_tbENKUlT_T0_E_clISt17integral_constantIbLb0EESV_IbLb1EEEEDaSR_SS_EUlSR_E_NS1_11comp_targetILNS1_3genE2ELNS1_11target_archE906ELNS1_3gpuE6ELNS1_3repE0EEENS1_30default_config_static_selectorELNS0_4arch9wavefront6targetE0EEEvT1_,comdat
	.protected	_ZN7rocprim17ROCPRIM_400000_NS6detail17trampoline_kernelINS0_14default_configENS1_27scan_by_key_config_selectorIiiEEZZNS1_16scan_by_key_implILNS1_25lookback_scan_determinismE0ELb0ES3_N6thrust23THRUST_200600_302600_NS10device_ptrIiEESB_SB_iNS9_4plusIvEENS9_8equal_toIvEEiEE10hipError_tPvRmT2_T3_T4_T5_mT6_T7_P12ihipStream_tbENKUlT_T0_E_clISt17integral_constantIbLb0EESV_IbLb1EEEEDaSR_SS_EUlSR_E_NS1_11comp_targetILNS1_3genE2ELNS1_11target_archE906ELNS1_3gpuE6ELNS1_3repE0EEENS1_30default_config_static_selectorELNS0_4arch9wavefront6targetE0EEEvT1_ ; -- Begin function _ZN7rocprim17ROCPRIM_400000_NS6detail17trampoline_kernelINS0_14default_configENS1_27scan_by_key_config_selectorIiiEEZZNS1_16scan_by_key_implILNS1_25lookback_scan_determinismE0ELb0ES3_N6thrust23THRUST_200600_302600_NS10device_ptrIiEESB_SB_iNS9_4plusIvEENS9_8equal_toIvEEiEE10hipError_tPvRmT2_T3_T4_T5_mT6_T7_P12ihipStream_tbENKUlT_T0_E_clISt17integral_constantIbLb0EESV_IbLb1EEEEDaSR_SS_EUlSR_E_NS1_11comp_targetILNS1_3genE2ELNS1_11target_archE906ELNS1_3gpuE6ELNS1_3repE0EEENS1_30default_config_static_selectorELNS0_4arch9wavefront6targetE0EEEvT1_
	.globl	_ZN7rocprim17ROCPRIM_400000_NS6detail17trampoline_kernelINS0_14default_configENS1_27scan_by_key_config_selectorIiiEEZZNS1_16scan_by_key_implILNS1_25lookback_scan_determinismE0ELb0ES3_N6thrust23THRUST_200600_302600_NS10device_ptrIiEESB_SB_iNS9_4plusIvEENS9_8equal_toIvEEiEE10hipError_tPvRmT2_T3_T4_T5_mT6_T7_P12ihipStream_tbENKUlT_T0_E_clISt17integral_constantIbLb0EESV_IbLb1EEEEDaSR_SS_EUlSR_E_NS1_11comp_targetILNS1_3genE2ELNS1_11target_archE906ELNS1_3gpuE6ELNS1_3repE0EEENS1_30default_config_static_selectorELNS0_4arch9wavefront6targetE0EEEvT1_
	.p2align	8
	.type	_ZN7rocprim17ROCPRIM_400000_NS6detail17trampoline_kernelINS0_14default_configENS1_27scan_by_key_config_selectorIiiEEZZNS1_16scan_by_key_implILNS1_25lookback_scan_determinismE0ELb0ES3_N6thrust23THRUST_200600_302600_NS10device_ptrIiEESB_SB_iNS9_4plusIvEENS9_8equal_toIvEEiEE10hipError_tPvRmT2_T3_T4_T5_mT6_T7_P12ihipStream_tbENKUlT_T0_E_clISt17integral_constantIbLb0EESV_IbLb1EEEEDaSR_SS_EUlSR_E_NS1_11comp_targetILNS1_3genE2ELNS1_11target_archE906ELNS1_3gpuE6ELNS1_3repE0EEENS1_30default_config_static_selectorELNS0_4arch9wavefront6targetE0EEEvT1_,@function
_ZN7rocprim17ROCPRIM_400000_NS6detail17trampoline_kernelINS0_14default_configENS1_27scan_by_key_config_selectorIiiEEZZNS1_16scan_by_key_implILNS1_25lookback_scan_determinismE0ELb0ES3_N6thrust23THRUST_200600_302600_NS10device_ptrIiEESB_SB_iNS9_4plusIvEENS9_8equal_toIvEEiEE10hipError_tPvRmT2_T3_T4_T5_mT6_T7_P12ihipStream_tbENKUlT_T0_E_clISt17integral_constantIbLb0EESV_IbLb1EEEEDaSR_SS_EUlSR_E_NS1_11comp_targetILNS1_3genE2ELNS1_11target_archE906ELNS1_3gpuE6ELNS1_3repE0EEENS1_30default_config_static_selectorELNS0_4arch9wavefront6targetE0EEEvT1_: ; @_ZN7rocprim17ROCPRIM_400000_NS6detail17trampoline_kernelINS0_14default_configENS1_27scan_by_key_config_selectorIiiEEZZNS1_16scan_by_key_implILNS1_25lookback_scan_determinismE0ELb0ES3_N6thrust23THRUST_200600_302600_NS10device_ptrIiEESB_SB_iNS9_4plusIvEENS9_8equal_toIvEEiEE10hipError_tPvRmT2_T3_T4_T5_mT6_T7_P12ihipStream_tbENKUlT_T0_E_clISt17integral_constantIbLb0EESV_IbLb1EEEEDaSR_SS_EUlSR_E_NS1_11comp_targetILNS1_3genE2ELNS1_11target_archE906ELNS1_3gpuE6ELNS1_3repE0EEENS1_30default_config_static_selectorELNS0_4arch9wavefront6targetE0EEEvT1_
; %bb.0:
	.section	.rodata,"a",@progbits
	.p2align	6, 0x0
	.amdhsa_kernel _ZN7rocprim17ROCPRIM_400000_NS6detail17trampoline_kernelINS0_14default_configENS1_27scan_by_key_config_selectorIiiEEZZNS1_16scan_by_key_implILNS1_25lookback_scan_determinismE0ELb0ES3_N6thrust23THRUST_200600_302600_NS10device_ptrIiEESB_SB_iNS9_4plusIvEENS9_8equal_toIvEEiEE10hipError_tPvRmT2_T3_T4_T5_mT6_T7_P12ihipStream_tbENKUlT_T0_E_clISt17integral_constantIbLb0EESV_IbLb1EEEEDaSR_SS_EUlSR_E_NS1_11comp_targetILNS1_3genE2ELNS1_11target_archE906ELNS1_3gpuE6ELNS1_3repE0EEENS1_30default_config_static_selectorELNS0_4arch9wavefront6targetE0EEEvT1_
		.amdhsa_group_segment_fixed_size 0
		.amdhsa_private_segment_fixed_size 0
		.amdhsa_kernarg_size 112
		.amdhsa_user_sgpr_count 2
		.amdhsa_user_sgpr_dispatch_ptr 0
		.amdhsa_user_sgpr_queue_ptr 0
		.amdhsa_user_sgpr_kernarg_segment_ptr 1
		.amdhsa_user_sgpr_dispatch_id 0
		.amdhsa_user_sgpr_kernarg_preload_length 0
		.amdhsa_user_sgpr_kernarg_preload_offset 0
		.amdhsa_user_sgpr_private_segment_size 0
		.amdhsa_wavefront_size32 1
		.amdhsa_uses_dynamic_stack 0
		.amdhsa_enable_private_segment 0
		.amdhsa_system_sgpr_workgroup_id_x 1
		.amdhsa_system_sgpr_workgroup_id_y 0
		.amdhsa_system_sgpr_workgroup_id_z 0
		.amdhsa_system_sgpr_workgroup_info 0
		.amdhsa_system_vgpr_workitem_id 0
		.amdhsa_next_free_vgpr 1
		.amdhsa_next_free_sgpr 1
		.amdhsa_named_barrier_count 0
		.amdhsa_reserve_vcc 0
		.amdhsa_float_round_mode_32 0
		.amdhsa_float_round_mode_16_64 0
		.amdhsa_float_denorm_mode_32 3
		.amdhsa_float_denorm_mode_16_64 3
		.amdhsa_fp16_overflow 0
		.amdhsa_memory_ordered 1
		.amdhsa_forward_progress 1
		.amdhsa_inst_pref_size 0
		.amdhsa_round_robin_scheduling 0
		.amdhsa_exception_fp_ieee_invalid_op 0
		.amdhsa_exception_fp_denorm_src 0
		.amdhsa_exception_fp_ieee_div_zero 0
		.amdhsa_exception_fp_ieee_overflow 0
		.amdhsa_exception_fp_ieee_underflow 0
		.amdhsa_exception_fp_ieee_inexact 0
		.amdhsa_exception_int_div_zero 0
	.end_amdhsa_kernel
	.section	.text._ZN7rocprim17ROCPRIM_400000_NS6detail17trampoline_kernelINS0_14default_configENS1_27scan_by_key_config_selectorIiiEEZZNS1_16scan_by_key_implILNS1_25lookback_scan_determinismE0ELb0ES3_N6thrust23THRUST_200600_302600_NS10device_ptrIiEESB_SB_iNS9_4plusIvEENS9_8equal_toIvEEiEE10hipError_tPvRmT2_T3_T4_T5_mT6_T7_P12ihipStream_tbENKUlT_T0_E_clISt17integral_constantIbLb0EESV_IbLb1EEEEDaSR_SS_EUlSR_E_NS1_11comp_targetILNS1_3genE2ELNS1_11target_archE906ELNS1_3gpuE6ELNS1_3repE0EEENS1_30default_config_static_selectorELNS0_4arch9wavefront6targetE0EEEvT1_,"axG",@progbits,_ZN7rocprim17ROCPRIM_400000_NS6detail17trampoline_kernelINS0_14default_configENS1_27scan_by_key_config_selectorIiiEEZZNS1_16scan_by_key_implILNS1_25lookback_scan_determinismE0ELb0ES3_N6thrust23THRUST_200600_302600_NS10device_ptrIiEESB_SB_iNS9_4plusIvEENS9_8equal_toIvEEiEE10hipError_tPvRmT2_T3_T4_T5_mT6_T7_P12ihipStream_tbENKUlT_T0_E_clISt17integral_constantIbLb0EESV_IbLb1EEEEDaSR_SS_EUlSR_E_NS1_11comp_targetILNS1_3genE2ELNS1_11target_archE906ELNS1_3gpuE6ELNS1_3repE0EEENS1_30default_config_static_selectorELNS0_4arch9wavefront6targetE0EEEvT1_,comdat
.Lfunc_end2229:
	.size	_ZN7rocprim17ROCPRIM_400000_NS6detail17trampoline_kernelINS0_14default_configENS1_27scan_by_key_config_selectorIiiEEZZNS1_16scan_by_key_implILNS1_25lookback_scan_determinismE0ELb0ES3_N6thrust23THRUST_200600_302600_NS10device_ptrIiEESB_SB_iNS9_4plusIvEENS9_8equal_toIvEEiEE10hipError_tPvRmT2_T3_T4_T5_mT6_T7_P12ihipStream_tbENKUlT_T0_E_clISt17integral_constantIbLb0EESV_IbLb1EEEEDaSR_SS_EUlSR_E_NS1_11comp_targetILNS1_3genE2ELNS1_11target_archE906ELNS1_3gpuE6ELNS1_3repE0EEENS1_30default_config_static_selectorELNS0_4arch9wavefront6targetE0EEEvT1_, .Lfunc_end2229-_ZN7rocprim17ROCPRIM_400000_NS6detail17trampoline_kernelINS0_14default_configENS1_27scan_by_key_config_selectorIiiEEZZNS1_16scan_by_key_implILNS1_25lookback_scan_determinismE0ELb0ES3_N6thrust23THRUST_200600_302600_NS10device_ptrIiEESB_SB_iNS9_4plusIvEENS9_8equal_toIvEEiEE10hipError_tPvRmT2_T3_T4_T5_mT6_T7_P12ihipStream_tbENKUlT_T0_E_clISt17integral_constantIbLb0EESV_IbLb1EEEEDaSR_SS_EUlSR_E_NS1_11comp_targetILNS1_3genE2ELNS1_11target_archE906ELNS1_3gpuE6ELNS1_3repE0EEENS1_30default_config_static_selectorELNS0_4arch9wavefront6targetE0EEEvT1_
                                        ; -- End function
	.set _ZN7rocprim17ROCPRIM_400000_NS6detail17trampoline_kernelINS0_14default_configENS1_27scan_by_key_config_selectorIiiEEZZNS1_16scan_by_key_implILNS1_25lookback_scan_determinismE0ELb0ES3_N6thrust23THRUST_200600_302600_NS10device_ptrIiEESB_SB_iNS9_4plusIvEENS9_8equal_toIvEEiEE10hipError_tPvRmT2_T3_T4_T5_mT6_T7_P12ihipStream_tbENKUlT_T0_E_clISt17integral_constantIbLb0EESV_IbLb1EEEEDaSR_SS_EUlSR_E_NS1_11comp_targetILNS1_3genE2ELNS1_11target_archE906ELNS1_3gpuE6ELNS1_3repE0EEENS1_30default_config_static_selectorELNS0_4arch9wavefront6targetE0EEEvT1_.num_vgpr, 0
	.set _ZN7rocprim17ROCPRIM_400000_NS6detail17trampoline_kernelINS0_14default_configENS1_27scan_by_key_config_selectorIiiEEZZNS1_16scan_by_key_implILNS1_25lookback_scan_determinismE0ELb0ES3_N6thrust23THRUST_200600_302600_NS10device_ptrIiEESB_SB_iNS9_4plusIvEENS9_8equal_toIvEEiEE10hipError_tPvRmT2_T3_T4_T5_mT6_T7_P12ihipStream_tbENKUlT_T0_E_clISt17integral_constantIbLb0EESV_IbLb1EEEEDaSR_SS_EUlSR_E_NS1_11comp_targetILNS1_3genE2ELNS1_11target_archE906ELNS1_3gpuE6ELNS1_3repE0EEENS1_30default_config_static_selectorELNS0_4arch9wavefront6targetE0EEEvT1_.num_agpr, 0
	.set _ZN7rocprim17ROCPRIM_400000_NS6detail17trampoline_kernelINS0_14default_configENS1_27scan_by_key_config_selectorIiiEEZZNS1_16scan_by_key_implILNS1_25lookback_scan_determinismE0ELb0ES3_N6thrust23THRUST_200600_302600_NS10device_ptrIiEESB_SB_iNS9_4plusIvEENS9_8equal_toIvEEiEE10hipError_tPvRmT2_T3_T4_T5_mT6_T7_P12ihipStream_tbENKUlT_T0_E_clISt17integral_constantIbLb0EESV_IbLb1EEEEDaSR_SS_EUlSR_E_NS1_11comp_targetILNS1_3genE2ELNS1_11target_archE906ELNS1_3gpuE6ELNS1_3repE0EEENS1_30default_config_static_selectorELNS0_4arch9wavefront6targetE0EEEvT1_.numbered_sgpr, 0
	.set _ZN7rocprim17ROCPRIM_400000_NS6detail17trampoline_kernelINS0_14default_configENS1_27scan_by_key_config_selectorIiiEEZZNS1_16scan_by_key_implILNS1_25lookback_scan_determinismE0ELb0ES3_N6thrust23THRUST_200600_302600_NS10device_ptrIiEESB_SB_iNS9_4plusIvEENS9_8equal_toIvEEiEE10hipError_tPvRmT2_T3_T4_T5_mT6_T7_P12ihipStream_tbENKUlT_T0_E_clISt17integral_constantIbLb0EESV_IbLb1EEEEDaSR_SS_EUlSR_E_NS1_11comp_targetILNS1_3genE2ELNS1_11target_archE906ELNS1_3gpuE6ELNS1_3repE0EEENS1_30default_config_static_selectorELNS0_4arch9wavefront6targetE0EEEvT1_.num_named_barrier, 0
	.set _ZN7rocprim17ROCPRIM_400000_NS6detail17trampoline_kernelINS0_14default_configENS1_27scan_by_key_config_selectorIiiEEZZNS1_16scan_by_key_implILNS1_25lookback_scan_determinismE0ELb0ES3_N6thrust23THRUST_200600_302600_NS10device_ptrIiEESB_SB_iNS9_4plusIvEENS9_8equal_toIvEEiEE10hipError_tPvRmT2_T3_T4_T5_mT6_T7_P12ihipStream_tbENKUlT_T0_E_clISt17integral_constantIbLb0EESV_IbLb1EEEEDaSR_SS_EUlSR_E_NS1_11comp_targetILNS1_3genE2ELNS1_11target_archE906ELNS1_3gpuE6ELNS1_3repE0EEENS1_30default_config_static_selectorELNS0_4arch9wavefront6targetE0EEEvT1_.private_seg_size, 0
	.set _ZN7rocprim17ROCPRIM_400000_NS6detail17trampoline_kernelINS0_14default_configENS1_27scan_by_key_config_selectorIiiEEZZNS1_16scan_by_key_implILNS1_25lookback_scan_determinismE0ELb0ES3_N6thrust23THRUST_200600_302600_NS10device_ptrIiEESB_SB_iNS9_4plusIvEENS9_8equal_toIvEEiEE10hipError_tPvRmT2_T3_T4_T5_mT6_T7_P12ihipStream_tbENKUlT_T0_E_clISt17integral_constantIbLb0EESV_IbLb1EEEEDaSR_SS_EUlSR_E_NS1_11comp_targetILNS1_3genE2ELNS1_11target_archE906ELNS1_3gpuE6ELNS1_3repE0EEENS1_30default_config_static_selectorELNS0_4arch9wavefront6targetE0EEEvT1_.uses_vcc, 0
	.set _ZN7rocprim17ROCPRIM_400000_NS6detail17trampoline_kernelINS0_14default_configENS1_27scan_by_key_config_selectorIiiEEZZNS1_16scan_by_key_implILNS1_25lookback_scan_determinismE0ELb0ES3_N6thrust23THRUST_200600_302600_NS10device_ptrIiEESB_SB_iNS9_4plusIvEENS9_8equal_toIvEEiEE10hipError_tPvRmT2_T3_T4_T5_mT6_T7_P12ihipStream_tbENKUlT_T0_E_clISt17integral_constantIbLb0EESV_IbLb1EEEEDaSR_SS_EUlSR_E_NS1_11comp_targetILNS1_3genE2ELNS1_11target_archE906ELNS1_3gpuE6ELNS1_3repE0EEENS1_30default_config_static_selectorELNS0_4arch9wavefront6targetE0EEEvT1_.uses_flat_scratch, 0
	.set _ZN7rocprim17ROCPRIM_400000_NS6detail17trampoline_kernelINS0_14default_configENS1_27scan_by_key_config_selectorIiiEEZZNS1_16scan_by_key_implILNS1_25lookback_scan_determinismE0ELb0ES3_N6thrust23THRUST_200600_302600_NS10device_ptrIiEESB_SB_iNS9_4plusIvEENS9_8equal_toIvEEiEE10hipError_tPvRmT2_T3_T4_T5_mT6_T7_P12ihipStream_tbENKUlT_T0_E_clISt17integral_constantIbLb0EESV_IbLb1EEEEDaSR_SS_EUlSR_E_NS1_11comp_targetILNS1_3genE2ELNS1_11target_archE906ELNS1_3gpuE6ELNS1_3repE0EEENS1_30default_config_static_selectorELNS0_4arch9wavefront6targetE0EEEvT1_.has_dyn_sized_stack, 0
	.set _ZN7rocprim17ROCPRIM_400000_NS6detail17trampoline_kernelINS0_14default_configENS1_27scan_by_key_config_selectorIiiEEZZNS1_16scan_by_key_implILNS1_25lookback_scan_determinismE0ELb0ES3_N6thrust23THRUST_200600_302600_NS10device_ptrIiEESB_SB_iNS9_4plusIvEENS9_8equal_toIvEEiEE10hipError_tPvRmT2_T3_T4_T5_mT6_T7_P12ihipStream_tbENKUlT_T0_E_clISt17integral_constantIbLb0EESV_IbLb1EEEEDaSR_SS_EUlSR_E_NS1_11comp_targetILNS1_3genE2ELNS1_11target_archE906ELNS1_3gpuE6ELNS1_3repE0EEENS1_30default_config_static_selectorELNS0_4arch9wavefront6targetE0EEEvT1_.has_recursion, 0
	.set _ZN7rocprim17ROCPRIM_400000_NS6detail17trampoline_kernelINS0_14default_configENS1_27scan_by_key_config_selectorIiiEEZZNS1_16scan_by_key_implILNS1_25lookback_scan_determinismE0ELb0ES3_N6thrust23THRUST_200600_302600_NS10device_ptrIiEESB_SB_iNS9_4plusIvEENS9_8equal_toIvEEiEE10hipError_tPvRmT2_T3_T4_T5_mT6_T7_P12ihipStream_tbENKUlT_T0_E_clISt17integral_constantIbLb0EESV_IbLb1EEEEDaSR_SS_EUlSR_E_NS1_11comp_targetILNS1_3genE2ELNS1_11target_archE906ELNS1_3gpuE6ELNS1_3repE0EEENS1_30default_config_static_selectorELNS0_4arch9wavefront6targetE0EEEvT1_.has_indirect_call, 0
	.section	.AMDGPU.csdata,"",@progbits
; Kernel info:
; codeLenInByte = 0
; TotalNumSgprs: 0
; NumVgprs: 0
; ScratchSize: 0
; MemoryBound: 0
; FloatMode: 240
; IeeeMode: 1
; LDSByteSize: 0 bytes/workgroup (compile time only)
; SGPRBlocks: 0
; VGPRBlocks: 0
; NumSGPRsForWavesPerEU: 1
; NumVGPRsForWavesPerEU: 1
; NamedBarCnt: 0
; Occupancy: 16
; WaveLimiterHint : 0
; COMPUTE_PGM_RSRC2:SCRATCH_EN: 0
; COMPUTE_PGM_RSRC2:USER_SGPR: 2
; COMPUTE_PGM_RSRC2:TRAP_HANDLER: 0
; COMPUTE_PGM_RSRC2:TGID_X_EN: 1
; COMPUTE_PGM_RSRC2:TGID_Y_EN: 0
; COMPUTE_PGM_RSRC2:TGID_Z_EN: 0
; COMPUTE_PGM_RSRC2:TIDIG_COMP_CNT: 0
	.section	.text._ZN7rocprim17ROCPRIM_400000_NS6detail17trampoline_kernelINS0_14default_configENS1_27scan_by_key_config_selectorIiiEEZZNS1_16scan_by_key_implILNS1_25lookback_scan_determinismE0ELb0ES3_N6thrust23THRUST_200600_302600_NS10device_ptrIiEESB_SB_iNS9_4plusIvEENS9_8equal_toIvEEiEE10hipError_tPvRmT2_T3_T4_T5_mT6_T7_P12ihipStream_tbENKUlT_T0_E_clISt17integral_constantIbLb0EESV_IbLb1EEEEDaSR_SS_EUlSR_E_NS1_11comp_targetILNS1_3genE10ELNS1_11target_archE1200ELNS1_3gpuE4ELNS1_3repE0EEENS1_30default_config_static_selectorELNS0_4arch9wavefront6targetE0EEEvT1_,"axG",@progbits,_ZN7rocprim17ROCPRIM_400000_NS6detail17trampoline_kernelINS0_14default_configENS1_27scan_by_key_config_selectorIiiEEZZNS1_16scan_by_key_implILNS1_25lookback_scan_determinismE0ELb0ES3_N6thrust23THRUST_200600_302600_NS10device_ptrIiEESB_SB_iNS9_4plusIvEENS9_8equal_toIvEEiEE10hipError_tPvRmT2_T3_T4_T5_mT6_T7_P12ihipStream_tbENKUlT_T0_E_clISt17integral_constantIbLb0EESV_IbLb1EEEEDaSR_SS_EUlSR_E_NS1_11comp_targetILNS1_3genE10ELNS1_11target_archE1200ELNS1_3gpuE4ELNS1_3repE0EEENS1_30default_config_static_selectorELNS0_4arch9wavefront6targetE0EEEvT1_,comdat
	.protected	_ZN7rocprim17ROCPRIM_400000_NS6detail17trampoline_kernelINS0_14default_configENS1_27scan_by_key_config_selectorIiiEEZZNS1_16scan_by_key_implILNS1_25lookback_scan_determinismE0ELb0ES3_N6thrust23THRUST_200600_302600_NS10device_ptrIiEESB_SB_iNS9_4plusIvEENS9_8equal_toIvEEiEE10hipError_tPvRmT2_T3_T4_T5_mT6_T7_P12ihipStream_tbENKUlT_T0_E_clISt17integral_constantIbLb0EESV_IbLb1EEEEDaSR_SS_EUlSR_E_NS1_11comp_targetILNS1_3genE10ELNS1_11target_archE1200ELNS1_3gpuE4ELNS1_3repE0EEENS1_30default_config_static_selectorELNS0_4arch9wavefront6targetE0EEEvT1_ ; -- Begin function _ZN7rocprim17ROCPRIM_400000_NS6detail17trampoline_kernelINS0_14default_configENS1_27scan_by_key_config_selectorIiiEEZZNS1_16scan_by_key_implILNS1_25lookback_scan_determinismE0ELb0ES3_N6thrust23THRUST_200600_302600_NS10device_ptrIiEESB_SB_iNS9_4plusIvEENS9_8equal_toIvEEiEE10hipError_tPvRmT2_T3_T4_T5_mT6_T7_P12ihipStream_tbENKUlT_T0_E_clISt17integral_constantIbLb0EESV_IbLb1EEEEDaSR_SS_EUlSR_E_NS1_11comp_targetILNS1_3genE10ELNS1_11target_archE1200ELNS1_3gpuE4ELNS1_3repE0EEENS1_30default_config_static_selectorELNS0_4arch9wavefront6targetE0EEEvT1_
	.globl	_ZN7rocprim17ROCPRIM_400000_NS6detail17trampoline_kernelINS0_14default_configENS1_27scan_by_key_config_selectorIiiEEZZNS1_16scan_by_key_implILNS1_25lookback_scan_determinismE0ELb0ES3_N6thrust23THRUST_200600_302600_NS10device_ptrIiEESB_SB_iNS9_4plusIvEENS9_8equal_toIvEEiEE10hipError_tPvRmT2_T3_T4_T5_mT6_T7_P12ihipStream_tbENKUlT_T0_E_clISt17integral_constantIbLb0EESV_IbLb1EEEEDaSR_SS_EUlSR_E_NS1_11comp_targetILNS1_3genE10ELNS1_11target_archE1200ELNS1_3gpuE4ELNS1_3repE0EEENS1_30default_config_static_selectorELNS0_4arch9wavefront6targetE0EEEvT1_
	.p2align	8
	.type	_ZN7rocprim17ROCPRIM_400000_NS6detail17trampoline_kernelINS0_14default_configENS1_27scan_by_key_config_selectorIiiEEZZNS1_16scan_by_key_implILNS1_25lookback_scan_determinismE0ELb0ES3_N6thrust23THRUST_200600_302600_NS10device_ptrIiEESB_SB_iNS9_4plusIvEENS9_8equal_toIvEEiEE10hipError_tPvRmT2_T3_T4_T5_mT6_T7_P12ihipStream_tbENKUlT_T0_E_clISt17integral_constantIbLb0EESV_IbLb1EEEEDaSR_SS_EUlSR_E_NS1_11comp_targetILNS1_3genE10ELNS1_11target_archE1200ELNS1_3gpuE4ELNS1_3repE0EEENS1_30default_config_static_selectorELNS0_4arch9wavefront6targetE0EEEvT1_,@function
_ZN7rocprim17ROCPRIM_400000_NS6detail17trampoline_kernelINS0_14default_configENS1_27scan_by_key_config_selectorIiiEEZZNS1_16scan_by_key_implILNS1_25lookback_scan_determinismE0ELb0ES3_N6thrust23THRUST_200600_302600_NS10device_ptrIiEESB_SB_iNS9_4plusIvEENS9_8equal_toIvEEiEE10hipError_tPvRmT2_T3_T4_T5_mT6_T7_P12ihipStream_tbENKUlT_T0_E_clISt17integral_constantIbLb0EESV_IbLb1EEEEDaSR_SS_EUlSR_E_NS1_11comp_targetILNS1_3genE10ELNS1_11target_archE1200ELNS1_3gpuE4ELNS1_3repE0EEENS1_30default_config_static_selectorELNS0_4arch9wavefront6targetE0EEEvT1_: ; @_ZN7rocprim17ROCPRIM_400000_NS6detail17trampoline_kernelINS0_14default_configENS1_27scan_by_key_config_selectorIiiEEZZNS1_16scan_by_key_implILNS1_25lookback_scan_determinismE0ELb0ES3_N6thrust23THRUST_200600_302600_NS10device_ptrIiEESB_SB_iNS9_4plusIvEENS9_8equal_toIvEEiEE10hipError_tPvRmT2_T3_T4_T5_mT6_T7_P12ihipStream_tbENKUlT_T0_E_clISt17integral_constantIbLb0EESV_IbLb1EEEEDaSR_SS_EUlSR_E_NS1_11comp_targetILNS1_3genE10ELNS1_11target_archE1200ELNS1_3gpuE4ELNS1_3repE0EEENS1_30default_config_static_selectorELNS0_4arch9wavefront6targetE0EEEvT1_
; %bb.0:
	.section	.rodata,"a",@progbits
	.p2align	6, 0x0
	.amdhsa_kernel _ZN7rocprim17ROCPRIM_400000_NS6detail17trampoline_kernelINS0_14default_configENS1_27scan_by_key_config_selectorIiiEEZZNS1_16scan_by_key_implILNS1_25lookback_scan_determinismE0ELb0ES3_N6thrust23THRUST_200600_302600_NS10device_ptrIiEESB_SB_iNS9_4plusIvEENS9_8equal_toIvEEiEE10hipError_tPvRmT2_T3_T4_T5_mT6_T7_P12ihipStream_tbENKUlT_T0_E_clISt17integral_constantIbLb0EESV_IbLb1EEEEDaSR_SS_EUlSR_E_NS1_11comp_targetILNS1_3genE10ELNS1_11target_archE1200ELNS1_3gpuE4ELNS1_3repE0EEENS1_30default_config_static_selectorELNS0_4arch9wavefront6targetE0EEEvT1_
		.amdhsa_group_segment_fixed_size 0
		.amdhsa_private_segment_fixed_size 0
		.amdhsa_kernarg_size 112
		.amdhsa_user_sgpr_count 2
		.amdhsa_user_sgpr_dispatch_ptr 0
		.amdhsa_user_sgpr_queue_ptr 0
		.amdhsa_user_sgpr_kernarg_segment_ptr 1
		.amdhsa_user_sgpr_dispatch_id 0
		.amdhsa_user_sgpr_kernarg_preload_length 0
		.amdhsa_user_sgpr_kernarg_preload_offset 0
		.amdhsa_user_sgpr_private_segment_size 0
		.amdhsa_wavefront_size32 1
		.amdhsa_uses_dynamic_stack 0
		.amdhsa_enable_private_segment 0
		.amdhsa_system_sgpr_workgroup_id_x 1
		.amdhsa_system_sgpr_workgroup_id_y 0
		.amdhsa_system_sgpr_workgroup_id_z 0
		.amdhsa_system_sgpr_workgroup_info 0
		.amdhsa_system_vgpr_workitem_id 0
		.amdhsa_next_free_vgpr 1
		.amdhsa_next_free_sgpr 1
		.amdhsa_named_barrier_count 0
		.amdhsa_reserve_vcc 0
		.amdhsa_float_round_mode_32 0
		.amdhsa_float_round_mode_16_64 0
		.amdhsa_float_denorm_mode_32 3
		.amdhsa_float_denorm_mode_16_64 3
		.amdhsa_fp16_overflow 0
		.amdhsa_memory_ordered 1
		.amdhsa_forward_progress 1
		.amdhsa_inst_pref_size 0
		.amdhsa_round_robin_scheduling 0
		.amdhsa_exception_fp_ieee_invalid_op 0
		.amdhsa_exception_fp_denorm_src 0
		.amdhsa_exception_fp_ieee_div_zero 0
		.amdhsa_exception_fp_ieee_overflow 0
		.amdhsa_exception_fp_ieee_underflow 0
		.amdhsa_exception_fp_ieee_inexact 0
		.amdhsa_exception_int_div_zero 0
	.end_amdhsa_kernel
	.section	.text._ZN7rocprim17ROCPRIM_400000_NS6detail17trampoline_kernelINS0_14default_configENS1_27scan_by_key_config_selectorIiiEEZZNS1_16scan_by_key_implILNS1_25lookback_scan_determinismE0ELb0ES3_N6thrust23THRUST_200600_302600_NS10device_ptrIiEESB_SB_iNS9_4plusIvEENS9_8equal_toIvEEiEE10hipError_tPvRmT2_T3_T4_T5_mT6_T7_P12ihipStream_tbENKUlT_T0_E_clISt17integral_constantIbLb0EESV_IbLb1EEEEDaSR_SS_EUlSR_E_NS1_11comp_targetILNS1_3genE10ELNS1_11target_archE1200ELNS1_3gpuE4ELNS1_3repE0EEENS1_30default_config_static_selectorELNS0_4arch9wavefront6targetE0EEEvT1_,"axG",@progbits,_ZN7rocprim17ROCPRIM_400000_NS6detail17trampoline_kernelINS0_14default_configENS1_27scan_by_key_config_selectorIiiEEZZNS1_16scan_by_key_implILNS1_25lookback_scan_determinismE0ELb0ES3_N6thrust23THRUST_200600_302600_NS10device_ptrIiEESB_SB_iNS9_4plusIvEENS9_8equal_toIvEEiEE10hipError_tPvRmT2_T3_T4_T5_mT6_T7_P12ihipStream_tbENKUlT_T0_E_clISt17integral_constantIbLb0EESV_IbLb1EEEEDaSR_SS_EUlSR_E_NS1_11comp_targetILNS1_3genE10ELNS1_11target_archE1200ELNS1_3gpuE4ELNS1_3repE0EEENS1_30default_config_static_selectorELNS0_4arch9wavefront6targetE0EEEvT1_,comdat
.Lfunc_end2230:
	.size	_ZN7rocprim17ROCPRIM_400000_NS6detail17trampoline_kernelINS0_14default_configENS1_27scan_by_key_config_selectorIiiEEZZNS1_16scan_by_key_implILNS1_25lookback_scan_determinismE0ELb0ES3_N6thrust23THRUST_200600_302600_NS10device_ptrIiEESB_SB_iNS9_4plusIvEENS9_8equal_toIvEEiEE10hipError_tPvRmT2_T3_T4_T5_mT6_T7_P12ihipStream_tbENKUlT_T0_E_clISt17integral_constantIbLb0EESV_IbLb1EEEEDaSR_SS_EUlSR_E_NS1_11comp_targetILNS1_3genE10ELNS1_11target_archE1200ELNS1_3gpuE4ELNS1_3repE0EEENS1_30default_config_static_selectorELNS0_4arch9wavefront6targetE0EEEvT1_, .Lfunc_end2230-_ZN7rocprim17ROCPRIM_400000_NS6detail17trampoline_kernelINS0_14default_configENS1_27scan_by_key_config_selectorIiiEEZZNS1_16scan_by_key_implILNS1_25lookback_scan_determinismE0ELb0ES3_N6thrust23THRUST_200600_302600_NS10device_ptrIiEESB_SB_iNS9_4plusIvEENS9_8equal_toIvEEiEE10hipError_tPvRmT2_T3_T4_T5_mT6_T7_P12ihipStream_tbENKUlT_T0_E_clISt17integral_constantIbLb0EESV_IbLb1EEEEDaSR_SS_EUlSR_E_NS1_11comp_targetILNS1_3genE10ELNS1_11target_archE1200ELNS1_3gpuE4ELNS1_3repE0EEENS1_30default_config_static_selectorELNS0_4arch9wavefront6targetE0EEEvT1_
                                        ; -- End function
	.set _ZN7rocprim17ROCPRIM_400000_NS6detail17trampoline_kernelINS0_14default_configENS1_27scan_by_key_config_selectorIiiEEZZNS1_16scan_by_key_implILNS1_25lookback_scan_determinismE0ELb0ES3_N6thrust23THRUST_200600_302600_NS10device_ptrIiEESB_SB_iNS9_4plusIvEENS9_8equal_toIvEEiEE10hipError_tPvRmT2_T3_T4_T5_mT6_T7_P12ihipStream_tbENKUlT_T0_E_clISt17integral_constantIbLb0EESV_IbLb1EEEEDaSR_SS_EUlSR_E_NS1_11comp_targetILNS1_3genE10ELNS1_11target_archE1200ELNS1_3gpuE4ELNS1_3repE0EEENS1_30default_config_static_selectorELNS0_4arch9wavefront6targetE0EEEvT1_.num_vgpr, 0
	.set _ZN7rocprim17ROCPRIM_400000_NS6detail17trampoline_kernelINS0_14default_configENS1_27scan_by_key_config_selectorIiiEEZZNS1_16scan_by_key_implILNS1_25lookback_scan_determinismE0ELb0ES3_N6thrust23THRUST_200600_302600_NS10device_ptrIiEESB_SB_iNS9_4plusIvEENS9_8equal_toIvEEiEE10hipError_tPvRmT2_T3_T4_T5_mT6_T7_P12ihipStream_tbENKUlT_T0_E_clISt17integral_constantIbLb0EESV_IbLb1EEEEDaSR_SS_EUlSR_E_NS1_11comp_targetILNS1_3genE10ELNS1_11target_archE1200ELNS1_3gpuE4ELNS1_3repE0EEENS1_30default_config_static_selectorELNS0_4arch9wavefront6targetE0EEEvT1_.num_agpr, 0
	.set _ZN7rocprim17ROCPRIM_400000_NS6detail17trampoline_kernelINS0_14default_configENS1_27scan_by_key_config_selectorIiiEEZZNS1_16scan_by_key_implILNS1_25lookback_scan_determinismE0ELb0ES3_N6thrust23THRUST_200600_302600_NS10device_ptrIiEESB_SB_iNS9_4plusIvEENS9_8equal_toIvEEiEE10hipError_tPvRmT2_T3_T4_T5_mT6_T7_P12ihipStream_tbENKUlT_T0_E_clISt17integral_constantIbLb0EESV_IbLb1EEEEDaSR_SS_EUlSR_E_NS1_11comp_targetILNS1_3genE10ELNS1_11target_archE1200ELNS1_3gpuE4ELNS1_3repE0EEENS1_30default_config_static_selectorELNS0_4arch9wavefront6targetE0EEEvT1_.numbered_sgpr, 0
	.set _ZN7rocprim17ROCPRIM_400000_NS6detail17trampoline_kernelINS0_14default_configENS1_27scan_by_key_config_selectorIiiEEZZNS1_16scan_by_key_implILNS1_25lookback_scan_determinismE0ELb0ES3_N6thrust23THRUST_200600_302600_NS10device_ptrIiEESB_SB_iNS9_4plusIvEENS9_8equal_toIvEEiEE10hipError_tPvRmT2_T3_T4_T5_mT6_T7_P12ihipStream_tbENKUlT_T0_E_clISt17integral_constantIbLb0EESV_IbLb1EEEEDaSR_SS_EUlSR_E_NS1_11comp_targetILNS1_3genE10ELNS1_11target_archE1200ELNS1_3gpuE4ELNS1_3repE0EEENS1_30default_config_static_selectorELNS0_4arch9wavefront6targetE0EEEvT1_.num_named_barrier, 0
	.set _ZN7rocprim17ROCPRIM_400000_NS6detail17trampoline_kernelINS0_14default_configENS1_27scan_by_key_config_selectorIiiEEZZNS1_16scan_by_key_implILNS1_25lookback_scan_determinismE0ELb0ES3_N6thrust23THRUST_200600_302600_NS10device_ptrIiEESB_SB_iNS9_4plusIvEENS9_8equal_toIvEEiEE10hipError_tPvRmT2_T3_T4_T5_mT6_T7_P12ihipStream_tbENKUlT_T0_E_clISt17integral_constantIbLb0EESV_IbLb1EEEEDaSR_SS_EUlSR_E_NS1_11comp_targetILNS1_3genE10ELNS1_11target_archE1200ELNS1_3gpuE4ELNS1_3repE0EEENS1_30default_config_static_selectorELNS0_4arch9wavefront6targetE0EEEvT1_.private_seg_size, 0
	.set _ZN7rocprim17ROCPRIM_400000_NS6detail17trampoline_kernelINS0_14default_configENS1_27scan_by_key_config_selectorIiiEEZZNS1_16scan_by_key_implILNS1_25lookback_scan_determinismE0ELb0ES3_N6thrust23THRUST_200600_302600_NS10device_ptrIiEESB_SB_iNS9_4plusIvEENS9_8equal_toIvEEiEE10hipError_tPvRmT2_T3_T4_T5_mT6_T7_P12ihipStream_tbENKUlT_T0_E_clISt17integral_constantIbLb0EESV_IbLb1EEEEDaSR_SS_EUlSR_E_NS1_11comp_targetILNS1_3genE10ELNS1_11target_archE1200ELNS1_3gpuE4ELNS1_3repE0EEENS1_30default_config_static_selectorELNS0_4arch9wavefront6targetE0EEEvT1_.uses_vcc, 0
	.set _ZN7rocprim17ROCPRIM_400000_NS6detail17trampoline_kernelINS0_14default_configENS1_27scan_by_key_config_selectorIiiEEZZNS1_16scan_by_key_implILNS1_25lookback_scan_determinismE0ELb0ES3_N6thrust23THRUST_200600_302600_NS10device_ptrIiEESB_SB_iNS9_4plusIvEENS9_8equal_toIvEEiEE10hipError_tPvRmT2_T3_T4_T5_mT6_T7_P12ihipStream_tbENKUlT_T0_E_clISt17integral_constantIbLb0EESV_IbLb1EEEEDaSR_SS_EUlSR_E_NS1_11comp_targetILNS1_3genE10ELNS1_11target_archE1200ELNS1_3gpuE4ELNS1_3repE0EEENS1_30default_config_static_selectorELNS0_4arch9wavefront6targetE0EEEvT1_.uses_flat_scratch, 0
	.set _ZN7rocprim17ROCPRIM_400000_NS6detail17trampoline_kernelINS0_14default_configENS1_27scan_by_key_config_selectorIiiEEZZNS1_16scan_by_key_implILNS1_25lookback_scan_determinismE0ELb0ES3_N6thrust23THRUST_200600_302600_NS10device_ptrIiEESB_SB_iNS9_4plusIvEENS9_8equal_toIvEEiEE10hipError_tPvRmT2_T3_T4_T5_mT6_T7_P12ihipStream_tbENKUlT_T0_E_clISt17integral_constantIbLb0EESV_IbLb1EEEEDaSR_SS_EUlSR_E_NS1_11comp_targetILNS1_3genE10ELNS1_11target_archE1200ELNS1_3gpuE4ELNS1_3repE0EEENS1_30default_config_static_selectorELNS0_4arch9wavefront6targetE0EEEvT1_.has_dyn_sized_stack, 0
	.set _ZN7rocprim17ROCPRIM_400000_NS6detail17trampoline_kernelINS0_14default_configENS1_27scan_by_key_config_selectorIiiEEZZNS1_16scan_by_key_implILNS1_25lookback_scan_determinismE0ELb0ES3_N6thrust23THRUST_200600_302600_NS10device_ptrIiEESB_SB_iNS9_4plusIvEENS9_8equal_toIvEEiEE10hipError_tPvRmT2_T3_T4_T5_mT6_T7_P12ihipStream_tbENKUlT_T0_E_clISt17integral_constantIbLb0EESV_IbLb1EEEEDaSR_SS_EUlSR_E_NS1_11comp_targetILNS1_3genE10ELNS1_11target_archE1200ELNS1_3gpuE4ELNS1_3repE0EEENS1_30default_config_static_selectorELNS0_4arch9wavefront6targetE0EEEvT1_.has_recursion, 0
	.set _ZN7rocprim17ROCPRIM_400000_NS6detail17trampoline_kernelINS0_14default_configENS1_27scan_by_key_config_selectorIiiEEZZNS1_16scan_by_key_implILNS1_25lookback_scan_determinismE0ELb0ES3_N6thrust23THRUST_200600_302600_NS10device_ptrIiEESB_SB_iNS9_4plusIvEENS9_8equal_toIvEEiEE10hipError_tPvRmT2_T3_T4_T5_mT6_T7_P12ihipStream_tbENKUlT_T0_E_clISt17integral_constantIbLb0EESV_IbLb1EEEEDaSR_SS_EUlSR_E_NS1_11comp_targetILNS1_3genE10ELNS1_11target_archE1200ELNS1_3gpuE4ELNS1_3repE0EEENS1_30default_config_static_selectorELNS0_4arch9wavefront6targetE0EEEvT1_.has_indirect_call, 0
	.section	.AMDGPU.csdata,"",@progbits
; Kernel info:
; codeLenInByte = 0
; TotalNumSgprs: 0
; NumVgprs: 0
; ScratchSize: 0
; MemoryBound: 0
; FloatMode: 240
; IeeeMode: 1
; LDSByteSize: 0 bytes/workgroup (compile time only)
; SGPRBlocks: 0
; VGPRBlocks: 0
; NumSGPRsForWavesPerEU: 1
; NumVGPRsForWavesPerEU: 1
; NamedBarCnt: 0
; Occupancy: 16
; WaveLimiterHint : 0
; COMPUTE_PGM_RSRC2:SCRATCH_EN: 0
; COMPUTE_PGM_RSRC2:USER_SGPR: 2
; COMPUTE_PGM_RSRC2:TRAP_HANDLER: 0
; COMPUTE_PGM_RSRC2:TGID_X_EN: 1
; COMPUTE_PGM_RSRC2:TGID_Y_EN: 0
; COMPUTE_PGM_RSRC2:TGID_Z_EN: 0
; COMPUTE_PGM_RSRC2:TIDIG_COMP_CNT: 0
	.section	.text._ZN7rocprim17ROCPRIM_400000_NS6detail17trampoline_kernelINS0_14default_configENS1_27scan_by_key_config_selectorIiiEEZZNS1_16scan_by_key_implILNS1_25lookback_scan_determinismE0ELb0ES3_N6thrust23THRUST_200600_302600_NS10device_ptrIiEESB_SB_iNS9_4plusIvEENS9_8equal_toIvEEiEE10hipError_tPvRmT2_T3_T4_T5_mT6_T7_P12ihipStream_tbENKUlT_T0_E_clISt17integral_constantIbLb0EESV_IbLb1EEEEDaSR_SS_EUlSR_E_NS1_11comp_targetILNS1_3genE9ELNS1_11target_archE1100ELNS1_3gpuE3ELNS1_3repE0EEENS1_30default_config_static_selectorELNS0_4arch9wavefront6targetE0EEEvT1_,"axG",@progbits,_ZN7rocprim17ROCPRIM_400000_NS6detail17trampoline_kernelINS0_14default_configENS1_27scan_by_key_config_selectorIiiEEZZNS1_16scan_by_key_implILNS1_25lookback_scan_determinismE0ELb0ES3_N6thrust23THRUST_200600_302600_NS10device_ptrIiEESB_SB_iNS9_4plusIvEENS9_8equal_toIvEEiEE10hipError_tPvRmT2_T3_T4_T5_mT6_T7_P12ihipStream_tbENKUlT_T0_E_clISt17integral_constantIbLb0EESV_IbLb1EEEEDaSR_SS_EUlSR_E_NS1_11comp_targetILNS1_3genE9ELNS1_11target_archE1100ELNS1_3gpuE3ELNS1_3repE0EEENS1_30default_config_static_selectorELNS0_4arch9wavefront6targetE0EEEvT1_,comdat
	.protected	_ZN7rocprim17ROCPRIM_400000_NS6detail17trampoline_kernelINS0_14default_configENS1_27scan_by_key_config_selectorIiiEEZZNS1_16scan_by_key_implILNS1_25lookback_scan_determinismE0ELb0ES3_N6thrust23THRUST_200600_302600_NS10device_ptrIiEESB_SB_iNS9_4plusIvEENS9_8equal_toIvEEiEE10hipError_tPvRmT2_T3_T4_T5_mT6_T7_P12ihipStream_tbENKUlT_T0_E_clISt17integral_constantIbLb0EESV_IbLb1EEEEDaSR_SS_EUlSR_E_NS1_11comp_targetILNS1_3genE9ELNS1_11target_archE1100ELNS1_3gpuE3ELNS1_3repE0EEENS1_30default_config_static_selectorELNS0_4arch9wavefront6targetE0EEEvT1_ ; -- Begin function _ZN7rocprim17ROCPRIM_400000_NS6detail17trampoline_kernelINS0_14default_configENS1_27scan_by_key_config_selectorIiiEEZZNS1_16scan_by_key_implILNS1_25lookback_scan_determinismE0ELb0ES3_N6thrust23THRUST_200600_302600_NS10device_ptrIiEESB_SB_iNS9_4plusIvEENS9_8equal_toIvEEiEE10hipError_tPvRmT2_T3_T4_T5_mT6_T7_P12ihipStream_tbENKUlT_T0_E_clISt17integral_constantIbLb0EESV_IbLb1EEEEDaSR_SS_EUlSR_E_NS1_11comp_targetILNS1_3genE9ELNS1_11target_archE1100ELNS1_3gpuE3ELNS1_3repE0EEENS1_30default_config_static_selectorELNS0_4arch9wavefront6targetE0EEEvT1_
	.globl	_ZN7rocprim17ROCPRIM_400000_NS6detail17trampoline_kernelINS0_14default_configENS1_27scan_by_key_config_selectorIiiEEZZNS1_16scan_by_key_implILNS1_25lookback_scan_determinismE0ELb0ES3_N6thrust23THRUST_200600_302600_NS10device_ptrIiEESB_SB_iNS9_4plusIvEENS9_8equal_toIvEEiEE10hipError_tPvRmT2_T3_T4_T5_mT6_T7_P12ihipStream_tbENKUlT_T0_E_clISt17integral_constantIbLb0EESV_IbLb1EEEEDaSR_SS_EUlSR_E_NS1_11comp_targetILNS1_3genE9ELNS1_11target_archE1100ELNS1_3gpuE3ELNS1_3repE0EEENS1_30default_config_static_selectorELNS0_4arch9wavefront6targetE0EEEvT1_
	.p2align	8
	.type	_ZN7rocprim17ROCPRIM_400000_NS6detail17trampoline_kernelINS0_14default_configENS1_27scan_by_key_config_selectorIiiEEZZNS1_16scan_by_key_implILNS1_25lookback_scan_determinismE0ELb0ES3_N6thrust23THRUST_200600_302600_NS10device_ptrIiEESB_SB_iNS9_4plusIvEENS9_8equal_toIvEEiEE10hipError_tPvRmT2_T3_T4_T5_mT6_T7_P12ihipStream_tbENKUlT_T0_E_clISt17integral_constantIbLb0EESV_IbLb1EEEEDaSR_SS_EUlSR_E_NS1_11comp_targetILNS1_3genE9ELNS1_11target_archE1100ELNS1_3gpuE3ELNS1_3repE0EEENS1_30default_config_static_selectorELNS0_4arch9wavefront6targetE0EEEvT1_,@function
_ZN7rocprim17ROCPRIM_400000_NS6detail17trampoline_kernelINS0_14default_configENS1_27scan_by_key_config_selectorIiiEEZZNS1_16scan_by_key_implILNS1_25lookback_scan_determinismE0ELb0ES3_N6thrust23THRUST_200600_302600_NS10device_ptrIiEESB_SB_iNS9_4plusIvEENS9_8equal_toIvEEiEE10hipError_tPvRmT2_T3_T4_T5_mT6_T7_P12ihipStream_tbENKUlT_T0_E_clISt17integral_constantIbLb0EESV_IbLb1EEEEDaSR_SS_EUlSR_E_NS1_11comp_targetILNS1_3genE9ELNS1_11target_archE1100ELNS1_3gpuE3ELNS1_3repE0EEENS1_30default_config_static_selectorELNS0_4arch9wavefront6targetE0EEEvT1_: ; @_ZN7rocprim17ROCPRIM_400000_NS6detail17trampoline_kernelINS0_14default_configENS1_27scan_by_key_config_selectorIiiEEZZNS1_16scan_by_key_implILNS1_25lookback_scan_determinismE0ELb0ES3_N6thrust23THRUST_200600_302600_NS10device_ptrIiEESB_SB_iNS9_4plusIvEENS9_8equal_toIvEEiEE10hipError_tPvRmT2_T3_T4_T5_mT6_T7_P12ihipStream_tbENKUlT_T0_E_clISt17integral_constantIbLb0EESV_IbLb1EEEEDaSR_SS_EUlSR_E_NS1_11comp_targetILNS1_3genE9ELNS1_11target_archE1100ELNS1_3gpuE3ELNS1_3repE0EEENS1_30default_config_static_selectorELNS0_4arch9wavefront6targetE0EEEvT1_
; %bb.0:
	.section	.rodata,"a",@progbits
	.p2align	6, 0x0
	.amdhsa_kernel _ZN7rocprim17ROCPRIM_400000_NS6detail17trampoline_kernelINS0_14default_configENS1_27scan_by_key_config_selectorIiiEEZZNS1_16scan_by_key_implILNS1_25lookback_scan_determinismE0ELb0ES3_N6thrust23THRUST_200600_302600_NS10device_ptrIiEESB_SB_iNS9_4plusIvEENS9_8equal_toIvEEiEE10hipError_tPvRmT2_T3_T4_T5_mT6_T7_P12ihipStream_tbENKUlT_T0_E_clISt17integral_constantIbLb0EESV_IbLb1EEEEDaSR_SS_EUlSR_E_NS1_11comp_targetILNS1_3genE9ELNS1_11target_archE1100ELNS1_3gpuE3ELNS1_3repE0EEENS1_30default_config_static_selectorELNS0_4arch9wavefront6targetE0EEEvT1_
		.amdhsa_group_segment_fixed_size 0
		.amdhsa_private_segment_fixed_size 0
		.amdhsa_kernarg_size 112
		.amdhsa_user_sgpr_count 2
		.amdhsa_user_sgpr_dispatch_ptr 0
		.amdhsa_user_sgpr_queue_ptr 0
		.amdhsa_user_sgpr_kernarg_segment_ptr 1
		.amdhsa_user_sgpr_dispatch_id 0
		.amdhsa_user_sgpr_kernarg_preload_length 0
		.amdhsa_user_sgpr_kernarg_preload_offset 0
		.amdhsa_user_sgpr_private_segment_size 0
		.amdhsa_wavefront_size32 1
		.amdhsa_uses_dynamic_stack 0
		.amdhsa_enable_private_segment 0
		.amdhsa_system_sgpr_workgroup_id_x 1
		.amdhsa_system_sgpr_workgroup_id_y 0
		.amdhsa_system_sgpr_workgroup_id_z 0
		.amdhsa_system_sgpr_workgroup_info 0
		.amdhsa_system_vgpr_workitem_id 0
		.amdhsa_next_free_vgpr 1
		.amdhsa_next_free_sgpr 1
		.amdhsa_named_barrier_count 0
		.amdhsa_reserve_vcc 0
		.amdhsa_float_round_mode_32 0
		.amdhsa_float_round_mode_16_64 0
		.amdhsa_float_denorm_mode_32 3
		.amdhsa_float_denorm_mode_16_64 3
		.amdhsa_fp16_overflow 0
		.amdhsa_memory_ordered 1
		.amdhsa_forward_progress 1
		.amdhsa_inst_pref_size 0
		.amdhsa_round_robin_scheduling 0
		.amdhsa_exception_fp_ieee_invalid_op 0
		.amdhsa_exception_fp_denorm_src 0
		.amdhsa_exception_fp_ieee_div_zero 0
		.amdhsa_exception_fp_ieee_overflow 0
		.amdhsa_exception_fp_ieee_underflow 0
		.amdhsa_exception_fp_ieee_inexact 0
		.amdhsa_exception_int_div_zero 0
	.end_amdhsa_kernel
	.section	.text._ZN7rocprim17ROCPRIM_400000_NS6detail17trampoline_kernelINS0_14default_configENS1_27scan_by_key_config_selectorIiiEEZZNS1_16scan_by_key_implILNS1_25lookback_scan_determinismE0ELb0ES3_N6thrust23THRUST_200600_302600_NS10device_ptrIiEESB_SB_iNS9_4plusIvEENS9_8equal_toIvEEiEE10hipError_tPvRmT2_T3_T4_T5_mT6_T7_P12ihipStream_tbENKUlT_T0_E_clISt17integral_constantIbLb0EESV_IbLb1EEEEDaSR_SS_EUlSR_E_NS1_11comp_targetILNS1_3genE9ELNS1_11target_archE1100ELNS1_3gpuE3ELNS1_3repE0EEENS1_30default_config_static_selectorELNS0_4arch9wavefront6targetE0EEEvT1_,"axG",@progbits,_ZN7rocprim17ROCPRIM_400000_NS6detail17trampoline_kernelINS0_14default_configENS1_27scan_by_key_config_selectorIiiEEZZNS1_16scan_by_key_implILNS1_25lookback_scan_determinismE0ELb0ES3_N6thrust23THRUST_200600_302600_NS10device_ptrIiEESB_SB_iNS9_4plusIvEENS9_8equal_toIvEEiEE10hipError_tPvRmT2_T3_T4_T5_mT6_T7_P12ihipStream_tbENKUlT_T0_E_clISt17integral_constantIbLb0EESV_IbLb1EEEEDaSR_SS_EUlSR_E_NS1_11comp_targetILNS1_3genE9ELNS1_11target_archE1100ELNS1_3gpuE3ELNS1_3repE0EEENS1_30default_config_static_selectorELNS0_4arch9wavefront6targetE0EEEvT1_,comdat
.Lfunc_end2231:
	.size	_ZN7rocprim17ROCPRIM_400000_NS6detail17trampoline_kernelINS0_14default_configENS1_27scan_by_key_config_selectorIiiEEZZNS1_16scan_by_key_implILNS1_25lookback_scan_determinismE0ELb0ES3_N6thrust23THRUST_200600_302600_NS10device_ptrIiEESB_SB_iNS9_4plusIvEENS9_8equal_toIvEEiEE10hipError_tPvRmT2_T3_T4_T5_mT6_T7_P12ihipStream_tbENKUlT_T0_E_clISt17integral_constantIbLb0EESV_IbLb1EEEEDaSR_SS_EUlSR_E_NS1_11comp_targetILNS1_3genE9ELNS1_11target_archE1100ELNS1_3gpuE3ELNS1_3repE0EEENS1_30default_config_static_selectorELNS0_4arch9wavefront6targetE0EEEvT1_, .Lfunc_end2231-_ZN7rocprim17ROCPRIM_400000_NS6detail17trampoline_kernelINS0_14default_configENS1_27scan_by_key_config_selectorIiiEEZZNS1_16scan_by_key_implILNS1_25lookback_scan_determinismE0ELb0ES3_N6thrust23THRUST_200600_302600_NS10device_ptrIiEESB_SB_iNS9_4plusIvEENS9_8equal_toIvEEiEE10hipError_tPvRmT2_T3_T4_T5_mT6_T7_P12ihipStream_tbENKUlT_T0_E_clISt17integral_constantIbLb0EESV_IbLb1EEEEDaSR_SS_EUlSR_E_NS1_11comp_targetILNS1_3genE9ELNS1_11target_archE1100ELNS1_3gpuE3ELNS1_3repE0EEENS1_30default_config_static_selectorELNS0_4arch9wavefront6targetE0EEEvT1_
                                        ; -- End function
	.set _ZN7rocprim17ROCPRIM_400000_NS6detail17trampoline_kernelINS0_14default_configENS1_27scan_by_key_config_selectorIiiEEZZNS1_16scan_by_key_implILNS1_25lookback_scan_determinismE0ELb0ES3_N6thrust23THRUST_200600_302600_NS10device_ptrIiEESB_SB_iNS9_4plusIvEENS9_8equal_toIvEEiEE10hipError_tPvRmT2_T3_T4_T5_mT6_T7_P12ihipStream_tbENKUlT_T0_E_clISt17integral_constantIbLb0EESV_IbLb1EEEEDaSR_SS_EUlSR_E_NS1_11comp_targetILNS1_3genE9ELNS1_11target_archE1100ELNS1_3gpuE3ELNS1_3repE0EEENS1_30default_config_static_selectorELNS0_4arch9wavefront6targetE0EEEvT1_.num_vgpr, 0
	.set _ZN7rocprim17ROCPRIM_400000_NS6detail17trampoline_kernelINS0_14default_configENS1_27scan_by_key_config_selectorIiiEEZZNS1_16scan_by_key_implILNS1_25lookback_scan_determinismE0ELb0ES3_N6thrust23THRUST_200600_302600_NS10device_ptrIiEESB_SB_iNS9_4plusIvEENS9_8equal_toIvEEiEE10hipError_tPvRmT2_T3_T4_T5_mT6_T7_P12ihipStream_tbENKUlT_T0_E_clISt17integral_constantIbLb0EESV_IbLb1EEEEDaSR_SS_EUlSR_E_NS1_11comp_targetILNS1_3genE9ELNS1_11target_archE1100ELNS1_3gpuE3ELNS1_3repE0EEENS1_30default_config_static_selectorELNS0_4arch9wavefront6targetE0EEEvT1_.num_agpr, 0
	.set _ZN7rocprim17ROCPRIM_400000_NS6detail17trampoline_kernelINS0_14default_configENS1_27scan_by_key_config_selectorIiiEEZZNS1_16scan_by_key_implILNS1_25lookback_scan_determinismE0ELb0ES3_N6thrust23THRUST_200600_302600_NS10device_ptrIiEESB_SB_iNS9_4plusIvEENS9_8equal_toIvEEiEE10hipError_tPvRmT2_T3_T4_T5_mT6_T7_P12ihipStream_tbENKUlT_T0_E_clISt17integral_constantIbLb0EESV_IbLb1EEEEDaSR_SS_EUlSR_E_NS1_11comp_targetILNS1_3genE9ELNS1_11target_archE1100ELNS1_3gpuE3ELNS1_3repE0EEENS1_30default_config_static_selectorELNS0_4arch9wavefront6targetE0EEEvT1_.numbered_sgpr, 0
	.set _ZN7rocprim17ROCPRIM_400000_NS6detail17trampoline_kernelINS0_14default_configENS1_27scan_by_key_config_selectorIiiEEZZNS1_16scan_by_key_implILNS1_25lookback_scan_determinismE0ELb0ES3_N6thrust23THRUST_200600_302600_NS10device_ptrIiEESB_SB_iNS9_4plusIvEENS9_8equal_toIvEEiEE10hipError_tPvRmT2_T3_T4_T5_mT6_T7_P12ihipStream_tbENKUlT_T0_E_clISt17integral_constantIbLb0EESV_IbLb1EEEEDaSR_SS_EUlSR_E_NS1_11comp_targetILNS1_3genE9ELNS1_11target_archE1100ELNS1_3gpuE3ELNS1_3repE0EEENS1_30default_config_static_selectorELNS0_4arch9wavefront6targetE0EEEvT1_.num_named_barrier, 0
	.set _ZN7rocprim17ROCPRIM_400000_NS6detail17trampoline_kernelINS0_14default_configENS1_27scan_by_key_config_selectorIiiEEZZNS1_16scan_by_key_implILNS1_25lookback_scan_determinismE0ELb0ES3_N6thrust23THRUST_200600_302600_NS10device_ptrIiEESB_SB_iNS9_4plusIvEENS9_8equal_toIvEEiEE10hipError_tPvRmT2_T3_T4_T5_mT6_T7_P12ihipStream_tbENKUlT_T0_E_clISt17integral_constantIbLb0EESV_IbLb1EEEEDaSR_SS_EUlSR_E_NS1_11comp_targetILNS1_3genE9ELNS1_11target_archE1100ELNS1_3gpuE3ELNS1_3repE0EEENS1_30default_config_static_selectorELNS0_4arch9wavefront6targetE0EEEvT1_.private_seg_size, 0
	.set _ZN7rocprim17ROCPRIM_400000_NS6detail17trampoline_kernelINS0_14default_configENS1_27scan_by_key_config_selectorIiiEEZZNS1_16scan_by_key_implILNS1_25lookback_scan_determinismE0ELb0ES3_N6thrust23THRUST_200600_302600_NS10device_ptrIiEESB_SB_iNS9_4plusIvEENS9_8equal_toIvEEiEE10hipError_tPvRmT2_T3_T4_T5_mT6_T7_P12ihipStream_tbENKUlT_T0_E_clISt17integral_constantIbLb0EESV_IbLb1EEEEDaSR_SS_EUlSR_E_NS1_11comp_targetILNS1_3genE9ELNS1_11target_archE1100ELNS1_3gpuE3ELNS1_3repE0EEENS1_30default_config_static_selectorELNS0_4arch9wavefront6targetE0EEEvT1_.uses_vcc, 0
	.set _ZN7rocprim17ROCPRIM_400000_NS6detail17trampoline_kernelINS0_14default_configENS1_27scan_by_key_config_selectorIiiEEZZNS1_16scan_by_key_implILNS1_25lookback_scan_determinismE0ELb0ES3_N6thrust23THRUST_200600_302600_NS10device_ptrIiEESB_SB_iNS9_4plusIvEENS9_8equal_toIvEEiEE10hipError_tPvRmT2_T3_T4_T5_mT6_T7_P12ihipStream_tbENKUlT_T0_E_clISt17integral_constantIbLb0EESV_IbLb1EEEEDaSR_SS_EUlSR_E_NS1_11comp_targetILNS1_3genE9ELNS1_11target_archE1100ELNS1_3gpuE3ELNS1_3repE0EEENS1_30default_config_static_selectorELNS0_4arch9wavefront6targetE0EEEvT1_.uses_flat_scratch, 0
	.set _ZN7rocprim17ROCPRIM_400000_NS6detail17trampoline_kernelINS0_14default_configENS1_27scan_by_key_config_selectorIiiEEZZNS1_16scan_by_key_implILNS1_25lookback_scan_determinismE0ELb0ES3_N6thrust23THRUST_200600_302600_NS10device_ptrIiEESB_SB_iNS9_4plusIvEENS9_8equal_toIvEEiEE10hipError_tPvRmT2_T3_T4_T5_mT6_T7_P12ihipStream_tbENKUlT_T0_E_clISt17integral_constantIbLb0EESV_IbLb1EEEEDaSR_SS_EUlSR_E_NS1_11comp_targetILNS1_3genE9ELNS1_11target_archE1100ELNS1_3gpuE3ELNS1_3repE0EEENS1_30default_config_static_selectorELNS0_4arch9wavefront6targetE0EEEvT1_.has_dyn_sized_stack, 0
	.set _ZN7rocprim17ROCPRIM_400000_NS6detail17trampoline_kernelINS0_14default_configENS1_27scan_by_key_config_selectorIiiEEZZNS1_16scan_by_key_implILNS1_25lookback_scan_determinismE0ELb0ES3_N6thrust23THRUST_200600_302600_NS10device_ptrIiEESB_SB_iNS9_4plusIvEENS9_8equal_toIvEEiEE10hipError_tPvRmT2_T3_T4_T5_mT6_T7_P12ihipStream_tbENKUlT_T0_E_clISt17integral_constantIbLb0EESV_IbLb1EEEEDaSR_SS_EUlSR_E_NS1_11comp_targetILNS1_3genE9ELNS1_11target_archE1100ELNS1_3gpuE3ELNS1_3repE0EEENS1_30default_config_static_selectorELNS0_4arch9wavefront6targetE0EEEvT1_.has_recursion, 0
	.set _ZN7rocprim17ROCPRIM_400000_NS6detail17trampoline_kernelINS0_14default_configENS1_27scan_by_key_config_selectorIiiEEZZNS1_16scan_by_key_implILNS1_25lookback_scan_determinismE0ELb0ES3_N6thrust23THRUST_200600_302600_NS10device_ptrIiEESB_SB_iNS9_4plusIvEENS9_8equal_toIvEEiEE10hipError_tPvRmT2_T3_T4_T5_mT6_T7_P12ihipStream_tbENKUlT_T0_E_clISt17integral_constantIbLb0EESV_IbLb1EEEEDaSR_SS_EUlSR_E_NS1_11comp_targetILNS1_3genE9ELNS1_11target_archE1100ELNS1_3gpuE3ELNS1_3repE0EEENS1_30default_config_static_selectorELNS0_4arch9wavefront6targetE0EEEvT1_.has_indirect_call, 0
	.section	.AMDGPU.csdata,"",@progbits
; Kernel info:
; codeLenInByte = 0
; TotalNumSgprs: 0
; NumVgprs: 0
; ScratchSize: 0
; MemoryBound: 0
; FloatMode: 240
; IeeeMode: 1
; LDSByteSize: 0 bytes/workgroup (compile time only)
; SGPRBlocks: 0
; VGPRBlocks: 0
; NumSGPRsForWavesPerEU: 1
; NumVGPRsForWavesPerEU: 1
; NamedBarCnt: 0
; Occupancy: 16
; WaveLimiterHint : 0
; COMPUTE_PGM_RSRC2:SCRATCH_EN: 0
; COMPUTE_PGM_RSRC2:USER_SGPR: 2
; COMPUTE_PGM_RSRC2:TRAP_HANDLER: 0
; COMPUTE_PGM_RSRC2:TGID_X_EN: 1
; COMPUTE_PGM_RSRC2:TGID_Y_EN: 0
; COMPUTE_PGM_RSRC2:TGID_Z_EN: 0
; COMPUTE_PGM_RSRC2:TIDIG_COMP_CNT: 0
	.section	.text._ZN7rocprim17ROCPRIM_400000_NS6detail17trampoline_kernelINS0_14default_configENS1_27scan_by_key_config_selectorIiiEEZZNS1_16scan_by_key_implILNS1_25lookback_scan_determinismE0ELb0ES3_N6thrust23THRUST_200600_302600_NS10device_ptrIiEESB_SB_iNS9_4plusIvEENS9_8equal_toIvEEiEE10hipError_tPvRmT2_T3_T4_T5_mT6_T7_P12ihipStream_tbENKUlT_T0_E_clISt17integral_constantIbLb0EESV_IbLb1EEEEDaSR_SS_EUlSR_E_NS1_11comp_targetILNS1_3genE8ELNS1_11target_archE1030ELNS1_3gpuE2ELNS1_3repE0EEENS1_30default_config_static_selectorELNS0_4arch9wavefront6targetE0EEEvT1_,"axG",@progbits,_ZN7rocprim17ROCPRIM_400000_NS6detail17trampoline_kernelINS0_14default_configENS1_27scan_by_key_config_selectorIiiEEZZNS1_16scan_by_key_implILNS1_25lookback_scan_determinismE0ELb0ES3_N6thrust23THRUST_200600_302600_NS10device_ptrIiEESB_SB_iNS9_4plusIvEENS9_8equal_toIvEEiEE10hipError_tPvRmT2_T3_T4_T5_mT6_T7_P12ihipStream_tbENKUlT_T0_E_clISt17integral_constantIbLb0EESV_IbLb1EEEEDaSR_SS_EUlSR_E_NS1_11comp_targetILNS1_3genE8ELNS1_11target_archE1030ELNS1_3gpuE2ELNS1_3repE0EEENS1_30default_config_static_selectorELNS0_4arch9wavefront6targetE0EEEvT1_,comdat
	.protected	_ZN7rocprim17ROCPRIM_400000_NS6detail17trampoline_kernelINS0_14default_configENS1_27scan_by_key_config_selectorIiiEEZZNS1_16scan_by_key_implILNS1_25lookback_scan_determinismE0ELb0ES3_N6thrust23THRUST_200600_302600_NS10device_ptrIiEESB_SB_iNS9_4plusIvEENS9_8equal_toIvEEiEE10hipError_tPvRmT2_T3_T4_T5_mT6_T7_P12ihipStream_tbENKUlT_T0_E_clISt17integral_constantIbLb0EESV_IbLb1EEEEDaSR_SS_EUlSR_E_NS1_11comp_targetILNS1_3genE8ELNS1_11target_archE1030ELNS1_3gpuE2ELNS1_3repE0EEENS1_30default_config_static_selectorELNS0_4arch9wavefront6targetE0EEEvT1_ ; -- Begin function _ZN7rocprim17ROCPRIM_400000_NS6detail17trampoline_kernelINS0_14default_configENS1_27scan_by_key_config_selectorIiiEEZZNS1_16scan_by_key_implILNS1_25lookback_scan_determinismE0ELb0ES3_N6thrust23THRUST_200600_302600_NS10device_ptrIiEESB_SB_iNS9_4plusIvEENS9_8equal_toIvEEiEE10hipError_tPvRmT2_T3_T4_T5_mT6_T7_P12ihipStream_tbENKUlT_T0_E_clISt17integral_constantIbLb0EESV_IbLb1EEEEDaSR_SS_EUlSR_E_NS1_11comp_targetILNS1_3genE8ELNS1_11target_archE1030ELNS1_3gpuE2ELNS1_3repE0EEENS1_30default_config_static_selectorELNS0_4arch9wavefront6targetE0EEEvT1_
	.globl	_ZN7rocprim17ROCPRIM_400000_NS6detail17trampoline_kernelINS0_14default_configENS1_27scan_by_key_config_selectorIiiEEZZNS1_16scan_by_key_implILNS1_25lookback_scan_determinismE0ELb0ES3_N6thrust23THRUST_200600_302600_NS10device_ptrIiEESB_SB_iNS9_4plusIvEENS9_8equal_toIvEEiEE10hipError_tPvRmT2_T3_T4_T5_mT6_T7_P12ihipStream_tbENKUlT_T0_E_clISt17integral_constantIbLb0EESV_IbLb1EEEEDaSR_SS_EUlSR_E_NS1_11comp_targetILNS1_3genE8ELNS1_11target_archE1030ELNS1_3gpuE2ELNS1_3repE0EEENS1_30default_config_static_selectorELNS0_4arch9wavefront6targetE0EEEvT1_
	.p2align	8
	.type	_ZN7rocprim17ROCPRIM_400000_NS6detail17trampoline_kernelINS0_14default_configENS1_27scan_by_key_config_selectorIiiEEZZNS1_16scan_by_key_implILNS1_25lookback_scan_determinismE0ELb0ES3_N6thrust23THRUST_200600_302600_NS10device_ptrIiEESB_SB_iNS9_4plusIvEENS9_8equal_toIvEEiEE10hipError_tPvRmT2_T3_T4_T5_mT6_T7_P12ihipStream_tbENKUlT_T0_E_clISt17integral_constantIbLb0EESV_IbLb1EEEEDaSR_SS_EUlSR_E_NS1_11comp_targetILNS1_3genE8ELNS1_11target_archE1030ELNS1_3gpuE2ELNS1_3repE0EEENS1_30default_config_static_selectorELNS0_4arch9wavefront6targetE0EEEvT1_,@function
_ZN7rocprim17ROCPRIM_400000_NS6detail17trampoline_kernelINS0_14default_configENS1_27scan_by_key_config_selectorIiiEEZZNS1_16scan_by_key_implILNS1_25lookback_scan_determinismE0ELb0ES3_N6thrust23THRUST_200600_302600_NS10device_ptrIiEESB_SB_iNS9_4plusIvEENS9_8equal_toIvEEiEE10hipError_tPvRmT2_T3_T4_T5_mT6_T7_P12ihipStream_tbENKUlT_T0_E_clISt17integral_constantIbLb0EESV_IbLb1EEEEDaSR_SS_EUlSR_E_NS1_11comp_targetILNS1_3genE8ELNS1_11target_archE1030ELNS1_3gpuE2ELNS1_3repE0EEENS1_30default_config_static_selectorELNS0_4arch9wavefront6targetE0EEEvT1_: ; @_ZN7rocprim17ROCPRIM_400000_NS6detail17trampoline_kernelINS0_14default_configENS1_27scan_by_key_config_selectorIiiEEZZNS1_16scan_by_key_implILNS1_25lookback_scan_determinismE0ELb0ES3_N6thrust23THRUST_200600_302600_NS10device_ptrIiEESB_SB_iNS9_4plusIvEENS9_8equal_toIvEEiEE10hipError_tPvRmT2_T3_T4_T5_mT6_T7_P12ihipStream_tbENKUlT_T0_E_clISt17integral_constantIbLb0EESV_IbLb1EEEEDaSR_SS_EUlSR_E_NS1_11comp_targetILNS1_3genE8ELNS1_11target_archE1030ELNS1_3gpuE2ELNS1_3repE0EEENS1_30default_config_static_selectorELNS0_4arch9wavefront6targetE0EEEvT1_
; %bb.0:
	.section	.rodata,"a",@progbits
	.p2align	6, 0x0
	.amdhsa_kernel _ZN7rocprim17ROCPRIM_400000_NS6detail17trampoline_kernelINS0_14default_configENS1_27scan_by_key_config_selectorIiiEEZZNS1_16scan_by_key_implILNS1_25lookback_scan_determinismE0ELb0ES3_N6thrust23THRUST_200600_302600_NS10device_ptrIiEESB_SB_iNS9_4plusIvEENS9_8equal_toIvEEiEE10hipError_tPvRmT2_T3_T4_T5_mT6_T7_P12ihipStream_tbENKUlT_T0_E_clISt17integral_constantIbLb0EESV_IbLb1EEEEDaSR_SS_EUlSR_E_NS1_11comp_targetILNS1_3genE8ELNS1_11target_archE1030ELNS1_3gpuE2ELNS1_3repE0EEENS1_30default_config_static_selectorELNS0_4arch9wavefront6targetE0EEEvT1_
		.amdhsa_group_segment_fixed_size 0
		.amdhsa_private_segment_fixed_size 0
		.amdhsa_kernarg_size 112
		.amdhsa_user_sgpr_count 2
		.amdhsa_user_sgpr_dispatch_ptr 0
		.amdhsa_user_sgpr_queue_ptr 0
		.amdhsa_user_sgpr_kernarg_segment_ptr 1
		.amdhsa_user_sgpr_dispatch_id 0
		.amdhsa_user_sgpr_kernarg_preload_length 0
		.amdhsa_user_sgpr_kernarg_preload_offset 0
		.amdhsa_user_sgpr_private_segment_size 0
		.amdhsa_wavefront_size32 1
		.amdhsa_uses_dynamic_stack 0
		.amdhsa_enable_private_segment 0
		.amdhsa_system_sgpr_workgroup_id_x 1
		.amdhsa_system_sgpr_workgroup_id_y 0
		.amdhsa_system_sgpr_workgroup_id_z 0
		.amdhsa_system_sgpr_workgroup_info 0
		.amdhsa_system_vgpr_workitem_id 0
		.amdhsa_next_free_vgpr 1
		.amdhsa_next_free_sgpr 1
		.amdhsa_named_barrier_count 0
		.amdhsa_reserve_vcc 0
		.amdhsa_float_round_mode_32 0
		.amdhsa_float_round_mode_16_64 0
		.amdhsa_float_denorm_mode_32 3
		.amdhsa_float_denorm_mode_16_64 3
		.amdhsa_fp16_overflow 0
		.amdhsa_memory_ordered 1
		.amdhsa_forward_progress 1
		.amdhsa_inst_pref_size 0
		.amdhsa_round_robin_scheduling 0
		.amdhsa_exception_fp_ieee_invalid_op 0
		.amdhsa_exception_fp_denorm_src 0
		.amdhsa_exception_fp_ieee_div_zero 0
		.amdhsa_exception_fp_ieee_overflow 0
		.amdhsa_exception_fp_ieee_underflow 0
		.amdhsa_exception_fp_ieee_inexact 0
		.amdhsa_exception_int_div_zero 0
	.end_amdhsa_kernel
	.section	.text._ZN7rocprim17ROCPRIM_400000_NS6detail17trampoline_kernelINS0_14default_configENS1_27scan_by_key_config_selectorIiiEEZZNS1_16scan_by_key_implILNS1_25lookback_scan_determinismE0ELb0ES3_N6thrust23THRUST_200600_302600_NS10device_ptrIiEESB_SB_iNS9_4plusIvEENS9_8equal_toIvEEiEE10hipError_tPvRmT2_T3_T4_T5_mT6_T7_P12ihipStream_tbENKUlT_T0_E_clISt17integral_constantIbLb0EESV_IbLb1EEEEDaSR_SS_EUlSR_E_NS1_11comp_targetILNS1_3genE8ELNS1_11target_archE1030ELNS1_3gpuE2ELNS1_3repE0EEENS1_30default_config_static_selectorELNS0_4arch9wavefront6targetE0EEEvT1_,"axG",@progbits,_ZN7rocprim17ROCPRIM_400000_NS6detail17trampoline_kernelINS0_14default_configENS1_27scan_by_key_config_selectorIiiEEZZNS1_16scan_by_key_implILNS1_25lookback_scan_determinismE0ELb0ES3_N6thrust23THRUST_200600_302600_NS10device_ptrIiEESB_SB_iNS9_4plusIvEENS9_8equal_toIvEEiEE10hipError_tPvRmT2_T3_T4_T5_mT6_T7_P12ihipStream_tbENKUlT_T0_E_clISt17integral_constantIbLb0EESV_IbLb1EEEEDaSR_SS_EUlSR_E_NS1_11comp_targetILNS1_3genE8ELNS1_11target_archE1030ELNS1_3gpuE2ELNS1_3repE0EEENS1_30default_config_static_selectorELNS0_4arch9wavefront6targetE0EEEvT1_,comdat
.Lfunc_end2232:
	.size	_ZN7rocprim17ROCPRIM_400000_NS6detail17trampoline_kernelINS0_14default_configENS1_27scan_by_key_config_selectorIiiEEZZNS1_16scan_by_key_implILNS1_25lookback_scan_determinismE0ELb0ES3_N6thrust23THRUST_200600_302600_NS10device_ptrIiEESB_SB_iNS9_4plusIvEENS9_8equal_toIvEEiEE10hipError_tPvRmT2_T3_T4_T5_mT6_T7_P12ihipStream_tbENKUlT_T0_E_clISt17integral_constantIbLb0EESV_IbLb1EEEEDaSR_SS_EUlSR_E_NS1_11comp_targetILNS1_3genE8ELNS1_11target_archE1030ELNS1_3gpuE2ELNS1_3repE0EEENS1_30default_config_static_selectorELNS0_4arch9wavefront6targetE0EEEvT1_, .Lfunc_end2232-_ZN7rocprim17ROCPRIM_400000_NS6detail17trampoline_kernelINS0_14default_configENS1_27scan_by_key_config_selectorIiiEEZZNS1_16scan_by_key_implILNS1_25lookback_scan_determinismE0ELb0ES3_N6thrust23THRUST_200600_302600_NS10device_ptrIiEESB_SB_iNS9_4plusIvEENS9_8equal_toIvEEiEE10hipError_tPvRmT2_T3_T4_T5_mT6_T7_P12ihipStream_tbENKUlT_T0_E_clISt17integral_constantIbLb0EESV_IbLb1EEEEDaSR_SS_EUlSR_E_NS1_11comp_targetILNS1_3genE8ELNS1_11target_archE1030ELNS1_3gpuE2ELNS1_3repE0EEENS1_30default_config_static_selectorELNS0_4arch9wavefront6targetE0EEEvT1_
                                        ; -- End function
	.set _ZN7rocprim17ROCPRIM_400000_NS6detail17trampoline_kernelINS0_14default_configENS1_27scan_by_key_config_selectorIiiEEZZNS1_16scan_by_key_implILNS1_25lookback_scan_determinismE0ELb0ES3_N6thrust23THRUST_200600_302600_NS10device_ptrIiEESB_SB_iNS9_4plusIvEENS9_8equal_toIvEEiEE10hipError_tPvRmT2_T3_T4_T5_mT6_T7_P12ihipStream_tbENKUlT_T0_E_clISt17integral_constantIbLb0EESV_IbLb1EEEEDaSR_SS_EUlSR_E_NS1_11comp_targetILNS1_3genE8ELNS1_11target_archE1030ELNS1_3gpuE2ELNS1_3repE0EEENS1_30default_config_static_selectorELNS0_4arch9wavefront6targetE0EEEvT1_.num_vgpr, 0
	.set _ZN7rocprim17ROCPRIM_400000_NS6detail17trampoline_kernelINS0_14default_configENS1_27scan_by_key_config_selectorIiiEEZZNS1_16scan_by_key_implILNS1_25lookback_scan_determinismE0ELb0ES3_N6thrust23THRUST_200600_302600_NS10device_ptrIiEESB_SB_iNS9_4plusIvEENS9_8equal_toIvEEiEE10hipError_tPvRmT2_T3_T4_T5_mT6_T7_P12ihipStream_tbENKUlT_T0_E_clISt17integral_constantIbLb0EESV_IbLb1EEEEDaSR_SS_EUlSR_E_NS1_11comp_targetILNS1_3genE8ELNS1_11target_archE1030ELNS1_3gpuE2ELNS1_3repE0EEENS1_30default_config_static_selectorELNS0_4arch9wavefront6targetE0EEEvT1_.num_agpr, 0
	.set _ZN7rocprim17ROCPRIM_400000_NS6detail17trampoline_kernelINS0_14default_configENS1_27scan_by_key_config_selectorIiiEEZZNS1_16scan_by_key_implILNS1_25lookback_scan_determinismE0ELb0ES3_N6thrust23THRUST_200600_302600_NS10device_ptrIiEESB_SB_iNS9_4plusIvEENS9_8equal_toIvEEiEE10hipError_tPvRmT2_T3_T4_T5_mT6_T7_P12ihipStream_tbENKUlT_T0_E_clISt17integral_constantIbLb0EESV_IbLb1EEEEDaSR_SS_EUlSR_E_NS1_11comp_targetILNS1_3genE8ELNS1_11target_archE1030ELNS1_3gpuE2ELNS1_3repE0EEENS1_30default_config_static_selectorELNS0_4arch9wavefront6targetE0EEEvT1_.numbered_sgpr, 0
	.set _ZN7rocprim17ROCPRIM_400000_NS6detail17trampoline_kernelINS0_14default_configENS1_27scan_by_key_config_selectorIiiEEZZNS1_16scan_by_key_implILNS1_25lookback_scan_determinismE0ELb0ES3_N6thrust23THRUST_200600_302600_NS10device_ptrIiEESB_SB_iNS9_4plusIvEENS9_8equal_toIvEEiEE10hipError_tPvRmT2_T3_T4_T5_mT6_T7_P12ihipStream_tbENKUlT_T0_E_clISt17integral_constantIbLb0EESV_IbLb1EEEEDaSR_SS_EUlSR_E_NS1_11comp_targetILNS1_3genE8ELNS1_11target_archE1030ELNS1_3gpuE2ELNS1_3repE0EEENS1_30default_config_static_selectorELNS0_4arch9wavefront6targetE0EEEvT1_.num_named_barrier, 0
	.set _ZN7rocprim17ROCPRIM_400000_NS6detail17trampoline_kernelINS0_14default_configENS1_27scan_by_key_config_selectorIiiEEZZNS1_16scan_by_key_implILNS1_25lookback_scan_determinismE0ELb0ES3_N6thrust23THRUST_200600_302600_NS10device_ptrIiEESB_SB_iNS9_4plusIvEENS9_8equal_toIvEEiEE10hipError_tPvRmT2_T3_T4_T5_mT6_T7_P12ihipStream_tbENKUlT_T0_E_clISt17integral_constantIbLb0EESV_IbLb1EEEEDaSR_SS_EUlSR_E_NS1_11comp_targetILNS1_3genE8ELNS1_11target_archE1030ELNS1_3gpuE2ELNS1_3repE0EEENS1_30default_config_static_selectorELNS0_4arch9wavefront6targetE0EEEvT1_.private_seg_size, 0
	.set _ZN7rocprim17ROCPRIM_400000_NS6detail17trampoline_kernelINS0_14default_configENS1_27scan_by_key_config_selectorIiiEEZZNS1_16scan_by_key_implILNS1_25lookback_scan_determinismE0ELb0ES3_N6thrust23THRUST_200600_302600_NS10device_ptrIiEESB_SB_iNS9_4plusIvEENS9_8equal_toIvEEiEE10hipError_tPvRmT2_T3_T4_T5_mT6_T7_P12ihipStream_tbENKUlT_T0_E_clISt17integral_constantIbLb0EESV_IbLb1EEEEDaSR_SS_EUlSR_E_NS1_11comp_targetILNS1_3genE8ELNS1_11target_archE1030ELNS1_3gpuE2ELNS1_3repE0EEENS1_30default_config_static_selectorELNS0_4arch9wavefront6targetE0EEEvT1_.uses_vcc, 0
	.set _ZN7rocprim17ROCPRIM_400000_NS6detail17trampoline_kernelINS0_14default_configENS1_27scan_by_key_config_selectorIiiEEZZNS1_16scan_by_key_implILNS1_25lookback_scan_determinismE0ELb0ES3_N6thrust23THRUST_200600_302600_NS10device_ptrIiEESB_SB_iNS9_4plusIvEENS9_8equal_toIvEEiEE10hipError_tPvRmT2_T3_T4_T5_mT6_T7_P12ihipStream_tbENKUlT_T0_E_clISt17integral_constantIbLb0EESV_IbLb1EEEEDaSR_SS_EUlSR_E_NS1_11comp_targetILNS1_3genE8ELNS1_11target_archE1030ELNS1_3gpuE2ELNS1_3repE0EEENS1_30default_config_static_selectorELNS0_4arch9wavefront6targetE0EEEvT1_.uses_flat_scratch, 0
	.set _ZN7rocprim17ROCPRIM_400000_NS6detail17trampoline_kernelINS0_14default_configENS1_27scan_by_key_config_selectorIiiEEZZNS1_16scan_by_key_implILNS1_25lookback_scan_determinismE0ELb0ES3_N6thrust23THRUST_200600_302600_NS10device_ptrIiEESB_SB_iNS9_4plusIvEENS9_8equal_toIvEEiEE10hipError_tPvRmT2_T3_T4_T5_mT6_T7_P12ihipStream_tbENKUlT_T0_E_clISt17integral_constantIbLb0EESV_IbLb1EEEEDaSR_SS_EUlSR_E_NS1_11comp_targetILNS1_3genE8ELNS1_11target_archE1030ELNS1_3gpuE2ELNS1_3repE0EEENS1_30default_config_static_selectorELNS0_4arch9wavefront6targetE0EEEvT1_.has_dyn_sized_stack, 0
	.set _ZN7rocprim17ROCPRIM_400000_NS6detail17trampoline_kernelINS0_14default_configENS1_27scan_by_key_config_selectorIiiEEZZNS1_16scan_by_key_implILNS1_25lookback_scan_determinismE0ELb0ES3_N6thrust23THRUST_200600_302600_NS10device_ptrIiEESB_SB_iNS9_4plusIvEENS9_8equal_toIvEEiEE10hipError_tPvRmT2_T3_T4_T5_mT6_T7_P12ihipStream_tbENKUlT_T0_E_clISt17integral_constantIbLb0EESV_IbLb1EEEEDaSR_SS_EUlSR_E_NS1_11comp_targetILNS1_3genE8ELNS1_11target_archE1030ELNS1_3gpuE2ELNS1_3repE0EEENS1_30default_config_static_selectorELNS0_4arch9wavefront6targetE0EEEvT1_.has_recursion, 0
	.set _ZN7rocprim17ROCPRIM_400000_NS6detail17trampoline_kernelINS0_14default_configENS1_27scan_by_key_config_selectorIiiEEZZNS1_16scan_by_key_implILNS1_25lookback_scan_determinismE0ELb0ES3_N6thrust23THRUST_200600_302600_NS10device_ptrIiEESB_SB_iNS9_4plusIvEENS9_8equal_toIvEEiEE10hipError_tPvRmT2_T3_T4_T5_mT6_T7_P12ihipStream_tbENKUlT_T0_E_clISt17integral_constantIbLb0EESV_IbLb1EEEEDaSR_SS_EUlSR_E_NS1_11comp_targetILNS1_3genE8ELNS1_11target_archE1030ELNS1_3gpuE2ELNS1_3repE0EEENS1_30default_config_static_selectorELNS0_4arch9wavefront6targetE0EEEvT1_.has_indirect_call, 0
	.section	.AMDGPU.csdata,"",@progbits
; Kernel info:
; codeLenInByte = 0
; TotalNumSgprs: 0
; NumVgprs: 0
; ScratchSize: 0
; MemoryBound: 0
; FloatMode: 240
; IeeeMode: 1
; LDSByteSize: 0 bytes/workgroup (compile time only)
; SGPRBlocks: 0
; VGPRBlocks: 0
; NumSGPRsForWavesPerEU: 1
; NumVGPRsForWavesPerEU: 1
; NamedBarCnt: 0
; Occupancy: 16
; WaveLimiterHint : 0
; COMPUTE_PGM_RSRC2:SCRATCH_EN: 0
; COMPUTE_PGM_RSRC2:USER_SGPR: 2
; COMPUTE_PGM_RSRC2:TRAP_HANDLER: 0
; COMPUTE_PGM_RSRC2:TGID_X_EN: 1
; COMPUTE_PGM_RSRC2:TGID_Y_EN: 0
; COMPUTE_PGM_RSRC2:TGID_Z_EN: 0
; COMPUTE_PGM_RSRC2:TIDIG_COMP_CNT: 0
	.section	.text._ZN7rocprim17ROCPRIM_400000_NS6detail17trampoline_kernelINS0_14default_configENS1_27scan_by_key_config_selectorIiiEEZZNS1_16scan_by_key_implILNS1_25lookback_scan_determinismE0ELb1ES3_N6thrust23THRUST_200600_302600_NS10device_ptrIiEESB_SB_iNS9_4plusIvEENS9_8equal_toIvEEiEE10hipError_tPvRmT2_T3_T4_T5_mT6_T7_P12ihipStream_tbENKUlT_T0_E_clISt17integral_constantIbLb0EESW_EEDaSR_SS_EUlSR_E_NS1_11comp_targetILNS1_3genE0ELNS1_11target_archE4294967295ELNS1_3gpuE0ELNS1_3repE0EEENS1_30default_config_static_selectorELNS0_4arch9wavefront6targetE0EEEvT1_,"axG",@progbits,_ZN7rocprim17ROCPRIM_400000_NS6detail17trampoline_kernelINS0_14default_configENS1_27scan_by_key_config_selectorIiiEEZZNS1_16scan_by_key_implILNS1_25lookback_scan_determinismE0ELb1ES3_N6thrust23THRUST_200600_302600_NS10device_ptrIiEESB_SB_iNS9_4plusIvEENS9_8equal_toIvEEiEE10hipError_tPvRmT2_T3_T4_T5_mT6_T7_P12ihipStream_tbENKUlT_T0_E_clISt17integral_constantIbLb0EESW_EEDaSR_SS_EUlSR_E_NS1_11comp_targetILNS1_3genE0ELNS1_11target_archE4294967295ELNS1_3gpuE0ELNS1_3repE0EEENS1_30default_config_static_selectorELNS0_4arch9wavefront6targetE0EEEvT1_,comdat
	.protected	_ZN7rocprim17ROCPRIM_400000_NS6detail17trampoline_kernelINS0_14default_configENS1_27scan_by_key_config_selectorIiiEEZZNS1_16scan_by_key_implILNS1_25lookback_scan_determinismE0ELb1ES3_N6thrust23THRUST_200600_302600_NS10device_ptrIiEESB_SB_iNS9_4plusIvEENS9_8equal_toIvEEiEE10hipError_tPvRmT2_T3_T4_T5_mT6_T7_P12ihipStream_tbENKUlT_T0_E_clISt17integral_constantIbLb0EESW_EEDaSR_SS_EUlSR_E_NS1_11comp_targetILNS1_3genE0ELNS1_11target_archE4294967295ELNS1_3gpuE0ELNS1_3repE0EEENS1_30default_config_static_selectorELNS0_4arch9wavefront6targetE0EEEvT1_ ; -- Begin function _ZN7rocprim17ROCPRIM_400000_NS6detail17trampoline_kernelINS0_14default_configENS1_27scan_by_key_config_selectorIiiEEZZNS1_16scan_by_key_implILNS1_25lookback_scan_determinismE0ELb1ES3_N6thrust23THRUST_200600_302600_NS10device_ptrIiEESB_SB_iNS9_4plusIvEENS9_8equal_toIvEEiEE10hipError_tPvRmT2_T3_T4_T5_mT6_T7_P12ihipStream_tbENKUlT_T0_E_clISt17integral_constantIbLb0EESW_EEDaSR_SS_EUlSR_E_NS1_11comp_targetILNS1_3genE0ELNS1_11target_archE4294967295ELNS1_3gpuE0ELNS1_3repE0EEENS1_30default_config_static_selectorELNS0_4arch9wavefront6targetE0EEEvT1_
	.globl	_ZN7rocprim17ROCPRIM_400000_NS6detail17trampoline_kernelINS0_14default_configENS1_27scan_by_key_config_selectorIiiEEZZNS1_16scan_by_key_implILNS1_25lookback_scan_determinismE0ELb1ES3_N6thrust23THRUST_200600_302600_NS10device_ptrIiEESB_SB_iNS9_4plusIvEENS9_8equal_toIvEEiEE10hipError_tPvRmT2_T3_T4_T5_mT6_T7_P12ihipStream_tbENKUlT_T0_E_clISt17integral_constantIbLb0EESW_EEDaSR_SS_EUlSR_E_NS1_11comp_targetILNS1_3genE0ELNS1_11target_archE4294967295ELNS1_3gpuE0ELNS1_3repE0EEENS1_30default_config_static_selectorELNS0_4arch9wavefront6targetE0EEEvT1_
	.p2align	8
	.type	_ZN7rocprim17ROCPRIM_400000_NS6detail17trampoline_kernelINS0_14default_configENS1_27scan_by_key_config_selectorIiiEEZZNS1_16scan_by_key_implILNS1_25lookback_scan_determinismE0ELb1ES3_N6thrust23THRUST_200600_302600_NS10device_ptrIiEESB_SB_iNS9_4plusIvEENS9_8equal_toIvEEiEE10hipError_tPvRmT2_T3_T4_T5_mT6_T7_P12ihipStream_tbENKUlT_T0_E_clISt17integral_constantIbLb0EESW_EEDaSR_SS_EUlSR_E_NS1_11comp_targetILNS1_3genE0ELNS1_11target_archE4294967295ELNS1_3gpuE0ELNS1_3repE0EEENS1_30default_config_static_selectorELNS0_4arch9wavefront6targetE0EEEvT1_,@function
_ZN7rocprim17ROCPRIM_400000_NS6detail17trampoline_kernelINS0_14default_configENS1_27scan_by_key_config_selectorIiiEEZZNS1_16scan_by_key_implILNS1_25lookback_scan_determinismE0ELb1ES3_N6thrust23THRUST_200600_302600_NS10device_ptrIiEESB_SB_iNS9_4plusIvEENS9_8equal_toIvEEiEE10hipError_tPvRmT2_T3_T4_T5_mT6_T7_P12ihipStream_tbENKUlT_T0_E_clISt17integral_constantIbLb0EESW_EEDaSR_SS_EUlSR_E_NS1_11comp_targetILNS1_3genE0ELNS1_11target_archE4294967295ELNS1_3gpuE0ELNS1_3repE0EEENS1_30default_config_static_selectorELNS0_4arch9wavefront6targetE0EEEvT1_: ; @_ZN7rocprim17ROCPRIM_400000_NS6detail17trampoline_kernelINS0_14default_configENS1_27scan_by_key_config_selectorIiiEEZZNS1_16scan_by_key_implILNS1_25lookback_scan_determinismE0ELb1ES3_N6thrust23THRUST_200600_302600_NS10device_ptrIiEESB_SB_iNS9_4plusIvEENS9_8equal_toIvEEiEE10hipError_tPvRmT2_T3_T4_T5_mT6_T7_P12ihipStream_tbENKUlT_T0_E_clISt17integral_constantIbLb0EESW_EEDaSR_SS_EUlSR_E_NS1_11comp_targetILNS1_3genE0ELNS1_11target_archE4294967295ELNS1_3gpuE0ELNS1_3repE0EEENS1_30default_config_static_selectorELNS0_4arch9wavefront6targetE0EEEvT1_
; %bb.0:
	s_clause 0x2
	s_load_b96 s[24:26], s[0:1], 0x38
	s_load_b256 s[8:15], s[0:1], 0x0
	s_load_b128 s[20:23], s[0:1], 0x48
	s_bfe_u32 s4, ttmp6, 0x4000c
	s_delay_alu instid0(SALU_CYCLE_1)
	s_add_co_i32 s4, s4, 1
	s_clause 0x1
	s_load_b32 s33, s[0:1], 0x20
	s_load_b128 s[16:19], s[0:1], 0x28
	s_and_b32 s2, ttmp6, 15
	s_wait_xcnt 0x0
	s_mul_i32 s0, ttmp9, s4
	s_getreg_b32 s5, hwreg(HW_REG_IB_STS2, 6, 4)
	s_add_co_i32 s6, s2, s0
	s_mov_b32 s3, 0
	s_barrier_signal -1
	s_mov_b32 s29, s3
	s_barrier_wait -1
	s_wait_kmcnt 0x0
	s_mov_b32 s2, s26
	s_lshl_b64 s[26:27], s[10:11], 2
	s_cmp_eq_u32 s5, 0
	s_mul_u64 s[4:5], s[24:25], s[2:3]
	s_cselect_b32 s28, ttmp9, s6
	s_add_nc_u64 s[0:1], s[8:9], s[26:27]
	s_add_nc_u64 s[4:5], s[4:5], s[28:29]
	s_add_nc_u64 s[8:9], s[20:21], -1
	s_mul_i32 s2, s28, 0xc00
	v_cmp_ge_u64_e64 s19, s[4:5], s[8:9]
	s_add_nc_u64 s[6:7], s[12:13], s[26:27]
	s_lshl_b64 s[20:21], s[2:3], 2
	s_mul_i32 s29, s8, 0xfffff400
	s_add_nc_u64 s[30:31], s[0:1], s[20:21]
	s_add_nc_u64 s[12:13], s[6:7], s[20:21]
	s_and_b32 vcc_lo, exec_lo, s19
	s_cbranch_vccz .LBB2233_66
; %bb.1:
	v_mov_b32_e32 v1, 0
	s_add_co_i32 s34, s29, s18
	s_delay_alu instid0(SALU_CYCLE_1)
	v_cmp_gt_u32_e32 vcc_lo, s34, v0
	flat_load_b32 v1, v1, s[30:31]
	s_wait_loadcnt_dscnt 0x0
	v_mov_b32_e32 v2, v1
	s_and_saveexec_b32 s0, vcc_lo
	s_cbranch_execz .LBB2233_3
; %bb.2:
	flat_load_b32 v2, v0, s[30:31] scale_offset
.LBB2233_3:
	s_wait_xcnt 0x0
	s_or_b32 exec_lo, exec_lo, s0
	v_or_b32_e32 v3, 0x100, v0
	s_delay_alu instid0(VALU_DEP_1)
	v_cmp_gt_u32_e64 s0, s34, v3
	v_mov_b32_e32 v3, v1
	s_and_saveexec_b32 s1, s0
	s_cbranch_execz .LBB2233_5
; %bb.4:
	flat_load_b32 v3, v0, s[30:31] offset:1024 scale_offset
.LBB2233_5:
	s_wait_xcnt 0x0
	s_or_b32 exec_lo, exec_lo, s1
	v_or_b32_e32 v4, 0x200, v0
	s_delay_alu instid0(VALU_DEP_1)
	v_cmp_gt_u32_e64 s1, s34, v4
	v_mov_b32_e32 v4, v1
	s_and_saveexec_b32 s2, s1
	s_cbranch_execz .LBB2233_7
; %bb.6:
	flat_load_b32 v4, v0, s[30:31] offset:2048 scale_offset
.LBB2233_7:
	;; [unrolled: 11-line block ×10, first 2 shown]
	s_wait_xcnt 0x0
	s_or_b32 exec_lo, exec_lo, s10
	v_or_b32_e32 v13, 0xb00, v0
	s_delay_alu instid0(VALU_DEP_1) | instskip(SKIP_2) | instid1(SALU_CYCLE_1)
	v_cmp_gt_u32_e64 s10, s34, v13
	v_cmp_le_u32_e64 s11, s34, v13
	s_and_saveexec_b32 s35, s11
	s_xor_b32 s11, exec_lo, s35
	s_delay_alu instid0(SALU_CYCLE_1)
	s_and_not1_saveexec_b32 s11, s11
	s_cbranch_execz .LBB2233_25
; %bb.24:
	flat_load_b32 v1, v0, s[30:31] offset:11264 scale_offset
.LBB2233_25:
	s_wait_xcnt 0x0
	s_or_b32 exec_lo, exec_lo, s11
	v_lshlrev_b32_e32 v14, 2, v0
	s_mov_b32 s35, exec_lo
	s_wait_loadcnt_dscnt 0x0
	ds_store_2addr_stride64_b32 v14, v2, v3 offset1:4
	ds_store_2addr_stride64_b32 v14, v4, v5 offset0:8 offset1:12
	ds_store_2addr_stride64_b32 v14, v6, v7 offset0:16 offset1:20
	;; [unrolled: 1-line block ×5, first 2 shown]
	v_mov_b32_e32 v1, 0
	s_wait_dscnt 0x0
	s_barrier_signal -1
	s_barrier_wait -1
	flat_load_b32 v38, v1, s[30:31]
	s_wait_xcnt 0x0
	v_mad_u32_u24 v1, v0, 44, v14
	ds_load_b128 v[10:13], v1
	ds_load_b128 v[6:9], v1 offset:16
	ds_load_b128 v[2:5], v1 offset:32
	v_mad_i32_i24 v15, 0xffffffd4, v0, v1
	s_wait_dscnt 0x2
	ds_store_b32 v15, v10 offset:13312
	s_wait_loadcnt_dscnt 0x0
	s_barrier_signal -1
	s_barrier_wait -1
	v_cmpx_ne_u32_e32 0xff, v0
; %bb.26:
	v_mul_i32_i24_e32 v15, 0xffffffd4, v0
	s_delay_alu instid0(VALU_DEP_1)
	v_add_nc_u32_e32 v15, v1, v15
	ds_load_b32 v38, v15 offset:13316
; %bb.27:
	s_or_b32 exec_lo, exec_lo, s35
	s_wait_dscnt 0x0
	s_barrier_signal -1
	s_barrier_wait -1
                                        ; implicit-def: $vgpr15
	s_and_saveexec_b32 s11, vcc_lo
	s_cbranch_execz .LBB2233_102
; %bb.28:
	flat_load_b32 v15, v0, s[12:13] scale_offset
	s_wait_xcnt 0x0
	s_or_b32 exec_lo, exec_lo, s11
                                        ; implicit-def: $vgpr16
	s_and_saveexec_b32 s11, s0
	s_cbranch_execnz .LBB2233_103
.LBB2233_29:
	s_or_b32 exec_lo, exec_lo, s11
                                        ; implicit-def: $vgpr17
	s_and_saveexec_b32 s0, s1
	s_cbranch_execz .LBB2233_104
.LBB2233_30:
	flat_load_b32 v17, v0, s[12:13] offset:2048 scale_offset
	s_wait_xcnt 0x0
	s_or_b32 exec_lo, exec_lo, s0
                                        ; implicit-def: $vgpr18
	s_and_saveexec_b32 s0, s2
	s_cbranch_execnz .LBB2233_105
.LBB2233_31:
	s_or_b32 exec_lo, exec_lo, s0
                                        ; implicit-def: $vgpr19
	s_and_saveexec_b32 s0, s3
	s_cbranch_execz .LBB2233_106
.LBB2233_32:
	flat_load_b32 v19, v0, s[12:13] offset:4096 scale_offset
	s_wait_xcnt 0x0
	s_or_b32 exec_lo, exec_lo, s0
                                        ; implicit-def: $vgpr20
	s_and_saveexec_b32 s0, s4
	s_cbranch_execnz .LBB2233_107
.LBB2233_33:
	s_or_b32 exec_lo, exec_lo, s0
                                        ; implicit-def: $vgpr21
	s_and_saveexec_b32 s0, s5
	s_cbranch_execz .LBB2233_108
.LBB2233_34:
	flat_load_b32 v21, v0, s[12:13] offset:6144 scale_offset
	s_wait_xcnt 0x0
	s_or_b32 exec_lo, exec_lo, s0
                                        ; implicit-def: $vgpr22
	s_and_saveexec_b32 s0, s6
	s_cbranch_execnz .LBB2233_109
.LBB2233_35:
	s_or_b32 exec_lo, exec_lo, s0
                                        ; implicit-def: $vgpr23
	s_and_saveexec_b32 s0, s7
	s_cbranch_execz .LBB2233_110
.LBB2233_36:
	flat_load_b32 v23, v0, s[12:13] offset:8192 scale_offset
	s_wait_xcnt 0x0
	s_or_b32 exec_lo, exec_lo, s0
                                        ; implicit-def: $vgpr24
	s_and_saveexec_b32 s0, s8
	s_cbranch_execnz .LBB2233_111
.LBB2233_37:
	s_or_b32 exec_lo, exec_lo, s0
                                        ; implicit-def: $vgpr25
	s_and_saveexec_b32 s0, s9
	s_cbranch_execz .LBB2233_39
.LBB2233_38:
	flat_load_b32 v25, v0, s[12:13] offset:10240 scale_offset
.LBB2233_39:
	s_wait_xcnt 0x0
	s_or_b32 exec_lo, exec_lo, s0
	v_mul_u32_u24_e32 v39, 12, v0
                                        ; implicit-def: $vgpr26
	s_and_saveexec_b32 s0, s10
	s_cbranch_execz .LBB2233_41
; %bb.40:
	flat_load_b32 v26, v0, s[12:13] offset:11264 scale_offset
.LBB2233_41:
	s_wait_xcnt 0x0
	s_or_b32 exec_lo, exec_lo, s0
	s_wait_loadcnt_dscnt 0x0
	ds_store_2addr_stride64_b32 v14, v15, v16 offset1:4
	ds_store_2addr_stride64_b32 v14, v17, v18 offset0:8 offset1:12
	ds_store_2addr_stride64_b32 v14, v19, v20 offset0:16 offset1:20
	;; [unrolled: 1-line block ×5, first 2 shown]
	v_mov_b64_e32 v[14:15], 0
	v_mov_b64_e32 v[42:43], 0
	;; [unrolled: 1-line block ×21, first 2 shown]
	s_mov_b32 s0, 0
	s_mov_b32 s3, 0
	s_mov_b32 s1, exec_lo
	s_wait_dscnt 0x0
	s_barrier_signal -1
	s_barrier_wait -1
                                        ; implicit-def: $sgpr2
                                        ; implicit-def: $vgpr60
	v_cmpx_gt_u32_e64 s34, v39
	s_cbranch_execz .LBB2233_65
; %bb.42:
	ds_load_b32 v14, v1
	v_cmp_eq_u32_e32 vcc_lo, v10, v11
	v_or_b32_e32 v16, 1, v39
	v_mov_b64_e32 v[42:43], 0
	v_mov_b64_e32 v[40:41], 0
	;; [unrolled: 1-line block ×17, first 2 shown]
	s_wait_dscnt 0x0
	v_cndmask_b32_e32 v14, s33, v14, vcc_lo
	v_cmp_ne_u32_e32 vcc_lo, v10, v11
	v_mov_b64_e32 v[20:21], 0
	v_mov_b64_e32 v[18:19], 0
	s_mov_b32 s4, 0
	s_mov_b32 s3, exec_lo
	v_cndmask_b32_e64 v15, 0, 1, vcc_lo
                                        ; implicit-def: $sgpr2
                                        ; implicit-def: $vgpr60
	v_cmpx_gt_u32_e64 s34, v16
	s_cbranch_execz .LBB2233_64
; %bb.43:
	ds_load_2addr_b32 v[16:17], v1 offset0:1 offset1:2
	v_cmp_eq_u32_e32 vcc_lo, v11, v12
	v_or_b32_e32 v10, 2, v39
	v_mov_b64_e32 v[40:41], 0
	v_mov_b64_e32 v[44:45], 0
	;; [unrolled: 1-line block ×17, first 2 shown]
	s_wait_dscnt 0x0
	v_cndmask_b32_e32 v42, s33, v16, vcc_lo
	v_cmp_ne_u32_e32 vcc_lo, v11, v12
	s_mov_b32 s5, 0
	s_mov_b32 s4, exec_lo
                                        ; implicit-def: $sgpr2
                                        ; implicit-def: $vgpr60
	v_cndmask_b32_e64 v43, 0, 1, vcc_lo
	v_cmpx_gt_u32_e64 s34, v10
	s_cbranch_execz .LBB2233_63
; %bb.44:
	v_cmp_eq_u32_e32 vcc_lo, v12, v13
	v_mov_b64_e32 v[44:45], 0
	v_mov_b64_e32 v[46:47], 0
	;; [unrolled: 1-line block ×4, first 2 shown]
	v_dual_cndmask_b32 v40, s33, v17, vcc_lo :: v_dual_bitop2_b32 v10, 3, v39 bitop3:0x54
	v_cmp_ne_u32_e32 vcc_lo, v12, v13
	v_mov_b64_e32 v[52:53], 0
	v_mov_b64_e32 v[54:55], 0
	;; [unrolled: 1-line block ×11, first 2 shown]
	v_cndmask_b32_e64 v41, 0, 1, vcc_lo
	s_mov_b32 s6, 0
	s_mov_b32 s5, exec_lo
                                        ; implicit-def: $sgpr2
                                        ; implicit-def: $vgpr60
	v_cmpx_gt_u32_e64 s34, v10
	s_cbranch_execz .LBB2233_62
; %bb.45:
	ds_load_2addr_b32 v[10:11], v1 offset0:3 offset1:4
	v_cmp_ne_u32_e32 vcc_lo, v13, v6
	v_mov_b64_e32 v[46:47], 0
	v_mov_b64_e32 v[48:49], 0
	;; [unrolled: 1-line block ×4, first 2 shown]
	v_cndmask_b32_e64 v45, 0, 1, vcc_lo
	v_cmp_eq_u32_e32 vcc_lo, v13, v6
	v_mov_b64_e32 v[54:55], 0
	v_mov_b64_e32 v[56:57], 0
	;; [unrolled: 1-line block ×9, first 2 shown]
	v_add_nc_u32_e32 v12, 4, v39
	s_mov_b32 s7, 0
	s_mov_b32 s6, exec_lo
	s_wait_dscnt 0x0
	v_cndmask_b32_e32 v44, s33, v10, vcc_lo
                                        ; implicit-def: $sgpr2
                                        ; implicit-def: $vgpr60
	v_cmpx_gt_u32_e64 s34, v12
	s_cbranch_execz .LBB2233_61
; %bb.46:
	v_cmp_eq_u32_e32 vcc_lo, v6, v7
	v_mov_b64_e32 v[48:49], 0
	v_mov_b64_e32 v[50:51], 0
	;; [unrolled: 1-line block ×4, first 2 shown]
	v_cndmask_b32_e32 v46, s33, v11, vcc_lo
	v_cmp_ne_u32_e32 vcc_lo, v6, v7
	v_mov_b64_e32 v[56:57], 0
	v_mov_b64_e32 v[58:59], 0
	;; [unrolled: 1-line block ×7, first 2 shown]
	v_add_nc_u32_e32 v10, 5, v39
	v_cndmask_b32_e64 v47, 0, 1, vcc_lo
	s_mov_b32 s8, 0
	s_mov_b32 s7, exec_lo
                                        ; implicit-def: $sgpr2
                                        ; implicit-def: $vgpr60
	s_delay_alu instid0(VALU_DEP_2)
	v_cmpx_gt_u32_e64 s34, v10
	s_cbranch_execz .LBB2233_60
; %bb.47:
	ds_load_2addr_b32 v[10:11], v1 offset0:5 offset1:6
	v_cmp_ne_u32_e32 vcc_lo, v7, v8
	v_mov_b64_e32 v[50:51], 0
	v_mov_b64_e32 v[52:53], 0
	;; [unrolled: 1-line block ×4, first 2 shown]
	v_cndmask_b32_e64 v49, 0, 1, vcc_lo
	v_cmp_eq_u32_e32 vcc_lo, v7, v8
	v_mov_b64_e32 v[58:59], 0
	v_mov_b64_e32 v[24:25], 0
	;; [unrolled: 1-line block ×5, first 2 shown]
	v_add_nc_u32_e32 v6, 6, v39
	s_mov_b32 s9, 0
	s_mov_b32 s8, exec_lo
                                        ; implicit-def: $sgpr2
                                        ; implicit-def: $vgpr60
	s_wait_dscnt 0x0
	v_cndmask_b32_e32 v48, s33, v10, vcc_lo
	v_cmpx_gt_u32_e64 s34, v6
	s_cbranch_execz .LBB2233_59
; %bb.48:
	v_cmp_eq_u32_e32 vcc_lo, v8, v9
	v_mov_b64_e32 v[52:53], 0
	v_mov_b64_e32 v[54:55], 0
	;; [unrolled: 1-line block ×4, first 2 shown]
	v_cndmask_b32_e32 v50, s33, v11, vcc_lo
	v_cmp_ne_u32_e32 vcc_lo, v8, v9
	v_mov_b64_e32 v[22:23], 0
	v_mov_b64_e32 v[20:21], 0
	;; [unrolled: 1-line block ×3, first 2 shown]
	v_add_nc_u32_e32 v6, 7, v39
	v_cndmask_b32_e64 v51, 0, 1, vcc_lo
	s_mov_b32 s10, 0
	s_mov_b32 s9, exec_lo
                                        ; implicit-def: $sgpr2
                                        ; implicit-def: $vgpr60
	s_delay_alu instid0(VALU_DEP_2)
	v_cmpx_gt_u32_e64 s34, v6
	s_cbranch_execz .LBB2233_58
; %bb.49:
	ds_load_2addr_b32 v[6:7], v1 offset0:7 offset1:8
	v_cmp_ne_u32_e32 vcc_lo, v9, v2
	v_mov_b64_e32 v[54:55], 0
	v_mov_b64_e32 v[56:57], 0
	;; [unrolled: 1-line block ×4, first 2 shown]
	v_cndmask_b32_e64 v53, 0, 1, vcc_lo
	v_cmp_eq_u32_e32 vcc_lo, v9, v2
	v_mov_b64_e32 v[18:19], 0
	v_add_nc_u32_e32 v8, 8, v39
	s_mov_b32 s11, 0
	s_mov_b32 s10, exec_lo
                                        ; implicit-def: $sgpr2
                                        ; implicit-def: $vgpr60
	s_wait_dscnt 0x0
	v_cndmask_b32_e32 v52, s33, v6, vcc_lo
	v_cmpx_gt_u32_e64 s34, v8
	s_cbranch_execz .LBB2233_57
; %bb.50:
	v_cmp_eq_u32_e32 vcc_lo, v2, v3
	v_mov_b64_e32 v[56:57], 0
	v_mov_b64_e32 v[58:59], 0
	;; [unrolled: 1-line block ×3, first 2 shown]
	v_add_nc_u32_e32 v6, 9, v39
	v_cndmask_b32_e32 v54, s33, v7, vcc_lo
	v_cmp_ne_u32_e32 vcc_lo, v2, v3
	s_mov_b32 s35, 0
	s_mov_b32 s11, exec_lo
                                        ; implicit-def: $sgpr2
                                        ; implicit-def: $vgpr60
	v_cndmask_b32_e64 v55, 0, 1, vcc_lo
	v_cmpx_gt_u32_e64 s34, v6
	s_cbranch_execz .LBB2233_56
; %bb.51:
	ds_load_2addr_b32 v[6:7], v1 offset0:9 offset1:10
	v_cmp_ne_u32_e32 vcc_lo, v3, v4
	v_mov_b64_e32 v[58:59], 0
	s_mov_b32 s36, 0
	s_mov_b32 s35, exec_lo
                                        ; implicit-def: $sgpr2
                                        ; implicit-def: $vgpr60
	v_cndmask_b32_e64 v57, 0, 1, vcc_lo
	v_cmp_eq_u32_e32 vcc_lo, v3, v4
	s_wait_dscnt 0x0
	v_dual_add_nc_u32 v2, 10, v39 :: v_dual_cndmask_b32 v56, s33, v6, vcc_lo
	s_delay_alu instid0(VALU_DEP_1)
	v_cmpx_gt_u32_e64 s34, v2
	s_cbranch_execz .LBB2233_55
; %bb.52:
	v_cmp_eq_u32_e32 vcc_lo, v4, v5
	v_add_nc_u32_e32 v2, 11, v39
                                        ; implicit-def: $sgpr2
                                        ; implicit-def: $vgpr60
	v_cndmask_b32_e32 v58, s33, v7, vcc_lo
	v_cmp_ne_u32_e32 vcc_lo, v4, v5
	v_cndmask_b32_e64 v59, 0, 1, vcc_lo
	s_delay_alu instid0(VALU_DEP_4) | instskip(SKIP_2) | instid1(SALU_CYCLE_1)
	v_cmp_gt_u32_e32 vcc_lo, s34, v2
	s_mov_b32 s34, 0
	s_and_saveexec_b32 s36, vcc_lo
	s_xor_b32 s36, exec_lo, s36
	s_cbranch_execz .LBB2233_54
; %bb.53:
	ds_load_b32 v1, v1 offset:44
	v_cmp_ne_u32_e64 s2, v5, v38
	s_mov_b32 s34, exec_lo
	s_wait_dscnt 0x0
	v_cndmask_b32_e64 v60, v1, s33, s2
.LBB2233_54:
	s_or_b32 exec_lo, exec_lo, s36
	s_delay_alu instid0(SALU_CYCLE_1)
	s_and_b32 s36, s34, exec_lo
.LBB2233_55:
	s_or_b32 exec_lo, exec_lo, s35
	v_mov_b64_e32 v[18:19], v[58:59]
	s_and_b32 s35, s36, exec_lo
.LBB2233_56:
	s_or_b32 exec_lo, exec_lo, s11
	v_mov_b64_e32 v[20:21], v[56:57]
	s_and_b32 s11, s35, exec_lo
.LBB2233_57:
	s_or_b32 exec_lo, exec_lo, s10
	v_mov_b64_e32 v[22:23], v[54:55]
	s_and_b32 s10, s11, exec_lo
.LBB2233_58:
	s_or_b32 exec_lo, exec_lo, s9
	v_mov_b64_e32 v[24:25], v[52:53]
	s_and_b32 s9, s10, exec_lo
.LBB2233_59:
	s_or_b32 exec_lo, exec_lo, s8
	v_mov_b64_e32 v[26:27], v[50:51]
	s_and_b32 s8, s9, exec_lo
.LBB2233_60:
	s_or_b32 exec_lo, exec_lo, s7
	v_mov_b64_e32 v[28:29], v[48:49]
	s_and_b32 s7, s8, exec_lo
.LBB2233_61:
	s_or_b32 exec_lo, exec_lo, s6
	v_mov_b64_e32 v[30:31], v[46:47]
	s_and_b32 s6, s7, exec_lo
.LBB2233_62:
	s_or_b32 exec_lo, exec_lo, s5
	v_mov_b64_e32 v[32:33], v[44:45]
	s_and_b32 s5, s6, exec_lo
.LBB2233_63:
	s_or_b32 exec_lo, exec_lo, s4
	v_mov_b64_e32 v[34:35], v[40:41]
	s_and_b32 s4, s5, exec_lo
.LBB2233_64:
	s_or_b32 exec_lo, exec_lo, s3
	v_mov_b64_e32 v[36:37], v[42:43]
	s_and_b32 s3, s4, exec_lo
.LBB2233_65:
	s_or_b32 exec_lo, exec_lo, s1
	v_lshlrev_b32_e32 v16, 2, v0
	s_and_b32 vcc_lo, exec_lo, s0
	s_cbranch_vccnz .LBB2233_67
	s_branch .LBB2233_72
.LBB2233_66:
                                        ; implicit-def: $sgpr2
                                        ; implicit-def: $vgpr60
                                        ; implicit-def: $vgpr14_vgpr15
                                        ; implicit-def: $vgpr42_vgpr43
                                        ; implicit-def: $vgpr40_vgpr41
                                        ; implicit-def: $vgpr44_vgpr45
                                        ; implicit-def: $vgpr46_vgpr47
                                        ; implicit-def: $vgpr48_vgpr49
                                        ; implicit-def: $vgpr50_vgpr51
                                        ; implicit-def: $vgpr52_vgpr53
                                        ; implicit-def: $vgpr54_vgpr55
                                        ; implicit-def: $vgpr56_vgpr57
                                        ; implicit-def: $vgpr58_vgpr59
                                        ; implicit-def: $vgpr36_vgpr37
                                        ; implicit-def: $vgpr34_vgpr35
                                        ; implicit-def: $vgpr32_vgpr33
                                        ; implicit-def: $vgpr30_vgpr31
                                        ; implicit-def: $vgpr28_vgpr29
                                        ; implicit-def: $vgpr26_vgpr27
                                        ; implicit-def: $vgpr24_vgpr25
                                        ; implicit-def: $vgpr22_vgpr23
                                        ; implicit-def: $vgpr20_vgpr21
                                        ; implicit-def: $vgpr18_vgpr19
	v_lshlrev_b32_e32 v16, 2, v0
	s_cbranch_execz .LBB2233_72
.LBB2233_67:
	s_clause 0xb
	flat_load_b32 v1, v0, s[30:31] scale_offset
	flat_load_b32 v2, v0, s[30:31] offset:1024 scale_offset
	flat_load_b32 v3, v0, s[30:31] offset:2048 scale_offset
	;; [unrolled: 1-line block ×11, first 2 shown]
	v_mov_b32_e32 v13, 0
	v_mad_u32_u24 v28, v0, 44, v16
	s_mov_b32 s0, exec_lo
	s_wait_loadcnt_dscnt 0xa0a
	ds_store_2addr_stride64_b32 v16, v1, v2 offset1:4
	s_wait_loadcnt_dscnt 0x809
	ds_store_2addr_stride64_b32 v16, v3, v4 offset0:8 offset1:12
	s_wait_loadcnt_dscnt 0x608
	ds_store_2addr_stride64_b32 v16, v5, v6 offset0:16 offset1:20
	s_wait_loadcnt_dscnt 0x407
	ds_store_2addr_stride64_b32 v16, v7, v8 offset0:24 offset1:28
	s_wait_loadcnt_dscnt 0x206
	ds_store_2addr_stride64_b32 v16, v9, v10 offset0:32 offset1:36
	s_wait_loadcnt_dscnt 0x5
	ds_store_2addr_stride64_b32 v16, v11, v12 offset0:40 offset1:44
	s_wait_dscnt 0x0
	s_barrier_signal -1
	s_barrier_wait -1
	flat_load_b32 v1, v13, s[30:31] offset:12288
	s_wait_xcnt 0x0
	ds_load_b128 v[10:13], v28
	ds_load_b128 v[6:9], v28 offset:16
	ds_load_b128 v[2:5], v28 offset:32
	v_mad_i32_i24 v14, 0xffffffd4, v0, v28
	s_wait_dscnt 0x2
	ds_store_b32 v14, v10 offset:13312
	s_wait_loadcnt_dscnt 0x0
	s_barrier_signal -1
	s_barrier_wait -1
	v_cmpx_ne_u32_e32 0xff, v0
; %bb.68:
	v_mul_i32_i24_e32 v1, 0xffffffd4, v0
	s_delay_alu instid0(VALU_DEP_1)
	v_add_nc_u32_e32 v1, v28, v1
	ds_load_b32 v1, v1 offset:13316
; %bb.69:
	s_or_b32 exec_lo, exec_lo, s0
	s_wait_dscnt 0x0
	s_barrier_signal -1
	s_barrier_wait -1
	s_clause 0xb
	flat_load_b32 v14, v0, s[12:13] scale_offset
	flat_load_b32 v15, v0, s[12:13] offset:1024 scale_offset
	flat_load_b32 v17, v0, s[12:13] offset:2048 scale_offset
	;; [unrolled: 1-line block ×11, first 2 shown]
	v_cmp_eq_u32_e32 vcc_lo, v10, v11
	v_mov_b32_e32 v10, s33
	s_wait_loadcnt_dscnt 0xa0a
	ds_store_2addr_stride64_b32 v16, v14, v15 offset1:4
	s_wait_loadcnt_dscnt 0x809
	ds_store_2addr_stride64_b32 v16, v17, v18 offset0:8 offset1:12
	s_wait_loadcnt_dscnt 0x608
	ds_store_2addr_stride64_b32 v16, v19, v20 offset0:16 offset1:20
	;; [unrolled: 2-line block ×5, first 2 shown]
	s_wait_dscnt 0x0
	s_barrier_signal -1
	s_barrier_wait -1
	ds_load_2addr_b32 v[26:27], v28 offset0:1 offset1:2
	ds_load_2addr_b32 v[24:25], v28 offset0:3 offset1:4
	;; [unrolled: 1-line block ×5, first 2 shown]
	ds_load_b32 v17, v28 offset:44
	v_mov_b64_e32 v[14:15], 0x100000000
	s_and_saveexec_b32 s0, vcc_lo
; %bb.70:
	ds_load_b32 v10, v28
	v_mov_b64_e32 v[14:15], 0
; %bb.71:
	s_or_b32 exec_lo, exec_lo, s0
	v_cmp_eq_u32_e32 vcc_lo, v11, v12
	v_cmp_ne_u32_e64 s2, v5, v1
	s_mov_b32 s3, -1
	s_wait_dscnt 0x5
	v_cndmask_b32_e32 v42, s33, v26, vcc_lo
	v_cmp_ne_u32_e32 vcc_lo, v11, v12
	s_wait_dscnt 0x0
	v_cndmask_b32_e64 v60, v17, s33, s2
	v_cndmask_b32_e64 v43, 0, 1, vcc_lo
	v_cmp_eq_u32_e32 vcc_lo, v12, v13
	v_or_b32_e32 v14, v14, v10
	s_delay_alu instid0(VALU_DEP_3) | instskip(SKIP_4) | instid1(VALU_DEP_2)
	v_mov_b64_e32 v[36:37], v[42:43]
	v_cndmask_b32_e32 v40, s33, v27, vcc_lo
	v_cmp_ne_u32_e32 vcc_lo, v12, v13
	v_cndmask_b32_e64 v41, 0, 1, vcc_lo
	v_cmp_eq_u32_e32 vcc_lo, v13, v6
	v_mov_b64_e32 v[34:35], v[40:41]
	v_cndmask_b32_e32 v44, s33, v24, vcc_lo
	v_cmp_ne_u32_e32 vcc_lo, v13, v6
	v_cndmask_b32_e64 v45, 0, 1, vcc_lo
	v_cmp_eq_u32_e32 vcc_lo, v6, v7
	s_delay_alu instid0(VALU_DEP_2) | instskip(SKIP_4) | instid1(VALU_DEP_2)
	v_mov_b64_e32 v[32:33], v[44:45]
	v_cndmask_b32_e32 v46, s33, v25, vcc_lo
	v_cmp_ne_u32_e32 vcc_lo, v6, v7
	v_cndmask_b32_e64 v47, 0, 1, vcc_lo
	v_cmp_eq_u32_e32 vcc_lo, v7, v8
	v_mov_b64_e32 v[30:31], v[46:47]
	v_cndmask_b32_e32 v48, s33, v22, vcc_lo
	v_cmp_ne_u32_e32 vcc_lo, v7, v8
	v_cndmask_b32_e64 v49, 0, 1, vcc_lo
	v_cmp_eq_u32_e32 vcc_lo, v8, v9
	s_delay_alu instid0(VALU_DEP_2) | instskip(SKIP_4) | instid1(VALU_DEP_2)
	;; [unrolled: 11-line block ×3, first 2 shown]
	v_mov_b64_e32 v[24:25], v[52:53]
	v_cndmask_b32_e32 v54, s33, v21, vcc_lo
	v_cmp_ne_u32_e32 vcc_lo, v2, v3
	v_cndmask_b32_e64 v55, 0, 1, vcc_lo
	v_cmp_eq_u32_e32 vcc_lo, v3, v4
	v_mov_b64_e32 v[22:23], v[54:55]
	v_cndmask_b32_e32 v56, s33, v18, vcc_lo
	v_cmp_ne_u32_e32 vcc_lo, v3, v4
	v_cndmask_b32_e64 v57, 0, 1, vcc_lo
	v_cmp_eq_u32_e32 vcc_lo, v4, v5
	s_delay_alu instid0(VALU_DEP_2) | instskip(SKIP_3) | instid1(VALU_DEP_1)
	v_mov_b64_e32 v[20:21], v[56:57]
	v_cndmask_b32_e32 v58, s33, v19, vcc_lo
	v_cmp_ne_u32_e32 vcc_lo, v4, v5
	v_cndmask_b32_e64 v59, 0, 1, vcc_lo
	v_mov_b64_e32 v[18:19], v[58:59]
.LBB2233_72:
	v_mov_b64_e32 v[38:39], 0
	s_and_saveexec_b32 s0, s3
	s_cbranch_execz .LBB2233_74
; %bb.73:
	v_cndmask_b32_e64 v61, 0, 1, s2
	v_mov_b64_e32 v[18:19], v[58:59]
	v_mov_b64_e32 v[20:21], v[56:57]
	v_mov_b64_e32 v[22:23], v[54:55]
	v_mov_b64_e32 v[24:25], v[52:53]
	v_mov_b64_e32 v[38:39], v[60:61]
	v_mov_b64_e32 v[26:27], v[50:51]
	v_mov_b64_e32 v[28:29], v[48:49]
	v_mov_b64_e32 v[30:31], v[46:47]
	v_mov_b64_e32 v[32:33], v[44:45]
	v_mov_b64_e32 v[34:35], v[40:41]
	v_mov_b64_e32 v[36:37], v[42:43]
.LBB2233_74:
	s_or_b32 exec_lo, exec_lo, s0
	v_dual_lshrrev_b32 v1, 2, v0 :: v_dual_bitop2_b32 v40, v25, v23 bitop3:0x54
	s_delay_alu instid0(VALU_DEP_3)
	v_or_b32_e32 v17, v21, v19
	s_cmp_lg_u32 s28, 0
	v_cmp_gt_u32_e32 vcc_lo, 32, v0
	s_barrier_signal -1
	s_barrier_wait -1
	s_cbranch_scc0 .LBB2233_112
; %bb.75:
	s_mov_b64 s[10:11], 0x100000000
	v_or3_b32 v3, v40, v27, v29
	v_cmp_gt_u64_e64 s0, s[10:11], v[36:37]
	v_cmp_gt_u64_e64 s1, s[10:11], v[34:35]
	v_cmp_gt_u64_e64 s2, s[10:11], v[32:33]
	v_cmp_gt_u64_e64 s3, s[10:11], v[30:31]
	v_cmp_gt_u64_e64 s4, s[10:11], v[28:29]
	v_cmp_gt_u64_e64 s5, s[10:11], v[26:27]
	v_cmp_gt_u64_e64 s6, s[10:11], v[24:25]
	v_dual_cndmask_b32 v2, 0, v14, s0 :: v_dual_bitop2_b32 v5, 56, v1 bitop3:0x40
	v_cmp_gt_u64_e64 s7, s[10:11], v[22:23]
	v_cmp_gt_u64_e64 s8, s[10:11], v[20:21]
	;; [unrolled: 1-line block ×3, first 2 shown]
	s_delay_alu instid0(VALU_DEP_4) | instskip(SKIP_3) | instid1(VALU_DEP_4)
	v_add_nc_u32_e32 v2, v2, v36
	v_cmp_gt_u64_e64 s10, s[10:11], v[38:39]
	v_or3_b32 v3, v3, v31, v33
	v_lshl_add_u32 v5, v0, 3, v5
	v_cndmask_b32_e64 v2, 0, v2, s1
	s_delay_alu instid0(VALU_DEP_3) | instskip(NEXT) | instid1(VALU_DEP_2)
	v_or3_b32 v3, v3, v35, v37
	v_add_nc_u32_e32 v2, v2, v34
	s_delay_alu instid0(VALU_DEP_2) | instskip(NEXT) | instid1(VALU_DEP_2)
	v_or3_b32 v3, v39, v17, v3
	v_cndmask_b32_e64 v2, 0, v2, s2
	s_delay_alu instid0(VALU_DEP_2) | instskip(NEXT) | instid1(VALU_DEP_2)
	v_and_b32_e32 v3, 0xff, v3
	v_add_nc_u32_e32 v2, v2, v32
	s_delay_alu instid0(VALU_DEP_1) | instskip(NEXT) | instid1(VALU_DEP_1)
	v_cndmask_b32_e64 v2, 0, v2, s3
	v_add_nc_u32_e32 v2, v2, v30
	s_delay_alu instid0(VALU_DEP_1) | instskip(NEXT) | instid1(VALU_DEP_1)
	v_cndmask_b32_e64 v2, 0, v2, s4
	;; [unrolled: 3-line block ×7, first 2 shown]
	v_dual_add_nc_u32 v4, v2, v18 :: v_dual_mov_b32 v2, 0
	s_delay_alu instid0(VALU_DEP_1) | instskip(NEXT) | instid1(VALU_DEP_2)
	v_cndmask_b32_e64 v4, 0, v4, s10
	v_cmp_eq_u64_e64 s10, 0, v[2:3]
	s_delay_alu instid0(VALU_DEP_1)
	v_dual_add_nc_u32 v12, v4, v38 :: v_dual_cndmask_b32 v13, 1, v15, s10
	ds_store_b32 v5, v12
	ds_store_b8 v5, v13 offset:4
	s_wait_dscnt 0x0
	s_barrier_signal -1
	s_barrier_wait -1
	s_and_saveexec_b32 s11, vcc_lo
	s_cbranch_execz .LBB2233_85
; %bb.76:
	v_dual_lshlrev_b32 v2, 1, v0 :: v_dual_lshlrev_b32 v3, 6, v0
	s_mov_b32 s12, exec_lo
	s_delay_alu instid0(VALU_DEP_1) | instskip(NEXT) | instid1(VALU_DEP_1)
	v_and_b32_e32 v2, 0x1f8, v2
	v_add_nc_u32_e32 v4, v2, v3
	ds_load_u8 v5, v4 offset:12
	ds_load_b64 v[2:3], v4
	ds_load_2addr_b32 v[6:7], v4 offset0:2 offset1:4
	ds_load_u8 v10, v4 offset:20
	ds_load_u8 v11, v4 offset:28
	;; [unrolled: 1-line block ×5, first 2 shown]
	ds_load_b32 v44, v4 offset:56
	s_wait_dscnt 0x8
	v_cmp_eq_u16_e64 s10, 0, v5
	s_wait_dscnt 0x5
	s_delay_alu instid0(VALU_DEP_1)
	v_dual_cndmask_b32 v45, 0, v2, s10 :: v_dual_bitop2_b32 v5, v10, v5 bitop3:0x54
	ds_load_2addr_b32 v[8:9], v4 offset0:6 offset1:8
	v_cmp_eq_u16_e64 s10, 0, v10
	s_wait_dscnt 0x4
	v_bitop3_b16 v5, v5, v41, v11 bitop3:0xfe
	v_add_nc_u32_e32 v6, v45, v6
	s_delay_alu instid0(VALU_DEP_1) | instskip(SKIP_1) | instid1(VALU_DEP_2)
	v_cndmask_b32_e64 v6, 0, v6, s10
	v_cmp_eq_u16_e64 s10, 0, v11
	v_add_nc_u32_e32 v6, v6, v7
	s_delay_alu instid0(VALU_DEP_1)
	v_cndmask_b32_e64 v45, 0, v6, s10
	ds_load_2addr_b32 v[6:7], v4 offset0:10 offset1:12
	v_cmp_eq_u16_e64 s10, 0, v41
	s_wait_dscnt 0x1
	v_add_nc_u32_e32 v8, v45, v8
	ds_load_u8 v45, v4 offset:60
	v_cndmask_b32_e64 v8, 0, v8, s10
	v_cmp_eq_u16_e64 s10, 0, v42
	s_delay_alu instid0(VALU_DEP_2) | instskip(SKIP_1) | instid1(VALU_DEP_2)
	v_add_nc_u32_e32 v8, v8, v9
	v_bitop3_b16 v9, v5, v43, v42 bitop3:0xfe
	v_dual_cndmask_b32 v8, 0, v8, s10 :: v_dual_bitop2_b32 v5, 1, v3 bitop3:0x40
	s_delay_alu instid0(VALU_DEP_2) | instskip(SKIP_1) | instid1(VALU_DEP_2)
	v_cmp_eq_u16_e64 s10, 0, v9
	s_wait_dscnt 0x0
	v_dual_add_nc_u32 v6, v8, v6 :: v_dual_bitop2_b32 v8, 1, v45 bitop3:0x40
	s_delay_alu instid0(VALU_DEP_2) | instskip(SKIP_1) | instid1(VALU_DEP_1)
	v_cndmask_b32_e64 v9, 1, v5, s10
	v_cmp_eq_u16_e64 s10, 0, v43
	v_cndmask_b32_e64 v6, 0, v6, s10
	s_delay_alu instid0(VALU_DEP_4) | instskip(SKIP_1) | instid1(VALU_DEP_2)
	v_cmp_eq_u32_e64 s10, 1, v8
	v_mbcnt_lo_u32_b32 v8, -1, 0
	v_cndmask_b32_e64 v9, v9, 1, s10
	v_cmp_eq_u16_e64 s10, 0, v45
	s_delay_alu instid0(VALU_DEP_2) | instskip(SKIP_2) | instid1(VALU_DEP_1)
	v_and_b32_e32 v10, 0xffff, v9
	v_add_nc_u32_e32 v7, v6, v7
	v_and_b32_e32 v6, 0xffffff00, v3
	v_dual_cndmask_b32 v7, 0, v7, s10 :: v_dual_bitop2_b32 v11, v6, v10 bitop3:0x54
	v_and_b32_e32 v10, 15, v8
	s_delay_alu instid0(VALU_DEP_2) | instskip(NEXT) | instid1(VALU_DEP_3)
	v_mov_b32_dpp v42, v11 row_shr:1 row_mask:0xf bank_mask:0xf
	v_add_nc_u32_e32 v7, v7, v44
	s_delay_alu instid0(VALU_DEP_1) | instskip(NEXT) | instid1(VALU_DEP_4)
	v_mov_b32_dpp v41, v7 row_shr:1 row_mask:0xf bank_mask:0xf
	v_cmpx_ne_u32_e32 0, v10
	s_cbranch_execz .LBB2233_78
; %bb.77:
	v_and_b32_e32 v11, 1, v9
	v_and_b32_e32 v42, 1, v42
	s_delay_alu instid0(VALU_DEP_2) | instskip(NEXT) | instid1(VALU_DEP_1)
	v_cmp_eq_u32_e64 s10, 1, v11
	v_cndmask_b32_e64 v42, v42, 1, s10
	v_cmp_eq_u16_e64 s10, 0, v9
	s_delay_alu instid0(VALU_DEP_2) | instskip(NEXT) | instid1(VALU_DEP_1)
	v_and_b32_e32 v11, 0xffff, v42
	v_dual_cndmask_b32 v9, 0, v41, s10 :: v_dual_bitop2_b32 v11, v6, v11 bitop3:0x54
	s_delay_alu instid0(VALU_DEP_1)
	v_dual_add_nc_u32 v7, v9, v7 :: v_dual_mov_b32 v9, v42
.LBB2233_78:
	s_or_b32 exec_lo, exec_lo, s12
	s_delay_alu instid0(VALU_DEP_1) | instskip(NEXT) | instid1(VALU_DEP_3)
	v_mov_b32_dpp v41, v7 row_shr:2 row_mask:0xf bank_mask:0xf
	v_mov_b32_dpp v42, v11 row_shr:2 row_mask:0xf bank_mask:0xf
	s_mov_b32 s12, exec_lo
	v_cmpx_lt_u32_e32 1, v10
	s_cbranch_execz .LBB2233_80
; %bb.79:
	v_and_b32_e32 v11, 1, v9
	v_and_b32_e32 v42, 1, v42
	s_delay_alu instid0(VALU_DEP_2) | instskip(NEXT) | instid1(VALU_DEP_1)
	v_cmp_eq_u32_e64 s10, 1, v11
	v_cndmask_b32_e64 v42, v42, 1, s10
	v_cmp_eq_u16_e64 s10, 0, v9
	s_delay_alu instid0(VALU_DEP_2) | instskip(NEXT) | instid1(VALU_DEP_1)
	v_and_b32_e32 v11, 0xffff, v42
	v_dual_cndmask_b32 v9, 0, v41, s10 :: v_dual_bitop2_b32 v11, v6, v11 bitop3:0x54
	s_delay_alu instid0(VALU_DEP_1)
	v_dual_add_nc_u32 v7, v9, v7 :: v_dual_mov_b32 v9, v42
.LBB2233_80:
	s_or_b32 exec_lo, exec_lo, s12
	s_delay_alu instid0(VALU_DEP_1) | instskip(NEXT) | instid1(VALU_DEP_3)
	v_mov_b32_dpp v41, v7 row_shr:4 row_mask:0xf bank_mask:0xf
	v_mov_b32_dpp v42, v11 row_shr:4 row_mask:0xf bank_mask:0xf
	s_mov_b32 s12, exec_lo
	v_cmpx_lt_u32_e32 3, v10
	;; [unrolled: 20-line block ×3, first 2 shown]
	s_cbranch_execz .LBB2233_84
; %bb.83:
	v_and_b32_e32 v10, 1, v9
	v_and_b32_e32 v11, 1, v42
	s_delay_alu instid0(VALU_DEP_2) | instskip(NEXT) | instid1(VALU_DEP_1)
	v_cmp_eq_u32_e64 s10, 1, v10
	v_cndmask_b32_e64 v10, v11, 1, s10
	v_cmp_eq_u16_e64 s10, 0, v9
	s_delay_alu instid0(VALU_DEP_2) | instskip(NEXT) | instid1(VALU_DEP_1)
	v_and_b32_e32 v11, 0xffff, v10
	v_dual_cndmask_b32 v9, 0, v41, s10 :: v_dual_bitop2_b32 v11, v6, v11 bitop3:0x54
	s_delay_alu instid0(VALU_DEP_1)
	v_dual_add_nc_u32 v7, v9, v7 :: v_dual_mov_b32 v9, v10
.LBB2233_84:
	s_or_b32 exec_lo, exec_lo, s12
	ds_swizzle_b32 v10, v11 offset:swizzle(BROADCAST,32,15)
	ds_swizzle_b32 v11, v7 offset:swizzle(BROADCAST,32,15)
	v_and_b32_e32 v41, 1, v9
	v_bfe_i32 v43, v8, 4, 1
	v_and_b32_e32 v3, 0xff, v3
	; wave barrier
	s_delay_alu instid0(VALU_DEP_3) | instskip(SKIP_2) | instid1(VALU_DEP_1)
	v_cmp_eq_u32_e64 s10, 1, v41
	s_wait_dscnt 0x1
	v_dual_add_nc_u32 v41, -1, v8 :: v_dual_bitop2_b32 v10, 1, v10 bitop3:0x40
	v_cndmask_b32_e64 v10, v10, 1, s10
	v_and_b32_e32 v42, 16, v8
	v_cmp_eq_u16_e64 s10, 0, v9
	s_wait_dscnt 0x0
	s_delay_alu instid0(VALU_DEP_1) | instskip(NEXT) | instid1(VALU_DEP_3)
	v_cndmask_b32_e64 v11, 0, v11, s10
	v_cmp_eq_u32_e64 s10, 0, v42
	s_delay_alu instid0(VALU_DEP_1) | instskip(SKIP_1) | instid1(VALU_DEP_4)
	v_cndmask_b32_e64 v9, v10, v9, s10
	v_cmp_gt_i32_e64 s10, 0, v41
	v_and_b32_e32 v10, v43, v11
	s_delay_alu instid0(VALU_DEP_3) | instskip(NEXT) | instid1(VALU_DEP_2)
	v_and_b32_e32 v9, 0xffff, v9
	v_dual_cndmask_b32 v8, v41, v8, s10 :: v_dual_add_nc_u32 v7, v10, v7
	v_cmp_eq_u16_e64 s10, 0, v3
	s_delay_alu instid0(VALU_DEP_2)
	v_lshlrev_b32_e32 v8, 2, v8
	ds_bpermute_b32 v7, v8, v7
	s_wait_dscnt 0x0
	v_dual_cndmask_b32 v3, 0, v7, s10 :: v_dual_bitop2_b32 v6, v6, v9 bitop3:0x54
	ds_bpermute_b32 v6, v8, v6
	v_cmp_eq_u32_e64 s10, 1, v5
	v_add_nc_u32_e32 v2, v3, v2
	s_wait_dscnt 0x0
	v_and_b32_e32 v6, 1, v6
	s_delay_alu instid0(VALU_DEP_1) | instskip(SKIP_1) | instid1(VALU_DEP_1)
	v_cndmask_b32_e64 v3, v6, 1, s10
	v_cmp_eq_u32_e64 s10, 0, v0
	v_dual_cndmask_b32 v8, v3, v13, s10 :: v_dual_cndmask_b32 v5, v2, v12, s10
	ds_store_b32 v4, v5
	ds_store_b8 v4, v8 offset:4
	; wave barrier
	ds_load_u8 v9, v4 offset:12
	ds_load_2addr_b32 v[2:3], v4 offset0:2 offset1:4
	ds_load_u8 v10, v4 offset:20
	ds_load_u8 v11, v4 offset:28
	;; [unrolled: 1-line block ×5, first 2 shown]
	ds_load_b32 v44, v4 offset:56
	ds_load_u8 v45, v4 offset:60
	ds_load_2addr_b32 v[6:7], v4 offset0:6 offset1:8
	s_wait_dscnt 0x9
	v_cmp_eq_u16_e64 s10, 0, v9
	v_and_b32_e32 v9, 1, v9
	s_delay_alu instid0(VALU_DEP_2) | instskip(SKIP_2) | instid1(VALU_DEP_2)
	v_cndmask_b32_e64 v5, 0, v5, s10
	s_wait_dscnt 0x7
	v_cmp_eq_u16_e64 s10, 0, v10
	v_add_nc_u32_e32 v5, v5, v2
	s_delay_alu instid0(VALU_DEP_1) | instskip(SKIP_2) | instid1(VALU_DEP_2)
	v_cndmask_b32_e64 v2, 0, v5, s10
	s_wait_dscnt 0x6
	v_cmp_eq_u16_e64 s10, 0, v11
	v_add_nc_u32_e32 v46, v2, v3
	ds_load_2addr_b32 v[2:3], v4 offset0:10 offset1:12
	v_cndmask_b32_e64 v47, 0, v46, s10
	s_wait_dscnt 0x6
	v_cmp_eq_u16_e64 s10, 0, v41
	ds_store_2addr_b32 v4, v5, v46 offset0:2 offset1:4
	s_wait_dscnt 0x2
	v_add_nc_u32_e32 v6, v47, v6
	s_delay_alu instid0(VALU_DEP_1) | instskip(SKIP_3) | instid1(VALU_DEP_4)
	v_cndmask_b32_e64 v47, 0, v6, s10
	v_cmp_eq_u32_e64 s10, 1, v9
	v_and_b32_e32 v9, 1, v11
	v_and_b32_e32 v11, 1, v41
	v_dual_add_nc_u32 v7, v47, v7 :: v_dual_bitop2_b32 v10, 1, v10 bitop3:0x40
	s_delay_alu instid0(VALU_DEP_4) | instskip(SKIP_1) | instid1(VALU_DEP_3)
	v_cndmask_b32_e64 v8, v8, 1, s10
	v_and_b32_e32 v47, 1, v45
	v_cmp_eq_u32_e64 s10, 1, v10
	s_delay_alu instid0(VALU_DEP_1) | instskip(SKIP_1) | instid1(VALU_DEP_1)
	v_cndmask_b32_e64 v10, v8, 1, s10
	v_cmp_eq_u16_e64 s10, 0, v42
	v_dual_cndmask_b32 v41, 0, v7, s10 :: v_dual_bitop2_b32 v42, 1, v42 bitop3:0x40
	v_cmp_eq_u32_e64 s10, 1, v9
	s_wait_dscnt 0x1
	s_delay_alu instid0(VALU_DEP_2) | instskip(NEXT) | instid1(VALU_DEP_2)
	v_dual_add_nc_u32 v2, v41, v2 :: v_dual_bitop2_b32 v41, 1, v43 bitop3:0x40
	v_cndmask_b32_e64 v9, v10, 1, s10
	v_cmp_eq_u32_e64 s10, 1, v11
	s_delay_alu instid0(VALU_DEP_1) | instskip(SKIP_1) | instid1(VALU_DEP_1)
	v_cndmask_b32_e64 v11, v9, 1, s10
	v_cmp_eq_u16_e64 s10, 0, v43
	v_cndmask_b32_e64 v43, 0, v2, s10
	v_cmp_eq_u32_e64 s10, 1, v42
	s_delay_alu instid0(VALU_DEP_2) | instskip(NEXT) | instid1(VALU_DEP_2)
	v_add_nc_u32_e32 v3, v43, v3
	v_cndmask_b32_e64 v42, v11, 1, s10
	v_cmp_eq_u32_e64 s10, 1, v41
	ds_store_2addr_b32 v4, v6, v7 offset0:6 offset1:8
	ds_store_2addr_b32 v4, v2, v3 offset0:10 offset1:12
	v_cndmask_b32_e64 v41, v42, 1, s10
	v_cmp_eq_u16_e64 s10, 0, v45
	s_delay_alu instid0(VALU_DEP_1) | instskip(SKIP_1) | instid1(VALU_DEP_2)
	v_cndmask_b32_e64 v5, 0, v3, s10
	v_cmp_eq_u32_e64 s10, 1, v47
	v_add_nc_u32_e32 v2, v5, v44
	s_delay_alu instid0(VALU_DEP_2)
	v_cndmask_b32_e64 v43, v41, 1, s10
	ds_store_b8 v4, v8 offset:12
	ds_store_b8 v4, v10 offset:20
	;; [unrolled: 1-line block ×6, first 2 shown]
	ds_store_b32 v4, v2 offset:56
	ds_store_b8 v4, v43 offset:60
.LBB2233_85:
	s_or_b32 exec_lo, exec_lo, s11
	v_cmp_eq_u32_e64 s10, 0, v0
	s_mov_b32 s12, exec_lo
	s_wait_dscnt 0x0
	s_barrier_signal -1
	s_barrier_wait -1
	v_cmpx_ne_u32_e32 0, v0
	s_cbranch_execz .LBB2233_87
; %bb.86:
	v_add_nc_u32_e32 v2, -1, v0
	s_delay_alu instid0(VALU_DEP_1) | instskip(NEXT) | instid1(VALU_DEP_1)
	v_lshrrev_b32_e32 v3, 2, v2
	v_and_b32_e32 v3, 0x3ffffff8, v3
	s_delay_alu instid0(VALU_DEP_1)
	v_lshl_add_u32 v2, v2, 3, v3
	ds_load_b32 v12, v2
	ds_load_u8 v13, v2 offset:4
.LBB2233_87:
	s_or_b32 exec_lo, exec_lo, s12
	s_and_saveexec_b32 s34, vcc_lo
	s_cbranch_execz .LBB2233_157
; %bb.88:
	v_mov_b32_e32 v5, 0
	v_mbcnt_lo_u32_b32 v41, -1, 0
	s_mov_b32 s13, 0
	ds_load_b64 v[2:3], v5 offset:2096
	v_cmp_eq_u32_e64 s11, 0, v41
	s_and_saveexec_b32 s30, s11
	s_cbranch_execz .LBB2233_90
; %bb.89:
	s_add_co_i32 s12, s28, 32
	v_mov_b32_e32 v4, 1
	s_lshl_b64 s[12:13], s[12:13], 4
	s_delay_alu instid0(SALU_CYCLE_1) | instskip(NEXT) | instid1(SALU_CYCLE_1)
	s_add_nc_u64 s[12:13], s[16:17], s[12:13]
	v_mov_b64_e32 v[6:7], s[12:13]
	s_wait_dscnt 0x0
	;;#ASMSTART
	global_store_b128 v[6:7], v[2:5] off scope:SCOPE_DEV	
s_wait_storecnt 0x0
	;;#ASMEND
.LBB2233_90:
	s_or_b32 exec_lo, exec_lo, s30
	v_xad_u32 v8, v41, -1, s28
	s_mov_b32 s12, exec_lo
	s_delay_alu instid0(VALU_DEP_1) | instskip(NEXT) | instid1(VALU_DEP_1)
	v_add_nc_u32_e32 v4, 32, v8
	v_lshl_add_u64 v[10:11], v[4:5], 4, s[16:17]
	;;#ASMSTART
	global_load_b128 v[4:7], v[10:11] off scope:SCOPE_DEV	
s_wait_loadcnt 0x0
	;;#ASMEND
	v_and_b32_e32 v7, 0xff, v6
	v_and_b32_e32 v5, 0xff, v5
	s_delay_alu instid0(VALU_DEP_2)
	v_cmpx_eq_u16_e32 0, v7
	s_cbranch_execz .LBB2233_94
; %bb.91:
	s_mov_b32 s13, 0
.LBB2233_92:                            ; =>This Inner Loop Header: Depth=1
	;;#ASMSTART
	global_load_b128 v[4:7], v[10:11] off scope:SCOPE_DEV	
s_wait_loadcnt 0x0
	;;#ASMEND
	v_and_b32_e32 v7, 0xff, v6
	s_delay_alu instid0(VALU_DEP_1) | instskip(SKIP_1) | instid1(SALU_CYCLE_1)
	v_cmp_ne_u16_e32 vcc_lo, 0, v7
	s_or_b32 s13, vcc_lo, s13
	s_and_not1_b32 exec_lo, exec_lo, s13
	s_cbranch_execnz .LBB2233_92
; %bb.93:
	s_or_b32 exec_lo, exec_lo, s13
	v_and_b32_e32 v5, 0xff, v5
.LBB2233_94:
	s_or_b32 exec_lo, exec_lo, s12
	v_cmp_ne_u32_e32 vcc_lo, 31, v41
	v_and_b32_e32 v9, 0xff, v6
	v_lshlrev_b32_e64 v43, v41, -1
	s_mov_b64 s[30:31], 0x100000000
	v_lshl_or_b32 v52, v41, 2, 64
	v_add_co_ci_u32_e64 v7, null, 0, v41, vcc_lo
	v_cmp_eq_u16_e32 vcc_lo, 2, v9
	v_cmp_gt_u64_e64 s12, s[30:31], v[4:5]
	s_delay_alu instid0(VALU_DEP_3) | instskip(SKIP_1) | instid1(VALU_DEP_2)
	v_dual_lshlrev_b32 v42, 2, v7 :: v_dual_bitop2_b32 v10, 1, v5 bitop3:0x40
	v_and_or_b32 v9, vcc_lo, v43, 0x80000000
	v_cmp_eq_u32_e32 vcc_lo, 1, v10
	ds_bpermute_b32 v7, v42, v5
	ds_bpermute_b32 v10, v42, v4
	v_ctz_i32_b32_e32 v9, v9
	s_wait_dscnt 0x1
	v_and_b32_e32 v7, 1, v7
	s_delay_alu instid0(VALU_DEP_1) | instskip(SKIP_1) | instid1(VALU_DEP_2)
	v_cndmask_b32_e64 v7, v7, 1, vcc_lo
	v_cmp_gt_u32_e32 vcc_lo, 30, v41
	v_and_b32_e32 v45, 0xffff, v7
	v_cndmask_b32_e64 v11, 0, 2, vcc_lo
	v_cmp_lt_u32_e32 vcc_lo, v41, v9
	s_delay_alu instid0(VALU_DEP_2) | instskip(NEXT) | instid1(VALU_DEP_4)
	v_add_lshl_u32 v44, v11, v41, 2
	v_dual_cndmask_b32 v11, v5, v45, vcc_lo :: v_dual_cndmask_b32 v7, v5, v7, vcc_lo
	s_and_b32 vcc_lo, vcc_lo, s12
	s_wait_dscnt 0x0
	v_cndmask_b32_e32 v10, 0, v10, vcc_lo
	ds_bpermute_b32 v5, v44, v11
	v_and_b32_e32 v46, 1, v7
	v_and_b32_e32 v48, 0xff, v7
	v_add_nc_u32_e32 v4, v10, v4
	s_delay_alu instid0(VALU_DEP_3) | instskip(NEXT) | instid1(VALU_DEP_3)
	v_cmp_eq_u32_e32 vcc_lo, 1, v46
	v_cmp_eq_u16_e64 s12, 0, v48
	ds_bpermute_b32 v10, v44, v4
	s_wait_dscnt 0x1
	v_and_b32_e32 v5, 1, v5
	s_delay_alu instid0(VALU_DEP_1) | instskip(SKIP_2) | instid1(VALU_DEP_3)
	v_cndmask_b32_e64 v5, v5, 1, vcc_lo
	v_add_nc_u32_e32 v45, 2, v41
	v_cmp_gt_u32_e32 vcc_lo, 28, v41
	v_and_b32_e32 v47, 0xffff, v5
	v_cndmask_b32_e64 v46, 0, 4, vcc_lo
	s_delay_alu instid0(VALU_DEP_4) | instskip(NEXT) | instid1(VALU_DEP_2)
	v_cmp_gt_u32_e32 vcc_lo, v45, v9
	v_add_lshl_u32 v46, v46, v41, 2
	v_cndmask_b32_e32 v5, v5, v7, vcc_lo
	s_wait_dscnt 0x0
	v_dual_cndmask_b32 v7, v47, v11, vcc_lo :: v_dual_cndmask_b32 v10, 0, v10, s12
	s_delay_alu instid0(VALU_DEP_2) | instskip(SKIP_4) | instid1(VALU_DEP_3)
	v_and_b32_e32 v48, 1, v5
	ds_bpermute_b32 v11, v46, v7
	v_cndmask_b32_e64 v10, v10, 0, vcc_lo
	v_cmp_eq_u32_e32 vcc_lo, 1, v48
	v_and_b32_e32 v48, 0xff, v5
	v_add_nc_u32_e32 v4, v10, v4
	s_delay_alu instid0(VALU_DEP_2)
	v_cmp_eq_u16_e64 s12, 0, v48
	s_wait_dscnt 0x0
	v_and_b32_e32 v11, 1, v11
	ds_bpermute_b32 v10, v46, v4
	v_add_nc_u32_e32 v47, 4, v41
	v_cndmask_b32_e64 v11, v11, 1, vcc_lo
	v_cmp_gt_u32_e32 vcc_lo, 24, v41
	s_delay_alu instid0(VALU_DEP_2) | instskip(SKIP_1) | instid1(VALU_DEP_1)
	v_and_b32_e32 v50, 0xffff, v11
	v_cndmask_b32_e64 v49, 0, 8, vcc_lo
	v_add_lshl_u32 v48, v49, v41, 2
	s_wait_dscnt 0x0
	v_dual_add_nc_u32 v49, 8, v41 :: v_dual_cndmask_b32 v10, 0, v10, s12
	v_cmp_gt_u32_e32 vcc_lo, v47, v9
	v_dual_cndmask_b32 v5, v11, v5, vcc_lo :: v_dual_cndmask_b32 v7, v50, v7, vcc_lo
	s_delay_alu instid0(VALU_DEP_3) | instskip(NEXT) | instid1(VALU_DEP_2)
	v_cndmask_b32_e64 v10, v10, 0, vcc_lo
	v_and_b32_e32 v50, 1, v5
	ds_bpermute_b32 v11, v48, v7
	v_add_nc_u32_e32 v4, v10, v4
	v_and_b32_e32 v51, 0xff, v5
	v_cmp_eq_u32_e32 vcc_lo, 1, v50
	ds_bpermute_b32 v10, v48, v4
	s_wait_dscnt 0x1
	v_and_b32_e32 v11, 1, v11
	s_delay_alu instid0(VALU_DEP_1) | instskip(SKIP_1) | instid1(VALU_DEP_2)
	v_cndmask_b32_e64 v11, v11, 1, vcc_lo
	v_cmp_eq_u16_e32 vcc_lo, 0, v51
	v_and_b32_e32 v50, 0xffff, v11
	s_wait_dscnt 0x0
	v_cndmask_b32_e32 v10, 0, v10, vcc_lo
	v_cmp_gt_u32_e32 vcc_lo, v49, v9
	s_delay_alu instid0(VALU_DEP_3) | instskip(NEXT) | instid1(VALU_DEP_3)
	v_dual_cndmask_b32 v5, v11, v5, vcc_lo :: v_dual_cndmask_b32 v7, v50, v7, vcc_lo
	v_cndmask_b32_e64 v10, v10, 0, vcc_lo
	s_delay_alu instid0(VALU_DEP_2) | instskip(SKIP_3) | instid1(VALU_DEP_1)
	v_and_b32_e32 v50, 1, v5
	ds_bpermute_b32 v7, v52, v7
	v_add_nc_u32_e32 v4, v10, v4
	v_and_b32_e32 v11, 0xff, v5
	v_cmp_eq_u16_e32 vcc_lo, 0, v11
	s_wait_dscnt 0x0
	v_and_b32_e32 v7, 1, v7
	ds_bpermute_b32 v10, v52, v4
	s_wait_dscnt 0x0
	v_dual_cndmask_b32 v10, 0, v10 :: v_dual_add_nc_u32 v53, 16, v41
	v_cmp_eq_u32_e32 vcc_lo, 1, v50
	v_cndmask_b32_e64 v7, v7, 1, vcc_lo
	s_delay_alu instid0(VALU_DEP_3) | instskip(NEXT) | instid1(VALU_DEP_2)
	v_cmp_gt_u32_e32 vcc_lo, v53, v9
	v_dual_mov_b32 v9, 0 :: v_dual_cndmask_b32 v5, v7, v5, vcc_lo
	v_cndmask_b32_e64 v7, v10, 0, vcc_lo
	s_delay_alu instid0(VALU_DEP_1)
	v_add_nc_u32_e32 v4, v7, v4
	s_branch .LBB2233_98
.LBB2233_95:                            ;   in Loop: Header=BB2233_98 Depth=1
	s_or_b32 exec_lo, exec_lo, s13
	v_and_b32_e32 v5, 0xff, v5
.LBB2233_96:                            ;   in Loop: Header=BB2233_98 Depth=1
	s_or_b32 exec_lo, exec_lo, s12
	ds_bpermute_b32 v7, v42, v5
	v_and_b32_e32 v10, 0xff, v6
	v_cmp_gt_u64_e64 s12, s[30:31], v[4:5]
	v_subrev_nc_u32_e32 v8, 32, v8
	s_delay_alu instid0(VALU_DEP_3) | instskip(SKIP_2) | instid1(VALU_DEP_2)
	v_cmp_eq_u16_e32 vcc_lo, 2, v10
	v_and_b32_e32 v10, 1, v5
	v_and_or_b32 v11, vcc_lo, v43, 0x80000000
	v_cmp_eq_u32_e32 vcc_lo, 1, v10
	s_delay_alu instid0(VALU_DEP_2) | instskip(SKIP_3) | instid1(VALU_DEP_1)
	v_ctz_i32_b32_e32 v10, v11
	ds_bpermute_b32 v11, v42, v4
	s_wait_dscnt 0x1
	v_and_b32_e32 v7, 1, v7
	v_cndmask_b32_e64 v7, v7, 1, vcc_lo
	v_cmp_lt_u32_e32 vcc_lo, v41, v10
	s_delay_alu instid0(VALU_DEP_2) | instskip(NEXT) | instid1(VALU_DEP_1)
	v_and_b32_e32 v54, 0xffff, v7
	v_dual_cndmask_b32 v7, v5, v7 :: v_dual_cndmask_b32 v54, v5, v54
	s_and_b32 vcc_lo, vcc_lo, s12
	s_delay_alu instid0(VALU_DEP_1)
	v_and_b32_e32 v56, 0xff, v7
	v_and_b32_e32 v55, 1, v7
	ds_bpermute_b32 v5, v44, v54
	s_wait_dscnt 0x1
	v_cndmask_b32_e32 v11, 0, v11, vcc_lo
	v_cmp_eq_u16_e64 s12, 0, v56
	v_cmp_eq_u32_e32 vcc_lo, 1, v55
	s_wait_dscnt 0x0
	s_delay_alu instid0(VALU_DEP_3) | instskip(NEXT) | instid1(VALU_DEP_1)
	v_dual_add_nc_u32 v4, v11, v4 :: v_dual_bitop2_b32 v5, 1, v5 bitop3:0x40
	v_cndmask_b32_e64 v5, v5, 1, vcc_lo
	ds_bpermute_b32 v11, v44, v4
	v_cmp_gt_u32_e32 vcc_lo, v45, v10
	v_and_b32_e32 v55, 0xffff, v5
	s_delay_alu instid0(VALU_DEP_1) | instskip(NEXT) | instid1(VALU_DEP_1)
	v_dual_cndmask_b32 v5, v5, v7, vcc_lo :: v_dual_cndmask_b32 v7, v55, v54, vcc_lo
	v_and_b32_e32 v55, 1, v5
	ds_bpermute_b32 v54, v46, v7
	s_wait_dscnt 0x1
	v_cndmask_b32_e64 v11, 0, v11, s12
	s_delay_alu instid0(VALU_DEP_1) | instskip(SKIP_2) | instid1(VALU_DEP_3)
	v_cndmask_b32_e64 v11, v11, 0, vcc_lo
	v_cmp_eq_u32_e32 vcc_lo, 1, v55
	v_and_b32_e32 v55, 0xff, v5
	v_add_nc_u32_e32 v4, v11, v4
	s_delay_alu instid0(VALU_DEP_2)
	v_cmp_eq_u16_e64 s12, 0, v55
	s_wait_dscnt 0x0
	v_and_b32_e32 v54, 1, v54
	ds_bpermute_b32 v11, v46, v4
	v_cndmask_b32_e64 v54, v54, 1, vcc_lo
	v_cmp_gt_u32_e32 vcc_lo, v47, v10
	s_delay_alu instid0(VALU_DEP_2) | instskip(SKIP_3) | instid1(VALU_DEP_1)
	v_and_b32_e32 v56, 0xffff, v54
	s_wait_dscnt 0x0
	v_dual_cndmask_b32 v5, v54, v5, vcc_lo :: v_dual_cndmask_b32 v11, 0, v11, s12
	s_mov_b32 s12, 0
	v_cndmask_b32_e64 v11, v11, 0, vcc_lo
	v_cndmask_b32_e32 v7, v56, v7, vcc_lo
	s_delay_alu instid0(VALU_DEP_3) | instskip(NEXT) | instid1(VALU_DEP_3)
	v_and_b32_e32 v56, 0xff, v5
	v_add_nc_u32_e32 v4, v11, v4
	ds_bpermute_b32 v54, v48, v7
	ds_bpermute_b32 v11, v48, v4
	v_and_b32_e32 v55, 1, v5
	s_delay_alu instid0(VALU_DEP_1) | instskip(SKIP_2) | instid1(VALU_DEP_1)
	v_cmp_eq_u32_e32 vcc_lo, 1, v55
	s_wait_dscnt 0x1
	v_and_b32_e32 v54, 1, v54
	v_cndmask_b32_e64 v54, v54, 1, vcc_lo
	v_cmp_eq_u16_e32 vcc_lo, 0, v56
	s_delay_alu instid0(VALU_DEP_2) | instskip(SKIP_3) | instid1(VALU_DEP_2)
	v_and_b32_e32 v55, 0xffff, v54
	s_wait_dscnt 0x0
	v_cndmask_b32_e32 v11, 0, v11, vcc_lo
	v_cmp_gt_u32_e32 vcc_lo, v49, v10
	v_cndmask_b32_e64 v11, v11, 0, vcc_lo
	v_dual_cndmask_b32 v7, v55, v7, vcc_lo :: v_dual_cndmask_b32 v5, v54, v5, vcc_lo
	s_delay_alu instid0(VALU_DEP_2) | instskip(SKIP_4) | instid1(VALU_DEP_1)
	v_add_nc_u32_e32 v4, v11, v4
	ds_bpermute_b32 v7, v52, v7
	v_and_b32_e32 v55, 0xff, v5
	ds_bpermute_b32 v11, v52, v4
	v_and_b32_e32 v54, 1, v5
	v_cmp_eq_u32_e32 vcc_lo, 1, v54
	s_wait_dscnt 0x1
	v_cndmask_b32_e64 v7, v7, 1, vcc_lo
	v_cmp_eq_u16_e32 vcc_lo, 0, v55
	s_wait_dscnt 0x0
	v_cndmask_b32_e32 v11, 0, v11, vcc_lo
	v_cmp_gt_u32_e32 vcc_lo, v53, v10
	v_and_b32_e32 v10, 0xff, v50
	v_cndmask_b32_e32 v5, v7, v5, vcc_lo
	s_delay_alu instid0(VALU_DEP_4) | instskip(NEXT) | instid1(VALU_DEP_3)
	v_cndmask_b32_e64 v7, v11, 0, vcc_lo
	v_cmp_eq_u16_e32 vcc_lo, 0, v10
	s_delay_alu instid0(VALU_DEP_2) | instskip(NEXT) | instid1(VALU_DEP_1)
	v_dual_add_nc_u32 v4, v7, v4 :: v_dual_bitop2_b32 v7, 1, v50 bitop3:0x40
	v_dual_cndmask_b32 v4, 0, v4, vcc_lo :: v_dual_bitop2_b32 v5, 1, v5 bitop3:0x40
	s_delay_alu instid0(VALU_DEP_2) | instskip(NEXT) | instid1(VALU_DEP_2)
	v_cmp_eq_u32_e32 vcc_lo, 1, v7
	v_add_nc_u32_e32 v4, v4, v51
	s_delay_alu instid0(VALU_DEP_3)
	v_cndmask_b32_e64 v5, v5, 1, vcc_lo
.LBB2233_97:                            ;   in Loop: Header=BB2233_98 Depth=1
	s_and_b32 vcc_lo, exec_lo, s12
	s_cbranch_vccnz .LBB2233_153
.LBB2233_98:                            ; =>This Loop Header: Depth=1
                                        ;     Child Loop BB2233_101 Depth 2
	v_and_b32_e32 v6, 0xff, v6
	s_delay_alu instid0(VALU_DEP_2) | instskip(SKIP_1) | instid1(VALU_DEP_2)
	v_dual_mov_b32 v50, v5 :: v_dual_mov_b32 v51, v4
	s_mov_b32 s12, -1
                                        ; implicit-def: $vgpr5
                                        ; implicit-def: $vgpr4
	v_cmp_ne_u16_e32 vcc_lo, 2, v6
                                        ; implicit-def: $vgpr6
	s_cmp_lg_u32 vcc_lo, exec_lo
	s_cbranch_scc1 .LBB2233_97
; %bb.99:                               ;   in Loop: Header=BB2233_98 Depth=1
	v_lshl_add_u64 v[10:11], v[8:9], 4, s[16:17]
	;;#ASMSTART
	global_load_b128 v[4:7], v[10:11] off scope:SCOPE_DEV	
s_wait_loadcnt 0x0
	;;#ASMEND
	v_and_b32_e32 v7, 0xff, v6
	v_and_b32_e32 v5, 0xff, v5
	s_mov_b32 s12, exec_lo
	s_delay_alu instid0(VALU_DEP_2)
	v_cmpx_eq_u16_e32 0, v7
	s_cbranch_execz .LBB2233_96
; %bb.100:                              ;   in Loop: Header=BB2233_98 Depth=1
	s_mov_b32 s13, 0
.LBB2233_101:                           ;   Parent Loop BB2233_98 Depth=1
                                        ; =>  This Inner Loop Header: Depth=2
	;;#ASMSTART
	global_load_b128 v[4:7], v[10:11] off scope:SCOPE_DEV	
s_wait_loadcnt 0x0
	;;#ASMEND
	v_and_b32_e32 v7, 0xff, v6
	s_delay_alu instid0(VALU_DEP_1) | instskip(SKIP_1) | instid1(SALU_CYCLE_1)
	v_cmp_ne_u16_e32 vcc_lo, 0, v7
	s_or_b32 s13, vcc_lo, s13
	s_and_not1_b32 exec_lo, exec_lo, s13
	s_cbranch_execnz .LBB2233_101
	s_branch .LBB2233_95
.LBB2233_102:
	s_or_b32 exec_lo, exec_lo, s11
                                        ; implicit-def: $vgpr16
	s_and_saveexec_b32 s11, s0
	s_cbranch_execz .LBB2233_29
.LBB2233_103:
	flat_load_b32 v16, v0, s[12:13] offset:1024 scale_offset
	s_wait_xcnt 0x0
	s_or_b32 exec_lo, exec_lo, s11
                                        ; implicit-def: $vgpr17
	s_and_saveexec_b32 s0, s1
	s_cbranch_execnz .LBB2233_30
.LBB2233_104:
	s_or_b32 exec_lo, exec_lo, s0
                                        ; implicit-def: $vgpr18
	s_and_saveexec_b32 s0, s2
	s_cbranch_execz .LBB2233_31
.LBB2233_105:
	flat_load_b32 v18, v0, s[12:13] offset:3072 scale_offset
	s_wait_xcnt 0x0
	s_or_b32 exec_lo, exec_lo, s0
                                        ; implicit-def: $vgpr19
	s_and_saveexec_b32 s0, s3
	s_cbranch_execnz .LBB2233_32
.LBB2233_106:
	s_or_b32 exec_lo, exec_lo, s0
                                        ; implicit-def: $vgpr20
	s_and_saveexec_b32 s0, s4
	s_cbranch_execz .LBB2233_33
.LBB2233_107:
	flat_load_b32 v20, v0, s[12:13] offset:5120 scale_offset
	s_wait_xcnt 0x0
	s_or_b32 exec_lo, exec_lo, s0
                                        ; implicit-def: $vgpr21
	s_and_saveexec_b32 s0, s5
	s_cbranch_execnz .LBB2233_34
.LBB2233_108:
	s_or_b32 exec_lo, exec_lo, s0
                                        ; implicit-def: $vgpr22
	s_and_saveexec_b32 s0, s6
	s_cbranch_execz .LBB2233_35
.LBB2233_109:
	flat_load_b32 v22, v0, s[12:13] offset:7168 scale_offset
	s_wait_xcnt 0x0
	s_or_b32 exec_lo, exec_lo, s0
                                        ; implicit-def: $vgpr23
	s_and_saveexec_b32 s0, s7
	s_cbranch_execnz .LBB2233_36
.LBB2233_110:
	s_or_b32 exec_lo, exec_lo, s0
                                        ; implicit-def: $vgpr24
	s_and_saveexec_b32 s0, s8
	s_cbranch_execz .LBB2233_37
.LBB2233_111:
	flat_load_b32 v24, v0, s[12:13] offset:9216 scale_offset
	s_wait_xcnt 0x0
	s_or_b32 exec_lo, exec_lo, s0
                                        ; implicit-def: $vgpr25
	s_and_saveexec_b32 s0, s9
	s_cbranch_execz .LBB2233_39
	s_branch .LBB2233_38
.LBB2233_112:
                                        ; implicit-def: $vgpr13
                                        ; implicit-def: $vgpr9
                                        ; implicit-def: $vgpr5
	s_cbranch_execnz .LBB2233_158
.LBB2233_113:
	s_add_nc_u64 s[0:1], s[14:15], s[26:27]
	s_and_b32 vcc_lo, exec_lo, s19
	s_add_nc_u64 s[0:1], s[0:1], s[20:21]
	s_cbranch_vccz .LBB2233_175
.LBB2233_114:
	v_mul_u32_u24_e32 v1, 12, v0
	s_add_co_i32 s29, s29, s18
	s_mov_b32 s2, exec_lo
	s_delay_alu instid0(VALU_DEP_1)
	v_cmpx_gt_u32_e64 s29, v1
	s_cbranch_execz .LBB2233_130
; %bb.115:
	v_or_b32_e32 v14, 1, v1
	s_mov_b32 s3, exec_lo
	s_delay_alu instid0(VALU_DEP_1)
	v_cmpx_gt_u32_e64 s29, v14
	s_cbranch_execz .LBB2233_129
; %bb.116:
	v_or_b32_e32 v14, 2, v1
	s_mov_b32 s4, exec_lo
	s_delay_alu instid0(VALU_DEP_1)
	v_cmpx_gt_u32_e64 s29, v14
	s_cbranch_execz .LBB2233_128
; %bb.117:
	v_or_b32_e32 v14, 3, v1
	s_mov_b32 s5, exec_lo
	s_delay_alu instid0(VALU_DEP_1)
	v_cmpx_gt_u32_e64 s29, v14
	s_cbranch_execz .LBB2233_127
; %bb.118:
	v_add_nc_u32_e32 v14, 4, v1
	s_mov_b32 s6, exec_lo
	s_delay_alu instid0(VALU_DEP_1)
	v_cmpx_gt_u32_e64 s29, v14
	s_cbranch_execz .LBB2233_126
; %bb.119:
	v_add_nc_u32_e32 v14, 5, v1
	;; [unrolled: 6-line block ×4, first 2 shown]
	s_mov_b32 s9, exec_lo
	s_delay_alu instid0(VALU_DEP_1)
	v_cmpx_gt_u32_e64 s29, v14
; %bb.122:
	v_add_nc_u32_e32 v14, 8, v1
	s_mov_b32 s10, exec_lo
	s_delay_alu instid0(VALU_DEP_1)
	v_cmpx_gt_u32_e64 s29, v14
	s_or_b32 exec_lo, exec_lo, s10
; %bb.123:
	s_delay_alu instid0(SALU_CYCLE_1)
	s_or_b32 exec_lo, exec_lo, s9
.LBB2233_124:
	s_delay_alu instid0(SALU_CYCLE_1)
	s_or_b32 exec_lo, exec_lo, s8
.LBB2233_125:
	s_delay_alu instid0(SALU_CYCLE_1)
	s_or_b32 exec_lo, exec_lo, s7
.LBB2233_126:
	s_delay_alu instid0(SALU_CYCLE_1)
	s_or_b32 exec_lo, exec_lo, s6
.LBB2233_127:
	s_delay_alu instid0(SALU_CYCLE_1)
	s_or_b32 exec_lo, exec_lo, s5
.LBB2233_128:
	s_delay_alu instid0(SALU_CYCLE_1)
	s_or_b32 exec_lo, exec_lo, s4
.LBB2233_129:
	s_delay_alu instid0(SALU_CYCLE_1)
	s_or_b32 exec_lo, exec_lo, s3
.LBB2233_130:
	s_delay_alu instid0(SALU_CYCLE_1) | instskip(SKIP_3) | instid1(VALU_DEP_1)
	s_or_b32 exec_lo, exec_lo, s2
	v_dual_lshlrev_b32 v1, 2, v1 :: v_dual_mov_b32 v17, 0
	s_barrier_signal -1
	s_barrier_wait -1
	v_mad_i32_i24 v14, 0xffffffd4, v0, v1
	ds_store_b128 v1, v[2:5]
	ds_store_b128 v1, v[6:9] offset:16
	ds_store_b128 v1, v[10:13] offset:32
	s_wait_dscnt 0x0
	s_barrier_signal -1
	s_barrier_wait -1
	ds_load_2addr_stride64_b32 v[26:27], v14 offset0:4 offset1:8
	ds_load_2addr_stride64_b32 v[24:25], v14 offset0:12 offset1:16
	;; [unrolled: 1-line block ×5, first 2 shown]
	ds_load_b32 v15, v14 offset:11264
	v_add_nc_u64_e32 v[16:17], s[0:1], v[16:17]
	s_mov_b32 s2, exec_lo
	v_cmpx_gt_u32_e64 s29, v0
	s_cbranch_execz .LBB2233_132
; %bb.131:
	v_mul_i32_i24_e32 v14, 0xffffffd4, v0
	s_delay_alu instid0(VALU_DEP_1)
	v_add_nc_u32_e32 v1, v1, v14
	ds_load_b32 v1, v1
	s_wait_dscnt 0x0
	flat_store_b32 v[16:17], v1
.LBB2233_132:
	s_wait_xcnt 0x0
	s_or_b32 exec_lo, exec_lo, s2
	v_or_b32_e32 v1, 0x100, v0
	s_mov_b32 s2, exec_lo
	s_delay_alu instid0(VALU_DEP_1)
	v_cmpx_gt_u32_e64 s29, v1
	s_cbranch_execz .LBB2233_134
; %bb.133:
	s_wait_dscnt 0x5
	flat_store_b32 v[16:17], v26 offset:1024
.LBB2233_134:
	s_wait_xcnt 0x0
	s_or_b32 exec_lo, exec_lo, s2
	v_or_b32_e32 v1, 0x200, v0
	s_mov_b32 s2, exec_lo
	s_delay_alu instid0(VALU_DEP_1)
	v_cmpx_gt_u32_e64 s29, v1
	s_cbranch_execz .LBB2233_136
; %bb.135:
	s_wait_dscnt 0x5
	flat_store_b32 v[16:17], v27 offset:2048
.LBB2233_136:
	;; [unrolled: 11-line block ×10, first 2 shown]
	s_wait_xcnt 0x0
	s_or_b32 exec_lo, exec_lo, s2
	v_or_b32_e32 v1, 0xb00, v0
	s_delay_alu instid0(VALU_DEP_1)
	v_cmp_gt_u32_e64 s2, s29, v1
	s_branch .LBB2233_177
.LBB2233_153:
	s_and_saveexec_b32 s12, s11
	s_cbranch_execz .LBB2233_155
; %bb.154:
	v_and_b32_e32 v4, 0xff, v3
	s_mov_b32 s31, 0
	s_add_co_i32 s30, s28, 32
	v_and_b32_e32 v5, 1, v50
	s_lshl_b64 s[30:31], s[30:31], 4
	v_cmp_eq_u32_e32 vcc_lo, 0, v4
	s_add_nc_u64 s[30:31], s[16:17], s[30:31]
	s_delay_alu instid0(SALU_CYCLE_1) | instskip(SKIP_1) | instid1(VALU_DEP_1)
	v_mov_b64_e32 v[6:7], s[30:31]
	v_cndmask_b32_e32 v4, 0, v51, vcc_lo
	v_dual_add_nc_u32 v2, v4, v2 :: v_dual_bitop2_b32 v3, 1, v3 bitop3:0x40
	s_delay_alu instid0(VALU_DEP_1)
	v_cmp_eq_u32_e32 vcc_lo, 1, v3
	v_mov_b32_e32 v4, 2
	v_cndmask_b32_e64 v3, v5, 1, vcc_lo
	v_mov_b32_e32 v5, 0
	;;#ASMSTART
	global_store_b128 v[6:7], v[2:5] off scope:SCOPE_DEV	
s_wait_storecnt 0x0
	;;#ASMEND
.LBB2233_155:
	s_or_b32 exec_lo, exec_lo, s12
	s_delay_alu instid0(SALU_CYCLE_1)
	s_and_b32 exec_lo, exec_lo, s10
	s_cbranch_execz .LBB2233_157
; %bb.156:
	v_mov_b32_e32 v2, 0
	ds_store_b32 v2, v51
	ds_store_b8 v2, v50 offset:4
.LBB2233_157:
	s_or_b32 exec_lo, exec_lo, s34
	s_wait_dscnt 0x0
	v_and_b32_e32 v3, 0xff, v13
	s_barrier_signal -1
	s_barrier_wait -1
	s_delay_alu instid0(VALU_DEP_1)
	v_cmp_eq_u16_e32 vcc_lo, 0, v3
	v_mov_b32_e32 v4, 0
	v_and_b32_e32 v5, 0xff, v15
	ds_load_b32 v2, v4
	s_wait_dscnt 0x0
	v_cndmask_b32_e32 v3, 0, v2, vcc_lo
	v_cmp_eq_u64_e32 vcc_lo, 0, v[4:5]
	s_delay_alu instid0(VALU_DEP_2) | instskip(NEXT) | instid1(VALU_DEP_1)
	v_add_nc_u32_e32 v3, v3, v12
	v_cndmask_b32_e64 v2, v3, v2, s10
	s_delay_alu instid0(VALU_DEP_1) | instskip(NEXT) | instid1(VALU_DEP_1)
	v_cndmask_b32_e32 v3, 0, v2, vcc_lo
	v_add_nc_u32_e32 v3, v3, v14
	s_delay_alu instid0(VALU_DEP_1) | instskip(NEXT) | instid1(VALU_DEP_1)
	v_cndmask_b32_e64 v4, 0, v3, s0
	v_add_nc_u32_e32 v4, v4, v36
	s_delay_alu instid0(VALU_DEP_1) | instskip(NEXT) | instid1(VALU_DEP_1)
	v_cndmask_b32_e64 v5, 0, v4, s1
	;; [unrolled: 3-line block ×10, first 2 shown]
	v_add_nc_u32_e32 v13, v13, v18
	s_branch .LBB2233_113
.LBB2233_158:
	s_cmp_eq_u64 s[24:25], 0
	v_mov_b32_e32 v41, s33
	s_cselect_b32 s0, -1, 0
	s_cmp_eq_u64 s[22:23], 0
	s_cselect_b32 s1, -1, 0
	s_delay_alu instid0(SALU_CYCLE_1) | instskip(NEXT) | instid1(SALU_CYCLE_1)
	s_or_b32 s0, s0, s1
	s_and_b32 vcc_lo, exec_lo, s0
	s_cbranch_vccnz .LBB2233_160
; %bb.159:
	v_mov_b32_e32 v2, 0
	global_load_b32 v41, v2, s[22:23]
.LBB2233_160:
	s_mov_b64 s[10:11], 0x100000000
	v_or3_b32 v3, v40, v27, v29
	v_cmp_gt_u64_e32 vcc_lo, s[10:11], v[36:37]
	v_cmp_gt_u64_e64 s0, s[10:11], v[34:35]
	v_cmp_gt_u64_e64 s9, s[10:11], v[38:39]
	;; [unrolled: 1-line block ×6, first 2 shown]
	s_wait_xcnt 0x0
	v_dual_cndmask_b32 v2, 0, v14, vcc_lo :: v_dual_bitop2_b32 v1, 56, v1 bitop3:0x40
	v_cmp_gt_u64_e64 s5, s[10:11], v[24:25]
	v_cmp_gt_u64_e64 s6, s[10:11], v[22:23]
	;; [unrolled: 1-line block ×3, first 2 shown]
	s_delay_alu instid0(VALU_DEP_4)
	v_add_nc_u32_e32 v2, v2, v36
	v_or3_b32 v3, v3, v31, v33
	v_cmp_gt_u64_e64 s8, s[10:11], v[18:19]
	v_lshl_add_u32 v1, v0, 3, v1
	s_mov_b32 s10, exec_lo
	v_cndmask_b32_e64 v2, 0, v2, s0
	v_or3_b32 v3, v3, v35, v37
	s_delay_alu instid0(VALU_DEP_2) | instskip(NEXT) | instid1(VALU_DEP_2)
	v_add_nc_u32_e32 v2, v2, v34
	v_or3_b32 v3, v39, v17, v3
	s_delay_alu instid0(VALU_DEP_2) | instskip(NEXT) | instid1(VALU_DEP_2)
	v_cndmask_b32_e64 v2, 0, v2, s1
	v_and_b32_e32 v3, 0xff, v3
	s_delay_alu instid0(VALU_DEP_2) | instskip(NEXT) | instid1(VALU_DEP_1)
	v_add_nc_u32_e32 v2, v2, v32
	v_cndmask_b32_e64 v2, 0, v2, s2
	s_delay_alu instid0(VALU_DEP_1) | instskip(NEXT) | instid1(VALU_DEP_1)
	v_add_nc_u32_e32 v2, v2, v30
	v_cndmask_b32_e64 v2, 0, v2, s3
	s_delay_alu instid0(VALU_DEP_1) | instskip(NEXT) | instid1(VALU_DEP_1)
	;; [unrolled: 3-line block ×7, first 2 shown]
	v_dual_add_nc_u32 v4, v2, v18 :: v_dual_mov_b32 v2, 0
	v_cndmask_b32_e64 v4, 0, v4, s9
	s_delay_alu instid0(VALU_DEP_2) | instskip(NEXT) | instid1(VALU_DEP_1)
	v_cmp_eq_u64_e64 s9, 0, v[2:3]
	v_dual_add_nc_u32 v4, v4, v38 :: v_dual_cndmask_b32 v5, 1, v15, s9
	ds_store_b32 v1, v4
	ds_store_b8 v1, v5 offset:4
	s_wait_loadcnt_dscnt 0x0
	s_barrier_signal -1
	s_barrier_wait -1
	v_cmpx_gt_u32_e32 32, v0
	s_cbranch_execz .LBB2233_170
; %bb.161:
	v_dual_lshlrev_b32 v1, 1, v0 :: v_dual_lshlrev_b32 v2, 6, v0
	s_mov_b32 s11, exec_lo
	s_delay_alu instid0(VALU_DEP_1) | instskip(NEXT) | instid1(VALU_DEP_1)
	v_and_b32_e32 v1, 0x1f8, v1
	v_add_nc_u32_e32 v1, v1, v2
	ds_load_u8 v12, v1 offset:12
	ds_load_b64 v[2:3], v1
	ds_load_2addr_b32 v[6:7], v1 offset0:2 offset1:4
	ds_load_u8 v13, v1 offset:20
	ds_load_u8 v17, v1 offset:28
	;; [unrolled: 1-line block ×5, first 2 shown]
	ds_load_b32 v25, v1 offset:56
	s_wait_dscnt 0x8
	v_cmp_eq_u16_e64 s9, 0, v12
	s_wait_dscnt 0x7
	s_delay_alu instid0(VALU_DEP_1)
	v_cndmask_b32_e64 v10, 0, v2, s9
	ds_load_2addr_b32 v[8:9], v1 offset0:6 offset1:8
	s_wait_dscnt 0x6
	v_cmp_eq_u16_e64 s9, 0, v13
	v_add_nc_u32_e32 v6, v10, v6
	ds_load_2addr_b32 v[10:11], v1 offset0:10 offset1:12
	v_cndmask_b32_e64 v6, 0, v6, s9
	s_wait_dscnt 0x6
	v_cmp_eq_u16_e64 s9, 0, v17
	s_delay_alu instid0(VALU_DEP_2) | instskip(NEXT) | instid1(VALU_DEP_1)
	v_dual_add_nc_u32 v6, v6, v7 :: v_dual_bitop2_b32 v7, v13, v12 bitop3:0x54
	v_cndmask_b32_e64 v6, 0, v6, s9
	s_wait_dscnt 0x5
	v_cmp_eq_u16_e64 s9, 0, v19
	s_delay_alu instid0(VALU_DEP_3)
	v_bitop3_b16 v7, v7, v19, v17 bitop3:0xfe
	s_wait_dscnt 0x1
	v_add_nc_u32_e32 v6, v6, v8
	ds_load_u8 v8, v1 offset:60
	v_bitop3_b16 v7, v7, v23, v21 bitop3:0xfe
	v_cndmask_b32_e64 v6, 0, v6, s9
	v_cmp_eq_u16_e64 s9, 0, v21
	s_delay_alu instid0(VALU_DEP_2) | instskip(NEXT) | instid1(VALU_DEP_1)
	v_add_nc_u32_e32 v6, v6, v9
	v_dual_cndmask_b32 v9, 0, v6, s9 :: v_dual_bitop2_b32 v6, 1, v3 bitop3:0x40
	v_cmp_eq_u16_e64 s9, 0, v7
	s_wait_dscnt 0x0
	s_delay_alu instid0(VALU_DEP_2) | instskip(NEXT) | instid1(VALU_DEP_2)
	v_dual_add_nc_u32 v9, v9, v10 :: v_dual_bitop2_b32 v10, 1, v8 bitop3:0x40
	v_cndmask_b32_e64 v7, 1, v6, s9
	v_cmp_eq_u16_e64 s9, 0, v23
	s_delay_alu instid0(VALU_DEP_1) | instskip(NEXT) | instid1(VALU_DEP_4)
	v_cndmask_b32_e64 v9, 0, v9, s9
	v_cmp_eq_u32_e64 s9, 1, v10
	s_delay_alu instid0(VALU_DEP_2) | instskip(NEXT) | instid1(VALU_DEP_2)
	v_add_nc_u32_e32 v9, v9, v11
	v_cndmask_b32_e64 v10, v7, 1, s9
	v_cmp_eq_u16_e64 s9, 0, v8
	v_and_b32_e32 v7, 0xffffff00, v3
	s_delay_alu instid0(VALU_DEP_3) | instskip(NEXT) | instid1(VALU_DEP_3)
	v_and_b32_e32 v11, 0xffff, v10
	v_cndmask_b32_e64 v8, 0, v9, s9
	v_mbcnt_lo_u32_b32 v9, -1, 0
	s_delay_alu instid0(VALU_DEP_2) | instskip(NEXT) | instid1(VALU_DEP_2)
	v_dual_add_nc_u32 v8, v8, v25 :: v_dual_bitop2_b32 v12, v7, v11 bitop3:0x54
	v_and_b32_e32 v11, 15, v9
	s_delay_alu instid0(VALU_DEP_2) | instskip(NEXT) | instid1(VALU_DEP_3)
	v_mov_b32_dpp v17, v12 row_shr:1 row_mask:0xf bank_mask:0xf
	v_mov_b32_dpp v13, v8 row_shr:1 row_mask:0xf bank_mask:0xf
	s_delay_alu instid0(VALU_DEP_3)
	v_cmpx_ne_u32_e32 0, v11
	s_cbranch_execz .LBB2233_163
; %bb.162:
	v_and_b32_e32 v12, 1, v10
	v_and_b32_e32 v17, 1, v17
	s_delay_alu instid0(VALU_DEP_2) | instskip(NEXT) | instid1(VALU_DEP_1)
	v_cmp_eq_u32_e64 s9, 1, v12
	v_cndmask_b32_e64 v17, v17, 1, s9
	v_cmp_eq_u16_e64 s9, 0, v10
	s_delay_alu instid0(VALU_DEP_2) | instskip(NEXT) | instid1(VALU_DEP_1)
	v_and_b32_e32 v12, 0xffff, v17
	v_dual_cndmask_b32 v10, 0, v13, s9 :: v_dual_bitop2_b32 v12, v7, v12 bitop3:0x54
	s_delay_alu instid0(VALU_DEP_1)
	v_dual_add_nc_u32 v8, v10, v8 :: v_dual_mov_b32 v10, v17
.LBB2233_163:
	s_or_b32 exec_lo, exec_lo, s11
	s_delay_alu instid0(VALU_DEP_1) | instskip(NEXT) | instid1(VALU_DEP_3)
	v_mov_b32_dpp v13, v8 row_shr:2 row_mask:0xf bank_mask:0xf
	v_mov_b32_dpp v17, v12 row_shr:2 row_mask:0xf bank_mask:0xf
	s_mov_b32 s11, exec_lo
	v_cmpx_lt_u32_e32 1, v11
	s_cbranch_execz .LBB2233_165
; %bb.164:
	v_and_b32_e32 v12, 1, v10
	v_and_b32_e32 v17, 1, v17
	s_delay_alu instid0(VALU_DEP_2) | instskip(NEXT) | instid1(VALU_DEP_1)
	v_cmp_eq_u32_e64 s9, 1, v12
	v_cndmask_b32_e64 v17, v17, 1, s9
	v_cmp_eq_u16_e64 s9, 0, v10
	s_delay_alu instid0(VALU_DEP_2) | instskip(NEXT) | instid1(VALU_DEP_1)
	v_and_b32_e32 v12, 0xffff, v17
	v_dual_cndmask_b32 v10, 0, v13, s9 :: v_dual_bitop2_b32 v12, v7, v12 bitop3:0x54
	s_delay_alu instid0(VALU_DEP_1)
	v_dual_add_nc_u32 v8, v10, v8 :: v_dual_mov_b32 v10, v17
.LBB2233_165:
	s_or_b32 exec_lo, exec_lo, s11
	s_delay_alu instid0(VALU_DEP_1) | instskip(NEXT) | instid1(VALU_DEP_3)
	v_mov_b32_dpp v13, v8 row_shr:4 row_mask:0xf bank_mask:0xf
	v_mov_b32_dpp v17, v12 row_shr:4 row_mask:0xf bank_mask:0xf
	s_mov_b32 s11, exec_lo
	v_cmpx_lt_u32_e32 3, v11
	;; [unrolled: 20-line block ×3, first 2 shown]
	s_cbranch_execz .LBB2233_169
; %bb.168:
	v_and_b32_e32 v11, 1, v10
	v_and_b32_e32 v12, 1, v17
	s_delay_alu instid0(VALU_DEP_2) | instskip(NEXT) | instid1(VALU_DEP_1)
	v_cmp_eq_u32_e64 s9, 1, v11
	v_cndmask_b32_e64 v11, v12, 1, s9
	v_cmp_eq_u16_e64 s9, 0, v10
	s_delay_alu instid0(VALU_DEP_2) | instskip(NEXT) | instid1(VALU_DEP_1)
	v_and_b32_e32 v12, 0xffff, v11
	v_dual_cndmask_b32 v10, 0, v13, s9 :: v_dual_bitop2_b32 v12, v7, v12 bitop3:0x54
	s_delay_alu instid0(VALU_DEP_1)
	v_dual_add_nc_u32 v8, v10, v8 :: v_dual_mov_b32 v10, v11
.LBB2233_169:
	s_or_b32 exec_lo, exec_lo, s11
	ds_swizzle_b32 v11, v12 offset:swizzle(BROADCAST,32,15)
	ds_swizzle_b32 v12, v8 offset:swizzle(BROADCAST,32,15)
	v_and_b32_e32 v13, 1, v10
	v_bfe_i32 v19, v9, 4, 1
	v_and_b32_e32 v3, 0xff, v3
	; wave barrier
	s_delay_alu instid0(VALU_DEP_3) | instskip(SKIP_2) | instid1(VALU_DEP_1)
	v_cmp_eq_u32_e64 s9, 1, v13
	s_wait_dscnt 0x1
	v_dual_add_nc_u32 v13, -1, v9 :: v_dual_bitop2_b32 v11, 1, v11 bitop3:0x40
	v_cndmask_b32_e64 v11, v11, 1, s9
	v_and_b32_e32 v17, 16, v9
	v_cmp_eq_u16_e64 s9, 0, v10
	s_wait_dscnt 0x0
	s_delay_alu instid0(VALU_DEP_1) | instskip(NEXT) | instid1(VALU_DEP_3)
	v_cndmask_b32_e64 v12, 0, v12, s9
	v_cmp_eq_u32_e64 s9, 0, v17
	s_delay_alu instid0(VALU_DEP_1) | instskip(SKIP_1) | instid1(VALU_DEP_4)
	v_cndmask_b32_e64 v10, v11, v10, s9
	v_cmp_gt_i32_e64 s9, 0, v13
	v_and_b32_e32 v11, v19, v12
	s_delay_alu instid0(VALU_DEP_3) | instskip(NEXT) | instid1(VALU_DEP_2)
	v_and_b32_e32 v10, 0xffff, v10
	v_dual_cndmask_b32 v9, v13, v9, s9 :: v_dual_add_nc_u32 v8, v11, v8
	v_cmp_eq_u16_e64 s9, 0, v3
	s_delay_alu instid0(VALU_DEP_2)
	v_lshlrev_b32_e32 v9, 2, v9
	ds_bpermute_b32 v8, v9, v8
	s_wait_dscnt 0x0
	v_dual_cndmask_b32 v3, 0, v8, s9 :: v_dual_bitop2_b32 v7, v7, v10 bitop3:0x54
	ds_bpermute_b32 v7, v9, v7
	v_cmp_eq_u32_e64 s9, 1, v6
	s_wait_dscnt 0x0
	v_dual_add_nc_u32 v2, v3, v2 :: v_dual_bitop2_b32 v7, 1, v7 bitop3:0x40
	s_delay_alu instid0(VALU_DEP_1) | instskip(SKIP_1) | instid1(VALU_DEP_1)
	v_cndmask_b32_e64 v3, v7, 1, s9
	v_cmp_eq_u32_e64 s9, 0, v0
	v_dual_cndmask_b32 v4, v2, v4, s9 :: v_dual_cndmask_b32 v6, v3, v5, s9
	ds_store_b32 v1, v4
	ds_store_b8 v1, v6 offset:4
	; wave barrier
	ds_load_u8 v7, v1 offset:12
	ds_load_2addr_b32 v[2:3], v1 offset0:2 offset1:4
	ds_load_u8 v8, v1 offset:20
	ds_load_u8 v9, v1 offset:28
	;; [unrolled: 1-line block ×5, first 2 shown]
	ds_load_b32 v13, v1 offset:56
	ds_load_u8 v17, v1 offset:60
	s_wait_dscnt 0x8
	v_cmp_eq_u16_e64 s9, 0, v7
	s_delay_alu instid0(VALU_DEP_1) | instskip(SKIP_4) | instid1(VALU_DEP_1)
	v_cndmask_b32_e64 v19, 0, v4, s9
	ds_load_2addr_b32 v[4:5], v1 offset0:6 offset1:8
	s_wait_dscnt 0x7
	v_cmp_eq_u16_e64 s9, 0, v8
	v_add_nc_u32_e32 v19, v19, v2
	v_cndmask_b32_e64 v2, 0, v19, s9
	s_wait_dscnt 0x6
	v_cmp_eq_u16_e64 s9, 0, v9
	s_delay_alu instid0(VALU_DEP_2)
	v_add_nc_u32_e32 v21, v2, v3
	ds_load_2addr_b32 v[2:3], v1 offset0:10 offset1:12
	v_cndmask_b32_e64 v23, 0, v21, s9
	s_wait_dscnt 0x6
	v_cmp_eq_u16_e64 s9, 0, v10
	ds_store_2addr_b32 v1, v19, v21 offset0:2 offset1:4
	s_wait_dscnt 0x2
	v_dual_add_nc_u32 v4, v23, v4 :: v_dual_bitop2_b32 v7, 1, v7 bitop3:0x40
	s_delay_alu instid0(VALU_DEP_1) | instskip(SKIP_1) | instid1(VALU_DEP_3)
	v_cndmask_b32_e64 v23, 0, v4, s9
	v_and_b32_e32 v8, 1, v8
	v_cmp_eq_u32_e64 s9, 1, v7
	v_and_b32_e32 v7, 1, v9
	s_delay_alu instid0(VALU_DEP_4) | instskip(NEXT) | instid1(VALU_DEP_3)
	v_add_nc_u32_e32 v5, v23, v5
	v_cndmask_b32_e64 v6, v6, 1, s9
	v_cmp_eq_u32_e64 s9, 1, v8
	s_delay_alu instid0(VALU_DEP_1) | instskip(SKIP_1) | instid1(VALU_DEP_1)
	v_cndmask_b32_e64 v8, v6, 1, s9
	v_cmp_eq_u16_e64 s9, 0, v11
	v_dual_cndmask_b32 v10, 0, v5, s9 :: v_dual_bitop2_b32 v9, 1, v10 bitop3:0x40
	s_wait_dscnt 0x1
	s_delay_alu instid0(VALU_DEP_1) | instskip(SKIP_2) | instid1(VALU_DEP_2)
	v_add_nc_u32_e32 v2, v10, v2
	v_cmp_eq_u32_e64 s9, 1, v7
	v_and_b32_e32 v10, 1, v12
	v_cndmask_b32_e64 v7, v8, 1, s9
	v_cmp_eq_u32_e64 s9, 1, v9
	s_delay_alu instid0(VALU_DEP_1) | instskip(SKIP_1) | instid1(VALU_DEP_1)
	v_cndmask_b32_e64 v9, v7, 1, s9
	v_cmp_eq_u16_e64 s9, 0, v12
	v_dual_cndmask_b32 v12, 0, v2, s9 :: v_dual_bitop2_b32 v11, 1, v11 bitop3:0x40
	s_delay_alu instid0(VALU_DEP_1) | instskip(NEXT) | instid1(VALU_DEP_2)
	v_cmp_eq_u32_e64 s9, 1, v11
	v_add_nc_u32_e32 v3, v12, v3
	s_delay_alu instid0(VALU_DEP_2)
	v_cndmask_b32_e64 v11, v9, 1, s9
	v_cmp_eq_u32_e64 s9, 1, v10
	ds_store_2addr_b32 v1, v4, v5 offset0:6 offset1:8
	ds_store_2addr_b32 v1, v2, v3 offset0:10 offset1:12
	v_cndmask_b32_e64 v10, v11, 1, s9
	v_cmp_eq_u16_e64 s9, 0, v17
	s_delay_alu instid0(VALU_DEP_1) | instskip(NEXT) | instid1(VALU_DEP_1)
	v_dual_cndmask_b32 v12, 0, v3, s9 :: v_dual_bitop2_b32 v23, 1, v17 bitop3:0x40
	v_cmp_eq_u32_e64 s9, 1, v23
	s_delay_alu instid0(VALU_DEP_2) | instskip(NEXT) | instid1(VALU_DEP_2)
	v_add_nc_u32_e32 v2, v12, v13
	v_cndmask_b32_e64 v17, v10, 1, s9
	ds_store_b8 v1, v6 offset:12
	ds_store_b8 v1, v8 offset:20
	;; [unrolled: 1-line block ×6, first 2 shown]
	ds_store_b32 v1, v2 offset:56
	ds_store_b8 v1, v17 offset:60
.LBB2233_170:
	s_or_b32 exec_lo, exec_lo, s10
	v_cmp_eq_u32_e64 s9, 0, v0
	v_mov_b32_e32 v2, v41
	s_mov_b32 s11, exec_lo
	s_wait_dscnt 0x0
	s_barrier_signal -1
	s_barrier_wait -1
	v_cmpx_ne_u32_e32 0, v0
	s_cbranch_execz .LBB2233_172
; %bb.171:
	v_add_nc_u32_e32 v1, -1, v0
	s_delay_alu instid0(VALU_DEP_1) | instskip(NEXT) | instid1(VALU_DEP_1)
	v_lshrrev_b32_e32 v2, 2, v1
	v_and_b32_e32 v2, 0x3ffffff8, v2
	s_delay_alu instid0(VALU_DEP_1) | instskip(SKIP_4) | instid1(VALU_DEP_1)
	v_lshl_add_u32 v1, v1, 3, v2
	ds_load_u8 v2, v1 offset:4
	ds_load_b32 v1, v1
	s_wait_dscnt 0x1
	v_cmp_eq_u16_e64 s10, 0, v2
	v_cndmask_b32_e64 v2, 0, v41, s10
	s_wait_dscnt 0x0
	s_delay_alu instid0(VALU_DEP_1)
	v_add_nc_u32_e32 v2, v2, v1
.LBB2233_172:
	s_or_b32 exec_lo, exec_lo, s11
	v_and_b32_e32 v39, 0xff, v15
	v_mov_b32_e32 v38, 0
	s_delay_alu instid0(VALU_DEP_1) | instskip(NEXT) | instid1(VALU_DEP_1)
	v_cmp_eq_u64_e64 s10, 0, v[38:39]
	v_cndmask_b32_e64 v1, 0, v2, s10
	s_delay_alu instid0(VALU_DEP_1) | instskip(NEXT) | instid1(VALU_DEP_1)
	v_add_nc_u32_e32 v3, v1, v14
	v_cndmask_b32_e32 v1, 0, v3, vcc_lo
	s_delay_alu instid0(VALU_DEP_1) | instskip(NEXT) | instid1(VALU_DEP_1)
	v_add_nc_u32_e32 v4, v1, v36
	v_cndmask_b32_e64 v1, 0, v4, s0
	s_delay_alu instid0(VALU_DEP_1) | instskip(NEXT) | instid1(VALU_DEP_1)
	v_add_nc_u32_e32 v5, v1, v34
	v_cndmask_b32_e64 v1, 0, v5, s1
	;; [unrolled: 3-line block ×9, first 2 shown]
	s_delay_alu instid0(VALU_DEP_1)
	v_add_nc_u32_e32 v13, v1, v18
	s_and_saveexec_b32 s0, s9
	s_cbranch_execz .LBB2233_174
; %bb.173:
	ds_load_u8 v1, v38 offset:2100
	ds_load_b32 v17, v38 offset:2096
	v_mov_b32_e32 v15, v38
	s_add_nc_u64 s[2:3], s[16:17], 0x200
	v_dual_mov_b32 v20, 2 :: v_dual_mov_b32 v21, v38
	s_wait_dscnt 0x1
	v_and_b32_e32 v14, 0xffff, v1
	s_delay_alu instid0(VALU_DEP_1) | instskip(SKIP_3) | instid1(VALU_DEP_2)
	v_cmp_eq_u64_e32 vcc_lo, 0, v[14:15]
	v_dual_cndmask_b32 v1, 0, v41, vcc_lo :: v_dual_mov_b32 v19, v14
	v_mov_b64_e32 v[14:15], s[2:3]
	s_wait_dscnt 0x0
	v_add_nc_u32_e32 v18, v1, v17
	;;#ASMSTART
	global_store_b128 v[14:15], v[18:21] off scope:SCOPE_DEV	
s_wait_storecnt 0x0
	;;#ASMEND
.LBB2233_174:
	s_or_b32 exec_lo, exec_lo, s0
	s_add_nc_u64 s[0:1], s[14:15], s[26:27]
	s_and_b32 vcc_lo, exec_lo, s19
	s_add_nc_u64 s[0:1], s[0:1], s[20:21]
	s_cbranch_vccnz .LBB2233_114
.LBB2233_175:
	s_mov_b32 s2, 0
                                        ; implicit-def: $vgpr15
	s_cbranch_execz .LBB2233_177
; %bb.176:
	v_mul_u32_u24_e32 v1, 48, v0
	v_mul_i32_i24_e32 v14, 0xffffffd4, v0
	s_wait_storecnt_dscnt 0x0
	s_barrier_signal -1
	s_barrier_wait -1
	ds_store_b128 v1, v[2:5]
	ds_store_b128 v1, v[6:9] offset:16
	ds_store_b128 v1, v[10:13] offset:32
	v_mad_u32_u24 v1, v0, 48, v14
	s_wait_dscnt 0x0
	s_barrier_signal -1
	s_barrier_wait -1
	ds_load_2addr_stride64_b32 v[2:3], v1 offset1:4
	ds_load_2addr_stride64_b32 v[4:5], v1 offset0:8 offset1:12
	ds_load_2addr_stride64_b32 v[6:7], v1 offset0:16 offset1:20
	;; [unrolled: 1-line block ×5, first 2 shown]
	s_or_b32 s2, s2, exec_lo
	s_wait_dscnt 0x5
	s_clause 0x1
	flat_store_b32 v0, v2, s[0:1] scale_offset
	flat_store_b32 v0, v3, s[0:1] offset:1024 scale_offset
	s_wait_dscnt 0x6
	s_clause 0x1
	flat_store_b32 v0, v4, s[0:1] offset:2048 scale_offset
	flat_store_b32 v0, v5, s[0:1] offset:3072 scale_offset
	s_wait_dscnt 0x7
	s_clause 0x1
	flat_store_b32 v0, v6, s[0:1] offset:4096 scale_offset
	;; [unrolled: 4-line block ×4, first 2 shown]
	flat_store_b32 v0, v11, s[0:1] offset:9216 scale_offset
	s_wait_dscnt 0xa
	flat_store_b32 v0, v14, s[0:1] offset:10240 scale_offset
.LBB2233_177:
	s_wait_xcnt 0x0
	s_delay_alu instid0(VALU_DEP_1)
	s_and_saveexec_b32 s3, s2
	s_cbranch_execz .LBB2233_179
; %bb.178:
	s_wait_dscnt 0x0
	flat_store_b32 v0, v15, s[0:1] offset:11264 scale_offset
	s_endpgm
.LBB2233_179:
	s_endpgm
	.section	.rodata,"a",@progbits
	.p2align	6, 0x0
	.amdhsa_kernel _ZN7rocprim17ROCPRIM_400000_NS6detail17trampoline_kernelINS0_14default_configENS1_27scan_by_key_config_selectorIiiEEZZNS1_16scan_by_key_implILNS1_25lookback_scan_determinismE0ELb1ES3_N6thrust23THRUST_200600_302600_NS10device_ptrIiEESB_SB_iNS9_4plusIvEENS9_8equal_toIvEEiEE10hipError_tPvRmT2_T3_T4_T5_mT6_T7_P12ihipStream_tbENKUlT_T0_E_clISt17integral_constantIbLb0EESW_EEDaSR_SS_EUlSR_E_NS1_11comp_targetILNS1_3genE0ELNS1_11target_archE4294967295ELNS1_3gpuE0ELNS1_3repE0EEENS1_30default_config_static_selectorELNS0_4arch9wavefront6targetE0EEEvT1_
		.amdhsa_group_segment_fixed_size 14336
		.amdhsa_private_segment_fixed_size 0
		.amdhsa_kernarg_size 112
		.amdhsa_user_sgpr_count 2
		.amdhsa_user_sgpr_dispatch_ptr 0
		.amdhsa_user_sgpr_queue_ptr 0
		.amdhsa_user_sgpr_kernarg_segment_ptr 1
		.amdhsa_user_sgpr_dispatch_id 0
		.amdhsa_user_sgpr_kernarg_preload_length 0
		.amdhsa_user_sgpr_kernarg_preload_offset 0
		.amdhsa_user_sgpr_private_segment_size 0
		.amdhsa_wavefront_size32 1
		.amdhsa_uses_dynamic_stack 0
		.amdhsa_enable_private_segment 0
		.amdhsa_system_sgpr_workgroup_id_x 1
		.amdhsa_system_sgpr_workgroup_id_y 0
		.amdhsa_system_sgpr_workgroup_id_z 0
		.amdhsa_system_sgpr_workgroup_info 0
		.amdhsa_system_vgpr_workitem_id 0
		.amdhsa_next_free_vgpr 62
		.amdhsa_next_free_sgpr 37
		.amdhsa_named_barrier_count 0
		.amdhsa_reserve_vcc 1
		.amdhsa_float_round_mode_32 0
		.amdhsa_float_round_mode_16_64 0
		.amdhsa_float_denorm_mode_32 3
		.amdhsa_float_denorm_mode_16_64 3
		.amdhsa_fp16_overflow 0
		.amdhsa_memory_ordered 1
		.amdhsa_forward_progress 1
		.amdhsa_inst_pref_size 95
		.amdhsa_round_robin_scheduling 0
		.amdhsa_exception_fp_ieee_invalid_op 0
		.amdhsa_exception_fp_denorm_src 0
		.amdhsa_exception_fp_ieee_div_zero 0
		.amdhsa_exception_fp_ieee_overflow 0
		.amdhsa_exception_fp_ieee_underflow 0
		.amdhsa_exception_fp_ieee_inexact 0
		.amdhsa_exception_int_div_zero 0
	.end_amdhsa_kernel
	.section	.text._ZN7rocprim17ROCPRIM_400000_NS6detail17trampoline_kernelINS0_14default_configENS1_27scan_by_key_config_selectorIiiEEZZNS1_16scan_by_key_implILNS1_25lookback_scan_determinismE0ELb1ES3_N6thrust23THRUST_200600_302600_NS10device_ptrIiEESB_SB_iNS9_4plusIvEENS9_8equal_toIvEEiEE10hipError_tPvRmT2_T3_T4_T5_mT6_T7_P12ihipStream_tbENKUlT_T0_E_clISt17integral_constantIbLb0EESW_EEDaSR_SS_EUlSR_E_NS1_11comp_targetILNS1_3genE0ELNS1_11target_archE4294967295ELNS1_3gpuE0ELNS1_3repE0EEENS1_30default_config_static_selectorELNS0_4arch9wavefront6targetE0EEEvT1_,"axG",@progbits,_ZN7rocprim17ROCPRIM_400000_NS6detail17trampoline_kernelINS0_14default_configENS1_27scan_by_key_config_selectorIiiEEZZNS1_16scan_by_key_implILNS1_25lookback_scan_determinismE0ELb1ES3_N6thrust23THRUST_200600_302600_NS10device_ptrIiEESB_SB_iNS9_4plusIvEENS9_8equal_toIvEEiEE10hipError_tPvRmT2_T3_T4_T5_mT6_T7_P12ihipStream_tbENKUlT_T0_E_clISt17integral_constantIbLb0EESW_EEDaSR_SS_EUlSR_E_NS1_11comp_targetILNS1_3genE0ELNS1_11target_archE4294967295ELNS1_3gpuE0ELNS1_3repE0EEENS1_30default_config_static_selectorELNS0_4arch9wavefront6targetE0EEEvT1_,comdat
.Lfunc_end2233:
	.size	_ZN7rocprim17ROCPRIM_400000_NS6detail17trampoline_kernelINS0_14default_configENS1_27scan_by_key_config_selectorIiiEEZZNS1_16scan_by_key_implILNS1_25lookback_scan_determinismE0ELb1ES3_N6thrust23THRUST_200600_302600_NS10device_ptrIiEESB_SB_iNS9_4plusIvEENS9_8equal_toIvEEiEE10hipError_tPvRmT2_T3_T4_T5_mT6_T7_P12ihipStream_tbENKUlT_T0_E_clISt17integral_constantIbLb0EESW_EEDaSR_SS_EUlSR_E_NS1_11comp_targetILNS1_3genE0ELNS1_11target_archE4294967295ELNS1_3gpuE0ELNS1_3repE0EEENS1_30default_config_static_selectorELNS0_4arch9wavefront6targetE0EEEvT1_, .Lfunc_end2233-_ZN7rocprim17ROCPRIM_400000_NS6detail17trampoline_kernelINS0_14default_configENS1_27scan_by_key_config_selectorIiiEEZZNS1_16scan_by_key_implILNS1_25lookback_scan_determinismE0ELb1ES3_N6thrust23THRUST_200600_302600_NS10device_ptrIiEESB_SB_iNS9_4plusIvEENS9_8equal_toIvEEiEE10hipError_tPvRmT2_T3_T4_T5_mT6_T7_P12ihipStream_tbENKUlT_T0_E_clISt17integral_constantIbLb0EESW_EEDaSR_SS_EUlSR_E_NS1_11comp_targetILNS1_3genE0ELNS1_11target_archE4294967295ELNS1_3gpuE0ELNS1_3repE0EEENS1_30default_config_static_selectorELNS0_4arch9wavefront6targetE0EEEvT1_
                                        ; -- End function
	.set _ZN7rocprim17ROCPRIM_400000_NS6detail17trampoline_kernelINS0_14default_configENS1_27scan_by_key_config_selectorIiiEEZZNS1_16scan_by_key_implILNS1_25lookback_scan_determinismE0ELb1ES3_N6thrust23THRUST_200600_302600_NS10device_ptrIiEESB_SB_iNS9_4plusIvEENS9_8equal_toIvEEiEE10hipError_tPvRmT2_T3_T4_T5_mT6_T7_P12ihipStream_tbENKUlT_T0_E_clISt17integral_constantIbLb0EESW_EEDaSR_SS_EUlSR_E_NS1_11comp_targetILNS1_3genE0ELNS1_11target_archE4294967295ELNS1_3gpuE0ELNS1_3repE0EEENS1_30default_config_static_selectorELNS0_4arch9wavefront6targetE0EEEvT1_.num_vgpr, 62
	.set _ZN7rocprim17ROCPRIM_400000_NS6detail17trampoline_kernelINS0_14default_configENS1_27scan_by_key_config_selectorIiiEEZZNS1_16scan_by_key_implILNS1_25lookback_scan_determinismE0ELb1ES3_N6thrust23THRUST_200600_302600_NS10device_ptrIiEESB_SB_iNS9_4plusIvEENS9_8equal_toIvEEiEE10hipError_tPvRmT2_T3_T4_T5_mT6_T7_P12ihipStream_tbENKUlT_T0_E_clISt17integral_constantIbLb0EESW_EEDaSR_SS_EUlSR_E_NS1_11comp_targetILNS1_3genE0ELNS1_11target_archE4294967295ELNS1_3gpuE0ELNS1_3repE0EEENS1_30default_config_static_selectorELNS0_4arch9wavefront6targetE0EEEvT1_.num_agpr, 0
	.set _ZN7rocprim17ROCPRIM_400000_NS6detail17trampoline_kernelINS0_14default_configENS1_27scan_by_key_config_selectorIiiEEZZNS1_16scan_by_key_implILNS1_25lookback_scan_determinismE0ELb1ES3_N6thrust23THRUST_200600_302600_NS10device_ptrIiEESB_SB_iNS9_4plusIvEENS9_8equal_toIvEEiEE10hipError_tPvRmT2_T3_T4_T5_mT6_T7_P12ihipStream_tbENKUlT_T0_E_clISt17integral_constantIbLb0EESW_EEDaSR_SS_EUlSR_E_NS1_11comp_targetILNS1_3genE0ELNS1_11target_archE4294967295ELNS1_3gpuE0ELNS1_3repE0EEENS1_30default_config_static_selectorELNS0_4arch9wavefront6targetE0EEEvT1_.numbered_sgpr, 37
	.set _ZN7rocprim17ROCPRIM_400000_NS6detail17trampoline_kernelINS0_14default_configENS1_27scan_by_key_config_selectorIiiEEZZNS1_16scan_by_key_implILNS1_25lookback_scan_determinismE0ELb1ES3_N6thrust23THRUST_200600_302600_NS10device_ptrIiEESB_SB_iNS9_4plusIvEENS9_8equal_toIvEEiEE10hipError_tPvRmT2_T3_T4_T5_mT6_T7_P12ihipStream_tbENKUlT_T0_E_clISt17integral_constantIbLb0EESW_EEDaSR_SS_EUlSR_E_NS1_11comp_targetILNS1_3genE0ELNS1_11target_archE4294967295ELNS1_3gpuE0ELNS1_3repE0EEENS1_30default_config_static_selectorELNS0_4arch9wavefront6targetE0EEEvT1_.num_named_barrier, 0
	.set _ZN7rocprim17ROCPRIM_400000_NS6detail17trampoline_kernelINS0_14default_configENS1_27scan_by_key_config_selectorIiiEEZZNS1_16scan_by_key_implILNS1_25lookback_scan_determinismE0ELb1ES3_N6thrust23THRUST_200600_302600_NS10device_ptrIiEESB_SB_iNS9_4plusIvEENS9_8equal_toIvEEiEE10hipError_tPvRmT2_T3_T4_T5_mT6_T7_P12ihipStream_tbENKUlT_T0_E_clISt17integral_constantIbLb0EESW_EEDaSR_SS_EUlSR_E_NS1_11comp_targetILNS1_3genE0ELNS1_11target_archE4294967295ELNS1_3gpuE0ELNS1_3repE0EEENS1_30default_config_static_selectorELNS0_4arch9wavefront6targetE0EEEvT1_.private_seg_size, 0
	.set _ZN7rocprim17ROCPRIM_400000_NS6detail17trampoline_kernelINS0_14default_configENS1_27scan_by_key_config_selectorIiiEEZZNS1_16scan_by_key_implILNS1_25lookback_scan_determinismE0ELb1ES3_N6thrust23THRUST_200600_302600_NS10device_ptrIiEESB_SB_iNS9_4plusIvEENS9_8equal_toIvEEiEE10hipError_tPvRmT2_T3_T4_T5_mT6_T7_P12ihipStream_tbENKUlT_T0_E_clISt17integral_constantIbLb0EESW_EEDaSR_SS_EUlSR_E_NS1_11comp_targetILNS1_3genE0ELNS1_11target_archE4294967295ELNS1_3gpuE0ELNS1_3repE0EEENS1_30default_config_static_selectorELNS0_4arch9wavefront6targetE0EEEvT1_.uses_vcc, 1
	.set _ZN7rocprim17ROCPRIM_400000_NS6detail17trampoline_kernelINS0_14default_configENS1_27scan_by_key_config_selectorIiiEEZZNS1_16scan_by_key_implILNS1_25lookback_scan_determinismE0ELb1ES3_N6thrust23THRUST_200600_302600_NS10device_ptrIiEESB_SB_iNS9_4plusIvEENS9_8equal_toIvEEiEE10hipError_tPvRmT2_T3_T4_T5_mT6_T7_P12ihipStream_tbENKUlT_T0_E_clISt17integral_constantIbLb0EESW_EEDaSR_SS_EUlSR_E_NS1_11comp_targetILNS1_3genE0ELNS1_11target_archE4294967295ELNS1_3gpuE0ELNS1_3repE0EEENS1_30default_config_static_selectorELNS0_4arch9wavefront6targetE0EEEvT1_.uses_flat_scratch, 1
	.set _ZN7rocprim17ROCPRIM_400000_NS6detail17trampoline_kernelINS0_14default_configENS1_27scan_by_key_config_selectorIiiEEZZNS1_16scan_by_key_implILNS1_25lookback_scan_determinismE0ELb1ES3_N6thrust23THRUST_200600_302600_NS10device_ptrIiEESB_SB_iNS9_4plusIvEENS9_8equal_toIvEEiEE10hipError_tPvRmT2_T3_T4_T5_mT6_T7_P12ihipStream_tbENKUlT_T0_E_clISt17integral_constantIbLb0EESW_EEDaSR_SS_EUlSR_E_NS1_11comp_targetILNS1_3genE0ELNS1_11target_archE4294967295ELNS1_3gpuE0ELNS1_3repE0EEENS1_30default_config_static_selectorELNS0_4arch9wavefront6targetE0EEEvT1_.has_dyn_sized_stack, 0
	.set _ZN7rocprim17ROCPRIM_400000_NS6detail17trampoline_kernelINS0_14default_configENS1_27scan_by_key_config_selectorIiiEEZZNS1_16scan_by_key_implILNS1_25lookback_scan_determinismE0ELb1ES3_N6thrust23THRUST_200600_302600_NS10device_ptrIiEESB_SB_iNS9_4plusIvEENS9_8equal_toIvEEiEE10hipError_tPvRmT2_T3_T4_T5_mT6_T7_P12ihipStream_tbENKUlT_T0_E_clISt17integral_constantIbLb0EESW_EEDaSR_SS_EUlSR_E_NS1_11comp_targetILNS1_3genE0ELNS1_11target_archE4294967295ELNS1_3gpuE0ELNS1_3repE0EEENS1_30default_config_static_selectorELNS0_4arch9wavefront6targetE0EEEvT1_.has_recursion, 0
	.set _ZN7rocprim17ROCPRIM_400000_NS6detail17trampoline_kernelINS0_14default_configENS1_27scan_by_key_config_selectorIiiEEZZNS1_16scan_by_key_implILNS1_25lookback_scan_determinismE0ELb1ES3_N6thrust23THRUST_200600_302600_NS10device_ptrIiEESB_SB_iNS9_4plusIvEENS9_8equal_toIvEEiEE10hipError_tPvRmT2_T3_T4_T5_mT6_T7_P12ihipStream_tbENKUlT_T0_E_clISt17integral_constantIbLb0EESW_EEDaSR_SS_EUlSR_E_NS1_11comp_targetILNS1_3genE0ELNS1_11target_archE4294967295ELNS1_3gpuE0ELNS1_3repE0EEENS1_30default_config_static_selectorELNS0_4arch9wavefront6targetE0EEEvT1_.has_indirect_call, 0
	.section	.AMDGPU.csdata,"",@progbits
; Kernel info:
; codeLenInByte = 12036
; TotalNumSgprs: 39
; NumVgprs: 62
; ScratchSize: 0
; MemoryBound: 0
; FloatMode: 240
; IeeeMode: 1
; LDSByteSize: 14336 bytes/workgroup (compile time only)
; SGPRBlocks: 0
; VGPRBlocks: 3
; NumSGPRsForWavesPerEU: 39
; NumVGPRsForWavesPerEU: 62
; NamedBarCnt: 0
; Occupancy: 16
; WaveLimiterHint : 1
; COMPUTE_PGM_RSRC2:SCRATCH_EN: 0
; COMPUTE_PGM_RSRC2:USER_SGPR: 2
; COMPUTE_PGM_RSRC2:TRAP_HANDLER: 0
; COMPUTE_PGM_RSRC2:TGID_X_EN: 1
; COMPUTE_PGM_RSRC2:TGID_Y_EN: 0
; COMPUTE_PGM_RSRC2:TGID_Z_EN: 0
; COMPUTE_PGM_RSRC2:TIDIG_COMP_CNT: 0
	.section	.text._ZN7rocprim17ROCPRIM_400000_NS6detail17trampoline_kernelINS0_14default_configENS1_27scan_by_key_config_selectorIiiEEZZNS1_16scan_by_key_implILNS1_25lookback_scan_determinismE0ELb1ES3_N6thrust23THRUST_200600_302600_NS10device_ptrIiEESB_SB_iNS9_4plusIvEENS9_8equal_toIvEEiEE10hipError_tPvRmT2_T3_T4_T5_mT6_T7_P12ihipStream_tbENKUlT_T0_E_clISt17integral_constantIbLb0EESW_EEDaSR_SS_EUlSR_E_NS1_11comp_targetILNS1_3genE10ELNS1_11target_archE1201ELNS1_3gpuE5ELNS1_3repE0EEENS1_30default_config_static_selectorELNS0_4arch9wavefront6targetE0EEEvT1_,"axG",@progbits,_ZN7rocprim17ROCPRIM_400000_NS6detail17trampoline_kernelINS0_14default_configENS1_27scan_by_key_config_selectorIiiEEZZNS1_16scan_by_key_implILNS1_25lookback_scan_determinismE0ELb1ES3_N6thrust23THRUST_200600_302600_NS10device_ptrIiEESB_SB_iNS9_4plusIvEENS9_8equal_toIvEEiEE10hipError_tPvRmT2_T3_T4_T5_mT6_T7_P12ihipStream_tbENKUlT_T0_E_clISt17integral_constantIbLb0EESW_EEDaSR_SS_EUlSR_E_NS1_11comp_targetILNS1_3genE10ELNS1_11target_archE1201ELNS1_3gpuE5ELNS1_3repE0EEENS1_30default_config_static_selectorELNS0_4arch9wavefront6targetE0EEEvT1_,comdat
	.protected	_ZN7rocprim17ROCPRIM_400000_NS6detail17trampoline_kernelINS0_14default_configENS1_27scan_by_key_config_selectorIiiEEZZNS1_16scan_by_key_implILNS1_25lookback_scan_determinismE0ELb1ES3_N6thrust23THRUST_200600_302600_NS10device_ptrIiEESB_SB_iNS9_4plusIvEENS9_8equal_toIvEEiEE10hipError_tPvRmT2_T3_T4_T5_mT6_T7_P12ihipStream_tbENKUlT_T0_E_clISt17integral_constantIbLb0EESW_EEDaSR_SS_EUlSR_E_NS1_11comp_targetILNS1_3genE10ELNS1_11target_archE1201ELNS1_3gpuE5ELNS1_3repE0EEENS1_30default_config_static_selectorELNS0_4arch9wavefront6targetE0EEEvT1_ ; -- Begin function _ZN7rocprim17ROCPRIM_400000_NS6detail17trampoline_kernelINS0_14default_configENS1_27scan_by_key_config_selectorIiiEEZZNS1_16scan_by_key_implILNS1_25lookback_scan_determinismE0ELb1ES3_N6thrust23THRUST_200600_302600_NS10device_ptrIiEESB_SB_iNS9_4plusIvEENS9_8equal_toIvEEiEE10hipError_tPvRmT2_T3_T4_T5_mT6_T7_P12ihipStream_tbENKUlT_T0_E_clISt17integral_constantIbLb0EESW_EEDaSR_SS_EUlSR_E_NS1_11comp_targetILNS1_3genE10ELNS1_11target_archE1201ELNS1_3gpuE5ELNS1_3repE0EEENS1_30default_config_static_selectorELNS0_4arch9wavefront6targetE0EEEvT1_
	.globl	_ZN7rocprim17ROCPRIM_400000_NS6detail17trampoline_kernelINS0_14default_configENS1_27scan_by_key_config_selectorIiiEEZZNS1_16scan_by_key_implILNS1_25lookback_scan_determinismE0ELb1ES3_N6thrust23THRUST_200600_302600_NS10device_ptrIiEESB_SB_iNS9_4plusIvEENS9_8equal_toIvEEiEE10hipError_tPvRmT2_T3_T4_T5_mT6_T7_P12ihipStream_tbENKUlT_T0_E_clISt17integral_constantIbLb0EESW_EEDaSR_SS_EUlSR_E_NS1_11comp_targetILNS1_3genE10ELNS1_11target_archE1201ELNS1_3gpuE5ELNS1_3repE0EEENS1_30default_config_static_selectorELNS0_4arch9wavefront6targetE0EEEvT1_
	.p2align	8
	.type	_ZN7rocprim17ROCPRIM_400000_NS6detail17trampoline_kernelINS0_14default_configENS1_27scan_by_key_config_selectorIiiEEZZNS1_16scan_by_key_implILNS1_25lookback_scan_determinismE0ELb1ES3_N6thrust23THRUST_200600_302600_NS10device_ptrIiEESB_SB_iNS9_4plusIvEENS9_8equal_toIvEEiEE10hipError_tPvRmT2_T3_T4_T5_mT6_T7_P12ihipStream_tbENKUlT_T0_E_clISt17integral_constantIbLb0EESW_EEDaSR_SS_EUlSR_E_NS1_11comp_targetILNS1_3genE10ELNS1_11target_archE1201ELNS1_3gpuE5ELNS1_3repE0EEENS1_30default_config_static_selectorELNS0_4arch9wavefront6targetE0EEEvT1_,@function
_ZN7rocprim17ROCPRIM_400000_NS6detail17trampoline_kernelINS0_14default_configENS1_27scan_by_key_config_selectorIiiEEZZNS1_16scan_by_key_implILNS1_25lookback_scan_determinismE0ELb1ES3_N6thrust23THRUST_200600_302600_NS10device_ptrIiEESB_SB_iNS9_4plusIvEENS9_8equal_toIvEEiEE10hipError_tPvRmT2_T3_T4_T5_mT6_T7_P12ihipStream_tbENKUlT_T0_E_clISt17integral_constantIbLb0EESW_EEDaSR_SS_EUlSR_E_NS1_11comp_targetILNS1_3genE10ELNS1_11target_archE1201ELNS1_3gpuE5ELNS1_3repE0EEENS1_30default_config_static_selectorELNS0_4arch9wavefront6targetE0EEEvT1_: ; @_ZN7rocprim17ROCPRIM_400000_NS6detail17trampoline_kernelINS0_14default_configENS1_27scan_by_key_config_selectorIiiEEZZNS1_16scan_by_key_implILNS1_25lookback_scan_determinismE0ELb1ES3_N6thrust23THRUST_200600_302600_NS10device_ptrIiEESB_SB_iNS9_4plusIvEENS9_8equal_toIvEEiEE10hipError_tPvRmT2_T3_T4_T5_mT6_T7_P12ihipStream_tbENKUlT_T0_E_clISt17integral_constantIbLb0EESW_EEDaSR_SS_EUlSR_E_NS1_11comp_targetILNS1_3genE10ELNS1_11target_archE1201ELNS1_3gpuE5ELNS1_3repE0EEENS1_30default_config_static_selectorELNS0_4arch9wavefront6targetE0EEEvT1_
; %bb.0:
	.section	.rodata,"a",@progbits
	.p2align	6, 0x0
	.amdhsa_kernel _ZN7rocprim17ROCPRIM_400000_NS6detail17trampoline_kernelINS0_14default_configENS1_27scan_by_key_config_selectorIiiEEZZNS1_16scan_by_key_implILNS1_25lookback_scan_determinismE0ELb1ES3_N6thrust23THRUST_200600_302600_NS10device_ptrIiEESB_SB_iNS9_4plusIvEENS9_8equal_toIvEEiEE10hipError_tPvRmT2_T3_T4_T5_mT6_T7_P12ihipStream_tbENKUlT_T0_E_clISt17integral_constantIbLb0EESW_EEDaSR_SS_EUlSR_E_NS1_11comp_targetILNS1_3genE10ELNS1_11target_archE1201ELNS1_3gpuE5ELNS1_3repE0EEENS1_30default_config_static_selectorELNS0_4arch9wavefront6targetE0EEEvT1_
		.amdhsa_group_segment_fixed_size 0
		.amdhsa_private_segment_fixed_size 0
		.amdhsa_kernarg_size 112
		.amdhsa_user_sgpr_count 2
		.amdhsa_user_sgpr_dispatch_ptr 0
		.amdhsa_user_sgpr_queue_ptr 0
		.amdhsa_user_sgpr_kernarg_segment_ptr 1
		.amdhsa_user_sgpr_dispatch_id 0
		.amdhsa_user_sgpr_kernarg_preload_length 0
		.amdhsa_user_sgpr_kernarg_preload_offset 0
		.amdhsa_user_sgpr_private_segment_size 0
		.amdhsa_wavefront_size32 1
		.amdhsa_uses_dynamic_stack 0
		.amdhsa_enable_private_segment 0
		.amdhsa_system_sgpr_workgroup_id_x 1
		.amdhsa_system_sgpr_workgroup_id_y 0
		.amdhsa_system_sgpr_workgroup_id_z 0
		.amdhsa_system_sgpr_workgroup_info 0
		.amdhsa_system_vgpr_workitem_id 0
		.amdhsa_next_free_vgpr 1
		.amdhsa_next_free_sgpr 1
		.amdhsa_named_barrier_count 0
		.amdhsa_reserve_vcc 0
		.amdhsa_float_round_mode_32 0
		.amdhsa_float_round_mode_16_64 0
		.amdhsa_float_denorm_mode_32 3
		.amdhsa_float_denorm_mode_16_64 3
		.amdhsa_fp16_overflow 0
		.amdhsa_memory_ordered 1
		.amdhsa_forward_progress 1
		.amdhsa_inst_pref_size 0
		.amdhsa_round_robin_scheduling 0
		.amdhsa_exception_fp_ieee_invalid_op 0
		.amdhsa_exception_fp_denorm_src 0
		.amdhsa_exception_fp_ieee_div_zero 0
		.amdhsa_exception_fp_ieee_overflow 0
		.amdhsa_exception_fp_ieee_underflow 0
		.amdhsa_exception_fp_ieee_inexact 0
		.amdhsa_exception_int_div_zero 0
	.end_amdhsa_kernel
	.section	.text._ZN7rocprim17ROCPRIM_400000_NS6detail17trampoline_kernelINS0_14default_configENS1_27scan_by_key_config_selectorIiiEEZZNS1_16scan_by_key_implILNS1_25lookback_scan_determinismE0ELb1ES3_N6thrust23THRUST_200600_302600_NS10device_ptrIiEESB_SB_iNS9_4plusIvEENS9_8equal_toIvEEiEE10hipError_tPvRmT2_T3_T4_T5_mT6_T7_P12ihipStream_tbENKUlT_T0_E_clISt17integral_constantIbLb0EESW_EEDaSR_SS_EUlSR_E_NS1_11comp_targetILNS1_3genE10ELNS1_11target_archE1201ELNS1_3gpuE5ELNS1_3repE0EEENS1_30default_config_static_selectorELNS0_4arch9wavefront6targetE0EEEvT1_,"axG",@progbits,_ZN7rocprim17ROCPRIM_400000_NS6detail17trampoline_kernelINS0_14default_configENS1_27scan_by_key_config_selectorIiiEEZZNS1_16scan_by_key_implILNS1_25lookback_scan_determinismE0ELb1ES3_N6thrust23THRUST_200600_302600_NS10device_ptrIiEESB_SB_iNS9_4plusIvEENS9_8equal_toIvEEiEE10hipError_tPvRmT2_T3_T4_T5_mT6_T7_P12ihipStream_tbENKUlT_T0_E_clISt17integral_constantIbLb0EESW_EEDaSR_SS_EUlSR_E_NS1_11comp_targetILNS1_3genE10ELNS1_11target_archE1201ELNS1_3gpuE5ELNS1_3repE0EEENS1_30default_config_static_selectorELNS0_4arch9wavefront6targetE0EEEvT1_,comdat
.Lfunc_end2234:
	.size	_ZN7rocprim17ROCPRIM_400000_NS6detail17trampoline_kernelINS0_14default_configENS1_27scan_by_key_config_selectorIiiEEZZNS1_16scan_by_key_implILNS1_25lookback_scan_determinismE0ELb1ES3_N6thrust23THRUST_200600_302600_NS10device_ptrIiEESB_SB_iNS9_4plusIvEENS9_8equal_toIvEEiEE10hipError_tPvRmT2_T3_T4_T5_mT6_T7_P12ihipStream_tbENKUlT_T0_E_clISt17integral_constantIbLb0EESW_EEDaSR_SS_EUlSR_E_NS1_11comp_targetILNS1_3genE10ELNS1_11target_archE1201ELNS1_3gpuE5ELNS1_3repE0EEENS1_30default_config_static_selectorELNS0_4arch9wavefront6targetE0EEEvT1_, .Lfunc_end2234-_ZN7rocprim17ROCPRIM_400000_NS6detail17trampoline_kernelINS0_14default_configENS1_27scan_by_key_config_selectorIiiEEZZNS1_16scan_by_key_implILNS1_25lookback_scan_determinismE0ELb1ES3_N6thrust23THRUST_200600_302600_NS10device_ptrIiEESB_SB_iNS9_4plusIvEENS9_8equal_toIvEEiEE10hipError_tPvRmT2_T3_T4_T5_mT6_T7_P12ihipStream_tbENKUlT_T0_E_clISt17integral_constantIbLb0EESW_EEDaSR_SS_EUlSR_E_NS1_11comp_targetILNS1_3genE10ELNS1_11target_archE1201ELNS1_3gpuE5ELNS1_3repE0EEENS1_30default_config_static_selectorELNS0_4arch9wavefront6targetE0EEEvT1_
                                        ; -- End function
	.set _ZN7rocprim17ROCPRIM_400000_NS6detail17trampoline_kernelINS0_14default_configENS1_27scan_by_key_config_selectorIiiEEZZNS1_16scan_by_key_implILNS1_25lookback_scan_determinismE0ELb1ES3_N6thrust23THRUST_200600_302600_NS10device_ptrIiEESB_SB_iNS9_4plusIvEENS9_8equal_toIvEEiEE10hipError_tPvRmT2_T3_T4_T5_mT6_T7_P12ihipStream_tbENKUlT_T0_E_clISt17integral_constantIbLb0EESW_EEDaSR_SS_EUlSR_E_NS1_11comp_targetILNS1_3genE10ELNS1_11target_archE1201ELNS1_3gpuE5ELNS1_3repE0EEENS1_30default_config_static_selectorELNS0_4arch9wavefront6targetE0EEEvT1_.num_vgpr, 0
	.set _ZN7rocprim17ROCPRIM_400000_NS6detail17trampoline_kernelINS0_14default_configENS1_27scan_by_key_config_selectorIiiEEZZNS1_16scan_by_key_implILNS1_25lookback_scan_determinismE0ELb1ES3_N6thrust23THRUST_200600_302600_NS10device_ptrIiEESB_SB_iNS9_4plusIvEENS9_8equal_toIvEEiEE10hipError_tPvRmT2_T3_T4_T5_mT6_T7_P12ihipStream_tbENKUlT_T0_E_clISt17integral_constantIbLb0EESW_EEDaSR_SS_EUlSR_E_NS1_11comp_targetILNS1_3genE10ELNS1_11target_archE1201ELNS1_3gpuE5ELNS1_3repE0EEENS1_30default_config_static_selectorELNS0_4arch9wavefront6targetE0EEEvT1_.num_agpr, 0
	.set _ZN7rocprim17ROCPRIM_400000_NS6detail17trampoline_kernelINS0_14default_configENS1_27scan_by_key_config_selectorIiiEEZZNS1_16scan_by_key_implILNS1_25lookback_scan_determinismE0ELb1ES3_N6thrust23THRUST_200600_302600_NS10device_ptrIiEESB_SB_iNS9_4plusIvEENS9_8equal_toIvEEiEE10hipError_tPvRmT2_T3_T4_T5_mT6_T7_P12ihipStream_tbENKUlT_T0_E_clISt17integral_constantIbLb0EESW_EEDaSR_SS_EUlSR_E_NS1_11comp_targetILNS1_3genE10ELNS1_11target_archE1201ELNS1_3gpuE5ELNS1_3repE0EEENS1_30default_config_static_selectorELNS0_4arch9wavefront6targetE0EEEvT1_.numbered_sgpr, 0
	.set _ZN7rocprim17ROCPRIM_400000_NS6detail17trampoline_kernelINS0_14default_configENS1_27scan_by_key_config_selectorIiiEEZZNS1_16scan_by_key_implILNS1_25lookback_scan_determinismE0ELb1ES3_N6thrust23THRUST_200600_302600_NS10device_ptrIiEESB_SB_iNS9_4plusIvEENS9_8equal_toIvEEiEE10hipError_tPvRmT2_T3_T4_T5_mT6_T7_P12ihipStream_tbENKUlT_T0_E_clISt17integral_constantIbLb0EESW_EEDaSR_SS_EUlSR_E_NS1_11comp_targetILNS1_3genE10ELNS1_11target_archE1201ELNS1_3gpuE5ELNS1_3repE0EEENS1_30default_config_static_selectorELNS0_4arch9wavefront6targetE0EEEvT1_.num_named_barrier, 0
	.set _ZN7rocprim17ROCPRIM_400000_NS6detail17trampoline_kernelINS0_14default_configENS1_27scan_by_key_config_selectorIiiEEZZNS1_16scan_by_key_implILNS1_25lookback_scan_determinismE0ELb1ES3_N6thrust23THRUST_200600_302600_NS10device_ptrIiEESB_SB_iNS9_4plusIvEENS9_8equal_toIvEEiEE10hipError_tPvRmT2_T3_T4_T5_mT6_T7_P12ihipStream_tbENKUlT_T0_E_clISt17integral_constantIbLb0EESW_EEDaSR_SS_EUlSR_E_NS1_11comp_targetILNS1_3genE10ELNS1_11target_archE1201ELNS1_3gpuE5ELNS1_3repE0EEENS1_30default_config_static_selectorELNS0_4arch9wavefront6targetE0EEEvT1_.private_seg_size, 0
	.set _ZN7rocprim17ROCPRIM_400000_NS6detail17trampoline_kernelINS0_14default_configENS1_27scan_by_key_config_selectorIiiEEZZNS1_16scan_by_key_implILNS1_25lookback_scan_determinismE0ELb1ES3_N6thrust23THRUST_200600_302600_NS10device_ptrIiEESB_SB_iNS9_4plusIvEENS9_8equal_toIvEEiEE10hipError_tPvRmT2_T3_T4_T5_mT6_T7_P12ihipStream_tbENKUlT_T0_E_clISt17integral_constantIbLb0EESW_EEDaSR_SS_EUlSR_E_NS1_11comp_targetILNS1_3genE10ELNS1_11target_archE1201ELNS1_3gpuE5ELNS1_3repE0EEENS1_30default_config_static_selectorELNS0_4arch9wavefront6targetE0EEEvT1_.uses_vcc, 0
	.set _ZN7rocprim17ROCPRIM_400000_NS6detail17trampoline_kernelINS0_14default_configENS1_27scan_by_key_config_selectorIiiEEZZNS1_16scan_by_key_implILNS1_25lookback_scan_determinismE0ELb1ES3_N6thrust23THRUST_200600_302600_NS10device_ptrIiEESB_SB_iNS9_4plusIvEENS9_8equal_toIvEEiEE10hipError_tPvRmT2_T3_T4_T5_mT6_T7_P12ihipStream_tbENKUlT_T0_E_clISt17integral_constantIbLb0EESW_EEDaSR_SS_EUlSR_E_NS1_11comp_targetILNS1_3genE10ELNS1_11target_archE1201ELNS1_3gpuE5ELNS1_3repE0EEENS1_30default_config_static_selectorELNS0_4arch9wavefront6targetE0EEEvT1_.uses_flat_scratch, 0
	.set _ZN7rocprim17ROCPRIM_400000_NS6detail17trampoline_kernelINS0_14default_configENS1_27scan_by_key_config_selectorIiiEEZZNS1_16scan_by_key_implILNS1_25lookback_scan_determinismE0ELb1ES3_N6thrust23THRUST_200600_302600_NS10device_ptrIiEESB_SB_iNS9_4plusIvEENS9_8equal_toIvEEiEE10hipError_tPvRmT2_T3_T4_T5_mT6_T7_P12ihipStream_tbENKUlT_T0_E_clISt17integral_constantIbLb0EESW_EEDaSR_SS_EUlSR_E_NS1_11comp_targetILNS1_3genE10ELNS1_11target_archE1201ELNS1_3gpuE5ELNS1_3repE0EEENS1_30default_config_static_selectorELNS0_4arch9wavefront6targetE0EEEvT1_.has_dyn_sized_stack, 0
	.set _ZN7rocprim17ROCPRIM_400000_NS6detail17trampoline_kernelINS0_14default_configENS1_27scan_by_key_config_selectorIiiEEZZNS1_16scan_by_key_implILNS1_25lookback_scan_determinismE0ELb1ES3_N6thrust23THRUST_200600_302600_NS10device_ptrIiEESB_SB_iNS9_4plusIvEENS9_8equal_toIvEEiEE10hipError_tPvRmT2_T3_T4_T5_mT6_T7_P12ihipStream_tbENKUlT_T0_E_clISt17integral_constantIbLb0EESW_EEDaSR_SS_EUlSR_E_NS1_11comp_targetILNS1_3genE10ELNS1_11target_archE1201ELNS1_3gpuE5ELNS1_3repE0EEENS1_30default_config_static_selectorELNS0_4arch9wavefront6targetE0EEEvT1_.has_recursion, 0
	.set _ZN7rocprim17ROCPRIM_400000_NS6detail17trampoline_kernelINS0_14default_configENS1_27scan_by_key_config_selectorIiiEEZZNS1_16scan_by_key_implILNS1_25lookback_scan_determinismE0ELb1ES3_N6thrust23THRUST_200600_302600_NS10device_ptrIiEESB_SB_iNS9_4plusIvEENS9_8equal_toIvEEiEE10hipError_tPvRmT2_T3_T4_T5_mT6_T7_P12ihipStream_tbENKUlT_T0_E_clISt17integral_constantIbLb0EESW_EEDaSR_SS_EUlSR_E_NS1_11comp_targetILNS1_3genE10ELNS1_11target_archE1201ELNS1_3gpuE5ELNS1_3repE0EEENS1_30default_config_static_selectorELNS0_4arch9wavefront6targetE0EEEvT1_.has_indirect_call, 0
	.section	.AMDGPU.csdata,"",@progbits
; Kernel info:
; codeLenInByte = 0
; TotalNumSgprs: 0
; NumVgprs: 0
; ScratchSize: 0
; MemoryBound: 0
; FloatMode: 240
; IeeeMode: 1
; LDSByteSize: 0 bytes/workgroup (compile time only)
; SGPRBlocks: 0
; VGPRBlocks: 0
; NumSGPRsForWavesPerEU: 1
; NumVGPRsForWavesPerEU: 1
; NamedBarCnt: 0
; Occupancy: 16
; WaveLimiterHint : 0
; COMPUTE_PGM_RSRC2:SCRATCH_EN: 0
; COMPUTE_PGM_RSRC2:USER_SGPR: 2
; COMPUTE_PGM_RSRC2:TRAP_HANDLER: 0
; COMPUTE_PGM_RSRC2:TGID_X_EN: 1
; COMPUTE_PGM_RSRC2:TGID_Y_EN: 0
; COMPUTE_PGM_RSRC2:TGID_Z_EN: 0
; COMPUTE_PGM_RSRC2:TIDIG_COMP_CNT: 0
	.section	.text._ZN7rocprim17ROCPRIM_400000_NS6detail17trampoline_kernelINS0_14default_configENS1_27scan_by_key_config_selectorIiiEEZZNS1_16scan_by_key_implILNS1_25lookback_scan_determinismE0ELb1ES3_N6thrust23THRUST_200600_302600_NS10device_ptrIiEESB_SB_iNS9_4plusIvEENS9_8equal_toIvEEiEE10hipError_tPvRmT2_T3_T4_T5_mT6_T7_P12ihipStream_tbENKUlT_T0_E_clISt17integral_constantIbLb0EESW_EEDaSR_SS_EUlSR_E_NS1_11comp_targetILNS1_3genE5ELNS1_11target_archE942ELNS1_3gpuE9ELNS1_3repE0EEENS1_30default_config_static_selectorELNS0_4arch9wavefront6targetE0EEEvT1_,"axG",@progbits,_ZN7rocprim17ROCPRIM_400000_NS6detail17trampoline_kernelINS0_14default_configENS1_27scan_by_key_config_selectorIiiEEZZNS1_16scan_by_key_implILNS1_25lookback_scan_determinismE0ELb1ES3_N6thrust23THRUST_200600_302600_NS10device_ptrIiEESB_SB_iNS9_4plusIvEENS9_8equal_toIvEEiEE10hipError_tPvRmT2_T3_T4_T5_mT6_T7_P12ihipStream_tbENKUlT_T0_E_clISt17integral_constantIbLb0EESW_EEDaSR_SS_EUlSR_E_NS1_11comp_targetILNS1_3genE5ELNS1_11target_archE942ELNS1_3gpuE9ELNS1_3repE0EEENS1_30default_config_static_selectorELNS0_4arch9wavefront6targetE0EEEvT1_,comdat
	.protected	_ZN7rocprim17ROCPRIM_400000_NS6detail17trampoline_kernelINS0_14default_configENS1_27scan_by_key_config_selectorIiiEEZZNS1_16scan_by_key_implILNS1_25lookback_scan_determinismE0ELb1ES3_N6thrust23THRUST_200600_302600_NS10device_ptrIiEESB_SB_iNS9_4plusIvEENS9_8equal_toIvEEiEE10hipError_tPvRmT2_T3_T4_T5_mT6_T7_P12ihipStream_tbENKUlT_T0_E_clISt17integral_constantIbLb0EESW_EEDaSR_SS_EUlSR_E_NS1_11comp_targetILNS1_3genE5ELNS1_11target_archE942ELNS1_3gpuE9ELNS1_3repE0EEENS1_30default_config_static_selectorELNS0_4arch9wavefront6targetE0EEEvT1_ ; -- Begin function _ZN7rocprim17ROCPRIM_400000_NS6detail17trampoline_kernelINS0_14default_configENS1_27scan_by_key_config_selectorIiiEEZZNS1_16scan_by_key_implILNS1_25lookback_scan_determinismE0ELb1ES3_N6thrust23THRUST_200600_302600_NS10device_ptrIiEESB_SB_iNS9_4plusIvEENS9_8equal_toIvEEiEE10hipError_tPvRmT2_T3_T4_T5_mT6_T7_P12ihipStream_tbENKUlT_T0_E_clISt17integral_constantIbLb0EESW_EEDaSR_SS_EUlSR_E_NS1_11comp_targetILNS1_3genE5ELNS1_11target_archE942ELNS1_3gpuE9ELNS1_3repE0EEENS1_30default_config_static_selectorELNS0_4arch9wavefront6targetE0EEEvT1_
	.globl	_ZN7rocprim17ROCPRIM_400000_NS6detail17trampoline_kernelINS0_14default_configENS1_27scan_by_key_config_selectorIiiEEZZNS1_16scan_by_key_implILNS1_25lookback_scan_determinismE0ELb1ES3_N6thrust23THRUST_200600_302600_NS10device_ptrIiEESB_SB_iNS9_4plusIvEENS9_8equal_toIvEEiEE10hipError_tPvRmT2_T3_T4_T5_mT6_T7_P12ihipStream_tbENKUlT_T0_E_clISt17integral_constantIbLb0EESW_EEDaSR_SS_EUlSR_E_NS1_11comp_targetILNS1_3genE5ELNS1_11target_archE942ELNS1_3gpuE9ELNS1_3repE0EEENS1_30default_config_static_selectorELNS0_4arch9wavefront6targetE0EEEvT1_
	.p2align	8
	.type	_ZN7rocprim17ROCPRIM_400000_NS6detail17trampoline_kernelINS0_14default_configENS1_27scan_by_key_config_selectorIiiEEZZNS1_16scan_by_key_implILNS1_25lookback_scan_determinismE0ELb1ES3_N6thrust23THRUST_200600_302600_NS10device_ptrIiEESB_SB_iNS9_4plusIvEENS9_8equal_toIvEEiEE10hipError_tPvRmT2_T3_T4_T5_mT6_T7_P12ihipStream_tbENKUlT_T0_E_clISt17integral_constantIbLb0EESW_EEDaSR_SS_EUlSR_E_NS1_11comp_targetILNS1_3genE5ELNS1_11target_archE942ELNS1_3gpuE9ELNS1_3repE0EEENS1_30default_config_static_selectorELNS0_4arch9wavefront6targetE0EEEvT1_,@function
_ZN7rocprim17ROCPRIM_400000_NS6detail17trampoline_kernelINS0_14default_configENS1_27scan_by_key_config_selectorIiiEEZZNS1_16scan_by_key_implILNS1_25lookback_scan_determinismE0ELb1ES3_N6thrust23THRUST_200600_302600_NS10device_ptrIiEESB_SB_iNS9_4plusIvEENS9_8equal_toIvEEiEE10hipError_tPvRmT2_T3_T4_T5_mT6_T7_P12ihipStream_tbENKUlT_T0_E_clISt17integral_constantIbLb0EESW_EEDaSR_SS_EUlSR_E_NS1_11comp_targetILNS1_3genE5ELNS1_11target_archE942ELNS1_3gpuE9ELNS1_3repE0EEENS1_30default_config_static_selectorELNS0_4arch9wavefront6targetE0EEEvT1_: ; @_ZN7rocprim17ROCPRIM_400000_NS6detail17trampoline_kernelINS0_14default_configENS1_27scan_by_key_config_selectorIiiEEZZNS1_16scan_by_key_implILNS1_25lookback_scan_determinismE0ELb1ES3_N6thrust23THRUST_200600_302600_NS10device_ptrIiEESB_SB_iNS9_4plusIvEENS9_8equal_toIvEEiEE10hipError_tPvRmT2_T3_T4_T5_mT6_T7_P12ihipStream_tbENKUlT_T0_E_clISt17integral_constantIbLb0EESW_EEDaSR_SS_EUlSR_E_NS1_11comp_targetILNS1_3genE5ELNS1_11target_archE942ELNS1_3gpuE9ELNS1_3repE0EEENS1_30default_config_static_selectorELNS0_4arch9wavefront6targetE0EEEvT1_
; %bb.0:
	.section	.rodata,"a",@progbits
	.p2align	6, 0x0
	.amdhsa_kernel _ZN7rocprim17ROCPRIM_400000_NS6detail17trampoline_kernelINS0_14default_configENS1_27scan_by_key_config_selectorIiiEEZZNS1_16scan_by_key_implILNS1_25lookback_scan_determinismE0ELb1ES3_N6thrust23THRUST_200600_302600_NS10device_ptrIiEESB_SB_iNS9_4plusIvEENS9_8equal_toIvEEiEE10hipError_tPvRmT2_T3_T4_T5_mT6_T7_P12ihipStream_tbENKUlT_T0_E_clISt17integral_constantIbLb0EESW_EEDaSR_SS_EUlSR_E_NS1_11comp_targetILNS1_3genE5ELNS1_11target_archE942ELNS1_3gpuE9ELNS1_3repE0EEENS1_30default_config_static_selectorELNS0_4arch9wavefront6targetE0EEEvT1_
		.amdhsa_group_segment_fixed_size 0
		.amdhsa_private_segment_fixed_size 0
		.amdhsa_kernarg_size 112
		.amdhsa_user_sgpr_count 2
		.amdhsa_user_sgpr_dispatch_ptr 0
		.amdhsa_user_sgpr_queue_ptr 0
		.amdhsa_user_sgpr_kernarg_segment_ptr 1
		.amdhsa_user_sgpr_dispatch_id 0
		.amdhsa_user_sgpr_kernarg_preload_length 0
		.amdhsa_user_sgpr_kernarg_preload_offset 0
		.amdhsa_user_sgpr_private_segment_size 0
		.amdhsa_wavefront_size32 1
		.amdhsa_uses_dynamic_stack 0
		.amdhsa_enable_private_segment 0
		.amdhsa_system_sgpr_workgroup_id_x 1
		.amdhsa_system_sgpr_workgroup_id_y 0
		.amdhsa_system_sgpr_workgroup_id_z 0
		.amdhsa_system_sgpr_workgroup_info 0
		.amdhsa_system_vgpr_workitem_id 0
		.amdhsa_next_free_vgpr 1
		.amdhsa_next_free_sgpr 1
		.amdhsa_named_barrier_count 0
		.amdhsa_reserve_vcc 0
		.amdhsa_float_round_mode_32 0
		.amdhsa_float_round_mode_16_64 0
		.amdhsa_float_denorm_mode_32 3
		.amdhsa_float_denorm_mode_16_64 3
		.amdhsa_fp16_overflow 0
		.amdhsa_memory_ordered 1
		.amdhsa_forward_progress 1
		.amdhsa_inst_pref_size 0
		.amdhsa_round_robin_scheduling 0
		.amdhsa_exception_fp_ieee_invalid_op 0
		.amdhsa_exception_fp_denorm_src 0
		.amdhsa_exception_fp_ieee_div_zero 0
		.amdhsa_exception_fp_ieee_overflow 0
		.amdhsa_exception_fp_ieee_underflow 0
		.amdhsa_exception_fp_ieee_inexact 0
		.amdhsa_exception_int_div_zero 0
	.end_amdhsa_kernel
	.section	.text._ZN7rocprim17ROCPRIM_400000_NS6detail17trampoline_kernelINS0_14default_configENS1_27scan_by_key_config_selectorIiiEEZZNS1_16scan_by_key_implILNS1_25lookback_scan_determinismE0ELb1ES3_N6thrust23THRUST_200600_302600_NS10device_ptrIiEESB_SB_iNS9_4plusIvEENS9_8equal_toIvEEiEE10hipError_tPvRmT2_T3_T4_T5_mT6_T7_P12ihipStream_tbENKUlT_T0_E_clISt17integral_constantIbLb0EESW_EEDaSR_SS_EUlSR_E_NS1_11comp_targetILNS1_3genE5ELNS1_11target_archE942ELNS1_3gpuE9ELNS1_3repE0EEENS1_30default_config_static_selectorELNS0_4arch9wavefront6targetE0EEEvT1_,"axG",@progbits,_ZN7rocprim17ROCPRIM_400000_NS6detail17trampoline_kernelINS0_14default_configENS1_27scan_by_key_config_selectorIiiEEZZNS1_16scan_by_key_implILNS1_25lookback_scan_determinismE0ELb1ES3_N6thrust23THRUST_200600_302600_NS10device_ptrIiEESB_SB_iNS9_4plusIvEENS9_8equal_toIvEEiEE10hipError_tPvRmT2_T3_T4_T5_mT6_T7_P12ihipStream_tbENKUlT_T0_E_clISt17integral_constantIbLb0EESW_EEDaSR_SS_EUlSR_E_NS1_11comp_targetILNS1_3genE5ELNS1_11target_archE942ELNS1_3gpuE9ELNS1_3repE0EEENS1_30default_config_static_selectorELNS0_4arch9wavefront6targetE0EEEvT1_,comdat
.Lfunc_end2235:
	.size	_ZN7rocprim17ROCPRIM_400000_NS6detail17trampoline_kernelINS0_14default_configENS1_27scan_by_key_config_selectorIiiEEZZNS1_16scan_by_key_implILNS1_25lookback_scan_determinismE0ELb1ES3_N6thrust23THRUST_200600_302600_NS10device_ptrIiEESB_SB_iNS9_4plusIvEENS9_8equal_toIvEEiEE10hipError_tPvRmT2_T3_T4_T5_mT6_T7_P12ihipStream_tbENKUlT_T0_E_clISt17integral_constantIbLb0EESW_EEDaSR_SS_EUlSR_E_NS1_11comp_targetILNS1_3genE5ELNS1_11target_archE942ELNS1_3gpuE9ELNS1_3repE0EEENS1_30default_config_static_selectorELNS0_4arch9wavefront6targetE0EEEvT1_, .Lfunc_end2235-_ZN7rocprim17ROCPRIM_400000_NS6detail17trampoline_kernelINS0_14default_configENS1_27scan_by_key_config_selectorIiiEEZZNS1_16scan_by_key_implILNS1_25lookback_scan_determinismE0ELb1ES3_N6thrust23THRUST_200600_302600_NS10device_ptrIiEESB_SB_iNS9_4plusIvEENS9_8equal_toIvEEiEE10hipError_tPvRmT2_T3_T4_T5_mT6_T7_P12ihipStream_tbENKUlT_T0_E_clISt17integral_constantIbLb0EESW_EEDaSR_SS_EUlSR_E_NS1_11comp_targetILNS1_3genE5ELNS1_11target_archE942ELNS1_3gpuE9ELNS1_3repE0EEENS1_30default_config_static_selectorELNS0_4arch9wavefront6targetE0EEEvT1_
                                        ; -- End function
	.set _ZN7rocprim17ROCPRIM_400000_NS6detail17trampoline_kernelINS0_14default_configENS1_27scan_by_key_config_selectorIiiEEZZNS1_16scan_by_key_implILNS1_25lookback_scan_determinismE0ELb1ES3_N6thrust23THRUST_200600_302600_NS10device_ptrIiEESB_SB_iNS9_4plusIvEENS9_8equal_toIvEEiEE10hipError_tPvRmT2_T3_T4_T5_mT6_T7_P12ihipStream_tbENKUlT_T0_E_clISt17integral_constantIbLb0EESW_EEDaSR_SS_EUlSR_E_NS1_11comp_targetILNS1_3genE5ELNS1_11target_archE942ELNS1_3gpuE9ELNS1_3repE0EEENS1_30default_config_static_selectorELNS0_4arch9wavefront6targetE0EEEvT1_.num_vgpr, 0
	.set _ZN7rocprim17ROCPRIM_400000_NS6detail17trampoline_kernelINS0_14default_configENS1_27scan_by_key_config_selectorIiiEEZZNS1_16scan_by_key_implILNS1_25lookback_scan_determinismE0ELb1ES3_N6thrust23THRUST_200600_302600_NS10device_ptrIiEESB_SB_iNS9_4plusIvEENS9_8equal_toIvEEiEE10hipError_tPvRmT2_T3_T4_T5_mT6_T7_P12ihipStream_tbENKUlT_T0_E_clISt17integral_constantIbLb0EESW_EEDaSR_SS_EUlSR_E_NS1_11comp_targetILNS1_3genE5ELNS1_11target_archE942ELNS1_3gpuE9ELNS1_3repE0EEENS1_30default_config_static_selectorELNS0_4arch9wavefront6targetE0EEEvT1_.num_agpr, 0
	.set _ZN7rocprim17ROCPRIM_400000_NS6detail17trampoline_kernelINS0_14default_configENS1_27scan_by_key_config_selectorIiiEEZZNS1_16scan_by_key_implILNS1_25lookback_scan_determinismE0ELb1ES3_N6thrust23THRUST_200600_302600_NS10device_ptrIiEESB_SB_iNS9_4plusIvEENS9_8equal_toIvEEiEE10hipError_tPvRmT2_T3_T4_T5_mT6_T7_P12ihipStream_tbENKUlT_T0_E_clISt17integral_constantIbLb0EESW_EEDaSR_SS_EUlSR_E_NS1_11comp_targetILNS1_3genE5ELNS1_11target_archE942ELNS1_3gpuE9ELNS1_3repE0EEENS1_30default_config_static_selectorELNS0_4arch9wavefront6targetE0EEEvT1_.numbered_sgpr, 0
	.set _ZN7rocprim17ROCPRIM_400000_NS6detail17trampoline_kernelINS0_14default_configENS1_27scan_by_key_config_selectorIiiEEZZNS1_16scan_by_key_implILNS1_25lookback_scan_determinismE0ELb1ES3_N6thrust23THRUST_200600_302600_NS10device_ptrIiEESB_SB_iNS9_4plusIvEENS9_8equal_toIvEEiEE10hipError_tPvRmT2_T3_T4_T5_mT6_T7_P12ihipStream_tbENKUlT_T0_E_clISt17integral_constantIbLb0EESW_EEDaSR_SS_EUlSR_E_NS1_11comp_targetILNS1_3genE5ELNS1_11target_archE942ELNS1_3gpuE9ELNS1_3repE0EEENS1_30default_config_static_selectorELNS0_4arch9wavefront6targetE0EEEvT1_.num_named_barrier, 0
	.set _ZN7rocprim17ROCPRIM_400000_NS6detail17trampoline_kernelINS0_14default_configENS1_27scan_by_key_config_selectorIiiEEZZNS1_16scan_by_key_implILNS1_25lookback_scan_determinismE0ELb1ES3_N6thrust23THRUST_200600_302600_NS10device_ptrIiEESB_SB_iNS9_4plusIvEENS9_8equal_toIvEEiEE10hipError_tPvRmT2_T3_T4_T5_mT6_T7_P12ihipStream_tbENKUlT_T0_E_clISt17integral_constantIbLb0EESW_EEDaSR_SS_EUlSR_E_NS1_11comp_targetILNS1_3genE5ELNS1_11target_archE942ELNS1_3gpuE9ELNS1_3repE0EEENS1_30default_config_static_selectorELNS0_4arch9wavefront6targetE0EEEvT1_.private_seg_size, 0
	.set _ZN7rocprim17ROCPRIM_400000_NS6detail17trampoline_kernelINS0_14default_configENS1_27scan_by_key_config_selectorIiiEEZZNS1_16scan_by_key_implILNS1_25lookback_scan_determinismE0ELb1ES3_N6thrust23THRUST_200600_302600_NS10device_ptrIiEESB_SB_iNS9_4plusIvEENS9_8equal_toIvEEiEE10hipError_tPvRmT2_T3_T4_T5_mT6_T7_P12ihipStream_tbENKUlT_T0_E_clISt17integral_constantIbLb0EESW_EEDaSR_SS_EUlSR_E_NS1_11comp_targetILNS1_3genE5ELNS1_11target_archE942ELNS1_3gpuE9ELNS1_3repE0EEENS1_30default_config_static_selectorELNS0_4arch9wavefront6targetE0EEEvT1_.uses_vcc, 0
	.set _ZN7rocprim17ROCPRIM_400000_NS6detail17trampoline_kernelINS0_14default_configENS1_27scan_by_key_config_selectorIiiEEZZNS1_16scan_by_key_implILNS1_25lookback_scan_determinismE0ELb1ES3_N6thrust23THRUST_200600_302600_NS10device_ptrIiEESB_SB_iNS9_4plusIvEENS9_8equal_toIvEEiEE10hipError_tPvRmT2_T3_T4_T5_mT6_T7_P12ihipStream_tbENKUlT_T0_E_clISt17integral_constantIbLb0EESW_EEDaSR_SS_EUlSR_E_NS1_11comp_targetILNS1_3genE5ELNS1_11target_archE942ELNS1_3gpuE9ELNS1_3repE0EEENS1_30default_config_static_selectorELNS0_4arch9wavefront6targetE0EEEvT1_.uses_flat_scratch, 0
	.set _ZN7rocprim17ROCPRIM_400000_NS6detail17trampoline_kernelINS0_14default_configENS1_27scan_by_key_config_selectorIiiEEZZNS1_16scan_by_key_implILNS1_25lookback_scan_determinismE0ELb1ES3_N6thrust23THRUST_200600_302600_NS10device_ptrIiEESB_SB_iNS9_4plusIvEENS9_8equal_toIvEEiEE10hipError_tPvRmT2_T3_T4_T5_mT6_T7_P12ihipStream_tbENKUlT_T0_E_clISt17integral_constantIbLb0EESW_EEDaSR_SS_EUlSR_E_NS1_11comp_targetILNS1_3genE5ELNS1_11target_archE942ELNS1_3gpuE9ELNS1_3repE0EEENS1_30default_config_static_selectorELNS0_4arch9wavefront6targetE0EEEvT1_.has_dyn_sized_stack, 0
	.set _ZN7rocprim17ROCPRIM_400000_NS6detail17trampoline_kernelINS0_14default_configENS1_27scan_by_key_config_selectorIiiEEZZNS1_16scan_by_key_implILNS1_25lookback_scan_determinismE0ELb1ES3_N6thrust23THRUST_200600_302600_NS10device_ptrIiEESB_SB_iNS9_4plusIvEENS9_8equal_toIvEEiEE10hipError_tPvRmT2_T3_T4_T5_mT6_T7_P12ihipStream_tbENKUlT_T0_E_clISt17integral_constantIbLb0EESW_EEDaSR_SS_EUlSR_E_NS1_11comp_targetILNS1_3genE5ELNS1_11target_archE942ELNS1_3gpuE9ELNS1_3repE0EEENS1_30default_config_static_selectorELNS0_4arch9wavefront6targetE0EEEvT1_.has_recursion, 0
	.set _ZN7rocprim17ROCPRIM_400000_NS6detail17trampoline_kernelINS0_14default_configENS1_27scan_by_key_config_selectorIiiEEZZNS1_16scan_by_key_implILNS1_25lookback_scan_determinismE0ELb1ES3_N6thrust23THRUST_200600_302600_NS10device_ptrIiEESB_SB_iNS9_4plusIvEENS9_8equal_toIvEEiEE10hipError_tPvRmT2_T3_T4_T5_mT6_T7_P12ihipStream_tbENKUlT_T0_E_clISt17integral_constantIbLb0EESW_EEDaSR_SS_EUlSR_E_NS1_11comp_targetILNS1_3genE5ELNS1_11target_archE942ELNS1_3gpuE9ELNS1_3repE0EEENS1_30default_config_static_selectorELNS0_4arch9wavefront6targetE0EEEvT1_.has_indirect_call, 0
	.section	.AMDGPU.csdata,"",@progbits
; Kernel info:
; codeLenInByte = 0
; TotalNumSgprs: 0
; NumVgprs: 0
; ScratchSize: 0
; MemoryBound: 0
; FloatMode: 240
; IeeeMode: 1
; LDSByteSize: 0 bytes/workgroup (compile time only)
; SGPRBlocks: 0
; VGPRBlocks: 0
; NumSGPRsForWavesPerEU: 1
; NumVGPRsForWavesPerEU: 1
; NamedBarCnt: 0
; Occupancy: 16
; WaveLimiterHint : 0
; COMPUTE_PGM_RSRC2:SCRATCH_EN: 0
; COMPUTE_PGM_RSRC2:USER_SGPR: 2
; COMPUTE_PGM_RSRC2:TRAP_HANDLER: 0
; COMPUTE_PGM_RSRC2:TGID_X_EN: 1
; COMPUTE_PGM_RSRC2:TGID_Y_EN: 0
; COMPUTE_PGM_RSRC2:TGID_Z_EN: 0
; COMPUTE_PGM_RSRC2:TIDIG_COMP_CNT: 0
	.section	.text._ZN7rocprim17ROCPRIM_400000_NS6detail17trampoline_kernelINS0_14default_configENS1_27scan_by_key_config_selectorIiiEEZZNS1_16scan_by_key_implILNS1_25lookback_scan_determinismE0ELb1ES3_N6thrust23THRUST_200600_302600_NS10device_ptrIiEESB_SB_iNS9_4plusIvEENS9_8equal_toIvEEiEE10hipError_tPvRmT2_T3_T4_T5_mT6_T7_P12ihipStream_tbENKUlT_T0_E_clISt17integral_constantIbLb0EESW_EEDaSR_SS_EUlSR_E_NS1_11comp_targetILNS1_3genE4ELNS1_11target_archE910ELNS1_3gpuE8ELNS1_3repE0EEENS1_30default_config_static_selectorELNS0_4arch9wavefront6targetE0EEEvT1_,"axG",@progbits,_ZN7rocprim17ROCPRIM_400000_NS6detail17trampoline_kernelINS0_14default_configENS1_27scan_by_key_config_selectorIiiEEZZNS1_16scan_by_key_implILNS1_25lookback_scan_determinismE0ELb1ES3_N6thrust23THRUST_200600_302600_NS10device_ptrIiEESB_SB_iNS9_4plusIvEENS9_8equal_toIvEEiEE10hipError_tPvRmT2_T3_T4_T5_mT6_T7_P12ihipStream_tbENKUlT_T0_E_clISt17integral_constantIbLb0EESW_EEDaSR_SS_EUlSR_E_NS1_11comp_targetILNS1_3genE4ELNS1_11target_archE910ELNS1_3gpuE8ELNS1_3repE0EEENS1_30default_config_static_selectorELNS0_4arch9wavefront6targetE0EEEvT1_,comdat
	.protected	_ZN7rocprim17ROCPRIM_400000_NS6detail17trampoline_kernelINS0_14default_configENS1_27scan_by_key_config_selectorIiiEEZZNS1_16scan_by_key_implILNS1_25lookback_scan_determinismE0ELb1ES3_N6thrust23THRUST_200600_302600_NS10device_ptrIiEESB_SB_iNS9_4plusIvEENS9_8equal_toIvEEiEE10hipError_tPvRmT2_T3_T4_T5_mT6_T7_P12ihipStream_tbENKUlT_T0_E_clISt17integral_constantIbLb0EESW_EEDaSR_SS_EUlSR_E_NS1_11comp_targetILNS1_3genE4ELNS1_11target_archE910ELNS1_3gpuE8ELNS1_3repE0EEENS1_30default_config_static_selectorELNS0_4arch9wavefront6targetE0EEEvT1_ ; -- Begin function _ZN7rocprim17ROCPRIM_400000_NS6detail17trampoline_kernelINS0_14default_configENS1_27scan_by_key_config_selectorIiiEEZZNS1_16scan_by_key_implILNS1_25lookback_scan_determinismE0ELb1ES3_N6thrust23THRUST_200600_302600_NS10device_ptrIiEESB_SB_iNS9_4plusIvEENS9_8equal_toIvEEiEE10hipError_tPvRmT2_T3_T4_T5_mT6_T7_P12ihipStream_tbENKUlT_T0_E_clISt17integral_constantIbLb0EESW_EEDaSR_SS_EUlSR_E_NS1_11comp_targetILNS1_3genE4ELNS1_11target_archE910ELNS1_3gpuE8ELNS1_3repE0EEENS1_30default_config_static_selectorELNS0_4arch9wavefront6targetE0EEEvT1_
	.globl	_ZN7rocprim17ROCPRIM_400000_NS6detail17trampoline_kernelINS0_14default_configENS1_27scan_by_key_config_selectorIiiEEZZNS1_16scan_by_key_implILNS1_25lookback_scan_determinismE0ELb1ES3_N6thrust23THRUST_200600_302600_NS10device_ptrIiEESB_SB_iNS9_4plusIvEENS9_8equal_toIvEEiEE10hipError_tPvRmT2_T3_T4_T5_mT6_T7_P12ihipStream_tbENKUlT_T0_E_clISt17integral_constantIbLb0EESW_EEDaSR_SS_EUlSR_E_NS1_11comp_targetILNS1_3genE4ELNS1_11target_archE910ELNS1_3gpuE8ELNS1_3repE0EEENS1_30default_config_static_selectorELNS0_4arch9wavefront6targetE0EEEvT1_
	.p2align	8
	.type	_ZN7rocprim17ROCPRIM_400000_NS6detail17trampoline_kernelINS0_14default_configENS1_27scan_by_key_config_selectorIiiEEZZNS1_16scan_by_key_implILNS1_25lookback_scan_determinismE0ELb1ES3_N6thrust23THRUST_200600_302600_NS10device_ptrIiEESB_SB_iNS9_4plusIvEENS9_8equal_toIvEEiEE10hipError_tPvRmT2_T3_T4_T5_mT6_T7_P12ihipStream_tbENKUlT_T0_E_clISt17integral_constantIbLb0EESW_EEDaSR_SS_EUlSR_E_NS1_11comp_targetILNS1_3genE4ELNS1_11target_archE910ELNS1_3gpuE8ELNS1_3repE0EEENS1_30default_config_static_selectorELNS0_4arch9wavefront6targetE0EEEvT1_,@function
_ZN7rocprim17ROCPRIM_400000_NS6detail17trampoline_kernelINS0_14default_configENS1_27scan_by_key_config_selectorIiiEEZZNS1_16scan_by_key_implILNS1_25lookback_scan_determinismE0ELb1ES3_N6thrust23THRUST_200600_302600_NS10device_ptrIiEESB_SB_iNS9_4plusIvEENS9_8equal_toIvEEiEE10hipError_tPvRmT2_T3_T4_T5_mT6_T7_P12ihipStream_tbENKUlT_T0_E_clISt17integral_constantIbLb0EESW_EEDaSR_SS_EUlSR_E_NS1_11comp_targetILNS1_3genE4ELNS1_11target_archE910ELNS1_3gpuE8ELNS1_3repE0EEENS1_30default_config_static_selectorELNS0_4arch9wavefront6targetE0EEEvT1_: ; @_ZN7rocprim17ROCPRIM_400000_NS6detail17trampoline_kernelINS0_14default_configENS1_27scan_by_key_config_selectorIiiEEZZNS1_16scan_by_key_implILNS1_25lookback_scan_determinismE0ELb1ES3_N6thrust23THRUST_200600_302600_NS10device_ptrIiEESB_SB_iNS9_4plusIvEENS9_8equal_toIvEEiEE10hipError_tPvRmT2_T3_T4_T5_mT6_T7_P12ihipStream_tbENKUlT_T0_E_clISt17integral_constantIbLb0EESW_EEDaSR_SS_EUlSR_E_NS1_11comp_targetILNS1_3genE4ELNS1_11target_archE910ELNS1_3gpuE8ELNS1_3repE0EEENS1_30default_config_static_selectorELNS0_4arch9wavefront6targetE0EEEvT1_
; %bb.0:
	.section	.rodata,"a",@progbits
	.p2align	6, 0x0
	.amdhsa_kernel _ZN7rocprim17ROCPRIM_400000_NS6detail17trampoline_kernelINS0_14default_configENS1_27scan_by_key_config_selectorIiiEEZZNS1_16scan_by_key_implILNS1_25lookback_scan_determinismE0ELb1ES3_N6thrust23THRUST_200600_302600_NS10device_ptrIiEESB_SB_iNS9_4plusIvEENS9_8equal_toIvEEiEE10hipError_tPvRmT2_T3_T4_T5_mT6_T7_P12ihipStream_tbENKUlT_T0_E_clISt17integral_constantIbLb0EESW_EEDaSR_SS_EUlSR_E_NS1_11comp_targetILNS1_3genE4ELNS1_11target_archE910ELNS1_3gpuE8ELNS1_3repE0EEENS1_30default_config_static_selectorELNS0_4arch9wavefront6targetE0EEEvT1_
		.amdhsa_group_segment_fixed_size 0
		.amdhsa_private_segment_fixed_size 0
		.amdhsa_kernarg_size 112
		.amdhsa_user_sgpr_count 2
		.amdhsa_user_sgpr_dispatch_ptr 0
		.amdhsa_user_sgpr_queue_ptr 0
		.amdhsa_user_sgpr_kernarg_segment_ptr 1
		.amdhsa_user_sgpr_dispatch_id 0
		.amdhsa_user_sgpr_kernarg_preload_length 0
		.amdhsa_user_sgpr_kernarg_preload_offset 0
		.amdhsa_user_sgpr_private_segment_size 0
		.amdhsa_wavefront_size32 1
		.amdhsa_uses_dynamic_stack 0
		.amdhsa_enable_private_segment 0
		.amdhsa_system_sgpr_workgroup_id_x 1
		.amdhsa_system_sgpr_workgroup_id_y 0
		.amdhsa_system_sgpr_workgroup_id_z 0
		.amdhsa_system_sgpr_workgroup_info 0
		.amdhsa_system_vgpr_workitem_id 0
		.amdhsa_next_free_vgpr 1
		.amdhsa_next_free_sgpr 1
		.amdhsa_named_barrier_count 0
		.amdhsa_reserve_vcc 0
		.amdhsa_float_round_mode_32 0
		.amdhsa_float_round_mode_16_64 0
		.amdhsa_float_denorm_mode_32 3
		.amdhsa_float_denorm_mode_16_64 3
		.amdhsa_fp16_overflow 0
		.amdhsa_memory_ordered 1
		.amdhsa_forward_progress 1
		.amdhsa_inst_pref_size 0
		.amdhsa_round_robin_scheduling 0
		.amdhsa_exception_fp_ieee_invalid_op 0
		.amdhsa_exception_fp_denorm_src 0
		.amdhsa_exception_fp_ieee_div_zero 0
		.amdhsa_exception_fp_ieee_overflow 0
		.amdhsa_exception_fp_ieee_underflow 0
		.amdhsa_exception_fp_ieee_inexact 0
		.amdhsa_exception_int_div_zero 0
	.end_amdhsa_kernel
	.section	.text._ZN7rocprim17ROCPRIM_400000_NS6detail17trampoline_kernelINS0_14default_configENS1_27scan_by_key_config_selectorIiiEEZZNS1_16scan_by_key_implILNS1_25lookback_scan_determinismE0ELb1ES3_N6thrust23THRUST_200600_302600_NS10device_ptrIiEESB_SB_iNS9_4plusIvEENS9_8equal_toIvEEiEE10hipError_tPvRmT2_T3_T4_T5_mT6_T7_P12ihipStream_tbENKUlT_T0_E_clISt17integral_constantIbLb0EESW_EEDaSR_SS_EUlSR_E_NS1_11comp_targetILNS1_3genE4ELNS1_11target_archE910ELNS1_3gpuE8ELNS1_3repE0EEENS1_30default_config_static_selectorELNS0_4arch9wavefront6targetE0EEEvT1_,"axG",@progbits,_ZN7rocprim17ROCPRIM_400000_NS6detail17trampoline_kernelINS0_14default_configENS1_27scan_by_key_config_selectorIiiEEZZNS1_16scan_by_key_implILNS1_25lookback_scan_determinismE0ELb1ES3_N6thrust23THRUST_200600_302600_NS10device_ptrIiEESB_SB_iNS9_4plusIvEENS9_8equal_toIvEEiEE10hipError_tPvRmT2_T3_T4_T5_mT6_T7_P12ihipStream_tbENKUlT_T0_E_clISt17integral_constantIbLb0EESW_EEDaSR_SS_EUlSR_E_NS1_11comp_targetILNS1_3genE4ELNS1_11target_archE910ELNS1_3gpuE8ELNS1_3repE0EEENS1_30default_config_static_selectorELNS0_4arch9wavefront6targetE0EEEvT1_,comdat
.Lfunc_end2236:
	.size	_ZN7rocprim17ROCPRIM_400000_NS6detail17trampoline_kernelINS0_14default_configENS1_27scan_by_key_config_selectorIiiEEZZNS1_16scan_by_key_implILNS1_25lookback_scan_determinismE0ELb1ES3_N6thrust23THRUST_200600_302600_NS10device_ptrIiEESB_SB_iNS9_4plusIvEENS9_8equal_toIvEEiEE10hipError_tPvRmT2_T3_T4_T5_mT6_T7_P12ihipStream_tbENKUlT_T0_E_clISt17integral_constantIbLb0EESW_EEDaSR_SS_EUlSR_E_NS1_11comp_targetILNS1_3genE4ELNS1_11target_archE910ELNS1_3gpuE8ELNS1_3repE0EEENS1_30default_config_static_selectorELNS0_4arch9wavefront6targetE0EEEvT1_, .Lfunc_end2236-_ZN7rocprim17ROCPRIM_400000_NS6detail17trampoline_kernelINS0_14default_configENS1_27scan_by_key_config_selectorIiiEEZZNS1_16scan_by_key_implILNS1_25lookback_scan_determinismE0ELb1ES3_N6thrust23THRUST_200600_302600_NS10device_ptrIiEESB_SB_iNS9_4plusIvEENS9_8equal_toIvEEiEE10hipError_tPvRmT2_T3_T4_T5_mT6_T7_P12ihipStream_tbENKUlT_T0_E_clISt17integral_constantIbLb0EESW_EEDaSR_SS_EUlSR_E_NS1_11comp_targetILNS1_3genE4ELNS1_11target_archE910ELNS1_3gpuE8ELNS1_3repE0EEENS1_30default_config_static_selectorELNS0_4arch9wavefront6targetE0EEEvT1_
                                        ; -- End function
	.set _ZN7rocprim17ROCPRIM_400000_NS6detail17trampoline_kernelINS0_14default_configENS1_27scan_by_key_config_selectorIiiEEZZNS1_16scan_by_key_implILNS1_25lookback_scan_determinismE0ELb1ES3_N6thrust23THRUST_200600_302600_NS10device_ptrIiEESB_SB_iNS9_4plusIvEENS9_8equal_toIvEEiEE10hipError_tPvRmT2_T3_T4_T5_mT6_T7_P12ihipStream_tbENKUlT_T0_E_clISt17integral_constantIbLb0EESW_EEDaSR_SS_EUlSR_E_NS1_11comp_targetILNS1_3genE4ELNS1_11target_archE910ELNS1_3gpuE8ELNS1_3repE0EEENS1_30default_config_static_selectorELNS0_4arch9wavefront6targetE0EEEvT1_.num_vgpr, 0
	.set _ZN7rocprim17ROCPRIM_400000_NS6detail17trampoline_kernelINS0_14default_configENS1_27scan_by_key_config_selectorIiiEEZZNS1_16scan_by_key_implILNS1_25lookback_scan_determinismE0ELb1ES3_N6thrust23THRUST_200600_302600_NS10device_ptrIiEESB_SB_iNS9_4plusIvEENS9_8equal_toIvEEiEE10hipError_tPvRmT2_T3_T4_T5_mT6_T7_P12ihipStream_tbENKUlT_T0_E_clISt17integral_constantIbLb0EESW_EEDaSR_SS_EUlSR_E_NS1_11comp_targetILNS1_3genE4ELNS1_11target_archE910ELNS1_3gpuE8ELNS1_3repE0EEENS1_30default_config_static_selectorELNS0_4arch9wavefront6targetE0EEEvT1_.num_agpr, 0
	.set _ZN7rocprim17ROCPRIM_400000_NS6detail17trampoline_kernelINS0_14default_configENS1_27scan_by_key_config_selectorIiiEEZZNS1_16scan_by_key_implILNS1_25lookback_scan_determinismE0ELb1ES3_N6thrust23THRUST_200600_302600_NS10device_ptrIiEESB_SB_iNS9_4plusIvEENS9_8equal_toIvEEiEE10hipError_tPvRmT2_T3_T4_T5_mT6_T7_P12ihipStream_tbENKUlT_T0_E_clISt17integral_constantIbLb0EESW_EEDaSR_SS_EUlSR_E_NS1_11comp_targetILNS1_3genE4ELNS1_11target_archE910ELNS1_3gpuE8ELNS1_3repE0EEENS1_30default_config_static_selectorELNS0_4arch9wavefront6targetE0EEEvT1_.numbered_sgpr, 0
	.set _ZN7rocprim17ROCPRIM_400000_NS6detail17trampoline_kernelINS0_14default_configENS1_27scan_by_key_config_selectorIiiEEZZNS1_16scan_by_key_implILNS1_25lookback_scan_determinismE0ELb1ES3_N6thrust23THRUST_200600_302600_NS10device_ptrIiEESB_SB_iNS9_4plusIvEENS9_8equal_toIvEEiEE10hipError_tPvRmT2_T3_T4_T5_mT6_T7_P12ihipStream_tbENKUlT_T0_E_clISt17integral_constantIbLb0EESW_EEDaSR_SS_EUlSR_E_NS1_11comp_targetILNS1_3genE4ELNS1_11target_archE910ELNS1_3gpuE8ELNS1_3repE0EEENS1_30default_config_static_selectorELNS0_4arch9wavefront6targetE0EEEvT1_.num_named_barrier, 0
	.set _ZN7rocprim17ROCPRIM_400000_NS6detail17trampoline_kernelINS0_14default_configENS1_27scan_by_key_config_selectorIiiEEZZNS1_16scan_by_key_implILNS1_25lookback_scan_determinismE0ELb1ES3_N6thrust23THRUST_200600_302600_NS10device_ptrIiEESB_SB_iNS9_4plusIvEENS9_8equal_toIvEEiEE10hipError_tPvRmT2_T3_T4_T5_mT6_T7_P12ihipStream_tbENKUlT_T0_E_clISt17integral_constantIbLb0EESW_EEDaSR_SS_EUlSR_E_NS1_11comp_targetILNS1_3genE4ELNS1_11target_archE910ELNS1_3gpuE8ELNS1_3repE0EEENS1_30default_config_static_selectorELNS0_4arch9wavefront6targetE0EEEvT1_.private_seg_size, 0
	.set _ZN7rocprim17ROCPRIM_400000_NS6detail17trampoline_kernelINS0_14default_configENS1_27scan_by_key_config_selectorIiiEEZZNS1_16scan_by_key_implILNS1_25lookback_scan_determinismE0ELb1ES3_N6thrust23THRUST_200600_302600_NS10device_ptrIiEESB_SB_iNS9_4plusIvEENS9_8equal_toIvEEiEE10hipError_tPvRmT2_T3_T4_T5_mT6_T7_P12ihipStream_tbENKUlT_T0_E_clISt17integral_constantIbLb0EESW_EEDaSR_SS_EUlSR_E_NS1_11comp_targetILNS1_3genE4ELNS1_11target_archE910ELNS1_3gpuE8ELNS1_3repE0EEENS1_30default_config_static_selectorELNS0_4arch9wavefront6targetE0EEEvT1_.uses_vcc, 0
	.set _ZN7rocprim17ROCPRIM_400000_NS6detail17trampoline_kernelINS0_14default_configENS1_27scan_by_key_config_selectorIiiEEZZNS1_16scan_by_key_implILNS1_25lookback_scan_determinismE0ELb1ES3_N6thrust23THRUST_200600_302600_NS10device_ptrIiEESB_SB_iNS9_4plusIvEENS9_8equal_toIvEEiEE10hipError_tPvRmT2_T3_T4_T5_mT6_T7_P12ihipStream_tbENKUlT_T0_E_clISt17integral_constantIbLb0EESW_EEDaSR_SS_EUlSR_E_NS1_11comp_targetILNS1_3genE4ELNS1_11target_archE910ELNS1_3gpuE8ELNS1_3repE0EEENS1_30default_config_static_selectorELNS0_4arch9wavefront6targetE0EEEvT1_.uses_flat_scratch, 0
	.set _ZN7rocprim17ROCPRIM_400000_NS6detail17trampoline_kernelINS0_14default_configENS1_27scan_by_key_config_selectorIiiEEZZNS1_16scan_by_key_implILNS1_25lookback_scan_determinismE0ELb1ES3_N6thrust23THRUST_200600_302600_NS10device_ptrIiEESB_SB_iNS9_4plusIvEENS9_8equal_toIvEEiEE10hipError_tPvRmT2_T3_T4_T5_mT6_T7_P12ihipStream_tbENKUlT_T0_E_clISt17integral_constantIbLb0EESW_EEDaSR_SS_EUlSR_E_NS1_11comp_targetILNS1_3genE4ELNS1_11target_archE910ELNS1_3gpuE8ELNS1_3repE0EEENS1_30default_config_static_selectorELNS0_4arch9wavefront6targetE0EEEvT1_.has_dyn_sized_stack, 0
	.set _ZN7rocprim17ROCPRIM_400000_NS6detail17trampoline_kernelINS0_14default_configENS1_27scan_by_key_config_selectorIiiEEZZNS1_16scan_by_key_implILNS1_25lookback_scan_determinismE0ELb1ES3_N6thrust23THRUST_200600_302600_NS10device_ptrIiEESB_SB_iNS9_4plusIvEENS9_8equal_toIvEEiEE10hipError_tPvRmT2_T3_T4_T5_mT6_T7_P12ihipStream_tbENKUlT_T0_E_clISt17integral_constantIbLb0EESW_EEDaSR_SS_EUlSR_E_NS1_11comp_targetILNS1_3genE4ELNS1_11target_archE910ELNS1_3gpuE8ELNS1_3repE0EEENS1_30default_config_static_selectorELNS0_4arch9wavefront6targetE0EEEvT1_.has_recursion, 0
	.set _ZN7rocprim17ROCPRIM_400000_NS6detail17trampoline_kernelINS0_14default_configENS1_27scan_by_key_config_selectorIiiEEZZNS1_16scan_by_key_implILNS1_25lookback_scan_determinismE0ELb1ES3_N6thrust23THRUST_200600_302600_NS10device_ptrIiEESB_SB_iNS9_4plusIvEENS9_8equal_toIvEEiEE10hipError_tPvRmT2_T3_T4_T5_mT6_T7_P12ihipStream_tbENKUlT_T0_E_clISt17integral_constantIbLb0EESW_EEDaSR_SS_EUlSR_E_NS1_11comp_targetILNS1_3genE4ELNS1_11target_archE910ELNS1_3gpuE8ELNS1_3repE0EEENS1_30default_config_static_selectorELNS0_4arch9wavefront6targetE0EEEvT1_.has_indirect_call, 0
	.section	.AMDGPU.csdata,"",@progbits
; Kernel info:
; codeLenInByte = 0
; TotalNumSgprs: 0
; NumVgprs: 0
; ScratchSize: 0
; MemoryBound: 0
; FloatMode: 240
; IeeeMode: 1
; LDSByteSize: 0 bytes/workgroup (compile time only)
; SGPRBlocks: 0
; VGPRBlocks: 0
; NumSGPRsForWavesPerEU: 1
; NumVGPRsForWavesPerEU: 1
; NamedBarCnt: 0
; Occupancy: 16
; WaveLimiterHint : 0
; COMPUTE_PGM_RSRC2:SCRATCH_EN: 0
; COMPUTE_PGM_RSRC2:USER_SGPR: 2
; COMPUTE_PGM_RSRC2:TRAP_HANDLER: 0
; COMPUTE_PGM_RSRC2:TGID_X_EN: 1
; COMPUTE_PGM_RSRC2:TGID_Y_EN: 0
; COMPUTE_PGM_RSRC2:TGID_Z_EN: 0
; COMPUTE_PGM_RSRC2:TIDIG_COMP_CNT: 0
	.section	.text._ZN7rocprim17ROCPRIM_400000_NS6detail17trampoline_kernelINS0_14default_configENS1_27scan_by_key_config_selectorIiiEEZZNS1_16scan_by_key_implILNS1_25lookback_scan_determinismE0ELb1ES3_N6thrust23THRUST_200600_302600_NS10device_ptrIiEESB_SB_iNS9_4plusIvEENS9_8equal_toIvEEiEE10hipError_tPvRmT2_T3_T4_T5_mT6_T7_P12ihipStream_tbENKUlT_T0_E_clISt17integral_constantIbLb0EESW_EEDaSR_SS_EUlSR_E_NS1_11comp_targetILNS1_3genE3ELNS1_11target_archE908ELNS1_3gpuE7ELNS1_3repE0EEENS1_30default_config_static_selectorELNS0_4arch9wavefront6targetE0EEEvT1_,"axG",@progbits,_ZN7rocprim17ROCPRIM_400000_NS6detail17trampoline_kernelINS0_14default_configENS1_27scan_by_key_config_selectorIiiEEZZNS1_16scan_by_key_implILNS1_25lookback_scan_determinismE0ELb1ES3_N6thrust23THRUST_200600_302600_NS10device_ptrIiEESB_SB_iNS9_4plusIvEENS9_8equal_toIvEEiEE10hipError_tPvRmT2_T3_T4_T5_mT6_T7_P12ihipStream_tbENKUlT_T0_E_clISt17integral_constantIbLb0EESW_EEDaSR_SS_EUlSR_E_NS1_11comp_targetILNS1_3genE3ELNS1_11target_archE908ELNS1_3gpuE7ELNS1_3repE0EEENS1_30default_config_static_selectorELNS0_4arch9wavefront6targetE0EEEvT1_,comdat
	.protected	_ZN7rocprim17ROCPRIM_400000_NS6detail17trampoline_kernelINS0_14default_configENS1_27scan_by_key_config_selectorIiiEEZZNS1_16scan_by_key_implILNS1_25lookback_scan_determinismE0ELb1ES3_N6thrust23THRUST_200600_302600_NS10device_ptrIiEESB_SB_iNS9_4plusIvEENS9_8equal_toIvEEiEE10hipError_tPvRmT2_T3_T4_T5_mT6_T7_P12ihipStream_tbENKUlT_T0_E_clISt17integral_constantIbLb0EESW_EEDaSR_SS_EUlSR_E_NS1_11comp_targetILNS1_3genE3ELNS1_11target_archE908ELNS1_3gpuE7ELNS1_3repE0EEENS1_30default_config_static_selectorELNS0_4arch9wavefront6targetE0EEEvT1_ ; -- Begin function _ZN7rocprim17ROCPRIM_400000_NS6detail17trampoline_kernelINS0_14default_configENS1_27scan_by_key_config_selectorIiiEEZZNS1_16scan_by_key_implILNS1_25lookback_scan_determinismE0ELb1ES3_N6thrust23THRUST_200600_302600_NS10device_ptrIiEESB_SB_iNS9_4plusIvEENS9_8equal_toIvEEiEE10hipError_tPvRmT2_T3_T4_T5_mT6_T7_P12ihipStream_tbENKUlT_T0_E_clISt17integral_constantIbLb0EESW_EEDaSR_SS_EUlSR_E_NS1_11comp_targetILNS1_3genE3ELNS1_11target_archE908ELNS1_3gpuE7ELNS1_3repE0EEENS1_30default_config_static_selectorELNS0_4arch9wavefront6targetE0EEEvT1_
	.globl	_ZN7rocprim17ROCPRIM_400000_NS6detail17trampoline_kernelINS0_14default_configENS1_27scan_by_key_config_selectorIiiEEZZNS1_16scan_by_key_implILNS1_25lookback_scan_determinismE0ELb1ES3_N6thrust23THRUST_200600_302600_NS10device_ptrIiEESB_SB_iNS9_4plusIvEENS9_8equal_toIvEEiEE10hipError_tPvRmT2_T3_T4_T5_mT6_T7_P12ihipStream_tbENKUlT_T0_E_clISt17integral_constantIbLb0EESW_EEDaSR_SS_EUlSR_E_NS1_11comp_targetILNS1_3genE3ELNS1_11target_archE908ELNS1_3gpuE7ELNS1_3repE0EEENS1_30default_config_static_selectorELNS0_4arch9wavefront6targetE0EEEvT1_
	.p2align	8
	.type	_ZN7rocprim17ROCPRIM_400000_NS6detail17trampoline_kernelINS0_14default_configENS1_27scan_by_key_config_selectorIiiEEZZNS1_16scan_by_key_implILNS1_25lookback_scan_determinismE0ELb1ES3_N6thrust23THRUST_200600_302600_NS10device_ptrIiEESB_SB_iNS9_4plusIvEENS9_8equal_toIvEEiEE10hipError_tPvRmT2_T3_T4_T5_mT6_T7_P12ihipStream_tbENKUlT_T0_E_clISt17integral_constantIbLb0EESW_EEDaSR_SS_EUlSR_E_NS1_11comp_targetILNS1_3genE3ELNS1_11target_archE908ELNS1_3gpuE7ELNS1_3repE0EEENS1_30default_config_static_selectorELNS0_4arch9wavefront6targetE0EEEvT1_,@function
_ZN7rocprim17ROCPRIM_400000_NS6detail17trampoline_kernelINS0_14default_configENS1_27scan_by_key_config_selectorIiiEEZZNS1_16scan_by_key_implILNS1_25lookback_scan_determinismE0ELb1ES3_N6thrust23THRUST_200600_302600_NS10device_ptrIiEESB_SB_iNS9_4plusIvEENS9_8equal_toIvEEiEE10hipError_tPvRmT2_T3_T4_T5_mT6_T7_P12ihipStream_tbENKUlT_T0_E_clISt17integral_constantIbLb0EESW_EEDaSR_SS_EUlSR_E_NS1_11comp_targetILNS1_3genE3ELNS1_11target_archE908ELNS1_3gpuE7ELNS1_3repE0EEENS1_30default_config_static_selectorELNS0_4arch9wavefront6targetE0EEEvT1_: ; @_ZN7rocprim17ROCPRIM_400000_NS6detail17trampoline_kernelINS0_14default_configENS1_27scan_by_key_config_selectorIiiEEZZNS1_16scan_by_key_implILNS1_25lookback_scan_determinismE0ELb1ES3_N6thrust23THRUST_200600_302600_NS10device_ptrIiEESB_SB_iNS9_4plusIvEENS9_8equal_toIvEEiEE10hipError_tPvRmT2_T3_T4_T5_mT6_T7_P12ihipStream_tbENKUlT_T0_E_clISt17integral_constantIbLb0EESW_EEDaSR_SS_EUlSR_E_NS1_11comp_targetILNS1_3genE3ELNS1_11target_archE908ELNS1_3gpuE7ELNS1_3repE0EEENS1_30default_config_static_selectorELNS0_4arch9wavefront6targetE0EEEvT1_
; %bb.0:
	.section	.rodata,"a",@progbits
	.p2align	6, 0x0
	.amdhsa_kernel _ZN7rocprim17ROCPRIM_400000_NS6detail17trampoline_kernelINS0_14default_configENS1_27scan_by_key_config_selectorIiiEEZZNS1_16scan_by_key_implILNS1_25lookback_scan_determinismE0ELb1ES3_N6thrust23THRUST_200600_302600_NS10device_ptrIiEESB_SB_iNS9_4plusIvEENS9_8equal_toIvEEiEE10hipError_tPvRmT2_T3_T4_T5_mT6_T7_P12ihipStream_tbENKUlT_T0_E_clISt17integral_constantIbLb0EESW_EEDaSR_SS_EUlSR_E_NS1_11comp_targetILNS1_3genE3ELNS1_11target_archE908ELNS1_3gpuE7ELNS1_3repE0EEENS1_30default_config_static_selectorELNS0_4arch9wavefront6targetE0EEEvT1_
		.amdhsa_group_segment_fixed_size 0
		.amdhsa_private_segment_fixed_size 0
		.amdhsa_kernarg_size 112
		.amdhsa_user_sgpr_count 2
		.amdhsa_user_sgpr_dispatch_ptr 0
		.amdhsa_user_sgpr_queue_ptr 0
		.amdhsa_user_sgpr_kernarg_segment_ptr 1
		.amdhsa_user_sgpr_dispatch_id 0
		.amdhsa_user_sgpr_kernarg_preload_length 0
		.amdhsa_user_sgpr_kernarg_preload_offset 0
		.amdhsa_user_sgpr_private_segment_size 0
		.amdhsa_wavefront_size32 1
		.amdhsa_uses_dynamic_stack 0
		.amdhsa_enable_private_segment 0
		.amdhsa_system_sgpr_workgroup_id_x 1
		.amdhsa_system_sgpr_workgroup_id_y 0
		.amdhsa_system_sgpr_workgroup_id_z 0
		.amdhsa_system_sgpr_workgroup_info 0
		.amdhsa_system_vgpr_workitem_id 0
		.amdhsa_next_free_vgpr 1
		.amdhsa_next_free_sgpr 1
		.amdhsa_named_barrier_count 0
		.amdhsa_reserve_vcc 0
		.amdhsa_float_round_mode_32 0
		.amdhsa_float_round_mode_16_64 0
		.amdhsa_float_denorm_mode_32 3
		.amdhsa_float_denorm_mode_16_64 3
		.amdhsa_fp16_overflow 0
		.amdhsa_memory_ordered 1
		.amdhsa_forward_progress 1
		.amdhsa_inst_pref_size 0
		.amdhsa_round_robin_scheduling 0
		.amdhsa_exception_fp_ieee_invalid_op 0
		.amdhsa_exception_fp_denorm_src 0
		.amdhsa_exception_fp_ieee_div_zero 0
		.amdhsa_exception_fp_ieee_overflow 0
		.amdhsa_exception_fp_ieee_underflow 0
		.amdhsa_exception_fp_ieee_inexact 0
		.amdhsa_exception_int_div_zero 0
	.end_amdhsa_kernel
	.section	.text._ZN7rocprim17ROCPRIM_400000_NS6detail17trampoline_kernelINS0_14default_configENS1_27scan_by_key_config_selectorIiiEEZZNS1_16scan_by_key_implILNS1_25lookback_scan_determinismE0ELb1ES3_N6thrust23THRUST_200600_302600_NS10device_ptrIiEESB_SB_iNS9_4plusIvEENS9_8equal_toIvEEiEE10hipError_tPvRmT2_T3_T4_T5_mT6_T7_P12ihipStream_tbENKUlT_T0_E_clISt17integral_constantIbLb0EESW_EEDaSR_SS_EUlSR_E_NS1_11comp_targetILNS1_3genE3ELNS1_11target_archE908ELNS1_3gpuE7ELNS1_3repE0EEENS1_30default_config_static_selectorELNS0_4arch9wavefront6targetE0EEEvT1_,"axG",@progbits,_ZN7rocprim17ROCPRIM_400000_NS6detail17trampoline_kernelINS0_14default_configENS1_27scan_by_key_config_selectorIiiEEZZNS1_16scan_by_key_implILNS1_25lookback_scan_determinismE0ELb1ES3_N6thrust23THRUST_200600_302600_NS10device_ptrIiEESB_SB_iNS9_4plusIvEENS9_8equal_toIvEEiEE10hipError_tPvRmT2_T3_T4_T5_mT6_T7_P12ihipStream_tbENKUlT_T0_E_clISt17integral_constantIbLb0EESW_EEDaSR_SS_EUlSR_E_NS1_11comp_targetILNS1_3genE3ELNS1_11target_archE908ELNS1_3gpuE7ELNS1_3repE0EEENS1_30default_config_static_selectorELNS0_4arch9wavefront6targetE0EEEvT1_,comdat
.Lfunc_end2237:
	.size	_ZN7rocprim17ROCPRIM_400000_NS6detail17trampoline_kernelINS0_14default_configENS1_27scan_by_key_config_selectorIiiEEZZNS1_16scan_by_key_implILNS1_25lookback_scan_determinismE0ELb1ES3_N6thrust23THRUST_200600_302600_NS10device_ptrIiEESB_SB_iNS9_4plusIvEENS9_8equal_toIvEEiEE10hipError_tPvRmT2_T3_T4_T5_mT6_T7_P12ihipStream_tbENKUlT_T0_E_clISt17integral_constantIbLb0EESW_EEDaSR_SS_EUlSR_E_NS1_11comp_targetILNS1_3genE3ELNS1_11target_archE908ELNS1_3gpuE7ELNS1_3repE0EEENS1_30default_config_static_selectorELNS0_4arch9wavefront6targetE0EEEvT1_, .Lfunc_end2237-_ZN7rocprim17ROCPRIM_400000_NS6detail17trampoline_kernelINS0_14default_configENS1_27scan_by_key_config_selectorIiiEEZZNS1_16scan_by_key_implILNS1_25lookback_scan_determinismE0ELb1ES3_N6thrust23THRUST_200600_302600_NS10device_ptrIiEESB_SB_iNS9_4plusIvEENS9_8equal_toIvEEiEE10hipError_tPvRmT2_T3_T4_T5_mT6_T7_P12ihipStream_tbENKUlT_T0_E_clISt17integral_constantIbLb0EESW_EEDaSR_SS_EUlSR_E_NS1_11comp_targetILNS1_3genE3ELNS1_11target_archE908ELNS1_3gpuE7ELNS1_3repE0EEENS1_30default_config_static_selectorELNS0_4arch9wavefront6targetE0EEEvT1_
                                        ; -- End function
	.set _ZN7rocprim17ROCPRIM_400000_NS6detail17trampoline_kernelINS0_14default_configENS1_27scan_by_key_config_selectorIiiEEZZNS1_16scan_by_key_implILNS1_25lookback_scan_determinismE0ELb1ES3_N6thrust23THRUST_200600_302600_NS10device_ptrIiEESB_SB_iNS9_4plusIvEENS9_8equal_toIvEEiEE10hipError_tPvRmT2_T3_T4_T5_mT6_T7_P12ihipStream_tbENKUlT_T0_E_clISt17integral_constantIbLb0EESW_EEDaSR_SS_EUlSR_E_NS1_11comp_targetILNS1_3genE3ELNS1_11target_archE908ELNS1_3gpuE7ELNS1_3repE0EEENS1_30default_config_static_selectorELNS0_4arch9wavefront6targetE0EEEvT1_.num_vgpr, 0
	.set _ZN7rocprim17ROCPRIM_400000_NS6detail17trampoline_kernelINS0_14default_configENS1_27scan_by_key_config_selectorIiiEEZZNS1_16scan_by_key_implILNS1_25lookback_scan_determinismE0ELb1ES3_N6thrust23THRUST_200600_302600_NS10device_ptrIiEESB_SB_iNS9_4plusIvEENS9_8equal_toIvEEiEE10hipError_tPvRmT2_T3_T4_T5_mT6_T7_P12ihipStream_tbENKUlT_T0_E_clISt17integral_constantIbLb0EESW_EEDaSR_SS_EUlSR_E_NS1_11comp_targetILNS1_3genE3ELNS1_11target_archE908ELNS1_3gpuE7ELNS1_3repE0EEENS1_30default_config_static_selectorELNS0_4arch9wavefront6targetE0EEEvT1_.num_agpr, 0
	.set _ZN7rocprim17ROCPRIM_400000_NS6detail17trampoline_kernelINS0_14default_configENS1_27scan_by_key_config_selectorIiiEEZZNS1_16scan_by_key_implILNS1_25lookback_scan_determinismE0ELb1ES3_N6thrust23THRUST_200600_302600_NS10device_ptrIiEESB_SB_iNS9_4plusIvEENS9_8equal_toIvEEiEE10hipError_tPvRmT2_T3_T4_T5_mT6_T7_P12ihipStream_tbENKUlT_T0_E_clISt17integral_constantIbLb0EESW_EEDaSR_SS_EUlSR_E_NS1_11comp_targetILNS1_3genE3ELNS1_11target_archE908ELNS1_3gpuE7ELNS1_3repE0EEENS1_30default_config_static_selectorELNS0_4arch9wavefront6targetE0EEEvT1_.numbered_sgpr, 0
	.set _ZN7rocprim17ROCPRIM_400000_NS6detail17trampoline_kernelINS0_14default_configENS1_27scan_by_key_config_selectorIiiEEZZNS1_16scan_by_key_implILNS1_25lookback_scan_determinismE0ELb1ES3_N6thrust23THRUST_200600_302600_NS10device_ptrIiEESB_SB_iNS9_4plusIvEENS9_8equal_toIvEEiEE10hipError_tPvRmT2_T3_T4_T5_mT6_T7_P12ihipStream_tbENKUlT_T0_E_clISt17integral_constantIbLb0EESW_EEDaSR_SS_EUlSR_E_NS1_11comp_targetILNS1_3genE3ELNS1_11target_archE908ELNS1_3gpuE7ELNS1_3repE0EEENS1_30default_config_static_selectorELNS0_4arch9wavefront6targetE0EEEvT1_.num_named_barrier, 0
	.set _ZN7rocprim17ROCPRIM_400000_NS6detail17trampoline_kernelINS0_14default_configENS1_27scan_by_key_config_selectorIiiEEZZNS1_16scan_by_key_implILNS1_25lookback_scan_determinismE0ELb1ES3_N6thrust23THRUST_200600_302600_NS10device_ptrIiEESB_SB_iNS9_4plusIvEENS9_8equal_toIvEEiEE10hipError_tPvRmT2_T3_T4_T5_mT6_T7_P12ihipStream_tbENKUlT_T0_E_clISt17integral_constantIbLb0EESW_EEDaSR_SS_EUlSR_E_NS1_11comp_targetILNS1_3genE3ELNS1_11target_archE908ELNS1_3gpuE7ELNS1_3repE0EEENS1_30default_config_static_selectorELNS0_4arch9wavefront6targetE0EEEvT1_.private_seg_size, 0
	.set _ZN7rocprim17ROCPRIM_400000_NS6detail17trampoline_kernelINS0_14default_configENS1_27scan_by_key_config_selectorIiiEEZZNS1_16scan_by_key_implILNS1_25lookback_scan_determinismE0ELb1ES3_N6thrust23THRUST_200600_302600_NS10device_ptrIiEESB_SB_iNS9_4plusIvEENS9_8equal_toIvEEiEE10hipError_tPvRmT2_T3_T4_T5_mT6_T7_P12ihipStream_tbENKUlT_T0_E_clISt17integral_constantIbLb0EESW_EEDaSR_SS_EUlSR_E_NS1_11comp_targetILNS1_3genE3ELNS1_11target_archE908ELNS1_3gpuE7ELNS1_3repE0EEENS1_30default_config_static_selectorELNS0_4arch9wavefront6targetE0EEEvT1_.uses_vcc, 0
	.set _ZN7rocprim17ROCPRIM_400000_NS6detail17trampoline_kernelINS0_14default_configENS1_27scan_by_key_config_selectorIiiEEZZNS1_16scan_by_key_implILNS1_25lookback_scan_determinismE0ELb1ES3_N6thrust23THRUST_200600_302600_NS10device_ptrIiEESB_SB_iNS9_4plusIvEENS9_8equal_toIvEEiEE10hipError_tPvRmT2_T3_T4_T5_mT6_T7_P12ihipStream_tbENKUlT_T0_E_clISt17integral_constantIbLb0EESW_EEDaSR_SS_EUlSR_E_NS1_11comp_targetILNS1_3genE3ELNS1_11target_archE908ELNS1_3gpuE7ELNS1_3repE0EEENS1_30default_config_static_selectorELNS0_4arch9wavefront6targetE0EEEvT1_.uses_flat_scratch, 0
	.set _ZN7rocprim17ROCPRIM_400000_NS6detail17trampoline_kernelINS0_14default_configENS1_27scan_by_key_config_selectorIiiEEZZNS1_16scan_by_key_implILNS1_25lookback_scan_determinismE0ELb1ES3_N6thrust23THRUST_200600_302600_NS10device_ptrIiEESB_SB_iNS9_4plusIvEENS9_8equal_toIvEEiEE10hipError_tPvRmT2_T3_T4_T5_mT6_T7_P12ihipStream_tbENKUlT_T0_E_clISt17integral_constantIbLb0EESW_EEDaSR_SS_EUlSR_E_NS1_11comp_targetILNS1_3genE3ELNS1_11target_archE908ELNS1_3gpuE7ELNS1_3repE0EEENS1_30default_config_static_selectorELNS0_4arch9wavefront6targetE0EEEvT1_.has_dyn_sized_stack, 0
	.set _ZN7rocprim17ROCPRIM_400000_NS6detail17trampoline_kernelINS0_14default_configENS1_27scan_by_key_config_selectorIiiEEZZNS1_16scan_by_key_implILNS1_25lookback_scan_determinismE0ELb1ES3_N6thrust23THRUST_200600_302600_NS10device_ptrIiEESB_SB_iNS9_4plusIvEENS9_8equal_toIvEEiEE10hipError_tPvRmT2_T3_T4_T5_mT6_T7_P12ihipStream_tbENKUlT_T0_E_clISt17integral_constantIbLb0EESW_EEDaSR_SS_EUlSR_E_NS1_11comp_targetILNS1_3genE3ELNS1_11target_archE908ELNS1_3gpuE7ELNS1_3repE0EEENS1_30default_config_static_selectorELNS0_4arch9wavefront6targetE0EEEvT1_.has_recursion, 0
	.set _ZN7rocprim17ROCPRIM_400000_NS6detail17trampoline_kernelINS0_14default_configENS1_27scan_by_key_config_selectorIiiEEZZNS1_16scan_by_key_implILNS1_25lookback_scan_determinismE0ELb1ES3_N6thrust23THRUST_200600_302600_NS10device_ptrIiEESB_SB_iNS9_4plusIvEENS9_8equal_toIvEEiEE10hipError_tPvRmT2_T3_T4_T5_mT6_T7_P12ihipStream_tbENKUlT_T0_E_clISt17integral_constantIbLb0EESW_EEDaSR_SS_EUlSR_E_NS1_11comp_targetILNS1_3genE3ELNS1_11target_archE908ELNS1_3gpuE7ELNS1_3repE0EEENS1_30default_config_static_selectorELNS0_4arch9wavefront6targetE0EEEvT1_.has_indirect_call, 0
	.section	.AMDGPU.csdata,"",@progbits
; Kernel info:
; codeLenInByte = 0
; TotalNumSgprs: 0
; NumVgprs: 0
; ScratchSize: 0
; MemoryBound: 0
; FloatMode: 240
; IeeeMode: 1
; LDSByteSize: 0 bytes/workgroup (compile time only)
; SGPRBlocks: 0
; VGPRBlocks: 0
; NumSGPRsForWavesPerEU: 1
; NumVGPRsForWavesPerEU: 1
; NamedBarCnt: 0
; Occupancy: 16
; WaveLimiterHint : 0
; COMPUTE_PGM_RSRC2:SCRATCH_EN: 0
; COMPUTE_PGM_RSRC2:USER_SGPR: 2
; COMPUTE_PGM_RSRC2:TRAP_HANDLER: 0
; COMPUTE_PGM_RSRC2:TGID_X_EN: 1
; COMPUTE_PGM_RSRC2:TGID_Y_EN: 0
; COMPUTE_PGM_RSRC2:TGID_Z_EN: 0
; COMPUTE_PGM_RSRC2:TIDIG_COMP_CNT: 0
	.section	.text._ZN7rocprim17ROCPRIM_400000_NS6detail17trampoline_kernelINS0_14default_configENS1_27scan_by_key_config_selectorIiiEEZZNS1_16scan_by_key_implILNS1_25lookback_scan_determinismE0ELb1ES3_N6thrust23THRUST_200600_302600_NS10device_ptrIiEESB_SB_iNS9_4plusIvEENS9_8equal_toIvEEiEE10hipError_tPvRmT2_T3_T4_T5_mT6_T7_P12ihipStream_tbENKUlT_T0_E_clISt17integral_constantIbLb0EESW_EEDaSR_SS_EUlSR_E_NS1_11comp_targetILNS1_3genE2ELNS1_11target_archE906ELNS1_3gpuE6ELNS1_3repE0EEENS1_30default_config_static_selectorELNS0_4arch9wavefront6targetE0EEEvT1_,"axG",@progbits,_ZN7rocprim17ROCPRIM_400000_NS6detail17trampoline_kernelINS0_14default_configENS1_27scan_by_key_config_selectorIiiEEZZNS1_16scan_by_key_implILNS1_25lookback_scan_determinismE0ELb1ES3_N6thrust23THRUST_200600_302600_NS10device_ptrIiEESB_SB_iNS9_4plusIvEENS9_8equal_toIvEEiEE10hipError_tPvRmT2_T3_T4_T5_mT6_T7_P12ihipStream_tbENKUlT_T0_E_clISt17integral_constantIbLb0EESW_EEDaSR_SS_EUlSR_E_NS1_11comp_targetILNS1_3genE2ELNS1_11target_archE906ELNS1_3gpuE6ELNS1_3repE0EEENS1_30default_config_static_selectorELNS0_4arch9wavefront6targetE0EEEvT1_,comdat
	.protected	_ZN7rocprim17ROCPRIM_400000_NS6detail17trampoline_kernelINS0_14default_configENS1_27scan_by_key_config_selectorIiiEEZZNS1_16scan_by_key_implILNS1_25lookback_scan_determinismE0ELb1ES3_N6thrust23THRUST_200600_302600_NS10device_ptrIiEESB_SB_iNS9_4plusIvEENS9_8equal_toIvEEiEE10hipError_tPvRmT2_T3_T4_T5_mT6_T7_P12ihipStream_tbENKUlT_T0_E_clISt17integral_constantIbLb0EESW_EEDaSR_SS_EUlSR_E_NS1_11comp_targetILNS1_3genE2ELNS1_11target_archE906ELNS1_3gpuE6ELNS1_3repE0EEENS1_30default_config_static_selectorELNS0_4arch9wavefront6targetE0EEEvT1_ ; -- Begin function _ZN7rocprim17ROCPRIM_400000_NS6detail17trampoline_kernelINS0_14default_configENS1_27scan_by_key_config_selectorIiiEEZZNS1_16scan_by_key_implILNS1_25lookback_scan_determinismE0ELb1ES3_N6thrust23THRUST_200600_302600_NS10device_ptrIiEESB_SB_iNS9_4plusIvEENS9_8equal_toIvEEiEE10hipError_tPvRmT2_T3_T4_T5_mT6_T7_P12ihipStream_tbENKUlT_T0_E_clISt17integral_constantIbLb0EESW_EEDaSR_SS_EUlSR_E_NS1_11comp_targetILNS1_3genE2ELNS1_11target_archE906ELNS1_3gpuE6ELNS1_3repE0EEENS1_30default_config_static_selectorELNS0_4arch9wavefront6targetE0EEEvT1_
	.globl	_ZN7rocprim17ROCPRIM_400000_NS6detail17trampoline_kernelINS0_14default_configENS1_27scan_by_key_config_selectorIiiEEZZNS1_16scan_by_key_implILNS1_25lookback_scan_determinismE0ELb1ES3_N6thrust23THRUST_200600_302600_NS10device_ptrIiEESB_SB_iNS9_4plusIvEENS9_8equal_toIvEEiEE10hipError_tPvRmT2_T3_T4_T5_mT6_T7_P12ihipStream_tbENKUlT_T0_E_clISt17integral_constantIbLb0EESW_EEDaSR_SS_EUlSR_E_NS1_11comp_targetILNS1_3genE2ELNS1_11target_archE906ELNS1_3gpuE6ELNS1_3repE0EEENS1_30default_config_static_selectorELNS0_4arch9wavefront6targetE0EEEvT1_
	.p2align	8
	.type	_ZN7rocprim17ROCPRIM_400000_NS6detail17trampoline_kernelINS0_14default_configENS1_27scan_by_key_config_selectorIiiEEZZNS1_16scan_by_key_implILNS1_25lookback_scan_determinismE0ELb1ES3_N6thrust23THRUST_200600_302600_NS10device_ptrIiEESB_SB_iNS9_4plusIvEENS9_8equal_toIvEEiEE10hipError_tPvRmT2_T3_T4_T5_mT6_T7_P12ihipStream_tbENKUlT_T0_E_clISt17integral_constantIbLb0EESW_EEDaSR_SS_EUlSR_E_NS1_11comp_targetILNS1_3genE2ELNS1_11target_archE906ELNS1_3gpuE6ELNS1_3repE0EEENS1_30default_config_static_selectorELNS0_4arch9wavefront6targetE0EEEvT1_,@function
_ZN7rocprim17ROCPRIM_400000_NS6detail17trampoline_kernelINS0_14default_configENS1_27scan_by_key_config_selectorIiiEEZZNS1_16scan_by_key_implILNS1_25lookback_scan_determinismE0ELb1ES3_N6thrust23THRUST_200600_302600_NS10device_ptrIiEESB_SB_iNS9_4plusIvEENS9_8equal_toIvEEiEE10hipError_tPvRmT2_T3_T4_T5_mT6_T7_P12ihipStream_tbENKUlT_T0_E_clISt17integral_constantIbLb0EESW_EEDaSR_SS_EUlSR_E_NS1_11comp_targetILNS1_3genE2ELNS1_11target_archE906ELNS1_3gpuE6ELNS1_3repE0EEENS1_30default_config_static_selectorELNS0_4arch9wavefront6targetE0EEEvT1_: ; @_ZN7rocprim17ROCPRIM_400000_NS6detail17trampoline_kernelINS0_14default_configENS1_27scan_by_key_config_selectorIiiEEZZNS1_16scan_by_key_implILNS1_25lookback_scan_determinismE0ELb1ES3_N6thrust23THRUST_200600_302600_NS10device_ptrIiEESB_SB_iNS9_4plusIvEENS9_8equal_toIvEEiEE10hipError_tPvRmT2_T3_T4_T5_mT6_T7_P12ihipStream_tbENKUlT_T0_E_clISt17integral_constantIbLb0EESW_EEDaSR_SS_EUlSR_E_NS1_11comp_targetILNS1_3genE2ELNS1_11target_archE906ELNS1_3gpuE6ELNS1_3repE0EEENS1_30default_config_static_selectorELNS0_4arch9wavefront6targetE0EEEvT1_
; %bb.0:
	.section	.rodata,"a",@progbits
	.p2align	6, 0x0
	.amdhsa_kernel _ZN7rocprim17ROCPRIM_400000_NS6detail17trampoline_kernelINS0_14default_configENS1_27scan_by_key_config_selectorIiiEEZZNS1_16scan_by_key_implILNS1_25lookback_scan_determinismE0ELb1ES3_N6thrust23THRUST_200600_302600_NS10device_ptrIiEESB_SB_iNS9_4plusIvEENS9_8equal_toIvEEiEE10hipError_tPvRmT2_T3_T4_T5_mT6_T7_P12ihipStream_tbENKUlT_T0_E_clISt17integral_constantIbLb0EESW_EEDaSR_SS_EUlSR_E_NS1_11comp_targetILNS1_3genE2ELNS1_11target_archE906ELNS1_3gpuE6ELNS1_3repE0EEENS1_30default_config_static_selectorELNS0_4arch9wavefront6targetE0EEEvT1_
		.amdhsa_group_segment_fixed_size 0
		.amdhsa_private_segment_fixed_size 0
		.amdhsa_kernarg_size 112
		.amdhsa_user_sgpr_count 2
		.amdhsa_user_sgpr_dispatch_ptr 0
		.amdhsa_user_sgpr_queue_ptr 0
		.amdhsa_user_sgpr_kernarg_segment_ptr 1
		.amdhsa_user_sgpr_dispatch_id 0
		.amdhsa_user_sgpr_kernarg_preload_length 0
		.amdhsa_user_sgpr_kernarg_preload_offset 0
		.amdhsa_user_sgpr_private_segment_size 0
		.amdhsa_wavefront_size32 1
		.amdhsa_uses_dynamic_stack 0
		.amdhsa_enable_private_segment 0
		.amdhsa_system_sgpr_workgroup_id_x 1
		.amdhsa_system_sgpr_workgroup_id_y 0
		.amdhsa_system_sgpr_workgroup_id_z 0
		.amdhsa_system_sgpr_workgroup_info 0
		.amdhsa_system_vgpr_workitem_id 0
		.amdhsa_next_free_vgpr 1
		.amdhsa_next_free_sgpr 1
		.amdhsa_named_barrier_count 0
		.amdhsa_reserve_vcc 0
		.amdhsa_float_round_mode_32 0
		.amdhsa_float_round_mode_16_64 0
		.amdhsa_float_denorm_mode_32 3
		.amdhsa_float_denorm_mode_16_64 3
		.amdhsa_fp16_overflow 0
		.amdhsa_memory_ordered 1
		.amdhsa_forward_progress 1
		.amdhsa_inst_pref_size 0
		.amdhsa_round_robin_scheduling 0
		.amdhsa_exception_fp_ieee_invalid_op 0
		.amdhsa_exception_fp_denorm_src 0
		.amdhsa_exception_fp_ieee_div_zero 0
		.amdhsa_exception_fp_ieee_overflow 0
		.amdhsa_exception_fp_ieee_underflow 0
		.amdhsa_exception_fp_ieee_inexact 0
		.amdhsa_exception_int_div_zero 0
	.end_amdhsa_kernel
	.section	.text._ZN7rocprim17ROCPRIM_400000_NS6detail17trampoline_kernelINS0_14default_configENS1_27scan_by_key_config_selectorIiiEEZZNS1_16scan_by_key_implILNS1_25lookback_scan_determinismE0ELb1ES3_N6thrust23THRUST_200600_302600_NS10device_ptrIiEESB_SB_iNS9_4plusIvEENS9_8equal_toIvEEiEE10hipError_tPvRmT2_T3_T4_T5_mT6_T7_P12ihipStream_tbENKUlT_T0_E_clISt17integral_constantIbLb0EESW_EEDaSR_SS_EUlSR_E_NS1_11comp_targetILNS1_3genE2ELNS1_11target_archE906ELNS1_3gpuE6ELNS1_3repE0EEENS1_30default_config_static_selectorELNS0_4arch9wavefront6targetE0EEEvT1_,"axG",@progbits,_ZN7rocprim17ROCPRIM_400000_NS6detail17trampoline_kernelINS0_14default_configENS1_27scan_by_key_config_selectorIiiEEZZNS1_16scan_by_key_implILNS1_25lookback_scan_determinismE0ELb1ES3_N6thrust23THRUST_200600_302600_NS10device_ptrIiEESB_SB_iNS9_4plusIvEENS9_8equal_toIvEEiEE10hipError_tPvRmT2_T3_T4_T5_mT6_T7_P12ihipStream_tbENKUlT_T0_E_clISt17integral_constantIbLb0EESW_EEDaSR_SS_EUlSR_E_NS1_11comp_targetILNS1_3genE2ELNS1_11target_archE906ELNS1_3gpuE6ELNS1_3repE0EEENS1_30default_config_static_selectorELNS0_4arch9wavefront6targetE0EEEvT1_,comdat
.Lfunc_end2238:
	.size	_ZN7rocprim17ROCPRIM_400000_NS6detail17trampoline_kernelINS0_14default_configENS1_27scan_by_key_config_selectorIiiEEZZNS1_16scan_by_key_implILNS1_25lookback_scan_determinismE0ELb1ES3_N6thrust23THRUST_200600_302600_NS10device_ptrIiEESB_SB_iNS9_4plusIvEENS9_8equal_toIvEEiEE10hipError_tPvRmT2_T3_T4_T5_mT6_T7_P12ihipStream_tbENKUlT_T0_E_clISt17integral_constantIbLb0EESW_EEDaSR_SS_EUlSR_E_NS1_11comp_targetILNS1_3genE2ELNS1_11target_archE906ELNS1_3gpuE6ELNS1_3repE0EEENS1_30default_config_static_selectorELNS0_4arch9wavefront6targetE0EEEvT1_, .Lfunc_end2238-_ZN7rocprim17ROCPRIM_400000_NS6detail17trampoline_kernelINS0_14default_configENS1_27scan_by_key_config_selectorIiiEEZZNS1_16scan_by_key_implILNS1_25lookback_scan_determinismE0ELb1ES3_N6thrust23THRUST_200600_302600_NS10device_ptrIiEESB_SB_iNS9_4plusIvEENS9_8equal_toIvEEiEE10hipError_tPvRmT2_T3_T4_T5_mT6_T7_P12ihipStream_tbENKUlT_T0_E_clISt17integral_constantIbLb0EESW_EEDaSR_SS_EUlSR_E_NS1_11comp_targetILNS1_3genE2ELNS1_11target_archE906ELNS1_3gpuE6ELNS1_3repE0EEENS1_30default_config_static_selectorELNS0_4arch9wavefront6targetE0EEEvT1_
                                        ; -- End function
	.set _ZN7rocprim17ROCPRIM_400000_NS6detail17trampoline_kernelINS0_14default_configENS1_27scan_by_key_config_selectorIiiEEZZNS1_16scan_by_key_implILNS1_25lookback_scan_determinismE0ELb1ES3_N6thrust23THRUST_200600_302600_NS10device_ptrIiEESB_SB_iNS9_4plusIvEENS9_8equal_toIvEEiEE10hipError_tPvRmT2_T3_T4_T5_mT6_T7_P12ihipStream_tbENKUlT_T0_E_clISt17integral_constantIbLb0EESW_EEDaSR_SS_EUlSR_E_NS1_11comp_targetILNS1_3genE2ELNS1_11target_archE906ELNS1_3gpuE6ELNS1_3repE0EEENS1_30default_config_static_selectorELNS0_4arch9wavefront6targetE0EEEvT1_.num_vgpr, 0
	.set _ZN7rocprim17ROCPRIM_400000_NS6detail17trampoline_kernelINS0_14default_configENS1_27scan_by_key_config_selectorIiiEEZZNS1_16scan_by_key_implILNS1_25lookback_scan_determinismE0ELb1ES3_N6thrust23THRUST_200600_302600_NS10device_ptrIiEESB_SB_iNS9_4plusIvEENS9_8equal_toIvEEiEE10hipError_tPvRmT2_T3_T4_T5_mT6_T7_P12ihipStream_tbENKUlT_T0_E_clISt17integral_constantIbLb0EESW_EEDaSR_SS_EUlSR_E_NS1_11comp_targetILNS1_3genE2ELNS1_11target_archE906ELNS1_3gpuE6ELNS1_3repE0EEENS1_30default_config_static_selectorELNS0_4arch9wavefront6targetE0EEEvT1_.num_agpr, 0
	.set _ZN7rocprim17ROCPRIM_400000_NS6detail17trampoline_kernelINS0_14default_configENS1_27scan_by_key_config_selectorIiiEEZZNS1_16scan_by_key_implILNS1_25lookback_scan_determinismE0ELb1ES3_N6thrust23THRUST_200600_302600_NS10device_ptrIiEESB_SB_iNS9_4plusIvEENS9_8equal_toIvEEiEE10hipError_tPvRmT2_T3_T4_T5_mT6_T7_P12ihipStream_tbENKUlT_T0_E_clISt17integral_constantIbLb0EESW_EEDaSR_SS_EUlSR_E_NS1_11comp_targetILNS1_3genE2ELNS1_11target_archE906ELNS1_3gpuE6ELNS1_3repE0EEENS1_30default_config_static_selectorELNS0_4arch9wavefront6targetE0EEEvT1_.numbered_sgpr, 0
	.set _ZN7rocprim17ROCPRIM_400000_NS6detail17trampoline_kernelINS0_14default_configENS1_27scan_by_key_config_selectorIiiEEZZNS1_16scan_by_key_implILNS1_25lookback_scan_determinismE0ELb1ES3_N6thrust23THRUST_200600_302600_NS10device_ptrIiEESB_SB_iNS9_4plusIvEENS9_8equal_toIvEEiEE10hipError_tPvRmT2_T3_T4_T5_mT6_T7_P12ihipStream_tbENKUlT_T0_E_clISt17integral_constantIbLb0EESW_EEDaSR_SS_EUlSR_E_NS1_11comp_targetILNS1_3genE2ELNS1_11target_archE906ELNS1_3gpuE6ELNS1_3repE0EEENS1_30default_config_static_selectorELNS0_4arch9wavefront6targetE0EEEvT1_.num_named_barrier, 0
	.set _ZN7rocprim17ROCPRIM_400000_NS6detail17trampoline_kernelINS0_14default_configENS1_27scan_by_key_config_selectorIiiEEZZNS1_16scan_by_key_implILNS1_25lookback_scan_determinismE0ELb1ES3_N6thrust23THRUST_200600_302600_NS10device_ptrIiEESB_SB_iNS9_4plusIvEENS9_8equal_toIvEEiEE10hipError_tPvRmT2_T3_T4_T5_mT6_T7_P12ihipStream_tbENKUlT_T0_E_clISt17integral_constantIbLb0EESW_EEDaSR_SS_EUlSR_E_NS1_11comp_targetILNS1_3genE2ELNS1_11target_archE906ELNS1_3gpuE6ELNS1_3repE0EEENS1_30default_config_static_selectorELNS0_4arch9wavefront6targetE0EEEvT1_.private_seg_size, 0
	.set _ZN7rocprim17ROCPRIM_400000_NS6detail17trampoline_kernelINS0_14default_configENS1_27scan_by_key_config_selectorIiiEEZZNS1_16scan_by_key_implILNS1_25lookback_scan_determinismE0ELb1ES3_N6thrust23THRUST_200600_302600_NS10device_ptrIiEESB_SB_iNS9_4plusIvEENS9_8equal_toIvEEiEE10hipError_tPvRmT2_T3_T4_T5_mT6_T7_P12ihipStream_tbENKUlT_T0_E_clISt17integral_constantIbLb0EESW_EEDaSR_SS_EUlSR_E_NS1_11comp_targetILNS1_3genE2ELNS1_11target_archE906ELNS1_3gpuE6ELNS1_3repE0EEENS1_30default_config_static_selectorELNS0_4arch9wavefront6targetE0EEEvT1_.uses_vcc, 0
	.set _ZN7rocprim17ROCPRIM_400000_NS6detail17trampoline_kernelINS0_14default_configENS1_27scan_by_key_config_selectorIiiEEZZNS1_16scan_by_key_implILNS1_25lookback_scan_determinismE0ELb1ES3_N6thrust23THRUST_200600_302600_NS10device_ptrIiEESB_SB_iNS9_4plusIvEENS9_8equal_toIvEEiEE10hipError_tPvRmT2_T3_T4_T5_mT6_T7_P12ihipStream_tbENKUlT_T0_E_clISt17integral_constantIbLb0EESW_EEDaSR_SS_EUlSR_E_NS1_11comp_targetILNS1_3genE2ELNS1_11target_archE906ELNS1_3gpuE6ELNS1_3repE0EEENS1_30default_config_static_selectorELNS0_4arch9wavefront6targetE0EEEvT1_.uses_flat_scratch, 0
	.set _ZN7rocprim17ROCPRIM_400000_NS6detail17trampoline_kernelINS0_14default_configENS1_27scan_by_key_config_selectorIiiEEZZNS1_16scan_by_key_implILNS1_25lookback_scan_determinismE0ELb1ES3_N6thrust23THRUST_200600_302600_NS10device_ptrIiEESB_SB_iNS9_4plusIvEENS9_8equal_toIvEEiEE10hipError_tPvRmT2_T3_T4_T5_mT6_T7_P12ihipStream_tbENKUlT_T0_E_clISt17integral_constantIbLb0EESW_EEDaSR_SS_EUlSR_E_NS1_11comp_targetILNS1_3genE2ELNS1_11target_archE906ELNS1_3gpuE6ELNS1_3repE0EEENS1_30default_config_static_selectorELNS0_4arch9wavefront6targetE0EEEvT1_.has_dyn_sized_stack, 0
	.set _ZN7rocprim17ROCPRIM_400000_NS6detail17trampoline_kernelINS0_14default_configENS1_27scan_by_key_config_selectorIiiEEZZNS1_16scan_by_key_implILNS1_25lookback_scan_determinismE0ELb1ES3_N6thrust23THRUST_200600_302600_NS10device_ptrIiEESB_SB_iNS9_4plusIvEENS9_8equal_toIvEEiEE10hipError_tPvRmT2_T3_T4_T5_mT6_T7_P12ihipStream_tbENKUlT_T0_E_clISt17integral_constantIbLb0EESW_EEDaSR_SS_EUlSR_E_NS1_11comp_targetILNS1_3genE2ELNS1_11target_archE906ELNS1_3gpuE6ELNS1_3repE0EEENS1_30default_config_static_selectorELNS0_4arch9wavefront6targetE0EEEvT1_.has_recursion, 0
	.set _ZN7rocprim17ROCPRIM_400000_NS6detail17trampoline_kernelINS0_14default_configENS1_27scan_by_key_config_selectorIiiEEZZNS1_16scan_by_key_implILNS1_25lookback_scan_determinismE0ELb1ES3_N6thrust23THRUST_200600_302600_NS10device_ptrIiEESB_SB_iNS9_4plusIvEENS9_8equal_toIvEEiEE10hipError_tPvRmT2_T3_T4_T5_mT6_T7_P12ihipStream_tbENKUlT_T0_E_clISt17integral_constantIbLb0EESW_EEDaSR_SS_EUlSR_E_NS1_11comp_targetILNS1_3genE2ELNS1_11target_archE906ELNS1_3gpuE6ELNS1_3repE0EEENS1_30default_config_static_selectorELNS0_4arch9wavefront6targetE0EEEvT1_.has_indirect_call, 0
	.section	.AMDGPU.csdata,"",@progbits
; Kernel info:
; codeLenInByte = 0
; TotalNumSgprs: 0
; NumVgprs: 0
; ScratchSize: 0
; MemoryBound: 0
; FloatMode: 240
; IeeeMode: 1
; LDSByteSize: 0 bytes/workgroup (compile time only)
; SGPRBlocks: 0
; VGPRBlocks: 0
; NumSGPRsForWavesPerEU: 1
; NumVGPRsForWavesPerEU: 1
; NamedBarCnt: 0
; Occupancy: 16
; WaveLimiterHint : 0
; COMPUTE_PGM_RSRC2:SCRATCH_EN: 0
; COMPUTE_PGM_RSRC2:USER_SGPR: 2
; COMPUTE_PGM_RSRC2:TRAP_HANDLER: 0
; COMPUTE_PGM_RSRC2:TGID_X_EN: 1
; COMPUTE_PGM_RSRC2:TGID_Y_EN: 0
; COMPUTE_PGM_RSRC2:TGID_Z_EN: 0
; COMPUTE_PGM_RSRC2:TIDIG_COMP_CNT: 0
	.section	.text._ZN7rocprim17ROCPRIM_400000_NS6detail17trampoline_kernelINS0_14default_configENS1_27scan_by_key_config_selectorIiiEEZZNS1_16scan_by_key_implILNS1_25lookback_scan_determinismE0ELb1ES3_N6thrust23THRUST_200600_302600_NS10device_ptrIiEESB_SB_iNS9_4plusIvEENS9_8equal_toIvEEiEE10hipError_tPvRmT2_T3_T4_T5_mT6_T7_P12ihipStream_tbENKUlT_T0_E_clISt17integral_constantIbLb0EESW_EEDaSR_SS_EUlSR_E_NS1_11comp_targetILNS1_3genE10ELNS1_11target_archE1200ELNS1_3gpuE4ELNS1_3repE0EEENS1_30default_config_static_selectorELNS0_4arch9wavefront6targetE0EEEvT1_,"axG",@progbits,_ZN7rocprim17ROCPRIM_400000_NS6detail17trampoline_kernelINS0_14default_configENS1_27scan_by_key_config_selectorIiiEEZZNS1_16scan_by_key_implILNS1_25lookback_scan_determinismE0ELb1ES3_N6thrust23THRUST_200600_302600_NS10device_ptrIiEESB_SB_iNS9_4plusIvEENS9_8equal_toIvEEiEE10hipError_tPvRmT2_T3_T4_T5_mT6_T7_P12ihipStream_tbENKUlT_T0_E_clISt17integral_constantIbLb0EESW_EEDaSR_SS_EUlSR_E_NS1_11comp_targetILNS1_3genE10ELNS1_11target_archE1200ELNS1_3gpuE4ELNS1_3repE0EEENS1_30default_config_static_selectorELNS0_4arch9wavefront6targetE0EEEvT1_,comdat
	.protected	_ZN7rocprim17ROCPRIM_400000_NS6detail17trampoline_kernelINS0_14default_configENS1_27scan_by_key_config_selectorIiiEEZZNS1_16scan_by_key_implILNS1_25lookback_scan_determinismE0ELb1ES3_N6thrust23THRUST_200600_302600_NS10device_ptrIiEESB_SB_iNS9_4plusIvEENS9_8equal_toIvEEiEE10hipError_tPvRmT2_T3_T4_T5_mT6_T7_P12ihipStream_tbENKUlT_T0_E_clISt17integral_constantIbLb0EESW_EEDaSR_SS_EUlSR_E_NS1_11comp_targetILNS1_3genE10ELNS1_11target_archE1200ELNS1_3gpuE4ELNS1_3repE0EEENS1_30default_config_static_selectorELNS0_4arch9wavefront6targetE0EEEvT1_ ; -- Begin function _ZN7rocprim17ROCPRIM_400000_NS6detail17trampoline_kernelINS0_14default_configENS1_27scan_by_key_config_selectorIiiEEZZNS1_16scan_by_key_implILNS1_25lookback_scan_determinismE0ELb1ES3_N6thrust23THRUST_200600_302600_NS10device_ptrIiEESB_SB_iNS9_4plusIvEENS9_8equal_toIvEEiEE10hipError_tPvRmT2_T3_T4_T5_mT6_T7_P12ihipStream_tbENKUlT_T0_E_clISt17integral_constantIbLb0EESW_EEDaSR_SS_EUlSR_E_NS1_11comp_targetILNS1_3genE10ELNS1_11target_archE1200ELNS1_3gpuE4ELNS1_3repE0EEENS1_30default_config_static_selectorELNS0_4arch9wavefront6targetE0EEEvT1_
	.globl	_ZN7rocprim17ROCPRIM_400000_NS6detail17trampoline_kernelINS0_14default_configENS1_27scan_by_key_config_selectorIiiEEZZNS1_16scan_by_key_implILNS1_25lookback_scan_determinismE0ELb1ES3_N6thrust23THRUST_200600_302600_NS10device_ptrIiEESB_SB_iNS9_4plusIvEENS9_8equal_toIvEEiEE10hipError_tPvRmT2_T3_T4_T5_mT6_T7_P12ihipStream_tbENKUlT_T0_E_clISt17integral_constantIbLb0EESW_EEDaSR_SS_EUlSR_E_NS1_11comp_targetILNS1_3genE10ELNS1_11target_archE1200ELNS1_3gpuE4ELNS1_3repE0EEENS1_30default_config_static_selectorELNS0_4arch9wavefront6targetE0EEEvT1_
	.p2align	8
	.type	_ZN7rocprim17ROCPRIM_400000_NS6detail17trampoline_kernelINS0_14default_configENS1_27scan_by_key_config_selectorIiiEEZZNS1_16scan_by_key_implILNS1_25lookback_scan_determinismE0ELb1ES3_N6thrust23THRUST_200600_302600_NS10device_ptrIiEESB_SB_iNS9_4plusIvEENS9_8equal_toIvEEiEE10hipError_tPvRmT2_T3_T4_T5_mT6_T7_P12ihipStream_tbENKUlT_T0_E_clISt17integral_constantIbLb0EESW_EEDaSR_SS_EUlSR_E_NS1_11comp_targetILNS1_3genE10ELNS1_11target_archE1200ELNS1_3gpuE4ELNS1_3repE0EEENS1_30default_config_static_selectorELNS0_4arch9wavefront6targetE0EEEvT1_,@function
_ZN7rocprim17ROCPRIM_400000_NS6detail17trampoline_kernelINS0_14default_configENS1_27scan_by_key_config_selectorIiiEEZZNS1_16scan_by_key_implILNS1_25lookback_scan_determinismE0ELb1ES3_N6thrust23THRUST_200600_302600_NS10device_ptrIiEESB_SB_iNS9_4plusIvEENS9_8equal_toIvEEiEE10hipError_tPvRmT2_T3_T4_T5_mT6_T7_P12ihipStream_tbENKUlT_T0_E_clISt17integral_constantIbLb0EESW_EEDaSR_SS_EUlSR_E_NS1_11comp_targetILNS1_3genE10ELNS1_11target_archE1200ELNS1_3gpuE4ELNS1_3repE0EEENS1_30default_config_static_selectorELNS0_4arch9wavefront6targetE0EEEvT1_: ; @_ZN7rocprim17ROCPRIM_400000_NS6detail17trampoline_kernelINS0_14default_configENS1_27scan_by_key_config_selectorIiiEEZZNS1_16scan_by_key_implILNS1_25lookback_scan_determinismE0ELb1ES3_N6thrust23THRUST_200600_302600_NS10device_ptrIiEESB_SB_iNS9_4plusIvEENS9_8equal_toIvEEiEE10hipError_tPvRmT2_T3_T4_T5_mT6_T7_P12ihipStream_tbENKUlT_T0_E_clISt17integral_constantIbLb0EESW_EEDaSR_SS_EUlSR_E_NS1_11comp_targetILNS1_3genE10ELNS1_11target_archE1200ELNS1_3gpuE4ELNS1_3repE0EEENS1_30default_config_static_selectorELNS0_4arch9wavefront6targetE0EEEvT1_
; %bb.0:
	.section	.rodata,"a",@progbits
	.p2align	6, 0x0
	.amdhsa_kernel _ZN7rocprim17ROCPRIM_400000_NS6detail17trampoline_kernelINS0_14default_configENS1_27scan_by_key_config_selectorIiiEEZZNS1_16scan_by_key_implILNS1_25lookback_scan_determinismE0ELb1ES3_N6thrust23THRUST_200600_302600_NS10device_ptrIiEESB_SB_iNS9_4plusIvEENS9_8equal_toIvEEiEE10hipError_tPvRmT2_T3_T4_T5_mT6_T7_P12ihipStream_tbENKUlT_T0_E_clISt17integral_constantIbLb0EESW_EEDaSR_SS_EUlSR_E_NS1_11comp_targetILNS1_3genE10ELNS1_11target_archE1200ELNS1_3gpuE4ELNS1_3repE0EEENS1_30default_config_static_selectorELNS0_4arch9wavefront6targetE0EEEvT1_
		.amdhsa_group_segment_fixed_size 0
		.amdhsa_private_segment_fixed_size 0
		.amdhsa_kernarg_size 112
		.amdhsa_user_sgpr_count 2
		.amdhsa_user_sgpr_dispatch_ptr 0
		.amdhsa_user_sgpr_queue_ptr 0
		.amdhsa_user_sgpr_kernarg_segment_ptr 1
		.amdhsa_user_sgpr_dispatch_id 0
		.amdhsa_user_sgpr_kernarg_preload_length 0
		.amdhsa_user_sgpr_kernarg_preload_offset 0
		.amdhsa_user_sgpr_private_segment_size 0
		.amdhsa_wavefront_size32 1
		.amdhsa_uses_dynamic_stack 0
		.amdhsa_enable_private_segment 0
		.amdhsa_system_sgpr_workgroup_id_x 1
		.amdhsa_system_sgpr_workgroup_id_y 0
		.amdhsa_system_sgpr_workgroup_id_z 0
		.amdhsa_system_sgpr_workgroup_info 0
		.amdhsa_system_vgpr_workitem_id 0
		.amdhsa_next_free_vgpr 1
		.amdhsa_next_free_sgpr 1
		.amdhsa_named_barrier_count 0
		.amdhsa_reserve_vcc 0
		.amdhsa_float_round_mode_32 0
		.amdhsa_float_round_mode_16_64 0
		.amdhsa_float_denorm_mode_32 3
		.amdhsa_float_denorm_mode_16_64 3
		.amdhsa_fp16_overflow 0
		.amdhsa_memory_ordered 1
		.amdhsa_forward_progress 1
		.amdhsa_inst_pref_size 0
		.amdhsa_round_robin_scheduling 0
		.amdhsa_exception_fp_ieee_invalid_op 0
		.amdhsa_exception_fp_denorm_src 0
		.amdhsa_exception_fp_ieee_div_zero 0
		.amdhsa_exception_fp_ieee_overflow 0
		.amdhsa_exception_fp_ieee_underflow 0
		.amdhsa_exception_fp_ieee_inexact 0
		.amdhsa_exception_int_div_zero 0
	.end_amdhsa_kernel
	.section	.text._ZN7rocprim17ROCPRIM_400000_NS6detail17trampoline_kernelINS0_14default_configENS1_27scan_by_key_config_selectorIiiEEZZNS1_16scan_by_key_implILNS1_25lookback_scan_determinismE0ELb1ES3_N6thrust23THRUST_200600_302600_NS10device_ptrIiEESB_SB_iNS9_4plusIvEENS9_8equal_toIvEEiEE10hipError_tPvRmT2_T3_T4_T5_mT6_T7_P12ihipStream_tbENKUlT_T0_E_clISt17integral_constantIbLb0EESW_EEDaSR_SS_EUlSR_E_NS1_11comp_targetILNS1_3genE10ELNS1_11target_archE1200ELNS1_3gpuE4ELNS1_3repE0EEENS1_30default_config_static_selectorELNS0_4arch9wavefront6targetE0EEEvT1_,"axG",@progbits,_ZN7rocprim17ROCPRIM_400000_NS6detail17trampoline_kernelINS0_14default_configENS1_27scan_by_key_config_selectorIiiEEZZNS1_16scan_by_key_implILNS1_25lookback_scan_determinismE0ELb1ES3_N6thrust23THRUST_200600_302600_NS10device_ptrIiEESB_SB_iNS9_4plusIvEENS9_8equal_toIvEEiEE10hipError_tPvRmT2_T3_T4_T5_mT6_T7_P12ihipStream_tbENKUlT_T0_E_clISt17integral_constantIbLb0EESW_EEDaSR_SS_EUlSR_E_NS1_11comp_targetILNS1_3genE10ELNS1_11target_archE1200ELNS1_3gpuE4ELNS1_3repE0EEENS1_30default_config_static_selectorELNS0_4arch9wavefront6targetE0EEEvT1_,comdat
.Lfunc_end2239:
	.size	_ZN7rocprim17ROCPRIM_400000_NS6detail17trampoline_kernelINS0_14default_configENS1_27scan_by_key_config_selectorIiiEEZZNS1_16scan_by_key_implILNS1_25lookback_scan_determinismE0ELb1ES3_N6thrust23THRUST_200600_302600_NS10device_ptrIiEESB_SB_iNS9_4plusIvEENS9_8equal_toIvEEiEE10hipError_tPvRmT2_T3_T4_T5_mT6_T7_P12ihipStream_tbENKUlT_T0_E_clISt17integral_constantIbLb0EESW_EEDaSR_SS_EUlSR_E_NS1_11comp_targetILNS1_3genE10ELNS1_11target_archE1200ELNS1_3gpuE4ELNS1_3repE0EEENS1_30default_config_static_selectorELNS0_4arch9wavefront6targetE0EEEvT1_, .Lfunc_end2239-_ZN7rocprim17ROCPRIM_400000_NS6detail17trampoline_kernelINS0_14default_configENS1_27scan_by_key_config_selectorIiiEEZZNS1_16scan_by_key_implILNS1_25lookback_scan_determinismE0ELb1ES3_N6thrust23THRUST_200600_302600_NS10device_ptrIiEESB_SB_iNS9_4plusIvEENS9_8equal_toIvEEiEE10hipError_tPvRmT2_T3_T4_T5_mT6_T7_P12ihipStream_tbENKUlT_T0_E_clISt17integral_constantIbLb0EESW_EEDaSR_SS_EUlSR_E_NS1_11comp_targetILNS1_3genE10ELNS1_11target_archE1200ELNS1_3gpuE4ELNS1_3repE0EEENS1_30default_config_static_selectorELNS0_4arch9wavefront6targetE0EEEvT1_
                                        ; -- End function
	.set _ZN7rocprim17ROCPRIM_400000_NS6detail17trampoline_kernelINS0_14default_configENS1_27scan_by_key_config_selectorIiiEEZZNS1_16scan_by_key_implILNS1_25lookback_scan_determinismE0ELb1ES3_N6thrust23THRUST_200600_302600_NS10device_ptrIiEESB_SB_iNS9_4plusIvEENS9_8equal_toIvEEiEE10hipError_tPvRmT2_T3_T4_T5_mT6_T7_P12ihipStream_tbENKUlT_T0_E_clISt17integral_constantIbLb0EESW_EEDaSR_SS_EUlSR_E_NS1_11comp_targetILNS1_3genE10ELNS1_11target_archE1200ELNS1_3gpuE4ELNS1_3repE0EEENS1_30default_config_static_selectorELNS0_4arch9wavefront6targetE0EEEvT1_.num_vgpr, 0
	.set _ZN7rocprim17ROCPRIM_400000_NS6detail17trampoline_kernelINS0_14default_configENS1_27scan_by_key_config_selectorIiiEEZZNS1_16scan_by_key_implILNS1_25lookback_scan_determinismE0ELb1ES3_N6thrust23THRUST_200600_302600_NS10device_ptrIiEESB_SB_iNS9_4plusIvEENS9_8equal_toIvEEiEE10hipError_tPvRmT2_T3_T4_T5_mT6_T7_P12ihipStream_tbENKUlT_T0_E_clISt17integral_constantIbLb0EESW_EEDaSR_SS_EUlSR_E_NS1_11comp_targetILNS1_3genE10ELNS1_11target_archE1200ELNS1_3gpuE4ELNS1_3repE0EEENS1_30default_config_static_selectorELNS0_4arch9wavefront6targetE0EEEvT1_.num_agpr, 0
	.set _ZN7rocprim17ROCPRIM_400000_NS6detail17trampoline_kernelINS0_14default_configENS1_27scan_by_key_config_selectorIiiEEZZNS1_16scan_by_key_implILNS1_25lookback_scan_determinismE0ELb1ES3_N6thrust23THRUST_200600_302600_NS10device_ptrIiEESB_SB_iNS9_4plusIvEENS9_8equal_toIvEEiEE10hipError_tPvRmT2_T3_T4_T5_mT6_T7_P12ihipStream_tbENKUlT_T0_E_clISt17integral_constantIbLb0EESW_EEDaSR_SS_EUlSR_E_NS1_11comp_targetILNS1_3genE10ELNS1_11target_archE1200ELNS1_3gpuE4ELNS1_3repE0EEENS1_30default_config_static_selectorELNS0_4arch9wavefront6targetE0EEEvT1_.numbered_sgpr, 0
	.set _ZN7rocprim17ROCPRIM_400000_NS6detail17trampoline_kernelINS0_14default_configENS1_27scan_by_key_config_selectorIiiEEZZNS1_16scan_by_key_implILNS1_25lookback_scan_determinismE0ELb1ES3_N6thrust23THRUST_200600_302600_NS10device_ptrIiEESB_SB_iNS9_4plusIvEENS9_8equal_toIvEEiEE10hipError_tPvRmT2_T3_T4_T5_mT6_T7_P12ihipStream_tbENKUlT_T0_E_clISt17integral_constantIbLb0EESW_EEDaSR_SS_EUlSR_E_NS1_11comp_targetILNS1_3genE10ELNS1_11target_archE1200ELNS1_3gpuE4ELNS1_3repE0EEENS1_30default_config_static_selectorELNS0_4arch9wavefront6targetE0EEEvT1_.num_named_barrier, 0
	.set _ZN7rocprim17ROCPRIM_400000_NS6detail17trampoline_kernelINS0_14default_configENS1_27scan_by_key_config_selectorIiiEEZZNS1_16scan_by_key_implILNS1_25lookback_scan_determinismE0ELb1ES3_N6thrust23THRUST_200600_302600_NS10device_ptrIiEESB_SB_iNS9_4plusIvEENS9_8equal_toIvEEiEE10hipError_tPvRmT2_T3_T4_T5_mT6_T7_P12ihipStream_tbENKUlT_T0_E_clISt17integral_constantIbLb0EESW_EEDaSR_SS_EUlSR_E_NS1_11comp_targetILNS1_3genE10ELNS1_11target_archE1200ELNS1_3gpuE4ELNS1_3repE0EEENS1_30default_config_static_selectorELNS0_4arch9wavefront6targetE0EEEvT1_.private_seg_size, 0
	.set _ZN7rocprim17ROCPRIM_400000_NS6detail17trampoline_kernelINS0_14default_configENS1_27scan_by_key_config_selectorIiiEEZZNS1_16scan_by_key_implILNS1_25lookback_scan_determinismE0ELb1ES3_N6thrust23THRUST_200600_302600_NS10device_ptrIiEESB_SB_iNS9_4plusIvEENS9_8equal_toIvEEiEE10hipError_tPvRmT2_T3_T4_T5_mT6_T7_P12ihipStream_tbENKUlT_T0_E_clISt17integral_constantIbLb0EESW_EEDaSR_SS_EUlSR_E_NS1_11comp_targetILNS1_3genE10ELNS1_11target_archE1200ELNS1_3gpuE4ELNS1_3repE0EEENS1_30default_config_static_selectorELNS0_4arch9wavefront6targetE0EEEvT1_.uses_vcc, 0
	.set _ZN7rocprim17ROCPRIM_400000_NS6detail17trampoline_kernelINS0_14default_configENS1_27scan_by_key_config_selectorIiiEEZZNS1_16scan_by_key_implILNS1_25lookback_scan_determinismE0ELb1ES3_N6thrust23THRUST_200600_302600_NS10device_ptrIiEESB_SB_iNS9_4plusIvEENS9_8equal_toIvEEiEE10hipError_tPvRmT2_T3_T4_T5_mT6_T7_P12ihipStream_tbENKUlT_T0_E_clISt17integral_constantIbLb0EESW_EEDaSR_SS_EUlSR_E_NS1_11comp_targetILNS1_3genE10ELNS1_11target_archE1200ELNS1_3gpuE4ELNS1_3repE0EEENS1_30default_config_static_selectorELNS0_4arch9wavefront6targetE0EEEvT1_.uses_flat_scratch, 0
	.set _ZN7rocprim17ROCPRIM_400000_NS6detail17trampoline_kernelINS0_14default_configENS1_27scan_by_key_config_selectorIiiEEZZNS1_16scan_by_key_implILNS1_25lookback_scan_determinismE0ELb1ES3_N6thrust23THRUST_200600_302600_NS10device_ptrIiEESB_SB_iNS9_4plusIvEENS9_8equal_toIvEEiEE10hipError_tPvRmT2_T3_T4_T5_mT6_T7_P12ihipStream_tbENKUlT_T0_E_clISt17integral_constantIbLb0EESW_EEDaSR_SS_EUlSR_E_NS1_11comp_targetILNS1_3genE10ELNS1_11target_archE1200ELNS1_3gpuE4ELNS1_3repE0EEENS1_30default_config_static_selectorELNS0_4arch9wavefront6targetE0EEEvT1_.has_dyn_sized_stack, 0
	.set _ZN7rocprim17ROCPRIM_400000_NS6detail17trampoline_kernelINS0_14default_configENS1_27scan_by_key_config_selectorIiiEEZZNS1_16scan_by_key_implILNS1_25lookback_scan_determinismE0ELb1ES3_N6thrust23THRUST_200600_302600_NS10device_ptrIiEESB_SB_iNS9_4plusIvEENS9_8equal_toIvEEiEE10hipError_tPvRmT2_T3_T4_T5_mT6_T7_P12ihipStream_tbENKUlT_T0_E_clISt17integral_constantIbLb0EESW_EEDaSR_SS_EUlSR_E_NS1_11comp_targetILNS1_3genE10ELNS1_11target_archE1200ELNS1_3gpuE4ELNS1_3repE0EEENS1_30default_config_static_selectorELNS0_4arch9wavefront6targetE0EEEvT1_.has_recursion, 0
	.set _ZN7rocprim17ROCPRIM_400000_NS6detail17trampoline_kernelINS0_14default_configENS1_27scan_by_key_config_selectorIiiEEZZNS1_16scan_by_key_implILNS1_25lookback_scan_determinismE0ELb1ES3_N6thrust23THRUST_200600_302600_NS10device_ptrIiEESB_SB_iNS9_4plusIvEENS9_8equal_toIvEEiEE10hipError_tPvRmT2_T3_T4_T5_mT6_T7_P12ihipStream_tbENKUlT_T0_E_clISt17integral_constantIbLb0EESW_EEDaSR_SS_EUlSR_E_NS1_11comp_targetILNS1_3genE10ELNS1_11target_archE1200ELNS1_3gpuE4ELNS1_3repE0EEENS1_30default_config_static_selectorELNS0_4arch9wavefront6targetE0EEEvT1_.has_indirect_call, 0
	.section	.AMDGPU.csdata,"",@progbits
; Kernel info:
; codeLenInByte = 0
; TotalNumSgprs: 0
; NumVgprs: 0
; ScratchSize: 0
; MemoryBound: 0
; FloatMode: 240
; IeeeMode: 1
; LDSByteSize: 0 bytes/workgroup (compile time only)
; SGPRBlocks: 0
; VGPRBlocks: 0
; NumSGPRsForWavesPerEU: 1
; NumVGPRsForWavesPerEU: 1
; NamedBarCnt: 0
; Occupancy: 16
; WaveLimiterHint : 0
; COMPUTE_PGM_RSRC2:SCRATCH_EN: 0
; COMPUTE_PGM_RSRC2:USER_SGPR: 2
; COMPUTE_PGM_RSRC2:TRAP_HANDLER: 0
; COMPUTE_PGM_RSRC2:TGID_X_EN: 1
; COMPUTE_PGM_RSRC2:TGID_Y_EN: 0
; COMPUTE_PGM_RSRC2:TGID_Z_EN: 0
; COMPUTE_PGM_RSRC2:TIDIG_COMP_CNT: 0
	.section	.text._ZN7rocprim17ROCPRIM_400000_NS6detail17trampoline_kernelINS0_14default_configENS1_27scan_by_key_config_selectorIiiEEZZNS1_16scan_by_key_implILNS1_25lookback_scan_determinismE0ELb1ES3_N6thrust23THRUST_200600_302600_NS10device_ptrIiEESB_SB_iNS9_4plusIvEENS9_8equal_toIvEEiEE10hipError_tPvRmT2_T3_T4_T5_mT6_T7_P12ihipStream_tbENKUlT_T0_E_clISt17integral_constantIbLb0EESW_EEDaSR_SS_EUlSR_E_NS1_11comp_targetILNS1_3genE9ELNS1_11target_archE1100ELNS1_3gpuE3ELNS1_3repE0EEENS1_30default_config_static_selectorELNS0_4arch9wavefront6targetE0EEEvT1_,"axG",@progbits,_ZN7rocprim17ROCPRIM_400000_NS6detail17trampoline_kernelINS0_14default_configENS1_27scan_by_key_config_selectorIiiEEZZNS1_16scan_by_key_implILNS1_25lookback_scan_determinismE0ELb1ES3_N6thrust23THRUST_200600_302600_NS10device_ptrIiEESB_SB_iNS9_4plusIvEENS9_8equal_toIvEEiEE10hipError_tPvRmT2_T3_T4_T5_mT6_T7_P12ihipStream_tbENKUlT_T0_E_clISt17integral_constantIbLb0EESW_EEDaSR_SS_EUlSR_E_NS1_11comp_targetILNS1_3genE9ELNS1_11target_archE1100ELNS1_3gpuE3ELNS1_3repE0EEENS1_30default_config_static_selectorELNS0_4arch9wavefront6targetE0EEEvT1_,comdat
	.protected	_ZN7rocprim17ROCPRIM_400000_NS6detail17trampoline_kernelINS0_14default_configENS1_27scan_by_key_config_selectorIiiEEZZNS1_16scan_by_key_implILNS1_25lookback_scan_determinismE0ELb1ES3_N6thrust23THRUST_200600_302600_NS10device_ptrIiEESB_SB_iNS9_4plusIvEENS9_8equal_toIvEEiEE10hipError_tPvRmT2_T3_T4_T5_mT6_T7_P12ihipStream_tbENKUlT_T0_E_clISt17integral_constantIbLb0EESW_EEDaSR_SS_EUlSR_E_NS1_11comp_targetILNS1_3genE9ELNS1_11target_archE1100ELNS1_3gpuE3ELNS1_3repE0EEENS1_30default_config_static_selectorELNS0_4arch9wavefront6targetE0EEEvT1_ ; -- Begin function _ZN7rocprim17ROCPRIM_400000_NS6detail17trampoline_kernelINS0_14default_configENS1_27scan_by_key_config_selectorIiiEEZZNS1_16scan_by_key_implILNS1_25lookback_scan_determinismE0ELb1ES3_N6thrust23THRUST_200600_302600_NS10device_ptrIiEESB_SB_iNS9_4plusIvEENS9_8equal_toIvEEiEE10hipError_tPvRmT2_T3_T4_T5_mT6_T7_P12ihipStream_tbENKUlT_T0_E_clISt17integral_constantIbLb0EESW_EEDaSR_SS_EUlSR_E_NS1_11comp_targetILNS1_3genE9ELNS1_11target_archE1100ELNS1_3gpuE3ELNS1_3repE0EEENS1_30default_config_static_selectorELNS0_4arch9wavefront6targetE0EEEvT1_
	.globl	_ZN7rocprim17ROCPRIM_400000_NS6detail17trampoline_kernelINS0_14default_configENS1_27scan_by_key_config_selectorIiiEEZZNS1_16scan_by_key_implILNS1_25lookback_scan_determinismE0ELb1ES3_N6thrust23THRUST_200600_302600_NS10device_ptrIiEESB_SB_iNS9_4plusIvEENS9_8equal_toIvEEiEE10hipError_tPvRmT2_T3_T4_T5_mT6_T7_P12ihipStream_tbENKUlT_T0_E_clISt17integral_constantIbLb0EESW_EEDaSR_SS_EUlSR_E_NS1_11comp_targetILNS1_3genE9ELNS1_11target_archE1100ELNS1_3gpuE3ELNS1_3repE0EEENS1_30default_config_static_selectorELNS0_4arch9wavefront6targetE0EEEvT1_
	.p2align	8
	.type	_ZN7rocprim17ROCPRIM_400000_NS6detail17trampoline_kernelINS0_14default_configENS1_27scan_by_key_config_selectorIiiEEZZNS1_16scan_by_key_implILNS1_25lookback_scan_determinismE0ELb1ES3_N6thrust23THRUST_200600_302600_NS10device_ptrIiEESB_SB_iNS9_4plusIvEENS9_8equal_toIvEEiEE10hipError_tPvRmT2_T3_T4_T5_mT6_T7_P12ihipStream_tbENKUlT_T0_E_clISt17integral_constantIbLb0EESW_EEDaSR_SS_EUlSR_E_NS1_11comp_targetILNS1_3genE9ELNS1_11target_archE1100ELNS1_3gpuE3ELNS1_3repE0EEENS1_30default_config_static_selectorELNS0_4arch9wavefront6targetE0EEEvT1_,@function
_ZN7rocprim17ROCPRIM_400000_NS6detail17trampoline_kernelINS0_14default_configENS1_27scan_by_key_config_selectorIiiEEZZNS1_16scan_by_key_implILNS1_25lookback_scan_determinismE0ELb1ES3_N6thrust23THRUST_200600_302600_NS10device_ptrIiEESB_SB_iNS9_4plusIvEENS9_8equal_toIvEEiEE10hipError_tPvRmT2_T3_T4_T5_mT6_T7_P12ihipStream_tbENKUlT_T0_E_clISt17integral_constantIbLb0EESW_EEDaSR_SS_EUlSR_E_NS1_11comp_targetILNS1_3genE9ELNS1_11target_archE1100ELNS1_3gpuE3ELNS1_3repE0EEENS1_30default_config_static_selectorELNS0_4arch9wavefront6targetE0EEEvT1_: ; @_ZN7rocprim17ROCPRIM_400000_NS6detail17trampoline_kernelINS0_14default_configENS1_27scan_by_key_config_selectorIiiEEZZNS1_16scan_by_key_implILNS1_25lookback_scan_determinismE0ELb1ES3_N6thrust23THRUST_200600_302600_NS10device_ptrIiEESB_SB_iNS9_4plusIvEENS9_8equal_toIvEEiEE10hipError_tPvRmT2_T3_T4_T5_mT6_T7_P12ihipStream_tbENKUlT_T0_E_clISt17integral_constantIbLb0EESW_EEDaSR_SS_EUlSR_E_NS1_11comp_targetILNS1_3genE9ELNS1_11target_archE1100ELNS1_3gpuE3ELNS1_3repE0EEENS1_30default_config_static_selectorELNS0_4arch9wavefront6targetE0EEEvT1_
; %bb.0:
	.section	.rodata,"a",@progbits
	.p2align	6, 0x0
	.amdhsa_kernel _ZN7rocprim17ROCPRIM_400000_NS6detail17trampoline_kernelINS0_14default_configENS1_27scan_by_key_config_selectorIiiEEZZNS1_16scan_by_key_implILNS1_25lookback_scan_determinismE0ELb1ES3_N6thrust23THRUST_200600_302600_NS10device_ptrIiEESB_SB_iNS9_4plusIvEENS9_8equal_toIvEEiEE10hipError_tPvRmT2_T3_T4_T5_mT6_T7_P12ihipStream_tbENKUlT_T0_E_clISt17integral_constantIbLb0EESW_EEDaSR_SS_EUlSR_E_NS1_11comp_targetILNS1_3genE9ELNS1_11target_archE1100ELNS1_3gpuE3ELNS1_3repE0EEENS1_30default_config_static_selectorELNS0_4arch9wavefront6targetE0EEEvT1_
		.amdhsa_group_segment_fixed_size 0
		.amdhsa_private_segment_fixed_size 0
		.amdhsa_kernarg_size 112
		.amdhsa_user_sgpr_count 2
		.amdhsa_user_sgpr_dispatch_ptr 0
		.amdhsa_user_sgpr_queue_ptr 0
		.amdhsa_user_sgpr_kernarg_segment_ptr 1
		.amdhsa_user_sgpr_dispatch_id 0
		.amdhsa_user_sgpr_kernarg_preload_length 0
		.amdhsa_user_sgpr_kernarg_preload_offset 0
		.amdhsa_user_sgpr_private_segment_size 0
		.amdhsa_wavefront_size32 1
		.amdhsa_uses_dynamic_stack 0
		.amdhsa_enable_private_segment 0
		.amdhsa_system_sgpr_workgroup_id_x 1
		.amdhsa_system_sgpr_workgroup_id_y 0
		.amdhsa_system_sgpr_workgroup_id_z 0
		.amdhsa_system_sgpr_workgroup_info 0
		.amdhsa_system_vgpr_workitem_id 0
		.amdhsa_next_free_vgpr 1
		.amdhsa_next_free_sgpr 1
		.amdhsa_named_barrier_count 0
		.amdhsa_reserve_vcc 0
		.amdhsa_float_round_mode_32 0
		.amdhsa_float_round_mode_16_64 0
		.amdhsa_float_denorm_mode_32 3
		.amdhsa_float_denorm_mode_16_64 3
		.amdhsa_fp16_overflow 0
		.amdhsa_memory_ordered 1
		.amdhsa_forward_progress 1
		.amdhsa_inst_pref_size 0
		.amdhsa_round_robin_scheduling 0
		.amdhsa_exception_fp_ieee_invalid_op 0
		.amdhsa_exception_fp_denorm_src 0
		.amdhsa_exception_fp_ieee_div_zero 0
		.amdhsa_exception_fp_ieee_overflow 0
		.amdhsa_exception_fp_ieee_underflow 0
		.amdhsa_exception_fp_ieee_inexact 0
		.amdhsa_exception_int_div_zero 0
	.end_amdhsa_kernel
	.section	.text._ZN7rocprim17ROCPRIM_400000_NS6detail17trampoline_kernelINS0_14default_configENS1_27scan_by_key_config_selectorIiiEEZZNS1_16scan_by_key_implILNS1_25lookback_scan_determinismE0ELb1ES3_N6thrust23THRUST_200600_302600_NS10device_ptrIiEESB_SB_iNS9_4plusIvEENS9_8equal_toIvEEiEE10hipError_tPvRmT2_T3_T4_T5_mT6_T7_P12ihipStream_tbENKUlT_T0_E_clISt17integral_constantIbLb0EESW_EEDaSR_SS_EUlSR_E_NS1_11comp_targetILNS1_3genE9ELNS1_11target_archE1100ELNS1_3gpuE3ELNS1_3repE0EEENS1_30default_config_static_selectorELNS0_4arch9wavefront6targetE0EEEvT1_,"axG",@progbits,_ZN7rocprim17ROCPRIM_400000_NS6detail17trampoline_kernelINS0_14default_configENS1_27scan_by_key_config_selectorIiiEEZZNS1_16scan_by_key_implILNS1_25lookback_scan_determinismE0ELb1ES3_N6thrust23THRUST_200600_302600_NS10device_ptrIiEESB_SB_iNS9_4plusIvEENS9_8equal_toIvEEiEE10hipError_tPvRmT2_T3_T4_T5_mT6_T7_P12ihipStream_tbENKUlT_T0_E_clISt17integral_constantIbLb0EESW_EEDaSR_SS_EUlSR_E_NS1_11comp_targetILNS1_3genE9ELNS1_11target_archE1100ELNS1_3gpuE3ELNS1_3repE0EEENS1_30default_config_static_selectorELNS0_4arch9wavefront6targetE0EEEvT1_,comdat
.Lfunc_end2240:
	.size	_ZN7rocprim17ROCPRIM_400000_NS6detail17trampoline_kernelINS0_14default_configENS1_27scan_by_key_config_selectorIiiEEZZNS1_16scan_by_key_implILNS1_25lookback_scan_determinismE0ELb1ES3_N6thrust23THRUST_200600_302600_NS10device_ptrIiEESB_SB_iNS9_4plusIvEENS9_8equal_toIvEEiEE10hipError_tPvRmT2_T3_T4_T5_mT6_T7_P12ihipStream_tbENKUlT_T0_E_clISt17integral_constantIbLb0EESW_EEDaSR_SS_EUlSR_E_NS1_11comp_targetILNS1_3genE9ELNS1_11target_archE1100ELNS1_3gpuE3ELNS1_3repE0EEENS1_30default_config_static_selectorELNS0_4arch9wavefront6targetE0EEEvT1_, .Lfunc_end2240-_ZN7rocprim17ROCPRIM_400000_NS6detail17trampoline_kernelINS0_14default_configENS1_27scan_by_key_config_selectorIiiEEZZNS1_16scan_by_key_implILNS1_25lookback_scan_determinismE0ELb1ES3_N6thrust23THRUST_200600_302600_NS10device_ptrIiEESB_SB_iNS9_4plusIvEENS9_8equal_toIvEEiEE10hipError_tPvRmT2_T3_T4_T5_mT6_T7_P12ihipStream_tbENKUlT_T0_E_clISt17integral_constantIbLb0EESW_EEDaSR_SS_EUlSR_E_NS1_11comp_targetILNS1_3genE9ELNS1_11target_archE1100ELNS1_3gpuE3ELNS1_3repE0EEENS1_30default_config_static_selectorELNS0_4arch9wavefront6targetE0EEEvT1_
                                        ; -- End function
	.set _ZN7rocprim17ROCPRIM_400000_NS6detail17trampoline_kernelINS0_14default_configENS1_27scan_by_key_config_selectorIiiEEZZNS1_16scan_by_key_implILNS1_25lookback_scan_determinismE0ELb1ES3_N6thrust23THRUST_200600_302600_NS10device_ptrIiEESB_SB_iNS9_4plusIvEENS9_8equal_toIvEEiEE10hipError_tPvRmT2_T3_T4_T5_mT6_T7_P12ihipStream_tbENKUlT_T0_E_clISt17integral_constantIbLb0EESW_EEDaSR_SS_EUlSR_E_NS1_11comp_targetILNS1_3genE9ELNS1_11target_archE1100ELNS1_3gpuE3ELNS1_3repE0EEENS1_30default_config_static_selectorELNS0_4arch9wavefront6targetE0EEEvT1_.num_vgpr, 0
	.set _ZN7rocprim17ROCPRIM_400000_NS6detail17trampoline_kernelINS0_14default_configENS1_27scan_by_key_config_selectorIiiEEZZNS1_16scan_by_key_implILNS1_25lookback_scan_determinismE0ELb1ES3_N6thrust23THRUST_200600_302600_NS10device_ptrIiEESB_SB_iNS9_4plusIvEENS9_8equal_toIvEEiEE10hipError_tPvRmT2_T3_T4_T5_mT6_T7_P12ihipStream_tbENKUlT_T0_E_clISt17integral_constantIbLb0EESW_EEDaSR_SS_EUlSR_E_NS1_11comp_targetILNS1_3genE9ELNS1_11target_archE1100ELNS1_3gpuE3ELNS1_3repE0EEENS1_30default_config_static_selectorELNS0_4arch9wavefront6targetE0EEEvT1_.num_agpr, 0
	.set _ZN7rocprim17ROCPRIM_400000_NS6detail17trampoline_kernelINS0_14default_configENS1_27scan_by_key_config_selectorIiiEEZZNS1_16scan_by_key_implILNS1_25lookback_scan_determinismE0ELb1ES3_N6thrust23THRUST_200600_302600_NS10device_ptrIiEESB_SB_iNS9_4plusIvEENS9_8equal_toIvEEiEE10hipError_tPvRmT2_T3_T4_T5_mT6_T7_P12ihipStream_tbENKUlT_T0_E_clISt17integral_constantIbLb0EESW_EEDaSR_SS_EUlSR_E_NS1_11comp_targetILNS1_3genE9ELNS1_11target_archE1100ELNS1_3gpuE3ELNS1_3repE0EEENS1_30default_config_static_selectorELNS0_4arch9wavefront6targetE0EEEvT1_.numbered_sgpr, 0
	.set _ZN7rocprim17ROCPRIM_400000_NS6detail17trampoline_kernelINS0_14default_configENS1_27scan_by_key_config_selectorIiiEEZZNS1_16scan_by_key_implILNS1_25lookback_scan_determinismE0ELb1ES3_N6thrust23THRUST_200600_302600_NS10device_ptrIiEESB_SB_iNS9_4plusIvEENS9_8equal_toIvEEiEE10hipError_tPvRmT2_T3_T4_T5_mT6_T7_P12ihipStream_tbENKUlT_T0_E_clISt17integral_constantIbLb0EESW_EEDaSR_SS_EUlSR_E_NS1_11comp_targetILNS1_3genE9ELNS1_11target_archE1100ELNS1_3gpuE3ELNS1_3repE0EEENS1_30default_config_static_selectorELNS0_4arch9wavefront6targetE0EEEvT1_.num_named_barrier, 0
	.set _ZN7rocprim17ROCPRIM_400000_NS6detail17trampoline_kernelINS0_14default_configENS1_27scan_by_key_config_selectorIiiEEZZNS1_16scan_by_key_implILNS1_25lookback_scan_determinismE0ELb1ES3_N6thrust23THRUST_200600_302600_NS10device_ptrIiEESB_SB_iNS9_4plusIvEENS9_8equal_toIvEEiEE10hipError_tPvRmT2_T3_T4_T5_mT6_T7_P12ihipStream_tbENKUlT_T0_E_clISt17integral_constantIbLb0EESW_EEDaSR_SS_EUlSR_E_NS1_11comp_targetILNS1_3genE9ELNS1_11target_archE1100ELNS1_3gpuE3ELNS1_3repE0EEENS1_30default_config_static_selectorELNS0_4arch9wavefront6targetE0EEEvT1_.private_seg_size, 0
	.set _ZN7rocprim17ROCPRIM_400000_NS6detail17trampoline_kernelINS0_14default_configENS1_27scan_by_key_config_selectorIiiEEZZNS1_16scan_by_key_implILNS1_25lookback_scan_determinismE0ELb1ES3_N6thrust23THRUST_200600_302600_NS10device_ptrIiEESB_SB_iNS9_4plusIvEENS9_8equal_toIvEEiEE10hipError_tPvRmT2_T3_T4_T5_mT6_T7_P12ihipStream_tbENKUlT_T0_E_clISt17integral_constantIbLb0EESW_EEDaSR_SS_EUlSR_E_NS1_11comp_targetILNS1_3genE9ELNS1_11target_archE1100ELNS1_3gpuE3ELNS1_3repE0EEENS1_30default_config_static_selectorELNS0_4arch9wavefront6targetE0EEEvT1_.uses_vcc, 0
	.set _ZN7rocprim17ROCPRIM_400000_NS6detail17trampoline_kernelINS0_14default_configENS1_27scan_by_key_config_selectorIiiEEZZNS1_16scan_by_key_implILNS1_25lookback_scan_determinismE0ELb1ES3_N6thrust23THRUST_200600_302600_NS10device_ptrIiEESB_SB_iNS9_4plusIvEENS9_8equal_toIvEEiEE10hipError_tPvRmT2_T3_T4_T5_mT6_T7_P12ihipStream_tbENKUlT_T0_E_clISt17integral_constantIbLb0EESW_EEDaSR_SS_EUlSR_E_NS1_11comp_targetILNS1_3genE9ELNS1_11target_archE1100ELNS1_3gpuE3ELNS1_3repE0EEENS1_30default_config_static_selectorELNS0_4arch9wavefront6targetE0EEEvT1_.uses_flat_scratch, 0
	.set _ZN7rocprim17ROCPRIM_400000_NS6detail17trampoline_kernelINS0_14default_configENS1_27scan_by_key_config_selectorIiiEEZZNS1_16scan_by_key_implILNS1_25lookback_scan_determinismE0ELb1ES3_N6thrust23THRUST_200600_302600_NS10device_ptrIiEESB_SB_iNS9_4plusIvEENS9_8equal_toIvEEiEE10hipError_tPvRmT2_T3_T4_T5_mT6_T7_P12ihipStream_tbENKUlT_T0_E_clISt17integral_constantIbLb0EESW_EEDaSR_SS_EUlSR_E_NS1_11comp_targetILNS1_3genE9ELNS1_11target_archE1100ELNS1_3gpuE3ELNS1_3repE0EEENS1_30default_config_static_selectorELNS0_4arch9wavefront6targetE0EEEvT1_.has_dyn_sized_stack, 0
	.set _ZN7rocprim17ROCPRIM_400000_NS6detail17trampoline_kernelINS0_14default_configENS1_27scan_by_key_config_selectorIiiEEZZNS1_16scan_by_key_implILNS1_25lookback_scan_determinismE0ELb1ES3_N6thrust23THRUST_200600_302600_NS10device_ptrIiEESB_SB_iNS9_4plusIvEENS9_8equal_toIvEEiEE10hipError_tPvRmT2_T3_T4_T5_mT6_T7_P12ihipStream_tbENKUlT_T0_E_clISt17integral_constantIbLb0EESW_EEDaSR_SS_EUlSR_E_NS1_11comp_targetILNS1_3genE9ELNS1_11target_archE1100ELNS1_3gpuE3ELNS1_3repE0EEENS1_30default_config_static_selectorELNS0_4arch9wavefront6targetE0EEEvT1_.has_recursion, 0
	.set _ZN7rocprim17ROCPRIM_400000_NS6detail17trampoline_kernelINS0_14default_configENS1_27scan_by_key_config_selectorIiiEEZZNS1_16scan_by_key_implILNS1_25lookback_scan_determinismE0ELb1ES3_N6thrust23THRUST_200600_302600_NS10device_ptrIiEESB_SB_iNS9_4plusIvEENS9_8equal_toIvEEiEE10hipError_tPvRmT2_T3_T4_T5_mT6_T7_P12ihipStream_tbENKUlT_T0_E_clISt17integral_constantIbLb0EESW_EEDaSR_SS_EUlSR_E_NS1_11comp_targetILNS1_3genE9ELNS1_11target_archE1100ELNS1_3gpuE3ELNS1_3repE0EEENS1_30default_config_static_selectorELNS0_4arch9wavefront6targetE0EEEvT1_.has_indirect_call, 0
	.section	.AMDGPU.csdata,"",@progbits
; Kernel info:
; codeLenInByte = 0
; TotalNumSgprs: 0
; NumVgprs: 0
; ScratchSize: 0
; MemoryBound: 0
; FloatMode: 240
; IeeeMode: 1
; LDSByteSize: 0 bytes/workgroup (compile time only)
; SGPRBlocks: 0
; VGPRBlocks: 0
; NumSGPRsForWavesPerEU: 1
; NumVGPRsForWavesPerEU: 1
; NamedBarCnt: 0
; Occupancy: 16
; WaveLimiterHint : 0
; COMPUTE_PGM_RSRC2:SCRATCH_EN: 0
; COMPUTE_PGM_RSRC2:USER_SGPR: 2
; COMPUTE_PGM_RSRC2:TRAP_HANDLER: 0
; COMPUTE_PGM_RSRC2:TGID_X_EN: 1
; COMPUTE_PGM_RSRC2:TGID_Y_EN: 0
; COMPUTE_PGM_RSRC2:TGID_Z_EN: 0
; COMPUTE_PGM_RSRC2:TIDIG_COMP_CNT: 0
	.section	.text._ZN7rocprim17ROCPRIM_400000_NS6detail17trampoline_kernelINS0_14default_configENS1_27scan_by_key_config_selectorIiiEEZZNS1_16scan_by_key_implILNS1_25lookback_scan_determinismE0ELb1ES3_N6thrust23THRUST_200600_302600_NS10device_ptrIiEESB_SB_iNS9_4plusIvEENS9_8equal_toIvEEiEE10hipError_tPvRmT2_T3_T4_T5_mT6_T7_P12ihipStream_tbENKUlT_T0_E_clISt17integral_constantIbLb0EESW_EEDaSR_SS_EUlSR_E_NS1_11comp_targetILNS1_3genE8ELNS1_11target_archE1030ELNS1_3gpuE2ELNS1_3repE0EEENS1_30default_config_static_selectorELNS0_4arch9wavefront6targetE0EEEvT1_,"axG",@progbits,_ZN7rocprim17ROCPRIM_400000_NS6detail17trampoline_kernelINS0_14default_configENS1_27scan_by_key_config_selectorIiiEEZZNS1_16scan_by_key_implILNS1_25lookback_scan_determinismE0ELb1ES3_N6thrust23THRUST_200600_302600_NS10device_ptrIiEESB_SB_iNS9_4plusIvEENS9_8equal_toIvEEiEE10hipError_tPvRmT2_T3_T4_T5_mT6_T7_P12ihipStream_tbENKUlT_T0_E_clISt17integral_constantIbLb0EESW_EEDaSR_SS_EUlSR_E_NS1_11comp_targetILNS1_3genE8ELNS1_11target_archE1030ELNS1_3gpuE2ELNS1_3repE0EEENS1_30default_config_static_selectorELNS0_4arch9wavefront6targetE0EEEvT1_,comdat
	.protected	_ZN7rocprim17ROCPRIM_400000_NS6detail17trampoline_kernelINS0_14default_configENS1_27scan_by_key_config_selectorIiiEEZZNS1_16scan_by_key_implILNS1_25lookback_scan_determinismE0ELb1ES3_N6thrust23THRUST_200600_302600_NS10device_ptrIiEESB_SB_iNS9_4plusIvEENS9_8equal_toIvEEiEE10hipError_tPvRmT2_T3_T4_T5_mT6_T7_P12ihipStream_tbENKUlT_T0_E_clISt17integral_constantIbLb0EESW_EEDaSR_SS_EUlSR_E_NS1_11comp_targetILNS1_3genE8ELNS1_11target_archE1030ELNS1_3gpuE2ELNS1_3repE0EEENS1_30default_config_static_selectorELNS0_4arch9wavefront6targetE0EEEvT1_ ; -- Begin function _ZN7rocprim17ROCPRIM_400000_NS6detail17trampoline_kernelINS0_14default_configENS1_27scan_by_key_config_selectorIiiEEZZNS1_16scan_by_key_implILNS1_25lookback_scan_determinismE0ELb1ES3_N6thrust23THRUST_200600_302600_NS10device_ptrIiEESB_SB_iNS9_4plusIvEENS9_8equal_toIvEEiEE10hipError_tPvRmT2_T3_T4_T5_mT6_T7_P12ihipStream_tbENKUlT_T0_E_clISt17integral_constantIbLb0EESW_EEDaSR_SS_EUlSR_E_NS1_11comp_targetILNS1_3genE8ELNS1_11target_archE1030ELNS1_3gpuE2ELNS1_3repE0EEENS1_30default_config_static_selectorELNS0_4arch9wavefront6targetE0EEEvT1_
	.globl	_ZN7rocprim17ROCPRIM_400000_NS6detail17trampoline_kernelINS0_14default_configENS1_27scan_by_key_config_selectorIiiEEZZNS1_16scan_by_key_implILNS1_25lookback_scan_determinismE0ELb1ES3_N6thrust23THRUST_200600_302600_NS10device_ptrIiEESB_SB_iNS9_4plusIvEENS9_8equal_toIvEEiEE10hipError_tPvRmT2_T3_T4_T5_mT6_T7_P12ihipStream_tbENKUlT_T0_E_clISt17integral_constantIbLb0EESW_EEDaSR_SS_EUlSR_E_NS1_11comp_targetILNS1_3genE8ELNS1_11target_archE1030ELNS1_3gpuE2ELNS1_3repE0EEENS1_30default_config_static_selectorELNS0_4arch9wavefront6targetE0EEEvT1_
	.p2align	8
	.type	_ZN7rocprim17ROCPRIM_400000_NS6detail17trampoline_kernelINS0_14default_configENS1_27scan_by_key_config_selectorIiiEEZZNS1_16scan_by_key_implILNS1_25lookback_scan_determinismE0ELb1ES3_N6thrust23THRUST_200600_302600_NS10device_ptrIiEESB_SB_iNS9_4plusIvEENS9_8equal_toIvEEiEE10hipError_tPvRmT2_T3_T4_T5_mT6_T7_P12ihipStream_tbENKUlT_T0_E_clISt17integral_constantIbLb0EESW_EEDaSR_SS_EUlSR_E_NS1_11comp_targetILNS1_3genE8ELNS1_11target_archE1030ELNS1_3gpuE2ELNS1_3repE0EEENS1_30default_config_static_selectorELNS0_4arch9wavefront6targetE0EEEvT1_,@function
_ZN7rocprim17ROCPRIM_400000_NS6detail17trampoline_kernelINS0_14default_configENS1_27scan_by_key_config_selectorIiiEEZZNS1_16scan_by_key_implILNS1_25lookback_scan_determinismE0ELb1ES3_N6thrust23THRUST_200600_302600_NS10device_ptrIiEESB_SB_iNS9_4plusIvEENS9_8equal_toIvEEiEE10hipError_tPvRmT2_T3_T4_T5_mT6_T7_P12ihipStream_tbENKUlT_T0_E_clISt17integral_constantIbLb0EESW_EEDaSR_SS_EUlSR_E_NS1_11comp_targetILNS1_3genE8ELNS1_11target_archE1030ELNS1_3gpuE2ELNS1_3repE0EEENS1_30default_config_static_selectorELNS0_4arch9wavefront6targetE0EEEvT1_: ; @_ZN7rocprim17ROCPRIM_400000_NS6detail17trampoline_kernelINS0_14default_configENS1_27scan_by_key_config_selectorIiiEEZZNS1_16scan_by_key_implILNS1_25lookback_scan_determinismE0ELb1ES3_N6thrust23THRUST_200600_302600_NS10device_ptrIiEESB_SB_iNS9_4plusIvEENS9_8equal_toIvEEiEE10hipError_tPvRmT2_T3_T4_T5_mT6_T7_P12ihipStream_tbENKUlT_T0_E_clISt17integral_constantIbLb0EESW_EEDaSR_SS_EUlSR_E_NS1_11comp_targetILNS1_3genE8ELNS1_11target_archE1030ELNS1_3gpuE2ELNS1_3repE0EEENS1_30default_config_static_selectorELNS0_4arch9wavefront6targetE0EEEvT1_
; %bb.0:
	.section	.rodata,"a",@progbits
	.p2align	6, 0x0
	.amdhsa_kernel _ZN7rocprim17ROCPRIM_400000_NS6detail17trampoline_kernelINS0_14default_configENS1_27scan_by_key_config_selectorIiiEEZZNS1_16scan_by_key_implILNS1_25lookback_scan_determinismE0ELb1ES3_N6thrust23THRUST_200600_302600_NS10device_ptrIiEESB_SB_iNS9_4plusIvEENS9_8equal_toIvEEiEE10hipError_tPvRmT2_T3_T4_T5_mT6_T7_P12ihipStream_tbENKUlT_T0_E_clISt17integral_constantIbLb0EESW_EEDaSR_SS_EUlSR_E_NS1_11comp_targetILNS1_3genE8ELNS1_11target_archE1030ELNS1_3gpuE2ELNS1_3repE0EEENS1_30default_config_static_selectorELNS0_4arch9wavefront6targetE0EEEvT1_
		.amdhsa_group_segment_fixed_size 0
		.amdhsa_private_segment_fixed_size 0
		.amdhsa_kernarg_size 112
		.amdhsa_user_sgpr_count 2
		.amdhsa_user_sgpr_dispatch_ptr 0
		.amdhsa_user_sgpr_queue_ptr 0
		.amdhsa_user_sgpr_kernarg_segment_ptr 1
		.amdhsa_user_sgpr_dispatch_id 0
		.amdhsa_user_sgpr_kernarg_preload_length 0
		.amdhsa_user_sgpr_kernarg_preload_offset 0
		.amdhsa_user_sgpr_private_segment_size 0
		.amdhsa_wavefront_size32 1
		.amdhsa_uses_dynamic_stack 0
		.amdhsa_enable_private_segment 0
		.amdhsa_system_sgpr_workgroup_id_x 1
		.amdhsa_system_sgpr_workgroup_id_y 0
		.amdhsa_system_sgpr_workgroup_id_z 0
		.amdhsa_system_sgpr_workgroup_info 0
		.amdhsa_system_vgpr_workitem_id 0
		.amdhsa_next_free_vgpr 1
		.amdhsa_next_free_sgpr 1
		.amdhsa_named_barrier_count 0
		.amdhsa_reserve_vcc 0
		.amdhsa_float_round_mode_32 0
		.amdhsa_float_round_mode_16_64 0
		.amdhsa_float_denorm_mode_32 3
		.amdhsa_float_denorm_mode_16_64 3
		.amdhsa_fp16_overflow 0
		.amdhsa_memory_ordered 1
		.amdhsa_forward_progress 1
		.amdhsa_inst_pref_size 0
		.amdhsa_round_robin_scheduling 0
		.amdhsa_exception_fp_ieee_invalid_op 0
		.amdhsa_exception_fp_denorm_src 0
		.amdhsa_exception_fp_ieee_div_zero 0
		.amdhsa_exception_fp_ieee_overflow 0
		.amdhsa_exception_fp_ieee_underflow 0
		.amdhsa_exception_fp_ieee_inexact 0
		.amdhsa_exception_int_div_zero 0
	.end_amdhsa_kernel
	.section	.text._ZN7rocprim17ROCPRIM_400000_NS6detail17trampoline_kernelINS0_14default_configENS1_27scan_by_key_config_selectorIiiEEZZNS1_16scan_by_key_implILNS1_25lookback_scan_determinismE0ELb1ES3_N6thrust23THRUST_200600_302600_NS10device_ptrIiEESB_SB_iNS9_4plusIvEENS9_8equal_toIvEEiEE10hipError_tPvRmT2_T3_T4_T5_mT6_T7_P12ihipStream_tbENKUlT_T0_E_clISt17integral_constantIbLb0EESW_EEDaSR_SS_EUlSR_E_NS1_11comp_targetILNS1_3genE8ELNS1_11target_archE1030ELNS1_3gpuE2ELNS1_3repE0EEENS1_30default_config_static_selectorELNS0_4arch9wavefront6targetE0EEEvT1_,"axG",@progbits,_ZN7rocprim17ROCPRIM_400000_NS6detail17trampoline_kernelINS0_14default_configENS1_27scan_by_key_config_selectorIiiEEZZNS1_16scan_by_key_implILNS1_25lookback_scan_determinismE0ELb1ES3_N6thrust23THRUST_200600_302600_NS10device_ptrIiEESB_SB_iNS9_4plusIvEENS9_8equal_toIvEEiEE10hipError_tPvRmT2_T3_T4_T5_mT6_T7_P12ihipStream_tbENKUlT_T0_E_clISt17integral_constantIbLb0EESW_EEDaSR_SS_EUlSR_E_NS1_11comp_targetILNS1_3genE8ELNS1_11target_archE1030ELNS1_3gpuE2ELNS1_3repE0EEENS1_30default_config_static_selectorELNS0_4arch9wavefront6targetE0EEEvT1_,comdat
.Lfunc_end2241:
	.size	_ZN7rocprim17ROCPRIM_400000_NS6detail17trampoline_kernelINS0_14default_configENS1_27scan_by_key_config_selectorIiiEEZZNS1_16scan_by_key_implILNS1_25lookback_scan_determinismE0ELb1ES3_N6thrust23THRUST_200600_302600_NS10device_ptrIiEESB_SB_iNS9_4plusIvEENS9_8equal_toIvEEiEE10hipError_tPvRmT2_T3_T4_T5_mT6_T7_P12ihipStream_tbENKUlT_T0_E_clISt17integral_constantIbLb0EESW_EEDaSR_SS_EUlSR_E_NS1_11comp_targetILNS1_3genE8ELNS1_11target_archE1030ELNS1_3gpuE2ELNS1_3repE0EEENS1_30default_config_static_selectorELNS0_4arch9wavefront6targetE0EEEvT1_, .Lfunc_end2241-_ZN7rocprim17ROCPRIM_400000_NS6detail17trampoline_kernelINS0_14default_configENS1_27scan_by_key_config_selectorIiiEEZZNS1_16scan_by_key_implILNS1_25lookback_scan_determinismE0ELb1ES3_N6thrust23THRUST_200600_302600_NS10device_ptrIiEESB_SB_iNS9_4plusIvEENS9_8equal_toIvEEiEE10hipError_tPvRmT2_T3_T4_T5_mT6_T7_P12ihipStream_tbENKUlT_T0_E_clISt17integral_constantIbLb0EESW_EEDaSR_SS_EUlSR_E_NS1_11comp_targetILNS1_3genE8ELNS1_11target_archE1030ELNS1_3gpuE2ELNS1_3repE0EEENS1_30default_config_static_selectorELNS0_4arch9wavefront6targetE0EEEvT1_
                                        ; -- End function
	.set _ZN7rocprim17ROCPRIM_400000_NS6detail17trampoline_kernelINS0_14default_configENS1_27scan_by_key_config_selectorIiiEEZZNS1_16scan_by_key_implILNS1_25lookback_scan_determinismE0ELb1ES3_N6thrust23THRUST_200600_302600_NS10device_ptrIiEESB_SB_iNS9_4plusIvEENS9_8equal_toIvEEiEE10hipError_tPvRmT2_T3_T4_T5_mT6_T7_P12ihipStream_tbENKUlT_T0_E_clISt17integral_constantIbLb0EESW_EEDaSR_SS_EUlSR_E_NS1_11comp_targetILNS1_3genE8ELNS1_11target_archE1030ELNS1_3gpuE2ELNS1_3repE0EEENS1_30default_config_static_selectorELNS0_4arch9wavefront6targetE0EEEvT1_.num_vgpr, 0
	.set _ZN7rocprim17ROCPRIM_400000_NS6detail17trampoline_kernelINS0_14default_configENS1_27scan_by_key_config_selectorIiiEEZZNS1_16scan_by_key_implILNS1_25lookback_scan_determinismE0ELb1ES3_N6thrust23THRUST_200600_302600_NS10device_ptrIiEESB_SB_iNS9_4plusIvEENS9_8equal_toIvEEiEE10hipError_tPvRmT2_T3_T4_T5_mT6_T7_P12ihipStream_tbENKUlT_T0_E_clISt17integral_constantIbLb0EESW_EEDaSR_SS_EUlSR_E_NS1_11comp_targetILNS1_3genE8ELNS1_11target_archE1030ELNS1_3gpuE2ELNS1_3repE0EEENS1_30default_config_static_selectorELNS0_4arch9wavefront6targetE0EEEvT1_.num_agpr, 0
	.set _ZN7rocprim17ROCPRIM_400000_NS6detail17trampoline_kernelINS0_14default_configENS1_27scan_by_key_config_selectorIiiEEZZNS1_16scan_by_key_implILNS1_25lookback_scan_determinismE0ELb1ES3_N6thrust23THRUST_200600_302600_NS10device_ptrIiEESB_SB_iNS9_4plusIvEENS9_8equal_toIvEEiEE10hipError_tPvRmT2_T3_T4_T5_mT6_T7_P12ihipStream_tbENKUlT_T0_E_clISt17integral_constantIbLb0EESW_EEDaSR_SS_EUlSR_E_NS1_11comp_targetILNS1_3genE8ELNS1_11target_archE1030ELNS1_3gpuE2ELNS1_3repE0EEENS1_30default_config_static_selectorELNS0_4arch9wavefront6targetE0EEEvT1_.numbered_sgpr, 0
	.set _ZN7rocprim17ROCPRIM_400000_NS6detail17trampoline_kernelINS0_14default_configENS1_27scan_by_key_config_selectorIiiEEZZNS1_16scan_by_key_implILNS1_25lookback_scan_determinismE0ELb1ES3_N6thrust23THRUST_200600_302600_NS10device_ptrIiEESB_SB_iNS9_4plusIvEENS9_8equal_toIvEEiEE10hipError_tPvRmT2_T3_T4_T5_mT6_T7_P12ihipStream_tbENKUlT_T0_E_clISt17integral_constantIbLb0EESW_EEDaSR_SS_EUlSR_E_NS1_11comp_targetILNS1_3genE8ELNS1_11target_archE1030ELNS1_3gpuE2ELNS1_3repE0EEENS1_30default_config_static_selectorELNS0_4arch9wavefront6targetE0EEEvT1_.num_named_barrier, 0
	.set _ZN7rocprim17ROCPRIM_400000_NS6detail17trampoline_kernelINS0_14default_configENS1_27scan_by_key_config_selectorIiiEEZZNS1_16scan_by_key_implILNS1_25lookback_scan_determinismE0ELb1ES3_N6thrust23THRUST_200600_302600_NS10device_ptrIiEESB_SB_iNS9_4plusIvEENS9_8equal_toIvEEiEE10hipError_tPvRmT2_T3_T4_T5_mT6_T7_P12ihipStream_tbENKUlT_T0_E_clISt17integral_constantIbLb0EESW_EEDaSR_SS_EUlSR_E_NS1_11comp_targetILNS1_3genE8ELNS1_11target_archE1030ELNS1_3gpuE2ELNS1_3repE0EEENS1_30default_config_static_selectorELNS0_4arch9wavefront6targetE0EEEvT1_.private_seg_size, 0
	.set _ZN7rocprim17ROCPRIM_400000_NS6detail17trampoline_kernelINS0_14default_configENS1_27scan_by_key_config_selectorIiiEEZZNS1_16scan_by_key_implILNS1_25lookback_scan_determinismE0ELb1ES3_N6thrust23THRUST_200600_302600_NS10device_ptrIiEESB_SB_iNS9_4plusIvEENS9_8equal_toIvEEiEE10hipError_tPvRmT2_T3_T4_T5_mT6_T7_P12ihipStream_tbENKUlT_T0_E_clISt17integral_constantIbLb0EESW_EEDaSR_SS_EUlSR_E_NS1_11comp_targetILNS1_3genE8ELNS1_11target_archE1030ELNS1_3gpuE2ELNS1_3repE0EEENS1_30default_config_static_selectorELNS0_4arch9wavefront6targetE0EEEvT1_.uses_vcc, 0
	.set _ZN7rocprim17ROCPRIM_400000_NS6detail17trampoline_kernelINS0_14default_configENS1_27scan_by_key_config_selectorIiiEEZZNS1_16scan_by_key_implILNS1_25lookback_scan_determinismE0ELb1ES3_N6thrust23THRUST_200600_302600_NS10device_ptrIiEESB_SB_iNS9_4plusIvEENS9_8equal_toIvEEiEE10hipError_tPvRmT2_T3_T4_T5_mT6_T7_P12ihipStream_tbENKUlT_T0_E_clISt17integral_constantIbLb0EESW_EEDaSR_SS_EUlSR_E_NS1_11comp_targetILNS1_3genE8ELNS1_11target_archE1030ELNS1_3gpuE2ELNS1_3repE0EEENS1_30default_config_static_selectorELNS0_4arch9wavefront6targetE0EEEvT1_.uses_flat_scratch, 0
	.set _ZN7rocprim17ROCPRIM_400000_NS6detail17trampoline_kernelINS0_14default_configENS1_27scan_by_key_config_selectorIiiEEZZNS1_16scan_by_key_implILNS1_25lookback_scan_determinismE0ELb1ES3_N6thrust23THRUST_200600_302600_NS10device_ptrIiEESB_SB_iNS9_4plusIvEENS9_8equal_toIvEEiEE10hipError_tPvRmT2_T3_T4_T5_mT6_T7_P12ihipStream_tbENKUlT_T0_E_clISt17integral_constantIbLb0EESW_EEDaSR_SS_EUlSR_E_NS1_11comp_targetILNS1_3genE8ELNS1_11target_archE1030ELNS1_3gpuE2ELNS1_3repE0EEENS1_30default_config_static_selectorELNS0_4arch9wavefront6targetE0EEEvT1_.has_dyn_sized_stack, 0
	.set _ZN7rocprim17ROCPRIM_400000_NS6detail17trampoline_kernelINS0_14default_configENS1_27scan_by_key_config_selectorIiiEEZZNS1_16scan_by_key_implILNS1_25lookback_scan_determinismE0ELb1ES3_N6thrust23THRUST_200600_302600_NS10device_ptrIiEESB_SB_iNS9_4plusIvEENS9_8equal_toIvEEiEE10hipError_tPvRmT2_T3_T4_T5_mT6_T7_P12ihipStream_tbENKUlT_T0_E_clISt17integral_constantIbLb0EESW_EEDaSR_SS_EUlSR_E_NS1_11comp_targetILNS1_3genE8ELNS1_11target_archE1030ELNS1_3gpuE2ELNS1_3repE0EEENS1_30default_config_static_selectorELNS0_4arch9wavefront6targetE0EEEvT1_.has_recursion, 0
	.set _ZN7rocprim17ROCPRIM_400000_NS6detail17trampoline_kernelINS0_14default_configENS1_27scan_by_key_config_selectorIiiEEZZNS1_16scan_by_key_implILNS1_25lookback_scan_determinismE0ELb1ES3_N6thrust23THRUST_200600_302600_NS10device_ptrIiEESB_SB_iNS9_4plusIvEENS9_8equal_toIvEEiEE10hipError_tPvRmT2_T3_T4_T5_mT6_T7_P12ihipStream_tbENKUlT_T0_E_clISt17integral_constantIbLb0EESW_EEDaSR_SS_EUlSR_E_NS1_11comp_targetILNS1_3genE8ELNS1_11target_archE1030ELNS1_3gpuE2ELNS1_3repE0EEENS1_30default_config_static_selectorELNS0_4arch9wavefront6targetE0EEEvT1_.has_indirect_call, 0
	.section	.AMDGPU.csdata,"",@progbits
; Kernel info:
; codeLenInByte = 0
; TotalNumSgprs: 0
; NumVgprs: 0
; ScratchSize: 0
; MemoryBound: 0
; FloatMode: 240
; IeeeMode: 1
; LDSByteSize: 0 bytes/workgroup (compile time only)
; SGPRBlocks: 0
; VGPRBlocks: 0
; NumSGPRsForWavesPerEU: 1
; NumVGPRsForWavesPerEU: 1
; NamedBarCnt: 0
; Occupancy: 16
; WaveLimiterHint : 0
; COMPUTE_PGM_RSRC2:SCRATCH_EN: 0
; COMPUTE_PGM_RSRC2:USER_SGPR: 2
; COMPUTE_PGM_RSRC2:TRAP_HANDLER: 0
; COMPUTE_PGM_RSRC2:TGID_X_EN: 1
; COMPUTE_PGM_RSRC2:TGID_Y_EN: 0
; COMPUTE_PGM_RSRC2:TGID_Z_EN: 0
; COMPUTE_PGM_RSRC2:TIDIG_COMP_CNT: 0
	.section	.text._ZN7rocprim17ROCPRIM_400000_NS6detail17trampoline_kernelINS0_14default_configENS1_27scan_by_key_config_selectorIiiEEZZNS1_16scan_by_key_implILNS1_25lookback_scan_determinismE0ELb1ES3_N6thrust23THRUST_200600_302600_NS10device_ptrIiEESB_SB_iNS9_4plusIvEENS9_8equal_toIvEEiEE10hipError_tPvRmT2_T3_T4_T5_mT6_T7_P12ihipStream_tbENKUlT_T0_E_clISt17integral_constantIbLb1EESW_EEDaSR_SS_EUlSR_E_NS1_11comp_targetILNS1_3genE0ELNS1_11target_archE4294967295ELNS1_3gpuE0ELNS1_3repE0EEENS1_30default_config_static_selectorELNS0_4arch9wavefront6targetE0EEEvT1_,"axG",@progbits,_ZN7rocprim17ROCPRIM_400000_NS6detail17trampoline_kernelINS0_14default_configENS1_27scan_by_key_config_selectorIiiEEZZNS1_16scan_by_key_implILNS1_25lookback_scan_determinismE0ELb1ES3_N6thrust23THRUST_200600_302600_NS10device_ptrIiEESB_SB_iNS9_4plusIvEENS9_8equal_toIvEEiEE10hipError_tPvRmT2_T3_T4_T5_mT6_T7_P12ihipStream_tbENKUlT_T0_E_clISt17integral_constantIbLb1EESW_EEDaSR_SS_EUlSR_E_NS1_11comp_targetILNS1_3genE0ELNS1_11target_archE4294967295ELNS1_3gpuE0ELNS1_3repE0EEENS1_30default_config_static_selectorELNS0_4arch9wavefront6targetE0EEEvT1_,comdat
	.protected	_ZN7rocprim17ROCPRIM_400000_NS6detail17trampoline_kernelINS0_14default_configENS1_27scan_by_key_config_selectorIiiEEZZNS1_16scan_by_key_implILNS1_25lookback_scan_determinismE0ELb1ES3_N6thrust23THRUST_200600_302600_NS10device_ptrIiEESB_SB_iNS9_4plusIvEENS9_8equal_toIvEEiEE10hipError_tPvRmT2_T3_T4_T5_mT6_T7_P12ihipStream_tbENKUlT_T0_E_clISt17integral_constantIbLb1EESW_EEDaSR_SS_EUlSR_E_NS1_11comp_targetILNS1_3genE0ELNS1_11target_archE4294967295ELNS1_3gpuE0ELNS1_3repE0EEENS1_30default_config_static_selectorELNS0_4arch9wavefront6targetE0EEEvT1_ ; -- Begin function _ZN7rocprim17ROCPRIM_400000_NS6detail17trampoline_kernelINS0_14default_configENS1_27scan_by_key_config_selectorIiiEEZZNS1_16scan_by_key_implILNS1_25lookback_scan_determinismE0ELb1ES3_N6thrust23THRUST_200600_302600_NS10device_ptrIiEESB_SB_iNS9_4plusIvEENS9_8equal_toIvEEiEE10hipError_tPvRmT2_T3_T4_T5_mT6_T7_P12ihipStream_tbENKUlT_T0_E_clISt17integral_constantIbLb1EESW_EEDaSR_SS_EUlSR_E_NS1_11comp_targetILNS1_3genE0ELNS1_11target_archE4294967295ELNS1_3gpuE0ELNS1_3repE0EEENS1_30default_config_static_selectorELNS0_4arch9wavefront6targetE0EEEvT1_
	.globl	_ZN7rocprim17ROCPRIM_400000_NS6detail17trampoline_kernelINS0_14default_configENS1_27scan_by_key_config_selectorIiiEEZZNS1_16scan_by_key_implILNS1_25lookback_scan_determinismE0ELb1ES3_N6thrust23THRUST_200600_302600_NS10device_ptrIiEESB_SB_iNS9_4plusIvEENS9_8equal_toIvEEiEE10hipError_tPvRmT2_T3_T4_T5_mT6_T7_P12ihipStream_tbENKUlT_T0_E_clISt17integral_constantIbLb1EESW_EEDaSR_SS_EUlSR_E_NS1_11comp_targetILNS1_3genE0ELNS1_11target_archE4294967295ELNS1_3gpuE0ELNS1_3repE0EEENS1_30default_config_static_selectorELNS0_4arch9wavefront6targetE0EEEvT1_
	.p2align	8
	.type	_ZN7rocprim17ROCPRIM_400000_NS6detail17trampoline_kernelINS0_14default_configENS1_27scan_by_key_config_selectorIiiEEZZNS1_16scan_by_key_implILNS1_25lookback_scan_determinismE0ELb1ES3_N6thrust23THRUST_200600_302600_NS10device_ptrIiEESB_SB_iNS9_4plusIvEENS9_8equal_toIvEEiEE10hipError_tPvRmT2_T3_T4_T5_mT6_T7_P12ihipStream_tbENKUlT_T0_E_clISt17integral_constantIbLb1EESW_EEDaSR_SS_EUlSR_E_NS1_11comp_targetILNS1_3genE0ELNS1_11target_archE4294967295ELNS1_3gpuE0ELNS1_3repE0EEENS1_30default_config_static_selectorELNS0_4arch9wavefront6targetE0EEEvT1_,@function
_ZN7rocprim17ROCPRIM_400000_NS6detail17trampoline_kernelINS0_14default_configENS1_27scan_by_key_config_selectorIiiEEZZNS1_16scan_by_key_implILNS1_25lookback_scan_determinismE0ELb1ES3_N6thrust23THRUST_200600_302600_NS10device_ptrIiEESB_SB_iNS9_4plusIvEENS9_8equal_toIvEEiEE10hipError_tPvRmT2_T3_T4_T5_mT6_T7_P12ihipStream_tbENKUlT_T0_E_clISt17integral_constantIbLb1EESW_EEDaSR_SS_EUlSR_E_NS1_11comp_targetILNS1_3genE0ELNS1_11target_archE4294967295ELNS1_3gpuE0ELNS1_3repE0EEENS1_30default_config_static_selectorELNS0_4arch9wavefront6targetE0EEEvT1_: ; @_ZN7rocprim17ROCPRIM_400000_NS6detail17trampoline_kernelINS0_14default_configENS1_27scan_by_key_config_selectorIiiEEZZNS1_16scan_by_key_implILNS1_25lookback_scan_determinismE0ELb1ES3_N6thrust23THRUST_200600_302600_NS10device_ptrIiEESB_SB_iNS9_4plusIvEENS9_8equal_toIvEEiEE10hipError_tPvRmT2_T3_T4_T5_mT6_T7_P12ihipStream_tbENKUlT_T0_E_clISt17integral_constantIbLb1EESW_EEDaSR_SS_EUlSR_E_NS1_11comp_targetILNS1_3genE0ELNS1_11target_archE4294967295ELNS1_3gpuE0ELNS1_3repE0EEENS1_30default_config_static_selectorELNS0_4arch9wavefront6targetE0EEEvT1_
; %bb.0:
	s_endpgm
	.section	.rodata,"a",@progbits
	.p2align	6, 0x0
	.amdhsa_kernel _ZN7rocprim17ROCPRIM_400000_NS6detail17trampoline_kernelINS0_14default_configENS1_27scan_by_key_config_selectorIiiEEZZNS1_16scan_by_key_implILNS1_25lookback_scan_determinismE0ELb1ES3_N6thrust23THRUST_200600_302600_NS10device_ptrIiEESB_SB_iNS9_4plusIvEENS9_8equal_toIvEEiEE10hipError_tPvRmT2_T3_T4_T5_mT6_T7_P12ihipStream_tbENKUlT_T0_E_clISt17integral_constantIbLb1EESW_EEDaSR_SS_EUlSR_E_NS1_11comp_targetILNS1_3genE0ELNS1_11target_archE4294967295ELNS1_3gpuE0ELNS1_3repE0EEENS1_30default_config_static_selectorELNS0_4arch9wavefront6targetE0EEEvT1_
		.amdhsa_group_segment_fixed_size 0
		.amdhsa_private_segment_fixed_size 0
		.amdhsa_kernarg_size 112
		.amdhsa_user_sgpr_count 2
		.amdhsa_user_sgpr_dispatch_ptr 0
		.amdhsa_user_sgpr_queue_ptr 0
		.amdhsa_user_sgpr_kernarg_segment_ptr 1
		.amdhsa_user_sgpr_dispatch_id 0
		.amdhsa_user_sgpr_kernarg_preload_length 0
		.amdhsa_user_sgpr_kernarg_preload_offset 0
		.amdhsa_user_sgpr_private_segment_size 0
		.amdhsa_wavefront_size32 1
		.amdhsa_uses_dynamic_stack 0
		.amdhsa_enable_private_segment 0
		.amdhsa_system_sgpr_workgroup_id_x 1
		.amdhsa_system_sgpr_workgroup_id_y 0
		.amdhsa_system_sgpr_workgroup_id_z 0
		.amdhsa_system_sgpr_workgroup_info 0
		.amdhsa_system_vgpr_workitem_id 0
		.amdhsa_next_free_vgpr 1
		.amdhsa_next_free_sgpr 1
		.amdhsa_named_barrier_count 0
		.amdhsa_reserve_vcc 0
		.amdhsa_float_round_mode_32 0
		.amdhsa_float_round_mode_16_64 0
		.amdhsa_float_denorm_mode_32 3
		.amdhsa_float_denorm_mode_16_64 3
		.amdhsa_fp16_overflow 0
		.amdhsa_memory_ordered 1
		.amdhsa_forward_progress 1
		.amdhsa_inst_pref_size 1
		.amdhsa_round_robin_scheduling 0
		.amdhsa_exception_fp_ieee_invalid_op 0
		.amdhsa_exception_fp_denorm_src 0
		.amdhsa_exception_fp_ieee_div_zero 0
		.amdhsa_exception_fp_ieee_overflow 0
		.amdhsa_exception_fp_ieee_underflow 0
		.amdhsa_exception_fp_ieee_inexact 0
		.amdhsa_exception_int_div_zero 0
	.end_amdhsa_kernel
	.section	.text._ZN7rocprim17ROCPRIM_400000_NS6detail17trampoline_kernelINS0_14default_configENS1_27scan_by_key_config_selectorIiiEEZZNS1_16scan_by_key_implILNS1_25lookback_scan_determinismE0ELb1ES3_N6thrust23THRUST_200600_302600_NS10device_ptrIiEESB_SB_iNS9_4plusIvEENS9_8equal_toIvEEiEE10hipError_tPvRmT2_T3_T4_T5_mT6_T7_P12ihipStream_tbENKUlT_T0_E_clISt17integral_constantIbLb1EESW_EEDaSR_SS_EUlSR_E_NS1_11comp_targetILNS1_3genE0ELNS1_11target_archE4294967295ELNS1_3gpuE0ELNS1_3repE0EEENS1_30default_config_static_selectorELNS0_4arch9wavefront6targetE0EEEvT1_,"axG",@progbits,_ZN7rocprim17ROCPRIM_400000_NS6detail17trampoline_kernelINS0_14default_configENS1_27scan_by_key_config_selectorIiiEEZZNS1_16scan_by_key_implILNS1_25lookback_scan_determinismE0ELb1ES3_N6thrust23THRUST_200600_302600_NS10device_ptrIiEESB_SB_iNS9_4plusIvEENS9_8equal_toIvEEiEE10hipError_tPvRmT2_T3_T4_T5_mT6_T7_P12ihipStream_tbENKUlT_T0_E_clISt17integral_constantIbLb1EESW_EEDaSR_SS_EUlSR_E_NS1_11comp_targetILNS1_3genE0ELNS1_11target_archE4294967295ELNS1_3gpuE0ELNS1_3repE0EEENS1_30default_config_static_selectorELNS0_4arch9wavefront6targetE0EEEvT1_,comdat
.Lfunc_end2242:
	.size	_ZN7rocprim17ROCPRIM_400000_NS6detail17trampoline_kernelINS0_14default_configENS1_27scan_by_key_config_selectorIiiEEZZNS1_16scan_by_key_implILNS1_25lookback_scan_determinismE0ELb1ES3_N6thrust23THRUST_200600_302600_NS10device_ptrIiEESB_SB_iNS9_4plusIvEENS9_8equal_toIvEEiEE10hipError_tPvRmT2_T3_T4_T5_mT6_T7_P12ihipStream_tbENKUlT_T0_E_clISt17integral_constantIbLb1EESW_EEDaSR_SS_EUlSR_E_NS1_11comp_targetILNS1_3genE0ELNS1_11target_archE4294967295ELNS1_3gpuE0ELNS1_3repE0EEENS1_30default_config_static_selectorELNS0_4arch9wavefront6targetE0EEEvT1_, .Lfunc_end2242-_ZN7rocprim17ROCPRIM_400000_NS6detail17trampoline_kernelINS0_14default_configENS1_27scan_by_key_config_selectorIiiEEZZNS1_16scan_by_key_implILNS1_25lookback_scan_determinismE0ELb1ES3_N6thrust23THRUST_200600_302600_NS10device_ptrIiEESB_SB_iNS9_4plusIvEENS9_8equal_toIvEEiEE10hipError_tPvRmT2_T3_T4_T5_mT6_T7_P12ihipStream_tbENKUlT_T0_E_clISt17integral_constantIbLb1EESW_EEDaSR_SS_EUlSR_E_NS1_11comp_targetILNS1_3genE0ELNS1_11target_archE4294967295ELNS1_3gpuE0ELNS1_3repE0EEENS1_30default_config_static_selectorELNS0_4arch9wavefront6targetE0EEEvT1_
                                        ; -- End function
	.set _ZN7rocprim17ROCPRIM_400000_NS6detail17trampoline_kernelINS0_14default_configENS1_27scan_by_key_config_selectorIiiEEZZNS1_16scan_by_key_implILNS1_25lookback_scan_determinismE0ELb1ES3_N6thrust23THRUST_200600_302600_NS10device_ptrIiEESB_SB_iNS9_4plusIvEENS9_8equal_toIvEEiEE10hipError_tPvRmT2_T3_T4_T5_mT6_T7_P12ihipStream_tbENKUlT_T0_E_clISt17integral_constantIbLb1EESW_EEDaSR_SS_EUlSR_E_NS1_11comp_targetILNS1_3genE0ELNS1_11target_archE4294967295ELNS1_3gpuE0ELNS1_3repE0EEENS1_30default_config_static_selectorELNS0_4arch9wavefront6targetE0EEEvT1_.num_vgpr, 0
	.set _ZN7rocprim17ROCPRIM_400000_NS6detail17trampoline_kernelINS0_14default_configENS1_27scan_by_key_config_selectorIiiEEZZNS1_16scan_by_key_implILNS1_25lookback_scan_determinismE0ELb1ES3_N6thrust23THRUST_200600_302600_NS10device_ptrIiEESB_SB_iNS9_4plusIvEENS9_8equal_toIvEEiEE10hipError_tPvRmT2_T3_T4_T5_mT6_T7_P12ihipStream_tbENKUlT_T0_E_clISt17integral_constantIbLb1EESW_EEDaSR_SS_EUlSR_E_NS1_11comp_targetILNS1_3genE0ELNS1_11target_archE4294967295ELNS1_3gpuE0ELNS1_3repE0EEENS1_30default_config_static_selectorELNS0_4arch9wavefront6targetE0EEEvT1_.num_agpr, 0
	.set _ZN7rocprim17ROCPRIM_400000_NS6detail17trampoline_kernelINS0_14default_configENS1_27scan_by_key_config_selectorIiiEEZZNS1_16scan_by_key_implILNS1_25lookback_scan_determinismE0ELb1ES3_N6thrust23THRUST_200600_302600_NS10device_ptrIiEESB_SB_iNS9_4plusIvEENS9_8equal_toIvEEiEE10hipError_tPvRmT2_T3_T4_T5_mT6_T7_P12ihipStream_tbENKUlT_T0_E_clISt17integral_constantIbLb1EESW_EEDaSR_SS_EUlSR_E_NS1_11comp_targetILNS1_3genE0ELNS1_11target_archE4294967295ELNS1_3gpuE0ELNS1_3repE0EEENS1_30default_config_static_selectorELNS0_4arch9wavefront6targetE0EEEvT1_.numbered_sgpr, 0
	.set _ZN7rocprim17ROCPRIM_400000_NS6detail17trampoline_kernelINS0_14default_configENS1_27scan_by_key_config_selectorIiiEEZZNS1_16scan_by_key_implILNS1_25lookback_scan_determinismE0ELb1ES3_N6thrust23THRUST_200600_302600_NS10device_ptrIiEESB_SB_iNS9_4plusIvEENS9_8equal_toIvEEiEE10hipError_tPvRmT2_T3_T4_T5_mT6_T7_P12ihipStream_tbENKUlT_T0_E_clISt17integral_constantIbLb1EESW_EEDaSR_SS_EUlSR_E_NS1_11comp_targetILNS1_3genE0ELNS1_11target_archE4294967295ELNS1_3gpuE0ELNS1_3repE0EEENS1_30default_config_static_selectorELNS0_4arch9wavefront6targetE0EEEvT1_.num_named_barrier, 0
	.set _ZN7rocprim17ROCPRIM_400000_NS6detail17trampoline_kernelINS0_14default_configENS1_27scan_by_key_config_selectorIiiEEZZNS1_16scan_by_key_implILNS1_25lookback_scan_determinismE0ELb1ES3_N6thrust23THRUST_200600_302600_NS10device_ptrIiEESB_SB_iNS9_4plusIvEENS9_8equal_toIvEEiEE10hipError_tPvRmT2_T3_T4_T5_mT6_T7_P12ihipStream_tbENKUlT_T0_E_clISt17integral_constantIbLb1EESW_EEDaSR_SS_EUlSR_E_NS1_11comp_targetILNS1_3genE0ELNS1_11target_archE4294967295ELNS1_3gpuE0ELNS1_3repE0EEENS1_30default_config_static_selectorELNS0_4arch9wavefront6targetE0EEEvT1_.private_seg_size, 0
	.set _ZN7rocprim17ROCPRIM_400000_NS6detail17trampoline_kernelINS0_14default_configENS1_27scan_by_key_config_selectorIiiEEZZNS1_16scan_by_key_implILNS1_25lookback_scan_determinismE0ELb1ES3_N6thrust23THRUST_200600_302600_NS10device_ptrIiEESB_SB_iNS9_4plusIvEENS9_8equal_toIvEEiEE10hipError_tPvRmT2_T3_T4_T5_mT6_T7_P12ihipStream_tbENKUlT_T0_E_clISt17integral_constantIbLb1EESW_EEDaSR_SS_EUlSR_E_NS1_11comp_targetILNS1_3genE0ELNS1_11target_archE4294967295ELNS1_3gpuE0ELNS1_3repE0EEENS1_30default_config_static_selectorELNS0_4arch9wavefront6targetE0EEEvT1_.uses_vcc, 0
	.set _ZN7rocprim17ROCPRIM_400000_NS6detail17trampoline_kernelINS0_14default_configENS1_27scan_by_key_config_selectorIiiEEZZNS1_16scan_by_key_implILNS1_25lookback_scan_determinismE0ELb1ES3_N6thrust23THRUST_200600_302600_NS10device_ptrIiEESB_SB_iNS9_4plusIvEENS9_8equal_toIvEEiEE10hipError_tPvRmT2_T3_T4_T5_mT6_T7_P12ihipStream_tbENKUlT_T0_E_clISt17integral_constantIbLb1EESW_EEDaSR_SS_EUlSR_E_NS1_11comp_targetILNS1_3genE0ELNS1_11target_archE4294967295ELNS1_3gpuE0ELNS1_3repE0EEENS1_30default_config_static_selectorELNS0_4arch9wavefront6targetE0EEEvT1_.uses_flat_scratch, 0
	.set _ZN7rocprim17ROCPRIM_400000_NS6detail17trampoline_kernelINS0_14default_configENS1_27scan_by_key_config_selectorIiiEEZZNS1_16scan_by_key_implILNS1_25lookback_scan_determinismE0ELb1ES3_N6thrust23THRUST_200600_302600_NS10device_ptrIiEESB_SB_iNS9_4plusIvEENS9_8equal_toIvEEiEE10hipError_tPvRmT2_T3_T4_T5_mT6_T7_P12ihipStream_tbENKUlT_T0_E_clISt17integral_constantIbLb1EESW_EEDaSR_SS_EUlSR_E_NS1_11comp_targetILNS1_3genE0ELNS1_11target_archE4294967295ELNS1_3gpuE0ELNS1_3repE0EEENS1_30default_config_static_selectorELNS0_4arch9wavefront6targetE0EEEvT1_.has_dyn_sized_stack, 0
	.set _ZN7rocprim17ROCPRIM_400000_NS6detail17trampoline_kernelINS0_14default_configENS1_27scan_by_key_config_selectorIiiEEZZNS1_16scan_by_key_implILNS1_25lookback_scan_determinismE0ELb1ES3_N6thrust23THRUST_200600_302600_NS10device_ptrIiEESB_SB_iNS9_4plusIvEENS9_8equal_toIvEEiEE10hipError_tPvRmT2_T3_T4_T5_mT6_T7_P12ihipStream_tbENKUlT_T0_E_clISt17integral_constantIbLb1EESW_EEDaSR_SS_EUlSR_E_NS1_11comp_targetILNS1_3genE0ELNS1_11target_archE4294967295ELNS1_3gpuE0ELNS1_3repE0EEENS1_30default_config_static_selectorELNS0_4arch9wavefront6targetE0EEEvT1_.has_recursion, 0
	.set _ZN7rocprim17ROCPRIM_400000_NS6detail17trampoline_kernelINS0_14default_configENS1_27scan_by_key_config_selectorIiiEEZZNS1_16scan_by_key_implILNS1_25lookback_scan_determinismE0ELb1ES3_N6thrust23THRUST_200600_302600_NS10device_ptrIiEESB_SB_iNS9_4plusIvEENS9_8equal_toIvEEiEE10hipError_tPvRmT2_T3_T4_T5_mT6_T7_P12ihipStream_tbENKUlT_T0_E_clISt17integral_constantIbLb1EESW_EEDaSR_SS_EUlSR_E_NS1_11comp_targetILNS1_3genE0ELNS1_11target_archE4294967295ELNS1_3gpuE0ELNS1_3repE0EEENS1_30default_config_static_selectorELNS0_4arch9wavefront6targetE0EEEvT1_.has_indirect_call, 0
	.section	.AMDGPU.csdata,"",@progbits
; Kernel info:
; codeLenInByte = 4
; TotalNumSgprs: 0
; NumVgprs: 0
; ScratchSize: 0
; MemoryBound: 0
; FloatMode: 240
; IeeeMode: 1
; LDSByteSize: 0 bytes/workgroup (compile time only)
; SGPRBlocks: 0
; VGPRBlocks: 0
; NumSGPRsForWavesPerEU: 1
; NumVGPRsForWavesPerEU: 1
; NamedBarCnt: 0
; Occupancy: 16
; WaveLimiterHint : 0
; COMPUTE_PGM_RSRC2:SCRATCH_EN: 0
; COMPUTE_PGM_RSRC2:USER_SGPR: 2
; COMPUTE_PGM_RSRC2:TRAP_HANDLER: 0
; COMPUTE_PGM_RSRC2:TGID_X_EN: 1
; COMPUTE_PGM_RSRC2:TGID_Y_EN: 0
; COMPUTE_PGM_RSRC2:TGID_Z_EN: 0
; COMPUTE_PGM_RSRC2:TIDIG_COMP_CNT: 0
	.section	.text._ZN7rocprim17ROCPRIM_400000_NS6detail17trampoline_kernelINS0_14default_configENS1_27scan_by_key_config_selectorIiiEEZZNS1_16scan_by_key_implILNS1_25lookback_scan_determinismE0ELb1ES3_N6thrust23THRUST_200600_302600_NS10device_ptrIiEESB_SB_iNS9_4plusIvEENS9_8equal_toIvEEiEE10hipError_tPvRmT2_T3_T4_T5_mT6_T7_P12ihipStream_tbENKUlT_T0_E_clISt17integral_constantIbLb1EESW_EEDaSR_SS_EUlSR_E_NS1_11comp_targetILNS1_3genE10ELNS1_11target_archE1201ELNS1_3gpuE5ELNS1_3repE0EEENS1_30default_config_static_selectorELNS0_4arch9wavefront6targetE0EEEvT1_,"axG",@progbits,_ZN7rocprim17ROCPRIM_400000_NS6detail17trampoline_kernelINS0_14default_configENS1_27scan_by_key_config_selectorIiiEEZZNS1_16scan_by_key_implILNS1_25lookback_scan_determinismE0ELb1ES3_N6thrust23THRUST_200600_302600_NS10device_ptrIiEESB_SB_iNS9_4plusIvEENS9_8equal_toIvEEiEE10hipError_tPvRmT2_T3_T4_T5_mT6_T7_P12ihipStream_tbENKUlT_T0_E_clISt17integral_constantIbLb1EESW_EEDaSR_SS_EUlSR_E_NS1_11comp_targetILNS1_3genE10ELNS1_11target_archE1201ELNS1_3gpuE5ELNS1_3repE0EEENS1_30default_config_static_selectorELNS0_4arch9wavefront6targetE0EEEvT1_,comdat
	.protected	_ZN7rocprim17ROCPRIM_400000_NS6detail17trampoline_kernelINS0_14default_configENS1_27scan_by_key_config_selectorIiiEEZZNS1_16scan_by_key_implILNS1_25lookback_scan_determinismE0ELb1ES3_N6thrust23THRUST_200600_302600_NS10device_ptrIiEESB_SB_iNS9_4plusIvEENS9_8equal_toIvEEiEE10hipError_tPvRmT2_T3_T4_T5_mT6_T7_P12ihipStream_tbENKUlT_T0_E_clISt17integral_constantIbLb1EESW_EEDaSR_SS_EUlSR_E_NS1_11comp_targetILNS1_3genE10ELNS1_11target_archE1201ELNS1_3gpuE5ELNS1_3repE0EEENS1_30default_config_static_selectorELNS0_4arch9wavefront6targetE0EEEvT1_ ; -- Begin function _ZN7rocprim17ROCPRIM_400000_NS6detail17trampoline_kernelINS0_14default_configENS1_27scan_by_key_config_selectorIiiEEZZNS1_16scan_by_key_implILNS1_25lookback_scan_determinismE0ELb1ES3_N6thrust23THRUST_200600_302600_NS10device_ptrIiEESB_SB_iNS9_4plusIvEENS9_8equal_toIvEEiEE10hipError_tPvRmT2_T3_T4_T5_mT6_T7_P12ihipStream_tbENKUlT_T0_E_clISt17integral_constantIbLb1EESW_EEDaSR_SS_EUlSR_E_NS1_11comp_targetILNS1_3genE10ELNS1_11target_archE1201ELNS1_3gpuE5ELNS1_3repE0EEENS1_30default_config_static_selectorELNS0_4arch9wavefront6targetE0EEEvT1_
	.globl	_ZN7rocprim17ROCPRIM_400000_NS6detail17trampoline_kernelINS0_14default_configENS1_27scan_by_key_config_selectorIiiEEZZNS1_16scan_by_key_implILNS1_25lookback_scan_determinismE0ELb1ES3_N6thrust23THRUST_200600_302600_NS10device_ptrIiEESB_SB_iNS9_4plusIvEENS9_8equal_toIvEEiEE10hipError_tPvRmT2_T3_T4_T5_mT6_T7_P12ihipStream_tbENKUlT_T0_E_clISt17integral_constantIbLb1EESW_EEDaSR_SS_EUlSR_E_NS1_11comp_targetILNS1_3genE10ELNS1_11target_archE1201ELNS1_3gpuE5ELNS1_3repE0EEENS1_30default_config_static_selectorELNS0_4arch9wavefront6targetE0EEEvT1_
	.p2align	8
	.type	_ZN7rocprim17ROCPRIM_400000_NS6detail17trampoline_kernelINS0_14default_configENS1_27scan_by_key_config_selectorIiiEEZZNS1_16scan_by_key_implILNS1_25lookback_scan_determinismE0ELb1ES3_N6thrust23THRUST_200600_302600_NS10device_ptrIiEESB_SB_iNS9_4plusIvEENS9_8equal_toIvEEiEE10hipError_tPvRmT2_T3_T4_T5_mT6_T7_P12ihipStream_tbENKUlT_T0_E_clISt17integral_constantIbLb1EESW_EEDaSR_SS_EUlSR_E_NS1_11comp_targetILNS1_3genE10ELNS1_11target_archE1201ELNS1_3gpuE5ELNS1_3repE0EEENS1_30default_config_static_selectorELNS0_4arch9wavefront6targetE0EEEvT1_,@function
_ZN7rocprim17ROCPRIM_400000_NS6detail17trampoline_kernelINS0_14default_configENS1_27scan_by_key_config_selectorIiiEEZZNS1_16scan_by_key_implILNS1_25lookback_scan_determinismE0ELb1ES3_N6thrust23THRUST_200600_302600_NS10device_ptrIiEESB_SB_iNS9_4plusIvEENS9_8equal_toIvEEiEE10hipError_tPvRmT2_T3_T4_T5_mT6_T7_P12ihipStream_tbENKUlT_T0_E_clISt17integral_constantIbLb1EESW_EEDaSR_SS_EUlSR_E_NS1_11comp_targetILNS1_3genE10ELNS1_11target_archE1201ELNS1_3gpuE5ELNS1_3repE0EEENS1_30default_config_static_selectorELNS0_4arch9wavefront6targetE0EEEvT1_: ; @_ZN7rocprim17ROCPRIM_400000_NS6detail17trampoline_kernelINS0_14default_configENS1_27scan_by_key_config_selectorIiiEEZZNS1_16scan_by_key_implILNS1_25lookback_scan_determinismE0ELb1ES3_N6thrust23THRUST_200600_302600_NS10device_ptrIiEESB_SB_iNS9_4plusIvEENS9_8equal_toIvEEiEE10hipError_tPvRmT2_T3_T4_T5_mT6_T7_P12ihipStream_tbENKUlT_T0_E_clISt17integral_constantIbLb1EESW_EEDaSR_SS_EUlSR_E_NS1_11comp_targetILNS1_3genE10ELNS1_11target_archE1201ELNS1_3gpuE5ELNS1_3repE0EEENS1_30default_config_static_selectorELNS0_4arch9wavefront6targetE0EEEvT1_
; %bb.0:
	.section	.rodata,"a",@progbits
	.p2align	6, 0x0
	.amdhsa_kernel _ZN7rocprim17ROCPRIM_400000_NS6detail17trampoline_kernelINS0_14default_configENS1_27scan_by_key_config_selectorIiiEEZZNS1_16scan_by_key_implILNS1_25lookback_scan_determinismE0ELb1ES3_N6thrust23THRUST_200600_302600_NS10device_ptrIiEESB_SB_iNS9_4plusIvEENS9_8equal_toIvEEiEE10hipError_tPvRmT2_T3_T4_T5_mT6_T7_P12ihipStream_tbENKUlT_T0_E_clISt17integral_constantIbLb1EESW_EEDaSR_SS_EUlSR_E_NS1_11comp_targetILNS1_3genE10ELNS1_11target_archE1201ELNS1_3gpuE5ELNS1_3repE0EEENS1_30default_config_static_selectorELNS0_4arch9wavefront6targetE0EEEvT1_
		.amdhsa_group_segment_fixed_size 0
		.amdhsa_private_segment_fixed_size 0
		.amdhsa_kernarg_size 112
		.amdhsa_user_sgpr_count 2
		.amdhsa_user_sgpr_dispatch_ptr 0
		.amdhsa_user_sgpr_queue_ptr 0
		.amdhsa_user_sgpr_kernarg_segment_ptr 1
		.amdhsa_user_sgpr_dispatch_id 0
		.amdhsa_user_sgpr_kernarg_preload_length 0
		.amdhsa_user_sgpr_kernarg_preload_offset 0
		.amdhsa_user_sgpr_private_segment_size 0
		.amdhsa_wavefront_size32 1
		.amdhsa_uses_dynamic_stack 0
		.amdhsa_enable_private_segment 0
		.amdhsa_system_sgpr_workgroup_id_x 1
		.amdhsa_system_sgpr_workgroup_id_y 0
		.amdhsa_system_sgpr_workgroup_id_z 0
		.amdhsa_system_sgpr_workgroup_info 0
		.amdhsa_system_vgpr_workitem_id 0
		.amdhsa_next_free_vgpr 1
		.amdhsa_next_free_sgpr 1
		.amdhsa_named_barrier_count 0
		.amdhsa_reserve_vcc 0
		.amdhsa_float_round_mode_32 0
		.amdhsa_float_round_mode_16_64 0
		.amdhsa_float_denorm_mode_32 3
		.amdhsa_float_denorm_mode_16_64 3
		.amdhsa_fp16_overflow 0
		.amdhsa_memory_ordered 1
		.amdhsa_forward_progress 1
		.amdhsa_inst_pref_size 0
		.amdhsa_round_robin_scheduling 0
		.amdhsa_exception_fp_ieee_invalid_op 0
		.amdhsa_exception_fp_denorm_src 0
		.amdhsa_exception_fp_ieee_div_zero 0
		.amdhsa_exception_fp_ieee_overflow 0
		.amdhsa_exception_fp_ieee_underflow 0
		.amdhsa_exception_fp_ieee_inexact 0
		.amdhsa_exception_int_div_zero 0
	.end_amdhsa_kernel
	.section	.text._ZN7rocprim17ROCPRIM_400000_NS6detail17trampoline_kernelINS0_14default_configENS1_27scan_by_key_config_selectorIiiEEZZNS1_16scan_by_key_implILNS1_25lookback_scan_determinismE0ELb1ES3_N6thrust23THRUST_200600_302600_NS10device_ptrIiEESB_SB_iNS9_4plusIvEENS9_8equal_toIvEEiEE10hipError_tPvRmT2_T3_T4_T5_mT6_T7_P12ihipStream_tbENKUlT_T0_E_clISt17integral_constantIbLb1EESW_EEDaSR_SS_EUlSR_E_NS1_11comp_targetILNS1_3genE10ELNS1_11target_archE1201ELNS1_3gpuE5ELNS1_3repE0EEENS1_30default_config_static_selectorELNS0_4arch9wavefront6targetE0EEEvT1_,"axG",@progbits,_ZN7rocprim17ROCPRIM_400000_NS6detail17trampoline_kernelINS0_14default_configENS1_27scan_by_key_config_selectorIiiEEZZNS1_16scan_by_key_implILNS1_25lookback_scan_determinismE0ELb1ES3_N6thrust23THRUST_200600_302600_NS10device_ptrIiEESB_SB_iNS9_4plusIvEENS9_8equal_toIvEEiEE10hipError_tPvRmT2_T3_T4_T5_mT6_T7_P12ihipStream_tbENKUlT_T0_E_clISt17integral_constantIbLb1EESW_EEDaSR_SS_EUlSR_E_NS1_11comp_targetILNS1_3genE10ELNS1_11target_archE1201ELNS1_3gpuE5ELNS1_3repE0EEENS1_30default_config_static_selectorELNS0_4arch9wavefront6targetE0EEEvT1_,comdat
.Lfunc_end2243:
	.size	_ZN7rocprim17ROCPRIM_400000_NS6detail17trampoline_kernelINS0_14default_configENS1_27scan_by_key_config_selectorIiiEEZZNS1_16scan_by_key_implILNS1_25lookback_scan_determinismE0ELb1ES3_N6thrust23THRUST_200600_302600_NS10device_ptrIiEESB_SB_iNS9_4plusIvEENS9_8equal_toIvEEiEE10hipError_tPvRmT2_T3_T4_T5_mT6_T7_P12ihipStream_tbENKUlT_T0_E_clISt17integral_constantIbLb1EESW_EEDaSR_SS_EUlSR_E_NS1_11comp_targetILNS1_3genE10ELNS1_11target_archE1201ELNS1_3gpuE5ELNS1_3repE0EEENS1_30default_config_static_selectorELNS0_4arch9wavefront6targetE0EEEvT1_, .Lfunc_end2243-_ZN7rocprim17ROCPRIM_400000_NS6detail17trampoline_kernelINS0_14default_configENS1_27scan_by_key_config_selectorIiiEEZZNS1_16scan_by_key_implILNS1_25lookback_scan_determinismE0ELb1ES3_N6thrust23THRUST_200600_302600_NS10device_ptrIiEESB_SB_iNS9_4plusIvEENS9_8equal_toIvEEiEE10hipError_tPvRmT2_T3_T4_T5_mT6_T7_P12ihipStream_tbENKUlT_T0_E_clISt17integral_constantIbLb1EESW_EEDaSR_SS_EUlSR_E_NS1_11comp_targetILNS1_3genE10ELNS1_11target_archE1201ELNS1_3gpuE5ELNS1_3repE0EEENS1_30default_config_static_selectorELNS0_4arch9wavefront6targetE0EEEvT1_
                                        ; -- End function
	.set _ZN7rocprim17ROCPRIM_400000_NS6detail17trampoline_kernelINS0_14default_configENS1_27scan_by_key_config_selectorIiiEEZZNS1_16scan_by_key_implILNS1_25lookback_scan_determinismE0ELb1ES3_N6thrust23THRUST_200600_302600_NS10device_ptrIiEESB_SB_iNS9_4plusIvEENS9_8equal_toIvEEiEE10hipError_tPvRmT2_T3_T4_T5_mT6_T7_P12ihipStream_tbENKUlT_T0_E_clISt17integral_constantIbLb1EESW_EEDaSR_SS_EUlSR_E_NS1_11comp_targetILNS1_3genE10ELNS1_11target_archE1201ELNS1_3gpuE5ELNS1_3repE0EEENS1_30default_config_static_selectorELNS0_4arch9wavefront6targetE0EEEvT1_.num_vgpr, 0
	.set _ZN7rocprim17ROCPRIM_400000_NS6detail17trampoline_kernelINS0_14default_configENS1_27scan_by_key_config_selectorIiiEEZZNS1_16scan_by_key_implILNS1_25lookback_scan_determinismE0ELb1ES3_N6thrust23THRUST_200600_302600_NS10device_ptrIiEESB_SB_iNS9_4plusIvEENS9_8equal_toIvEEiEE10hipError_tPvRmT2_T3_T4_T5_mT6_T7_P12ihipStream_tbENKUlT_T0_E_clISt17integral_constantIbLb1EESW_EEDaSR_SS_EUlSR_E_NS1_11comp_targetILNS1_3genE10ELNS1_11target_archE1201ELNS1_3gpuE5ELNS1_3repE0EEENS1_30default_config_static_selectorELNS0_4arch9wavefront6targetE0EEEvT1_.num_agpr, 0
	.set _ZN7rocprim17ROCPRIM_400000_NS6detail17trampoline_kernelINS0_14default_configENS1_27scan_by_key_config_selectorIiiEEZZNS1_16scan_by_key_implILNS1_25lookback_scan_determinismE0ELb1ES3_N6thrust23THRUST_200600_302600_NS10device_ptrIiEESB_SB_iNS9_4plusIvEENS9_8equal_toIvEEiEE10hipError_tPvRmT2_T3_T4_T5_mT6_T7_P12ihipStream_tbENKUlT_T0_E_clISt17integral_constantIbLb1EESW_EEDaSR_SS_EUlSR_E_NS1_11comp_targetILNS1_3genE10ELNS1_11target_archE1201ELNS1_3gpuE5ELNS1_3repE0EEENS1_30default_config_static_selectorELNS0_4arch9wavefront6targetE0EEEvT1_.numbered_sgpr, 0
	.set _ZN7rocprim17ROCPRIM_400000_NS6detail17trampoline_kernelINS0_14default_configENS1_27scan_by_key_config_selectorIiiEEZZNS1_16scan_by_key_implILNS1_25lookback_scan_determinismE0ELb1ES3_N6thrust23THRUST_200600_302600_NS10device_ptrIiEESB_SB_iNS9_4plusIvEENS9_8equal_toIvEEiEE10hipError_tPvRmT2_T3_T4_T5_mT6_T7_P12ihipStream_tbENKUlT_T0_E_clISt17integral_constantIbLb1EESW_EEDaSR_SS_EUlSR_E_NS1_11comp_targetILNS1_3genE10ELNS1_11target_archE1201ELNS1_3gpuE5ELNS1_3repE0EEENS1_30default_config_static_selectorELNS0_4arch9wavefront6targetE0EEEvT1_.num_named_barrier, 0
	.set _ZN7rocprim17ROCPRIM_400000_NS6detail17trampoline_kernelINS0_14default_configENS1_27scan_by_key_config_selectorIiiEEZZNS1_16scan_by_key_implILNS1_25lookback_scan_determinismE0ELb1ES3_N6thrust23THRUST_200600_302600_NS10device_ptrIiEESB_SB_iNS9_4plusIvEENS9_8equal_toIvEEiEE10hipError_tPvRmT2_T3_T4_T5_mT6_T7_P12ihipStream_tbENKUlT_T0_E_clISt17integral_constantIbLb1EESW_EEDaSR_SS_EUlSR_E_NS1_11comp_targetILNS1_3genE10ELNS1_11target_archE1201ELNS1_3gpuE5ELNS1_3repE0EEENS1_30default_config_static_selectorELNS0_4arch9wavefront6targetE0EEEvT1_.private_seg_size, 0
	.set _ZN7rocprim17ROCPRIM_400000_NS6detail17trampoline_kernelINS0_14default_configENS1_27scan_by_key_config_selectorIiiEEZZNS1_16scan_by_key_implILNS1_25lookback_scan_determinismE0ELb1ES3_N6thrust23THRUST_200600_302600_NS10device_ptrIiEESB_SB_iNS9_4plusIvEENS9_8equal_toIvEEiEE10hipError_tPvRmT2_T3_T4_T5_mT6_T7_P12ihipStream_tbENKUlT_T0_E_clISt17integral_constantIbLb1EESW_EEDaSR_SS_EUlSR_E_NS1_11comp_targetILNS1_3genE10ELNS1_11target_archE1201ELNS1_3gpuE5ELNS1_3repE0EEENS1_30default_config_static_selectorELNS0_4arch9wavefront6targetE0EEEvT1_.uses_vcc, 0
	.set _ZN7rocprim17ROCPRIM_400000_NS6detail17trampoline_kernelINS0_14default_configENS1_27scan_by_key_config_selectorIiiEEZZNS1_16scan_by_key_implILNS1_25lookback_scan_determinismE0ELb1ES3_N6thrust23THRUST_200600_302600_NS10device_ptrIiEESB_SB_iNS9_4plusIvEENS9_8equal_toIvEEiEE10hipError_tPvRmT2_T3_T4_T5_mT6_T7_P12ihipStream_tbENKUlT_T0_E_clISt17integral_constantIbLb1EESW_EEDaSR_SS_EUlSR_E_NS1_11comp_targetILNS1_3genE10ELNS1_11target_archE1201ELNS1_3gpuE5ELNS1_3repE0EEENS1_30default_config_static_selectorELNS0_4arch9wavefront6targetE0EEEvT1_.uses_flat_scratch, 0
	.set _ZN7rocprim17ROCPRIM_400000_NS6detail17trampoline_kernelINS0_14default_configENS1_27scan_by_key_config_selectorIiiEEZZNS1_16scan_by_key_implILNS1_25lookback_scan_determinismE0ELb1ES3_N6thrust23THRUST_200600_302600_NS10device_ptrIiEESB_SB_iNS9_4plusIvEENS9_8equal_toIvEEiEE10hipError_tPvRmT2_T3_T4_T5_mT6_T7_P12ihipStream_tbENKUlT_T0_E_clISt17integral_constantIbLb1EESW_EEDaSR_SS_EUlSR_E_NS1_11comp_targetILNS1_3genE10ELNS1_11target_archE1201ELNS1_3gpuE5ELNS1_3repE0EEENS1_30default_config_static_selectorELNS0_4arch9wavefront6targetE0EEEvT1_.has_dyn_sized_stack, 0
	.set _ZN7rocprim17ROCPRIM_400000_NS6detail17trampoline_kernelINS0_14default_configENS1_27scan_by_key_config_selectorIiiEEZZNS1_16scan_by_key_implILNS1_25lookback_scan_determinismE0ELb1ES3_N6thrust23THRUST_200600_302600_NS10device_ptrIiEESB_SB_iNS9_4plusIvEENS9_8equal_toIvEEiEE10hipError_tPvRmT2_T3_T4_T5_mT6_T7_P12ihipStream_tbENKUlT_T0_E_clISt17integral_constantIbLb1EESW_EEDaSR_SS_EUlSR_E_NS1_11comp_targetILNS1_3genE10ELNS1_11target_archE1201ELNS1_3gpuE5ELNS1_3repE0EEENS1_30default_config_static_selectorELNS0_4arch9wavefront6targetE0EEEvT1_.has_recursion, 0
	.set _ZN7rocprim17ROCPRIM_400000_NS6detail17trampoline_kernelINS0_14default_configENS1_27scan_by_key_config_selectorIiiEEZZNS1_16scan_by_key_implILNS1_25lookback_scan_determinismE0ELb1ES3_N6thrust23THRUST_200600_302600_NS10device_ptrIiEESB_SB_iNS9_4plusIvEENS9_8equal_toIvEEiEE10hipError_tPvRmT2_T3_T4_T5_mT6_T7_P12ihipStream_tbENKUlT_T0_E_clISt17integral_constantIbLb1EESW_EEDaSR_SS_EUlSR_E_NS1_11comp_targetILNS1_3genE10ELNS1_11target_archE1201ELNS1_3gpuE5ELNS1_3repE0EEENS1_30default_config_static_selectorELNS0_4arch9wavefront6targetE0EEEvT1_.has_indirect_call, 0
	.section	.AMDGPU.csdata,"",@progbits
; Kernel info:
; codeLenInByte = 0
; TotalNumSgprs: 0
; NumVgprs: 0
; ScratchSize: 0
; MemoryBound: 0
; FloatMode: 240
; IeeeMode: 1
; LDSByteSize: 0 bytes/workgroup (compile time only)
; SGPRBlocks: 0
; VGPRBlocks: 0
; NumSGPRsForWavesPerEU: 1
; NumVGPRsForWavesPerEU: 1
; NamedBarCnt: 0
; Occupancy: 16
; WaveLimiterHint : 0
; COMPUTE_PGM_RSRC2:SCRATCH_EN: 0
; COMPUTE_PGM_RSRC2:USER_SGPR: 2
; COMPUTE_PGM_RSRC2:TRAP_HANDLER: 0
; COMPUTE_PGM_RSRC2:TGID_X_EN: 1
; COMPUTE_PGM_RSRC2:TGID_Y_EN: 0
; COMPUTE_PGM_RSRC2:TGID_Z_EN: 0
; COMPUTE_PGM_RSRC2:TIDIG_COMP_CNT: 0
	.section	.text._ZN7rocprim17ROCPRIM_400000_NS6detail17trampoline_kernelINS0_14default_configENS1_27scan_by_key_config_selectorIiiEEZZNS1_16scan_by_key_implILNS1_25lookback_scan_determinismE0ELb1ES3_N6thrust23THRUST_200600_302600_NS10device_ptrIiEESB_SB_iNS9_4plusIvEENS9_8equal_toIvEEiEE10hipError_tPvRmT2_T3_T4_T5_mT6_T7_P12ihipStream_tbENKUlT_T0_E_clISt17integral_constantIbLb1EESW_EEDaSR_SS_EUlSR_E_NS1_11comp_targetILNS1_3genE5ELNS1_11target_archE942ELNS1_3gpuE9ELNS1_3repE0EEENS1_30default_config_static_selectorELNS0_4arch9wavefront6targetE0EEEvT1_,"axG",@progbits,_ZN7rocprim17ROCPRIM_400000_NS6detail17trampoline_kernelINS0_14default_configENS1_27scan_by_key_config_selectorIiiEEZZNS1_16scan_by_key_implILNS1_25lookback_scan_determinismE0ELb1ES3_N6thrust23THRUST_200600_302600_NS10device_ptrIiEESB_SB_iNS9_4plusIvEENS9_8equal_toIvEEiEE10hipError_tPvRmT2_T3_T4_T5_mT6_T7_P12ihipStream_tbENKUlT_T0_E_clISt17integral_constantIbLb1EESW_EEDaSR_SS_EUlSR_E_NS1_11comp_targetILNS1_3genE5ELNS1_11target_archE942ELNS1_3gpuE9ELNS1_3repE0EEENS1_30default_config_static_selectorELNS0_4arch9wavefront6targetE0EEEvT1_,comdat
	.protected	_ZN7rocprim17ROCPRIM_400000_NS6detail17trampoline_kernelINS0_14default_configENS1_27scan_by_key_config_selectorIiiEEZZNS1_16scan_by_key_implILNS1_25lookback_scan_determinismE0ELb1ES3_N6thrust23THRUST_200600_302600_NS10device_ptrIiEESB_SB_iNS9_4plusIvEENS9_8equal_toIvEEiEE10hipError_tPvRmT2_T3_T4_T5_mT6_T7_P12ihipStream_tbENKUlT_T0_E_clISt17integral_constantIbLb1EESW_EEDaSR_SS_EUlSR_E_NS1_11comp_targetILNS1_3genE5ELNS1_11target_archE942ELNS1_3gpuE9ELNS1_3repE0EEENS1_30default_config_static_selectorELNS0_4arch9wavefront6targetE0EEEvT1_ ; -- Begin function _ZN7rocprim17ROCPRIM_400000_NS6detail17trampoline_kernelINS0_14default_configENS1_27scan_by_key_config_selectorIiiEEZZNS1_16scan_by_key_implILNS1_25lookback_scan_determinismE0ELb1ES3_N6thrust23THRUST_200600_302600_NS10device_ptrIiEESB_SB_iNS9_4plusIvEENS9_8equal_toIvEEiEE10hipError_tPvRmT2_T3_T4_T5_mT6_T7_P12ihipStream_tbENKUlT_T0_E_clISt17integral_constantIbLb1EESW_EEDaSR_SS_EUlSR_E_NS1_11comp_targetILNS1_3genE5ELNS1_11target_archE942ELNS1_3gpuE9ELNS1_3repE0EEENS1_30default_config_static_selectorELNS0_4arch9wavefront6targetE0EEEvT1_
	.globl	_ZN7rocprim17ROCPRIM_400000_NS6detail17trampoline_kernelINS0_14default_configENS1_27scan_by_key_config_selectorIiiEEZZNS1_16scan_by_key_implILNS1_25lookback_scan_determinismE0ELb1ES3_N6thrust23THRUST_200600_302600_NS10device_ptrIiEESB_SB_iNS9_4plusIvEENS9_8equal_toIvEEiEE10hipError_tPvRmT2_T3_T4_T5_mT6_T7_P12ihipStream_tbENKUlT_T0_E_clISt17integral_constantIbLb1EESW_EEDaSR_SS_EUlSR_E_NS1_11comp_targetILNS1_3genE5ELNS1_11target_archE942ELNS1_3gpuE9ELNS1_3repE0EEENS1_30default_config_static_selectorELNS0_4arch9wavefront6targetE0EEEvT1_
	.p2align	8
	.type	_ZN7rocprim17ROCPRIM_400000_NS6detail17trampoline_kernelINS0_14default_configENS1_27scan_by_key_config_selectorIiiEEZZNS1_16scan_by_key_implILNS1_25lookback_scan_determinismE0ELb1ES3_N6thrust23THRUST_200600_302600_NS10device_ptrIiEESB_SB_iNS9_4plusIvEENS9_8equal_toIvEEiEE10hipError_tPvRmT2_T3_T4_T5_mT6_T7_P12ihipStream_tbENKUlT_T0_E_clISt17integral_constantIbLb1EESW_EEDaSR_SS_EUlSR_E_NS1_11comp_targetILNS1_3genE5ELNS1_11target_archE942ELNS1_3gpuE9ELNS1_3repE0EEENS1_30default_config_static_selectorELNS0_4arch9wavefront6targetE0EEEvT1_,@function
_ZN7rocprim17ROCPRIM_400000_NS6detail17trampoline_kernelINS0_14default_configENS1_27scan_by_key_config_selectorIiiEEZZNS1_16scan_by_key_implILNS1_25lookback_scan_determinismE0ELb1ES3_N6thrust23THRUST_200600_302600_NS10device_ptrIiEESB_SB_iNS9_4plusIvEENS9_8equal_toIvEEiEE10hipError_tPvRmT2_T3_T4_T5_mT6_T7_P12ihipStream_tbENKUlT_T0_E_clISt17integral_constantIbLb1EESW_EEDaSR_SS_EUlSR_E_NS1_11comp_targetILNS1_3genE5ELNS1_11target_archE942ELNS1_3gpuE9ELNS1_3repE0EEENS1_30default_config_static_selectorELNS0_4arch9wavefront6targetE0EEEvT1_: ; @_ZN7rocprim17ROCPRIM_400000_NS6detail17trampoline_kernelINS0_14default_configENS1_27scan_by_key_config_selectorIiiEEZZNS1_16scan_by_key_implILNS1_25lookback_scan_determinismE0ELb1ES3_N6thrust23THRUST_200600_302600_NS10device_ptrIiEESB_SB_iNS9_4plusIvEENS9_8equal_toIvEEiEE10hipError_tPvRmT2_T3_T4_T5_mT6_T7_P12ihipStream_tbENKUlT_T0_E_clISt17integral_constantIbLb1EESW_EEDaSR_SS_EUlSR_E_NS1_11comp_targetILNS1_3genE5ELNS1_11target_archE942ELNS1_3gpuE9ELNS1_3repE0EEENS1_30default_config_static_selectorELNS0_4arch9wavefront6targetE0EEEvT1_
; %bb.0:
	.section	.rodata,"a",@progbits
	.p2align	6, 0x0
	.amdhsa_kernel _ZN7rocprim17ROCPRIM_400000_NS6detail17trampoline_kernelINS0_14default_configENS1_27scan_by_key_config_selectorIiiEEZZNS1_16scan_by_key_implILNS1_25lookback_scan_determinismE0ELb1ES3_N6thrust23THRUST_200600_302600_NS10device_ptrIiEESB_SB_iNS9_4plusIvEENS9_8equal_toIvEEiEE10hipError_tPvRmT2_T3_T4_T5_mT6_T7_P12ihipStream_tbENKUlT_T0_E_clISt17integral_constantIbLb1EESW_EEDaSR_SS_EUlSR_E_NS1_11comp_targetILNS1_3genE5ELNS1_11target_archE942ELNS1_3gpuE9ELNS1_3repE0EEENS1_30default_config_static_selectorELNS0_4arch9wavefront6targetE0EEEvT1_
		.amdhsa_group_segment_fixed_size 0
		.amdhsa_private_segment_fixed_size 0
		.amdhsa_kernarg_size 112
		.amdhsa_user_sgpr_count 2
		.amdhsa_user_sgpr_dispatch_ptr 0
		.amdhsa_user_sgpr_queue_ptr 0
		.amdhsa_user_sgpr_kernarg_segment_ptr 1
		.amdhsa_user_sgpr_dispatch_id 0
		.amdhsa_user_sgpr_kernarg_preload_length 0
		.amdhsa_user_sgpr_kernarg_preload_offset 0
		.amdhsa_user_sgpr_private_segment_size 0
		.amdhsa_wavefront_size32 1
		.amdhsa_uses_dynamic_stack 0
		.amdhsa_enable_private_segment 0
		.amdhsa_system_sgpr_workgroup_id_x 1
		.amdhsa_system_sgpr_workgroup_id_y 0
		.amdhsa_system_sgpr_workgroup_id_z 0
		.amdhsa_system_sgpr_workgroup_info 0
		.amdhsa_system_vgpr_workitem_id 0
		.amdhsa_next_free_vgpr 1
		.amdhsa_next_free_sgpr 1
		.amdhsa_named_barrier_count 0
		.amdhsa_reserve_vcc 0
		.amdhsa_float_round_mode_32 0
		.amdhsa_float_round_mode_16_64 0
		.amdhsa_float_denorm_mode_32 3
		.amdhsa_float_denorm_mode_16_64 3
		.amdhsa_fp16_overflow 0
		.amdhsa_memory_ordered 1
		.amdhsa_forward_progress 1
		.amdhsa_inst_pref_size 0
		.amdhsa_round_robin_scheduling 0
		.amdhsa_exception_fp_ieee_invalid_op 0
		.amdhsa_exception_fp_denorm_src 0
		.amdhsa_exception_fp_ieee_div_zero 0
		.amdhsa_exception_fp_ieee_overflow 0
		.amdhsa_exception_fp_ieee_underflow 0
		.amdhsa_exception_fp_ieee_inexact 0
		.amdhsa_exception_int_div_zero 0
	.end_amdhsa_kernel
	.section	.text._ZN7rocprim17ROCPRIM_400000_NS6detail17trampoline_kernelINS0_14default_configENS1_27scan_by_key_config_selectorIiiEEZZNS1_16scan_by_key_implILNS1_25lookback_scan_determinismE0ELb1ES3_N6thrust23THRUST_200600_302600_NS10device_ptrIiEESB_SB_iNS9_4plusIvEENS9_8equal_toIvEEiEE10hipError_tPvRmT2_T3_T4_T5_mT6_T7_P12ihipStream_tbENKUlT_T0_E_clISt17integral_constantIbLb1EESW_EEDaSR_SS_EUlSR_E_NS1_11comp_targetILNS1_3genE5ELNS1_11target_archE942ELNS1_3gpuE9ELNS1_3repE0EEENS1_30default_config_static_selectorELNS0_4arch9wavefront6targetE0EEEvT1_,"axG",@progbits,_ZN7rocprim17ROCPRIM_400000_NS6detail17trampoline_kernelINS0_14default_configENS1_27scan_by_key_config_selectorIiiEEZZNS1_16scan_by_key_implILNS1_25lookback_scan_determinismE0ELb1ES3_N6thrust23THRUST_200600_302600_NS10device_ptrIiEESB_SB_iNS9_4plusIvEENS9_8equal_toIvEEiEE10hipError_tPvRmT2_T3_T4_T5_mT6_T7_P12ihipStream_tbENKUlT_T0_E_clISt17integral_constantIbLb1EESW_EEDaSR_SS_EUlSR_E_NS1_11comp_targetILNS1_3genE5ELNS1_11target_archE942ELNS1_3gpuE9ELNS1_3repE0EEENS1_30default_config_static_selectorELNS0_4arch9wavefront6targetE0EEEvT1_,comdat
.Lfunc_end2244:
	.size	_ZN7rocprim17ROCPRIM_400000_NS6detail17trampoline_kernelINS0_14default_configENS1_27scan_by_key_config_selectorIiiEEZZNS1_16scan_by_key_implILNS1_25lookback_scan_determinismE0ELb1ES3_N6thrust23THRUST_200600_302600_NS10device_ptrIiEESB_SB_iNS9_4plusIvEENS9_8equal_toIvEEiEE10hipError_tPvRmT2_T3_T4_T5_mT6_T7_P12ihipStream_tbENKUlT_T0_E_clISt17integral_constantIbLb1EESW_EEDaSR_SS_EUlSR_E_NS1_11comp_targetILNS1_3genE5ELNS1_11target_archE942ELNS1_3gpuE9ELNS1_3repE0EEENS1_30default_config_static_selectorELNS0_4arch9wavefront6targetE0EEEvT1_, .Lfunc_end2244-_ZN7rocprim17ROCPRIM_400000_NS6detail17trampoline_kernelINS0_14default_configENS1_27scan_by_key_config_selectorIiiEEZZNS1_16scan_by_key_implILNS1_25lookback_scan_determinismE0ELb1ES3_N6thrust23THRUST_200600_302600_NS10device_ptrIiEESB_SB_iNS9_4plusIvEENS9_8equal_toIvEEiEE10hipError_tPvRmT2_T3_T4_T5_mT6_T7_P12ihipStream_tbENKUlT_T0_E_clISt17integral_constantIbLb1EESW_EEDaSR_SS_EUlSR_E_NS1_11comp_targetILNS1_3genE5ELNS1_11target_archE942ELNS1_3gpuE9ELNS1_3repE0EEENS1_30default_config_static_selectorELNS0_4arch9wavefront6targetE0EEEvT1_
                                        ; -- End function
	.set _ZN7rocprim17ROCPRIM_400000_NS6detail17trampoline_kernelINS0_14default_configENS1_27scan_by_key_config_selectorIiiEEZZNS1_16scan_by_key_implILNS1_25lookback_scan_determinismE0ELb1ES3_N6thrust23THRUST_200600_302600_NS10device_ptrIiEESB_SB_iNS9_4plusIvEENS9_8equal_toIvEEiEE10hipError_tPvRmT2_T3_T4_T5_mT6_T7_P12ihipStream_tbENKUlT_T0_E_clISt17integral_constantIbLb1EESW_EEDaSR_SS_EUlSR_E_NS1_11comp_targetILNS1_3genE5ELNS1_11target_archE942ELNS1_3gpuE9ELNS1_3repE0EEENS1_30default_config_static_selectorELNS0_4arch9wavefront6targetE0EEEvT1_.num_vgpr, 0
	.set _ZN7rocprim17ROCPRIM_400000_NS6detail17trampoline_kernelINS0_14default_configENS1_27scan_by_key_config_selectorIiiEEZZNS1_16scan_by_key_implILNS1_25lookback_scan_determinismE0ELb1ES3_N6thrust23THRUST_200600_302600_NS10device_ptrIiEESB_SB_iNS9_4plusIvEENS9_8equal_toIvEEiEE10hipError_tPvRmT2_T3_T4_T5_mT6_T7_P12ihipStream_tbENKUlT_T0_E_clISt17integral_constantIbLb1EESW_EEDaSR_SS_EUlSR_E_NS1_11comp_targetILNS1_3genE5ELNS1_11target_archE942ELNS1_3gpuE9ELNS1_3repE0EEENS1_30default_config_static_selectorELNS0_4arch9wavefront6targetE0EEEvT1_.num_agpr, 0
	.set _ZN7rocprim17ROCPRIM_400000_NS6detail17trampoline_kernelINS0_14default_configENS1_27scan_by_key_config_selectorIiiEEZZNS1_16scan_by_key_implILNS1_25lookback_scan_determinismE0ELb1ES3_N6thrust23THRUST_200600_302600_NS10device_ptrIiEESB_SB_iNS9_4plusIvEENS9_8equal_toIvEEiEE10hipError_tPvRmT2_T3_T4_T5_mT6_T7_P12ihipStream_tbENKUlT_T0_E_clISt17integral_constantIbLb1EESW_EEDaSR_SS_EUlSR_E_NS1_11comp_targetILNS1_3genE5ELNS1_11target_archE942ELNS1_3gpuE9ELNS1_3repE0EEENS1_30default_config_static_selectorELNS0_4arch9wavefront6targetE0EEEvT1_.numbered_sgpr, 0
	.set _ZN7rocprim17ROCPRIM_400000_NS6detail17trampoline_kernelINS0_14default_configENS1_27scan_by_key_config_selectorIiiEEZZNS1_16scan_by_key_implILNS1_25lookback_scan_determinismE0ELb1ES3_N6thrust23THRUST_200600_302600_NS10device_ptrIiEESB_SB_iNS9_4plusIvEENS9_8equal_toIvEEiEE10hipError_tPvRmT2_T3_T4_T5_mT6_T7_P12ihipStream_tbENKUlT_T0_E_clISt17integral_constantIbLb1EESW_EEDaSR_SS_EUlSR_E_NS1_11comp_targetILNS1_3genE5ELNS1_11target_archE942ELNS1_3gpuE9ELNS1_3repE0EEENS1_30default_config_static_selectorELNS0_4arch9wavefront6targetE0EEEvT1_.num_named_barrier, 0
	.set _ZN7rocprim17ROCPRIM_400000_NS6detail17trampoline_kernelINS0_14default_configENS1_27scan_by_key_config_selectorIiiEEZZNS1_16scan_by_key_implILNS1_25lookback_scan_determinismE0ELb1ES3_N6thrust23THRUST_200600_302600_NS10device_ptrIiEESB_SB_iNS9_4plusIvEENS9_8equal_toIvEEiEE10hipError_tPvRmT2_T3_T4_T5_mT6_T7_P12ihipStream_tbENKUlT_T0_E_clISt17integral_constantIbLb1EESW_EEDaSR_SS_EUlSR_E_NS1_11comp_targetILNS1_3genE5ELNS1_11target_archE942ELNS1_3gpuE9ELNS1_3repE0EEENS1_30default_config_static_selectorELNS0_4arch9wavefront6targetE0EEEvT1_.private_seg_size, 0
	.set _ZN7rocprim17ROCPRIM_400000_NS6detail17trampoline_kernelINS0_14default_configENS1_27scan_by_key_config_selectorIiiEEZZNS1_16scan_by_key_implILNS1_25lookback_scan_determinismE0ELb1ES3_N6thrust23THRUST_200600_302600_NS10device_ptrIiEESB_SB_iNS9_4plusIvEENS9_8equal_toIvEEiEE10hipError_tPvRmT2_T3_T4_T5_mT6_T7_P12ihipStream_tbENKUlT_T0_E_clISt17integral_constantIbLb1EESW_EEDaSR_SS_EUlSR_E_NS1_11comp_targetILNS1_3genE5ELNS1_11target_archE942ELNS1_3gpuE9ELNS1_3repE0EEENS1_30default_config_static_selectorELNS0_4arch9wavefront6targetE0EEEvT1_.uses_vcc, 0
	.set _ZN7rocprim17ROCPRIM_400000_NS6detail17trampoline_kernelINS0_14default_configENS1_27scan_by_key_config_selectorIiiEEZZNS1_16scan_by_key_implILNS1_25lookback_scan_determinismE0ELb1ES3_N6thrust23THRUST_200600_302600_NS10device_ptrIiEESB_SB_iNS9_4plusIvEENS9_8equal_toIvEEiEE10hipError_tPvRmT2_T3_T4_T5_mT6_T7_P12ihipStream_tbENKUlT_T0_E_clISt17integral_constantIbLb1EESW_EEDaSR_SS_EUlSR_E_NS1_11comp_targetILNS1_3genE5ELNS1_11target_archE942ELNS1_3gpuE9ELNS1_3repE0EEENS1_30default_config_static_selectorELNS0_4arch9wavefront6targetE0EEEvT1_.uses_flat_scratch, 0
	.set _ZN7rocprim17ROCPRIM_400000_NS6detail17trampoline_kernelINS0_14default_configENS1_27scan_by_key_config_selectorIiiEEZZNS1_16scan_by_key_implILNS1_25lookback_scan_determinismE0ELb1ES3_N6thrust23THRUST_200600_302600_NS10device_ptrIiEESB_SB_iNS9_4plusIvEENS9_8equal_toIvEEiEE10hipError_tPvRmT2_T3_T4_T5_mT6_T7_P12ihipStream_tbENKUlT_T0_E_clISt17integral_constantIbLb1EESW_EEDaSR_SS_EUlSR_E_NS1_11comp_targetILNS1_3genE5ELNS1_11target_archE942ELNS1_3gpuE9ELNS1_3repE0EEENS1_30default_config_static_selectorELNS0_4arch9wavefront6targetE0EEEvT1_.has_dyn_sized_stack, 0
	.set _ZN7rocprim17ROCPRIM_400000_NS6detail17trampoline_kernelINS0_14default_configENS1_27scan_by_key_config_selectorIiiEEZZNS1_16scan_by_key_implILNS1_25lookback_scan_determinismE0ELb1ES3_N6thrust23THRUST_200600_302600_NS10device_ptrIiEESB_SB_iNS9_4plusIvEENS9_8equal_toIvEEiEE10hipError_tPvRmT2_T3_T4_T5_mT6_T7_P12ihipStream_tbENKUlT_T0_E_clISt17integral_constantIbLb1EESW_EEDaSR_SS_EUlSR_E_NS1_11comp_targetILNS1_3genE5ELNS1_11target_archE942ELNS1_3gpuE9ELNS1_3repE0EEENS1_30default_config_static_selectorELNS0_4arch9wavefront6targetE0EEEvT1_.has_recursion, 0
	.set _ZN7rocprim17ROCPRIM_400000_NS6detail17trampoline_kernelINS0_14default_configENS1_27scan_by_key_config_selectorIiiEEZZNS1_16scan_by_key_implILNS1_25lookback_scan_determinismE0ELb1ES3_N6thrust23THRUST_200600_302600_NS10device_ptrIiEESB_SB_iNS9_4plusIvEENS9_8equal_toIvEEiEE10hipError_tPvRmT2_T3_T4_T5_mT6_T7_P12ihipStream_tbENKUlT_T0_E_clISt17integral_constantIbLb1EESW_EEDaSR_SS_EUlSR_E_NS1_11comp_targetILNS1_3genE5ELNS1_11target_archE942ELNS1_3gpuE9ELNS1_3repE0EEENS1_30default_config_static_selectorELNS0_4arch9wavefront6targetE0EEEvT1_.has_indirect_call, 0
	.section	.AMDGPU.csdata,"",@progbits
; Kernel info:
; codeLenInByte = 0
; TotalNumSgprs: 0
; NumVgprs: 0
; ScratchSize: 0
; MemoryBound: 0
; FloatMode: 240
; IeeeMode: 1
; LDSByteSize: 0 bytes/workgroup (compile time only)
; SGPRBlocks: 0
; VGPRBlocks: 0
; NumSGPRsForWavesPerEU: 1
; NumVGPRsForWavesPerEU: 1
; NamedBarCnt: 0
; Occupancy: 16
; WaveLimiterHint : 0
; COMPUTE_PGM_RSRC2:SCRATCH_EN: 0
; COMPUTE_PGM_RSRC2:USER_SGPR: 2
; COMPUTE_PGM_RSRC2:TRAP_HANDLER: 0
; COMPUTE_PGM_RSRC2:TGID_X_EN: 1
; COMPUTE_PGM_RSRC2:TGID_Y_EN: 0
; COMPUTE_PGM_RSRC2:TGID_Z_EN: 0
; COMPUTE_PGM_RSRC2:TIDIG_COMP_CNT: 0
	.section	.text._ZN7rocprim17ROCPRIM_400000_NS6detail17trampoline_kernelINS0_14default_configENS1_27scan_by_key_config_selectorIiiEEZZNS1_16scan_by_key_implILNS1_25lookback_scan_determinismE0ELb1ES3_N6thrust23THRUST_200600_302600_NS10device_ptrIiEESB_SB_iNS9_4plusIvEENS9_8equal_toIvEEiEE10hipError_tPvRmT2_T3_T4_T5_mT6_T7_P12ihipStream_tbENKUlT_T0_E_clISt17integral_constantIbLb1EESW_EEDaSR_SS_EUlSR_E_NS1_11comp_targetILNS1_3genE4ELNS1_11target_archE910ELNS1_3gpuE8ELNS1_3repE0EEENS1_30default_config_static_selectorELNS0_4arch9wavefront6targetE0EEEvT1_,"axG",@progbits,_ZN7rocprim17ROCPRIM_400000_NS6detail17trampoline_kernelINS0_14default_configENS1_27scan_by_key_config_selectorIiiEEZZNS1_16scan_by_key_implILNS1_25lookback_scan_determinismE0ELb1ES3_N6thrust23THRUST_200600_302600_NS10device_ptrIiEESB_SB_iNS9_4plusIvEENS9_8equal_toIvEEiEE10hipError_tPvRmT2_T3_T4_T5_mT6_T7_P12ihipStream_tbENKUlT_T0_E_clISt17integral_constantIbLb1EESW_EEDaSR_SS_EUlSR_E_NS1_11comp_targetILNS1_3genE4ELNS1_11target_archE910ELNS1_3gpuE8ELNS1_3repE0EEENS1_30default_config_static_selectorELNS0_4arch9wavefront6targetE0EEEvT1_,comdat
	.protected	_ZN7rocprim17ROCPRIM_400000_NS6detail17trampoline_kernelINS0_14default_configENS1_27scan_by_key_config_selectorIiiEEZZNS1_16scan_by_key_implILNS1_25lookback_scan_determinismE0ELb1ES3_N6thrust23THRUST_200600_302600_NS10device_ptrIiEESB_SB_iNS9_4plusIvEENS9_8equal_toIvEEiEE10hipError_tPvRmT2_T3_T4_T5_mT6_T7_P12ihipStream_tbENKUlT_T0_E_clISt17integral_constantIbLb1EESW_EEDaSR_SS_EUlSR_E_NS1_11comp_targetILNS1_3genE4ELNS1_11target_archE910ELNS1_3gpuE8ELNS1_3repE0EEENS1_30default_config_static_selectorELNS0_4arch9wavefront6targetE0EEEvT1_ ; -- Begin function _ZN7rocprim17ROCPRIM_400000_NS6detail17trampoline_kernelINS0_14default_configENS1_27scan_by_key_config_selectorIiiEEZZNS1_16scan_by_key_implILNS1_25lookback_scan_determinismE0ELb1ES3_N6thrust23THRUST_200600_302600_NS10device_ptrIiEESB_SB_iNS9_4plusIvEENS9_8equal_toIvEEiEE10hipError_tPvRmT2_T3_T4_T5_mT6_T7_P12ihipStream_tbENKUlT_T0_E_clISt17integral_constantIbLb1EESW_EEDaSR_SS_EUlSR_E_NS1_11comp_targetILNS1_3genE4ELNS1_11target_archE910ELNS1_3gpuE8ELNS1_3repE0EEENS1_30default_config_static_selectorELNS0_4arch9wavefront6targetE0EEEvT1_
	.globl	_ZN7rocprim17ROCPRIM_400000_NS6detail17trampoline_kernelINS0_14default_configENS1_27scan_by_key_config_selectorIiiEEZZNS1_16scan_by_key_implILNS1_25lookback_scan_determinismE0ELb1ES3_N6thrust23THRUST_200600_302600_NS10device_ptrIiEESB_SB_iNS9_4plusIvEENS9_8equal_toIvEEiEE10hipError_tPvRmT2_T3_T4_T5_mT6_T7_P12ihipStream_tbENKUlT_T0_E_clISt17integral_constantIbLb1EESW_EEDaSR_SS_EUlSR_E_NS1_11comp_targetILNS1_3genE4ELNS1_11target_archE910ELNS1_3gpuE8ELNS1_3repE0EEENS1_30default_config_static_selectorELNS0_4arch9wavefront6targetE0EEEvT1_
	.p2align	8
	.type	_ZN7rocprim17ROCPRIM_400000_NS6detail17trampoline_kernelINS0_14default_configENS1_27scan_by_key_config_selectorIiiEEZZNS1_16scan_by_key_implILNS1_25lookback_scan_determinismE0ELb1ES3_N6thrust23THRUST_200600_302600_NS10device_ptrIiEESB_SB_iNS9_4plusIvEENS9_8equal_toIvEEiEE10hipError_tPvRmT2_T3_T4_T5_mT6_T7_P12ihipStream_tbENKUlT_T0_E_clISt17integral_constantIbLb1EESW_EEDaSR_SS_EUlSR_E_NS1_11comp_targetILNS1_3genE4ELNS1_11target_archE910ELNS1_3gpuE8ELNS1_3repE0EEENS1_30default_config_static_selectorELNS0_4arch9wavefront6targetE0EEEvT1_,@function
_ZN7rocprim17ROCPRIM_400000_NS6detail17trampoline_kernelINS0_14default_configENS1_27scan_by_key_config_selectorIiiEEZZNS1_16scan_by_key_implILNS1_25lookback_scan_determinismE0ELb1ES3_N6thrust23THRUST_200600_302600_NS10device_ptrIiEESB_SB_iNS9_4plusIvEENS9_8equal_toIvEEiEE10hipError_tPvRmT2_T3_T4_T5_mT6_T7_P12ihipStream_tbENKUlT_T0_E_clISt17integral_constantIbLb1EESW_EEDaSR_SS_EUlSR_E_NS1_11comp_targetILNS1_3genE4ELNS1_11target_archE910ELNS1_3gpuE8ELNS1_3repE0EEENS1_30default_config_static_selectorELNS0_4arch9wavefront6targetE0EEEvT1_: ; @_ZN7rocprim17ROCPRIM_400000_NS6detail17trampoline_kernelINS0_14default_configENS1_27scan_by_key_config_selectorIiiEEZZNS1_16scan_by_key_implILNS1_25lookback_scan_determinismE0ELb1ES3_N6thrust23THRUST_200600_302600_NS10device_ptrIiEESB_SB_iNS9_4plusIvEENS9_8equal_toIvEEiEE10hipError_tPvRmT2_T3_T4_T5_mT6_T7_P12ihipStream_tbENKUlT_T0_E_clISt17integral_constantIbLb1EESW_EEDaSR_SS_EUlSR_E_NS1_11comp_targetILNS1_3genE4ELNS1_11target_archE910ELNS1_3gpuE8ELNS1_3repE0EEENS1_30default_config_static_selectorELNS0_4arch9wavefront6targetE0EEEvT1_
; %bb.0:
	.section	.rodata,"a",@progbits
	.p2align	6, 0x0
	.amdhsa_kernel _ZN7rocprim17ROCPRIM_400000_NS6detail17trampoline_kernelINS0_14default_configENS1_27scan_by_key_config_selectorIiiEEZZNS1_16scan_by_key_implILNS1_25lookback_scan_determinismE0ELb1ES3_N6thrust23THRUST_200600_302600_NS10device_ptrIiEESB_SB_iNS9_4plusIvEENS9_8equal_toIvEEiEE10hipError_tPvRmT2_T3_T4_T5_mT6_T7_P12ihipStream_tbENKUlT_T0_E_clISt17integral_constantIbLb1EESW_EEDaSR_SS_EUlSR_E_NS1_11comp_targetILNS1_3genE4ELNS1_11target_archE910ELNS1_3gpuE8ELNS1_3repE0EEENS1_30default_config_static_selectorELNS0_4arch9wavefront6targetE0EEEvT1_
		.amdhsa_group_segment_fixed_size 0
		.amdhsa_private_segment_fixed_size 0
		.amdhsa_kernarg_size 112
		.amdhsa_user_sgpr_count 2
		.amdhsa_user_sgpr_dispatch_ptr 0
		.amdhsa_user_sgpr_queue_ptr 0
		.amdhsa_user_sgpr_kernarg_segment_ptr 1
		.amdhsa_user_sgpr_dispatch_id 0
		.amdhsa_user_sgpr_kernarg_preload_length 0
		.amdhsa_user_sgpr_kernarg_preload_offset 0
		.amdhsa_user_sgpr_private_segment_size 0
		.amdhsa_wavefront_size32 1
		.amdhsa_uses_dynamic_stack 0
		.amdhsa_enable_private_segment 0
		.amdhsa_system_sgpr_workgroup_id_x 1
		.amdhsa_system_sgpr_workgroup_id_y 0
		.amdhsa_system_sgpr_workgroup_id_z 0
		.amdhsa_system_sgpr_workgroup_info 0
		.amdhsa_system_vgpr_workitem_id 0
		.amdhsa_next_free_vgpr 1
		.amdhsa_next_free_sgpr 1
		.amdhsa_named_barrier_count 0
		.amdhsa_reserve_vcc 0
		.amdhsa_float_round_mode_32 0
		.amdhsa_float_round_mode_16_64 0
		.amdhsa_float_denorm_mode_32 3
		.amdhsa_float_denorm_mode_16_64 3
		.amdhsa_fp16_overflow 0
		.amdhsa_memory_ordered 1
		.amdhsa_forward_progress 1
		.amdhsa_inst_pref_size 0
		.amdhsa_round_robin_scheduling 0
		.amdhsa_exception_fp_ieee_invalid_op 0
		.amdhsa_exception_fp_denorm_src 0
		.amdhsa_exception_fp_ieee_div_zero 0
		.amdhsa_exception_fp_ieee_overflow 0
		.amdhsa_exception_fp_ieee_underflow 0
		.amdhsa_exception_fp_ieee_inexact 0
		.amdhsa_exception_int_div_zero 0
	.end_amdhsa_kernel
	.section	.text._ZN7rocprim17ROCPRIM_400000_NS6detail17trampoline_kernelINS0_14default_configENS1_27scan_by_key_config_selectorIiiEEZZNS1_16scan_by_key_implILNS1_25lookback_scan_determinismE0ELb1ES3_N6thrust23THRUST_200600_302600_NS10device_ptrIiEESB_SB_iNS9_4plusIvEENS9_8equal_toIvEEiEE10hipError_tPvRmT2_T3_T4_T5_mT6_T7_P12ihipStream_tbENKUlT_T0_E_clISt17integral_constantIbLb1EESW_EEDaSR_SS_EUlSR_E_NS1_11comp_targetILNS1_3genE4ELNS1_11target_archE910ELNS1_3gpuE8ELNS1_3repE0EEENS1_30default_config_static_selectorELNS0_4arch9wavefront6targetE0EEEvT1_,"axG",@progbits,_ZN7rocprim17ROCPRIM_400000_NS6detail17trampoline_kernelINS0_14default_configENS1_27scan_by_key_config_selectorIiiEEZZNS1_16scan_by_key_implILNS1_25lookback_scan_determinismE0ELb1ES3_N6thrust23THRUST_200600_302600_NS10device_ptrIiEESB_SB_iNS9_4plusIvEENS9_8equal_toIvEEiEE10hipError_tPvRmT2_T3_T4_T5_mT6_T7_P12ihipStream_tbENKUlT_T0_E_clISt17integral_constantIbLb1EESW_EEDaSR_SS_EUlSR_E_NS1_11comp_targetILNS1_3genE4ELNS1_11target_archE910ELNS1_3gpuE8ELNS1_3repE0EEENS1_30default_config_static_selectorELNS0_4arch9wavefront6targetE0EEEvT1_,comdat
.Lfunc_end2245:
	.size	_ZN7rocprim17ROCPRIM_400000_NS6detail17trampoline_kernelINS0_14default_configENS1_27scan_by_key_config_selectorIiiEEZZNS1_16scan_by_key_implILNS1_25lookback_scan_determinismE0ELb1ES3_N6thrust23THRUST_200600_302600_NS10device_ptrIiEESB_SB_iNS9_4plusIvEENS9_8equal_toIvEEiEE10hipError_tPvRmT2_T3_T4_T5_mT6_T7_P12ihipStream_tbENKUlT_T0_E_clISt17integral_constantIbLb1EESW_EEDaSR_SS_EUlSR_E_NS1_11comp_targetILNS1_3genE4ELNS1_11target_archE910ELNS1_3gpuE8ELNS1_3repE0EEENS1_30default_config_static_selectorELNS0_4arch9wavefront6targetE0EEEvT1_, .Lfunc_end2245-_ZN7rocprim17ROCPRIM_400000_NS6detail17trampoline_kernelINS0_14default_configENS1_27scan_by_key_config_selectorIiiEEZZNS1_16scan_by_key_implILNS1_25lookback_scan_determinismE0ELb1ES3_N6thrust23THRUST_200600_302600_NS10device_ptrIiEESB_SB_iNS9_4plusIvEENS9_8equal_toIvEEiEE10hipError_tPvRmT2_T3_T4_T5_mT6_T7_P12ihipStream_tbENKUlT_T0_E_clISt17integral_constantIbLb1EESW_EEDaSR_SS_EUlSR_E_NS1_11comp_targetILNS1_3genE4ELNS1_11target_archE910ELNS1_3gpuE8ELNS1_3repE0EEENS1_30default_config_static_selectorELNS0_4arch9wavefront6targetE0EEEvT1_
                                        ; -- End function
	.set _ZN7rocprim17ROCPRIM_400000_NS6detail17trampoline_kernelINS0_14default_configENS1_27scan_by_key_config_selectorIiiEEZZNS1_16scan_by_key_implILNS1_25lookback_scan_determinismE0ELb1ES3_N6thrust23THRUST_200600_302600_NS10device_ptrIiEESB_SB_iNS9_4plusIvEENS9_8equal_toIvEEiEE10hipError_tPvRmT2_T3_T4_T5_mT6_T7_P12ihipStream_tbENKUlT_T0_E_clISt17integral_constantIbLb1EESW_EEDaSR_SS_EUlSR_E_NS1_11comp_targetILNS1_3genE4ELNS1_11target_archE910ELNS1_3gpuE8ELNS1_3repE0EEENS1_30default_config_static_selectorELNS0_4arch9wavefront6targetE0EEEvT1_.num_vgpr, 0
	.set _ZN7rocprim17ROCPRIM_400000_NS6detail17trampoline_kernelINS0_14default_configENS1_27scan_by_key_config_selectorIiiEEZZNS1_16scan_by_key_implILNS1_25lookback_scan_determinismE0ELb1ES3_N6thrust23THRUST_200600_302600_NS10device_ptrIiEESB_SB_iNS9_4plusIvEENS9_8equal_toIvEEiEE10hipError_tPvRmT2_T3_T4_T5_mT6_T7_P12ihipStream_tbENKUlT_T0_E_clISt17integral_constantIbLb1EESW_EEDaSR_SS_EUlSR_E_NS1_11comp_targetILNS1_3genE4ELNS1_11target_archE910ELNS1_3gpuE8ELNS1_3repE0EEENS1_30default_config_static_selectorELNS0_4arch9wavefront6targetE0EEEvT1_.num_agpr, 0
	.set _ZN7rocprim17ROCPRIM_400000_NS6detail17trampoline_kernelINS0_14default_configENS1_27scan_by_key_config_selectorIiiEEZZNS1_16scan_by_key_implILNS1_25lookback_scan_determinismE0ELb1ES3_N6thrust23THRUST_200600_302600_NS10device_ptrIiEESB_SB_iNS9_4plusIvEENS9_8equal_toIvEEiEE10hipError_tPvRmT2_T3_T4_T5_mT6_T7_P12ihipStream_tbENKUlT_T0_E_clISt17integral_constantIbLb1EESW_EEDaSR_SS_EUlSR_E_NS1_11comp_targetILNS1_3genE4ELNS1_11target_archE910ELNS1_3gpuE8ELNS1_3repE0EEENS1_30default_config_static_selectorELNS0_4arch9wavefront6targetE0EEEvT1_.numbered_sgpr, 0
	.set _ZN7rocprim17ROCPRIM_400000_NS6detail17trampoline_kernelINS0_14default_configENS1_27scan_by_key_config_selectorIiiEEZZNS1_16scan_by_key_implILNS1_25lookback_scan_determinismE0ELb1ES3_N6thrust23THRUST_200600_302600_NS10device_ptrIiEESB_SB_iNS9_4plusIvEENS9_8equal_toIvEEiEE10hipError_tPvRmT2_T3_T4_T5_mT6_T7_P12ihipStream_tbENKUlT_T0_E_clISt17integral_constantIbLb1EESW_EEDaSR_SS_EUlSR_E_NS1_11comp_targetILNS1_3genE4ELNS1_11target_archE910ELNS1_3gpuE8ELNS1_3repE0EEENS1_30default_config_static_selectorELNS0_4arch9wavefront6targetE0EEEvT1_.num_named_barrier, 0
	.set _ZN7rocprim17ROCPRIM_400000_NS6detail17trampoline_kernelINS0_14default_configENS1_27scan_by_key_config_selectorIiiEEZZNS1_16scan_by_key_implILNS1_25lookback_scan_determinismE0ELb1ES3_N6thrust23THRUST_200600_302600_NS10device_ptrIiEESB_SB_iNS9_4plusIvEENS9_8equal_toIvEEiEE10hipError_tPvRmT2_T3_T4_T5_mT6_T7_P12ihipStream_tbENKUlT_T0_E_clISt17integral_constantIbLb1EESW_EEDaSR_SS_EUlSR_E_NS1_11comp_targetILNS1_3genE4ELNS1_11target_archE910ELNS1_3gpuE8ELNS1_3repE0EEENS1_30default_config_static_selectorELNS0_4arch9wavefront6targetE0EEEvT1_.private_seg_size, 0
	.set _ZN7rocprim17ROCPRIM_400000_NS6detail17trampoline_kernelINS0_14default_configENS1_27scan_by_key_config_selectorIiiEEZZNS1_16scan_by_key_implILNS1_25lookback_scan_determinismE0ELb1ES3_N6thrust23THRUST_200600_302600_NS10device_ptrIiEESB_SB_iNS9_4plusIvEENS9_8equal_toIvEEiEE10hipError_tPvRmT2_T3_T4_T5_mT6_T7_P12ihipStream_tbENKUlT_T0_E_clISt17integral_constantIbLb1EESW_EEDaSR_SS_EUlSR_E_NS1_11comp_targetILNS1_3genE4ELNS1_11target_archE910ELNS1_3gpuE8ELNS1_3repE0EEENS1_30default_config_static_selectorELNS0_4arch9wavefront6targetE0EEEvT1_.uses_vcc, 0
	.set _ZN7rocprim17ROCPRIM_400000_NS6detail17trampoline_kernelINS0_14default_configENS1_27scan_by_key_config_selectorIiiEEZZNS1_16scan_by_key_implILNS1_25lookback_scan_determinismE0ELb1ES3_N6thrust23THRUST_200600_302600_NS10device_ptrIiEESB_SB_iNS9_4plusIvEENS9_8equal_toIvEEiEE10hipError_tPvRmT2_T3_T4_T5_mT6_T7_P12ihipStream_tbENKUlT_T0_E_clISt17integral_constantIbLb1EESW_EEDaSR_SS_EUlSR_E_NS1_11comp_targetILNS1_3genE4ELNS1_11target_archE910ELNS1_3gpuE8ELNS1_3repE0EEENS1_30default_config_static_selectorELNS0_4arch9wavefront6targetE0EEEvT1_.uses_flat_scratch, 0
	.set _ZN7rocprim17ROCPRIM_400000_NS6detail17trampoline_kernelINS0_14default_configENS1_27scan_by_key_config_selectorIiiEEZZNS1_16scan_by_key_implILNS1_25lookback_scan_determinismE0ELb1ES3_N6thrust23THRUST_200600_302600_NS10device_ptrIiEESB_SB_iNS9_4plusIvEENS9_8equal_toIvEEiEE10hipError_tPvRmT2_T3_T4_T5_mT6_T7_P12ihipStream_tbENKUlT_T0_E_clISt17integral_constantIbLb1EESW_EEDaSR_SS_EUlSR_E_NS1_11comp_targetILNS1_3genE4ELNS1_11target_archE910ELNS1_3gpuE8ELNS1_3repE0EEENS1_30default_config_static_selectorELNS0_4arch9wavefront6targetE0EEEvT1_.has_dyn_sized_stack, 0
	.set _ZN7rocprim17ROCPRIM_400000_NS6detail17trampoline_kernelINS0_14default_configENS1_27scan_by_key_config_selectorIiiEEZZNS1_16scan_by_key_implILNS1_25lookback_scan_determinismE0ELb1ES3_N6thrust23THRUST_200600_302600_NS10device_ptrIiEESB_SB_iNS9_4plusIvEENS9_8equal_toIvEEiEE10hipError_tPvRmT2_T3_T4_T5_mT6_T7_P12ihipStream_tbENKUlT_T0_E_clISt17integral_constantIbLb1EESW_EEDaSR_SS_EUlSR_E_NS1_11comp_targetILNS1_3genE4ELNS1_11target_archE910ELNS1_3gpuE8ELNS1_3repE0EEENS1_30default_config_static_selectorELNS0_4arch9wavefront6targetE0EEEvT1_.has_recursion, 0
	.set _ZN7rocprim17ROCPRIM_400000_NS6detail17trampoline_kernelINS0_14default_configENS1_27scan_by_key_config_selectorIiiEEZZNS1_16scan_by_key_implILNS1_25lookback_scan_determinismE0ELb1ES3_N6thrust23THRUST_200600_302600_NS10device_ptrIiEESB_SB_iNS9_4plusIvEENS9_8equal_toIvEEiEE10hipError_tPvRmT2_T3_T4_T5_mT6_T7_P12ihipStream_tbENKUlT_T0_E_clISt17integral_constantIbLb1EESW_EEDaSR_SS_EUlSR_E_NS1_11comp_targetILNS1_3genE4ELNS1_11target_archE910ELNS1_3gpuE8ELNS1_3repE0EEENS1_30default_config_static_selectorELNS0_4arch9wavefront6targetE0EEEvT1_.has_indirect_call, 0
	.section	.AMDGPU.csdata,"",@progbits
; Kernel info:
; codeLenInByte = 0
; TotalNumSgprs: 0
; NumVgprs: 0
; ScratchSize: 0
; MemoryBound: 0
; FloatMode: 240
; IeeeMode: 1
; LDSByteSize: 0 bytes/workgroup (compile time only)
; SGPRBlocks: 0
; VGPRBlocks: 0
; NumSGPRsForWavesPerEU: 1
; NumVGPRsForWavesPerEU: 1
; NamedBarCnt: 0
; Occupancy: 16
; WaveLimiterHint : 0
; COMPUTE_PGM_RSRC2:SCRATCH_EN: 0
; COMPUTE_PGM_RSRC2:USER_SGPR: 2
; COMPUTE_PGM_RSRC2:TRAP_HANDLER: 0
; COMPUTE_PGM_RSRC2:TGID_X_EN: 1
; COMPUTE_PGM_RSRC2:TGID_Y_EN: 0
; COMPUTE_PGM_RSRC2:TGID_Z_EN: 0
; COMPUTE_PGM_RSRC2:TIDIG_COMP_CNT: 0
	.section	.text._ZN7rocprim17ROCPRIM_400000_NS6detail17trampoline_kernelINS0_14default_configENS1_27scan_by_key_config_selectorIiiEEZZNS1_16scan_by_key_implILNS1_25lookback_scan_determinismE0ELb1ES3_N6thrust23THRUST_200600_302600_NS10device_ptrIiEESB_SB_iNS9_4plusIvEENS9_8equal_toIvEEiEE10hipError_tPvRmT2_T3_T4_T5_mT6_T7_P12ihipStream_tbENKUlT_T0_E_clISt17integral_constantIbLb1EESW_EEDaSR_SS_EUlSR_E_NS1_11comp_targetILNS1_3genE3ELNS1_11target_archE908ELNS1_3gpuE7ELNS1_3repE0EEENS1_30default_config_static_selectorELNS0_4arch9wavefront6targetE0EEEvT1_,"axG",@progbits,_ZN7rocprim17ROCPRIM_400000_NS6detail17trampoline_kernelINS0_14default_configENS1_27scan_by_key_config_selectorIiiEEZZNS1_16scan_by_key_implILNS1_25lookback_scan_determinismE0ELb1ES3_N6thrust23THRUST_200600_302600_NS10device_ptrIiEESB_SB_iNS9_4plusIvEENS9_8equal_toIvEEiEE10hipError_tPvRmT2_T3_T4_T5_mT6_T7_P12ihipStream_tbENKUlT_T0_E_clISt17integral_constantIbLb1EESW_EEDaSR_SS_EUlSR_E_NS1_11comp_targetILNS1_3genE3ELNS1_11target_archE908ELNS1_3gpuE7ELNS1_3repE0EEENS1_30default_config_static_selectorELNS0_4arch9wavefront6targetE0EEEvT1_,comdat
	.protected	_ZN7rocprim17ROCPRIM_400000_NS6detail17trampoline_kernelINS0_14default_configENS1_27scan_by_key_config_selectorIiiEEZZNS1_16scan_by_key_implILNS1_25lookback_scan_determinismE0ELb1ES3_N6thrust23THRUST_200600_302600_NS10device_ptrIiEESB_SB_iNS9_4plusIvEENS9_8equal_toIvEEiEE10hipError_tPvRmT2_T3_T4_T5_mT6_T7_P12ihipStream_tbENKUlT_T0_E_clISt17integral_constantIbLb1EESW_EEDaSR_SS_EUlSR_E_NS1_11comp_targetILNS1_3genE3ELNS1_11target_archE908ELNS1_3gpuE7ELNS1_3repE0EEENS1_30default_config_static_selectorELNS0_4arch9wavefront6targetE0EEEvT1_ ; -- Begin function _ZN7rocprim17ROCPRIM_400000_NS6detail17trampoline_kernelINS0_14default_configENS1_27scan_by_key_config_selectorIiiEEZZNS1_16scan_by_key_implILNS1_25lookback_scan_determinismE0ELb1ES3_N6thrust23THRUST_200600_302600_NS10device_ptrIiEESB_SB_iNS9_4plusIvEENS9_8equal_toIvEEiEE10hipError_tPvRmT2_T3_T4_T5_mT6_T7_P12ihipStream_tbENKUlT_T0_E_clISt17integral_constantIbLb1EESW_EEDaSR_SS_EUlSR_E_NS1_11comp_targetILNS1_3genE3ELNS1_11target_archE908ELNS1_3gpuE7ELNS1_3repE0EEENS1_30default_config_static_selectorELNS0_4arch9wavefront6targetE0EEEvT1_
	.globl	_ZN7rocprim17ROCPRIM_400000_NS6detail17trampoline_kernelINS0_14default_configENS1_27scan_by_key_config_selectorIiiEEZZNS1_16scan_by_key_implILNS1_25lookback_scan_determinismE0ELb1ES3_N6thrust23THRUST_200600_302600_NS10device_ptrIiEESB_SB_iNS9_4plusIvEENS9_8equal_toIvEEiEE10hipError_tPvRmT2_T3_T4_T5_mT6_T7_P12ihipStream_tbENKUlT_T0_E_clISt17integral_constantIbLb1EESW_EEDaSR_SS_EUlSR_E_NS1_11comp_targetILNS1_3genE3ELNS1_11target_archE908ELNS1_3gpuE7ELNS1_3repE0EEENS1_30default_config_static_selectorELNS0_4arch9wavefront6targetE0EEEvT1_
	.p2align	8
	.type	_ZN7rocprim17ROCPRIM_400000_NS6detail17trampoline_kernelINS0_14default_configENS1_27scan_by_key_config_selectorIiiEEZZNS1_16scan_by_key_implILNS1_25lookback_scan_determinismE0ELb1ES3_N6thrust23THRUST_200600_302600_NS10device_ptrIiEESB_SB_iNS9_4plusIvEENS9_8equal_toIvEEiEE10hipError_tPvRmT2_T3_T4_T5_mT6_T7_P12ihipStream_tbENKUlT_T0_E_clISt17integral_constantIbLb1EESW_EEDaSR_SS_EUlSR_E_NS1_11comp_targetILNS1_3genE3ELNS1_11target_archE908ELNS1_3gpuE7ELNS1_3repE0EEENS1_30default_config_static_selectorELNS0_4arch9wavefront6targetE0EEEvT1_,@function
_ZN7rocprim17ROCPRIM_400000_NS6detail17trampoline_kernelINS0_14default_configENS1_27scan_by_key_config_selectorIiiEEZZNS1_16scan_by_key_implILNS1_25lookback_scan_determinismE0ELb1ES3_N6thrust23THRUST_200600_302600_NS10device_ptrIiEESB_SB_iNS9_4plusIvEENS9_8equal_toIvEEiEE10hipError_tPvRmT2_T3_T4_T5_mT6_T7_P12ihipStream_tbENKUlT_T0_E_clISt17integral_constantIbLb1EESW_EEDaSR_SS_EUlSR_E_NS1_11comp_targetILNS1_3genE3ELNS1_11target_archE908ELNS1_3gpuE7ELNS1_3repE0EEENS1_30default_config_static_selectorELNS0_4arch9wavefront6targetE0EEEvT1_: ; @_ZN7rocprim17ROCPRIM_400000_NS6detail17trampoline_kernelINS0_14default_configENS1_27scan_by_key_config_selectorIiiEEZZNS1_16scan_by_key_implILNS1_25lookback_scan_determinismE0ELb1ES3_N6thrust23THRUST_200600_302600_NS10device_ptrIiEESB_SB_iNS9_4plusIvEENS9_8equal_toIvEEiEE10hipError_tPvRmT2_T3_T4_T5_mT6_T7_P12ihipStream_tbENKUlT_T0_E_clISt17integral_constantIbLb1EESW_EEDaSR_SS_EUlSR_E_NS1_11comp_targetILNS1_3genE3ELNS1_11target_archE908ELNS1_3gpuE7ELNS1_3repE0EEENS1_30default_config_static_selectorELNS0_4arch9wavefront6targetE0EEEvT1_
; %bb.0:
	.section	.rodata,"a",@progbits
	.p2align	6, 0x0
	.amdhsa_kernel _ZN7rocprim17ROCPRIM_400000_NS6detail17trampoline_kernelINS0_14default_configENS1_27scan_by_key_config_selectorIiiEEZZNS1_16scan_by_key_implILNS1_25lookback_scan_determinismE0ELb1ES3_N6thrust23THRUST_200600_302600_NS10device_ptrIiEESB_SB_iNS9_4plusIvEENS9_8equal_toIvEEiEE10hipError_tPvRmT2_T3_T4_T5_mT6_T7_P12ihipStream_tbENKUlT_T0_E_clISt17integral_constantIbLb1EESW_EEDaSR_SS_EUlSR_E_NS1_11comp_targetILNS1_3genE3ELNS1_11target_archE908ELNS1_3gpuE7ELNS1_3repE0EEENS1_30default_config_static_selectorELNS0_4arch9wavefront6targetE0EEEvT1_
		.amdhsa_group_segment_fixed_size 0
		.amdhsa_private_segment_fixed_size 0
		.amdhsa_kernarg_size 112
		.amdhsa_user_sgpr_count 2
		.amdhsa_user_sgpr_dispatch_ptr 0
		.amdhsa_user_sgpr_queue_ptr 0
		.amdhsa_user_sgpr_kernarg_segment_ptr 1
		.amdhsa_user_sgpr_dispatch_id 0
		.amdhsa_user_sgpr_kernarg_preload_length 0
		.amdhsa_user_sgpr_kernarg_preload_offset 0
		.amdhsa_user_sgpr_private_segment_size 0
		.amdhsa_wavefront_size32 1
		.amdhsa_uses_dynamic_stack 0
		.amdhsa_enable_private_segment 0
		.amdhsa_system_sgpr_workgroup_id_x 1
		.amdhsa_system_sgpr_workgroup_id_y 0
		.amdhsa_system_sgpr_workgroup_id_z 0
		.amdhsa_system_sgpr_workgroup_info 0
		.amdhsa_system_vgpr_workitem_id 0
		.amdhsa_next_free_vgpr 1
		.amdhsa_next_free_sgpr 1
		.amdhsa_named_barrier_count 0
		.amdhsa_reserve_vcc 0
		.amdhsa_float_round_mode_32 0
		.amdhsa_float_round_mode_16_64 0
		.amdhsa_float_denorm_mode_32 3
		.amdhsa_float_denorm_mode_16_64 3
		.amdhsa_fp16_overflow 0
		.amdhsa_memory_ordered 1
		.amdhsa_forward_progress 1
		.amdhsa_inst_pref_size 0
		.amdhsa_round_robin_scheduling 0
		.amdhsa_exception_fp_ieee_invalid_op 0
		.amdhsa_exception_fp_denorm_src 0
		.amdhsa_exception_fp_ieee_div_zero 0
		.amdhsa_exception_fp_ieee_overflow 0
		.amdhsa_exception_fp_ieee_underflow 0
		.amdhsa_exception_fp_ieee_inexact 0
		.amdhsa_exception_int_div_zero 0
	.end_amdhsa_kernel
	.section	.text._ZN7rocprim17ROCPRIM_400000_NS6detail17trampoline_kernelINS0_14default_configENS1_27scan_by_key_config_selectorIiiEEZZNS1_16scan_by_key_implILNS1_25lookback_scan_determinismE0ELb1ES3_N6thrust23THRUST_200600_302600_NS10device_ptrIiEESB_SB_iNS9_4plusIvEENS9_8equal_toIvEEiEE10hipError_tPvRmT2_T3_T4_T5_mT6_T7_P12ihipStream_tbENKUlT_T0_E_clISt17integral_constantIbLb1EESW_EEDaSR_SS_EUlSR_E_NS1_11comp_targetILNS1_3genE3ELNS1_11target_archE908ELNS1_3gpuE7ELNS1_3repE0EEENS1_30default_config_static_selectorELNS0_4arch9wavefront6targetE0EEEvT1_,"axG",@progbits,_ZN7rocprim17ROCPRIM_400000_NS6detail17trampoline_kernelINS0_14default_configENS1_27scan_by_key_config_selectorIiiEEZZNS1_16scan_by_key_implILNS1_25lookback_scan_determinismE0ELb1ES3_N6thrust23THRUST_200600_302600_NS10device_ptrIiEESB_SB_iNS9_4plusIvEENS9_8equal_toIvEEiEE10hipError_tPvRmT2_T3_T4_T5_mT6_T7_P12ihipStream_tbENKUlT_T0_E_clISt17integral_constantIbLb1EESW_EEDaSR_SS_EUlSR_E_NS1_11comp_targetILNS1_3genE3ELNS1_11target_archE908ELNS1_3gpuE7ELNS1_3repE0EEENS1_30default_config_static_selectorELNS0_4arch9wavefront6targetE0EEEvT1_,comdat
.Lfunc_end2246:
	.size	_ZN7rocprim17ROCPRIM_400000_NS6detail17trampoline_kernelINS0_14default_configENS1_27scan_by_key_config_selectorIiiEEZZNS1_16scan_by_key_implILNS1_25lookback_scan_determinismE0ELb1ES3_N6thrust23THRUST_200600_302600_NS10device_ptrIiEESB_SB_iNS9_4plusIvEENS9_8equal_toIvEEiEE10hipError_tPvRmT2_T3_T4_T5_mT6_T7_P12ihipStream_tbENKUlT_T0_E_clISt17integral_constantIbLb1EESW_EEDaSR_SS_EUlSR_E_NS1_11comp_targetILNS1_3genE3ELNS1_11target_archE908ELNS1_3gpuE7ELNS1_3repE0EEENS1_30default_config_static_selectorELNS0_4arch9wavefront6targetE0EEEvT1_, .Lfunc_end2246-_ZN7rocprim17ROCPRIM_400000_NS6detail17trampoline_kernelINS0_14default_configENS1_27scan_by_key_config_selectorIiiEEZZNS1_16scan_by_key_implILNS1_25lookback_scan_determinismE0ELb1ES3_N6thrust23THRUST_200600_302600_NS10device_ptrIiEESB_SB_iNS9_4plusIvEENS9_8equal_toIvEEiEE10hipError_tPvRmT2_T3_T4_T5_mT6_T7_P12ihipStream_tbENKUlT_T0_E_clISt17integral_constantIbLb1EESW_EEDaSR_SS_EUlSR_E_NS1_11comp_targetILNS1_3genE3ELNS1_11target_archE908ELNS1_3gpuE7ELNS1_3repE0EEENS1_30default_config_static_selectorELNS0_4arch9wavefront6targetE0EEEvT1_
                                        ; -- End function
	.set _ZN7rocprim17ROCPRIM_400000_NS6detail17trampoline_kernelINS0_14default_configENS1_27scan_by_key_config_selectorIiiEEZZNS1_16scan_by_key_implILNS1_25lookback_scan_determinismE0ELb1ES3_N6thrust23THRUST_200600_302600_NS10device_ptrIiEESB_SB_iNS9_4plusIvEENS9_8equal_toIvEEiEE10hipError_tPvRmT2_T3_T4_T5_mT6_T7_P12ihipStream_tbENKUlT_T0_E_clISt17integral_constantIbLb1EESW_EEDaSR_SS_EUlSR_E_NS1_11comp_targetILNS1_3genE3ELNS1_11target_archE908ELNS1_3gpuE7ELNS1_3repE0EEENS1_30default_config_static_selectorELNS0_4arch9wavefront6targetE0EEEvT1_.num_vgpr, 0
	.set _ZN7rocprim17ROCPRIM_400000_NS6detail17trampoline_kernelINS0_14default_configENS1_27scan_by_key_config_selectorIiiEEZZNS1_16scan_by_key_implILNS1_25lookback_scan_determinismE0ELb1ES3_N6thrust23THRUST_200600_302600_NS10device_ptrIiEESB_SB_iNS9_4plusIvEENS9_8equal_toIvEEiEE10hipError_tPvRmT2_T3_T4_T5_mT6_T7_P12ihipStream_tbENKUlT_T0_E_clISt17integral_constantIbLb1EESW_EEDaSR_SS_EUlSR_E_NS1_11comp_targetILNS1_3genE3ELNS1_11target_archE908ELNS1_3gpuE7ELNS1_3repE0EEENS1_30default_config_static_selectorELNS0_4arch9wavefront6targetE0EEEvT1_.num_agpr, 0
	.set _ZN7rocprim17ROCPRIM_400000_NS6detail17trampoline_kernelINS0_14default_configENS1_27scan_by_key_config_selectorIiiEEZZNS1_16scan_by_key_implILNS1_25lookback_scan_determinismE0ELb1ES3_N6thrust23THRUST_200600_302600_NS10device_ptrIiEESB_SB_iNS9_4plusIvEENS9_8equal_toIvEEiEE10hipError_tPvRmT2_T3_T4_T5_mT6_T7_P12ihipStream_tbENKUlT_T0_E_clISt17integral_constantIbLb1EESW_EEDaSR_SS_EUlSR_E_NS1_11comp_targetILNS1_3genE3ELNS1_11target_archE908ELNS1_3gpuE7ELNS1_3repE0EEENS1_30default_config_static_selectorELNS0_4arch9wavefront6targetE0EEEvT1_.numbered_sgpr, 0
	.set _ZN7rocprim17ROCPRIM_400000_NS6detail17trampoline_kernelINS0_14default_configENS1_27scan_by_key_config_selectorIiiEEZZNS1_16scan_by_key_implILNS1_25lookback_scan_determinismE0ELb1ES3_N6thrust23THRUST_200600_302600_NS10device_ptrIiEESB_SB_iNS9_4plusIvEENS9_8equal_toIvEEiEE10hipError_tPvRmT2_T3_T4_T5_mT6_T7_P12ihipStream_tbENKUlT_T0_E_clISt17integral_constantIbLb1EESW_EEDaSR_SS_EUlSR_E_NS1_11comp_targetILNS1_3genE3ELNS1_11target_archE908ELNS1_3gpuE7ELNS1_3repE0EEENS1_30default_config_static_selectorELNS0_4arch9wavefront6targetE0EEEvT1_.num_named_barrier, 0
	.set _ZN7rocprim17ROCPRIM_400000_NS6detail17trampoline_kernelINS0_14default_configENS1_27scan_by_key_config_selectorIiiEEZZNS1_16scan_by_key_implILNS1_25lookback_scan_determinismE0ELb1ES3_N6thrust23THRUST_200600_302600_NS10device_ptrIiEESB_SB_iNS9_4plusIvEENS9_8equal_toIvEEiEE10hipError_tPvRmT2_T3_T4_T5_mT6_T7_P12ihipStream_tbENKUlT_T0_E_clISt17integral_constantIbLb1EESW_EEDaSR_SS_EUlSR_E_NS1_11comp_targetILNS1_3genE3ELNS1_11target_archE908ELNS1_3gpuE7ELNS1_3repE0EEENS1_30default_config_static_selectorELNS0_4arch9wavefront6targetE0EEEvT1_.private_seg_size, 0
	.set _ZN7rocprim17ROCPRIM_400000_NS6detail17trampoline_kernelINS0_14default_configENS1_27scan_by_key_config_selectorIiiEEZZNS1_16scan_by_key_implILNS1_25lookback_scan_determinismE0ELb1ES3_N6thrust23THRUST_200600_302600_NS10device_ptrIiEESB_SB_iNS9_4plusIvEENS9_8equal_toIvEEiEE10hipError_tPvRmT2_T3_T4_T5_mT6_T7_P12ihipStream_tbENKUlT_T0_E_clISt17integral_constantIbLb1EESW_EEDaSR_SS_EUlSR_E_NS1_11comp_targetILNS1_3genE3ELNS1_11target_archE908ELNS1_3gpuE7ELNS1_3repE0EEENS1_30default_config_static_selectorELNS0_4arch9wavefront6targetE0EEEvT1_.uses_vcc, 0
	.set _ZN7rocprim17ROCPRIM_400000_NS6detail17trampoline_kernelINS0_14default_configENS1_27scan_by_key_config_selectorIiiEEZZNS1_16scan_by_key_implILNS1_25lookback_scan_determinismE0ELb1ES3_N6thrust23THRUST_200600_302600_NS10device_ptrIiEESB_SB_iNS9_4plusIvEENS9_8equal_toIvEEiEE10hipError_tPvRmT2_T3_T4_T5_mT6_T7_P12ihipStream_tbENKUlT_T0_E_clISt17integral_constantIbLb1EESW_EEDaSR_SS_EUlSR_E_NS1_11comp_targetILNS1_3genE3ELNS1_11target_archE908ELNS1_3gpuE7ELNS1_3repE0EEENS1_30default_config_static_selectorELNS0_4arch9wavefront6targetE0EEEvT1_.uses_flat_scratch, 0
	.set _ZN7rocprim17ROCPRIM_400000_NS6detail17trampoline_kernelINS0_14default_configENS1_27scan_by_key_config_selectorIiiEEZZNS1_16scan_by_key_implILNS1_25lookback_scan_determinismE0ELb1ES3_N6thrust23THRUST_200600_302600_NS10device_ptrIiEESB_SB_iNS9_4plusIvEENS9_8equal_toIvEEiEE10hipError_tPvRmT2_T3_T4_T5_mT6_T7_P12ihipStream_tbENKUlT_T0_E_clISt17integral_constantIbLb1EESW_EEDaSR_SS_EUlSR_E_NS1_11comp_targetILNS1_3genE3ELNS1_11target_archE908ELNS1_3gpuE7ELNS1_3repE0EEENS1_30default_config_static_selectorELNS0_4arch9wavefront6targetE0EEEvT1_.has_dyn_sized_stack, 0
	.set _ZN7rocprim17ROCPRIM_400000_NS6detail17trampoline_kernelINS0_14default_configENS1_27scan_by_key_config_selectorIiiEEZZNS1_16scan_by_key_implILNS1_25lookback_scan_determinismE0ELb1ES3_N6thrust23THRUST_200600_302600_NS10device_ptrIiEESB_SB_iNS9_4plusIvEENS9_8equal_toIvEEiEE10hipError_tPvRmT2_T3_T4_T5_mT6_T7_P12ihipStream_tbENKUlT_T0_E_clISt17integral_constantIbLb1EESW_EEDaSR_SS_EUlSR_E_NS1_11comp_targetILNS1_3genE3ELNS1_11target_archE908ELNS1_3gpuE7ELNS1_3repE0EEENS1_30default_config_static_selectorELNS0_4arch9wavefront6targetE0EEEvT1_.has_recursion, 0
	.set _ZN7rocprim17ROCPRIM_400000_NS6detail17trampoline_kernelINS0_14default_configENS1_27scan_by_key_config_selectorIiiEEZZNS1_16scan_by_key_implILNS1_25lookback_scan_determinismE0ELb1ES3_N6thrust23THRUST_200600_302600_NS10device_ptrIiEESB_SB_iNS9_4plusIvEENS9_8equal_toIvEEiEE10hipError_tPvRmT2_T3_T4_T5_mT6_T7_P12ihipStream_tbENKUlT_T0_E_clISt17integral_constantIbLb1EESW_EEDaSR_SS_EUlSR_E_NS1_11comp_targetILNS1_3genE3ELNS1_11target_archE908ELNS1_3gpuE7ELNS1_3repE0EEENS1_30default_config_static_selectorELNS0_4arch9wavefront6targetE0EEEvT1_.has_indirect_call, 0
	.section	.AMDGPU.csdata,"",@progbits
; Kernel info:
; codeLenInByte = 0
; TotalNumSgprs: 0
; NumVgprs: 0
; ScratchSize: 0
; MemoryBound: 0
; FloatMode: 240
; IeeeMode: 1
; LDSByteSize: 0 bytes/workgroup (compile time only)
; SGPRBlocks: 0
; VGPRBlocks: 0
; NumSGPRsForWavesPerEU: 1
; NumVGPRsForWavesPerEU: 1
; NamedBarCnt: 0
; Occupancy: 16
; WaveLimiterHint : 0
; COMPUTE_PGM_RSRC2:SCRATCH_EN: 0
; COMPUTE_PGM_RSRC2:USER_SGPR: 2
; COMPUTE_PGM_RSRC2:TRAP_HANDLER: 0
; COMPUTE_PGM_RSRC2:TGID_X_EN: 1
; COMPUTE_PGM_RSRC2:TGID_Y_EN: 0
; COMPUTE_PGM_RSRC2:TGID_Z_EN: 0
; COMPUTE_PGM_RSRC2:TIDIG_COMP_CNT: 0
	.section	.text._ZN7rocprim17ROCPRIM_400000_NS6detail17trampoline_kernelINS0_14default_configENS1_27scan_by_key_config_selectorIiiEEZZNS1_16scan_by_key_implILNS1_25lookback_scan_determinismE0ELb1ES3_N6thrust23THRUST_200600_302600_NS10device_ptrIiEESB_SB_iNS9_4plusIvEENS9_8equal_toIvEEiEE10hipError_tPvRmT2_T3_T4_T5_mT6_T7_P12ihipStream_tbENKUlT_T0_E_clISt17integral_constantIbLb1EESW_EEDaSR_SS_EUlSR_E_NS1_11comp_targetILNS1_3genE2ELNS1_11target_archE906ELNS1_3gpuE6ELNS1_3repE0EEENS1_30default_config_static_selectorELNS0_4arch9wavefront6targetE0EEEvT1_,"axG",@progbits,_ZN7rocprim17ROCPRIM_400000_NS6detail17trampoline_kernelINS0_14default_configENS1_27scan_by_key_config_selectorIiiEEZZNS1_16scan_by_key_implILNS1_25lookback_scan_determinismE0ELb1ES3_N6thrust23THRUST_200600_302600_NS10device_ptrIiEESB_SB_iNS9_4plusIvEENS9_8equal_toIvEEiEE10hipError_tPvRmT2_T3_T4_T5_mT6_T7_P12ihipStream_tbENKUlT_T0_E_clISt17integral_constantIbLb1EESW_EEDaSR_SS_EUlSR_E_NS1_11comp_targetILNS1_3genE2ELNS1_11target_archE906ELNS1_3gpuE6ELNS1_3repE0EEENS1_30default_config_static_selectorELNS0_4arch9wavefront6targetE0EEEvT1_,comdat
	.protected	_ZN7rocprim17ROCPRIM_400000_NS6detail17trampoline_kernelINS0_14default_configENS1_27scan_by_key_config_selectorIiiEEZZNS1_16scan_by_key_implILNS1_25lookback_scan_determinismE0ELb1ES3_N6thrust23THRUST_200600_302600_NS10device_ptrIiEESB_SB_iNS9_4plusIvEENS9_8equal_toIvEEiEE10hipError_tPvRmT2_T3_T4_T5_mT6_T7_P12ihipStream_tbENKUlT_T0_E_clISt17integral_constantIbLb1EESW_EEDaSR_SS_EUlSR_E_NS1_11comp_targetILNS1_3genE2ELNS1_11target_archE906ELNS1_3gpuE6ELNS1_3repE0EEENS1_30default_config_static_selectorELNS0_4arch9wavefront6targetE0EEEvT1_ ; -- Begin function _ZN7rocprim17ROCPRIM_400000_NS6detail17trampoline_kernelINS0_14default_configENS1_27scan_by_key_config_selectorIiiEEZZNS1_16scan_by_key_implILNS1_25lookback_scan_determinismE0ELb1ES3_N6thrust23THRUST_200600_302600_NS10device_ptrIiEESB_SB_iNS9_4plusIvEENS9_8equal_toIvEEiEE10hipError_tPvRmT2_T3_T4_T5_mT6_T7_P12ihipStream_tbENKUlT_T0_E_clISt17integral_constantIbLb1EESW_EEDaSR_SS_EUlSR_E_NS1_11comp_targetILNS1_3genE2ELNS1_11target_archE906ELNS1_3gpuE6ELNS1_3repE0EEENS1_30default_config_static_selectorELNS0_4arch9wavefront6targetE0EEEvT1_
	.globl	_ZN7rocprim17ROCPRIM_400000_NS6detail17trampoline_kernelINS0_14default_configENS1_27scan_by_key_config_selectorIiiEEZZNS1_16scan_by_key_implILNS1_25lookback_scan_determinismE0ELb1ES3_N6thrust23THRUST_200600_302600_NS10device_ptrIiEESB_SB_iNS9_4plusIvEENS9_8equal_toIvEEiEE10hipError_tPvRmT2_T3_T4_T5_mT6_T7_P12ihipStream_tbENKUlT_T0_E_clISt17integral_constantIbLb1EESW_EEDaSR_SS_EUlSR_E_NS1_11comp_targetILNS1_3genE2ELNS1_11target_archE906ELNS1_3gpuE6ELNS1_3repE0EEENS1_30default_config_static_selectorELNS0_4arch9wavefront6targetE0EEEvT1_
	.p2align	8
	.type	_ZN7rocprim17ROCPRIM_400000_NS6detail17trampoline_kernelINS0_14default_configENS1_27scan_by_key_config_selectorIiiEEZZNS1_16scan_by_key_implILNS1_25lookback_scan_determinismE0ELb1ES3_N6thrust23THRUST_200600_302600_NS10device_ptrIiEESB_SB_iNS9_4plusIvEENS9_8equal_toIvEEiEE10hipError_tPvRmT2_T3_T4_T5_mT6_T7_P12ihipStream_tbENKUlT_T0_E_clISt17integral_constantIbLb1EESW_EEDaSR_SS_EUlSR_E_NS1_11comp_targetILNS1_3genE2ELNS1_11target_archE906ELNS1_3gpuE6ELNS1_3repE0EEENS1_30default_config_static_selectorELNS0_4arch9wavefront6targetE0EEEvT1_,@function
_ZN7rocprim17ROCPRIM_400000_NS6detail17trampoline_kernelINS0_14default_configENS1_27scan_by_key_config_selectorIiiEEZZNS1_16scan_by_key_implILNS1_25lookback_scan_determinismE0ELb1ES3_N6thrust23THRUST_200600_302600_NS10device_ptrIiEESB_SB_iNS9_4plusIvEENS9_8equal_toIvEEiEE10hipError_tPvRmT2_T3_T4_T5_mT6_T7_P12ihipStream_tbENKUlT_T0_E_clISt17integral_constantIbLb1EESW_EEDaSR_SS_EUlSR_E_NS1_11comp_targetILNS1_3genE2ELNS1_11target_archE906ELNS1_3gpuE6ELNS1_3repE0EEENS1_30default_config_static_selectorELNS0_4arch9wavefront6targetE0EEEvT1_: ; @_ZN7rocprim17ROCPRIM_400000_NS6detail17trampoline_kernelINS0_14default_configENS1_27scan_by_key_config_selectorIiiEEZZNS1_16scan_by_key_implILNS1_25lookback_scan_determinismE0ELb1ES3_N6thrust23THRUST_200600_302600_NS10device_ptrIiEESB_SB_iNS9_4plusIvEENS9_8equal_toIvEEiEE10hipError_tPvRmT2_T3_T4_T5_mT6_T7_P12ihipStream_tbENKUlT_T0_E_clISt17integral_constantIbLb1EESW_EEDaSR_SS_EUlSR_E_NS1_11comp_targetILNS1_3genE2ELNS1_11target_archE906ELNS1_3gpuE6ELNS1_3repE0EEENS1_30default_config_static_selectorELNS0_4arch9wavefront6targetE0EEEvT1_
; %bb.0:
	.section	.rodata,"a",@progbits
	.p2align	6, 0x0
	.amdhsa_kernel _ZN7rocprim17ROCPRIM_400000_NS6detail17trampoline_kernelINS0_14default_configENS1_27scan_by_key_config_selectorIiiEEZZNS1_16scan_by_key_implILNS1_25lookback_scan_determinismE0ELb1ES3_N6thrust23THRUST_200600_302600_NS10device_ptrIiEESB_SB_iNS9_4plusIvEENS9_8equal_toIvEEiEE10hipError_tPvRmT2_T3_T4_T5_mT6_T7_P12ihipStream_tbENKUlT_T0_E_clISt17integral_constantIbLb1EESW_EEDaSR_SS_EUlSR_E_NS1_11comp_targetILNS1_3genE2ELNS1_11target_archE906ELNS1_3gpuE6ELNS1_3repE0EEENS1_30default_config_static_selectorELNS0_4arch9wavefront6targetE0EEEvT1_
		.amdhsa_group_segment_fixed_size 0
		.amdhsa_private_segment_fixed_size 0
		.amdhsa_kernarg_size 112
		.amdhsa_user_sgpr_count 2
		.amdhsa_user_sgpr_dispatch_ptr 0
		.amdhsa_user_sgpr_queue_ptr 0
		.amdhsa_user_sgpr_kernarg_segment_ptr 1
		.amdhsa_user_sgpr_dispatch_id 0
		.amdhsa_user_sgpr_kernarg_preload_length 0
		.amdhsa_user_sgpr_kernarg_preload_offset 0
		.amdhsa_user_sgpr_private_segment_size 0
		.amdhsa_wavefront_size32 1
		.amdhsa_uses_dynamic_stack 0
		.amdhsa_enable_private_segment 0
		.amdhsa_system_sgpr_workgroup_id_x 1
		.amdhsa_system_sgpr_workgroup_id_y 0
		.amdhsa_system_sgpr_workgroup_id_z 0
		.amdhsa_system_sgpr_workgroup_info 0
		.amdhsa_system_vgpr_workitem_id 0
		.amdhsa_next_free_vgpr 1
		.amdhsa_next_free_sgpr 1
		.amdhsa_named_barrier_count 0
		.amdhsa_reserve_vcc 0
		.amdhsa_float_round_mode_32 0
		.amdhsa_float_round_mode_16_64 0
		.amdhsa_float_denorm_mode_32 3
		.amdhsa_float_denorm_mode_16_64 3
		.amdhsa_fp16_overflow 0
		.amdhsa_memory_ordered 1
		.amdhsa_forward_progress 1
		.amdhsa_inst_pref_size 0
		.amdhsa_round_robin_scheduling 0
		.amdhsa_exception_fp_ieee_invalid_op 0
		.amdhsa_exception_fp_denorm_src 0
		.amdhsa_exception_fp_ieee_div_zero 0
		.amdhsa_exception_fp_ieee_overflow 0
		.amdhsa_exception_fp_ieee_underflow 0
		.amdhsa_exception_fp_ieee_inexact 0
		.amdhsa_exception_int_div_zero 0
	.end_amdhsa_kernel
	.section	.text._ZN7rocprim17ROCPRIM_400000_NS6detail17trampoline_kernelINS0_14default_configENS1_27scan_by_key_config_selectorIiiEEZZNS1_16scan_by_key_implILNS1_25lookback_scan_determinismE0ELb1ES3_N6thrust23THRUST_200600_302600_NS10device_ptrIiEESB_SB_iNS9_4plusIvEENS9_8equal_toIvEEiEE10hipError_tPvRmT2_T3_T4_T5_mT6_T7_P12ihipStream_tbENKUlT_T0_E_clISt17integral_constantIbLb1EESW_EEDaSR_SS_EUlSR_E_NS1_11comp_targetILNS1_3genE2ELNS1_11target_archE906ELNS1_3gpuE6ELNS1_3repE0EEENS1_30default_config_static_selectorELNS0_4arch9wavefront6targetE0EEEvT1_,"axG",@progbits,_ZN7rocprim17ROCPRIM_400000_NS6detail17trampoline_kernelINS0_14default_configENS1_27scan_by_key_config_selectorIiiEEZZNS1_16scan_by_key_implILNS1_25lookback_scan_determinismE0ELb1ES3_N6thrust23THRUST_200600_302600_NS10device_ptrIiEESB_SB_iNS9_4plusIvEENS9_8equal_toIvEEiEE10hipError_tPvRmT2_T3_T4_T5_mT6_T7_P12ihipStream_tbENKUlT_T0_E_clISt17integral_constantIbLb1EESW_EEDaSR_SS_EUlSR_E_NS1_11comp_targetILNS1_3genE2ELNS1_11target_archE906ELNS1_3gpuE6ELNS1_3repE0EEENS1_30default_config_static_selectorELNS0_4arch9wavefront6targetE0EEEvT1_,comdat
.Lfunc_end2247:
	.size	_ZN7rocprim17ROCPRIM_400000_NS6detail17trampoline_kernelINS0_14default_configENS1_27scan_by_key_config_selectorIiiEEZZNS1_16scan_by_key_implILNS1_25lookback_scan_determinismE0ELb1ES3_N6thrust23THRUST_200600_302600_NS10device_ptrIiEESB_SB_iNS9_4plusIvEENS9_8equal_toIvEEiEE10hipError_tPvRmT2_T3_T4_T5_mT6_T7_P12ihipStream_tbENKUlT_T0_E_clISt17integral_constantIbLb1EESW_EEDaSR_SS_EUlSR_E_NS1_11comp_targetILNS1_3genE2ELNS1_11target_archE906ELNS1_3gpuE6ELNS1_3repE0EEENS1_30default_config_static_selectorELNS0_4arch9wavefront6targetE0EEEvT1_, .Lfunc_end2247-_ZN7rocprim17ROCPRIM_400000_NS6detail17trampoline_kernelINS0_14default_configENS1_27scan_by_key_config_selectorIiiEEZZNS1_16scan_by_key_implILNS1_25lookback_scan_determinismE0ELb1ES3_N6thrust23THRUST_200600_302600_NS10device_ptrIiEESB_SB_iNS9_4plusIvEENS9_8equal_toIvEEiEE10hipError_tPvRmT2_T3_T4_T5_mT6_T7_P12ihipStream_tbENKUlT_T0_E_clISt17integral_constantIbLb1EESW_EEDaSR_SS_EUlSR_E_NS1_11comp_targetILNS1_3genE2ELNS1_11target_archE906ELNS1_3gpuE6ELNS1_3repE0EEENS1_30default_config_static_selectorELNS0_4arch9wavefront6targetE0EEEvT1_
                                        ; -- End function
	.set _ZN7rocprim17ROCPRIM_400000_NS6detail17trampoline_kernelINS0_14default_configENS1_27scan_by_key_config_selectorIiiEEZZNS1_16scan_by_key_implILNS1_25lookback_scan_determinismE0ELb1ES3_N6thrust23THRUST_200600_302600_NS10device_ptrIiEESB_SB_iNS9_4plusIvEENS9_8equal_toIvEEiEE10hipError_tPvRmT2_T3_T4_T5_mT6_T7_P12ihipStream_tbENKUlT_T0_E_clISt17integral_constantIbLb1EESW_EEDaSR_SS_EUlSR_E_NS1_11comp_targetILNS1_3genE2ELNS1_11target_archE906ELNS1_3gpuE6ELNS1_3repE0EEENS1_30default_config_static_selectorELNS0_4arch9wavefront6targetE0EEEvT1_.num_vgpr, 0
	.set _ZN7rocprim17ROCPRIM_400000_NS6detail17trampoline_kernelINS0_14default_configENS1_27scan_by_key_config_selectorIiiEEZZNS1_16scan_by_key_implILNS1_25lookback_scan_determinismE0ELb1ES3_N6thrust23THRUST_200600_302600_NS10device_ptrIiEESB_SB_iNS9_4plusIvEENS9_8equal_toIvEEiEE10hipError_tPvRmT2_T3_T4_T5_mT6_T7_P12ihipStream_tbENKUlT_T0_E_clISt17integral_constantIbLb1EESW_EEDaSR_SS_EUlSR_E_NS1_11comp_targetILNS1_3genE2ELNS1_11target_archE906ELNS1_3gpuE6ELNS1_3repE0EEENS1_30default_config_static_selectorELNS0_4arch9wavefront6targetE0EEEvT1_.num_agpr, 0
	.set _ZN7rocprim17ROCPRIM_400000_NS6detail17trampoline_kernelINS0_14default_configENS1_27scan_by_key_config_selectorIiiEEZZNS1_16scan_by_key_implILNS1_25lookback_scan_determinismE0ELb1ES3_N6thrust23THRUST_200600_302600_NS10device_ptrIiEESB_SB_iNS9_4plusIvEENS9_8equal_toIvEEiEE10hipError_tPvRmT2_T3_T4_T5_mT6_T7_P12ihipStream_tbENKUlT_T0_E_clISt17integral_constantIbLb1EESW_EEDaSR_SS_EUlSR_E_NS1_11comp_targetILNS1_3genE2ELNS1_11target_archE906ELNS1_3gpuE6ELNS1_3repE0EEENS1_30default_config_static_selectorELNS0_4arch9wavefront6targetE0EEEvT1_.numbered_sgpr, 0
	.set _ZN7rocprim17ROCPRIM_400000_NS6detail17trampoline_kernelINS0_14default_configENS1_27scan_by_key_config_selectorIiiEEZZNS1_16scan_by_key_implILNS1_25lookback_scan_determinismE0ELb1ES3_N6thrust23THRUST_200600_302600_NS10device_ptrIiEESB_SB_iNS9_4plusIvEENS9_8equal_toIvEEiEE10hipError_tPvRmT2_T3_T4_T5_mT6_T7_P12ihipStream_tbENKUlT_T0_E_clISt17integral_constantIbLb1EESW_EEDaSR_SS_EUlSR_E_NS1_11comp_targetILNS1_3genE2ELNS1_11target_archE906ELNS1_3gpuE6ELNS1_3repE0EEENS1_30default_config_static_selectorELNS0_4arch9wavefront6targetE0EEEvT1_.num_named_barrier, 0
	.set _ZN7rocprim17ROCPRIM_400000_NS6detail17trampoline_kernelINS0_14default_configENS1_27scan_by_key_config_selectorIiiEEZZNS1_16scan_by_key_implILNS1_25lookback_scan_determinismE0ELb1ES3_N6thrust23THRUST_200600_302600_NS10device_ptrIiEESB_SB_iNS9_4plusIvEENS9_8equal_toIvEEiEE10hipError_tPvRmT2_T3_T4_T5_mT6_T7_P12ihipStream_tbENKUlT_T0_E_clISt17integral_constantIbLb1EESW_EEDaSR_SS_EUlSR_E_NS1_11comp_targetILNS1_3genE2ELNS1_11target_archE906ELNS1_3gpuE6ELNS1_3repE0EEENS1_30default_config_static_selectorELNS0_4arch9wavefront6targetE0EEEvT1_.private_seg_size, 0
	.set _ZN7rocprim17ROCPRIM_400000_NS6detail17trampoline_kernelINS0_14default_configENS1_27scan_by_key_config_selectorIiiEEZZNS1_16scan_by_key_implILNS1_25lookback_scan_determinismE0ELb1ES3_N6thrust23THRUST_200600_302600_NS10device_ptrIiEESB_SB_iNS9_4plusIvEENS9_8equal_toIvEEiEE10hipError_tPvRmT2_T3_T4_T5_mT6_T7_P12ihipStream_tbENKUlT_T0_E_clISt17integral_constantIbLb1EESW_EEDaSR_SS_EUlSR_E_NS1_11comp_targetILNS1_3genE2ELNS1_11target_archE906ELNS1_3gpuE6ELNS1_3repE0EEENS1_30default_config_static_selectorELNS0_4arch9wavefront6targetE0EEEvT1_.uses_vcc, 0
	.set _ZN7rocprim17ROCPRIM_400000_NS6detail17trampoline_kernelINS0_14default_configENS1_27scan_by_key_config_selectorIiiEEZZNS1_16scan_by_key_implILNS1_25lookback_scan_determinismE0ELb1ES3_N6thrust23THRUST_200600_302600_NS10device_ptrIiEESB_SB_iNS9_4plusIvEENS9_8equal_toIvEEiEE10hipError_tPvRmT2_T3_T4_T5_mT6_T7_P12ihipStream_tbENKUlT_T0_E_clISt17integral_constantIbLb1EESW_EEDaSR_SS_EUlSR_E_NS1_11comp_targetILNS1_3genE2ELNS1_11target_archE906ELNS1_3gpuE6ELNS1_3repE0EEENS1_30default_config_static_selectorELNS0_4arch9wavefront6targetE0EEEvT1_.uses_flat_scratch, 0
	.set _ZN7rocprim17ROCPRIM_400000_NS6detail17trampoline_kernelINS0_14default_configENS1_27scan_by_key_config_selectorIiiEEZZNS1_16scan_by_key_implILNS1_25lookback_scan_determinismE0ELb1ES3_N6thrust23THRUST_200600_302600_NS10device_ptrIiEESB_SB_iNS9_4plusIvEENS9_8equal_toIvEEiEE10hipError_tPvRmT2_T3_T4_T5_mT6_T7_P12ihipStream_tbENKUlT_T0_E_clISt17integral_constantIbLb1EESW_EEDaSR_SS_EUlSR_E_NS1_11comp_targetILNS1_3genE2ELNS1_11target_archE906ELNS1_3gpuE6ELNS1_3repE0EEENS1_30default_config_static_selectorELNS0_4arch9wavefront6targetE0EEEvT1_.has_dyn_sized_stack, 0
	.set _ZN7rocprim17ROCPRIM_400000_NS6detail17trampoline_kernelINS0_14default_configENS1_27scan_by_key_config_selectorIiiEEZZNS1_16scan_by_key_implILNS1_25lookback_scan_determinismE0ELb1ES3_N6thrust23THRUST_200600_302600_NS10device_ptrIiEESB_SB_iNS9_4plusIvEENS9_8equal_toIvEEiEE10hipError_tPvRmT2_T3_T4_T5_mT6_T7_P12ihipStream_tbENKUlT_T0_E_clISt17integral_constantIbLb1EESW_EEDaSR_SS_EUlSR_E_NS1_11comp_targetILNS1_3genE2ELNS1_11target_archE906ELNS1_3gpuE6ELNS1_3repE0EEENS1_30default_config_static_selectorELNS0_4arch9wavefront6targetE0EEEvT1_.has_recursion, 0
	.set _ZN7rocprim17ROCPRIM_400000_NS6detail17trampoline_kernelINS0_14default_configENS1_27scan_by_key_config_selectorIiiEEZZNS1_16scan_by_key_implILNS1_25lookback_scan_determinismE0ELb1ES3_N6thrust23THRUST_200600_302600_NS10device_ptrIiEESB_SB_iNS9_4plusIvEENS9_8equal_toIvEEiEE10hipError_tPvRmT2_T3_T4_T5_mT6_T7_P12ihipStream_tbENKUlT_T0_E_clISt17integral_constantIbLb1EESW_EEDaSR_SS_EUlSR_E_NS1_11comp_targetILNS1_3genE2ELNS1_11target_archE906ELNS1_3gpuE6ELNS1_3repE0EEENS1_30default_config_static_selectorELNS0_4arch9wavefront6targetE0EEEvT1_.has_indirect_call, 0
	.section	.AMDGPU.csdata,"",@progbits
; Kernel info:
; codeLenInByte = 0
; TotalNumSgprs: 0
; NumVgprs: 0
; ScratchSize: 0
; MemoryBound: 0
; FloatMode: 240
; IeeeMode: 1
; LDSByteSize: 0 bytes/workgroup (compile time only)
; SGPRBlocks: 0
; VGPRBlocks: 0
; NumSGPRsForWavesPerEU: 1
; NumVGPRsForWavesPerEU: 1
; NamedBarCnt: 0
; Occupancy: 16
; WaveLimiterHint : 0
; COMPUTE_PGM_RSRC2:SCRATCH_EN: 0
; COMPUTE_PGM_RSRC2:USER_SGPR: 2
; COMPUTE_PGM_RSRC2:TRAP_HANDLER: 0
; COMPUTE_PGM_RSRC2:TGID_X_EN: 1
; COMPUTE_PGM_RSRC2:TGID_Y_EN: 0
; COMPUTE_PGM_RSRC2:TGID_Z_EN: 0
; COMPUTE_PGM_RSRC2:TIDIG_COMP_CNT: 0
	.section	.text._ZN7rocprim17ROCPRIM_400000_NS6detail17trampoline_kernelINS0_14default_configENS1_27scan_by_key_config_selectorIiiEEZZNS1_16scan_by_key_implILNS1_25lookback_scan_determinismE0ELb1ES3_N6thrust23THRUST_200600_302600_NS10device_ptrIiEESB_SB_iNS9_4plusIvEENS9_8equal_toIvEEiEE10hipError_tPvRmT2_T3_T4_T5_mT6_T7_P12ihipStream_tbENKUlT_T0_E_clISt17integral_constantIbLb1EESW_EEDaSR_SS_EUlSR_E_NS1_11comp_targetILNS1_3genE10ELNS1_11target_archE1200ELNS1_3gpuE4ELNS1_3repE0EEENS1_30default_config_static_selectorELNS0_4arch9wavefront6targetE0EEEvT1_,"axG",@progbits,_ZN7rocprim17ROCPRIM_400000_NS6detail17trampoline_kernelINS0_14default_configENS1_27scan_by_key_config_selectorIiiEEZZNS1_16scan_by_key_implILNS1_25lookback_scan_determinismE0ELb1ES3_N6thrust23THRUST_200600_302600_NS10device_ptrIiEESB_SB_iNS9_4plusIvEENS9_8equal_toIvEEiEE10hipError_tPvRmT2_T3_T4_T5_mT6_T7_P12ihipStream_tbENKUlT_T0_E_clISt17integral_constantIbLb1EESW_EEDaSR_SS_EUlSR_E_NS1_11comp_targetILNS1_3genE10ELNS1_11target_archE1200ELNS1_3gpuE4ELNS1_3repE0EEENS1_30default_config_static_selectorELNS0_4arch9wavefront6targetE0EEEvT1_,comdat
	.protected	_ZN7rocprim17ROCPRIM_400000_NS6detail17trampoline_kernelINS0_14default_configENS1_27scan_by_key_config_selectorIiiEEZZNS1_16scan_by_key_implILNS1_25lookback_scan_determinismE0ELb1ES3_N6thrust23THRUST_200600_302600_NS10device_ptrIiEESB_SB_iNS9_4plusIvEENS9_8equal_toIvEEiEE10hipError_tPvRmT2_T3_T4_T5_mT6_T7_P12ihipStream_tbENKUlT_T0_E_clISt17integral_constantIbLb1EESW_EEDaSR_SS_EUlSR_E_NS1_11comp_targetILNS1_3genE10ELNS1_11target_archE1200ELNS1_3gpuE4ELNS1_3repE0EEENS1_30default_config_static_selectorELNS0_4arch9wavefront6targetE0EEEvT1_ ; -- Begin function _ZN7rocprim17ROCPRIM_400000_NS6detail17trampoline_kernelINS0_14default_configENS1_27scan_by_key_config_selectorIiiEEZZNS1_16scan_by_key_implILNS1_25lookback_scan_determinismE0ELb1ES3_N6thrust23THRUST_200600_302600_NS10device_ptrIiEESB_SB_iNS9_4plusIvEENS9_8equal_toIvEEiEE10hipError_tPvRmT2_T3_T4_T5_mT6_T7_P12ihipStream_tbENKUlT_T0_E_clISt17integral_constantIbLb1EESW_EEDaSR_SS_EUlSR_E_NS1_11comp_targetILNS1_3genE10ELNS1_11target_archE1200ELNS1_3gpuE4ELNS1_3repE0EEENS1_30default_config_static_selectorELNS0_4arch9wavefront6targetE0EEEvT1_
	.globl	_ZN7rocprim17ROCPRIM_400000_NS6detail17trampoline_kernelINS0_14default_configENS1_27scan_by_key_config_selectorIiiEEZZNS1_16scan_by_key_implILNS1_25lookback_scan_determinismE0ELb1ES3_N6thrust23THRUST_200600_302600_NS10device_ptrIiEESB_SB_iNS9_4plusIvEENS9_8equal_toIvEEiEE10hipError_tPvRmT2_T3_T4_T5_mT6_T7_P12ihipStream_tbENKUlT_T0_E_clISt17integral_constantIbLb1EESW_EEDaSR_SS_EUlSR_E_NS1_11comp_targetILNS1_3genE10ELNS1_11target_archE1200ELNS1_3gpuE4ELNS1_3repE0EEENS1_30default_config_static_selectorELNS0_4arch9wavefront6targetE0EEEvT1_
	.p2align	8
	.type	_ZN7rocprim17ROCPRIM_400000_NS6detail17trampoline_kernelINS0_14default_configENS1_27scan_by_key_config_selectorIiiEEZZNS1_16scan_by_key_implILNS1_25lookback_scan_determinismE0ELb1ES3_N6thrust23THRUST_200600_302600_NS10device_ptrIiEESB_SB_iNS9_4plusIvEENS9_8equal_toIvEEiEE10hipError_tPvRmT2_T3_T4_T5_mT6_T7_P12ihipStream_tbENKUlT_T0_E_clISt17integral_constantIbLb1EESW_EEDaSR_SS_EUlSR_E_NS1_11comp_targetILNS1_3genE10ELNS1_11target_archE1200ELNS1_3gpuE4ELNS1_3repE0EEENS1_30default_config_static_selectorELNS0_4arch9wavefront6targetE0EEEvT1_,@function
_ZN7rocprim17ROCPRIM_400000_NS6detail17trampoline_kernelINS0_14default_configENS1_27scan_by_key_config_selectorIiiEEZZNS1_16scan_by_key_implILNS1_25lookback_scan_determinismE0ELb1ES3_N6thrust23THRUST_200600_302600_NS10device_ptrIiEESB_SB_iNS9_4plusIvEENS9_8equal_toIvEEiEE10hipError_tPvRmT2_T3_T4_T5_mT6_T7_P12ihipStream_tbENKUlT_T0_E_clISt17integral_constantIbLb1EESW_EEDaSR_SS_EUlSR_E_NS1_11comp_targetILNS1_3genE10ELNS1_11target_archE1200ELNS1_3gpuE4ELNS1_3repE0EEENS1_30default_config_static_selectorELNS0_4arch9wavefront6targetE0EEEvT1_: ; @_ZN7rocprim17ROCPRIM_400000_NS6detail17trampoline_kernelINS0_14default_configENS1_27scan_by_key_config_selectorIiiEEZZNS1_16scan_by_key_implILNS1_25lookback_scan_determinismE0ELb1ES3_N6thrust23THRUST_200600_302600_NS10device_ptrIiEESB_SB_iNS9_4plusIvEENS9_8equal_toIvEEiEE10hipError_tPvRmT2_T3_T4_T5_mT6_T7_P12ihipStream_tbENKUlT_T0_E_clISt17integral_constantIbLb1EESW_EEDaSR_SS_EUlSR_E_NS1_11comp_targetILNS1_3genE10ELNS1_11target_archE1200ELNS1_3gpuE4ELNS1_3repE0EEENS1_30default_config_static_selectorELNS0_4arch9wavefront6targetE0EEEvT1_
; %bb.0:
	.section	.rodata,"a",@progbits
	.p2align	6, 0x0
	.amdhsa_kernel _ZN7rocprim17ROCPRIM_400000_NS6detail17trampoline_kernelINS0_14default_configENS1_27scan_by_key_config_selectorIiiEEZZNS1_16scan_by_key_implILNS1_25lookback_scan_determinismE0ELb1ES3_N6thrust23THRUST_200600_302600_NS10device_ptrIiEESB_SB_iNS9_4plusIvEENS9_8equal_toIvEEiEE10hipError_tPvRmT2_T3_T4_T5_mT6_T7_P12ihipStream_tbENKUlT_T0_E_clISt17integral_constantIbLb1EESW_EEDaSR_SS_EUlSR_E_NS1_11comp_targetILNS1_3genE10ELNS1_11target_archE1200ELNS1_3gpuE4ELNS1_3repE0EEENS1_30default_config_static_selectorELNS0_4arch9wavefront6targetE0EEEvT1_
		.amdhsa_group_segment_fixed_size 0
		.amdhsa_private_segment_fixed_size 0
		.amdhsa_kernarg_size 112
		.amdhsa_user_sgpr_count 2
		.amdhsa_user_sgpr_dispatch_ptr 0
		.amdhsa_user_sgpr_queue_ptr 0
		.amdhsa_user_sgpr_kernarg_segment_ptr 1
		.amdhsa_user_sgpr_dispatch_id 0
		.amdhsa_user_sgpr_kernarg_preload_length 0
		.amdhsa_user_sgpr_kernarg_preload_offset 0
		.amdhsa_user_sgpr_private_segment_size 0
		.amdhsa_wavefront_size32 1
		.amdhsa_uses_dynamic_stack 0
		.amdhsa_enable_private_segment 0
		.amdhsa_system_sgpr_workgroup_id_x 1
		.amdhsa_system_sgpr_workgroup_id_y 0
		.amdhsa_system_sgpr_workgroup_id_z 0
		.amdhsa_system_sgpr_workgroup_info 0
		.amdhsa_system_vgpr_workitem_id 0
		.amdhsa_next_free_vgpr 1
		.amdhsa_next_free_sgpr 1
		.amdhsa_named_barrier_count 0
		.amdhsa_reserve_vcc 0
		.amdhsa_float_round_mode_32 0
		.amdhsa_float_round_mode_16_64 0
		.amdhsa_float_denorm_mode_32 3
		.amdhsa_float_denorm_mode_16_64 3
		.amdhsa_fp16_overflow 0
		.amdhsa_memory_ordered 1
		.amdhsa_forward_progress 1
		.amdhsa_inst_pref_size 0
		.amdhsa_round_robin_scheduling 0
		.amdhsa_exception_fp_ieee_invalid_op 0
		.amdhsa_exception_fp_denorm_src 0
		.amdhsa_exception_fp_ieee_div_zero 0
		.amdhsa_exception_fp_ieee_overflow 0
		.amdhsa_exception_fp_ieee_underflow 0
		.amdhsa_exception_fp_ieee_inexact 0
		.amdhsa_exception_int_div_zero 0
	.end_amdhsa_kernel
	.section	.text._ZN7rocprim17ROCPRIM_400000_NS6detail17trampoline_kernelINS0_14default_configENS1_27scan_by_key_config_selectorIiiEEZZNS1_16scan_by_key_implILNS1_25lookback_scan_determinismE0ELb1ES3_N6thrust23THRUST_200600_302600_NS10device_ptrIiEESB_SB_iNS9_4plusIvEENS9_8equal_toIvEEiEE10hipError_tPvRmT2_T3_T4_T5_mT6_T7_P12ihipStream_tbENKUlT_T0_E_clISt17integral_constantIbLb1EESW_EEDaSR_SS_EUlSR_E_NS1_11comp_targetILNS1_3genE10ELNS1_11target_archE1200ELNS1_3gpuE4ELNS1_3repE0EEENS1_30default_config_static_selectorELNS0_4arch9wavefront6targetE0EEEvT1_,"axG",@progbits,_ZN7rocprim17ROCPRIM_400000_NS6detail17trampoline_kernelINS0_14default_configENS1_27scan_by_key_config_selectorIiiEEZZNS1_16scan_by_key_implILNS1_25lookback_scan_determinismE0ELb1ES3_N6thrust23THRUST_200600_302600_NS10device_ptrIiEESB_SB_iNS9_4plusIvEENS9_8equal_toIvEEiEE10hipError_tPvRmT2_T3_T4_T5_mT6_T7_P12ihipStream_tbENKUlT_T0_E_clISt17integral_constantIbLb1EESW_EEDaSR_SS_EUlSR_E_NS1_11comp_targetILNS1_3genE10ELNS1_11target_archE1200ELNS1_3gpuE4ELNS1_3repE0EEENS1_30default_config_static_selectorELNS0_4arch9wavefront6targetE0EEEvT1_,comdat
.Lfunc_end2248:
	.size	_ZN7rocprim17ROCPRIM_400000_NS6detail17trampoline_kernelINS0_14default_configENS1_27scan_by_key_config_selectorIiiEEZZNS1_16scan_by_key_implILNS1_25lookback_scan_determinismE0ELb1ES3_N6thrust23THRUST_200600_302600_NS10device_ptrIiEESB_SB_iNS9_4plusIvEENS9_8equal_toIvEEiEE10hipError_tPvRmT2_T3_T4_T5_mT6_T7_P12ihipStream_tbENKUlT_T0_E_clISt17integral_constantIbLb1EESW_EEDaSR_SS_EUlSR_E_NS1_11comp_targetILNS1_3genE10ELNS1_11target_archE1200ELNS1_3gpuE4ELNS1_3repE0EEENS1_30default_config_static_selectorELNS0_4arch9wavefront6targetE0EEEvT1_, .Lfunc_end2248-_ZN7rocprim17ROCPRIM_400000_NS6detail17trampoline_kernelINS0_14default_configENS1_27scan_by_key_config_selectorIiiEEZZNS1_16scan_by_key_implILNS1_25lookback_scan_determinismE0ELb1ES3_N6thrust23THRUST_200600_302600_NS10device_ptrIiEESB_SB_iNS9_4plusIvEENS9_8equal_toIvEEiEE10hipError_tPvRmT2_T3_T4_T5_mT6_T7_P12ihipStream_tbENKUlT_T0_E_clISt17integral_constantIbLb1EESW_EEDaSR_SS_EUlSR_E_NS1_11comp_targetILNS1_3genE10ELNS1_11target_archE1200ELNS1_3gpuE4ELNS1_3repE0EEENS1_30default_config_static_selectorELNS0_4arch9wavefront6targetE0EEEvT1_
                                        ; -- End function
	.set _ZN7rocprim17ROCPRIM_400000_NS6detail17trampoline_kernelINS0_14default_configENS1_27scan_by_key_config_selectorIiiEEZZNS1_16scan_by_key_implILNS1_25lookback_scan_determinismE0ELb1ES3_N6thrust23THRUST_200600_302600_NS10device_ptrIiEESB_SB_iNS9_4plusIvEENS9_8equal_toIvEEiEE10hipError_tPvRmT2_T3_T4_T5_mT6_T7_P12ihipStream_tbENKUlT_T0_E_clISt17integral_constantIbLb1EESW_EEDaSR_SS_EUlSR_E_NS1_11comp_targetILNS1_3genE10ELNS1_11target_archE1200ELNS1_3gpuE4ELNS1_3repE0EEENS1_30default_config_static_selectorELNS0_4arch9wavefront6targetE0EEEvT1_.num_vgpr, 0
	.set _ZN7rocprim17ROCPRIM_400000_NS6detail17trampoline_kernelINS0_14default_configENS1_27scan_by_key_config_selectorIiiEEZZNS1_16scan_by_key_implILNS1_25lookback_scan_determinismE0ELb1ES3_N6thrust23THRUST_200600_302600_NS10device_ptrIiEESB_SB_iNS9_4plusIvEENS9_8equal_toIvEEiEE10hipError_tPvRmT2_T3_T4_T5_mT6_T7_P12ihipStream_tbENKUlT_T0_E_clISt17integral_constantIbLb1EESW_EEDaSR_SS_EUlSR_E_NS1_11comp_targetILNS1_3genE10ELNS1_11target_archE1200ELNS1_3gpuE4ELNS1_3repE0EEENS1_30default_config_static_selectorELNS0_4arch9wavefront6targetE0EEEvT1_.num_agpr, 0
	.set _ZN7rocprim17ROCPRIM_400000_NS6detail17trampoline_kernelINS0_14default_configENS1_27scan_by_key_config_selectorIiiEEZZNS1_16scan_by_key_implILNS1_25lookback_scan_determinismE0ELb1ES3_N6thrust23THRUST_200600_302600_NS10device_ptrIiEESB_SB_iNS9_4plusIvEENS9_8equal_toIvEEiEE10hipError_tPvRmT2_T3_T4_T5_mT6_T7_P12ihipStream_tbENKUlT_T0_E_clISt17integral_constantIbLb1EESW_EEDaSR_SS_EUlSR_E_NS1_11comp_targetILNS1_3genE10ELNS1_11target_archE1200ELNS1_3gpuE4ELNS1_3repE0EEENS1_30default_config_static_selectorELNS0_4arch9wavefront6targetE0EEEvT1_.numbered_sgpr, 0
	.set _ZN7rocprim17ROCPRIM_400000_NS6detail17trampoline_kernelINS0_14default_configENS1_27scan_by_key_config_selectorIiiEEZZNS1_16scan_by_key_implILNS1_25lookback_scan_determinismE0ELb1ES3_N6thrust23THRUST_200600_302600_NS10device_ptrIiEESB_SB_iNS9_4plusIvEENS9_8equal_toIvEEiEE10hipError_tPvRmT2_T3_T4_T5_mT6_T7_P12ihipStream_tbENKUlT_T0_E_clISt17integral_constantIbLb1EESW_EEDaSR_SS_EUlSR_E_NS1_11comp_targetILNS1_3genE10ELNS1_11target_archE1200ELNS1_3gpuE4ELNS1_3repE0EEENS1_30default_config_static_selectorELNS0_4arch9wavefront6targetE0EEEvT1_.num_named_barrier, 0
	.set _ZN7rocprim17ROCPRIM_400000_NS6detail17trampoline_kernelINS0_14default_configENS1_27scan_by_key_config_selectorIiiEEZZNS1_16scan_by_key_implILNS1_25lookback_scan_determinismE0ELb1ES3_N6thrust23THRUST_200600_302600_NS10device_ptrIiEESB_SB_iNS9_4plusIvEENS9_8equal_toIvEEiEE10hipError_tPvRmT2_T3_T4_T5_mT6_T7_P12ihipStream_tbENKUlT_T0_E_clISt17integral_constantIbLb1EESW_EEDaSR_SS_EUlSR_E_NS1_11comp_targetILNS1_3genE10ELNS1_11target_archE1200ELNS1_3gpuE4ELNS1_3repE0EEENS1_30default_config_static_selectorELNS0_4arch9wavefront6targetE0EEEvT1_.private_seg_size, 0
	.set _ZN7rocprim17ROCPRIM_400000_NS6detail17trampoline_kernelINS0_14default_configENS1_27scan_by_key_config_selectorIiiEEZZNS1_16scan_by_key_implILNS1_25lookback_scan_determinismE0ELb1ES3_N6thrust23THRUST_200600_302600_NS10device_ptrIiEESB_SB_iNS9_4plusIvEENS9_8equal_toIvEEiEE10hipError_tPvRmT2_T3_T4_T5_mT6_T7_P12ihipStream_tbENKUlT_T0_E_clISt17integral_constantIbLb1EESW_EEDaSR_SS_EUlSR_E_NS1_11comp_targetILNS1_3genE10ELNS1_11target_archE1200ELNS1_3gpuE4ELNS1_3repE0EEENS1_30default_config_static_selectorELNS0_4arch9wavefront6targetE0EEEvT1_.uses_vcc, 0
	.set _ZN7rocprim17ROCPRIM_400000_NS6detail17trampoline_kernelINS0_14default_configENS1_27scan_by_key_config_selectorIiiEEZZNS1_16scan_by_key_implILNS1_25lookback_scan_determinismE0ELb1ES3_N6thrust23THRUST_200600_302600_NS10device_ptrIiEESB_SB_iNS9_4plusIvEENS9_8equal_toIvEEiEE10hipError_tPvRmT2_T3_T4_T5_mT6_T7_P12ihipStream_tbENKUlT_T0_E_clISt17integral_constantIbLb1EESW_EEDaSR_SS_EUlSR_E_NS1_11comp_targetILNS1_3genE10ELNS1_11target_archE1200ELNS1_3gpuE4ELNS1_3repE0EEENS1_30default_config_static_selectorELNS0_4arch9wavefront6targetE0EEEvT1_.uses_flat_scratch, 0
	.set _ZN7rocprim17ROCPRIM_400000_NS6detail17trampoline_kernelINS0_14default_configENS1_27scan_by_key_config_selectorIiiEEZZNS1_16scan_by_key_implILNS1_25lookback_scan_determinismE0ELb1ES3_N6thrust23THRUST_200600_302600_NS10device_ptrIiEESB_SB_iNS9_4plusIvEENS9_8equal_toIvEEiEE10hipError_tPvRmT2_T3_T4_T5_mT6_T7_P12ihipStream_tbENKUlT_T0_E_clISt17integral_constantIbLb1EESW_EEDaSR_SS_EUlSR_E_NS1_11comp_targetILNS1_3genE10ELNS1_11target_archE1200ELNS1_3gpuE4ELNS1_3repE0EEENS1_30default_config_static_selectorELNS0_4arch9wavefront6targetE0EEEvT1_.has_dyn_sized_stack, 0
	.set _ZN7rocprim17ROCPRIM_400000_NS6detail17trampoline_kernelINS0_14default_configENS1_27scan_by_key_config_selectorIiiEEZZNS1_16scan_by_key_implILNS1_25lookback_scan_determinismE0ELb1ES3_N6thrust23THRUST_200600_302600_NS10device_ptrIiEESB_SB_iNS9_4plusIvEENS9_8equal_toIvEEiEE10hipError_tPvRmT2_T3_T4_T5_mT6_T7_P12ihipStream_tbENKUlT_T0_E_clISt17integral_constantIbLb1EESW_EEDaSR_SS_EUlSR_E_NS1_11comp_targetILNS1_3genE10ELNS1_11target_archE1200ELNS1_3gpuE4ELNS1_3repE0EEENS1_30default_config_static_selectorELNS0_4arch9wavefront6targetE0EEEvT1_.has_recursion, 0
	.set _ZN7rocprim17ROCPRIM_400000_NS6detail17trampoline_kernelINS0_14default_configENS1_27scan_by_key_config_selectorIiiEEZZNS1_16scan_by_key_implILNS1_25lookback_scan_determinismE0ELb1ES3_N6thrust23THRUST_200600_302600_NS10device_ptrIiEESB_SB_iNS9_4plusIvEENS9_8equal_toIvEEiEE10hipError_tPvRmT2_T3_T4_T5_mT6_T7_P12ihipStream_tbENKUlT_T0_E_clISt17integral_constantIbLb1EESW_EEDaSR_SS_EUlSR_E_NS1_11comp_targetILNS1_3genE10ELNS1_11target_archE1200ELNS1_3gpuE4ELNS1_3repE0EEENS1_30default_config_static_selectorELNS0_4arch9wavefront6targetE0EEEvT1_.has_indirect_call, 0
	.section	.AMDGPU.csdata,"",@progbits
; Kernel info:
; codeLenInByte = 0
; TotalNumSgprs: 0
; NumVgprs: 0
; ScratchSize: 0
; MemoryBound: 0
; FloatMode: 240
; IeeeMode: 1
; LDSByteSize: 0 bytes/workgroup (compile time only)
; SGPRBlocks: 0
; VGPRBlocks: 0
; NumSGPRsForWavesPerEU: 1
; NumVGPRsForWavesPerEU: 1
; NamedBarCnt: 0
; Occupancy: 16
; WaveLimiterHint : 0
; COMPUTE_PGM_RSRC2:SCRATCH_EN: 0
; COMPUTE_PGM_RSRC2:USER_SGPR: 2
; COMPUTE_PGM_RSRC2:TRAP_HANDLER: 0
; COMPUTE_PGM_RSRC2:TGID_X_EN: 1
; COMPUTE_PGM_RSRC2:TGID_Y_EN: 0
; COMPUTE_PGM_RSRC2:TGID_Z_EN: 0
; COMPUTE_PGM_RSRC2:TIDIG_COMP_CNT: 0
	.section	.text._ZN7rocprim17ROCPRIM_400000_NS6detail17trampoline_kernelINS0_14default_configENS1_27scan_by_key_config_selectorIiiEEZZNS1_16scan_by_key_implILNS1_25lookback_scan_determinismE0ELb1ES3_N6thrust23THRUST_200600_302600_NS10device_ptrIiEESB_SB_iNS9_4plusIvEENS9_8equal_toIvEEiEE10hipError_tPvRmT2_T3_T4_T5_mT6_T7_P12ihipStream_tbENKUlT_T0_E_clISt17integral_constantIbLb1EESW_EEDaSR_SS_EUlSR_E_NS1_11comp_targetILNS1_3genE9ELNS1_11target_archE1100ELNS1_3gpuE3ELNS1_3repE0EEENS1_30default_config_static_selectorELNS0_4arch9wavefront6targetE0EEEvT1_,"axG",@progbits,_ZN7rocprim17ROCPRIM_400000_NS6detail17trampoline_kernelINS0_14default_configENS1_27scan_by_key_config_selectorIiiEEZZNS1_16scan_by_key_implILNS1_25lookback_scan_determinismE0ELb1ES3_N6thrust23THRUST_200600_302600_NS10device_ptrIiEESB_SB_iNS9_4plusIvEENS9_8equal_toIvEEiEE10hipError_tPvRmT2_T3_T4_T5_mT6_T7_P12ihipStream_tbENKUlT_T0_E_clISt17integral_constantIbLb1EESW_EEDaSR_SS_EUlSR_E_NS1_11comp_targetILNS1_3genE9ELNS1_11target_archE1100ELNS1_3gpuE3ELNS1_3repE0EEENS1_30default_config_static_selectorELNS0_4arch9wavefront6targetE0EEEvT1_,comdat
	.protected	_ZN7rocprim17ROCPRIM_400000_NS6detail17trampoline_kernelINS0_14default_configENS1_27scan_by_key_config_selectorIiiEEZZNS1_16scan_by_key_implILNS1_25lookback_scan_determinismE0ELb1ES3_N6thrust23THRUST_200600_302600_NS10device_ptrIiEESB_SB_iNS9_4plusIvEENS9_8equal_toIvEEiEE10hipError_tPvRmT2_T3_T4_T5_mT6_T7_P12ihipStream_tbENKUlT_T0_E_clISt17integral_constantIbLb1EESW_EEDaSR_SS_EUlSR_E_NS1_11comp_targetILNS1_3genE9ELNS1_11target_archE1100ELNS1_3gpuE3ELNS1_3repE0EEENS1_30default_config_static_selectorELNS0_4arch9wavefront6targetE0EEEvT1_ ; -- Begin function _ZN7rocprim17ROCPRIM_400000_NS6detail17trampoline_kernelINS0_14default_configENS1_27scan_by_key_config_selectorIiiEEZZNS1_16scan_by_key_implILNS1_25lookback_scan_determinismE0ELb1ES3_N6thrust23THRUST_200600_302600_NS10device_ptrIiEESB_SB_iNS9_4plusIvEENS9_8equal_toIvEEiEE10hipError_tPvRmT2_T3_T4_T5_mT6_T7_P12ihipStream_tbENKUlT_T0_E_clISt17integral_constantIbLb1EESW_EEDaSR_SS_EUlSR_E_NS1_11comp_targetILNS1_3genE9ELNS1_11target_archE1100ELNS1_3gpuE3ELNS1_3repE0EEENS1_30default_config_static_selectorELNS0_4arch9wavefront6targetE0EEEvT1_
	.globl	_ZN7rocprim17ROCPRIM_400000_NS6detail17trampoline_kernelINS0_14default_configENS1_27scan_by_key_config_selectorIiiEEZZNS1_16scan_by_key_implILNS1_25lookback_scan_determinismE0ELb1ES3_N6thrust23THRUST_200600_302600_NS10device_ptrIiEESB_SB_iNS9_4plusIvEENS9_8equal_toIvEEiEE10hipError_tPvRmT2_T3_T4_T5_mT6_T7_P12ihipStream_tbENKUlT_T0_E_clISt17integral_constantIbLb1EESW_EEDaSR_SS_EUlSR_E_NS1_11comp_targetILNS1_3genE9ELNS1_11target_archE1100ELNS1_3gpuE3ELNS1_3repE0EEENS1_30default_config_static_selectorELNS0_4arch9wavefront6targetE0EEEvT1_
	.p2align	8
	.type	_ZN7rocprim17ROCPRIM_400000_NS6detail17trampoline_kernelINS0_14default_configENS1_27scan_by_key_config_selectorIiiEEZZNS1_16scan_by_key_implILNS1_25lookback_scan_determinismE0ELb1ES3_N6thrust23THRUST_200600_302600_NS10device_ptrIiEESB_SB_iNS9_4plusIvEENS9_8equal_toIvEEiEE10hipError_tPvRmT2_T3_T4_T5_mT6_T7_P12ihipStream_tbENKUlT_T0_E_clISt17integral_constantIbLb1EESW_EEDaSR_SS_EUlSR_E_NS1_11comp_targetILNS1_3genE9ELNS1_11target_archE1100ELNS1_3gpuE3ELNS1_3repE0EEENS1_30default_config_static_selectorELNS0_4arch9wavefront6targetE0EEEvT1_,@function
_ZN7rocprim17ROCPRIM_400000_NS6detail17trampoline_kernelINS0_14default_configENS1_27scan_by_key_config_selectorIiiEEZZNS1_16scan_by_key_implILNS1_25lookback_scan_determinismE0ELb1ES3_N6thrust23THRUST_200600_302600_NS10device_ptrIiEESB_SB_iNS9_4plusIvEENS9_8equal_toIvEEiEE10hipError_tPvRmT2_T3_T4_T5_mT6_T7_P12ihipStream_tbENKUlT_T0_E_clISt17integral_constantIbLb1EESW_EEDaSR_SS_EUlSR_E_NS1_11comp_targetILNS1_3genE9ELNS1_11target_archE1100ELNS1_3gpuE3ELNS1_3repE0EEENS1_30default_config_static_selectorELNS0_4arch9wavefront6targetE0EEEvT1_: ; @_ZN7rocprim17ROCPRIM_400000_NS6detail17trampoline_kernelINS0_14default_configENS1_27scan_by_key_config_selectorIiiEEZZNS1_16scan_by_key_implILNS1_25lookback_scan_determinismE0ELb1ES3_N6thrust23THRUST_200600_302600_NS10device_ptrIiEESB_SB_iNS9_4plusIvEENS9_8equal_toIvEEiEE10hipError_tPvRmT2_T3_T4_T5_mT6_T7_P12ihipStream_tbENKUlT_T0_E_clISt17integral_constantIbLb1EESW_EEDaSR_SS_EUlSR_E_NS1_11comp_targetILNS1_3genE9ELNS1_11target_archE1100ELNS1_3gpuE3ELNS1_3repE0EEENS1_30default_config_static_selectorELNS0_4arch9wavefront6targetE0EEEvT1_
; %bb.0:
	.section	.rodata,"a",@progbits
	.p2align	6, 0x0
	.amdhsa_kernel _ZN7rocprim17ROCPRIM_400000_NS6detail17trampoline_kernelINS0_14default_configENS1_27scan_by_key_config_selectorIiiEEZZNS1_16scan_by_key_implILNS1_25lookback_scan_determinismE0ELb1ES3_N6thrust23THRUST_200600_302600_NS10device_ptrIiEESB_SB_iNS9_4plusIvEENS9_8equal_toIvEEiEE10hipError_tPvRmT2_T3_T4_T5_mT6_T7_P12ihipStream_tbENKUlT_T0_E_clISt17integral_constantIbLb1EESW_EEDaSR_SS_EUlSR_E_NS1_11comp_targetILNS1_3genE9ELNS1_11target_archE1100ELNS1_3gpuE3ELNS1_3repE0EEENS1_30default_config_static_selectorELNS0_4arch9wavefront6targetE0EEEvT1_
		.amdhsa_group_segment_fixed_size 0
		.amdhsa_private_segment_fixed_size 0
		.amdhsa_kernarg_size 112
		.amdhsa_user_sgpr_count 2
		.amdhsa_user_sgpr_dispatch_ptr 0
		.amdhsa_user_sgpr_queue_ptr 0
		.amdhsa_user_sgpr_kernarg_segment_ptr 1
		.amdhsa_user_sgpr_dispatch_id 0
		.amdhsa_user_sgpr_kernarg_preload_length 0
		.amdhsa_user_sgpr_kernarg_preload_offset 0
		.amdhsa_user_sgpr_private_segment_size 0
		.amdhsa_wavefront_size32 1
		.amdhsa_uses_dynamic_stack 0
		.amdhsa_enable_private_segment 0
		.amdhsa_system_sgpr_workgroup_id_x 1
		.amdhsa_system_sgpr_workgroup_id_y 0
		.amdhsa_system_sgpr_workgroup_id_z 0
		.amdhsa_system_sgpr_workgroup_info 0
		.amdhsa_system_vgpr_workitem_id 0
		.amdhsa_next_free_vgpr 1
		.amdhsa_next_free_sgpr 1
		.amdhsa_named_barrier_count 0
		.amdhsa_reserve_vcc 0
		.amdhsa_float_round_mode_32 0
		.amdhsa_float_round_mode_16_64 0
		.amdhsa_float_denorm_mode_32 3
		.amdhsa_float_denorm_mode_16_64 3
		.amdhsa_fp16_overflow 0
		.amdhsa_memory_ordered 1
		.amdhsa_forward_progress 1
		.amdhsa_inst_pref_size 0
		.amdhsa_round_robin_scheduling 0
		.amdhsa_exception_fp_ieee_invalid_op 0
		.amdhsa_exception_fp_denorm_src 0
		.amdhsa_exception_fp_ieee_div_zero 0
		.amdhsa_exception_fp_ieee_overflow 0
		.amdhsa_exception_fp_ieee_underflow 0
		.amdhsa_exception_fp_ieee_inexact 0
		.amdhsa_exception_int_div_zero 0
	.end_amdhsa_kernel
	.section	.text._ZN7rocprim17ROCPRIM_400000_NS6detail17trampoline_kernelINS0_14default_configENS1_27scan_by_key_config_selectorIiiEEZZNS1_16scan_by_key_implILNS1_25lookback_scan_determinismE0ELb1ES3_N6thrust23THRUST_200600_302600_NS10device_ptrIiEESB_SB_iNS9_4plusIvEENS9_8equal_toIvEEiEE10hipError_tPvRmT2_T3_T4_T5_mT6_T7_P12ihipStream_tbENKUlT_T0_E_clISt17integral_constantIbLb1EESW_EEDaSR_SS_EUlSR_E_NS1_11comp_targetILNS1_3genE9ELNS1_11target_archE1100ELNS1_3gpuE3ELNS1_3repE0EEENS1_30default_config_static_selectorELNS0_4arch9wavefront6targetE0EEEvT1_,"axG",@progbits,_ZN7rocprim17ROCPRIM_400000_NS6detail17trampoline_kernelINS0_14default_configENS1_27scan_by_key_config_selectorIiiEEZZNS1_16scan_by_key_implILNS1_25lookback_scan_determinismE0ELb1ES3_N6thrust23THRUST_200600_302600_NS10device_ptrIiEESB_SB_iNS9_4plusIvEENS9_8equal_toIvEEiEE10hipError_tPvRmT2_T3_T4_T5_mT6_T7_P12ihipStream_tbENKUlT_T0_E_clISt17integral_constantIbLb1EESW_EEDaSR_SS_EUlSR_E_NS1_11comp_targetILNS1_3genE9ELNS1_11target_archE1100ELNS1_3gpuE3ELNS1_3repE0EEENS1_30default_config_static_selectorELNS0_4arch9wavefront6targetE0EEEvT1_,comdat
.Lfunc_end2249:
	.size	_ZN7rocprim17ROCPRIM_400000_NS6detail17trampoline_kernelINS0_14default_configENS1_27scan_by_key_config_selectorIiiEEZZNS1_16scan_by_key_implILNS1_25lookback_scan_determinismE0ELb1ES3_N6thrust23THRUST_200600_302600_NS10device_ptrIiEESB_SB_iNS9_4plusIvEENS9_8equal_toIvEEiEE10hipError_tPvRmT2_T3_T4_T5_mT6_T7_P12ihipStream_tbENKUlT_T0_E_clISt17integral_constantIbLb1EESW_EEDaSR_SS_EUlSR_E_NS1_11comp_targetILNS1_3genE9ELNS1_11target_archE1100ELNS1_3gpuE3ELNS1_3repE0EEENS1_30default_config_static_selectorELNS0_4arch9wavefront6targetE0EEEvT1_, .Lfunc_end2249-_ZN7rocprim17ROCPRIM_400000_NS6detail17trampoline_kernelINS0_14default_configENS1_27scan_by_key_config_selectorIiiEEZZNS1_16scan_by_key_implILNS1_25lookback_scan_determinismE0ELb1ES3_N6thrust23THRUST_200600_302600_NS10device_ptrIiEESB_SB_iNS9_4plusIvEENS9_8equal_toIvEEiEE10hipError_tPvRmT2_T3_T4_T5_mT6_T7_P12ihipStream_tbENKUlT_T0_E_clISt17integral_constantIbLb1EESW_EEDaSR_SS_EUlSR_E_NS1_11comp_targetILNS1_3genE9ELNS1_11target_archE1100ELNS1_3gpuE3ELNS1_3repE0EEENS1_30default_config_static_selectorELNS0_4arch9wavefront6targetE0EEEvT1_
                                        ; -- End function
	.set _ZN7rocprim17ROCPRIM_400000_NS6detail17trampoline_kernelINS0_14default_configENS1_27scan_by_key_config_selectorIiiEEZZNS1_16scan_by_key_implILNS1_25lookback_scan_determinismE0ELb1ES3_N6thrust23THRUST_200600_302600_NS10device_ptrIiEESB_SB_iNS9_4plusIvEENS9_8equal_toIvEEiEE10hipError_tPvRmT2_T3_T4_T5_mT6_T7_P12ihipStream_tbENKUlT_T0_E_clISt17integral_constantIbLb1EESW_EEDaSR_SS_EUlSR_E_NS1_11comp_targetILNS1_3genE9ELNS1_11target_archE1100ELNS1_3gpuE3ELNS1_3repE0EEENS1_30default_config_static_selectorELNS0_4arch9wavefront6targetE0EEEvT1_.num_vgpr, 0
	.set _ZN7rocprim17ROCPRIM_400000_NS6detail17trampoline_kernelINS0_14default_configENS1_27scan_by_key_config_selectorIiiEEZZNS1_16scan_by_key_implILNS1_25lookback_scan_determinismE0ELb1ES3_N6thrust23THRUST_200600_302600_NS10device_ptrIiEESB_SB_iNS9_4plusIvEENS9_8equal_toIvEEiEE10hipError_tPvRmT2_T3_T4_T5_mT6_T7_P12ihipStream_tbENKUlT_T0_E_clISt17integral_constantIbLb1EESW_EEDaSR_SS_EUlSR_E_NS1_11comp_targetILNS1_3genE9ELNS1_11target_archE1100ELNS1_3gpuE3ELNS1_3repE0EEENS1_30default_config_static_selectorELNS0_4arch9wavefront6targetE0EEEvT1_.num_agpr, 0
	.set _ZN7rocprim17ROCPRIM_400000_NS6detail17trampoline_kernelINS0_14default_configENS1_27scan_by_key_config_selectorIiiEEZZNS1_16scan_by_key_implILNS1_25lookback_scan_determinismE0ELb1ES3_N6thrust23THRUST_200600_302600_NS10device_ptrIiEESB_SB_iNS9_4plusIvEENS9_8equal_toIvEEiEE10hipError_tPvRmT2_T3_T4_T5_mT6_T7_P12ihipStream_tbENKUlT_T0_E_clISt17integral_constantIbLb1EESW_EEDaSR_SS_EUlSR_E_NS1_11comp_targetILNS1_3genE9ELNS1_11target_archE1100ELNS1_3gpuE3ELNS1_3repE0EEENS1_30default_config_static_selectorELNS0_4arch9wavefront6targetE0EEEvT1_.numbered_sgpr, 0
	.set _ZN7rocprim17ROCPRIM_400000_NS6detail17trampoline_kernelINS0_14default_configENS1_27scan_by_key_config_selectorIiiEEZZNS1_16scan_by_key_implILNS1_25lookback_scan_determinismE0ELb1ES3_N6thrust23THRUST_200600_302600_NS10device_ptrIiEESB_SB_iNS9_4plusIvEENS9_8equal_toIvEEiEE10hipError_tPvRmT2_T3_T4_T5_mT6_T7_P12ihipStream_tbENKUlT_T0_E_clISt17integral_constantIbLb1EESW_EEDaSR_SS_EUlSR_E_NS1_11comp_targetILNS1_3genE9ELNS1_11target_archE1100ELNS1_3gpuE3ELNS1_3repE0EEENS1_30default_config_static_selectorELNS0_4arch9wavefront6targetE0EEEvT1_.num_named_barrier, 0
	.set _ZN7rocprim17ROCPRIM_400000_NS6detail17trampoline_kernelINS0_14default_configENS1_27scan_by_key_config_selectorIiiEEZZNS1_16scan_by_key_implILNS1_25lookback_scan_determinismE0ELb1ES3_N6thrust23THRUST_200600_302600_NS10device_ptrIiEESB_SB_iNS9_4plusIvEENS9_8equal_toIvEEiEE10hipError_tPvRmT2_T3_T4_T5_mT6_T7_P12ihipStream_tbENKUlT_T0_E_clISt17integral_constantIbLb1EESW_EEDaSR_SS_EUlSR_E_NS1_11comp_targetILNS1_3genE9ELNS1_11target_archE1100ELNS1_3gpuE3ELNS1_3repE0EEENS1_30default_config_static_selectorELNS0_4arch9wavefront6targetE0EEEvT1_.private_seg_size, 0
	.set _ZN7rocprim17ROCPRIM_400000_NS6detail17trampoline_kernelINS0_14default_configENS1_27scan_by_key_config_selectorIiiEEZZNS1_16scan_by_key_implILNS1_25lookback_scan_determinismE0ELb1ES3_N6thrust23THRUST_200600_302600_NS10device_ptrIiEESB_SB_iNS9_4plusIvEENS9_8equal_toIvEEiEE10hipError_tPvRmT2_T3_T4_T5_mT6_T7_P12ihipStream_tbENKUlT_T0_E_clISt17integral_constantIbLb1EESW_EEDaSR_SS_EUlSR_E_NS1_11comp_targetILNS1_3genE9ELNS1_11target_archE1100ELNS1_3gpuE3ELNS1_3repE0EEENS1_30default_config_static_selectorELNS0_4arch9wavefront6targetE0EEEvT1_.uses_vcc, 0
	.set _ZN7rocprim17ROCPRIM_400000_NS6detail17trampoline_kernelINS0_14default_configENS1_27scan_by_key_config_selectorIiiEEZZNS1_16scan_by_key_implILNS1_25lookback_scan_determinismE0ELb1ES3_N6thrust23THRUST_200600_302600_NS10device_ptrIiEESB_SB_iNS9_4plusIvEENS9_8equal_toIvEEiEE10hipError_tPvRmT2_T3_T4_T5_mT6_T7_P12ihipStream_tbENKUlT_T0_E_clISt17integral_constantIbLb1EESW_EEDaSR_SS_EUlSR_E_NS1_11comp_targetILNS1_3genE9ELNS1_11target_archE1100ELNS1_3gpuE3ELNS1_3repE0EEENS1_30default_config_static_selectorELNS0_4arch9wavefront6targetE0EEEvT1_.uses_flat_scratch, 0
	.set _ZN7rocprim17ROCPRIM_400000_NS6detail17trampoline_kernelINS0_14default_configENS1_27scan_by_key_config_selectorIiiEEZZNS1_16scan_by_key_implILNS1_25lookback_scan_determinismE0ELb1ES3_N6thrust23THRUST_200600_302600_NS10device_ptrIiEESB_SB_iNS9_4plusIvEENS9_8equal_toIvEEiEE10hipError_tPvRmT2_T3_T4_T5_mT6_T7_P12ihipStream_tbENKUlT_T0_E_clISt17integral_constantIbLb1EESW_EEDaSR_SS_EUlSR_E_NS1_11comp_targetILNS1_3genE9ELNS1_11target_archE1100ELNS1_3gpuE3ELNS1_3repE0EEENS1_30default_config_static_selectorELNS0_4arch9wavefront6targetE0EEEvT1_.has_dyn_sized_stack, 0
	.set _ZN7rocprim17ROCPRIM_400000_NS6detail17trampoline_kernelINS0_14default_configENS1_27scan_by_key_config_selectorIiiEEZZNS1_16scan_by_key_implILNS1_25lookback_scan_determinismE0ELb1ES3_N6thrust23THRUST_200600_302600_NS10device_ptrIiEESB_SB_iNS9_4plusIvEENS9_8equal_toIvEEiEE10hipError_tPvRmT2_T3_T4_T5_mT6_T7_P12ihipStream_tbENKUlT_T0_E_clISt17integral_constantIbLb1EESW_EEDaSR_SS_EUlSR_E_NS1_11comp_targetILNS1_3genE9ELNS1_11target_archE1100ELNS1_3gpuE3ELNS1_3repE0EEENS1_30default_config_static_selectorELNS0_4arch9wavefront6targetE0EEEvT1_.has_recursion, 0
	.set _ZN7rocprim17ROCPRIM_400000_NS6detail17trampoline_kernelINS0_14default_configENS1_27scan_by_key_config_selectorIiiEEZZNS1_16scan_by_key_implILNS1_25lookback_scan_determinismE0ELb1ES3_N6thrust23THRUST_200600_302600_NS10device_ptrIiEESB_SB_iNS9_4plusIvEENS9_8equal_toIvEEiEE10hipError_tPvRmT2_T3_T4_T5_mT6_T7_P12ihipStream_tbENKUlT_T0_E_clISt17integral_constantIbLb1EESW_EEDaSR_SS_EUlSR_E_NS1_11comp_targetILNS1_3genE9ELNS1_11target_archE1100ELNS1_3gpuE3ELNS1_3repE0EEENS1_30default_config_static_selectorELNS0_4arch9wavefront6targetE0EEEvT1_.has_indirect_call, 0
	.section	.AMDGPU.csdata,"",@progbits
; Kernel info:
; codeLenInByte = 0
; TotalNumSgprs: 0
; NumVgprs: 0
; ScratchSize: 0
; MemoryBound: 0
; FloatMode: 240
; IeeeMode: 1
; LDSByteSize: 0 bytes/workgroup (compile time only)
; SGPRBlocks: 0
; VGPRBlocks: 0
; NumSGPRsForWavesPerEU: 1
; NumVGPRsForWavesPerEU: 1
; NamedBarCnt: 0
; Occupancy: 16
; WaveLimiterHint : 0
; COMPUTE_PGM_RSRC2:SCRATCH_EN: 0
; COMPUTE_PGM_RSRC2:USER_SGPR: 2
; COMPUTE_PGM_RSRC2:TRAP_HANDLER: 0
; COMPUTE_PGM_RSRC2:TGID_X_EN: 1
; COMPUTE_PGM_RSRC2:TGID_Y_EN: 0
; COMPUTE_PGM_RSRC2:TGID_Z_EN: 0
; COMPUTE_PGM_RSRC2:TIDIG_COMP_CNT: 0
	.section	.text._ZN7rocprim17ROCPRIM_400000_NS6detail17trampoline_kernelINS0_14default_configENS1_27scan_by_key_config_selectorIiiEEZZNS1_16scan_by_key_implILNS1_25lookback_scan_determinismE0ELb1ES3_N6thrust23THRUST_200600_302600_NS10device_ptrIiEESB_SB_iNS9_4plusIvEENS9_8equal_toIvEEiEE10hipError_tPvRmT2_T3_T4_T5_mT6_T7_P12ihipStream_tbENKUlT_T0_E_clISt17integral_constantIbLb1EESW_EEDaSR_SS_EUlSR_E_NS1_11comp_targetILNS1_3genE8ELNS1_11target_archE1030ELNS1_3gpuE2ELNS1_3repE0EEENS1_30default_config_static_selectorELNS0_4arch9wavefront6targetE0EEEvT1_,"axG",@progbits,_ZN7rocprim17ROCPRIM_400000_NS6detail17trampoline_kernelINS0_14default_configENS1_27scan_by_key_config_selectorIiiEEZZNS1_16scan_by_key_implILNS1_25lookback_scan_determinismE0ELb1ES3_N6thrust23THRUST_200600_302600_NS10device_ptrIiEESB_SB_iNS9_4plusIvEENS9_8equal_toIvEEiEE10hipError_tPvRmT2_T3_T4_T5_mT6_T7_P12ihipStream_tbENKUlT_T0_E_clISt17integral_constantIbLb1EESW_EEDaSR_SS_EUlSR_E_NS1_11comp_targetILNS1_3genE8ELNS1_11target_archE1030ELNS1_3gpuE2ELNS1_3repE0EEENS1_30default_config_static_selectorELNS0_4arch9wavefront6targetE0EEEvT1_,comdat
	.protected	_ZN7rocprim17ROCPRIM_400000_NS6detail17trampoline_kernelINS0_14default_configENS1_27scan_by_key_config_selectorIiiEEZZNS1_16scan_by_key_implILNS1_25lookback_scan_determinismE0ELb1ES3_N6thrust23THRUST_200600_302600_NS10device_ptrIiEESB_SB_iNS9_4plusIvEENS9_8equal_toIvEEiEE10hipError_tPvRmT2_T3_T4_T5_mT6_T7_P12ihipStream_tbENKUlT_T0_E_clISt17integral_constantIbLb1EESW_EEDaSR_SS_EUlSR_E_NS1_11comp_targetILNS1_3genE8ELNS1_11target_archE1030ELNS1_3gpuE2ELNS1_3repE0EEENS1_30default_config_static_selectorELNS0_4arch9wavefront6targetE0EEEvT1_ ; -- Begin function _ZN7rocprim17ROCPRIM_400000_NS6detail17trampoline_kernelINS0_14default_configENS1_27scan_by_key_config_selectorIiiEEZZNS1_16scan_by_key_implILNS1_25lookback_scan_determinismE0ELb1ES3_N6thrust23THRUST_200600_302600_NS10device_ptrIiEESB_SB_iNS9_4plusIvEENS9_8equal_toIvEEiEE10hipError_tPvRmT2_T3_T4_T5_mT6_T7_P12ihipStream_tbENKUlT_T0_E_clISt17integral_constantIbLb1EESW_EEDaSR_SS_EUlSR_E_NS1_11comp_targetILNS1_3genE8ELNS1_11target_archE1030ELNS1_3gpuE2ELNS1_3repE0EEENS1_30default_config_static_selectorELNS0_4arch9wavefront6targetE0EEEvT1_
	.globl	_ZN7rocprim17ROCPRIM_400000_NS6detail17trampoline_kernelINS0_14default_configENS1_27scan_by_key_config_selectorIiiEEZZNS1_16scan_by_key_implILNS1_25lookback_scan_determinismE0ELb1ES3_N6thrust23THRUST_200600_302600_NS10device_ptrIiEESB_SB_iNS9_4plusIvEENS9_8equal_toIvEEiEE10hipError_tPvRmT2_T3_T4_T5_mT6_T7_P12ihipStream_tbENKUlT_T0_E_clISt17integral_constantIbLb1EESW_EEDaSR_SS_EUlSR_E_NS1_11comp_targetILNS1_3genE8ELNS1_11target_archE1030ELNS1_3gpuE2ELNS1_3repE0EEENS1_30default_config_static_selectorELNS0_4arch9wavefront6targetE0EEEvT1_
	.p2align	8
	.type	_ZN7rocprim17ROCPRIM_400000_NS6detail17trampoline_kernelINS0_14default_configENS1_27scan_by_key_config_selectorIiiEEZZNS1_16scan_by_key_implILNS1_25lookback_scan_determinismE0ELb1ES3_N6thrust23THRUST_200600_302600_NS10device_ptrIiEESB_SB_iNS9_4plusIvEENS9_8equal_toIvEEiEE10hipError_tPvRmT2_T3_T4_T5_mT6_T7_P12ihipStream_tbENKUlT_T0_E_clISt17integral_constantIbLb1EESW_EEDaSR_SS_EUlSR_E_NS1_11comp_targetILNS1_3genE8ELNS1_11target_archE1030ELNS1_3gpuE2ELNS1_3repE0EEENS1_30default_config_static_selectorELNS0_4arch9wavefront6targetE0EEEvT1_,@function
_ZN7rocprim17ROCPRIM_400000_NS6detail17trampoline_kernelINS0_14default_configENS1_27scan_by_key_config_selectorIiiEEZZNS1_16scan_by_key_implILNS1_25lookback_scan_determinismE0ELb1ES3_N6thrust23THRUST_200600_302600_NS10device_ptrIiEESB_SB_iNS9_4plusIvEENS9_8equal_toIvEEiEE10hipError_tPvRmT2_T3_T4_T5_mT6_T7_P12ihipStream_tbENKUlT_T0_E_clISt17integral_constantIbLb1EESW_EEDaSR_SS_EUlSR_E_NS1_11comp_targetILNS1_3genE8ELNS1_11target_archE1030ELNS1_3gpuE2ELNS1_3repE0EEENS1_30default_config_static_selectorELNS0_4arch9wavefront6targetE0EEEvT1_: ; @_ZN7rocprim17ROCPRIM_400000_NS6detail17trampoline_kernelINS0_14default_configENS1_27scan_by_key_config_selectorIiiEEZZNS1_16scan_by_key_implILNS1_25lookback_scan_determinismE0ELb1ES3_N6thrust23THRUST_200600_302600_NS10device_ptrIiEESB_SB_iNS9_4plusIvEENS9_8equal_toIvEEiEE10hipError_tPvRmT2_T3_T4_T5_mT6_T7_P12ihipStream_tbENKUlT_T0_E_clISt17integral_constantIbLb1EESW_EEDaSR_SS_EUlSR_E_NS1_11comp_targetILNS1_3genE8ELNS1_11target_archE1030ELNS1_3gpuE2ELNS1_3repE0EEENS1_30default_config_static_selectorELNS0_4arch9wavefront6targetE0EEEvT1_
; %bb.0:
	.section	.rodata,"a",@progbits
	.p2align	6, 0x0
	.amdhsa_kernel _ZN7rocprim17ROCPRIM_400000_NS6detail17trampoline_kernelINS0_14default_configENS1_27scan_by_key_config_selectorIiiEEZZNS1_16scan_by_key_implILNS1_25lookback_scan_determinismE0ELb1ES3_N6thrust23THRUST_200600_302600_NS10device_ptrIiEESB_SB_iNS9_4plusIvEENS9_8equal_toIvEEiEE10hipError_tPvRmT2_T3_T4_T5_mT6_T7_P12ihipStream_tbENKUlT_T0_E_clISt17integral_constantIbLb1EESW_EEDaSR_SS_EUlSR_E_NS1_11comp_targetILNS1_3genE8ELNS1_11target_archE1030ELNS1_3gpuE2ELNS1_3repE0EEENS1_30default_config_static_selectorELNS0_4arch9wavefront6targetE0EEEvT1_
		.amdhsa_group_segment_fixed_size 0
		.amdhsa_private_segment_fixed_size 0
		.amdhsa_kernarg_size 112
		.amdhsa_user_sgpr_count 2
		.amdhsa_user_sgpr_dispatch_ptr 0
		.amdhsa_user_sgpr_queue_ptr 0
		.amdhsa_user_sgpr_kernarg_segment_ptr 1
		.amdhsa_user_sgpr_dispatch_id 0
		.amdhsa_user_sgpr_kernarg_preload_length 0
		.amdhsa_user_sgpr_kernarg_preload_offset 0
		.amdhsa_user_sgpr_private_segment_size 0
		.amdhsa_wavefront_size32 1
		.amdhsa_uses_dynamic_stack 0
		.amdhsa_enable_private_segment 0
		.amdhsa_system_sgpr_workgroup_id_x 1
		.amdhsa_system_sgpr_workgroup_id_y 0
		.amdhsa_system_sgpr_workgroup_id_z 0
		.amdhsa_system_sgpr_workgroup_info 0
		.amdhsa_system_vgpr_workitem_id 0
		.amdhsa_next_free_vgpr 1
		.amdhsa_next_free_sgpr 1
		.amdhsa_named_barrier_count 0
		.amdhsa_reserve_vcc 0
		.amdhsa_float_round_mode_32 0
		.amdhsa_float_round_mode_16_64 0
		.amdhsa_float_denorm_mode_32 3
		.amdhsa_float_denorm_mode_16_64 3
		.amdhsa_fp16_overflow 0
		.amdhsa_memory_ordered 1
		.amdhsa_forward_progress 1
		.amdhsa_inst_pref_size 0
		.amdhsa_round_robin_scheduling 0
		.amdhsa_exception_fp_ieee_invalid_op 0
		.amdhsa_exception_fp_denorm_src 0
		.amdhsa_exception_fp_ieee_div_zero 0
		.amdhsa_exception_fp_ieee_overflow 0
		.amdhsa_exception_fp_ieee_underflow 0
		.amdhsa_exception_fp_ieee_inexact 0
		.amdhsa_exception_int_div_zero 0
	.end_amdhsa_kernel
	.section	.text._ZN7rocprim17ROCPRIM_400000_NS6detail17trampoline_kernelINS0_14default_configENS1_27scan_by_key_config_selectorIiiEEZZNS1_16scan_by_key_implILNS1_25lookback_scan_determinismE0ELb1ES3_N6thrust23THRUST_200600_302600_NS10device_ptrIiEESB_SB_iNS9_4plusIvEENS9_8equal_toIvEEiEE10hipError_tPvRmT2_T3_T4_T5_mT6_T7_P12ihipStream_tbENKUlT_T0_E_clISt17integral_constantIbLb1EESW_EEDaSR_SS_EUlSR_E_NS1_11comp_targetILNS1_3genE8ELNS1_11target_archE1030ELNS1_3gpuE2ELNS1_3repE0EEENS1_30default_config_static_selectorELNS0_4arch9wavefront6targetE0EEEvT1_,"axG",@progbits,_ZN7rocprim17ROCPRIM_400000_NS6detail17trampoline_kernelINS0_14default_configENS1_27scan_by_key_config_selectorIiiEEZZNS1_16scan_by_key_implILNS1_25lookback_scan_determinismE0ELb1ES3_N6thrust23THRUST_200600_302600_NS10device_ptrIiEESB_SB_iNS9_4plusIvEENS9_8equal_toIvEEiEE10hipError_tPvRmT2_T3_T4_T5_mT6_T7_P12ihipStream_tbENKUlT_T0_E_clISt17integral_constantIbLb1EESW_EEDaSR_SS_EUlSR_E_NS1_11comp_targetILNS1_3genE8ELNS1_11target_archE1030ELNS1_3gpuE2ELNS1_3repE0EEENS1_30default_config_static_selectorELNS0_4arch9wavefront6targetE0EEEvT1_,comdat
.Lfunc_end2250:
	.size	_ZN7rocprim17ROCPRIM_400000_NS6detail17trampoline_kernelINS0_14default_configENS1_27scan_by_key_config_selectorIiiEEZZNS1_16scan_by_key_implILNS1_25lookback_scan_determinismE0ELb1ES3_N6thrust23THRUST_200600_302600_NS10device_ptrIiEESB_SB_iNS9_4plusIvEENS9_8equal_toIvEEiEE10hipError_tPvRmT2_T3_T4_T5_mT6_T7_P12ihipStream_tbENKUlT_T0_E_clISt17integral_constantIbLb1EESW_EEDaSR_SS_EUlSR_E_NS1_11comp_targetILNS1_3genE8ELNS1_11target_archE1030ELNS1_3gpuE2ELNS1_3repE0EEENS1_30default_config_static_selectorELNS0_4arch9wavefront6targetE0EEEvT1_, .Lfunc_end2250-_ZN7rocprim17ROCPRIM_400000_NS6detail17trampoline_kernelINS0_14default_configENS1_27scan_by_key_config_selectorIiiEEZZNS1_16scan_by_key_implILNS1_25lookback_scan_determinismE0ELb1ES3_N6thrust23THRUST_200600_302600_NS10device_ptrIiEESB_SB_iNS9_4plusIvEENS9_8equal_toIvEEiEE10hipError_tPvRmT2_T3_T4_T5_mT6_T7_P12ihipStream_tbENKUlT_T0_E_clISt17integral_constantIbLb1EESW_EEDaSR_SS_EUlSR_E_NS1_11comp_targetILNS1_3genE8ELNS1_11target_archE1030ELNS1_3gpuE2ELNS1_3repE0EEENS1_30default_config_static_selectorELNS0_4arch9wavefront6targetE0EEEvT1_
                                        ; -- End function
	.set _ZN7rocprim17ROCPRIM_400000_NS6detail17trampoline_kernelINS0_14default_configENS1_27scan_by_key_config_selectorIiiEEZZNS1_16scan_by_key_implILNS1_25lookback_scan_determinismE0ELb1ES3_N6thrust23THRUST_200600_302600_NS10device_ptrIiEESB_SB_iNS9_4plusIvEENS9_8equal_toIvEEiEE10hipError_tPvRmT2_T3_T4_T5_mT6_T7_P12ihipStream_tbENKUlT_T0_E_clISt17integral_constantIbLb1EESW_EEDaSR_SS_EUlSR_E_NS1_11comp_targetILNS1_3genE8ELNS1_11target_archE1030ELNS1_3gpuE2ELNS1_3repE0EEENS1_30default_config_static_selectorELNS0_4arch9wavefront6targetE0EEEvT1_.num_vgpr, 0
	.set _ZN7rocprim17ROCPRIM_400000_NS6detail17trampoline_kernelINS0_14default_configENS1_27scan_by_key_config_selectorIiiEEZZNS1_16scan_by_key_implILNS1_25lookback_scan_determinismE0ELb1ES3_N6thrust23THRUST_200600_302600_NS10device_ptrIiEESB_SB_iNS9_4plusIvEENS9_8equal_toIvEEiEE10hipError_tPvRmT2_T3_T4_T5_mT6_T7_P12ihipStream_tbENKUlT_T0_E_clISt17integral_constantIbLb1EESW_EEDaSR_SS_EUlSR_E_NS1_11comp_targetILNS1_3genE8ELNS1_11target_archE1030ELNS1_3gpuE2ELNS1_3repE0EEENS1_30default_config_static_selectorELNS0_4arch9wavefront6targetE0EEEvT1_.num_agpr, 0
	.set _ZN7rocprim17ROCPRIM_400000_NS6detail17trampoline_kernelINS0_14default_configENS1_27scan_by_key_config_selectorIiiEEZZNS1_16scan_by_key_implILNS1_25lookback_scan_determinismE0ELb1ES3_N6thrust23THRUST_200600_302600_NS10device_ptrIiEESB_SB_iNS9_4plusIvEENS9_8equal_toIvEEiEE10hipError_tPvRmT2_T3_T4_T5_mT6_T7_P12ihipStream_tbENKUlT_T0_E_clISt17integral_constantIbLb1EESW_EEDaSR_SS_EUlSR_E_NS1_11comp_targetILNS1_3genE8ELNS1_11target_archE1030ELNS1_3gpuE2ELNS1_3repE0EEENS1_30default_config_static_selectorELNS0_4arch9wavefront6targetE0EEEvT1_.numbered_sgpr, 0
	.set _ZN7rocprim17ROCPRIM_400000_NS6detail17trampoline_kernelINS0_14default_configENS1_27scan_by_key_config_selectorIiiEEZZNS1_16scan_by_key_implILNS1_25lookback_scan_determinismE0ELb1ES3_N6thrust23THRUST_200600_302600_NS10device_ptrIiEESB_SB_iNS9_4plusIvEENS9_8equal_toIvEEiEE10hipError_tPvRmT2_T3_T4_T5_mT6_T7_P12ihipStream_tbENKUlT_T0_E_clISt17integral_constantIbLb1EESW_EEDaSR_SS_EUlSR_E_NS1_11comp_targetILNS1_3genE8ELNS1_11target_archE1030ELNS1_3gpuE2ELNS1_3repE0EEENS1_30default_config_static_selectorELNS0_4arch9wavefront6targetE0EEEvT1_.num_named_barrier, 0
	.set _ZN7rocprim17ROCPRIM_400000_NS6detail17trampoline_kernelINS0_14default_configENS1_27scan_by_key_config_selectorIiiEEZZNS1_16scan_by_key_implILNS1_25lookback_scan_determinismE0ELb1ES3_N6thrust23THRUST_200600_302600_NS10device_ptrIiEESB_SB_iNS9_4plusIvEENS9_8equal_toIvEEiEE10hipError_tPvRmT2_T3_T4_T5_mT6_T7_P12ihipStream_tbENKUlT_T0_E_clISt17integral_constantIbLb1EESW_EEDaSR_SS_EUlSR_E_NS1_11comp_targetILNS1_3genE8ELNS1_11target_archE1030ELNS1_3gpuE2ELNS1_3repE0EEENS1_30default_config_static_selectorELNS0_4arch9wavefront6targetE0EEEvT1_.private_seg_size, 0
	.set _ZN7rocprim17ROCPRIM_400000_NS6detail17trampoline_kernelINS0_14default_configENS1_27scan_by_key_config_selectorIiiEEZZNS1_16scan_by_key_implILNS1_25lookback_scan_determinismE0ELb1ES3_N6thrust23THRUST_200600_302600_NS10device_ptrIiEESB_SB_iNS9_4plusIvEENS9_8equal_toIvEEiEE10hipError_tPvRmT2_T3_T4_T5_mT6_T7_P12ihipStream_tbENKUlT_T0_E_clISt17integral_constantIbLb1EESW_EEDaSR_SS_EUlSR_E_NS1_11comp_targetILNS1_3genE8ELNS1_11target_archE1030ELNS1_3gpuE2ELNS1_3repE0EEENS1_30default_config_static_selectorELNS0_4arch9wavefront6targetE0EEEvT1_.uses_vcc, 0
	.set _ZN7rocprim17ROCPRIM_400000_NS6detail17trampoline_kernelINS0_14default_configENS1_27scan_by_key_config_selectorIiiEEZZNS1_16scan_by_key_implILNS1_25lookback_scan_determinismE0ELb1ES3_N6thrust23THRUST_200600_302600_NS10device_ptrIiEESB_SB_iNS9_4plusIvEENS9_8equal_toIvEEiEE10hipError_tPvRmT2_T3_T4_T5_mT6_T7_P12ihipStream_tbENKUlT_T0_E_clISt17integral_constantIbLb1EESW_EEDaSR_SS_EUlSR_E_NS1_11comp_targetILNS1_3genE8ELNS1_11target_archE1030ELNS1_3gpuE2ELNS1_3repE0EEENS1_30default_config_static_selectorELNS0_4arch9wavefront6targetE0EEEvT1_.uses_flat_scratch, 0
	.set _ZN7rocprim17ROCPRIM_400000_NS6detail17trampoline_kernelINS0_14default_configENS1_27scan_by_key_config_selectorIiiEEZZNS1_16scan_by_key_implILNS1_25lookback_scan_determinismE0ELb1ES3_N6thrust23THRUST_200600_302600_NS10device_ptrIiEESB_SB_iNS9_4plusIvEENS9_8equal_toIvEEiEE10hipError_tPvRmT2_T3_T4_T5_mT6_T7_P12ihipStream_tbENKUlT_T0_E_clISt17integral_constantIbLb1EESW_EEDaSR_SS_EUlSR_E_NS1_11comp_targetILNS1_3genE8ELNS1_11target_archE1030ELNS1_3gpuE2ELNS1_3repE0EEENS1_30default_config_static_selectorELNS0_4arch9wavefront6targetE0EEEvT1_.has_dyn_sized_stack, 0
	.set _ZN7rocprim17ROCPRIM_400000_NS6detail17trampoline_kernelINS0_14default_configENS1_27scan_by_key_config_selectorIiiEEZZNS1_16scan_by_key_implILNS1_25lookback_scan_determinismE0ELb1ES3_N6thrust23THRUST_200600_302600_NS10device_ptrIiEESB_SB_iNS9_4plusIvEENS9_8equal_toIvEEiEE10hipError_tPvRmT2_T3_T4_T5_mT6_T7_P12ihipStream_tbENKUlT_T0_E_clISt17integral_constantIbLb1EESW_EEDaSR_SS_EUlSR_E_NS1_11comp_targetILNS1_3genE8ELNS1_11target_archE1030ELNS1_3gpuE2ELNS1_3repE0EEENS1_30default_config_static_selectorELNS0_4arch9wavefront6targetE0EEEvT1_.has_recursion, 0
	.set _ZN7rocprim17ROCPRIM_400000_NS6detail17trampoline_kernelINS0_14default_configENS1_27scan_by_key_config_selectorIiiEEZZNS1_16scan_by_key_implILNS1_25lookback_scan_determinismE0ELb1ES3_N6thrust23THRUST_200600_302600_NS10device_ptrIiEESB_SB_iNS9_4plusIvEENS9_8equal_toIvEEiEE10hipError_tPvRmT2_T3_T4_T5_mT6_T7_P12ihipStream_tbENKUlT_T0_E_clISt17integral_constantIbLb1EESW_EEDaSR_SS_EUlSR_E_NS1_11comp_targetILNS1_3genE8ELNS1_11target_archE1030ELNS1_3gpuE2ELNS1_3repE0EEENS1_30default_config_static_selectorELNS0_4arch9wavefront6targetE0EEEvT1_.has_indirect_call, 0
	.section	.AMDGPU.csdata,"",@progbits
; Kernel info:
; codeLenInByte = 0
; TotalNumSgprs: 0
; NumVgprs: 0
; ScratchSize: 0
; MemoryBound: 0
; FloatMode: 240
; IeeeMode: 1
; LDSByteSize: 0 bytes/workgroup (compile time only)
; SGPRBlocks: 0
; VGPRBlocks: 0
; NumSGPRsForWavesPerEU: 1
; NumVGPRsForWavesPerEU: 1
; NamedBarCnt: 0
; Occupancy: 16
; WaveLimiterHint : 0
; COMPUTE_PGM_RSRC2:SCRATCH_EN: 0
; COMPUTE_PGM_RSRC2:USER_SGPR: 2
; COMPUTE_PGM_RSRC2:TRAP_HANDLER: 0
; COMPUTE_PGM_RSRC2:TGID_X_EN: 1
; COMPUTE_PGM_RSRC2:TGID_Y_EN: 0
; COMPUTE_PGM_RSRC2:TGID_Z_EN: 0
; COMPUTE_PGM_RSRC2:TIDIG_COMP_CNT: 0
	.section	.text._ZN7rocprim17ROCPRIM_400000_NS6detail17trampoline_kernelINS0_14default_configENS1_27scan_by_key_config_selectorIiiEEZZNS1_16scan_by_key_implILNS1_25lookback_scan_determinismE0ELb1ES3_N6thrust23THRUST_200600_302600_NS10device_ptrIiEESB_SB_iNS9_4plusIvEENS9_8equal_toIvEEiEE10hipError_tPvRmT2_T3_T4_T5_mT6_T7_P12ihipStream_tbENKUlT_T0_E_clISt17integral_constantIbLb1EESV_IbLb0EEEEDaSR_SS_EUlSR_E_NS1_11comp_targetILNS1_3genE0ELNS1_11target_archE4294967295ELNS1_3gpuE0ELNS1_3repE0EEENS1_30default_config_static_selectorELNS0_4arch9wavefront6targetE0EEEvT1_,"axG",@progbits,_ZN7rocprim17ROCPRIM_400000_NS6detail17trampoline_kernelINS0_14default_configENS1_27scan_by_key_config_selectorIiiEEZZNS1_16scan_by_key_implILNS1_25lookback_scan_determinismE0ELb1ES3_N6thrust23THRUST_200600_302600_NS10device_ptrIiEESB_SB_iNS9_4plusIvEENS9_8equal_toIvEEiEE10hipError_tPvRmT2_T3_T4_T5_mT6_T7_P12ihipStream_tbENKUlT_T0_E_clISt17integral_constantIbLb1EESV_IbLb0EEEEDaSR_SS_EUlSR_E_NS1_11comp_targetILNS1_3genE0ELNS1_11target_archE4294967295ELNS1_3gpuE0ELNS1_3repE0EEENS1_30default_config_static_selectorELNS0_4arch9wavefront6targetE0EEEvT1_,comdat
	.protected	_ZN7rocprim17ROCPRIM_400000_NS6detail17trampoline_kernelINS0_14default_configENS1_27scan_by_key_config_selectorIiiEEZZNS1_16scan_by_key_implILNS1_25lookback_scan_determinismE0ELb1ES3_N6thrust23THRUST_200600_302600_NS10device_ptrIiEESB_SB_iNS9_4plusIvEENS9_8equal_toIvEEiEE10hipError_tPvRmT2_T3_T4_T5_mT6_T7_P12ihipStream_tbENKUlT_T0_E_clISt17integral_constantIbLb1EESV_IbLb0EEEEDaSR_SS_EUlSR_E_NS1_11comp_targetILNS1_3genE0ELNS1_11target_archE4294967295ELNS1_3gpuE0ELNS1_3repE0EEENS1_30default_config_static_selectorELNS0_4arch9wavefront6targetE0EEEvT1_ ; -- Begin function _ZN7rocprim17ROCPRIM_400000_NS6detail17trampoline_kernelINS0_14default_configENS1_27scan_by_key_config_selectorIiiEEZZNS1_16scan_by_key_implILNS1_25lookback_scan_determinismE0ELb1ES3_N6thrust23THRUST_200600_302600_NS10device_ptrIiEESB_SB_iNS9_4plusIvEENS9_8equal_toIvEEiEE10hipError_tPvRmT2_T3_T4_T5_mT6_T7_P12ihipStream_tbENKUlT_T0_E_clISt17integral_constantIbLb1EESV_IbLb0EEEEDaSR_SS_EUlSR_E_NS1_11comp_targetILNS1_3genE0ELNS1_11target_archE4294967295ELNS1_3gpuE0ELNS1_3repE0EEENS1_30default_config_static_selectorELNS0_4arch9wavefront6targetE0EEEvT1_
	.globl	_ZN7rocprim17ROCPRIM_400000_NS6detail17trampoline_kernelINS0_14default_configENS1_27scan_by_key_config_selectorIiiEEZZNS1_16scan_by_key_implILNS1_25lookback_scan_determinismE0ELb1ES3_N6thrust23THRUST_200600_302600_NS10device_ptrIiEESB_SB_iNS9_4plusIvEENS9_8equal_toIvEEiEE10hipError_tPvRmT2_T3_T4_T5_mT6_T7_P12ihipStream_tbENKUlT_T0_E_clISt17integral_constantIbLb1EESV_IbLb0EEEEDaSR_SS_EUlSR_E_NS1_11comp_targetILNS1_3genE0ELNS1_11target_archE4294967295ELNS1_3gpuE0ELNS1_3repE0EEENS1_30default_config_static_selectorELNS0_4arch9wavefront6targetE0EEEvT1_
	.p2align	8
	.type	_ZN7rocprim17ROCPRIM_400000_NS6detail17trampoline_kernelINS0_14default_configENS1_27scan_by_key_config_selectorIiiEEZZNS1_16scan_by_key_implILNS1_25lookback_scan_determinismE0ELb1ES3_N6thrust23THRUST_200600_302600_NS10device_ptrIiEESB_SB_iNS9_4plusIvEENS9_8equal_toIvEEiEE10hipError_tPvRmT2_T3_T4_T5_mT6_T7_P12ihipStream_tbENKUlT_T0_E_clISt17integral_constantIbLb1EESV_IbLb0EEEEDaSR_SS_EUlSR_E_NS1_11comp_targetILNS1_3genE0ELNS1_11target_archE4294967295ELNS1_3gpuE0ELNS1_3repE0EEENS1_30default_config_static_selectorELNS0_4arch9wavefront6targetE0EEEvT1_,@function
_ZN7rocprim17ROCPRIM_400000_NS6detail17trampoline_kernelINS0_14default_configENS1_27scan_by_key_config_selectorIiiEEZZNS1_16scan_by_key_implILNS1_25lookback_scan_determinismE0ELb1ES3_N6thrust23THRUST_200600_302600_NS10device_ptrIiEESB_SB_iNS9_4plusIvEENS9_8equal_toIvEEiEE10hipError_tPvRmT2_T3_T4_T5_mT6_T7_P12ihipStream_tbENKUlT_T0_E_clISt17integral_constantIbLb1EESV_IbLb0EEEEDaSR_SS_EUlSR_E_NS1_11comp_targetILNS1_3genE0ELNS1_11target_archE4294967295ELNS1_3gpuE0ELNS1_3repE0EEENS1_30default_config_static_selectorELNS0_4arch9wavefront6targetE0EEEvT1_: ; @_ZN7rocprim17ROCPRIM_400000_NS6detail17trampoline_kernelINS0_14default_configENS1_27scan_by_key_config_selectorIiiEEZZNS1_16scan_by_key_implILNS1_25lookback_scan_determinismE0ELb1ES3_N6thrust23THRUST_200600_302600_NS10device_ptrIiEESB_SB_iNS9_4plusIvEENS9_8equal_toIvEEiEE10hipError_tPvRmT2_T3_T4_T5_mT6_T7_P12ihipStream_tbENKUlT_T0_E_clISt17integral_constantIbLb1EESV_IbLb0EEEEDaSR_SS_EUlSR_E_NS1_11comp_targetILNS1_3genE0ELNS1_11target_archE4294967295ELNS1_3gpuE0ELNS1_3repE0EEENS1_30default_config_static_selectorELNS0_4arch9wavefront6targetE0EEEvT1_
; %bb.0:
	s_endpgm
	.section	.rodata,"a",@progbits
	.p2align	6, 0x0
	.amdhsa_kernel _ZN7rocprim17ROCPRIM_400000_NS6detail17trampoline_kernelINS0_14default_configENS1_27scan_by_key_config_selectorIiiEEZZNS1_16scan_by_key_implILNS1_25lookback_scan_determinismE0ELb1ES3_N6thrust23THRUST_200600_302600_NS10device_ptrIiEESB_SB_iNS9_4plusIvEENS9_8equal_toIvEEiEE10hipError_tPvRmT2_T3_T4_T5_mT6_T7_P12ihipStream_tbENKUlT_T0_E_clISt17integral_constantIbLb1EESV_IbLb0EEEEDaSR_SS_EUlSR_E_NS1_11comp_targetILNS1_3genE0ELNS1_11target_archE4294967295ELNS1_3gpuE0ELNS1_3repE0EEENS1_30default_config_static_selectorELNS0_4arch9wavefront6targetE0EEEvT1_
		.amdhsa_group_segment_fixed_size 0
		.amdhsa_private_segment_fixed_size 0
		.amdhsa_kernarg_size 112
		.amdhsa_user_sgpr_count 2
		.amdhsa_user_sgpr_dispatch_ptr 0
		.amdhsa_user_sgpr_queue_ptr 0
		.amdhsa_user_sgpr_kernarg_segment_ptr 1
		.amdhsa_user_sgpr_dispatch_id 0
		.amdhsa_user_sgpr_kernarg_preload_length 0
		.amdhsa_user_sgpr_kernarg_preload_offset 0
		.amdhsa_user_sgpr_private_segment_size 0
		.amdhsa_wavefront_size32 1
		.amdhsa_uses_dynamic_stack 0
		.amdhsa_enable_private_segment 0
		.amdhsa_system_sgpr_workgroup_id_x 1
		.amdhsa_system_sgpr_workgroup_id_y 0
		.amdhsa_system_sgpr_workgroup_id_z 0
		.amdhsa_system_sgpr_workgroup_info 0
		.amdhsa_system_vgpr_workitem_id 0
		.amdhsa_next_free_vgpr 1
		.amdhsa_next_free_sgpr 1
		.amdhsa_named_barrier_count 0
		.amdhsa_reserve_vcc 0
		.amdhsa_float_round_mode_32 0
		.amdhsa_float_round_mode_16_64 0
		.amdhsa_float_denorm_mode_32 3
		.amdhsa_float_denorm_mode_16_64 3
		.amdhsa_fp16_overflow 0
		.amdhsa_memory_ordered 1
		.amdhsa_forward_progress 1
		.amdhsa_inst_pref_size 1
		.amdhsa_round_robin_scheduling 0
		.amdhsa_exception_fp_ieee_invalid_op 0
		.amdhsa_exception_fp_denorm_src 0
		.amdhsa_exception_fp_ieee_div_zero 0
		.amdhsa_exception_fp_ieee_overflow 0
		.amdhsa_exception_fp_ieee_underflow 0
		.amdhsa_exception_fp_ieee_inexact 0
		.amdhsa_exception_int_div_zero 0
	.end_amdhsa_kernel
	.section	.text._ZN7rocprim17ROCPRIM_400000_NS6detail17trampoline_kernelINS0_14default_configENS1_27scan_by_key_config_selectorIiiEEZZNS1_16scan_by_key_implILNS1_25lookback_scan_determinismE0ELb1ES3_N6thrust23THRUST_200600_302600_NS10device_ptrIiEESB_SB_iNS9_4plusIvEENS9_8equal_toIvEEiEE10hipError_tPvRmT2_T3_T4_T5_mT6_T7_P12ihipStream_tbENKUlT_T0_E_clISt17integral_constantIbLb1EESV_IbLb0EEEEDaSR_SS_EUlSR_E_NS1_11comp_targetILNS1_3genE0ELNS1_11target_archE4294967295ELNS1_3gpuE0ELNS1_3repE0EEENS1_30default_config_static_selectorELNS0_4arch9wavefront6targetE0EEEvT1_,"axG",@progbits,_ZN7rocprim17ROCPRIM_400000_NS6detail17trampoline_kernelINS0_14default_configENS1_27scan_by_key_config_selectorIiiEEZZNS1_16scan_by_key_implILNS1_25lookback_scan_determinismE0ELb1ES3_N6thrust23THRUST_200600_302600_NS10device_ptrIiEESB_SB_iNS9_4plusIvEENS9_8equal_toIvEEiEE10hipError_tPvRmT2_T3_T4_T5_mT6_T7_P12ihipStream_tbENKUlT_T0_E_clISt17integral_constantIbLb1EESV_IbLb0EEEEDaSR_SS_EUlSR_E_NS1_11comp_targetILNS1_3genE0ELNS1_11target_archE4294967295ELNS1_3gpuE0ELNS1_3repE0EEENS1_30default_config_static_selectorELNS0_4arch9wavefront6targetE0EEEvT1_,comdat
.Lfunc_end2251:
	.size	_ZN7rocprim17ROCPRIM_400000_NS6detail17trampoline_kernelINS0_14default_configENS1_27scan_by_key_config_selectorIiiEEZZNS1_16scan_by_key_implILNS1_25lookback_scan_determinismE0ELb1ES3_N6thrust23THRUST_200600_302600_NS10device_ptrIiEESB_SB_iNS9_4plusIvEENS9_8equal_toIvEEiEE10hipError_tPvRmT2_T3_T4_T5_mT6_T7_P12ihipStream_tbENKUlT_T0_E_clISt17integral_constantIbLb1EESV_IbLb0EEEEDaSR_SS_EUlSR_E_NS1_11comp_targetILNS1_3genE0ELNS1_11target_archE4294967295ELNS1_3gpuE0ELNS1_3repE0EEENS1_30default_config_static_selectorELNS0_4arch9wavefront6targetE0EEEvT1_, .Lfunc_end2251-_ZN7rocprim17ROCPRIM_400000_NS6detail17trampoline_kernelINS0_14default_configENS1_27scan_by_key_config_selectorIiiEEZZNS1_16scan_by_key_implILNS1_25lookback_scan_determinismE0ELb1ES3_N6thrust23THRUST_200600_302600_NS10device_ptrIiEESB_SB_iNS9_4plusIvEENS9_8equal_toIvEEiEE10hipError_tPvRmT2_T3_T4_T5_mT6_T7_P12ihipStream_tbENKUlT_T0_E_clISt17integral_constantIbLb1EESV_IbLb0EEEEDaSR_SS_EUlSR_E_NS1_11comp_targetILNS1_3genE0ELNS1_11target_archE4294967295ELNS1_3gpuE0ELNS1_3repE0EEENS1_30default_config_static_selectorELNS0_4arch9wavefront6targetE0EEEvT1_
                                        ; -- End function
	.set _ZN7rocprim17ROCPRIM_400000_NS6detail17trampoline_kernelINS0_14default_configENS1_27scan_by_key_config_selectorIiiEEZZNS1_16scan_by_key_implILNS1_25lookback_scan_determinismE0ELb1ES3_N6thrust23THRUST_200600_302600_NS10device_ptrIiEESB_SB_iNS9_4plusIvEENS9_8equal_toIvEEiEE10hipError_tPvRmT2_T3_T4_T5_mT6_T7_P12ihipStream_tbENKUlT_T0_E_clISt17integral_constantIbLb1EESV_IbLb0EEEEDaSR_SS_EUlSR_E_NS1_11comp_targetILNS1_3genE0ELNS1_11target_archE4294967295ELNS1_3gpuE0ELNS1_3repE0EEENS1_30default_config_static_selectorELNS0_4arch9wavefront6targetE0EEEvT1_.num_vgpr, 0
	.set _ZN7rocprim17ROCPRIM_400000_NS6detail17trampoline_kernelINS0_14default_configENS1_27scan_by_key_config_selectorIiiEEZZNS1_16scan_by_key_implILNS1_25lookback_scan_determinismE0ELb1ES3_N6thrust23THRUST_200600_302600_NS10device_ptrIiEESB_SB_iNS9_4plusIvEENS9_8equal_toIvEEiEE10hipError_tPvRmT2_T3_T4_T5_mT6_T7_P12ihipStream_tbENKUlT_T0_E_clISt17integral_constantIbLb1EESV_IbLb0EEEEDaSR_SS_EUlSR_E_NS1_11comp_targetILNS1_3genE0ELNS1_11target_archE4294967295ELNS1_3gpuE0ELNS1_3repE0EEENS1_30default_config_static_selectorELNS0_4arch9wavefront6targetE0EEEvT1_.num_agpr, 0
	.set _ZN7rocprim17ROCPRIM_400000_NS6detail17trampoline_kernelINS0_14default_configENS1_27scan_by_key_config_selectorIiiEEZZNS1_16scan_by_key_implILNS1_25lookback_scan_determinismE0ELb1ES3_N6thrust23THRUST_200600_302600_NS10device_ptrIiEESB_SB_iNS9_4plusIvEENS9_8equal_toIvEEiEE10hipError_tPvRmT2_T3_T4_T5_mT6_T7_P12ihipStream_tbENKUlT_T0_E_clISt17integral_constantIbLb1EESV_IbLb0EEEEDaSR_SS_EUlSR_E_NS1_11comp_targetILNS1_3genE0ELNS1_11target_archE4294967295ELNS1_3gpuE0ELNS1_3repE0EEENS1_30default_config_static_selectorELNS0_4arch9wavefront6targetE0EEEvT1_.numbered_sgpr, 0
	.set _ZN7rocprim17ROCPRIM_400000_NS6detail17trampoline_kernelINS0_14default_configENS1_27scan_by_key_config_selectorIiiEEZZNS1_16scan_by_key_implILNS1_25lookback_scan_determinismE0ELb1ES3_N6thrust23THRUST_200600_302600_NS10device_ptrIiEESB_SB_iNS9_4plusIvEENS9_8equal_toIvEEiEE10hipError_tPvRmT2_T3_T4_T5_mT6_T7_P12ihipStream_tbENKUlT_T0_E_clISt17integral_constantIbLb1EESV_IbLb0EEEEDaSR_SS_EUlSR_E_NS1_11comp_targetILNS1_3genE0ELNS1_11target_archE4294967295ELNS1_3gpuE0ELNS1_3repE0EEENS1_30default_config_static_selectorELNS0_4arch9wavefront6targetE0EEEvT1_.num_named_barrier, 0
	.set _ZN7rocprim17ROCPRIM_400000_NS6detail17trampoline_kernelINS0_14default_configENS1_27scan_by_key_config_selectorIiiEEZZNS1_16scan_by_key_implILNS1_25lookback_scan_determinismE0ELb1ES3_N6thrust23THRUST_200600_302600_NS10device_ptrIiEESB_SB_iNS9_4plusIvEENS9_8equal_toIvEEiEE10hipError_tPvRmT2_T3_T4_T5_mT6_T7_P12ihipStream_tbENKUlT_T0_E_clISt17integral_constantIbLb1EESV_IbLb0EEEEDaSR_SS_EUlSR_E_NS1_11comp_targetILNS1_3genE0ELNS1_11target_archE4294967295ELNS1_3gpuE0ELNS1_3repE0EEENS1_30default_config_static_selectorELNS0_4arch9wavefront6targetE0EEEvT1_.private_seg_size, 0
	.set _ZN7rocprim17ROCPRIM_400000_NS6detail17trampoline_kernelINS0_14default_configENS1_27scan_by_key_config_selectorIiiEEZZNS1_16scan_by_key_implILNS1_25lookback_scan_determinismE0ELb1ES3_N6thrust23THRUST_200600_302600_NS10device_ptrIiEESB_SB_iNS9_4plusIvEENS9_8equal_toIvEEiEE10hipError_tPvRmT2_T3_T4_T5_mT6_T7_P12ihipStream_tbENKUlT_T0_E_clISt17integral_constantIbLb1EESV_IbLb0EEEEDaSR_SS_EUlSR_E_NS1_11comp_targetILNS1_3genE0ELNS1_11target_archE4294967295ELNS1_3gpuE0ELNS1_3repE0EEENS1_30default_config_static_selectorELNS0_4arch9wavefront6targetE0EEEvT1_.uses_vcc, 0
	.set _ZN7rocprim17ROCPRIM_400000_NS6detail17trampoline_kernelINS0_14default_configENS1_27scan_by_key_config_selectorIiiEEZZNS1_16scan_by_key_implILNS1_25lookback_scan_determinismE0ELb1ES3_N6thrust23THRUST_200600_302600_NS10device_ptrIiEESB_SB_iNS9_4plusIvEENS9_8equal_toIvEEiEE10hipError_tPvRmT2_T3_T4_T5_mT6_T7_P12ihipStream_tbENKUlT_T0_E_clISt17integral_constantIbLb1EESV_IbLb0EEEEDaSR_SS_EUlSR_E_NS1_11comp_targetILNS1_3genE0ELNS1_11target_archE4294967295ELNS1_3gpuE0ELNS1_3repE0EEENS1_30default_config_static_selectorELNS0_4arch9wavefront6targetE0EEEvT1_.uses_flat_scratch, 0
	.set _ZN7rocprim17ROCPRIM_400000_NS6detail17trampoline_kernelINS0_14default_configENS1_27scan_by_key_config_selectorIiiEEZZNS1_16scan_by_key_implILNS1_25lookback_scan_determinismE0ELb1ES3_N6thrust23THRUST_200600_302600_NS10device_ptrIiEESB_SB_iNS9_4plusIvEENS9_8equal_toIvEEiEE10hipError_tPvRmT2_T3_T4_T5_mT6_T7_P12ihipStream_tbENKUlT_T0_E_clISt17integral_constantIbLb1EESV_IbLb0EEEEDaSR_SS_EUlSR_E_NS1_11comp_targetILNS1_3genE0ELNS1_11target_archE4294967295ELNS1_3gpuE0ELNS1_3repE0EEENS1_30default_config_static_selectorELNS0_4arch9wavefront6targetE0EEEvT1_.has_dyn_sized_stack, 0
	.set _ZN7rocprim17ROCPRIM_400000_NS6detail17trampoline_kernelINS0_14default_configENS1_27scan_by_key_config_selectorIiiEEZZNS1_16scan_by_key_implILNS1_25lookback_scan_determinismE0ELb1ES3_N6thrust23THRUST_200600_302600_NS10device_ptrIiEESB_SB_iNS9_4plusIvEENS9_8equal_toIvEEiEE10hipError_tPvRmT2_T3_T4_T5_mT6_T7_P12ihipStream_tbENKUlT_T0_E_clISt17integral_constantIbLb1EESV_IbLb0EEEEDaSR_SS_EUlSR_E_NS1_11comp_targetILNS1_3genE0ELNS1_11target_archE4294967295ELNS1_3gpuE0ELNS1_3repE0EEENS1_30default_config_static_selectorELNS0_4arch9wavefront6targetE0EEEvT1_.has_recursion, 0
	.set _ZN7rocprim17ROCPRIM_400000_NS6detail17trampoline_kernelINS0_14default_configENS1_27scan_by_key_config_selectorIiiEEZZNS1_16scan_by_key_implILNS1_25lookback_scan_determinismE0ELb1ES3_N6thrust23THRUST_200600_302600_NS10device_ptrIiEESB_SB_iNS9_4plusIvEENS9_8equal_toIvEEiEE10hipError_tPvRmT2_T3_T4_T5_mT6_T7_P12ihipStream_tbENKUlT_T0_E_clISt17integral_constantIbLb1EESV_IbLb0EEEEDaSR_SS_EUlSR_E_NS1_11comp_targetILNS1_3genE0ELNS1_11target_archE4294967295ELNS1_3gpuE0ELNS1_3repE0EEENS1_30default_config_static_selectorELNS0_4arch9wavefront6targetE0EEEvT1_.has_indirect_call, 0
	.section	.AMDGPU.csdata,"",@progbits
; Kernel info:
; codeLenInByte = 4
; TotalNumSgprs: 0
; NumVgprs: 0
; ScratchSize: 0
; MemoryBound: 0
; FloatMode: 240
; IeeeMode: 1
; LDSByteSize: 0 bytes/workgroup (compile time only)
; SGPRBlocks: 0
; VGPRBlocks: 0
; NumSGPRsForWavesPerEU: 1
; NumVGPRsForWavesPerEU: 1
; NamedBarCnt: 0
; Occupancy: 16
; WaveLimiterHint : 0
; COMPUTE_PGM_RSRC2:SCRATCH_EN: 0
; COMPUTE_PGM_RSRC2:USER_SGPR: 2
; COMPUTE_PGM_RSRC2:TRAP_HANDLER: 0
; COMPUTE_PGM_RSRC2:TGID_X_EN: 1
; COMPUTE_PGM_RSRC2:TGID_Y_EN: 0
; COMPUTE_PGM_RSRC2:TGID_Z_EN: 0
; COMPUTE_PGM_RSRC2:TIDIG_COMP_CNT: 0
	.section	.text._ZN7rocprim17ROCPRIM_400000_NS6detail17trampoline_kernelINS0_14default_configENS1_27scan_by_key_config_selectorIiiEEZZNS1_16scan_by_key_implILNS1_25lookback_scan_determinismE0ELb1ES3_N6thrust23THRUST_200600_302600_NS10device_ptrIiEESB_SB_iNS9_4plusIvEENS9_8equal_toIvEEiEE10hipError_tPvRmT2_T3_T4_T5_mT6_T7_P12ihipStream_tbENKUlT_T0_E_clISt17integral_constantIbLb1EESV_IbLb0EEEEDaSR_SS_EUlSR_E_NS1_11comp_targetILNS1_3genE10ELNS1_11target_archE1201ELNS1_3gpuE5ELNS1_3repE0EEENS1_30default_config_static_selectorELNS0_4arch9wavefront6targetE0EEEvT1_,"axG",@progbits,_ZN7rocprim17ROCPRIM_400000_NS6detail17trampoline_kernelINS0_14default_configENS1_27scan_by_key_config_selectorIiiEEZZNS1_16scan_by_key_implILNS1_25lookback_scan_determinismE0ELb1ES3_N6thrust23THRUST_200600_302600_NS10device_ptrIiEESB_SB_iNS9_4plusIvEENS9_8equal_toIvEEiEE10hipError_tPvRmT2_T3_T4_T5_mT6_T7_P12ihipStream_tbENKUlT_T0_E_clISt17integral_constantIbLb1EESV_IbLb0EEEEDaSR_SS_EUlSR_E_NS1_11comp_targetILNS1_3genE10ELNS1_11target_archE1201ELNS1_3gpuE5ELNS1_3repE0EEENS1_30default_config_static_selectorELNS0_4arch9wavefront6targetE0EEEvT1_,comdat
	.protected	_ZN7rocprim17ROCPRIM_400000_NS6detail17trampoline_kernelINS0_14default_configENS1_27scan_by_key_config_selectorIiiEEZZNS1_16scan_by_key_implILNS1_25lookback_scan_determinismE0ELb1ES3_N6thrust23THRUST_200600_302600_NS10device_ptrIiEESB_SB_iNS9_4plusIvEENS9_8equal_toIvEEiEE10hipError_tPvRmT2_T3_T4_T5_mT6_T7_P12ihipStream_tbENKUlT_T0_E_clISt17integral_constantIbLb1EESV_IbLb0EEEEDaSR_SS_EUlSR_E_NS1_11comp_targetILNS1_3genE10ELNS1_11target_archE1201ELNS1_3gpuE5ELNS1_3repE0EEENS1_30default_config_static_selectorELNS0_4arch9wavefront6targetE0EEEvT1_ ; -- Begin function _ZN7rocprim17ROCPRIM_400000_NS6detail17trampoline_kernelINS0_14default_configENS1_27scan_by_key_config_selectorIiiEEZZNS1_16scan_by_key_implILNS1_25lookback_scan_determinismE0ELb1ES3_N6thrust23THRUST_200600_302600_NS10device_ptrIiEESB_SB_iNS9_4plusIvEENS9_8equal_toIvEEiEE10hipError_tPvRmT2_T3_T4_T5_mT6_T7_P12ihipStream_tbENKUlT_T0_E_clISt17integral_constantIbLb1EESV_IbLb0EEEEDaSR_SS_EUlSR_E_NS1_11comp_targetILNS1_3genE10ELNS1_11target_archE1201ELNS1_3gpuE5ELNS1_3repE0EEENS1_30default_config_static_selectorELNS0_4arch9wavefront6targetE0EEEvT1_
	.globl	_ZN7rocprim17ROCPRIM_400000_NS6detail17trampoline_kernelINS0_14default_configENS1_27scan_by_key_config_selectorIiiEEZZNS1_16scan_by_key_implILNS1_25lookback_scan_determinismE0ELb1ES3_N6thrust23THRUST_200600_302600_NS10device_ptrIiEESB_SB_iNS9_4plusIvEENS9_8equal_toIvEEiEE10hipError_tPvRmT2_T3_T4_T5_mT6_T7_P12ihipStream_tbENKUlT_T0_E_clISt17integral_constantIbLb1EESV_IbLb0EEEEDaSR_SS_EUlSR_E_NS1_11comp_targetILNS1_3genE10ELNS1_11target_archE1201ELNS1_3gpuE5ELNS1_3repE0EEENS1_30default_config_static_selectorELNS0_4arch9wavefront6targetE0EEEvT1_
	.p2align	8
	.type	_ZN7rocprim17ROCPRIM_400000_NS6detail17trampoline_kernelINS0_14default_configENS1_27scan_by_key_config_selectorIiiEEZZNS1_16scan_by_key_implILNS1_25lookback_scan_determinismE0ELb1ES3_N6thrust23THRUST_200600_302600_NS10device_ptrIiEESB_SB_iNS9_4plusIvEENS9_8equal_toIvEEiEE10hipError_tPvRmT2_T3_T4_T5_mT6_T7_P12ihipStream_tbENKUlT_T0_E_clISt17integral_constantIbLb1EESV_IbLb0EEEEDaSR_SS_EUlSR_E_NS1_11comp_targetILNS1_3genE10ELNS1_11target_archE1201ELNS1_3gpuE5ELNS1_3repE0EEENS1_30default_config_static_selectorELNS0_4arch9wavefront6targetE0EEEvT1_,@function
_ZN7rocprim17ROCPRIM_400000_NS6detail17trampoline_kernelINS0_14default_configENS1_27scan_by_key_config_selectorIiiEEZZNS1_16scan_by_key_implILNS1_25lookback_scan_determinismE0ELb1ES3_N6thrust23THRUST_200600_302600_NS10device_ptrIiEESB_SB_iNS9_4plusIvEENS9_8equal_toIvEEiEE10hipError_tPvRmT2_T3_T4_T5_mT6_T7_P12ihipStream_tbENKUlT_T0_E_clISt17integral_constantIbLb1EESV_IbLb0EEEEDaSR_SS_EUlSR_E_NS1_11comp_targetILNS1_3genE10ELNS1_11target_archE1201ELNS1_3gpuE5ELNS1_3repE0EEENS1_30default_config_static_selectorELNS0_4arch9wavefront6targetE0EEEvT1_: ; @_ZN7rocprim17ROCPRIM_400000_NS6detail17trampoline_kernelINS0_14default_configENS1_27scan_by_key_config_selectorIiiEEZZNS1_16scan_by_key_implILNS1_25lookback_scan_determinismE0ELb1ES3_N6thrust23THRUST_200600_302600_NS10device_ptrIiEESB_SB_iNS9_4plusIvEENS9_8equal_toIvEEiEE10hipError_tPvRmT2_T3_T4_T5_mT6_T7_P12ihipStream_tbENKUlT_T0_E_clISt17integral_constantIbLb1EESV_IbLb0EEEEDaSR_SS_EUlSR_E_NS1_11comp_targetILNS1_3genE10ELNS1_11target_archE1201ELNS1_3gpuE5ELNS1_3repE0EEENS1_30default_config_static_selectorELNS0_4arch9wavefront6targetE0EEEvT1_
; %bb.0:
	.section	.rodata,"a",@progbits
	.p2align	6, 0x0
	.amdhsa_kernel _ZN7rocprim17ROCPRIM_400000_NS6detail17trampoline_kernelINS0_14default_configENS1_27scan_by_key_config_selectorIiiEEZZNS1_16scan_by_key_implILNS1_25lookback_scan_determinismE0ELb1ES3_N6thrust23THRUST_200600_302600_NS10device_ptrIiEESB_SB_iNS9_4plusIvEENS9_8equal_toIvEEiEE10hipError_tPvRmT2_T3_T4_T5_mT6_T7_P12ihipStream_tbENKUlT_T0_E_clISt17integral_constantIbLb1EESV_IbLb0EEEEDaSR_SS_EUlSR_E_NS1_11comp_targetILNS1_3genE10ELNS1_11target_archE1201ELNS1_3gpuE5ELNS1_3repE0EEENS1_30default_config_static_selectorELNS0_4arch9wavefront6targetE0EEEvT1_
		.amdhsa_group_segment_fixed_size 0
		.amdhsa_private_segment_fixed_size 0
		.amdhsa_kernarg_size 112
		.amdhsa_user_sgpr_count 2
		.amdhsa_user_sgpr_dispatch_ptr 0
		.amdhsa_user_sgpr_queue_ptr 0
		.amdhsa_user_sgpr_kernarg_segment_ptr 1
		.amdhsa_user_sgpr_dispatch_id 0
		.amdhsa_user_sgpr_kernarg_preload_length 0
		.amdhsa_user_sgpr_kernarg_preload_offset 0
		.amdhsa_user_sgpr_private_segment_size 0
		.amdhsa_wavefront_size32 1
		.amdhsa_uses_dynamic_stack 0
		.amdhsa_enable_private_segment 0
		.amdhsa_system_sgpr_workgroup_id_x 1
		.amdhsa_system_sgpr_workgroup_id_y 0
		.amdhsa_system_sgpr_workgroup_id_z 0
		.amdhsa_system_sgpr_workgroup_info 0
		.amdhsa_system_vgpr_workitem_id 0
		.amdhsa_next_free_vgpr 1
		.amdhsa_next_free_sgpr 1
		.amdhsa_named_barrier_count 0
		.amdhsa_reserve_vcc 0
		.amdhsa_float_round_mode_32 0
		.amdhsa_float_round_mode_16_64 0
		.amdhsa_float_denorm_mode_32 3
		.amdhsa_float_denorm_mode_16_64 3
		.amdhsa_fp16_overflow 0
		.amdhsa_memory_ordered 1
		.amdhsa_forward_progress 1
		.amdhsa_inst_pref_size 0
		.amdhsa_round_robin_scheduling 0
		.amdhsa_exception_fp_ieee_invalid_op 0
		.amdhsa_exception_fp_denorm_src 0
		.amdhsa_exception_fp_ieee_div_zero 0
		.amdhsa_exception_fp_ieee_overflow 0
		.amdhsa_exception_fp_ieee_underflow 0
		.amdhsa_exception_fp_ieee_inexact 0
		.amdhsa_exception_int_div_zero 0
	.end_amdhsa_kernel
	.section	.text._ZN7rocprim17ROCPRIM_400000_NS6detail17trampoline_kernelINS0_14default_configENS1_27scan_by_key_config_selectorIiiEEZZNS1_16scan_by_key_implILNS1_25lookback_scan_determinismE0ELb1ES3_N6thrust23THRUST_200600_302600_NS10device_ptrIiEESB_SB_iNS9_4plusIvEENS9_8equal_toIvEEiEE10hipError_tPvRmT2_T3_T4_T5_mT6_T7_P12ihipStream_tbENKUlT_T0_E_clISt17integral_constantIbLb1EESV_IbLb0EEEEDaSR_SS_EUlSR_E_NS1_11comp_targetILNS1_3genE10ELNS1_11target_archE1201ELNS1_3gpuE5ELNS1_3repE0EEENS1_30default_config_static_selectorELNS0_4arch9wavefront6targetE0EEEvT1_,"axG",@progbits,_ZN7rocprim17ROCPRIM_400000_NS6detail17trampoline_kernelINS0_14default_configENS1_27scan_by_key_config_selectorIiiEEZZNS1_16scan_by_key_implILNS1_25lookback_scan_determinismE0ELb1ES3_N6thrust23THRUST_200600_302600_NS10device_ptrIiEESB_SB_iNS9_4plusIvEENS9_8equal_toIvEEiEE10hipError_tPvRmT2_T3_T4_T5_mT6_T7_P12ihipStream_tbENKUlT_T0_E_clISt17integral_constantIbLb1EESV_IbLb0EEEEDaSR_SS_EUlSR_E_NS1_11comp_targetILNS1_3genE10ELNS1_11target_archE1201ELNS1_3gpuE5ELNS1_3repE0EEENS1_30default_config_static_selectorELNS0_4arch9wavefront6targetE0EEEvT1_,comdat
.Lfunc_end2252:
	.size	_ZN7rocprim17ROCPRIM_400000_NS6detail17trampoline_kernelINS0_14default_configENS1_27scan_by_key_config_selectorIiiEEZZNS1_16scan_by_key_implILNS1_25lookback_scan_determinismE0ELb1ES3_N6thrust23THRUST_200600_302600_NS10device_ptrIiEESB_SB_iNS9_4plusIvEENS9_8equal_toIvEEiEE10hipError_tPvRmT2_T3_T4_T5_mT6_T7_P12ihipStream_tbENKUlT_T0_E_clISt17integral_constantIbLb1EESV_IbLb0EEEEDaSR_SS_EUlSR_E_NS1_11comp_targetILNS1_3genE10ELNS1_11target_archE1201ELNS1_3gpuE5ELNS1_3repE0EEENS1_30default_config_static_selectorELNS0_4arch9wavefront6targetE0EEEvT1_, .Lfunc_end2252-_ZN7rocprim17ROCPRIM_400000_NS6detail17trampoline_kernelINS0_14default_configENS1_27scan_by_key_config_selectorIiiEEZZNS1_16scan_by_key_implILNS1_25lookback_scan_determinismE0ELb1ES3_N6thrust23THRUST_200600_302600_NS10device_ptrIiEESB_SB_iNS9_4plusIvEENS9_8equal_toIvEEiEE10hipError_tPvRmT2_T3_T4_T5_mT6_T7_P12ihipStream_tbENKUlT_T0_E_clISt17integral_constantIbLb1EESV_IbLb0EEEEDaSR_SS_EUlSR_E_NS1_11comp_targetILNS1_3genE10ELNS1_11target_archE1201ELNS1_3gpuE5ELNS1_3repE0EEENS1_30default_config_static_selectorELNS0_4arch9wavefront6targetE0EEEvT1_
                                        ; -- End function
	.set _ZN7rocprim17ROCPRIM_400000_NS6detail17trampoline_kernelINS0_14default_configENS1_27scan_by_key_config_selectorIiiEEZZNS1_16scan_by_key_implILNS1_25lookback_scan_determinismE0ELb1ES3_N6thrust23THRUST_200600_302600_NS10device_ptrIiEESB_SB_iNS9_4plusIvEENS9_8equal_toIvEEiEE10hipError_tPvRmT2_T3_T4_T5_mT6_T7_P12ihipStream_tbENKUlT_T0_E_clISt17integral_constantIbLb1EESV_IbLb0EEEEDaSR_SS_EUlSR_E_NS1_11comp_targetILNS1_3genE10ELNS1_11target_archE1201ELNS1_3gpuE5ELNS1_3repE0EEENS1_30default_config_static_selectorELNS0_4arch9wavefront6targetE0EEEvT1_.num_vgpr, 0
	.set _ZN7rocprim17ROCPRIM_400000_NS6detail17trampoline_kernelINS0_14default_configENS1_27scan_by_key_config_selectorIiiEEZZNS1_16scan_by_key_implILNS1_25lookback_scan_determinismE0ELb1ES3_N6thrust23THRUST_200600_302600_NS10device_ptrIiEESB_SB_iNS9_4plusIvEENS9_8equal_toIvEEiEE10hipError_tPvRmT2_T3_T4_T5_mT6_T7_P12ihipStream_tbENKUlT_T0_E_clISt17integral_constantIbLb1EESV_IbLb0EEEEDaSR_SS_EUlSR_E_NS1_11comp_targetILNS1_3genE10ELNS1_11target_archE1201ELNS1_3gpuE5ELNS1_3repE0EEENS1_30default_config_static_selectorELNS0_4arch9wavefront6targetE0EEEvT1_.num_agpr, 0
	.set _ZN7rocprim17ROCPRIM_400000_NS6detail17trampoline_kernelINS0_14default_configENS1_27scan_by_key_config_selectorIiiEEZZNS1_16scan_by_key_implILNS1_25lookback_scan_determinismE0ELb1ES3_N6thrust23THRUST_200600_302600_NS10device_ptrIiEESB_SB_iNS9_4plusIvEENS9_8equal_toIvEEiEE10hipError_tPvRmT2_T3_T4_T5_mT6_T7_P12ihipStream_tbENKUlT_T0_E_clISt17integral_constantIbLb1EESV_IbLb0EEEEDaSR_SS_EUlSR_E_NS1_11comp_targetILNS1_3genE10ELNS1_11target_archE1201ELNS1_3gpuE5ELNS1_3repE0EEENS1_30default_config_static_selectorELNS0_4arch9wavefront6targetE0EEEvT1_.numbered_sgpr, 0
	.set _ZN7rocprim17ROCPRIM_400000_NS6detail17trampoline_kernelINS0_14default_configENS1_27scan_by_key_config_selectorIiiEEZZNS1_16scan_by_key_implILNS1_25lookback_scan_determinismE0ELb1ES3_N6thrust23THRUST_200600_302600_NS10device_ptrIiEESB_SB_iNS9_4plusIvEENS9_8equal_toIvEEiEE10hipError_tPvRmT2_T3_T4_T5_mT6_T7_P12ihipStream_tbENKUlT_T0_E_clISt17integral_constantIbLb1EESV_IbLb0EEEEDaSR_SS_EUlSR_E_NS1_11comp_targetILNS1_3genE10ELNS1_11target_archE1201ELNS1_3gpuE5ELNS1_3repE0EEENS1_30default_config_static_selectorELNS0_4arch9wavefront6targetE0EEEvT1_.num_named_barrier, 0
	.set _ZN7rocprim17ROCPRIM_400000_NS6detail17trampoline_kernelINS0_14default_configENS1_27scan_by_key_config_selectorIiiEEZZNS1_16scan_by_key_implILNS1_25lookback_scan_determinismE0ELb1ES3_N6thrust23THRUST_200600_302600_NS10device_ptrIiEESB_SB_iNS9_4plusIvEENS9_8equal_toIvEEiEE10hipError_tPvRmT2_T3_T4_T5_mT6_T7_P12ihipStream_tbENKUlT_T0_E_clISt17integral_constantIbLb1EESV_IbLb0EEEEDaSR_SS_EUlSR_E_NS1_11comp_targetILNS1_3genE10ELNS1_11target_archE1201ELNS1_3gpuE5ELNS1_3repE0EEENS1_30default_config_static_selectorELNS0_4arch9wavefront6targetE0EEEvT1_.private_seg_size, 0
	.set _ZN7rocprim17ROCPRIM_400000_NS6detail17trampoline_kernelINS0_14default_configENS1_27scan_by_key_config_selectorIiiEEZZNS1_16scan_by_key_implILNS1_25lookback_scan_determinismE0ELb1ES3_N6thrust23THRUST_200600_302600_NS10device_ptrIiEESB_SB_iNS9_4plusIvEENS9_8equal_toIvEEiEE10hipError_tPvRmT2_T3_T4_T5_mT6_T7_P12ihipStream_tbENKUlT_T0_E_clISt17integral_constantIbLb1EESV_IbLb0EEEEDaSR_SS_EUlSR_E_NS1_11comp_targetILNS1_3genE10ELNS1_11target_archE1201ELNS1_3gpuE5ELNS1_3repE0EEENS1_30default_config_static_selectorELNS0_4arch9wavefront6targetE0EEEvT1_.uses_vcc, 0
	.set _ZN7rocprim17ROCPRIM_400000_NS6detail17trampoline_kernelINS0_14default_configENS1_27scan_by_key_config_selectorIiiEEZZNS1_16scan_by_key_implILNS1_25lookback_scan_determinismE0ELb1ES3_N6thrust23THRUST_200600_302600_NS10device_ptrIiEESB_SB_iNS9_4plusIvEENS9_8equal_toIvEEiEE10hipError_tPvRmT2_T3_T4_T5_mT6_T7_P12ihipStream_tbENKUlT_T0_E_clISt17integral_constantIbLb1EESV_IbLb0EEEEDaSR_SS_EUlSR_E_NS1_11comp_targetILNS1_3genE10ELNS1_11target_archE1201ELNS1_3gpuE5ELNS1_3repE0EEENS1_30default_config_static_selectorELNS0_4arch9wavefront6targetE0EEEvT1_.uses_flat_scratch, 0
	.set _ZN7rocprim17ROCPRIM_400000_NS6detail17trampoline_kernelINS0_14default_configENS1_27scan_by_key_config_selectorIiiEEZZNS1_16scan_by_key_implILNS1_25lookback_scan_determinismE0ELb1ES3_N6thrust23THRUST_200600_302600_NS10device_ptrIiEESB_SB_iNS9_4plusIvEENS9_8equal_toIvEEiEE10hipError_tPvRmT2_T3_T4_T5_mT6_T7_P12ihipStream_tbENKUlT_T0_E_clISt17integral_constantIbLb1EESV_IbLb0EEEEDaSR_SS_EUlSR_E_NS1_11comp_targetILNS1_3genE10ELNS1_11target_archE1201ELNS1_3gpuE5ELNS1_3repE0EEENS1_30default_config_static_selectorELNS0_4arch9wavefront6targetE0EEEvT1_.has_dyn_sized_stack, 0
	.set _ZN7rocprim17ROCPRIM_400000_NS6detail17trampoline_kernelINS0_14default_configENS1_27scan_by_key_config_selectorIiiEEZZNS1_16scan_by_key_implILNS1_25lookback_scan_determinismE0ELb1ES3_N6thrust23THRUST_200600_302600_NS10device_ptrIiEESB_SB_iNS9_4plusIvEENS9_8equal_toIvEEiEE10hipError_tPvRmT2_T3_T4_T5_mT6_T7_P12ihipStream_tbENKUlT_T0_E_clISt17integral_constantIbLb1EESV_IbLb0EEEEDaSR_SS_EUlSR_E_NS1_11comp_targetILNS1_3genE10ELNS1_11target_archE1201ELNS1_3gpuE5ELNS1_3repE0EEENS1_30default_config_static_selectorELNS0_4arch9wavefront6targetE0EEEvT1_.has_recursion, 0
	.set _ZN7rocprim17ROCPRIM_400000_NS6detail17trampoline_kernelINS0_14default_configENS1_27scan_by_key_config_selectorIiiEEZZNS1_16scan_by_key_implILNS1_25lookback_scan_determinismE0ELb1ES3_N6thrust23THRUST_200600_302600_NS10device_ptrIiEESB_SB_iNS9_4plusIvEENS9_8equal_toIvEEiEE10hipError_tPvRmT2_T3_T4_T5_mT6_T7_P12ihipStream_tbENKUlT_T0_E_clISt17integral_constantIbLb1EESV_IbLb0EEEEDaSR_SS_EUlSR_E_NS1_11comp_targetILNS1_3genE10ELNS1_11target_archE1201ELNS1_3gpuE5ELNS1_3repE0EEENS1_30default_config_static_selectorELNS0_4arch9wavefront6targetE0EEEvT1_.has_indirect_call, 0
	.section	.AMDGPU.csdata,"",@progbits
; Kernel info:
; codeLenInByte = 0
; TotalNumSgprs: 0
; NumVgprs: 0
; ScratchSize: 0
; MemoryBound: 0
; FloatMode: 240
; IeeeMode: 1
; LDSByteSize: 0 bytes/workgroup (compile time only)
; SGPRBlocks: 0
; VGPRBlocks: 0
; NumSGPRsForWavesPerEU: 1
; NumVGPRsForWavesPerEU: 1
; NamedBarCnt: 0
; Occupancy: 16
; WaveLimiterHint : 0
; COMPUTE_PGM_RSRC2:SCRATCH_EN: 0
; COMPUTE_PGM_RSRC2:USER_SGPR: 2
; COMPUTE_PGM_RSRC2:TRAP_HANDLER: 0
; COMPUTE_PGM_RSRC2:TGID_X_EN: 1
; COMPUTE_PGM_RSRC2:TGID_Y_EN: 0
; COMPUTE_PGM_RSRC2:TGID_Z_EN: 0
; COMPUTE_PGM_RSRC2:TIDIG_COMP_CNT: 0
	.section	.text._ZN7rocprim17ROCPRIM_400000_NS6detail17trampoline_kernelINS0_14default_configENS1_27scan_by_key_config_selectorIiiEEZZNS1_16scan_by_key_implILNS1_25lookback_scan_determinismE0ELb1ES3_N6thrust23THRUST_200600_302600_NS10device_ptrIiEESB_SB_iNS9_4plusIvEENS9_8equal_toIvEEiEE10hipError_tPvRmT2_T3_T4_T5_mT6_T7_P12ihipStream_tbENKUlT_T0_E_clISt17integral_constantIbLb1EESV_IbLb0EEEEDaSR_SS_EUlSR_E_NS1_11comp_targetILNS1_3genE5ELNS1_11target_archE942ELNS1_3gpuE9ELNS1_3repE0EEENS1_30default_config_static_selectorELNS0_4arch9wavefront6targetE0EEEvT1_,"axG",@progbits,_ZN7rocprim17ROCPRIM_400000_NS6detail17trampoline_kernelINS0_14default_configENS1_27scan_by_key_config_selectorIiiEEZZNS1_16scan_by_key_implILNS1_25lookback_scan_determinismE0ELb1ES3_N6thrust23THRUST_200600_302600_NS10device_ptrIiEESB_SB_iNS9_4plusIvEENS9_8equal_toIvEEiEE10hipError_tPvRmT2_T3_T4_T5_mT6_T7_P12ihipStream_tbENKUlT_T0_E_clISt17integral_constantIbLb1EESV_IbLb0EEEEDaSR_SS_EUlSR_E_NS1_11comp_targetILNS1_3genE5ELNS1_11target_archE942ELNS1_3gpuE9ELNS1_3repE0EEENS1_30default_config_static_selectorELNS0_4arch9wavefront6targetE0EEEvT1_,comdat
	.protected	_ZN7rocprim17ROCPRIM_400000_NS6detail17trampoline_kernelINS0_14default_configENS1_27scan_by_key_config_selectorIiiEEZZNS1_16scan_by_key_implILNS1_25lookback_scan_determinismE0ELb1ES3_N6thrust23THRUST_200600_302600_NS10device_ptrIiEESB_SB_iNS9_4plusIvEENS9_8equal_toIvEEiEE10hipError_tPvRmT2_T3_T4_T5_mT6_T7_P12ihipStream_tbENKUlT_T0_E_clISt17integral_constantIbLb1EESV_IbLb0EEEEDaSR_SS_EUlSR_E_NS1_11comp_targetILNS1_3genE5ELNS1_11target_archE942ELNS1_3gpuE9ELNS1_3repE0EEENS1_30default_config_static_selectorELNS0_4arch9wavefront6targetE0EEEvT1_ ; -- Begin function _ZN7rocprim17ROCPRIM_400000_NS6detail17trampoline_kernelINS0_14default_configENS1_27scan_by_key_config_selectorIiiEEZZNS1_16scan_by_key_implILNS1_25lookback_scan_determinismE0ELb1ES3_N6thrust23THRUST_200600_302600_NS10device_ptrIiEESB_SB_iNS9_4plusIvEENS9_8equal_toIvEEiEE10hipError_tPvRmT2_T3_T4_T5_mT6_T7_P12ihipStream_tbENKUlT_T0_E_clISt17integral_constantIbLb1EESV_IbLb0EEEEDaSR_SS_EUlSR_E_NS1_11comp_targetILNS1_3genE5ELNS1_11target_archE942ELNS1_3gpuE9ELNS1_3repE0EEENS1_30default_config_static_selectorELNS0_4arch9wavefront6targetE0EEEvT1_
	.globl	_ZN7rocprim17ROCPRIM_400000_NS6detail17trampoline_kernelINS0_14default_configENS1_27scan_by_key_config_selectorIiiEEZZNS1_16scan_by_key_implILNS1_25lookback_scan_determinismE0ELb1ES3_N6thrust23THRUST_200600_302600_NS10device_ptrIiEESB_SB_iNS9_4plusIvEENS9_8equal_toIvEEiEE10hipError_tPvRmT2_T3_T4_T5_mT6_T7_P12ihipStream_tbENKUlT_T0_E_clISt17integral_constantIbLb1EESV_IbLb0EEEEDaSR_SS_EUlSR_E_NS1_11comp_targetILNS1_3genE5ELNS1_11target_archE942ELNS1_3gpuE9ELNS1_3repE0EEENS1_30default_config_static_selectorELNS0_4arch9wavefront6targetE0EEEvT1_
	.p2align	8
	.type	_ZN7rocprim17ROCPRIM_400000_NS6detail17trampoline_kernelINS0_14default_configENS1_27scan_by_key_config_selectorIiiEEZZNS1_16scan_by_key_implILNS1_25lookback_scan_determinismE0ELb1ES3_N6thrust23THRUST_200600_302600_NS10device_ptrIiEESB_SB_iNS9_4plusIvEENS9_8equal_toIvEEiEE10hipError_tPvRmT2_T3_T4_T5_mT6_T7_P12ihipStream_tbENKUlT_T0_E_clISt17integral_constantIbLb1EESV_IbLb0EEEEDaSR_SS_EUlSR_E_NS1_11comp_targetILNS1_3genE5ELNS1_11target_archE942ELNS1_3gpuE9ELNS1_3repE0EEENS1_30default_config_static_selectorELNS0_4arch9wavefront6targetE0EEEvT1_,@function
_ZN7rocprim17ROCPRIM_400000_NS6detail17trampoline_kernelINS0_14default_configENS1_27scan_by_key_config_selectorIiiEEZZNS1_16scan_by_key_implILNS1_25lookback_scan_determinismE0ELb1ES3_N6thrust23THRUST_200600_302600_NS10device_ptrIiEESB_SB_iNS9_4plusIvEENS9_8equal_toIvEEiEE10hipError_tPvRmT2_T3_T4_T5_mT6_T7_P12ihipStream_tbENKUlT_T0_E_clISt17integral_constantIbLb1EESV_IbLb0EEEEDaSR_SS_EUlSR_E_NS1_11comp_targetILNS1_3genE5ELNS1_11target_archE942ELNS1_3gpuE9ELNS1_3repE0EEENS1_30default_config_static_selectorELNS0_4arch9wavefront6targetE0EEEvT1_: ; @_ZN7rocprim17ROCPRIM_400000_NS6detail17trampoline_kernelINS0_14default_configENS1_27scan_by_key_config_selectorIiiEEZZNS1_16scan_by_key_implILNS1_25lookback_scan_determinismE0ELb1ES3_N6thrust23THRUST_200600_302600_NS10device_ptrIiEESB_SB_iNS9_4plusIvEENS9_8equal_toIvEEiEE10hipError_tPvRmT2_T3_T4_T5_mT6_T7_P12ihipStream_tbENKUlT_T0_E_clISt17integral_constantIbLb1EESV_IbLb0EEEEDaSR_SS_EUlSR_E_NS1_11comp_targetILNS1_3genE5ELNS1_11target_archE942ELNS1_3gpuE9ELNS1_3repE0EEENS1_30default_config_static_selectorELNS0_4arch9wavefront6targetE0EEEvT1_
; %bb.0:
	.section	.rodata,"a",@progbits
	.p2align	6, 0x0
	.amdhsa_kernel _ZN7rocprim17ROCPRIM_400000_NS6detail17trampoline_kernelINS0_14default_configENS1_27scan_by_key_config_selectorIiiEEZZNS1_16scan_by_key_implILNS1_25lookback_scan_determinismE0ELb1ES3_N6thrust23THRUST_200600_302600_NS10device_ptrIiEESB_SB_iNS9_4plusIvEENS9_8equal_toIvEEiEE10hipError_tPvRmT2_T3_T4_T5_mT6_T7_P12ihipStream_tbENKUlT_T0_E_clISt17integral_constantIbLb1EESV_IbLb0EEEEDaSR_SS_EUlSR_E_NS1_11comp_targetILNS1_3genE5ELNS1_11target_archE942ELNS1_3gpuE9ELNS1_3repE0EEENS1_30default_config_static_selectorELNS0_4arch9wavefront6targetE0EEEvT1_
		.amdhsa_group_segment_fixed_size 0
		.amdhsa_private_segment_fixed_size 0
		.amdhsa_kernarg_size 112
		.amdhsa_user_sgpr_count 2
		.amdhsa_user_sgpr_dispatch_ptr 0
		.amdhsa_user_sgpr_queue_ptr 0
		.amdhsa_user_sgpr_kernarg_segment_ptr 1
		.amdhsa_user_sgpr_dispatch_id 0
		.amdhsa_user_sgpr_kernarg_preload_length 0
		.amdhsa_user_sgpr_kernarg_preload_offset 0
		.amdhsa_user_sgpr_private_segment_size 0
		.amdhsa_wavefront_size32 1
		.amdhsa_uses_dynamic_stack 0
		.amdhsa_enable_private_segment 0
		.amdhsa_system_sgpr_workgroup_id_x 1
		.amdhsa_system_sgpr_workgroup_id_y 0
		.amdhsa_system_sgpr_workgroup_id_z 0
		.amdhsa_system_sgpr_workgroup_info 0
		.amdhsa_system_vgpr_workitem_id 0
		.amdhsa_next_free_vgpr 1
		.amdhsa_next_free_sgpr 1
		.amdhsa_named_barrier_count 0
		.amdhsa_reserve_vcc 0
		.amdhsa_float_round_mode_32 0
		.amdhsa_float_round_mode_16_64 0
		.amdhsa_float_denorm_mode_32 3
		.amdhsa_float_denorm_mode_16_64 3
		.amdhsa_fp16_overflow 0
		.amdhsa_memory_ordered 1
		.amdhsa_forward_progress 1
		.amdhsa_inst_pref_size 0
		.amdhsa_round_robin_scheduling 0
		.amdhsa_exception_fp_ieee_invalid_op 0
		.amdhsa_exception_fp_denorm_src 0
		.amdhsa_exception_fp_ieee_div_zero 0
		.amdhsa_exception_fp_ieee_overflow 0
		.amdhsa_exception_fp_ieee_underflow 0
		.amdhsa_exception_fp_ieee_inexact 0
		.amdhsa_exception_int_div_zero 0
	.end_amdhsa_kernel
	.section	.text._ZN7rocprim17ROCPRIM_400000_NS6detail17trampoline_kernelINS0_14default_configENS1_27scan_by_key_config_selectorIiiEEZZNS1_16scan_by_key_implILNS1_25lookback_scan_determinismE0ELb1ES3_N6thrust23THRUST_200600_302600_NS10device_ptrIiEESB_SB_iNS9_4plusIvEENS9_8equal_toIvEEiEE10hipError_tPvRmT2_T3_T4_T5_mT6_T7_P12ihipStream_tbENKUlT_T0_E_clISt17integral_constantIbLb1EESV_IbLb0EEEEDaSR_SS_EUlSR_E_NS1_11comp_targetILNS1_3genE5ELNS1_11target_archE942ELNS1_3gpuE9ELNS1_3repE0EEENS1_30default_config_static_selectorELNS0_4arch9wavefront6targetE0EEEvT1_,"axG",@progbits,_ZN7rocprim17ROCPRIM_400000_NS6detail17trampoline_kernelINS0_14default_configENS1_27scan_by_key_config_selectorIiiEEZZNS1_16scan_by_key_implILNS1_25lookback_scan_determinismE0ELb1ES3_N6thrust23THRUST_200600_302600_NS10device_ptrIiEESB_SB_iNS9_4plusIvEENS9_8equal_toIvEEiEE10hipError_tPvRmT2_T3_T4_T5_mT6_T7_P12ihipStream_tbENKUlT_T0_E_clISt17integral_constantIbLb1EESV_IbLb0EEEEDaSR_SS_EUlSR_E_NS1_11comp_targetILNS1_3genE5ELNS1_11target_archE942ELNS1_3gpuE9ELNS1_3repE0EEENS1_30default_config_static_selectorELNS0_4arch9wavefront6targetE0EEEvT1_,comdat
.Lfunc_end2253:
	.size	_ZN7rocprim17ROCPRIM_400000_NS6detail17trampoline_kernelINS0_14default_configENS1_27scan_by_key_config_selectorIiiEEZZNS1_16scan_by_key_implILNS1_25lookback_scan_determinismE0ELb1ES3_N6thrust23THRUST_200600_302600_NS10device_ptrIiEESB_SB_iNS9_4plusIvEENS9_8equal_toIvEEiEE10hipError_tPvRmT2_T3_T4_T5_mT6_T7_P12ihipStream_tbENKUlT_T0_E_clISt17integral_constantIbLb1EESV_IbLb0EEEEDaSR_SS_EUlSR_E_NS1_11comp_targetILNS1_3genE5ELNS1_11target_archE942ELNS1_3gpuE9ELNS1_3repE0EEENS1_30default_config_static_selectorELNS0_4arch9wavefront6targetE0EEEvT1_, .Lfunc_end2253-_ZN7rocprim17ROCPRIM_400000_NS6detail17trampoline_kernelINS0_14default_configENS1_27scan_by_key_config_selectorIiiEEZZNS1_16scan_by_key_implILNS1_25lookback_scan_determinismE0ELb1ES3_N6thrust23THRUST_200600_302600_NS10device_ptrIiEESB_SB_iNS9_4plusIvEENS9_8equal_toIvEEiEE10hipError_tPvRmT2_T3_T4_T5_mT6_T7_P12ihipStream_tbENKUlT_T0_E_clISt17integral_constantIbLb1EESV_IbLb0EEEEDaSR_SS_EUlSR_E_NS1_11comp_targetILNS1_3genE5ELNS1_11target_archE942ELNS1_3gpuE9ELNS1_3repE0EEENS1_30default_config_static_selectorELNS0_4arch9wavefront6targetE0EEEvT1_
                                        ; -- End function
	.set _ZN7rocprim17ROCPRIM_400000_NS6detail17trampoline_kernelINS0_14default_configENS1_27scan_by_key_config_selectorIiiEEZZNS1_16scan_by_key_implILNS1_25lookback_scan_determinismE0ELb1ES3_N6thrust23THRUST_200600_302600_NS10device_ptrIiEESB_SB_iNS9_4plusIvEENS9_8equal_toIvEEiEE10hipError_tPvRmT2_T3_T4_T5_mT6_T7_P12ihipStream_tbENKUlT_T0_E_clISt17integral_constantIbLb1EESV_IbLb0EEEEDaSR_SS_EUlSR_E_NS1_11comp_targetILNS1_3genE5ELNS1_11target_archE942ELNS1_3gpuE9ELNS1_3repE0EEENS1_30default_config_static_selectorELNS0_4arch9wavefront6targetE0EEEvT1_.num_vgpr, 0
	.set _ZN7rocprim17ROCPRIM_400000_NS6detail17trampoline_kernelINS0_14default_configENS1_27scan_by_key_config_selectorIiiEEZZNS1_16scan_by_key_implILNS1_25lookback_scan_determinismE0ELb1ES3_N6thrust23THRUST_200600_302600_NS10device_ptrIiEESB_SB_iNS9_4plusIvEENS9_8equal_toIvEEiEE10hipError_tPvRmT2_T3_T4_T5_mT6_T7_P12ihipStream_tbENKUlT_T0_E_clISt17integral_constantIbLb1EESV_IbLb0EEEEDaSR_SS_EUlSR_E_NS1_11comp_targetILNS1_3genE5ELNS1_11target_archE942ELNS1_3gpuE9ELNS1_3repE0EEENS1_30default_config_static_selectorELNS0_4arch9wavefront6targetE0EEEvT1_.num_agpr, 0
	.set _ZN7rocprim17ROCPRIM_400000_NS6detail17trampoline_kernelINS0_14default_configENS1_27scan_by_key_config_selectorIiiEEZZNS1_16scan_by_key_implILNS1_25lookback_scan_determinismE0ELb1ES3_N6thrust23THRUST_200600_302600_NS10device_ptrIiEESB_SB_iNS9_4plusIvEENS9_8equal_toIvEEiEE10hipError_tPvRmT2_T3_T4_T5_mT6_T7_P12ihipStream_tbENKUlT_T0_E_clISt17integral_constantIbLb1EESV_IbLb0EEEEDaSR_SS_EUlSR_E_NS1_11comp_targetILNS1_3genE5ELNS1_11target_archE942ELNS1_3gpuE9ELNS1_3repE0EEENS1_30default_config_static_selectorELNS0_4arch9wavefront6targetE0EEEvT1_.numbered_sgpr, 0
	.set _ZN7rocprim17ROCPRIM_400000_NS6detail17trampoline_kernelINS0_14default_configENS1_27scan_by_key_config_selectorIiiEEZZNS1_16scan_by_key_implILNS1_25lookback_scan_determinismE0ELb1ES3_N6thrust23THRUST_200600_302600_NS10device_ptrIiEESB_SB_iNS9_4plusIvEENS9_8equal_toIvEEiEE10hipError_tPvRmT2_T3_T4_T5_mT6_T7_P12ihipStream_tbENKUlT_T0_E_clISt17integral_constantIbLb1EESV_IbLb0EEEEDaSR_SS_EUlSR_E_NS1_11comp_targetILNS1_3genE5ELNS1_11target_archE942ELNS1_3gpuE9ELNS1_3repE0EEENS1_30default_config_static_selectorELNS0_4arch9wavefront6targetE0EEEvT1_.num_named_barrier, 0
	.set _ZN7rocprim17ROCPRIM_400000_NS6detail17trampoline_kernelINS0_14default_configENS1_27scan_by_key_config_selectorIiiEEZZNS1_16scan_by_key_implILNS1_25lookback_scan_determinismE0ELb1ES3_N6thrust23THRUST_200600_302600_NS10device_ptrIiEESB_SB_iNS9_4plusIvEENS9_8equal_toIvEEiEE10hipError_tPvRmT2_T3_T4_T5_mT6_T7_P12ihipStream_tbENKUlT_T0_E_clISt17integral_constantIbLb1EESV_IbLb0EEEEDaSR_SS_EUlSR_E_NS1_11comp_targetILNS1_3genE5ELNS1_11target_archE942ELNS1_3gpuE9ELNS1_3repE0EEENS1_30default_config_static_selectorELNS0_4arch9wavefront6targetE0EEEvT1_.private_seg_size, 0
	.set _ZN7rocprim17ROCPRIM_400000_NS6detail17trampoline_kernelINS0_14default_configENS1_27scan_by_key_config_selectorIiiEEZZNS1_16scan_by_key_implILNS1_25lookback_scan_determinismE0ELb1ES3_N6thrust23THRUST_200600_302600_NS10device_ptrIiEESB_SB_iNS9_4plusIvEENS9_8equal_toIvEEiEE10hipError_tPvRmT2_T3_T4_T5_mT6_T7_P12ihipStream_tbENKUlT_T0_E_clISt17integral_constantIbLb1EESV_IbLb0EEEEDaSR_SS_EUlSR_E_NS1_11comp_targetILNS1_3genE5ELNS1_11target_archE942ELNS1_3gpuE9ELNS1_3repE0EEENS1_30default_config_static_selectorELNS0_4arch9wavefront6targetE0EEEvT1_.uses_vcc, 0
	.set _ZN7rocprim17ROCPRIM_400000_NS6detail17trampoline_kernelINS0_14default_configENS1_27scan_by_key_config_selectorIiiEEZZNS1_16scan_by_key_implILNS1_25lookback_scan_determinismE0ELb1ES3_N6thrust23THRUST_200600_302600_NS10device_ptrIiEESB_SB_iNS9_4plusIvEENS9_8equal_toIvEEiEE10hipError_tPvRmT2_T3_T4_T5_mT6_T7_P12ihipStream_tbENKUlT_T0_E_clISt17integral_constantIbLb1EESV_IbLb0EEEEDaSR_SS_EUlSR_E_NS1_11comp_targetILNS1_3genE5ELNS1_11target_archE942ELNS1_3gpuE9ELNS1_3repE0EEENS1_30default_config_static_selectorELNS0_4arch9wavefront6targetE0EEEvT1_.uses_flat_scratch, 0
	.set _ZN7rocprim17ROCPRIM_400000_NS6detail17trampoline_kernelINS0_14default_configENS1_27scan_by_key_config_selectorIiiEEZZNS1_16scan_by_key_implILNS1_25lookback_scan_determinismE0ELb1ES3_N6thrust23THRUST_200600_302600_NS10device_ptrIiEESB_SB_iNS9_4plusIvEENS9_8equal_toIvEEiEE10hipError_tPvRmT2_T3_T4_T5_mT6_T7_P12ihipStream_tbENKUlT_T0_E_clISt17integral_constantIbLb1EESV_IbLb0EEEEDaSR_SS_EUlSR_E_NS1_11comp_targetILNS1_3genE5ELNS1_11target_archE942ELNS1_3gpuE9ELNS1_3repE0EEENS1_30default_config_static_selectorELNS0_4arch9wavefront6targetE0EEEvT1_.has_dyn_sized_stack, 0
	.set _ZN7rocprim17ROCPRIM_400000_NS6detail17trampoline_kernelINS0_14default_configENS1_27scan_by_key_config_selectorIiiEEZZNS1_16scan_by_key_implILNS1_25lookback_scan_determinismE0ELb1ES3_N6thrust23THRUST_200600_302600_NS10device_ptrIiEESB_SB_iNS9_4plusIvEENS9_8equal_toIvEEiEE10hipError_tPvRmT2_T3_T4_T5_mT6_T7_P12ihipStream_tbENKUlT_T0_E_clISt17integral_constantIbLb1EESV_IbLb0EEEEDaSR_SS_EUlSR_E_NS1_11comp_targetILNS1_3genE5ELNS1_11target_archE942ELNS1_3gpuE9ELNS1_3repE0EEENS1_30default_config_static_selectorELNS0_4arch9wavefront6targetE0EEEvT1_.has_recursion, 0
	.set _ZN7rocprim17ROCPRIM_400000_NS6detail17trampoline_kernelINS0_14default_configENS1_27scan_by_key_config_selectorIiiEEZZNS1_16scan_by_key_implILNS1_25lookback_scan_determinismE0ELb1ES3_N6thrust23THRUST_200600_302600_NS10device_ptrIiEESB_SB_iNS9_4plusIvEENS9_8equal_toIvEEiEE10hipError_tPvRmT2_T3_T4_T5_mT6_T7_P12ihipStream_tbENKUlT_T0_E_clISt17integral_constantIbLb1EESV_IbLb0EEEEDaSR_SS_EUlSR_E_NS1_11comp_targetILNS1_3genE5ELNS1_11target_archE942ELNS1_3gpuE9ELNS1_3repE0EEENS1_30default_config_static_selectorELNS0_4arch9wavefront6targetE0EEEvT1_.has_indirect_call, 0
	.section	.AMDGPU.csdata,"",@progbits
; Kernel info:
; codeLenInByte = 0
; TotalNumSgprs: 0
; NumVgprs: 0
; ScratchSize: 0
; MemoryBound: 0
; FloatMode: 240
; IeeeMode: 1
; LDSByteSize: 0 bytes/workgroup (compile time only)
; SGPRBlocks: 0
; VGPRBlocks: 0
; NumSGPRsForWavesPerEU: 1
; NumVGPRsForWavesPerEU: 1
; NamedBarCnt: 0
; Occupancy: 16
; WaveLimiterHint : 0
; COMPUTE_PGM_RSRC2:SCRATCH_EN: 0
; COMPUTE_PGM_RSRC2:USER_SGPR: 2
; COMPUTE_PGM_RSRC2:TRAP_HANDLER: 0
; COMPUTE_PGM_RSRC2:TGID_X_EN: 1
; COMPUTE_PGM_RSRC2:TGID_Y_EN: 0
; COMPUTE_PGM_RSRC2:TGID_Z_EN: 0
; COMPUTE_PGM_RSRC2:TIDIG_COMP_CNT: 0
	.section	.text._ZN7rocprim17ROCPRIM_400000_NS6detail17trampoline_kernelINS0_14default_configENS1_27scan_by_key_config_selectorIiiEEZZNS1_16scan_by_key_implILNS1_25lookback_scan_determinismE0ELb1ES3_N6thrust23THRUST_200600_302600_NS10device_ptrIiEESB_SB_iNS9_4plusIvEENS9_8equal_toIvEEiEE10hipError_tPvRmT2_T3_T4_T5_mT6_T7_P12ihipStream_tbENKUlT_T0_E_clISt17integral_constantIbLb1EESV_IbLb0EEEEDaSR_SS_EUlSR_E_NS1_11comp_targetILNS1_3genE4ELNS1_11target_archE910ELNS1_3gpuE8ELNS1_3repE0EEENS1_30default_config_static_selectorELNS0_4arch9wavefront6targetE0EEEvT1_,"axG",@progbits,_ZN7rocprim17ROCPRIM_400000_NS6detail17trampoline_kernelINS0_14default_configENS1_27scan_by_key_config_selectorIiiEEZZNS1_16scan_by_key_implILNS1_25lookback_scan_determinismE0ELb1ES3_N6thrust23THRUST_200600_302600_NS10device_ptrIiEESB_SB_iNS9_4plusIvEENS9_8equal_toIvEEiEE10hipError_tPvRmT2_T3_T4_T5_mT6_T7_P12ihipStream_tbENKUlT_T0_E_clISt17integral_constantIbLb1EESV_IbLb0EEEEDaSR_SS_EUlSR_E_NS1_11comp_targetILNS1_3genE4ELNS1_11target_archE910ELNS1_3gpuE8ELNS1_3repE0EEENS1_30default_config_static_selectorELNS0_4arch9wavefront6targetE0EEEvT1_,comdat
	.protected	_ZN7rocprim17ROCPRIM_400000_NS6detail17trampoline_kernelINS0_14default_configENS1_27scan_by_key_config_selectorIiiEEZZNS1_16scan_by_key_implILNS1_25lookback_scan_determinismE0ELb1ES3_N6thrust23THRUST_200600_302600_NS10device_ptrIiEESB_SB_iNS9_4plusIvEENS9_8equal_toIvEEiEE10hipError_tPvRmT2_T3_T4_T5_mT6_T7_P12ihipStream_tbENKUlT_T0_E_clISt17integral_constantIbLb1EESV_IbLb0EEEEDaSR_SS_EUlSR_E_NS1_11comp_targetILNS1_3genE4ELNS1_11target_archE910ELNS1_3gpuE8ELNS1_3repE0EEENS1_30default_config_static_selectorELNS0_4arch9wavefront6targetE0EEEvT1_ ; -- Begin function _ZN7rocprim17ROCPRIM_400000_NS6detail17trampoline_kernelINS0_14default_configENS1_27scan_by_key_config_selectorIiiEEZZNS1_16scan_by_key_implILNS1_25lookback_scan_determinismE0ELb1ES3_N6thrust23THRUST_200600_302600_NS10device_ptrIiEESB_SB_iNS9_4plusIvEENS9_8equal_toIvEEiEE10hipError_tPvRmT2_T3_T4_T5_mT6_T7_P12ihipStream_tbENKUlT_T0_E_clISt17integral_constantIbLb1EESV_IbLb0EEEEDaSR_SS_EUlSR_E_NS1_11comp_targetILNS1_3genE4ELNS1_11target_archE910ELNS1_3gpuE8ELNS1_3repE0EEENS1_30default_config_static_selectorELNS0_4arch9wavefront6targetE0EEEvT1_
	.globl	_ZN7rocprim17ROCPRIM_400000_NS6detail17trampoline_kernelINS0_14default_configENS1_27scan_by_key_config_selectorIiiEEZZNS1_16scan_by_key_implILNS1_25lookback_scan_determinismE0ELb1ES3_N6thrust23THRUST_200600_302600_NS10device_ptrIiEESB_SB_iNS9_4plusIvEENS9_8equal_toIvEEiEE10hipError_tPvRmT2_T3_T4_T5_mT6_T7_P12ihipStream_tbENKUlT_T0_E_clISt17integral_constantIbLb1EESV_IbLb0EEEEDaSR_SS_EUlSR_E_NS1_11comp_targetILNS1_3genE4ELNS1_11target_archE910ELNS1_3gpuE8ELNS1_3repE0EEENS1_30default_config_static_selectorELNS0_4arch9wavefront6targetE0EEEvT1_
	.p2align	8
	.type	_ZN7rocprim17ROCPRIM_400000_NS6detail17trampoline_kernelINS0_14default_configENS1_27scan_by_key_config_selectorIiiEEZZNS1_16scan_by_key_implILNS1_25lookback_scan_determinismE0ELb1ES3_N6thrust23THRUST_200600_302600_NS10device_ptrIiEESB_SB_iNS9_4plusIvEENS9_8equal_toIvEEiEE10hipError_tPvRmT2_T3_T4_T5_mT6_T7_P12ihipStream_tbENKUlT_T0_E_clISt17integral_constantIbLb1EESV_IbLb0EEEEDaSR_SS_EUlSR_E_NS1_11comp_targetILNS1_3genE4ELNS1_11target_archE910ELNS1_3gpuE8ELNS1_3repE0EEENS1_30default_config_static_selectorELNS0_4arch9wavefront6targetE0EEEvT1_,@function
_ZN7rocprim17ROCPRIM_400000_NS6detail17trampoline_kernelINS0_14default_configENS1_27scan_by_key_config_selectorIiiEEZZNS1_16scan_by_key_implILNS1_25lookback_scan_determinismE0ELb1ES3_N6thrust23THRUST_200600_302600_NS10device_ptrIiEESB_SB_iNS9_4plusIvEENS9_8equal_toIvEEiEE10hipError_tPvRmT2_T3_T4_T5_mT6_T7_P12ihipStream_tbENKUlT_T0_E_clISt17integral_constantIbLb1EESV_IbLb0EEEEDaSR_SS_EUlSR_E_NS1_11comp_targetILNS1_3genE4ELNS1_11target_archE910ELNS1_3gpuE8ELNS1_3repE0EEENS1_30default_config_static_selectorELNS0_4arch9wavefront6targetE0EEEvT1_: ; @_ZN7rocprim17ROCPRIM_400000_NS6detail17trampoline_kernelINS0_14default_configENS1_27scan_by_key_config_selectorIiiEEZZNS1_16scan_by_key_implILNS1_25lookback_scan_determinismE0ELb1ES3_N6thrust23THRUST_200600_302600_NS10device_ptrIiEESB_SB_iNS9_4plusIvEENS9_8equal_toIvEEiEE10hipError_tPvRmT2_T3_T4_T5_mT6_T7_P12ihipStream_tbENKUlT_T0_E_clISt17integral_constantIbLb1EESV_IbLb0EEEEDaSR_SS_EUlSR_E_NS1_11comp_targetILNS1_3genE4ELNS1_11target_archE910ELNS1_3gpuE8ELNS1_3repE0EEENS1_30default_config_static_selectorELNS0_4arch9wavefront6targetE0EEEvT1_
; %bb.0:
	.section	.rodata,"a",@progbits
	.p2align	6, 0x0
	.amdhsa_kernel _ZN7rocprim17ROCPRIM_400000_NS6detail17trampoline_kernelINS0_14default_configENS1_27scan_by_key_config_selectorIiiEEZZNS1_16scan_by_key_implILNS1_25lookback_scan_determinismE0ELb1ES3_N6thrust23THRUST_200600_302600_NS10device_ptrIiEESB_SB_iNS9_4plusIvEENS9_8equal_toIvEEiEE10hipError_tPvRmT2_T3_T4_T5_mT6_T7_P12ihipStream_tbENKUlT_T0_E_clISt17integral_constantIbLb1EESV_IbLb0EEEEDaSR_SS_EUlSR_E_NS1_11comp_targetILNS1_3genE4ELNS1_11target_archE910ELNS1_3gpuE8ELNS1_3repE0EEENS1_30default_config_static_selectorELNS0_4arch9wavefront6targetE0EEEvT1_
		.amdhsa_group_segment_fixed_size 0
		.amdhsa_private_segment_fixed_size 0
		.amdhsa_kernarg_size 112
		.amdhsa_user_sgpr_count 2
		.amdhsa_user_sgpr_dispatch_ptr 0
		.amdhsa_user_sgpr_queue_ptr 0
		.amdhsa_user_sgpr_kernarg_segment_ptr 1
		.amdhsa_user_sgpr_dispatch_id 0
		.amdhsa_user_sgpr_kernarg_preload_length 0
		.amdhsa_user_sgpr_kernarg_preload_offset 0
		.amdhsa_user_sgpr_private_segment_size 0
		.amdhsa_wavefront_size32 1
		.amdhsa_uses_dynamic_stack 0
		.amdhsa_enable_private_segment 0
		.amdhsa_system_sgpr_workgroup_id_x 1
		.amdhsa_system_sgpr_workgroup_id_y 0
		.amdhsa_system_sgpr_workgroup_id_z 0
		.amdhsa_system_sgpr_workgroup_info 0
		.amdhsa_system_vgpr_workitem_id 0
		.amdhsa_next_free_vgpr 1
		.amdhsa_next_free_sgpr 1
		.amdhsa_named_barrier_count 0
		.amdhsa_reserve_vcc 0
		.amdhsa_float_round_mode_32 0
		.amdhsa_float_round_mode_16_64 0
		.amdhsa_float_denorm_mode_32 3
		.amdhsa_float_denorm_mode_16_64 3
		.amdhsa_fp16_overflow 0
		.amdhsa_memory_ordered 1
		.amdhsa_forward_progress 1
		.amdhsa_inst_pref_size 0
		.amdhsa_round_robin_scheduling 0
		.amdhsa_exception_fp_ieee_invalid_op 0
		.amdhsa_exception_fp_denorm_src 0
		.amdhsa_exception_fp_ieee_div_zero 0
		.amdhsa_exception_fp_ieee_overflow 0
		.amdhsa_exception_fp_ieee_underflow 0
		.amdhsa_exception_fp_ieee_inexact 0
		.amdhsa_exception_int_div_zero 0
	.end_amdhsa_kernel
	.section	.text._ZN7rocprim17ROCPRIM_400000_NS6detail17trampoline_kernelINS0_14default_configENS1_27scan_by_key_config_selectorIiiEEZZNS1_16scan_by_key_implILNS1_25lookback_scan_determinismE0ELb1ES3_N6thrust23THRUST_200600_302600_NS10device_ptrIiEESB_SB_iNS9_4plusIvEENS9_8equal_toIvEEiEE10hipError_tPvRmT2_T3_T4_T5_mT6_T7_P12ihipStream_tbENKUlT_T0_E_clISt17integral_constantIbLb1EESV_IbLb0EEEEDaSR_SS_EUlSR_E_NS1_11comp_targetILNS1_3genE4ELNS1_11target_archE910ELNS1_3gpuE8ELNS1_3repE0EEENS1_30default_config_static_selectorELNS0_4arch9wavefront6targetE0EEEvT1_,"axG",@progbits,_ZN7rocprim17ROCPRIM_400000_NS6detail17trampoline_kernelINS0_14default_configENS1_27scan_by_key_config_selectorIiiEEZZNS1_16scan_by_key_implILNS1_25lookback_scan_determinismE0ELb1ES3_N6thrust23THRUST_200600_302600_NS10device_ptrIiEESB_SB_iNS9_4plusIvEENS9_8equal_toIvEEiEE10hipError_tPvRmT2_T3_T4_T5_mT6_T7_P12ihipStream_tbENKUlT_T0_E_clISt17integral_constantIbLb1EESV_IbLb0EEEEDaSR_SS_EUlSR_E_NS1_11comp_targetILNS1_3genE4ELNS1_11target_archE910ELNS1_3gpuE8ELNS1_3repE0EEENS1_30default_config_static_selectorELNS0_4arch9wavefront6targetE0EEEvT1_,comdat
.Lfunc_end2254:
	.size	_ZN7rocprim17ROCPRIM_400000_NS6detail17trampoline_kernelINS0_14default_configENS1_27scan_by_key_config_selectorIiiEEZZNS1_16scan_by_key_implILNS1_25lookback_scan_determinismE0ELb1ES3_N6thrust23THRUST_200600_302600_NS10device_ptrIiEESB_SB_iNS9_4plusIvEENS9_8equal_toIvEEiEE10hipError_tPvRmT2_T3_T4_T5_mT6_T7_P12ihipStream_tbENKUlT_T0_E_clISt17integral_constantIbLb1EESV_IbLb0EEEEDaSR_SS_EUlSR_E_NS1_11comp_targetILNS1_3genE4ELNS1_11target_archE910ELNS1_3gpuE8ELNS1_3repE0EEENS1_30default_config_static_selectorELNS0_4arch9wavefront6targetE0EEEvT1_, .Lfunc_end2254-_ZN7rocprim17ROCPRIM_400000_NS6detail17trampoline_kernelINS0_14default_configENS1_27scan_by_key_config_selectorIiiEEZZNS1_16scan_by_key_implILNS1_25lookback_scan_determinismE0ELb1ES3_N6thrust23THRUST_200600_302600_NS10device_ptrIiEESB_SB_iNS9_4plusIvEENS9_8equal_toIvEEiEE10hipError_tPvRmT2_T3_T4_T5_mT6_T7_P12ihipStream_tbENKUlT_T0_E_clISt17integral_constantIbLb1EESV_IbLb0EEEEDaSR_SS_EUlSR_E_NS1_11comp_targetILNS1_3genE4ELNS1_11target_archE910ELNS1_3gpuE8ELNS1_3repE0EEENS1_30default_config_static_selectorELNS0_4arch9wavefront6targetE0EEEvT1_
                                        ; -- End function
	.set _ZN7rocprim17ROCPRIM_400000_NS6detail17trampoline_kernelINS0_14default_configENS1_27scan_by_key_config_selectorIiiEEZZNS1_16scan_by_key_implILNS1_25lookback_scan_determinismE0ELb1ES3_N6thrust23THRUST_200600_302600_NS10device_ptrIiEESB_SB_iNS9_4plusIvEENS9_8equal_toIvEEiEE10hipError_tPvRmT2_T3_T4_T5_mT6_T7_P12ihipStream_tbENKUlT_T0_E_clISt17integral_constantIbLb1EESV_IbLb0EEEEDaSR_SS_EUlSR_E_NS1_11comp_targetILNS1_3genE4ELNS1_11target_archE910ELNS1_3gpuE8ELNS1_3repE0EEENS1_30default_config_static_selectorELNS0_4arch9wavefront6targetE0EEEvT1_.num_vgpr, 0
	.set _ZN7rocprim17ROCPRIM_400000_NS6detail17trampoline_kernelINS0_14default_configENS1_27scan_by_key_config_selectorIiiEEZZNS1_16scan_by_key_implILNS1_25lookback_scan_determinismE0ELb1ES3_N6thrust23THRUST_200600_302600_NS10device_ptrIiEESB_SB_iNS9_4plusIvEENS9_8equal_toIvEEiEE10hipError_tPvRmT2_T3_T4_T5_mT6_T7_P12ihipStream_tbENKUlT_T0_E_clISt17integral_constantIbLb1EESV_IbLb0EEEEDaSR_SS_EUlSR_E_NS1_11comp_targetILNS1_3genE4ELNS1_11target_archE910ELNS1_3gpuE8ELNS1_3repE0EEENS1_30default_config_static_selectorELNS0_4arch9wavefront6targetE0EEEvT1_.num_agpr, 0
	.set _ZN7rocprim17ROCPRIM_400000_NS6detail17trampoline_kernelINS0_14default_configENS1_27scan_by_key_config_selectorIiiEEZZNS1_16scan_by_key_implILNS1_25lookback_scan_determinismE0ELb1ES3_N6thrust23THRUST_200600_302600_NS10device_ptrIiEESB_SB_iNS9_4plusIvEENS9_8equal_toIvEEiEE10hipError_tPvRmT2_T3_T4_T5_mT6_T7_P12ihipStream_tbENKUlT_T0_E_clISt17integral_constantIbLb1EESV_IbLb0EEEEDaSR_SS_EUlSR_E_NS1_11comp_targetILNS1_3genE4ELNS1_11target_archE910ELNS1_3gpuE8ELNS1_3repE0EEENS1_30default_config_static_selectorELNS0_4arch9wavefront6targetE0EEEvT1_.numbered_sgpr, 0
	.set _ZN7rocprim17ROCPRIM_400000_NS6detail17trampoline_kernelINS0_14default_configENS1_27scan_by_key_config_selectorIiiEEZZNS1_16scan_by_key_implILNS1_25lookback_scan_determinismE0ELb1ES3_N6thrust23THRUST_200600_302600_NS10device_ptrIiEESB_SB_iNS9_4plusIvEENS9_8equal_toIvEEiEE10hipError_tPvRmT2_T3_T4_T5_mT6_T7_P12ihipStream_tbENKUlT_T0_E_clISt17integral_constantIbLb1EESV_IbLb0EEEEDaSR_SS_EUlSR_E_NS1_11comp_targetILNS1_3genE4ELNS1_11target_archE910ELNS1_3gpuE8ELNS1_3repE0EEENS1_30default_config_static_selectorELNS0_4arch9wavefront6targetE0EEEvT1_.num_named_barrier, 0
	.set _ZN7rocprim17ROCPRIM_400000_NS6detail17trampoline_kernelINS0_14default_configENS1_27scan_by_key_config_selectorIiiEEZZNS1_16scan_by_key_implILNS1_25lookback_scan_determinismE0ELb1ES3_N6thrust23THRUST_200600_302600_NS10device_ptrIiEESB_SB_iNS9_4plusIvEENS9_8equal_toIvEEiEE10hipError_tPvRmT2_T3_T4_T5_mT6_T7_P12ihipStream_tbENKUlT_T0_E_clISt17integral_constantIbLb1EESV_IbLb0EEEEDaSR_SS_EUlSR_E_NS1_11comp_targetILNS1_3genE4ELNS1_11target_archE910ELNS1_3gpuE8ELNS1_3repE0EEENS1_30default_config_static_selectorELNS0_4arch9wavefront6targetE0EEEvT1_.private_seg_size, 0
	.set _ZN7rocprim17ROCPRIM_400000_NS6detail17trampoline_kernelINS0_14default_configENS1_27scan_by_key_config_selectorIiiEEZZNS1_16scan_by_key_implILNS1_25lookback_scan_determinismE0ELb1ES3_N6thrust23THRUST_200600_302600_NS10device_ptrIiEESB_SB_iNS9_4plusIvEENS9_8equal_toIvEEiEE10hipError_tPvRmT2_T3_T4_T5_mT6_T7_P12ihipStream_tbENKUlT_T0_E_clISt17integral_constantIbLb1EESV_IbLb0EEEEDaSR_SS_EUlSR_E_NS1_11comp_targetILNS1_3genE4ELNS1_11target_archE910ELNS1_3gpuE8ELNS1_3repE0EEENS1_30default_config_static_selectorELNS0_4arch9wavefront6targetE0EEEvT1_.uses_vcc, 0
	.set _ZN7rocprim17ROCPRIM_400000_NS6detail17trampoline_kernelINS0_14default_configENS1_27scan_by_key_config_selectorIiiEEZZNS1_16scan_by_key_implILNS1_25lookback_scan_determinismE0ELb1ES3_N6thrust23THRUST_200600_302600_NS10device_ptrIiEESB_SB_iNS9_4plusIvEENS9_8equal_toIvEEiEE10hipError_tPvRmT2_T3_T4_T5_mT6_T7_P12ihipStream_tbENKUlT_T0_E_clISt17integral_constantIbLb1EESV_IbLb0EEEEDaSR_SS_EUlSR_E_NS1_11comp_targetILNS1_3genE4ELNS1_11target_archE910ELNS1_3gpuE8ELNS1_3repE0EEENS1_30default_config_static_selectorELNS0_4arch9wavefront6targetE0EEEvT1_.uses_flat_scratch, 0
	.set _ZN7rocprim17ROCPRIM_400000_NS6detail17trampoline_kernelINS0_14default_configENS1_27scan_by_key_config_selectorIiiEEZZNS1_16scan_by_key_implILNS1_25lookback_scan_determinismE0ELb1ES3_N6thrust23THRUST_200600_302600_NS10device_ptrIiEESB_SB_iNS9_4plusIvEENS9_8equal_toIvEEiEE10hipError_tPvRmT2_T3_T4_T5_mT6_T7_P12ihipStream_tbENKUlT_T0_E_clISt17integral_constantIbLb1EESV_IbLb0EEEEDaSR_SS_EUlSR_E_NS1_11comp_targetILNS1_3genE4ELNS1_11target_archE910ELNS1_3gpuE8ELNS1_3repE0EEENS1_30default_config_static_selectorELNS0_4arch9wavefront6targetE0EEEvT1_.has_dyn_sized_stack, 0
	.set _ZN7rocprim17ROCPRIM_400000_NS6detail17trampoline_kernelINS0_14default_configENS1_27scan_by_key_config_selectorIiiEEZZNS1_16scan_by_key_implILNS1_25lookback_scan_determinismE0ELb1ES3_N6thrust23THRUST_200600_302600_NS10device_ptrIiEESB_SB_iNS9_4plusIvEENS9_8equal_toIvEEiEE10hipError_tPvRmT2_T3_T4_T5_mT6_T7_P12ihipStream_tbENKUlT_T0_E_clISt17integral_constantIbLb1EESV_IbLb0EEEEDaSR_SS_EUlSR_E_NS1_11comp_targetILNS1_3genE4ELNS1_11target_archE910ELNS1_3gpuE8ELNS1_3repE0EEENS1_30default_config_static_selectorELNS0_4arch9wavefront6targetE0EEEvT1_.has_recursion, 0
	.set _ZN7rocprim17ROCPRIM_400000_NS6detail17trampoline_kernelINS0_14default_configENS1_27scan_by_key_config_selectorIiiEEZZNS1_16scan_by_key_implILNS1_25lookback_scan_determinismE0ELb1ES3_N6thrust23THRUST_200600_302600_NS10device_ptrIiEESB_SB_iNS9_4plusIvEENS9_8equal_toIvEEiEE10hipError_tPvRmT2_T3_T4_T5_mT6_T7_P12ihipStream_tbENKUlT_T0_E_clISt17integral_constantIbLb1EESV_IbLb0EEEEDaSR_SS_EUlSR_E_NS1_11comp_targetILNS1_3genE4ELNS1_11target_archE910ELNS1_3gpuE8ELNS1_3repE0EEENS1_30default_config_static_selectorELNS0_4arch9wavefront6targetE0EEEvT1_.has_indirect_call, 0
	.section	.AMDGPU.csdata,"",@progbits
; Kernel info:
; codeLenInByte = 0
; TotalNumSgprs: 0
; NumVgprs: 0
; ScratchSize: 0
; MemoryBound: 0
; FloatMode: 240
; IeeeMode: 1
; LDSByteSize: 0 bytes/workgroup (compile time only)
; SGPRBlocks: 0
; VGPRBlocks: 0
; NumSGPRsForWavesPerEU: 1
; NumVGPRsForWavesPerEU: 1
; NamedBarCnt: 0
; Occupancy: 16
; WaveLimiterHint : 0
; COMPUTE_PGM_RSRC2:SCRATCH_EN: 0
; COMPUTE_PGM_RSRC2:USER_SGPR: 2
; COMPUTE_PGM_RSRC2:TRAP_HANDLER: 0
; COMPUTE_PGM_RSRC2:TGID_X_EN: 1
; COMPUTE_PGM_RSRC2:TGID_Y_EN: 0
; COMPUTE_PGM_RSRC2:TGID_Z_EN: 0
; COMPUTE_PGM_RSRC2:TIDIG_COMP_CNT: 0
	.section	.text._ZN7rocprim17ROCPRIM_400000_NS6detail17trampoline_kernelINS0_14default_configENS1_27scan_by_key_config_selectorIiiEEZZNS1_16scan_by_key_implILNS1_25lookback_scan_determinismE0ELb1ES3_N6thrust23THRUST_200600_302600_NS10device_ptrIiEESB_SB_iNS9_4plusIvEENS9_8equal_toIvEEiEE10hipError_tPvRmT2_T3_T4_T5_mT6_T7_P12ihipStream_tbENKUlT_T0_E_clISt17integral_constantIbLb1EESV_IbLb0EEEEDaSR_SS_EUlSR_E_NS1_11comp_targetILNS1_3genE3ELNS1_11target_archE908ELNS1_3gpuE7ELNS1_3repE0EEENS1_30default_config_static_selectorELNS0_4arch9wavefront6targetE0EEEvT1_,"axG",@progbits,_ZN7rocprim17ROCPRIM_400000_NS6detail17trampoline_kernelINS0_14default_configENS1_27scan_by_key_config_selectorIiiEEZZNS1_16scan_by_key_implILNS1_25lookback_scan_determinismE0ELb1ES3_N6thrust23THRUST_200600_302600_NS10device_ptrIiEESB_SB_iNS9_4plusIvEENS9_8equal_toIvEEiEE10hipError_tPvRmT2_T3_T4_T5_mT6_T7_P12ihipStream_tbENKUlT_T0_E_clISt17integral_constantIbLb1EESV_IbLb0EEEEDaSR_SS_EUlSR_E_NS1_11comp_targetILNS1_3genE3ELNS1_11target_archE908ELNS1_3gpuE7ELNS1_3repE0EEENS1_30default_config_static_selectorELNS0_4arch9wavefront6targetE0EEEvT1_,comdat
	.protected	_ZN7rocprim17ROCPRIM_400000_NS6detail17trampoline_kernelINS0_14default_configENS1_27scan_by_key_config_selectorIiiEEZZNS1_16scan_by_key_implILNS1_25lookback_scan_determinismE0ELb1ES3_N6thrust23THRUST_200600_302600_NS10device_ptrIiEESB_SB_iNS9_4plusIvEENS9_8equal_toIvEEiEE10hipError_tPvRmT2_T3_T4_T5_mT6_T7_P12ihipStream_tbENKUlT_T0_E_clISt17integral_constantIbLb1EESV_IbLb0EEEEDaSR_SS_EUlSR_E_NS1_11comp_targetILNS1_3genE3ELNS1_11target_archE908ELNS1_3gpuE7ELNS1_3repE0EEENS1_30default_config_static_selectorELNS0_4arch9wavefront6targetE0EEEvT1_ ; -- Begin function _ZN7rocprim17ROCPRIM_400000_NS6detail17trampoline_kernelINS0_14default_configENS1_27scan_by_key_config_selectorIiiEEZZNS1_16scan_by_key_implILNS1_25lookback_scan_determinismE0ELb1ES3_N6thrust23THRUST_200600_302600_NS10device_ptrIiEESB_SB_iNS9_4plusIvEENS9_8equal_toIvEEiEE10hipError_tPvRmT2_T3_T4_T5_mT6_T7_P12ihipStream_tbENKUlT_T0_E_clISt17integral_constantIbLb1EESV_IbLb0EEEEDaSR_SS_EUlSR_E_NS1_11comp_targetILNS1_3genE3ELNS1_11target_archE908ELNS1_3gpuE7ELNS1_3repE0EEENS1_30default_config_static_selectorELNS0_4arch9wavefront6targetE0EEEvT1_
	.globl	_ZN7rocprim17ROCPRIM_400000_NS6detail17trampoline_kernelINS0_14default_configENS1_27scan_by_key_config_selectorIiiEEZZNS1_16scan_by_key_implILNS1_25lookback_scan_determinismE0ELb1ES3_N6thrust23THRUST_200600_302600_NS10device_ptrIiEESB_SB_iNS9_4plusIvEENS9_8equal_toIvEEiEE10hipError_tPvRmT2_T3_T4_T5_mT6_T7_P12ihipStream_tbENKUlT_T0_E_clISt17integral_constantIbLb1EESV_IbLb0EEEEDaSR_SS_EUlSR_E_NS1_11comp_targetILNS1_3genE3ELNS1_11target_archE908ELNS1_3gpuE7ELNS1_3repE0EEENS1_30default_config_static_selectorELNS0_4arch9wavefront6targetE0EEEvT1_
	.p2align	8
	.type	_ZN7rocprim17ROCPRIM_400000_NS6detail17trampoline_kernelINS0_14default_configENS1_27scan_by_key_config_selectorIiiEEZZNS1_16scan_by_key_implILNS1_25lookback_scan_determinismE0ELb1ES3_N6thrust23THRUST_200600_302600_NS10device_ptrIiEESB_SB_iNS9_4plusIvEENS9_8equal_toIvEEiEE10hipError_tPvRmT2_T3_T4_T5_mT6_T7_P12ihipStream_tbENKUlT_T0_E_clISt17integral_constantIbLb1EESV_IbLb0EEEEDaSR_SS_EUlSR_E_NS1_11comp_targetILNS1_3genE3ELNS1_11target_archE908ELNS1_3gpuE7ELNS1_3repE0EEENS1_30default_config_static_selectorELNS0_4arch9wavefront6targetE0EEEvT1_,@function
_ZN7rocprim17ROCPRIM_400000_NS6detail17trampoline_kernelINS0_14default_configENS1_27scan_by_key_config_selectorIiiEEZZNS1_16scan_by_key_implILNS1_25lookback_scan_determinismE0ELb1ES3_N6thrust23THRUST_200600_302600_NS10device_ptrIiEESB_SB_iNS9_4plusIvEENS9_8equal_toIvEEiEE10hipError_tPvRmT2_T3_T4_T5_mT6_T7_P12ihipStream_tbENKUlT_T0_E_clISt17integral_constantIbLb1EESV_IbLb0EEEEDaSR_SS_EUlSR_E_NS1_11comp_targetILNS1_3genE3ELNS1_11target_archE908ELNS1_3gpuE7ELNS1_3repE0EEENS1_30default_config_static_selectorELNS0_4arch9wavefront6targetE0EEEvT1_: ; @_ZN7rocprim17ROCPRIM_400000_NS6detail17trampoline_kernelINS0_14default_configENS1_27scan_by_key_config_selectorIiiEEZZNS1_16scan_by_key_implILNS1_25lookback_scan_determinismE0ELb1ES3_N6thrust23THRUST_200600_302600_NS10device_ptrIiEESB_SB_iNS9_4plusIvEENS9_8equal_toIvEEiEE10hipError_tPvRmT2_T3_T4_T5_mT6_T7_P12ihipStream_tbENKUlT_T0_E_clISt17integral_constantIbLb1EESV_IbLb0EEEEDaSR_SS_EUlSR_E_NS1_11comp_targetILNS1_3genE3ELNS1_11target_archE908ELNS1_3gpuE7ELNS1_3repE0EEENS1_30default_config_static_selectorELNS0_4arch9wavefront6targetE0EEEvT1_
; %bb.0:
	.section	.rodata,"a",@progbits
	.p2align	6, 0x0
	.amdhsa_kernel _ZN7rocprim17ROCPRIM_400000_NS6detail17trampoline_kernelINS0_14default_configENS1_27scan_by_key_config_selectorIiiEEZZNS1_16scan_by_key_implILNS1_25lookback_scan_determinismE0ELb1ES3_N6thrust23THRUST_200600_302600_NS10device_ptrIiEESB_SB_iNS9_4plusIvEENS9_8equal_toIvEEiEE10hipError_tPvRmT2_T3_T4_T5_mT6_T7_P12ihipStream_tbENKUlT_T0_E_clISt17integral_constantIbLb1EESV_IbLb0EEEEDaSR_SS_EUlSR_E_NS1_11comp_targetILNS1_3genE3ELNS1_11target_archE908ELNS1_3gpuE7ELNS1_3repE0EEENS1_30default_config_static_selectorELNS0_4arch9wavefront6targetE0EEEvT1_
		.amdhsa_group_segment_fixed_size 0
		.amdhsa_private_segment_fixed_size 0
		.amdhsa_kernarg_size 112
		.amdhsa_user_sgpr_count 2
		.amdhsa_user_sgpr_dispatch_ptr 0
		.amdhsa_user_sgpr_queue_ptr 0
		.amdhsa_user_sgpr_kernarg_segment_ptr 1
		.amdhsa_user_sgpr_dispatch_id 0
		.amdhsa_user_sgpr_kernarg_preload_length 0
		.amdhsa_user_sgpr_kernarg_preload_offset 0
		.amdhsa_user_sgpr_private_segment_size 0
		.amdhsa_wavefront_size32 1
		.amdhsa_uses_dynamic_stack 0
		.amdhsa_enable_private_segment 0
		.amdhsa_system_sgpr_workgroup_id_x 1
		.amdhsa_system_sgpr_workgroup_id_y 0
		.amdhsa_system_sgpr_workgroup_id_z 0
		.amdhsa_system_sgpr_workgroup_info 0
		.amdhsa_system_vgpr_workitem_id 0
		.amdhsa_next_free_vgpr 1
		.amdhsa_next_free_sgpr 1
		.amdhsa_named_barrier_count 0
		.amdhsa_reserve_vcc 0
		.amdhsa_float_round_mode_32 0
		.amdhsa_float_round_mode_16_64 0
		.amdhsa_float_denorm_mode_32 3
		.amdhsa_float_denorm_mode_16_64 3
		.amdhsa_fp16_overflow 0
		.amdhsa_memory_ordered 1
		.amdhsa_forward_progress 1
		.amdhsa_inst_pref_size 0
		.amdhsa_round_robin_scheduling 0
		.amdhsa_exception_fp_ieee_invalid_op 0
		.amdhsa_exception_fp_denorm_src 0
		.amdhsa_exception_fp_ieee_div_zero 0
		.amdhsa_exception_fp_ieee_overflow 0
		.amdhsa_exception_fp_ieee_underflow 0
		.amdhsa_exception_fp_ieee_inexact 0
		.amdhsa_exception_int_div_zero 0
	.end_amdhsa_kernel
	.section	.text._ZN7rocprim17ROCPRIM_400000_NS6detail17trampoline_kernelINS0_14default_configENS1_27scan_by_key_config_selectorIiiEEZZNS1_16scan_by_key_implILNS1_25lookback_scan_determinismE0ELb1ES3_N6thrust23THRUST_200600_302600_NS10device_ptrIiEESB_SB_iNS9_4plusIvEENS9_8equal_toIvEEiEE10hipError_tPvRmT2_T3_T4_T5_mT6_T7_P12ihipStream_tbENKUlT_T0_E_clISt17integral_constantIbLb1EESV_IbLb0EEEEDaSR_SS_EUlSR_E_NS1_11comp_targetILNS1_3genE3ELNS1_11target_archE908ELNS1_3gpuE7ELNS1_3repE0EEENS1_30default_config_static_selectorELNS0_4arch9wavefront6targetE0EEEvT1_,"axG",@progbits,_ZN7rocprim17ROCPRIM_400000_NS6detail17trampoline_kernelINS0_14default_configENS1_27scan_by_key_config_selectorIiiEEZZNS1_16scan_by_key_implILNS1_25lookback_scan_determinismE0ELb1ES3_N6thrust23THRUST_200600_302600_NS10device_ptrIiEESB_SB_iNS9_4plusIvEENS9_8equal_toIvEEiEE10hipError_tPvRmT2_T3_T4_T5_mT6_T7_P12ihipStream_tbENKUlT_T0_E_clISt17integral_constantIbLb1EESV_IbLb0EEEEDaSR_SS_EUlSR_E_NS1_11comp_targetILNS1_3genE3ELNS1_11target_archE908ELNS1_3gpuE7ELNS1_3repE0EEENS1_30default_config_static_selectorELNS0_4arch9wavefront6targetE0EEEvT1_,comdat
.Lfunc_end2255:
	.size	_ZN7rocprim17ROCPRIM_400000_NS6detail17trampoline_kernelINS0_14default_configENS1_27scan_by_key_config_selectorIiiEEZZNS1_16scan_by_key_implILNS1_25lookback_scan_determinismE0ELb1ES3_N6thrust23THRUST_200600_302600_NS10device_ptrIiEESB_SB_iNS9_4plusIvEENS9_8equal_toIvEEiEE10hipError_tPvRmT2_T3_T4_T5_mT6_T7_P12ihipStream_tbENKUlT_T0_E_clISt17integral_constantIbLb1EESV_IbLb0EEEEDaSR_SS_EUlSR_E_NS1_11comp_targetILNS1_3genE3ELNS1_11target_archE908ELNS1_3gpuE7ELNS1_3repE0EEENS1_30default_config_static_selectorELNS0_4arch9wavefront6targetE0EEEvT1_, .Lfunc_end2255-_ZN7rocprim17ROCPRIM_400000_NS6detail17trampoline_kernelINS0_14default_configENS1_27scan_by_key_config_selectorIiiEEZZNS1_16scan_by_key_implILNS1_25lookback_scan_determinismE0ELb1ES3_N6thrust23THRUST_200600_302600_NS10device_ptrIiEESB_SB_iNS9_4plusIvEENS9_8equal_toIvEEiEE10hipError_tPvRmT2_T3_T4_T5_mT6_T7_P12ihipStream_tbENKUlT_T0_E_clISt17integral_constantIbLb1EESV_IbLb0EEEEDaSR_SS_EUlSR_E_NS1_11comp_targetILNS1_3genE3ELNS1_11target_archE908ELNS1_3gpuE7ELNS1_3repE0EEENS1_30default_config_static_selectorELNS0_4arch9wavefront6targetE0EEEvT1_
                                        ; -- End function
	.set _ZN7rocprim17ROCPRIM_400000_NS6detail17trampoline_kernelINS0_14default_configENS1_27scan_by_key_config_selectorIiiEEZZNS1_16scan_by_key_implILNS1_25lookback_scan_determinismE0ELb1ES3_N6thrust23THRUST_200600_302600_NS10device_ptrIiEESB_SB_iNS9_4plusIvEENS9_8equal_toIvEEiEE10hipError_tPvRmT2_T3_T4_T5_mT6_T7_P12ihipStream_tbENKUlT_T0_E_clISt17integral_constantIbLb1EESV_IbLb0EEEEDaSR_SS_EUlSR_E_NS1_11comp_targetILNS1_3genE3ELNS1_11target_archE908ELNS1_3gpuE7ELNS1_3repE0EEENS1_30default_config_static_selectorELNS0_4arch9wavefront6targetE0EEEvT1_.num_vgpr, 0
	.set _ZN7rocprim17ROCPRIM_400000_NS6detail17trampoline_kernelINS0_14default_configENS1_27scan_by_key_config_selectorIiiEEZZNS1_16scan_by_key_implILNS1_25lookback_scan_determinismE0ELb1ES3_N6thrust23THRUST_200600_302600_NS10device_ptrIiEESB_SB_iNS9_4plusIvEENS9_8equal_toIvEEiEE10hipError_tPvRmT2_T3_T4_T5_mT6_T7_P12ihipStream_tbENKUlT_T0_E_clISt17integral_constantIbLb1EESV_IbLb0EEEEDaSR_SS_EUlSR_E_NS1_11comp_targetILNS1_3genE3ELNS1_11target_archE908ELNS1_3gpuE7ELNS1_3repE0EEENS1_30default_config_static_selectorELNS0_4arch9wavefront6targetE0EEEvT1_.num_agpr, 0
	.set _ZN7rocprim17ROCPRIM_400000_NS6detail17trampoline_kernelINS0_14default_configENS1_27scan_by_key_config_selectorIiiEEZZNS1_16scan_by_key_implILNS1_25lookback_scan_determinismE0ELb1ES3_N6thrust23THRUST_200600_302600_NS10device_ptrIiEESB_SB_iNS9_4plusIvEENS9_8equal_toIvEEiEE10hipError_tPvRmT2_T3_T4_T5_mT6_T7_P12ihipStream_tbENKUlT_T0_E_clISt17integral_constantIbLb1EESV_IbLb0EEEEDaSR_SS_EUlSR_E_NS1_11comp_targetILNS1_3genE3ELNS1_11target_archE908ELNS1_3gpuE7ELNS1_3repE0EEENS1_30default_config_static_selectorELNS0_4arch9wavefront6targetE0EEEvT1_.numbered_sgpr, 0
	.set _ZN7rocprim17ROCPRIM_400000_NS6detail17trampoline_kernelINS0_14default_configENS1_27scan_by_key_config_selectorIiiEEZZNS1_16scan_by_key_implILNS1_25lookback_scan_determinismE0ELb1ES3_N6thrust23THRUST_200600_302600_NS10device_ptrIiEESB_SB_iNS9_4plusIvEENS9_8equal_toIvEEiEE10hipError_tPvRmT2_T3_T4_T5_mT6_T7_P12ihipStream_tbENKUlT_T0_E_clISt17integral_constantIbLb1EESV_IbLb0EEEEDaSR_SS_EUlSR_E_NS1_11comp_targetILNS1_3genE3ELNS1_11target_archE908ELNS1_3gpuE7ELNS1_3repE0EEENS1_30default_config_static_selectorELNS0_4arch9wavefront6targetE0EEEvT1_.num_named_barrier, 0
	.set _ZN7rocprim17ROCPRIM_400000_NS6detail17trampoline_kernelINS0_14default_configENS1_27scan_by_key_config_selectorIiiEEZZNS1_16scan_by_key_implILNS1_25lookback_scan_determinismE0ELb1ES3_N6thrust23THRUST_200600_302600_NS10device_ptrIiEESB_SB_iNS9_4plusIvEENS9_8equal_toIvEEiEE10hipError_tPvRmT2_T3_T4_T5_mT6_T7_P12ihipStream_tbENKUlT_T0_E_clISt17integral_constantIbLb1EESV_IbLb0EEEEDaSR_SS_EUlSR_E_NS1_11comp_targetILNS1_3genE3ELNS1_11target_archE908ELNS1_3gpuE7ELNS1_3repE0EEENS1_30default_config_static_selectorELNS0_4arch9wavefront6targetE0EEEvT1_.private_seg_size, 0
	.set _ZN7rocprim17ROCPRIM_400000_NS6detail17trampoline_kernelINS0_14default_configENS1_27scan_by_key_config_selectorIiiEEZZNS1_16scan_by_key_implILNS1_25lookback_scan_determinismE0ELb1ES3_N6thrust23THRUST_200600_302600_NS10device_ptrIiEESB_SB_iNS9_4plusIvEENS9_8equal_toIvEEiEE10hipError_tPvRmT2_T3_T4_T5_mT6_T7_P12ihipStream_tbENKUlT_T0_E_clISt17integral_constantIbLb1EESV_IbLb0EEEEDaSR_SS_EUlSR_E_NS1_11comp_targetILNS1_3genE3ELNS1_11target_archE908ELNS1_3gpuE7ELNS1_3repE0EEENS1_30default_config_static_selectorELNS0_4arch9wavefront6targetE0EEEvT1_.uses_vcc, 0
	.set _ZN7rocprim17ROCPRIM_400000_NS6detail17trampoline_kernelINS0_14default_configENS1_27scan_by_key_config_selectorIiiEEZZNS1_16scan_by_key_implILNS1_25lookback_scan_determinismE0ELb1ES3_N6thrust23THRUST_200600_302600_NS10device_ptrIiEESB_SB_iNS9_4plusIvEENS9_8equal_toIvEEiEE10hipError_tPvRmT2_T3_T4_T5_mT6_T7_P12ihipStream_tbENKUlT_T0_E_clISt17integral_constantIbLb1EESV_IbLb0EEEEDaSR_SS_EUlSR_E_NS1_11comp_targetILNS1_3genE3ELNS1_11target_archE908ELNS1_3gpuE7ELNS1_3repE0EEENS1_30default_config_static_selectorELNS0_4arch9wavefront6targetE0EEEvT1_.uses_flat_scratch, 0
	.set _ZN7rocprim17ROCPRIM_400000_NS6detail17trampoline_kernelINS0_14default_configENS1_27scan_by_key_config_selectorIiiEEZZNS1_16scan_by_key_implILNS1_25lookback_scan_determinismE0ELb1ES3_N6thrust23THRUST_200600_302600_NS10device_ptrIiEESB_SB_iNS9_4plusIvEENS9_8equal_toIvEEiEE10hipError_tPvRmT2_T3_T4_T5_mT6_T7_P12ihipStream_tbENKUlT_T0_E_clISt17integral_constantIbLb1EESV_IbLb0EEEEDaSR_SS_EUlSR_E_NS1_11comp_targetILNS1_3genE3ELNS1_11target_archE908ELNS1_3gpuE7ELNS1_3repE0EEENS1_30default_config_static_selectorELNS0_4arch9wavefront6targetE0EEEvT1_.has_dyn_sized_stack, 0
	.set _ZN7rocprim17ROCPRIM_400000_NS6detail17trampoline_kernelINS0_14default_configENS1_27scan_by_key_config_selectorIiiEEZZNS1_16scan_by_key_implILNS1_25lookback_scan_determinismE0ELb1ES3_N6thrust23THRUST_200600_302600_NS10device_ptrIiEESB_SB_iNS9_4plusIvEENS9_8equal_toIvEEiEE10hipError_tPvRmT2_T3_T4_T5_mT6_T7_P12ihipStream_tbENKUlT_T0_E_clISt17integral_constantIbLb1EESV_IbLb0EEEEDaSR_SS_EUlSR_E_NS1_11comp_targetILNS1_3genE3ELNS1_11target_archE908ELNS1_3gpuE7ELNS1_3repE0EEENS1_30default_config_static_selectorELNS0_4arch9wavefront6targetE0EEEvT1_.has_recursion, 0
	.set _ZN7rocprim17ROCPRIM_400000_NS6detail17trampoline_kernelINS0_14default_configENS1_27scan_by_key_config_selectorIiiEEZZNS1_16scan_by_key_implILNS1_25lookback_scan_determinismE0ELb1ES3_N6thrust23THRUST_200600_302600_NS10device_ptrIiEESB_SB_iNS9_4plusIvEENS9_8equal_toIvEEiEE10hipError_tPvRmT2_T3_T4_T5_mT6_T7_P12ihipStream_tbENKUlT_T0_E_clISt17integral_constantIbLb1EESV_IbLb0EEEEDaSR_SS_EUlSR_E_NS1_11comp_targetILNS1_3genE3ELNS1_11target_archE908ELNS1_3gpuE7ELNS1_3repE0EEENS1_30default_config_static_selectorELNS0_4arch9wavefront6targetE0EEEvT1_.has_indirect_call, 0
	.section	.AMDGPU.csdata,"",@progbits
; Kernel info:
; codeLenInByte = 0
; TotalNumSgprs: 0
; NumVgprs: 0
; ScratchSize: 0
; MemoryBound: 0
; FloatMode: 240
; IeeeMode: 1
; LDSByteSize: 0 bytes/workgroup (compile time only)
; SGPRBlocks: 0
; VGPRBlocks: 0
; NumSGPRsForWavesPerEU: 1
; NumVGPRsForWavesPerEU: 1
; NamedBarCnt: 0
; Occupancy: 16
; WaveLimiterHint : 0
; COMPUTE_PGM_RSRC2:SCRATCH_EN: 0
; COMPUTE_PGM_RSRC2:USER_SGPR: 2
; COMPUTE_PGM_RSRC2:TRAP_HANDLER: 0
; COMPUTE_PGM_RSRC2:TGID_X_EN: 1
; COMPUTE_PGM_RSRC2:TGID_Y_EN: 0
; COMPUTE_PGM_RSRC2:TGID_Z_EN: 0
; COMPUTE_PGM_RSRC2:TIDIG_COMP_CNT: 0
	.section	.text._ZN7rocprim17ROCPRIM_400000_NS6detail17trampoline_kernelINS0_14default_configENS1_27scan_by_key_config_selectorIiiEEZZNS1_16scan_by_key_implILNS1_25lookback_scan_determinismE0ELb1ES3_N6thrust23THRUST_200600_302600_NS10device_ptrIiEESB_SB_iNS9_4plusIvEENS9_8equal_toIvEEiEE10hipError_tPvRmT2_T3_T4_T5_mT6_T7_P12ihipStream_tbENKUlT_T0_E_clISt17integral_constantIbLb1EESV_IbLb0EEEEDaSR_SS_EUlSR_E_NS1_11comp_targetILNS1_3genE2ELNS1_11target_archE906ELNS1_3gpuE6ELNS1_3repE0EEENS1_30default_config_static_selectorELNS0_4arch9wavefront6targetE0EEEvT1_,"axG",@progbits,_ZN7rocprim17ROCPRIM_400000_NS6detail17trampoline_kernelINS0_14default_configENS1_27scan_by_key_config_selectorIiiEEZZNS1_16scan_by_key_implILNS1_25lookback_scan_determinismE0ELb1ES3_N6thrust23THRUST_200600_302600_NS10device_ptrIiEESB_SB_iNS9_4plusIvEENS9_8equal_toIvEEiEE10hipError_tPvRmT2_T3_T4_T5_mT6_T7_P12ihipStream_tbENKUlT_T0_E_clISt17integral_constantIbLb1EESV_IbLb0EEEEDaSR_SS_EUlSR_E_NS1_11comp_targetILNS1_3genE2ELNS1_11target_archE906ELNS1_3gpuE6ELNS1_3repE0EEENS1_30default_config_static_selectorELNS0_4arch9wavefront6targetE0EEEvT1_,comdat
	.protected	_ZN7rocprim17ROCPRIM_400000_NS6detail17trampoline_kernelINS0_14default_configENS1_27scan_by_key_config_selectorIiiEEZZNS1_16scan_by_key_implILNS1_25lookback_scan_determinismE0ELb1ES3_N6thrust23THRUST_200600_302600_NS10device_ptrIiEESB_SB_iNS9_4plusIvEENS9_8equal_toIvEEiEE10hipError_tPvRmT2_T3_T4_T5_mT6_T7_P12ihipStream_tbENKUlT_T0_E_clISt17integral_constantIbLb1EESV_IbLb0EEEEDaSR_SS_EUlSR_E_NS1_11comp_targetILNS1_3genE2ELNS1_11target_archE906ELNS1_3gpuE6ELNS1_3repE0EEENS1_30default_config_static_selectorELNS0_4arch9wavefront6targetE0EEEvT1_ ; -- Begin function _ZN7rocprim17ROCPRIM_400000_NS6detail17trampoline_kernelINS0_14default_configENS1_27scan_by_key_config_selectorIiiEEZZNS1_16scan_by_key_implILNS1_25lookback_scan_determinismE0ELb1ES3_N6thrust23THRUST_200600_302600_NS10device_ptrIiEESB_SB_iNS9_4plusIvEENS9_8equal_toIvEEiEE10hipError_tPvRmT2_T3_T4_T5_mT6_T7_P12ihipStream_tbENKUlT_T0_E_clISt17integral_constantIbLb1EESV_IbLb0EEEEDaSR_SS_EUlSR_E_NS1_11comp_targetILNS1_3genE2ELNS1_11target_archE906ELNS1_3gpuE6ELNS1_3repE0EEENS1_30default_config_static_selectorELNS0_4arch9wavefront6targetE0EEEvT1_
	.globl	_ZN7rocprim17ROCPRIM_400000_NS6detail17trampoline_kernelINS0_14default_configENS1_27scan_by_key_config_selectorIiiEEZZNS1_16scan_by_key_implILNS1_25lookback_scan_determinismE0ELb1ES3_N6thrust23THRUST_200600_302600_NS10device_ptrIiEESB_SB_iNS9_4plusIvEENS9_8equal_toIvEEiEE10hipError_tPvRmT2_T3_T4_T5_mT6_T7_P12ihipStream_tbENKUlT_T0_E_clISt17integral_constantIbLb1EESV_IbLb0EEEEDaSR_SS_EUlSR_E_NS1_11comp_targetILNS1_3genE2ELNS1_11target_archE906ELNS1_3gpuE6ELNS1_3repE0EEENS1_30default_config_static_selectorELNS0_4arch9wavefront6targetE0EEEvT1_
	.p2align	8
	.type	_ZN7rocprim17ROCPRIM_400000_NS6detail17trampoline_kernelINS0_14default_configENS1_27scan_by_key_config_selectorIiiEEZZNS1_16scan_by_key_implILNS1_25lookback_scan_determinismE0ELb1ES3_N6thrust23THRUST_200600_302600_NS10device_ptrIiEESB_SB_iNS9_4plusIvEENS9_8equal_toIvEEiEE10hipError_tPvRmT2_T3_T4_T5_mT6_T7_P12ihipStream_tbENKUlT_T0_E_clISt17integral_constantIbLb1EESV_IbLb0EEEEDaSR_SS_EUlSR_E_NS1_11comp_targetILNS1_3genE2ELNS1_11target_archE906ELNS1_3gpuE6ELNS1_3repE0EEENS1_30default_config_static_selectorELNS0_4arch9wavefront6targetE0EEEvT1_,@function
_ZN7rocprim17ROCPRIM_400000_NS6detail17trampoline_kernelINS0_14default_configENS1_27scan_by_key_config_selectorIiiEEZZNS1_16scan_by_key_implILNS1_25lookback_scan_determinismE0ELb1ES3_N6thrust23THRUST_200600_302600_NS10device_ptrIiEESB_SB_iNS9_4plusIvEENS9_8equal_toIvEEiEE10hipError_tPvRmT2_T3_T4_T5_mT6_T7_P12ihipStream_tbENKUlT_T0_E_clISt17integral_constantIbLb1EESV_IbLb0EEEEDaSR_SS_EUlSR_E_NS1_11comp_targetILNS1_3genE2ELNS1_11target_archE906ELNS1_3gpuE6ELNS1_3repE0EEENS1_30default_config_static_selectorELNS0_4arch9wavefront6targetE0EEEvT1_: ; @_ZN7rocprim17ROCPRIM_400000_NS6detail17trampoline_kernelINS0_14default_configENS1_27scan_by_key_config_selectorIiiEEZZNS1_16scan_by_key_implILNS1_25lookback_scan_determinismE0ELb1ES3_N6thrust23THRUST_200600_302600_NS10device_ptrIiEESB_SB_iNS9_4plusIvEENS9_8equal_toIvEEiEE10hipError_tPvRmT2_T3_T4_T5_mT6_T7_P12ihipStream_tbENKUlT_T0_E_clISt17integral_constantIbLb1EESV_IbLb0EEEEDaSR_SS_EUlSR_E_NS1_11comp_targetILNS1_3genE2ELNS1_11target_archE906ELNS1_3gpuE6ELNS1_3repE0EEENS1_30default_config_static_selectorELNS0_4arch9wavefront6targetE0EEEvT1_
; %bb.0:
	.section	.rodata,"a",@progbits
	.p2align	6, 0x0
	.amdhsa_kernel _ZN7rocprim17ROCPRIM_400000_NS6detail17trampoline_kernelINS0_14default_configENS1_27scan_by_key_config_selectorIiiEEZZNS1_16scan_by_key_implILNS1_25lookback_scan_determinismE0ELb1ES3_N6thrust23THRUST_200600_302600_NS10device_ptrIiEESB_SB_iNS9_4plusIvEENS9_8equal_toIvEEiEE10hipError_tPvRmT2_T3_T4_T5_mT6_T7_P12ihipStream_tbENKUlT_T0_E_clISt17integral_constantIbLb1EESV_IbLb0EEEEDaSR_SS_EUlSR_E_NS1_11comp_targetILNS1_3genE2ELNS1_11target_archE906ELNS1_3gpuE6ELNS1_3repE0EEENS1_30default_config_static_selectorELNS0_4arch9wavefront6targetE0EEEvT1_
		.amdhsa_group_segment_fixed_size 0
		.amdhsa_private_segment_fixed_size 0
		.amdhsa_kernarg_size 112
		.amdhsa_user_sgpr_count 2
		.amdhsa_user_sgpr_dispatch_ptr 0
		.amdhsa_user_sgpr_queue_ptr 0
		.amdhsa_user_sgpr_kernarg_segment_ptr 1
		.amdhsa_user_sgpr_dispatch_id 0
		.amdhsa_user_sgpr_kernarg_preload_length 0
		.amdhsa_user_sgpr_kernarg_preload_offset 0
		.amdhsa_user_sgpr_private_segment_size 0
		.amdhsa_wavefront_size32 1
		.amdhsa_uses_dynamic_stack 0
		.amdhsa_enable_private_segment 0
		.amdhsa_system_sgpr_workgroup_id_x 1
		.amdhsa_system_sgpr_workgroup_id_y 0
		.amdhsa_system_sgpr_workgroup_id_z 0
		.amdhsa_system_sgpr_workgroup_info 0
		.amdhsa_system_vgpr_workitem_id 0
		.amdhsa_next_free_vgpr 1
		.amdhsa_next_free_sgpr 1
		.amdhsa_named_barrier_count 0
		.amdhsa_reserve_vcc 0
		.amdhsa_float_round_mode_32 0
		.amdhsa_float_round_mode_16_64 0
		.amdhsa_float_denorm_mode_32 3
		.amdhsa_float_denorm_mode_16_64 3
		.amdhsa_fp16_overflow 0
		.amdhsa_memory_ordered 1
		.amdhsa_forward_progress 1
		.amdhsa_inst_pref_size 0
		.amdhsa_round_robin_scheduling 0
		.amdhsa_exception_fp_ieee_invalid_op 0
		.amdhsa_exception_fp_denorm_src 0
		.amdhsa_exception_fp_ieee_div_zero 0
		.amdhsa_exception_fp_ieee_overflow 0
		.amdhsa_exception_fp_ieee_underflow 0
		.amdhsa_exception_fp_ieee_inexact 0
		.amdhsa_exception_int_div_zero 0
	.end_amdhsa_kernel
	.section	.text._ZN7rocprim17ROCPRIM_400000_NS6detail17trampoline_kernelINS0_14default_configENS1_27scan_by_key_config_selectorIiiEEZZNS1_16scan_by_key_implILNS1_25lookback_scan_determinismE0ELb1ES3_N6thrust23THRUST_200600_302600_NS10device_ptrIiEESB_SB_iNS9_4plusIvEENS9_8equal_toIvEEiEE10hipError_tPvRmT2_T3_T4_T5_mT6_T7_P12ihipStream_tbENKUlT_T0_E_clISt17integral_constantIbLb1EESV_IbLb0EEEEDaSR_SS_EUlSR_E_NS1_11comp_targetILNS1_3genE2ELNS1_11target_archE906ELNS1_3gpuE6ELNS1_3repE0EEENS1_30default_config_static_selectorELNS0_4arch9wavefront6targetE0EEEvT1_,"axG",@progbits,_ZN7rocprim17ROCPRIM_400000_NS6detail17trampoline_kernelINS0_14default_configENS1_27scan_by_key_config_selectorIiiEEZZNS1_16scan_by_key_implILNS1_25lookback_scan_determinismE0ELb1ES3_N6thrust23THRUST_200600_302600_NS10device_ptrIiEESB_SB_iNS9_4plusIvEENS9_8equal_toIvEEiEE10hipError_tPvRmT2_T3_T4_T5_mT6_T7_P12ihipStream_tbENKUlT_T0_E_clISt17integral_constantIbLb1EESV_IbLb0EEEEDaSR_SS_EUlSR_E_NS1_11comp_targetILNS1_3genE2ELNS1_11target_archE906ELNS1_3gpuE6ELNS1_3repE0EEENS1_30default_config_static_selectorELNS0_4arch9wavefront6targetE0EEEvT1_,comdat
.Lfunc_end2256:
	.size	_ZN7rocprim17ROCPRIM_400000_NS6detail17trampoline_kernelINS0_14default_configENS1_27scan_by_key_config_selectorIiiEEZZNS1_16scan_by_key_implILNS1_25lookback_scan_determinismE0ELb1ES3_N6thrust23THRUST_200600_302600_NS10device_ptrIiEESB_SB_iNS9_4plusIvEENS9_8equal_toIvEEiEE10hipError_tPvRmT2_T3_T4_T5_mT6_T7_P12ihipStream_tbENKUlT_T0_E_clISt17integral_constantIbLb1EESV_IbLb0EEEEDaSR_SS_EUlSR_E_NS1_11comp_targetILNS1_3genE2ELNS1_11target_archE906ELNS1_3gpuE6ELNS1_3repE0EEENS1_30default_config_static_selectorELNS0_4arch9wavefront6targetE0EEEvT1_, .Lfunc_end2256-_ZN7rocprim17ROCPRIM_400000_NS6detail17trampoline_kernelINS0_14default_configENS1_27scan_by_key_config_selectorIiiEEZZNS1_16scan_by_key_implILNS1_25lookback_scan_determinismE0ELb1ES3_N6thrust23THRUST_200600_302600_NS10device_ptrIiEESB_SB_iNS9_4plusIvEENS9_8equal_toIvEEiEE10hipError_tPvRmT2_T3_T4_T5_mT6_T7_P12ihipStream_tbENKUlT_T0_E_clISt17integral_constantIbLb1EESV_IbLb0EEEEDaSR_SS_EUlSR_E_NS1_11comp_targetILNS1_3genE2ELNS1_11target_archE906ELNS1_3gpuE6ELNS1_3repE0EEENS1_30default_config_static_selectorELNS0_4arch9wavefront6targetE0EEEvT1_
                                        ; -- End function
	.set _ZN7rocprim17ROCPRIM_400000_NS6detail17trampoline_kernelINS0_14default_configENS1_27scan_by_key_config_selectorIiiEEZZNS1_16scan_by_key_implILNS1_25lookback_scan_determinismE0ELb1ES3_N6thrust23THRUST_200600_302600_NS10device_ptrIiEESB_SB_iNS9_4plusIvEENS9_8equal_toIvEEiEE10hipError_tPvRmT2_T3_T4_T5_mT6_T7_P12ihipStream_tbENKUlT_T0_E_clISt17integral_constantIbLb1EESV_IbLb0EEEEDaSR_SS_EUlSR_E_NS1_11comp_targetILNS1_3genE2ELNS1_11target_archE906ELNS1_3gpuE6ELNS1_3repE0EEENS1_30default_config_static_selectorELNS0_4arch9wavefront6targetE0EEEvT1_.num_vgpr, 0
	.set _ZN7rocprim17ROCPRIM_400000_NS6detail17trampoline_kernelINS0_14default_configENS1_27scan_by_key_config_selectorIiiEEZZNS1_16scan_by_key_implILNS1_25lookback_scan_determinismE0ELb1ES3_N6thrust23THRUST_200600_302600_NS10device_ptrIiEESB_SB_iNS9_4plusIvEENS9_8equal_toIvEEiEE10hipError_tPvRmT2_T3_T4_T5_mT6_T7_P12ihipStream_tbENKUlT_T0_E_clISt17integral_constantIbLb1EESV_IbLb0EEEEDaSR_SS_EUlSR_E_NS1_11comp_targetILNS1_3genE2ELNS1_11target_archE906ELNS1_3gpuE6ELNS1_3repE0EEENS1_30default_config_static_selectorELNS0_4arch9wavefront6targetE0EEEvT1_.num_agpr, 0
	.set _ZN7rocprim17ROCPRIM_400000_NS6detail17trampoline_kernelINS0_14default_configENS1_27scan_by_key_config_selectorIiiEEZZNS1_16scan_by_key_implILNS1_25lookback_scan_determinismE0ELb1ES3_N6thrust23THRUST_200600_302600_NS10device_ptrIiEESB_SB_iNS9_4plusIvEENS9_8equal_toIvEEiEE10hipError_tPvRmT2_T3_T4_T5_mT6_T7_P12ihipStream_tbENKUlT_T0_E_clISt17integral_constantIbLb1EESV_IbLb0EEEEDaSR_SS_EUlSR_E_NS1_11comp_targetILNS1_3genE2ELNS1_11target_archE906ELNS1_3gpuE6ELNS1_3repE0EEENS1_30default_config_static_selectorELNS0_4arch9wavefront6targetE0EEEvT1_.numbered_sgpr, 0
	.set _ZN7rocprim17ROCPRIM_400000_NS6detail17trampoline_kernelINS0_14default_configENS1_27scan_by_key_config_selectorIiiEEZZNS1_16scan_by_key_implILNS1_25lookback_scan_determinismE0ELb1ES3_N6thrust23THRUST_200600_302600_NS10device_ptrIiEESB_SB_iNS9_4plusIvEENS9_8equal_toIvEEiEE10hipError_tPvRmT2_T3_T4_T5_mT6_T7_P12ihipStream_tbENKUlT_T0_E_clISt17integral_constantIbLb1EESV_IbLb0EEEEDaSR_SS_EUlSR_E_NS1_11comp_targetILNS1_3genE2ELNS1_11target_archE906ELNS1_3gpuE6ELNS1_3repE0EEENS1_30default_config_static_selectorELNS0_4arch9wavefront6targetE0EEEvT1_.num_named_barrier, 0
	.set _ZN7rocprim17ROCPRIM_400000_NS6detail17trampoline_kernelINS0_14default_configENS1_27scan_by_key_config_selectorIiiEEZZNS1_16scan_by_key_implILNS1_25lookback_scan_determinismE0ELb1ES3_N6thrust23THRUST_200600_302600_NS10device_ptrIiEESB_SB_iNS9_4plusIvEENS9_8equal_toIvEEiEE10hipError_tPvRmT2_T3_T4_T5_mT6_T7_P12ihipStream_tbENKUlT_T0_E_clISt17integral_constantIbLb1EESV_IbLb0EEEEDaSR_SS_EUlSR_E_NS1_11comp_targetILNS1_3genE2ELNS1_11target_archE906ELNS1_3gpuE6ELNS1_3repE0EEENS1_30default_config_static_selectorELNS0_4arch9wavefront6targetE0EEEvT1_.private_seg_size, 0
	.set _ZN7rocprim17ROCPRIM_400000_NS6detail17trampoline_kernelINS0_14default_configENS1_27scan_by_key_config_selectorIiiEEZZNS1_16scan_by_key_implILNS1_25lookback_scan_determinismE0ELb1ES3_N6thrust23THRUST_200600_302600_NS10device_ptrIiEESB_SB_iNS9_4plusIvEENS9_8equal_toIvEEiEE10hipError_tPvRmT2_T3_T4_T5_mT6_T7_P12ihipStream_tbENKUlT_T0_E_clISt17integral_constantIbLb1EESV_IbLb0EEEEDaSR_SS_EUlSR_E_NS1_11comp_targetILNS1_3genE2ELNS1_11target_archE906ELNS1_3gpuE6ELNS1_3repE0EEENS1_30default_config_static_selectorELNS0_4arch9wavefront6targetE0EEEvT1_.uses_vcc, 0
	.set _ZN7rocprim17ROCPRIM_400000_NS6detail17trampoline_kernelINS0_14default_configENS1_27scan_by_key_config_selectorIiiEEZZNS1_16scan_by_key_implILNS1_25lookback_scan_determinismE0ELb1ES3_N6thrust23THRUST_200600_302600_NS10device_ptrIiEESB_SB_iNS9_4plusIvEENS9_8equal_toIvEEiEE10hipError_tPvRmT2_T3_T4_T5_mT6_T7_P12ihipStream_tbENKUlT_T0_E_clISt17integral_constantIbLb1EESV_IbLb0EEEEDaSR_SS_EUlSR_E_NS1_11comp_targetILNS1_3genE2ELNS1_11target_archE906ELNS1_3gpuE6ELNS1_3repE0EEENS1_30default_config_static_selectorELNS0_4arch9wavefront6targetE0EEEvT1_.uses_flat_scratch, 0
	.set _ZN7rocprim17ROCPRIM_400000_NS6detail17trampoline_kernelINS0_14default_configENS1_27scan_by_key_config_selectorIiiEEZZNS1_16scan_by_key_implILNS1_25lookback_scan_determinismE0ELb1ES3_N6thrust23THRUST_200600_302600_NS10device_ptrIiEESB_SB_iNS9_4plusIvEENS9_8equal_toIvEEiEE10hipError_tPvRmT2_T3_T4_T5_mT6_T7_P12ihipStream_tbENKUlT_T0_E_clISt17integral_constantIbLb1EESV_IbLb0EEEEDaSR_SS_EUlSR_E_NS1_11comp_targetILNS1_3genE2ELNS1_11target_archE906ELNS1_3gpuE6ELNS1_3repE0EEENS1_30default_config_static_selectorELNS0_4arch9wavefront6targetE0EEEvT1_.has_dyn_sized_stack, 0
	.set _ZN7rocprim17ROCPRIM_400000_NS6detail17trampoline_kernelINS0_14default_configENS1_27scan_by_key_config_selectorIiiEEZZNS1_16scan_by_key_implILNS1_25lookback_scan_determinismE0ELb1ES3_N6thrust23THRUST_200600_302600_NS10device_ptrIiEESB_SB_iNS9_4plusIvEENS9_8equal_toIvEEiEE10hipError_tPvRmT2_T3_T4_T5_mT6_T7_P12ihipStream_tbENKUlT_T0_E_clISt17integral_constantIbLb1EESV_IbLb0EEEEDaSR_SS_EUlSR_E_NS1_11comp_targetILNS1_3genE2ELNS1_11target_archE906ELNS1_3gpuE6ELNS1_3repE0EEENS1_30default_config_static_selectorELNS0_4arch9wavefront6targetE0EEEvT1_.has_recursion, 0
	.set _ZN7rocprim17ROCPRIM_400000_NS6detail17trampoline_kernelINS0_14default_configENS1_27scan_by_key_config_selectorIiiEEZZNS1_16scan_by_key_implILNS1_25lookback_scan_determinismE0ELb1ES3_N6thrust23THRUST_200600_302600_NS10device_ptrIiEESB_SB_iNS9_4plusIvEENS9_8equal_toIvEEiEE10hipError_tPvRmT2_T3_T4_T5_mT6_T7_P12ihipStream_tbENKUlT_T0_E_clISt17integral_constantIbLb1EESV_IbLb0EEEEDaSR_SS_EUlSR_E_NS1_11comp_targetILNS1_3genE2ELNS1_11target_archE906ELNS1_3gpuE6ELNS1_3repE0EEENS1_30default_config_static_selectorELNS0_4arch9wavefront6targetE0EEEvT1_.has_indirect_call, 0
	.section	.AMDGPU.csdata,"",@progbits
; Kernel info:
; codeLenInByte = 0
; TotalNumSgprs: 0
; NumVgprs: 0
; ScratchSize: 0
; MemoryBound: 0
; FloatMode: 240
; IeeeMode: 1
; LDSByteSize: 0 bytes/workgroup (compile time only)
; SGPRBlocks: 0
; VGPRBlocks: 0
; NumSGPRsForWavesPerEU: 1
; NumVGPRsForWavesPerEU: 1
; NamedBarCnt: 0
; Occupancy: 16
; WaveLimiterHint : 0
; COMPUTE_PGM_RSRC2:SCRATCH_EN: 0
; COMPUTE_PGM_RSRC2:USER_SGPR: 2
; COMPUTE_PGM_RSRC2:TRAP_HANDLER: 0
; COMPUTE_PGM_RSRC2:TGID_X_EN: 1
; COMPUTE_PGM_RSRC2:TGID_Y_EN: 0
; COMPUTE_PGM_RSRC2:TGID_Z_EN: 0
; COMPUTE_PGM_RSRC2:TIDIG_COMP_CNT: 0
	.section	.text._ZN7rocprim17ROCPRIM_400000_NS6detail17trampoline_kernelINS0_14default_configENS1_27scan_by_key_config_selectorIiiEEZZNS1_16scan_by_key_implILNS1_25lookback_scan_determinismE0ELb1ES3_N6thrust23THRUST_200600_302600_NS10device_ptrIiEESB_SB_iNS9_4plusIvEENS9_8equal_toIvEEiEE10hipError_tPvRmT2_T3_T4_T5_mT6_T7_P12ihipStream_tbENKUlT_T0_E_clISt17integral_constantIbLb1EESV_IbLb0EEEEDaSR_SS_EUlSR_E_NS1_11comp_targetILNS1_3genE10ELNS1_11target_archE1200ELNS1_3gpuE4ELNS1_3repE0EEENS1_30default_config_static_selectorELNS0_4arch9wavefront6targetE0EEEvT1_,"axG",@progbits,_ZN7rocprim17ROCPRIM_400000_NS6detail17trampoline_kernelINS0_14default_configENS1_27scan_by_key_config_selectorIiiEEZZNS1_16scan_by_key_implILNS1_25lookback_scan_determinismE0ELb1ES3_N6thrust23THRUST_200600_302600_NS10device_ptrIiEESB_SB_iNS9_4plusIvEENS9_8equal_toIvEEiEE10hipError_tPvRmT2_T3_T4_T5_mT6_T7_P12ihipStream_tbENKUlT_T0_E_clISt17integral_constantIbLb1EESV_IbLb0EEEEDaSR_SS_EUlSR_E_NS1_11comp_targetILNS1_3genE10ELNS1_11target_archE1200ELNS1_3gpuE4ELNS1_3repE0EEENS1_30default_config_static_selectorELNS0_4arch9wavefront6targetE0EEEvT1_,comdat
	.protected	_ZN7rocprim17ROCPRIM_400000_NS6detail17trampoline_kernelINS0_14default_configENS1_27scan_by_key_config_selectorIiiEEZZNS1_16scan_by_key_implILNS1_25lookback_scan_determinismE0ELb1ES3_N6thrust23THRUST_200600_302600_NS10device_ptrIiEESB_SB_iNS9_4plusIvEENS9_8equal_toIvEEiEE10hipError_tPvRmT2_T3_T4_T5_mT6_T7_P12ihipStream_tbENKUlT_T0_E_clISt17integral_constantIbLb1EESV_IbLb0EEEEDaSR_SS_EUlSR_E_NS1_11comp_targetILNS1_3genE10ELNS1_11target_archE1200ELNS1_3gpuE4ELNS1_3repE0EEENS1_30default_config_static_selectorELNS0_4arch9wavefront6targetE0EEEvT1_ ; -- Begin function _ZN7rocprim17ROCPRIM_400000_NS6detail17trampoline_kernelINS0_14default_configENS1_27scan_by_key_config_selectorIiiEEZZNS1_16scan_by_key_implILNS1_25lookback_scan_determinismE0ELb1ES3_N6thrust23THRUST_200600_302600_NS10device_ptrIiEESB_SB_iNS9_4plusIvEENS9_8equal_toIvEEiEE10hipError_tPvRmT2_T3_T4_T5_mT6_T7_P12ihipStream_tbENKUlT_T0_E_clISt17integral_constantIbLb1EESV_IbLb0EEEEDaSR_SS_EUlSR_E_NS1_11comp_targetILNS1_3genE10ELNS1_11target_archE1200ELNS1_3gpuE4ELNS1_3repE0EEENS1_30default_config_static_selectorELNS0_4arch9wavefront6targetE0EEEvT1_
	.globl	_ZN7rocprim17ROCPRIM_400000_NS6detail17trampoline_kernelINS0_14default_configENS1_27scan_by_key_config_selectorIiiEEZZNS1_16scan_by_key_implILNS1_25lookback_scan_determinismE0ELb1ES3_N6thrust23THRUST_200600_302600_NS10device_ptrIiEESB_SB_iNS9_4plusIvEENS9_8equal_toIvEEiEE10hipError_tPvRmT2_T3_T4_T5_mT6_T7_P12ihipStream_tbENKUlT_T0_E_clISt17integral_constantIbLb1EESV_IbLb0EEEEDaSR_SS_EUlSR_E_NS1_11comp_targetILNS1_3genE10ELNS1_11target_archE1200ELNS1_3gpuE4ELNS1_3repE0EEENS1_30default_config_static_selectorELNS0_4arch9wavefront6targetE0EEEvT1_
	.p2align	8
	.type	_ZN7rocprim17ROCPRIM_400000_NS6detail17trampoline_kernelINS0_14default_configENS1_27scan_by_key_config_selectorIiiEEZZNS1_16scan_by_key_implILNS1_25lookback_scan_determinismE0ELb1ES3_N6thrust23THRUST_200600_302600_NS10device_ptrIiEESB_SB_iNS9_4plusIvEENS9_8equal_toIvEEiEE10hipError_tPvRmT2_T3_T4_T5_mT6_T7_P12ihipStream_tbENKUlT_T0_E_clISt17integral_constantIbLb1EESV_IbLb0EEEEDaSR_SS_EUlSR_E_NS1_11comp_targetILNS1_3genE10ELNS1_11target_archE1200ELNS1_3gpuE4ELNS1_3repE0EEENS1_30default_config_static_selectorELNS0_4arch9wavefront6targetE0EEEvT1_,@function
_ZN7rocprim17ROCPRIM_400000_NS6detail17trampoline_kernelINS0_14default_configENS1_27scan_by_key_config_selectorIiiEEZZNS1_16scan_by_key_implILNS1_25lookback_scan_determinismE0ELb1ES3_N6thrust23THRUST_200600_302600_NS10device_ptrIiEESB_SB_iNS9_4plusIvEENS9_8equal_toIvEEiEE10hipError_tPvRmT2_T3_T4_T5_mT6_T7_P12ihipStream_tbENKUlT_T0_E_clISt17integral_constantIbLb1EESV_IbLb0EEEEDaSR_SS_EUlSR_E_NS1_11comp_targetILNS1_3genE10ELNS1_11target_archE1200ELNS1_3gpuE4ELNS1_3repE0EEENS1_30default_config_static_selectorELNS0_4arch9wavefront6targetE0EEEvT1_: ; @_ZN7rocprim17ROCPRIM_400000_NS6detail17trampoline_kernelINS0_14default_configENS1_27scan_by_key_config_selectorIiiEEZZNS1_16scan_by_key_implILNS1_25lookback_scan_determinismE0ELb1ES3_N6thrust23THRUST_200600_302600_NS10device_ptrIiEESB_SB_iNS9_4plusIvEENS9_8equal_toIvEEiEE10hipError_tPvRmT2_T3_T4_T5_mT6_T7_P12ihipStream_tbENKUlT_T0_E_clISt17integral_constantIbLb1EESV_IbLb0EEEEDaSR_SS_EUlSR_E_NS1_11comp_targetILNS1_3genE10ELNS1_11target_archE1200ELNS1_3gpuE4ELNS1_3repE0EEENS1_30default_config_static_selectorELNS0_4arch9wavefront6targetE0EEEvT1_
; %bb.0:
	.section	.rodata,"a",@progbits
	.p2align	6, 0x0
	.amdhsa_kernel _ZN7rocprim17ROCPRIM_400000_NS6detail17trampoline_kernelINS0_14default_configENS1_27scan_by_key_config_selectorIiiEEZZNS1_16scan_by_key_implILNS1_25lookback_scan_determinismE0ELb1ES3_N6thrust23THRUST_200600_302600_NS10device_ptrIiEESB_SB_iNS9_4plusIvEENS9_8equal_toIvEEiEE10hipError_tPvRmT2_T3_T4_T5_mT6_T7_P12ihipStream_tbENKUlT_T0_E_clISt17integral_constantIbLb1EESV_IbLb0EEEEDaSR_SS_EUlSR_E_NS1_11comp_targetILNS1_3genE10ELNS1_11target_archE1200ELNS1_3gpuE4ELNS1_3repE0EEENS1_30default_config_static_selectorELNS0_4arch9wavefront6targetE0EEEvT1_
		.amdhsa_group_segment_fixed_size 0
		.amdhsa_private_segment_fixed_size 0
		.amdhsa_kernarg_size 112
		.amdhsa_user_sgpr_count 2
		.amdhsa_user_sgpr_dispatch_ptr 0
		.amdhsa_user_sgpr_queue_ptr 0
		.amdhsa_user_sgpr_kernarg_segment_ptr 1
		.amdhsa_user_sgpr_dispatch_id 0
		.amdhsa_user_sgpr_kernarg_preload_length 0
		.amdhsa_user_sgpr_kernarg_preload_offset 0
		.amdhsa_user_sgpr_private_segment_size 0
		.amdhsa_wavefront_size32 1
		.amdhsa_uses_dynamic_stack 0
		.amdhsa_enable_private_segment 0
		.amdhsa_system_sgpr_workgroup_id_x 1
		.amdhsa_system_sgpr_workgroup_id_y 0
		.amdhsa_system_sgpr_workgroup_id_z 0
		.amdhsa_system_sgpr_workgroup_info 0
		.amdhsa_system_vgpr_workitem_id 0
		.amdhsa_next_free_vgpr 1
		.amdhsa_next_free_sgpr 1
		.amdhsa_named_barrier_count 0
		.amdhsa_reserve_vcc 0
		.amdhsa_float_round_mode_32 0
		.amdhsa_float_round_mode_16_64 0
		.amdhsa_float_denorm_mode_32 3
		.amdhsa_float_denorm_mode_16_64 3
		.amdhsa_fp16_overflow 0
		.amdhsa_memory_ordered 1
		.amdhsa_forward_progress 1
		.amdhsa_inst_pref_size 0
		.amdhsa_round_robin_scheduling 0
		.amdhsa_exception_fp_ieee_invalid_op 0
		.amdhsa_exception_fp_denorm_src 0
		.amdhsa_exception_fp_ieee_div_zero 0
		.amdhsa_exception_fp_ieee_overflow 0
		.amdhsa_exception_fp_ieee_underflow 0
		.amdhsa_exception_fp_ieee_inexact 0
		.amdhsa_exception_int_div_zero 0
	.end_amdhsa_kernel
	.section	.text._ZN7rocprim17ROCPRIM_400000_NS6detail17trampoline_kernelINS0_14default_configENS1_27scan_by_key_config_selectorIiiEEZZNS1_16scan_by_key_implILNS1_25lookback_scan_determinismE0ELb1ES3_N6thrust23THRUST_200600_302600_NS10device_ptrIiEESB_SB_iNS9_4plusIvEENS9_8equal_toIvEEiEE10hipError_tPvRmT2_T3_T4_T5_mT6_T7_P12ihipStream_tbENKUlT_T0_E_clISt17integral_constantIbLb1EESV_IbLb0EEEEDaSR_SS_EUlSR_E_NS1_11comp_targetILNS1_3genE10ELNS1_11target_archE1200ELNS1_3gpuE4ELNS1_3repE0EEENS1_30default_config_static_selectorELNS0_4arch9wavefront6targetE0EEEvT1_,"axG",@progbits,_ZN7rocprim17ROCPRIM_400000_NS6detail17trampoline_kernelINS0_14default_configENS1_27scan_by_key_config_selectorIiiEEZZNS1_16scan_by_key_implILNS1_25lookback_scan_determinismE0ELb1ES3_N6thrust23THRUST_200600_302600_NS10device_ptrIiEESB_SB_iNS9_4plusIvEENS9_8equal_toIvEEiEE10hipError_tPvRmT2_T3_T4_T5_mT6_T7_P12ihipStream_tbENKUlT_T0_E_clISt17integral_constantIbLb1EESV_IbLb0EEEEDaSR_SS_EUlSR_E_NS1_11comp_targetILNS1_3genE10ELNS1_11target_archE1200ELNS1_3gpuE4ELNS1_3repE0EEENS1_30default_config_static_selectorELNS0_4arch9wavefront6targetE0EEEvT1_,comdat
.Lfunc_end2257:
	.size	_ZN7rocprim17ROCPRIM_400000_NS6detail17trampoline_kernelINS0_14default_configENS1_27scan_by_key_config_selectorIiiEEZZNS1_16scan_by_key_implILNS1_25lookback_scan_determinismE0ELb1ES3_N6thrust23THRUST_200600_302600_NS10device_ptrIiEESB_SB_iNS9_4plusIvEENS9_8equal_toIvEEiEE10hipError_tPvRmT2_T3_T4_T5_mT6_T7_P12ihipStream_tbENKUlT_T0_E_clISt17integral_constantIbLb1EESV_IbLb0EEEEDaSR_SS_EUlSR_E_NS1_11comp_targetILNS1_3genE10ELNS1_11target_archE1200ELNS1_3gpuE4ELNS1_3repE0EEENS1_30default_config_static_selectorELNS0_4arch9wavefront6targetE0EEEvT1_, .Lfunc_end2257-_ZN7rocprim17ROCPRIM_400000_NS6detail17trampoline_kernelINS0_14default_configENS1_27scan_by_key_config_selectorIiiEEZZNS1_16scan_by_key_implILNS1_25lookback_scan_determinismE0ELb1ES3_N6thrust23THRUST_200600_302600_NS10device_ptrIiEESB_SB_iNS9_4plusIvEENS9_8equal_toIvEEiEE10hipError_tPvRmT2_T3_T4_T5_mT6_T7_P12ihipStream_tbENKUlT_T0_E_clISt17integral_constantIbLb1EESV_IbLb0EEEEDaSR_SS_EUlSR_E_NS1_11comp_targetILNS1_3genE10ELNS1_11target_archE1200ELNS1_3gpuE4ELNS1_3repE0EEENS1_30default_config_static_selectorELNS0_4arch9wavefront6targetE0EEEvT1_
                                        ; -- End function
	.set _ZN7rocprim17ROCPRIM_400000_NS6detail17trampoline_kernelINS0_14default_configENS1_27scan_by_key_config_selectorIiiEEZZNS1_16scan_by_key_implILNS1_25lookback_scan_determinismE0ELb1ES3_N6thrust23THRUST_200600_302600_NS10device_ptrIiEESB_SB_iNS9_4plusIvEENS9_8equal_toIvEEiEE10hipError_tPvRmT2_T3_T4_T5_mT6_T7_P12ihipStream_tbENKUlT_T0_E_clISt17integral_constantIbLb1EESV_IbLb0EEEEDaSR_SS_EUlSR_E_NS1_11comp_targetILNS1_3genE10ELNS1_11target_archE1200ELNS1_3gpuE4ELNS1_3repE0EEENS1_30default_config_static_selectorELNS0_4arch9wavefront6targetE0EEEvT1_.num_vgpr, 0
	.set _ZN7rocprim17ROCPRIM_400000_NS6detail17trampoline_kernelINS0_14default_configENS1_27scan_by_key_config_selectorIiiEEZZNS1_16scan_by_key_implILNS1_25lookback_scan_determinismE0ELb1ES3_N6thrust23THRUST_200600_302600_NS10device_ptrIiEESB_SB_iNS9_4plusIvEENS9_8equal_toIvEEiEE10hipError_tPvRmT2_T3_T4_T5_mT6_T7_P12ihipStream_tbENKUlT_T0_E_clISt17integral_constantIbLb1EESV_IbLb0EEEEDaSR_SS_EUlSR_E_NS1_11comp_targetILNS1_3genE10ELNS1_11target_archE1200ELNS1_3gpuE4ELNS1_3repE0EEENS1_30default_config_static_selectorELNS0_4arch9wavefront6targetE0EEEvT1_.num_agpr, 0
	.set _ZN7rocprim17ROCPRIM_400000_NS6detail17trampoline_kernelINS0_14default_configENS1_27scan_by_key_config_selectorIiiEEZZNS1_16scan_by_key_implILNS1_25lookback_scan_determinismE0ELb1ES3_N6thrust23THRUST_200600_302600_NS10device_ptrIiEESB_SB_iNS9_4plusIvEENS9_8equal_toIvEEiEE10hipError_tPvRmT2_T3_T4_T5_mT6_T7_P12ihipStream_tbENKUlT_T0_E_clISt17integral_constantIbLb1EESV_IbLb0EEEEDaSR_SS_EUlSR_E_NS1_11comp_targetILNS1_3genE10ELNS1_11target_archE1200ELNS1_3gpuE4ELNS1_3repE0EEENS1_30default_config_static_selectorELNS0_4arch9wavefront6targetE0EEEvT1_.numbered_sgpr, 0
	.set _ZN7rocprim17ROCPRIM_400000_NS6detail17trampoline_kernelINS0_14default_configENS1_27scan_by_key_config_selectorIiiEEZZNS1_16scan_by_key_implILNS1_25lookback_scan_determinismE0ELb1ES3_N6thrust23THRUST_200600_302600_NS10device_ptrIiEESB_SB_iNS9_4plusIvEENS9_8equal_toIvEEiEE10hipError_tPvRmT2_T3_T4_T5_mT6_T7_P12ihipStream_tbENKUlT_T0_E_clISt17integral_constantIbLb1EESV_IbLb0EEEEDaSR_SS_EUlSR_E_NS1_11comp_targetILNS1_3genE10ELNS1_11target_archE1200ELNS1_3gpuE4ELNS1_3repE0EEENS1_30default_config_static_selectorELNS0_4arch9wavefront6targetE0EEEvT1_.num_named_barrier, 0
	.set _ZN7rocprim17ROCPRIM_400000_NS6detail17trampoline_kernelINS0_14default_configENS1_27scan_by_key_config_selectorIiiEEZZNS1_16scan_by_key_implILNS1_25lookback_scan_determinismE0ELb1ES3_N6thrust23THRUST_200600_302600_NS10device_ptrIiEESB_SB_iNS9_4plusIvEENS9_8equal_toIvEEiEE10hipError_tPvRmT2_T3_T4_T5_mT6_T7_P12ihipStream_tbENKUlT_T0_E_clISt17integral_constantIbLb1EESV_IbLb0EEEEDaSR_SS_EUlSR_E_NS1_11comp_targetILNS1_3genE10ELNS1_11target_archE1200ELNS1_3gpuE4ELNS1_3repE0EEENS1_30default_config_static_selectorELNS0_4arch9wavefront6targetE0EEEvT1_.private_seg_size, 0
	.set _ZN7rocprim17ROCPRIM_400000_NS6detail17trampoline_kernelINS0_14default_configENS1_27scan_by_key_config_selectorIiiEEZZNS1_16scan_by_key_implILNS1_25lookback_scan_determinismE0ELb1ES3_N6thrust23THRUST_200600_302600_NS10device_ptrIiEESB_SB_iNS9_4plusIvEENS9_8equal_toIvEEiEE10hipError_tPvRmT2_T3_T4_T5_mT6_T7_P12ihipStream_tbENKUlT_T0_E_clISt17integral_constantIbLb1EESV_IbLb0EEEEDaSR_SS_EUlSR_E_NS1_11comp_targetILNS1_3genE10ELNS1_11target_archE1200ELNS1_3gpuE4ELNS1_3repE0EEENS1_30default_config_static_selectorELNS0_4arch9wavefront6targetE0EEEvT1_.uses_vcc, 0
	.set _ZN7rocprim17ROCPRIM_400000_NS6detail17trampoline_kernelINS0_14default_configENS1_27scan_by_key_config_selectorIiiEEZZNS1_16scan_by_key_implILNS1_25lookback_scan_determinismE0ELb1ES3_N6thrust23THRUST_200600_302600_NS10device_ptrIiEESB_SB_iNS9_4plusIvEENS9_8equal_toIvEEiEE10hipError_tPvRmT2_T3_T4_T5_mT6_T7_P12ihipStream_tbENKUlT_T0_E_clISt17integral_constantIbLb1EESV_IbLb0EEEEDaSR_SS_EUlSR_E_NS1_11comp_targetILNS1_3genE10ELNS1_11target_archE1200ELNS1_3gpuE4ELNS1_3repE0EEENS1_30default_config_static_selectorELNS0_4arch9wavefront6targetE0EEEvT1_.uses_flat_scratch, 0
	.set _ZN7rocprim17ROCPRIM_400000_NS6detail17trampoline_kernelINS0_14default_configENS1_27scan_by_key_config_selectorIiiEEZZNS1_16scan_by_key_implILNS1_25lookback_scan_determinismE0ELb1ES3_N6thrust23THRUST_200600_302600_NS10device_ptrIiEESB_SB_iNS9_4plusIvEENS9_8equal_toIvEEiEE10hipError_tPvRmT2_T3_T4_T5_mT6_T7_P12ihipStream_tbENKUlT_T0_E_clISt17integral_constantIbLb1EESV_IbLb0EEEEDaSR_SS_EUlSR_E_NS1_11comp_targetILNS1_3genE10ELNS1_11target_archE1200ELNS1_3gpuE4ELNS1_3repE0EEENS1_30default_config_static_selectorELNS0_4arch9wavefront6targetE0EEEvT1_.has_dyn_sized_stack, 0
	.set _ZN7rocprim17ROCPRIM_400000_NS6detail17trampoline_kernelINS0_14default_configENS1_27scan_by_key_config_selectorIiiEEZZNS1_16scan_by_key_implILNS1_25lookback_scan_determinismE0ELb1ES3_N6thrust23THRUST_200600_302600_NS10device_ptrIiEESB_SB_iNS9_4plusIvEENS9_8equal_toIvEEiEE10hipError_tPvRmT2_T3_T4_T5_mT6_T7_P12ihipStream_tbENKUlT_T0_E_clISt17integral_constantIbLb1EESV_IbLb0EEEEDaSR_SS_EUlSR_E_NS1_11comp_targetILNS1_3genE10ELNS1_11target_archE1200ELNS1_3gpuE4ELNS1_3repE0EEENS1_30default_config_static_selectorELNS0_4arch9wavefront6targetE0EEEvT1_.has_recursion, 0
	.set _ZN7rocprim17ROCPRIM_400000_NS6detail17trampoline_kernelINS0_14default_configENS1_27scan_by_key_config_selectorIiiEEZZNS1_16scan_by_key_implILNS1_25lookback_scan_determinismE0ELb1ES3_N6thrust23THRUST_200600_302600_NS10device_ptrIiEESB_SB_iNS9_4plusIvEENS9_8equal_toIvEEiEE10hipError_tPvRmT2_T3_T4_T5_mT6_T7_P12ihipStream_tbENKUlT_T0_E_clISt17integral_constantIbLb1EESV_IbLb0EEEEDaSR_SS_EUlSR_E_NS1_11comp_targetILNS1_3genE10ELNS1_11target_archE1200ELNS1_3gpuE4ELNS1_3repE0EEENS1_30default_config_static_selectorELNS0_4arch9wavefront6targetE0EEEvT1_.has_indirect_call, 0
	.section	.AMDGPU.csdata,"",@progbits
; Kernel info:
; codeLenInByte = 0
; TotalNumSgprs: 0
; NumVgprs: 0
; ScratchSize: 0
; MemoryBound: 0
; FloatMode: 240
; IeeeMode: 1
; LDSByteSize: 0 bytes/workgroup (compile time only)
; SGPRBlocks: 0
; VGPRBlocks: 0
; NumSGPRsForWavesPerEU: 1
; NumVGPRsForWavesPerEU: 1
; NamedBarCnt: 0
; Occupancy: 16
; WaveLimiterHint : 0
; COMPUTE_PGM_RSRC2:SCRATCH_EN: 0
; COMPUTE_PGM_RSRC2:USER_SGPR: 2
; COMPUTE_PGM_RSRC2:TRAP_HANDLER: 0
; COMPUTE_PGM_RSRC2:TGID_X_EN: 1
; COMPUTE_PGM_RSRC2:TGID_Y_EN: 0
; COMPUTE_PGM_RSRC2:TGID_Z_EN: 0
; COMPUTE_PGM_RSRC2:TIDIG_COMP_CNT: 0
	.section	.text._ZN7rocprim17ROCPRIM_400000_NS6detail17trampoline_kernelINS0_14default_configENS1_27scan_by_key_config_selectorIiiEEZZNS1_16scan_by_key_implILNS1_25lookback_scan_determinismE0ELb1ES3_N6thrust23THRUST_200600_302600_NS10device_ptrIiEESB_SB_iNS9_4plusIvEENS9_8equal_toIvEEiEE10hipError_tPvRmT2_T3_T4_T5_mT6_T7_P12ihipStream_tbENKUlT_T0_E_clISt17integral_constantIbLb1EESV_IbLb0EEEEDaSR_SS_EUlSR_E_NS1_11comp_targetILNS1_3genE9ELNS1_11target_archE1100ELNS1_3gpuE3ELNS1_3repE0EEENS1_30default_config_static_selectorELNS0_4arch9wavefront6targetE0EEEvT1_,"axG",@progbits,_ZN7rocprim17ROCPRIM_400000_NS6detail17trampoline_kernelINS0_14default_configENS1_27scan_by_key_config_selectorIiiEEZZNS1_16scan_by_key_implILNS1_25lookback_scan_determinismE0ELb1ES3_N6thrust23THRUST_200600_302600_NS10device_ptrIiEESB_SB_iNS9_4plusIvEENS9_8equal_toIvEEiEE10hipError_tPvRmT2_T3_T4_T5_mT6_T7_P12ihipStream_tbENKUlT_T0_E_clISt17integral_constantIbLb1EESV_IbLb0EEEEDaSR_SS_EUlSR_E_NS1_11comp_targetILNS1_3genE9ELNS1_11target_archE1100ELNS1_3gpuE3ELNS1_3repE0EEENS1_30default_config_static_selectorELNS0_4arch9wavefront6targetE0EEEvT1_,comdat
	.protected	_ZN7rocprim17ROCPRIM_400000_NS6detail17trampoline_kernelINS0_14default_configENS1_27scan_by_key_config_selectorIiiEEZZNS1_16scan_by_key_implILNS1_25lookback_scan_determinismE0ELb1ES3_N6thrust23THRUST_200600_302600_NS10device_ptrIiEESB_SB_iNS9_4plusIvEENS9_8equal_toIvEEiEE10hipError_tPvRmT2_T3_T4_T5_mT6_T7_P12ihipStream_tbENKUlT_T0_E_clISt17integral_constantIbLb1EESV_IbLb0EEEEDaSR_SS_EUlSR_E_NS1_11comp_targetILNS1_3genE9ELNS1_11target_archE1100ELNS1_3gpuE3ELNS1_3repE0EEENS1_30default_config_static_selectorELNS0_4arch9wavefront6targetE0EEEvT1_ ; -- Begin function _ZN7rocprim17ROCPRIM_400000_NS6detail17trampoline_kernelINS0_14default_configENS1_27scan_by_key_config_selectorIiiEEZZNS1_16scan_by_key_implILNS1_25lookback_scan_determinismE0ELb1ES3_N6thrust23THRUST_200600_302600_NS10device_ptrIiEESB_SB_iNS9_4plusIvEENS9_8equal_toIvEEiEE10hipError_tPvRmT2_T3_T4_T5_mT6_T7_P12ihipStream_tbENKUlT_T0_E_clISt17integral_constantIbLb1EESV_IbLb0EEEEDaSR_SS_EUlSR_E_NS1_11comp_targetILNS1_3genE9ELNS1_11target_archE1100ELNS1_3gpuE3ELNS1_3repE0EEENS1_30default_config_static_selectorELNS0_4arch9wavefront6targetE0EEEvT1_
	.globl	_ZN7rocprim17ROCPRIM_400000_NS6detail17trampoline_kernelINS0_14default_configENS1_27scan_by_key_config_selectorIiiEEZZNS1_16scan_by_key_implILNS1_25lookback_scan_determinismE0ELb1ES3_N6thrust23THRUST_200600_302600_NS10device_ptrIiEESB_SB_iNS9_4plusIvEENS9_8equal_toIvEEiEE10hipError_tPvRmT2_T3_T4_T5_mT6_T7_P12ihipStream_tbENKUlT_T0_E_clISt17integral_constantIbLb1EESV_IbLb0EEEEDaSR_SS_EUlSR_E_NS1_11comp_targetILNS1_3genE9ELNS1_11target_archE1100ELNS1_3gpuE3ELNS1_3repE0EEENS1_30default_config_static_selectorELNS0_4arch9wavefront6targetE0EEEvT1_
	.p2align	8
	.type	_ZN7rocprim17ROCPRIM_400000_NS6detail17trampoline_kernelINS0_14default_configENS1_27scan_by_key_config_selectorIiiEEZZNS1_16scan_by_key_implILNS1_25lookback_scan_determinismE0ELb1ES3_N6thrust23THRUST_200600_302600_NS10device_ptrIiEESB_SB_iNS9_4plusIvEENS9_8equal_toIvEEiEE10hipError_tPvRmT2_T3_T4_T5_mT6_T7_P12ihipStream_tbENKUlT_T0_E_clISt17integral_constantIbLb1EESV_IbLb0EEEEDaSR_SS_EUlSR_E_NS1_11comp_targetILNS1_3genE9ELNS1_11target_archE1100ELNS1_3gpuE3ELNS1_3repE0EEENS1_30default_config_static_selectorELNS0_4arch9wavefront6targetE0EEEvT1_,@function
_ZN7rocprim17ROCPRIM_400000_NS6detail17trampoline_kernelINS0_14default_configENS1_27scan_by_key_config_selectorIiiEEZZNS1_16scan_by_key_implILNS1_25lookback_scan_determinismE0ELb1ES3_N6thrust23THRUST_200600_302600_NS10device_ptrIiEESB_SB_iNS9_4plusIvEENS9_8equal_toIvEEiEE10hipError_tPvRmT2_T3_T4_T5_mT6_T7_P12ihipStream_tbENKUlT_T0_E_clISt17integral_constantIbLb1EESV_IbLb0EEEEDaSR_SS_EUlSR_E_NS1_11comp_targetILNS1_3genE9ELNS1_11target_archE1100ELNS1_3gpuE3ELNS1_3repE0EEENS1_30default_config_static_selectorELNS0_4arch9wavefront6targetE0EEEvT1_: ; @_ZN7rocprim17ROCPRIM_400000_NS6detail17trampoline_kernelINS0_14default_configENS1_27scan_by_key_config_selectorIiiEEZZNS1_16scan_by_key_implILNS1_25lookback_scan_determinismE0ELb1ES3_N6thrust23THRUST_200600_302600_NS10device_ptrIiEESB_SB_iNS9_4plusIvEENS9_8equal_toIvEEiEE10hipError_tPvRmT2_T3_T4_T5_mT6_T7_P12ihipStream_tbENKUlT_T0_E_clISt17integral_constantIbLb1EESV_IbLb0EEEEDaSR_SS_EUlSR_E_NS1_11comp_targetILNS1_3genE9ELNS1_11target_archE1100ELNS1_3gpuE3ELNS1_3repE0EEENS1_30default_config_static_selectorELNS0_4arch9wavefront6targetE0EEEvT1_
; %bb.0:
	.section	.rodata,"a",@progbits
	.p2align	6, 0x0
	.amdhsa_kernel _ZN7rocprim17ROCPRIM_400000_NS6detail17trampoline_kernelINS0_14default_configENS1_27scan_by_key_config_selectorIiiEEZZNS1_16scan_by_key_implILNS1_25lookback_scan_determinismE0ELb1ES3_N6thrust23THRUST_200600_302600_NS10device_ptrIiEESB_SB_iNS9_4plusIvEENS9_8equal_toIvEEiEE10hipError_tPvRmT2_T3_T4_T5_mT6_T7_P12ihipStream_tbENKUlT_T0_E_clISt17integral_constantIbLb1EESV_IbLb0EEEEDaSR_SS_EUlSR_E_NS1_11comp_targetILNS1_3genE9ELNS1_11target_archE1100ELNS1_3gpuE3ELNS1_3repE0EEENS1_30default_config_static_selectorELNS0_4arch9wavefront6targetE0EEEvT1_
		.amdhsa_group_segment_fixed_size 0
		.amdhsa_private_segment_fixed_size 0
		.amdhsa_kernarg_size 112
		.amdhsa_user_sgpr_count 2
		.amdhsa_user_sgpr_dispatch_ptr 0
		.amdhsa_user_sgpr_queue_ptr 0
		.amdhsa_user_sgpr_kernarg_segment_ptr 1
		.amdhsa_user_sgpr_dispatch_id 0
		.amdhsa_user_sgpr_kernarg_preload_length 0
		.amdhsa_user_sgpr_kernarg_preload_offset 0
		.amdhsa_user_sgpr_private_segment_size 0
		.amdhsa_wavefront_size32 1
		.amdhsa_uses_dynamic_stack 0
		.amdhsa_enable_private_segment 0
		.amdhsa_system_sgpr_workgroup_id_x 1
		.amdhsa_system_sgpr_workgroup_id_y 0
		.amdhsa_system_sgpr_workgroup_id_z 0
		.amdhsa_system_sgpr_workgroup_info 0
		.amdhsa_system_vgpr_workitem_id 0
		.amdhsa_next_free_vgpr 1
		.amdhsa_next_free_sgpr 1
		.amdhsa_named_barrier_count 0
		.amdhsa_reserve_vcc 0
		.amdhsa_float_round_mode_32 0
		.amdhsa_float_round_mode_16_64 0
		.amdhsa_float_denorm_mode_32 3
		.amdhsa_float_denorm_mode_16_64 3
		.amdhsa_fp16_overflow 0
		.amdhsa_memory_ordered 1
		.amdhsa_forward_progress 1
		.amdhsa_inst_pref_size 0
		.amdhsa_round_robin_scheduling 0
		.amdhsa_exception_fp_ieee_invalid_op 0
		.amdhsa_exception_fp_denorm_src 0
		.amdhsa_exception_fp_ieee_div_zero 0
		.amdhsa_exception_fp_ieee_overflow 0
		.amdhsa_exception_fp_ieee_underflow 0
		.amdhsa_exception_fp_ieee_inexact 0
		.amdhsa_exception_int_div_zero 0
	.end_amdhsa_kernel
	.section	.text._ZN7rocprim17ROCPRIM_400000_NS6detail17trampoline_kernelINS0_14default_configENS1_27scan_by_key_config_selectorIiiEEZZNS1_16scan_by_key_implILNS1_25lookback_scan_determinismE0ELb1ES3_N6thrust23THRUST_200600_302600_NS10device_ptrIiEESB_SB_iNS9_4plusIvEENS9_8equal_toIvEEiEE10hipError_tPvRmT2_T3_T4_T5_mT6_T7_P12ihipStream_tbENKUlT_T0_E_clISt17integral_constantIbLb1EESV_IbLb0EEEEDaSR_SS_EUlSR_E_NS1_11comp_targetILNS1_3genE9ELNS1_11target_archE1100ELNS1_3gpuE3ELNS1_3repE0EEENS1_30default_config_static_selectorELNS0_4arch9wavefront6targetE0EEEvT1_,"axG",@progbits,_ZN7rocprim17ROCPRIM_400000_NS6detail17trampoline_kernelINS0_14default_configENS1_27scan_by_key_config_selectorIiiEEZZNS1_16scan_by_key_implILNS1_25lookback_scan_determinismE0ELb1ES3_N6thrust23THRUST_200600_302600_NS10device_ptrIiEESB_SB_iNS9_4plusIvEENS9_8equal_toIvEEiEE10hipError_tPvRmT2_T3_T4_T5_mT6_T7_P12ihipStream_tbENKUlT_T0_E_clISt17integral_constantIbLb1EESV_IbLb0EEEEDaSR_SS_EUlSR_E_NS1_11comp_targetILNS1_3genE9ELNS1_11target_archE1100ELNS1_3gpuE3ELNS1_3repE0EEENS1_30default_config_static_selectorELNS0_4arch9wavefront6targetE0EEEvT1_,comdat
.Lfunc_end2258:
	.size	_ZN7rocprim17ROCPRIM_400000_NS6detail17trampoline_kernelINS0_14default_configENS1_27scan_by_key_config_selectorIiiEEZZNS1_16scan_by_key_implILNS1_25lookback_scan_determinismE0ELb1ES3_N6thrust23THRUST_200600_302600_NS10device_ptrIiEESB_SB_iNS9_4plusIvEENS9_8equal_toIvEEiEE10hipError_tPvRmT2_T3_T4_T5_mT6_T7_P12ihipStream_tbENKUlT_T0_E_clISt17integral_constantIbLb1EESV_IbLb0EEEEDaSR_SS_EUlSR_E_NS1_11comp_targetILNS1_3genE9ELNS1_11target_archE1100ELNS1_3gpuE3ELNS1_3repE0EEENS1_30default_config_static_selectorELNS0_4arch9wavefront6targetE0EEEvT1_, .Lfunc_end2258-_ZN7rocprim17ROCPRIM_400000_NS6detail17trampoline_kernelINS0_14default_configENS1_27scan_by_key_config_selectorIiiEEZZNS1_16scan_by_key_implILNS1_25lookback_scan_determinismE0ELb1ES3_N6thrust23THRUST_200600_302600_NS10device_ptrIiEESB_SB_iNS9_4plusIvEENS9_8equal_toIvEEiEE10hipError_tPvRmT2_T3_T4_T5_mT6_T7_P12ihipStream_tbENKUlT_T0_E_clISt17integral_constantIbLb1EESV_IbLb0EEEEDaSR_SS_EUlSR_E_NS1_11comp_targetILNS1_3genE9ELNS1_11target_archE1100ELNS1_3gpuE3ELNS1_3repE0EEENS1_30default_config_static_selectorELNS0_4arch9wavefront6targetE0EEEvT1_
                                        ; -- End function
	.set _ZN7rocprim17ROCPRIM_400000_NS6detail17trampoline_kernelINS0_14default_configENS1_27scan_by_key_config_selectorIiiEEZZNS1_16scan_by_key_implILNS1_25lookback_scan_determinismE0ELb1ES3_N6thrust23THRUST_200600_302600_NS10device_ptrIiEESB_SB_iNS9_4plusIvEENS9_8equal_toIvEEiEE10hipError_tPvRmT2_T3_T4_T5_mT6_T7_P12ihipStream_tbENKUlT_T0_E_clISt17integral_constantIbLb1EESV_IbLb0EEEEDaSR_SS_EUlSR_E_NS1_11comp_targetILNS1_3genE9ELNS1_11target_archE1100ELNS1_3gpuE3ELNS1_3repE0EEENS1_30default_config_static_selectorELNS0_4arch9wavefront6targetE0EEEvT1_.num_vgpr, 0
	.set _ZN7rocprim17ROCPRIM_400000_NS6detail17trampoline_kernelINS0_14default_configENS1_27scan_by_key_config_selectorIiiEEZZNS1_16scan_by_key_implILNS1_25lookback_scan_determinismE0ELb1ES3_N6thrust23THRUST_200600_302600_NS10device_ptrIiEESB_SB_iNS9_4plusIvEENS9_8equal_toIvEEiEE10hipError_tPvRmT2_T3_T4_T5_mT6_T7_P12ihipStream_tbENKUlT_T0_E_clISt17integral_constantIbLb1EESV_IbLb0EEEEDaSR_SS_EUlSR_E_NS1_11comp_targetILNS1_3genE9ELNS1_11target_archE1100ELNS1_3gpuE3ELNS1_3repE0EEENS1_30default_config_static_selectorELNS0_4arch9wavefront6targetE0EEEvT1_.num_agpr, 0
	.set _ZN7rocprim17ROCPRIM_400000_NS6detail17trampoline_kernelINS0_14default_configENS1_27scan_by_key_config_selectorIiiEEZZNS1_16scan_by_key_implILNS1_25lookback_scan_determinismE0ELb1ES3_N6thrust23THRUST_200600_302600_NS10device_ptrIiEESB_SB_iNS9_4plusIvEENS9_8equal_toIvEEiEE10hipError_tPvRmT2_T3_T4_T5_mT6_T7_P12ihipStream_tbENKUlT_T0_E_clISt17integral_constantIbLb1EESV_IbLb0EEEEDaSR_SS_EUlSR_E_NS1_11comp_targetILNS1_3genE9ELNS1_11target_archE1100ELNS1_3gpuE3ELNS1_3repE0EEENS1_30default_config_static_selectorELNS0_4arch9wavefront6targetE0EEEvT1_.numbered_sgpr, 0
	.set _ZN7rocprim17ROCPRIM_400000_NS6detail17trampoline_kernelINS0_14default_configENS1_27scan_by_key_config_selectorIiiEEZZNS1_16scan_by_key_implILNS1_25lookback_scan_determinismE0ELb1ES3_N6thrust23THRUST_200600_302600_NS10device_ptrIiEESB_SB_iNS9_4plusIvEENS9_8equal_toIvEEiEE10hipError_tPvRmT2_T3_T4_T5_mT6_T7_P12ihipStream_tbENKUlT_T0_E_clISt17integral_constantIbLb1EESV_IbLb0EEEEDaSR_SS_EUlSR_E_NS1_11comp_targetILNS1_3genE9ELNS1_11target_archE1100ELNS1_3gpuE3ELNS1_3repE0EEENS1_30default_config_static_selectorELNS0_4arch9wavefront6targetE0EEEvT1_.num_named_barrier, 0
	.set _ZN7rocprim17ROCPRIM_400000_NS6detail17trampoline_kernelINS0_14default_configENS1_27scan_by_key_config_selectorIiiEEZZNS1_16scan_by_key_implILNS1_25lookback_scan_determinismE0ELb1ES3_N6thrust23THRUST_200600_302600_NS10device_ptrIiEESB_SB_iNS9_4plusIvEENS9_8equal_toIvEEiEE10hipError_tPvRmT2_T3_T4_T5_mT6_T7_P12ihipStream_tbENKUlT_T0_E_clISt17integral_constantIbLb1EESV_IbLb0EEEEDaSR_SS_EUlSR_E_NS1_11comp_targetILNS1_3genE9ELNS1_11target_archE1100ELNS1_3gpuE3ELNS1_3repE0EEENS1_30default_config_static_selectorELNS0_4arch9wavefront6targetE0EEEvT1_.private_seg_size, 0
	.set _ZN7rocprim17ROCPRIM_400000_NS6detail17trampoline_kernelINS0_14default_configENS1_27scan_by_key_config_selectorIiiEEZZNS1_16scan_by_key_implILNS1_25lookback_scan_determinismE0ELb1ES3_N6thrust23THRUST_200600_302600_NS10device_ptrIiEESB_SB_iNS9_4plusIvEENS9_8equal_toIvEEiEE10hipError_tPvRmT2_T3_T4_T5_mT6_T7_P12ihipStream_tbENKUlT_T0_E_clISt17integral_constantIbLb1EESV_IbLb0EEEEDaSR_SS_EUlSR_E_NS1_11comp_targetILNS1_3genE9ELNS1_11target_archE1100ELNS1_3gpuE3ELNS1_3repE0EEENS1_30default_config_static_selectorELNS0_4arch9wavefront6targetE0EEEvT1_.uses_vcc, 0
	.set _ZN7rocprim17ROCPRIM_400000_NS6detail17trampoline_kernelINS0_14default_configENS1_27scan_by_key_config_selectorIiiEEZZNS1_16scan_by_key_implILNS1_25lookback_scan_determinismE0ELb1ES3_N6thrust23THRUST_200600_302600_NS10device_ptrIiEESB_SB_iNS9_4plusIvEENS9_8equal_toIvEEiEE10hipError_tPvRmT2_T3_T4_T5_mT6_T7_P12ihipStream_tbENKUlT_T0_E_clISt17integral_constantIbLb1EESV_IbLb0EEEEDaSR_SS_EUlSR_E_NS1_11comp_targetILNS1_3genE9ELNS1_11target_archE1100ELNS1_3gpuE3ELNS1_3repE0EEENS1_30default_config_static_selectorELNS0_4arch9wavefront6targetE0EEEvT1_.uses_flat_scratch, 0
	.set _ZN7rocprim17ROCPRIM_400000_NS6detail17trampoline_kernelINS0_14default_configENS1_27scan_by_key_config_selectorIiiEEZZNS1_16scan_by_key_implILNS1_25lookback_scan_determinismE0ELb1ES3_N6thrust23THRUST_200600_302600_NS10device_ptrIiEESB_SB_iNS9_4plusIvEENS9_8equal_toIvEEiEE10hipError_tPvRmT2_T3_T4_T5_mT6_T7_P12ihipStream_tbENKUlT_T0_E_clISt17integral_constantIbLb1EESV_IbLb0EEEEDaSR_SS_EUlSR_E_NS1_11comp_targetILNS1_3genE9ELNS1_11target_archE1100ELNS1_3gpuE3ELNS1_3repE0EEENS1_30default_config_static_selectorELNS0_4arch9wavefront6targetE0EEEvT1_.has_dyn_sized_stack, 0
	.set _ZN7rocprim17ROCPRIM_400000_NS6detail17trampoline_kernelINS0_14default_configENS1_27scan_by_key_config_selectorIiiEEZZNS1_16scan_by_key_implILNS1_25lookback_scan_determinismE0ELb1ES3_N6thrust23THRUST_200600_302600_NS10device_ptrIiEESB_SB_iNS9_4plusIvEENS9_8equal_toIvEEiEE10hipError_tPvRmT2_T3_T4_T5_mT6_T7_P12ihipStream_tbENKUlT_T0_E_clISt17integral_constantIbLb1EESV_IbLb0EEEEDaSR_SS_EUlSR_E_NS1_11comp_targetILNS1_3genE9ELNS1_11target_archE1100ELNS1_3gpuE3ELNS1_3repE0EEENS1_30default_config_static_selectorELNS0_4arch9wavefront6targetE0EEEvT1_.has_recursion, 0
	.set _ZN7rocprim17ROCPRIM_400000_NS6detail17trampoline_kernelINS0_14default_configENS1_27scan_by_key_config_selectorIiiEEZZNS1_16scan_by_key_implILNS1_25lookback_scan_determinismE0ELb1ES3_N6thrust23THRUST_200600_302600_NS10device_ptrIiEESB_SB_iNS9_4plusIvEENS9_8equal_toIvEEiEE10hipError_tPvRmT2_T3_T4_T5_mT6_T7_P12ihipStream_tbENKUlT_T0_E_clISt17integral_constantIbLb1EESV_IbLb0EEEEDaSR_SS_EUlSR_E_NS1_11comp_targetILNS1_3genE9ELNS1_11target_archE1100ELNS1_3gpuE3ELNS1_3repE0EEENS1_30default_config_static_selectorELNS0_4arch9wavefront6targetE0EEEvT1_.has_indirect_call, 0
	.section	.AMDGPU.csdata,"",@progbits
; Kernel info:
; codeLenInByte = 0
; TotalNumSgprs: 0
; NumVgprs: 0
; ScratchSize: 0
; MemoryBound: 0
; FloatMode: 240
; IeeeMode: 1
; LDSByteSize: 0 bytes/workgroup (compile time only)
; SGPRBlocks: 0
; VGPRBlocks: 0
; NumSGPRsForWavesPerEU: 1
; NumVGPRsForWavesPerEU: 1
; NamedBarCnt: 0
; Occupancy: 16
; WaveLimiterHint : 0
; COMPUTE_PGM_RSRC2:SCRATCH_EN: 0
; COMPUTE_PGM_RSRC2:USER_SGPR: 2
; COMPUTE_PGM_RSRC2:TRAP_HANDLER: 0
; COMPUTE_PGM_RSRC2:TGID_X_EN: 1
; COMPUTE_PGM_RSRC2:TGID_Y_EN: 0
; COMPUTE_PGM_RSRC2:TGID_Z_EN: 0
; COMPUTE_PGM_RSRC2:TIDIG_COMP_CNT: 0
	.section	.text._ZN7rocprim17ROCPRIM_400000_NS6detail17trampoline_kernelINS0_14default_configENS1_27scan_by_key_config_selectorIiiEEZZNS1_16scan_by_key_implILNS1_25lookback_scan_determinismE0ELb1ES3_N6thrust23THRUST_200600_302600_NS10device_ptrIiEESB_SB_iNS9_4plusIvEENS9_8equal_toIvEEiEE10hipError_tPvRmT2_T3_T4_T5_mT6_T7_P12ihipStream_tbENKUlT_T0_E_clISt17integral_constantIbLb1EESV_IbLb0EEEEDaSR_SS_EUlSR_E_NS1_11comp_targetILNS1_3genE8ELNS1_11target_archE1030ELNS1_3gpuE2ELNS1_3repE0EEENS1_30default_config_static_selectorELNS0_4arch9wavefront6targetE0EEEvT1_,"axG",@progbits,_ZN7rocprim17ROCPRIM_400000_NS6detail17trampoline_kernelINS0_14default_configENS1_27scan_by_key_config_selectorIiiEEZZNS1_16scan_by_key_implILNS1_25lookback_scan_determinismE0ELb1ES3_N6thrust23THRUST_200600_302600_NS10device_ptrIiEESB_SB_iNS9_4plusIvEENS9_8equal_toIvEEiEE10hipError_tPvRmT2_T3_T4_T5_mT6_T7_P12ihipStream_tbENKUlT_T0_E_clISt17integral_constantIbLb1EESV_IbLb0EEEEDaSR_SS_EUlSR_E_NS1_11comp_targetILNS1_3genE8ELNS1_11target_archE1030ELNS1_3gpuE2ELNS1_3repE0EEENS1_30default_config_static_selectorELNS0_4arch9wavefront6targetE0EEEvT1_,comdat
	.protected	_ZN7rocprim17ROCPRIM_400000_NS6detail17trampoline_kernelINS0_14default_configENS1_27scan_by_key_config_selectorIiiEEZZNS1_16scan_by_key_implILNS1_25lookback_scan_determinismE0ELb1ES3_N6thrust23THRUST_200600_302600_NS10device_ptrIiEESB_SB_iNS9_4plusIvEENS9_8equal_toIvEEiEE10hipError_tPvRmT2_T3_T4_T5_mT6_T7_P12ihipStream_tbENKUlT_T0_E_clISt17integral_constantIbLb1EESV_IbLb0EEEEDaSR_SS_EUlSR_E_NS1_11comp_targetILNS1_3genE8ELNS1_11target_archE1030ELNS1_3gpuE2ELNS1_3repE0EEENS1_30default_config_static_selectorELNS0_4arch9wavefront6targetE0EEEvT1_ ; -- Begin function _ZN7rocprim17ROCPRIM_400000_NS6detail17trampoline_kernelINS0_14default_configENS1_27scan_by_key_config_selectorIiiEEZZNS1_16scan_by_key_implILNS1_25lookback_scan_determinismE0ELb1ES3_N6thrust23THRUST_200600_302600_NS10device_ptrIiEESB_SB_iNS9_4plusIvEENS9_8equal_toIvEEiEE10hipError_tPvRmT2_T3_T4_T5_mT6_T7_P12ihipStream_tbENKUlT_T0_E_clISt17integral_constantIbLb1EESV_IbLb0EEEEDaSR_SS_EUlSR_E_NS1_11comp_targetILNS1_3genE8ELNS1_11target_archE1030ELNS1_3gpuE2ELNS1_3repE0EEENS1_30default_config_static_selectorELNS0_4arch9wavefront6targetE0EEEvT1_
	.globl	_ZN7rocprim17ROCPRIM_400000_NS6detail17trampoline_kernelINS0_14default_configENS1_27scan_by_key_config_selectorIiiEEZZNS1_16scan_by_key_implILNS1_25lookback_scan_determinismE0ELb1ES3_N6thrust23THRUST_200600_302600_NS10device_ptrIiEESB_SB_iNS9_4plusIvEENS9_8equal_toIvEEiEE10hipError_tPvRmT2_T3_T4_T5_mT6_T7_P12ihipStream_tbENKUlT_T0_E_clISt17integral_constantIbLb1EESV_IbLb0EEEEDaSR_SS_EUlSR_E_NS1_11comp_targetILNS1_3genE8ELNS1_11target_archE1030ELNS1_3gpuE2ELNS1_3repE0EEENS1_30default_config_static_selectorELNS0_4arch9wavefront6targetE0EEEvT1_
	.p2align	8
	.type	_ZN7rocprim17ROCPRIM_400000_NS6detail17trampoline_kernelINS0_14default_configENS1_27scan_by_key_config_selectorIiiEEZZNS1_16scan_by_key_implILNS1_25lookback_scan_determinismE0ELb1ES3_N6thrust23THRUST_200600_302600_NS10device_ptrIiEESB_SB_iNS9_4plusIvEENS9_8equal_toIvEEiEE10hipError_tPvRmT2_T3_T4_T5_mT6_T7_P12ihipStream_tbENKUlT_T0_E_clISt17integral_constantIbLb1EESV_IbLb0EEEEDaSR_SS_EUlSR_E_NS1_11comp_targetILNS1_3genE8ELNS1_11target_archE1030ELNS1_3gpuE2ELNS1_3repE0EEENS1_30default_config_static_selectorELNS0_4arch9wavefront6targetE0EEEvT1_,@function
_ZN7rocprim17ROCPRIM_400000_NS6detail17trampoline_kernelINS0_14default_configENS1_27scan_by_key_config_selectorIiiEEZZNS1_16scan_by_key_implILNS1_25lookback_scan_determinismE0ELb1ES3_N6thrust23THRUST_200600_302600_NS10device_ptrIiEESB_SB_iNS9_4plusIvEENS9_8equal_toIvEEiEE10hipError_tPvRmT2_T3_T4_T5_mT6_T7_P12ihipStream_tbENKUlT_T0_E_clISt17integral_constantIbLb1EESV_IbLb0EEEEDaSR_SS_EUlSR_E_NS1_11comp_targetILNS1_3genE8ELNS1_11target_archE1030ELNS1_3gpuE2ELNS1_3repE0EEENS1_30default_config_static_selectorELNS0_4arch9wavefront6targetE0EEEvT1_: ; @_ZN7rocprim17ROCPRIM_400000_NS6detail17trampoline_kernelINS0_14default_configENS1_27scan_by_key_config_selectorIiiEEZZNS1_16scan_by_key_implILNS1_25lookback_scan_determinismE0ELb1ES3_N6thrust23THRUST_200600_302600_NS10device_ptrIiEESB_SB_iNS9_4plusIvEENS9_8equal_toIvEEiEE10hipError_tPvRmT2_T3_T4_T5_mT6_T7_P12ihipStream_tbENKUlT_T0_E_clISt17integral_constantIbLb1EESV_IbLb0EEEEDaSR_SS_EUlSR_E_NS1_11comp_targetILNS1_3genE8ELNS1_11target_archE1030ELNS1_3gpuE2ELNS1_3repE0EEENS1_30default_config_static_selectorELNS0_4arch9wavefront6targetE0EEEvT1_
; %bb.0:
	.section	.rodata,"a",@progbits
	.p2align	6, 0x0
	.amdhsa_kernel _ZN7rocprim17ROCPRIM_400000_NS6detail17trampoline_kernelINS0_14default_configENS1_27scan_by_key_config_selectorIiiEEZZNS1_16scan_by_key_implILNS1_25lookback_scan_determinismE0ELb1ES3_N6thrust23THRUST_200600_302600_NS10device_ptrIiEESB_SB_iNS9_4plusIvEENS9_8equal_toIvEEiEE10hipError_tPvRmT2_T3_T4_T5_mT6_T7_P12ihipStream_tbENKUlT_T0_E_clISt17integral_constantIbLb1EESV_IbLb0EEEEDaSR_SS_EUlSR_E_NS1_11comp_targetILNS1_3genE8ELNS1_11target_archE1030ELNS1_3gpuE2ELNS1_3repE0EEENS1_30default_config_static_selectorELNS0_4arch9wavefront6targetE0EEEvT1_
		.amdhsa_group_segment_fixed_size 0
		.amdhsa_private_segment_fixed_size 0
		.amdhsa_kernarg_size 112
		.amdhsa_user_sgpr_count 2
		.amdhsa_user_sgpr_dispatch_ptr 0
		.amdhsa_user_sgpr_queue_ptr 0
		.amdhsa_user_sgpr_kernarg_segment_ptr 1
		.amdhsa_user_sgpr_dispatch_id 0
		.amdhsa_user_sgpr_kernarg_preload_length 0
		.amdhsa_user_sgpr_kernarg_preload_offset 0
		.amdhsa_user_sgpr_private_segment_size 0
		.amdhsa_wavefront_size32 1
		.amdhsa_uses_dynamic_stack 0
		.amdhsa_enable_private_segment 0
		.amdhsa_system_sgpr_workgroup_id_x 1
		.amdhsa_system_sgpr_workgroup_id_y 0
		.amdhsa_system_sgpr_workgroup_id_z 0
		.amdhsa_system_sgpr_workgroup_info 0
		.amdhsa_system_vgpr_workitem_id 0
		.amdhsa_next_free_vgpr 1
		.amdhsa_next_free_sgpr 1
		.amdhsa_named_barrier_count 0
		.amdhsa_reserve_vcc 0
		.amdhsa_float_round_mode_32 0
		.amdhsa_float_round_mode_16_64 0
		.amdhsa_float_denorm_mode_32 3
		.amdhsa_float_denorm_mode_16_64 3
		.amdhsa_fp16_overflow 0
		.amdhsa_memory_ordered 1
		.amdhsa_forward_progress 1
		.amdhsa_inst_pref_size 0
		.amdhsa_round_robin_scheduling 0
		.amdhsa_exception_fp_ieee_invalid_op 0
		.amdhsa_exception_fp_denorm_src 0
		.amdhsa_exception_fp_ieee_div_zero 0
		.amdhsa_exception_fp_ieee_overflow 0
		.amdhsa_exception_fp_ieee_underflow 0
		.amdhsa_exception_fp_ieee_inexact 0
		.amdhsa_exception_int_div_zero 0
	.end_amdhsa_kernel
	.section	.text._ZN7rocprim17ROCPRIM_400000_NS6detail17trampoline_kernelINS0_14default_configENS1_27scan_by_key_config_selectorIiiEEZZNS1_16scan_by_key_implILNS1_25lookback_scan_determinismE0ELb1ES3_N6thrust23THRUST_200600_302600_NS10device_ptrIiEESB_SB_iNS9_4plusIvEENS9_8equal_toIvEEiEE10hipError_tPvRmT2_T3_T4_T5_mT6_T7_P12ihipStream_tbENKUlT_T0_E_clISt17integral_constantIbLb1EESV_IbLb0EEEEDaSR_SS_EUlSR_E_NS1_11comp_targetILNS1_3genE8ELNS1_11target_archE1030ELNS1_3gpuE2ELNS1_3repE0EEENS1_30default_config_static_selectorELNS0_4arch9wavefront6targetE0EEEvT1_,"axG",@progbits,_ZN7rocprim17ROCPRIM_400000_NS6detail17trampoline_kernelINS0_14default_configENS1_27scan_by_key_config_selectorIiiEEZZNS1_16scan_by_key_implILNS1_25lookback_scan_determinismE0ELb1ES3_N6thrust23THRUST_200600_302600_NS10device_ptrIiEESB_SB_iNS9_4plusIvEENS9_8equal_toIvEEiEE10hipError_tPvRmT2_T3_T4_T5_mT6_T7_P12ihipStream_tbENKUlT_T0_E_clISt17integral_constantIbLb1EESV_IbLb0EEEEDaSR_SS_EUlSR_E_NS1_11comp_targetILNS1_3genE8ELNS1_11target_archE1030ELNS1_3gpuE2ELNS1_3repE0EEENS1_30default_config_static_selectorELNS0_4arch9wavefront6targetE0EEEvT1_,comdat
.Lfunc_end2259:
	.size	_ZN7rocprim17ROCPRIM_400000_NS6detail17trampoline_kernelINS0_14default_configENS1_27scan_by_key_config_selectorIiiEEZZNS1_16scan_by_key_implILNS1_25lookback_scan_determinismE0ELb1ES3_N6thrust23THRUST_200600_302600_NS10device_ptrIiEESB_SB_iNS9_4plusIvEENS9_8equal_toIvEEiEE10hipError_tPvRmT2_T3_T4_T5_mT6_T7_P12ihipStream_tbENKUlT_T0_E_clISt17integral_constantIbLb1EESV_IbLb0EEEEDaSR_SS_EUlSR_E_NS1_11comp_targetILNS1_3genE8ELNS1_11target_archE1030ELNS1_3gpuE2ELNS1_3repE0EEENS1_30default_config_static_selectorELNS0_4arch9wavefront6targetE0EEEvT1_, .Lfunc_end2259-_ZN7rocprim17ROCPRIM_400000_NS6detail17trampoline_kernelINS0_14default_configENS1_27scan_by_key_config_selectorIiiEEZZNS1_16scan_by_key_implILNS1_25lookback_scan_determinismE0ELb1ES3_N6thrust23THRUST_200600_302600_NS10device_ptrIiEESB_SB_iNS9_4plusIvEENS9_8equal_toIvEEiEE10hipError_tPvRmT2_T3_T4_T5_mT6_T7_P12ihipStream_tbENKUlT_T0_E_clISt17integral_constantIbLb1EESV_IbLb0EEEEDaSR_SS_EUlSR_E_NS1_11comp_targetILNS1_3genE8ELNS1_11target_archE1030ELNS1_3gpuE2ELNS1_3repE0EEENS1_30default_config_static_selectorELNS0_4arch9wavefront6targetE0EEEvT1_
                                        ; -- End function
	.set _ZN7rocprim17ROCPRIM_400000_NS6detail17trampoline_kernelINS0_14default_configENS1_27scan_by_key_config_selectorIiiEEZZNS1_16scan_by_key_implILNS1_25lookback_scan_determinismE0ELb1ES3_N6thrust23THRUST_200600_302600_NS10device_ptrIiEESB_SB_iNS9_4plusIvEENS9_8equal_toIvEEiEE10hipError_tPvRmT2_T3_T4_T5_mT6_T7_P12ihipStream_tbENKUlT_T0_E_clISt17integral_constantIbLb1EESV_IbLb0EEEEDaSR_SS_EUlSR_E_NS1_11comp_targetILNS1_3genE8ELNS1_11target_archE1030ELNS1_3gpuE2ELNS1_3repE0EEENS1_30default_config_static_selectorELNS0_4arch9wavefront6targetE0EEEvT1_.num_vgpr, 0
	.set _ZN7rocprim17ROCPRIM_400000_NS6detail17trampoline_kernelINS0_14default_configENS1_27scan_by_key_config_selectorIiiEEZZNS1_16scan_by_key_implILNS1_25lookback_scan_determinismE0ELb1ES3_N6thrust23THRUST_200600_302600_NS10device_ptrIiEESB_SB_iNS9_4plusIvEENS9_8equal_toIvEEiEE10hipError_tPvRmT2_T3_T4_T5_mT6_T7_P12ihipStream_tbENKUlT_T0_E_clISt17integral_constantIbLb1EESV_IbLb0EEEEDaSR_SS_EUlSR_E_NS1_11comp_targetILNS1_3genE8ELNS1_11target_archE1030ELNS1_3gpuE2ELNS1_3repE0EEENS1_30default_config_static_selectorELNS0_4arch9wavefront6targetE0EEEvT1_.num_agpr, 0
	.set _ZN7rocprim17ROCPRIM_400000_NS6detail17trampoline_kernelINS0_14default_configENS1_27scan_by_key_config_selectorIiiEEZZNS1_16scan_by_key_implILNS1_25lookback_scan_determinismE0ELb1ES3_N6thrust23THRUST_200600_302600_NS10device_ptrIiEESB_SB_iNS9_4plusIvEENS9_8equal_toIvEEiEE10hipError_tPvRmT2_T3_T4_T5_mT6_T7_P12ihipStream_tbENKUlT_T0_E_clISt17integral_constantIbLb1EESV_IbLb0EEEEDaSR_SS_EUlSR_E_NS1_11comp_targetILNS1_3genE8ELNS1_11target_archE1030ELNS1_3gpuE2ELNS1_3repE0EEENS1_30default_config_static_selectorELNS0_4arch9wavefront6targetE0EEEvT1_.numbered_sgpr, 0
	.set _ZN7rocprim17ROCPRIM_400000_NS6detail17trampoline_kernelINS0_14default_configENS1_27scan_by_key_config_selectorIiiEEZZNS1_16scan_by_key_implILNS1_25lookback_scan_determinismE0ELb1ES3_N6thrust23THRUST_200600_302600_NS10device_ptrIiEESB_SB_iNS9_4plusIvEENS9_8equal_toIvEEiEE10hipError_tPvRmT2_T3_T4_T5_mT6_T7_P12ihipStream_tbENKUlT_T0_E_clISt17integral_constantIbLb1EESV_IbLb0EEEEDaSR_SS_EUlSR_E_NS1_11comp_targetILNS1_3genE8ELNS1_11target_archE1030ELNS1_3gpuE2ELNS1_3repE0EEENS1_30default_config_static_selectorELNS0_4arch9wavefront6targetE0EEEvT1_.num_named_barrier, 0
	.set _ZN7rocprim17ROCPRIM_400000_NS6detail17trampoline_kernelINS0_14default_configENS1_27scan_by_key_config_selectorIiiEEZZNS1_16scan_by_key_implILNS1_25lookback_scan_determinismE0ELb1ES3_N6thrust23THRUST_200600_302600_NS10device_ptrIiEESB_SB_iNS9_4plusIvEENS9_8equal_toIvEEiEE10hipError_tPvRmT2_T3_T4_T5_mT6_T7_P12ihipStream_tbENKUlT_T0_E_clISt17integral_constantIbLb1EESV_IbLb0EEEEDaSR_SS_EUlSR_E_NS1_11comp_targetILNS1_3genE8ELNS1_11target_archE1030ELNS1_3gpuE2ELNS1_3repE0EEENS1_30default_config_static_selectorELNS0_4arch9wavefront6targetE0EEEvT1_.private_seg_size, 0
	.set _ZN7rocprim17ROCPRIM_400000_NS6detail17trampoline_kernelINS0_14default_configENS1_27scan_by_key_config_selectorIiiEEZZNS1_16scan_by_key_implILNS1_25lookback_scan_determinismE0ELb1ES3_N6thrust23THRUST_200600_302600_NS10device_ptrIiEESB_SB_iNS9_4plusIvEENS9_8equal_toIvEEiEE10hipError_tPvRmT2_T3_T4_T5_mT6_T7_P12ihipStream_tbENKUlT_T0_E_clISt17integral_constantIbLb1EESV_IbLb0EEEEDaSR_SS_EUlSR_E_NS1_11comp_targetILNS1_3genE8ELNS1_11target_archE1030ELNS1_3gpuE2ELNS1_3repE0EEENS1_30default_config_static_selectorELNS0_4arch9wavefront6targetE0EEEvT1_.uses_vcc, 0
	.set _ZN7rocprim17ROCPRIM_400000_NS6detail17trampoline_kernelINS0_14default_configENS1_27scan_by_key_config_selectorIiiEEZZNS1_16scan_by_key_implILNS1_25lookback_scan_determinismE0ELb1ES3_N6thrust23THRUST_200600_302600_NS10device_ptrIiEESB_SB_iNS9_4plusIvEENS9_8equal_toIvEEiEE10hipError_tPvRmT2_T3_T4_T5_mT6_T7_P12ihipStream_tbENKUlT_T0_E_clISt17integral_constantIbLb1EESV_IbLb0EEEEDaSR_SS_EUlSR_E_NS1_11comp_targetILNS1_3genE8ELNS1_11target_archE1030ELNS1_3gpuE2ELNS1_3repE0EEENS1_30default_config_static_selectorELNS0_4arch9wavefront6targetE0EEEvT1_.uses_flat_scratch, 0
	.set _ZN7rocprim17ROCPRIM_400000_NS6detail17trampoline_kernelINS0_14default_configENS1_27scan_by_key_config_selectorIiiEEZZNS1_16scan_by_key_implILNS1_25lookback_scan_determinismE0ELb1ES3_N6thrust23THRUST_200600_302600_NS10device_ptrIiEESB_SB_iNS9_4plusIvEENS9_8equal_toIvEEiEE10hipError_tPvRmT2_T3_T4_T5_mT6_T7_P12ihipStream_tbENKUlT_T0_E_clISt17integral_constantIbLb1EESV_IbLb0EEEEDaSR_SS_EUlSR_E_NS1_11comp_targetILNS1_3genE8ELNS1_11target_archE1030ELNS1_3gpuE2ELNS1_3repE0EEENS1_30default_config_static_selectorELNS0_4arch9wavefront6targetE0EEEvT1_.has_dyn_sized_stack, 0
	.set _ZN7rocprim17ROCPRIM_400000_NS6detail17trampoline_kernelINS0_14default_configENS1_27scan_by_key_config_selectorIiiEEZZNS1_16scan_by_key_implILNS1_25lookback_scan_determinismE0ELb1ES3_N6thrust23THRUST_200600_302600_NS10device_ptrIiEESB_SB_iNS9_4plusIvEENS9_8equal_toIvEEiEE10hipError_tPvRmT2_T3_T4_T5_mT6_T7_P12ihipStream_tbENKUlT_T0_E_clISt17integral_constantIbLb1EESV_IbLb0EEEEDaSR_SS_EUlSR_E_NS1_11comp_targetILNS1_3genE8ELNS1_11target_archE1030ELNS1_3gpuE2ELNS1_3repE0EEENS1_30default_config_static_selectorELNS0_4arch9wavefront6targetE0EEEvT1_.has_recursion, 0
	.set _ZN7rocprim17ROCPRIM_400000_NS6detail17trampoline_kernelINS0_14default_configENS1_27scan_by_key_config_selectorIiiEEZZNS1_16scan_by_key_implILNS1_25lookback_scan_determinismE0ELb1ES3_N6thrust23THRUST_200600_302600_NS10device_ptrIiEESB_SB_iNS9_4plusIvEENS9_8equal_toIvEEiEE10hipError_tPvRmT2_T3_T4_T5_mT6_T7_P12ihipStream_tbENKUlT_T0_E_clISt17integral_constantIbLb1EESV_IbLb0EEEEDaSR_SS_EUlSR_E_NS1_11comp_targetILNS1_3genE8ELNS1_11target_archE1030ELNS1_3gpuE2ELNS1_3repE0EEENS1_30default_config_static_selectorELNS0_4arch9wavefront6targetE0EEEvT1_.has_indirect_call, 0
	.section	.AMDGPU.csdata,"",@progbits
; Kernel info:
; codeLenInByte = 0
; TotalNumSgprs: 0
; NumVgprs: 0
; ScratchSize: 0
; MemoryBound: 0
; FloatMode: 240
; IeeeMode: 1
; LDSByteSize: 0 bytes/workgroup (compile time only)
; SGPRBlocks: 0
; VGPRBlocks: 0
; NumSGPRsForWavesPerEU: 1
; NumVGPRsForWavesPerEU: 1
; NamedBarCnt: 0
; Occupancy: 16
; WaveLimiterHint : 0
; COMPUTE_PGM_RSRC2:SCRATCH_EN: 0
; COMPUTE_PGM_RSRC2:USER_SGPR: 2
; COMPUTE_PGM_RSRC2:TRAP_HANDLER: 0
; COMPUTE_PGM_RSRC2:TGID_X_EN: 1
; COMPUTE_PGM_RSRC2:TGID_Y_EN: 0
; COMPUTE_PGM_RSRC2:TGID_Z_EN: 0
; COMPUTE_PGM_RSRC2:TIDIG_COMP_CNT: 0
	.section	.text._ZN7rocprim17ROCPRIM_400000_NS6detail17trampoline_kernelINS0_14default_configENS1_27scan_by_key_config_selectorIiiEEZZNS1_16scan_by_key_implILNS1_25lookback_scan_determinismE0ELb1ES3_N6thrust23THRUST_200600_302600_NS10device_ptrIiEESB_SB_iNS9_4plusIvEENS9_8equal_toIvEEiEE10hipError_tPvRmT2_T3_T4_T5_mT6_T7_P12ihipStream_tbENKUlT_T0_E_clISt17integral_constantIbLb0EESV_IbLb1EEEEDaSR_SS_EUlSR_E_NS1_11comp_targetILNS1_3genE0ELNS1_11target_archE4294967295ELNS1_3gpuE0ELNS1_3repE0EEENS1_30default_config_static_selectorELNS0_4arch9wavefront6targetE0EEEvT1_,"axG",@progbits,_ZN7rocprim17ROCPRIM_400000_NS6detail17trampoline_kernelINS0_14default_configENS1_27scan_by_key_config_selectorIiiEEZZNS1_16scan_by_key_implILNS1_25lookback_scan_determinismE0ELb1ES3_N6thrust23THRUST_200600_302600_NS10device_ptrIiEESB_SB_iNS9_4plusIvEENS9_8equal_toIvEEiEE10hipError_tPvRmT2_T3_T4_T5_mT6_T7_P12ihipStream_tbENKUlT_T0_E_clISt17integral_constantIbLb0EESV_IbLb1EEEEDaSR_SS_EUlSR_E_NS1_11comp_targetILNS1_3genE0ELNS1_11target_archE4294967295ELNS1_3gpuE0ELNS1_3repE0EEENS1_30default_config_static_selectorELNS0_4arch9wavefront6targetE0EEEvT1_,comdat
	.protected	_ZN7rocprim17ROCPRIM_400000_NS6detail17trampoline_kernelINS0_14default_configENS1_27scan_by_key_config_selectorIiiEEZZNS1_16scan_by_key_implILNS1_25lookback_scan_determinismE0ELb1ES3_N6thrust23THRUST_200600_302600_NS10device_ptrIiEESB_SB_iNS9_4plusIvEENS9_8equal_toIvEEiEE10hipError_tPvRmT2_T3_T4_T5_mT6_T7_P12ihipStream_tbENKUlT_T0_E_clISt17integral_constantIbLb0EESV_IbLb1EEEEDaSR_SS_EUlSR_E_NS1_11comp_targetILNS1_3genE0ELNS1_11target_archE4294967295ELNS1_3gpuE0ELNS1_3repE0EEENS1_30default_config_static_selectorELNS0_4arch9wavefront6targetE0EEEvT1_ ; -- Begin function _ZN7rocprim17ROCPRIM_400000_NS6detail17trampoline_kernelINS0_14default_configENS1_27scan_by_key_config_selectorIiiEEZZNS1_16scan_by_key_implILNS1_25lookback_scan_determinismE0ELb1ES3_N6thrust23THRUST_200600_302600_NS10device_ptrIiEESB_SB_iNS9_4plusIvEENS9_8equal_toIvEEiEE10hipError_tPvRmT2_T3_T4_T5_mT6_T7_P12ihipStream_tbENKUlT_T0_E_clISt17integral_constantIbLb0EESV_IbLb1EEEEDaSR_SS_EUlSR_E_NS1_11comp_targetILNS1_3genE0ELNS1_11target_archE4294967295ELNS1_3gpuE0ELNS1_3repE0EEENS1_30default_config_static_selectorELNS0_4arch9wavefront6targetE0EEEvT1_
	.globl	_ZN7rocprim17ROCPRIM_400000_NS6detail17trampoline_kernelINS0_14default_configENS1_27scan_by_key_config_selectorIiiEEZZNS1_16scan_by_key_implILNS1_25lookback_scan_determinismE0ELb1ES3_N6thrust23THRUST_200600_302600_NS10device_ptrIiEESB_SB_iNS9_4plusIvEENS9_8equal_toIvEEiEE10hipError_tPvRmT2_T3_T4_T5_mT6_T7_P12ihipStream_tbENKUlT_T0_E_clISt17integral_constantIbLb0EESV_IbLb1EEEEDaSR_SS_EUlSR_E_NS1_11comp_targetILNS1_3genE0ELNS1_11target_archE4294967295ELNS1_3gpuE0ELNS1_3repE0EEENS1_30default_config_static_selectorELNS0_4arch9wavefront6targetE0EEEvT1_
	.p2align	8
	.type	_ZN7rocprim17ROCPRIM_400000_NS6detail17trampoline_kernelINS0_14default_configENS1_27scan_by_key_config_selectorIiiEEZZNS1_16scan_by_key_implILNS1_25lookback_scan_determinismE0ELb1ES3_N6thrust23THRUST_200600_302600_NS10device_ptrIiEESB_SB_iNS9_4plusIvEENS9_8equal_toIvEEiEE10hipError_tPvRmT2_T3_T4_T5_mT6_T7_P12ihipStream_tbENKUlT_T0_E_clISt17integral_constantIbLb0EESV_IbLb1EEEEDaSR_SS_EUlSR_E_NS1_11comp_targetILNS1_3genE0ELNS1_11target_archE4294967295ELNS1_3gpuE0ELNS1_3repE0EEENS1_30default_config_static_selectorELNS0_4arch9wavefront6targetE0EEEvT1_,@function
_ZN7rocprim17ROCPRIM_400000_NS6detail17trampoline_kernelINS0_14default_configENS1_27scan_by_key_config_selectorIiiEEZZNS1_16scan_by_key_implILNS1_25lookback_scan_determinismE0ELb1ES3_N6thrust23THRUST_200600_302600_NS10device_ptrIiEESB_SB_iNS9_4plusIvEENS9_8equal_toIvEEiEE10hipError_tPvRmT2_T3_T4_T5_mT6_T7_P12ihipStream_tbENKUlT_T0_E_clISt17integral_constantIbLb0EESV_IbLb1EEEEDaSR_SS_EUlSR_E_NS1_11comp_targetILNS1_3genE0ELNS1_11target_archE4294967295ELNS1_3gpuE0ELNS1_3repE0EEENS1_30default_config_static_selectorELNS0_4arch9wavefront6targetE0EEEvT1_: ; @_ZN7rocprim17ROCPRIM_400000_NS6detail17trampoline_kernelINS0_14default_configENS1_27scan_by_key_config_selectorIiiEEZZNS1_16scan_by_key_implILNS1_25lookback_scan_determinismE0ELb1ES3_N6thrust23THRUST_200600_302600_NS10device_ptrIiEESB_SB_iNS9_4plusIvEENS9_8equal_toIvEEiEE10hipError_tPvRmT2_T3_T4_T5_mT6_T7_P12ihipStream_tbENKUlT_T0_E_clISt17integral_constantIbLb0EESV_IbLb1EEEEDaSR_SS_EUlSR_E_NS1_11comp_targetILNS1_3genE0ELNS1_11target_archE4294967295ELNS1_3gpuE0ELNS1_3repE0EEENS1_30default_config_static_selectorELNS0_4arch9wavefront6targetE0EEEvT1_
; %bb.0:
	s_clause 0x2
	s_load_b32 s33, s[0:1], 0x20
	s_load_b128 s[20:23], s[0:1], 0x28
	s_load_b64 s[30:31], s[0:1], 0x38
	v_cmp_ne_u32_e64 s3, 0, v0
	v_cmp_eq_u32_e64 s2, 0, v0
	s_and_saveexec_b32 s4, s2
	s_cbranch_execz .LBB2260_4
; %bb.1:
	s_mov_b32 s6, exec_lo
	s_mov_b32 s5, exec_lo
	v_mbcnt_lo_u32_b32 v1, s6, 0
                                        ; implicit-def: $vgpr2
	s_delay_alu instid0(VALU_DEP_1)
	v_cmpx_eq_u32_e32 0, v1
	s_cbranch_execz .LBB2260_3
; %bb.2:
	s_load_b64 s[8:9], s[0:1], 0x68
	s_bcnt1_i32_b32 s6, s6
	s_delay_alu instid0(SALU_CYCLE_1)
	v_dual_mov_b32 v2, 0 :: v_dual_mov_b32 v3, s6
	s_wait_xcnt 0x0
	s_wait_kmcnt 0x0
	global_atomic_add_u32 v2, v2, v3, s[8:9] th:TH_ATOMIC_RETURN scope:SCOPE_DEV
.LBB2260_3:
	s_wait_xcnt 0x0
	s_or_b32 exec_lo, exec_lo, s5
	s_wait_loadcnt 0x0
	v_readfirstlane_b32 s5, v2
	s_delay_alu instid0(VALU_DEP_1)
	v_dual_mov_b32 v2, 0 :: v_dual_add_nc_u32 v1, s5, v1
	ds_store_b32 v2, v1
.LBB2260_4:
	s_or_b32 exec_lo, exec_lo, s4
	v_mov_b32_e32 v3, 0
	s_clause 0x2
	s_load_b256 s[12:19], s[0:1], 0x0
	s_load_b32 s4, s[0:1], 0x40
	s_load_b128 s[24:27], s[0:1], 0x48
	s_wait_dscnt 0x0
	s_barrier_signal -1
	s_barrier_wait -1
	ds_load_b32 v2, v3
	s_mov_b32 s5, 0
	s_wait_dscnt 0x0
	s_barrier_signal -1
	s_barrier_wait -1
	s_barrier_signal -1
	s_barrier_wait -1
	s_wait_kmcnt 0x0
	s_lshl_b64 s[28:29], s[14:15], 2
	s_mul_u64 s[0:1], s[30:31], s[4:5]
	s_add_nc_u64 s[10:11], s[24:25], -1
	s_add_nc_u64 s[6:7], s[12:13], s[28:29]
	s_add_nc_u64 s[8:9], s[16:17], s[28:29]
	s_mul_i32 s23, s10, 0xfffff400
	v_add_nc_u64_e32 v[4:5], s[0:1], v[2:3]
	v_readfirstlane_b32 s36, v2
	s_mul_i32 s4, s36, 0xc00
	v_cmp_le_u64_e64 s0, s[10:11], v[4:5]
	s_lshl_b64 s[16:17], s[4:5], 2
	s_delay_alu instid0(SALU_CYCLE_1)
	s_add_nc_u64 s[34:35], s[6:7], s[16:17]
	s_add_nc_u64 s[24:25], s[8:9], s[16:17]
	s_and_b32 vcc_lo, exec_lo, s0
	s_cbranch_vccz .LBB2260_70
; %bb.5:
	flat_load_b32 v1, v3, s[34:35]
	s_add_co_i32 s15, s23, s22
	s_delay_alu instid0(SALU_CYCLE_1)
	v_cmp_gt_u32_e32 vcc_lo, s15, v0
	s_wait_loadcnt_dscnt 0x0
	v_mov_b32_e32 v2, v1
	s_and_saveexec_b32 s1, vcc_lo
	s_cbranch_execz .LBB2260_7
; %bb.6:
	flat_load_b32 v2, v0, s[34:35] scale_offset
.LBB2260_7:
	s_wait_xcnt 0x0
	s_or_b32 exec_lo, exec_lo, s1
	v_or_b32_e32 v3, 0x100, v0
	s_delay_alu instid0(VALU_DEP_1)
	v_cmp_gt_u32_e64 s1, s15, v3
	v_mov_b32_e32 v3, v1
	s_and_saveexec_b32 s4, s1
	s_cbranch_execz .LBB2260_9
; %bb.8:
	flat_load_b32 v3, v0, s[34:35] offset:1024 scale_offset
.LBB2260_9:
	s_wait_xcnt 0x0
	s_or_b32 exec_lo, exec_lo, s4
	v_or_b32_e32 v4, 0x200, v0
	s_delay_alu instid0(VALU_DEP_1)
	v_cmp_gt_u32_e64 s4, s15, v4
	v_mov_b32_e32 v4, v1
	s_and_saveexec_b32 s5, s4
	s_cbranch_execz .LBB2260_11
; %bb.10:
	flat_load_b32 v4, v0, s[34:35] offset:2048 scale_offset
.LBB2260_11:
	s_wait_xcnt 0x0
	s_or_b32 exec_lo, exec_lo, s5
	v_or_b32_e32 v5, 0x300, v0
	s_delay_alu instid0(VALU_DEP_1)
	v_cmp_gt_u32_e64 s5, s15, v5
	v_mov_b32_e32 v5, v1
	s_and_saveexec_b32 s6, s5
	s_cbranch_execz .LBB2260_13
; %bb.12:
	flat_load_b32 v5, v0, s[34:35] offset:3072 scale_offset
.LBB2260_13:
	s_wait_xcnt 0x0
	s_or_b32 exec_lo, exec_lo, s6
	v_or_b32_e32 v6, 0x400, v0
	s_delay_alu instid0(VALU_DEP_1)
	v_cmp_gt_u32_e64 s6, s15, v6
	v_mov_b32_e32 v6, v1
	s_and_saveexec_b32 s7, s6
	s_cbranch_execz .LBB2260_15
; %bb.14:
	flat_load_b32 v6, v0, s[34:35] offset:4096 scale_offset
.LBB2260_15:
	s_wait_xcnt 0x0
	s_or_b32 exec_lo, exec_lo, s7
	v_or_b32_e32 v7, 0x500, v0
	s_delay_alu instid0(VALU_DEP_1)
	v_cmp_gt_u32_e64 s7, s15, v7
	v_mov_b32_e32 v7, v1
	s_and_saveexec_b32 s8, s7
	s_cbranch_execz .LBB2260_17
; %bb.16:
	flat_load_b32 v7, v0, s[34:35] offset:5120 scale_offset
.LBB2260_17:
	s_wait_xcnt 0x0
	s_or_b32 exec_lo, exec_lo, s8
	v_or_b32_e32 v8, 0x600, v0
	s_delay_alu instid0(VALU_DEP_1)
	v_cmp_gt_u32_e64 s8, s15, v8
	v_mov_b32_e32 v8, v1
	s_and_saveexec_b32 s9, s8
	s_cbranch_execz .LBB2260_19
; %bb.18:
	flat_load_b32 v8, v0, s[34:35] offset:6144 scale_offset
.LBB2260_19:
	s_wait_xcnt 0x0
	s_or_b32 exec_lo, exec_lo, s9
	v_or_b32_e32 v9, 0x700, v0
	s_delay_alu instid0(VALU_DEP_1)
	v_cmp_gt_u32_e64 s9, s15, v9
	v_mov_b32_e32 v9, v1
	s_and_saveexec_b32 s10, s9
	s_cbranch_execz .LBB2260_21
; %bb.20:
	flat_load_b32 v9, v0, s[34:35] offset:7168 scale_offset
.LBB2260_21:
	s_wait_xcnt 0x0
	s_or_b32 exec_lo, exec_lo, s10
	v_or_b32_e32 v10, 0x800, v0
	s_delay_alu instid0(VALU_DEP_1)
	v_cmp_gt_u32_e64 s10, s15, v10
	v_mov_b32_e32 v10, v1
	s_and_saveexec_b32 s11, s10
	s_cbranch_execz .LBB2260_23
; %bb.22:
	flat_load_b32 v10, v0, s[34:35] offset:8192 scale_offset
.LBB2260_23:
	s_wait_xcnt 0x0
	s_or_b32 exec_lo, exec_lo, s11
	v_or_b32_e32 v11, 0x900, v0
	s_delay_alu instid0(VALU_DEP_1)
	v_cmp_gt_u32_e64 s11, s15, v11
	v_mov_b32_e32 v11, v1
	s_and_saveexec_b32 s12, s11
	s_cbranch_execz .LBB2260_25
; %bb.24:
	flat_load_b32 v11, v0, s[34:35] offset:9216 scale_offset
.LBB2260_25:
	s_wait_xcnt 0x0
	s_or_b32 exec_lo, exec_lo, s12
	v_or_b32_e32 v12, 0xa00, v0
	s_delay_alu instid0(VALU_DEP_1)
	v_cmp_gt_u32_e64 s12, s15, v12
	v_mov_b32_e32 v12, v1
	s_and_saveexec_b32 s13, s12
	s_cbranch_execz .LBB2260_27
; %bb.26:
	flat_load_b32 v12, v0, s[34:35] offset:10240 scale_offset
.LBB2260_27:
	s_wait_xcnt 0x0
	s_or_b32 exec_lo, exec_lo, s13
	v_or_b32_e32 v13, 0xb00, v0
	s_delay_alu instid0(VALU_DEP_1) | instskip(SKIP_2) | instid1(SALU_CYCLE_1)
	v_cmp_gt_u32_e64 s13, s15, v13
	v_cmp_le_u32_e64 s14, s15, v13
	s_and_saveexec_b32 s37, s14
	s_xor_b32 s14, exec_lo, s37
	s_delay_alu instid0(SALU_CYCLE_1)
	s_and_not1_saveexec_b32 s14, s14
	s_cbranch_execz .LBB2260_29
; %bb.28:
	flat_load_b32 v1, v0, s[34:35] offset:11264 scale_offset
.LBB2260_29:
	s_wait_xcnt 0x0
	s_or_b32 exec_lo, exec_lo, s14
	v_lshlrev_b32_e32 v14, 2, v0
	s_mov_b32 s37, exec_lo
	s_wait_loadcnt_dscnt 0x0
	ds_store_2addr_stride64_b32 v14, v2, v3 offset1:4
	ds_store_2addr_stride64_b32 v14, v4, v5 offset0:8 offset1:12
	ds_store_2addr_stride64_b32 v14, v6, v7 offset0:16 offset1:20
	;; [unrolled: 1-line block ×5, first 2 shown]
	v_mov_b32_e32 v1, 0
	s_wait_dscnt 0x0
	s_barrier_signal -1
	s_barrier_wait -1
	flat_load_b32 v38, v1, s[34:35]
	s_wait_xcnt 0x0
	v_mad_u32_u24 v1, v0, 44, v14
	ds_load_b128 v[10:13], v1
	ds_load_b128 v[6:9], v1 offset:16
	ds_load_b128 v[2:5], v1 offset:32
	v_mad_i32_i24 v15, 0xffffffd4, v0, v1
	s_wait_dscnt 0x2
	ds_store_b32 v15, v10 offset:13312
	s_wait_loadcnt_dscnt 0x0
	s_barrier_signal -1
	s_barrier_wait -1
	v_cmpx_ne_u32_e32 0xff, v0
; %bb.30:
	v_mul_i32_i24_e32 v15, 0xffffffd4, v0
	s_delay_alu instid0(VALU_DEP_1)
	v_add_nc_u32_e32 v15, v1, v15
	ds_load_b32 v38, v15 offset:13316
; %bb.31:
	s_or_b32 exec_lo, exec_lo, s37
	s_wait_dscnt 0x0
	s_barrier_signal -1
	s_barrier_wait -1
                                        ; implicit-def: $vgpr15
	s_and_saveexec_b32 s14, vcc_lo
	s_cbranch_execz .LBB2260_106
; %bb.32:
	flat_load_b32 v15, v0, s[24:25] scale_offset
	s_wait_xcnt 0x0
	s_or_b32 exec_lo, exec_lo, s14
                                        ; implicit-def: $vgpr16
	s_and_saveexec_b32 s14, s1
	s_cbranch_execnz .LBB2260_107
.LBB2260_33:
	s_or_b32 exec_lo, exec_lo, s14
                                        ; implicit-def: $vgpr17
	s_and_saveexec_b32 s1, s4
	s_cbranch_execz .LBB2260_108
.LBB2260_34:
	flat_load_b32 v17, v0, s[24:25] offset:2048 scale_offset
	s_wait_xcnt 0x0
	s_or_b32 exec_lo, exec_lo, s1
                                        ; implicit-def: $vgpr18
	s_and_saveexec_b32 s1, s5
	s_cbranch_execnz .LBB2260_109
.LBB2260_35:
	s_or_b32 exec_lo, exec_lo, s1
                                        ; implicit-def: $vgpr19
	s_and_saveexec_b32 s1, s6
	s_cbranch_execz .LBB2260_110
.LBB2260_36:
	flat_load_b32 v19, v0, s[24:25] offset:4096 scale_offset
	s_wait_xcnt 0x0
	s_or_b32 exec_lo, exec_lo, s1
                                        ; implicit-def: $vgpr20
	s_and_saveexec_b32 s1, s7
	s_cbranch_execnz .LBB2260_111
.LBB2260_37:
	s_or_b32 exec_lo, exec_lo, s1
                                        ; implicit-def: $vgpr21
	s_and_saveexec_b32 s1, s8
	s_cbranch_execz .LBB2260_112
.LBB2260_38:
	flat_load_b32 v21, v0, s[24:25] offset:6144 scale_offset
	s_wait_xcnt 0x0
	s_or_b32 exec_lo, exec_lo, s1
                                        ; implicit-def: $vgpr22
	s_and_saveexec_b32 s1, s9
	s_cbranch_execnz .LBB2260_113
.LBB2260_39:
	s_or_b32 exec_lo, exec_lo, s1
                                        ; implicit-def: $vgpr23
	s_and_saveexec_b32 s1, s10
	s_cbranch_execz .LBB2260_114
.LBB2260_40:
	flat_load_b32 v23, v0, s[24:25] offset:8192 scale_offset
	s_wait_xcnt 0x0
	s_or_b32 exec_lo, exec_lo, s1
                                        ; implicit-def: $vgpr24
	s_and_saveexec_b32 s1, s11
	s_cbranch_execnz .LBB2260_115
.LBB2260_41:
	s_or_b32 exec_lo, exec_lo, s1
                                        ; implicit-def: $vgpr25
	s_and_saveexec_b32 s1, s12
	s_cbranch_execz .LBB2260_43
.LBB2260_42:
	flat_load_b32 v25, v0, s[24:25] offset:10240 scale_offset
.LBB2260_43:
	s_wait_xcnt 0x0
	s_or_b32 exec_lo, exec_lo, s1
	v_mul_u32_u24_e32 v39, 12, v0
                                        ; implicit-def: $vgpr26
	s_and_saveexec_b32 s1, s13
	s_cbranch_execz .LBB2260_45
; %bb.44:
	flat_load_b32 v26, v0, s[24:25] offset:11264 scale_offset
.LBB2260_45:
	s_wait_xcnt 0x0
	s_or_b32 exec_lo, exec_lo, s1
	s_wait_loadcnt_dscnt 0x0
	ds_store_2addr_stride64_b32 v14, v15, v16 offset1:4
	ds_store_2addr_stride64_b32 v14, v17, v18 offset0:8 offset1:12
	ds_store_2addr_stride64_b32 v14, v19, v20 offset0:16 offset1:20
	;; [unrolled: 1-line block ×5, first 2 shown]
	v_mov_b64_e32 v[14:15], 0
	v_mov_b64_e32 v[42:43], 0
	;; [unrolled: 1-line block ×21, first 2 shown]
	s_mov_b32 s1, 0
	s_mov_b32 s5, 0
	s_mov_b32 s4, exec_lo
	s_wait_dscnt 0x0
	s_barrier_signal -1
	s_barrier_wait -1
                                        ; implicit-def: $sgpr6
                                        ; implicit-def: $vgpr60
	v_cmpx_gt_u32_e64 s15, v39
	s_cbranch_execz .LBB2260_69
; %bb.46:
	ds_load_b32 v14, v1
	v_cmp_eq_u32_e32 vcc_lo, v10, v11
	v_or_b32_e32 v16, 1, v39
	v_mov_b64_e32 v[42:43], 0
	v_mov_b64_e32 v[40:41], 0
	;; [unrolled: 1-line block ×17, first 2 shown]
	s_wait_dscnt 0x0
	v_cndmask_b32_e32 v14, s33, v14, vcc_lo
	v_cmp_ne_u32_e32 vcc_lo, v10, v11
	v_mov_b64_e32 v[20:21], 0
	v_mov_b64_e32 v[18:19], 0
	s_mov_b32 s7, 0
	s_mov_b32 s5, exec_lo
	v_cndmask_b32_e64 v15, 0, 1, vcc_lo
                                        ; implicit-def: $sgpr6
                                        ; implicit-def: $vgpr60
	v_cmpx_gt_u32_e64 s15, v16
	s_cbranch_execz .LBB2260_68
; %bb.47:
	ds_load_2addr_b32 v[16:17], v1 offset0:1 offset1:2
	v_cmp_eq_u32_e32 vcc_lo, v11, v12
	v_or_b32_e32 v10, 2, v39
	v_mov_b64_e32 v[40:41], 0
	v_mov_b64_e32 v[44:45], 0
	;; [unrolled: 1-line block ×17, first 2 shown]
	s_wait_dscnt 0x0
	v_cndmask_b32_e32 v42, s33, v16, vcc_lo
	v_cmp_ne_u32_e32 vcc_lo, v11, v12
	s_mov_b32 s8, 0
	s_mov_b32 s7, exec_lo
                                        ; implicit-def: $sgpr6
                                        ; implicit-def: $vgpr60
	v_cndmask_b32_e64 v43, 0, 1, vcc_lo
	v_cmpx_gt_u32_e64 s15, v10
	s_cbranch_execz .LBB2260_67
; %bb.48:
	v_cmp_eq_u32_e32 vcc_lo, v12, v13
	v_mov_b64_e32 v[44:45], 0
	v_mov_b64_e32 v[46:47], 0
	;; [unrolled: 1-line block ×4, first 2 shown]
	v_dual_cndmask_b32 v40, s33, v17, vcc_lo :: v_dual_bitop2_b32 v10, 3, v39 bitop3:0x54
	v_cmp_ne_u32_e32 vcc_lo, v12, v13
	v_mov_b64_e32 v[52:53], 0
	v_mov_b64_e32 v[54:55], 0
	;; [unrolled: 1-line block ×11, first 2 shown]
	v_cndmask_b32_e64 v41, 0, 1, vcc_lo
	s_mov_b32 s9, 0
	s_mov_b32 s8, exec_lo
                                        ; implicit-def: $sgpr6
                                        ; implicit-def: $vgpr60
	v_cmpx_gt_u32_e64 s15, v10
	s_cbranch_execz .LBB2260_66
; %bb.49:
	ds_load_2addr_b32 v[10:11], v1 offset0:3 offset1:4
	v_cmp_ne_u32_e32 vcc_lo, v13, v6
	v_mov_b64_e32 v[46:47], 0
	v_mov_b64_e32 v[48:49], 0
	;; [unrolled: 1-line block ×4, first 2 shown]
	v_cndmask_b32_e64 v45, 0, 1, vcc_lo
	v_cmp_eq_u32_e32 vcc_lo, v13, v6
	v_mov_b64_e32 v[54:55], 0
	v_mov_b64_e32 v[56:57], 0
	;; [unrolled: 1-line block ×9, first 2 shown]
	v_add_nc_u32_e32 v12, 4, v39
	s_mov_b32 s10, 0
	s_mov_b32 s9, exec_lo
	s_wait_dscnt 0x0
	v_cndmask_b32_e32 v44, s33, v10, vcc_lo
                                        ; implicit-def: $sgpr6
                                        ; implicit-def: $vgpr60
	v_cmpx_gt_u32_e64 s15, v12
	s_cbranch_execz .LBB2260_65
; %bb.50:
	v_cmp_eq_u32_e32 vcc_lo, v6, v7
	v_mov_b64_e32 v[48:49], 0
	v_mov_b64_e32 v[50:51], 0
	v_mov_b64_e32 v[52:53], 0
	v_mov_b64_e32 v[54:55], 0
	v_cndmask_b32_e32 v46, s33, v11, vcc_lo
	v_cmp_ne_u32_e32 vcc_lo, v6, v7
	v_mov_b64_e32 v[56:57], 0
	v_mov_b64_e32 v[58:59], 0
	;; [unrolled: 1-line block ×7, first 2 shown]
	v_add_nc_u32_e32 v10, 5, v39
	v_cndmask_b32_e64 v47, 0, 1, vcc_lo
	s_mov_b32 s11, 0
	s_mov_b32 s10, exec_lo
                                        ; implicit-def: $sgpr6
                                        ; implicit-def: $vgpr60
	s_delay_alu instid0(VALU_DEP_2)
	v_cmpx_gt_u32_e64 s15, v10
	s_cbranch_execz .LBB2260_64
; %bb.51:
	ds_load_2addr_b32 v[10:11], v1 offset0:5 offset1:6
	v_cmp_ne_u32_e32 vcc_lo, v7, v8
	v_mov_b64_e32 v[50:51], 0
	v_mov_b64_e32 v[52:53], 0
	;; [unrolled: 1-line block ×4, first 2 shown]
	v_cndmask_b32_e64 v49, 0, 1, vcc_lo
	v_cmp_eq_u32_e32 vcc_lo, v7, v8
	v_mov_b64_e32 v[58:59], 0
	v_mov_b64_e32 v[24:25], 0
	;; [unrolled: 1-line block ×5, first 2 shown]
	v_add_nc_u32_e32 v6, 6, v39
	s_mov_b32 s12, 0
	s_mov_b32 s11, exec_lo
                                        ; implicit-def: $sgpr6
                                        ; implicit-def: $vgpr60
	s_wait_dscnt 0x0
	v_cndmask_b32_e32 v48, s33, v10, vcc_lo
	v_cmpx_gt_u32_e64 s15, v6
	s_cbranch_execz .LBB2260_63
; %bb.52:
	v_cmp_eq_u32_e32 vcc_lo, v8, v9
	v_mov_b64_e32 v[52:53], 0
	v_mov_b64_e32 v[54:55], 0
	;; [unrolled: 1-line block ×4, first 2 shown]
	v_cndmask_b32_e32 v50, s33, v11, vcc_lo
	v_cmp_ne_u32_e32 vcc_lo, v8, v9
	v_mov_b64_e32 v[22:23], 0
	v_mov_b64_e32 v[20:21], 0
	;; [unrolled: 1-line block ×3, first 2 shown]
	v_add_nc_u32_e32 v6, 7, v39
	v_cndmask_b32_e64 v51, 0, 1, vcc_lo
	s_mov_b32 s13, 0
	s_mov_b32 s12, exec_lo
                                        ; implicit-def: $sgpr6
                                        ; implicit-def: $vgpr60
	s_delay_alu instid0(VALU_DEP_2)
	v_cmpx_gt_u32_e64 s15, v6
	s_cbranch_execz .LBB2260_62
; %bb.53:
	ds_load_2addr_b32 v[6:7], v1 offset0:7 offset1:8
	v_cmp_ne_u32_e32 vcc_lo, v9, v2
	v_mov_b64_e32 v[54:55], 0
	v_mov_b64_e32 v[56:57], 0
	;; [unrolled: 1-line block ×4, first 2 shown]
	v_cndmask_b32_e64 v53, 0, 1, vcc_lo
	v_cmp_eq_u32_e32 vcc_lo, v9, v2
	v_mov_b64_e32 v[18:19], 0
	v_add_nc_u32_e32 v8, 8, v39
	s_mov_b32 s14, 0
	s_mov_b32 s13, exec_lo
                                        ; implicit-def: $sgpr6
                                        ; implicit-def: $vgpr60
	s_wait_dscnt 0x0
	v_cndmask_b32_e32 v52, s33, v6, vcc_lo
	v_cmpx_gt_u32_e64 s15, v8
	s_cbranch_execz .LBB2260_61
; %bb.54:
	v_cmp_eq_u32_e32 vcc_lo, v2, v3
	v_mov_b64_e32 v[56:57], 0
	v_mov_b64_e32 v[58:59], 0
	;; [unrolled: 1-line block ×3, first 2 shown]
	v_add_nc_u32_e32 v6, 9, v39
	v_cndmask_b32_e32 v54, s33, v7, vcc_lo
	v_cmp_ne_u32_e32 vcc_lo, v2, v3
	s_mov_b32 s37, 0
	s_mov_b32 s14, exec_lo
                                        ; implicit-def: $sgpr6
                                        ; implicit-def: $vgpr60
	v_cndmask_b32_e64 v55, 0, 1, vcc_lo
	v_cmpx_gt_u32_e64 s15, v6
	s_cbranch_execz .LBB2260_60
; %bb.55:
	ds_load_2addr_b32 v[6:7], v1 offset0:9 offset1:10
	v_cmp_ne_u32_e32 vcc_lo, v3, v4
	v_mov_b64_e32 v[58:59], 0
	s_mov_b32 s38, 0
	s_mov_b32 s37, exec_lo
                                        ; implicit-def: $sgpr6
                                        ; implicit-def: $vgpr60
	v_cndmask_b32_e64 v57, 0, 1, vcc_lo
	v_cmp_eq_u32_e32 vcc_lo, v3, v4
	s_wait_dscnt 0x0
	v_dual_add_nc_u32 v2, 10, v39 :: v_dual_cndmask_b32 v56, s33, v6, vcc_lo
	s_delay_alu instid0(VALU_DEP_1)
	v_cmpx_gt_u32_e64 s15, v2
	s_cbranch_execz .LBB2260_59
; %bb.56:
	v_cmp_eq_u32_e32 vcc_lo, v4, v5
	v_add_nc_u32_e32 v2, 11, v39
                                        ; implicit-def: $sgpr6
                                        ; implicit-def: $vgpr60
	v_cndmask_b32_e32 v58, s33, v7, vcc_lo
	v_cmp_ne_u32_e32 vcc_lo, v4, v5
	v_cndmask_b32_e64 v59, 0, 1, vcc_lo
	s_delay_alu instid0(VALU_DEP_4) | instskip(SKIP_2) | instid1(SALU_CYCLE_1)
	v_cmp_gt_u32_e32 vcc_lo, s15, v2
	s_mov_b32 s15, 0
	s_and_saveexec_b32 s38, vcc_lo
	s_xor_b32 s38, exec_lo, s38
	s_cbranch_execz .LBB2260_58
; %bb.57:
	ds_load_b32 v1, v1 offset:44
	v_cmp_ne_u32_e64 s6, v5, v38
	s_mov_b32 s15, exec_lo
	s_wait_dscnt 0x0
	v_cndmask_b32_e64 v60, v1, s33, s6
.LBB2260_58:
	s_or_b32 exec_lo, exec_lo, s38
	s_delay_alu instid0(SALU_CYCLE_1)
	s_and_b32 s38, s15, exec_lo
.LBB2260_59:
	s_or_b32 exec_lo, exec_lo, s37
	v_mov_b64_e32 v[18:19], v[58:59]
	s_and_b32 s37, s38, exec_lo
.LBB2260_60:
	s_or_b32 exec_lo, exec_lo, s14
	v_mov_b64_e32 v[20:21], v[56:57]
	s_and_b32 s14, s37, exec_lo
.LBB2260_61:
	s_or_b32 exec_lo, exec_lo, s13
	v_mov_b64_e32 v[22:23], v[54:55]
	s_and_b32 s13, s14, exec_lo
.LBB2260_62:
	s_or_b32 exec_lo, exec_lo, s12
	v_mov_b64_e32 v[24:25], v[52:53]
	s_and_b32 s12, s13, exec_lo
.LBB2260_63:
	s_or_b32 exec_lo, exec_lo, s11
	v_mov_b64_e32 v[26:27], v[50:51]
	s_and_b32 s11, s12, exec_lo
.LBB2260_64:
	s_or_b32 exec_lo, exec_lo, s10
	v_mov_b64_e32 v[28:29], v[48:49]
	s_and_b32 s10, s11, exec_lo
.LBB2260_65:
	s_or_b32 exec_lo, exec_lo, s9
	v_mov_b64_e32 v[30:31], v[46:47]
	s_and_b32 s9, s10, exec_lo
.LBB2260_66:
	s_or_b32 exec_lo, exec_lo, s8
	v_mov_b64_e32 v[32:33], v[44:45]
	s_and_b32 s8, s9, exec_lo
.LBB2260_67:
	s_or_b32 exec_lo, exec_lo, s7
	v_mov_b64_e32 v[34:35], v[40:41]
	s_and_b32 s7, s8, exec_lo
.LBB2260_68:
	s_or_b32 exec_lo, exec_lo, s5
	v_mov_b64_e32 v[36:37], v[42:43]
	s_and_b32 s5, s7, exec_lo
.LBB2260_69:
	s_or_b32 exec_lo, exec_lo, s4
	v_lshlrev_b32_e32 v16, 2, v0
	s_and_b32 vcc_lo, exec_lo, s1
	s_cbranch_vccnz .LBB2260_71
	s_branch .LBB2260_76
.LBB2260_70:
                                        ; implicit-def: $sgpr6
                                        ; implicit-def: $vgpr60
                                        ; implicit-def: $vgpr14_vgpr15
                                        ; implicit-def: $vgpr42_vgpr43
                                        ; implicit-def: $vgpr40_vgpr41
                                        ; implicit-def: $vgpr44_vgpr45
                                        ; implicit-def: $vgpr46_vgpr47
                                        ; implicit-def: $vgpr48_vgpr49
                                        ; implicit-def: $vgpr50_vgpr51
                                        ; implicit-def: $vgpr52_vgpr53
                                        ; implicit-def: $vgpr54_vgpr55
                                        ; implicit-def: $vgpr56_vgpr57
                                        ; implicit-def: $vgpr58_vgpr59
                                        ; implicit-def: $vgpr36_vgpr37
                                        ; implicit-def: $vgpr34_vgpr35
                                        ; implicit-def: $vgpr32_vgpr33
                                        ; implicit-def: $vgpr30_vgpr31
                                        ; implicit-def: $vgpr28_vgpr29
                                        ; implicit-def: $vgpr26_vgpr27
                                        ; implicit-def: $vgpr24_vgpr25
                                        ; implicit-def: $vgpr22_vgpr23
                                        ; implicit-def: $vgpr20_vgpr21
                                        ; implicit-def: $vgpr18_vgpr19
	v_lshlrev_b32_e32 v16, 2, v0
	s_cbranch_execz .LBB2260_76
.LBB2260_71:
	s_clause 0xb
	flat_load_b32 v1, v0, s[34:35] scale_offset
	flat_load_b32 v2, v0, s[34:35] offset:1024 scale_offset
	flat_load_b32 v3, v0, s[34:35] offset:2048 scale_offset
	;; [unrolled: 1-line block ×11, first 2 shown]
	v_mov_b32_e32 v13, 0
	v_mad_u32_u24 v28, v0, 44, v16
	s_mov_b32 s1, exec_lo
	s_wait_loadcnt_dscnt 0xa0a
	ds_store_2addr_stride64_b32 v16, v1, v2 offset1:4
	s_wait_loadcnt_dscnt 0x809
	ds_store_2addr_stride64_b32 v16, v3, v4 offset0:8 offset1:12
	s_wait_loadcnt_dscnt 0x608
	ds_store_2addr_stride64_b32 v16, v5, v6 offset0:16 offset1:20
	;; [unrolled: 2-line block ×5, first 2 shown]
	s_wait_dscnt 0x0
	s_barrier_signal -1
	s_barrier_wait -1
	flat_load_b32 v1, v13, s[34:35] offset:12288
	s_wait_xcnt 0x0
	ds_load_b128 v[10:13], v28
	ds_load_b128 v[6:9], v28 offset:16
	ds_load_b128 v[2:5], v28 offset:32
	v_mad_i32_i24 v14, 0xffffffd4, v0, v28
	s_wait_dscnt 0x2
	ds_store_b32 v14, v10 offset:13312
	s_wait_loadcnt_dscnt 0x0
	s_barrier_signal -1
	s_barrier_wait -1
	v_cmpx_ne_u32_e32 0xff, v0
; %bb.72:
	v_mul_i32_i24_e32 v1, 0xffffffd4, v0
	s_delay_alu instid0(VALU_DEP_1)
	v_add_nc_u32_e32 v1, v28, v1
	ds_load_b32 v1, v1 offset:13316
; %bb.73:
	s_or_b32 exec_lo, exec_lo, s1
	s_wait_dscnt 0x0
	s_barrier_signal -1
	s_barrier_wait -1
	s_clause 0xb
	flat_load_b32 v14, v0, s[24:25] scale_offset
	flat_load_b32 v15, v0, s[24:25] offset:1024 scale_offset
	flat_load_b32 v17, v0, s[24:25] offset:2048 scale_offset
	;; [unrolled: 1-line block ×11, first 2 shown]
	v_cmp_eq_u32_e32 vcc_lo, v10, v11
	v_mov_b32_e32 v10, s33
	s_wait_loadcnt_dscnt 0xa0a
	ds_store_2addr_stride64_b32 v16, v14, v15 offset1:4
	s_wait_loadcnt_dscnt 0x809
	ds_store_2addr_stride64_b32 v16, v17, v18 offset0:8 offset1:12
	s_wait_loadcnt_dscnt 0x608
	ds_store_2addr_stride64_b32 v16, v19, v20 offset0:16 offset1:20
	;; [unrolled: 2-line block ×5, first 2 shown]
	s_wait_dscnt 0x0
	s_barrier_signal -1
	s_barrier_wait -1
	ds_load_2addr_b32 v[26:27], v28 offset0:1 offset1:2
	ds_load_2addr_b32 v[24:25], v28 offset0:3 offset1:4
	;; [unrolled: 1-line block ×5, first 2 shown]
	ds_load_b32 v17, v28 offset:44
	v_mov_b64_e32 v[14:15], 0x100000000
	s_and_saveexec_b32 s1, vcc_lo
; %bb.74:
	ds_load_b32 v10, v28
	v_mov_b64_e32 v[14:15], 0
; %bb.75:
	s_or_b32 exec_lo, exec_lo, s1
	v_cmp_eq_u32_e32 vcc_lo, v11, v12
	v_cmp_ne_u32_e64 s6, v5, v1
	s_mov_b32 s5, -1
	s_wait_dscnt 0x5
	v_cndmask_b32_e32 v42, s33, v26, vcc_lo
	v_cmp_ne_u32_e32 vcc_lo, v11, v12
	s_wait_dscnt 0x0
	v_cndmask_b32_e64 v60, v17, s33, s6
	v_cndmask_b32_e64 v43, 0, 1, vcc_lo
	v_cmp_eq_u32_e32 vcc_lo, v12, v13
	v_or_b32_e32 v14, v14, v10
	s_delay_alu instid0(VALU_DEP_3) | instskip(SKIP_4) | instid1(VALU_DEP_2)
	v_mov_b64_e32 v[36:37], v[42:43]
	v_cndmask_b32_e32 v40, s33, v27, vcc_lo
	v_cmp_ne_u32_e32 vcc_lo, v12, v13
	v_cndmask_b32_e64 v41, 0, 1, vcc_lo
	v_cmp_eq_u32_e32 vcc_lo, v13, v6
	v_mov_b64_e32 v[34:35], v[40:41]
	v_cndmask_b32_e32 v44, s33, v24, vcc_lo
	v_cmp_ne_u32_e32 vcc_lo, v13, v6
	v_cndmask_b32_e64 v45, 0, 1, vcc_lo
	v_cmp_eq_u32_e32 vcc_lo, v6, v7
	s_delay_alu instid0(VALU_DEP_2) | instskip(SKIP_4) | instid1(VALU_DEP_2)
	v_mov_b64_e32 v[32:33], v[44:45]
	v_cndmask_b32_e32 v46, s33, v25, vcc_lo
	v_cmp_ne_u32_e32 vcc_lo, v6, v7
	v_cndmask_b32_e64 v47, 0, 1, vcc_lo
	v_cmp_eq_u32_e32 vcc_lo, v7, v8
	v_mov_b64_e32 v[30:31], v[46:47]
	v_cndmask_b32_e32 v48, s33, v22, vcc_lo
	v_cmp_ne_u32_e32 vcc_lo, v7, v8
	v_cndmask_b32_e64 v49, 0, 1, vcc_lo
	v_cmp_eq_u32_e32 vcc_lo, v8, v9
	s_delay_alu instid0(VALU_DEP_2) | instskip(SKIP_4) | instid1(VALU_DEP_2)
	;; [unrolled: 11-line block ×3, first 2 shown]
	v_mov_b64_e32 v[24:25], v[52:53]
	v_cndmask_b32_e32 v54, s33, v21, vcc_lo
	v_cmp_ne_u32_e32 vcc_lo, v2, v3
	v_cndmask_b32_e64 v55, 0, 1, vcc_lo
	v_cmp_eq_u32_e32 vcc_lo, v3, v4
	v_mov_b64_e32 v[22:23], v[54:55]
	v_cndmask_b32_e32 v56, s33, v18, vcc_lo
	v_cmp_ne_u32_e32 vcc_lo, v3, v4
	v_cndmask_b32_e64 v57, 0, 1, vcc_lo
	v_cmp_eq_u32_e32 vcc_lo, v4, v5
	s_delay_alu instid0(VALU_DEP_2) | instskip(SKIP_3) | instid1(VALU_DEP_1)
	v_mov_b64_e32 v[20:21], v[56:57]
	v_cndmask_b32_e32 v58, s33, v19, vcc_lo
	v_cmp_ne_u32_e32 vcc_lo, v4, v5
	v_cndmask_b32_e64 v59, 0, 1, vcc_lo
	v_mov_b64_e32 v[18:19], v[58:59]
.LBB2260_76:
	v_mov_b64_e32 v[38:39], 0
	s_and_saveexec_b32 s1, s5
	s_cbranch_execz .LBB2260_78
; %bb.77:
	v_cndmask_b32_e64 v61, 0, 1, s6
	v_mov_b64_e32 v[18:19], v[58:59]
	v_mov_b64_e32 v[20:21], v[56:57]
	;; [unrolled: 1-line block ×11, first 2 shown]
.LBB2260_78:
	s_or_b32 exec_lo, exec_lo, s1
	v_dual_lshrrev_b32 v1, 2, v0 :: v_dual_bitop2_b32 v40, v25, v23 bitop3:0x54
	s_delay_alu instid0(VALU_DEP_3)
	v_or_b32_e32 v17, v21, v19
	s_cmp_lg_u32 s36, 0
	v_cmp_gt_u32_e32 vcc_lo, 32, v0
	s_barrier_signal -1
	s_barrier_wait -1
	s_cbranch_scc0 .LBB2260_116
; %bb.79:
	s_mov_b64 s[14:15], 0x100000000
	v_or3_b32 v3, v40, v27, v29
	v_cmp_gt_u64_e64 s1, s[14:15], v[36:37]
	v_cmp_gt_u64_e64 s4, s[14:15], v[34:35]
	;; [unrolled: 1-line block ×7, first 2 shown]
	v_dual_cndmask_b32 v2, 0, v14, s1 :: v_dual_bitop2_b32 v5, 56, v1 bitop3:0x40
	v_cmp_gt_u64_e64 s9, s[14:15], v[24:25]
	v_cmp_gt_u64_e64 s10, s[14:15], v[22:23]
	;; [unrolled: 1-line block ×3, first 2 shown]
	s_delay_alu instid0(VALU_DEP_4) | instskip(SKIP_3) | instid1(VALU_DEP_4)
	v_add_nc_u32_e32 v2, v2, v36
	v_or3_b32 v3, v3, v31, v33
	v_cmp_gt_u64_e64 s12, s[14:15], v[18:19]
	v_lshl_add_u32 v5, v0, 3, v5
	v_cndmask_b32_e64 v2, 0, v2, s4
	s_delay_alu instid0(VALU_DEP_4) | instskip(NEXT) | instid1(VALU_DEP_2)
	v_or3_b32 v3, v3, v35, v37
	v_add_nc_u32_e32 v2, v2, v34
	s_delay_alu instid0(VALU_DEP_2) | instskip(NEXT) | instid1(VALU_DEP_2)
	v_or3_b32 v3, v39, v17, v3
	v_cndmask_b32_e64 v2, 0, v2, s5
	s_delay_alu instid0(VALU_DEP_2) | instskip(NEXT) | instid1(VALU_DEP_2)
	v_and_b32_e32 v3, 0xff, v3
	v_add_nc_u32_e32 v2, v2, v32
	s_delay_alu instid0(VALU_DEP_1) | instskip(NEXT) | instid1(VALU_DEP_1)
	v_cndmask_b32_e64 v2, 0, v2, s6
	v_add_nc_u32_e32 v2, v2, v30
	s_delay_alu instid0(VALU_DEP_1) | instskip(NEXT) | instid1(VALU_DEP_1)
	v_cndmask_b32_e64 v2, 0, v2, s7
	;; [unrolled: 3-line block ×7, first 2 shown]
	v_dual_add_nc_u32 v4, v2, v18 :: v_dual_mov_b32 v2, 0
	s_delay_alu instid0(VALU_DEP_1) | instskip(NEXT) | instid1(VALU_DEP_2)
	v_cndmask_b32_e64 v4, 0, v4, s13
	v_cmp_eq_u64_e64 s13, 0, v[2:3]
	s_delay_alu instid0(VALU_DEP_1)
	v_dual_add_nc_u32 v12, v4, v38 :: v_dual_cndmask_b32 v13, 1, v15, s13
	ds_store_b32 v5, v12
	ds_store_b8 v5, v13 offset:4
	s_wait_dscnt 0x0
	s_barrier_signal -1
	s_barrier_wait -1
	s_and_saveexec_b32 s14, vcc_lo
	s_cbranch_execz .LBB2260_89
; %bb.80:
	v_dual_lshlrev_b32 v2, 1, v0 :: v_dual_lshlrev_b32 v3, 6, v0
	s_mov_b32 s15, exec_lo
	s_delay_alu instid0(VALU_DEP_1) | instskip(NEXT) | instid1(VALU_DEP_1)
	v_and_b32_e32 v2, 0x1f8, v2
	v_add_nc_u32_e32 v4, v2, v3
	ds_load_u8 v5, v4 offset:12
	ds_load_b64 v[2:3], v4
	ds_load_2addr_b32 v[6:7], v4 offset0:2 offset1:4
	ds_load_u8 v10, v4 offset:20
	ds_load_u8 v11, v4 offset:28
	;; [unrolled: 1-line block ×5, first 2 shown]
	ds_load_b32 v44, v4 offset:56
	s_wait_dscnt 0x8
	v_cmp_eq_u16_e64 s13, 0, v5
	s_wait_dscnt 0x5
	s_delay_alu instid0(VALU_DEP_1)
	v_dual_cndmask_b32 v45, 0, v2, s13 :: v_dual_bitop2_b32 v5, v10, v5 bitop3:0x54
	ds_load_2addr_b32 v[8:9], v4 offset0:6 offset1:8
	v_cmp_eq_u16_e64 s13, 0, v10
	s_wait_dscnt 0x4
	v_bitop3_b16 v5, v5, v41, v11 bitop3:0xfe
	v_add_nc_u32_e32 v6, v45, v6
	s_delay_alu instid0(VALU_DEP_1) | instskip(SKIP_1) | instid1(VALU_DEP_2)
	v_cndmask_b32_e64 v6, 0, v6, s13
	v_cmp_eq_u16_e64 s13, 0, v11
	v_add_nc_u32_e32 v6, v6, v7
	s_delay_alu instid0(VALU_DEP_1)
	v_cndmask_b32_e64 v45, 0, v6, s13
	ds_load_2addr_b32 v[6:7], v4 offset0:10 offset1:12
	v_cmp_eq_u16_e64 s13, 0, v41
	s_wait_dscnt 0x1
	v_add_nc_u32_e32 v8, v45, v8
	ds_load_u8 v45, v4 offset:60
	v_cndmask_b32_e64 v8, 0, v8, s13
	v_cmp_eq_u16_e64 s13, 0, v42
	s_delay_alu instid0(VALU_DEP_2) | instskip(SKIP_1) | instid1(VALU_DEP_2)
	v_add_nc_u32_e32 v8, v8, v9
	v_bitop3_b16 v9, v5, v43, v42 bitop3:0xfe
	v_dual_cndmask_b32 v8, 0, v8, s13 :: v_dual_bitop2_b32 v5, 1, v3 bitop3:0x40
	s_delay_alu instid0(VALU_DEP_2) | instskip(SKIP_1) | instid1(VALU_DEP_2)
	v_cmp_eq_u16_e64 s13, 0, v9
	s_wait_dscnt 0x0
	v_dual_add_nc_u32 v6, v8, v6 :: v_dual_bitop2_b32 v8, 1, v45 bitop3:0x40
	s_delay_alu instid0(VALU_DEP_2) | instskip(SKIP_1) | instid1(VALU_DEP_1)
	v_cndmask_b32_e64 v9, 1, v5, s13
	v_cmp_eq_u16_e64 s13, 0, v43
	v_cndmask_b32_e64 v6, 0, v6, s13
	s_delay_alu instid0(VALU_DEP_4) | instskip(SKIP_1) | instid1(VALU_DEP_2)
	v_cmp_eq_u32_e64 s13, 1, v8
	v_mbcnt_lo_u32_b32 v8, -1, 0
	v_cndmask_b32_e64 v9, v9, 1, s13
	v_cmp_eq_u16_e64 s13, 0, v45
	s_delay_alu instid0(VALU_DEP_2) | instskip(SKIP_2) | instid1(VALU_DEP_1)
	v_and_b32_e32 v10, 0xffff, v9
	v_add_nc_u32_e32 v7, v6, v7
	v_and_b32_e32 v6, 0xffffff00, v3
	v_dual_cndmask_b32 v7, 0, v7, s13 :: v_dual_bitop2_b32 v11, v6, v10 bitop3:0x54
	v_and_b32_e32 v10, 15, v8
	s_delay_alu instid0(VALU_DEP_2) | instskip(NEXT) | instid1(VALU_DEP_3)
	v_mov_b32_dpp v42, v11 row_shr:1 row_mask:0xf bank_mask:0xf
	v_add_nc_u32_e32 v7, v7, v44
	s_delay_alu instid0(VALU_DEP_1) | instskip(NEXT) | instid1(VALU_DEP_4)
	v_mov_b32_dpp v41, v7 row_shr:1 row_mask:0xf bank_mask:0xf
	v_cmpx_ne_u32_e32 0, v10
	s_cbranch_execz .LBB2260_82
; %bb.81:
	v_and_b32_e32 v11, 1, v9
	v_and_b32_e32 v42, 1, v42
	s_delay_alu instid0(VALU_DEP_2) | instskip(NEXT) | instid1(VALU_DEP_1)
	v_cmp_eq_u32_e64 s13, 1, v11
	v_cndmask_b32_e64 v42, v42, 1, s13
	v_cmp_eq_u16_e64 s13, 0, v9
	s_delay_alu instid0(VALU_DEP_2) | instskip(NEXT) | instid1(VALU_DEP_1)
	v_and_b32_e32 v11, 0xffff, v42
	v_dual_cndmask_b32 v9, 0, v41, s13 :: v_dual_bitop2_b32 v11, v6, v11 bitop3:0x54
	s_delay_alu instid0(VALU_DEP_1)
	v_dual_add_nc_u32 v7, v9, v7 :: v_dual_mov_b32 v9, v42
.LBB2260_82:
	s_or_b32 exec_lo, exec_lo, s15
	s_delay_alu instid0(VALU_DEP_1) | instskip(NEXT) | instid1(VALU_DEP_3)
	v_mov_b32_dpp v41, v7 row_shr:2 row_mask:0xf bank_mask:0xf
	v_mov_b32_dpp v42, v11 row_shr:2 row_mask:0xf bank_mask:0xf
	s_mov_b32 s15, exec_lo
	v_cmpx_lt_u32_e32 1, v10
	s_cbranch_execz .LBB2260_84
; %bb.83:
	v_and_b32_e32 v11, 1, v9
	v_and_b32_e32 v42, 1, v42
	s_delay_alu instid0(VALU_DEP_2) | instskip(NEXT) | instid1(VALU_DEP_1)
	v_cmp_eq_u32_e64 s13, 1, v11
	v_cndmask_b32_e64 v42, v42, 1, s13
	v_cmp_eq_u16_e64 s13, 0, v9
	s_delay_alu instid0(VALU_DEP_2) | instskip(NEXT) | instid1(VALU_DEP_1)
	v_and_b32_e32 v11, 0xffff, v42
	v_dual_cndmask_b32 v9, 0, v41, s13 :: v_dual_bitop2_b32 v11, v6, v11 bitop3:0x54
	s_delay_alu instid0(VALU_DEP_1)
	v_dual_add_nc_u32 v7, v9, v7 :: v_dual_mov_b32 v9, v42
.LBB2260_84:
	s_or_b32 exec_lo, exec_lo, s15
	s_delay_alu instid0(VALU_DEP_1) | instskip(NEXT) | instid1(VALU_DEP_3)
	v_mov_b32_dpp v41, v7 row_shr:4 row_mask:0xf bank_mask:0xf
	v_mov_b32_dpp v42, v11 row_shr:4 row_mask:0xf bank_mask:0xf
	s_mov_b32 s15, exec_lo
	v_cmpx_lt_u32_e32 3, v10
	;; [unrolled: 20-line block ×3, first 2 shown]
	s_cbranch_execz .LBB2260_88
; %bb.87:
	v_and_b32_e32 v10, 1, v9
	v_and_b32_e32 v11, 1, v42
	s_delay_alu instid0(VALU_DEP_2) | instskip(NEXT) | instid1(VALU_DEP_1)
	v_cmp_eq_u32_e64 s13, 1, v10
	v_cndmask_b32_e64 v10, v11, 1, s13
	v_cmp_eq_u16_e64 s13, 0, v9
	s_delay_alu instid0(VALU_DEP_2) | instskip(NEXT) | instid1(VALU_DEP_1)
	v_and_b32_e32 v11, 0xffff, v10
	v_dual_cndmask_b32 v9, 0, v41, s13 :: v_dual_bitop2_b32 v11, v6, v11 bitop3:0x54
	s_delay_alu instid0(VALU_DEP_1)
	v_dual_add_nc_u32 v7, v9, v7 :: v_dual_mov_b32 v9, v10
.LBB2260_88:
	s_or_b32 exec_lo, exec_lo, s15
	ds_swizzle_b32 v10, v11 offset:swizzle(BROADCAST,32,15)
	ds_swizzle_b32 v11, v7 offset:swizzle(BROADCAST,32,15)
	v_and_b32_e32 v41, 1, v9
	v_bfe_i32 v43, v8, 4, 1
	v_and_b32_e32 v3, 0xff, v3
	; wave barrier
	s_delay_alu instid0(VALU_DEP_3) | instskip(SKIP_2) | instid1(VALU_DEP_1)
	v_cmp_eq_u32_e64 s13, 1, v41
	s_wait_dscnt 0x1
	v_dual_add_nc_u32 v41, -1, v8 :: v_dual_bitop2_b32 v10, 1, v10 bitop3:0x40
	v_cndmask_b32_e64 v10, v10, 1, s13
	v_and_b32_e32 v42, 16, v8
	v_cmp_eq_u16_e64 s13, 0, v9
	s_wait_dscnt 0x0
	s_delay_alu instid0(VALU_DEP_1) | instskip(NEXT) | instid1(VALU_DEP_3)
	v_cndmask_b32_e64 v11, 0, v11, s13
	v_cmp_eq_u32_e64 s13, 0, v42
	s_delay_alu instid0(VALU_DEP_1) | instskip(SKIP_1) | instid1(VALU_DEP_4)
	v_cndmask_b32_e64 v9, v10, v9, s13
	v_cmp_gt_i32_e64 s13, 0, v41
	v_and_b32_e32 v10, v43, v11
	s_delay_alu instid0(VALU_DEP_3) | instskip(NEXT) | instid1(VALU_DEP_2)
	v_and_b32_e32 v9, 0xffff, v9
	v_dual_cndmask_b32 v8, v41, v8, s13 :: v_dual_add_nc_u32 v7, v10, v7
	v_cmp_eq_u16_e64 s13, 0, v3
	s_delay_alu instid0(VALU_DEP_2)
	v_lshlrev_b32_e32 v8, 2, v8
	ds_bpermute_b32 v7, v8, v7
	s_wait_dscnt 0x0
	v_dual_cndmask_b32 v3, 0, v7, s13 :: v_dual_bitop2_b32 v6, v6, v9 bitop3:0x54
	ds_bpermute_b32 v6, v8, v6
	v_cmp_eq_u32_e64 s13, 1, v5
	v_add_nc_u32_e32 v2, v3, v2
	s_wait_dscnt 0x0
	s_delay_alu instid0(VALU_DEP_1) | instskip(NEXT) | instid1(VALU_DEP_1)
	v_dual_cndmask_b32 v5, v2, v12, s2 :: v_dual_bitop2_b32 v6, 1, v6 bitop3:0x40
	v_cndmask_b32_e64 v3, v6, 1, s13
	s_delay_alu instid0(VALU_DEP_1)
	v_cndmask_b32_e64 v8, v3, v13, s2
	ds_store_b32 v4, v5
	ds_store_b8 v4, v8 offset:4
	; wave barrier
	ds_load_u8 v9, v4 offset:12
	ds_load_2addr_b32 v[2:3], v4 offset0:2 offset1:4
	ds_load_u8 v10, v4 offset:20
	ds_load_u8 v11, v4 offset:28
	;; [unrolled: 1-line block ×5, first 2 shown]
	ds_load_b32 v44, v4 offset:56
	ds_load_u8 v45, v4 offset:60
	ds_load_2addr_b32 v[6:7], v4 offset0:6 offset1:8
	s_wait_dscnt 0x9
	v_cmp_eq_u16_e64 s13, 0, v9
	v_and_b32_e32 v9, 1, v9
	s_delay_alu instid0(VALU_DEP_2) | instskip(SKIP_2) | instid1(VALU_DEP_2)
	v_cndmask_b32_e64 v5, 0, v5, s13
	s_wait_dscnt 0x7
	v_cmp_eq_u16_e64 s13, 0, v10
	v_add_nc_u32_e32 v5, v5, v2
	s_delay_alu instid0(VALU_DEP_1) | instskip(SKIP_2) | instid1(VALU_DEP_2)
	v_cndmask_b32_e64 v2, 0, v5, s13
	s_wait_dscnt 0x6
	v_cmp_eq_u16_e64 s13, 0, v11
	v_add_nc_u32_e32 v46, v2, v3
	ds_load_2addr_b32 v[2:3], v4 offset0:10 offset1:12
	v_cndmask_b32_e64 v47, 0, v46, s13
	s_wait_dscnt 0x6
	v_cmp_eq_u16_e64 s13, 0, v41
	ds_store_2addr_b32 v4, v5, v46 offset0:2 offset1:4
	s_wait_dscnt 0x2
	v_add_nc_u32_e32 v6, v47, v6
	s_delay_alu instid0(VALU_DEP_1) | instskip(SKIP_3) | instid1(VALU_DEP_4)
	v_cndmask_b32_e64 v47, 0, v6, s13
	v_cmp_eq_u32_e64 s13, 1, v9
	v_and_b32_e32 v9, 1, v11
	v_and_b32_e32 v11, 1, v41
	v_dual_add_nc_u32 v7, v47, v7 :: v_dual_bitop2_b32 v10, 1, v10 bitop3:0x40
	s_delay_alu instid0(VALU_DEP_4) | instskip(SKIP_1) | instid1(VALU_DEP_3)
	v_cndmask_b32_e64 v8, v8, 1, s13
	v_and_b32_e32 v47, 1, v45
	v_cmp_eq_u32_e64 s13, 1, v10
	s_delay_alu instid0(VALU_DEP_1) | instskip(SKIP_1) | instid1(VALU_DEP_1)
	v_cndmask_b32_e64 v10, v8, 1, s13
	v_cmp_eq_u16_e64 s13, 0, v42
	v_dual_cndmask_b32 v41, 0, v7, s13 :: v_dual_bitop2_b32 v42, 1, v42 bitop3:0x40
	v_cmp_eq_u32_e64 s13, 1, v9
	s_wait_dscnt 0x1
	s_delay_alu instid0(VALU_DEP_2) | instskip(NEXT) | instid1(VALU_DEP_2)
	v_dual_add_nc_u32 v2, v41, v2 :: v_dual_bitop2_b32 v41, 1, v43 bitop3:0x40
	v_cndmask_b32_e64 v9, v10, 1, s13
	v_cmp_eq_u32_e64 s13, 1, v11
	s_delay_alu instid0(VALU_DEP_1) | instskip(SKIP_1) | instid1(VALU_DEP_1)
	v_cndmask_b32_e64 v11, v9, 1, s13
	v_cmp_eq_u16_e64 s13, 0, v43
	v_cndmask_b32_e64 v43, 0, v2, s13
	v_cmp_eq_u32_e64 s13, 1, v42
	s_delay_alu instid0(VALU_DEP_2) | instskip(NEXT) | instid1(VALU_DEP_2)
	v_add_nc_u32_e32 v3, v43, v3
	v_cndmask_b32_e64 v42, v11, 1, s13
	v_cmp_eq_u32_e64 s13, 1, v41
	ds_store_2addr_b32 v4, v6, v7 offset0:6 offset1:8
	ds_store_2addr_b32 v4, v2, v3 offset0:10 offset1:12
	v_cndmask_b32_e64 v41, v42, 1, s13
	v_cmp_eq_u16_e64 s13, 0, v45
	s_delay_alu instid0(VALU_DEP_1) | instskip(SKIP_1) | instid1(VALU_DEP_2)
	v_cndmask_b32_e64 v5, 0, v3, s13
	v_cmp_eq_u32_e64 s13, 1, v47
	v_add_nc_u32_e32 v2, v5, v44
	s_delay_alu instid0(VALU_DEP_2)
	v_cndmask_b32_e64 v43, v41, 1, s13
	ds_store_b8 v4, v8 offset:12
	ds_store_b8 v4, v10 offset:20
	;; [unrolled: 1-line block ×6, first 2 shown]
	ds_store_b32 v4, v2 offset:56
	ds_store_b8 v4, v43 offset:60
.LBB2260_89:
	s_or_b32 exec_lo, exec_lo, s14
	s_wait_dscnt 0x0
	s_barrier_signal -1
	s_barrier_wait -1
	s_and_saveexec_b32 s13, s3
	s_cbranch_execz .LBB2260_91
; %bb.90:
	v_add_nc_u32_e32 v2, -1, v0
	s_delay_alu instid0(VALU_DEP_1) | instskip(NEXT) | instid1(VALU_DEP_1)
	v_lshrrev_b32_e32 v3, 2, v2
	v_and_b32_e32 v3, 0x3ffffff8, v3
	s_delay_alu instid0(VALU_DEP_1)
	v_lshl_add_u32 v2, v2, 3, v3
	ds_load_b32 v12, v2
	ds_load_u8 v13, v2 offset:4
.LBB2260_91:
	s_or_b32 exec_lo, exec_lo, s13
	s_and_saveexec_b32 s34, vcc_lo
	s_cbranch_execz .LBB2260_161
; %bb.92:
	v_mov_b32_e32 v5, 0
	v_mbcnt_lo_u32_b32 v41, -1, 0
	s_mov_b32 s15, 0
	ds_load_b64 v[2:3], v5 offset:2096
	v_cmp_eq_u32_e64 s13, 0, v41
	s_and_saveexec_b32 s24, s13
	s_cbranch_execz .LBB2260_94
; %bb.93:
	s_add_co_i32 s14, s36, 32
	v_mov_b32_e32 v4, 1
	s_lshl_b64 s[14:15], s[14:15], 4
	s_delay_alu instid0(SALU_CYCLE_1) | instskip(NEXT) | instid1(SALU_CYCLE_1)
	s_add_nc_u64 s[14:15], s[20:21], s[14:15]
	v_mov_b64_e32 v[6:7], s[14:15]
	s_wait_dscnt 0x0
	;;#ASMSTART
	global_store_b128 v[6:7], v[2:5] off scope:SCOPE_DEV	
s_wait_storecnt 0x0
	;;#ASMEND
.LBB2260_94:
	s_or_b32 exec_lo, exec_lo, s24
	v_xad_u32 v8, v41, -1, s36
	s_mov_b32 s14, exec_lo
	s_delay_alu instid0(VALU_DEP_1) | instskip(NEXT) | instid1(VALU_DEP_1)
	v_add_nc_u32_e32 v4, 32, v8
	v_lshl_add_u64 v[10:11], v[4:5], 4, s[20:21]
	;;#ASMSTART
	global_load_b128 v[4:7], v[10:11] off scope:SCOPE_DEV	
s_wait_loadcnt 0x0
	;;#ASMEND
	v_and_b32_e32 v7, 0xff, v6
	v_and_b32_e32 v5, 0xff, v5
	s_delay_alu instid0(VALU_DEP_2)
	v_cmpx_eq_u16_e32 0, v7
	s_cbranch_execz .LBB2260_98
; %bb.95:
	s_mov_b32 s15, 0
.LBB2260_96:                            ; =>This Inner Loop Header: Depth=1
	;;#ASMSTART
	global_load_b128 v[4:7], v[10:11] off scope:SCOPE_DEV	
s_wait_loadcnt 0x0
	;;#ASMEND
	v_and_b32_e32 v7, 0xff, v6
	s_delay_alu instid0(VALU_DEP_1) | instskip(SKIP_1) | instid1(SALU_CYCLE_1)
	v_cmp_ne_u16_e32 vcc_lo, 0, v7
	s_or_b32 s15, vcc_lo, s15
	s_and_not1_b32 exec_lo, exec_lo, s15
	s_cbranch_execnz .LBB2260_96
; %bb.97:
	s_or_b32 exec_lo, exec_lo, s15
	v_and_b32_e32 v5, 0xff, v5
.LBB2260_98:
	s_or_b32 exec_lo, exec_lo, s14
	v_cmp_ne_u32_e32 vcc_lo, 31, v41
	v_and_b32_e32 v9, 0xff, v6
	v_lshlrev_b32_e64 v43, v41, -1
	s_mov_b64 s[24:25], 0x100000000
	v_lshl_or_b32 v52, v41, 2, 64
	v_add_co_ci_u32_e64 v7, null, 0, v41, vcc_lo
	v_cmp_eq_u16_e32 vcc_lo, 2, v9
	v_cmp_gt_u64_e64 s14, s[24:25], v[4:5]
	s_delay_alu instid0(VALU_DEP_3) | instskip(SKIP_1) | instid1(VALU_DEP_2)
	v_dual_lshlrev_b32 v42, 2, v7 :: v_dual_bitop2_b32 v10, 1, v5 bitop3:0x40
	v_and_or_b32 v9, vcc_lo, v43, 0x80000000
	v_cmp_eq_u32_e32 vcc_lo, 1, v10
	ds_bpermute_b32 v7, v42, v5
	ds_bpermute_b32 v10, v42, v4
	v_ctz_i32_b32_e32 v9, v9
	s_wait_dscnt 0x1
	v_and_b32_e32 v7, 1, v7
	s_delay_alu instid0(VALU_DEP_1) | instskip(SKIP_1) | instid1(VALU_DEP_2)
	v_cndmask_b32_e64 v7, v7, 1, vcc_lo
	v_cmp_gt_u32_e32 vcc_lo, 30, v41
	v_and_b32_e32 v45, 0xffff, v7
	v_cndmask_b32_e64 v11, 0, 2, vcc_lo
	v_cmp_lt_u32_e32 vcc_lo, v41, v9
	s_delay_alu instid0(VALU_DEP_2) | instskip(NEXT) | instid1(VALU_DEP_4)
	v_add_lshl_u32 v44, v11, v41, 2
	v_dual_cndmask_b32 v11, v5, v45, vcc_lo :: v_dual_cndmask_b32 v7, v5, v7, vcc_lo
	s_and_b32 vcc_lo, vcc_lo, s14
	s_wait_dscnt 0x0
	v_cndmask_b32_e32 v10, 0, v10, vcc_lo
	ds_bpermute_b32 v5, v44, v11
	v_and_b32_e32 v46, 1, v7
	v_and_b32_e32 v48, 0xff, v7
	v_add_nc_u32_e32 v4, v10, v4
	s_delay_alu instid0(VALU_DEP_3) | instskip(NEXT) | instid1(VALU_DEP_3)
	v_cmp_eq_u32_e32 vcc_lo, 1, v46
	v_cmp_eq_u16_e64 s14, 0, v48
	ds_bpermute_b32 v10, v44, v4
	s_wait_dscnt 0x1
	v_and_b32_e32 v5, 1, v5
	s_delay_alu instid0(VALU_DEP_1) | instskip(SKIP_2) | instid1(VALU_DEP_3)
	v_cndmask_b32_e64 v5, v5, 1, vcc_lo
	v_add_nc_u32_e32 v45, 2, v41
	v_cmp_gt_u32_e32 vcc_lo, 28, v41
	v_and_b32_e32 v47, 0xffff, v5
	v_cndmask_b32_e64 v46, 0, 4, vcc_lo
	s_delay_alu instid0(VALU_DEP_4) | instskip(NEXT) | instid1(VALU_DEP_2)
	v_cmp_gt_u32_e32 vcc_lo, v45, v9
	v_add_lshl_u32 v46, v46, v41, 2
	v_cndmask_b32_e32 v5, v5, v7, vcc_lo
	s_wait_dscnt 0x0
	v_dual_cndmask_b32 v7, v47, v11, vcc_lo :: v_dual_cndmask_b32 v10, 0, v10, s14
	s_delay_alu instid0(VALU_DEP_2) | instskip(SKIP_4) | instid1(VALU_DEP_3)
	v_and_b32_e32 v48, 1, v5
	ds_bpermute_b32 v11, v46, v7
	v_cndmask_b32_e64 v10, v10, 0, vcc_lo
	v_cmp_eq_u32_e32 vcc_lo, 1, v48
	v_and_b32_e32 v48, 0xff, v5
	v_add_nc_u32_e32 v4, v10, v4
	s_delay_alu instid0(VALU_DEP_2)
	v_cmp_eq_u16_e64 s14, 0, v48
	s_wait_dscnt 0x0
	v_and_b32_e32 v11, 1, v11
	ds_bpermute_b32 v10, v46, v4
	v_add_nc_u32_e32 v47, 4, v41
	v_cndmask_b32_e64 v11, v11, 1, vcc_lo
	v_cmp_gt_u32_e32 vcc_lo, 24, v41
	s_delay_alu instid0(VALU_DEP_2) | instskip(SKIP_1) | instid1(VALU_DEP_1)
	v_and_b32_e32 v50, 0xffff, v11
	v_cndmask_b32_e64 v49, 0, 8, vcc_lo
	v_add_lshl_u32 v48, v49, v41, 2
	s_wait_dscnt 0x0
	v_dual_add_nc_u32 v49, 8, v41 :: v_dual_cndmask_b32 v10, 0, v10, s14
	v_cmp_gt_u32_e32 vcc_lo, v47, v9
	v_dual_cndmask_b32 v5, v11, v5, vcc_lo :: v_dual_cndmask_b32 v7, v50, v7, vcc_lo
	s_delay_alu instid0(VALU_DEP_3) | instskip(NEXT) | instid1(VALU_DEP_2)
	v_cndmask_b32_e64 v10, v10, 0, vcc_lo
	v_and_b32_e32 v50, 1, v5
	ds_bpermute_b32 v11, v48, v7
	v_add_nc_u32_e32 v4, v10, v4
	v_and_b32_e32 v51, 0xff, v5
	v_cmp_eq_u32_e32 vcc_lo, 1, v50
	ds_bpermute_b32 v10, v48, v4
	s_wait_dscnt 0x1
	v_and_b32_e32 v11, 1, v11
	s_delay_alu instid0(VALU_DEP_1) | instskip(SKIP_1) | instid1(VALU_DEP_2)
	v_cndmask_b32_e64 v11, v11, 1, vcc_lo
	v_cmp_eq_u16_e32 vcc_lo, 0, v51
	v_and_b32_e32 v50, 0xffff, v11
	s_wait_dscnt 0x0
	v_cndmask_b32_e32 v10, 0, v10, vcc_lo
	v_cmp_gt_u32_e32 vcc_lo, v49, v9
	s_delay_alu instid0(VALU_DEP_3) | instskip(NEXT) | instid1(VALU_DEP_3)
	v_dual_cndmask_b32 v5, v11, v5, vcc_lo :: v_dual_cndmask_b32 v7, v50, v7, vcc_lo
	v_cndmask_b32_e64 v10, v10, 0, vcc_lo
	s_delay_alu instid0(VALU_DEP_2) | instskip(SKIP_3) | instid1(VALU_DEP_1)
	v_and_b32_e32 v50, 1, v5
	ds_bpermute_b32 v7, v52, v7
	v_add_nc_u32_e32 v4, v10, v4
	v_and_b32_e32 v11, 0xff, v5
	v_cmp_eq_u16_e32 vcc_lo, 0, v11
	s_wait_dscnt 0x0
	v_and_b32_e32 v7, 1, v7
	ds_bpermute_b32 v10, v52, v4
	s_wait_dscnt 0x0
	v_dual_cndmask_b32 v10, 0, v10 :: v_dual_add_nc_u32 v53, 16, v41
	v_cmp_eq_u32_e32 vcc_lo, 1, v50
	v_cndmask_b32_e64 v7, v7, 1, vcc_lo
	s_delay_alu instid0(VALU_DEP_3) | instskip(NEXT) | instid1(VALU_DEP_2)
	v_cmp_gt_u32_e32 vcc_lo, v53, v9
	v_dual_mov_b32 v9, 0 :: v_dual_cndmask_b32 v5, v7, v5, vcc_lo
	v_cndmask_b32_e64 v7, v10, 0, vcc_lo
	s_delay_alu instid0(VALU_DEP_1)
	v_add_nc_u32_e32 v4, v7, v4
	s_branch .LBB2260_102
.LBB2260_99:                            ;   in Loop: Header=BB2260_102 Depth=1
	s_or_b32 exec_lo, exec_lo, s15
	v_and_b32_e32 v5, 0xff, v5
.LBB2260_100:                           ;   in Loop: Header=BB2260_102 Depth=1
	s_or_b32 exec_lo, exec_lo, s14
	ds_bpermute_b32 v7, v42, v5
	v_and_b32_e32 v10, 0xff, v6
	v_cmp_gt_u64_e64 s14, s[24:25], v[4:5]
	v_subrev_nc_u32_e32 v8, 32, v8
	s_delay_alu instid0(VALU_DEP_3) | instskip(SKIP_2) | instid1(VALU_DEP_2)
	v_cmp_eq_u16_e32 vcc_lo, 2, v10
	v_and_b32_e32 v10, 1, v5
	v_and_or_b32 v11, vcc_lo, v43, 0x80000000
	v_cmp_eq_u32_e32 vcc_lo, 1, v10
	s_delay_alu instid0(VALU_DEP_2) | instskip(SKIP_3) | instid1(VALU_DEP_1)
	v_ctz_i32_b32_e32 v10, v11
	ds_bpermute_b32 v11, v42, v4
	s_wait_dscnt 0x1
	v_and_b32_e32 v7, 1, v7
	v_cndmask_b32_e64 v7, v7, 1, vcc_lo
	v_cmp_lt_u32_e32 vcc_lo, v41, v10
	s_delay_alu instid0(VALU_DEP_2) | instskip(NEXT) | instid1(VALU_DEP_1)
	v_and_b32_e32 v54, 0xffff, v7
	v_dual_cndmask_b32 v7, v5, v7 :: v_dual_cndmask_b32 v54, v5, v54
	s_and_b32 vcc_lo, vcc_lo, s14
	s_delay_alu instid0(VALU_DEP_1)
	v_and_b32_e32 v56, 0xff, v7
	v_and_b32_e32 v55, 1, v7
	ds_bpermute_b32 v5, v44, v54
	s_wait_dscnt 0x1
	v_cndmask_b32_e32 v11, 0, v11, vcc_lo
	v_cmp_eq_u16_e64 s14, 0, v56
	v_cmp_eq_u32_e32 vcc_lo, 1, v55
	s_wait_dscnt 0x0
	s_delay_alu instid0(VALU_DEP_3) | instskip(NEXT) | instid1(VALU_DEP_1)
	v_dual_add_nc_u32 v4, v11, v4 :: v_dual_bitop2_b32 v5, 1, v5 bitop3:0x40
	v_cndmask_b32_e64 v5, v5, 1, vcc_lo
	ds_bpermute_b32 v11, v44, v4
	v_cmp_gt_u32_e32 vcc_lo, v45, v10
	v_and_b32_e32 v55, 0xffff, v5
	s_delay_alu instid0(VALU_DEP_1) | instskip(NEXT) | instid1(VALU_DEP_1)
	v_dual_cndmask_b32 v5, v5, v7, vcc_lo :: v_dual_cndmask_b32 v7, v55, v54, vcc_lo
	v_and_b32_e32 v55, 1, v5
	ds_bpermute_b32 v54, v46, v7
	s_wait_dscnt 0x1
	v_cndmask_b32_e64 v11, 0, v11, s14
	s_delay_alu instid0(VALU_DEP_1) | instskip(SKIP_2) | instid1(VALU_DEP_3)
	v_cndmask_b32_e64 v11, v11, 0, vcc_lo
	v_cmp_eq_u32_e32 vcc_lo, 1, v55
	v_and_b32_e32 v55, 0xff, v5
	v_add_nc_u32_e32 v4, v11, v4
	s_delay_alu instid0(VALU_DEP_2)
	v_cmp_eq_u16_e64 s14, 0, v55
	s_wait_dscnt 0x0
	v_and_b32_e32 v54, 1, v54
	ds_bpermute_b32 v11, v46, v4
	v_cndmask_b32_e64 v54, v54, 1, vcc_lo
	v_cmp_gt_u32_e32 vcc_lo, v47, v10
	s_delay_alu instid0(VALU_DEP_2) | instskip(SKIP_3) | instid1(VALU_DEP_1)
	v_and_b32_e32 v56, 0xffff, v54
	s_wait_dscnt 0x0
	v_dual_cndmask_b32 v5, v54, v5, vcc_lo :: v_dual_cndmask_b32 v11, 0, v11, s14
	s_mov_b32 s14, 0
	v_cndmask_b32_e64 v11, v11, 0, vcc_lo
	v_cndmask_b32_e32 v7, v56, v7, vcc_lo
	s_delay_alu instid0(VALU_DEP_3) | instskip(NEXT) | instid1(VALU_DEP_3)
	v_and_b32_e32 v56, 0xff, v5
	v_add_nc_u32_e32 v4, v11, v4
	ds_bpermute_b32 v54, v48, v7
	ds_bpermute_b32 v11, v48, v4
	v_and_b32_e32 v55, 1, v5
	s_delay_alu instid0(VALU_DEP_1) | instskip(SKIP_2) | instid1(VALU_DEP_1)
	v_cmp_eq_u32_e32 vcc_lo, 1, v55
	s_wait_dscnt 0x1
	v_and_b32_e32 v54, 1, v54
	v_cndmask_b32_e64 v54, v54, 1, vcc_lo
	v_cmp_eq_u16_e32 vcc_lo, 0, v56
	s_delay_alu instid0(VALU_DEP_2) | instskip(SKIP_3) | instid1(VALU_DEP_2)
	v_and_b32_e32 v55, 0xffff, v54
	s_wait_dscnt 0x0
	v_cndmask_b32_e32 v11, 0, v11, vcc_lo
	v_cmp_gt_u32_e32 vcc_lo, v49, v10
	v_cndmask_b32_e64 v11, v11, 0, vcc_lo
	v_dual_cndmask_b32 v7, v55, v7, vcc_lo :: v_dual_cndmask_b32 v5, v54, v5, vcc_lo
	s_delay_alu instid0(VALU_DEP_2) | instskip(SKIP_4) | instid1(VALU_DEP_1)
	v_add_nc_u32_e32 v4, v11, v4
	ds_bpermute_b32 v7, v52, v7
	v_and_b32_e32 v55, 0xff, v5
	ds_bpermute_b32 v11, v52, v4
	v_and_b32_e32 v54, 1, v5
	v_cmp_eq_u32_e32 vcc_lo, 1, v54
	s_wait_dscnt 0x1
	v_cndmask_b32_e64 v7, v7, 1, vcc_lo
	v_cmp_eq_u16_e32 vcc_lo, 0, v55
	s_wait_dscnt 0x0
	v_cndmask_b32_e32 v11, 0, v11, vcc_lo
	v_cmp_gt_u32_e32 vcc_lo, v53, v10
	v_and_b32_e32 v10, 0xff, v50
	v_cndmask_b32_e32 v5, v7, v5, vcc_lo
	s_delay_alu instid0(VALU_DEP_4) | instskip(NEXT) | instid1(VALU_DEP_3)
	v_cndmask_b32_e64 v7, v11, 0, vcc_lo
	v_cmp_eq_u16_e32 vcc_lo, 0, v10
	s_delay_alu instid0(VALU_DEP_2) | instskip(NEXT) | instid1(VALU_DEP_1)
	v_dual_add_nc_u32 v4, v7, v4 :: v_dual_bitop2_b32 v7, 1, v50 bitop3:0x40
	v_dual_cndmask_b32 v4, 0, v4, vcc_lo :: v_dual_bitop2_b32 v5, 1, v5 bitop3:0x40
	s_delay_alu instid0(VALU_DEP_2) | instskip(NEXT) | instid1(VALU_DEP_2)
	v_cmp_eq_u32_e32 vcc_lo, 1, v7
	v_add_nc_u32_e32 v4, v4, v51
	s_delay_alu instid0(VALU_DEP_3)
	v_cndmask_b32_e64 v5, v5, 1, vcc_lo
.LBB2260_101:                           ;   in Loop: Header=BB2260_102 Depth=1
	s_and_b32 vcc_lo, exec_lo, s14
	s_cbranch_vccnz .LBB2260_157
.LBB2260_102:                           ; =>This Loop Header: Depth=1
                                        ;     Child Loop BB2260_105 Depth 2
	v_and_b32_e32 v6, 0xff, v6
	s_delay_alu instid0(VALU_DEP_2) | instskip(SKIP_1) | instid1(VALU_DEP_2)
	v_dual_mov_b32 v50, v5 :: v_dual_mov_b32 v51, v4
	s_mov_b32 s14, -1
                                        ; implicit-def: $vgpr5
                                        ; implicit-def: $vgpr4
	v_cmp_ne_u16_e32 vcc_lo, 2, v6
                                        ; implicit-def: $vgpr6
	s_cmp_lg_u32 vcc_lo, exec_lo
	s_cbranch_scc1 .LBB2260_101
; %bb.103:                              ;   in Loop: Header=BB2260_102 Depth=1
	v_lshl_add_u64 v[10:11], v[8:9], 4, s[20:21]
	;;#ASMSTART
	global_load_b128 v[4:7], v[10:11] off scope:SCOPE_DEV	
s_wait_loadcnt 0x0
	;;#ASMEND
	v_and_b32_e32 v7, 0xff, v6
	v_and_b32_e32 v5, 0xff, v5
	s_mov_b32 s14, exec_lo
	s_delay_alu instid0(VALU_DEP_2)
	v_cmpx_eq_u16_e32 0, v7
	s_cbranch_execz .LBB2260_100
; %bb.104:                              ;   in Loop: Header=BB2260_102 Depth=1
	s_mov_b32 s15, 0
.LBB2260_105:                           ;   Parent Loop BB2260_102 Depth=1
                                        ; =>  This Inner Loop Header: Depth=2
	;;#ASMSTART
	global_load_b128 v[4:7], v[10:11] off scope:SCOPE_DEV	
s_wait_loadcnt 0x0
	;;#ASMEND
	v_and_b32_e32 v7, 0xff, v6
	s_delay_alu instid0(VALU_DEP_1) | instskip(SKIP_1) | instid1(SALU_CYCLE_1)
	v_cmp_ne_u16_e32 vcc_lo, 0, v7
	s_or_b32 s15, vcc_lo, s15
	s_and_not1_b32 exec_lo, exec_lo, s15
	s_cbranch_execnz .LBB2260_105
	s_branch .LBB2260_99
.LBB2260_106:
	s_or_b32 exec_lo, exec_lo, s14
                                        ; implicit-def: $vgpr16
	s_and_saveexec_b32 s14, s1
	s_cbranch_execz .LBB2260_33
.LBB2260_107:
	flat_load_b32 v16, v0, s[24:25] offset:1024 scale_offset
	s_wait_xcnt 0x0
	s_or_b32 exec_lo, exec_lo, s14
                                        ; implicit-def: $vgpr17
	s_and_saveexec_b32 s1, s4
	s_cbranch_execnz .LBB2260_34
.LBB2260_108:
	s_or_b32 exec_lo, exec_lo, s1
                                        ; implicit-def: $vgpr18
	s_and_saveexec_b32 s1, s5
	s_cbranch_execz .LBB2260_35
.LBB2260_109:
	flat_load_b32 v18, v0, s[24:25] offset:3072 scale_offset
	s_wait_xcnt 0x0
	s_or_b32 exec_lo, exec_lo, s1
                                        ; implicit-def: $vgpr19
	s_and_saveexec_b32 s1, s6
	s_cbranch_execnz .LBB2260_36
.LBB2260_110:
	s_or_b32 exec_lo, exec_lo, s1
                                        ; implicit-def: $vgpr20
	s_and_saveexec_b32 s1, s7
	s_cbranch_execz .LBB2260_37
.LBB2260_111:
	flat_load_b32 v20, v0, s[24:25] offset:5120 scale_offset
	s_wait_xcnt 0x0
	s_or_b32 exec_lo, exec_lo, s1
                                        ; implicit-def: $vgpr21
	s_and_saveexec_b32 s1, s8
	s_cbranch_execnz .LBB2260_38
.LBB2260_112:
	s_or_b32 exec_lo, exec_lo, s1
                                        ; implicit-def: $vgpr22
	s_and_saveexec_b32 s1, s9
	s_cbranch_execz .LBB2260_39
.LBB2260_113:
	flat_load_b32 v22, v0, s[24:25] offset:7168 scale_offset
	s_wait_xcnt 0x0
	s_or_b32 exec_lo, exec_lo, s1
                                        ; implicit-def: $vgpr23
	s_and_saveexec_b32 s1, s10
	s_cbranch_execnz .LBB2260_40
.LBB2260_114:
	s_or_b32 exec_lo, exec_lo, s1
                                        ; implicit-def: $vgpr24
	s_and_saveexec_b32 s1, s11
	s_cbranch_execz .LBB2260_41
.LBB2260_115:
	flat_load_b32 v24, v0, s[24:25] offset:9216 scale_offset
	s_wait_xcnt 0x0
	s_or_b32 exec_lo, exec_lo, s1
                                        ; implicit-def: $vgpr25
	s_and_saveexec_b32 s1, s12
	s_cbranch_execz .LBB2260_43
	s_branch .LBB2260_42
.LBB2260_116:
                                        ; implicit-def: $vgpr13
                                        ; implicit-def: $vgpr9
                                        ; implicit-def: $vgpr5
	s_cbranch_execnz .LBB2260_162
.LBB2260_117:
	s_add_nc_u64 s[2:3], s[18:19], s[28:29]
	s_and_b32 vcc_lo, exec_lo, s0
	s_add_nc_u64 s[0:1], s[2:3], s[16:17]
	s_cbranch_vccz .LBB2260_179
.LBB2260_118:
	v_mul_u32_u24_e32 v1, 12, v0
	s_add_co_i32 s23, s23, s22
	s_mov_b32 s2, exec_lo
	s_delay_alu instid0(VALU_DEP_1)
	v_cmpx_gt_u32_e64 s23, v1
	s_cbranch_execz .LBB2260_134
; %bb.119:
	v_or_b32_e32 v14, 1, v1
	s_mov_b32 s3, exec_lo
	s_delay_alu instid0(VALU_DEP_1)
	v_cmpx_gt_u32_e64 s23, v14
	s_cbranch_execz .LBB2260_133
; %bb.120:
	v_or_b32_e32 v14, 2, v1
	;; [unrolled: 6-line block ×3, first 2 shown]
	s_mov_b32 s5, exec_lo
	s_delay_alu instid0(VALU_DEP_1)
	v_cmpx_gt_u32_e64 s23, v14
	s_cbranch_execz .LBB2260_131
; %bb.122:
	v_add_nc_u32_e32 v14, 4, v1
	s_mov_b32 s6, exec_lo
	s_delay_alu instid0(VALU_DEP_1)
	v_cmpx_gt_u32_e64 s23, v14
	s_cbranch_execz .LBB2260_130
; %bb.123:
	v_add_nc_u32_e32 v14, 5, v1
	;; [unrolled: 6-line block ×4, first 2 shown]
	s_mov_b32 s9, exec_lo
	s_delay_alu instid0(VALU_DEP_1)
	v_cmpx_gt_u32_e64 s23, v14
; %bb.126:
	v_add_nc_u32_e32 v14, 8, v1
	s_mov_b32 s10, exec_lo
	s_delay_alu instid0(VALU_DEP_1)
	v_cmpx_gt_u32_e64 s23, v14
	s_or_b32 exec_lo, exec_lo, s10
; %bb.127:
	s_delay_alu instid0(SALU_CYCLE_1)
	s_or_b32 exec_lo, exec_lo, s9
.LBB2260_128:
	s_delay_alu instid0(SALU_CYCLE_1)
	s_or_b32 exec_lo, exec_lo, s8
.LBB2260_129:
	s_delay_alu instid0(SALU_CYCLE_1)
	s_or_b32 exec_lo, exec_lo, s7
.LBB2260_130:
	s_delay_alu instid0(SALU_CYCLE_1)
	s_or_b32 exec_lo, exec_lo, s6
.LBB2260_131:
	s_delay_alu instid0(SALU_CYCLE_1)
	s_or_b32 exec_lo, exec_lo, s5
.LBB2260_132:
	s_delay_alu instid0(SALU_CYCLE_1)
	s_or_b32 exec_lo, exec_lo, s4
.LBB2260_133:
	s_delay_alu instid0(SALU_CYCLE_1)
	s_or_b32 exec_lo, exec_lo, s3
.LBB2260_134:
	s_delay_alu instid0(SALU_CYCLE_1) | instskip(SKIP_3) | instid1(VALU_DEP_1)
	s_or_b32 exec_lo, exec_lo, s2
	v_dual_lshlrev_b32 v1, 2, v1 :: v_dual_mov_b32 v17, 0
	s_barrier_signal -1
	s_barrier_wait -1
	v_mad_i32_i24 v14, 0xffffffd4, v0, v1
	ds_store_b128 v1, v[2:5]
	ds_store_b128 v1, v[6:9] offset:16
	ds_store_b128 v1, v[10:13] offset:32
	s_wait_dscnt 0x0
	s_barrier_signal -1
	s_barrier_wait -1
	ds_load_2addr_stride64_b32 v[26:27], v14 offset0:4 offset1:8
	ds_load_2addr_stride64_b32 v[24:25], v14 offset0:12 offset1:16
	;; [unrolled: 1-line block ×5, first 2 shown]
	ds_load_b32 v15, v14 offset:11264
	v_add_nc_u64_e32 v[16:17], s[0:1], v[16:17]
	s_mov_b32 s2, exec_lo
	v_cmpx_gt_u32_e64 s23, v0
	s_cbranch_execz .LBB2260_136
; %bb.135:
	v_mul_i32_i24_e32 v14, 0xffffffd4, v0
	s_delay_alu instid0(VALU_DEP_1)
	v_add_nc_u32_e32 v1, v1, v14
	ds_load_b32 v1, v1
	s_wait_dscnt 0x0
	flat_store_b32 v[16:17], v1
.LBB2260_136:
	s_wait_xcnt 0x0
	s_or_b32 exec_lo, exec_lo, s2
	v_or_b32_e32 v1, 0x100, v0
	s_mov_b32 s2, exec_lo
	s_delay_alu instid0(VALU_DEP_1)
	v_cmpx_gt_u32_e64 s23, v1
	s_cbranch_execz .LBB2260_138
; %bb.137:
	s_wait_dscnt 0x5
	flat_store_b32 v[16:17], v26 offset:1024
.LBB2260_138:
	s_wait_xcnt 0x0
	s_or_b32 exec_lo, exec_lo, s2
	v_or_b32_e32 v1, 0x200, v0
	s_mov_b32 s2, exec_lo
	s_delay_alu instid0(VALU_DEP_1)
	v_cmpx_gt_u32_e64 s23, v1
	s_cbranch_execz .LBB2260_140
; %bb.139:
	s_wait_dscnt 0x5
	flat_store_b32 v[16:17], v27 offset:2048
.LBB2260_140:
	;; [unrolled: 11-line block ×10, first 2 shown]
	s_wait_xcnt 0x0
	s_or_b32 exec_lo, exec_lo, s2
	v_or_b32_e32 v1, 0xb00, v0
	s_delay_alu instid0(VALU_DEP_1)
	v_cmp_gt_u32_e64 s2, s23, v1
	s_branch .LBB2260_181
.LBB2260_157:
	s_and_saveexec_b32 s14, s13
	s_cbranch_execz .LBB2260_159
; %bb.158:
	v_and_b32_e32 v4, 0xff, v3
	s_mov_b32 s25, 0
	s_add_co_i32 s24, s36, 32
	v_and_b32_e32 v5, 1, v50
	s_lshl_b64 s[24:25], s[24:25], 4
	v_cmp_eq_u32_e32 vcc_lo, 0, v4
	s_add_nc_u64 s[24:25], s[20:21], s[24:25]
	s_delay_alu instid0(SALU_CYCLE_1) | instskip(SKIP_1) | instid1(VALU_DEP_1)
	v_mov_b64_e32 v[6:7], s[24:25]
	v_cndmask_b32_e32 v4, 0, v51, vcc_lo
	v_dual_add_nc_u32 v2, v4, v2 :: v_dual_bitop2_b32 v3, 1, v3 bitop3:0x40
	s_delay_alu instid0(VALU_DEP_1)
	v_cmp_eq_u32_e32 vcc_lo, 1, v3
	v_mov_b32_e32 v4, 2
	v_cndmask_b32_e64 v3, v5, 1, vcc_lo
	v_mov_b32_e32 v5, 0
	;;#ASMSTART
	global_store_b128 v[6:7], v[2:5] off scope:SCOPE_DEV	
s_wait_storecnt 0x0
	;;#ASMEND
.LBB2260_159:
	s_or_b32 exec_lo, exec_lo, s14
	s_delay_alu instid0(SALU_CYCLE_1)
	s_and_b32 exec_lo, exec_lo, s2
	s_cbranch_execz .LBB2260_161
; %bb.160:
	v_mov_b32_e32 v2, 0
	ds_store_b32 v2, v51
	ds_store_b8 v2, v50 offset:4
.LBB2260_161:
	s_or_b32 exec_lo, exec_lo, s34
	s_wait_dscnt 0x0
	v_and_b32_e32 v3, 0xff, v13
	s_barrier_signal -1
	s_barrier_wait -1
	s_delay_alu instid0(VALU_DEP_1)
	v_cmp_eq_u16_e32 vcc_lo, 0, v3
	v_mov_b32_e32 v4, 0
	v_and_b32_e32 v5, 0xff, v15
	ds_load_b32 v2, v4
	s_wait_dscnt 0x0
	v_cndmask_b32_e32 v3, 0, v2, vcc_lo
	v_cmp_eq_u64_e32 vcc_lo, 0, v[4:5]
	s_delay_alu instid0(VALU_DEP_2) | instskip(NEXT) | instid1(VALU_DEP_1)
	v_add_nc_u32_e32 v3, v3, v12
	v_cndmask_b32_e64 v2, v3, v2, s2
	s_delay_alu instid0(VALU_DEP_1) | instskip(NEXT) | instid1(VALU_DEP_1)
	v_cndmask_b32_e32 v3, 0, v2, vcc_lo
	v_add_nc_u32_e32 v3, v3, v14
	s_delay_alu instid0(VALU_DEP_1) | instskip(NEXT) | instid1(VALU_DEP_1)
	v_cndmask_b32_e64 v4, 0, v3, s1
	v_add_nc_u32_e32 v4, v4, v36
	s_delay_alu instid0(VALU_DEP_1) | instskip(NEXT) | instid1(VALU_DEP_1)
	v_cndmask_b32_e64 v5, 0, v4, s4
	;; [unrolled: 3-line block ×10, first 2 shown]
	v_add_nc_u32_e32 v13, v13, v18
	s_branch .LBB2260_117
.LBB2260_162:
	s_cmp_eq_u64 s[30:31], 0
	v_mov_b32_e32 v41, s33
	s_cselect_b32 s1, -1, 0
	s_cmp_eq_u64 s[26:27], 0
	s_cselect_b32 s4, -1, 0
	s_delay_alu instid0(SALU_CYCLE_1) | instskip(NEXT) | instid1(SALU_CYCLE_1)
	s_or_b32 s1, s1, s4
	s_and_b32 vcc_lo, exec_lo, s1
	s_cbranch_vccnz .LBB2260_164
; %bb.163:
	v_mov_b32_e32 v2, 0
	global_load_b32 v41, v2, s[26:27]
.LBB2260_164:
	s_mov_b64 s[12:13], 0x100000000
	v_or3_b32 v3, v40, v27, v29
	v_cmp_gt_u64_e32 vcc_lo, s[12:13], v[36:37]
	v_cmp_gt_u64_e64 s1, s[12:13], v[34:35]
	v_cmp_gt_u64_e64 s4, s[12:13], v[32:33]
	;; [unrolled: 1-line block ×6, first 2 shown]
	s_wait_xcnt 0x0
	v_dual_cndmask_b32 v2, 0, v14, vcc_lo :: v_dual_bitop2_b32 v1, 56, v1 bitop3:0x40
	v_cmp_gt_u64_e64 s9, s[12:13], v[22:23]
	v_cmp_gt_u64_e64 s10, s[12:13], v[20:21]
	;; [unrolled: 1-line block ×3, first 2 shown]
	s_delay_alu instid0(VALU_DEP_4)
	v_add_nc_u32_e32 v2, v2, v36
	v_cmp_gt_u64_e64 s12, s[12:13], v[38:39]
	v_or3_b32 v3, v3, v31, v33
	v_lshl_add_u32 v1, v0, 3, v1
	s_mov_b32 s13, exec_lo
	v_cndmask_b32_e64 v2, 0, v2, s1
	s_delay_alu instid0(VALU_DEP_3) | instskip(NEXT) | instid1(VALU_DEP_2)
	v_or3_b32 v3, v3, v35, v37
	v_add_nc_u32_e32 v2, v2, v34
	s_delay_alu instid0(VALU_DEP_2) | instskip(NEXT) | instid1(VALU_DEP_2)
	v_or3_b32 v3, v39, v17, v3
	v_cndmask_b32_e64 v2, 0, v2, s4
	s_delay_alu instid0(VALU_DEP_2) | instskip(NEXT) | instid1(VALU_DEP_2)
	v_and_b32_e32 v3, 0xff, v3
	v_add_nc_u32_e32 v2, v2, v32
	s_delay_alu instid0(VALU_DEP_1) | instskip(NEXT) | instid1(VALU_DEP_1)
	v_cndmask_b32_e64 v2, 0, v2, s5
	v_add_nc_u32_e32 v2, v2, v30
	s_delay_alu instid0(VALU_DEP_1) | instskip(NEXT) | instid1(VALU_DEP_1)
	v_cndmask_b32_e64 v2, 0, v2, s6
	;; [unrolled: 3-line block ×7, first 2 shown]
	v_dual_add_nc_u32 v4, v2, v18 :: v_dual_mov_b32 v2, 0
	s_delay_alu instid0(VALU_DEP_1) | instskip(NEXT) | instid1(VALU_DEP_2)
	v_cndmask_b32_e64 v4, 0, v4, s12
	v_cmp_eq_u64_e64 s12, 0, v[2:3]
	s_delay_alu instid0(VALU_DEP_1)
	v_dual_add_nc_u32 v4, v4, v38 :: v_dual_cndmask_b32 v5, 1, v15, s12
	ds_store_b32 v1, v4
	ds_store_b8 v1, v5 offset:4
	s_wait_loadcnt_dscnt 0x0
	s_barrier_signal -1
	s_barrier_wait -1
	v_cmpx_gt_u32_e32 32, v0
	s_cbranch_execz .LBB2260_174
; %bb.165:
	v_dual_lshlrev_b32 v1, 1, v0 :: v_dual_lshlrev_b32 v2, 6, v0
	s_mov_b32 s14, exec_lo
	s_delay_alu instid0(VALU_DEP_1) | instskip(NEXT) | instid1(VALU_DEP_1)
	v_and_b32_e32 v1, 0x1f8, v1
	v_add_nc_u32_e32 v1, v1, v2
	ds_load_u8 v12, v1 offset:12
	ds_load_b64 v[2:3], v1
	ds_load_2addr_b32 v[6:7], v1 offset0:2 offset1:4
	ds_load_u8 v13, v1 offset:20
	ds_load_u8 v17, v1 offset:28
	;; [unrolled: 1-line block ×5, first 2 shown]
	ds_load_b32 v25, v1 offset:56
	s_wait_dscnt 0x8
	v_cmp_eq_u16_e64 s12, 0, v12
	s_wait_dscnt 0x7
	s_delay_alu instid0(VALU_DEP_1)
	v_cndmask_b32_e64 v10, 0, v2, s12
	ds_load_2addr_b32 v[8:9], v1 offset0:6 offset1:8
	s_wait_dscnt 0x6
	v_cmp_eq_u16_e64 s12, 0, v13
	v_add_nc_u32_e32 v6, v10, v6
	ds_load_2addr_b32 v[10:11], v1 offset0:10 offset1:12
	v_cndmask_b32_e64 v6, 0, v6, s12
	s_wait_dscnt 0x6
	v_cmp_eq_u16_e64 s12, 0, v17
	s_delay_alu instid0(VALU_DEP_2) | instskip(NEXT) | instid1(VALU_DEP_1)
	v_dual_add_nc_u32 v6, v6, v7 :: v_dual_bitop2_b32 v7, v13, v12 bitop3:0x54
	v_cndmask_b32_e64 v6, 0, v6, s12
	s_wait_dscnt 0x5
	v_cmp_eq_u16_e64 s12, 0, v19
	s_delay_alu instid0(VALU_DEP_3)
	v_bitop3_b16 v7, v7, v19, v17 bitop3:0xfe
	s_wait_dscnt 0x1
	v_add_nc_u32_e32 v6, v6, v8
	ds_load_u8 v8, v1 offset:60
	v_bitop3_b16 v7, v7, v23, v21 bitop3:0xfe
	v_cndmask_b32_e64 v6, 0, v6, s12
	v_cmp_eq_u16_e64 s12, 0, v21
	s_delay_alu instid0(VALU_DEP_2) | instskip(NEXT) | instid1(VALU_DEP_1)
	v_add_nc_u32_e32 v6, v6, v9
	v_dual_cndmask_b32 v9, 0, v6, s12 :: v_dual_bitop2_b32 v6, 1, v3 bitop3:0x40
	v_cmp_eq_u16_e64 s12, 0, v7
	s_wait_dscnt 0x0
	s_delay_alu instid0(VALU_DEP_2) | instskip(NEXT) | instid1(VALU_DEP_2)
	v_dual_add_nc_u32 v9, v9, v10 :: v_dual_bitop2_b32 v10, 1, v8 bitop3:0x40
	v_cndmask_b32_e64 v7, 1, v6, s12
	v_cmp_eq_u16_e64 s12, 0, v23
	s_delay_alu instid0(VALU_DEP_1) | instskip(NEXT) | instid1(VALU_DEP_4)
	v_cndmask_b32_e64 v9, 0, v9, s12
	v_cmp_eq_u32_e64 s12, 1, v10
	s_delay_alu instid0(VALU_DEP_2) | instskip(NEXT) | instid1(VALU_DEP_2)
	v_add_nc_u32_e32 v9, v9, v11
	v_cndmask_b32_e64 v10, v7, 1, s12
	v_cmp_eq_u16_e64 s12, 0, v8
	v_and_b32_e32 v7, 0xffffff00, v3
	s_delay_alu instid0(VALU_DEP_3) | instskip(NEXT) | instid1(VALU_DEP_3)
	v_and_b32_e32 v11, 0xffff, v10
	v_cndmask_b32_e64 v8, 0, v9, s12
	v_mbcnt_lo_u32_b32 v9, -1, 0
	s_delay_alu instid0(VALU_DEP_2) | instskip(NEXT) | instid1(VALU_DEP_2)
	v_dual_add_nc_u32 v8, v8, v25 :: v_dual_bitop2_b32 v12, v7, v11 bitop3:0x54
	v_and_b32_e32 v11, 15, v9
	s_delay_alu instid0(VALU_DEP_2) | instskip(NEXT) | instid1(VALU_DEP_3)
	v_mov_b32_dpp v17, v12 row_shr:1 row_mask:0xf bank_mask:0xf
	v_mov_b32_dpp v13, v8 row_shr:1 row_mask:0xf bank_mask:0xf
	s_delay_alu instid0(VALU_DEP_3)
	v_cmpx_ne_u32_e32 0, v11
	s_cbranch_execz .LBB2260_167
; %bb.166:
	v_and_b32_e32 v12, 1, v10
	v_and_b32_e32 v17, 1, v17
	s_delay_alu instid0(VALU_DEP_2) | instskip(NEXT) | instid1(VALU_DEP_1)
	v_cmp_eq_u32_e64 s12, 1, v12
	v_cndmask_b32_e64 v17, v17, 1, s12
	v_cmp_eq_u16_e64 s12, 0, v10
	s_delay_alu instid0(VALU_DEP_2) | instskip(NEXT) | instid1(VALU_DEP_1)
	v_and_b32_e32 v12, 0xffff, v17
	v_dual_cndmask_b32 v10, 0, v13, s12 :: v_dual_bitop2_b32 v12, v7, v12 bitop3:0x54
	s_delay_alu instid0(VALU_DEP_1)
	v_dual_add_nc_u32 v8, v10, v8 :: v_dual_mov_b32 v10, v17
.LBB2260_167:
	s_or_b32 exec_lo, exec_lo, s14
	s_delay_alu instid0(VALU_DEP_1) | instskip(NEXT) | instid1(VALU_DEP_3)
	v_mov_b32_dpp v13, v8 row_shr:2 row_mask:0xf bank_mask:0xf
	v_mov_b32_dpp v17, v12 row_shr:2 row_mask:0xf bank_mask:0xf
	s_mov_b32 s14, exec_lo
	v_cmpx_lt_u32_e32 1, v11
	s_cbranch_execz .LBB2260_169
; %bb.168:
	v_and_b32_e32 v12, 1, v10
	v_and_b32_e32 v17, 1, v17
	s_delay_alu instid0(VALU_DEP_2) | instskip(NEXT) | instid1(VALU_DEP_1)
	v_cmp_eq_u32_e64 s12, 1, v12
	v_cndmask_b32_e64 v17, v17, 1, s12
	v_cmp_eq_u16_e64 s12, 0, v10
	s_delay_alu instid0(VALU_DEP_2) | instskip(NEXT) | instid1(VALU_DEP_1)
	v_and_b32_e32 v12, 0xffff, v17
	v_dual_cndmask_b32 v10, 0, v13, s12 :: v_dual_bitop2_b32 v12, v7, v12 bitop3:0x54
	s_delay_alu instid0(VALU_DEP_1)
	v_dual_add_nc_u32 v8, v10, v8 :: v_dual_mov_b32 v10, v17
.LBB2260_169:
	s_or_b32 exec_lo, exec_lo, s14
	s_delay_alu instid0(VALU_DEP_1) | instskip(NEXT) | instid1(VALU_DEP_3)
	v_mov_b32_dpp v13, v8 row_shr:4 row_mask:0xf bank_mask:0xf
	v_mov_b32_dpp v17, v12 row_shr:4 row_mask:0xf bank_mask:0xf
	s_mov_b32 s14, exec_lo
	v_cmpx_lt_u32_e32 3, v11
	;; [unrolled: 20-line block ×3, first 2 shown]
	s_cbranch_execz .LBB2260_173
; %bb.172:
	v_and_b32_e32 v11, 1, v10
	v_and_b32_e32 v12, 1, v17
	s_delay_alu instid0(VALU_DEP_2) | instskip(NEXT) | instid1(VALU_DEP_1)
	v_cmp_eq_u32_e64 s12, 1, v11
	v_cndmask_b32_e64 v11, v12, 1, s12
	v_cmp_eq_u16_e64 s12, 0, v10
	s_delay_alu instid0(VALU_DEP_2) | instskip(NEXT) | instid1(VALU_DEP_1)
	v_and_b32_e32 v12, 0xffff, v11
	v_dual_cndmask_b32 v10, 0, v13, s12 :: v_dual_bitop2_b32 v12, v7, v12 bitop3:0x54
	s_delay_alu instid0(VALU_DEP_1)
	v_dual_add_nc_u32 v8, v10, v8 :: v_dual_mov_b32 v10, v11
.LBB2260_173:
	s_or_b32 exec_lo, exec_lo, s14
	ds_swizzle_b32 v11, v12 offset:swizzle(BROADCAST,32,15)
	ds_swizzle_b32 v12, v8 offset:swizzle(BROADCAST,32,15)
	v_and_b32_e32 v13, 1, v10
	v_bfe_i32 v19, v9, 4, 1
	v_and_b32_e32 v3, 0xff, v3
	; wave barrier
	s_delay_alu instid0(VALU_DEP_3) | instskip(SKIP_2) | instid1(VALU_DEP_1)
	v_cmp_eq_u32_e64 s12, 1, v13
	s_wait_dscnt 0x1
	v_dual_add_nc_u32 v13, -1, v9 :: v_dual_bitop2_b32 v11, 1, v11 bitop3:0x40
	v_cndmask_b32_e64 v11, v11, 1, s12
	v_and_b32_e32 v17, 16, v9
	v_cmp_eq_u16_e64 s12, 0, v10
	s_wait_dscnt 0x0
	s_delay_alu instid0(VALU_DEP_1) | instskip(NEXT) | instid1(VALU_DEP_3)
	v_cndmask_b32_e64 v12, 0, v12, s12
	v_cmp_eq_u32_e64 s12, 0, v17
	s_delay_alu instid0(VALU_DEP_1) | instskip(SKIP_1) | instid1(VALU_DEP_4)
	v_cndmask_b32_e64 v10, v11, v10, s12
	v_cmp_gt_i32_e64 s12, 0, v13
	v_and_b32_e32 v11, v19, v12
	s_delay_alu instid0(VALU_DEP_3) | instskip(NEXT) | instid1(VALU_DEP_2)
	v_and_b32_e32 v10, 0xffff, v10
	v_dual_cndmask_b32 v9, v13, v9, s12 :: v_dual_add_nc_u32 v8, v11, v8
	v_cmp_eq_u16_e64 s12, 0, v3
	s_delay_alu instid0(VALU_DEP_2)
	v_lshlrev_b32_e32 v9, 2, v9
	ds_bpermute_b32 v8, v9, v8
	s_wait_dscnt 0x0
	v_dual_cndmask_b32 v3, 0, v8, s12 :: v_dual_bitop2_b32 v7, v7, v10 bitop3:0x54
	ds_bpermute_b32 v7, v9, v7
	v_cmp_eq_u32_e64 s12, 1, v6
	s_wait_dscnt 0x0
	v_dual_add_nc_u32 v2, v3, v2 :: v_dual_bitop2_b32 v7, 1, v7 bitop3:0x40
	s_delay_alu instid0(VALU_DEP_1) | instskip(NEXT) | instid1(VALU_DEP_1)
	v_cndmask_b32_e64 v3, v7, 1, s12
	v_dual_cndmask_b32 v4, v2, v4, s2 :: v_dual_cndmask_b32 v6, v3, v5, s2
	ds_store_b32 v1, v4
	ds_store_b8 v1, v6 offset:4
	; wave barrier
	ds_load_u8 v7, v1 offset:12
	ds_load_2addr_b32 v[2:3], v1 offset0:2 offset1:4
	ds_load_u8 v8, v1 offset:20
	ds_load_u8 v9, v1 offset:28
	;; [unrolled: 1-line block ×5, first 2 shown]
	ds_load_b32 v13, v1 offset:56
	ds_load_u8 v17, v1 offset:60
	s_wait_dscnt 0x8
	v_cmp_eq_u16_e64 s12, 0, v7
	s_delay_alu instid0(VALU_DEP_1) | instskip(SKIP_4) | instid1(VALU_DEP_1)
	v_cndmask_b32_e64 v19, 0, v4, s12
	ds_load_2addr_b32 v[4:5], v1 offset0:6 offset1:8
	s_wait_dscnt 0x7
	v_cmp_eq_u16_e64 s12, 0, v8
	v_add_nc_u32_e32 v19, v19, v2
	v_cndmask_b32_e64 v2, 0, v19, s12
	s_wait_dscnt 0x6
	v_cmp_eq_u16_e64 s12, 0, v9
	s_delay_alu instid0(VALU_DEP_2)
	v_add_nc_u32_e32 v21, v2, v3
	ds_load_2addr_b32 v[2:3], v1 offset0:10 offset1:12
	v_cndmask_b32_e64 v23, 0, v21, s12
	s_wait_dscnt 0x6
	v_cmp_eq_u16_e64 s12, 0, v10
	ds_store_2addr_b32 v1, v19, v21 offset0:2 offset1:4
	s_wait_dscnt 0x2
	v_dual_add_nc_u32 v4, v23, v4 :: v_dual_bitop2_b32 v7, 1, v7 bitop3:0x40
	s_delay_alu instid0(VALU_DEP_1) | instskip(SKIP_1) | instid1(VALU_DEP_3)
	v_cndmask_b32_e64 v23, 0, v4, s12
	v_and_b32_e32 v8, 1, v8
	v_cmp_eq_u32_e64 s12, 1, v7
	v_and_b32_e32 v7, 1, v9
	s_delay_alu instid0(VALU_DEP_4) | instskip(NEXT) | instid1(VALU_DEP_3)
	v_add_nc_u32_e32 v5, v23, v5
	v_cndmask_b32_e64 v6, v6, 1, s12
	v_cmp_eq_u32_e64 s12, 1, v8
	s_delay_alu instid0(VALU_DEP_1) | instskip(SKIP_1) | instid1(VALU_DEP_1)
	v_cndmask_b32_e64 v8, v6, 1, s12
	v_cmp_eq_u16_e64 s12, 0, v11
	v_dual_cndmask_b32 v10, 0, v5, s12 :: v_dual_bitop2_b32 v9, 1, v10 bitop3:0x40
	s_wait_dscnt 0x1
	s_delay_alu instid0(VALU_DEP_1) | instskip(SKIP_2) | instid1(VALU_DEP_2)
	v_add_nc_u32_e32 v2, v10, v2
	v_cmp_eq_u32_e64 s12, 1, v7
	v_and_b32_e32 v10, 1, v12
	v_cndmask_b32_e64 v7, v8, 1, s12
	v_cmp_eq_u32_e64 s12, 1, v9
	s_delay_alu instid0(VALU_DEP_1) | instskip(SKIP_1) | instid1(VALU_DEP_1)
	v_cndmask_b32_e64 v9, v7, 1, s12
	v_cmp_eq_u16_e64 s12, 0, v12
	v_dual_cndmask_b32 v12, 0, v2, s12 :: v_dual_bitop2_b32 v11, 1, v11 bitop3:0x40
	s_delay_alu instid0(VALU_DEP_1) | instskip(NEXT) | instid1(VALU_DEP_2)
	v_cmp_eq_u32_e64 s12, 1, v11
	v_add_nc_u32_e32 v3, v12, v3
	s_delay_alu instid0(VALU_DEP_2)
	v_cndmask_b32_e64 v11, v9, 1, s12
	v_cmp_eq_u32_e64 s12, 1, v10
	ds_store_2addr_b32 v1, v4, v5 offset0:6 offset1:8
	ds_store_2addr_b32 v1, v2, v3 offset0:10 offset1:12
	v_cndmask_b32_e64 v10, v11, 1, s12
	v_cmp_eq_u16_e64 s12, 0, v17
	s_delay_alu instid0(VALU_DEP_1) | instskip(NEXT) | instid1(VALU_DEP_1)
	v_dual_cndmask_b32 v12, 0, v3, s12 :: v_dual_bitop2_b32 v23, 1, v17 bitop3:0x40
	v_cmp_eq_u32_e64 s12, 1, v23
	s_delay_alu instid0(VALU_DEP_2) | instskip(NEXT) | instid1(VALU_DEP_2)
	v_add_nc_u32_e32 v2, v12, v13
	v_cndmask_b32_e64 v17, v10, 1, s12
	ds_store_b8 v1, v6 offset:12
	ds_store_b8 v1, v8 offset:20
	;; [unrolled: 1-line block ×6, first 2 shown]
	ds_store_b32 v1, v2 offset:56
	ds_store_b8 v1, v17 offset:60
.LBB2260_174:
	s_or_b32 exec_lo, exec_lo, s13
	v_mov_b32_e32 v2, v41
	s_wait_dscnt 0x0
	s_barrier_signal -1
	s_barrier_wait -1
	s_and_saveexec_b32 s12, s3
	s_cbranch_execz .LBB2260_176
; %bb.175:
	v_add_nc_u32_e32 v1, -1, v0
	s_delay_alu instid0(VALU_DEP_1) | instskip(NEXT) | instid1(VALU_DEP_1)
	v_lshrrev_b32_e32 v2, 2, v1
	v_and_b32_e32 v2, 0x3ffffff8, v2
	s_delay_alu instid0(VALU_DEP_1) | instskip(SKIP_4) | instid1(VALU_DEP_1)
	v_lshl_add_u32 v1, v1, 3, v2
	ds_load_u8 v2, v1 offset:4
	ds_load_b32 v1, v1
	s_wait_dscnt 0x1
	v_cmp_eq_u16_e64 s3, 0, v2
	v_cndmask_b32_e64 v2, 0, v41, s3
	s_wait_dscnt 0x0
	s_delay_alu instid0(VALU_DEP_1)
	v_add_nc_u32_e32 v2, v2, v1
.LBB2260_176:
	s_or_b32 exec_lo, exec_lo, s12
	v_and_b32_e32 v39, 0xff, v15
	v_mov_b32_e32 v38, 0
	s_delay_alu instid0(VALU_DEP_1) | instskip(NEXT) | instid1(VALU_DEP_1)
	v_cmp_eq_u64_e64 s3, 0, v[38:39]
	v_cndmask_b32_e64 v1, 0, v2, s3
	s_delay_alu instid0(VALU_DEP_1) | instskip(NEXT) | instid1(VALU_DEP_1)
	v_add_nc_u32_e32 v3, v1, v14
	v_cndmask_b32_e32 v1, 0, v3, vcc_lo
	s_delay_alu instid0(VALU_DEP_1) | instskip(NEXT) | instid1(VALU_DEP_1)
	v_add_nc_u32_e32 v4, v1, v36
	v_cndmask_b32_e64 v1, 0, v4, s1
	s_delay_alu instid0(VALU_DEP_1) | instskip(NEXT) | instid1(VALU_DEP_1)
	v_add_nc_u32_e32 v5, v1, v34
	v_cndmask_b32_e64 v1, 0, v5, s4
	;; [unrolled: 3-line block ×9, first 2 shown]
	s_delay_alu instid0(VALU_DEP_1)
	v_add_nc_u32_e32 v13, v1, v18
	s_and_saveexec_b32 s1, s2
	s_cbranch_execz .LBB2260_178
; %bb.177:
	ds_load_u8 v1, v38 offset:2100
	ds_load_b32 v17, v38 offset:2096
	v_mov_b32_e32 v15, v38
	s_add_nc_u64 s[2:3], s[20:21], 0x200
	v_dual_mov_b32 v20, 2 :: v_dual_mov_b32 v21, v38
	s_wait_dscnt 0x1
	v_and_b32_e32 v14, 0xffff, v1
	s_delay_alu instid0(VALU_DEP_1) | instskip(SKIP_3) | instid1(VALU_DEP_2)
	v_cmp_eq_u64_e32 vcc_lo, 0, v[14:15]
	v_dual_cndmask_b32 v1, 0, v41, vcc_lo :: v_dual_mov_b32 v19, v14
	v_mov_b64_e32 v[14:15], s[2:3]
	s_wait_dscnt 0x0
	v_add_nc_u32_e32 v18, v1, v17
	;;#ASMSTART
	global_store_b128 v[14:15], v[18:21] off scope:SCOPE_DEV	
s_wait_storecnt 0x0
	;;#ASMEND
.LBB2260_178:
	s_or_b32 exec_lo, exec_lo, s1
	s_add_nc_u64 s[2:3], s[18:19], s[28:29]
	s_and_b32 vcc_lo, exec_lo, s0
	s_add_nc_u64 s[0:1], s[2:3], s[16:17]
	s_cbranch_vccnz .LBB2260_118
.LBB2260_179:
	s_mov_b32 s2, 0
                                        ; implicit-def: $vgpr15
	s_cbranch_execz .LBB2260_181
; %bb.180:
	v_mul_u32_u24_e32 v1, 48, v0
	v_mul_i32_i24_e32 v14, 0xffffffd4, v0
	s_wait_storecnt_dscnt 0x0
	s_barrier_signal -1
	s_barrier_wait -1
	ds_store_b128 v1, v[2:5]
	ds_store_b128 v1, v[6:9] offset:16
	ds_store_b128 v1, v[10:13] offset:32
	v_mad_u32_u24 v1, v0, 48, v14
	s_wait_dscnt 0x0
	s_barrier_signal -1
	s_barrier_wait -1
	ds_load_2addr_stride64_b32 v[2:3], v1 offset1:4
	ds_load_2addr_stride64_b32 v[4:5], v1 offset0:8 offset1:12
	ds_load_2addr_stride64_b32 v[6:7], v1 offset0:16 offset1:20
	;; [unrolled: 1-line block ×5, first 2 shown]
	s_or_b32 s2, s2, exec_lo
	s_wait_dscnt 0x5
	s_clause 0x1
	flat_store_b32 v0, v2, s[0:1] scale_offset
	flat_store_b32 v0, v3, s[0:1] offset:1024 scale_offset
	s_wait_dscnt 0x6
	s_clause 0x1
	flat_store_b32 v0, v4, s[0:1] offset:2048 scale_offset
	flat_store_b32 v0, v5, s[0:1] offset:3072 scale_offset
	s_wait_dscnt 0x7
	s_clause 0x1
	flat_store_b32 v0, v6, s[0:1] offset:4096 scale_offset
	;; [unrolled: 4-line block ×4, first 2 shown]
	flat_store_b32 v0, v11, s[0:1] offset:9216 scale_offset
	s_wait_dscnt 0xa
	flat_store_b32 v0, v14, s[0:1] offset:10240 scale_offset
.LBB2260_181:
	s_wait_xcnt 0x0
	s_delay_alu instid0(VALU_DEP_1)
	s_and_saveexec_b32 s3, s2
	s_cbranch_execz .LBB2260_183
; %bb.182:
	s_wait_dscnt 0x0
	flat_store_b32 v0, v15, s[0:1] offset:11264 scale_offset
	s_endpgm
.LBB2260_183:
	s_endpgm
	.section	.rodata,"a",@progbits
	.p2align	6, 0x0
	.amdhsa_kernel _ZN7rocprim17ROCPRIM_400000_NS6detail17trampoline_kernelINS0_14default_configENS1_27scan_by_key_config_selectorIiiEEZZNS1_16scan_by_key_implILNS1_25lookback_scan_determinismE0ELb1ES3_N6thrust23THRUST_200600_302600_NS10device_ptrIiEESB_SB_iNS9_4plusIvEENS9_8equal_toIvEEiEE10hipError_tPvRmT2_T3_T4_T5_mT6_T7_P12ihipStream_tbENKUlT_T0_E_clISt17integral_constantIbLb0EESV_IbLb1EEEEDaSR_SS_EUlSR_E_NS1_11comp_targetILNS1_3genE0ELNS1_11target_archE4294967295ELNS1_3gpuE0ELNS1_3repE0EEENS1_30default_config_static_selectorELNS0_4arch9wavefront6targetE0EEEvT1_
		.amdhsa_group_segment_fixed_size 14336
		.amdhsa_private_segment_fixed_size 0
		.amdhsa_kernarg_size 112
		.amdhsa_user_sgpr_count 2
		.amdhsa_user_sgpr_dispatch_ptr 0
		.amdhsa_user_sgpr_queue_ptr 0
		.amdhsa_user_sgpr_kernarg_segment_ptr 1
		.amdhsa_user_sgpr_dispatch_id 0
		.amdhsa_user_sgpr_kernarg_preload_length 0
		.amdhsa_user_sgpr_kernarg_preload_offset 0
		.amdhsa_user_sgpr_private_segment_size 0
		.amdhsa_wavefront_size32 1
		.amdhsa_uses_dynamic_stack 0
		.amdhsa_enable_private_segment 0
		.amdhsa_system_sgpr_workgroup_id_x 1
		.amdhsa_system_sgpr_workgroup_id_y 0
		.amdhsa_system_sgpr_workgroup_id_z 0
		.amdhsa_system_sgpr_workgroup_info 0
		.amdhsa_system_vgpr_workitem_id 0
		.amdhsa_next_free_vgpr 62
		.amdhsa_next_free_sgpr 39
		.amdhsa_named_barrier_count 0
		.amdhsa_reserve_vcc 1
		.amdhsa_float_round_mode_32 0
		.amdhsa_float_round_mode_16_64 0
		.amdhsa_float_denorm_mode_32 3
		.amdhsa_float_denorm_mode_16_64 3
		.amdhsa_fp16_overflow 0
		.amdhsa_memory_ordered 1
		.amdhsa_forward_progress 1
		.amdhsa_inst_pref_size 95
		.amdhsa_round_robin_scheduling 0
		.amdhsa_exception_fp_ieee_invalid_op 0
		.amdhsa_exception_fp_denorm_src 0
		.amdhsa_exception_fp_ieee_div_zero 0
		.amdhsa_exception_fp_ieee_overflow 0
		.amdhsa_exception_fp_ieee_underflow 0
		.amdhsa_exception_fp_ieee_inexact 0
		.amdhsa_exception_int_div_zero 0
	.end_amdhsa_kernel
	.section	.text._ZN7rocprim17ROCPRIM_400000_NS6detail17trampoline_kernelINS0_14default_configENS1_27scan_by_key_config_selectorIiiEEZZNS1_16scan_by_key_implILNS1_25lookback_scan_determinismE0ELb1ES3_N6thrust23THRUST_200600_302600_NS10device_ptrIiEESB_SB_iNS9_4plusIvEENS9_8equal_toIvEEiEE10hipError_tPvRmT2_T3_T4_T5_mT6_T7_P12ihipStream_tbENKUlT_T0_E_clISt17integral_constantIbLb0EESV_IbLb1EEEEDaSR_SS_EUlSR_E_NS1_11comp_targetILNS1_3genE0ELNS1_11target_archE4294967295ELNS1_3gpuE0ELNS1_3repE0EEENS1_30default_config_static_selectorELNS0_4arch9wavefront6targetE0EEEvT1_,"axG",@progbits,_ZN7rocprim17ROCPRIM_400000_NS6detail17trampoline_kernelINS0_14default_configENS1_27scan_by_key_config_selectorIiiEEZZNS1_16scan_by_key_implILNS1_25lookback_scan_determinismE0ELb1ES3_N6thrust23THRUST_200600_302600_NS10device_ptrIiEESB_SB_iNS9_4plusIvEENS9_8equal_toIvEEiEE10hipError_tPvRmT2_T3_T4_T5_mT6_T7_P12ihipStream_tbENKUlT_T0_E_clISt17integral_constantIbLb0EESV_IbLb1EEEEDaSR_SS_EUlSR_E_NS1_11comp_targetILNS1_3genE0ELNS1_11target_archE4294967295ELNS1_3gpuE0ELNS1_3repE0EEENS1_30default_config_static_selectorELNS0_4arch9wavefront6targetE0EEEvT1_,comdat
.Lfunc_end2260:
	.size	_ZN7rocprim17ROCPRIM_400000_NS6detail17trampoline_kernelINS0_14default_configENS1_27scan_by_key_config_selectorIiiEEZZNS1_16scan_by_key_implILNS1_25lookback_scan_determinismE0ELb1ES3_N6thrust23THRUST_200600_302600_NS10device_ptrIiEESB_SB_iNS9_4plusIvEENS9_8equal_toIvEEiEE10hipError_tPvRmT2_T3_T4_T5_mT6_T7_P12ihipStream_tbENKUlT_T0_E_clISt17integral_constantIbLb0EESV_IbLb1EEEEDaSR_SS_EUlSR_E_NS1_11comp_targetILNS1_3genE0ELNS1_11target_archE4294967295ELNS1_3gpuE0ELNS1_3repE0EEENS1_30default_config_static_selectorELNS0_4arch9wavefront6targetE0EEEvT1_, .Lfunc_end2260-_ZN7rocprim17ROCPRIM_400000_NS6detail17trampoline_kernelINS0_14default_configENS1_27scan_by_key_config_selectorIiiEEZZNS1_16scan_by_key_implILNS1_25lookback_scan_determinismE0ELb1ES3_N6thrust23THRUST_200600_302600_NS10device_ptrIiEESB_SB_iNS9_4plusIvEENS9_8equal_toIvEEiEE10hipError_tPvRmT2_T3_T4_T5_mT6_T7_P12ihipStream_tbENKUlT_T0_E_clISt17integral_constantIbLb0EESV_IbLb1EEEEDaSR_SS_EUlSR_E_NS1_11comp_targetILNS1_3genE0ELNS1_11target_archE4294967295ELNS1_3gpuE0ELNS1_3repE0EEENS1_30default_config_static_selectorELNS0_4arch9wavefront6targetE0EEEvT1_
                                        ; -- End function
	.set _ZN7rocprim17ROCPRIM_400000_NS6detail17trampoline_kernelINS0_14default_configENS1_27scan_by_key_config_selectorIiiEEZZNS1_16scan_by_key_implILNS1_25lookback_scan_determinismE0ELb1ES3_N6thrust23THRUST_200600_302600_NS10device_ptrIiEESB_SB_iNS9_4plusIvEENS9_8equal_toIvEEiEE10hipError_tPvRmT2_T3_T4_T5_mT6_T7_P12ihipStream_tbENKUlT_T0_E_clISt17integral_constantIbLb0EESV_IbLb1EEEEDaSR_SS_EUlSR_E_NS1_11comp_targetILNS1_3genE0ELNS1_11target_archE4294967295ELNS1_3gpuE0ELNS1_3repE0EEENS1_30default_config_static_selectorELNS0_4arch9wavefront6targetE0EEEvT1_.num_vgpr, 62
	.set _ZN7rocprim17ROCPRIM_400000_NS6detail17trampoline_kernelINS0_14default_configENS1_27scan_by_key_config_selectorIiiEEZZNS1_16scan_by_key_implILNS1_25lookback_scan_determinismE0ELb1ES3_N6thrust23THRUST_200600_302600_NS10device_ptrIiEESB_SB_iNS9_4plusIvEENS9_8equal_toIvEEiEE10hipError_tPvRmT2_T3_T4_T5_mT6_T7_P12ihipStream_tbENKUlT_T0_E_clISt17integral_constantIbLb0EESV_IbLb1EEEEDaSR_SS_EUlSR_E_NS1_11comp_targetILNS1_3genE0ELNS1_11target_archE4294967295ELNS1_3gpuE0ELNS1_3repE0EEENS1_30default_config_static_selectorELNS0_4arch9wavefront6targetE0EEEvT1_.num_agpr, 0
	.set _ZN7rocprim17ROCPRIM_400000_NS6detail17trampoline_kernelINS0_14default_configENS1_27scan_by_key_config_selectorIiiEEZZNS1_16scan_by_key_implILNS1_25lookback_scan_determinismE0ELb1ES3_N6thrust23THRUST_200600_302600_NS10device_ptrIiEESB_SB_iNS9_4plusIvEENS9_8equal_toIvEEiEE10hipError_tPvRmT2_T3_T4_T5_mT6_T7_P12ihipStream_tbENKUlT_T0_E_clISt17integral_constantIbLb0EESV_IbLb1EEEEDaSR_SS_EUlSR_E_NS1_11comp_targetILNS1_3genE0ELNS1_11target_archE4294967295ELNS1_3gpuE0ELNS1_3repE0EEENS1_30default_config_static_selectorELNS0_4arch9wavefront6targetE0EEEvT1_.numbered_sgpr, 39
	.set _ZN7rocprim17ROCPRIM_400000_NS6detail17trampoline_kernelINS0_14default_configENS1_27scan_by_key_config_selectorIiiEEZZNS1_16scan_by_key_implILNS1_25lookback_scan_determinismE0ELb1ES3_N6thrust23THRUST_200600_302600_NS10device_ptrIiEESB_SB_iNS9_4plusIvEENS9_8equal_toIvEEiEE10hipError_tPvRmT2_T3_T4_T5_mT6_T7_P12ihipStream_tbENKUlT_T0_E_clISt17integral_constantIbLb0EESV_IbLb1EEEEDaSR_SS_EUlSR_E_NS1_11comp_targetILNS1_3genE0ELNS1_11target_archE4294967295ELNS1_3gpuE0ELNS1_3repE0EEENS1_30default_config_static_selectorELNS0_4arch9wavefront6targetE0EEEvT1_.num_named_barrier, 0
	.set _ZN7rocprim17ROCPRIM_400000_NS6detail17trampoline_kernelINS0_14default_configENS1_27scan_by_key_config_selectorIiiEEZZNS1_16scan_by_key_implILNS1_25lookback_scan_determinismE0ELb1ES3_N6thrust23THRUST_200600_302600_NS10device_ptrIiEESB_SB_iNS9_4plusIvEENS9_8equal_toIvEEiEE10hipError_tPvRmT2_T3_T4_T5_mT6_T7_P12ihipStream_tbENKUlT_T0_E_clISt17integral_constantIbLb0EESV_IbLb1EEEEDaSR_SS_EUlSR_E_NS1_11comp_targetILNS1_3genE0ELNS1_11target_archE4294967295ELNS1_3gpuE0ELNS1_3repE0EEENS1_30default_config_static_selectorELNS0_4arch9wavefront6targetE0EEEvT1_.private_seg_size, 0
	.set _ZN7rocprim17ROCPRIM_400000_NS6detail17trampoline_kernelINS0_14default_configENS1_27scan_by_key_config_selectorIiiEEZZNS1_16scan_by_key_implILNS1_25lookback_scan_determinismE0ELb1ES3_N6thrust23THRUST_200600_302600_NS10device_ptrIiEESB_SB_iNS9_4plusIvEENS9_8equal_toIvEEiEE10hipError_tPvRmT2_T3_T4_T5_mT6_T7_P12ihipStream_tbENKUlT_T0_E_clISt17integral_constantIbLb0EESV_IbLb1EEEEDaSR_SS_EUlSR_E_NS1_11comp_targetILNS1_3genE0ELNS1_11target_archE4294967295ELNS1_3gpuE0ELNS1_3repE0EEENS1_30default_config_static_selectorELNS0_4arch9wavefront6targetE0EEEvT1_.uses_vcc, 1
	.set _ZN7rocprim17ROCPRIM_400000_NS6detail17trampoline_kernelINS0_14default_configENS1_27scan_by_key_config_selectorIiiEEZZNS1_16scan_by_key_implILNS1_25lookback_scan_determinismE0ELb1ES3_N6thrust23THRUST_200600_302600_NS10device_ptrIiEESB_SB_iNS9_4plusIvEENS9_8equal_toIvEEiEE10hipError_tPvRmT2_T3_T4_T5_mT6_T7_P12ihipStream_tbENKUlT_T0_E_clISt17integral_constantIbLb0EESV_IbLb1EEEEDaSR_SS_EUlSR_E_NS1_11comp_targetILNS1_3genE0ELNS1_11target_archE4294967295ELNS1_3gpuE0ELNS1_3repE0EEENS1_30default_config_static_selectorELNS0_4arch9wavefront6targetE0EEEvT1_.uses_flat_scratch, 1
	.set _ZN7rocprim17ROCPRIM_400000_NS6detail17trampoline_kernelINS0_14default_configENS1_27scan_by_key_config_selectorIiiEEZZNS1_16scan_by_key_implILNS1_25lookback_scan_determinismE0ELb1ES3_N6thrust23THRUST_200600_302600_NS10device_ptrIiEESB_SB_iNS9_4plusIvEENS9_8equal_toIvEEiEE10hipError_tPvRmT2_T3_T4_T5_mT6_T7_P12ihipStream_tbENKUlT_T0_E_clISt17integral_constantIbLb0EESV_IbLb1EEEEDaSR_SS_EUlSR_E_NS1_11comp_targetILNS1_3genE0ELNS1_11target_archE4294967295ELNS1_3gpuE0ELNS1_3repE0EEENS1_30default_config_static_selectorELNS0_4arch9wavefront6targetE0EEEvT1_.has_dyn_sized_stack, 0
	.set _ZN7rocprim17ROCPRIM_400000_NS6detail17trampoline_kernelINS0_14default_configENS1_27scan_by_key_config_selectorIiiEEZZNS1_16scan_by_key_implILNS1_25lookback_scan_determinismE0ELb1ES3_N6thrust23THRUST_200600_302600_NS10device_ptrIiEESB_SB_iNS9_4plusIvEENS9_8equal_toIvEEiEE10hipError_tPvRmT2_T3_T4_T5_mT6_T7_P12ihipStream_tbENKUlT_T0_E_clISt17integral_constantIbLb0EESV_IbLb1EEEEDaSR_SS_EUlSR_E_NS1_11comp_targetILNS1_3genE0ELNS1_11target_archE4294967295ELNS1_3gpuE0ELNS1_3repE0EEENS1_30default_config_static_selectorELNS0_4arch9wavefront6targetE0EEEvT1_.has_recursion, 0
	.set _ZN7rocprim17ROCPRIM_400000_NS6detail17trampoline_kernelINS0_14default_configENS1_27scan_by_key_config_selectorIiiEEZZNS1_16scan_by_key_implILNS1_25lookback_scan_determinismE0ELb1ES3_N6thrust23THRUST_200600_302600_NS10device_ptrIiEESB_SB_iNS9_4plusIvEENS9_8equal_toIvEEiEE10hipError_tPvRmT2_T3_T4_T5_mT6_T7_P12ihipStream_tbENKUlT_T0_E_clISt17integral_constantIbLb0EESV_IbLb1EEEEDaSR_SS_EUlSR_E_NS1_11comp_targetILNS1_3genE0ELNS1_11target_archE4294967295ELNS1_3gpuE0ELNS1_3repE0EEENS1_30default_config_static_selectorELNS0_4arch9wavefront6targetE0EEEvT1_.has_indirect_call, 0
	.section	.AMDGPU.csdata,"",@progbits
; Kernel info:
; codeLenInByte = 12140
; TotalNumSgprs: 41
; NumVgprs: 62
; ScratchSize: 0
; MemoryBound: 0
; FloatMode: 240
; IeeeMode: 1
; LDSByteSize: 14336 bytes/workgroup (compile time only)
; SGPRBlocks: 0
; VGPRBlocks: 3
; NumSGPRsForWavesPerEU: 41
; NumVGPRsForWavesPerEU: 62
; NamedBarCnt: 0
; Occupancy: 16
; WaveLimiterHint : 1
; COMPUTE_PGM_RSRC2:SCRATCH_EN: 0
; COMPUTE_PGM_RSRC2:USER_SGPR: 2
; COMPUTE_PGM_RSRC2:TRAP_HANDLER: 0
; COMPUTE_PGM_RSRC2:TGID_X_EN: 1
; COMPUTE_PGM_RSRC2:TGID_Y_EN: 0
; COMPUTE_PGM_RSRC2:TGID_Z_EN: 0
; COMPUTE_PGM_RSRC2:TIDIG_COMP_CNT: 0
	.section	.text._ZN7rocprim17ROCPRIM_400000_NS6detail17trampoline_kernelINS0_14default_configENS1_27scan_by_key_config_selectorIiiEEZZNS1_16scan_by_key_implILNS1_25lookback_scan_determinismE0ELb1ES3_N6thrust23THRUST_200600_302600_NS10device_ptrIiEESB_SB_iNS9_4plusIvEENS9_8equal_toIvEEiEE10hipError_tPvRmT2_T3_T4_T5_mT6_T7_P12ihipStream_tbENKUlT_T0_E_clISt17integral_constantIbLb0EESV_IbLb1EEEEDaSR_SS_EUlSR_E_NS1_11comp_targetILNS1_3genE10ELNS1_11target_archE1201ELNS1_3gpuE5ELNS1_3repE0EEENS1_30default_config_static_selectorELNS0_4arch9wavefront6targetE0EEEvT1_,"axG",@progbits,_ZN7rocprim17ROCPRIM_400000_NS6detail17trampoline_kernelINS0_14default_configENS1_27scan_by_key_config_selectorIiiEEZZNS1_16scan_by_key_implILNS1_25lookback_scan_determinismE0ELb1ES3_N6thrust23THRUST_200600_302600_NS10device_ptrIiEESB_SB_iNS9_4plusIvEENS9_8equal_toIvEEiEE10hipError_tPvRmT2_T3_T4_T5_mT6_T7_P12ihipStream_tbENKUlT_T0_E_clISt17integral_constantIbLb0EESV_IbLb1EEEEDaSR_SS_EUlSR_E_NS1_11comp_targetILNS1_3genE10ELNS1_11target_archE1201ELNS1_3gpuE5ELNS1_3repE0EEENS1_30default_config_static_selectorELNS0_4arch9wavefront6targetE0EEEvT1_,comdat
	.protected	_ZN7rocprim17ROCPRIM_400000_NS6detail17trampoline_kernelINS0_14default_configENS1_27scan_by_key_config_selectorIiiEEZZNS1_16scan_by_key_implILNS1_25lookback_scan_determinismE0ELb1ES3_N6thrust23THRUST_200600_302600_NS10device_ptrIiEESB_SB_iNS9_4plusIvEENS9_8equal_toIvEEiEE10hipError_tPvRmT2_T3_T4_T5_mT6_T7_P12ihipStream_tbENKUlT_T0_E_clISt17integral_constantIbLb0EESV_IbLb1EEEEDaSR_SS_EUlSR_E_NS1_11comp_targetILNS1_3genE10ELNS1_11target_archE1201ELNS1_3gpuE5ELNS1_3repE0EEENS1_30default_config_static_selectorELNS0_4arch9wavefront6targetE0EEEvT1_ ; -- Begin function _ZN7rocprim17ROCPRIM_400000_NS6detail17trampoline_kernelINS0_14default_configENS1_27scan_by_key_config_selectorIiiEEZZNS1_16scan_by_key_implILNS1_25lookback_scan_determinismE0ELb1ES3_N6thrust23THRUST_200600_302600_NS10device_ptrIiEESB_SB_iNS9_4plusIvEENS9_8equal_toIvEEiEE10hipError_tPvRmT2_T3_T4_T5_mT6_T7_P12ihipStream_tbENKUlT_T0_E_clISt17integral_constantIbLb0EESV_IbLb1EEEEDaSR_SS_EUlSR_E_NS1_11comp_targetILNS1_3genE10ELNS1_11target_archE1201ELNS1_3gpuE5ELNS1_3repE0EEENS1_30default_config_static_selectorELNS0_4arch9wavefront6targetE0EEEvT1_
	.globl	_ZN7rocprim17ROCPRIM_400000_NS6detail17trampoline_kernelINS0_14default_configENS1_27scan_by_key_config_selectorIiiEEZZNS1_16scan_by_key_implILNS1_25lookback_scan_determinismE0ELb1ES3_N6thrust23THRUST_200600_302600_NS10device_ptrIiEESB_SB_iNS9_4plusIvEENS9_8equal_toIvEEiEE10hipError_tPvRmT2_T3_T4_T5_mT6_T7_P12ihipStream_tbENKUlT_T0_E_clISt17integral_constantIbLb0EESV_IbLb1EEEEDaSR_SS_EUlSR_E_NS1_11comp_targetILNS1_3genE10ELNS1_11target_archE1201ELNS1_3gpuE5ELNS1_3repE0EEENS1_30default_config_static_selectorELNS0_4arch9wavefront6targetE0EEEvT1_
	.p2align	8
	.type	_ZN7rocprim17ROCPRIM_400000_NS6detail17trampoline_kernelINS0_14default_configENS1_27scan_by_key_config_selectorIiiEEZZNS1_16scan_by_key_implILNS1_25lookback_scan_determinismE0ELb1ES3_N6thrust23THRUST_200600_302600_NS10device_ptrIiEESB_SB_iNS9_4plusIvEENS9_8equal_toIvEEiEE10hipError_tPvRmT2_T3_T4_T5_mT6_T7_P12ihipStream_tbENKUlT_T0_E_clISt17integral_constantIbLb0EESV_IbLb1EEEEDaSR_SS_EUlSR_E_NS1_11comp_targetILNS1_3genE10ELNS1_11target_archE1201ELNS1_3gpuE5ELNS1_3repE0EEENS1_30default_config_static_selectorELNS0_4arch9wavefront6targetE0EEEvT1_,@function
_ZN7rocprim17ROCPRIM_400000_NS6detail17trampoline_kernelINS0_14default_configENS1_27scan_by_key_config_selectorIiiEEZZNS1_16scan_by_key_implILNS1_25lookback_scan_determinismE0ELb1ES3_N6thrust23THRUST_200600_302600_NS10device_ptrIiEESB_SB_iNS9_4plusIvEENS9_8equal_toIvEEiEE10hipError_tPvRmT2_T3_T4_T5_mT6_T7_P12ihipStream_tbENKUlT_T0_E_clISt17integral_constantIbLb0EESV_IbLb1EEEEDaSR_SS_EUlSR_E_NS1_11comp_targetILNS1_3genE10ELNS1_11target_archE1201ELNS1_3gpuE5ELNS1_3repE0EEENS1_30default_config_static_selectorELNS0_4arch9wavefront6targetE0EEEvT1_: ; @_ZN7rocprim17ROCPRIM_400000_NS6detail17trampoline_kernelINS0_14default_configENS1_27scan_by_key_config_selectorIiiEEZZNS1_16scan_by_key_implILNS1_25lookback_scan_determinismE0ELb1ES3_N6thrust23THRUST_200600_302600_NS10device_ptrIiEESB_SB_iNS9_4plusIvEENS9_8equal_toIvEEiEE10hipError_tPvRmT2_T3_T4_T5_mT6_T7_P12ihipStream_tbENKUlT_T0_E_clISt17integral_constantIbLb0EESV_IbLb1EEEEDaSR_SS_EUlSR_E_NS1_11comp_targetILNS1_3genE10ELNS1_11target_archE1201ELNS1_3gpuE5ELNS1_3repE0EEENS1_30default_config_static_selectorELNS0_4arch9wavefront6targetE0EEEvT1_
; %bb.0:
	.section	.rodata,"a",@progbits
	.p2align	6, 0x0
	.amdhsa_kernel _ZN7rocprim17ROCPRIM_400000_NS6detail17trampoline_kernelINS0_14default_configENS1_27scan_by_key_config_selectorIiiEEZZNS1_16scan_by_key_implILNS1_25lookback_scan_determinismE0ELb1ES3_N6thrust23THRUST_200600_302600_NS10device_ptrIiEESB_SB_iNS9_4plusIvEENS9_8equal_toIvEEiEE10hipError_tPvRmT2_T3_T4_T5_mT6_T7_P12ihipStream_tbENKUlT_T0_E_clISt17integral_constantIbLb0EESV_IbLb1EEEEDaSR_SS_EUlSR_E_NS1_11comp_targetILNS1_3genE10ELNS1_11target_archE1201ELNS1_3gpuE5ELNS1_3repE0EEENS1_30default_config_static_selectorELNS0_4arch9wavefront6targetE0EEEvT1_
		.amdhsa_group_segment_fixed_size 0
		.amdhsa_private_segment_fixed_size 0
		.amdhsa_kernarg_size 112
		.amdhsa_user_sgpr_count 2
		.amdhsa_user_sgpr_dispatch_ptr 0
		.amdhsa_user_sgpr_queue_ptr 0
		.amdhsa_user_sgpr_kernarg_segment_ptr 1
		.amdhsa_user_sgpr_dispatch_id 0
		.amdhsa_user_sgpr_kernarg_preload_length 0
		.amdhsa_user_sgpr_kernarg_preload_offset 0
		.amdhsa_user_sgpr_private_segment_size 0
		.amdhsa_wavefront_size32 1
		.amdhsa_uses_dynamic_stack 0
		.amdhsa_enable_private_segment 0
		.amdhsa_system_sgpr_workgroup_id_x 1
		.amdhsa_system_sgpr_workgroup_id_y 0
		.amdhsa_system_sgpr_workgroup_id_z 0
		.amdhsa_system_sgpr_workgroup_info 0
		.amdhsa_system_vgpr_workitem_id 0
		.amdhsa_next_free_vgpr 1
		.amdhsa_next_free_sgpr 1
		.amdhsa_named_barrier_count 0
		.amdhsa_reserve_vcc 0
		.amdhsa_float_round_mode_32 0
		.amdhsa_float_round_mode_16_64 0
		.amdhsa_float_denorm_mode_32 3
		.amdhsa_float_denorm_mode_16_64 3
		.amdhsa_fp16_overflow 0
		.amdhsa_memory_ordered 1
		.amdhsa_forward_progress 1
		.amdhsa_inst_pref_size 0
		.amdhsa_round_robin_scheduling 0
		.amdhsa_exception_fp_ieee_invalid_op 0
		.amdhsa_exception_fp_denorm_src 0
		.amdhsa_exception_fp_ieee_div_zero 0
		.amdhsa_exception_fp_ieee_overflow 0
		.amdhsa_exception_fp_ieee_underflow 0
		.amdhsa_exception_fp_ieee_inexact 0
		.amdhsa_exception_int_div_zero 0
	.end_amdhsa_kernel
	.section	.text._ZN7rocprim17ROCPRIM_400000_NS6detail17trampoline_kernelINS0_14default_configENS1_27scan_by_key_config_selectorIiiEEZZNS1_16scan_by_key_implILNS1_25lookback_scan_determinismE0ELb1ES3_N6thrust23THRUST_200600_302600_NS10device_ptrIiEESB_SB_iNS9_4plusIvEENS9_8equal_toIvEEiEE10hipError_tPvRmT2_T3_T4_T5_mT6_T7_P12ihipStream_tbENKUlT_T0_E_clISt17integral_constantIbLb0EESV_IbLb1EEEEDaSR_SS_EUlSR_E_NS1_11comp_targetILNS1_3genE10ELNS1_11target_archE1201ELNS1_3gpuE5ELNS1_3repE0EEENS1_30default_config_static_selectorELNS0_4arch9wavefront6targetE0EEEvT1_,"axG",@progbits,_ZN7rocprim17ROCPRIM_400000_NS6detail17trampoline_kernelINS0_14default_configENS1_27scan_by_key_config_selectorIiiEEZZNS1_16scan_by_key_implILNS1_25lookback_scan_determinismE0ELb1ES3_N6thrust23THRUST_200600_302600_NS10device_ptrIiEESB_SB_iNS9_4plusIvEENS9_8equal_toIvEEiEE10hipError_tPvRmT2_T3_T4_T5_mT6_T7_P12ihipStream_tbENKUlT_T0_E_clISt17integral_constantIbLb0EESV_IbLb1EEEEDaSR_SS_EUlSR_E_NS1_11comp_targetILNS1_3genE10ELNS1_11target_archE1201ELNS1_3gpuE5ELNS1_3repE0EEENS1_30default_config_static_selectorELNS0_4arch9wavefront6targetE0EEEvT1_,comdat
.Lfunc_end2261:
	.size	_ZN7rocprim17ROCPRIM_400000_NS6detail17trampoline_kernelINS0_14default_configENS1_27scan_by_key_config_selectorIiiEEZZNS1_16scan_by_key_implILNS1_25lookback_scan_determinismE0ELb1ES3_N6thrust23THRUST_200600_302600_NS10device_ptrIiEESB_SB_iNS9_4plusIvEENS9_8equal_toIvEEiEE10hipError_tPvRmT2_T3_T4_T5_mT6_T7_P12ihipStream_tbENKUlT_T0_E_clISt17integral_constantIbLb0EESV_IbLb1EEEEDaSR_SS_EUlSR_E_NS1_11comp_targetILNS1_3genE10ELNS1_11target_archE1201ELNS1_3gpuE5ELNS1_3repE0EEENS1_30default_config_static_selectorELNS0_4arch9wavefront6targetE0EEEvT1_, .Lfunc_end2261-_ZN7rocprim17ROCPRIM_400000_NS6detail17trampoline_kernelINS0_14default_configENS1_27scan_by_key_config_selectorIiiEEZZNS1_16scan_by_key_implILNS1_25lookback_scan_determinismE0ELb1ES3_N6thrust23THRUST_200600_302600_NS10device_ptrIiEESB_SB_iNS9_4plusIvEENS9_8equal_toIvEEiEE10hipError_tPvRmT2_T3_T4_T5_mT6_T7_P12ihipStream_tbENKUlT_T0_E_clISt17integral_constantIbLb0EESV_IbLb1EEEEDaSR_SS_EUlSR_E_NS1_11comp_targetILNS1_3genE10ELNS1_11target_archE1201ELNS1_3gpuE5ELNS1_3repE0EEENS1_30default_config_static_selectorELNS0_4arch9wavefront6targetE0EEEvT1_
                                        ; -- End function
	.set _ZN7rocprim17ROCPRIM_400000_NS6detail17trampoline_kernelINS0_14default_configENS1_27scan_by_key_config_selectorIiiEEZZNS1_16scan_by_key_implILNS1_25lookback_scan_determinismE0ELb1ES3_N6thrust23THRUST_200600_302600_NS10device_ptrIiEESB_SB_iNS9_4plusIvEENS9_8equal_toIvEEiEE10hipError_tPvRmT2_T3_T4_T5_mT6_T7_P12ihipStream_tbENKUlT_T0_E_clISt17integral_constantIbLb0EESV_IbLb1EEEEDaSR_SS_EUlSR_E_NS1_11comp_targetILNS1_3genE10ELNS1_11target_archE1201ELNS1_3gpuE5ELNS1_3repE0EEENS1_30default_config_static_selectorELNS0_4arch9wavefront6targetE0EEEvT1_.num_vgpr, 0
	.set _ZN7rocprim17ROCPRIM_400000_NS6detail17trampoline_kernelINS0_14default_configENS1_27scan_by_key_config_selectorIiiEEZZNS1_16scan_by_key_implILNS1_25lookback_scan_determinismE0ELb1ES3_N6thrust23THRUST_200600_302600_NS10device_ptrIiEESB_SB_iNS9_4plusIvEENS9_8equal_toIvEEiEE10hipError_tPvRmT2_T3_T4_T5_mT6_T7_P12ihipStream_tbENKUlT_T0_E_clISt17integral_constantIbLb0EESV_IbLb1EEEEDaSR_SS_EUlSR_E_NS1_11comp_targetILNS1_3genE10ELNS1_11target_archE1201ELNS1_3gpuE5ELNS1_3repE0EEENS1_30default_config_static_selectorELNS0_4arch9wavefront6targetE0EEEvT1_.num_agpr, 0
	.set _ZN7rocprim17ROCPRIM_400000_NS6detail17trampoline_kernelINS0_14default_configENS1_27scan_by_key_config_selectorIiiEEZZNS1_16scan_by_key_implILNS1_25lookback_scan_determinismE0ELb1ES3_N6thrust23THRUST_200600_302600_NS10device_ptrIiEESB_SB_iNS9_4plusIvEENS9_8equal_toIvEEiEE10hipError_tPvRmT2_T3_T4_T5_mT6_T7_P12ihipStream_tbENKUlT_T0_E_clISt17integral_constantIbLb0EESV_IbLb1EEEEDaSR_SS_EUlSR_E_NS1_11comp_targetILNS1_3genE10ELNS1_11target_archE1201ELNS1_3gpuE5ELNS1_3repE0EEENS1_30default_config_static_selectorELNS0_4arch9wavefront6targetE0EEEvT1_.numbered_sgpr, 0
	.set _ZN7rocprim17ROCPRIM_400000_NS6detail17trampoline_kernelINS0_14default_configENS1_27scan_by_key_config_selectorIiiEEZZNS1_16scan_by_key_implILNS1_25lookback_scan_determinismE0ELb1ES3_N6thrust23THRUST_200600_302600_NS10device_ptrIiEESB_SB_iNS9_4plusIvEENS9_8equal_toIvEEiEE10hipError_tPvRmT2_T3_T4_T5_mT6_T7_P12ihipStream_tbENKUlT_T0_E_clISt17integral_constantIbLb0EESV_IbLb1EEEEDaSR_SS_EUlSR_E_NS1_11comp_targetILNS1_3genE10ELNS1_11target_archE1201ELNS1_3gpuE5ELNS1_3repE0EEENS1_30default_config_static_selectorELNS0_4arch9wavefront6targetE0EEEvT1_.num_named_barrier, 0
	.set _ZN7rocprim17ROCPRIM_400000_NS6detail17trampoline_kernelINS0_14default_configENS1_27scan_by_key_config_selectorIiiEEZZNS1_16scan_by_key_implILNS1_25lookback_scan_determinismE0ELb1ES3_N6thrust23THRUST_200600_302600_NS10device_ptrIiEESB_SB_iNS9_4plusIvEENS9_8equal_toIvEEiEE10hipError_tPvRmT2_T3_T4_T5_mT6_T7_P12ihipStream_tbENKUlT_T0_E_clISt17integral_constantIbLb0EESV_IbLb1EEEEDaSR_SS_EUlSR_E_NS1_11comp_targetILNS1_3genE10ELNS1_11target_archE1201ELNS1_3gpuE5ELNS1_3repE0EEENS1_30default_config_static_selectorELNS0_4arch9wavefront6targetE0EEEvT1_.private_seg_size, 0
	.set _ZN7rocprim17ROCPRIM_400000_NS6detail17trampoline_kernelINS0_14default_configENS1_27scan_by_key_config_selectorIiiEEZZNS1_16scan_by_key_implILNS1_25lookback_scan_determinismE0ELb1ES3_N6thrust23THRUST_200600_302600_NS10device_ptrIiEESB_SB_iNS9_4plusIvEENS9_8equal_toIvEEiEE10hipError_tPvRmT2_T3_T4_T5_mT6_T7_P12ihipStream_tbENKUlT_T0_E_clISt17integral_constantIbLb0EESV_IbLb1EEEEDaSR_SS_EUlSR_E_NS1_11comp_targetILNS1_3genE10ELNS1_11target_archE1201ELNS1_3gpuE5ELNS1_3repE0EEENS1_30default_config_static_selectorELNS0_4arch9wavefront6targetE0EEEvT1_.uses_vcc, 0
	.set _ZN7rocprim17ROCPRIM_400000_NS6detail17trampoline_kernelINS0_14default_configENS1_27scan_by_key_config_selectorIiiEEZZNS1_16scan_by_key_implILNS1_25lookback_scan_determinismE0ELb1ES3_N6thrust23THRUST_200600_302600_NS10device_ptrIiEESB_SB_iNS9_4plusIvEENS9_8equal_toIvEEiEE10hipError_tPvRmT2_T3_T4_T5_mT6_T7_P12ihipStream_tbENKUlT_T0_E_clISt17integral_constantIbLb0EESV_IbLb1EEEEDaSR_SS_EUlSR_E_NS1_11comp_targetILNS1_3genE10ELNS1_11target_archE1201ELNS1_3gpuE5ELNS1_3repE0EEENS1_30default_config_static_selectorELNS0_4arch9wavefront6targetE0EEEvT1_.uses_flat_scratch, 0
	.set _ZN7rocprim17ROCPRIM_400000_NS6detail17trampoline_kernelINS0_14default_configENS1_27scan_by_key_config_selectorIiiEEZZNS1_16scan_by_key_implILNS1_25lookback_scan_determinismE0ELb1ES3_N6thrust23THRUST_200600_302600_NS10device_ptrIiEESB_SB_iNS9_4plusIvEENS9_8equal_toIvEEiEE10hipError_tPvRmT2_T3_T4_T5_mT6_T7_P12ihipStream_tbENKUlT_T0_E_clISt17integral_constantIbLb0EESV_IbLb1EEEEDaSR_SS_EUlSR_E_NS1_11comp_targetILNS1_3genE10ELNS1_11target_archE1201ELNS1_3gpuE5ELNS1_3repE0EEENS1_30default_config_static_selectorELNS0_4arch9wavefront6targetE0EEEvT1_.has_dyn_sized_stack, 0
	.set _ZN7rocprim17ROCPRIM_400000_NS6detail17trampoline_kernelINS0_14default_configENS1_27scan_by_key_config_selectorIiiEEZZNS1_16scan_by_key_implILNS1_25lookback_scan_determinismE0ELb1ES3_N6thrust23THRUST_200600_302600_NS10device_ptrIiEESB_SB_iNS9_4plusIvEENS9_8equal_toIvEEiEE10hipError_tPvRmT2_T3_T4_T5_mT6_T7_P12ihipStream_tbENKUlT_T0_E_clISt17integral_constantIbLb0EESV_IbLb1EEEEDaSR_SS_EUlSR_E_NS1_11comp_targetILNS1_3genE10ELNS1_11target_archE1201ELNS1_3gpuE5ELNS1_3repE0EEENS1_30default_config_static_selectorELNS0_4arch9wavefront6targetE0EEEvT1_.has_recursion, 0
	.set _ZN7rocprim17ROCPRIM_400000_NS6detail17trampoline_kernelINS0_14default_configENS1_27scan_by_key_config_selectorIiiEEZZNS1_16scan_by_key_implILNS1_25lookback_scan_determinismE0ELb1ES3_N6thrust23THRUST_200600_302600_NS10device_ptrIiEESB_SB_iNS9_4plusIvEENS9_8equal_toIvEEiEE10hipError_tPvRmT2_T3_T4_T5_mT6_T7_P12ihipStream_tbENKUlT_T0_E_clISt17integral_constantIbLb0EESV_IbLb1EEEEDaSR_SS_EUlSR_E_NS1_11comp_targetILNS1_3genE10ELNS1_11target_archE1201ELNS1_3gpuE5ELNS1_3repE0EEENS1_30default_config_static_selectorELNS0_4arch9wavefront6targetE0EEEvT1_.has_indirect_call, 0
	.section	.AMDGPU.csdata,"",@progbits
; Kernel info:
; codeLenInByte = 0
; TotalNumSgprs: 0
; NumVgprs: 0
; ScratchSize: 0
; MemoryBound: 0
; FloatMode: 240
; IeeeMode: 1
; LDSByteSize: 0 bytes/workgroup (compile time only)
; SGPRBlocks: 0
; VGPRBlocks: 0
; NumSGPRsForWavesPerEU: 1
; NumVGPRsForWavesPerEU: 1
; NamedBarCnt: 0
; Occupancy: 16
; WaveLimiterHint : 0
; COMPUTE_PGM_RSRC2:SCRATCH_EN: 0
; COMPUTE_PGM_RSRC2:USER_SGPR: 2
; COMPUTE_PGM_RSRC2:TRAP_HANDLER: 0
; COMPUTE_PGM_RSRC2:TGID_X_EN: 1
; COMPUTE_PGM_RSRC2:TGID_Y_EN: 0
; COMPUTE_PGM_RSRC2:TGID_Z_EN: 0
; COMPUTE_PGM_RSRC2:TIDIG_COMP_CNT: 0
	.section	.text._ZN7rocprim17ROCPRIM_400000_NS6detail17trampoline_kernelINS0_14default_configENS1_27scan_by_key_config_selectorIiiEEZZNS1_16scan_by_key_implILNS1_25lookback_scan_determinismE0ELb1ES3_N6thrust23THRUST_200600_302600_NS10device_ptrIiEESB_SB_iNS9_4plusIvEENS9_8equal_toIvEEiEE10hipError_tPvRmT2_T3_T4_T5_mT6_T7_P12ihipStream_tbENKUlT_T0_E_clISt17integral_constantIbLb0EESV_IbLb1EEEEDaSR_SS_EUlSR_E_NS1_11comp_targetILNS1_3genE5ELNS1_11target_archE942ELNS1_3gpuE9ELNS1_3repE0EEENS1_30default_config_static_selectorELNS0_4arch9wavefront6targetE0EEEvT1_,"axG",@progbits,_ZN7rocprim17ROCPRIM_400000_NS6detail17trampoline_kernelINS0_14default_configENS1_27scan_by_key_config_selectorIiiEEZZNS1_16scan_by_key_implILNS1_25lookback_scan_determinismE0ELb1ES3_N6thrust23THRUST_200600_302600_NS10device_ptrIiEESB_SB_iNS9_4plusIvEENS9_8equal_toIvEEiEE10hipError_tPvRmT2_T3_T4_T5_mT6_T7_P12ihipStream_tbENKUlT_T0_E_clISt17integral_constantIbLb0EESV_IbLb1EEEEDaSR_SS_EUlSR_E_NS1_11comp_targetILNS1_3genE5ELNS1_11target_archE942ELNS1_3gpuE9ELNS1_3repE0EEENS1_30default_config_static_selectorELNS0_4arch9wavefront6targetE0EEEvT1_,comdat
	.protected	_ZN7rocprim17ROCPRIM_400000_NS6detail17trampoline_kernelINS0_14default_configENS1_27scan_by_key_config_selectorIiiEEZZNS1_16scan_by_key_implILNS1_25lookback_scan_determinismE0ELb1ES3_N6thrust23THRUST_200600_302600_NS10device_ptrIiEESB_SB_iNS9_4plusIvEENS9_8equal_toIvEEiEE10hipError_tPvRmT2_T3_T4_T5_mT6_T7_P12ihipStream_tbENKUlT_T0_E_clISt17integral_constantIbLb0EESV_IbLb1EEEEDaSR_SS_EUlSR_E_NS1_11comp_targetILNS1_3genE5ELNS1_11target_archE942ELNS1_3gpuE9ELNS1_3repE0EEENS1_30default_config_static_selectorELNS0_4arch9wavefront6targetE0EEEvT1_ ; -- Begin function _ZN7rocprim17ROCPRIM_400000_NS6detail17trampoline_kernelINS0_14default_configENS1_27scan_by_key_config_selectorIiiEEZZNS1_16scan_by_key_implILNS1_25lookback_scan_determinismE0ELb1ES3_N6thrust23THRUST_200600_302600_NS10device_ptrIiEESB_SB_iNS9_4plusIvEENS9_8equal_toIvEEiEE10hipError_tPvRmT2_T3_T4_T5_mT6_T7_P12ihipStream_tbENKUlT_T0_E_clISt17integral_constantIbLb0EESV_IbLb1EEEEDaSR_SS_EUlSR_E_NS1_11comp_targetILNS1_3genE5ELNS1_11target_archE942ELNS1_3gpuE9ELNS1_3repE0EEENS1_30default_config_static_selectorELNS0_4arch9wavefront6targetE0EEEvT1_
	.globl	_ZN7rocprim17ROCPRIM_400000_NS6detail17trampoline_kernelINS0_14default_configENS1_27scan_by_key_config_selectorIiiEEZZNS1_16scan_by_key_implILNS1_25lookback_scan_determinismE0ELb1ES3_N6thrust23THRUST_200600_302600_NS10device_ptrIiEESB_SB_iNS9_4plusIvEENS9_8equal_toIvEEiEE10hipError_tPvRmT2_T3_T4_T5_mT6_T7_P12ihipStream_tbENKUlT_T0_E_clISt17integral_constantIbLb0EESV_IbLb1EEEEDaSR_SS_EUlSR_E_NS1_11comp_targetILNS1_3genE5ELNS1_11target_archE942ELNS1_3gpuE9ELNS1_3repE0EEENS1_30default_config_static_selectorELNS0_4arch9wavefront6targetE0EEEvT1_
	.p2align	8
	.type	_ZN7rocprim17ROCPRIM_400000_NS6detail17trampoline_kernelINS0_14default_configENS1_27scan_by_key_config_selectorIiiEEZZNS1_16scan_by_key_implILNS1_25lookback_scan_determinismE0ELb1ES3_N6thrust23THRUST_200600_302600_NS10device_ptrIiEESB_SB_iNS9_4plusIvEENS9_8equal_toIvEEiEE10hipError_tPvRmT2_T3_T4_T5_mT6_T7_P12ihipStream_tbENKUlT_T0_E_clISt17integral_constantIbLb0EESV_IbLb1EEEEDaSR_SS_EUlSR_E_NS1_11comp_targetILNS1_3genE5ELNS1_11target_archE942ELNS1_3gpuE9ELNS1_3repE0EEENS1_30default_config_static_selectorELNS0_4arch9wavefront6targetE0EEEvT1_,@function
_ZN7rocprim17ROCPRIM_400000_NS6detail17trampoline_kernelINS0_14default_configENS1_27scan_by_key_config_selectorIiiEEZZNS1_16scan_by_key_implILNS1_25lookback_scan_determinismE0ELb1ES3_N6thrust23THRUST_200600_302600_NS10device_ptrIiEESB_SB_iNS9_4plusIvEENS9_8equal_toIvEEiEE10hipError_tPvRmT2_T3_T4_T5_mT6_T7_P12ihipStream_tbENKUlT_T0_E_clISt17integral_constantIbLb0EESV_IbLb1EEEEDaSR_SS_EUlSR_E_NS1_11comp_targetILNS1_3genE5ELNS1_11target_archE942ELNS1_3gpuE9ELNS1_3repE0EEENS1_30default_config_static_selectorELNS0_4arch9wavefront6targetE0EEEvT1_: ; @_ZN7rocprim17ROCPRIM_400000_NS6detail17trampoline_kernelINS0_14default_configENS1_27scan_by_key_config_selectorIiiEEZZNS1_16scan_by_key_implILNS1_25lookback_scan_determinismE0ELb1ES3_N6thrust23THRUST_200600_302600_NS10device_ptrIiEESB_SB_iNS9_4plusIvEENS9_8equal_toIvEEiEE10hipError_tPvRmT2_T3_T4_T5_mT6_T7_P12ihipStream_tbENKUlT_T0_E_clISt17integral_constantIbLb0EESV_IbLb1EEEEDaSR_SS_EUlSR_E_NS1_11comp_targetILNS1_3genE5ELNS1_11target_archE942ELNS1_3gpuE9ELNS1_3repE0EEENS1_30default_config_static_selectorELNS0_4arch9wavefront6targetE0EEEvT1_
; %bb.0:
	.section	.rodata,"a",@progbits
	.p2align	6, 0x0
	.amdhsa_kernel _ZN7rocprim17ROCPRIM_400000_NS6detail17trampoline_kernelINS0_14default_configENS1_27scan_by_key_config_selectorIiiEEZZNS1_16scan_by_key_implILNS1_25lookback_scan_determinismE0ELb1ES3_N6thrust23THRUST_200600_302600_NS10device_ptrIiEESB_SB_iNS9_4plusIvEENS9_8equal_toIvEEiEE10hipError_tPvRmT2_T3_T4_T5_mT6_T7_P12ihipStream_tbENKUlT_T0_E_clISt17integral_constantIbLb0EESV_IbLb1EEEEDaSR_SS_EUlSR_E_NS1_11comp_targetILNS1_3genE5ELNS1_11target_archE942ELNS1_3gpuE9ELNS1_3repE0EEENS1_30default_config_static_selectorELNS0_4arch9wavefront6targetE0EEEvT1_
		.amdhsa_group_segment_fixed_size 0
		.amdhsa_private_segment_fixed_size 0
		.amdhsa_kernarg_size 112
		.amdhsa_user_sgpr_count 2
		.amdhsa_user_sgpr_dispatch_ptr 0
		.amdhsa_user_sgpr_queue_ptr 0
		.amdhsa_user_sgpr_kernarg_segment_ptr 1
		.amdhsa_user_sgpr_dispatch_id 0
		.amdhsa_user_sgpr_kernarg_preload_length 0
		.amdhsa_user_sgpr_kernarg_preload_offset 0
		.amdhsa_user_sgpr_private_segment_size 0
		.amdhsa_wavefront_size32 1
		.amdhsa_uses_dynamic_stack 0
		.amdhsa_enable_private_segment 0
		.amdhsa_system_sgpr_workgroup_id_x 1
		.amdhsa_system_sgpr_workgroup_id_y 0
		.amdhsa_system_sgpr_workgroup_id_z 0
		.amdhsa_system_sgpr_workgroup_info 0
		.amdhsa_system_vgpr_workitem_id 0
		.amdhsa_next_free_vgpr 1
		.amdhsa_next_free_sgpr 1
		.amdhsa_named_barrier_count 0
		.amdhsa_reserve_vcc 0
		.amdhsa_float_round_mode_32 0
		.amdhsa_float_round_mode_16_64 0
		.amdhsa_float_denorm_mode_32 3
		.amdhsa_float_denorm_mode_16_64 3
		.amdhsa_fp16_overflow 0
		.amdhsa_memory_ordered 1
		.amdhsa_forward_progress 1
		.amdhsa_inst_pref_size 0
		.amdhsa_round_robin_scheduling 0
		.amdhsa_exception_fp_ieee_invalid_op 0
		.amdhsa_exception_fp_denorm_src 0
		.amdhsa_exception_fp_ieee_div_zero 0
		.amdhsa_exception_fp_ieee_overflow 0
		.amdhsa_exception_fp_ieee_underflow 0
		.amdhsa_exception_fp_ieee_inexact 0
		.amdhsa_exception_int_div_zero 0
	.end_amdhsa_kernel
	.section	.text._ZN7rocprim17ROCPRIM_400000_NS6detail17trampoline_kernelINS0_14default_configENS1_27scan_by_key_config_selectorIiiEEZZNS1_16scan_by_key_implILNS1_25lookback_scan_determinismE0ELb1ES3_N6thrust23THRUST_200600_302600_NS10device_ptrIiEESB_SB_iNS9_4plusIvEENS9_8equal_toIvEEiEE10hipError_tPvRmT2_T3_T4_T5_mT6_T7_P12ihipStream_tbENKUlT_T0_E_clISt17integral_constantIbLb0EESV_IbLb1EEEEDaSR_SS_EUlSR_E_NS1_11comp_targetILNS1_3genE5ELNS1_11target_archE942ELNS1_3gpuE9ELNS1_3repE0EEENS1_30default_config_static_selectorELNS0_4arch9wavefront6targetE0EEEvT1_,"axG",@progbits,_ZN7rocprim17ROCPRIM_400000_NS6detail17trampoline_kernelINS0_14default_configENS1_27scan_by_key_config_selectorIiiEEZZNS1_16scan_by_key_implILNS1_25lookback_scan_determinismE0ELb1ES3_N6thrust23THRUST_200600_302600_NS10device_ptrIiEESB_SB_iNS9_4plusIvEENS9_8equal_toIvEEiEE10hipError_tPvRmT2_T3_T4_T5_mT6_T7_P12ihipStream_tbENKUlT_T0_E_clISt17integral_constantIbLb0EESV_IbLb1EEEEDaSR_SS_EUlSR_E_NS1_11comp_targetILNS1_3genE5ELNS1_11target_archE942ELNS1_3gpuE9ELNS1_3repE0EEENS1_30default_config_static_selectorELNS0_4arch9wavefront6targetE0EEEvT1_,comdat
.Lfunc_end2262:
	.size	_ZN7rocprim17ROCPRIM_400000_NS6detail17trampoline_kernelINS0_14default_configENS1_27scan_by_key_config_selectorIiiEEZZNS1_16scan_by_key_implILNS1_25lookback_scan_determinismE0ELb1ES3_N6thrust23THRUST_200600_302600_NS10device_ptrIiEESB_SB_iNS9_4plusIvEENS9_8equal_toIvEEiEE10hipError_tPvRmT2_T3_T4_T5_mT6_T7_P12ihipStream_tbENKUlT_T0_E_clISt17integral_constantIbLb0EESV_IbLb1EEEEDaSR_SS_EUlSR_E_NS1_11comp_targetILNS1_3genE5ELNS1_11target_archE942ELNS1_3gpuE9ELNS1_3repE0EEENS1_30default_config_static_selectorELNS0_4arch9wavefront6targetE0EEEvT1_, .Lfunc_end2262-_ZN7rocprim17ROCPRIM_400000_NS6detail17trampoline_kernelINS0_14default_configENS1_27scan_by_key_config_selectorIiiEEZZNS1_16scan_by_key_implILNS1_25lookback_scan_determinismE0ELb1ES3_N6thrust23THRUST_200600_302600_NS10device_ptrIiEESB_SB_iNS9_4plusIvEENS9_8equal_toIvEEiEE10hipError_tPvRmT2_T3_T4_T5_mT6_T7_P12ihipStream_tbENKUlT_T0_E_clISt17integral_constantIbLb0EESV_IbLb1EEEEDaSR_SS_EUlSR_E_NS1_11comp_targetILNS1_3genE5ELNS1_11target_archE942ELNS1_3gpuE9ELNS1_3repE0EEENS1_30default_config_static_selectorELNS0_4arch9wavefront6targetE0EEEvT1_
                                        ; -- End function
	.set _ZN7rocprim17ROCPRIM_400000_NS6detail17trampoline_kernelINS0_14default_configENS1_27scan_by_key_config_selectorIiiEEZZNS1_16scan_by_key_implILNS1_25lookback_scan_determinismE0ELb1ES3_N6thrust23THRUST_200600_302600_NS10device_ptrIiEESB_SB_iNS9_4plusIvEENS9_8equal_toIvEEiEE10hipError_tPvRmT2_T3_T4_T5_mT6_T7_P12ihipStream_tbENKUlT_T0_E_clISt17integral_constantIbLb0EESV_IbLb1EEEEDaSR_SS_EUlSR_E_NS1_11comp_targetILNS1_3genE5ELNS1_11target_archE942ELNS1_3gpuE9ELNS1_3repE0EEENS1_30default_config_static_selectorELNS0_4arch9wavefront6targetE0EEEvT1_.num_vgpr, 0
	.set _ZN7rocprim17ROCPRIM_400000_NS6detail17trampoline_kernelINS0_14default_configENS1_27scan_by_key_config_selectorIiiEEZZNS1_16scan_by_key_implILNS1_25lookback_scan_determinismE0ELb1ES3_N6thrust23THRUST_200600_302600_NS10device_ptrIiEESB_SB_iNS9_4plusIvEENS9_8equal_toIvEEiEE10hipError_tPvRmT2_T3_T4_T5_mT6_T7_P12ihipStream_tbENKUlT_T0_E_clISt17integral_constantIbLb0EESV_IbLb1EEEEDaSR_SS_EUlSR_E_NS1_11comp_targetILNS1_3genE5ELNS1_11target_archE942ELNS1_3gpuE9ELNS1_3repE0EEENS1_30default_config_static_selectorELNS0_4arch9wavefront6targetE0EEEvT1_.num_agpr, 0
	.set _ZN7rocprim17ROCPRIM_400000_NS6detail17trampoline_kernelINS0_14default_configENS1_27scan_by_key_config_selectorIiiEEZZNS1_16scan_by_key_implILNS1_25lookback_scan_determinismE0ELb1ES3_N6thrust23THRUST_200600_302600_NS10device_ptrIiEESB_SB_iNS9_4plusIvEENS9_8equal_toIvEEiEE10hipError_tPvRmT2_T3_T4_T5_mT6_T7_P12ihipStream_tbENKUlT_T0_E_clISt17integral_constantIbLb0EESV_IbLb1EEEEDaSR_SS_EUlSR_E_NS1_11comp_targetILNS1_3genE5ELNS1_11target_archE942ELNS1_3gpuE9ELNS1_3repE0EEENS1_30default_config_static_selectorELNS0_4arch9wavefront6targetE0EEEvT1_.numbered_sgpr, 0
	.set _ZN7rocprim17ROCPRIM_400000_NS6detail17trampoline_kernelINS0_14default_configENS1_27scan_by_key_config_selectorIiiEEZZNS1_16scan_by_key_implILNS1_25lookback_scan_determinismE0ELb1ES3_N6thrust23THRUST_200600_302600_NS10device_ptrIiEESB_SB_iNS9_4plusIvEENS9_8equal_toIvEEiEE10hipError_tPvRmT2_T3_T4_T5_mT6_T7_P12ihipStream_tbENKUlT_T0_E_clISt17integral_constantIbLb0EESV_IbLb1EEEEDaSR_SS_EUlSR_E_NS1_11comp_targetILNS1_3genE5ELNS1_11target_archE942ELNS1_3gpuE9ELNS1_3repE0EEENS1_30default_config_static_selectorELNS0_4arch9wavefront6targetE0EEEvT1_.num_named_barrier, 0
	.set _ZN7rocprim17ROCPRIM_400000_NS6detail17trampoline_kernelINS0_14default_configENS1_27scan_by_key_config_selectorIiiEEZZNS1_16scan_by_key_implILNS1_25lookback_scan_determinismE0ELb1ES3_N6thrust23THRUST_200600_302600_NS10device_ptrIiEESB_SB_iNS9_4plusIvEENS9_8equal_toIvEEiEE10hipError_tPvRmT2_T3_T4_T5_mT6_T7_P12ihipStream_tbENKUlT_T0_E_clISt17integral_constantIbLb0EESV_IbLb1EEEEDaSR_SS_EUlSR_E_NS1_11comp_targetILNS1_3genE5ELNS1_11target_archE942ELNS1_3gpuE9ELNS1_3repE0EEENS1_30default_config_static_selectorELNS0_4arch9wavefront6targetE0EEEvT1_.private_seg_size, 0
	.set _ZN7rocprim17ROCPRIM_400000_NS6detail17trampoline_kernelINS0_14default_configENS1_27scan_by_key_config_selectorIiiEEZZNS1_16scan_by_key_implILNS1_25lookback_scan_determinismE0ELb1ES3_N6thrust23THRUST_200600_302600_NS10device_ptrIiEESB_SB_iNS9_4plusIvEENS9_8equal_toIvEEiEE10hipError_tPvRmT2_T3_T4_T5_mT6_T7_P12ihipStream_tbENKUlT_T0_E_clISt17integral_constantIbLb0EESV_IbLb1EEEEDaSR_SS_EUlSR_E_NS1_11comp_targetILNS1_3genE5ELNS1_11target_archE942ELNS1_3gpuE9ELNS1_3repE0EEENS1_30default_config_static_selectorELNS0_4arch9wavefront6targetE0EEEvT1_.uses_vcc, 0
	.set _ZN7rocprim17ROCPRIM_400000_NS6detail17trampoline_kernelINS0_14default_configENS1_27scan_by_key_config_selectorIiiEEZZNS1_16scan_by_key_implILNS1_25lookback_scan_determinismE0ELb1ES3_N6thrust23THRUST_200600_302600_NS10device_ptrIiEESB_SB_iNS9_4plusIvEENS9_8equal_toIvEEiEE10hipError_tPvRmT2_T3_T4_T5_mT6_T7_P12ihipStream_tbENKUlT_T0_E_clISt17integral_constantIbLb0EESV_IbLb1EEEEDaSR_SS_EUlSR_E_NS1_11comp_targetILNS1_3genE5ELNS1_11target_archE942ELNS1_3gpuE9ELNS1_3repE0EEENS1_30default_config_static_selectorELNS0_4arch9wavefront6targetE0EEEvT1_.uses_flat_scratch, 0
	.set _ZN7rocprim17ROCPRIM_400000_NS6detail17trampoline_kernelINS0_14default_configENS1_27scan_by_key_config_selectorIiiEEZZNS1_16scan_by_key_implILNS1_25lookback_scan_determinismE0ELb1ES3_N6thrust23THRUST_200600_302600_NS10device_ptrIiEESB_SB_iNS9_4plusIvEENS9_8equal_toIvEEiEE10hipError_tPvRmT2_T3_T4_T5_mT6_T7_P12ihipStream_tbENKUlT_T0_E_clISt17integral_constantIbLb0EESV_IbLb1EEEEDaSR_SS_EUlSR_E_NS1_11comp_targetILNS1_3genE5ELNS1_11target_archE942ELNS1_3gpuE9ELNS1_3repE0EEENS1_30default_config_static_selectorELNS0_4arch9wavefront6targetE0EEEvT1_.has_dyn_sized_stack, 0
	.set _ZN7rocprim17ROCPRIM_400000_NS6detail17trampoline_kernelINS0_14default_configENS1_27scan_by_key_config_selectorIiiEEZZNS1_16scan_by_key_implILNS1_25lookback_scan_determinismE0ELb1ES3_N6thrust23THRUST_200600_302600_NS10device_ptrIiEESB_SB_iNS9_4plusIvEENS9_8equal_toIvEEiEE10hipError_tPvRmT2_T3_T4_T5_mT6_T7_P12ihipStream_tbENKUlT_T0_E_clISt17integral_constantIbLb0EESV_IbLb1EEEEDaSR_SS_EUlSR_E_NS1_11comp_targetILNS1_3genE5ELNS1_11target_archE942ELNS1_3gpuE9ELNS1_3repE0EEENS1_30default_config_static_selectorELNS0_4arch9wavefront6targetE0EEEvT1_.has_recursion, 0
	.set _ZN7rocprim17ROCPRIM_400000_NS6detail17trampoline_kernelINS0_14default_configENS1_27scan_by_key_config_selectorIiiEEZZNS1_16scan_by_key_implILNS1_25lookback_scan_determinismE0ELb1ES3_N6thrust23THRUST_200600_302600_NS10device_ptrIiEESB_SB_iNS9_4plusIvEENS9_8equal_toIvEEiEE10hipError_tPvRmT2_T3_T4_T5_mT6_T7_P12ihipStream_tbENKUlT_T0_E_clISt17integral_constantIbLb0EESV_IbLb1EEEEDaSR_SS_EUlSR_E_NS1_11comp_targetILNS1_3genE5ELNS1_11target_archE942ELNS1_3gpuE9ELNS1_3repE0EEENS1_30default_config_static_selectorELNS0_4arch9wavefront6targetE0EEEvT1_.has_indirect_call, 0
	.section	.AMDGPU.csdata,"",@progbits
; Kernel info:
; codeLenInByte = 0
; TotalNumSgprs: 0
; NumVgprs: 0
; ScratchSize: 0
; MemoryBound: 0
; FloatMode: 240
; IeeeMode: 1
; LDSByteSize: 0 bytes/workgroup (compile time only)
; SGPRBlocks: 0
; VGPRBlocks: 0
; NumSGPRsForWavesPerEU: 1
; NumVGPRsForWavesPerEU: 1
; NamedBarCnt: 0
; Occupancy: 16
; WaveLimiterHint : 0
; COMPUTE_PGM_RSRC2:SCRATCH_EN: 0
; COMPUTE_PGM_RSRC2:USER_SGPR: 2
; COMPUTE_PGM_RSRC2:TRAP_HANDLER: 0
; COMPUTE_PGM_RSRC2:TGID_X_EN: 1
; COMPUTE_PGM_RSRC2:TGID_Y_EN: 0
; COMPUTE_PGM_RSRC2:TGID_Z_EN: 0
; COMPUTE_PGM_RSRC2:TIDIG_COMP_CNT: 0
	.section	.text._ZN7rocprim17ROCPRIM_400000_NS6detail17trampoline_kernelINS0_14default_configENS1_27scan_by_key_config_selectorIiiEEZZNS1_16scan_by_key_implILNS1_25lookback_scan_determinismE0ELb1ES3_N6thrust23THRUST_200600_302600_NS10device_ptrIiEESB_SB_iNS9_4plusIvEENS9_8equal_toIvEEiEE10hipError_tPvRmT2_T3_T4_T5_mT6_T7_P12ihipStream_tbENKUlT_T0_E_clISt17integral_constantIbLb0EESV_IbLb1EEEEDaSR_SS_EUlSR_E_NS1_11comp_targetILNS1_3genE4ELNS1_11target_archE910ELNS1_3gpuE8ELNS1_3repE0EEENS1_30default_config_static_selectorELNS0_4arch9wavefront6targetE0EEEvT1_,"axG",@progbits,_ZN7rocprim17ROCPRIM_400000_NS6detail17trampoline_kernelINS0_14default_configENS1_27scan_by_key_config_selectorIiiEEZZNS1_16scan_by_key_implILNS1_25lookback_scan_determinismE0ELb1ES3_N6thrust23THRUST_200600_302600_NS10device_ptrIiEESB_SB_iNS9_4plusIvEENS9_8equal_toIvEEiEE10hipError_tPvRmT2_T3_T4_T5_mT6_T7_P12ihipStream_tbENKUlT_T0_E_clISt17integral_constantIbLb0EESV_IbLb1EEEEDaSR_SS_EUlSR_E_NS1_11comp_targetILNS1_3genE4ELNS1_11target_archE910ELNS1_3gpuE8ELNS1_3repE0EEENS1_30default_config_static_selectorELNS0_4arch9wavefront6targetE0EEEvT1_,comdat
	.protected	_ZN7rocprim17ROCPRIM_400000_NS6detail17trampoline_kernelINS0_14default_configENS1_27scan_by_key_config_selectorIiiEEZZNS1_16scan_by_key_implILNS1_25lookback_scan_determinismE0ELb1ES3_N6thrust23THRUST_200600_302600_NS10device_ptrIiEESB_SB_iNS9_4plusIvEENS9_8equal_toIvEEiEE10hipError_tPvRmT2_T3_T4_T5_mT6_T7_P12ihipStream_tbENKUlT_T0_E_clISt17integral_constantIbLb0EESV_IbLb1EEEEDaSR_SS_EUlSR_E_NS1_11comp_targetILNS1_3genE4ELNS1_11target_archE910ELNS1_3gpuE8ELNS1_3repE0EEENS1_30default_config_static_selectorELNS0_4arch9wavefront6targetE0EEEvT1_ ; -- Begin function _ZN7rocprim17ROCPRIM_400000_NS6detail17trampoline_kernelINS0_14default_configENS1_27scan_by_key_config_selectorIiiEEZZNS1_16scan_by_key_implILNS1_25lookback_scan_determinismE0ELb1ES3_N6thrust23THRUST_200600_302600_NS10device_ptrIiEESB_SB_iNS9_4plusIvEENS9_8equal_toIvEEiEE10hipError_tPvRmT2_T3_T4_T5_mT6_T7_P12ihipStream_tbENKUlT_T0_E_clISt17integral_constantIbLb0EESV_IbLb1EEEEDaSR_SS_EUlSR_E_NS1_11comp_targetILNS1_3genE4ELNS1_11target_archE910ELNS1_3gpuE8ELNS1_3repE0EEENS1_30default_config_static_selectorELNS0_4arch9wavefront6targetE0EEEvT1_
	.globl	_ZN7rocprim17ROCPRIM_400000_NS6detail17trampoline_kernelINS0_14default_configENS1_27scan_by_key_config_selectorIiiEEZZNS1_16scan_by_key_implILNS1_25lookback_scan_determinismE0ELb1ES3_N6thrust23THRUST_200600_302600_NS10device_ptrIiEESB_SB_iNS9_4plusIvEENS9_8equal_toIvEEiEE10hipError_tPvRmT2_T3_T4_T5_mT6_T7_P12ihipStream_tbENKUlT_T0_E_clISt17integral_constantIbLb0EESV_IbLb1EEEEDaSR_SS_EUlSR_E_NS1_11comp_targetILNS1_3genE4ELNS1_11target_archE910ELNS1_3gpuE8ELNS1_3repE0EEENS1_30default_config_static_selectorELNS0_4arch9wavefront6targetE0EEEvT1_
	.p2align	8
	.type	_ZN7rocprim17ROCPRIM_400000_NS6detail17trampoline_kernelINS0_14default_configENS1_27scan_by_key_config_selectorIiiEEZZNS1_16scan_by_key_implILNS1_25lookback_scan_determinismE0ELb1ES3_N6thrust23THRUST_200600_302600_NS10device_ptrIiEESB_SB_iNS9_4plusIvEENS9_8equal_toIvEEiEE10hipError_tPvRmT2_T3_T4_T5_mT6_T7_P12ihipStream_tbENKUlT_T0_E_clISt17integral_constantIbLb0EESV_IbLb1EEEEDaSR_SS_EUlSR_E_NS1_11comp_targetILNS1_3genE4ELNS1_11target_archE910ELNS1_3gpuE8ELNS1_3repE0EEENS1_30default_config_static_selectorELNS0_4arch9wavefront6targetE0EEEvT1_,@function
_ZN7rocprim17ROCPRIM_400000_NS6detail17trampoline_kernelINS0_14default_configENS1_27scan_by_key_config_selectorIiiEEZZNS1_16scan_by_key_implILNS1_25lookback_scan_determinismE0ELb1ES3_N6thrust23THRUST_200600_302600_NS10device_ptrIiEESB_SB_iNS9_4plusIvEENS9_8equal_toIvEEiEE10hipError_tPvRmT2_T3_T4_T5_mT6_T7_P12ihipStream_tbENKUlT_T0_E_clISt17integral_constantIbLb0EESV_IbLb1EEEEDaSR_SS_EUlSR_E_NS1_11comp_targetILNS1_3genE4ELNS1_11target_archE910ELNS1_3gpuE8ELNS1_3repE0EEENS1_30default_config_static_selectorELNS0_4arch9wavefront6targetE0EEEvT1_: ; @_ZN7rocprim17ROCPRIM_400000_NS6detail17trampoline_kernelINS0_14default_configENS1_27scan_by_key_config_selectorIiiEEZZNS1_16scan_by_key_implILNS1_25lookback_scan_determinismE0ELb1ES3_N6thrust23THRUST_200600_302600_NS10device_ptrIiEESB_SB_iNS9_4plusIvEENS9_8equal_toIvEEiEE10hipError_tPvRmT2_T3_T4_T5_mT6_T7_P12ihipStream_tbENKUlT_T0_E_clISt17integral_constantIbLb0EESV_IbLb1EEEEDaSR_SS_EUlSR_E_NS1_11comp_targetILNS1_3genE4ELNS1_11target_archE910ELNS1_3gpuE8ELNS1_3repE0EEENS1_30default_config_static_selectorELNS0_4arch9wavefront6targetE0EEEvT1_
; %bb.0:
	.section	.rodata,"a",@progbits
	.p2align	6, 0x0
	.amdhsa_kernel _ZN7rocprim17ROCPRIM_400000_NS6detail17trampoline_kernelINS0_14default_configENS1_27scan_by_key_config_selectorIiiEEZZNS1_16scan_by_key_implILNS1_25lookback_scan_determinismE0ELb1ES3_N6thrust23THRUST_200600_302600_NS10device_ptrIiEESB_SB_iNS9_4plusIvEENS9_8equal_toIvEEiEE10hipError_tPvRmT2_T3_T4_T5_mT6_T7_P12ihipStream_tbENKUlT_T0_E_clISt17integral_constantIbLb0EESV_IbLb1EEEEDaSR_SS_EUlSR_E_NS1_11comp_targetILNS1_3genE4ELNS1_11target_archE910ELNS1_3gpuE8ELNS1_3repE0EEENS1_30default_config_static_selectorELNS0_4arch9wavefront6targetE0EEEvT1_
		.amdhsa_group_segment_fixed_size 0
		.amdhsa_private_segment_fixed_size 0
		.amdhsa_kernarg_size 112
		.amdhsa_user_sgpr_count 2
		.amdhsa_user_sgpr_dispatch_ptr 0
		.amdhsa_user_sgpr_queue_ptr 0
		.amdhsa_user_sgpr_kernarg_segment_ptr 1
		.amdhsa_user_sgpr_dispatch_id 0
		.amdhsa_user_sgpr_kernarg_preload_length 0
		.amdhsa_user_sgpr_kernarg_preload_offset 0
		.amdhsa_user_sgpr_private_segment_size 0
		.amdhsa_wavefront_size32 1
		.amdhsa_uses_dynamic_stack 0
		.amdhsa_enable_private_segment 0
		.amdhsa_system_sgpr_workgroup_id_x 1
		.amdhsa_system_sgpr_workgroup_id_y 0
		.amdhsa_system_sgpr_workgroup_id_z 0
		.amdhsa_system_sgpr_workgroup_info 0
		.amdhsa_system_vgpr_workitem_id 0
		.amdhsa_next_free_vgpr 1
		.amdhsa_next_free_sgpr 1
		.amdhsa_named_barrier_count 0
		.amdhsa_reserve_vcc 0
		.amdhsa_float_round_mode_32 0
		.amdhsa_float_round_mode_16_64 0
		.amdhsa_float_denorm_mode_32 3
		.amdhsa_float_denorm_mode_16_64 3
		.amdhsa_fp16_overflow 0
		.amdhsa_memory_ordered 1
		.amdhsa_forward_progress 1
		.amdhsa_inst_pref_size 0
		.amdhsa_round_robin_scheduling 0
		.amdhsa_exception_fp_ieee_invalid_op 0
		.amdhsa_exception_fp_denorm_src 0
		.amdhsa_exception_fp_ieee_div_zero 0
		.amdhsa_exception_fp_ieee_overflow 0
		.amdhsa_exception_fp_ieee_underflow 0
		.amdhsa_exception_fp_ieee_inexact 0
		.amdhsa_exception_int_div_zero 0
	.end_amdhsa_kernel
	.section	.text._ZN7rocprim17ROCPRIM_400000_NS6detail17trampoline_kernelINS0_14default_configENS1_27scan_by_key_config_selectorIiiEEZZNS1_16scan_by_key_implILNS1_25lookback_scan_determinismE0ELb1ES3_N6thrust23THRUST_200600_302600_NS10device_ptrIiEESB_SB_iNS9_4plusIvEENS9_8equal_toIvEEiEE10hipError_tPvRmT2_T3_T4_T5_mT6_T7_P12ihipStream_tbENKUlT_T0_E_clISt17integral_constantIbLb0EESV_IbLb1EEEEDaSR_SS_EUlSR_E_NS1_11comp_targetILNS1_3genE4ELNS1_11target_archE910ELNS1_3gpuE8ELNS1_3repE0EEENS1_30default_config_static_selectorELNS0_4arch9wavefront6targetE0EEEvT1_,"axG",@progbits,_ZN7rocprim17ROCPRIM_400000_NS6detail17trampoline_kernelINS0_14default_configENS1_27scan_by_key_config_selectorIiiEEZZNS1_16scan_by_key_implILNS1_25lookback_scan_determinismE0ELb1ES3_N6thrust23THRUST_200600_302600_NS10device_ptrIiEESB_SB_iNS9_4plusIvEENS9_8equal_toIvEEiEE10hipError_tPvRmT2_T3_T4_T5_mT6_T7_P12ihipStream_tbENKUlT_T0_E_clISt17integral_constantIbLb0EESV_IbLb1EEEEDaSR_SS_EUlSR_E_NS1_11comp_targetILNS1_3genE4ELNS1_11target_archE910ELNS1_3gpuE8ELNS1_3repE0EEENS1_30default_config_static_selectorELNS0_4arch9wavefront6targetE0EEEvT1_,comdat
.Lfunc_end2263:
	.size	_ZN7rocprim17ROCPRIM_400000_NS6detail17trampoline_kernelINS0_14default_configENS1_27scan_by_key_config_selectorIiiEEZZNS1_16scan_by_key_implILNS1_25lookback_scan_determinismE0ELb1ES3_N6thrust23THRUST_200600_302600_NS10device_ptrIiEESB_SB_iNS9_4plusIvEENS9_8equal_toIvEEiEE10hipError_tPvRmT2_T3_T4_T5_mT6_T7_P12ihipStream_tbENKUlT_T0_E_clISt17integral_constantIbLb0EESV_IbLb1EEEEDaSR_SS_EUlSR_E_NS1_11comp_targetILNS1_3genE4ELNS1_11target_archE910ELNS1_3gpuE8ELNS1_3repE0EEENS1_30default_config_static_selectorELNS0_4arch9wavefront6targetE0EEEvT1_, .Lfunc_end2263-_ZN7rocprim17ROCPRIM_400000_NS6detail17trampoline_kernelINS0_14default_configENS1_27scan_by_key_config_selectorIiiEEZZNS1_16scan_by_key_implILNS1_25lookback_scan_determinismE0ELb1ES3_N6thrust23THRUST_200600_302600_NS10device_ptrIiEESB_SB_iNS9_4plusIvEENS9_8equal_toIvEEiEE10hipError_tPvRmT2_T3_T4_T5_mT6_T7_P12ihipStream_tbENKUlT_T0_E_clISt17integral_constantIbLb0EESV_IbLb1EEEEDaSR_SS_EUlSR_E_NS1_11comp_targetILNS1_3genE4ELNS1_11target_archE910ELNS1_3gpuE8ELNS1_3repE0EEENS1_30default_config_static_selectorELNS0_4arch9wavefront6targetE0EEEvT1_
                                        ; -- End function
	.set _ZN7rocprim17ROCPRIM_400000_NS6detail17trampoline_kernelINS0_14default_configENS1_27scan_by_key_config_selectorIiiEEZZNS1_16scan_by_key_implILNS1_25lookback_scan_determinismE0ELb1ES3_N6thrust23THRUST_200600_302600_NS10device_ptrIiEESB_SB_iNS9_4plusIvEENS9_8equal_toIvEEiEE10hipError_tPvRmT2_T3_T4_T5_mT6_T7_P12ihipStream_tbENKUlT_T0_E_clISt17integral_constantIbLb0EESV_IbLb1EEEEDaSR_SS_EUlSR_E_NS1_11comp_targetILNS1_3genE4ELNS1_11target_archE910ELNS1_3gpuE8ELNS1_3repE0EEENS1_30default_config_static_selectorELNS0_4arch9wavefront6targetE0EEEvT1_.num_vgpr, 0
	.set _ZN7rocprim17ROCPRIM_400000_NS6detail17trampoline_kernelINS0_14default_configENS1_27scan_by_key_config_selectorIiiEEZZNS1_16scan_by_key_implILNS1_25lookback_scan_determinismE0ELb1ES3_N6thrust23THRUST_200600_302600_NS10device_ptrIiEESB_SB_iNS9_4plusIvEENS9_8equal_toIvEEiEE10hipError_tPvRmT2_T3_T4_T5_mT6_T7_P12ihipStream_tbENKUlT_T0_E_clISt17integral_constantIbLb0EESV_IbLb1EEEEDaSR_SS_EUlSR_E_NS1_11comp_targetILNS1_3genE4ELNS1_11target_archE910ELNS1_3gpuE8ELNS1_3repE0EEENS1_30default_config_static_selectorELNS0_4arch9wavefront6targetE0EEEvT1_.num_agpr, 0
	.set _ZN7rocprim17ROCPRIM_400000_NS6detail17trampoline_kernelINS0_14default_configENS1_27scan_by_key_config_selectorIiiEEZZNS1_16scan_by_key_implILNS1_25lookback_scan_determinismE0ELb1ES3_N6thrust23THRUST_200600_302600_NS10device_ptrIiEESB_SB_iNS9_4plusIvEENS9_8equal_toIvEEiEE10hipError_tPvRmT2_T3_T4_T5_mT6_T7_P12ihipStream_tbENKUlT_T0_E_clISt17integral_constantIbLb0EESV_IbLb1EEEEDaSR_SS_EUlSR_E_NS1_11comp_targetILNS1_3genE4ELNS1_11target_archE910ELNS1_3gpuE8ELNS1_3repE0EEENS1_30default_config_static_selectorELNS0_4arch9wavefront6targetE0EEEvT1_.numbered_sgpr, 0
	.set _ZN7rocprim17ROCPRIM_400000_NS6detail17trampoline_kernelINS0_14default_configENS1_27scan_by_key_config_selectorIiiEEZZNS1_16scan_by_key_implILNS1_25lookback_scan_determinismE0ELb1ES3_N6thrust23THRUST_200600_302600_NS10device_ptrIiEESB_SB_iNS9_4plusIvEENS9_8equal_toIvEEiEE10hipError_tPvRmT2_T3_T4_T5_mT6_T7_P12ihipStream_tbENKUlT_T0_E_clISt17integral_constantIbLb0EESV_IbLb1EEEEDaSR_SS_EUlSR_E_NS1_11comp_targetILNS1_3genE4ELNS1_11target_archE910ELNS1_3gpuE8ELNS1_3repE0EEENS1_30default_config_static_selectorELNS0_4arch9wavefront6targetE0EEEvT1_.num_named_barrier, 0
	.set _ZN7rocprim17ROCPRIM_400000_NS6detail17trampoline_kernelINS0_14default_configENS1_27scan_by_key_config_selectorIiiEEZZNS1_16scan_by_key_implILNS1_25lookback_scan_determinismE0ELb1ES3_N6thrust23THRUST_200600_302600_NS10device_ptrIiEESB_SB_iNS9_4plusIvEENS9_8equal_toIvEEiEE10hipError_tPvRmT2_T3_T4_T5_mT6_T7_P12ihipStream_tbENKUlT_T0_E_clISt17integral_constantIbLb0EESV_IbLb1EEEEDaSR_SS_EUlSR_E_NS1_11comp_targetILNS1_3genE4ELNS1_11target_archE910ELNS1_3gpuE8ELNS1_3repE0EEENS1_30default_config_static_selectorELNS0_4arch9wavefront6targetE0EEEvT1_.private_seg_size, 0
	.set _ZN7rocprim17ROCPRIM_400000_NS6detail17trampoline_kernelINS0_14default_configENS1_27scan_by_key_config_selectorIiiEEZZNS1_16scan_by_key_implILNS1_25lookback_scan_determinismE0ELb1ES3_N6thrust23THRUST_200600_302600_NS10device_ptrIiEESB_SB_iNS9_4plusIvEENS9_8equal_toIvEEiEE10hipError_tPvRmT2_T3_T4_T5_mT6_T7_P12ihipStream_tbENKUlT_T0_E_clISt17integral_constantIbLb0EESV_IbLb1EEEEDaSR_SS_EUlSR_E_NS1_11comp_targetILNS1_3genE4ELNS1_11target_archE910ELNS1_3gpuE8ELNS1_3repE0EEENS1_30default_config_static_selectorELNS0_4arch9wavefront6targetE0EEEvT1_.uses_vcc, 0
	.set _ZN7rocprim17ROCPRIM_400000_NS6detail17trampoline_kernelINS0_14default_configENS1_27scan_by_key_config_selectorIiiEEZZNS1_16scan_by_key_implILNS1_25lookback_scan_determinismE0ELb1ES3_N6thrust23THRUST_200600_302600_NS10device_ptrIiEESB_SB_iNS9_4plusIvEENS9_8equal_toIvEEiEE10hipError_tPvRmT2_T3_T4_T5_mT6_T7_P12ihipStream_tbENKUlT_T0_E_clISt17integral_constantIbLb0EESV_IbLb1EEEEDaSR_SS_EUlSR_E_NS1_11comp_targetILNS1_3genE4ELNS1_11target_archE910ELNS1_3gpuE8ELNS1_3repE0EEENS1_30default_config_static_selectorELNS0_4arch9wavefront6targetE0EEEvT1_.uses_flat_scratch, 0
	.set _ZN7rocprim17ROCPRIM_400000_NS6detail17trampoline_kernelINS0_14default_configENS1_27scan_by_key_config_selectorIiiEEZZNS1_16scan_by_key_implILNS1_25lookback_scan_determinismE0ELb1ES3_N6thrust23THRUST_200600_302600_NS10device_ptrIiEESB_SB_iNS9_4plusIvEENS9_8equal_toIvEEiEE10hipError_tPvRmT2_T3_T4_T5_mT6_T7_P12ihipStream_tbENKUlT_T0_E_clISt17integral_constantIbLb0EESV_IbLb1EEEEDaSR_SS_EUlSR_E_NS1_11comp_targetILNS1_3genE4ELNS1_11target_archE910ELNS1_3gpuE8ELNS1_3repE0EEENS1_30default_config_static_selectorELNS0_4arch9wavefront6targetE0EEEvT1_.has_dyn_sized_stack, 0
	.set _ZN7rocprim17ROCPRIM_400000_NS6detail17trampoline_kernelINS0_14default_configENS1_27scan_by_key_config_selectorIiiEEZZNS1_16scan_by_key_implILNS1_25lookback_scan_determinismE0ELb1ES3_N6thrust23THRUST_200600_302600_NS10device_ptrIiEESB_SB_iNS9_4plusIvEENS9_8equal_toIvEEiEE10hipError_tPvRmT2_T3_T4_T5_mT6_T7_P12ihipStream_tbENKUlT_T0_E_clISt17integral_constantIbLb0EESV_IbLb1EEEEDaSR_SS_EUlSR_E_NS1_11comp_targetILNS1_3genE4ELNS1_11target_archE910ELNS1_3gpuE8ELNS1_3repE0EEENS1_30default_config_static_selectorELNS0_4arch9wavefront6targetE0EEEvT1_.has_recursion, 0
	.set _ZN7rocprim17ROCPRIM_400000_NS6detail17trampoline_kernelINS0_14default_configENS1_27scan_by_key_config_selectorIiiEEZZNS1_16scan_by_key_implILNS1_25lookback_scan_determinismE0ELb1ES3_N6thrust23THRUST_200600_302600_NS10device_ptrIiEESB_SB_iNS9_4plusIvEENS9_8equal_toIvEEiEE10hipError_tPvRmT2_T3_T4_T5_mT6_T7_P12ihipStream_tbENKUlT_T0_E_clISt17integral_constantIbLb0EESV_IbLb1EEEEDaSR_SS_EUlSR_E_NS1_11comp_targetILNS1_3genE4ELNS1_11target_archE910ELNS1_3gpuE8ELNS1_3repE0EEENS1_30default_config_static_selectorELNS0_4arch9wavefront6targetE0EEEvT1_.has_indirect_call, 0
	.section	.AMDGPU.csdata,"",@progbits
; Kernel info:
; codeLenInByte = 0
; TotalNumSgprs: 0
; NumVgprs: 0
; ScratchSize: 0
; MemoryBound: 0
; FloatMode: 240
; IeeeMode: 1
; LDSByteSize: 0 bytes/workgroup (compile time only)
; SGPRBlocks: 0
; VGPRBlocks: 0
; NumSGPRsForWavesPerEU: 1
; NumVGPRsForWavesPerEU: 1
; NamedBarCnt: 0
; Occupancy: 16
; WaveLimiterHint : 0
; COMPUTE_PGM_RSRC2:SCRATCH_EN: 0
; COMPUTE_PGM_RSRC2:USER_SGPR: 2
; COMPUTE_PGM_RSRC2:TRAP_HANDLER: 0
; COMPUTE_PGM_RSRC2:TGID_X_EN: 1
; COMPUTE_PGM_RSRC2:TGID_Y_EN: 0
; COMPUTE_PGM_RSRC2:TGID_Z_EN: 0
; COMPUTE_PGM_RSRC2:TIDIG_COMP_CNT: 0
	.section	.text._ZN7rocprim17ROCPRIM_400000_NS6detail17trampoline_kernelINS0_14default_configENS1_27scan_by_key_config_selectorIiiEEZZNS1_16scan_by_key_implILNS1_25lookback_scan_determinismE0ELb1ES3_N6thrust23THRUST_200600_302600_NS10device_ptrIiEESB_SB_iNS9_4plusIvEENS9_8equal_toIvEEiEE10hipError_tPvRmT2_T3_T4_T5_mT6_T7_P12ihipStream_tbENKUlT_T0_E_clISt17integral_constantIbLb0EESV_IbLb1EEEEDaSR_SS_EUlSR_E_NS1_11comp_targetILNS1_3genE3ELNS1_11target_archE908ELNS1_3gpuE7ELNS1_3repE0EEENS1_30default_config_static_selectorELNS0_4arch9wavefront6targetE0EEEvT1_,"axG",@progbits,_ZN7rocprim17ROCPRIM_400000_NS6detail17trampoline_kernelINS0_14default_configENS1_27scan_by_key_config_selectorIiiEEZZNS1_16scan_by_key_implILNS1_25lookback_scan_determinismE0ELb1ES3_N6thrust23THRUST_200600_302600_NS10device_ptrIiEESB_SB_iNS9_4plusIvEENS9_8equal_toIvEEiEE10hipError_tPvRmT2_T3_T4_T5_mT6_T7_P12ihipStream_tbENKUlT_T0_E_clISt17integral_constantIbLb0EESV_IbLb1EEEEDaSR_SS_EUlSR_E_NS1_11comp_targetILNS1_3genE3ELNS1_11target_archE908ELNS1_3gpuE7ELNS1_3repE0EEENS1_30default_config_static_selectorELNS0_4arch9wavefront6targetE0EEEvT1_,comdat
	.protected	_ZN7rocprim17ROCPRIM_400000_NS6detail17trampoline_kernelINS0_14default_configENS1_27scan_by_key_config_selectorIiiEEZZNS1_16scan_by_key_implILNS1_25lookback_scan_determinismE0ELb1ES3_N6thrust23THRUST_200600_302600_NS10device_ptrIiEESB_SB_iNS9_4plusIvEENS9_8equal_toIvEEiEE10hipError_tPvRmT2_T3_T4_T5_mT6_T7_P12ihipStream_tbENKUlT_T0_E_clISt17integral_constantIbLb0EESV_IbLb1EEEEDaSR_SS_EUlSR_E_NS1_11comp_targetILNS1_3genE3ELNS1_11target_archE908ELNS1_3gpuE7ELNS1_3repE0EEENS1_30default_config_static_selectorELNS0_4arch9wavefront6targetE0EEEvT1_ ; -- Begin function _ZN7rocprim17ROCPRIM_400000_NS6detail17trampoline_kernelINS0_14default_configENS1_27scan_by_key_config_selectorIiiEEZZNS1_16scan_by_key_implILNS1_25lookback_scan_determinismE0ELb1ES3_N6thrust23THRUST_200600_302600_NS10device_ptrIiEESB_SB_iNS9_4plusIvEENS9_8equal_toIvEEiEE10hipError_tPvRmT2_T3_T4_T5_mT6_T7_P12ihipStream_tbENKUlT_T0_E_clISt17integral_constantIbLb0EESV_IbLb1EEEEDaSR_SS_EUlSR_E_NS1_11comp_targetILNS1_3genE3ELNS1_11target_archE908ELNS1_3gpuE7ELNS1_3repE0EEENS1_30default_config_static_selectorELNS0_4arch9wavefront6targetE0EEEvT1_
	.globl	_ZN7rocprim17ROCPRIM_400000_NS6detail17trampoline_kernelINS0_14default_configENS1_27scan_by_key_config_selectorIiiEEZZNS1_16scan_by_key_implILNS1_25lookback_scan_determinismE0ELb1ES3_N6thrust23THRUST_200600_302600_NS10device_ptrIiEESB_SB_iNS9_4plusIvEENS9_8equal_toIvEEiEE10hipError_tPvRmT2_T3_T4_T5_mT6_T7_P12ihipStream_tbENKUlT_T0_E_clISt17integral_constantIbLb0EESV_IbLb1EEEEDaSR_SS_EUlSR_E_NS1_11comp_targetILNS1_3genE3ELNS1_11target_archE908ELNS1_3gpuE7ELNS1_3repE0EEENS1_30default_config_static_selectorELNS0_4arch9wavefront6targetE0EEEvT1_
	.p2align	8
	.type	_ZN7rocprim17ROCPRIM_400000_NS6detail17trampoline_kernelINS0_14default_configENS1_27scan_by_key_config_selectorIiiEEZZNS1_16scan_by_key_implILNS1_25lookback_scan_determinismE0ELb1ES3_N6thrust23THRUST_200600_302600_NS10device_ptrIiEESB_SB_iNS9_4plusIvEENS9_8equal_toIvEEiEE10hipError_tPvRmT2_T3_T4_T5_mT6_T7_P12ihipStream_tbENKUlT_T0_E_clISt17integral_constantIbLb0EESV_IbLb1EEEEDaSR_SS_EUlSR_E_NS1_11comp_targetILNS1_3genE3ELNS1_11target_archE908ELNS1_3gpuE7ELNS1_3repE0EEENS1_30default_config_static_selectorELNS0_4arch9wavefront6targetE0EEEvT1_,@function
_ZN7rocprim17ROCPRIM_400000_NS6detail17trampoline_kernelINS0_14default_configENS1_27scan_by_key_config_selectorIiiEEZZNS1_16scan_by_key_implILNS1_25lookback_scan_determinismE0ELb1ES3_N6thrust23THRUST_200600_302600_NS10device_ptrIiEESB_SB_iNS9_4plusIvEENS9_8equal_toIvEEiEE10hipError_tPvRmT2_T3_T4_T5_mT6_T7_P12ihipStream_tbENKUlT_T0_E_clISt17integral_constantIbLb0EESV_IbLb1EEEEDaSR_SS_EUlSR_E_NS1_11comp_targetILNS1_3genE3ELNS1_11target_archE908ELNS1_3gpuE7ELNS1_3repE0EEENS1_30default_config_static_selectorELNS0_4arch9wavefront6targetE0EEEvT1_: ; @_ZN7rocprim17ROCPRIM_400000_NS6detail17trampoline_kernelINS0_14default_configENS1_27scan_by_key_config_selectorIiiEEZZNS1_16scan_by_key_implILNS1_25lookback_scan_determinismE0ELb1ES3_N6thrust23THRUST_200600_302600_NS10device_ptrIiEESB_SB_iNS9_4plusIvEENS9_8equal_toIvEEiEE10hipError_tPvRmT2_T3_T4_T5_mT6_T7_P12ihipStream_tbENKUlT_T0_E_clISt17integral_constantIbLb0EESV_IbLb1EEEEDaSR_SS_EUlSR_E_NS1_11comp_targetILNS1_3genE3ELNS1_11target_archE908ELNS1_3gpuE7ELNS1_3repE0EEENS1_30default_config_static_selectorELNS0_4arch9wavefront6targetE0EEEvT1_
; %bb.0:
	.section	.rodata,"a",@progbits
	.p2align	6, 0x0
	.amdhsa_kernel _ZN7rocprim17ROCPRIM_400000_NS6detail17trampoline_kernelINS0_14default_configENS1_27scan_by_key_config_selectorIiiEEZZNS1_16scan_by_key_implILNS1_25lookback_scan_determinismE0ELb1ES3_N6thrust23THRUST_200600_302600_NS10device_ptrIiEESB_SB_iNS9_4plusIvEENS9_8equal_toIvEEiEE10hipError_tPvRmT2_T3_T4_T5_mT6_T7_P12ihipStream_tbENKUlT_T0_E_clISt17integral_constantIbLb0EESV_IbLb1EEEEDaSR_SS_EUlSR_E_NS1_11comp_targetILNS1_3genE3ELNS1_11target_archE908ELNS1_3gpuE7ELNS1_3repE0EEENS1_30default_config_static_selectorELNS0_4arch9wavefront6targetE0EEEvT1_
		.amdhsa_group_segment_fixed_size 0
		.amdhsa_private_segment_fixed_size 0
		.amdhsa_kernarg_size 112
		.amdhsa_user_sgpr_count 2
		.amdhsa_user_sgpr_dispatch_ptr 0
		.amdhsa_user_sgpr_queue_ptr 0
		.amdhsa_user_sgpr_kernarg_segment_ptr 1
		.amdhsa_user_sgpr_dispatch_id 0
		.amdhsa_user_sgpr_kernarg_preload_length 0
		.amdhsa_user_sgpr_kernarg_preload_offset 0
		.amdhsa_user_sgpr_private_segment_size 0
		.amdhsa_wavefront_size32 1
		.amdhsa_uses_dynamic_stack 0
		.amdhsa_enable_private_segment 0
		.amdhsa_system_sgpr_workgroup_id_x 1
		.amdhsa_system_sgpr_workgroup_id_y 0
		.amdhsa_system_sgpr_workgroup_id_z 0
		.amdhsa_system_sgpr_workgroup_info 0
		.amdhsa_system_vgpr_workitem_id 0
		.amdhsa_next_free_vgpr 1
		.amdhsa_next_free_sgpr 1
		.amdhsa_named_barrier_count 0
		.amdhsa_reserve_vcc 0
		.amdhsa_float_round_mode_32 0
		.amdhsa_float_round_mode_16_64 0
		.amdhsa_float_denorm_mode_32 3
		.amdhsa_float_denorm_mode_16_64 3
		.amdhsa_fp16_overflow 0
		.amdhsa_memory_ordered 1
		.amdhsa_forward_progress 1
		.amdhsa_inst_pref_size 0
		.amdhsa_round_robin_scheduling 0
		.amdhsa_exception_fp_ieee_invalid_op 0
		.amdhsa_exception_fp_denorm_src 0
		.amdhsa_exception_fp_ieee_div_zero 0
		.amdhsa_exception_fp_ieee_overflow 0
		.amdhsa_exception_fp_ieee_underflow 0
		.amdhsa_exception_fp_ieee_inexact 0
		.amdhsa_exception_int_div_zero 0
	.end_amdhsa_kernel
	.section	.text._ZN7rocprim17ROCPRIM_400000_NS6detail17trampoline_kernelINS0_14default_configENS1_27scan_by_key_config_selectorIiiEEZZNS1_16scan_by_key_implILNS1_25lookback_scan_determinismE0ELb1ES3_N6thrust23THRUST_200600_302600_NS10device_ptrIiEESB_SB_iNS9_4plusIvEENS9_8equal_toIvEEiEE10hipError_tPvRmT2_T3_T4_T5_mT6_T7_P12ihipStream_tbENKUlT_T0_E_clISt17integral_constantIbLb0EESV_IbLb1EEEEDaSR_SS_EUlSR_E_NS1_11comp_targetILNS1_3genE3ELNS1_11target_archE908ELNS1_3gpuE7ELNS1_3repE0EEENS1_30default_config_static_selectorELNS0_4arch9wavefront6targetE0EEEvT1_,"axG",@progbits,_ZN7rocprim17ROCPRIM_400000_NS6detail17trampoline_kernelINS0_14default_configENS1_27scan_by_key_config_selectorIiiEEZZNS1_16scan_by_key_implILNS1_25lookback_scan_determinismE0ELb1ES3_N6thrust23THRUST_200600_302600_NS10device_ptrIiEESB_SB_iNS9_4plusIvEENS9_8equal_toIvEEiEE10hipError_tPvRmT2_T3_T4_T5_mT6_T7_P12ihipStream_tbENKUlT_T0_E_clISt17integral_constantIbLb0EESV_IbLb1EEEEDaSR_SS_EUlSR_E_NS1_11comp_targetILNS1_3genE3ELNS1_11target_archE908ELNS1_3gpuE7ELNS1_3repE0EEENS1_30default_config_static_selectorELNS0_4arch9wavefront6targetE0EEEvT1_,comdat
.Lfunc_end2264:
	.size	_ZN7rocprim17ROCPRIM_400000_NS6detail17trampoline_kernelINS0_14default_configENS1_27scan_by_key_config_selectorIiiEEZZNS1_16scan_by_key_implILNS1_25lookback_scan_determinismE0ELb1ES3_N6thrust23THRUST_200600_302600_NS10device_ptrIiEESB_SB_iNS9_4plusIvEENS9_8equal_toIvEEiEE10hipError_tPvRmT2_T3_T4_T5_mT6_T7_P12ihipStream_tbENKUlT_T0_E_clISt17integral_constantIbLb0EESV_IbLb1EEEEDaSR_SS_EUlSR_E_NS1_11comp_targetILNS1_3genE3ELNS1_11target_archE908ELNS1_3gpuE7ELNS1_3repE0EEENS1_30default_config_static_selectorELNS0_4arch9wavefront6targetE0EEEvT1_, .Lfunc_end2264-_ZN7rocprim17ROCPRIM_400000_NS6detail17trampoline_kernelINS0_14default_configENS1_27scan_by_key_config_selectorIiiEEZZNS1_16scan_by_key_implILNS1_25lookback_scan_determinismE0ELb1ES3_N6thrust23THRUST_200600_302600_NS10device_ptrIiEESB_SB_iNS9_4plusIvEENS9_8equal_toIvEEiEE10hipError_tPvRmT2_T3_T4_T5_mT6_T7_P12ihipStream_tbENKUlT_T0_E_clISt17integral_constantIbLb0EESV_IbLb1EEEEDaSR_SS_EUlSR_E_NS1_11comp_targetILNS1_3genE3ELNS1_11target_archE908ELNS1_3gpuE7ELNS1_3repE0EEENS1_30default_config_static_selectorELNS0_4arch9wavefront6targetE0EEEvT1_
                                        ; -- End function
	.set _ZN7rocprim17ROCPRIM_400000_NS6detail17trampoline_kernelINS0_14default_configENS1_27scan_by_key_config_selectorIiiEEZZNS1_16scan_by_key_implILNS1_25lookback_scan_determinismE0ELb1ES3_N6thrust23THRUST_200600_302600_NS10device_ptrIiEESB_SB_iNS9_4plusIvEENS9_8equal_toIvEEiEE10hipError_tPvRmT2_T3_T4_T5_mT6_T7_P12ihipStream_tbENKUlT_T0_E_clISt17integral_constantIbLb0EESV_IbLb1EEEEDaSR_SS_EUlSR_E_NS1_11comp_targetILNS1_3genE3ELNS1_11target_archE908ELNS1_3gpuE7ELNS1_3repE0EEENS1_30default_config_static_selectorELNS0_4arch9wavefront6targetE0EEEvT1_.num_vgpr, 0
	.set _ZN7rocprim17ROCPRIM_400000_NS6detail17trampoline_kernelINS0_14default_configENS1_27scan_by_key_config_selectorIiiEEZZNS1_16scan_by_key_implILNS1_25lookback_scan_determinismE0ELb1ES3_N6thrust23THRUST_200600_302600_NS10device_ptrIiEESB_SB_iNS9_4plusIvEENS9_8equal_toIvEEiEE10hipError_tPvRmT2_T3_T4_T5_mT6_T7_P12ihipStream_tbENKUlT_T0_E_clISt17integral_constantIbLb0EESV_IbLb1EEEEDaSR_SS_EUlSR_E_NS1_11comp_targetILNS1_3genE3ELNS1_11target_archE908ELNS1_3gpuE7ELNS1_3repE0EEENS1_30default_config_static_selectorELNS0_4arch9wavefront6targetE0EEEvT1_.num_agpr, 0
	.set _ZN7rocprim17ROCPRIM_400000_NS6detail17trampoline_kernelINS0_14default_configENS1_27scan_by_key_config_selectorIiiEEZZNS1_16scan_by_key_implILNS1_25lookback_scan_determinismE0ELb1ES3_N6thrust23THRUST_200600_302600_NS10device_ptrIiEESB_SB_iNS9_4plusIvEENS9_8equal_toIvEEiEE10hipError_tPvRmT2_T3_T4_T5_mT6_T7_P12ihipStream_tbENKUlT_T0_E_clISt17integral_constantIbLb0EESV_IbLb1EEEEDaSR_SS_EUlSR_E_NS1_11comp_targetILNS1_3genE3ELNS1_11target_archE908ELNS1_3gpuE7ELNS1_3repE0EEENS1_30default_config_static_selectorELNS0_4arch9wavefront6targetE0EEEvT1_.numbered_sgpr, 0
	.set _ZN7rocprim17ROCPRIM_400000_NS6detail17trampoline_kernelINS0_14default_configENS1_27scan_by_key_config_selectorIiiEEZZNS1_16scan_by_key_implILNS1_25lookback_scan_determinismE0ELb1ES3_N6thrust23THRUST_200600_302600_NS10device_ptrIiEESB_SB_iNS9_4plusIvEENS9_8equal_toIvEEiEE10hipError_tPvRmT2_T3_T4_T5_mT6_T7_P12ihipStream_tbENKUlT_T0_E_clISt17integral_constantIbLb0EESV_IbLb1EEEEDaSR_SS_EUlSR_E_NS1_11comp_targetILNS1_3genE3ELNS1_11target_archE908ELNS1_3gpuE7ELNS1_3repE0EEENS1_30default_config_static_selectorELNS0_4arch9wavefront6targetE0EEEvT1_.num_named_barrier, 0
	.set _ZN7rocprim17ROCPRIM_400000_NS6detail17trampoline_kernelINS0_14default_configENS1_27scan_by_key_config_selectorIiiEEZZNS1_16scan_by_key_implILNS1_25lookback_scan_determinismE0ELb1ES3_N6thrust23THRUST_200600_302600_NS10device_ptrIiEESB_SB_iNS9_4plusIvEENS9_8equal_toIvEEiEE10hipError_tPvRmT2_T3_T4_T5_mT6_T7_P12ihipStream_tbENKUlT_T0_E_clISt17integral_constantIbLb0EESV_IbLb1EEEEDaSR_SS_EUlSR_E_NS1_11comp_targetILNS1_3genE3ELNS1_11target_archE908ELNS1_3gpuE7ELNS1_3repE0EEENS1_30default_config_static_selectorELNS0_4arch9wavefront6targetE0EEEvT1_.private_seg_size, 0
	.set _ZN7rocprim17ROCPRIM_400000_NS6detail17trampoline_kernelINS0_14default_configENS1_27scan_by_key_config_selectorIiiEEZZNS1_16scan_by_key_implILNS1_25lookback_scan_determinismE0ELb1ES3_N6thrust23THRUST_200600_302600_NS10device_ptrIiEESB_SB_iNS9_4plusIvEENS9_8equal_toIvEEiEE10hipError_tPvRmT2_T3_T4_T5_mT6_T7_P12ihipStream_tbENKUlT_T0_E_clISt17integral_constantIbLb0EESV_IbLb1EEEEDaSR_SS_EUlSR_E_NS1_11comp_targetILNS1_3genE3ELNS1_11target_archE908ELNS1_3gpuE7ELNS1_3repE0EEENS1_30default_config_static_selectorELNS0_4arch9wavefront6targetE0EEEvT1_.uses_vcc, 0
	.set _ZN7rocprim17ROCPRIM_400000_NS6detail17trampoline_kernelINS0_14default_configENS1_27scan_by_key_config_selectorIiiEEZZNS1_16scan_by_key_implILNS1_25lookback_scan_determinismE0ELb1ES3_N6thrust23THRUST_200600_302600_NS10device_ptrIiEESB_SB_iNS9_4plusIvEENS9_8equal_toIvEEiEE10hipError_tPvRmT2_T3_T4_T5_mT6_T7_P12ihipStream_tbENKUlT_T0_E_clISt17integral_constantIbLb0EESV_IbLb1EEEEDaSR_SS_EUlSR_E_NS1_11comp_targetILNS1_3genE3ELNS1_11target_archE908ELNS1_3gpuE7ELNS1_3repE0EEENS1_30default_config_static_selectorELNS0_4arch9wavefront6targetE0EEEvT1_.uses_flat_scratch, 0
	.set _ZN7rocprim17ROCPRIM_400000_NS6detail17trampoline_kernelINS0_14default_configENS1_27scan_by_key_config_selectorIiiEEZZNS1_16scan_by_key_implILNS1_25lookback_scan_determinismE0ELb1ES3_N6thrust23THRUST_200600_302600_NS10device_ptrIiEESB_SB_iNS9_4plusIvEENS9_8equal_toIvEEiEE10hipError_tPvRmT2_T3_T4_T5_mT6_T7_P12ihipStream_tbENKUlT_T0_E_clISt17integral_constantIbLb0EESV_IbLb1EEEEDaSR_SS_EUlSR_E_NS1_11comp_targetILNS1_3genE3ELNS1_11target_archE908ELNS1_3gpuE7ELNS1_3repE0EEENS1_30default_config_static_selectorELNS0_4arch9wavefront6targetE0EEEvT1_.has_dyn_sized_stack, 0
	.set _ZN7rocprim17ROCPRIM_400000_NS6detail17trampoline_kernelINS0_14default_configENS1_27scan_by_key_config_selectorIiiEEZZNS1_16scan_by_key_implILNS1_25lookback_scan_determinismE0ELb1ES3_N6thrust23THRUST_200600_302600_NS10device_ptrIiEESB_SB_iNS9_4plusIvEENS9_8equal_toIvEEiEE10hipError_tPvRmT2_T3_T4_T5_mT6_T7_P12ihipStream_tbENKUlT_T0_E_clISt17integral_constantIbLb0EESV_IbLb1EEEEDaSR_SS_EUlSR_E_NS1_11comp_targetILNS1_3genE3ELNS1_11target_archE908ELNS1_3gpuE7ELNS1_3repE0EEENS1_30default_config_static_selectorELNS0_4arch9wavefront6targetE0EEEvT1_.has_recursion, 0
	.set _ZN7rocprim17ROCPRIM_400000_NS6detail17trampoline_kernelINS0_14default_configENS1_27scan_by_key_config_selectorIiiEEZZNS1_16scan_by_key_implILNS1_25lookback_scan_determinismE0ELb1ES3_N6thrust23THRUST_200600_302600_NS10device_ptrIiEESB_SB_iNS9_4plusIvEENS9_8equal_toIvEEiEE10hipError_tPvRmT2_T3_T4_T5_mT6_T7_P12ihipStream_tbENKUlT_T0_E_clISt17integral_constantIbLb0EESV_IbLb1EEEEDaSR_SS_EUlSR_E_NS1_11comp_targetILNS1_3genE3ELNS1_11target_archE908ELNS1_3gpuE7ELNS1_3repE0EEENS1_30default_config_static_selectorELNS0_4arch9wavefront6targetE0EEEvT1_.has_indirect_call, 0
	.section	.AMDGPU.csdata,"",@progbits
; Kernel info:
; codeLenInByte = 0
; TotalNumSgprs: 0
; NumVgprs: 0
; ScratchSize: 0
; MemoryBound: 0
; FloatMode: 240
; IeeeMode: 1
; LDSByteSize: 0 bytes/workgroup (compile time only)
; SGPRBlocks: 0
; VGPRBlocks: 0
; NumSGPRsForWavesPerEU: 1
; NumVGPRsForWavesPerEU: 1
; NamedBarCnt: 0
; Occupancy: 16
; WaveLimiterHint : 0
; COMPUTE_PGM_RSRC2:SCRATCH_EN: 0
; COMPUTE_PGM_RSRC2:USER_SGPR: 2
; COMPUTE_PGM_RSRC2:TRAP_HANDLER: 0
; COMPUTE_PGM_RSRC2:TGID_X_EN: 1
; COMPUTE_PGM_RSRC2:TGID_Y_EN: 0
; COMPUTE_PGM_RSRC2:TGID_Z_EN: 0
; COMPUTE_PGM_RSRC2:TIDIG_COMP_CNT: 0
	.section	.text._ZN7rocprim17ROCPRIM_400000_NS6detail17trampoline_kernelINS0_14default_configENS1_27scan_by_key_config_selectorIiiEEZZNS1_16scan_by_key_implILNS1_25lookback_scan_determinismE0ELb1ES3_N6thrust23THRUST_200600_302600_NS10device_ptrIiEESB_SB_iNS9_4plusIvEENS9_8equal_toIvEEiEE10hipError_tPvRmT2_T3_T4_T5_mT6_T7_P12ihipStream_tbENKUlT_T0_E_clISt17integral_constantIbLb0EESV_IbLb1EEEEDaSR_SS_EUlSR_E_NS1_11comp_targetILNS1_3genE2ELNS1_11target_archE906ELNS1_3gpuE6ELNS1_3repE0EEENS1_30default_config_static_selectorELNS0_4arch9wavefront6targetE0EEEvT1_,"axG",@progbits,_ZN7rocprim17ROCPRIM_400000_NS6detail17trampoline_kernelINS0_14default_configENS1_27scan_by_key_config_selectorIiiEEZZNS1_16scan_by_key_implILNS1_25lookback_scan_determinismE0ELb1ES3_N6thrust23THRUST_200600_302600_NS10device_ptrIiEESB_SB_iNS9_4plusIvEENS9_8equal_toIvEEiEE10hipError_tPvRmT2_T3_T4_T5_mT6_T7_P12ihipStream_tbENKUlT_T0_E_clISt17integral_constantIbLb0EESV_IbLb1EEEEDaSR_SS_EUlSR_E_NS1_11comp_targetILNS1_3genE2ELNS1_11target_archE906ELNS1_3gpuE6ELNS1_3repE0EEENS1_30default_config_static_selectorELNS0_4arch9wavefront6targetE0EEEvT1_,comdat
	.protected	_ZN7rocprim17ROCPRIM_400000_NS6detail17trampoline_kernelINS0_14default_configENS1_27scan_by_key_config_selectorIiiEEZZNS1_16scan_by_key_implILNS1_25lookback_scan_determinismE0ELb1ES3_N6thrust23THRUST_200600_302600_NS10device_ptrIiEESB_SB_iNS9_4plusIvEENS9_8equal_toIvEEiEE10hipError_tPvRmT2_T3_T4_T5_mT6_T7_P12ihipStream_tbENKUlT_T0_E_clISt17integral_constantIbLb0EESV_IbLb1EEEEDaSR_SS_EUlSR_E_NS1_11comp_targetILNS1_3genE2ELNS1_11target_archE906ELNS1_3gpuE6ELNS1_3repE0EEENS1_30default_config_static_selectorELNS0_4arch9wavefront6targetE0EEEvT1_ ; -- Begin function _ZN7rocprim17ROCPRIM_400000_NS6detail17trampoline_kernelINS0_14default_configENS1_27scan_by_key_config_selectorIiiEEZZNS1_16scan_by_key_implILNS1_25lookback_scan_determinismE0ELb1ES3_N6thrust23THRUST_200600_302600_NS10device_ptrIiEESB_SB_iNS9_4plusIvEENS9_8equal_toIvEEiEE10hipError_tPvRmT2_T3_T4_T5_mT6_T7_P12ihipStream_tbENKUlT_T0_E_clISt17integral_constantIbLb0EESV_IbLb1EEEEDaSR_SS_EUlSR_E_NS1_11comp_targetILNS1_3genE2ELNS1_11target_archE906ELNS1_3gpuE6ELNS1_3repE0EEENS1_30default_config_static_selectorELNS0_4arch9wavefront6targetE0EEEvT1_
	.globl	_ZN7rocprim17ROCPRIM_400000_NS6detail17trampoline_kernelINS0_14default_configENS1_27scan_by_key_config_selectorIiiEEZZNS1_16scan_by_key_implILNS1_25lookback_scan_determinismE0ELb1ES3_N6thrust23THRUST_200600_302600_NS10device_ptrIiEESB_SB_iNS9_4plusIvEENS9_8equal_toIvEEiEE10hipError_tPvRmT2_T3_T4_T5_mT6_T7_P12ihipStream_tbENKUlT_T0_E_clISt17integral_constantIbLb0EESV_IbLb1EEEEDaSR_SS_EUlSR_E_NS1_11comp_targetILNS1_3genE2ELNS1_11target_archE906ELNS1_3gpuE6ELNS1_3repE0EEENS1_30default_config_static_selectorELNS0_4arch9wavefront6targetE0EEEvT1_
	.p2align	8
	.type	_ZN7rocprim17ROCPRIM_400000_NS6detail17trampoline_kernelINS0_14default_configENS1_27scan_by_key_config_selectorIiiEEZZNS1_16scan_by_key_implILNS1_25lookback_scan_determinismE0ELb1ES3_N6thrust23THRUST_200600_302600_NS10device_ptrIiEESB_SB_iNS9_4plusIvEENS9_8equal_toIvEEiEE10hipError_tPvRmT2_T3_T4_T5_mT6_T7_P12ihipStream_tbENKUlT_T0_E_clISt17integral_constantIbLb0EESV_IbLb1EEEEDaSR_SS_EUlSR_E_NS1_11comp_targetILNS1_3genE2ELNS1_11target_archE906ELNS1_3gpuE6ELNS1_3repE0EEENS1_30default_config_static_selectorELNS0_4arch9wavefront6targetE0EEEvT1_,@function
_ZN7rocprim17ROCPRIM_400000_NS6detail17trampoline_kernelINS0_14default_configENS1_27scan_by_key_config_selectorIiiEEZZNS1_16scan_by_key_implILNS1_25lookback_scan_determinismE0ELb1ES3_N6thrust23THRUST_200600_302600_NS10device_ptrIiEESB_SB_iNS9_4plusIvEENS9_8equal_toIvEEiEE10hipError_tPvRmT2_T3_T4_T5_mT6_T7_P12ihipStream_tbENKUlT_T0_E_clISt17integral_constantIbLb0EESV_IbLb1EEEEDaSR_SS_EUlSR_E_NS1_11comp_targetILNS1_3genE2ELNS1_11target_archE906ELNS1_3gpuE6ELNS1_3repE0EEENS1_30default_config_static_selectorELNS0_4arch9wavefront6targetE0EEEvT1_: ; @_ZN7rocprim17ROCPRIM_400000_NS6detail17trampoline_kernelINS0_14default_configENS1_27scan_by_key_config_selectorIiiEEZZNS1_16scan_by_key_implILNS1_25lookback_scan_determinismE0ELb1ES3_N6thrust23THRUST_200600_302600_NS10device_ptrIiEESB_SB_iNS9_4plusIvEENS9_8equal_toIvEEiEE10hipError_tPvRmT2_T3_T4_T5_mT6_T7_P12ihipStream_tbENKUlT_T0_E_clISt17integral_constantIbLb0EESV_IbLb1EEEEDaSR_SS_EUlSR_E_NS1_11comp_targetILNS1_3genE2ELNS1_11target_archE906ELNS1_3gpuE6ELNS1_3repE0EEENS1_30default_config_static_selectorELNS0_4arch9wavefront6targetE0EEEvT1_
; %bb.0:
	.section	.rodata,"a",@progbits
	.p2align	6, 0x0
	.amdhsa_kernel _ZN7rocprim17ROCPRIM_400000_NS6detail17trampoline_kernelINS0_14default_configENS1_27scan_by_key_config_selectorIiiEEZZNS1_16scan_by_key_implILNS1_25lookback_scan_determinismE0ELb1ES3_N6thrust23THRUST_200600_302600_NS10device_ptrIiEESB_SB_iNS9_4plusIvEENS9_8equal_toIvEEiEE10hipError_tPvRmT2_T3_T4_T5_mT6_T7_P12ihipStream_tbENKUlT_T0_E_clISt17integral_constantIbLb0EESV_IbLb1EEEEDaSR_SS_EUlSR_E_NS1_11comp_targetILNS1_3genE2ELNS1_11target_archE906ELNS1_3gpuE6ELNS1_3repE0EEENS1_30default_config_static_selectorELNS0_4arch9wavefront6targetE0EEEvT1_
		.amdhsa_group_segment_fixed_size 0
		.amdhsa_private_segment_fixed_size 0
		.amdhsa_kernarg_size 112
		.amdhsa_user_sgpr_count 2
		.amdhsa_user_sgpr_dispatch_ptr 0
		.amdhsa_user_sgpr_queue_ptr 0
		.amdhsa_user_sgpr_kernarg_segment_ptr 1
		.amdhsa_user_sgpr_dispatch_id 0
		.amdhsa_user_sgpr_kernarg_preload_length 0
		.amdhsa_user_sgpr_kernarg_preload_offset 0
		.amdhsa_user_sgpr_private_segment_size 0
		.amdhsa_wavefront_size32 1
		.amdhsa_uses_dynamic_stack 0
		.amdhsa_enable_private_segment 0
		.amdhsa_system_sgpr_workgroup_id_x 1
		.amdhsa_system_sgpr_workgroup_id_y 0
		.amdhsa_system_sgpr_workgroup_id_z 0
		.amdhsa_system_sgpr_workgroup_info 0
		.amdhsa_system_vgpr_workitem_id 0
		.amdhsa_next_free_vgpr 1
		.amdhsa_next_free_sgpr 1
		.amdhsa_named_barrier_count 0
		.amdhsa_reserve_vcc 0
		.amdhsa_float_round_mode_32 0
		.amdhsa_float_round_mode_16_64 0
		.amdhsa_float_denorm_mode_32 3
		.amdhsa_float_denorm_mode_16_64 3
		.amdhsa_fp16_overflow 0
		.amdhsa_memory_ordered 1
		.amdhsa_forward_progress 1
		.amdhsa_inst_pref_size 0
		.amdhsa_round_robin_scheduling 0
		.amdhsa_exception_fp_ieee_invalid_op 0
		.amdhsa_exception_fp_denorm_src 0
		.amdhsa_exception_fp_ieee_div_zero 0
		.amdhsa_exception_fp_ieee_overflow 0
		.amdhsa_exception_fp_ieee_underflow 0
		.amdhsa_exception_fp_ieee_inexact 0
		.amdhsa_exception_int_div_zero 0
	.end_amdhsa_kernel
	.section	.text._ZN7rocprim17ROCPRIM_400000_NS6detail17trampoline_kernelINS0_14default_configENS1_27scan_by_key_config_selectorIiiEEZZNS1_16scan_by_key_implILNS1_25lookback_scan_determinismE0ELb1ES3_N6thrust23THRUST_200600_302600_NS10device_ptrIiEESB_SB_iNS9_4plusIvEENS9_8equal_toIvEEiEE10hipError_tPvRmT2_T3_T4_T5_mT6_T7_P12ihipStream_tbENKUlT_T0_E_clISt17integral_constantIbLb0EESV_IbLb1EEEEDaSR_SS_EUlSR_E_NS1_11comp_targetILNS1_3genE2ELNS1_11target_archE906ELNS1_3gpuE6ELNS1_3repE0EEENS1_30default_config_static_selectorELNS0_4arch9wavefront6targetE0EEEvT1_,"axG",@progbits,_ZN7rocprim17ROCPRIM_400000_NS6detail17trampoline_kernelINS0_14default_configENS1_27scan_by_key_config_selectorIiiEEZZNS1_16scan_by_key_implILNS1_25lookback_scan_determinismE0ELb1ES3_N6thrust23THRUST_200600_302600_NS10device_ptrIiEESB_SB_iNS9_4plusIvEENS9_8equal_toIvEEiEE10hipError_tPvRmT2_T3_T4_T5_mT6_T7_P12ihipStream_tbENKUlT_T0_E_clISt17integral_constantIbLb0EESV_IbLb1EEEEDaSR_SS_EUlSR_E_NS1_11comp_targetILNS1_3genE2ELNS1_11target_archE906ELNS1_3gpuE6ELNS1_3repE0EEENS1_30default_config_static_selectorELNS0_4arch9wavefront6targetE0EEEvT1_,comdat
.Lfunc_end2265:
	.size	_ZN7rocprim17ROCPRIM_400000_NS6detail17trampoline_kernelINS0_14default_configENS1_27scan_by_key_config_selectorIiiEEZZNS1_16scan_by_key_implILNS1_25lookback_scan_determinismE0ELb1ES3_N6thrust23THRUST_200600_302600_NS10device_ptrIiEESB_SB_iNS9_4plusIvEENS9_8equal_toIvEEiEE10hipError_tPvRmT2_T3_T4_T5_mT6_T7_P12ihipStream_tbENKUlT_T0_E_clISt17integral_constantIbLb0EESV_IbLb1EEEEDaSR_SS_EUlSR_E_NS1_11comp_targetILNS1_3genE2ELNS1_11target_archE906ELNS1_3gpuE6ELNS1_3repE0EEENS1_30default_config_static_selectorELNS0_4arch9wavefront6targetE0EEEvT1_, .Lfunc_end2265-_ZN7rocprim17ROCPRIM_400000_NS6detail17trampoline_kernelINS0_14default_configENS1_27scan_by_key_config_selectorIiiEEZZNS1_16scan_by_key_implILNS1_25lookback_scan_determinismE0ELb1ES3_N6thrust23THRUST_200600_302600_NS10device_ptrIiEESB_SB_iNS9_4plusIvEENS9_8equal_toIvEEiEE10hipError_tPvRmT2_T3_T4_T5_mT6_T7_P12ihipStream_tbENKUlT_T0_E_clISt17integral_constantIbLb0EESV_IbLb1EEEEDaSR_SS_EUlSR_E_NS1_11comp_targetILNS1_3genE2ELNS1_11target_archE906ELNS1_3gpuE6ELNS1_3repE0EEENS1_30default_config_static_selectorELNS0_4arch9wavefront6targetE0EEEvT1_
                                        ; -- End function
	.set _ZN7rocprim17ROCPRIM_400000_NS6detail17trampoline_kernelINS0_14default_configENS1_27scan_by_key_config_selectorIiiEEZZNS1_16scan_by_key_implILNS1_25lookback_scan_determinismE0ELb1ES3_N6thrust23THRUST_200600_302600_NS10device_ptrIiEESB_SB_iNS9_4plusIvEENS9_8equal_toIvEEiEE10hipError_tPvRmT2_T3_T4_T5_mT6_T7_P12ihipStream_tbENKUlT_T0_E_clISt17integral_constantIbLb0EESV_IbLb1EEEEDaSR_SS_EUlSR_E_NS1_11comp_targetILNS1_3genE2ELNS1_11target_archE906ELNS1_3gpuE6ELNS1_3repE0EEENS1_30default_config_static_selectorELNS0_4arch9wavefront6targetE0EEEvT1_.num_vgpr, 0
	.set _ZN7rocprim17ROCPRIM_400000_NS6detail17trampoline_kernelINS0_14default_configENS1_27scan_by_key_config_selectorIiiEEZZNS1_16scan_by_key_implILNS1_25lookback_scan_determinismE0ELb1ES3_N6thrust23THRUST_200600_302600_NS10device_ptrIiEESB_SB_iNS9_4plusIvEENS9_8equal_toIvEEiEE10hipError_tPvRmT2_T3_T4_T5_mT6_T7_P12ihipStream_tbENKUlT_T0_E_clISt17integral_constantIbLb0EESV_IbLb1EEEEDaSR_SS_EUlSR_E_NS1_11comp_targetILNS1_3genE2ELNS1_11target_archE906ELNS1_3gpuE6ELNS1_3repE0EEENS1_30default_config_static_selectorELNS0_4arch9wavefront6targetE0EEEvT1_.num_agpr, 0
	.set _ZN7rocprim17ROCPRIM_400000_NS6detail17trampoline_kernelINS0_14default_configENS1_27scan_by_key_config_selectorIiiEEZZNS1_16scan_by_key_implILNS1_25lookback_scan_determinismE0ELb1ES3_N6thrust23THRUST_200600_302600_NS10device_ptrIiEESB_SB_iNS9_4plusIvEENS9_8equal_toIvEEiEE10hipError_tPvRmT2_T3_T4_T5_mT6_T7_P12ihipStream_tbENKUlT_T0_E_clISt17integral_constantIbLb0EESV_IbLb1EEEEDaSR_SS_EUlSR_E_NS1_11comp_targetILNS1_3genE2ELNS1_11target_archE906ELNS1_3gpuE6ELNS1_3repE0EEENS1_30default_config_static_selectorELNS0_4arch9wavefront6targetE0EEEvT1_.numbered_sgpr, 0
	.set _ZN7rocprim17ROCPRIM_400000_NS6detail17trampoline_kernelINS0_14default_configENS1_27scan_by_key_config_selectorIiiEEZZNS1_16scan_by_key_implILNS1_25lookback_scan_determinismE0ELb1ES3_N6thrust23THRUST_200600_302600_NS10device_ptrIiEESB_SB_iNS9_4plusIvEENS9_8equal_toIvEEiEE10hipError_tPvRmT2_T3_T4_T5_mT6_T7_P12ihipStream_tbENKUlT_T0_E_clISt17integral_constantIbLb0EESV_IbLb1EEEEDaSR_SS_EUlSR_E_NS1_11comp_targetILNS1_3genE2ELNS1_11target_archE906ELNS1_3gpuE6ELNS1_3repE0EEENS1_30default_config_static_selectorELNS0_4arch9wavefront6targetE0EEEvT1_.num_named_barrier, 0
	.set _ZN7rocprim17ROCPRIM_400000_NS6detail17trampoline_kernelINS0_14default_configENS1_27scan_by_key_config_selectorIiiEEZZNS1_16scan_by_key_implILNS1_25lookback_scan_determinismE0ELb1ES3_N6thrust23THRUST_200600_302600_NS10device_ptrIiEESB_SB_iNS9_4plusIvEENS9_8equal_toIvEEiEE10hipError_tPvRmT2_T3_T4_T5_mT6_T7_P12ihipStream_tbENKUlT_T0_E_clISt17integral_constantIbLb0EESV_IbLb1EEEEDaSR_SS_EUlSR_E_NS1_11comp_targetILNS1_3genE2ELNS1_11target_archE906ELNS1_3gpuE6ELNS1_3repE0EEENS1_30default_config_static_selectorELNS0_4arch9wavefront6targetE0EEEvT1_.private_seg_size, 0
	.set _ZN7rocprim17ROCPRIM_400000_NS6detail17trampoline_kernelINS0_14default_configENS1_27scan_by_key_config_selectorIiiEEZZNS1_16scan_by_key_implILNS1_25lookback_scan_determinismE0ELb1ES3_N6thrust23THRUST_200600_302600_NS10device_ptrIiEESB_SB_iNS9_4plusIvEENS9_8equal_toIvEEiEE10hipError_tPvRmT2_T3_T4_T5_mT6_T7_P12ihipStream_tbENKUlT_T0_E_clISt17integral_constantIbLb0EESV_IbLb1EEEEDaSR_SS_EUlSR_E_NS1_11comp_targetILNS1_3genE2ELNS1_11target_archE906ELNS1_3gpuE6ELNS1_3repE0EEENS1_30default_config_static_selectorELNS0_4arch9wavefront6targetE0EEEvT1_.uses_vcc, 0
	.set _ZN7rocprim17ROCPRIM_400000_NS6detail17trampoline_kernelINS0_14default_configENS1_27scan_by_key_config_selectorIiiEEZZNS1_16scan_by_key_implILNS1_25lookback_scan_determinismE0ELb1ES3_N6thrust23THRUST_200600_302600_NS10device_ptrIiEESB_SB_iNS9_4plusIvEENS9_8equal_toIvEEiEE10hipError_tPvRmT2_T3_T4_T5_mT6_T7_P12ihipStream_tbENKUlT_T0_E_clISt17integral_constantIbLb0EESV_IbLb1EEEEDaSR_SS_EUlSR_E_NS1_11comp_targetILNS1_3genE2ELNS1_11target_archE906ELNS1_3gpuE6ELNS1_3repE0EEENS1_30default_config_static_selectorELNS0_4arch9wavefront6targetE0EEEvT1_.uses_flat_scratch, 0
	.set _ZN7rocprim17ROCPRIM_400000_NS6detail17trampoline_kernelINS0_14default_configENS1_27scan_by_key_config_selectorIiiEEZZNS1_16scan_by_key_implILNS1_25lookback_scan_determinismE0ELb1ES3_N6thrust23THRUST_200600_302600_NS10device_ptrIiEESB_SB_iNS9_4plusIvEENS9_8equal_toIvEEiEE10hipError_tPvRmT2_T3_T4_T5_mT6_T7_P12ihipStream_tbENKUlT_T0_E_clISt17integral_constantIbLb0EESV_IbLb1EEEEDaSR_SS_EUlSR_E_NS1_11comp_targetILNS1_3genE2ELNS1_11target_archE906ELNS1_3gpuE6ELNS1_3repE0EEENS1_30default_config_static_selectorELNS0_4arch9wavefront6targetE0EEEvT1_.has_dyn_sized_stack, 0
	.set _ZN7rocprim17ROCPRIM_400000_NS6detail17trampoline_kernelINS0_14default_configENS1_27scan_by_key_config_selectorIiiEEZZNS1_16scan_by_key_implILNS1_25lookback_scan_determinismE0ELb1ES3_N6thrust23THRUST_200600_302600_NS10device_ptrIiEESB_SB_iNS9_4plusIvEENS9_8equal_toIvEEiEE10hipError_tPvRmT2_T3_T4_T5_mT6_T7_P12ihipStream_tbENKUlT_T0_E_clISt17integral_constantIbLb0EESV_IbLb1EEEEDaSR_SS_EUlSR_E_NS1_11comp_targetILNS1_3genE2ELNS1_11target_archE906ELNS1_3gpuE6ELNS1_3repE0EEENS1_30default_config_static_selectorELNS0_4arch9wavefront6targetE0EEEvT1_.has_recursion, 0
	.set _ZN7rocprim17ROCPRIM_400000_NS6detail17trampoline_kernelINS0_14default_configENS1_27scan_by_key_config_selectorIiiEEZZNS1_16scan_by_key_implILNS1_25lookback_scan_determinismE0ELb1ES3_N6thrust23THRUST_200600_302600_NS10device_ptrIiEESB_SB_iNS9_4plusIvEENS9_8equal_toIvEEiEE10hipError_tPvRmT2_T3_T4_T5_mT6_T7_P12ihipStream_tbENKUlT_T0_E_clISt17integral_constantIbLb0EESV_IbLb1EEEEDaSR_SS_EUlSR_E_NS1_11comp_targetILNS1_3genE2ELNS1_11target_archE906ELNS1_3gpuE6ELNS1_3repE0EEENS1_30default_config_static_selectorELNS0_4arch9wavefront6targetE0EEEvT1_.has_indirect_call, 0
	.section	.AMDGPU.csdata,"",@progbits
; Kernel info:
; codeLenInByte = 0
; TotalNumSgprs: 0
; NumVgprs: 0
; ScratchSize: 0
; MemoryBound: 0
; FloatMode: 240
; IeeeMode: 1
; LDSByteSize: 0 bytes/workgroup (compile time only)
; SGPRBlocks: 0
; VGPRBlocks: 0
; NumSGPRsForWavesPerEU: 1
; NumVGPRsForWavesPerEU: 1
; NamedBarCnt: 0
; Occupancy: 16
; WaveLimiterHint : 0
; COMPUTE_PGM_RSRC2:SCRATCH_EN: 0
; COMPUTE_PGM_RSRC2:USER_SGPR: 2
; COMPUTE_PGM_RSRC2:TRAP_HANDLER: 0
; COMPUTE_PGM_RSRC2:TGID_X_EN: 1
; COMPUTE_PGM_RSRC2:TGID_Y_EN: 0
; COMPUTE_PGM_RSRC2:TGID_Z_EN: 0
; COMPUTE_PGM_RSRC2:TIDIG_COMP_CNT: 0
	.section	.text._ZN7rocprim17ROCPRIM_400000_NS6detail17trampoline_kernelINS0_14default_configENS1_27scan_by_key_config_selectorIiiEEZZNS1_16scan_by_key_implILNS1_25lookback_scan_determinismE0ELb1ES3_N6thrust23THRUST_200600_302600_NS10device_ptrIiEESB_SB_iNS9_4plusIvEENS9_8equal_toIvEEiEE10hipError_tPvRmT2_T3_T4_T5_mT6_T7_P12ihipStream_tbENKUlT_T0_E_clISt17integral_constantIbLb0EESV_IbLb1EEEEDaSR_SS_EUlSR_E_NS1_11comp_targetILNS1_3genE10ELNS1_11target_archE1200ELNS1_3gpuE4ELNS1_3repE0EEENS1_30default_config_static_selectorELNS0_4arch9wavefront6targetE0EEEvT1_,"axG",@progbits,_ZN7rocprim17ROCPRIM_400000_NS6detail17trampoline_kernelINS0_14default_configENS1_27scan_by_key_config_selectorIiiEEZZNS1_16scan_by_key_implILNS1_25lookback_scan_determinismE0ELb1ES3_N6thrust23THRUST_200600_302600_NS10device_ptrIiEESB_SB_iNS9_4plusIvEENS9_8equal_toIvEEiEE10hipError_tPvRmT2_T3_T4_T5_mT6_T7_P12ihipStream_tbENKUlT_T0_E_clISt17integral_constantIbLb0EESV_IbLb1EEEEDaSR_SS_EUlSR_E_NS1_11comp_targetILNS1_3genE10ELNS1_11target_archE1200ELNS1_3gpuE4ELNS1_3repE0EEENS1_30default_config_static_selectorELNS0_4arch9wavefront6targetE0EEEvT1_,comdat
	.protected	_ZN7rocprim17ROCPRIM_400000_NS6detail17trampoline_kernelINS0_14default_configENS1_27scan_by_key_config_selectorIiiEEZZNS1_16scan_by_key_implILNS1_25lookback_scan_determinismE0ELb1ES3_N6thrust23THRUST_200600_302600_NS10device_ptrIiEESB_SB_iNS9_4plusIvEENS9_8equal_toIvEEiEE10hipError_tPvRmT2_T3_T4_T5_mT6_T7_P12ihipStream_tbENKUlT_T0_E_clISt17integral_constantIbLb0EESV_IbLb1EEEEDaSR_SS_EUlSR_E_NS1_11comp_targetILNS1_3genE10ELNS1_11target_archE1200ELNS1_3gpuE4ELNS1_3repE0EEENS1_30default_config_static_selectorELNS0_4arch9wavefront6targetE0EEEvT1_ ; -- Begin function _ZN7rocprim17ROCPRIM_400000_NS6detail17trampoline_kernelINS0_14default_configENS1_27scan_by_key_config_selectorIiiEEZZNS1_16scan_by_key_implILNS1_25lookback_scan_determinismE0ELb1ES3_N6thrust23THRUST_200600_302600_NS10device_ptrIiEESB_SB_iNS9_4plusIvEENS9_8equal_toIvEEiEE10hipError_tPvRmT2_T3_T4_T5_mT6_T7_P12ihipStream_tbENKUlT_T0_E_clISt17integral_constantIbLb0EESV_IbLb1EEEEDaSR_SS_EUlSR_E_NS1_11comp_targetILNS1_3genE10ELNS1_11target_archE1200ELNS1_3gpuE4ELNS1_3repE0EEENS1_30default_config_static_selectorELNS0_4arch9wavefront6targetE0EEEvT1_
	.globl	_ZN7rocprim17ROCPRIM_400000_NS6detail17trampoline_kernelINS0_14default_configENS1_27scan_by_key_config_selectorIiiEEZZNS1_16scan_by_key_implILNS1_25lookback_scan_determinismE0ELb1ES3_N6thrust23THRUST_200600_302600_NS10device_ptrIiEESB_SB_iNS9_4plusIvEENS9_8equal_toIvEEiEE10hipError_tPvRmT2_T3_T4_T5_mT6_T7_P12ihipStream_tbENKUlT_T0_E_clISt17integral_constantIbLb0EESV_IbLb1EEEEDaSR_SS_EUlSR_E_NS1_11comp_targetILNS1_3genE10ELNS1_11target_archE1200ELNS1_3gpuE4ELNS1_3repE0EEENS1_30default_config_static_selectorELNS0_4arch9wavefront6targetE0EEEvT1_
	.p2align	8
	.type	_ZN7rocprim17ROCPRIM_400000_NS6detail17trampoline_kernelINS0_14default_configENS1_27scan_by_key_config_selectorIiiEEZZNS1_16scan_by_key_implILNS1_25lookback_scan_determinismE0ELb1ES3_N6thrust23THRUST_200600_302600_NS10device_ptrIiEESB_SB_iNS9_4plusIvEENS9_8equal_toIvEEiEE10hipError_tPvRmT2_T3_T4_T5_mT6_T7_P12ihipStream_tbENKUlT_T0_E_clISt17integral_constantIbLb0EESV_IbLb1EEEEDaSR_SS_EUlSR_E_NS1_11comp_targetILNS1_3genE10ELNS1_11target_archE1200ELNS1_3gpuE4ELNS1_3repE0EEENS1_30default_config_static_selectorELNS0_4arch9wavefront6targetE0EEEvT1_,@function
_ZN7rocprim17ROCPRIM_400000_NS6detail17trampoline_kernelINS0_14default_configENS1_27scan_by_key_config_selectorIiiEEZZNS1_16scan_by_key_implILNS1_25lookback_scan_determinismE0ELb1ES3_N6thrust23THRUST_200600_302600_NS10device_ptrIiEESB_SB_iNS9_4plusIvEENS9_8equal_toIvEEiEE10hipError_tPvRmT2_T3_T4_T5_mT6_T7_P12ihipStream_tbENKUlT_T0_E_clISt17integral_constantIbLb0EESV_IbLb1EEEEDaSR_SS_EUlSR_E_NS1_11comp_targetILNS1_3genE10ELNS1_11target_archE1200ELNS1_3gpuE4ELNS1_3repE0EEENS1_30default_config_static_selectorELNS0_4arch9wavefront6targetE0EEEvT1_: ; @_ZN7rocprim17ROCPRIM_400000_NS6detail17trampoline_kernelINS0_14default_configENS1_27scan_by_key_config_selectorIiiEEZZNS1_16scan_by_key_implILNS1_25lookback_scan_determinismE0ELb1ES3_N6thrust23THRUST_200600_302600_NS10device_ptrIiEESB_SB_iNS9_4plusIvEENS9_8equal_toIvEEiEE10hipError_tPvRmT2_T3_T4_T5_mT6_T7_P12ihipStream_tbENKUlT_T0_E_clISt17integral_constantIbLb0EESV_IbLb1EEEEDaSR_SS_EUlSR_E_NS1_11comp_targetILNS1_3genE10ELNS1_11target_archE1200ELNS1_3gpuE4ELNS1_3repE0EEENS1_30default_config_static_selectorELNS0_4arch9wavefront6targetE0EEEvT1_
; %bb.0:
	.section	.rodata,"a",@progbits
	.p2align	6, 0x0
	.amdhsa_kernel _ZN7rocprim17ROCPRIM_400000_NS6detail17trampoline_kernelINS0_14default_configENS1_27scan_by_key_config_selectorIiiEEZZNS1_16scan_by_key_implILNS1_25lookback_scan_determinismE0ELb1ES3_N6thrust23THRUST_200600_302600_NS10device_ptrIiEESB_SB_iNS9_4plusIvEENS9_8equal_toIvEEiEE10hipError_tPvRmT2_T3_T4_T5_mT6_T7_P12ihipStream_tbENKUlT_T0_E_clISt17integral_constantIbLb0EESV_IbLb1EEEEDaSR_SS_EUlSR_E_NS1_11comp_targetILNS1_3genE10ELNS1_11target_archE1200ELNS1_3gpuE4ELNS1_3repE0EEENS1_30default_config_static_selectorELNS0_4arch9wavefront6targetE0EEEvT1_
		.amdhsa_group_segment_fixed_size 0
		.amdhsa_private_segment_fixed_size 0
		.amdhsa_kernarg_size 112
		.amdhsa_user_sgpr_count 2
		.amdhsa_user_sgpr_dispatch_ptr 0
		.amdhsa_user_sgpr_queue_ptr 0
		.amdhsa_user_sgpr_kernarg_segment_ptr 1
		.amdhsa_user_sgpr_dispatch_id 0
		.amdhsa_user_sgpr_kernarg_preload_length 0
		.amdhsa_user_sgpr_kernarg_preload_offset 0
		.amdhsa_user_sgpr_private_segment_size 0
		.amdhsa_wavefront_size32 1
		.amdhsa_uses_dynamic_stack 0
		.amdhsa_enable_private_segment 0
		.amdhsa_system_sgpr_workgroup_id_x 1
		.amdhsa_system_sgpr_workgroup_id_y 0
		.amdhsa_system_sgpr_workgroup_id_z 0
		.amdhsa_system_sgpr_workgroup_info 0
		.amdhsa_system_vgpr_workitem_id 0
		.amdhsa_next_free_vgpr 1
		.amdhsa_next_free_sgpr 1
		.amdhsa_named_barrier_count 0
		.amdhsa_reserve_vcc 0
		.amdhsa_float_round_mode_32 0
		.amdhsa_float_round_mode_16_64 0
		.amdhsa_float_denorm_mode_32 3
		.amdhsa_float_denorm_mode_16_64 3
		.amdhsa_fp16_overflow 0
		.amdhsa_memory_ordered 1
		.amdhsa_forward_progress 1
		.amdhsa_inst_pref_size 0
		.amdhsa_round_robin_scheduling 0
		.amdhsa_exception_fp_ieee_invalid_op 0
		.amdhsa_exception_fp_denorm_src 0
		.amdhsa_exception_fp_ieee_div_zero 0
		.amdhsa_exception_fp_ieee_overflow 0
		.amdhsa_exception_fp_ieee_underflow 0
		.amdhsa_exception_fp_ieee_inexact 0
		.amdhsa_exception_int_div_zero 0
	.end_amdhsa_kernel
	.section	.text._ZN7rocprim17ROCPRIM_400000_NS6detail17trampoline_kernelINS0_14default_configENS1_27scan_by_key_config_selectorIiiEEZZNS1_16scan_by_key_implILNS1_25lookback_scan_determinismE0ELb1ES3_N6thrust23THRUST_200600_302600_NS10device_ptrIiEESB_SB_iNS9_4plusIvEENS9_8equal_toIvEEiEE10hipError_tPvRmT2_T3_T4_T5_mT6_T7_P12ihipStream_tbENKUlT_T0_E_clISt17integral_constantIbLb0EESV_IbLb1EEEEDaSR_SS_EUlSR_E_NS1_11comp_targetILNS1_3genE10ELNS1_11target_archE1200ELNS1_3gpuE4ELNS1_3repE0EEENS1_30default_config_static_selectorELNS0_4arch9wavefront6targetE0EEEvT1_,"axG",@progbits,_ZN7rocprim17ROCPRIM_400000_NS6detail17trampoline_kernelINS0_14default_configENS1_27scan_by_key_config_selectorIiiEEZZNS1_16scan_by_key_implILNS1_25lookback_scan_determinismE0ELb1ES3_N6thrust23THRUST_200600_302600_NS10device_ptrIiEESB_SB_iNS9_4plusIvEENS9_8equal_toIvEEiEE10hipError_tPvRmT2_T3_T4_T5_mT6_T7_P12ihipStream_tbENKUlT_T0_E_clISt17integral_constantIbLb0EESV_IbLb1EEEEDaSR_SS_EUlSR_E_NS1_11comp_targetILNS1_3genE10ELNS1_11target_archE1200ELNS1_3gpuE4ELNS1_3repE0EEENS1_30default_config_static_selectorELNS0_4arch9wavefront6targetE0EEEvT1_,comdat
.Lfunc_end2266:
	.size	_ZN7rocprim17ROCPRIM_400000_NS6detail17trampoline_kernelINS0_14default_configENS1_27scan_by_key_config_selectorIiiEEZZNS1_16scan_by_key_implILNS1_25lookback_scan_determinismE0ELb1ES3_N6thrust23THRUST_200600_302600_NS10device_ptrIiEESB_SB_iNS9_4plusIvEENS9_8equal_toIvEEiEE10hipError_tPvRmT2_T3_T4_T5_mT6_T7_P12ihipStream_tbENKUlT_T0_E_clISt17integral_constantIbLb0EESV_IbLb1EEEEDaSR_SS_EUlSR_E_NS1_11comp_targetILNS1_3genE10ELNS1_11target_archE1200ELNS1_3gpuE4ELNS1_3repE0EEENS1_30default_config_static_selectorELNS0_4arch9wavefront6targetE0EEEvT1_, .Lfunc_end2266-_ZN7rocprim17ROCPRIM_400000_NS6detail17trampoline_kernelINS0_14default_configENS1_27scan_by_key_config_selectorIiiEEZZNS1_16scan_by_key_implILNS1_25lookback_scan_determinismE0ELb1ES3_N6thrust23THRUST_200600_302600_NS10device_ptrIiEESB_SB_iNS9_4plusIvEENS9_8equal_toIvEEiEE10hipError_tPvRmT2_T3_T4_T5_mT6_T7_P12ihipStream_tbENKUlT_T0_E_clISt17integral_constantIbLb0EESV_IbLb1EEEEDaSR_SS_EUlSR_E_NS1_11comp_targetILNS1_3genE10ELNS1_11target_archE1200ELNS1_3gpuE4ELNS1_3repE0EEENS1_30default_config_static_selectorELNS0_4arch9wavefront6targetE0EEEvT1_
                                        ; -- End function
	.set _ZN7rocprim17ROCPRIM_400000_NS6detail17trampoline_kernelINS0_14default_configENS1_27scan_by_key_config_selectorIiiEEZZNS1_16scan_by_key_implILNS1_25lookback_scan_determinismE0ELb1ES3_N6thrust23THRUST_200600_302600_NS10device_ptrIiEESB_SB_iNS9_4plusIvEENS9_8equal_toIvEEiEE10hipError_tPvRmT2_T3_T4_T5_mT6_T7_P12ihipStream_tbENKUlT_T0_E_clISt17integral_constantIbLb0EESV_IbLb1EEEEDaSR_SS_EUlSR_E_NS1_11comp_targetILNS1_3genE10ELNS1_11target_archE1200ELNS1_3gpuE4ELNS1_3repE0EEENS1_30default_config_static_selectorELNS0_4arch9wavefront6targetE0EEEvT1_.num_vgpr, 0
	.set _ZN7rocprim17ROCPRIM_400000_NS6detail17trampoline_kernelINS0_14default_configENS1_27scan_by_key_config_selectorIiiEEZZNS1_16scan_by_key_implILNS1_25lookback_scan_determinismE0ELb1ES3_N6thrust23THRUST_200600_302600_NS10device_ptrIiEESB_SB_iNS9_4plusIvEENS9_8equal_toIvEEiEE10hipError_tPvRmT2_T3_T4_T5_mT6_T7_P12ihipStream_tbENKUlT_T0_E_clISt17integral_constantIbLb0EESV_IbLb1EEEEDaSR_SS_EUlSR_E_NS1_11comp_targetILNS1_3genE10ELNS1_11target_archE1200ELNS1_3gpuE4ELNS1_3repE0EEENS1_30default_config_static_selectorELNS0_4arch9wavefront6targetE0EEEvT1_.num_agpr, 0
	.set _ZN7rocprim17ROCPRIM_400000_NS6detail17trampoline_kernelINS0_14default_configENS1_27scan_by_key_config_selectorIiiEEZZNS1_16scan_by_key_implILNS1_25lookback_scan_determinismE0ELb1ES3_N6thrust23THRUST_200600_302600_NS10device_ptrIiEESB_SB_iNS9_4plusIvEENS9_8equal_toIvEEiEE10hipError_tPvRmT2_T3_T4_T5_mT6_T7_P12ihipStream_tbENKUlT_T0_E_clISt17integral_constantIbLb0EESV_IbLb1EEEEDaSR_SS_EUlSR_E_NS1_11comp_targetILNS1_3genE10ELNS1_11target_archE1200ELNS1_3gpuE4ELNS1_3repE0EEENS1_30default_config_static_selectorELNS0_4arch9wavefront6targetE0EEEvT1_.numbered_sgpr, 0
	.set _ZN7rocprim17ROCPRIM_400000_NS6detail17trampoline_kernelINS0_14default_configENS1_27scan_by_key_config_selectorIiiEEZZNS1_16scan_by_key_implILNS1_25lookback_scan_determinismE0ELb1ES3_N6thrust23THRUST_200600_302600_NS10device_ptrIiEESB_SB_iNS9_4plusIvEENS9_8equal_toIvEEiEE10hipError_tPvRmT2_T3_T4_T5_mT6_T7_P12ihipStream_tbENKUlT_T0_E_clISt17integral_constantIbLb0EESV_IbLb1EEEEDaSR_SS_EUlSR_E_NS1_11comp_targetILNS1_3genE10ELNS1_11target_archE1200ELNS1_3gpuE4ELNS1_3repE0EEENS1_30default_config_static_selectorELNS0_4arch9wavefront6targetE0EEEvT1_.num_named_barrier, 0
	.set _ZN7rocprim17ROCPRIM_400000_NS6detail17trampoline_kernelINS0_14default_configENS1_27scan_by_key_config_selectorIiiEEZZNS1_16scan_by_key_implILNS1_25lookback_scan_determinismE0ELb1ES3_N6thrust23THRUST_200600_302600_NS10device_ptrIiEESB_SB_iNS9_4plusIvEENS9_8equal_toIvEEiEE10hipError_tPvRmT2_T3_T4_T5_mT6_T7_P12ihipStream_tbENKUlT_T0_E_clISt17integral_constantIbLb0EESV_IbLb1EEEEDaSR_SS_EUlSR_E_NS1_11comp_targetILNS1_3genE10ELNS1_11target_archE1200ELNS1_3gpuE4ELNS1_3repE0EEENS1_30default_config_static_selectorELNS0_4arch9wavefront6targetE0EEEvT1_.private_seg_size, 0
	.set _ZN7rocprim17ROCPRIM_400000_NS6detail17trampoline_kernelINS0_14default_configENS1_27scan_by_key_config_selectorIiiEEZZNS1_16scan_by_key_implILNS1_25lookback_scan_determinismE0ELb1ES3_N6thrust23THRUST_200600_302600_NS10device_ptrIiEESB_SB_iNS9_4plusIvEENS9_8equal_toIvEEiEE10hipError_tPvRmT2_T3_T4_T5_mT6_T7_P12ihipStream_tbENKUlT_T0_E_clISt17integral_constantIbLb0EESV_IbLb1EEEEDaSR_SS_EUlSR_E_NS1_11comp_targetILNS1_3genE10ELNS1_11target_archE1200ELNS1_3gpuE4ELNS1_3repE0EEENS1_30default_config_static_selectorELNS0_4arch9wavefront6targetE0EEEvT1_.uses_vcc, 0
	.set _ZN7rocprim17ROCPRIM_400000_NS6detail17trampoline_kernelINS0_14default_configENS1_27scan_by_key_config_selectorIiiEEZZNS1_16scan_by_key_implILNS1_25lookback_scan_determinismE0ELb1ES3_N6thrust23THRUST_200600_302600_NS10device_ptrIiEESB_SB_iNS9_4plusIvEENS9_8equal_toIvEEiEE10hipError_tPvRmT2_T3_T4_T5_mT6_T7_P12ihipStream_tbENKUlT_T0_E_clISt17integral_constantIbLb0EESV_IbLb1EEEEDaSR_SS_EUlSR_E_NS1_11comp_targetILNS1_3genE10ELNS1_11target_archE1200ELNS1_3gpuE4ELNS1_3repE0EEENS1_30default_config_static_selectorELNS0_4arch9wavefront6targetE0EEEvT1_.uses_flat_scratch, 0
	.set _ZN7rocprim17ROCPRIM_400000_NS6detail17trampoline_kernelINS0_14default_configENS1_27scan_by_key_config_selectorIiiEEZZNS1_16scan_by_key_implILNS1_25lookback_scan_determinismE0ELb1ES3_N6thrust23THRUST_200600_302600_NS10device_ptrIiEESB_SB_iNS9_4plusIvEENS9_8equal_toIvEEiEE10hipError_tPvRmT2_T3_T4_T5_mT6_T7_P12ihipStream_tbENKUlT_T0_E_clISt17integral_constantIbLb0EESV_IbLb1EEEEDaSR_SS_EUlSR_E_NS1_11comp_targetILNS1_3genE10ELNS1_11target_archE1200ELNS1_3gpuE4ELNS1_3repE0EEENS1_30default_config_static_selectorELNS0_4arch9wavefront6targetE0EEEvT1_.has_dyn_sized_stack, 0
	.set _ZN7rocprim17ROCPRIM_400000_NS6detail17trampoline_kernelINS0_14default_configENS1_27scan_by_key_config_selectorIiiEEZZNS1_16scan_by_key_implILNS1_25lookback_scan_determinismE0ELb1ES3_N6thrust23THRUST_200600_302600_NS10device_ptrIiEESB_SB_iNS9_4plusIvEENS9_8equal_toIvEEiEE10hipError_tPvRmT2_T3_T4_T5_mT6_T7_P12ihipStream_tbENKUlT_T0_E_clISt17integral_constantIbLb0EESV_IbLb1EEEEDaSR_SS_EUlSR_E_NS1_11comp_targetILNS1_3genE10ELNS1_11target_archE1200ELNS1_3gpuE4ELNS1_3repE0EEENS1_30default_config_static_selectorELNS0_4arch9wavefront6targetE0EEEvT1_.has_recursion, 0
	.set _ZN7rocprim17ROCPRIM_400000_NS6detail17trampoline_kernelINS0_14default_configENS1_27scan_by_key_config_selectorIiiEEZZNS1_16scan_by_key_implILNS1_25lookback_scan_determinismE0ELb1ES3_N6thrust23THRUST_200600_302600_NS10device_ptrIiEESB_SB_iNS9_4plusIvEENS9_8equal_toIvEEiEE10hipError_tPvRmT2_T3_T4_T5_mT6_T7_P12ihipStream_tbENKUlT_T0_E_clISt17integral_constantIbLb0EESV_IbLb1EEEEDaSR_SS_EUlSR_E_NS1_11comp_targetILNS1_3genE10ELNS1_11target_archE1200ELNS1_3gpuE4ELNS1_3repE0EEENS1_30default_config_static_selectorELNS0_4arch9wavefront6targetE0EEEvT1_.has_indirect_call, 0
	.section	.AMDGPU.csdata,"",@progbits
; Kernel info:
; codeLenInByte = 0
; TotalNumSgprs: 0
; NumVgprs: 0
; ScratchSize: 0
; MemoryBound: 0
; FloatMode: 240
; IeeeMode: 1
; LDSByteSize: 0 bytes/workgroup (compile time only)
; SGPRBlocks: 0
; VGPRBlocks: 0
; NumSGPRsForWavesPerEU: 1
; NumVGPRsForWavesPerEU: 1
; NamedBarCnt: 0
; Occupancy: 16
; WaveLimiterHint : 0
; COMPUTE_PGM_RSRC2:SCRATCH_EN: 0
; COMPUTE_PGM_RSRC2:USER_SGPR: 2
; COMPUTE_PGM_RSRC2:TRAP_HANDLER: 0
; COMPUTE_PGM_RSRC2:TGID_X_EN: 1
; COMPUTE_PGM_RSRC2:TGID_Y_EN: 0
; COMPUTE_PGM_RSRC2:TGID_Z_EN: 0
; COMPUTE_PGM_RSRC2:TIDIG_COMP_CNT: 0
	.section	.text._ZN7rocprim17ROCPRIM_400000_NS6detail17trampoline_kernelINS0_14default_configENS1_27scan_by_key_config_selectorIiiEEZZNS1_16scan_by_key_implILNS1_25lookback_scan_determinismE0ELb1ES3_N6thrust23THRUST_200600_302600_NS10device_ptrIiEESB_SB_iNS9_4plusIvEENS9_8equal_toIvEEiEE10hipError_tPvRmT2_T3_T4_T5_mT6_T7_P12ihipStream_tbENKUlT_T0_E_clISt17integral_constantIbLb0EESV_IbLb1EEEEDaSR_SS_EUlSR_E_NS1_11comp_targetILNS1_3genE9ELNS1_11target_archE1100ELNS1_3gpuE3ELNS1_3repE0EEENS1_30default_config_static_selectorELNS0_4arch9wavefront6targetE0EEEvT1_,"axG",@progbits,_ZN7rocprim17ROCPRIM_400000_NS6detail17trampoline_kernelINS0_14default_configENS1_27scan_by_key_config_selectorIiiEEZZNS1_16scan_by_key_implILNS1_25lookback_scan_determinismE0ELb1ES3_N6thrust23THRUST_200600_302600_NS10device_ptrIiEESB_SB_iNS9_4plusIvEENS9_8equal_toIvEEiEE10hipError_tPvRmT2_T3_T4_T5_mT6_T7_P12ihipStream_tbENKUlT_T0_E_clISt17integral_constantIbLb0EESV_IbLb1EEEEDaSR_SS_EUlSR_E_NS1_11comp_targetILNS1_3genE9ELNS1_11target_archE1100ELNS1_3gpuE3ELNS1_3repE0EEENS1_30default_config_static_selectorELNS0_4arch9wavefront6targetE0EEEvT1_,comdat
	.protected	_ZN7rocprim17ROCPRIM_400000_NS6detail17trampoline_kernelINS0_14default_configENS1_27scan_by_key_config_selectorIiiEEZZNS1_16scan_by_key_implILNS1_25lookback_scan_determinismE0ELb1ES3_N6thrust23THRUST_200600_302600_NS10device_ptrIiEESB_SB_iNS9_4plusIvEENS9_8equal_toIvEEiEE10hipError_tPvRmT2_T3_T4_T5_mT6_T7_P12ihipStream_tbENKUlT_T0_E_clISt17integral_constantIbLb0EESV_IbLb1EEEEDaSR_SS_EUlSR_E_NS1_11comp_targetILNS1_3genE9ELNS1_11target_archE1100ELNS1_3gpuE3ELNS1_3repE0EEENS1_30default_config_static_selectorELNS0_4arch9wavefront6targetE0EEEvT1_ ; -- Begin function _ZN7rocprim17ROCPRIM_400000_NS6detail17trampoline_kernelINS0_14default_configENS1_27scan_by_key_config_selectorIiiEEZZNS1_16scan_by_key_implILNS1_25lookback_scan_determinismE0ELb1ES3_N6thrust23THRUST_200600_302600_NS10device_ptrIiEESB_SB_iNS9_4plusIvEENS9_8equal_toIvEEiEE10hipError_tPvRmT2_T3_T4_T5_mT6_T7_P12ihipStream_tbENKUlT_T0_E_clISt17integral_constantIbLb0EESV_IbLb1EEEEDaSR_SS_EUlSR_E_NS1_11comp_targetILNS1_3genE9ELNS1_11target_archE1100ELNS1_3gpuE3ELNS1_3repE0EEENS1_30default_config_static_selectorELNS0_4arch9wavefront6targetE0EEEvT1_
	.globl	_ZN7rocprim17ROCPRIM_400000_NS6detail17trampoline_kernelINS0_14default_configENS1_27scan_by_key_config_selectorIiiEEZZNS1_16scan_by_key_implILNS1_25lookback_scan_determinismE0ELb1ES3_N6thrust23THRUST_200600_302600_NS10device_ptrIiEESB_SB_iNS9_4plusIvEENS9_8equal_toIvEEiEE10hipError_tPvRmT2_T3_T4_T5_mT6_T7_P12ihipStream_tbENKUlT_T0_E_clISt17integral_constantIbLb0EESV_IbLb1EEEEDaSR_SS_EUlSR_E_NS1_11comp_targetILNS1_3genE9ELNS1_11target_archE1100ELNS1_3gpuE3ELNS1_3repE0EEENS1_30default_config_static_selectorELNS0_4arch9wavefront6targetE0EEEvT1_
	.p2align	8
	.type	_ZN7rocprim17ROCPRIM_400000_NS6detail17trampoline_kernelINS0_14default_configENS1_27scan_by_key_config_selectorIiiEEZZNS1_16scan_by_key_implILNS1_25lookback_scan_determinismE0ELb1ES3_N6thrust23THRUST_200600_302600_NS10device_ptrIiEESB_SB_iNS9_4plusIvEENS9_8equal_toIvEEiEE10hipError_tPvRmT2_T3_T4_T5_mT6_T7_P12ihipStream_tbENKUlT_T0_E_clISt17integral_constantIbLb0EESV_IbLb1EEEEDaSR_SS_EUlSR_E_NS1_11comp_targetILNS1_3genE9ELNS1_11target_archE1100ELNS1_3gpuE3ELNS1_3repE0EEENS1_30default_config_static_selectorELNS0_4arch9wavefront6targetE0EEEvT1_,@function
_ZN7rocprim17ROCPRIM_400000_NS6detail17trampoline_kernelINS0_14default_configENS1_27scan_by_key_config_selectorIiiEEZZNS1_16scan_by_key_implILNS1_25lookback_scan_determinismE0ELb1ES3_N6thrust23THRUST_200600_302600_NS10device_ptrIiEESB_SB_iNS9_4plusIvEENS9_8equal_toIvEEiEE10hipError_tPvRmT2_T3_T4_T5_mT6_T7_P12ihipStream_tbENKUlT_T0_E_clISt17integral_constantIbLb0EESV_IbLb1EEEEDaSR_SS_EUlSR_E_NS1_11comp_targetILNS1_3genE9ELNS1_11target_archE1100ELNS1_3gpuE3ELNS1_3repE0EEENS1_30default_config_static_selectorELNS0_4arch9wavefront6targetE0EEEvT1_: ; @_ZN7rocprim17ROCPRIM_400000_NS6detail17trampoline_kernelINS0_14default_configENS1_27scan_by_key_config_selectorIiiEEZZNS1_16scan_by_key_implILNS1_25lookback_scan_determinismE0ELb1ES3_N6thrust23THRUST_200600_302600_NS10device_ptrIiEESB_SB_iNS9_4plusIvEENS9_8equal_toIvEEiEE10hipError_tPvRmT2_T3_T4_T5_mT6_T7_P12ihipStream_tbENKUlT_T0_E_clISt17integral_constantIbLb0EESV_IbLb1EEEEDaSR_SS_EUlSR_E_NS1_11comp_targetILNS1_3genE9ELNS1_11target_archE1100ELNS1_3gpuE3ELNS1_3repE0EEENS1_30default_config_static_selectorELNS0_4arch9wavefront6targetE0EEEvT1_
; %bb.0:
	.section	.rodata,"a",@progbits
	.p2align	6, 0x0
	.amdhsa_kernel _ZN7rocprim17ROCPRIM_400000_NS6detail17trampoline_kernelINS0_14default_configENS1_27scan_by_key_config_selectorIiiEEZZNS1_16scan_by_key_implILNS1_25lookback_scan_determinismE0ELb1ES3_N6thrust23THRUST_200600_302600_NS10device_ptrIiEESB_SB_iNS9_4plusIvEENS9_8equal_toIvEEiEE10hipError_tPvRmT2_T3_T4_T5_mT6_T7_P12ihipStream_tbENKUlT_T0_E_clISt17integral_constantIbLb0EESV_IbLb1EEEEDaSR_SS_EUlSR_E_NS1_11comp_targetILNS1_3genE9ELNS1_11target_archE1100ELNS1_3gpuE3ELNS1_3repE0EEENS1_30default_config_static_selectorELNS0_4arch9wavefront6targetE0EEEvT1_
		.amdhsa_group_segment_fixed_size 0
		.amdhsa_private_segment_fixed_size 0
		.amdhsa_kernarg_size 112
		.amdhsa_user_sgpr_count 2
		.amdhsa_user_sgpr_dispatch_ptr 0
		.amdhsa_user_sgpr_queue_ptr 0
		.amdhsa_user_sgpr_kernarg_segment_ptr 1
		.amdhsa_user_sgpr_dispatch_id 0
		.amdhsa_user_sgpr_kernarg_preload_length 0
		.amdhsa_user_sgpr_kernarg_preload_offset 0
		.amdhsa_user_sgpr_private_segment_size 0
		.amdhsa_wavefront_size32 1
		.amdhsa_uses_dynamic_stack 0
		.amdhsa_enable_private_segment 0
		.amdhsa_system_sgpr_workgroup_id_x 1
		.amdhsa_system_sgpr_workgroup_id_y 0
		.amdhsa_system_sgpr_workgroup_id_z 0
		.amdhsa_system_sgpr_workgroup_info 0
		.amdhsa_system_vgpr_workitem_id 0
		.amdhsa_next_free_vgpr 1
		.amdhsa_next_free_sgpr 1
		.amdhsa_named_barrier_count 0
		.amdhsa_reserve_vcc 0
		.amdhsa_float_round_mode_32 0
		.amdhsa_float_round_mode_16_64 0
		.amdhsa_float_denorm_mode_32 3
		.amdhsa_float_denorm_mode_16_64 3
		.amdhsa_fp16_overflow 0
		.amdhsa_memory_ordered 1
		.amdhsa_forward_progress 1
		.amdhsa_inst_pref_size 0
		.amdhsa_round_robin_scheduling 0
		.amdhsa_exception_fp_ieee_invalid_op 0
		.amdhsa_exception_fp_denorm_src 0
		.amdhsa_exception_fp_ieee_div_zero 0
		.amdhsa_exception_fp_ieee_overflow 0
		.amdhsa_exception_fp_ieee_underflow 0
		.amdhsa_exception_fp_ieee_inexact 0
		.amdhsa_exception_int_div_zero 0
	.end_amdhsa_kernel
	.section	.text._ZN7rocprim17ROCPRIM_400000_NS6detail17trampoline_kernelINS0_14default_configENS1_27scan_by_key_config_selectorIiiEEZZNS1_16scan_by_key_implILNS1_25lookback_scan_determinismE0ELb1ES3_N6thrust23THRUST_200600_302600_NS10device_ptrIiEESB_SB_iNS9_4plusIvEENS9_8equal_toIvEEiEE10hipError_tPvRmT2_T3_T4_T5_mT6_T7_P12ihipStream_tbENKUlT_T0_E_clISt17integral_constantIbLb0EESV_IbLb1EEEEDaSR_SS_EUlSR_E_NS1_11comp_targetILNS1_3genE9ELNS1_11target_archE1100ELNS1_3gpuE3ELNS1_3repE0EEENS1_30default_config_static_selectorELNS0_4arch9wavefront6targetE0EEEvT1_,"axG",@progbits,_ZN7rocprim17ROCPRIM_400000_NS6detail17trampoline_kernelINS0_14default_configENS1_27scan_by_key_config_selectorIiiEEZZNS1_16scan_by_key_implILNS1_25lookback_scan_determinismE0ELb1ES3_N6thrust23THRUST_200600_302600_NS10device_ptrIiEESB_SB_iNS9_4plusIvEENS9_8equal_toIvEEiEE10hipError_tPvRmT2_T3_T4_T5_mT6_T7_P12ihipStream_tbENKUlT_T0_E_clISt17integral_constantIbLb0EESV_IbLb1EEEEDaSR_SS_EUlSR_E_NS1_11comp_targetILNS1_3genE9ELNS1_11target_archE1100ELNS1_3gpuE3ELNS1_3repE0EEENS1_30default_config_static_selectorELNS0_4arch9wavefront6targetE0EEEvT1_,comdat
.Lfunc_end2267:
	.size	_ZN7rocprim17ROCPRIM_400000_NS6detail17trampoline_kernelINS0_14default_configENS1_27scan_by_key_config_selectorIiiEEZZNS1_16scan_by_key_implILNS1_25lookback_scan_determinismE0ELb1ES3_N6thrust23THRUST_200600_302600_NS10device_ptrIiEESB_SB_iNS9_4plusIvEENS9_8equal_toIvEEiEE10hipError_tPvRmT2_T3_T4_T5_mT6_T7_P12ihipStream_tbENKUlT_T0_E_clISt17integral_constantIbLb0EESV_IbLb1EEEEDaSR_SS_EUlSR_E_NS1_11comp_targetILNS1_3genE9ELNS1_11target_archE1100ELNS1_3gpuE3ELNS1_3repE0EEENS1_30default_config_static_selectorELNS0_4arch9wavefront6targetE0EEEvT1_, .Lfunc_end2267-_ZN7rocprim17ROCPRIM_400000_NS6detail17trampoline_kernelINS0_14default_configENS1_27scan_by_key_config_selectorIiiEEZZNS1_16scan_by_key_implILNS1_25lookback_scan_determinismE0ELb1ES3_N6thrust23THRUST_200600_302600_NS10device_ptrIiEESB_SB_iNS9_4plusIvEENS9_8equal_toIvEEiEE10hipError_tPvRmT2_T3_T4_T5_mT6_T7_P12ihipStream_tbENKUlT_T0_E_clISt17integral_constantIbLb0EESV_IbLb1EEEEDaSR_SS_EUlSR_E_NS1_11comp_targetILNS1_3genE9ELNS1_11target_archE1100ELNS1_3gpuE3ELNS1_3repE0EEENS1_30default_config_static_selectorELNS0_4arch9wavefront6targetE0EEEvT1_
                                        ; -- End function
	.set _ZN7rocprim17ROCPRIM_400000_NS6detail17trampoline_kernelINS0_14default_configENS1_27scan_by_key_config_selectorIiiEEZZNS1_16scan_by_key_implILNS1_25lookback_scan_determinismE0ELb1ES3_N6thrust23THRUST_200600_302600_NS10device_ptrIiEESB_SB_iNS9_4plusIvEENS9_8equal_toIvEEiEE10hipError_tPvRmT2_T3_T4_T5_mT6_T7_P12ihipStream_tbENKUlT_T0_E_clISt17integral_constantIbLb0EESV_IbLb1EEEEDaSR_SS_EUlSR_E_NS1_11comp_targetILNS1_3genE9ELNS1_11target_archE1100ELNS1_3gpuE3ELNS1_3repE0EEENS1_30default_config_static_selectorELNS0_4arch9wavefront6targetE0EEEvT1_.num_vgpr, 0
	.set _ZN7rocprim17ROCPRIM_400000_NS6detail17trampoline_kernelINS0_14default_configENS1_27scan_by_key_config_selectorIiiEEZZNS1_16scan_by_key_implILNS1_25lookback_scan_determinismE0ELb1ES3_N6thrust23THRUST_200600_302600_NS10device_ptrIiEESB_SB_iNS9_4plusIvEENS9_8equal_toIvEEiEE10hipError_tPvRmT2_T3_T4_T5_mT6_T7_P12ihipStream_tbENKUlT_T0_E_clISt17integral_constantIbLb0EESV_IbLb1EEEEDaSR_SS_EUlSR_E_NS1_11comp_targetILNS1_3genE9ELNS1_11target_archE1100ELNS1_3gpuE3ELNS1_3repE0EEENS1_30default_config_static_selectorELNS0_4arch9wavefront6targetE0EEEvT1_.num_agpr, 0
	.set _ZN7rocprim17ROCPRIM_400000_NS6detail17trampoline_kernelINS0_14default_configENS1_27scan_by_key_config_selectorIiiEEZZNS1_16scan_by_key_implILNS1_25lookback_scan_determinismE0ELb1ES3_N6thrust23THRUST_200600_302600_NS10device_ptrIiEESB_SB_iNS9_4plusIvEENS9_8equal_toIvEEiEE10hipError_tPvRmT2_T3_T4_T5_mT6_T7_P12ihipStream_tbENKUlT_T0_E_clISt17integral_constantIbLb0EESV_IbLb1EEEEDaSR_SS_EUlSR_E_NS1_11comp_targetILNS1_3genE9ELNS1_11target_archE1100ELNS1_3gpuE3ELNS1_3repE0EEENS1_30default_config_static_selectorELNS0_4arch9wavefront6targetE0EEEvT1_.numbered_sgpr, 0
	.set _ZN7rocprim17ROCPRIM_400000_NS6detail17trampoline_kernelINS0_14default_configENS1_27scan_by_key_config_selectorIiiEEZZNS1_16scan_by_key_implILNS1_25lookback_scan_determinismE0ELb1ES3_N6thrust23THRUST_200600_302600_NS10device_ptrIiEESB_SB_iNS9_4plusIvEENS9_8equal_toIvEEiEE10hipError_tPvRmT2_T3_T4_T5_mT6_T7_P12ihipStream_tbENKUlT_T0_E_clISt17integral_constantIbLb0EESV_IbLb1EEEEDaSR_SS_EUlSR_E_NS1_11comp_targetILNS1_3genE9ELNS1_11target_archE1100ELNS1_3gpuE3ELNS1_3repE0EEENS1_30default_config_static_selectorELNS0_4arch9wavefront6targetE0EEEvT1_.num_named_barrier, 0
	.set _ZN7rocprim17ROCPRIM_400000_NS6detail17trampoline_kernelINS0_14default_configENS1_27scan_by_key_config_selectorIiiEEZZNS1_16scan_by_key_implILNS1_25lookback_scan_determinismE0ELb1ES3_N6thrust23THRUST_200600_302600_NS10device_ptrIiEESB_SB_iNS9_4plusIvEENS9_8equal_toIvEEiEE10hipError_tPvRmT2_T3_T4_T5_mT6_T7_P12ihipStream_tbENKUlT_T0_E_clISt17integral_constantIbLb0EESV_IbLb1EEEEDaSR_SS_EUlSR_E_NS1_11comp_targetILNS1_3genE9ELNS1_11target_archE1100ELNS1_3gpuE3ELNS1_3repE0EEENS1_30default_config_static_selectorELNS0_4arch9wavefront6targetE0EEEvT1_.private_seg_size, 0
	.set _ZN7rocprim17ROCPRIM_400000_NS6detail17trampoline_kernelINS0_14default_configENS1_27scan_by_key_config_selectorIiiEEZZNS1_16scan_by_key_implILNS1_25lookback_scan_determinismE0ELb1ES3_N6thrust23THRUST_200600_302600_NS10device_ptrIiEESB_SB_iNS9_4plusIvEENS9_8equal_toIvEEiEE10hipError_tPvRmT2_T3_T4_T5_mT6_T7_P12ihipStream_tbENKUlT_T0_E_clISt17integral_constantIbLb0EESV_IbLb1EEEEDaSR_SS_EUlSR_E_NS1_11comp_targetILNS1_3genE9ELNS1_11target_archE1100ELNS1_3gpuE3ELNS1_3repE0EEENS1_30default_config_static_selectorELNS0_4arch9wavefront6targetE0EEEvT1_.uses_vcc, 0
	.set _ZN7rocprim17ROCPRIM_400000_NS6detail17trampoline_kernelINS0_14default_configENS1_27scan_by_key_config_selectorIiiEEZZNS1_16scan_by_key_implILNS1_25lookback_scan_determinismE0ELb1ES3_N6thrust23THRUST_200600_302600_NS10device_ptrIiEESB_SB_iNS9_4plusIvEENS9_8equal_toIvEEiEE10hipError_tPvRmT2_T3_T4_T5_mT6_T7_P12ihipStream_tbENKUlT_T0_E_clISt17integral_constantIbLb0EESV_IbLb1EEEEDaSR_SS_EUlSR_E_NS1_11comp_targetILNS1_3genE9ELNS1_11target_archE1100ELNS1_3gpuE3ELNS1_3repE0EEENS1_30default_config_static_selectorELNS0_4arch9wavefront6targetE0EEEvT1_.uses_flat_scratch, 0
	.set _ZN7rocprim17ROCPRIM_400000_NS6detail17trampoline_kernelINS0_14default_configENS1_27scan_by_key_config_selectorIiiEEZZNS1_16scan_by_key_implILNS1_25lookback_scan_determinismE0ELb1ES3_N6thrust23THRUST_200600_302600_NS10device_ptrIiEESB_SB_iNS9_4plusIvEENS9_8equal_toIvEEiEE10hipError_tPvRmT2_T3_T4_T5_mT6_T7_P12ihipStream_tbENKUlT_T0_E_clISt17integral_constantIbLb0EESV_IbLb1EEEEDaSR_SS_EUlSR_E_NS1_11comp_targetILNS1_3genE9ELNS1_11target_archE1100ELNS1_3gpuE3ELNS1_3repE0EEENS1_30default_config_static_selectorELNS0_4arch9wavefront6targetE0EEEvT1_.has_dyn_sized_stack, 0
	.set _ZN7rocprim17ROCPRIM_400000_NS6detail17trampoline_kernelINS0_14default_configENS1_27scan_by_key_config_selectorIiiEEZZNS1_16scan_by_key_implILNS1_25lookback_scan_determinismE0ELb1ES3_N6thrust23THRUST_200600_302600_NS10device_ptrIiEESB_SB_iNS9_4plusIvEENS9_8equal_toIvEEiEE10hipError_tPvRmT2_T3_T4_T5_mT6_T7_P12ihipStream_tbENKUlT_T0_E_clISt17integral_constantIbLb0EESV_IbLb1EEEEDaSR_SS_EUlSR_E_NS1_11comp_targetILNS1_3genE9ELNS1_11target_archE1100ELNS1_3gpuE3ELNS1_3repE0EEENS1_30default_config_static_selectorELNS0_4arch9wavefront6targetE0EEEvT1_.has_recursion, 0
	.set _ZN7rocprim17ROCPRIM_400000_NS6detail17trampoline_kernelINS0_14default_configENS1_27scan_by_key_config_selectorIiiEEZZNS1_16scan_by_key_implILNS1_25lookback_scan_determinismE0ELb1ES3_N6thrust23THRUST_200600_302600_NS10device_ptrIiEESB_SB_iNS9_4plusIvEENS9_8equal_toIvEEiEE10hipError_tPvRmT2_T3_T4_T5_mT6_T7_P12ihipStream_tbENKUlT_T0_E_clISt17integral_constantIbLb0EESV_IbLb1EEEEDaSR_SS_EUlSR_E_NS1_11comp_targetILNS1_3genE9ELNS1_11target_archE1100ELNS1_3gpuE3ELNS1_3repE0EEENS1_30default_config_static_selectorELNS0_4arch9wavefront6targetE0EEEvT1_.has_indirect_call, 0
	.section	.AMDGPU.csdata,"",@progbits
; Kernel info:
; codeLenInByte = 0
; TotalNumSgprs: 0
; NumVgprs: 0
; ScratchSize: 0
; MemoryBound: 0
; FloatMode: 240
; IeeeMode: 1
; LDSByteSize: 0 bytes/workgroup (compile time only)
; SGPRBlocks: 0
; VGPRBlocks: 0
; NumSGPRsForWavesPerEU: 1
; NumVGPRsForWavesPerEU: 1
; NamedBarCnt: 0
; Occupancy: 16
; WaveLimiterHint : 0
; COMPUTE_PGM_RSRC2:SCRATCH_EN: 0
; COMPUTE_PGM_RSRC2:USER_SGPR: 2
; COMPUTE_PGM_RSRC2:TRAP_HANDLER: 0
; COMPUTE_PGM_RSRC2:TGID_X_EN: 1
; COMPUTE_PGM_RSRC2:TGID_Y_EN: 0
; COMPUTE_PGM_RSRC2:TGID_Z_EN: 0
; COMPUTE_PGM_RSRC2:TIDIG_COMP_CNT: 0
	.section	.text._ZN7rocprim17ROCPRIM_400000_NS6detail17trampoline_kernelINS0_14default_configENS1_27scan_by_key_config_selectorIiiEEZZNS1_16scan_by_key_implILNS1_25lookback_scan_determinismE0ELb1ES3_N6thrust23THRUST_200600_302600_NS10device_ptrIiEESB_SB_iNS9_4plusIvEENS9_8equal_toIvEEiEE10hipError_tPvRmT2_T3_T4_T5_mT6_T7_P12ihipStream_tbENKUlT_T0_E_clISt17integral_constantIbLb0EESV_IbLb1EEEEDaSR_SS_EUlSR_E_NS1_11comp_targetILNS1_3genE8ELNS1_11target_archE1030ELNS1_3gpuE2ELNS1_3repE0EEENS1_30default_config_static_selectorELNS0_4arch9wavefront6targetE0EEEvT1_,"axG",@progbits,_ZN7rocprim17ROCPRIM_400000_NS6detail17trampoline_kernelINS0_14default_configENS1_27scan_by_key_config_selectorIiiEEZZNS1_16scan_by_key_implILNS1_25lookback_scan_determinismE0ELb1ES3_N6thrust23THRUST_200600_302600_NS10device_ptrIiEESB_SB_iNS9_4plusIvEENS9_8equal_toIvEEiEE10hipError_tPvRmT2_T3_T4_T5_mT6_T7_P12ihipStream_tbENKUlT_T0_E_clISt17integral_constantIbLb0EESV_IbLb1EEEEDaSR_SS_EUlSR_E_NS1_11comp_targetILNS1_3genE8ELNS1_11target_archE1030ELNS1_3gpuE2ELNS1_3repE0EEENS1_30default_config_static_selectorELNS0_4arch9wavefront6targetE0EEEvT1_,comdat
	.protected	_ZN7rocprim17ROCPRIM_400000_NS6detail17trampoline_kernelINS0_14default_configENS1_27scan_by_key_config_selectorIiiEEZZNS1_16scan_by_key_implILNS1_25lookback_scan_determinismE0ELb1ES3_N6thrust23THRUST_200600_302600_NS10device_ptrIiEESB_SB_iNS9_4plusIvEENS9_8equal_toIvEEiEE10hipError_tPvRmT2_T3_T4_T5_mT6_T7_P12ihipStream_tbENKUlT_T0_E_clISt17integral_constantIbLb0EESV_IbLb1EEEEDaSR_SS_EUlSR_E_NS1_11comp_targetILNS1_3genE8ELNS1_11target_archE1030ELNS1_3gpuE2ELNS1_3repE0EEENS1_30default_config_static_selectorELNS0_4arch9wavefront6targetE0EEEvT1_ ; -- Begin function _ZN7rocprim17ROCPRIM_400000_NS6detail17trampoline_kernelINS0_14default_configENS1_27scan_by_key_config_selectorIiiEEZZNS1_16scan_by_key_implILNS1_25lookback_scan_determinismE0ELb1ES3_N6thrust23THRUST_200600_302600_NS10device_ptrIiEESB_SB_iNS9_4plusIvEENS9_8equal_toIvEEiEE10hipError_tPvRmT2_T3_T4_T5_mT6_T7_P12ihipStream_tbENKUlT_T0_E_clISt17integral_constantIbLb0EESV_IbLb1EEEEDaSR_SS_EUlSR_E_NS1_11comp_targetILNS1_3genE8ELNS1_11target_archE1030ELNS1_3gpuE2ELNS1_3repE0EEENS1_30default_config_static_selectorELNS0_4arch9wavefront6targetE0EEEvT1_
	.globl	_ZN7rocprim17ROCPRIM_400000_NS6detail17trampoline_kernelINS0_14default_configENS1_27scan_by_key_config_selectorIiiEEZZNS1_16scan_by_key_implILNS1_25lookback_scan_determinismE0ELb1ES3_N6thrust23THRUST_200600_302600_NS10device_ptrIiEESB_SB_iNS9_4plusIvEENS9_8equal_toIvEEiEE10hipError_tPvRmT2_T3_T4_T5_mT6_T7_P12ihipStream_tbENKUlT_T0_E_clISt17integral_constantIbLb0EESV_IbLb1EEEEDaSR_SS_EUlSR_E_NS1_11comp_targetILNS1_3genE8ELNS1_11target_archE1030ELNS1_3gpuE2ELNS1_3repE0EEENS1_30default_config_static_selectorELNS0_4arch9wavefront6targetE0EEEvT1_
	.p2align	8
	.type	_ZN7rocprim17ROCPRIM_400000_NS6detail17trampoline_kernelINS0_14default_configENS1_27scan_by_key_config_selectorIiiEEZZNS1_16scan_by_key_implILNS1_25lookback_scan_determinismE0ELb1ES3_N6thrust23THRUST_200600_302600_NS10device_ptrIiEESB_SB_iNS9_4plusIvEENS9_8equal_toIvEEiEE10hipError_tPvRmT2_T3_T4_T5_mT6_T7_P12ihipStream_tbENKUlT_T0_E_clISt17integral_constantIbLb0EESV_IbLb1EEEEDaSR_SS_EUlSR_E_NS1_11comp_targetILNS1_3genE8ELNS1_11target_archE1030ELNS1_3gpuE2ELNS1_3repE0EEENS1_30default_config_static_selectorELNS0_4arch9wavefront6targetE0EEEvT1_,@function
_ZN7rocprim17ROCPRIM_400000_NS6detail17trampoline_kernelINS0_14default_configENS1_27scan_by_key_config_selectorIiiEEZZNS1_16scan_by_key_implILNS1_25lookback_scan_determinismE0ELb1ES3_N6thrust23THRUST_200600_302600_NS10device_ptrIiEESB_SB_iNS9_4plusIvEENS9_8equal_toIvEEiEE10hipError_tPvRmT2_T3_T4_T5_mT6_T7_P12ihipStream_tbENKUlT_T0_E_clISt17integral_constantIbLb0EESV_IbLb1EEEEDaSR_SS_EUlSR_E_NS1_11comp_targetILNS1_3genE8ELNS1_11target_archE1030ELNS1_3gpuE2ELNS1_3repE0EEENS1_30default_config_static_selectorELNS0_4arch9wavefront6targetE0EEEvT1_: ; @_ZN7rocprim17ROCPRIM_400000_NS6detail17trampoline_kernelINS0_14default_configENS1_27scan_by_key_config_selectorIiiEEZZNS1_16scan_by_key_implILNS1_25lookback_scan_determinismE0ELb1ES3_N6thrust23THRUST_200600_302600_NS10device_ptrIiEESB_SB_iNS9_4plusIvEENS9_8equal_toIvEEiEE10hipError_tPvRmT2_T3_T4_T5_mT6_T7_P12ihipStream_tbENKUlT_T0_E_clISt17integral_constantIbLb0EESV_IbLb1EEEEDaSR_SS_EUlSR_E_NS1_11comp_targetILNS1_3genE8ELNS1_11target_archE1030ELNS1_3gpuE2ELNS1_3repE0EEENS1_30default_config_static_selectorELNS0_4arch9wavefront6targetE0EEEvT1_
; %bb.0:
	.section	.rodata,"a",@progbits
	.p2align	6, 0x0
	.amdhsa_kernel _ZN7rocprim17ROCPRIM_400000_NS6detail17trampoline_kernelINS0_14default_configENS1_27scan_by_key_config_selectorIiiEEZZNS1_16scan_by_key_implILNS1_25lookback_scan_determinismE0ELb1ES3_N6thrust23THRUST_200600_302600_NS10device_ptrIiEESB_SB_iNS9_4plusIvEENS9_8equal_toIvEEiEE10hipError_tPvRmT2_T3_T4_T5_mT6_T7_P12ihipStream_tbENKUlT_T0_E_clISt17integral_constantIbLb0EESV_IbLb1EEEEDaSR_SS_EUlSR_E_NS1_11comp_targetILNS1_3genE8ELNS1_11target_archE1030ELNS1_3gpuE2ELNS1_3repE0EEENS1_30default_config_static_selectorELNS0_4arch9wavefront6targetE0EEEvT1_
		.amdhsa_group_segment_fixed_size 0
		.amdhsa_private_segment_fixed_size 0
		.amdhsa_kernarg_size 112
		.amdhsa_user_sgpr_count 2
		.amdhsa_user_sgpr_dispatch_ptr 0
		.amdhsa_user_sgpr_queue_ptr 0
		.amdhsa_user_sgpr_kernarg_segment_ptr 1
		.amdhsa_user_sgpr_dispatch_id 0
		.amdhsa_user_sgpr_kernarg_preload_length 0
		.amdhsa_user_sgpr_kernarg_preload_offset 0
		.amdhsa_user_sgpr_private_segment_size 0
		.amdhsa_wavefront_size32 1
		.amdhsa_uses_dynamic_stack 0
		.amdhsa_enable_private_segment 0
		.amdhsa_system_sgpr_workgroup_id_x 1
		.amdhsa_system_sgpr_workgroup_id_y 0
		.amdhsa_system_sgpr_workgroup_id_z 0
		.amdhsa_system_sgpr_workgroup_info 0
		.amdhsa_system_vgpr_workitem_id 0
		.amdhsa_next_free_vgpr 1
		.amdhsa_next_free_sgpr 1
		.amdhsa_named_barrier_count 0
		.amdhsa_reserve_vcc 0
		.amdhsa_float_round_mode_32 0
		.amdhsa_float_round_mode_16_64 0
		.amdhsa_float_denorm_mode_32 3
		.amdhsa_float_denorm_mode_16_64 3
		.amdhsa_fp16_overflow 0
		.amdhsa_memory_ordered 1
		.amdhsa_forward_progress 1
		.amdhsa_inst_pref_size 0
		.amdhsa_round_robin_scheduling 0
		.amdhsa_exception_fp_ieee_invalid_op 0
		.amdhsa_exception_fp_denorm_src 0
		.amdhsa_exception_fp_ieee_div_zero 0
		.amdhsa_exception_fp_ieee_overflow 0
		.amdhsa_exception_fp_ieee_underflow 0
		.amdhsa_exception_fp_ieee_inexact 0
		.amdhsa_exception_int_div_zero 0
	.end_amdhsa_kernel
	.section	.text._ZN7rocprim17ROCPRIM_400000_NS6detail17trampoline_kernelINS0_14default_configENS1_27scan_by_key_config_selectorIiiEEZZNS1_16scan_by_key_implILNS1_25lookback_scan_determinismE0ELb1ES3_N6thrust23THRUST_200600_302600_NS10device_ptrIiEESB_SB_iNS9_4plusIvEENS9_8equal_toIvEEiEE10hipError_tPvRmT2_T3_T4_T5_mT6_T7_P12ihipStream_tbENKUlT_T0_E_clISt17integral_constantIbLb0EESV_IbLb1EEEEDaSR_SS_EUlSR_E_NS1_11comp_targetILNS1_3genE8ELNS1_11target_archE1030ELNS1_3gpuE2ELNS1_3repE0EEENS1_30default_config_static_selectorELNS0_4arch9wavefront6targetE0EEEvT1_,"axG",@progbits,_ZN7rocprim17ROCPRIM_400000_NS6detail17trampoline_kernelINS0_14default_configENS1_27scan_by_key_config_selectorIiiEEZZNS1_16scan_by_key_implILNS1_25lookback_scan_determinismE0ELb1ES3_N6thrust23THRUST_200600_302600_NS10device_ptrIiEESB_SB_iNS9_4plusIvEENS9_8equal_toIvEEiEE10hipError_tPvRmT2_T3_T4_T5_mT6_T7_P12ihipStream_tbENKUlT_T0_E_clISt17integral_constantIbLb0EESV_IbLb1EEEEDaSR_SS_EUlSR_E_NS1_11comp_targetILNS1_3genE8ELNS1_11target_archE1030ELNS1_3gpuE2ELNS1_3repE0EEENS1_30default_config_static_selectorELNS0_4arch9wavefront6targetE0EEEvT1_,comdat
.Lfunc_end2268:
	.size	_ZN7rocprim17ROCPRIM_400000_NS6detail17trampoline_kernelINS0_14default_configENS1_27scan_by_key_config_selectorIiiEEZZNS1_16scan_by_key_implILNS1_25lookback_scan_determinismE0ELb1ES3_N6thrust23THRUST_200600_302600_NS10device_ptrIiEESB_SB_iNS9_4plusIvEENS9_8equal_toIvEEiEE10hipError_tPvRmT2_T3_T4_T5_mT6_T7_P12ihipStream_tbENKUlT_T0_E_clISt17integral_constantIbLb0EESV_IbLb1EEEEDaSR_SS_EUlSR_E_NS1_11comp_targetILNS1_3genE8ELNS1_11target_archE1030ELNS1_3gpuE2ELNS1_3repE0EEENS1_30default_config_static_selectorELNS0_4arch9wavefront6targetE0EEEvT1_, .Lfunc_end2268-_ZN7rocprim17ROCPRIM_400000_NS6detail17trampoline_kernelINS0_14default_configENS1_27scan_by_key_config_selectorIiiEEZZNS1_16scan_by_key_implILNS1_25lookback_scan_determinismE0ELb1ES3_N6thrust23THRUST_200600_302600_NS10device_ptrIiEESB_SB_iNS9_4plusIvEENS9_8equal_toIvEEiEE10hipError_tPvRmT2_T3_T4_T5_mT6_T7_P12ihipStream_tbENKUlT_T0_E_clISt17integral_constantIbLb0EESV_IbLb1EEEEDaSR_SS_EUlSR_E_NS1_11comp_targetILNS1_3genE8ELNS1_11target_archE1030ELNS1_3gpuE2ELNS1_3repE0EEENS1_30default_config_static_selectorELNS0_4arch9wavefront6targetE0EEEvT1_
                                        ; -- End function
	.set _ZN7rocprim17ROCPRIM_400000_NS6detail17trampoline_kernelINS0_14default_configENS1_27scan_by_key_config_selectorIiiEEZZNS1_16scan_by_key_implILNS1_25lookback_scan_determinismE0ELb1ES3_N6thrust23THRUST_200600_302600_NS10device_ptrIiEESB_SB_iNS9_4plusIvEENS9_8equal_toIvEEiEE10hipError_tPvRmT2_T3_T4_T5_mT6_T7_P12ihipStream_tbENKUlT_T0_E_clISt17integral_constantIbLb0EESV_IbLb1EEEEDaSR_SS_EUlSR_E_NS1_11comp_targetILNS1_3genE8ELNS1_11target_archE1030ELNS1_3gpuE2ELNS1_3repE0EEENS1_30default_config_static_selectorELNS0_4arch9wavefront6targetE0EEEvT1_.num_vgpr, 0
	.set _ZN7rocprim17ROCPRIM_400000_NS6detail17trampoline_kernelINS0_14default_configENS1_27scan_by_key_config_selectorIiiEEZZNS1_16scan_by_key_implILNS1_25lookback_scan_determinismE0ELb1ES3_N6thrust23THRUST_200600_302600_NS10device_ptrIiEESB_SB_iNS9_4plusIvEENS9_8equal_toIvEEiEE10hipError_tPvRmT2_T3_T4_T5_mT6_T7_P12ihipStream_tbENKUlT_T0_E_clISt17integral_constantIbLb0EESV_IbLb1EEEEDaSR_SS_EUlSR_E_NS1_11comp_targetILNS1_3genE8ELNS1_11target_archE1030ELNS1_3gpuE2ELNS1_3repE0EEENS1_30default_config_static_selectorELNS0_4arch9wavefront6targetE0EEEvT1_.num_agpr, 0
	.set _ZN7rocprim17ROCPRIM_400000_NS6detail17trampoline_kernelINS0_14default_configENS1_27scan_by_key_config_selectorIiiEEZZNS1_16scan_by_key_implILNS1_25lookback_scan_determinismE0ELb1ES3_N6thrust23THRUST_200600_302600_NS10device_ptrIiEESB_SB_iNS9_4plusIvEENS9_8equal_toIvEEiEE10hipError_tPvRmT2_T3_T4_T5_mT6_T7_P12ihipStream_tbENKUlT_T0_E_clISt17integral_constantIbLb0EESV_IbLb1EEEEDaSR_SS_EUlSR_E_NS1_11comp_targetILNS1_3genE8ELNS1_11target_archE1030ELNS1_3gpuE2ELNS1_3repE0EEENS1_30default_config_static_selectorELNS0_4arch9wavefront6targetE0EEEvT1_.numbered_sgpr, 0
	.set _ZN7rocprim17ROCPRIM_400000_NS6detail17trampoline_kernelINS0_14default_configENS1_27scan_by_key_config_selectorIiiEEZZNS1_16scan_by_key_implILNS1_25lookback_scan_determinismE0ELb1ES3_N6thrust23THRUST_200600_302600_NS10device_ptrIiEESB_SB_iNS9_4plusIvEENS9_8equal_toIvEEiEE10hipError_tPvRmT2_T3_T4_T5_mT6_T7_P12ihipStream_tbENKUlT_T0_E_clISt17integral_constantIbLb0EESV_IbLb1EEEEDaSR_SS_EUlSR_E_NS1_11comp_targetILNS1_3genE8ELNS1_11target_archE1030ELNS1_3gpuE2ELNS1_3repE0EEENS1_30default_config_static_selectorELNS0_4arch9wavefront6targetE0EEEvT1_.num_named_barrier, 0
	.set _ZN7rocprim17ROCPRIM_400000_NS6detail17trampoline_kernelINS0_14default_configENS1_27scan_by_key_config_selectorIiiEEZZNS1_16scan_by_key_implILNS1_25lookback_scan_determinismE0ELb1ES3_N6thrust23THRUST_200600_302600_NS10device_ptrIiEESB_SB_iNS9_4plusIvEENS9_8equal_toIvEEiEE10hipError_tPvRmT2_T3_T4_T5_mT6_T7_P12ihipStream_tbENKUlT_T0_E_clISt17integral_constantIbLb0EESV_IbLb1EEEEDaSR_SS_EUlSR_E_NS1_11comp_targetILNS1_3genE8ELNS1_11target_archE1030ELNS1_3gpuE2ELNS1_3repE0EEENS1_30default_config_static_selectorELNS0_4arch9wavefront6targetE0EEEvT1_.private_seg_size, 0
	.set _ZN7rocprim17ROCPRIM_400000_NS6detail17trampoline_kernelINS0_14default_configENS1_27scan_by_key_config_selectorIiiEEZZNS1_16scan_by_key_implILNS1_25lookback_scan_determinismE0ELb1ES3_N6thrust23THRUST_200600_302600_NS10device_ptrIiEESB_SB_iNS9_4plusIvEENS9_8equal_toIvEEiEE10hipError_tPvRmT2_T3_T4_T5_mT6_T7_P12ihipStream_tbENKUlT_T0_E_clISt17integral_constantIbLb0EESV_IbLb1EEEEDaSR_SS_EUlSR_E_NS1_11comp_targetILNS1_3genE8ELNS1_11target_archE1030ELNS1_3gpuE2ELNS1_3repE0EEENS1_30default_config_static_selectorELNS0_4arch9wavefront6targetE0EEEvT1_.uses_vcc, 0
	.set _ZN7rocprim17ROCPRIM_400000_NS6detail17trampoline_kernelINS0_14default_configENS1_27scan_by_key_config_selectorIiiEEZZNS1_16scan_by_key_implILNS1_25lookback_scan_determinismE0ELb1ES3_N6thrust23THRUST_200600_302600_NS10device_ptrIiEESB_SB_iNS9_4plusIvEENS9_8equal_toIvEEiEE10hipError_tPvRmT2_T3_T4_T5_mT6_T7_P12ihipStream_tbENKUlT_T0_E_clISt17integral_constantIbLb0EESV_IbLb1EEEEDaSR_SS_EUlSR_E_NS1_11comp_targetILNS1_3genE8ELNS1_11target_archE1030ELNS1_3gpuE2ELNS1_3repE0EEENS1_30default_config_static_selectorELNS0_4arch9wavefront6targetE0EEEvT1_.uses_flat_scratch, 0
	.set _ZN7rocprim17ROCPRIM_400000_NS6detail17trampoline_kernelINS0_14default_configENS1_27scan_by_key_config_selectorIiiEEZZNS1_16scan_by_key_implILNS1_25lookback_scan_determinismE0ELb1ES3_N6thrust23THRUST_200600_302600_NS10device_ptrIiEESB_SB_iNS9_4plusIvEENS9_8equal_toIvEEiEE10hipError_tPvRmT2_T3_T4_T5_mT6_T7_P12ihipStream_tbENKUlT_T0_E_clISt17integral_constantIbLb0EESV_IbLb1EEEEDaSR_SS_EUlSR_E_NS1_11comp_targetILNS1_3genE8ELNS1_11target_archE1030ELNS1_3gpuE2ELNS1_3repE0EEENS1_30default_config_static_selectorELNS0_4arch9wavefront6targetE0EEEvT1_.has_dyn_sized_stack, 0
	.set _ZN7rocprim17ROCPRIM_400000_NS6detail17trampoline_kernelINS0_14default_configENS1_27scan_by_key_config_selectorIiiEEZZNS1_16scan_by_key_implILNS1_25lookback_scan_determinismE0ELb1ES3_N6thrust23THRUST_200600_302600_NS10device_ptrIiEESB_SB_iNS9_4plusIvEENS9_8equal_toIvEEiEE10hipError_tPvRmT2_T3_T4_T5_mT6_T7_P12ihipStream_tbENKUlT_T0_E_clISt17integral_constantIbLb0EESV_IbLb1EEEEDaSR_SS_EUlSR_E_NS1_11comp_targetILNS1_3genE8ELNS1_11target_archE1030ELNS1_3gpuE2ELNS1_3repE0EEENS1_30default_config_static_selectorELNS0_4arch9wavefront6targetE0EEEvT1_.has_recursion, 0
	.set _ZN7rocprim17ROCPRIM_400000_NS6detail17trampoline_kernelINS0_14default_configENS1_27scan_by_key_config_selectorIiiEEZZNS1_16scan_by_key_implILNS1_25lookback_scan_determinismE0ELb1ES3_N6thrust23THRUST_200600_302600_NS10device_ptrIiEESB_SB_iNS9_4plusIvEENS9_8equal_toIvEEiEE10hipError_tPvRmT2_T3_T4_T5_mT6_T7_P12ihipStream_tbENKUlT_T0_E_clISt17integral_constantIbLb0EESV_IbLb1EEEEDaSR_SS_EUlSR_E_NS1_11comp_targetILNS1_3genE8ELNS1_11target_archE1030ELNS1_3gpuE2ELNS1_3repE0EEENS1_30default_config_static_selectorELNS0_4arch9wavefront6targetE0EEEvT1_.has_indirect_call, 0
	.section	.AMDGPU.csdata,"",@progbits
; Kernel info:
; codeLenInByte = 0
; TotalNumSgprs: 0
; NumVgprs: 0
; ScratchSize: 0
; MemoryBound: 0
; FloatMode: 240
; IeeeMode: 1
; LDSByteSize: 0 bytes/workgroup (compile time only)
; SGPRBlocks: 0
; VGPRBlocks: 0
; NumSGPRsForWavesPerEU: 1
; NumVGPRsForWavesPerEU: 1
; NamedBarCnt: 0
; Occupancy: 16
; WaveLimiterHint : 0
; COMPUTE_PGM_RSRC2:SCRATCH_EN: 0
; COMPUTE_PGM_RSRC2:USER_SGPR: 2
; COMPUTE_PGM_RSRC2:TRAP_HANDLER: 0
; COMPUTE_PGM_RSRC2:TGID_X_EN: 1
; COMPUTE_PGM_RSRC2:TGID_Y_EN: 0
; COMPUTE_PGM_RSRC2:TGID_Z_EN: 0
; COMPUTE_PGM_RSRC2:TIDIG_COMP_CNT: 0
	.text
	.p2alignl 7, 3214868480
	.fill 96, 4, 3214868480
	.section	.AMDGPU.gpr_maximums,"",@progbits
	.set amdgpu.max_num_vgpr, 0
	.set amdgpu.max_num_agpr, 0
	.set amdgpu.max_num_sgpr, 0
	.text
	.type	__hip_cuid_f96509e57b09aad5,@object ; @__hip_cuid_f96509e57b09aad5
	.section	.bss,"aw",@nobits
	.globl	__hip_cuid_f96509e57b09aad5
__hip_cuid_f96509e57b09aad5:
	.byte	0                               ; 0x0
	.size	__hip_cuid_f96509e57b09aad5, 1

	.ident	"AMD clang version 22.0.0git (https://github.com/RadeonOpenCompute/llvm-project roc-7.2.4 26084 f58b06dce1f9c15707c5f808fd002e18c2accf7e)"
	.section	".note.GNU-stack","",@progbits
	.addrsig
	.addrsig_sym __hip_cuid_f96509e57b09aad5
	.amdgpu_metadata
---
amdhsa.kernels:
  - .args:
      - .offset:         0
        .size:           4
        .value_kind:     by_value
      - .address_space:  global
        .offset:         8
        .size:           8
        .value_kind:     global_buffer
      - .address_space:  global
        .offset:         16
        .size:           8
        .value_kind:     global_buffer
      - .address_space:  global
        .offset:         24
        .size:           8
        .value_kind:     global_buffer
    .group_segment_fixed_size: 0
    .kernarg_segment_align: 8
    .kernarg_segment_size: 32
    .language:       OpenCL C
    .language_version:
      - 2
      - 0
    .max_flat_workgroup_size: 256
    .name:           _Z24InclusiveScanByKeyKerneliPiS_S_
    .private_segment_fixed_size: 0
    .sgpr_count:     14
    .sgpr_spill_count: 0
    .symbol:         _Z24InclusiveScanByKeyKerneliPiS_S_.kd
    .uniform_work_group_size: 1
    .uses_dynamic_stack: false
    .vgpr_count:     5
    .vgpr_spill_count: 0
    .wavefront_size: 32
  - .args:
      - .offset:         0
        .size:           4
        .value_kind:     by_value
      - .address_space:  global
        .offset:         8
        .size:           8
        .value_kind:     global_buffer
      - .address_space:  global
        .offset:         16
        .size:           8
        .value_kind:     global_buffer
      - .address_space:  global
        .offset:         24
        .size:           8
        .value_kind:     global_buffer
    .group_segment_fixed_size: 0
    .kernarg_segment_align: 8
    .kernarg_segment_size: 32
    .language:       OpenCL C
    .language_version:
      - 2
      - 0
    .max_flat_workgroup_size: 256
    .name:           _Z24ExclusiveScanByKeyKerneliPiS_S_
    .private_segment_fixed_size: 0
    .sgpr_count:     14
    .sgpr_spill_count: 0
    .symbol:         _Z24ExclusiveScanByKeyKerneliPiS_S_.kd
    .uniform_work_group_size: 1
    .uses_dynamic_stack: false
    .vgpr_count:     6
    .vgpr_spill_count: 0
    .wavefront_size: 32
  - .args:
      - .offset:         0
        .size:           16
        .value_kind:     by_value
      - .offset:         16
        .size:           8
        .value_kind:     by_value
      - .offset:         24
        .size:           8
        .value_kind:     by_value
    .group_segment_fixed_size: 0
    .kernarg_segment_align: 8
    .kernarg_segment_size: 32
    .language:       OpenCL C
    .language_version:
      - 2
      - 0
    .max_flat_workgroup_size: 256
    .name:           _ZN6thrust23THRUST_200600_302600_NS11hip_rocprim14__parallel_for6kernelILj256ENS1_20__uninitialized_fill7functorINS0_10device_ptrIxEExEEmLj1EEEvT0_T1_SA_
    .private_segment_fixed_size: 0
    .sgpr_count:     14
    .sgpr_spill_count: 0
    .symbol:         _ZN6thrust23THRUST_200600_302600_NS11hip_rocprim14__parallel_for6kernelILj256ENS1_20__uninitialized_fill7functorINS0_10device_ptrIxEExEEmLj1EEEvT0_T1_SA_.kd
    .uniform_work_group_size: 1
    .uses_dynamic_stack: false
    .vgpr_count:     4
    .vgpr_spill_count: 0
    .wavefront_size: 32
  - .args:
      - .offset:         0
        .size:           24
        .value_kind:     by_value
      - .offset:         24
        .size:           4
        .value_kind:     by_value
      - .offset:         28
        .size:           4
        .value_kind:     by_value
      - .address_space:  global
        .offset:         32
        .size:           8
        .value_kind:     global_buffer
      - .address_space:  global
        .offset:         40
        .size:           8
        .value_kind:     global_buffer
      - .actual_access:  write_only
        .address_space:  global
        .offset:         48
        .size:           8
        .value_kind:     global_buffer
      - .offset:         56
        .size:           8
        .value_kind:     by_value
      - .offset:         64
        .size:           4
        .value_kind:     by_value
      - .offset:         68
        .size:           1
        .value_kind:     by_value
      - .offset:         72
        .size:           4
        .value_kind:     hidden_block_count_x
      - .offset:         76
        .size:           4
        .value_kind:     hidden_block_count_y
      - .offset:         80
        .size:           4
        .value_kind:     hidden_block_count_z
      - .offset:         84
        .size:           2
        .value_kind:     hidden_group_size_x
      - .offset:         86
        .size:           2
        .value_kind:     hidden_group_size_y
      - .offset:         88
        .size:           2
        .value_kind:     hidden_group_size_z
      - .offset:         90
        .size:           2
        .value_kind:     hidden_remainder_x
      - .offset:         92
        .size:           2
        .value_kind:     hidden_remainder_y
      - .offset:         94
        .size:           2
        .value_kind:     hidden_remainder_z
      - .offset:         112
        .size:           8
        .value_kind:     hidden_global_offset_x
      - .offset:         120
        .size:           8
        .value_kind:     hidden_global_offset_y
      - .offset:         128
        .size:           8
        .value_kind:     hidden_global_offset_z
      - .offset:         136
        .size:           2
        .value_kind:     hidden_grid_dims
    .group_segment_fixed_size: 0
    .kernarg_segment_align: 8
    .kernarg_segment_size: 328
    .language:       OpenCL C
    .language_version:
      - 2
      - 0
    .max_flat_workgroup_size: 256
    .name:           _ZN7rocprim17ROCPRIM_400000_NS6detail30init_device_scan_by_key_kernelINS1_19lookback_scan_stateINS0_5tupleIJxbEEELb0ELb0EEEN6thrust23THRUST_200600_302600_NS6detail15normal_iteratorINS8_10device_ptrIxEEEEjNS1_16block_id_wrapperIjLb0EEEEEvT_jjPNSG_10value_typeET0_PNSt15iterator_traitsISJ_E10value_typeEmT1_T2_
    .private_segment_fixed_size: 0
    .sgpr_count:     23
    .sgpr_spill_count: 0
    .symbol:         _ZN7rocprim17ROCPRIM_400000_NS6detail30init_device_scan_by_key_kernelINS1_19lookback_scan_stateINS0_5tupleIJxbEEELb0ELb0EEEN6thrust23THRUST_200600_302600_NS6detail15normal_iteratorINS8_10device_ptrIxEEEEjNS1_16block_id_wrapperIjLb0EEEEEvT_jjPNSG_10value_typeET0_PNSt15iterator_traitsISJ_E10value_typeEmT1_T2_.kd
    .uniform_work_group_size: 1
    .uses_dynamic_stack: false
    .vgpr_count:     8
    .vgpr_spill_count: 0
    .wavefront_size: 32
  - .args:
      - .offset:         0
        .size:           24
        .value_kind:     by_value
      - .offset:         24
        .size:           4
        .value_kind:     by_value
      - .offset:         28
        .size:           4
        .value_kind:     by_value
      - .address_space:  global
        .offset:         32
        .size:           8
        .value_kind:     global_buffer
      - .offset:         40
        .size:           1
        .value_kind:     by_value
      - .offset:         48
        .size:           4
        .value_kind:     hidden_block_count_x
      - .offset:         52
        .size:           4
        .value_kind:     hidden_block_count_y
      - .offset:         56
        .size:           4
        .value_kind:     hidden_block_count_z
      - .offset:         60
        .size:           2
        .value_kind:     hidden_group_size_x
      - .offset:         62
        .size:           2
        .value_kind:     hidden_group_size_y
      - .offset:         64
        .size:           2
        .value_kind:     hidden_group_size_z
      - .offset:         66
        .size:           2
        .value_kind:     hidden_remainder_x
      - .offset:         68
        .size:           2
        .value_kind:     hidden_remainder_y
      - .offset:         70
        .size:           2
        .value_kind:     hidden_remainder_z
      - .offset:         88
        .size:           8
        .value_kind:     hidden_global_offset_x
      - .offset:         96
        .size:           8
        .value_kind:     hidden_global_offset_y
      - .offset:         104
        .size:           8
        .value_kind:     hidden_global_offset_z
      - .offset:         112
        .size:           2
        .value_kind:     hidden_grid_dims
    .group_segment_fixed_size: 0
    .kernarg_segment_align: 8
    .kernarg_segment_size: 304
    .language:       OpenCL C
    .language_version:
      - 2
      - 0
    .max_flat_workgroup_size: 256
    .name:           _ZN7rocprim17ROCPRIM_400000_NS6detail30init_device_scan_by_key_kernelINS1_19lookback_scan_stateINS0_5tupleIJxbEEELb0ELb0EEENS1_16block_id_wrapperIjLb0EEEEEvT_jjPNS9_10value_typeET0_
    .private_segment_fixed_size: 0
    .sgpr_count:     17
    .sgpr_spill_count: 0
    .symbol:         _ZN7rocprim17ROCPRIM_400000_NS6detail30init_device_scan_by_key_kernelINS1_19lookback_scan_stateINS0_5tupleIJxbEEELb0ELb0EEENS1_16block_id_wrapperIjLb0EEEEEvT_jjPNS9_10value_typeET0_.kd
    .uniform_work_group_size: 1
    .uses_dynamic_stack: false
    .vgpr_count:     5
    .vgpr_spill_count: 0
    .wavefront_size: 32
  - .args:
      - .offset:         0
        .size:           136
        .value_kind:     by_value
    .group_segment_fixed_size: 32768
    .kernarg_segment_align: 8
    .kernarg_segment_size: 136
    .language:       OpenCL C
    .language_version:
      - 2
      - 0
    .max_flat_workgroup_size: 256
    .name:           _ZN7rocprim17ROCPRIM_400000_NS6detail17trampoline_kernelINS0_14default_configENS1_27scan_by_key_config_selectorIxxEEZZNS1_16scan_by_key_implILNS1_25lookback_scan_determinismE0ELb0ES3_N6thrust23THRUST_200600_302600_NS6detail15normal_iteratorINS9_10device_ptrIxEEEESE_SE_xNS9_4plusIvEENS9_8equal_toIvEExEE10hipError_tPvRmT2_T3_T4_T5_mT6_T7_P12ihipStream_tbENKUlT_T0_E_clISt17integral_constantIbLb0EESZ_EEDaSU_SV_EUlSU_E_NS1_11comp_targetILNS1_3genE0ELNS1_11target_archE4294967295ELNS1_3gpuE0ELNS1_3repE0EEENS1_30default_config_static_selectorELNS0_4arch9wavefront6targetE0EEEvT1_
    .private_segment_fixed_size: 0
    .sgpr_count:     54
    .sgpr_spill_count: 0
    .symbol:         _ZN7rocprim17ROCPRIM_400000_NS6detail17trampoline_kernelINS0_14default_configENS1_27scan_by_key_config_selectorIxxEEZZNS1_16scan_by_key_implILNS1_25lookback_scan_determinismE0ELb0ES3_N6thrust23THRUST_200600_302600_NS6detail15normal_iteratorINS9_10device_ptrIxEEEESE_SE_xNS9_4plusIvEENS9_8equal_toIvEExEE10hipError_tPvRmT2_T3_T4_T5_mT6_T7_P12ihipStream_tbENKUlT_T0_E_clISt17integral_constantIbLb0EESZ_EEDaSU_SV_EUlSU_E_NS1_11comp_targetILNS1_3genE0ELNS1_11target_archE4294967295ELNS1_3gpuE0ELNS1_3repE0EEENS1_30default_config_static_selectorELNS0_4arch9wavefront6targetE0EEEvT1_.kd
    .uniform_work_group_size: 1
    .uses_dynamic_stack: false
    .vgpr_count:     111
    .vgpr_spill_count: 0
    .wavefront_size: 32
  - .args:
      - .offset:         0
        .size:           136
        .value_kind:     by_value
    .group_segment_fixed_size: 0
    .kernarg_segment_align: 8
    .kernarg_segment_size: 136
    .language:       OpenCL C
    .language_version:
      - 2
      - 0
    .max_flat_workgroup_size: 256
    .name:           _ZN7rocprim17ROCPRIM_400000_NS6detail17trampoline_kernelINS0_14default_configENS1_27scan_by_key_config_selectorIxxEEZZNS1_16scan_by_key_implILNS1_25lookback_scan_determinismE0ELb0ES3_N6thrust23THRUST_200600_302600_NS6detail15normal_iteratorINS9_10device_ptrIxEEEESE_SE_xNS9_4plusIvEENS9_8equal_toIvEExEE10hipError_tPvRmT2_T3_T4_T5_mT6_T7_P12ihipStream_tbENKUlT_T0_E_clISt17integral_constantIbLb0EESZ_EEDaSU_SV_EUlSU_E_NS1_11comp_targetILNS1_3genE10ELNS1_11target_archE1201ELNS1_3gpuE5ELNS1_3repE0EEENS1_30default_config_static_selectorELNS0_4arch9wavefront6targetE0EEEvT1_
    .private_segment_fixed_size: 0
    .sgpr_count:     0
    .sgpr_spill_count: 0
    .symbol:         _ZN7rocprim17ROCPRIM_400000_NS6detail17trampoline_kernelINS0_14default_configENS1_27scan_by_key_config_selectorIxxEEZZNS1_16scan_by_key_implILNS1_25lookback_scan_determinismE0ELb0ES3_N6thrust23THRUST_200600_302600_NS6detail15normal_iteratorINS9_10device_ptrIxEEEESE_SE_xNS9_4plusIvEENS9_8equal_toIvEExEE10hipError_tPvRmT2_T3_T4_T5_mT6_T7_P12ihipStream_tbENKUlT_T0_E_clISt17integral_constantIbLb0EESZ_EEDaSU_SV_EUlSU_E_NS1_11comp_targetILNS1_3genE10ELNS1_11target_archE1201ELNS1_3gpuE5ELNS1_3repE0EEENS1_30default_config_static_selectorELNS0_4arch9wavefront6targetE0EEEvT1_.kd
    .uniform_work_group_size: 1
    .uses_dynamic_stack: false
    .vgpr_count:     0
    .vgpr_spill_count: 0
    .wavefront_size: 32
  - .args:
      - .offset:         0
        .size:           136
        .value_kind:     by_value
    .group_segment_fixed_size: 0
    .kernarg_segment_align: 8
    .kernarg_segment_size: 136
    .language:       OpenCL C
    .language_version:
      - 2
      - 0
    .max_flat_workgroup_size: 256
    .name:           _ZN7rocprim17ROCPRIM_400000_NS6detail17trampoline_kernelINS0_14default_configENS1_27scan_by_key_config_selectorIxxEEZZNS1_16scan_by_key_implILNS1_25lookback_scan_determinismE0ELb0ES3_N6thrust23THRUST_200600_302600_NS6detail15normal_iteratorINS9_10device_ptrIxEEEESE_SE_xNS9_4plusIvEENS9_8equal_toIvEExEE10hipError_tPvRmT2_T3_T4_T5_mT6_T7_P12ihipStream_tbENKUlT_T0_E_clISt17integral_constantIbLb0EESZ_EEDaSU_SV_EUlSU_E_NS1_11comp_targetILNS1_3genE5ELNS1_11target_archE942ELNS1_3gpuE9ELNS1_3repE0EEENS1_30default_config_static_selectorELNS0_4arch9wavefront6targetE0EEEvT1_
    .private_segment_fixed_size: 0
    .sgpr_count:     0
    .sgpr_spill_count: 0
    .symbol:         _ZN7rocprim17ROCPRIM_400000_NS6detail17trampoline_kernelINS0_14default_configENS1_27scan_by_key_config_selectorIxxEEZZNS1_16scan_by_key_implILNS1_25lookback_scan_determinismE0ELb0ES3_N6thrust23THRUST_200600_302600_NS6detail15normal_iteratorINS9_10device_ptrIxEEEESE_SE_xNS9_4plusIvEENS9_8equal_toIvEExEE10hipError_tPvRmT2_T3_T4_T5_mT6_T7_P12ihipStream_tbENKUlT_T0_E_clISt17integral_constantIbLb0EESZ_EEDaSU_SV_EUlSU_E_NS1_11comp_targetILNS1_3genE5ELNS1_11target_archE942ELNS1_3gpuE9ELNS1_3repE0EEENS1_30default_config_static_selectorELNS0_4arch9wavefront6targetE0EEEvT1_.kd
    .uniform_work_group_size: 1
    .uses_dynamic_stack: false
    .vgpr_count:     0
    .vgpr_spill_count: 0
    .wavefront_size: 32
  - .args:
      - .offset:         0
        .size:           136
        .value_kind:     by_value
    .group_segment_fixed_size: 0
    .kernarg_segment_align: 8
    .kernarg_segment_size: 136
    .language:       OpenCL C
    .language_version:
      - 2
      - 0
    .max_flat_workgroup_size: 64
    .name:           _ZN7rocprim17ROCPRIM_400000_NS6detail17trampoline_kernelINS0_14default_configENS1_27scan_by_key_config_selectorIxxEEZZNS1_16scan_by_key_implILNS1_25lookback_scan_determinismE0ELb0ES3_N6thrust23THRUST_200600_302600_NS6detail15normal_iteratorINS9_10device_ptrIxEEEESE_SE_xNS9_4plusIvEENS9_8equal_toIvEExEE10hipError_tPvRmT2_T3_T4_T5_mT6_T7_P12ihipStream_tbENKUlT_T0_E_clISt17integral_constantIbLb0EESZ_EEDaSU_SV_EUlSU_E_NS1_11comp_targetILNS1_3genE4ELNS1_11target_archE910ELNS1_3gpuE8ELNS1_3repE0EEENS1_30default_config_static_selectorELNS0_4arch9wavefront6targetE0EEEvT1_
    .private_segment_fixed_size: 0
    .sgpr_count:     0
    .sgpr_spill_count: 0
    .symbol:         _ZN7rocprim17ROCPRIM_400000_NS6detail17trampoline_kernelINS0_14default_configENS1_27scan_by_key_config_selectorIxxEEZZNS1_16scan_by_key_implILNS1_25lookback_scan_determinismE0ELb0ES3_N6thrust23THRUST_200600_302600_NS6detail15normal_iteratorINS9_10device_ptrIxEEEESE_SE_xNS9_4plusIvEENS9_8equal_toIvEExEE10hipError_tPvRmT2_T3_T4_T5_mT6_T7_P12ihipStream_tbENKUlT_T0_E_clISt17integral_constantIbLb0EESZ_EEDaSU_SV_EUlSU_E_NS1_11comp_targetILNS1_3genE4ELNS1_11target_archE910ELNS1_3gpuE8ELNS1_3repE0EEENS1_30default_config_static_selectorELNS0_4arch9wavefront6targetE0EEEvT1_.kd
    .uniform_work_group_size: 1
    .uses_dynamic_stack: false
    .vgpr_count:     0
    .vgpr_spill_count: 0
    .wavefront_size: 32
  - .args:
      - .offset:         0
        .size:           136
        .value_kind:     by_value
    .group_segment_fixed_size: 0
    .kernarg_segment_align: 8
    .kernarg_segment_size: 136
    .language:       OpenCL C
    .language_version:
      - 2
      - 0
    .max_flat_workgroup_size: 256
    .name:           _ZN7rocprim17ROCPRIM_400000_NS6detail17trampoline_kernelINS0_14default_configENS1_27scan_by_key_config_selectorIxxEEZZNS1_16scan_by_key_implILNS1_25lookback_scan_determinismE0ELb0ES3_N6thrust23THRUST_200600_302600_NS6detail15normal_iteratorINS9_10device_ptrIxEEEESE_SE_xNS9_4plusIvEENS9_8equal_toIvEExEE10hipError_tPvRmT2_T3_T4_T5_mT6_T7_P12ihipStream_tbENKUlT_T0_E_clISt17integral_constantIbLb0EESZ_EEDaSU_SV_EUlSU_E_NS1_11comp_targetILNS1_3genE3ELNS1_11target_archE908ELNS1_3gpuE7ELNS1_3repE0EEENS1_30default_config_static_selectorELNS0_4arch9wavefront6targetE0EEEvT1_
    .private_segment_fixed_size: 0
    .sgpr_count:     0
    .sgpr_spill_count: 0
    .symbol:         _ZN7rocprim17ROCPRIM_400000_NS6detail17trampoline_kernelINS0_14default_configENS1_27scan_by_key_config_selectorIxxEEZZNS1_16scan_by_key_implILNS1_25lookback_scan_determinismE0ELb0ES3_N6thrust23THRUST_200600_302600_NS6detail15normal_iteratorINS9_10device_ptrIxEEEESE_SE_xNS9_4plusIvEENS9_8equal_toIvEExEE10hipError_tPvRmT2_T3_T4_T5_mT6_T7_P12ihipStream_tbENKUlT_T0_E_clISt17integral_constantIbLb0EESZ_EEDaSU_SV_EUlSU_E_NS1_11comp_targetILNS1_3genE3ELNS1_11target_archE908ELNS1_3gpuE7ELNS1_3repE0EEENS1_30default_config_static_selectorELNS0_4arch9wavefront6targetE0EEEvT1_.kd
    .uniform_work_group_size: 1
    .uses_dynamic_stack: false
    .vgpr_count:     0
    .vgpr_spill_count: 0
    .wavefront_size: 32
  - .args:
      - .offset:         0
        .size:           136
        .value_kind:     by_value
    .group_segment_fixed_size: 0
    .kernarg_segment_align: 8
    .kernarg_segment_size: 136
    .language:       OpenCL C
    .language_version:
      - 2
      - 0
    .max_flat_workgroup_size: 256
    .name:           _ZN7rocprim17ROCPRIM_400000_NS6detail17trampoline_kernelINS0_14default_configENS1_27scan_by_key_config_selectorIxxEEZZNS1_16scan_by_key_implILNS1_25lookback_scan_determinismE0ELb0ES3_N6thrust23THRUST_200600_302600_NS6detail15normal_iteratorINS9_10device_ptrIxEEEESE_SE_xNS9_4plusIvEENS9_8equal_toIvEExEE10hipError_tPvRmT2_T3_T4_T5_mT6_T7_P12ihipStream_tbENKUlT_T0_E_clISt17integral_constantIbLb0EESZ_EEDaSU_SV_EUlSU_E_NS1_11comp_targetILNS1_3genE2ELNS1_11target_archE906ELNS1_3gpuE6ELNS1_3repE0EEENS1_30default_config_static_selectorELNS0_4arch9wavefront6targetE0EEEvT1_
    .private_segment_fixed_size: 0
    .sgpr_count:     0
    .sgpr_spill_count: 0
    .symbol:         _ZN7rocprim17ROCPRIM_400000_NS6detail17trampoline_kernelINS0_14default_configENS1_27scan_by_key_config_selectorIxxEEZZNS1_16scan_by_key_implILNS1_25lookback_scan_determinismE0ELb0ES3_N6thrust23THRUST_200600_302600_NS6detail15normal_iteratorINS9_10device_ptrIxEEEESE_SE_xNS9_4plusIvEENS9_8equal_toIvEExEE10hipError_tPvRmT2_T3_T4_T5_mT6_T7_P12ihipStream_tbENKUlT_T0_E_clISt17integral_constantIbLb0EESZ_EEDaSU_SV_EUlSU_E_NS1_11comp_targetILNS1_3genE2ELNS1_11target_archE906ELNS1_3gpuE6ELNS1_3repE0EEENS1_30default_config_static_selectorELNS0_4arch9wavefront6targetE0EEEvT1_.kd
    .uniform_work_group_size: 1
    .uses_dynamic_stack: false
    .vgpr_count:     0
    .vgpr_spill_count: 0
    .wavefront_size: 32
  - .args:
      - .offset:         0
        .size:           136
        .value_kind:     by_value
    .group_segment_fixed_size: 0
    .kernarg_segment_align: 8
    .kernarg_segment_size: 136
    .language:       OpenCL C
    .language_version:
      - 2
      - 0
    .max_flat_workgroup_size: 256
    .name:           _ZN7rocprim17ROCPRIM_400000_NS6detail17trampoline_kernelINS0_14default_configENS1_27scan_by_key_config_selectorIxxEEZZNS1_16scan_by_key_implILNS1_25lookback_scan_determinismE0ELb0ES3_N6thrust23THRUST_200600_302600_NS6detail15normal_iteratorINS9_10device_ptrIxEEEESE_SE_xNS9_4plusIvEENS9_8equal_toIvEExEE10hipError_tPvRmT2_T3_T4_T5_mT6_T7_P12ihipStream_tbENKUlT_T0_E_clISt17integral_constantIbLb0EESZ_EEDaSU_SV_EUlSU_E_NS1_11comp_targetILNS1_3genE10ELNS1_11target_archE1200ELNS1_3gpuE4ELNS1_3repE0EEENS1_30default_config_static_selectorELNS0_4arch9wavefront6targetE0EEEvT1_
    .private_segment_fixed_size: 0
    .sgpr_count:     0
    .sgpr_spill_count: 0
    .symbol:         _ZN7rocprim17ROCPRIM_400000_NS6detail17trampoline_kernelINS0_14default_configENS1_27scan_by_key_config_selectorIxxEEZZNS1_16scan_by_key_implILNS1_25lookback_scan_determinismE0ELb0ES3_N6thrust23THRUST_200600_302600_NS6detail15normal_iteratorINS9_10device_ptrIxEEEESE_SE_xNS9_4plusIvEENS9_8equal_toIvEExEE10hipError_tPvRmT2_T3_T4_T5_mT6_T7_P12ihipStream_tbENKUlT_T0_E_clISt17integral_constantIbLb0EESZ_EEDaSU_SV_EUlSU_E_NS1_11comp_targetILNS1_3genE10ELNS1_11target_archE1200ELNS1_3gpuE4ELNS1_3repE0EEENS1_30default_config_static_selectorELNS0_4arch9wavefront6targetE0EEEvT1_.kd
    .uniform_work_group_size: 1
    .uses_dynamic_stack: false
    .vgpr_count:     0
    .vgpr_spill_count: 0
    .wavefront_size: 32
  - .args:
      - .offset:         0
        .size:           136
        .value_kind:     by_value
    .group_segment_fixed_size: 0
    .kernarg_segment_align: 8
    .kernarg_segment_size: 136
    .language:       OpenCL C
    .language_version:
      - 2
      - 0
    .max_flat_workgroup_size: 256
    .name:           _ZN7rocprim17ROCPRIM_400000_NS6detail17trampoline_kernelINS0_14default_configENS1_27scan_by_key_config_selectorIxxEEZZNS1_16scan_by_key_implILNS1_25lookback_scan_determinismE0ELb0ES3_N6thrust23THRUST_200600_302600_NS6detail15normal_iteratorINS9_10device_ptrIxEEEESE_SE_xNS9_4plusIvEENS9_8equal_toIvEExEE10hipError_tPvRmT2_T3_T4_T5_mT6_T7_P12ihipStream_tbENKUlT_T0_E_clISt17integral_constantIbLb0EESZ_EEDaSU_SV_EUlSU_E_NS1_11comp_targetILNS1_3genE9ELNS1_11target_archE1100ELNS1_3gpuE3ELNS1_3repE0EEENS1_30default_config_static_selectorELNS0_4arch9wavefront6targetE0EEEvT1_
    .private_segment_fixed_size: 0
    .sgpr_count:     0
    .sgpr_spill_count: 0
    .symbol:         _ZN7rocprim17ROCPRIM_400000_NS6detail17trampoline_kernelINS0_14default_configENS1_27scan_by_key_config_selectorIxxEEZZNS1_16scan_by_key_implILNS1_25lookback_scan_determinismE0ELb0ES3_N6thrust23THRUST_200600_302600_NS6detail15normal_iteratorINS9_10device_ptrIxEEEESE_SE_xNS9_4plusIvEENS9_8equal_toIvEExEE10hipError_tPvRmT2_T3_T4_T5_mT6_T7_P12ihipStream_tbENKUlT_T0_E_clISt17integral_constantIbLb0EESZ_EEDaSU_SV_EUlSU_E_NS1_11comp_targetILNS1_3genE9ELNS1_11target_archE1100ELNS1_3gpuE3ELNS1_3repE0EEENS1_30default_config_static_selectorELNS0_4arch9wavefront6targetE0EEEvT1_.kd
    .uniform_work_group_size: 1
    .uses_dynamic_stack: false
    .vgpr_count:     0
    .vgpr_spill_count: 0
    .wavefront_size: 32
  - .args:
      - .offset:         0
        .size:           136
        .value_kind:     by_value
    .group_segment_fixed_size: 0
    .kernarg_segment_align: 8
    .kernarg_segment_size: 136
    .language:       OpenCL C
    .language_version:
      - 2
      - 0
    .max_flat_workgroup_size: 256
    .name:           _ZN7rocprim17ROCPRIM_400000_NS6detail17trampoline_kernelINS0_14default_configENS1_27scan_by_key_config_selectorIxxEEZZNS1_16scan_by_key_implILNS1_25lookback_scan_determinismE0ELb0ES3_N6thrust23THRUST_200600_302600_NS6detail15normal_iteratorINS9_10device_ptrIxEEEESE_SE_xNS9_4plusIvEENS9_8equal_toIvEExEE10hipError_tPvRmT2_T3_T4_T5_mT6_T7_P12ihipStream_tbENKUlT_T0_E_clISt17integral_constantIbLb0EESZ_EEDaSU_SV_EUlSU_E_NS1_11comp_targetILNS1_3genE8ELNS1_11target_archE1030ELNS1_3gpuE2ELNS1_3repE0EEENS1_30default_config_static_selectorELNS0_4arch9wavefront6targetE0EEEvT1_
    .private_segment_fixed_size: 0
    .sgpr_count:     0
    .sgpr_spill_count: 0
    .symbol:         _ZN7rocprim17ROCPRIM_400000_NS6detail17trampoline_kernelINS0_14default_configENS1_27scan_by_key_config_selectorIxxEEZZNS1_16scan_by_key_implILNS1_25lookback_scan_determinismE0ELb0ES3_N6thrust23THRUST_200600_302600_NS6detail15normal_iteratorINS9_10device_ptrIxEEEESE_SE_xNS9_4plusIvEENS9_8equal_toIvEExEE10hipError_tPvRmT2_T3_T4_T5_mT6_T7_P12ihipStream_tbENKUlT_T0_E_clISt17integral_constantIbLb0EESZ_EEDaSU_SV_EUlSU_E_NS1_11comp_targetILNS1_3genE8ELNS1_11target_archE1030ELNS1_3gpuE2ELNS1_3repE0EEENS1_30default_config_static_selectorELNS0_4arch9wavefront6targetE0EEEvT1_.kd
    .uniform_work_group_size: 1
    .uses_dynamic_stack: false
    .vgpr_count:     0
    .vgpr_spill_count: 0
    .wavefront_size: 32
  - .args:
      - .offset:         0
        .size:           24
        .value_kind:     by_value
      - .offset:         24
        .size:           4
        .value_kind:     by_value
      - .offset:         28
        .size:           4
        .value_kind:     by_value
      - .address_space:  global
        .offset:         32
        .size:           8
        .value_kind:     global_buffer
      - .address_space:  global
        .offset:         40
        .size:           8
        .value_kind:     global_buffer
      - .actual_access:  write_only
        .address_space:  global
        .offset:         48
        .size:           8
        .value_kind:     global_buffer
      - .offset:         56
        .size:           8
        .value_kind:     by_value
      - .offset:         64
        .size:           4
        .value_kind:     by_value
      - .address_space:  global
        .offset:         72
        .size:           8
        .value_kind:     global_buffer
      - .offset:         80
        .size:           4
        .value_kind:     hidden_block_count_x
      - .offset:         84
        .size:           4
        .value_kind:     hidden_block_count_y
      - .offset:         88
        .size:           4
        .value_kind:     hidden_block_count_z
      - .offset:         92
        .size:           2
        .value_kind:     hidden_group_size_x
      - .offset:         94
        .size:           2
        .value_kind:     hidden_group_size_y
      - .offset:         96
        .size:           2
        .value_kind:     hidden_group_size_z
      - .offset:         98
        .size:           2
        .value_kind:     hidden_remainder_x
      - .offset:         100
        .size:           2
        .value_kind:     hidden_remainder_y
      - .offset:         102
        .size:           2
        .value_kind:     hidden_remainder_z
      - .offset:         120
        .size:           8
        .value_kind:     hidden_global_offset_x
      - .offset:         128
        .size:           8
        .value_kind:     hidden_global_offset_y
      - .offset:         136
        .size:           8
        .value_kind:     hidden_global_offset_z
      - .offset:         144
        .size:           2
        .value_kind:     hidden_grid_dims
    .group_segment_fixed_size: 0
    .kernarg_segment_align: 8
    .kernarg_segment_size: 336
    .language:       OpenCL C
    .language_version:
      - 2
      - 0
    .max_flat_workgroup_size: 256
    .name:           _ZN7rocprim17ROCPRIM_400000_NS6detail30init_device_scan_by_key_kernelINS1_19lookback_scan_stateINS0_5tupleIJxbEEELb1ELb0EEEN6thrust23THRUST_200600_302600_NS6detail15normal_iteratorINS8_10device_ptrIxEEEEjNS1_16block_id_wrapperIjLb1EEEEEvT_jjPNSG_10value_typeET0_PNSt15iterator_traitsISJ_E10value_typeEmT1_T2_
    .private_segment_fixed_size: 0
    .sgpr_count:     24
    .sgpr_spill_count: 0
    .symbol:         _ZN7rocprim17ROCPRIM_400000_NS6detail30init_device_scan_by_key_kernelINS1_19lookback_scan_stateINS0_5tupleIJxbEEELb1ELb0EEEN6thrust23THRUST_200600_302600_NS6detail15normal_iteratorINS8_10device_ptrIxEEEEjNS1_16block_id_wrapperIjLb1EEEEEvT_jjPNSG_10value_typeET0_PNSt15iterator_traitsISJ_E10value_typeEmT1_T2_.kd
    .uniform_work_group_size: 1
    .uses_dynamic_stack: false
    .vgpr_count:     8
    .vgpr_spill_count: 0
    .wavefront_size: 32
  - .args:
      - .offset:         0
        .size:           24
        .value_kind:     by_value
      - .offset:         24
        .size:           4
        .value_kind:     by_value
      - .offset:         28
        .size:           4
        .value_kind:     by_value
      - .address_space:  global
        .offset:         32
        .size:           8
        .value_kind:     global_buffer
      - .address_space:  global
        .offset:         40
        .size:           8
        .value_kind:     global_buffer
      - .offset:         48
        .size:           4
        .value_kind:     hidden_block_count_x
      - .offset:         52
        .size:           4
        .value_kind:     hidden_block_count_y
      - .offset:         56
        .size:           4
        .value_kind:     hidden_block_count_z
      - .offset:         60
        .size:           2
        .value_kind:     hidden_group_size_x
      - .offset:         62
        .size:           2
        .value_kind:     hidden_group_size_y
      - .offset:         64
        .size:           2
        .value_kind:     hidden_group_size_z
      - .offset:         66
        .size:           2
        .value_kind:     hidden_remainder_x
      - .offset:         68
        .size:           2
        .value_kind:     hidden_remainder_y
      - .offset:         70
        .size:           2
        .value_kind:     hidden_remainder_z
      - .offset:         88
        .size:           8
        .value_kind:     hidden_global_offset_x
      - .offset:         96
        .size:           8
        .value_kind:     hidden_global_offset_y
      - .offset:         104
        .size:           8
        .value_kind:     hidden_global_offset_z
      - .offset:         112
        .size:           2
        .value_kind:     hidden_grid_dims
    .group_segment_fixed_size: 0
    .kernarg_segment_align: 8
    .kernarg_segment_size: 304
    .language:       OpenCL C
    .language_version:
      - 2
      - 0
    .max_flat_workgroup_size: 256
    .name:           _ZN7rocprim17ROCPRIM_400000_NS6detail30init_device_scan_by_key_kernelINS1_19lookback_scan_stateINS0_5tupleIJxbEEELb1ELb0EEENS1_16block_id_wrapperIjLb1EEEEEvT_jjPNS9_10value_typeET0_
    .private_segment_fixed_size: 0
    .sgpr_count:     20
    .sgpr_spill_count: 0
    .symbol:         _ZN7rocprim17ROCPRIM_400000_NS6detail30init_device_scan_by_key_kernelINS1_19lookback_scan_stateINS0_5tupleIJxbEEELb1ELb0EEENS1_16block_id_wrapperIjLb1EEEEEvT_jjPNS9_10value_typeET0_.kd
    .uniform_work_group_size: 1
    .uses_dynamic_stack: false
    .vgpr_count:     5
    .vgpr_spill_count: 0
    .wavefront_size: 32
  - .args:
      - .offset:         0
        .size:           136
        .value_kind:     by_value
    .group_segment_fixed_size: 0
    .kernarg_segment_align: 8
    .kernarg_segment_size: 136
    .language:       OpenCL C
    .language_version:
      - 2
      - 0
    .max_flat_workgroup_size: 256
    .name:           _ZN7rocprim17ROCPRIM_400000_NS6detail17trampoline_kernelINS0_14default_configENS1_27scan_by_key_config_selectorIxxEEZZNS1_16scan_by_key_implILNS1_25lookback_scan_determinismE0ELb0ES3_N6thrust23THRUST_200600_302600_NS6detail15normal_iteratorINS9_10device_ptrIxEEEESE_SE_xNS9_4plusIvEENS9_8equal_toIvEExEE10hipError_tPvRmT2_T3_T4_T5_mT6_T7_P12ihipStream_tbENKUlT_T0_E_clISt17integral_constantIbLb1EESZ_EEDaSU_SV_EUlSU_E_NS1_11comp_targetILNS1_3genE0ELNS1_11target_archE4294967295ELNS1_3gpuE0ELNS1_3repE0EEENS1_30default_config_static_selectorELNS0_4arch9wavefront6targetE0EEEvT1_
    .private_segment_fixed_size: 0
    .sgpr_count:     0
    .sgpr_spill_count: 0
    .symbol:         _ZN7rocprim17ROCPRIM_400000_NS6detail17trampoline_kernelINS0_14default_configENS1_27scan_by_key_config_selectorIxxEEZZNS1_16scan_by_key_implILNS1_25lookback_scan_determinismE0ELb0ES3_N6thrust23THRUST_200600_302600_NS6detail15normal_iteratorINS9_10device_ptrIxEEEESE_SE_xNS9_4plusIvEENS9_8equal_toIvEExEE10hipError_tPvRmT2_T3_T4_T5_mT6_T7_P12ihipStream_tbENKUlT_T0_E_clISt17integral_constantIbLb1EESZ_EEDaSU_SV_EUlSU_E_NS1_11comp_targetILNS1_3genE0ELNS1_11target_archE4294967295ELNS1_3gpuE0ELNS1_3repE0EEENS1_30default_config_static_selectorELNS0_4arch9wavefront6targetE0EEEvT1_.kd
    .uniform_work_group_size: 1
    .uses_dynamic_stack: false
    .vgpr_count:     0
    .vgpr_spill_count: 0
    .wavefront_size: 32
  - .args:
      - .offset:         0
        .size:           136
        .value_kind:     by_value
    .group_segment_fixed_size: 0
    .kernarg_segment_align: 8
    .kernarg_segment_size: 136
    .language:       OpenCL C
    .language_version:
      - 2
      - 0
    .max_flat_workgroup_size: 256
    .name:           _ZN7rocprim17ROCPRIM_400000_NS6detail17trampoline_kernelINS0_14default_configENS1_27scan_by_key_config_selectorIxxEEZZNS1_16scan_by_key_implILNS1_25lookback_scan_determinismE0ELb0ES3_N6thrust23THRUST_200600_302600_NS6detail15normal_iteratorINS9_10device_ptrIxEEEESE_SE_xNS9_4plusIvEENS9_8equal_toIvEExEE10hipError_tPvRmT2_T3_T4_T5_mT6_T7_P12ihipStream_tbENKUlT_T0_E_clISt17integral_constantIbLb1EESZ_EEDaSU_SV_EUlSU_E_NS1_11comp_targetILNS1_3genE10ELNS1_11target_archE1201ELNS1_3gpuE5ELNS1_3repE0EEENS1_30default_config_static_selectorELNS0_4arch9wavefront6targetE0EEEvT1_
    .private_segment_fixed_size: 0
    .sgpr_count:     0
    .sgpr_spill_count: 0
    .symbol:         _ZN7rocprim17ROCPRIM_400000_NS6detail17trampoline_kernelINS0_14default_configENS1_27scan_by_key_config_selectorIxxEEZZNS1_16scan_by_key_implILNS1_25lookback_scan_determinismE0ELb0ES3_N6thrust23THRUST_200600_302600_NS6detail15normal_iteratorINS9_10device_ptrIxEEEESE_SE_xNS9_4plusIvEENS9_8equal_toIvEExEE10hipError_tPvRmT2_T3_T4_T5_mT6_T7_P12ihipStream_tbENKUlT_T0_E_clISt17integral_constantIbLb1EESZ_EEDaSU_SV_EUlSU_E_NS1_11comp_targetILNS1_3genE10ELNS1_11target_archE1201ELNS1_3gpuE5ELNS1_3repE0EEENS1_30default_config_static_selectorELNS0_4arch9wavefront6targetE0EEEvT1_.kd
    .uniform_work_group_size: 1
    .uses_dynamic_stack: false
    .vgpr_count:     0
    .vgpr_spill_count: 0
    .wavefront_size: 32
  - .args:
      - .offset:         0
        .size:           136
        .value_kind:     by_value
    .group_segment_fixed_size: 0
    .kernarg_segment_align: 8
    .kernarg_segment_size: 136
    .language:       OpenCL C
    .language_version:
      - 2
      - 0
    .max_flat_workgroup_size: 256
    .name:           _ZN7rocprim17ROCPRIM_400000_NS6detail17trampoline_kernelINS0_14default_configENS1_27scan_by_key_config_selectorIxxEEZZNS1_16scan_by_key_implILNS1_25lookback_scan_determinismE0ELb0ES3_N6thrust23THRUST_200600_302600_NS6detail15normal_iteratorINS9_10device_ptrIxEEEESE_SE_xNS9_4plusIvEENS9_8equal_toIvEExEE10hipError_tPvRmT2_T3_T4_T5_mT6_T7_P12ihipStream_tbENKUlT_T0_E_clISt17integral_constantIbLb1EESZ_EEDaSU_SV_EUlSU_E_NS1_11comp_targetILNS1_3genE5ELNS1_11target_archE942ELNS1_3gpuE9ELNS1_3repE0EEENS1_30default_config_static_selectorELNS0_4arch9wavefront6targetE0EEEvT1_
    .private_segment_fixed_size: 0
    .sgpr_count:     0
    .sgpr_spill_count: 0
    .symbol:         _ZN7rocprim17ROCPRIM_400000_NS6detail17trampoline_kernelINS0_14default_configENS1_27scan_by_key_config_selectorIxxEEZZNS1_16scan_by_key_implILNS1_25lookback_scan_determinismE0ELb0ES3_N6thrust23THRUST_200600_302600_NS6detail15normal_iteratorINS9_10device_ptrIxEEEESE_SE_xNS9_4plusIvEENS9_8equal_toIvEExEE10hipError_tPvRmT2_T3_T4_T5_mT6_T7_P12ihipStream_tbENKUlT_T0_E_clISt17integral_constantIbLb1EESZ_EEDaSU_SV_EUlSU_E_NS1_11comp_targetILNS1_3genE5ELNS1_11target_archE942ELNS1_3gpuE9ELNS1_3repE0EEENS1_30default_config_static_selectorELNS0_4arch9wavefront6targetE0EEEvT1_.kd
    .uniform_work_group_size: 1
    .uses_dynamic_stack: false
    .vgpr_count:     0
    .vgpr_spill_count: 0
    .wavefront_size: 32
  - .args:
      - .offset:         0
        .size:           136
        .value_kind:     by_value
    .group_segment_fixed_size: 0
    .kernarg_segment_align: 8
    .kernarg_segment_size: 136
    .language:       OpenCL C
    .language_version:
      - 2
      - 0
    .max_flat_workgroup_size: 64
    .name:           _ZN7rocprim17ROCPRIM_400000_NS6detail17trampoline_kernelINS0_14default_configENS1_27scan_by_key_config_selectorIxxEEZZNS1_16scan_by_key_implILNS1_25lookback_scan_determinismE0ELb0ES3_N6thrust23THRUST_200600_302600_NS6detail15normal_iteratorINS9_10device_ptrIxEEEESE_SE_xNS9_4plusIvEENS9_8equal_toIvEExEE10hipError_tPvRmT2_T3_T4_T5_mT6_T7_P12ihipStream_tbENKUlT_T0_E_clISt17integral_constantIbLb1EESZ_EEDaSU_SV_EUlSU_E_NS1_11comp_targetILNS1_3genE4ELNS1_11target_archE910ELNS1_3gpuE8ELNS1_3repE0EEENS1_30default_config_static_selectorELNS0_4arch9wavefront6targetE0EEEvT1_
    .private_segment_fixed_size: 0
    .sgpr_count:     0
    .sgpr_spill_count: 0
    .symbol:         _ZN7rocprim17ROCPRIM_400000_NS6detail17trampoline_kernelINS0_14default_configENS1_27scan_by_key_config_selectorIxxEEZZNS1_16scan_by_key_implILNS1_25lookback_scan_determinismE0ELb0ES3_N6thrust23THRUST_200600_302600_NS6detail15normal_iteratorINS9_10device_ptrIxEEEESE_SE_xNS9_4plusIvEENS9_8equal_toIvEExEE10hipError_tPvRmT2_T3_T4_T5_mT6_T7_P12ihipStream_tbENKUlT_T0_E_clISt17integral_constantIbLb1EESZ_EEDaSU_SV_EUlSU_E_NS1_11comp_targetILNS1_3genE4ELNS1_11target_archE910ELNS1_3gpuE8ELNS1_3repE0EEENS1_30default_config_static_selectorELNS0_4arch9wavefront6targetE0EEEvT1_.kd
    .uniform_work_group_size: 1
    .uses_dynamic_stack: false
    .vgpr_count:     0
    .vgpr_spill_count: 0
    .wavefront_size: 32
  - .args:
      - .offset:         0
        .size:           136
        .value_kind:     by_value
    .group_segment_fixed_size: 0
    .kernarg_segment_align: 8
    .kernarg_segment_size: 136
    .language:       OpenCL C
    .language_version:
      - 2
      - 0
    .max_flat_workgroup_size: 256
    .name:           _ZN7rocprim17ROCPRIM_400000_NS6detail17trampoline_kernelINS0_14default_configENS1_27scan_by_key_config_selectorIxxEEZZNS1_16scan_by_key_implILNS1_25lookback_scan_determinismE0ELb0ES3_N6thrust23THRUST_200600_302600_NS6detail15normal_iteratorINS9_10device_ptrIxEEEESE_SE_xNS9_4plusIvEENS9_8equal_toIvEExEE10hipError_tPvRmT2_T3_T4_T5_mT6_T7_P12ihipStream_tbENKUlT_T0_E_clISt17integral_constantIbLb1EESZ_EEDaSU_SV_EUlSU_E_NS1_11comp_targetILNS1_3genE3ELNS1_11target_archE908ELNS1_3gpuE7ELNS1_3repE0EEENS1_30default_config_static_selectorELNS0_4arch9wavefront6targetE0EEEvT1_
    .private_segment_fixed_size: 0
    .sgpr_count:     0
    .sgpr_spill_count: 0
    .symbol:         _ZN7rocprim17ROCPRIM_400000_NS6detail17trampoline_kernelINS0_14default_configENS1_27scan_by_key_config_selectorIxxEEZZNS1_16scan_by_key_implILNS1_25lookback_scan_determinismE0ELb0ES3_N6thrust23THRUST_200600_302600_NS6detail15normal_iteratorINS9_10device_ptrIxEEEESE_SE_xNS9_4plusIvEENS9_8equal_toIvEExEE10hipError_tPvRmT2_T3_T4_T5_mT6_T7_P12ihipStream_tbENKUlT_T0_E_clISt17integral_constantIbLb1EESZ_EEDaSU_SV_EUlSU_E_NS1_11comp_targetILNS1_3genE3ELNS1_11target_archE908ELNS1_3gpuE7ELNS1_3repE0EEENS1_30default_config_static_selectorELNS0_4arch9wavefront6targetE0EEEvT1_.kd
    .uniform_work_group_size: 1
    .uses_dynamic_stack: false
    .vgpr_count:     0
    .vgpr_spill_count: 0
    .wavefront_size: 32
  - .args:
      - .offset:         0
        .size:           136
        .value_kind:     by_value
    .group_segment_fixed_size: 0
    .kernarg_segment_align: 8
    .kernarg_segment_size: 136
    .language:       OpenCL C
    .language_version:
      - 2
      - 0
    .max_flat_workgroup_size: 256
    .name:           _ZN7rocprim17ROCPRIM_400000_NS6detail17trampoline_kernelINS0_14default_configENS1_27scan_by_key_config_selectorIxxEEZZNS1_16scan_by_key_implILNS1_25lookback_scan_determinismE0ELb0ES3_N6thrust23THRUST_200600_302600_NS6detail15normal_iteratorINS9_10device_ptrIxEEEESE_SE_xNS9_4plusIvEENS9_8equal_toIvEExEE10hipError_tPvRmT2_T3_T4_T5_mT6_T7_P12ihipStream_tbENKUlT_T0_E_clISt17integral_constantIbLb1EESZ_EEDaSU_SV_EUlSU_E_NS1_11comp_targetILNS1_3genE2ELNS1_11target_archE906ELNS1_3gpuE6ELNS1_3repE0EEENS1_30default_config_static_selectorELNS0_4arch9wavefront6targetE0EEEvT1_
    .private_segment_fixed_size: 0
    .sgpr_count:     0
    .sgpr_spill_count: 0
    .symbol:         _ZN7rocprim17ROCPRIM_400000_NS6detail17trampoline_kernelINS0_14default_configENS1_27scan_by_key_config_selectorIxxEEZZNS1_16scan_by_key_implILNS1_25lookback_scan_determinismE0ELb0ES3_N6thrust23THRUST_200600_302600_NS6detail15normal_iteratorINS9_10device_ptrIxEEEESE_SE_xNS9_4plusIvEENS9_8equal_toIvEExEE10hipError_tPvRmT2_T3_T4_T5_mT6_T7_P12ihipStream_tbENKUlT_T0_E_clISt17integral_constantIbLb1EESZ_EEDaSU_SV_EUlSU_E_NS1_11comp_targetILNS1_3genE2ELNS1_11target_archE906ELNS1_3gpuE6ELNS1_3repE0EEENS1_30default_config_static_selectorELNS0_4arch9wavefront6targetE0EEEvT1_.kd
    .uniform_work_group_size: 1
    .uses_dynamic_stack: false
    .vgpr_count:     0
    .vgpr_spill_count: 0
    .wavefront_size: 32
  - .args:
      - .offset:         0
        .size:           136
        .value_kind:     by_value
    .group_segment_fixed_size: 0
    .kernarg_segment_align: 8
    .kernarg_segment_size: 136
    .language:       OpenCL C
    .language_version:
      - 2
      - 0
    .max_flat_workgroup_size: 256
    .name:           _ZN7rocprim17ROCPRIM_400000_NS6detail17trampoline_kernelINS0_14default_configENS1_27scan_by_key_config_selectorIxxEEZZNS1_16scan_by_key_implILNS1_25lookback_scan_determinismE0ELb0ES3_N6thrust23THRUST_200600_302600_NS6detail15normal_iteratorINS9_10device_ptrIxEEEESE_SE_xNS9_4plusIvEENS9_8equal_toIvEExEE10hipError_tPvRmT2_T3_T4_T5_mT6_T7_P12ihipStream_tbENKUlT_T0_E_clISt17integral_constantIbLb1EESZ_EEDaSU_SV_EUlSU_E_NS1_11comp_targetILNS1_3genE10ELNS1_11target_archE1200ELNS1_3gpuE4ELNS1_3repE0EEENS1_30default_config_static_selectorELNS0_4arch9wavefront6targetE0EEEvT1_
    .private_segment_fixed_size: 0
    .sgpr_count:     0
    .sgpr_spill_count: 0
    .symbol:         _ZN7rocprim17ROCPRIM_400000_NS6detail17trampoline_kernelINS0_14default_configENS1_27scan_by_key_config_selectorIxxEEZZNS1_16scan_by_key_implILNS1_25lookback_scan_determinismE0ELb0ES3_N6thrust23THRUST_200600_302600_NS6detail15normal_iteratorINS9_10device_ptrIxEEEESE_SE_xNS9_4plusIvEENS9_8equal_toIvEExEE10hipError_tPvRmT2_T3_T4_T5_mT6_T7_P12ihipStream_tbENKUlT_T0_E_clISt17integral_constantIbLb1EESZ_EEDaSU_SV_EUlSU_E_NS1_11comp_targetILNS1_3genE10ELNS1_11target_archE1200ELNS1_3gpuE4ELNS1_3repE0EEENS1_30default_config_static_selectorELNS0_4arch9wavefront6targetE0EEEvT1_.kd
    .uniform_work_group_size: 1
    .uses_dynamic_stack: false
    .vgpr_count:     0
    .vgpr_spill_count: 0
    .wavefront_size: 32
  - .args:
      - .offset:         0
        .size:           136
        .value_kind:     by_value
    .group_segment_fixed_size: 0
    .kernarg_segment_align: 8
    .kernarg_segment_size: 136
    .language:       OpenCL C
    .language_version:
      - 2
      - 0
    .max_flat_workgroup_size: 256
    .name:           _ZN7rocprim17ROCPRIM_400000_NS6detail17trampoline_kernelINS0_14default_configENS1_27scan_by_key_config_selectorIxxEEZZNS1_16scan_by_key_implILNS1_25lookback_scan_determinismE0ELb0ES3_N6thrust23THRUST_200600_302600_NS6detail15normal_iteratorINS9_10device_ptrIxEEEESE_SE_xNS9_4plusIvEENS9_8equal_toIvEExEE10hipError_tPvRmT2_T3_T4_T5_mT6_T7_P12ihipStream_tbENKUlT_T0_E_clISt17integral_constantIbLb1EESZ_EEDaSU_SV_EUlSU_E_NS1_11comp_targetILNS1_3genE9ELNS1_11target_archE1100ELNS1_3gpuE3ELNS1_3repE0EEENS1_30default_config_static_selectorELNS0_4arch9wavefront6targetE0EEEvT1_
    .private_segment_fixed_size: 0
    .sgpr_count:     0
    .sgpr_spill_count: 0
    .symbol:         _ZN7rocprim17ROCPRIM_400000_NS6detail17trampoline_kernelINS0_14default_configENS1_27scan_by_key_config_selectorIxxEEZZNS1_16scan_by_key_implILNS1_25lookback_scan_determinismE0ELb0ES3_N6thrust23THRUST_200600_302600_NS6detail15normal_iteratorINS9_10device_ptrIxEEEESE_SE_xNS9_4plusIvEENS9_8equal_toIvEExEE10hipError_tPvRmT2_T3_T4_T5_mT6_T7_P12ihipStream_tbENKUlT_T0_E_clISt17integral_constantIbLb1EESZ_EEDaSU_SV_EUlSU_E_NS1_11comp_targetILNS1_3genE9ELNS1_11target_archE1100ELNS1_3gpuE3ELNS1_3repE0EEENS1_30default_config_static_selectorELNS0_4arch9wavefront6targetE0EEEvT1_.kd
    .uniform_work_group_size: 1
    .uses_dynamic_stack: false
    .vgpr_count:     0
    .vgpr_spill_count: 0
    .wavefront_size: 32
  - .args:
      - .offset:         0
        .size:           136
        .value_kind:     by_value
    .group_segment_fixed_size: 0
    .kernarg_segment_align: 8
    .kernarg_segment_size: 136
    .language:       OpenCL C
    .language_version:
      - 2
      - 0
    .max_flat_workgroup_size: 256
    .name:           _ZN7rocprim17ROCPRIM_400000_NS6detail17trampoline_kernelINS0_14default_configENS1_27scan_by_key_config_selectorIxxEEZZNS1_16scan_by_key_implILNS1_25lookback_scan_determinismE0ELb0ES3_N6thrust23THRUST_200600_302600_NS6detail15normal_iteratorINS9_10device_ptrIxEEEESE_SE_xNS9_4plusIvEENS9_8equal_toIvEExEE10hipError_tPvRmT2_T3_T4_T5_mT6_T7_P12ihipStream_tbENKUlT_T0_E_clISt17integral_constantIbLb1EESZ_EEDaSU_SV_EUlSU_E_NS1_11comp_targetILNS1_3genE8ELNS1_11target_archE1030ELNS1_3gpuE2ELNS1_3repE0EEENS1_30default_config_static_selectorELNS0_4arch9wavefront6targetE0EEEvT1_
    .private_segment_fixed_size: 0
    .sgpr_count:     0
    .sgpr_spill_count: 0
    .symbol:         _ZN7rocprim17ROCPRIM_400000_NS6detail17trampoline_kernelINS0_14default_configENS1_27scan_by_key_config_selectorIxxEEZZNS1_16scan_by_key_implILNS1_25lookback_scan_determinismE0ELb0ES3_N6thrust23THRUST_200600_302600_NS6detail15normal_iteratorINS9_10device_ptrIxEEEESE_SE_xNS9_4plusIvEENS9_8equal_toIvEExEE10hipError_tPvRmT2_T3_T4_T5_mT6_T7_P12ihipStream_tbENKUlT_T0_E_clISt17integral_constantIbLb1EESZ_EEDaSU_SV_EUlSU_E_NS1_11comp_targetILNS1_3genE8ELNS1_11target_archE1030ELNS1_3gpuE2ELNS1_3repE0EEENS1_30default_config_static_selectorELNS0_4arch9wavefront6targetE0EEEvT1_.kd
    .uniform_work_group_size: 1
    .uses_dynamic_stack: false
    .vgpr_count:     0
    .vgpr_spill_count: 0
    .wavefront_size: 32
  - .args:
      - .offset:         0
        .size:           24
        .value_kind:     by_value
      - .offset:         24
        .size:           4
        .value_kind:     by_value
      - .offset:         28
        .size:           4
        .value_kind:     by_value
      - .address_space:  global
        .offset:         32
        .size:           8
        .value_kind:     global_buffer
      - .address_space:  global
        .offset:         40
        .size:           8
        .value_kind:     global_buffer
      - .actual_access:  write_only
        .address_space:  global
        .offset:         48
        .size:           8
        .value_kind:     global_buffer
      - .offset:         56
        .size:           8
        .value_kind:     by_value
      - .offset:         64
        .size:           4
        .value_kind:     by_value
      - .offset:         68
        .size:           1
        .value_kind:     by_value
      - .offset:         72
        .size:           4
        .value_kind:     hidden_block_count_x
      - .offset:         76
        .size:           4
        .value_kind:     hidden_block_count_y
      - .offset:         80
        .size:           4
        .value_kind:     hidden_block_count_z
      - .offset:         84
        .size:           2
        .value_kind:     hidden_group_size_x
      - .offset:         86
        .size:           2
        .value_kind:     hidden_group_size_y
      - .offset:         88
        .size:           2
        .value_kind:     hidden_group_size_z
      - .offset:         90
        .size:           2
        .value_kind:     hidden_remainder_x
      - .offset:         92
        .size:           2
        .value_kind:     hidden_remainder_y
      - .offset:         94
        .size:           2
        .value_kind:     hidden_remainder_z
      - .offset:         112
        .size:           8
        .value_kind:     hidden_global_offset_x
      - .offset:         120
        .size:           8
        .value_kind:     hidden_global_offset_y
      - .offset:         128
        .size:           8
        .value_kind:     hidden_global_offset_z
      - .offset:         136
        .size:           2
        .value_kind:     hidden_grid_dims
    .group_segment_fixed_size: 0
    .kernarg_segment_align: 8
    .kernarg_segment_size: 328
    .language:       OpenCL C
    .language_version:
      - 2
      - 0
    .max_flat_workgroup_size: 256
    .name:           _ZN7rocprim17ROCPRIM_400000_NS6detail30init_device_scan_by_key_kernelINS1_19lookback_scan_stateINS0_5tupleIJxbEEELb1ELb0EEEN6thrust23THRUST_200600_302600_NS6detail15normal_iteratorINS8_10device_ptrIxEEEEjNS1_16block_id_wrapperIjLb0EEEEEvT_jjPNSG_10value_typeET0_PNSt15iterator_traitsISJ_E10value_typeEmT1_T2_
    .private_segment_fixed_size: 0
    .sgpr_count:     24
    .sgpr_spill_count: 0
    .symbol:         _ZN7rocprim17ROCPRIM_400000_NS6detail30init_device_scan_by_key_kernelINS1_19lookback_scan_stateINS0_5tupleIJxbEEELb1ELb0EEEN6thrust23THRUST_200600_302600_NS6detail15normal_iteratorINS8_10device_ptrIxEEEEjNS1_16block_id_wrapperIjLb0EEEEEvT_jjPNSG_10value_typeET0_PNSt15iterator_traitsISJ_E10value_typeEmT1_T2_.kd
    .uniform_work_group_size: 1
    .uses_dynamic_stack: false
    .vgpr_count:     8
    .vgpr_spill_count: 0
    .wavefront_size: 32
  - .args:
      - .offset:         0
        .size:           24
        .value_kind:     by_value
      - .offset:         24
        .size:           4
        .value_kind:     by_value
      - .offset:         28
        .size:           4
        .value_kind:     by_value
      - .address_space:  global
        .offset:         32
        .size:           8
        .value_kind:     global_buffer
      - .offset:         40
        .size:           1
        .value_kind:     by_value
      - .offset:         48
        .size:           4
        .value_kind:     hidden_block_count_x
      - .offset:         52
        .size:           4
        .value_kind:     hidden_block_count_y
      - .offset:         56
        .size:           4
        .value_kind:     hidden_block_count_z
      - .offset:         60
        .size:           2
        .value_kind:     hidden_group_size_x
      - .offset:         62
        .size:           2
        .value_kind:     hidden_group_size_y
      - .offset:         64
        .size:           2
        .value_kind:     hidden_group_size_z
      - .offset:         66
        .size:           2
        .value_kind:     hidden_remainder_x
      - .offset:         68
        .size:           2
        .value_kind:     hidden_remainder_y
      - .offset:         70
        .size:           2
        .value_kind:     hidden_remainder_z
      - .offset:         88
        .size:           8
        .value_kind:     hidden_global_offset_x
      - .offset:         96
        .size:           8
        .value_kind:     hidden_global_offset_y
      - .offset:         104
        .size:           8
        .value_kind:     hidden_global_offset_z
      - .offset:         112
        .size:           2
        .value_kind:     hidden_grid_dims
    .group_segment_fixed_size: 0
    .kernarg_segment_align: 8
    .kernarg_segment_size: 304
    .language:       OpenCL C
    .language_version:
      - 2
      - 0
    .max_flat_workgroup_size: 256
    .name:           _ZN7rocprim17ROCPRIM_400000_NS6detail30init_device_scan_by_key_kernelINS1_19lookback_scan_stateINS0_5tupleIJxbEEELb1ELb0EEENS1_16block_id_wrapperIjLb0EEEEEvT_jjPNS9_10value_typeET0_
    .private_segment_fixed_size: 0
    .sgpr_count:     18
    .sgpr_spill_count: 0
    .symbol:         _ZN7rocprim17ROCPRIM_400000_NS6detail30init_device_scan_by_key_kernelINS1_19lookback_scan_stateINS0_5tupleIJxbEEELb1ELb0EEENS1_16block_id_wrapperIjLb0EEEEEvT_jjPNS9_10value_typeET0_.kd
    .uniform_work_group_size: 1
    .uses_dynamic_stack: false
    .vgpr_count:     5
    .vgpr_spill_count: 0
    .wavefront_size: 32
  - .args:
      - .offset:         0
        .size:           136
        .value_kind:     by_value
    .group_segment_fixed_size: 0
    .kernarg_segment_align: 8
    .kernarg_segment_size: 136
    .language:       OpenCL C
    .language_version:
      - 2
      - 0
    .max_flat_workgroup_size: 256
    .name:           _ZN7rocprim17ROCPRIM_400000_NS6detail17trampoline_kernelINS0_14default_configENS1_27scan_by_key_config_selectorIxxEEZZNS1_16scan_by_key_implILNS1_25lookback_scan_determinismE0ELb0ES3_N6thrust23THRUST_200600_302600_NS6detail15normal_iteratorINS9_10device_ptrIxEEEESE_SE_xNS9_4plusIvEENS9_8equal_toIvEExEE10hipError_tPvRmT2_T3_T4_T5_mT6_T7_P12ihipStream_tbENKUlT_T0_E_clISt17integral_constantIbLb1EESY_IbLb0EEEEDaSU_SV_EUlSU_E_NS1_11comp_targetILNS1_3genE0ELNS1_11target_archE4294967295ELNS1_3gpuE0ELNS1_3repE0EEENS1_30default_config_static_selectorELNS0_4arch9wavefront6targetE0EEEvT1_
    .private_segment_fixed_size: 0
    .sgpr_count:     0
    .sgpr_spill_count: 0
    .symbol:         _ZN7rocprim17ROCPRIM_400000_NS6detail17trampoline_kernelINS0_14default_configENS1_27scan_by_key_config_selectorIxxEEZZNS1_16scan_by_key_implILNS1_25lookback_scan_determinismE0ELb0ES3_N6thrust23THRUST_200600_302600_NS6detail15normal_iteratorINS9_10device_ptrIxEEEESE_SE_xNS9_4plusIvEENS9_8equal_toIvEExEE10hipError_tPvRmT2_T3_T4_T5_mT6_T7_P12ihipStream_tbENKUlT_T0_E_clISt17integral_constantIbLb1EESY_IbLb0EEEEDaSU_SV_EUlSU_E_NS1_11comp_targetILNS1_3genE0ELNS1_11target_archE4294967295ELNS1_3gpuE0ELNS1_3repE0EEENS1_30default_config_static_selectorELNS0_4arch9wavefront6targetE0EEEvT1_.kd
    .uniform_work_group_size: 1
    .uses_dynamic_stack: false
    .vgpr_count:     0
    .vgpr_spill_count: 0
    .wavefront_size: 32
  - .args:
      - .offset:         0
        .size:           136
        .value_kind:     by_value
    .group_segment_fixed_size: 0
    .kernarg_segment_align: 8
    .kernarg_segment_size: 136
    .language:       OpenCL C
    .language_version:
      - 2
      - 0
    .max_flat_workgroup_size: 256
    .name:           _ZN7rocprim17ROCPRIM_400000_NS6detail17trampoline_kernelINS0_14default_configENS1_27scan_by_key_config_selectorIxxEEZZNS1_16scan_by_key_implILNS1_25lookback_scan_determinismE0ELb0ES3_N6thrust23THRUST_200600_302600_NS6detail15normal_iteratorINS9_10device_ptrIxEEEESE_SE_xNS9_4plusIvEENS9_8equal_toIvEExEE10hipError_tPvRmT2_T3_T4_T5_mT6_T7_P12ihipStream_tbENKUlT_T0_E_clISt17integral_constantIbLb1EESY_IbLb0EEEEDaSU_SV_EUlSU_E_NS1_11comp_targetILNS1_3genE10ELNS1_11target_archE1201ELNS1_3gpuE5ELNS1_3repE0EEENS1_30default_config_static_selectorELNS0_4arch9wavefront6targetE0EEEvT1_
    .private_segment_fixed_size: 0
    .sgpr_count:     0
    .sgpr_spill_count: 0
    .symbol:         _ZN7rocprim17ROCPRIM_400000_NS6detail17trampoline_kernelINS0_14default_configENS1_27scan_by_key_config_selectorIxxEEZZNS1_16scan_by_key_implILNS1_25lookback_scan_determinismE0ELb0ES3_N6thrust23THRUST_200600_302600_NS6detail15normal_iteratorINS9_10device_ptrIxEEEESE_SE_xNS9_4plusIvEENS9_8equal_toIvEExEE10hipError_tPvRmT2_T3_T4_T5_mT6_T7_P12ihipStream_tbENKUlT_T0_E_clISt17integral_constantIbLb1EESY_IbLb0EEEEDaSU_SV_EUlSU_E_NS1_11comp_targetILNS1_3genE10ELNS1_11target_archE1201ELNS1_3gpuE5ELNS1_3repE0EEENS1_30default_config_static_selectorELNS0_4arch9wavefront6targetE0EEEvT1_.kd
    .uniform_work_group_size: 1
    .uses_dynamic_stack: false
    .vgpr_count:     0
    .vgpr_spill_count: 0
    .wavefront_size: 32
  - .args:
      - .offset:         0
        .size:           136
        .value_kind:     by_value
    .group_segment_fixed_size: 0
    .kernarg_segment_align: 8
    .kernarg_segment_size: 136
    .language:       OpenCL C
    .language_version:
      - 2
      - 0
    .max_flat_workgroup_size: 256
    .name:           _ZN7rocprim17ROCPRIM_400000_NS6detail17trampoline_kernelINS0_14default_configENS1_27scan_by_key_config_selectorIxxEEZZNS1_16scan_by_key_implILNS1_25lookback_scan_determinismE0ELb0ES3_N6thrust23THRUST_200600_302600_NS6detail15normal_iteratorINS9_10device_ptrIxEEEESE_SE_xNS9_4plusIvEENS9_8equal_toIvEExEE10hipError_tPvRmT2_T3_T4_T5_mT6_T7_P12ihipStream_tbENKUlT_T0_E_clISt17integral_constantIbLb1EESY_IbLb0EEEEDaSU_SV_EUlSU_E_NS1_11comp_targetILNS1_3genE5ELNS1_11target_archE942ELNS1_3gpuE9ELNS1_3repE0EEENS1_30default_config_static_selectorELNS0_4arch9wavefront6targetE0EEEvT1_
    .private_segment_fixed_size: 0
    .sgpr_count:     0
    .sgpr_spill_count: 0
    .symbol:         _ZN7rocprim17ROCPRIM_400000_NS6detail17trampoline_kernelINS0_14default_configENS1_27scan_by_key_config_selectorIxxEEZZNS1_16scan_by_key_implILNS1_25lookback_scan_determinismE0ELb0ES3_N6thrust23THRUST_200600_302600_NS6detail15normal_iteratorINS9_10device_ptrIxEEEESE_SE_xNS9_4plusIvEENS9_8equal_toIvEExEE10hipError_tPvRmT2_T3_T4_T5_mT6_T7_P12ihipStream_tbENKUlT_T0_E_clISt17integral_constantIbLb1EESY_IbLb0EEEEDaSU_SV_EUlSU_E_NS1_11comp_targetILNS1_3genE5ELNS1_11target_archE942ELNS1_3gpuE9ELNS1_3repE0EEENS1_30default_config_static_selectorELNS0_4arch9wavefront6targetE0EEEvT1_.kd
    .uniform_work_group_size: 1
    .uses_dynamic_stack: false
    .vgpr_count:     0
    .vgpr_spill_count: 0
    .wavefront_size: 32
  - .args:
      - .offset:         0
        .size:           136
        .value_kind:     by_value
    .group_segment_fixed_size: 0
    .kernarg_segment_align: 8
    .kernarg_segment_size: 136
    .language:       OpenCL C
    .language_version:
      - 2
      - 0
    .max_flat_workgroup_size: 64
    .name:           _ZN7rocprim17ROCPRIM_400000_NS6detail17trampoline_kernelINS0_14default_configENS1_27scan_by_key_config_selectorIxxEEZZNS1_16scan_by_key_implILNS1_25lookback_scan_determinismE0ELb0ES3_N6thrust23THRUST_200600_302600_NS6detail15normal_iteratorINS9_10device_ptrIxEEEESE_SE_xNS9_4plusIvEENS9_8equal_toIvEExEE10hipError_tPvRmT2_T3_T4_T5_mT6_T7_P12ihipStream_tbENKUlT_T0_E_clISt17integral_constantIbLb1EESY_IbLb0EEEEDaSU_SV_EUlSU_E_NS1_11comp_targetILNS1_3genE4ELNS1_11target_archE910ELNS1_3gpuE8ELNS1_3repE0EEENS1_30default_config_static_selectorELNS0_4arch9wavefront6targetE0EEEvT1_
    .private_segment_fixed_size: 0
    .sgpr_count:     0
    .sgpr_spill_count: 0
    .symbol:         _ZN7rocprim17ROCPRIM_400000_NS6detail17trampoline_kernelINS0_14default_configENS1_27scan_by_key_config_selectorIxxEEZZNS1_16scan_by_key_implILNS1_25lookback_scan_determinismE0ELb0ES3_N6thrust23THRUST_200600_302600_NS6detail15normal_iteratorINS9_10device_ptrIxEEEESE_SE_xNS9_4plusIvEENS9_8equal_toIvEExEE10hipError_tPvRmT2_T3_T4_T5_mT6_T7_P12ihipStream_tbENKUlT_T0_E_clISt17integral_constantIbLb1EESY_IbLb0EEEEDaSU_SV_EUlSU_E_NS1_11comp_targetILNS1_3genE4ELNS1_11target_archE910ELNS1_3gpuE8ELNS1_3repE0EEENS1_30default_config_static_selectorELNS0_4arch9wavefront6targetE0EEEvT1_.kd
    .uniform_work_group_size: 1
    .uses_dynamic_stack: false
    .vgpr_count:     0
    .vgpr_spill_count: 0
    .wavefront_size: 32
  - .args:
      - .offset:         0
        .size:           136
        .value_kind:     by_value
    .group_segment_fixed_size: 0
    .kernarg_segment_align: 8
    .kernarg_segment_size: 136
    .language:       OpenCL C
    .language_version:
      - 2
      - 0
    .max_flat_workgroup_size: 256
    .name:           _ZN7rocprim17ROCPRIM_400000_NS6detail17trampoline_kernelINS0_14default_configENS1_27scan_by_key_config_selectorIxxEEZZNS1_16scan_by_key_implILNS1_25lookback_scan_determinismE0ELb0ES3_N6thrust23THRUST_200600_302600_NS6detail15normal_iteratorINS9_10device_ptrIxEEEESE_SE_xNS9_4plusIvEENS9_8equal_toIvEExEE10hipError_tPvRmT2_T3_T4_T5_mT6_T7_P12ihipStream_tbENKUlT_T0_E_clISt17integral_constantIbLb1EESY_IbLb0EEEEDaSU_SV_EUlSU_E_NS1_11comp_targetILNS1_3genE3ELNS1_11target_archE908ELNS1_3gpuE7ELNS1_3repE0EEENS1_30default_config_static_selectorELNS0_4arch9wavefront6targetE0EEEvT1_
    .private_segment_fixed_size: 0
    .sgpr_count:     0
    .sgpr_spill_count: 0
    .symbol:         _ZN7rocprim17ROCPRIM_400000_NS6detail17trampoline_kernelINS0_14default_configENS1_27scan_by_key_config_selectorIxxEEZZNS1_16scan_by_key_implILNS1_25lookback_scan_determinismE0ELb0ES3_N6thrust23THRUST_200600_302600_NS6detail15normal_iteratorINS9_10device_ptrIxEEEESE_SE_xNS9_4plusIvEENS9_8equal_toIvEExEE10hipError_tPvRmT2_T3_T4_T5_mT6_T7_P12ihipStream_tbENKUlT_T0_E_clISt17integral_constantIbLb1EESY_IbLb0EEEEDaSU_SV_EUlSU_E_NS1_11comp_targetILNS1_3genE3ELNS1_11target_archE908ELNS1_3gpuE7ELNS1_3repE0EEENS1_30default_config_static_selectorELNS0_4arch9wavefront6targetE0EEEvT1_.kd
    .uniform_work_group_size: 1
    .uses_dynamic_stack: false
    .vgpr_count:     0
    .vgpr_spill_count: 0
    .wavefront_size: 32
  - .args:
      - .offset:         0
        .size:           136
        .value_kind:     by_value
    .group_segment_fixed_size: 0
    .kernarg_segment_align: 8
    .kernarg_segment_size: 136
    .language:       OpenCL C
    .language_version:
      - 2
      - 0
    .max_flat_workgroup_size: 256
    .name:           _ZN7rocprim17ROCPRIM_400000_NS6detail17trampoline_kernelINS0_14default_configENS1_27scan_by_key_config_selectorIxxEEZZNS1_16scan_by_key_implILNS1_25lookback_scan_determinismE0ELb0ES3_N6thrust23THRUST_200600_302600_NS6detail15normal_iteratorINS9_10device_ptrIxEEEESE_SE_xNS9_4plusIvEENS9_8equal_toIvEExEE10hipError_tPvRmT2_T3_T4_T5_mT6_T7_P12ihipStream_tbENKUlT_T0_E_clISt17integral_constantIbLb1EESY_IbLb0EEEEDaSU_SV_EUlSU_E_NS1_11comp_targetILNS1_3genE2ELNS1_11target_archE906ELNS1_3gpuE6ELNS1_3repE0EEENS1_30default_config_static_selectorELNS0_4arch9wavefront6targetE0EEEvT1_
    .private_segment_fixed_size: 0
    .sgpr_count:     0
    .sgpr_spill_count: 0
    .symbol:         _ZN7rocprim17ROCPRIM_400000_NS6detail17trampoline_kernelINS0_14default_configENS1_27scan_by_key_config_selectorIxxEEZZNS1_16scan_by_key_implILNS1_25lookback_scan_determinismE0ELb0ES3_N6thrust23THRUST_200600_302600_NS6detail15normal_iteratorINS9_10device_ptrIxEEEESE_SE_xNS9_4plusIvEENS9_8equal_toIvEExEE10hipError_tPvRmT2_T3_T4_T5_mT6_T7_P12ihipStream_tbENKUlT_T0_E_clISt17integral_constantIbLb1EESY_IbLb0EEEEDaSU_SV_EUlSU_E_NS1_11comp_targetILNS1_3genE2ELNS1_11target_archE906ELNS1_3gpuE6ELNS1_3repE0EEENS1_30default_config_static_selectorELNS0_4arch9wavefront6targetE0EEEvT1_.kd
    .uniform_work_group_size: 1
    .uses_dynamic_stack: false
    .vgpr_count:     0
    .vgpr_spill_count: 0
    .wavefront_size: 32
  - .args:
      - .offset:         0
        .size:           136
        .value_kind:     by_value
    .group_segment_fixed_size: 0
    .kernarg_segment_align: 8
    .kernarg_segment_size: 136
    .language:       OpenCL C
    .language_version:
      - 2
      - 0
    .max_flat_workgroup_size: 256
    .name:           _ZN7rocprim17ROCPRIM_400000_NS6detail17trampoline_kernelINS0_14default_configENS1_27scan_by_key_config_selectorIxxEEZZNS1_16scan_by_key_implILNS1_25lookback_scan_determinismE0ELb0ES3_N6thrust23THRUST_200600_302600_NS6detail15normal_iteratorINS9_10device_ptrIxEEEESE_SE_xNS9_4plusIvEENS9_8equal_toIvEExEE10hipError_tPvRmT2_T3_T4_T5_mT6_T7_P12ihipStream_tbENKUlT_T0_E_clISt17integral_constantIbLb1EESY_IbLb0EEEEDaSU_SV_EUlSU_E_NS1_11comp_targetILNS1_3genE10ELNS1_11target_archE1200ELNS1_3gpuE4ELNS1_3repE0EEENS1_30default_config_static_selectorELNS0_4arch9wavefront6targetE0EEEvT1_
    .private_segment_fixed_size: 0
    .sgpr_count:     0
    .sgpr_spill_count: 0
    .symbol:         _ZN7rocprim17ROCPRIM_400000_NS6detail17trampoline_kernelINS0_14default_configENS1_27scan_by_key_config_selectorIxxEEZZNS1_16scan_by_key_implILNS1_25lookback_scan_determinismE0ELb0ES3_N6thrust23THRUST_200600_302600_NS6detail15normal_iteratorINS9_10device_ptrIxEEEESE_SE_xNS9_4plusIvEENS9_8equal_toIvEExEE10hipError_tPvRmT2_T3_T4_T5_mT6_T7_P12ihipStream_tbENKUlT_T0_E_clISt17integral_constantIbLb1EESY_IbLb0EEEEDaSU_SV_EUlSU_E_NS1_11comp_targetILNS1_3genE10ELNS1_11target_archE1200ELNS1_3gpuE4ELNS1_3repE0EEENS1_30default_config_static_selectorELNS0_4arch9wavefront6targetE0EEEvT1_.kd
    .uniform_work_group_size: 1
    .uses_dynamic_stack: false
    .vgpr_count:     0
    .vgpr_spill_count: 0
    .wavefront_size: 32
  - .args:
      - .offset:         0
        .size:           136
        .value_kind:     by_value
    .group_segment_fixed_size: 0
    .kernarg_segment_align: 8
    .kernarg_segment_size: 136
    .language:       OpenCL C
    .language_version:
      - 2
      - 0
    .max_flat_workgroup_size: 256
    .name:           _ZN7rocprim17ROCPRIM_400000_NS6detail17trampoline_kernelINS0_14default_configENS1_27scan_by_key_config_selectorIxxEEZZNS1_16scan_by_key_implILNS1_25lookback_scan_determinismE0ELb0ES3_N6thrust23THRUST_200600_302600_NS6detail15normal_iteratorINS9_10device_ptrIxEEEESE_SE_xNS9_4plusIvEENS9_8equal_toIvEExEE10hipError_tPvRmT2_T3_T4_T5_mT6_T7_P12ihipStream_tbENKUlT_T0_E_clISt17integral_constantIbLb1EESY_IbLb0EEEEDaSU_SV_EUlSU_E_NS1_11comp_targetILNS1_3genE9ELNS1_11target_archE1100ELNS1_3gpuE3ELNS1_3repE0EEENS1_30default_config_static_selectorELNS0_4arch9wavefront6targetE0EEEvT1_
    .private_segment_fixed_size: 0
    .sgpr_count:     0
    .sgpr_spill_count: 0
    .symbol:         _ZN7rocprim17ROCPRIM_400000_NS6detail17trampoline_kernelINS0_14default_configENS1_27scan_by_key_config_selectorIxxEEZZNS1_16scan_by_key_implILNS1_25lookback_scan_determinismE0ELb0ES3_N6thrust23THRUST_200600_302600_NS6detail15normal_iteratorINS9_10device_ptrIxEEEESE_SE_xNS9_4plusIvEENS9_8equal_toIvEExEE10hipError_tPvRmT2_T3_T4_T5_mT6_T7_P12ihipStream_tbENKUlT_T0_E_clISt17integral_constantIbLb1EESY_IbLb0EEEEDaSU_SV_EUlSU_E_NS1_11comp_targetILNS1_3genE9ELNS1_11target_archE1100ELNS1_3gpuE3ELNS1_3repE0EEENS1_30default_config_static_selectorELNS0_4arch9wavefront6targetE0EEEvT1_.kd
    .uniform_work_group_size: 1
    .uses_dynamic_stack: false
    .vgpr_count:     0
    .vgpr_spill_count: 0
    .wavefront_size: 32
  - .args:
      - .offset:         0
        .size:           136
        .value_kind:     by_value
    .group_segment_fixed_size: 0
    .kernarg_segment_align: 8
    .kernarg_segment_size: 136
    .language:       OpenCL C
    .language_version:
      - 2
      - 0
    .max_flat_workgroup_size: 256
    .name:           _ZN7rocprim17ROCPRIM_400000_NS6detail17trampoline_kernelINS0_14default_configENS1_27scan_by_key_config_selectorIxxEEZZNS1_16scan_by_key_implILNS1_25lookback_scan_determinismE0ELb0ES3_N6thrust23THRUST_200600_302600_NS6detail15normal_iteratorINS9_10device_ptrIxEEEESE_SE_xNS9_4plusIvEENS9_8equal_toIvEExEE10hipError_tPvRmT2_T3_T4_T5_mT6_T7_P12ihipStream_tbENKUlT_T0_E_clISt17integral_constantIbLb1EESY_IbLb0EEEEDaSU_SV_EUlSU_E_NS1_11comp_targetILNS1_3genE8ELNS1_11target_archE1030ELNS1_3gpuE2ELNS1_3repE0EEENS1_30default_config_static_selectorELNS0_4arch9wavefront6targetE0EEEvT1_
    .private_segment_fixed_size: 0
    .sgpr_count:     0
    .sgpr_spill_count: 0
    .symbol:         _ZN7rocprim17ROCPRIM_400000_NS6detail17trampoline_kernelINS0_14default_configENS1_27scan_by_key_config_selectorIxxEEZZNS1_16scan_by_key_implILNS1_25lookback_scan_determinismE0ELb0ES3_N6thrust23THRUST_200600_302600_NS6detail15normal_iteratorINS9_10device_ptrIxEEEESE_SE_xNS9_4plusIvEENS9_8equal_toIvEExEE10hipError_tPvRmT2_T3_T4_T5_mT6_T7_P12ihipStream_tbENKUlT_T0_E_clISt17integral_constantIbLb1EESY_IbLb0EEEEDaSU_SV_EUlSU_E_NS1_11comp_targetILNS1_3genE8ELNS1_11target_archE1030ELNS1_3gpuE2ELNS1_3repE0EEENS1_30default_config_static_selectorELNS0_4arch9wavefront6targetE0EEEvT1_.kd
    .uniform_work_group_size: 1
    .uses_dynamic_stack: false
    .vgpr_count:     0
    .vgpr_spill_count: 0
    .wavefront_size: 32
  - .args:
      - .offset:         0
        .size:           24
        .value_kind:     by_value
      - .offset:         24
        .size:           4
        .value_kind:     by_value
      - .offset:         28
        .size:           4
        .value_kind:     by_value
      - .address_space:  global
        .offset:         32
        .size:           8
        .value_kind:     global_buffer
      - .address_space:  global
        .offset:         40
        .size:           8
        .value_kind:     global_buffer
      - .actual_access:  write_only
        .address_space:  global
        .offset:         48
        .size:           8
        .value_kind:     global_buffer
      - .offset:         56
        .size:           8
        .value_kind:     by_value
      - .offset:         64
        .size:           4
        .value_kind:     by_value
      - .address_space:  global
        .offset:         72
        .size:           8
        .value_kind:     global_buffer
      - .offset:         80
        .size:           4
        .value_kind:     hidden_block_count_x
      - .offset:         84
        .size:           4
        .value_kind:     hidden_block_count_y
      - .offset:         88
        .size:           4
        .value_kind:     hidden_block_count_z
      - .offset:         92
        .size:           2
        .value_kind:     hidden_group_size_x
      - .offset:         94
        .size:           2
        .value_kind:     hidden_group_size_y
      - .offset:         96
        .size:           2
        .value_kind:     hidden_group_size_z
      - .offset:         98
        .size:           2
        .value_kind:     hidden_remainder_x
      - .offset:         100
        .size:           2
        .value_kind:     hidden_remainder_y
      - .offset:         102
        .size:           2
        .value_kind:     hidden_remainder_z
      - .offset:         120
        .size:           8
        .value_kind:     hidden_global_offset_x
      - .offset:         128
        .size:           8
        .value_kind:     hidden_global_offset_y
      - .offset:         136
        .size:           8
        .value_kind:     hidden_global_offset_z
      - .offset:         144
        .size:           2
        .value_kind:     hidden_grid_dims
    .group_segment_fixed_size: 0
    .kernarg_segment_align: 8
    .kernarg_segment_size: 336
    .language:       OpenCL C
    .language_version:
      - 2
      - 0
    .max_flat_workgroup_size: 256
    .name:           _ZN7rocprim17ROCPRIM_400000_NS6detail30init_device_scan_by_key_kernelINS1_19lookback_scan_stateINS0_5tupleIJxbEEELb0ELb0EEEN6thrust23THRUST_200600_302600_NS6detail15normal_iteratorINS8_10device_ptrIxEEEEjNS1_16block_id_wrapperIjLb1EEEEEvT_jjPNSG_10value_typeET0_PNSt15iterator_traitsISJ_E10value_typeEmT1_T2_
    .private_segment_fixed_size: 0
    .sgpr_count:     23
    .sgpr_spill_count: 0
    .symbol:         _ZN7rocprim17ROCPRIM_400000_NS6detail30init_device_scan_by_key_kernelINS1_19lookback_scan_stateINS0_5tupleIJxbEEELb0ELb0EEEN6thrust23THRUST_200600_302600_NS6detail15normal_iteratorINS8_10device_ptrIxEEEEjNS1_16block_id_wrapperIjLb1EEEEEvT_jjPNSG_10value_typeET0_PNSt15iterator_traitsISJ_E10value_typeEmT1_T2_.kd
    .uniform_work_group_size: 1
    .uses_dynamic_stack: false
    .vgpr_count:     8
    .vgpr_spill_count: 0
    .wavefront_size: 32
  - .args:
      - .offset:         0
        .size:           24
        .value_kind:     by_value
      - .offset:         24
        .size:           4
        .value_kind:     by_value
      - .offset:         28
        .size:           4
        .value_kind:     by_value
      - .address_space:  global
        .offset:         32
        .size:           8
        .value_kind:     global_buffer
      - .address_space:  global
        .offset:         40
        .size:           8
        .value_kind:     global_buffer
      - .offset:         48
        .size:           4
        .value_kind:     hidden_block_count_x
      - .offset:         52
        .size:           4
        .value_kind:     hidden_block_count_y
      - .offset:         56
        .size:           4
        .value_kind:     hidden_block_count_z
      - .offset:         60
        .size:           2
        .value_kind:     hidden_group_size_x
      - .offset:         62
        .size:           2
        .value_kind:     hidden_group_size_y
      - .offset:         64
        .size:           2
        .value_kind:     hidden_group_size_z
      - .offset:         66
        .size:           2
        .value_kind:     hidden_remainder_x
      - .offset:         68
        .size:           2
        .value_kind:     hidden_remainder_y
      - .offset:         70
        .size:           2
        .value_kind:     hidden_remainder_z
      - .offset:         88
        .size:           8
        .value_kind:     hidden_global_offset_x
      - .offset:         96
        .size:           8
        .value_kind:     hidden_global_offset_y
      - .offset:         104
        .size:           8
        .value_kind:     hidden_global_offset_z
      - .offset:         112
        .size:           2
        .value_kind:     hidden_grid_dims
    .group_segment_fixed_size: 0
    .kernarg_segment_align: 8
    .kernarg_segment_size: 304
    .language:       OpenCL C
    .language_version:
      - 2
      - 0
    .max_flat_workgroup_size: 256
    .name:           _ZN7rocprim17ROCPRIM_400000_NS6detail30init_device_scan_by_key_kernelINS1_19lookback_scan_stateINS0_5tupleIJxbEEELb0ELb0EEENS1_16block_id_wrapperIjLb1EEEEEvT_jjPNS9_10value_typeET0_
    .private_segment_fixed_size: 0
    .sgpr_count:     19
    .sgpr_spill_count: 0
    .symbol:         _ZN7rocprim17ROCPRIM_400000_NS6detail30init_device_scan_by_key_kernelINS1_19lookback_scan_stateINS0_5tupleIJxbEEELb0ELb0EEENS1_16block_id_wrapperIjLb1EEEEEvT_jjPNS9_10value_typeET0_.kd
    .uniform_work_group_size: 1
    .uses_dynamic_stack: false
    .vgpr_count:     5
    .vgpr_spill_count: 0
    .wavefront_size: 32
  - .args:
      - .offset:         0
        .size:           136
        .value_kind:     by_value
    .group_segment_fixed_size: 32768
    .kernarg_segment_align: 8
    .kernarg_segment_size: 136
    .language:       OpenCL C
    .language_version:
      - 2
      - 0
    .max_flat_workgroup_size: 256
    .name:           _ZN7rocprim17ROCPRIM_400000_NS6detail17trampoline_kernelINS0_14default_configENS1_27scan_by_key_config_selectorIxxEEZZNS1_16scan_by_key_implILNS1_25lookback_scan_determinismE0ELb0ES3_N6thrust23THRUST_200600_302600_NS6detail15normal_iteratorINS9_10device_ptrIxEEEESE_SE_xNS9_4plusIvEENS9_8equal_toIvEExEE10hipError_tPvRmT2_T3_T4_T5_mT6_T7_P12ihipStream_tbENKUlT_T0_E_clISt17integral_constantIbLb0EESY_IbLb1EEEEDaSU_SV_EUlSU_E_NS1_11comp_targetILNS1_3genE0ELNS1_11target_archE4294967295ELNS1_3gpuE0ELNS1_3repE0EEENS1_30default_config_static_selectorELNS0_4arch9wavefront6targetE0EEEvT1_
    .private_segment_fixed_size: 0
    .sgpr_count:     58
    .sgpr_spill_count: 0
    .symbol:         _ZN7rocprim17ROCPRIM_400000_NS6detail17trampoline_kernelINS0_14default_configENS1_27scan_by_key_config_selectorIxxEEZZNS1_16scan_by_key_implILNS1_25lookback_scan_determinismE0ELb0ES3_N6thrust23THRUST_200600_302600_NS6detail15normal_iteratorINS9_10device_ptrIxEEEESE_SE_xNS9_4plusIvEENS9_8equal_toIvEExEE10hipError_tPvRmT2_T3_T4_T5_mT6_T7_P12ihipStream_tbENKUlT_T0_E_clISt17integral_constantIbLb0EESY_IbLb1EEEEDaSU_SV_EUlSU_E_NS1_11comp_targetILNS1_3genE0ELNS1_11target_archE4294967295ELNS1_3gpuE0ELNS1_3repE0EEENS1_30default_config_static_selectorELNS0_4arch9wavefront6targetE0EEEvT1_.kd
    .uniform_work_group_size: 1
    .uses_dynamic_stack: false
    .vgpr_count:     111
    .vgpr_spill_count: 0
    .wavefront_size: 32
  - .args:
      - .offset:         0
        .size:           136
        .value_kind:     by_value
    .group_segment_fixed_size: 0
    .kernarg_segment_align: 8
    .kernarg_segment_size: 136
    .language:       OpenCL C
    .language_version:
      - 2
      - 0
    .max_flat_workgroup_size: 256
    .name:           _ZN7rocprim17ROCPRIM_400000_NS6detail17trampoline_kernelINS0_14default_configENS1_27scan_by_key_config_selectorIxxEEZZNS1_16scan_by_key_implILNS1_25lookback_scan_determinismE0ELb0ES3_N6thrust23THRUST_200600_302600_NS6detail15normal_iteratorINS9_10device_ptrIxEEEESE_SE_xNS9_4plusIvEENS9_8equal_toIvEExEE10hipError_tPvRmT2_T3_T4_T5_mT6_T7_P12ihipStream_tbENKUlT_T0_E_clISt17integral_constantIbLb0EESY_IbLb1EEEEDaSU_SV_EUlSU_E_NS1_11comp_targetILNS1_3genE10ELNS1_11target_archE1201ELNS1_3gpuE5ELNS1_3repE0EEENS1_30default_config_static_selectorELNS0_4arch9wavefront6targetE0EEEvT1_
    .private_segment_fixed_size: 0
    .sgpr_count:     0
    .sgpr_spill_count: 0
    .symbol:         _ZN7rocprim17ROCPRIM_400000_NS6detail17trampoline_kernelINS0_14default_configENS1_27scan_by_key_config_selectorIxxEEZZNS1_16scan_by_key_implILNS1_25lookback_scan_determinismE0ELb0ES3_N6thrust23THRUST_200600_302600_NS6detail15normal_iteratorINS9_10device_ptrIxEEEESE_SE_xNS9_4plusIvEENS9_8equal_toIvEExEE10hipError_tPvRmT2_T3_T4_T5_mT6_T7_P12ihipStream_tbENKUlT_T0_E_clISt17integral_constantIbLb0EESY_IbLb1EEEEDaSU_SV_EUlSU_E_NS1_11comp_targetILNS1_3genE10ELNS1_11target_archE1201ELNS1_3gpuE5ELNS1_3repE0EEENS1_30default_config_static_selectorELNS0_4arch9wavefront6targetE0EEEvT1_.kd
    .uniform_work_group_size: 1
    .uses_dynamic_stack: false
    .vgpr_count:     0
    .vgpr_spill_count: 0
    .wavefront_size: 32
  - .args:
      - .offset:         0
        .size:           136
        .value_kind:     by_value
    .group_segment_fixed_size: 0
    .kernarg_segment_align: 8
    .kernarg_segment_size: 136
    .language:       OpenCL C
    .language_version:
      - 2
      - 0
    .max_flat_workgroup_size: 256
    .name:           _ZN7rocprim17ROCPRIM_400000_NS6detail17trampoline_kernelINS0_14default_configENS1_27scan_by_key_config_selectorIxxEEZZNS1_16scan_by_key_implILNS1_25lookback_scan_determinismE0ELb0ES3_N6thrust23THRUST_200600_302600_NS6detail15normal_iteratorINS9_10device_ptrIxEEEESE_SE_xNS9_4plusIvEENS9_8equal_toIvEExEE10hipError_tPvRmT2_T3_T4_T5_mT6_T7_P12ihipStream_tbENKUlT_T0_E_clISt17integral_constantIbLb0EESY_IbLb1EEEEDaSU_SV_EUlSU_E_NS1_11comp_targetILNS1_3genE5ELNS1_11target_archE942ELNS1_3gpuE9ELNS1_3repE0EEENS1_30default_config_static_selectorELNS0_4arch9wavefront6targetE0EEEvT1_
    .private_segment_fixed_size: 0
    .sgpr_count:     0
    .sgpr_spill_count: 0
    .symbol:         _ZN7rocprim17ROCPRIM_400000_NS6detail17trampoline_kernelINS0_14default_configENS1_27scan_by_key_config_selectorIxxEEZZNS1_16scan_by_key_implILNS1_25lookback_scan_determinismE0ELb0ES3_N6thrust23THRUST_200600_302600_NS6detail15normal_iteratorINS9_10device_ptrIxEEEESE_SE_xNS9_4plusIvEENS9_8equal_toIvEExEE10hipError_tPvRmT2_T3_T4_T5_mT6_T7_P12ihipStream_tbENKUlT_T0_E_clISt17integral_constantIbLb0EESY_IbLb1EEEEDaSU_SV_EUlSU_E_NS1_11comp_targetILNS1_3genE5ELNS1_11target_archE942ELNS1_3gpuE9ELNS1_3repE0EEENS1_30default_config_static_selectorELNS0_4arch9wavefront6targetE0EEEvT1_.kd
    .uniform_work_group_size: 1
    .uses_dynamic_stack: false
    .vgpr_count:     0
    .vgpr_spill_count: 0
    .wavefront_size: 32
  - .args:
      - .offset:         0
        .size:           136
        .value_kind:     by_value
    .group_segment_fixed_size: 0
    .kernarg_segment_align: 8
    .kernarg_segment_size: 136
    .language:       OpenCL C
    .language_version:
      - 2
      - 0
    .max_flat_workgroup_size: 64
    .name:           _ZN7rocprim17ROCPRIM_400000_NS6detail17trampoline_kernelINS0_14default_configENS1_27scan_by_key_config_selectorIxxEEZZNS1_16scan_by_key_implILNS1_25lookback_scan_determinismE0ELb0ES3_N6thrust23THRUST_200600_302600_NS6detail15normal_iteratorINS9_10device_ptrIxEEEESE_SE_xNS9_4plusIvEENS9_8equal_toIvEExEE10hipError_tPvRmT2_T3_T4_T5_mT6_T7_P12ihipStream_tbENKUlT_T0_E_clISt17integral_constantIbLb0EESY_IbLb1EEEEDaSU_SV_EUlSU_E_NS1_11comp_targetILNS1_3genE4ELNS1_11target_archE910ELNS1_3gpuE8ELNS1_3repE0EEENS1_30default_config_static_selectorELNS0_4arch9wavefront6targetE0EEEvT1_
    .private_segment_fixed_size: 0
    .sgpr_count:     0
    .sgpr_spill_count: 0
    .symbol:         _ZN7rocprim17ROCPRIM_400000_NS6detail17trampoline_kernelINS0_14default_configENS1_27scan_by_key_config_selectorIxxEEZZNS1_16scan_by_key_implILNS1_25lookback_scan_determinismE0ELb0ES3_N6thrust23THRUST_200600_302600_NS6detail15normal_iteratorINS9_10device_ptrIxEEEESE_SE_xNS9_4plusIvEENS9_8equal_toIvEExEE10hipError_tPvRmT2_T3_T4_T5_mT6_T7_P12ihipStream_tbENKUlT_T0_E_clISt17integral_constantIbLb0EESY_IbLb1EEEEDaSU_SV_EUlSU_E_NS1_11comp_targetILNS1_3genE4ELNS1_11target_archE910ELNS1_3gpuE8ELNS1_3repE0EEENS1_30default_config_static_selectorELNS0_4arch9wavefront6targetE0EEEvT1_.kd
    .uniform_work_group_size: 1
    .uses_dynamic_stack: false
    .vgpr_count:     0
    .vgpr_spill_count: 0
    .wavefront_size: 32
  - .args:
      - .offset:         0
        .size:           136
        .value_kind:     by_value
    .group_segment_fixed_size: 0
    .kernarg_segment_align: 8
    .kernarg_segment_size: 136
    .language:       OpenCL C
    .language_version:
      - 2
      - 0
    .max_flat_workgroup_size: 256
    .name:           _ZN7rocprim17ROCPRIM_400000_NS6detail17trampoline_kernelINS0_14default_configENS1_27scan_by_key_config_selectorIxxEEZZNS1_16scan_by_key_implILNS1_25lookback_scan_determinismE0ELb0ES3_N6thrust23THRUST_200600_302600_NS6detail15normal_iteratorINS9_10device_ptrIxEEEESE_SE_xNS9_4plusIvEENS9_8equal_toIvEExEE10hipError_tPvRmT2_T3_T4_T5_mT6_T7_P12ihipStream_tbENKUlT_T0_E_clISt17integral_constantIbLb0EESY_IbLb1EEEEDaSU_SV_EUlSU_E_NS1_11comp_targetILNS1_3genE3ELNS1_11target_archE908ELNS1_3gpuE7ELNS1_3repE0EEENS1_30default_config_static_selectorELNS0_4arch9wavefront6targetE0EEEvT1_
    .private_segment_fixed_size: 0
    .sgpr_count:     0
    .sgpr_spill_count: 0
    .symbol:         _ZN7rocprim17ROCPRIM_400000_NS6detail17trampoline_kernelINS0_14default_configENS1_27scan_by_key_config_selectorIxxEEZZNS1_16scan_by_key_implILNS1_25lookback_scan_determinismE0ELb0ES3_N6thrust23THRUST_200600_302600_NS6detail15normal_iteratorINS9_10device_ptrIxEEEESE_SE_xNS9_4plusIvEENS9_8equal_toIvEExEE10hipError_tPvRmT2_T3_T4_T5_mT6_T7_P12ihipStream_tbENKUlT_T0_E_clISt17integral_constantIbLb0EESY_IbLb1EEEEDaSU_SV_EUlSU_E_NS1_11comp_targetILNS1_3genE3ELNS1_11target_archE908ELNS1_3gpuE7ELNS1_3repE0EEENS1_30default_config_static_selectorELNS0_4arch9wavefront6targetE0EEEvT1_.kd
    .uniform_work_group_size: 1
    .uses_dynamic_stack: false
    .vgpr_count:     0
    .vgpr_spill_count: 0
    .wavefront_size: 32
  - .args:
      - .offset:         0
        .size:           136
        .value_kind:     by_value
    .group_segment_fixed_size: 0
    .kernarg_segment_align: 8
    .kernarg_segment_size: 136
    .language:       OpenCL C
    .language_version:
      - 2
      - 0
    .max_flat_workgroup_size: 256
    .name:           _ZN7rocprim17ROCPRIM_400000_NS6detail17trampoline_kernelINS0_14default_configENS1_27scan_by_key_config_selectorIxxEEZZNS1_16scan_by_key_implILNS1_25lookback_scan_determinismE0ELb0ES3_N6thrust23THRUST_200600_302600_NS6detail15normal_iteratorINS9_10device_ptrIxEEEESE_SE_xNS9_4plusIvEENS9_8equal_toIvEExEE10hipError_tPvRmT2_T3_T4_T5_mT6_T7_P12ihipStream_tbENKUlT_T0_E_clISt17integral_constantIbLb0EESY_IbLb1EEEEDaSU_SV_EUlSU_E_NS1_11comp_targetILNS1_3genE2ELNS1_11target_archE906ELNS1_3gpuE6ELNS1_3repE0EEENS1_30default_config_static_selectorELNS0_4arch9wavefront6targetE0EEEvT1_
    .private_segment_fixed_size: 0
    .sgpr_count:     0
    .sgpr_spill_count: 0
    .symbol:         _ZN7rocprim17ROCPRIM_400000_NS6detail17trampoline_kernelINS0_14default_configENS1_27scan_by_key_config_selectorIxxEEZZNS1_16scan_by_key_implILNS1_25lookback_scan_determinismE0ELb0ES3_N6thrust23THRUST_200600_302600_NS6detail15normal_iteratorINS9_10device_ptrIxEEEESE_SE_xNS9_4plusIvEENS9_8equal_toIvEExEE10hipError_tPvRmT2_T3_T4_T5_mT6_T7_P12ihipStream_tbENKUlT_T0_E_clISt17integral_constantIbLb0EESY_IbLb1EEEEDaSU_SV_EUlSU_E_NS1_11comp_targetILNS1_3genE2ELNS1_11target_archE906ELNS1_3gpuE6ELNS1_3repE0EEENS1_30default_config_static_selectorELNS0_4arch9wavefront6targetE0EEEvT1_.kd
    .uniform_work_group_size: 1
    .uses_dynamic_stack: false
    .vgpr_count:     0
    .vgpr_spill_count: 0
    .wavefront_size: 32
  - .args:
      - .offset:         0
        .size:           136
        .value_kind:     by_value
    .group_segment_fixed_size: 0
    .kernarg_segment_align: 8
    .kernarg_segment_size: 136
    .language:       OpenCL C
    .language_version:
      - 2
      - 0
    .max_flat_workgroup_size: 256
    .name:           _ZN7rocprim17ROCPRIM_400000_NS6detail17trampoline_kernelINS0_14default_configENS1_27scan_by_key_config_selectorIxxEEZZNS1_16scan_by_key_implILNS1_25lookback_scan_determinismE0ELb0ES3_N6thrust23THRUST_200600_302600_NS6detail15normal_iteratorINS9_10device_ptrIxEEEESE_SE_xNS9_4plusIvEENS9_8equal_toIvEExEE10hipError_tPvRmT2_T3_T4_T5_mT6_T7_P12ihipStream_tbENKUlT_T0_E_clISt17integral_constantIbLb0EESY_IbLb1EEEEDaSU_SV_EUlSU_E_NS1_11comp_targetILNS1_3genE10ELNS1_11target_archE1200ELNS1_3gpuE4ELNS1_3repE0EEENS1_30default_config_static_selectorELNS0_4arch9wavefront6targetE0EEEvT1_
    .private_segment_fixed_size: 0
    .sgpr_count:     0
    .sgpr_spill_count: 0
    .symbol:         _ZN7rocprim17ROCPRIM_400000_NS6detail17trampoline_kernelINS0_14default_configENS1_27scan_by_key_config_selectorIxxEEZZNS1_16scan_by_key_implILNS1_25lookback_scan_determinismE0ELb0ES3_N6thrust23THRUST_200600_302600_NS6detail15normal_iteratorINS9_10device_ptrIxEEEESE_SE_xNS9_4plusIvEENS9_8equal_toIvEExEE10hipError_tPvRmT2_T3_T4_T5_mT6_T7_P12ihipStream_tbENKUlT_T0_E_clISt17integral_constantIbLb0EESY_IbLb1EEEEDaSU_SV_EUlSU_E_NS1_11comp_targetILNS1_3genE10ELNS1_11target_archE1200ELNS1_3gpuE4ELNS1_3repE0EEENS1_30default_config_static_selectorELNS0_4arch9wavefront6targetE0EEEvT1_.kd
    .uniform_work_group_size: 1
    .uses_dynamic_stack: false
    .vgpr_count:     0
    .vgpr_spill_count: 0
    .wavefront_size: 32
  - .args:
      - .offset:         0
        .size:           136
        .value_kind:     by_value
    .group_segment_fixed_size: 0
    .kernarg_segment_align: 8
    .kernarg_segment_size: 136
    .language:       OpenCL C
    .language_version:
      - 2
      - 0
    .max_flat_workgroup_size: 256
    .name:           _ZN7rocprim17ROCPRIM_400000_NS6detail17trampoline_kernelINS0_14default_configENS1_27scan_by_key_config_selectorIxxEEZZNS1_16scan_by_key_implILNS1_25lookback_scan_determinismE0ELb0ES3_N6thrust23THRUST_200600_302600_NS6detail15normal_iteratorINS9_10device_ptrIxEEEESE_SE_xNS9_4plusIvEENS9_8equal_toIvEExEE10hipError_tPvRmT2_T3_T4_T5_mT6_T7_P12ihipStream_tbENKUlT_T0_E_clISt17integral_constantIbLb0EESY_IbLb1EEEEDaSU_SV_EUlSU_E_NS1_11comp_targetILNS1_3genE9ELNS1_11target_archE1100ELNS1_3gpuE3ELNS1_3repE0EEENS1_30default_config_static_selectorELNS0_4arch9wavefront6targetE0EEEvT1_
    .private_segment_fixed_size: 0
    .sgpr_count:     0
    .sgpr_spill_count: 0
    .symbol:         _ZN7rocprim17ROCPRIM_400000_NS6detail17trampoline_kernelINS0_14default_configENS1_27scan_by_key_config_selectorIxxEEZZNS1_16scan_by_key_implILNS1_25lookback_scan_determinismE0ELb0ES3_N6thrust23THRUST_200600_302600_NS6detail15normal_iteratorINS9_10device_ptrIxEEEESE_SE_xNS9_4plusIvEENS9_8equal_toIvEExEE10hipError_tPvRmT2_T3_T4_T5_mT6_T7_P12ihipStream_tbENKUlT_T0_E_clISt17integral_constantIbLb0EESY_IbLb1EEEEDaSU_SV_EUlSU_E_NS1_11comp_targetILNS1_3genE9ELNS1_11target_archE1100ELNS1_3gpuE3ELNS1_3repE0EEENS1_30default_config_static_selectorELNS0_4arch9wavefront6targetE0EEEvT1_.kd
    .uniform_work_group_size: 1
    .uses_dynamic_stack: false
    .vgpr_count:     0
    .vgpr_spill_count: 0
    .wavefront_size: 32
  - .args:
      - .offset:         0
        .size:           136
        .value_kind:     by_value
    .group_segment_fixed_size: 0
    .kernarg_segment_align: 8
    .kernarg_segment_size: 136
    .language:       OpenCL C
    .language_version:
      - 2
      - 0
    .max_flat_workgroup_size: 256
    .name:           _ZN7rocprim17ROCPRIM_400000_NS6detail17trampoline_kernelINS0_14default_configENS1_27scan_by_key_config_selectorIxxEEZZNS1_16scan_by_key_implILNS1_25lookback_scan_determinismE0ELb0ES3_N6thrust23THRUST_200600_302600_NS6detail15normal_iteratorINS9_10device_ptrIxEEEESE_SE_xNS9_4plusIvEENS9_8equal_toIvEExEE10hipError_tPvRmT2_T3_T4_T5_mT6_T7_P12ihipStream_tbENKUlT_T0_E_clISt17integral_constantIbLb0EESY_IbLb1EEEEDaSU_SV_EUlSU_E_NS1_11comp_targetILNS1_3genE8ELNS1_11target_archE1030ELNS1_3gpuE2ELNS1_3repE0EEENS1_30default_config_static_selectorELNS0_4arch9wavefront6targetE0EEEvT1_
    .private_segment_fixed_size: 0
    .sgpr_count:     0
    .sgpr_spill_count: 0
    .symbol:         _ZN7rocprim17ROCPRIM_400000_NS6detail17trampoline_kernelINS0_14default_configENS1_27scan_by_key_config_selectorIxxEEZZNS1_16scan_by_key_implILNS1_25lookback_scan_determinismE0ELb0ES3_N6thrust23THRUST_200600_302600_NS6detail15normal_iteratorINS9_10device_ptrIxEEEESE_SE_xNS9_4plusIvEENS9_8equal_toIvEExEE10hipError_tPvRmT2_T3_T4_T5_mT6_T7_P12ihipStream_tbENKUlT_T0_E_clISt17integral_constantIbLb0EESY_IbLb1EEEEDaSU_SV_EUlSU_E_NS1_11comp_targetILNS1_3genE8ELNS1_11target_archE1030ELNS1_3gpuE2ELNS1_3repE0EEENS1_30default_config_static_selectorELNS0_4arch9wavefront6targetE0EEEvT1_.kd
    .uniform_work_group_size: 1
    .uses_dynamic_stack: false
    .vgpr_count:     0
    .vgpr_spill_count: 0
    .wavefront_size: 32
  - .args:
      - .offset:         0
        .size:           136
        .value_kind:     by_value
    .group_segment_fixed_size: 32768
    .kernarg_segment_align: 8
    .kernarg_segment_size: 136
    .language:       OpenCL C
    .language_version:
      - 2
      - 0
    .max_flat_workgroup_size: 256
    .name:           _ZN7rocprim17ROCPRIM_400000_NS6detail17trampoline_kernelINS0_14default_configENS1_27scan_by_key_config_selectorIxxEEZZNS1_16scan_by_key_implILNS1_25lookback_scan_determinismE0ELb0ES3_N6thrust23THRUST_200600_302600_NS6detail15normal_iteratorINS9_10device_ptrIxEEEESE_SE_xNS9_10multipliesIxEENS9_8equal_toIxEExEE10hipError_tPvRmT2_T3_T4_T5_mT6_T7_P12ihipStream_tbENKUlT_T0_E_clISt17integral_constantIbLb0EESZ_EEDaSU_SV_EUlSU_E_NS1_11comp_targetILNS1_3genE0ELNS1_11target_archE4294967295ELNS1_3gpuE0ELNS1_3repE0EEENS1_30default_config_static_selectorELNS0_4arch9wavefront6targetE0EEEvT1_
    .private_segment_fixed_size: 0
    .sgpr_count:     54
    .sgpr_spill_count: 0
    .symbol:         _ZN7rocprim17ROCPRIM_400000_NS6detail17trampoline_kernelINS0_14default_configENS1_27scan_by_key_config_selectorIxxEEZZNS1_16scan_by_key_implILNS1_25lookback_scan_determinismE0ELb0ES3_N6thrust23THRUST_200600_302600_NS6detail15normal_iteratorINS9_10device_ptrIxEEEESE_SE_xNS9_10multipliesIxEENS9_8equal_toIxEExEE10hipError_tPvRmT2_T3_T4_T5_mT6_T7_P12ihipStream_tbENKUlT_T0_E_clISt17integral_constantIbLb0EESZ_EEDaSU_SV_EUlSU_E_NS1_11comp_targetILNS1_3genE0ELNS1_11target_archE4294967295ELNS1_3gpuE0ELNS1_3repE0EEENS1_30default_config_static_selectorELNS0_4arch9wavefront6targetE0EEEvT1_.kd
    .uniform_work_group_size: 1
    .uses_dynamic_stack: false
    .vgpr_count:     111
    .vgpr_spill_count: 0
    .wavefront_size: 32
  - .args:
      - .offset:         0
        .size:           136
        .value_kind:     by_value
    .group_segment_fixed_size: 0
    .kernarg_segment_align: 8
    .kernarg_segment_size: 136
    .language:       OpenCL C
    .language_version:
      - 2
      - 0
    .max_flat_workgroup_size: 256
    .name:           _ZN7rocprim17ROCPRIM_400000_NS6detail17trampoline_kernelINS0_14default_configENS1_27scan_by_key_config_selectorIxxEEZZNS1_16scan_by_key_implILNS1_25lookback_scan_determinismE0ELb0ES3_N6thrust23THRUST_200600_302600_NS6detail15normal_iteratorINS9_10device_ptrIxEEEESE_SE_xNS9_10multipliesIxEENS9_8equal_toIxEExEE10hipError_tPvRmT2_T3_T4_T5_mT6_T7_P12ihipStream_tbENKUlT_T0_E_clISt17integral_constantIbLb0EESZ_EEDaSU_SV_EUlSU_E_NS1_11comp_targetILNS1_3genE10ELNS1_11target_archE1201ELNS1_3gpuE5ELNS1_3repE0EEENS1_30default_config_static_selectorELNS0_4arch9wavefront6targetE0EEEvT1_
    .private_segment_fixed_size: 0
    .sgpr_count:     0
    .sgpr_spill_count: 0
    .symbol:         _ZN7rocprim17ROCPRIM_400000_NS6detail17trampoline_kernelINS0_14default_configENS1_27scan_by_key_config_selectorIxxEEZZNS1_16scan_by_key_implILNS1_25lookback_scan_determinismE0ELb0ES3_N6thrust23THRUST_200600_302600_NS6detail15normal_iteratorINS9_10device_ptrIxEEEESE_SE_xNS9_10multipliesIxEENS9_8equal_toIxEExEE10hipError_tPvRmT2_T3_T4_T5_mT6_T7_P12ihipStream_tbENKUlT_T0_E_clISt17integral_constantIbLb0EESZ_EEDaSU_SV_EUlSU_E_NS1_11comp_targetILNS1_3genE10ELNS1_11target_archE1201ELNS1_3gpuE5ELNS1_3repE0EEENS1_30default_config_static_selectorELNS0_4arch9wavefront6targetE0EEEvT1_.kd
    .uniform_work_group_size: 1
    .uses_dynamic_stack: false
    .vgpr_count:     0
    .vgpr_spill_count: 0
    .wavefront_size: 32
  - .args:
      - .offset:         0
        .size:           136
        .value_kind:     by_value
    .group_segment_fixed_size: 0
    .kernarg_segment_align: 8
    .kernarg_segment_size: 136
    .language:       OpenCL C
    .language_version:
      - 2
      - 0
    .max_flat_workgroup_size: 256
    .name:           _ZN7rocprim17ROCPRIM_400000_NS6detail17trampoline_kernelINS0_14default_configENS1_27scan_by_key_config_selectorIxxEEZZNS1_16scan_by_key_implILNS1_25lookback_scan_determinismE0ELb0ES3_N6thrust23THRUST_200600_302600_NS6detail15normal_iteratorINS9_10device_ptrIxEEEESE_SE_xNS9_10multipliesIxEENS9_8equal_toIxEExEE10hipError_tPvRmT2_T3_T4_T5_mT6_T7_P12ihipStream_tbENKUlT_T0_E_clISt17integral_constantIbLb0EESZ_EEDaSU_SV_EUlSU_E_NS1_11comp_targetILNS1_3genE5ELNS1_11target_archE942ELNS1_3gpuE9ELNS1_3repE0EEENS1_30default_config_static_selectorELNS0_4arch9wavefront6targetE0EEEvT1_
    .private_segment_fixed_size: 0
    .sgpr_count:     0
    .sgpr_spill_count: 0
    .symbol:         _ZN7rocprim17ROCPRIM_400000_NS6detail17trampoline_kernelINS0_14default_configENS1_27scan_by_key_config_selectorIxxEEZZNS1_16scan_by_key_implILNS1_25lookback_scan_determinismE0ELb0ES3_N6thrust23THRUST_200600_302600_NS6detail15normal_iteratorINS9_10device_ptrIxEEEESE_SE_xNS9_10multipliesIxEENS9_8equal_toIxEExEE10hipError_tPvRmT2_T3_T4_T5_mT6_T7_P12ihipStream_tbENKUlT_T0_E_clISt17integral_constantIbLb0EESZ_EEDaSU_SV_EUlSU_E_NS1_11comp_targetILNS1_3genE5ELNS1_11target_archE942ELNS1_3gpuE9ELNS1_3repE0EEENS1_30default_config_static_selectorELNS0_4arch9wavefront6targetE0EEEvT1_.kd
    .uniform_work_group_size: 1
    .uses_dynamic_stack: false
    .vgpr_count:     0
    .vgpr_spill_count: 0
    .wavefront_size: 32
  - .args:
      - .offset:         0
        .size:           136
        .value_kind:     by_value
    .group_segment_fixed_size: 0
    .kernarg_segment_align: 8
    .kernarg_segment_size: 136
    .language:       OpenCL C
    .language_version:
      - 2
      - 0
    .max_flat_workgroup_size: 64
    .name:           _ZN7rocprim17ROCPRIM_400000_NS6detail17trampoline_kernelINS0_14default_configENS1_27scan_by_key_config_selectorIxxEEZZNS1_16scan_by_key_implILNS1_25lookback_scan_determinismE0ELb0ES3_N6thrust23THRUST_200600_302600_NS6detail15normal_iteratorINS9_10device_ptrIxEEEESE_SE_xNS9_10multipliesIxEENS9_8equal_toIxEExEE10hipError_tPvRmT2_T3_T4_T5_mT6_T7_P12ihipStream_tbENKUlT_T0_E_clISt17integral_constantIbLb0EESZ_EEDaSU_SV_EUlSU_E_NS1_11comp_targetILNS1_3genE4ELNS1_11target_archE910ELNS1_3gpuE8ELNS1_3repE0EEENS1_30default_config_static_selectorELNS0_4arch9wavefront6targetE0EEEvT1_
    .private_segment_fixed_size: 0
    .sgpr_count:     0
    .sgpr_spill_count: 0
    .symbol:         _ZN7rocprim17ROCPRIM_400000_NS6detail17trampoline_kernelINS0_14default_configENS1_27scan_by_key_config_selectorIxxEEZZNS1_16scan_by_key_implILNS1_25lookback_scan_determinismE0ELb0ES3_N6thrust23THRUST_200600_302600_NS6detail15normal_iteratorINS9_10device_ptrIxEEEESE_SE_xNS9_10multipliesIxEENS9_8equal_toIxEExEE10hipError_tPvRmT2_T3_T4_T5_mT6_T7_P12ihipStream_tbENKUlT_T0_E_clISt17integral_constantIbLb0EESZ_EEDaSU_SV_EUlSU_E_NS1_11comp_targetILNS1_3genE4ELNS1_11target_archE910ELNS1_3gpuE8ELNS1_3repE0EEENS1_30default_config_static_selectorELNS0_4arch9wavefront6targetE0EEEvT1_.kd
    .uniform_work_group_size: 1
    .uses_dynamic_stack: false
    .vgpr_count:     0
    .vgpr_spill_count: 0
    .wavefront_size: 32
  - .args:
      - .offset:         0
        .size:           136
        .value_kind:     by_value
    .group_segment_fixed_size: 0
    .kernarg_segment_align: 8
    .kernarg_segment_size: 136
    .language:       OpenCL C
    .language_version:
      - 2
      - 0
    .max_flat_workgroup_size: 256
    .name:           _ZN7rocprim17ROCPRIM_400000_NS6detail17trampoline_kernelINS0_14default_configENS1_27scan_by_key_config_selectorIxxEEZZNS1_16scan_by_key_implILNS1_25lookback_scan_determinismE0ELb0ES3_N6thrust23THRUST_200600_302600_NS6detail15normal_iteratorINS9_10device_ptrIxEEEESE_SE_xNS9_10multipliesIxEENS9_8equal_toIxEExEE10hipError_tPvRmT2_T3_T4_T5_mT6_T7_P12ihipStream_tbENKUlT_T0_E_clISt17integral_constantIbLb0EESZ_EEDaSU_SV_EUlSU_E_NS1_11comp_targetILNS1_3genE3ELNS1_11target_archE908ELNS1_3gpuE7ELNS1_3repE0EEENS1_30default_config_static_selectorELNS0_4arch9wavefront6targetE0EEEvT1_
    .private_segment_fixed_size: 0
    .sgpr_count:     0
    .sgpr_spill_count: 0
    .symbol:         _ZN7rocprim17ROCPRIM_400000_NS6detail17trampoline_kernelINS0_14default_configENS1_27scan_by_key_config_selectorIxxEEZZNS1_16scan_by_key_implILNS1_25lookback_scan_determinismE0ELb0ES3_N6thrust23THRUST_200600_302600_NS6detail15normal_iteratorINS9_10device_ptrIxEEEESE_SE_xNS9_10multipliesIxEENS9_8equal_toIxEExEE10hipError_tPvRmT2_T3_T4_T5_mT6_T7_P12ihipStream_tbENKUlT_T0_E_clISt17integral_constantIbLb0EESZ_EEDaSU_SV_EUlSU_E_NS1_11comp_targetILNS1_3genE3ELNS1_11target_archE908ELNS1_3gpuE7ELNS1_3repE0EEENS1_30default_config_static_selectorELNS0_4arch9wavefront6targetE0EEEvT1_.kd
    .uniform_work_group_size: 1
    .uses_dynamic_stack: false
    .vgpr_count:     0
    .vgpr_spill_count: 0
    .wavefront_size: 32
  - .args:
      - .offset:         0
        .size:           136
        .value_kind:     by_value
    .group_segment_fixed_size: 0
    .kernarg_segment_align: 8
    .kernarg_segment_size: 136
    .language:       OpenCL C
    .language_version:
      - 2
      - 0
    .max_flat_workgroup_size: 256
    .name:           _ZN7rocprim17ROCPRIM_400000_NS6detail17trampoline_kernelINS0_14default_configENS1_27scan_by_key_config_selectorIxxEEZZNS1_16scan_by_key_implILNS1_25lookback_scan_determinismE0ELb0ES3_N6thrust23THRUST_200600_302600_NS6detail15normal_iteratorINS9_10device_ptrIxEEEESE_SE_xNS9_10multipliesIxEENS9_8equal_toIxEExEE10hipError_tPvRmT2_T3_T4_T5_mT6_T7_P12ihipStream_tbENKUlT_T0_E_clISt17integral_constantIbLb0EESZ_EEDaSU_SV_EUlSU_E_NS1_11comp_targetILNS1_3genE2ELNS1_11target_archE906ELNS1_3gpuE6ELNS1_3repE0EEENS1_30default_config_static_selectorELNS0_4arch9wavefront6targetE0EEEvT1_
    .private_segment_fixed_size: 0
    .sgpr_count:     0
    .sgpr_spill_count: 0
    .symbol:         _ZN7rocprim17ROCPRIM_400000_NS6detail17trampoline_kernelINS0_14default_configENS1_27scan_by_key_config_selectorIxxEEZZNS1_16scan_by_key_implILNS1_25lookback_scan_determinismE0ELb0ES3_N6thrust23THRUST_200600_302600_NS6detail15normal_iteratorINS9_10device_ptrIxEEEESE_SE_xNS9_10multipliesIxEENS9_8equal_toIxEExEE10hipError_tPvRmT2_T3_T4_T5_mT6_T7_P12ihipStream_tbENKUlT_T0_E_clISt17integral_constantIbLb0EESZ_EEDaSU_SV_EUlSU_E_NS1_11comp_targetILNS1_3genE2ELNS1_11target_archE906ELNS1_3gpuE6ELNS1_3repE0EEENS1_30default_config_static_selectorELNS0_4arch9wavefront6targetE0EEEvT1_.kd
    .uniform_work_group_size: 1
    .uses_dynamic_stack: false
    .vgpr_count:     0
    .vgpr_spill_count: 0
    .wavefront_size: 32
  - .args:
      - .offset:         0
        .size:           136
        .value_kind:     by_value
    .group_segment_fixed_size: 0
    .kernarg_segment_align: 8
    .kernarg_segment_size: 136
    .language:       OpenCL C
    .language_version:
      - 2
      - 0
    .max_flat_workgroup_size: 256
    .name:           _ZN7rocprim17ROCPRIM_400000_NS6detail17trampoline_kernelINS0_14default_configENS1_27scan_by_key_config_selectorIxxEEZZNS1_16scan_by_key_implILNS1_25lookback_scan_determinismE0ELb0ES3_N6thrust23THRUST_200600_302600_NS6detail15normal_iteratorINS9_10device_ptrIxEEEESE_SE_xNS9_10multipliesIxEENS9_8equal_toIxEExEE10hipError_tPvRmT2_T3_T4_T5_mT6_T7_P12ihipStream_tbENKUlT_T0_E_clISt17integral_constantIbLb0EESZ_EEDaSU_SV_EUlSU_E_NS1_11comp_targetILNS1_3genE10ELNS1_11target_archE1200ELNS1_3gpuE4ELNS1_3repE0EEENS1_30default_config_static_selectorELNS0_4arch9wavefront6targetE0EEEvT1_
    .private_segment_fixed_size: 0
    .sgpr_count:     0
    .sgpr_spill_count: 0
    .symbol:         _ZN7rocprim17ROCPRIM_400000_NS6detail17trampoline_kernelINS0_14default_configENS1_27scan_by_key_config_selectorIxxEEZZNS1_16scan_by_key_implILNS1_25lookback_scan_determinismE0ELb0ES3_N6thrust23THRUST_200600_302600_NS6detail15normal_iteratorINS9_10device_ptrIxEEEESE_SE_xNS9_10multipliesIxEENS9_8equal_toIxEExEE10hipError_tPvRmT2_T3_T4_T5_mT6_T7_P12ihipStream_tbENKUlT_T0_E_clISt17integral_constantIbLb0EESZ_EEDaSU_SV_EUlSU_E_NS1_11comp_targetILNS1_3genE10ELNS1_11target_archE1200ELNS1_3gpuE4ELNS1_3repE0EEENS1_30default_config_static_selectorELNS0_4arch9wavefront6targetE0EEEvT1_.kd
    .uniform_work_group_size: 1
    .uses_dynamic_stack: false
    .vgpr_count:     0
    .vgpr_spill_count: 0
    .wavefront_size: 32
  - .args:
      - .offset:         0
        .size:           136
        .value_kind:     by_value
    .group_segment_fixed_size: 0
    .kernarg_segment_align: 8
    .kernarg_segment_size: 136
    .language:       OpenCL C
    .language_version:
      - 2
      - 0
    .max_flat_workgroup_size: 256
    .name:           _ZN7rocprim17ROCPRIM_400000_NS6detail17trampoline_kernelINS0_14default_configENS1_27scan_by_key_config_selectorIxxEEZZNS1_16scan_by_key_implILNS1_25lookback_scan_determinismE0ELb0ES3_N6thrust23THRUST_200600_302600_NS6detail15normal_iteratorINS9_10device_ptrIxEEEESE_SE_xNS9_10multipliesIxEENS9_8equal_toIxEExEE10hipError_tPvRmT2_T3_T4_T5_mT6_T7_P12ihipStream_tbENKUlT_T0_E_clISt17integral_constantIbLb0EESZ_EEDaSU_SV_EUlSU_E_NS1_11comp_targetILNS1_3genE9ELNS1_11target_archE1100ELNS1_3gpuE3ELNS1_3repE0EEENS1_30default_config_static_selectorELNS0_4arch9wavefront6targetE0EEEvT1_
    .private_segment_fixed_size: 0
    .sgpr_count:     0
    .sgpr_spill_count: 0
    .symbol:         _ZN7rocprim17ROCPRIM_400000_NS6detail17trampoline_kernelINS0_14default_configENS1_27scan_by_key_config_selectorIxxEEZZNS1_16scan_by_key_implILNS1_25lookback_scan_determinismE0ELb0ES3_N6thrust23THRUST_200600_302600_NS6detail15normal_iteratorINS9_10device_ptrIxEEEESE_SE_xNS9_10multipliesIxEENS9_8equal_toIxEExEE10hipError_tPvRmT2_T3_T4_T5_mT6_T7_P12ihipStream_tbENKUlT_T0_E_clISt17integral_constantIbLb0EESZ_EEDaSU_SV_EUlSU_E_NS1_11comp_targetILNS1_3genE9ELNS1_11target_archE1100ELNS1_3gpuE3ELNS1_3repE0EEENS1_30default_config_static_selectorELNS0_4arch9wavefront6targetE0EEEvT1_.kd
    .uniform_work_group_size: 1
    .uses_dynamic_stack: false
    .vgpr_count:     0
    .vgpr_spill_count: 0
    .wavefront_size: 32
  - .args:
      - .offset:         0
        .size:           136
        .value_kind:     by_value
    .group_segment_fixed_size: 0
    .kernarg_segment_align: 8
    .kernarg_segment_size: 136
    .language:       OpenCL C
    .language_version:
      - 2
      - 0
    .max_flat_workgroup_size: 256
    .name:           _ZN7rocprim17ROCPRIM_400000_NS6detail17trampoline_kernelINS0_14default_configENS1_27scan_by_key_config_selectorIxxEEZZNS1_16scan_by_key_implILNS1_25lookback_scan_determinismE0ELb0ES3_N6thrust23THRUST_200600_302600_NS6detail15normal_iteratorINS9_10device_ptrIxEEEESE_SE_xNS9_10multipliesIxEENS9_8equal_toIxEExEE10hipError_tPvRmT2_T3_T4_T5_mT6_T7_P12ihipStream_tbENKUlT_T0_E_clISt17integral_constantIbLb0EESZ_EEDaSU_SV_EUlSU_E_NS1_11comp_targetILNS1_3genE8ELNS1_11target_archE1030ELNS1_3gpuE2ELNS1_3repE0EEENS1_30default_config_static_selectorELNS0_4arch9wavefront6targetE0EEEvT1_
    .private_segment_fixed_size: 0
    .sgpr_count:     0
    .sgpr_spill_count: 0
    .symbol:         _ZN7rocprim17ROCPRIM_400000_NS6detail17trampoline_kernelINS0_14default_configENS1_27scan_by_key_config_selectorIxxEEZZNS1_16scan_by_key_implILNS1_25lookback_scan_determinismE0ELb0ES3_N6thrust23THRUST_200600_302600_NS6detail15normal_iteratorINS9_10device_ptrIxEEEESE_SE_xNS9_10multipliesIxEENS9_8equal_toIxEExEE10hipError_tPvRmT2_T3_T4_T5_mT6_T7_P12ihipStream_tbENKUlT_T0_E_clISt17integral_constantIbLb0EESZ_EEDaSU_SV_EUlSU_E_NS1_11comp_targetILNS1_3genE8ELNS1_11target_archE1030ELNS1_3gpuE2ELNS1_3repE0EEENS1_30default_config_static_selectorELNS0_4arch9wavefront6targetE0EEEvT1_.kd
    .uniform_work_group_size: 1
    .uses_dynamic_stack: false
    .vgpr_count:     0
    .vgpr_spill_count: 0
    .wavefront_size: 32
  - .args:
      - .offset:         0
        .size:           136
        .value_kind:     by_value
    .group_segment_fixed_size: 0
    .kernarg_segment_align: 8
    .kernarg_segment_size: 136
    .language:       OpenCL C
    .language_version:
      - 2
      - 0
    .max_flat_workgroup_size: 256
    .name:           _ZN7rocprim17ROCPRIM_400000_NS6detail17trampoline_kernelINS0_14default_configENS1_27scan_by_key_config_selectorIxxEEZZNS1_16scan_by_key_implILNS1_25lookback_scan_determinismE0ELb0ES3_N6thrust23THRUST_200600_302600_NS6detail15normal_iteratorINS9_10device_ptrIxEEEESE_SE_xNS9_10multipliesIxEENS9_8equal_toIxEExEE10hipError_tPvRmT2_T3_T4_T5_mT6_T7_P12ihipStream_tbENKUlT_T0_E_clISt17integral_constantIbLb1EESZ_EEDaSU_SV_EUlSU_E_NS1_11comp_targetILNS1_3genE0ELNS1_11target_archE4294967295ELNS1_3gpuE0ELNS1_3repE0EEENS1_30default_config_static_selectorELNS0_4arch9wavefront6targetE0EEEvT1_
    .private_segment_fixed_size: 0
    .sgpr_count:     0
    .sgpr_spill_count: 0
    .symbol:         _ZN7rocprim17ROCPRIM_400000_NS6detail17trampoline_kernelINS0_14default_configENS1_27scan_by_key_config_selectorIxxEEZZNS1_16scan_by_key_implILNS1_25lookback_scan_determinismE0ELb0ES3_N6thrust23THRUST_200600_302600_NS6detail15normal_iteratorINS9_10device_ptrIxEEEESE_SE_xNS9_10multipliesIxEENS9_8equal_toIxEExEE10hipError_tPvRmT2_T3_T4_T5_mT6_T7_P12ihipStream_tbENKUlT_T0_E_clISt17integral_constantIbLb1EESZ_EEDaSU_SV_EUlSU_E_NS1_11comp_targetILNS1_3genE0ELNS1_11target_archE4294967295ELNS1_3gpuE0ELNS1_3repE0EEENS1_30default_config_static_selectorELNS0_4arch9wavefront6targetE0EEEvT1_.kd
    .uniform_work_group_size: 1
    .uses_dynamic_stack: false
    .vgpr_count:     0
    .vgpr_spill_count: 0
    .wavefront_size: 32
  - .args:
      - .offset:         0
        .size:           136
        .value_kind:     by_value
    .group_segment_fixed_size: 0
    .kernarg_segment_align: 8
    .kernarg_segment_size: 136
    .language:       OpenCL C
    .language_version:
      - 2
      - 0
    .max_flat_workgroup_size: 256
    .name:           _ZN7rocprim17ROCPRIM_400000_NS6detail17trampoline_kernelINS0_14default_configENS1_27scan_by_key_config_selectorIxxEEZZNS1_16scan_by_key_implILNS1_25lookback_scan_determinismE0ELb0ES3_N6thrust23THRUST_200600_302600_NS6detail15normal_iteratorINS9_10device_ptrIxEEEESE_SE_xNS9_10multipliesIxEENS9_8equal_toIxEExEE10hipError_tPvRmT2_T3_T4_T5_mT6_T7_P12ihipStream_tbENKUlT_T0_E_clISt17integral_constantIbLb1EESZ_EEDaSU_SV_EUlSU_E_NS1_11comp_targetILNS1_3genE10ELNS1_11target_archE1201ELNS1_3gpuE5ELNS1_3repE0EEENS1_30default_config_static_selectorELNS0_4arch9wavefront6targetE0EEEvT1_
    .private_segment_fixed_size: 0
    .sgpr_count:     0
    .sgpr_spill_count: 0
    .symbol:         _ZN7rocprim17ROCPRIM_400000_NS6detail17trampoline_kernelINS0_14default_configENS1_27scan_by_key_config_selectorIxxEEZZNS1_16scan_by_key_implILNS1_25lookback_scan_determinismE0ELb0ES3_N6thrust23THRUST_200600_302600_NS6detail15normal_iteratorINS9_10device_ptrIxEEEESE_SE_xNS9_10multipliesIxEENS9_8equal_toIxEExEE10hipError_tPvRmT2_T3_T4_T5_mT6_T7_P12ihipStream_tbENKUlT_T0_E_clISt17integral_constantIbLb1EESZ_EEDaSU_SV_EUlSU_E_NS1_11comp_targetILNS1_3genE10ELNS1_11target_archE1201ELNS1_3gpuE5ELNS1_3repE0EEENS1_30default_config_static_selectorELNS0_4arch9wavefront6targetE0EEEvT1_.kd
    .uniform_work_group_size: 1
    .uses_dynamic_stack: false
    .vgpr_count:     0
    .vgpr_spill_count: 0
    .wavefront_size: 32
  - .args:
      - .offset:         0
        .size:           136
        .value_kind:     by_value
    .group_segment_fixed_size: 0
    .kernarg_segment_align: 8
    .kernarg_segment_size: 136
    .language:       OpenCL C
    .language_version:
      - 2
      - 0
    .max_flat_workgroup_size: 256
    .name:           _ZN7rocprim17ROCPRIM_400000_NS6detail17trampoline_kernelINS0_14default_configENS1_27scan_by_key_config_selectorIxxEEZZNS1_16scan_by_key_implILNS1_25lookback_scan_determinismE0ELb0ES3_N6thrust23THRUST_200600_302600_NS6detail15normal_iteratorINS9_10device_ptrIxEEEESE_SE_xNS9_10multipliesIxEENS9_8equal_toIxEExEE10hipError_tPvRmT2_T3_T4_T5_mT6_T7_P12ihipStream_tbENKUlT_T0_E_clISt17integral_constantIbLb1EESZ_EEDaSU_SV_EUlSU_E_NS1_11comp_targetILNS1_3genE5ELNS1_11target_archE942ELNS1_3gpuE9ELNS1_3repE0EEENS1_30default_config_static_selectorELNS0_4arch9wavefront6targetE0EEEvT1_
    .private_segment_fixed_size: 0
    .sgpr_count:     0
    .sgpr_spill_count: 0
    .symbol:         _ZN7rocprim17ROCPRIM_400000_NS6detail17trampoline_kernelINS0_14default_configENS1_27scan_by_key_config_selectorIxxEEZZNS1_16scan_by_key_implILNS1_25lookback_scan_determinismE0ELb0ES3_N6thrust23THRUST_200600_302600_NS6detail15normal_iteratorINS9_10device_ptrIxEEEESE_SE_xNS9_10multipliesIxEENS9_8equal_toIxEExEE10hipError_tPvRmT2_T3_T4_T5_mT6_T7_P12ihipStream_tbENKUlT_T0_E_clISt17integral_constantIbLb1EESZ_EEDaSU_SV_EUlSU_E_NS1_11comp_targetILNS1_3genE5ELNS1_11target_archE942ELNS1_3gpuE9ELNS1_3repE0EEENS1_30default_config_static_selectorELNS0_4arch9wavefront6targetE0EEEvT1_.kd
    .uniform_work_group_size: 1
    .uses_dynamic_stack: false
    .vgpr_count:     0
    .vgpr_spill_count: 0
    .wavefront_size: 32
  - .args:
      - .offset:         0
        .size:           136
        .value_kind:     by_value
    .group_segment_fixed_size: 0
    .kernarg_segment_align: 8
    .kernarg_segment_size: 136
    .language:       OpenCL C
    .language_version:
      - 2
      - 0
    .max_flat_workgroup_size: 64
    .name:           _ZN7rocprim17ROCPRIM_400000_NS6detail17trampoline_kernelINS0_14default_configENS1_27scan_by_key_config_selectorIxxEEZZNS1_16scan_by_key_implILNS1_25lookback_scan_determinismE0ELb0ES3_N6thrust23THRUST_200600_302600_NS6detail15normal_iteratorINS9_10device_ptrIxEEEESE_SE_xNS9_10multipliesIxEENS9_8equal_toIxEExEE10hipError_tPvRmT2_T3_T4_T5_mT6_T7_P12ihipStream_tbENKUlT_T0_E_clISt17integral_constantIbLb1EESZ_EEDaSU_SV_EUlSU_E_NS1_11comp_targetILNS1_3genE4ELNS1_11target_archE910ELNS1_3gpuE8ELNS1_3repE0EEENS1_30default_config_static_selectorELNS0_4arch9wavefront6targetE0EEEvT1_
    .private_segment_fixed_size: 0
    .sgpr_count:     0
    .sgpr_spill_count: 0
    .symbol:         _ZN7rocprim17ROCPRIM_400000_NS6detail17trampoline_kernelINS0_14default_configENS1_27scan_by_key_config_selectorIxxEEZZNS1_16scan_by_key_implILNS1_25lookback_scan_determinismE0ELb0ES3_N6thrust23THRUST_200600_302600_NS6detail15normal_iteratorINS9_10device_ptrIxEEEESE_SE_xNS9_10multipliesIxEENS9_8equal_toIxEExEE10hipError_tPvRmT2_T3_T4_T5_mT6_T7_P12ihipStream_tbENKUlT_T0_E_clISt17integral_constantIbLb1EESZ_EEDaSU_SV_EUlSU_E_NS1_11comp_targetILNS1_3genE4ELNS1_11target_archE910ELNS1_3gpuE8ELNS1_3repE0EEENS1_30default_config_static_selectorELNS0_4arch9wavefront6targetE0EEEvT1_.kd
    .uniform_work_group_size: 1
    .uses_dynamic_stack: false
    .vgpr_count:     0
    .vgpr_spill_count: 0
    .wavefront_size: 32
  - .args:
      - .offset:         0
        .size:           136
        .value_kind:     by_value
    .group_segment_fixed_size: 0
    .kernarg_segment_align: 8
    .kernarg_segment_size: 136
    .language:       OpenCL C
    .language_version:
      - 2
      - 0
    .max_flat_workgroup_size: 256
    .name:           _ZN7rocprim17ROCPRIM_400000_NS6detail17trampoline_kernelINS0_14default_configENS1_27scan_by_key_config_selectorIxxEEZZNS1_16scan_by_key_implILNS1_25lookback_scan_determinismE0ELb0ES3_N6thrust23THRUST_200600_302600_NS6detail15normal_iteratorINS9_10device_ptrIxEEEESE_SE_xNS9_10multipliesIxEENS9_8equal_toIxEExEE10hipError_tPvRmT2_T3_T4_T5_mT6_T7_P12ihipStream_tbENKUlT_T0_E_clISt17integral_constantIbLb1EESZ_EEDaSU_SV_EUlSU_E_NS1_11comp_targetILNS1_3genE3ELNS1_11target_archE908ELNS1_3gpuE7ELNS1_3repE0EEENS1_30default_config_static_selectorELNS0_4arch9wavefront6targetE0EEEvT1_
    .private_segment_fixed_size: 0
    .sgpr_count:     0
    .sgpr_spill_count: 0
    .symbol:         _ZN7rocprim17ROCPRIM_400000_NS6detail17trampoline_kernelINS0_14default_configENS1_27scan_by_key_config_selectorIxxEEZZNS1_16scan_by_key_implILNS1_25lookback_scan_determinismE0ELb0ES3_N6thrust23THRUST_200600_302600_NS6detail15normal_iteratorINS9_10device_ptrIxEEEESE_SE_xNS9_10multipliesIxEENS9_8equal_toIxEExEE10hipError_tPvRmT2_T3_T4_T5_mT6_T7_P12ihipStream_tbENKUlT_T0_E_clISt17integral_constantIbLb1EESZ_EEDaSU_SV_EUlSU_E_NS1_11comp_targetILNS1_3genE3ELNS1_11target_archE908ELNS1_3gpuE7ELNS1_3repE0EEENS1_30default_config_static_selectorELNS0_4arch9wavefront6targetE0EEEvT1_.kd
    .uniform_work_group_size: 1
    .uses_dynamic_stack: false
    .vgpr_count:     0
    .vgpr_spill_count: 0
    .wavefront_size: 32
  - .args:
      - .offset:         0
        .size:           136
        .value_kind:     by_value
    .group_segment_fixed_size: 0
    .kernarg_segment_align: 8
    .kernarg_segment_size: 136
    .language:       OpenCL C
    .language_version:
      - 2
      - 0
    .max_flat_workgroup_size: 256
    .name:           _ZN7rocprim17ROCPRIM_400000_NS6detail17trampoline_kernelINS0_14default_configENS1_27scan_by_key_config_selectorIxxEEZZNS1_16scan_by_key_implILNS1_25lookback_scan_determinismE0ELb0ES3_N6thrust23THRUST_200600_302600_NS6detail15normal_iteratorINS9_10device_ptrIxEEEESE_SE_xNS9_10multipliesIxEENS9_8equal_toIxEExEE10hipError_tPvRmT2_T3_T4_T5_mT6_T7_P12ihipStream_tbENKUlT_T0_E_clISt17integral_constantIbLb1EESZ_EEDaSU_SV_EUlSU_E_NS1_11comp_targetILNS1_3genE2ELNS1_11target_archE906ELNS1_3gpuE6ELNS1_3repE0EEENS1_30default_config_static_selectorELNS0_4arch9wavefront6targetE0EEEvT1_
    .private_segment_fixed_size: 0
    .sgpr_count:     0
    .sgpr_spill_count: 0
    .symbol:         _ZN7rocprim17ROCPRIM_400000_NS6detail17trampoline_kernelINS0_14default_configENS1_27scan_by_key_config_selectorIxxEEZZNS1_16scan_by_key_implILNS1_25lookback_scan_determinismE0ELb0ES3_N6thrust23THRUST_200600_302600_NS6detail15normal_iteratorINS9_10device_ptrIxEEEESE_SE_xNS9_10multipliesIxEENS9_8equal_toIxEExEE10hipError_tPvRmT2_T3_T4_T5_mT6_T7_P12ihipStream_tbENKUlT_T0_E_clISt17integral_constantIbLb1EESZ_EEDaSU_SV_EUlSU_E_NS1_11comp_targetILNS1_3genE2ELNS1_11target_archE906ELNS1_3gpuE6ELNS1_3repE0EEENS1_30default_config_static_selectorELNS0_4arch9wavefront6targetE0EEEvT1_.kd
    .uniform_work_group_size: 1
    .uses_dynamic_stack: false
    .vgpr_count:     0
    .vgpr_spill_count: 0
    .wavefront_size: 32
  - .args:
      - .offset:         0
        .size:           136
        .value_kind:     by_value
    .group_segment_fixed_size: 0
    .kernarg_segment_align: 8
    .kernarg_segment_size: 136
    .language:       OpenCL C
    .language_version:
      - 2
      - 0
    .max_flat_workgroup_size: 256
    .name:           _ZN7rocprim17ROCPRIM_400000_NS6detail17trampoline_kernelINS0_14default_configENS1_27scan_by_key_config_selectorIxxEEZZNS1_16scan_by_key_implILNS1_25lookback_scan_determinismE0ELb0ES3_N6thrust23THRUST_200600_302600_NS6detail15normal_iteratorINS9_10device_ptrIxEEEESE_SE_xNS9_10multipliesIxEENS9_8equal_toIxEExEE10hipError_tPvRmT2_T3_T4_T5_mT6_T7_P12ihipStream_tbENKUlT_T0_E_clISt17integral_constantIbLb1EESZ_EEDaSU_SV_EUlSU_E_NS1_11comp_targetILNS1_3genE10ELNS1_11target_archE1200ELNS1_3gpuE4ELNS1_3repE0EEENS1_30default_config_static_selectorELNS0_4arch9wavefront6targetE0EEEvT1_
    .private_segment_fixed_size: 0
    .sgpr_count:     0
    .sgpr_spill_count: 0
    .symbol:         _ZN7rocprim17ROCPRIM_400000_NS6detail17trampoline_kernelINS0_14default_configENS1_27scan_by_key_config_selectorIxxEEZZNS1_16scan_by_key_implILNS1_25lookback_scan_determinismE0ELb0ES3_N6thrust23THRUST_200600_302600_NS6detail15normal_iteratorINS9_10device_ptrIxEEEESE_SE_xNS9_10multipliesIxEENS9_8equal_toIxEExEE10hipError_tPvRmT2_T3_T4_T5_mT6_T7_P12ihipStream_tbENKUlT_T0_E_clISt17integral_constantIbLb1EESZ_EEDaSU_SV_EUlSU_E_NS1_11comp_targetILNS1_3genE10ELNS1_11target_archE1200ELNS1_3gpuE4ELNS1_3repE0EEENS1_30default_config_static_selectorELNS0_4arch9wavefront6targetE0EEEvT1_.kd
    .uniform_work_group_size: 1
    .uses_dynamic_stack: false
    .vgpr_count:     0
    .vgpr_spill_count: 0
    .wavefront_size: 32
  - .args:
      - .offset:         0
        .size:           136
        .value_kind:     by_value
    .group_segment_fixed_size: 0
    .kernarg_segment_align: 8
    .kernarg_segment_size: 136
    .language:       OpenCL C
    .language_version:
      - 2
      - 0
    .max_flat_workgroup_size: 256
    .name:           _ZN7rocprim17ROCPRIM_400000_NS6detail17trampoline_kernelINS0_14default_configENS1_27scan_by_key_config_selectorIxxEEZZNS1_16scan_by_key_implILNS1_25lookback_scan_determinismE0ELb0ES3_N6thrust23THRUST_200600_302600_NS6detail15normal_iteratorINS9_10device_ptrIxEEEESE_SE_xNS9_10multipliesIxEENS9_8equal_toIxEExEE10hipError_tPvRmT2_T3_T4_T5_mT6_T7_P12ihipStream_tbENKUlT_T0_E_clISt17integral_constantIbLb1EESZ_EEDaSU_SV_EUlSU_E_NS1_11comp_targetILNS1_3genE9ELNS1_11target_archE1100ELNS1_3gpuE3ELNS1_3repE0EEENS1_30default_config_static_selectorELNS0_4arch9wavefront6targetE0EEEvT1_
    .private_segment_fixed_size: 0
    .sgpr_count:     0
    .sgpr_spill_count: 0
    .symbol:         _ZN7rocprim17ROCPRIM_400000_NS6detail17trampoline_kernelINS0_14default_configENS1_27scan_by_key_config_selectorIxxEEZZNS1_16scan_by_key_implILNS1_25lookback_scan_determinismE0ELb0ES3_N6thrust23THRUST_200600_302600_NS6detail15normal_iteratorINS9_10device_ptrIxEEEESE_SE_xNS9_10multipliesIxEENS9_8equal_toIxEExEE10hipError_tPvRmT2_T3_T4_T5_mT6_T7_P12ihipStream_tbENKUlT_T0_E_clISt17integral_constantIbLb1EESZ_EEDaSU_SV_EUlSU_E_NS1_11comp_targetILNS1_3genE9ELNS1_11target_archE1100ELNS1_3gpuE3ELNS1_3repE0EEENS1_30default_config_static_selectorELNS0_4arch9wavefront6targetE0EEEvT1_.kd
    .uniform_work_group_size: 1
    .uses_dynamic_stack: false
    .vgpr_count:     0
    .vgpr_spill_count: 0
    .wavefront_size: 32
  - .args:
      - .offset:         0
        .size:           136
        .value_kind:     by_value
    .group_segment_fixed_size: 0
    .kernarg_segment_align: 8
    .kernarg_segment_size: 136
    .language:       OpenCL C
    .language_version:
      - 2
      - 0
    .max_flat_workgroup_size: 256
    .name:           _ZN7rocprim17ROCPRIM_400000_NS6detail17trampoline_kernelINS0_14default_configENS1_27scan_by_key_config_selectorIxxEEZZNS1_16scan_by_key_implILNS1_25lookback_scan_determinismE0ELb0ES3_N6thrust23THRUST_200600_302600_NS6detail15normal_iteratorINS9_10device_ptrIxEEEESE_SE_xNS9_10multipliesIxEENS9_8equal_toIxEExEE10hipError_tPvRmT2_T3_T4_T5_mT6_T7_P12ihipStream_tbENKUlT_T0_E_clISt17integral_constantIbLb1EESZ_EEDaSU_SV_EUlSU_E_NS1_11comp_targetILNS1_3genE8ELNS1_11target_archE1030ELNS1_3gpuE2ELNS1_3repE0EEENS1_30default_config_static_selectorELNS0_4arch9wavefront6targetE0EEEvT1_
    .private_segment_fixed_size: 0
    .sgpr_count:     0
    .sgpr_spill_count: 0
    .symbol:         _ZN7rocprim17ROCPRIM_400000_NS6detail17trampoline_kernelINS0_14default_configENS1_27scan_by_key_config_selectorIxxEEZZNS1_16scan_by_key_implILNS1_25lookback_scan_determinismE0ELb0ES3_N6thrust23THRUST_200600_302600_NS6detail15normal_iteratorINS9_10device_ptrIxEEEESE_SE_xNS9_10multipliesIxEENS9_8equal_toIxEExEE10hipError_tPvRmT2_T3_T4_T5_mT6_T7_P12ihipStream_tbENKUlT_T0_E_clISt17integral_constantIbLb1EESZ_EEDaSU_SV_EUlSU_E_NS1_11comp_targetILNS1_3genE8ELNS1_11target_archE1030ELNS1_3gpuE2ELNS1_3repE0EEENS1_30default_config_static_selectorELNS0_4arch9wavefront6targetE0EEEvT1_.kd
    .uniform_work_group_size: 1
    .uses_dynamic_stack: false
    .vgpr_count:     0
    .vgpr_spill_count: 0
    .wavefront_size: 32
  - .args:
      - .offset:         0
        .size:           136
        .value_kind:     by_value
    .group_segment_fixed_size: 0
    .kernarg_segment_align: 8
    .kernarg_segment_size: 136
    .language:       OpenCL C
    .language_version:
      - 2
      - 0
    .max_flat_workgroup_size: 256
    .name:           _ZN7rocprim17ROCPRIM_400000_NS6detail17trampoline_kernelINS0_14default_configENS1_27scan_by_key_config_selectorIxxEEZZNS1_16scan_by_key_implILNS1_25lookback_scan_determinismE0ELb0ES3_N6thrust23THRUST_200600_302600_NS6detail15normal_iteratorINS9_10device_ptrIxEEEESE_SE_xNS9_10multipliesIxEENS9_8equal_toIxEExEE10hipError_tPvRmT2_T3_T4_T5_mT6_T7_P12ihipStream_tbENKUlT_T0_E_clISt17integral_constantIbLb1EESY_IbLb0EEEEDaSU_SV_EUlSU_E_NS1_11comp_targetILNS1_3genE0ELNS1_11target_archE4294967295ELNS1_3gpuE0ELNS1_3repE0EEENS1_30default_config_static_selectorELNS0_4arch9wavefront6targetE0EEEvT1_
    .private_segment_fixed_size: 0
    .sgpr_count:     0
    .sgpr_spill_count: 0
    .symbol:         _ZN7rocprim17ROCPRIM_400000_NS6detail17trampoline_kernelINS0_14default_configENS1_27scan_by_key_config_selectorIxxEEZZNS1_16scan_by_key_implILNS1_25lookback_scan_determinismE0ELb0ES3_N6thrust23THRUST_200600_302600_NS6detail15normal_iteratorINS9_10device_ptrIxEEEESE_SE_xNS9_10multipliesIxEENS9_8equal_toIxEExEE10hipError_tPvRmT2_T3_T4_T5_mT6_T7_P12ihipStream_tbENKUlT_T0_E_clISt17integral_constantIbLb1EESY_IbLb0EEEEDaSU_SV_EUlSU_E_NS1_11comp_targetILNS1_3genE0ELNS1_11target_archE4294967295ELNS1_3gpuE0ELNS1_3repE0EEENS1_30default_config_static_selectorELNS0_4arch9wavefront6targetE0EEEvT1_.kd
    .uniform_work_group_size: 1
    .uses_dynamic_stack: false
    .vgpr_count:     0
    .vgpr_spill_count: 0
    .wavefront_size: 32
  - .args:
      - .offset:         0
        .size:           136
        .value_kind:     by_value
    .group_segment_fixed_size: 0
    .kernarg_segment_align: 8
    .kernarg_segment_size: 136
    .language:       OpenCL C
    .language_version:
      - 2
      - 0
    .max_flat_workgroup_size: 256
    .name:           _ZN7rocprim17ROCPRIM_400000_NS6detail17trampoline_kernelINS0_14default_configENS1_27scan_by_key_config_selectorIxxEEZZNS1_16scan_by_key_implILNS1_25lookback_scan_determinismE0ELb0ES3_N6thrust23THRUST_200600_302600_NS6detail15normal_iteratorINS9_10device_ptrIxEEEESE_SE_xNS9_10multipliesIxEENS9_8equal_toIxEExEE10hipError_tPvRmT2_T3_T4_T5_mT6_T7_P12ihipStream_tbENKUlT_T0_E_clISt17integral_constantIbLb1EESY_IbLb0EEEEDaSU_SV_EUlSU_E_NS1_11comp_targetILNS1_3genE10ELNS1_11target_archE1201ELNS1_3gpuE5ELNS1_3repE0EEENS1_30default_config_static_selectorELNS0_4arch9wavefront6targetE0EEEvT1_
    .private_segment_fixed_size: 0
    .sgpr_count:     0
    .sgpr_spill_count: 0
    .symbol:         _ZN7rocprim17ROCPRIM_400000_NS6detail17trampoline_kernelINS0_14default_configENS1_27scan_by_key_config_selectorIxxEEZZNS1_16scan_by_key_implILNS1_25lookback_scan_determinismE0ELb0ES3_N6thrust23THRUST_200600_302600_NS6detail15normal_iteratorINS9_10device_ptrIxEEEESE_SE_xNS9_10multipliesIxEENS9_8equal_toIxEExEE10hipError_tPvRmT2_T3_T4_T5_mT6_T7_P12ihipStream_tbENKUlT_T0_E_clISt17integral_constantIbLb1EESY_IbLb0EEEEDaSU_SV_EUlSU_E_NS1_11comp_targetILNS1_3genE10ELNS1_11target_archE1201ELNS1_3gpuE5ELNS1_3repE0EEENS1_30default_config_static_selectorELNS0_4arch9wavefront6targetE0EEEvT1_.kd
    .uniform_work_group_size: 1
    .uses_dynamic_stack: false
    .vgpr_count:     0
    .vgpr_spill_count: 0
    .wavefront_size: 32
  - .args:
      - .offset:         0
        .size:           136
        .value_kind:     by_value
    .group_segment_fixed_size: 0
    .kernarg_segment_align: 8
    .kernarg_segment_size: 136
    .language:       OpenCL C
    .language_version:
      - 2
      - 0
    .max_flat_workgroup_size: 256
    .name:           _ZN7rocprim17ROCPRIM_400000_NS6detail17trampoline_kernelINS0_14default_configENS1_27scan_by_key_config_selectorIxxEEZZNS1_16scan_by_key_implILNS1_25lookback_scan_determinismE0ELb0ES3_N6thrust23THRUST_200600_302600_NS6detail15normal_iteratorINS9_10device_ptrIxEEEESE_SE_xNS9_10multipliesIxEENS9_8equal_toIxEExEE10hipError_tPvRmT2_T3_T4_T5_mT6_T7_P12ihipStream_tbENKUlT_T0_E_clISt17integral_constantIbLb1EESY_IbLb0EEEEDaSU_SV_EUlSU_E_NS1_11comp_targetILNS1_3genE5ELNS1_11target_archE942ELNS1_3gpuE9ELNS1_3repE0EEENS1_30default_config_static_selectorELNS0_4arch9wavefront6targetE0EEEvT1_
    .private_segment_fixed_size: 0
    .sgpr_count:     0
    .sgpr_spill_count: 0
    .symbol:         _ZN7rocprim17ROCPRIM_400000_NS6detail17trampoline_kernelINS0_14default_configENS1_27scan_by_key_config_selectorIxxEEZZNS1_16scan_by_key_implILNS1_25lookback_scan_determinismE0ELb0ES3_N6thrust23THRUST_200600_302600_NS6detail15normal_iteratorINS9_10device_ptrIxEEEESE_SE_xNS9_10multipliesIxEENS9_8equal_toIxEExEE10hipError_tPvRmT2_T3_T4_T5_mT6_T7_P12ihipStream_tbENKUlT_T0_E_clISt17integral_constantIbLb1EESY_IbLb0EEEEDaSU_SV_EUlSU_E_NS1_11comp_targetILNS1_3genE5ELNS1_11target_archE942ELNS1_3gpuE9ELNS1_3repE0EEENS1_30default_config_static_selectorELNS0_4arch9wavefront6targetE0EEEvT1_.kd
    .uniform_work_group_size: 1
    .uses_dynamic_stack: false
    .vgpr_count:     0
    .vgpr_spill_count: 0
    .wavefront_size: 32
  - .args:
      - .offset:         0
        .size:           136
        .value_kind:     by_value
    .group_segment_fixed_size: 0
    .kernarg_segment_align: 8
    .kernarg_segment_size: 136
    .language:       OpenCL C
    .language_version:
      - 2
      - 0
    .max_flat_workgroup_size: 64
    .name:           _ZN7rocprim17ROCPRIM_400000_NS6detail17trampoline_kernelINS0_14default_configENS1_27scan_by_key_config_selectorIxxEEZZNS1_16scan_by_key_implILNS1_25lookback_scan_determinismE0ELb0ES3_N6thrust23THRUST_200600_302600_NS6detail15normal_iteratorINS9_10device_ptrIxEEEESE_SE_xNS9_10multipliesIxEENS9_8equal_toIxEExEE10hipError_tPvRmT2_T3_T4_T5_mT6_T7_P12ihipStream_tbENKUlT_T0_E_clISt17integral_constantIbLb1EESY_IbLb0EEEEDaSU_SV_EUlSU_E_NS1_11comp_targetILNS1_3genE4ELNS1_11target_archE910ELNS1_3gpuE8ELNS1_3repE0EEENS1_30default_config_static_selectorELNS0_4arch9wavefront6targetE0EEEvT1_
    .private_segment_fixed_size: 0
    .sgpr_count:     0
    .sgpr_spill_count: 0
    .symbol:         _ZN7rocprim17ROCPRIM_400000_NS6detail17trampoline_kernelINS0_14default_configENS1_27scan_by_key_config_selectorIxxEEZZNS1_16scan_by_key_implILNS1_25lookback_scan_determinismE0ELb0ES3_N6thrust23THRUST_200600_302600_NS6detail15normal_iteratorINS9_10device_ptrIxEEEESE_SE_xNS9_10multipliesIxEENS9_8equal_toIxEExEE10hipError_tPvRmT2_T3_T4_T5_mT6_T7_P12ihipStream_tbENKUlT_T0_E_clISt17integral_constantIbLb1EESY_IbLb0EEEEDaSU_SV_EUlSU_E_NS1_11comp_targetILNS1_3genE4ELNS1_11target_archE910ELNS1_3gpuE8ELNS1_3repE0EEENS1_30default_config_static_selectorELNS0_4arch9wavefront6targetE0EEEvT1_.kd
    .uniform_work_group_size: 1
    .uses_dynamic_stack: false
    .vgpr_count:     0
    .vgpr_spill_count: 0
    .wavefront_size: 32
  - .args:
      - .offset:         0
        .size:           136
        .value_kind:     by_value
    .group_segment_fixed_size: 0
    .kernarg_segment_align: 8
    .kernarg_segment_size: 136
    .language:       OpenCL C
    .language_version:
      - 2
      - 0
    .max_flat_workgroup_size: 256
    .name:           _ZN7rocprim17ROCPRIM_400000_NS6detail17trampoline_kernelINS0_14default_configENS1_27scan_by_key_config_selectorIxxEEZZNS1_16scan_by_key_implILNS1_25lookback_scan_determinismE0ELb0ES3_N6thrust23THRUST_200600_302600_NS6detail15normal_iteratorINS9_10device_ptrIxEEEESE_SE_xNS9_10multipliesIxEENS9_8equal_toIxEExEE10hipError_tPvRmT2_T3_T4_T5_mT6_T7_P12ihipStream_tbENKUlT_T0_E_clISt17integral_constantIbLb1EESY_IbLb0EEEEDaSU_SV_EUlSU_E_NS1_11comp_targetILNS1_3genE3ELNS1_11target_archE908ELNS1_3gpuE7ELNS1_3repE0EEENS1_30default_config_static_selectorELNS0_4arch9wavefront6targetE0EEEvT1_
    .private_segment_fixed_size: 0
    .sgpr_count:     0
    .sgpr_spill_count: 0
    .symbol:         _ZN7rocprim17ROCPRIM_400000_NS6detail17trampoline_kernelINS0_14default_configENS1_27scan_by_key_config_selectorIxxEEZZNS1_16scan_by_key_implILNS1_25lookback_scan_determinismE0ELb0ES3_N6thrust23THRUST_200600_302600_NS6detail15normal_iteratorINS9_10device_ptrIxEEEESE_SE_xNS9_10multipliesIxEENS9_8equal_toIxEExEE10hipError_tPvRmT2_T3_T4_T5_mT6_T7_P12ihipStream_tbENKUlT_T0_E_clISt17integral_constantIbLb1EESY_IbLb0EEEEDaSU_SV_EUlSU_E_NS1_11comp_targetILNS1_3genE3ELNS1_11target_archE908ELNS1_3gpuE7ELNS1_3repE0EEENS1_30default_config_static_selectorELNS0_4arch9wavefront6targetE0EEEvT1_.kd
    .uniform_work_group_size: 1
    .uses_dynamic_stack: false
    .vgpr_count:     0
    .vgpr_spill_count: 0
    .wavefront_size: 32
  - .args:
      - .offset:         0
        .size:           136
        .value_kind:     by_value
    .group_segment_fixed_size: 0
    .kernarg_segment_align: 8
    .kernarg_segment_size: 136
    .language:       OpenCL C
    .language_version:
      - 2
      - 0
    .max_flat_workgroup_size: 256
    .name:           _ZN7rocprim17ROCPRIM_400000_NS6detail17trampoline_kernelINS0_14default_configENS1_27scan_by_key_config_selectorIxxEEZZNS1_16scan_by_key_implILNS1_25lookback_scan_determinismE0ELb0ES3_N6thrust23THRUST_200600_302600_NS6detail15normal_iteratorINS9_10device_ptrIxEEEESE_SE_xNS9_10multipliesIxEENS9_8equal_toIxEExEE10hipError_tPvRmT2_T3_T4_T5_mT6_T7_P12ihipStream_tbENKUlT_T0_E_clISt17integral_constantIbLb1EESY_IbLb0EEEEDaSU_SV_EUlSU_E_NS1_11comp_targetILNS1_3genE2ELNS1_11target_archE906ELNS1_3gpuE6ELNS1_3repE0EEENS1_30default_config_static_selectorELNS0_4arch9wavefront6targetE0EEEvT1_
    .private_segment_fixed_size: 0
    .sgpr_count:     0
    .sgpr_spill_count: 0
    .symbol:         _ZN7rocprim17ROCPRIM_400000_NS6detail17trampoline_kernelINS0_14default_configENS1_27scan_by_key_config_selectorIxxEEZZNS1_16scan_by_key_implILNS1_25lookback_scan_determinismE0ELb0ES3_N6thrust23THRUST_200600_302600_NS6detail15normal_iteratorINS9_10device_ptrIxEEEESE_SE_xNS9_10multipliesIxEENS9_8equal_toIxEExEE10hipError_tPvRmT2_T3_T4_T5_mT6_T7_P12ihipStream_tbENKUlT_T0_E_clISt17integral_constantIbLb1EESY_IbLb0EEEEDaSU_SV_EUlSU_E_NS1_11comp_targetILNS1_3genE2ELNS1_11target_archE906ELNS1_3gpuE6ELNS1_3repE0EEENS1_30default_config_static_selectorELNS0_4arch9wavefront6targetE0EEEvT1_.kd
    .uniform_work_group_size: 1
    .uses_dynamic_stack: false
    .vgpr_count:     0
    .vgpr_spill_count: 0
    .wavefront_size: 32
  - .args:
      - .offset:         0
        .size:           136
        .value_kind:     by_value
    .group_segment_fixed_size: 0
    .kernarg_segment_align: 8
    .kernarg_segment_size: 136
    .language:       OpenCL C
    .language_version:
      - 2
      - 0
    .max_flat_workgroup_size: 256
    .name:           _ZN7rocprim17ROCPRIM_400000_NS6detail17trampoline_kernelINS0_14default_configENS1_27scan_by_key_config_selectorIxxEEZZNS1_16scan_by_key_implILNS1_25lookback_scan_determinismE0ELb0ES3_N6thrust23THRUST_200600_302600_NS6detail15normal_iteratorINS9_10device_ptrIxEEEESE_SE_xNS9_10multipliesIxEENS9_8equal_toIxEExEE10hipError_tPvRmT2_T3_T4_T5_mT6_T7_P12ihipStream_tbENKUlT_T0_E_clISt17integral_constantIbLb1EESY_IbLb0EEEEDaSU_SV_EUlSU_E_NS1_11comp_targetILNS1_3genE10ELNS1_11target_archE1200ELNS1_3gpuE4ELNS1_3repE0EEENS1_30default_config_static_selectorELNS0_4arch9wavefront6targetE0EEEvT1_
    .private_segment_fixed_size: 0
    .sgpr_count:     0
    .sgpr_spill_count: 0
    .symbol:         _ZN7rocprim17ROCPRIM_400000_NS6detail17trampoline_kernelINS0_14default_configENS1_27scan_by_key_config_selectorIxxEEZZNS1_16scan_by_key_implILNS1_25lookback_scan_determinismE0ELb0ES3_N6thrust23THRUST_200600_302600_NS6detail15normal_iteratorINS9_10device_ptrIxEEEESE_SE_xNS9_10multipliesIxEENS9_8equal_toIxEExEE10hipError_tPvRmT2_T3_T4_T5_mT6_T7_P12ihipStream_tbENKUlT_T0_E_clISt17integral_constantIbLb1EESY_IbLb0EEEEDaSU_SV_EUlSU_E_NS1_11comp_targetILNS1_3genE10ELNS1_11target_archE1200ELNS1_3gpuE4ELNS1_3repE0EEENS1_30default_config_static_selectorELNS0_4arch9wavefront6targetE0EEEvT1_.kd
    .uniform_work_group_size: 1
    .uses_dynamic_stack: false
    .vgpr_count:     0
    .vgpr_spill_count: 0
    .wavefront_size: 32
  - .args:
      - .offset:         0
        .size:           136
        .value_kind:     by_value
    .group_segment_fixed_size: 0
    .kernarg_segment_align: 8
    .kernarg_segment_size: 136
    .language:       OpenCL C
    .language_version:
      - 2
      - 0
    .max_flat_workgroup_size: 256
    .name:           _ZN7rocprim17ROCPRIM_400000_NS6detail17trampoline_kernelINS0_14default_configENS1_27scan_by_key_config_selectorIxxEEZZNS1_16scan_by_key_implILNS1_25lookback_scan_determinismE0ELb0ES3_N6thrust23THRUST_200600_302600_NS6detail15normal_iteratorINS9_10device_ptrIxEEEESE_SE_xNS9_10multipliesIxEENS9_8equal_toIxEExEE10hipError_tPvRmT2_T3_T4_T5_mT6_T7_P12ihipStream_tbENKUlT_T0_E_clISt17integral_constantIbLb1EESY_IbLb0EEEEDaSU_SV_EUlSU_E_NS1_11comp_targetILNS1_3genE9ELNS1_11target_archE1100ELNS1_3gpuE3ELNS1_3repE0EEENS1_30default_config_static_selectorELNS0_4arch9wavefront6targetE0EEEvT1_
    .private_segment_fixed_size: 0
    .sgpr_count:     0
    .sgpr_spill_count: 0
    .symbol:         _ZN7rocprim17ROCPRIM_400000_NS6detail17trampoline_kernelINS0_14default_configENS1_27scan_by_key_config_selectorIxxEEZZNS1_16scan_by_key_implILNS1_25lookback_scan_determinismE0ELb0ES3_N6thrust23THRUST_200600_302600_NS6detail15normal_iteratorINS9_10device_ptrIxEEEESE_SE_xNS9_10multipliesIxEENS9_8equal_toIxEExEE10hipError_tPvRmT2_T3_T4_T5_mT6_T7_P12ihipStream_tbENKUlT_T0_E_clISt17integral_constantIbLb1EESY_IbLb0EEEEDaSU_SV_EUlSU_E_NS1_11comp_targetILNS1_3genE9ELNS1_11target_archE1100ELNS1_3gpuE3ELNS1_3repE0EEENS1_30default_config_static_selectorELNS0_4arch9wavefront6targetE0EEEvT1_.kd
    .uniform_work_group_size: 1
    .uses_dynamic_stack: false
    .vgpr_count:     0
    .vgpr_spill_count: 0
    .wavefront_size: 32
  - .args:
      - .offset:         0
        .size:           136
        .value_kind:     by_value
    .group_segment_fixed_size: 0
    .kernarg_segment_align: 8
    .kernarg_segment_size: 136
    .language:       OpenCL C
    .language_version:
      - 2
      - 0
    .max_flat_workgroup_size: 256
    .name:           _ZN7rocprim17ROCPRIM_400000_NS6detail17trampoline_kernelINS0_14default_configENS1_27scan_by_key_config_selectorIxxEEZZNS1_16scan_by_key_implILNS1_25lookback_scan_determinismE0ELb0ES3_N6thrust23THRUST_200600_302600_NS6detail15normal_iteratorINS9_10device_ptrIxEEEESE_SE_xNS9_10multipliesIxEENS9_8equal_toIxEExEE10hipError_tPvRmT2_T3_T4_T5_mT6_T7_P12ihipStream_tbENKUlT_T0_E_clISt17integral_constantIbLb1EESY_IbLb0EEEEDaSU_SV_EUlSU_E_NS1_11comp_targetILNS1_3genE8ELNS1_11target_archE1030ELNS1_3gpuE2ELNS1_3repE0EEENS1_30default_config_static_selectorELNS0_4arch9wavefront6targetE0EEEvT1_
    .private_segment_fixed_size: 0
    .sgpr_count:     0
    .sgpr_spill_count: 0
    .symbol:         _ZN7rocprim17ROCPRIM_400000_NS6detail17trampoline_kernelINS0_14default_configENS1_27scan_by_key_config_selectorIxxEEZZNS1_16scan_by_key_implILNS1_25lookback_scan_determinismE0ELb0ES3_N6thrust23THRUST_200600_302600_NS6detail15normal_iteratorINS9_10device_ptrIxEEEESE_SE_xNS9_10multipliesIxEENS9_8equal_toIxEExEE10hipError_tPvRmT2_T3_T4_T5_mT6_T7_P12ihipStream_tbENKUlT_T0_E_clISt17integral_constantIbLb1EESY_IbLb0EEEEDaSU_SV_EUlSU_E_NS1_11comp_targetILNS1_3genE8ELNS1_11target_archE1030ELNS1_3gpuE2ELNS1_3repE0EEENS1_30default_config_static_selectorELNS0_4arch9wavefront6targetE0EEEvT1_.kd
    .uniform_work_group_size: 1
    .uses_dynamic_stack: false
    .vgpr_count:     0
    .vgpr_spill_count: 0
    .wavefront_size: 32
  - .args:
      - .offset:         0
        .size:           136
        .value_kind:     by_value
    .group_segment_fixed_size: 32768
    .kernarg_segment_align: 8
    .kernarg_segment_size: 136
    .language:       OpenCL C
    .language_version:
      - 2
      - 0
    .max_flat_workgroup_size: 256
    .name:           _ZN7rocprim17ROCPRIM_400000_NS6detail17trampoline_kernelINS0_14default_configENS1_27scan_by_key_config_selectorIxxEEZZNS1_16scan_by_key_implILNS1_25lookback_scan_determinismE0ELb0ES3_N6thrust23THRUST_200600_302600_NS6detail15normal_iteratorINS9_10device_ptrIxEEEESE_SE_xNS9_10multipliesIxEENS9_8equal_toIxEExEE10hipError_tPvRmT2_T3_T4_T5_mT6_T7_P12ihipStream_tbENKUlT_T0_E_clISt17integral_constantIbLb0EESY_IbLb1EEEEDaSU_SV_EUlSU_E_NS1_11comp_targetILNS1_3genE0ELNS1_11target_archE4294967295ELNS1_3gpuE0ELNS1_3repE0EEENS1_30default_config_static_selectorELNS0_4arch9wavefront6targetE0EEEvT1_
    .private_segment_fixed_size: 0
    .sgpr_count:     58
    .sgpr_spill_count: 0
    .symbol:         _ZN7rocprim17ROCPRIM_400000_NS6detail17trampoline_kernelINS0_14default_configENS1_27scan_by_key_config_selectorIxxEEZZNS1_16scan_by_key_implILNS1_25lookback_scan_determinismE0ELb0ES3_N6thrust23THRUST_200600_302600_NS6detail15normal_iteratorINS9_10device_ptrIxEEEESE_SE_xNS9_10multipliesIxEENS9_8equal_toIxEExEE10hipError_tPvRmT2_T3_T4_T5_mT6_T7_P12ihipStream_tbENKUlT_T0_E_clISt17integral_constantIbLb0EESY_IbLb1EEEEDaSU_SV_EUlSU_E_NS1_11comp_targetILNS1_3genE0ELNS1_11target_archE4294967295ELNS1_3gpuE0ELNS1_3repE0EEENS1_30default_config_static_selectorELNS0_4arch9wavefront6targetE0EEEvT1_.kd
    .uniform_work_group_size: 1
    .uses_dynamic_stack: false
    .vgpr_count:     111
    .vgpr_spill_count: 0
    .wavefront_size: 32
  - .args:
      - .offset:         0
        .size:           136
        .value_kind:     by_value
    .group_segment_fixed_size: 0
    .kernarg_segment_align: 8
    .kernarg_segment_size: 136
    .language:       OpenCL C
    .language_version:
      - 2
      - 0
    .max_flat_workgroup_size: 256
    .name:           _ZN7rocprim17ROCPRIM_400000_NS6detail17trampoline_kernelINS0_14default_configENS1_27scan_by_key_config_selectorIxxEEZZNS1_16scan_by_key_implILNS1_25lookback_scan_determinismE0ELb0ES3_N6thrust23THRUST_200600_302600_NS6detail15normal_iteratorINS9_10device_ptrIxEEEESE_SE_xNS9_10multipliesIxEENS9_8equal_toIxEExEE10hipError_tPvRmT2_T3_T4_T5_mT6_T7_P12ihipStream_tbENKUlT_T0_E_clISt17integral_constantIbLb0EESY_IbLb1EEEEDaSU_SV_EUlSU_E_NS1_11comp_targetILNS1_3genE10ELNS1_11target_archE1201ELNS1_3gpuE5ELNS1_3repE0EEENS1_30default_config_static_selectorELNS0_4arch9wavefront6targetE0EEEvT1_
    .private_segment_fixed_size: 0
    .sgpr_count:     0
    .sgpr_spill_count: 0
    .symbol:         _ZN7rocprim17ROCPRIM_400000_NS6detail17trampoline_kernelINS0_14default_configENS1_27scan_by_key_config_selectorIxxEEZZNS1_16scan_by_key_implILNS1_25lookback_scan_determinismE0ELb0ES3_N6thrust23THRUST_200600_302600_NS6detail15normal_iteratorINS9_10device_ptrIxEEEESE_SE_xNS9_10multipliesIxEENS9_8equal_toIxEExEE10hipError_tPvRmT2_T3_T4_T5_mT6_T7_P12ihipStream_tbENKUlT_T0_E_clISt17integral_constantIbLb0EESY_IbLb1EEEEDaSU_SV_EUlSU_E_NS1_11comp_targetILNS1_3genE10ELNS1_11target_archE1201ELNS1_3gpuE5ELNS1_3repE0EEENS1_30default_config_static_selectorELNS0_4arch9wavefront6targetE0EEEvT1_.kd
    .uniform_work_group_size: 1
    .uses_dynamic_stack: false
    .vgpr_count:     0
    .vgpr_spill_count: 0
    .wavefront_size: 32
  - .args:
      - .offset:         0
        .size:           136
        .value_kind:     by_value
    .group_segment_fixed_size: 0
    .kernarg_segment_align: 8
    .kernarg_segment_size: 136
    .language:       OpenCL C
    .language_version:
      - 2
      - 0
    .max_flat_workgroup_size: 256
    .name:           _ZN7rocprim17ROCPRIM_400000_NS6detail17trampoline_kernelINS0_14default_configENS1_27scan_by_key_config_selectorIxxEEZZNS1_16scan_by_key_implILNS1_25lookback_scan_determinismE0ELb0ES3_N6thrust23THRUST_200600_302600_NS6detail15normal_iteratorINS9_10device_ptrIxEEEESE_SE_xNS9_10multipliesIxEENS9_8equal_toIxEExEE10hipError_tPvRmT2_T3_T4_T5_mT6_T7_P12ihipStream_tbENKUlT_T0_E_clISt17integral_constantIbLb0EESY_IbLb1EEEEDaSU_SV_EUlSU_E_NS1_11comp_targetILNS1_3genE5ELNS1_11target_archE942ELNS1_3gpuE9ELNS1_3repE0EEENS1_30default_config_static_selectorELNS0_4arch9wavefront6targetE0EEEvT1_
    .private_segment_fixed_size: 0
    .sgpr_count:     0
    .sgpr_spill_count: 0
    .symbol:         _ZN7rocprim17ROCPRIM_400000_NS6detail17trampoline_kernelINS0_14default_configENS1_27scan_by_key_config_selectorIxxEEZZNS1_16scan_by_key_implILNS1_25lookback_scan_determinismE0ELb0ES3_N6thrust23THRUST_200600_302600_NS6detail15normal_iteratorINS9_10device_ptrIxEEEESE_SE_xNS9_10multipliesIxEENS9_8equal_toIxEExEE10hipError_tPvRmT2_T3_T4_T5_mT6_T7_P12ihipStream_tbENKUlT_T0_E_clISt17integral_constantIbLb0EESY_IbLb1EEEEDaSU_SV_EUlSU_E_NS1_11comp_targetILNS1_3genE5ELNS1_11target_archE942ELNS1_3gpuE9ELNS1_3repE0EEENS1_30default_config_static_selectorELNS0_4arch9wavefront6targetE0EEEvT1_.kd
    .uniform_work_group_size: 1
    .uses_dynamic_stack: false
    .vgpr_count:     0
    .vgpr_spill_count: 0
    .wavefront_size: 32
  - .args:
      - .offset:         0
        .size:           136
        .value_kind:     by_value
    .group_segment_fixed_size: 0
    .kernarg_segment_align: 8
    .kernarg_segment_size: 136
    .language:       OpenCL C
    .language_version:
      - 2
      - 0
    .max_flat_workgroup_size: 64
    .name:           _ZN7rocprim17ROCPRIM_400000_NS6detail17trampoline_kernelINS0_14default_configENS1_27scan_by_key_config_selectorIxxEEZZNS1_16scan_by_key_implILNS1_25lookback_scan_determinismE0ELb0ES3_N6thrust23THRUST_200600_302600_NS6detail15normal_iteratorINS9_10device_ptrIxEEEESE_SE_xNS9_10multipliesIxEENS9_8equal_toIxEExEE10hipError_tPvRmT2_T3_T4_T5_mT6_T7_P12ihipStream_tbENKUlT_T0_E_clISt17integral_constantIbLb0EESY_IbLb1EEEEDaSU_SV_EUlSU_E_NS1_11comp_targetILNS1_3genE4ELNS1_11target_archE910ELNS1_3gpuE8ELNS1_3repE0EEENS1_30default_config_static_selectorELNS0_4arch9wavefront6targetE0EEEvT1_
    .private_segment_fixed_size: 0
    .sgpr_count:     0
    .sgpr_spill_count: 0
    .symbol:         _ZN7rocprim17ROCPRIM_400000_NS6detail17trampoline_kernelINS0_14default_configENS1_27scan_by_key_config_selectorIxxEEZZNS1_16scan_by_key_implILNS1_25lookback_scan_determinismE0ELb0ES3_N6thrust23THRUST_200600_302600_NS6detail15normal_iteratorINS9_10device_ptrIxEEEESE_SE_xNS9_10multipliesIxEENS9_8equal_toIxEExEE10hipError_tPvRmT2_T3_T4_T5_mT6_T7_P12ihipStream_tbENKUlT_T0_E_clISt17integral_constantIbLb0EESY_IbLb1EEEEDaSU_SV_EUlSU_E_NS1_11comp_targetILNS1_3genE4ELNS1_11target_archE910ELNS1_3gpuE8ELNS1_3repE0EEENS1_30default_config_static_selectorELNS0_4arch9wavefront6targetE0EEEvT1_.kd
    .uniform_work_group_size: 1
    .uses_dynamic_stack: false
    .vgpr_count:     0
    .vgpr_spill_count: 0
    .wavefront_size: 32
  - .args:
      - .offset:         0
        .size:           136
        .value_kind:     by_value
    .group_segment_fixed_size: 0
    .kernarg_segment_align: 8
    .kernarg_segment_size: 136
    .language:       OpenCL C
    .language_version:
      - 2
      - 0
    .max_flat_workgroup_size: 256
    .name:           _ZN7rocprim17ROCPRIM_400000_NS6detail17trampoline_kernelINS0_14default_configENS1_27scan_by_key_config_selectorIxxEEZZNS1_16scan_by_key_implILNS1_25lookback_scan_determinismE0ELb0ES3_N6thrust23THRUST_200600_302600_NS6detail15normal_iteratorINS9_10device_ptrIxEEEESE_SE_xNS9_10multipliesIxEENS9_8equal_toIxEExEE10hipError_tPvRmT2_T3_T4_T5_mT6_T7_P12ihipStream_tbENKUlT_T0_E_clISt17integral_constantIbLb0EESY_IbLb1EEEEDaSU_SV_EUlSU_E_NS1_11comp_targetILNS1_3genE3ELNS1_11target_archE908ELNS1_3gpuE7ELNS1_3repE0EEENS1_30default_config_static_selectorELNS0_4arch9wavefront6targetE0EEEvT1_
    .private_segment_fixed_size: 0
    .sgpr_count:     0
    .sgpr_spill_count: 0
    .symbol:         _ZN7rocprim17ROCPRIM_400000_NS6detail17trampoline_kernelINS0_14default_configENS1_27scan_by_key_config_selectorIxxEEZZNS1_16scan_by_key_implILNS1_25lookback_scan_determinismE0ELb0ES3_N6thrust23THRUST_200600_302600_NS6detail15normal_iteratorINS9_10device_ptrIxEEEESE_SE_xNS9_10multipliesIxEENS9_8equal_toIxEExEE10hipError_tPvRmT2_T3_T4_T5_mT6_T7_P12ihipStream_tbENKUlT_T0_E_clISt17integral_constantIbLb0EESY_IbLb1EEEEDaSU_SV_EUlSU_E_NS1_11comp_targetILNS1_3genE3ELNS1_11target_archE908ELNS1_3gpuE7ELNS1_3repE0EEENS1_30default_config_static_selectorELNS0_4arch9wavefront6targetE0EEEvT1_.kd
    .uniform_work_group_size: 1
    .uses_dynamic_stack: false
    .vgpr_count:     0
    .vgpr_spill_count: 0
    .wavefront_size: 32
  - .args:
      - .offset:         0
        .size:           136
        .value_kind:     by_value
    .group_segment_fixed_size: 0
    .kernarg_segment_align: 8
    .kernarg_segment_size: 136
    .language:       OpenCL C
    .language_version:
      - 2
      - 0
    .max_flat_workgroup_size: 256
    .name:           _ZN7rocprim17ROCPRIM_400000_NS6detail17trampoline_kernelINS0_14default_configENS1_27scan_by_key_config_selectorIxxEEZZNS1_16scan_by_key_implILNS1_25lookback_scan_determinismE0ELb0ES3_N6thrust23THRUST_200600_302600_NS6detail15normal_iteratorINS9_10device_ptrIxEEEESE_SE_xNS9_10multipliesIxEENS9_8equal_toIxEExEE10hipError_tPvRmT2_T3_T4_T5_mT6_T7_P12ihipStream_tbENKUlT_T0_E_clISt17integral_constantIbLb0EESY_IbLb1EEEEDaSU_SV_EUlSU_E_NS1_11comp_targetILNS1_3genE2ELNS1_11target_archE906ELNS1_3gpuE6ELNS1_3repE0EEENS1_30default_config_static_selectorELNS0_4arch9wavefront6targetE0EEEvT1_
    .private_segment_fixed_size: 0
    .sgpr_count:     0
    .sgpr_spill_count: 0
    .symbol:         _ZN7rocprim17ROCPRIM_400000_NS6detail17trampoline_kernelINS0_14default_configENS1_27scan_by_key_config_selectorIxxEEZZNS1_16scan_by_key_implILNS1_25lookback_scan_determinismE0ELb0ES3_N6thrust23THRUST_200600_302600_NS6detail15normal_iteratorINS9_10device_ptrIxEEEESE_SE_xNS9_10multipliesIxEENS9_8equal_toIxEExEE10hipError_tPvRmT2_T3_T4_T5_mT6_T7_P12ihipStream_tbENKUlT_T0_E_clISt17integral_constantIbLb0EESY_IbLb1EEEEDaSU_SV_EUlSU_E_NS1_11comp_targetILNS1_3genE2ELNS1_11target_archE906ELNS1_3gpuE6ELNS1_3repE0EEENS1_30default_config_static_selectorELNS0_4arch9wavefront6targetE0EEEvT1_.kd
    .uniform_work_group_size: 1
    .uses_dynamic_stack: false
    .vgpr_count:     0
    .vgpr_spill_count: 0
    .wavefront_size: 32
  - .args:
      - .offset:         0
        .size:           136
        .value_kind:     by_value
    .group_segment_fixed_size: 0
    .kernarg_segment_align: 8
    .kernarg_segment_size: 136
    .language:       OpenCL C
    .language_version:
      - 2
      - 0
    .max_flat_workgroup_size: 256
    .name:           _ZN7rocprim17ROCPRIM_400000_NS6detail17trampoline_kernelINS0_14default_configENS1_27scan_by_key_config_selectorIxxEEZZNS1_16scan_by_key_implILNS1_25lookback_scan_determinismE0ELb0ES3_N6thrust23THRUST_200600_302600_NS6detail15normal_iteratorINS9_10device_ptrIxEEEESE_SE_xNS9_10multipliesIxEENS9_8equal_toIxEExEE10hipError_tPvRmT2_T3_T4_T5_mT6_T7_P12ihipStream_tbENKUlT_T0_E_clISt17integral_constantIbLb0EESY_IbLb1EEEEDaSU_SV_EUlSU_E_NS1_11comp_targetILNS1_3genE10ELNS1_11target_archE1200ELNS1_3gpuE4ELNS1_3repE0EEENS1_30default_config_static_selectorELNS0_4arch9wavefront6targetE0EEEvT1_
    .private_segment_fixed_size: 0
    .sgpr_count:     0
    .sgpr_spill_count: 0
    .symbol:         _ZN7rocprim17ROCPRIM_400000_NS6detail17trampoline_kernelINS0_14default_configENS1_27scan_by_key_config_selectorIxxEEZZNS1_16scan_by_key_implILNS1_25lookback_scan_determinismE0ELb0ES3_N6thrust23THRUST_200600_302600_NS6detail15normal_iteratorINS9_10device_ptrIxEEEESE_SE_xNS9_10multipliesIxEENS9_8equal_toIxEExEE10hipError_tPvRmT2_T3_T4_T5_mT6_T7_P12ihipStream_tbENKUlT_T0_E_clISt17integral_constantIbLb0EESY_IbLb1EEEEDaSU_SV_EUlSU_E_NS1_11comp_targetILNS1_3genE10ELNS1_11target_archE1200ELNS1_3gpuE4ELNS1_3repE0EEENS1_30default_config_static_selectorELNS0_4arch9wavefront6targetE0EEEvT1_.kd
    .uniform_work_group_size: 1
    .uses_dynamic_stack: false
    .vgpr_count:     0
    .vgpr_spill_count: 0
    .wavefront_size: 32
  - .args:
      - .offset:         0
        .size:           136
        .value_kind:     by_value
    .group_segment_fixed_size: 0
    .kernarg_segment_align: 8
    .kernarg_segment_size: 136
    .language:       OpenCL C
    .language_version:
      - 2
      - 0
    .max_flat_workgroup_size: 256
    .name:           _ZN7rocprim17ROCPRIM_400000_NS6detail17trampoline_kernelINS0_14default_configENS1_27scan_by_key_config_selectorIxxEEZZNS1_16scan_by_key_implILNS1_25lookback_scan_determinismE0ELb0ES3_N6thrust23THRUST_200600_302600_NS6detail15normal_iteratorINS9_10device_ptrIxEEEESE_SE_xNS9_10multipliesIxEENS9_8equal_toIxEExEE10hipError_tPvRmT2_T3_T4_T5_mT6_T7_P12ihipStream_tbENKUlT_T0_E_clISt17integral_constantIbLb0EESY_IbLb1EEEEDaSU_SV_EUlSU_E_NS1_11comp_targetILNS1_3genE9ELNS1_11target_archE1100ELNS1_3gpuE3ELNS1_3repE0EEENS1_30default_config_static_selectorELNS0_4arch9wavefront6targetE0EEEvT1_
    .private_segment_fixed_size: 0
    .sgpr_count:     0
    .sgpr_spill_count: 0
    .symbol:         _ZN7rocprim17ROCPRIM_400000_NS6detail17trampoline_kernelINS0_14default_configENS1_27scan_by_key_config_selectorIxxEEZZNS1_16scan_by_key_implILNS1_25lookback_scan_determinismE0ELb0ES3_N6thrust23THRUST_200600_302600_NS6detail15normal_iteratorINS9_10device_ptrIxEEEESE_SE_xNS9_10multipliesIxEENS9_8equal_toIxEExEE10hipError_tPvRmT2_T3_T4_T5_mT6_T7_P12ihipStream_tbENKUlT_T0_E_clISt17integral_constantIbLb0EESY_IbLb1EEEEDaSU_SV_EUlSU_E_NS1_11comp_targetILNS1_3genE9ELNS1_11target_archE1100ELNS1_3gpuE3ELNS1_3repE0EEENS1_30default_config_static_selectorELNS0_4arch9wavefront6targetE0EEEvT1_.kd
    .uniform_work_group_size: 1
    .uses_dynamic_stack: false
    .vgpr_count:     0
    .vgpr_spill_count: 0
    .wavefront_size: 32
  - .args:
      - .offset:         0
        .size:           136
        .value_kind:     by_value
    .group_segment_fixed_size: 0
    .kernarg_segment_align: 8
    .kernarg_segment_size: 136
    .language:       OpenCL C
    .language_version:
      - 2
      - 0
    .max_flat_workgroup_size: 256
    .name:           _ZN7rocprim17ROCPRIM_400000_NS6detail17trampoline_kernelINS0_14default_configENS1_27scan_by_key_config_selectorIxxEEZZNS1_16scan_by_key_implILNS1_25lookback_scan_determinismE0ELb0ES3_N6thrust23THRUST_200600_302600_NS6detail15normal_iteratorINS9_10device_ptrIxEEEESE_SE_xNS9_10multipliesIxEENS9_8equal_toIxEExEE10hipError_tPvRmT2_T3_T4_T5_mT6_T7_P12ihipStream_tbENKUlT_T0_E_clISt17integral_constantIbLb0EESY_IbLb1EEEEDaSU_SV_EUlSU_E_NS1_11comp_targetILNS1_3genE8ELNS1_11target_archE1030ELNS1_3gpuE2ELNS1_3repE0EEENS1_30default_config_static_selectorELNS0_4arch9wavefront6targetE0EEEvT1_
    .private_segment_fixed_size: 0
    .sgpr_count:     0
    .sgpr_spill_count: 0
    .symbol:         _ZN7rocprim17ROCPRIM_400000_NS6detail17trampoline_kernelINS0_14default_configENS1_27scan_by_key_config_selectorIxxEEZZNS1_16scan_by_key_implILNS1_25lookback_scan_determinismE0ELb0ES3_N6thrust23THRUST_200600_302600_NS6detail15normal_iteratorINS9_10device_ptrIxEEEESE_SE_xNS9_10multipliesIxEENS9_8equal_toIxEExEE10hipError_tPvRmT2_T3_T4_T5_mT6_T7_P12ihipStream_tbENKUlT_T0_E_clISt17integral_constantIbLb0EESY_IbLb1EEEEDaSU_SV_EUlSU_E_NS1_11comp_targetILNS1_3genE8ELNS1_11target_archE1030ELNS1_3gpuE2ELNS1_3repE0EEENS1_30default_config_static_selectorELNS0_4arch9wavefront6targetE0EEEvT1_.kd
    .uniform_work_group_size: 1
    .uses_dynamic_stack: false
    .vgpr_count:     0
    .vgpr_spill_count: 0
    .wavefront_size: 32
  - .args:
      - .offset:         0
        .size:           136
        .value_kind:     by_value
    .group_segment_fixed_size: 32768
    .kernarg_segment_align: 8
    .kernarg_segment_size: 136
    .language:       OpenCL C
    .language_version:
      - 2
      - 0
    .max_flat_workgroup_size: 256
    .name:           _ZN7rocprim17ROCPRIM_400000_NS6detail17trampoline_kernelINS0_14default_configENS1_27scan_by_key_config_selectorIxxEEZZNS1_16scan_by_key_implILNS1_25lookback_scan_determinismE0ELb0ES3_N6thrust23THRUST_200600_302600_NS6detail15normal_iteratorINS9_10device_ptrIxEEEESE_SE_xNS9_4plusIvEENS9_8equal_toIxEExEE10hipError_tPvRmT2_T3_T4_T5_mT6_T7_P12ihipStream_tbENKUlT_T0_E_clISt17integral_constantIbLb0EESZ_EEDaSU_SV_EUlSU_E_NS1_11comp_targetILNS1_3genE0ELNS1_11target_archE4294967295ELNS1_3gpuE0ELNS1_3repE0EEENS1_30default_config_static_selectorELNS0_4arch9wavefront6targetE0EEEvT1_
    .private_segment_fixed_size: 0
    .sgpr_count:     54
    .sgpr_spill_count: 0
    .symbol:         _ZN7rocprim17ROCPRIM_400000_NS6detail17trampoline_kernelINS0_14default_configENS1_27scan_by_key_config_selectorIxxEEZZNS1_16scan_by_key_implILNS1_25lookback_scan_determinismE0ELb0ES3_N6thrust23THRUST_200600_302600_NS6detail15normal_iteratorINS9_10device_ptrIxEEEESE_SE_xNS9_4plusIvEENS9_8equal_toIxEExEE10hipError_tPvRmT2_T3_T4_T5_mT6_T7_P12ihipStream_tbENKUlT_T0_E_clISt17integral_constantIbLb0EESZ_EEDaSU_SV_EUlSU_E_NS1_11comp_targetILNS1_3genE0ELNS1_11target_archE4294967295ELNS1_3gpuE0ELNS1_3repE0EEENS1_30default_config_static_selectorELNS0_4arch9wavefront6targetE0EEEvT1_.kd
    .uniform_work_group_size: 1
    .uses_dynamic_stack: false
    .vgpr_count:     111
    .vgpr_spill_count: 0
    .wavefront_size: 32
  - .args:
      - .offset:         0
        .size:           136
        .value_kind:     by_value
    .group_segment_fixed_size: 0
    .kernarg_segment_align: 8
    .kernarg_segment_size: 136
    .language:       OpenCL C
    .language_version:
      - 2
      - 0
    .max_flat_workgroup_size: 256
    .name:           _ZN7rocprim17ROCPRIM_400000_NS6detail17trampoline_kernelINS0_14default_configENS1_27scan_by_key_config_selectorIxxEEZZNS1_16scan_by_key_implILNS1_25lookback_scan_determinismE0ELb0ES3_N6thrust23THRUST_200600_302600_NS6detail15normal_iteratorINS9_10device_ptrIxEEEESE_SE_xNS9_4plusIvEENS9_8equal_toIxEExEE10hipError_tPvRmT2_T3_T4_T5_mT6_T7_P12ihipStream_tbENKUlT_T0_E_clISt17integral_constantIbLb0EESZ_EEDaSU_SV_EUlSU_E_NS1_11comp_targetILNS1_3genE10ELNS1_11target_archE1201ELNS1_3gpuE5ELNS1_3repE0EEENS1_30default_config_static_selectorELNS0_4arch9wavefront6targetE0EEEvT1_
    .private_segment_fixed_size: 0
    .sgpr_count:     0
    .sgpr_spill_count: 0
    .symbol:         _ZN7rocprim17ROCPRIM_400000_NS6detail17trampoline_kernelINS0_14default_configENS1_27scan_by_key_config_selectorIxxEEZZNS1_16scan_by_key_implILNS1_25lookback_scan_determinismE0ELb0ES3_N6thrust23THRUST_200600_302600_NS6detail15normal_iteratorINS9_10device_ptrIxEEEESE_SE_xNS9_4plusIvEENS9_8equal_toIxEExEE10hipError_tPvRmT2_T3_T4_T5_mT6_T7_P12ihipStream_tbENKUlT_T0_E_clISt17integral_constantIbLb0EESZ_EEDaSU_SV_EUlSU_E_NS1_11comp_targetILNS1_3genE10ELNS1_11target_archE1201ELNS1_3gpuE5ELNS1_3repE0EEENS1_30default_config_static_selectorELNS0_4arch9wavefront6targetE0EEEvT1_.kd
    .uniform_work_group_size: 1
    .uses_dynamic_stack: false
    .vgpr_count:     0
    .vgpr_spill_count: 0
    .wavefront_size: 32
  - .args:
      - .offset:         0
        .size:           136
        .value_kind:     by_value
    .group_segment_fixed_size: 0
    .kernarg_segment_align: 8
    .kernarg_segment_size: 136
    .language:       OpenCL C
    .language_version:
      - 2
      - 0
    .max_flat_workgroup_size: 256
    .name:           _ZN7rocprim17ROCPRIM_400000_NS6detail17trampoline_kernelINS0_14default_configENS1_27scan_by_key_config_selectorIxxEEZZNS1_16scan_by_key_implILNS1_25lookback_scan_determinismE0ELb0ES3_N6thrust23THRUST_200600_302600_NS6detail15normal_iteratorINS9_10device_ptrIxEEEESE_SE_xNS9_4plusIvEENS9_8equal_toIxEExEE10hipError_tPvRmT2_T3_T4_T5_mT6_T7_P12ihipStream_tbENKUlT_T0_E_clISt17integral_constantIbLb0EESZ_EEDaSU_SV_EUlSU_E_NS1_11comp_targetILNS1_3genE5ELNS1_11target_archE942ELNS1_3gpuE9ELNS1_3repE0EEENS1_30default_config_static_selectorELNS0_4arch9wavefront6targetE0EEEvT1_
    .private_segment_fixed_size: 0
    .sgpr_count:     0
    .sgpr_spill_count: 0
    .symbol:         _ZN7rocprim17ROCPRIM_400000_NS6detail17trampoline_kernelINS0_14default_configENS1_27scan_by_key_config_selectorIxxEEZZNS1_16scan_by_key_implILNS1_25lookback_scan_determinismE0ELb0ES3_N6thrust23THRUST_200600_302600_NS6detail15normal_iteratorINS9_10device_ptrIxEEEESE_SE_xNS9_4plusIvEENS9_8equal_toIxEExEE10hipError_tPvRmT2_T3_T4_T5_mT6_T7_P12ihipStream_tbENKUlT_T0_E_clISt17integral_constantIbLb0EESZ_EEDaSU_SV_EUlSU_E_NS1_11comp_targetILNS1_3genE5ELNS1_11target_archE942ELNS1_3gpuE9ELNS1_3repE0EEENS1_30default_config_static_selectorELNS0_4arch9wavefront6targetE0EEEvT1_.kd
    .uniform_work_group_size: 1
    .uses_dynamic_stack: false
    .vgpr_count:     0
    .vgpr_spill_count: 0
    .wavefront_size: 32
  - .args:
      - .offset:         0
        .size:           136
        .value_kind:     by_value
    .group_segment_fixed_size: 0
    .kernarg_segment_align: 8
    .kernarg_segment_size: 136
    .language:       OpenCL C
    .language_version:
      - 2
      - 0
    .max_flat_workgroup_size: 64
    .name:           _ZN7rocprim17ROCPRIM_400000_NS6detail17trampoline_kernelINS0_14default_configENS1_27scan_by_key_config_selectorIxxEEZZNS1_16scan_by_key_implILNS1_25lookback_scan_determinismE0ELb0ES3_N6thrust23THRUST_200600_302600_NS6detail15normal_iteratorINS9_10device_ptrIxEEEESE_SE_xNS9_4plusIvEENS9_8equal_toIxEExEE10hipError_tPvRmT2_T3_T4_T5_mT6_T7_P12ihipStream_tbENKUlT_T0_E_clISt17integral_constantIbLb0EESZ_EEDaSU_SV_EUlSU_E_NS1_11comp_targetILNS1_3genE4ELNS1_11target_archE910ELNS1_3gpuE8ELNS1_3repE0EEENS1_30default_config_static_selectorELNS0_4arch9wavefront6targetE0EEEvT1_
    .private_segment_fixed_size: 0
    .sgpr_count:     0
    .sgpr_spill_count: 0
    .symbol:         _ZN7rocprim17ROCPRIM_400000_NS6detail17trampoline_kernelINS0_14default_configENS1_27scan_by_key_config_selectorIxxEEZZNS1_16scan_by_key_implILNS1_25lookback_scan_determinismE0ELb0ES3_N6thrust23THRUST_200600_302600_NS6detail15normal_iteratorINS9_10device_ptrIxEEEESE_SE_xNS9_4plusIvEENS9_8equal_toIxEExEE10hipError_tPvRmT2_T3_T4_T5_mT6_T7_P12ihipStream_tbENKUlT_T0_E_clISt17integral_constantIbLb0EESZ_EEDaSU_SV_EUlSU_E_NS1_11comp_targetILNS1_3genE4ELNS1_11target_archE910ELNS1_3gpuE8ELNS1_3repE0EEENS1_30default_config_static_selectorELNS0_4arch9wavefront6targetE0EEEvT1_.kd
    .uniform_work_group_size: 1
    .uses_dynamic_stack: false
    .vgpr_count:     0
    .vgpr_spill_count: 0
    .wavefront_size: 32
  - .args:
      - .offset:         0
        .size:           136
        .value_kind:     by_value
    .group_segment_fixed_size: 0
    .kernarg_segment_align: 8
    .kernarg_segment_size: 136
    .language:       OpenCL C
    .language_version:
      - 2
      - 0
    .max_flat_workgroup_size: 256
    .name:           _ZN7rocprim17ROCPRIM_400000_NS6detail17trampoline_kernelINS0_14default_configENS1_27scan_by_key_config_selectorIxxEEZZNS1_16scan_by_key_implILNS1_25lookback_scan_determinismE0ELb0ES3_N6thrust23THRUST_200600_302600_NS6detail15normal_iteratorINS9_10device_ptrIxEEEESE_SE_xNS9_4plusIvEENS9_8equal_toIxEExEE10hipError_tPvRmT2_T3_T4_T5_mT6_T7_P12ihipStream_tbENKUlT_T0_E_clISt17integral_constantIbLb0EESZ_EEDaSU_SV_EUlSU_E_NS1_11comp_targetILNS1_3genE3ELNS1_11target_archE908ELNS1_3gpuE7ELNS1_3repE0EEENS1_30default_config_static_selectorELNS0_4arch9wavefront6targetE0EEEvT1_
    .private_segment_fixed_size: 0
    .sgpr_count:     0
    .sgpr_spill_count: 0
    .symbol:         _ZN7rocprim17ROCPRIM_400000_NS6detail17trampoline_kernelINS0_14default_configENS1_27scan_by_key_config_selectorIxxEEZZNS1_16scan_by_key_implILNS1_25lookback_scan_determinismE0ELb0ES3_N6thrust23THRUST_200600_302600_NS6detail15normal_iteratorINS9_10device_ptrIxEEEESE_SE_xNS9_4plusIvEENS9_8equal_toIxEExEE10hipError_tPvRmT2_T3_T4_T5_mT6_T7_P12ihipStream_tbENKUlT_T0_E_clISt17integral_constantIbLb0EESZ_EEDaSU_SV_EUlSU_E_NS1_11comp_targetILNS1_3genE3ELNS1_11target_archE908ELNS1_3gpuE7ELNS1_3repE0EEENS1_30default_config_static_selectorELNS0_4arch9wavefront6targetE0EEEvT1_.kd
    .uniform_work_group_size: 1
    .uses_dynamic_stack: false
    .vgpr_count:     0
    .vgpr_spill_count: 0
    .wavefront_size: 32
  - .args:
      - .offset:         0
        .size:           136
        .value_kind:     by_value
    .group_segment_fixed_size: 0
    .kernarg_segment_align: 8
    .kernarg_segment_size: 136
    .language:       OpenCL C
    .language_version:
      - 2
      - 0
    .max_flat_workgroup_size: 256
    .name:           _ZN7rocprim17ROCPRIM_400000_NS6detail17trampoline_kernelINS0_14default_configENS1_27scan_by_key_config_selectorIxxEEZZNS1_16scan_by_key_implILNS1_25lookback_scan_determinismE0ELb0ES3_N6thrust23THRUST_200600_302600_NS6detail15normal_iteratorINS9_10device_ptrIxEEEESE_SE_xNS9_4plusIvEENS9_8equal_toIxEExEE10hipError_tPvRmT2_T3_T4_T5_mT6_T7_P12ihipStream_tbENKUlT_T0_E_clISt17integral_constantIbLb0EESZ_EEDaSU_SV_EUlSU_E_NS1_11comp_targetILNS1_3genE2ELNS1_11target_archE906ELNS1_3gpuE6ELNS1_3repE0EEENS1_30default_config_static_selectorELNS0_4arch9wavefront6targetE0EEEvT1_
    .private_segment_fixed_size: 0
    .sgpr_count:     0
    .sgpr_spill_count: 0
    .symbol:         _ZN7rocprim17ROCPRIM_400000_NS6detail17trampoline_kernelINS0_14default_configENS1_27scan_by_key_config_selectorIxxEEZZNS1_16scan_by_key_implILNS1_25lookback_scan_determinismE0ELb0ES3_N6thrust23THRUST_200600_302600_NS6detail15normal_iteratorINS9_10device_ptrIxEEEESE_SE_xNS9_4plusIvEENS9_8equal_toIxEExEE10hipError_tPvRmT2_T3_T4_T5_mT6_T7_P12ihipStream_tbENKUlT_T0_E_clISt17integral_constantIbLb0EESZ_EEDaSU_SV_EUlSU_E_NS1_11comp_targetILNS1_3genE2ELNS1_11target_archE906ELNS1_3gpuE6ELNS1_3repE0EEENS1_30default_config_static_selectorELNS0_4arch9wavefront6targetE0EEEvT1_.kd
    .uniform_work_group_size: 1
    .uses_dynamic_stack: false
    .vgpr_count:     0
    .vgpr_spill_count: 0
    .wavefront_size: 32
  - .args:
      - .offset:         0
        .size:           136
        .value_kind:     by_value
    .group_segment_fixed_size: 0
    .kernarg_segment_align: 8
    .kernarg_segment_size: 136
    .language:       OpenCL C
    .language_version:
      - 2
      - 0
    .max_flat_workgroup_size: 256
    .name:           _ZN7rocprim17ROCPRIM_400000_NS6detail17trampoline_kernelINS0_14default_configENS1_27scan_by_key_config_selectorIxxEEZZNS1_16scan_by_key_implILNS1_25lookback_scan_determinismE0ELb0ES3_N6thrust23THRUST_200600_302600_NS6detail15normal_iteratorINS9_10device_ptrIxEEEESE_SE_xNS9_4plusIvEENS9_8equal_toIxEExEE10hipError_tPvRmT2_T3_T4_T5_mT6_T7_P12ihipStream_tbENKUlT_T0_E_clISt17integral_constantIbLb0EESZ_EEDaSU_SV_EUlSU_E_NS1_11comp_targetILNS1_3genE10ELNS1_11target_archE1200ELNS1_3gpuE4ELNS1_3repE0EEENS1_30default_config_static_selectorELNS0_4arch9wavefront6targetE0EEEvT1_
    .private_segment_fixed_size: 0
    .sgpr_count:     0
    .sgpr_spill_count: 0
    .symbol:         _ZN7rocprim17ROCPRIM_400000_NS6detail17trampoline_kernelINS0_14default_configENS1_27scan_by_key_config_selectorIxxEEZZNS1_16scan_by_key_implILNS1_25lookback_scan_determinismE0ELb0ES3_N6thrust23THRUST_200600_302600_NS6detail15normal_iteratorINS9_10device_ptrIxEEEESE_SE_xNS9_4plusIvEENS9_8equal_toIxEExEE10hipError_tPvRmT2_T3_T4_T5_mT6_T7_P12ihipStream_tbENKUlT_T0_E_clISt17integral_constantIbLb0EESZ_EEDaSU_SV_EUlSU_E_NS1_11comp_targetILNS1_3genE10ELNS1_11target_archE1200ELNS1_3gpuE4ELNS1_3repE0EEENS1_30default_config_static_selectorELNS0_4arch9wavefront6targetE0EEEvT1_.kd
    .uniform_work_group_size: 1
    .uses_dynamic_stack: false
    .vgpr_count:     0
    .vgpr_spill_count: 0
    .wavefront_size: 32
  - .args:
      - .offset:         0
        .size:           136
        .value_kind:     by_value
    .group_segment_fixed_size: 0
    .kernarg_segment_align: 8
    .kernarg_segment_size: 136
    .language:       OpenCL C
    .language_version:
      - 2
      - 0
    .max_flat_workgroup_size: 256
    .name:           _ZN7rocprim17ROCPRIM_400000_NS6detail17trampoline_kernelINS0_14default_configENS1_27scan_by_key_config_selectorIxxEEZZNS1_16scan_by_key_implILNS1_25lookback_scan_determinismE0ELb0ES3_N6thrust23THRUST_200600_302600_NS6detail15normal_iteratorINS9_10device_ptrIxEEEESE_SE_xNS9_4plusIvEENS9_8equal_toIxEExEE10hipError_tPvRmT2_T3_T4_T5_mT6_T7_P12ihipStream_tbENKUlT_T0_E_clISt17integral_constantIbLb0EESZ_EEDaSU_SV_EUlSU_E_NS1_11comp_targetILNS1_3genE9ELNS1_11target_archE1100ELNS1_3gpuE3ELNS1_3repE0EEENS1_30default_config_static_selectorELNS0_4arch9wavefront6targetE0EEEvT1_
    .private_segment_fixed_size: 0
    .sgpr_count:     0
    .sgpr_spill_count: 0
    .symbol:         _ZN7rocprim17ROCPRIM_400000_NS6detail17trampoline_kernelINS0_14default_configENS1_27scan_by_key_config_selectorIxxEEZZNS1_16scan_by_key_implILNS1_25lookback_scan_determinismE0ELb0ES3_N6thrust23THRUST_200600_302600_NS6detail15normal_iteratorINS9_10device_ptrIxEEEESE_SE_xNS9_4plusIvEENS9_8equal_toIxEExEE10hipError_tPvRmT2_T3_T4_T5_mT6_T7_P12ihipStream_tbENKUlT_T0_E_clISt17integral_constantIbLb0EESZ_EEDaSU_SV_EUlSU_E_NS1_11comp_targetILNS1_3genE9ELNS1_11target_archE1100ELNS1_3gpuE3ELNS1_3repE0EEENS1_30default_config_static_selectorELNS0_4arch9wavefront6targetE0EEEvT1_.kd
    .uniform_work_group_size: 1
    .uses_dynamic_stack: false
    .vgpr_count:     0
    .vgpr_spill_count: 0
    .wavefront_size: 32
  - .args:
      - .offset:         0
        .size:           136
        .value_kind:     by_value
    .group_segment_fixed_size: 0
    .kernarg_segment_align: 8
    .kernarg_segment_size: 136
    .language:       OpenCL C
    .language_version:
      - 2
      - 0
    .max_flat_workgroup_size: 256
    .name:           _ZN7rocprim17ROCPRIM_400000_NS6detail17trampoline_kernelINS0_14default_configENS1_27scan_by_key_config_selectorIxxEEZZNS1_16scan_by_key_implILNS1_25lookback_scan_determinismE0ELb0ES3_N6thrust23THRUST_200600_302600_NS6detail15normal_iteratorINS9_10device_ptrIxEEEESE_SE_xNS9_4plusIvEENS9_8equal_toIxEExEE10hipError_tPvRmT2_T3_T4_T5_mT6_T7_P12ihipStream_tbENKUlT_T0_E_clISt17integral_constantIbLb0EESZ_EEDaSU_SV_EUlSU_E_NS1_11comp_targetILNS1_3genE8ELNS1_11target_archE1030ELNS1_3gpuE2ELNS1_3repE0EEENS1_30default_config_static_selectorELNS0_4arch9wavefront6targetE0EEEvT1_
    .private_segment_fixed_size: 0
    .sgpr_count:     0
    .sgpr_spill_count: 0
    .symbol:         _ZN7rocprim17ROCPRIM_400000_NS6detail17trampoline_kernelINS0_14default_configENS1_27scan_by_key_config_selectorIxxEEZZNS1_16scan_by_key_implILNS1_25lookback_scan_determinismE0ELb0ES3_N6thrust23THRUST_200600_302600_NS6detail15normal_iteratorINS9_10device_ptrIxEEEESE_SE_xNS9_4plusIvEENS9_8equal_toIxEExEE10hipError_tPvRmT2_T3_T4_T5_mT6_T7_P12ihipStream_tbENKUlT_T0_E_clISt17integral_constantIbLb0EESZ_EEDaSU_SV_EUlSU_E_NS1_11comp_targetILNS1_3genE8ELNS1_11target_archE1030ELNS1_3gpuE2ELNS1_3repE0EEENS1_30default_config_static_selectorELNS0_4arch9wavefront6targetE0EEEvT1_.kd
    .uniform_work_group_size: 1
    .uses_dynamic_stack: false
    .vgpr_count:     0
    .vgpr_spill_count: 0
    .wavefront_size: 32
  - .args:
      - .offset:         0
        .size:           136
        .value_kind:     by_value
    .group_segment_fixed_size: 0
    .kernarg_segment_align: 8
    .kernarg_segment_size: 136
    .language:       OpenCL C
    .language_version:
      - 2
      - 0
    .max_flat_workgroup_size: 256
    .name:           _ZN7rocprim17ROCPRIM_400000_NS6detail17trampoline_kernelINS0_14default_configENS1_27scan_by_key_config_selectorIxxEEZZNS1_16scan_by_key_implILNS1_25lookback_scan_determinismE0ELb0ES3_N6thrust23THRUST_200600_302600_NS6detail15normal_iteratorINS9_10device_ptrIxEEEESE_SE_xNS9_4plusIvEENS9_8equal_toIxEExEE10hipError_tPvRmT2_T3_T4_T5_mT6_T7_P12ihipStream_tbENKUlT_T0_E_clISt17integral_constantIbLb1EESZ_EEDaSU_SV_EUlSU_E_NS1_11comp_targetILNS1_3genE0ELNS1_11target_archE4294967295ELNS1_3gpuE0ELNS1_3repE0EEENS1_30default_config_static_selectorELNS0_4arch9wavefront6targetE0EEEvT1_
    .private_segment_fixed_size: 0
    .sgpr_count:     0
    .sgpr_spill_count: 0
    .symbol:         _ZN7rocprim17ROCPRIM_400000_NS6detail17trampoline_kernelINS0_14default_configENS1_27scan_by_key_config_selectorIxxEEZZNS1_16scan_by_key_implILNS1_25lookback_scan_determinismE0ELb0ES3_N6thrust23THRUST_200600_302600_NS6detail15normal_iteratorINS9_10device_ptrIxEEEESE_SE_xNS9_4plusIvEENS9_8equal_toIxEExEE10hipError_tPvRmT2_T3_T4_T5_mT6_T7_P12ihipStream_tbENKUlT_T0_E_clISt17integral_constantIbLb1EESZ_EEDaSU_SV_EUlSU_E_NS1_11comp_targetILNS1_3genE0ELNS1_11target_archE4294967295ELNS1_3gpuE0ELNS1_3repE0EEENS1_30default_config_static_selectorELNS0_4arch9wavefront6targetE0EEEvT1_.kd
    .uniform_work_group_size: 1
    .uses_dynamic_stack: false
    .vgpr_count:     0
    .vgpr_spill_count: 0
    .wavefront_size: 32
  - .args:
      - .offset:         0
        .size:           136
        .value_kind:     by_value
    .group_segment_fixed_size: 0
    .kernarg_segment_align: 8
    .kernarg_segment_size: 136
    .language:       OpenCL C
    .language_version:
      - 2
      - 0
    .max_flat_workgroup_size: 256
    .name:           _ZN7rocprim17ROCPRIM_400000_NS6detail17trampoline_kernelINS0_14default_configENS1_27scan_by_key_config_selectorIxxEEZZNS1_16scan_by_key_implILNS1_25lookback_scan_determinismE0ELb0ES3_N6thrust23THRUST_200600_302600_NS6detail15normal_iteratorINS9_10device_ptrIxEEEESE_SE_xNS9_4plusIvEENS9_8equal_toIxEExEE10hipError_tPvRmT2_T3_T4_T5_mT6_T7_P12ihipStream_tbENKUlT_T0_E_clISt17integral_constantIbLb1EESZ_EEDaSU_SV_EUlSU_E_NS1_11comp_targetILNS1_3genE10ELNS1_11target_archE1201ELNS1_3gpuE5ELNS1_3repE0EEENS1_30default_config_static_selectorELNS0_4arch9wavefront6targetE0EEEvT1_
    .private_segment_fixed_size: 0
    .sgpr_count:     0
    .sgpr_spill_count: 0
    .symbol:         _ZN7rocprim17ROCPRIM_400000_NS6detail17trampoline_kernelINS0_14default_configENS1_27scan_by_key_config_selectorIxxEEZZNS1_16scan_by_key_implILNS1_25lookback_scan_determinismE0ELb0ES3_N6thrust23THRUST_200600_302600_NS6detail15normal_iteratorINS9_10device_ptrIxEEEESE_SE_xNS9_4plusIvEENS9_8equal_toIxEExEE10hipError_tPvRmT2_T3_T4_T5_mT6_T7_P12ihipStream_tbENKUlT_T0_E_clISt17integral_constantIbLb1EESZ_EEDaSU_SV_EUlSU_E_NS1_11comp_targetILNS1_3genE10ELNS1_11target_archE1201ELNS1_3gpuE5ELNS1_3repE0EEENS1_30default_config_static_selectorELNS0_4arch9wavefront6targetE0EEEvT1_.kd
    .uniform_work_group_size: 1
    .uses_dynamic_stack: false
    .vgpr_count:     0
    .vgpr_spill_count: 0
    .wavefront_size: 32
  - .args:
      - .offset:         0
        .size:           136
        .value_kind:     by_value
    .group_segment_fixed_size: 0
    .kernarg_segment_align: 8
    .kernarg_segment_size: 136
    .language:       OpenCL C
    .language_version:
      - 2
      - 0
    .max_flat_workgroup_size: 256
    .name:           _ZN7rocprim17ROCPRIM_400000_NS6detail17trampoline_kernelINS0_14default_configENS1_27scan_by_key_config_selectorIxxEEZZNS1_16scan_by_key_implILNS1_25lookback_scan_determinismE0ELb0ES3_N6thrust23THRUST_200600_302600_NS6detail15normal_iteratorINS9_10device_ptrIxEEEESE_SE_xNS9_4plusIvEENS9_8equal_toIxEExEE10hipError_tPvRmT2_T3_T4_T5_mT6_T7_P12ihipStream_tbENKUlT_T0_E_clISt17integral_constantIbLb1EESZ_EEDaSU_SV_EUlSU_E_NS1_11comp_targetILNS1_3genE5ELNS1_11target_archE942ELNS1_3gpuE9ELNS1_3repE0EEENS1_30default_config_static_selectorELNS0_4arch9wavefront6targetE0EEEvT1_
    .private_segment_fixed_size: 0
    .sgpr_count:     0
    .sgpr_spill_count: 0
    .symbol:         _ZN7rocprim17ROCPRIM_400000_NS6detail17trampoline_kernelINS0_14default_configENS1_27scan_by_key_config_selectorIxxEEZZNS1_16scan_by_key_implILNS1_25lookback_scan_determinismE0ELb0ES3_N6thrust23THRUST_200600_302600_NS6detail15normal_iteratorINS9_10device_ptrIxEEEESE_SE_xNS9_4plusIvEENS9_8equal_toIxEExEE10hipError_tPvRmT2_T3_T4_T5_mT6_T7_P12ihipStream_tbENKUlT_T0_E_clISt17integral_constantIbLb1EESZ_EEDaSU_SV_EUlSU_E_NS1_11comp_targetILNS1_3genE5ELNS1_11target_archE942ELNS1_3gpuE9ELNS1_3repE0EEENS1_30default_config_static_selectorELNS0_4arch9wavefront6targetE0EEEvT1_.kd
    .uniform_work_group_size: 1
    .uses_dynamic_stack: false
    .vgpr_count:     0
    .vgpr_spill_count: 0
    .wavefront_size: 32
  - .args:
      - .offset:         0
        .size:           136
        .value_kind:     by_value
    .group_segment_fixed_size: 0
    .kernarg_segment_align: 8
    .kernarg_segment_size: 136
    .language:       OpenCL C
    .language_version:
      - 2
      - 0
    .max_flat_workgroup_size: 64
    .name:           _ZN7rocprim17ROCPRIM_400000_NS6detail17trampoline_kernelINS0_14default_configENS1_27scan_by_key_config_selectorIxxEEZZNS1_16scan_by_key_implILNS1_25lookback_scan_determinismE0ELb0ES3_N6thrust23THRUST_200600_302600_NS6detail15normal_iteratorINS9_10device_ptrIxEEEESE_SE_xNS9_4plusIvEENS9_8equal_toIxEExEE10hipError_tPvRmT2_T3_T4_T5_mT6_T7_P12ihipStream_tbENKUlT_T0_E_clISt17integral_constantIbLb1EESZ_EEDaSU_SV_EUlSU_E_NS1_11comp_targetILNS1_3genE4ELNS1_11target_archE910ELNS1_3gpuE8ELNS1_3repE0EEENS1_30default_config_static_selectorELNS0_4arch9wavefront6targetE0EEEvT1_
    .private_segment_fixed_size: 0
    .sgpr_count:     0
    .sgpr_spill_count: 0
    .symbol:         _ZN7rocprim17ROCPRIM_400000_NS6detail17trampoline_kernelINS0_14default_configENS1_27scan_by_key_config_selectorIxxEEZZNS1_16scan_by_key_implILNS1_25lookback_scan_determinismE0ELb0ES3_N6thrust23THRUST_200600_302600_NS6detail15normal_iteratorINS9_10device_ptrIxEEEESE_SE_xNS9_4plusIvEENS9_8equal_toIxEExEE10hipError_tPvRmT2_T3_T4_T5_mT6_T7_P12ihipStream_tbENKUlT_T0_E_clISt17integral_constantIbLb1EESZ_EEDaSU_SV_EUlSU_E_NS1_11comp_targetILNS1_3genE4ELNS1_11target_archE910ELNS1_3gpuE8ELNS1_3repE0EEENS1_30default_config_static_selectorELNS0_4arch9wavefront6targetE0EEEvT1_.kd
    .uniform_work_group_size: 1
    .uses_dynamic_stack: false
    .vgpr_count:     0
    .vgpr_spill_count: 0
    .wavefront_size: 32
  - .args:
      - .offset:         0
        .size:           136
        .value_kind:     by_value
    .group_segment_fixed_size: 0
    .kernarg_segment_align: 8
    .kernarg_segment_size: 136
    .language:       OpenCL C
    .language_version:
      - 2
      - 0
    .max_flat_workgroup_size: 256
    .name:           _ZN7rocprim17ROCPRIM_400000_NS6detail17trampoline_kernelINS0_14default_configENS1_27scan_by_key_config_selectorIxxEEZZNS1_16scan_by_key_implILNS1_25lookback_scan_determinismE0ELb0ES3_N6thrust23THRUST_200600_302600_NS6detail15normal_iteratorINS9_10device_ptrIxEEEESE_SE_xNS9_4plusIvEENS9_8equal_toIxEExEE10hipError_tPvRmT2_T3_T4_T5_mT6_T7_P12ihipStream_tbENKUlT_T0_E_clISt17integral_constantIbLb1EESZ_EEDaSU_SV_EUlSU_E_NS1_11comp_targetILNS1_3genE3ELNS1_11target_archE908ELNS1_3gpuE7ELNS1_3repE0EEENS1_30default_config_static_selectorELNS0_4arch9wavefront6targetE0EEEvT1_
    .private_segment_fixed_size: 0
    .sgpr_count:     0
    .sgpr_spill_count: 0
    .symbol:         _ZN7rocprim17ROCPRIM_400000_NS6detail17trampoline_kernelINS0_14default_configENS1_27scan_by_key_config_selectorIxxEEZZNS1_16scan_by_key_implILNS1_25lookback_scan_determinismE0ELb0ES3_N6thrust23THRUST_200600_302600_NS6detail15normal_iteratorINS9_10device_ptrIxEEEESE_SE_xNS9_4plusIvEENS9_8equal_toIxEExEE10hipError_tPvRmT2_T3_T4_T5_mT6_T7_P12ihipStream_tbENKUlT_T0_E_clISt17integral_constantIbLb1EESZ_EEDaSU_SV_EUlSU_E_NS1_11comp_targetILNS1_3genE3ELNS1_11target_archE908ELNS1_3gpuE7ELNS1_3repE0EEENS1_30default_config_static_selectorELNS0_4arch9wavefront6targetE0EEEvT1_.kd
    .uniform_work_group_size: 1
    .uses_dynamic_stack: false
    .vgpr_count:     0
    .vgpr_spill_count: 0
    .wavefront_size: 32
  - .args:
      - .offset:         0
        .size:           136
        .value_kind:     by_value
    .group_segment_fixed_size: 0
    .kernarg_segment_align: 8
    .kernarg_segment_size: 136
    .language:       OpenCL C
    .language_version:
      - 2
      - 0
    .max_flat_workgroup_size: 256
    .name:           _ZN7rocprim17ROCPRIM_400000_NS6detail17trampoline_kernelINS0_14default_configENS1_27scan_by_key_config_selectorIxxEEZZNS1_16scan_by_key_implILNS1_25lookback_scan_determinismE0ELb0ES3_N6thrust23THRUST_200600_302600_NS6detail15normal_iteratorINS9_10device_ptrIxEEEESE_SE_xNS9_4plusIvEENS9_8equal_toIxEExEE10hipError_tPvRmT2_T3_T4_T5_mT6_T7_P12ihipStream_tbENKUlT_T0_E_clISt17integral_constantIbLb1EESZ_EEDaSU_SV_EUlSU_E_NS1_11comp_targetILNS1_3genE2ELNS1_11target_archE906ELNS1_3gpuE6ELNS1_3repE0EEENS1_30default_config_static_selectorELNS0_4arch9wavefront6targetE0EEEvT1_
    .private_segment_fixed_size: 0
    .sgpr_count:     0
    .sgpr_spill_count: 0
    .symbol:         _ZN7rocprim17ROCPRIM_400000_NS6detail17trampoline_kernelINS0_14default_configENS1_27scan_by_key_config_selectorIxxEEZZNS1_16scan_by_key_implILNS1_25lookback_scan_determinismE0ELb0ES3_N6thrust23THRUST_200600_302600_NS6detail15normal_iteratorINS9_10device_ptrIxEEEESE_SE_xNS9_4plusIvEENS9_8equal_toIxEExEE10hipError_tPvRmT2_T3_T4_T5_mT6_T7_P12ihipStream_tbENKUlT_T0_E_clISt17integral_constantIbLb1EESZ_EEDaSU_SV_EUlSU_E_NS1_11comp_targetILNS1_3genE2ELNS1_11target_archE906ELNS1_3gpuE6ELNS1_3repE0EEENS1_30default_config_static_selectorELNS0_4arch9wavefront6targetE0EEEvT1_.kd
    .uniform_work_group_size: 1
    .uses_dynamic_stack: false
    .vgpr_count:     0
    .vgpr_spill_count: 0
    .wavefront_size: 32
  - .args:
      - .offset:         0
        .size:           136
        .value_kind:     by_value
    .group_segment_fixed_size: 0
    .kernarg_segment_align: 8
    .kernarg_segment_size: 136
    .language:       OpenCL C
    .language_version:
      - 2
      - 0
    .max_flat_workgroup_size: 256
    .name:           _ZN7rocprim17ROCPRIM_400000_NS6detail17trampoline_kernelINS0_14default_configENS1_27scan_by_key_config_selectorIxxEEZZNS1_16scan_by_key_implILNS1_25lookback_scan_determinismE0ELb0ES3_N6thrust23THRUST_200600_302600_NS6detail15normal_iteratorINS9_10device_ptrIxEEEESE_SE_xNS9_4plusIvEENS9_8equal_toIxEExEE10hipError_tPvRmT2_T3_T4_T5_mT6_T7_P12ihipStream_tbENKUlT_T0_E_clISt17integral_constantIbLb1EESZ_EEDaSU_SV_EUlSU_E_NS1_11comp_targetILNS1_3genE10ELNS1_11target_archE1200ELNS1_3gpuE4ELNS1_3repE0EEENS1_30default_config_static_selectorELNS0_4arch9wavefront6targetE0EEEvT1_
    .private_segment_fixed_size: 0
    .sgpr_count:     0
    .sgpr_spill_count: 0
    .symbol:         _ZN7rocprim17ROCPRIM_400000_NS6detail17trampoline_kernelINS0_14default_configENS1_27scan_by_key_config_selectorIxxEEZZNS1_16scan_by_key_implILNS1_25lookback_scan_determinismE0ELb0ES3_N6thrust23THRUST_200600_302600_NS6detail15normal_iteratorINS9_10device_ptrIxEEEESE_SE_xNS9_4plusIvEENS9_8equal_toIxEExEE10hipError_tPvRmT2_T3_T4_T5_mT6_T7_P12ihipStream_tbENKUlT_T0_E_clISt17integral_constantIbLb1EESZ_EEDaSU_SV_EUlSU_E_NS1_11comp_targetILNS1_3genE10ELNS1_11target_archE1200ELNS1_3gpuE4ELNS1_3repE0EEENS1_30default_config_static_selectorELNS0_4arch9wavefront6targetE0EEEvT1_.kd
    .uniform_work_group_size: 1
    .uses_dynamic_stack: false
    .vgpr_count:     0
    .vgpr_spill_count: 0
    .wavefront_size: 32
  - .args:
      - .offset:         0
        .size:           136
        .value_kind:     by_value
    .group_segment_fixed_size: 0
    .kernarg_segment_align: 8
    .kernarg_segment_size: 136
    .language:       OpenCL C
    .language_version:
      - 2
      - 0
    .max_flat_workgroup_size: 256
    .name:           _ZN7rocprim17ROCPRIM_400000_NS6detail17trampoline_kernelINS0_14default_configENS1_27scan_by_key_config_selectorIxxEEZZNS1_16scan_by_key_implILNS1_25lookback_scan_determinismE0ELb0ES3_N6thrust23THRUST_200600_302600_NS6detail15normal_iteratorINS9_10device_ptrIxEEEESE_SE_xNS9_4plusIvEENS9_8equal_toIxEExEE10hipError_tPvRmT2_T3_T4_T5_mT6_T7_P12ihipStream_tbENKUlT_T0_E_clISt17integral_constantIbLb1EESZ_EEDaSU_SV_EUlSU_E_NS1_11comp_targetILNS1_3genE9ELNS1_11target_archE1100ELNS1_3gpuE3ELNS1_3repE0EEENS1_30default_config_static_selectorELNS0_4arch9wavefront6targetE0EEEvT1_
    .private_segment_fixed_size: 0
    .sgpr_count:     0
    .sgpr_spill_count: 0
    .symbol:         _ZN7rocprim17ROCPRIM_400000_NS6detail17trampoline_kernelINS0_14default_configENS1_27scan_by_key_config_selectorIxxEEZZNS1_16scan_by_key_implILNS1_25lookback_scan_determinismE0ELb0ES3_N6thrust23THRUST_200600_302600_NS6detail15normal_iteratorINS9_10device_ptrIxEEEESE_SE_xNS9_4plusIvEENS9_8equal_toIxEExEE10hipError_tPvRmT2_T3_T4_T5_mT6_T7_P12ihipStream_tbENKUlT_T0_E_clISt17integral_constantIbLb1EESZ_EEDaSU_SV_EUlSU_E_NS1_11comp_targetILNS1_3genE9ELNS1_11target_archE1100ELNS1_3gpuE3ELNS1_3repE0EEENS1_30default_config_static_selectorELNS0_4arch9wavefront6targetE0EEEvT1_.kd
    .uniform_work_group_size: 1
    .uses_dynamic_stack: false
    .vgpr_count:     0
    .vgpr_spill_count: 0
    .wavefront_size: 32
  - .args:
      - .offset:         0
        .size:           136
        .value_kind:     by_value
    .group_segment_fixed_size: 0
    .kernarg_segment_align: 8
    .kernarg_segment_size: 136
    .language:       OpenCL C
    .language_version:
      - 2
      - 0
    .max_flat_workgroup_size: 256
    .name:           _ZN7rocprim17ROCPRIM_400000_NS6detail17trampoline_kernelINS0_14default_configENS1_27scan_by_key_config_selectorIxxEEZZNS1_16scan_by_key_implILNS1_25lookback_scan_determinismE0ELb0ES3_N6thrust23THRUST_200600_302600_NS6detail15normal_iteratorINS9_10device_ptrIxEEEESE_SE_xNS9_4plusIvEENS9_8equal_toIxEExEE10hipError_tPvRmT2_T3_T4_T5_mT6_T7_P12ihipStream_tbENKUlT_T0_E_clISt17integral_constantIbLb1EESZ_EEDaSU_SV_EUlSU_E_NS1_11comp_targetILNS1_3genE8ELNS1_11target_archE1030ELNS1_3gpuE2ELNS1_3repE0EEENS1_30default_config_static_selectorELNS0_4arch9wavefront6targetE0EEEvT1_
    .private_segment_fixed_size: 0
    .sgpr_count:     0
    .sgpr_spill_count: 0
    .symbol:         _ZN7rocprim17ROCPRIM_400000_NS6detail17trampoline_kernelINS0_14default_configENS1_27scan_by_key_config_selectorIxxEEZZNS1_16scan_by_key_implILNS1_25lookback_scan_determinismE0ELb0ES3_N6thrust23THRUST_200600_302600_NS6detail15normal_iteratorINS9_10device_ptrIxEEEESE_SE_xNS9_4plusIvEENS9_8equal_toIxEExEE10hipError_tPvRmT2_T3_T4_T5_mT6_T7_P12ihipStream_tbENKUlT_T0_E_clISt17integral_constantIbLb1EESZ_EEDaSU_SV_EUlSU_E_NS1_11comp_targetILNS1_3genE8ELNS1_11target_archE1030ELNS1_3gpuE2ELNS1_3repE0EEENS1_30default_config_static_selectorELNS0_4arch9wavefront6targetE0EEEvT1_.kd
    .uniform_work_group_size: 1
    .uses_dynamic_stack: false
    .vgpr_count:     0
    .vgpr_spill_count: 0
    .wavefront_size: 32
  - .args:
      - .offset:         0
        .size:           136
        .value_kind:     by_value
    .group_segment_fixed_size: 0
    .kernarg_segment_align: 8
    .kernarg_segment_size: 136
    .language:       OpenCL C
    .language_version:
      - 2
      - 0
    .max_flat_workgroup_size: 256
    .name:           _ZN7rocprim17ROCPRIM_400000_NS6detail17trampoline_kernelINS0_14default_configENS1_27scan_by_key_config_selectorIxxEEZZNS1_16scan_by_key_implILNS1_25lookback_scan_determinismE0ELb0ES3_N6thrust23THRUST_200600_302600_NS6detail15normal_iteratorINS9_10device_ptrIxEEEESE_SE_xNS9_4plusIvEENS9_8equal_toIxEExEE10hipError_tPvRmT2_T3_T4_T5_mT6_T7_P12ihipStream_tbENKUlT_T0_E_clISt17integral_constantIbLb1EESY_IbLb0EEEEDaSU_SV_EUlSU_E_NS1_11comp_targetILNS1_3genE0ELNS1_11target_archE4294967295ELNS1_3gpuE0ELNS1_3repE0EEENS1_30default_config_static_selectorELNS0_4arch9wavefront6targetE0EEEvT1_
    .private_segment_fixed_size: 0
    .sgpr_count:     0
    .sgpr_spill_count: 0
    .symbol:         _ZN7rocprim17ROCPRIM_400000_NS6detail17trampoline_kernelINS0_14default_configENS1_27scan_by_key_config_selectorIxxEEZZNS1_16scan_by_key_implILNS1_25lookback_scan_determinismE0ELb0ES3_N6thrust23THRUST_200600_302600_NS6detail15normal_iteratorINS9_10device_ptrIxEEEESE_SE_xNS9_4plusIvEENS9_8equal_toIxEExEE10hipError_tPvRmT2_T3_T4_T5_mT6_T7_P12ihipStream_tbENKUlT_T0_E_clISt17integral_constantIbLb1EESY_IbLb0EEEEDaSU_SV_EUlSU_E_NS1_11comp_targetILNS1_3genE0ELNS1_11target_archE4294967295ELNS1_3gpuE0ELNS1_3repE0EEENS1_30default_config_static_selectorELNS0_4arch9wavefront6targetE0EEEvT1_.kd
    .uniform_work_group_size: 1
    .uses_dynamic_stack: false
    .vgpr_count:     0
    .vgpr_spill_count: 0
    .wavefront_size: 32
  - .args:
      - .offset:         0
        .size:           136
        .value_kind:     by_value
    .group_segment_fixed_size: 0
    .kernarg_segment_align: 8
    .kernarg_segment_size: 136
    .language:       OpenCL C
    .language_version:
      - 2
      - 0
    .max_flat_workgroup_size: 256
    .name:           _ZN7rocprim17ROCPRIM_400000_NS6detail17trampoline_kernelINS0_14default_configENS1_27scan_by_key_config_selectorIxxEEZZNS1_16scan_by_key_implILNS1_25lookback_scan_determinismE0ELb0ES3_N6thrust23THRUST_200600_302600_NS6detail15normal_iteratorINS9_10device_ptrIxEEEESE_SE_xNS9_4plusIvEENS9_8equal_toIxEExEE10hipError_tPvRmT2_T3_T4_T5_mT6_T7_P12ihipStream_tbENKUlT_T0_E_clISt17integral_constantIbLb1EESY_IbLb0EEEEDaSU_SV_EUlSU_E_NS1_11comp_targetILNS1_3genE10ELNS1_11target_archE1201ELNS1_3gpuE5ELNS1_3repE0EEENS1_30default_config_static_selectorELNS0_4arch9wavefront6targetE0EEEvT1_
    .private_segment_fixed_size: 0
    .sgpr_count:     0
    .sgpr_spill_count: 0
    .symbol:         _ZN7rocprim17ROCPRIM_400000_NS6detail17trampoline_kernelINS0_14default_configENS1_27scan_by_key_config_selectorIxxEEZZNS1_16scan_by_key_implILNS1_25lookback_scan_determinismE0ELb0ES3_N6thrust23THRUST_200600_302600_NS6detail15normal_iteratorINS9_10device_ptrIxEEEESE_SE_xNS9_4plusIvEENS9_8equal_toIxEExEE10hipError_tPvRmT2_T3_T4_T5_mT6_T7_P12ihipStream_tbENKUlT_T0_E_clISt17integral_constantIbLb1EESY_IbLb0EEEEDaSU_SV_EUlSU_E_NS1_11comp_targetILNS1_3genE10ELNS1_11target_archE1201ELNS1_3gpuE5ELNS1_3repE0EEENS1_30default_config_static_selectorELNS0_4arch9wavefront6targetE0EEEvT1_.kd
    .uniform_work_group_size: 1
    .uses_dynamic_stack: false
    .vgpr_count:     0
    .vgpr_spill_count: 0
    .wavefront_size: 32
  - .args:
      - .offset:         0
        .size:           136
        .value_kind:     by_value
    .group_segment_fixed_size: 0
    .kernarg_segment_align: 8
    .kernarg_segment_size: 136
    .language:       OpenCL C
    .language_version:
      - 2
      - 0
    .max_flat_workgroup_size: 256
    .name:           _ZN7rocprim17ROCPRIM_400000_NS6detail17trampoline_kernelINS0_14default_configENS1_27scan_by_key_config_selectorIxxEEZZNS1_16scan_by_key_implILNS1_25lookback_scan_determinismE0ELb0ES3_N6thrust23THRUST_200600_302600_NS6detail15normal_iteratorINS9_10device_ptrIxEEEESE_SE_xNS9_4plusIvEENS9_8equal_toIxEExEE10hipError_tPvRmT2_T3_T4_T5_mT6_T7_P12ihipStream_tbENKUlT_T0_E_clISt17integral_constantIbLb1EESY_IbLb0EEEEDaSU_SV_EUlSU_E_NS1_11comp_targetILNS1_3genE5ELNS1_11target_archE942ELNS1_3gpuE9ELNS1_3repE0EEENS1_30default_config_static_selectorELNS0_4arch9wavefront6targetE0EEEvT1_
    .private_segment_fixed_size: 0
    .sgpr_count:     0
    .sgpr_spill_count: 0
    .symbol:         _ZN7rocprim17ROCPRIM_400000_NS6detail17trampoline_kernelINS0_14default_configENS1_27scan_by_key_config_selectorIxxEEZZNS1_16scan_by_key_implILNS1_25lookback_scan_determinismE0ELb0ES3_N6thrust23THRUST_200600_302600_NS6detail15normal_iteratorINS9_10device_ptrIxEEEESE_SE_xNS9_4plusIvEENS9_8equal_toIxEExEE10hipError_tPvRmT2_T3_T4_T5_mT6_T7_P12ihipStream_tbENKUlT_T0_E_clISt17integral_constantIbLb1EESY_IbLb0EEEEDaSU_SV_EUlSU_E_NS1_11comp_targetILNS1_3genE5ELNS1_11target_archE942ELNS1_3gpuE9ELNS1_3repE0EEENS1_30default_config_static_selectorELNS0_4arch9wavefront6targetE0EEEvT1_.kd
    .uniform_work_group_size: 1
    .uses_dynamic_stack: false
    .vgpr_count:     0
    .vgpr_spill_count: 0
    .wavefront_size: 32
  - .args:
      - .offset:         0
        .size:           136
        .value_kind:     by_value
    .group_segment_fixed_size: 0
    .kernarg_segment_align: 8
    .kernarg_segment_size: 136
    .language:       OpenCL C
    .language_version:
      - 2
      - 0
    .max_flat_workgroup_size: 64
    .name:           _ZN7rocprim17ROCPRIM_400000_NS6detail17trampoline_kernelINS0_14default_configENS1_27scan_by_key_config_selectorIxxEEZZNS1_16scan_by_key_implILNS1_25lookback_scan_determinismE0ELb0ES3_N6thrust23THRUST_200600_302600_NS6detail15normal_iteratorINS9_10device_ptrIxEEEESE_SE_xNS9_4plusIvEENS9_8equal_toIxEExEE10hipError_tPvRmT2_T3_T4_T5_mT6_T7_P12ihipStream_tbENKUlT_T0_E_clISt17integral_constantIbLb1EESY_IbLb0EEEEDaSU_SV_EUlSU_E_NS1_11comp_targetILNS1_3genE4ELNS1_11target_archE910ELNS1_3gpuE8ELNS1_3repE0EEENS1_30default_config_static_selectorELNS0_4arch9wavefront6targetE0EEEvT1_
    .private_segment_fixed_size: 0
    .sgpr_count:     0
    .sgpr_spill_count: 0
    .symbol:         _ZN7rocprim17ROCPRIM_400000_NS6detail17trampoline_kernelINS0_14default_configENS1_27scan_by_key_config_selectorIxxEEZZNS1_16scan_by_key_implILNS1_25lookback_scan_determinismE0ELb0ES3_N6thrust23THRUST_200600_302600_NS6detail15normal_iteratorINS9_10device_ptrIxEEEESE_SE_xNS9_4plusIvEENS9_8equal_toIxEExEE10hipError_tPvRmT2_T3_T4_T5_mT6_T7_P12ihipStream_tbENKUlT_T0_E_clISt17integral_constantIbLb1EESY_IbLb0EEEEDaSU_SV_EUlSU_E_NS1_11comp_targetILNS1_3genE4ELNS1_11target_archE910ELNS1_3gpuE8ELNS1_3repE0EEENS1_30default_config_static_selectorELNS0_4arch9wavefront6targetE0EEEvT1_.kd
    .uniform_work_group_size: 1
    .uses_dynamic_stack: false
    .vgpr_count:     0
    .vgpr_spill_count: 0
    .wavefront_size: 32
  - .args:
      - .offset:         0
        .size:           136
        .value_kind:     by_value
    .group_segment_fixed_size: 0
    .kernarg_segment_align: 8
    .kernarg_segment_size: 136
    .language:       OpenCL C
    .language_version:
      - 2
      - 0
    .max_flat_workgroup_size: 256
    .name:           _ZN7rocprim17ROCPRIM_400000_NS6detail17trampoline_kernelINS0_14default_configENS1_27scan_by_key_config_selectorIxxEEZZNS1_16scan_by_key_implILNS1_25lookback_scan_determinismE0ELb0ES3_N6thrust23THRUST_200600_302600_NS6detail15normal_iteratorINS9_10device_ptrIxEEEESE_SE_xNS9_4plusIvEENS9_8equal_toIxEExEE10hipError_tPvRmT2_T3_T4_T5_mT6_T7_P12ihipStream_tbENKUlT_T0_E_clISt17integral_constantIbLb1EESY_IbLb0EEEEDaSU_SV_EUlSU_E_NS1_11comp_targetILNS1_3genE3ELNS1_11target_archE908ELNS1_3gpuE7ELNS1_3repE0EEENS1_30default_config_static_selectorELNS0_4arch9wavefront6targetE0EEEvT1_
    .private_segment_fixed_size: 0
    .sgpr_count:     0
    .sgpr_spill_count: 0
    .symbol:         _ZN7rocprim17ROCPRIM_400000_NS6detail17trampoline_kernelINS0_14default_configENS1_27scan_by_key_config_selectorIxxEEZZNS1_16scan_by_key_implILNS1_25lookback_scan_determinismE0ELb0ES3_N6thrust23THRUST_200600_302600_NS6detail15normal_iteratorINS9_10device_ptrIxEEEESE_SE_xNS9_4plusIvEENS9_8equal_toIxEExEE10hipError_tPvRmT2_T3_T4_T5_mT6_T7_P12ihipStream_tbENKUlT_T0_E_clISt17integral_constantIbLb1EESY_IbLb0EEEEDaSU_SV_EUlSU_E_NS1_11comp_targetILNS1_3genE3ELNS1_11target_archE908ELNS1_3gpuE7ELNS1_3repE0EEENS1_30default_config_static_selectorELNS0_4arch9wavefront6targetE0EEEvT1_.kd
    .uniform_work_group_size: 1
    .uses_dynamic_stack: false
    .vgpr_count:     0
    .vgpr_spill_count: 0
    .wavefront_size: 32
  - .args:
      - .offset:         0
        .size:           136
        .value_kind:     by_value
    .group_segment_fixed_size: 0
    .kernarg_segment_align: 8
    .kernarg_segment_size: 136
    .language:       OpenCL C
    .language_version:
      - 2
      - 0
    .max_flat_workgroup_size: 256
    .name:           _ZN7rocprim17ROCPRIM_400000_NS6detail17trampoline_kernelINS0_14default_configENS1_27scan_by_key_config_selectorIxxEEZZNS1_16scan_by_key_implILNS1_25lookback_scan_determinismE0ELb0ES3_N6thrust23THRUST_200600_302600_NS6detail15normal_iteratorINS9_10device_ptrIxEEEESE_SE_xNS9_4plusIvEENS9_8equal_toIxEExEE10hipError_tPvRmT2_T3_T4_T5_mT6_T7_P12ihipStream_tbENKUlT_T0_E_clISt17integral_constantIbLb1EESY_IbLb0EEEEDaSU_SV_EUlSU_E_NS1_11comp_targetILNS1_3genE2ELNS1_11target_archE906ELNS1_3gpuE6ELNS1_3repE0EEENS1_30default_config_static_selectorELNS0_4arch9wavefront6targetE0EEEvT1_
    .private_segment_fixed_size: 0
    .sgpr_count:     0
    .sgpr_spill_count: 0
    .symbol:         _ZN7rocprim17ROCPRIM_400000_NS6detail17trampoline_kernelINS0_14default_configENS1_27scan_by_key_config_selectorIxxEEZZNS1_16scan_by_key_implILNS1_25lookback_scan_determinismE0ELb0ES3_N6thrust23THRUST_200600_302600_NS6detail15normal_iteratorINS9_10device_ptrIxEEEESE_SE_xNS9_4plusIvEENS9_8equal_toIxEExEE10hipError_tPvRmT2_T3_T4_T5_mT6_T7_P12ihipStream_tbENKUlT_T0_E_clISt17integral_constantIbLb1EESY_IbLb0EEEEDaSU_SV_EUlSU_E_NS1_11comp_targetILNS1_3genE2ELNS1_11target_archE906ELNS1_3gpuE6ELNS1_3repE0EEENS1_30default_config_static_selectorELNS0_4arch9wavefront6targetE0EEEvT1_.kd
    .uniform_work_group_size: 1
    .uses_dynamic_stack: false
    .vgpr_count:     0
    .vgpr_spill_count: 0
    .wavefront_size: 32
  - .args:
      - .offset:         0
        .size:           136
        .value_kind:     by_value
    .group_segment_fixed_size: 0
    .kernarg_segment_align: 8
    .kernarg_segment_size: 136
    .language:       OpenCL C
    .language_version:
      - 2
      - 0
    .max_flat_workgroup_size: 256
    .name:           _ZN7rocprim17ROCPRIM_400000_NS6detail17trampoline_kernelINS0_14default_configENS1_27scan_by_key_config_selectorIxxEEZZNS1_16scan_by_key_implILNS1_25lookback_scan_determinismE0ELb0ES3_N6thrust23THRUST_200600_302600_NS6detail15normal_iteratorINS9_10device_ptrIxEEEESE_SE_xNS9_4plusIvEENS9_8equal_toIxEExEE10hipError_tPvRmT2_T3_T4_T5_mT6_T7_P12ihipStream_tbENKUlT_T0_E_clISt17integral_constantIbLb1EESY_IbLb0EEEEDaSU_SV_EUlSU_E_NS1_11comp_targetILNS1_3genE10ELNS1_11target_archE1200ELNS1_3gpuE4ELNS1_3repE0EEENS1_30default_config_static_selectorELNS0_4arch9wavefront6targetE0EEEvT1_
    .private_segment_fixed_size: 0
    .sgpr_count:     0
    .sgpr_spill_count: 0
    .symbol:         _ZN7rocprim17ROCPRIM_400000_NS6detail17trampoline_kernelINS0_14default_configENS1_27scan_by_key_config_selectorIxxEEZZNS1_16scan_by_key_implILNS1_25lookback_scan_determinismE0ELb0ES3_N6thrust23THRUST_200600_302600_NS6detail15normal_iteratorINS9_10device_ptrIxEEEESE_SE_xNS9_4plusIvEENS9_8equal_toIxEExEE10hipError_tPvRmT2_T3_T4_T5_mT6_T7_P12ihipStream_tbENKUlT_T0_E_clISt17integral_constantIbLb1EESY_IbLb0EEEEDaSU_SV_EUlSU_E_NS1_11comp_targetILNS1_3genE10ELNS1_11target_archE1200ELNS1_3gpuE4ELNS1_3repE0EEENS1_30default_config_static_selectorELNS0_4arch9wavefront6targetE0EEEvT1_.kd
    .uniform_work_group_size: 1
    .uses_dynamic_stack: false
    .vgpr_count:     0
    .vgpr_spill_count: 0
    .wavefront_size: 32
  - .args:
      - .offset:         0
        .size:           136
        .value_kind:     by_value
    .group_segment_fixed_size: 0
    .kernarg_segment_align: 8
    .kernarg_segment_size: 136
    .language:       OpenCL C
    .language_version:
      - 2
      - 0
    .max_flat_workgroup_size: 256
    .name:           _ZN7rocprim17ROCPRIM_400000_NS6detail17trampoline_kernelINS0_14default_configENS1_27scan_by_key_config_selectorIxxEEZZNS1_16scan_by_key_implILNS1_25lookback_scan_determinismE0ELb0ES3_N6thrust23THRUST_200600_302600_NS6detail15normal_iteratorINS9_10device_ptrIxEEEESE_SE_xNS9_4plusIvEENS9_8equal_toIxEExEE10hipError_tPvRmT2_T3_T4_T5_mT6_T7_P12ihipStream_tbENKUlT_T0_E_clISt17integral_constantIbLb1EESY_IbLb0EEEEDaSU_SV_EUlSU_E_NS1_11comp_targetILNS1_3genE9ELNS1_11target_archE1100ELNS1_3gpuE3ELNS1_3repE0EEENS1_30default_config_static_selectorELNS0_4arch9wavefront6targetE0EEEvT1_
    .private_segment_fixed_size: 0
    .sgpr_count:     0
    .sgpr_spill_count: 0
    .symbol:         _ZN7rocprim17ROCPRIM_400000_NS6detail17trampoline_kernelINS0_14default_configENS1_27scan_by_key_config_selectorIxxEEZZNS1_16scan_by_key_implILNS1_25lookback_scan_determinismE0ELb0ES3_N6thrust23THRUST_200600_302600_NS6detail15normal_iteratorINS9_10device_ptrIxEEEESE_SE_xNS9_4plusIvEENS9_8equal_toIxEExEE10hipError_tPvRmT2_T3_T4_T5_mT6_T7_P12ihipStream_tbENKUlT_T0_E_clISt17integral_constantIbLb1EESY_IbLb0EEEEDaSU_SV_EUlSU_E_NS1_11comp_targetILNS1_3genE9ELNS1_11target_archE1100ELNS1_3gpuE3ELNS1_3repE0EEENS1_30default_config_static_selectorELNS0_4arch9wavefront6targetE0EEEvT1_.kd
    .uniform_work_group_size: 1
    .uses_dynamic_stack: false
    .vgpr_count:     0
    .vgpr_spill_count: 0
    .wavefront_size: 32
  - .args:
      - .offset:         0
        .size:           136
        .value_kind:     by_value
    .group_segment_fixed_size: 0
    .kernarg_segment_align: 8
    .kernarg_segment_size: 136
    .language:       OpenCL C
    .language_version:
      - 2
      - 0
    .max_flat_workgroup_size: 256
    .name:           _ZN7rocprim17ROCPRIM_400000_NS6detail17trampoline_kernelINS0_14default_configENS1_27scan_by_key_config_selectorIxxEEZZNS1_16scan_by_key_implILNS1_25lookback_scan_determinismE0ELb0ES3_N6thrust23THRUST_200600_302600_NS6detail15normal_iteratorINS9_10device_ptrIxEEEESE_SE_xNS9_4plusIvEENS9_8equal_toIxEExEE10hipError_tPvRmT2_T3_T4_T5_mT6_T7_P12ihipStream_tbENKUlT_T0_E_clISt17integral_constantIbLb1EESY_IbLb0EEEEDaSU_SV_EUlSU_E_NS1_11comp_targetILNS1_3genE8ELNS1_11target_archE1030ELNS1_3gpuE2ELNS1_3repE0EEENS1_30default_config_static_selectorELNS0_4arch9wavefront6targetE0EEEvT1_
    .private_segment_fixed_size: 0
    .sgpr_count:     0
    .sgpr_spill_count: 0
    .symbol:         _ZN7rocprim17ROCPRIM_400000_NS6detail17trampoline_kernelINS0_14default_configENS1_27scan_by_key_config_selectorIxxEEZZNS1_16scan_by_key_implILNS1_25lookback_scan_determinismE0ELb0ES3_N6thrust23THRUST_200600_302600_NS6detail15normal_iteratorINS9_10device_ptrIxEEEESE_SE_xNS9_4plusIvEENS9_8equal_toIxEExEE10hipError_tPvRmT2_T3_T4_T5_mT6_T7_P12ihipStream_tbENKUlT_T0_E_clISt17integral_constantIbLb1EESY_IbLb0EEEEDaSU_SV_EUlSU_E_NS1_11comp_targetILNS1_3genE8ELNS1_11target_archE1030ELNS1_3gpuE2ELNS1_3repE0EEENS1_30default_config_static_selectorELNS0_4arch9wavefront6targetE0EEEvT1_.kd
    .uniform_work_group_size: 1
    .uses_dynamic_stack: false
    .vgpr_count:     0
    .vgpr_spill_count: 0
    .wavefront_size: 32
  - .args:
      - .offset:         0
        .size:           136
        .value_kind:     by_value
    .group_segment_fixed_size: 32768
    .kernarg_segment_align: 8
    .kernarg_segment_size: 136
    .language:       OpenCL C
    .language_version:
      - 2
      - 0
    .max_flat_workgroup_size: 256
    .name:           _ZN7rocprim17ROCPRIM_400000_NS6detail17trampoline_kernelINS0_14default_configENS1_27scan_by_key_config_selectorIxxEEZZNS1_16scan_by_key_implILNS1_25lookback_scan_determinismE0ELb0ES3_N6thrust23THRUST_200600_302600_NS6detail15normal_iteratorINS9_10device_ptrIxEEEESE_SE_xNS9_4plusIvEENS9_8equal_toIxEExEE10hipError_tPvRmT2_T3_T4_T5_mT6_T7_P12ihipStream_tbENKUlT_T0_E_clISt17integral_constantIbLb0EESY_IbLb1EEEEDaSU_SV_EUlSU_E_NS1_11comp_targetILNS1_3genE0ELNS1_11target_archE4294967295ELNS1_3gpuE0ELNS1_3repE0EEENS1_30default_config_static_selectorELNS0_4arch9wavefront6targetE0EEEvT1_
    .private_segment_fixed_size: 0
    .sgpr_count:     58
    .sgpr_spill_count: 0
    .symbol:         _ZN7rocprim17ROCPRIM_400000_NS6detail17trampoline_kernelINS0_14default_configENS1_27scan_by_key_config_selectorIxxEEZZNS1_16scan_by_key_implILNS1_25lookback_scan_determinismE0ELb0ES3_N6thrust23THRUST_200600_302600_NS6detail15normal_iteratorINS9_10device_ptrIxEEEESE_SE_xNS9_4plusIvEENS9_8equal_toIxEExEE10hipError_tPvRmT2_T3_T4_T5_mT6_T7_P12ihipStream_tbENKUlT_T0_E_clISt17integral_constantIbLb0EESY_IbLb1EEEEDaSU_SV_EUlSU_E_NS1_11comp_targetILNS1_3genE0ELNS1_11target_archE4294967295ELNS1_3gpuE0ELNS1_3repE0EEENS1_30default_config_static_selectorELNS0_4arch9wavefront6targetE0EEEvT1_.kd
    .uniform_work_group_size: 1
    .uses_dynamic_stack: false
    .vgpr_count:     111
    .vgpr_spill_count: 0
    .wavefront_size: 32
  - .args:
      - .offset:         0
        .size:           136
        .value_kind:     by_value
    .group_segment_fixed_size: 0
    .kernarg_segment_align: 8
    .kernarg_segment_size: 136
    .language:       OpenCL C
    .language_version:
      - 2
      - 0
    .max_flat_workgroup_size: 256
    .name:           _ZN7rocprim17ROCPRIM_400000_NS6detail17trampoline_kernelINS0_14default_configENS1_27scan_by_key_config_selectorIxxEEZZNS1_16scan_by_key_implILNS1_25lookback_scan_determinismE0ELb0ES3_N6thrust23THRUST_200600_302600_NS6detail15normal_iteratorINS9_10device_ptrIxEEEESE_SE_xNS9_4plusIvEENS9_8equal_toIxEExEE10hipError_tPvRmT2_T3_T4_T5_mT6_T7_P12ihipStream_tbENKUlT_T0_E_clISt17integral_constantIbLb0EESY_IbLb1EEEEDaSU_SV_EUlSU_E_NS1_11comp_targetILNS1_3genE10ELNS1_11target_archE1201ELNS1_3gpuE5ELNS1_3repE0EEENS1_30default_config_static_selectorELNS0_4arch9wavefront6targetE0EEEvT1_
    .private_segment_fixed_size: 0
    .sgpr_count:     0
    .sgpr_spill_count: 0
    .symbol:         _ZN7rocprim17ROCPRIM_400000_NS6detail17trampoline_kernelINS0_14default_configENS1_27scan_by_key_config_selectorIxxEEZZNS1_16scan_by_key_implILNS1_25lookback_scan_determinismE0ELb0ES3_N6thrust23THRUST_200600_302600_NS6detail15normal_iteratorINS9_10device_ptrIxEEEESE_SE_xNS9_4plusIvEENS9_8equal_toIxEExEE10hipError_tPvRmT2_T3_T4_T5_mT6_T7_P12ihipStream_tbENKUlT_T0_E_clISt17integral_constantIbLb0EESY_IbLb1EEEEDaSU_SV_EUlSU_E_NS1_11comp_targetILNS1_3genE10ELNS1_11target_archE1201ELNS1_3gpuE5ELNS1_3repE0EEENS1_30default_config_static_selectorELNS0_4arch9wavefront6targetE0EEEvT1_.kd
    .uniform_work_group_size: 1
    .uses_dynamic_stack: false
    .vgpr_count:     0
    .vgpr_spill_count: 0
    .wavefront_size: 32
  - .args:
      - .offset:         0
        .size:           136
        .value_kind:     by_value
    .group_segment_fixed_size: 0
    .kernarg_segment_align: 8
    .kernarg_segment_size: 136
    .language:       OpenCL C
    .language_version:
      - 2
      - 0
    .max_flat_workgroup_size: 256
    .name:           _ZN7rocprim17ROCPRIM_400000_NS6detail17trampoline_kernelINS0_14default_configENS1_27scan_by_key_config_selectorIxxEEZZNS1_16scan_by_key_implILNS1_25lookback_scan_determinismE0ELb0ES3_N6thrust23THRUST_200600_302600_NS6detail15normal_iteratorINS9_10device_ptrIxEEEESE_SE_xNS9_4plusIvEENS9_8equal_toIxEExEE10hipError_tPvRmT2_T3_T4_T5_mT6_T7_P12ihipStream_tbENKUlT_T0_E_clISt17integral_constantIbLb0EESY_IbLb1EEEEDaSU_SV_EUlSU_E_NS1_11comp_targetILNS1_3genE5ELNS1_11target_archE942ELNS1_3gpuE9ELNS1_3repE0EEENS1_30default_config_static_selectorELNS0_4arch9wavefront6targetE0EEEvT1_
    .private_segment_fixed_size: 0
    .sgpr_count:     0
    .sgpr_spill_count: 0
    .symbol:         _ZN7rocprim17ROCPRIM_400000_NS6detail17trampoline_kernelINS0_14default_configENS1_27scan_by_key_config_selectorIxxEEZZNS1_16scan_by_key_implILNS1_25lookback_scan_determinismE0ELb0ES3_N6thrust23THRUST_200600_302600_NS6detail15normal_iteratorINS9_10device_ptrIxEEEESE_SE_xNS9_4plusIvEENS9_8equal_toIxEExEE10hipError_tPvRmT2_T3_T4_T5_mT6_T7_P12ihipStream_tbENKUlT_T0_E_clISt17integral_constantIbLb0EESY_IbLb1EEEEDaSU_SV_EUlSU_E_NS1_11comp_targetILNS1_3genE5ELNS1_11target_archE942ELNS1_3gpuE9ELNS1_3repE0EEENS1_30default_config_static_selectorELNS0_4arch9wavefront6targetE0EEEvT1_.kd
    .uniform_work_group_size: 1
    .uses_dynamic_stack: false
    .vgpr_count:     0
    .vgpr_spill_count: 0
    .wavefront_size: 32
  - .args:
      - .offset:         0
        .size:           136
        .value_kind:     by_value
    .group_segment_fixed_size: 0
    .kernarg_segment_align: 8
    .kernarg_segment_size: 136
    .language:       OpenCL C
    .language_version:
      - 2
      - 0
    .max_flat_workgroup_size: 64
    .name:           _ZN7rocprim17ROCPRIM_400000_NS6detail17trampoline_kernelINS0_14default_configENS1_27scan_by_key_config_selectorIxxEEZZNS1_16scan_by_key_implILNS1_25lookback_scan_determinismE0ELb0ES3_N6thrust23THRUST_200600_302600_NS6detail15normal_iteratorINS9_10device_ptrIxEEEESE_SE_xNS9_4plusIvEENS9_8equal_toIxEExEE10hipError_tPvRmT2_T3_T4_T5_mT6_T7_P12ihipStream_tbENKUlT_T0_E_clISt17integral_constantIbLb0EESY_IbLb1EEEEDaSU_SV_EUlSU_E_NS1_11comp_targetILNS1_3genE4ELNS1_11target_archE910ELNS1_3gpuE8ELNS1_3repE0EEENS1_30default_config_static_selectorELNS0_4arch9wavefront6targetE0EEEvT1_
    .private_segment_fixed_size: 0
    .sgpr_count:     0
    .sgpr_spill_count: 0
    .symbol:         _ZN7rocprim17ROCPRIM_400000_NS6detail17trampoline_kernelINS0_14default_configENS1_27scan_by_key_config_selectorIxxEEZZNS1_16scan_by_key_implILNS1_25lookback_scan_determinismE0ELb0ES3_N6thrust23THRUST_200600_302600_NS6detail15normal_iteratorINS9_10device_ptrIxEEEESE_SE_xNS9_4plusIvEENS9_8equal_toIxEExEE10hipError_tPvRmT2_T3_T4_T5_mT6_T7_P12ihipStream_tbENKUlT_T0_E_clISt17integral_constantIbLb0EESY_IbLb1EEEEDaSU_SV_EUlSU_E_NS1_11comp_targetILNS1_3genE4ELNS1_11target_archE910ELNS1_3gpuE8ELNS1_3repE0EEENS1_30default_config_static_selectorELNS0_4arch9wavefront6targetE0EEEvT1_.kd
    .uniform_work_group_size: 1
    .uses_dynamic_stack: false
    .vgpr_count:     0
    .vgpr_spill_count: 0
    .wavefront_size: 32
  - .args:
      - .offset:         0
        .size:           136
        .value_kind:     by_value
    .group_segment_fixed_size: 0
    .kernarg_segment_align: 8
    .kernarg_segment_size: 136
    .language:       OpenCL C
    .language_version:
      - 2
      - 0
    .max_flat_workgroup_size: 256
    .name:           _ZN7rocprim17ROCPRIM_400000_NS6detail17trampoline_kernelINS0_14default_configENS1_27scan_by_key_config_selectorIxxEEZZNS1_16scan_by_key_implILNS1_25lookback_scan_determinismE0ELb0ES3_N6thrust23THRUST_200600_302600_NS6detail15normal_iteratorINS9_10device_ptrIxEEEESE_SE_xNS9_4plusIvEENS9_8equal_toIxEExEE10hipError_tPvRmT2_T3_T4_T5_mT6_T7_P12ihipStream_tbENKUlT_T0_E_clISt17integral_constantIbLb0EESY_IbLb1EEEEDaSU_SV_EUlSU_E_NS1_11comp_targetILNS1_3genE3ELNS1_11target_archE908ELNS1_3gpuE7ELNS1_3repE0EEENS1_30default_config_static_selectorELNS0_4arch9wavefront6targetE0EEEvT1_
    .private_segment_fixed_size: 0
    .sgpr_count:     0
    .sgpr_spill_count: 0
    .symbol:         _ZN7rocprim17ROCPRIM_400000_NS6detail17trampoline_kernelINS0_14default_configENS1_27scan_by_key_config_selectorIxxEEZZNS1_16scan_by_key_implILNS1_25lookback_scan_determinismE0ELb0ES3_N6thrust23THRUST_200600_302600_NS6detail15normal_iteratorINS9_10device_ptrIxEEEESE_SE_xNS9_4plusIvEENS9_8equal_toIxEExEE10hipError_tPvRmT2_T3_T4_T5_mT6_T7_P12ihipStream_tbENKUlT_T0_E_clISt17integral_constantIbLb0EESY_IbLb1EEEEDaSU_SV_EUlSU_E_NS1_11comp_targetILNS1_3genE3ELNS1_11target_archE908ELNS1_3gpuE7ELNS1_3repE0EEENS1_30default_config_static_selectorELNS0_4arch9wavefront6targetE0EEEvT1_.kd
    .uniform_work_group_size: 1
    .uses_dynamic_stack: false
    .vgpr_count:     0
    .vgpr_spill_count: 0
    .wavefront_size: 32
  - .args:
      - .offset:         0
        .size:           136
        .value_kind:     by_value
    .group_segment_fixed_size: 0
    .kernarg_segment_align: 8
    .kernarg_segment_size: 136
    .language:       OpenCL C
    .language_version:
      - 2
      - 0
    .max_flat_workgroup_size: 256
    .name:           _ZN7rocprim17ROCPRIM_400000_NS6detail17trampoline_kernelINS0_14default_configENS1_27scan_by_key_config_selectorIxxEEZZNS1_16scan_by_key_implILNS1_25lookback_scan_determinismE0ELb0ES3_N6thrust23THRUST_200600_302600_NS6detail15normal_iteratorINS9_10device_ptrIxEEEESE_SE_xNS9_4plusIvEENS9_8equal_toIxEExEE10hipError_tPvRmT2_T3_T4_T5_mT6_T7_P12ihipStream_tbENKUlT_T0_E_clISt17integral_constantIbLb0EESY_IbLb1EEEEDaSU_SV_EUlSU_E_NS1_11comp_targetILNS1_3genE2ELNS1_11target_archE906ELNS1_3gpuE6ELNS1_3repE0EEENS1_30default_config_static_selectorELNS0_4arch9wavefront6targetE0EEEvT1_
    .private_segment_fixed_size: 0
    .sgpr_count:     0
    .sgpr_spill_count: 0
    .symbol:         _ZN7rocprim17ROCPRIM_400000_NS6detail17trampoline_kernelINS0_14default_configENS1_27scan_by_key_config_selectorIxxEEZZNS1_16scan_by_key_implILNS1_25lookback_scan_determinismE0ELb0ES3_N6thrust23THRUST_200600_302600_NS6detail15normal_iteratorINS9_10device_ptrIxEEEESE_SE_xNS9_4plusIvEENS9_8equal_toIxEExEE10hipError_tPvRmT2_T3_T4_T5_mT6_T7_P12ihipStream_tbENKUlT_T0_E_clISt17integral_constantIbLb0EESY_IbLb1EEEEDaSU_SV_EUlSU_E_NS1_11comp_targetILNS1_3genE2ELNS1_11target_archE906ELNS1_3gpuE6ELNS1_3repE0EEENS1_30default_config_static_selectorELNS0_4arch9wavefront6targetE0EEEvT1_.kd
    .uniform_work_group_size: 1
    .uses_dynamic_stack: false
    .vgpr_count:     0
    .vgpr_spill_count: 0
    .wavefront_size: 32
  - .args:
      - .offset:         0
        .size:           136
        .value_kind:     by_value
    .group_segment_fixed_size: 0
    .kernarg_segment_align: 8
    .kernarg_segment_size: 136
    .language:       OpenCL C
    .language_version:
      - 2
      - 0
    .max_flat_workgroup_size: 256
    .name:           _ZN7rocprim17ROCPRIM_400000_NS6detail17trampoline_kernelINS0_14default_configENS1_27scan_by_key_config_selectorIxxEEZZNS1_16scan_by_key_implILNS1_25lookback_scan_determinismE0ELb0ES3_N6thrust23THRUST_200600_302600_NS6detail15normal_iteratorINS9_10device_ptrIxEEEESE_SE_xNS9_4plusIvEENS9_8equal_toIxEExEE10hipError_tPvRmT2_T3_T4_T5_mT6_T7_P12ihipStream_tbENKUlT_T0_E_clISt17integral_constantIbLb0EESY_IbLb1EEEEDaSU_SV_EUlSU_E_NS1_11comp_targetILNS1_3genE10ELNS1_11target_archE1200ELNS1_3gpuE4ELNS1_3repE0EEENS1_30default_config_static_selectorELNS0_4arch9wavefront6targetE0EEEvT1_
    .private_segment_fixed_size: 0
    .sgpr_count:     0
    .sgpr_spill_count: 0
    .symbol:         _ZN7rocprim17ROCPRIM_400000_NS6detail17trampoline_kernelINS0_14default_configENS1_27scan_by_key_config_selectorIxxEEZZNS1_16scan_by_key_implILNS1_25lookback_scan_determinismE0ELb0ES3_N6thrust23THRUST_200600_302600_NS6detail15normal_iteratorINS9_10device_ptrIxEEEESE_SE_xNS9_4plusIvEENS9_8equal_toIxEExEE10hipError_tPvRmT2_T3_T4_T5_mT6_T7_P12ihipStream_tbENKUlT_T0_E_clISt17integral_constantIbLb0EESY_IbLb1EEEEDaSU_SV_EUlSU_E_NS1_11comp_targetILNS1_3genE10ELNS1_11target_archE1200ELNS1_3gpuE4ELNS1_3repE0EEENS1_30default_config_static_selectorELNS0_4arch9wavefront6targetE0EEEvT1_.kd
    .uniform_work_group_size: 1
    .uses_dynamic_stack: false
    .vgpr_count:     0
    .vgpr_spill_count: 0
    .wavefront_size: 32
  - .args:
      - .offset:         0
        .size:           136
        .value_kind:     by_value
    .group_segment_fixed_size: 0
    .kernarg_segment_align: 8
    .kernarg_segment_size: 136
    .language:       OpenCL C
    .language_version:
      - 2
      - 0
    .max_flat_workgroup_size: 256
    .name:           _ZN7rocprim17ROCPRIM_400000_NS6detail17trampoline_kernelINS0_14default_configENS1_27scan_by_key_config_selectorIxxEEZZNS1_16scan_by_key_implILNS1_25lookback_scan_determinismE0ELb0ES3_N6thrust23THRUST_200600_302600_NS6detail15normal_iteratorINS9_10device_ptrIxEEEESE_SE_xNS9_4plusIvEENS9_8equal_toIxEExEE10hipError_tPvRmT2_T3_T4_T5_mT6_T7_P12ihipStream_tbENKUlT_T0_E_clISt17integral_constantIbLb0EESY_IbLb1EEEEDaSU_SV_EUlSU_E_NS1_11comp_targetILNS1_3genE9ELNS1_11target_archE1100ELNS1_3gpuE3ELNS1_3repE0EEENS1_30default_config_static_selectorELNS0_4arch9wavefront6targetE0EEEvT1_
    .private_segment_fixed_size: 0
    .sgpr_count:     0
    .sgpr_spill_count: 0
    .symbol:         _ZN7rocprim17ROCPRIM_400000_NS6detail17trampoline_kernelINS0_14default_configENS1_27scan_by_key_config_selectorIxxEEZZNS1_16scan_by_key_implILNS1_25lookback_scan_determinismE0ELb0ES3_N6thrust23THRUST_200600_302600_NS6detail15normal_iteratorINS9_10device_ptrIxEEEESE_SE_xNS9_4plusIvEENS9_8equal_toIxEExEE10hipError_tPvRmT2_T3_T4_T5_mT6_T7_P12ihipStream_tbENKUlT_T0_E_clISt17integral_constantIbLb0EESY_IbLb1EEEEDaSU_SV_EUlSU_E_NS1_11comp_targetILNS1_3genE9ELNS1_11target_archE1100ELNS1_3gpuE3ELNS1_3repE0EEENS1_30default_config_static_selectorELNS0_4arch9wavefront6targetE0EEEvT1_.kd
    .uniform_work_group_size: 1
    .uses_dynamic_stack: false
    .vgpr_count:     0
    .vgpr_spill_count: 0
    .wavefront_size: 32
  - .args:
      - .offset:         0
        .size:           136
        .value_kind:     by_value
    .group_segment_fixed_size: 0
    .kernarg_segment_align: 8
    .kernarg_segment_size: 136
    .language:       OpenCL C
    .language_version:
      - 2
      - 0
    .max_flat_workgroup_size: 256
    .name:           _ZN7rocprim17ROCPRIM_400000_NS6detail17trampoline_kernelINS0_14default_configENS1_27scan_by_key_config_selectorIxxEEZZNS1_16scan_by_key_implILNS1_25lookback_scan_determinismE0ELb0ES3_N6thrust23THRUST_200600_302600_NS6detail15normal_iteratorINS9_10device_ptrIxEEEESE_SE_xNS9_4plusIvEENS9_8equal_toIxEExEE10hipError_tPvRmT2_T3_T4_T5_mT6_T7_P12ihipStream_tbENKUlT_T0_E_clISt17integral_constantIbLb0EESY_IbLb1EEEEDaSU_SV_EUlSU_E_NS1_11comp_targetILNS1_3genE8ELNS1_11target_archE1030ELNS1_3gpuE2ELNS1_3repE0EEENS1_30default_config_static_selectorELNS0_4arch9wavefront6targetE0EEEvT1_
    .private_segment_fixed_size: 0
    .sgpr_count:     0
    .sgpr_spill_count: 0
    .symbol:         _ZN7rocprim17ROCPRIM_400000_NS6detail17trampoline_kernelINS0_14default_configENS1_27scan_by_key_config_selectorIxxEEZZNS1_16scan_by_key_implILNS1_25lookback_scan_determinismE0ELb0ES3_N6thrust23THRUST_200600_302600_NS6detail15normal_iteratorINS9_10device_ptrIxEEEESE_SE_xNS9_4plusIvEENS9_8equal_toIxEExEE10hipError_tPvRmT2_T3_T4_T5_mT6_T7_P12ihipStream_tbENKUlT_T0_E_clISt17integral_constantIbLb0EESY_IbLb1EEEEDaSU_SV_EUlSU_E_NS1_11comp_targetILNS1_3genE8ELNS1_11target_archE1030ELNS1_3gpuE2ELNS1_3repE0EEENS1_30default_config_static_selectorELNS0_4arch9wavefront6targetE0EEEvT1_.kd
    .uniform_work_group_size: 1
    .uses_dynamic_stack: false
    .vgpr_count:     0
    .vgpr_spill_count: 0
    .wavefront_size: 32
  - .args:
      - .offset:         0
        .size:           16
        .value_kind:     by_value
      - .offset:         16
        .size:           8
        .value_kind:     by_value
      - .offset:         24
        .size:           8
        .value_kind:     by_value
    .group_segment_fixed_size: 0
    .kernarg_segment_align: 8
    .kernarg_segment_size: 32
    .language:       OpenCL C
    .language_version:
      - 2
      - 0
    .max_flat_workgroup_size: 256
    .name:           _ZN6thrust23THRUST_200600_302600_NS11hip_rocprim14__parallel_for6kernelILj256ENS1_20__uninitialized_fill7functorINS0_10device_ptrIiEEiEEmLj1EEEvT0_T1_SA_
    .private_segment_fixed_size: 0
    .sgpr_count:     14
    .sgpr_spill_count: 0
    .symbol:         _ZN6thrust23THRUST_200600_302600_NS11hip_rocprim14__parallel_for6kernelILj256ENS1_20__uninitialized_fill7functorINS0_10device_ptrIiEEiEEmLj1EEEvT0_T1_SA_.kd
    .uniform_work_group_size: 1
    .uses_dynamic_stack: false
    .vgpr_count:     2
    .vgpr_spill_count: 0
    .wavefront_size: 32
  - .args:
      - .address_space:  global
        .offset:         0
        .size:           8
        .value_kind:     global_buffer
      - .offset:         8
        .size:           4
        .value_kind:     by_value
      - .offset:         12
        .size:           4
        .value_kind:     by_value
      - .address_space:  global
        .offset:         16
        .size:           8
        .value_kind:     global_buffer
      - .address_space:  global
        .offset:         24
        .size:           8
        .value_kind:     global_buffer
      - .actual_access:  write_only
        .address_space:  global
        .offset:         32
        .size:           8
        .value_kind:     global_buffer
      - .offset:         40
        .size:           8
        .value_kind:     by_value
      - .offset:         48
        .size:           4
        .value_kind:     by_value
      - .offset:         52
        .size:           1
        .value_kind:     by_value
      - .offset:         56
        .size:           4
        .value_kind:     hidden_block_count_x
      - .offset:         60
        .size:           4
        .value_kind:     hidden_block_count_y
      - .offset:         64
        .size:           4
        .value_kind:     hidden_block_count_z
      - .offset:         68
        .size:           2
        .value_kind:     hidden_group_size_x
      - .offset:         70
        .size:           2
        .value_kind:     hidden_group_size_y
      - .offset:         72
        .size:           2
        .value_kind:     hidden_group_size_z
      - .offset:         74
        .size:           2
        .value_kind:     hidden_remainder_x
      - .offset:         76
        .size:           2
        .value_kind:     hidden_remainder_y
      - .offset:         78
        .size:           2
        .value_kind:     hidden_remainder_z
      - .offset:         96
        .size:           8
        .value_kind:     hidden_global_offset_x
      - .offset:         104
        .size:           8
        .value_kind:     hidden_global_offset_y
      - .offset:         112
        .size:           8
        .value_kind:     hidden_global_offset_z
      - .offset:         120
        .size:           2
        .value_kind:     hidden_grid_dims
    .group_segment_fixed_size: 0
    .kernarg_segment_align: 8
    .kernarg_segment_size: 312
    .language:       OpenCL C
    .language_version:
      - 2
      - 0
    .max_flat_workgroup_size: 256
    .name:           _ZN7rocprim17ROCPRIM_400000_NS6detail30init_device_scan_by_key_kernelINS1_19lookback_scan_stateINS0_5tupleIJibEEELb0ELb1EEEN6thrust23THRUST_200600_302600_NS6detail15normal_iteratorINS8_10device_ptrIiEEEEjNS1_16block_id_wrapperIjLb0EEEEEvT_jjPNSG_10value_typeET0_PNSt15iterator_traitsISJ_E10value_typeEmT1_T2_
    .private_segment_fixed_size: 0
    .sgpr_count:     19
    .sgpr_spill_count: 0
    .symbol:         _ZN7rocprim17ROCPRIM_400000_NS6detail30init_device_scan_by_key_kernelINS1_19lookback_scan_stateINS0_5tupleIJibEEELb0ELb1EEEN6thrust23THRUST_200600_302600_NS6detail15normal_iteratorINS8_10device_ptrIiEEEEjNS1_16block_id_wrapperIjLb0EEEEEvT_jjPNSG_10value_typeET0_PNSt15iterator_traitsISJ_E10value_typeEmT1_T2_.kd
    .uniform_work_group_size: 1
    .uses_dynamic_stack: false
    .vgpr_count:     10
    .vgpr_spill_count: 0
    .wavefront_size: 32
  - .args:
      - .address_space:  global
        .offset:         0
        .size:           8
        .value_kind:     global_buffer
      - .offset:         8
        .size:           4
        .value_kind:     by_value
      - .offset:         12
        .size:           4
        .value_kind:     by_value
      - .address_space:  global
        .offset:         16
        .size:           8
        .value_kind:     global_buffer
      - .offset:         24
        .size:           1
        .value_kind:     by_value
      - .offset:         32
        .size:           4
        .value_kind:     hidden_block_count_x
      - .offset:         36
        .size:           4
        .value_kind:     hidden_block_count_y
      - .offset:         40
        .size:           4
        .value_kind:     hidden_block_count_z
      - .offset:         44
        .size:           2
        .value_kind:     hidden_group_size_x
      - .offset:         46
        .size:           2
        .value_kind:     hidden_group_size_y
      - .offset:         48
        .size:           2
        .value_kind:     hidden_group_size_z
      - .offset:         50
        .size:           2
        .value_kind:     hidden_remainder_x
      - .offset:         52
        .size:           2
        .value_kind:     hidden_remainder_y
      - .offset:         54
        .size:           2
        .value_kind:     hidden_remainder_z
      - .offset:         72
        .size:           8
        .value_kind:     hidden_global_offset_x
      - .offset:         80
        .size:           8
        .value_kind:     hidden_global_offset_y
      - .offset:         88
        .size:           8
        .value_kind:     hidden_global_offset_z
      - .offset:         96
        .size:           2
        .value_kind:     hidden_grid_dims
    .group_segment_fixed_size: 0
    .kernarg_segment_align: 8
    .kernarg_segment_size: 288
    .language:       OpenCL C
    .language_version:
      - 2
      - 0
    .max_flat_workgroup_size: 256
    .name:           _ZN7rocprim17ROCPRIM_400000_NS6detail30init_device_scan_by_key_kernelINS1_19lookback_scan_stateINS0_5tupleIJibEEELb0ELb1EEENS1_16block_id_wrapperIjLb0EEEEEvT_jjPNS9_10value_typeET0_
    .private_segment_fixed_size: 0
    .sgpr_count:     13
    .sgpr_spill_count: 0
    .symbol:         _ZN7rocprim17ROCPRIM_400000_NS6detail30init_device_scan_by_key_kernelINS1_19lookback_scan_stateINS0_5tupleIJibEEELb0ELb1EEENS1_16block_id_wrapperIjLb0EEEEEvT_jjPNS9_10value_typeET0_.kd
    .uniform_work_group_size: 1
    .uses_dynamic_stack: false
    .vgpr_count:     9
    .vgpr_spill_count: 0
    .wavefront_size: 32
  - .args:
      - .offset:         0
        .size:           112
        .value_kind:     by_value
    .group_segment_fixed_size: 14336
    .kernarg_segment_align: 8
    .kernarg_segment_size: 112
    .language:       OpenCL C
    .language_version:
      - 2
      - 0
    .max_flat_workgroup_size: 256
    .name:           _ZN7rocprim17ROCPRIM_400000_NS6detail17trampoline_kernelINS0_14default_configENS1_27scan_by_key_config_selectorIiiEEZZNS1_16scan_by_key_implILNS1_25lookback_scan_determinismE0ELb0ES3_N6thrust23THRUST_200600_302600_NS6detail15normal_iteratorINS9_10device_ptrIiEEEESE_SE_iNS9_4plusIvEENS9_8equal_toIvEEiEE10hipError_tPvRmT2_T3_T4_T5_mT6_T7_P12ihipStream_tbENKUlT_T0_E_clISt17integral_constantIbLb0EESZ_EEDaSU_SV_EUlSU_E_NS1_11comp_targetILNS1_3genE0ELNS1_11target_archE4294967295ELNS1_3gpuE0ELNS1_3repE0EEENS1_30default_config_static_selectorELNS0_4arch9wavefront6targetE0EEEvT1_
    .private_segment_fixed_size: 0
    .sgpr_count:     44
    .sgpr_spill_count: 0
    .symbol:         _ZN7rocprim17ROCPRIM_400000_NS6detail17trampoline_kernelINS0_14default_configENS1_27scan_by_key_config_selectorIiiEEZZNS1_16scan_by_key_implILNS1_25lookback_scan_determinismE0ELb0ES3_N6thrust23THRUST_200600_302600_NS6detail15normal_iteratorINS9_10device_ptrIiEEEESE_SE_iNS9_4plusIvEENS9_8equal_toIvEEiEE10hipError_tPvRmT2_T3_T4_T5_mT6_T7_P12ihipStream_tbENKUlT_T0_E_clISt17integral_constantIbLb0EESZ_EEDaSU_SV_EUlSU_E_NS1_11comp_targetILNS1_3genE0ELNS1_11target_archE4294967295ELNS1_3gpuE0ELNS1_3repE0EEENS1_30default_config_static_selectorELNS0_4arch9wavefront6targetE0EEEvT1_.kd
    .uniform_work_group_size: 1
    .uses_dynamic_stack: false
    .vgpr_count:     60
    .vgpr_spill_count: 0
    .wavefront_size: 32
  - .args:
      - .offset:         0
        .size:           112
        .value_kind:     by_value
    .group_segment_fixed_size: 0
    .kernarg_segment_align: 8
    .kernarg_segment_size: 112
    .language:       OpenCL C
    .language_version:
      - 2
      - 0
    .max_flat_workgroup_size: 256
    .name:           _ZN7rocprim17ROCPRIM_400000_NS6detail17trampoline_kernelINS0_14default_configENS1_27scan_by_key_config_selectorIiiEEZZNS1_16scan_by_key_implILNS1_25lookback_scan_determinismE0ELb0ES3_N6thrust23THRUST_200600_302600_NS6detail15normal_iteratorINS9_10device_ptrIiEEEESE_SE_iNS9_4plusIvEENS9_8equal_toIvEEiEE10hipError_tPvRmT2_T3_T4_T5_mT6_T7_P12ihipStream_tbENKUlT_T0_E_clISt17integral_constantIbLb0EESZ_EEDaSU_SV_EUlSU_E_NS1_11comp_targetILNS1_3genE10ELNS1_11target_archE1201ELNS1_3gpuE5ELNS1_3repE0EEENS1_30default_config_static_selectorELNS0_4arch9wavefront6targetE0EEEvT1_
    .private_segment_fixed_size: 0
    .sgpr_count:     0
    .sgpr_spill_count: 0
    .symbol:         _ZN7rocprim17ROCPRIM_400000_NS6detail17trampoline_kernelINS0_14default_configENS1_27scan_by_key_config_selectorIiiEEZZNS1_16scan_by_key_implILNS1_25lookback_scan_determinismE0ELb0ES3_N6thrust23THRUST_200600_302600_NS6detail15normal_iteratorINS9_10device_ptrIiEEEESE_SE_iNS9_4plusIvEENS9_8equal_toIvEEiEE10hipError_tPvRmT2_T3_T4_T5_mT6_T7_P12ihipStream_tbENKUlT_T0_E_clISt17integral_constantIbLb0EESZ_EEDaSU_SV_EUlSU_E_NS1_11comp_targetILNS1_3genE10ELNS1_11target_archE1201ELNS1_3gpuE5ELNS1_3repE0EEENS1_30default_config_static_selectorELNS0_4arch9wavefront6targetE0EEEvT1_.kd
    .uniform_work_group_size: 1
    .uses_dynamic_stack: false
    .vgpr_count:     0
    .vgpr_spill_count: 0
    .wavefront_size: 32
  - .args:
      - .offset:         0
        .size:           112
        .value_kind:     by_value
    .group_segment_fixed_size: 0
    .kernarg_segment_align: 8
    .kernarg_segment_size: 112
    .language:       OpenCL C
    .language_version:
      - 2
      - 0
    .max_flat_workgroup_size: 256
    .name:           _ZN7rocprim17ROCPRIM_400000_NS6detail17trampoline_kernelINS0_14default_configENS1_27scan_by_key_config_selectorIiiEEZZNS1_16scan_by_key_implILNS1_25lookback_scan_determinismE0ELb0ES3_N6thrust23THRUST_200600_302600_NS6detail15normal_iteratorINS9_10device_ptrIiEEEESE_SE_iNS9_4plusIvEENS9_8equal_toIvEEiEE10hipError_tPvRmT2_T3_T4_T5_mT6_T7_P12ihipStream_tbENKUlT_T0_E_clISt17integral_constantIbLb0EESZ_EEDaSU_SV_EUlSU_E_NS1_11comp_targetILNS1_3genE5ELNS1_11target_archE942ELNS1_3gpuE9ELNS1_3repE0EEENS1_30default_config_static_selectorELNS0_4arch9wavefront6targetE0EEEvT1_
    .private_segment_fixed_size: 0
    .sgpr_count:     0
    .sgpr_spill_count: 0
    .symbol:         _ZN7rocprim17ROCPRIM_400000_NS6detail17trampoline_kernelINS0_14default_configENS1_27scan_by_key_config_selectorIiiEEZZNS1_16scan_by_key_implILNS1_25lookback_scan_determinismE0ELb0ES3_N6thrust23THRUST_200600_302600_NS6detail15normal_iteratorINS9_10device_ptrIiEEEESE_SE_iNS9_4plusIvEENS9_8equal_toIvEEiEE10hipError_tPvRmT2_T3_T4_T5_mT6_T7_P12ihipStream_tbENKUlT_T0_E_clISt17integral_constantIbLb0EESZ_EEDaSU_SV_EUlSU_E_NS1_11comp_targetILNS1_3genE5ELNS1_11target_archE942ELNS1_3gpuE9ELNS1_3repE0EEENS1_30default_config_static_selectorELNS0_4arch9wavefront6targetE0EEEvT1_.kd
    .uniform_work_group_size: 1
    .uses_dynamic_stack: false
    .vgpr_count:     0
    .vgpr_spill_count: 0
    .wavefront_size: 32
  - .args:
      - .offset:         0
        .size:           112
        .value_kind:     by_value
    .group_segment_fixed_size: 0
    .kernarg_segment_align: 8
    .kernarg_segment_size: 112
    .language:       OpenCL C
    .language_version:
      - 2
      - 0
    .max_flat_workgroup_size: 256
    .name:           _ZN7rocprim17ROCPRIM_400000_NS6detail17trampoline_kernelINS0_14default_configENS1_27scan_by_key_config_selectorIiiEEZZNS1_16scan_by_key_implILNS1_25lookback_scan_determinismE0ELb0ES3_N6thrust23THRUST_200600_302600_NS6detail15normal_iteratorINS9_10device_ptrIiEEEESE_SE_iNS9_4plusIvEENS9_8equal_toIvEEiEE10hipError_tPvRmT2_T3_T4_T5_mT6_T7_P12ihipStream_tbENKUlT_T0_E_clISt17integral_constantIbLb0EESZ_EEDaSU_SV_EUlSU_E_NS1_11comp_targetILNS1_3genE4ELNS1_11target_archE910ELNS1_3gpuE8ELNS1_3repE0EEENS1_30default_config_static_selectorELNS0_4arch9wavefront6targetE0EEEvT1_
    .private_segment_fixed_size: 0
    .sgpr_count:     0
    .sgpr_spill_count: 0
    .symbol:         _ZN7rocprim17ROCPRIM_400000_NS6detail17trampoline_kernelINS0_14default_configENS1_27scan_by_key_config_selectorIiiEEZZNS1_16scan_by_key_implILNS1_25lookback_scan_determinismE0ELb0ES3_N6thrust23THRUST_200600_302600_NS6detail15normal_iteratorINS9_10device_ptrIiEEEESE_SE_iNS9_4plusIvEENS9_8equal_toIvEEiEE10hipError_tPvRmT2_T3_T4_T5_mT6_T7_P12ihipStream_tbENKUlT_T0_E_clISt17integral_constantIbLb0EESZ_EEDaSU_SV_EUlSU_E_NS1_11comp_targetILNS1_3genE4ELNS1_11target_archE910ELNS1_3gpuE8ELNS1_3repE0EEENS1_30default_config_static_selectorELNS0_4arch9wavefront6targetE0EEEvT1_.kd
    .uniform_work_group_size: 1
    .uses_dynamic_stack: false
    .vgpr_count:     0
    .vgpr_spill_count: 0
    .wavefront_size: 32
  - .args:
      - .offset:         0
        .size:           112
        .value_kind:     by_value
    .group_segment_fixed_size: 0
    .kernarg_segment_align: 8
    .kernarg_segment_size: 112
    .language:       OpenCL C
    .language_version:
      - 2
      - 0
    .max_flat_workgroup_size: 256
    .name:           _ZN7rocprim17ROCPRIM_400000_NS6detail17trampoline_kernelINS0_14default_configENS1_27scan_by_key_config_selectorIiiEEZZNS1_16scan_by_key_implILNS1_25lookback_scan_determinismE0ELb0ES3_N6thrust23THRUST_200600_302600_NS6detail15normal_iteratorINS9_10device_ptrIiEEEESE_SE_iNS9_4plusIvEENS9_8equal_toIvEEiEE10hipError_tPvRmT2_T3_T4_T5_mT6_T7_P12ihipStream_tbENKUlT_T0_E_clISt17integral_constantIbLb0EESZ_EEDaSU_SV_EUlSU_E_NS1_11comp_targetILNS1_3genE3ELNS1_11target_archE908ELNS1_3gpuE7ELNS1_3repE0EEENS1_30default_config_static_selectorELNS0_4arch9wavefront6targetE0EEEvT1_
    .private_segment_fixed_size: 0
    .sgpr_count:     0
    .sgpr_spill_count: 0
    .symbol:         _ZN7rocprim17ROCPRIM_400000_NS6detail17trampoline_kernelINS0_14default_configENS1_27scan_by_key_config_selectorIiiEEZZNS1_16scan_by_key_implILNS1_25lookback_scan_determinismE0ELb0ES3_N6thrust23THRUST_200600_302600_NS6detail15normal_iteratorINS9_10device_ptrIiEEEESE_SE_iNS9_4plusIvEENS9_8equal_toIvEEiEE10hipError_tPvRmT2_T3_T4_T5_mT6_T7_P12ihipStream_tbENKUlT_T0_E_clISt17integral_constantIbLb0EESZ_EEDaSU_SV_EUlSU_E_NS1_11comp_targetILNS1_3genE3ELNS1_11target_archE908ELNS1_3gpuE7ELNS1_3repE0EEENS1_30default_config_static_selectorELNS0_4arch9wavefront6targetE0EEEvT1_.kd
    .uniform_work_group_size: 1
    .uses_dynamic_stack: false
    .vgpr_count:     0
    .vgpr_spill_count: 0
    .wavefront_size: 32
  - .args:
      - .offset:         0
        .size:           112
        .value_kind:     by_value
    .group_segment_fixed_size: 0
    .kernarg_segment_align: 8
    .kernarg_segment_size: 112
    .language:       OpenCL C
    .language_version:
      - 2
      - 0
    .max_flat_workgroup_size: 256
    .name:           _ZN7rocprim17ROCPRIM_400000_NS6detail17trampoline_kernelINS0_14default_configENS1_27scan_by_key_config_selectorIiiEEZZNS1_16scan_by_key_implILNS1_25lookback_scan_determinismE0ELb0ES3_N6thrust23THRUST_200600_302600_NS6detail15normal_iteratorINS9_10device_ptrIiEEEESE_SE_iNS9_4plusIvEENS9_8equal_toIvEEiEE10hipError_tPvRmT2_T3_T4_T5_mT6_T7_P12ihipStream_tbENKUlT_T0_E_clISt17integral_constantIbLb0EESZ_EEDaSU_SV_EUlSU_E_NS1_11comp_targetILNS1_3genE2ELNS1_11target_archE906ELNS1_3gpuE6ELNS1_3repE0EEENS1_30default_config_static_selectorELNS0_4arch9wavefront6targetE0EEEvT1_
    .private_segment_fixed_size: 0
    .sgpr_count:     0
    .sgpr_spill_count: 0
    .symbol:         _ZN7rocprim17ROCPRIM_400000_NS6detail17trampoline_kernelINS0_14default_configENS1_27scan_by_key_config_selectorIiiEEZZNS1_16scan_by_key_implILNS1_25lookback_scan_determinismE0ELb0ES3_N6thrust23THRUST_200600_302600_NS6detail15normal_iteratorINS9_10device_ptrIiEEEESE_SE_iNS9_4plusIvEENS9_8equal_toIvEEiEE10hipError_tPvRmT2_T3_T4_T5_mT6_T7_P12ihipStream_tbENKUlT_T0_E_clISt17integral_constantIbLb0EESZ_EEDaSU_SV_EUlSU_E_NS1_11comp_targetILNS1_3genE2ELNS1_11target_archE906ELNS1_3gpuE6ELNS1_3repE0EEENS1_30default_config_static_selectorELNS0_4arch9wavefront6targetE0EEEvT1_.kd
    .uniform_work_group_size: 1
    .uses_dynamic_stack: false
    .vgpr_count:     0
    .vgpr_spill_count: 0
    .wavefront_size: 32
  - .args:
      - .offset:         0
        .size:           112
        .value_kind:     by_value
    .group_segment_fixed_size: 0
    .kernarg_segment_align: 8
    .kernarg_segment_size: 112
    .language:       OpenCL C
    .language_version:
      - 2
      - 0
    .max_flat_workgroup_size: 256
    .name:           _ZN7rocprim17ROCPRIM_400000_NS6detail17trampoline_kernelINS0_14default_configENS1_27scan_by_key_config_selectorIiiEEZZNS1_16scan_by_key_implILNS1_25lookback_scan_determinismE0ELb0ES3_N6thrust23THRUST_200600_302600_NS6detail15normal_iteratorINS9_10device_ptrIiEEEESE_SE_iNS9_4plusIvEENS9_8equal_toIvEEiEE10hipError_tPvRmT2_T3_T4_T5_mT6_T7_P12ihipStream_tbENKUlT_T0_E_clISt17integral_constantIbLb0EESZ_EEDaSU_SV_EUlSU_E_NS1_11comp_targetILNS1_3genE10ELNS1_11target_archE1200ELNS1_3gpuE4ELNS1_3repE0EEENS1_30default_config_static_selectorELNS0_4arch9wavefront6targetE0EEEvT1_
    .private_segment_fixed_size: 0
    .sgpr_count:     0
    .sgpr_spill_count: 0
    .symbol:         _ZN7rocprim17ROCPRIM_400000_NS6detail17trampoline_kernelINS0_14default_configENS1_27scan_by_key_config_selectorIiiEEZZNS1_16scan_by_key_implILNS1_25lookback_scan_determinismE0ELb0ES3_N6thrust23THRUST_200600_302600_NS6detail15normal_iteratorINS9_10device_ptrIiEEEESE_SE_iNS9_4plusIvEENS9_8equal_toIvEEiEE10hipError_tPvRmT2_T3_T4_T5_mT6_T7_P12ihipStream_tbENKUlT_T0_E_clISt17integral_constantIbLb0EESZ_EEDaSU_SV_EUlSU_E_NS1_11comp_targetILNS1_3genE10ELNS1_11target_archE1200ELNS1_3gpuE4ELNS1_3repE0EEENS1_30default_config_static_selectorELNS0_4arch9wavefront6targetE0EEEvT1_.kd
    .uniform_work_group_size: 1
    .uses_dynamic_stack: false
    .vgpr_count:     0
    .vgpr_spill_count: 0
    .wavefront_size: 32
  - .args:
      - .offset:         0
        .size:           112
        .value_kind:     by_value
    .group_segment_fixed_size: 0
    .kernarg_segment_align: 8
    .kernarg_segment_size: 112
    .language:       OpenCL C
    .language_version:
      - 2
      - 0
    .max_flat_workgroup_size: 256
    .name:           _ZN7rocprim17ROCPRIM_400000_NS6detail17trampoline_kernelINS0_14default_configENS1_27scan_by_key_config_selectorIiiEEZZNS1_16scan_by_key_implILNS1_25lookback_scan_determinismE0ELb0ES3_N6thrust23THRUST_200600_302600_NS6detail15normal_iteratorINS9_10device_ptrIiEEEESE_SE_iNS9_4plusIvEENS9_8equal_toIvEEiEE10hipError_tPvRmT2_T3_T4_T5_mT6_T7_P12ihipStream_tbENKUlT_T0_E_clISt17integral_constantIbLb0EESZ_EEDaSU_SV_EUlSU_E_NS1_11comp_targetILNS1_3genE9ELNS1_11target_archE1100ELNS1_3gpuE3ELNS1_3repE0EEENS1_30default_config_static_selectorELNS0_4arch9wavefront6targetE0EEEvT1_
    .private_segment_fixed_size: 0
    .sgpr_count:     0
    .sgpr_spill_count: 0
    .symbol:         _ZN7rocprim17ROCPRIM_400000_NS6detail17trampoline_kernelINS0_14default_configENS1_27scan_by_key_config_selectorIiiEEZZNS1_16scan_by_key_implILNS1_25lookback_scan_determinismE0ELb0ES3_N6thrust23THRUST_200600_302600_NS6detail15normal_iteratorINS9_10device_ptrIiEEEESE_SE_iNS9_4plusIvEENS9_8equal_toIvEEiEE10hipError_tPvRmT2_T3_T4_T5_mT6_T7_P12ihipStream_tbENKUlT_T0_E_clISt17integral_constantIbLb0EESZ_EEDaSU_SV_EUlSU_E_NS1_11comp_targetILNS1_3genE9ELNS1_11target_archE1100ELNS1_3gpuE3ELNS1_3repE0EEENS1_30default_config_static_selectorELNS0_4arch9wavefront6targetE0EEEvT1_.kd
    .uniform_work_group_size: 1
    .uses_dynamic_stack: false
    .vgpr_count:     0
    .vgpr_spill_count: 0
    .wavefront_size: 32
  - .args:
      - .offset:         0
        .size:           112
        .value_kind:     by_value
    .group_segment_fixed_size: 0
    .kernarg_segment_align: 8
    .kernarg_segment_size: 112
    .language:       OpenCL C
    .language_version:
      - 2
      - 0
    .max_flat_workgroup_size: 256
    .name:           _ZN7rocprim17ROCPRIM_400000_NS6detail17trampoline_kernelINS0_14default_configENS1_27scan_by_key_config_selectorIiiEEZZNS1_16scan_by_key_implILNS1_25lookback_scan_determinismE0ELb0ES3_N6thrust23THRUST_200600_302600_NS6detail15normal_iteratorINS9_10device_ptrIiEEEESE_SE_iNS9_4plusIvEENS9_8equal_toIvEEiEE10hipError_tPvRmT2_T3_T4_T5_mT6_T7_P12ihipStream_tbENKUlT_T0_E_clISt17integral_constantIbLb0EESZ_EEDaSU_SV_EUlSU_E_NS1_11comp_targetILNS1_3genE8ELNS1_11target_archE1030ELNS1_3gpuE2ELNS1_3repE0EEENS1_30default_config_static_selectorELNS0_4arch9wavefront6targetE0EEEvT1_
    .private_segment_fixed_size: 0
    .sgpr_count:     0
    .sgpr_spill_count: 0
    .symbol:         _ZN7rocprim17ROCPRIM_400000_NS6detail17trampoline_kernelINS0_14default_configENS1_27scan_by_key_config_selectorIiiEEZZNS1_16scan_by_key_implILNS1_25lookback_scan_determinismE0ELb0ES3_N6thrust23THRUST_200600_302600_NS6detail15normal_iteratorINS9_10device_ptrIiEEEESE_SE_iNS9_4plusIvEENS9_8equal_toIvEEiEE10hipError_tPvRmT2_T3_T4_T5_mT6_T7_P12ihipStream_tbENKUlT_T0_E_clISt17integral_constantIbLb0EESZ_EEDaSU_SV_EUlSU_E_NS1_11comp_targetILNS1_3genE8ELNS1_11target_archE1030ELNS1_3gpuE2ELNS1_3repE0EEENS1_30default_config_static_selectorELNS0_4arch9wavefront6targetE0EEEvT1_.kd
    .uniform_work_group_size: 1
    .uses_dynamic_stack: false
    .vgpr_count:     0
    .vgpr_spill_count: 0
    .wavefront_size: 32
  - .args:
      - .address_space:  global
        .offset:         0
        .size:           8
        .value_kind:     global_buffer
      - .offset:         8
        .size:           4
        .value_kind:     by_value
      - .offset:         12
        .size:           4
        .value_kind:     by_value
      - .address_space:  global
        .offset:         16
        .size:           8
        .value_kind:     global_buffer
      - .address_space:  global
        .offset:         24
        .size:           8
        .value_kind:     global_buffer
      - .actual_access:  write_only
        .address_space:  global
        .offset:         32
        .size:           8
        .value_kind:     global_buffer
      - .offset:         40
        .size:           8
        .value_kind:     by_value
      - .offset:         48
        .size:           4
        .value_kind:     by_value
      - .address_space:  global
        .offset:         56
        .size:           8
        .value_kind:     global_buffer
      - .offset:         64
        .size:           4
        .value_kind:     hidden_block_count_x
      - .offset:         68
        .size:           4
        .value_kind:     hidden_block_count_y
      - .offset:         72
        .size:           4
        .value_kind:     hidden_block_count_z
      - .offset:         76
        .size:           2
        .value_kind:     hidden_group_size_x
      - .offset:         78
        .size:           2
        .value_kind:     hidden_group_size_y
      - .offset:         80
        .size:           2
        .value_kind:     hidden_group_size_z
      - .offset:         82
        .size:           2
        .value_kind:     hidden_remainder_x
      - .offset:         84
        .size:           2
        .value_kind:     hidden_remainder_y
      - .offset:         86
        .size:           2
        .value_kind:     hidden_remainder_z
      - .offset:         104
        .size:           8
        .value_kind:     hidden_global_offset_x
      - .offset:         112
        .size:           8
        .value_kind:     hidden_global_offset_y
      - .offset:         120
        .size:           8
        .value_kind:     hidden_global_offset_z
      - .offset:         128
        .size:           2
        .value_kind:     hidden_grid_dims
    .group_segment_fixed_size: 0
    .kernarg_segment_align: 8
    .kernarg_segment_size: 320
    .language:       OpenCL C
    .language_version:
      - 2
      - 0
    .max_flat_workgroup_size: 256
    .name:           _ZN7rocprim17ROCPRIM_400000_NS6detail30init_device_scan_by_key_kernelINS1_19lookback_scan_stateINS0_5tupleIJibEEELb1ELb1EEEN6thrust23THRUST_200600_302600_NS6detail15normal_iteratorINS8_10device_ptrIiEEEEjNS1_16block_id_wrapperIjLb1EEEEEvT_jjPNSG_10value_typeET0_PNSt15iterator_traitsISJ_E10value_typeEmT1_T2_
    .private_segment_fixed_size: 0
    .sgpr_count:     19
    .sgpr_spill_count: 0
    .symbol:         _ZN7rocprim17ROCPRIM_400000_NS6detail30init_device_scan_by_key_kernelINS1_19lookback_scan_stateINS0_5tupleIJibEEELb1ELb1EEEN6thrust23THRUST_200600_302600_NS6detail15normal_iteratorINS8_10device_ptrIiEEEEjNS1_16block_id_wrapperIjLb1EEEEEvT_jjPNSG_10value_typeET0_PNSt15iterator_traitsISJ_E10value_typeEmT1_T2_.kd
    .uniform_work_group_size: 1
    .uses_dynamic_stack: false
    .vgpr_count:     10
    .vgpr_spill_count: 0
    .wavefront_size: 32
  - .args:
      - .address_space:  global
        .offset:         0
        .size:           8
        .value_kind:     global_buffer
      - .offset:         8
        .size:           4
        .value_kind:     by_value
      - .offset:         12
        .size:           4
        .value_kind:     by_value
      - .address_space:  global
        .offset:         16
        .size:           8
        .value_kind:     global_buffer
      - .address_space:  global
        .offset:         24
        .size:           8
        .value_kind:     global_buffer
      - .offset:         32
        .size:           4
        .value_kind:     hidden_block_count_x
      - .offset:         36
        .size:           4
        .value_kind:     hidden_block_count_y
      - .offset:         40
        .size:           4
        .value_kind:     hidden_block_count_z
      - .offset:         44
        .size:           2
        .value_kind:     hidden_group_size_x
      - .offset:         46
        .size:           2
        .value_kind:     hidden_group_size_y
      - .offset:         48
        .size:           2
        .value_kind:     hidden_group_size_z
      - .offset:         50
        .size:           2
        .value_kind:     hidden_remainder_x
      - .offset:         52
        .size:           2
        .value_kind:     hidden_remainder_y
      - .offset:         54
        .size:           2
        .value_kind:     hidden_remainder_z
      - .offset:         72
        .size:           8
        .value_kind:     hidden_global_offset_x
      - .offset:         80
        .size:           8
        .value_kind:     hidden_global_offset_y
      - .offset:         88
        .size:           8
        .value_kind:     hidden_global_offset_z
      - .offset:         96
        .size:           2
        .value_kind:     hidden_grid_dims
    .group_segment_fixed_size: 0
    .kernarg_segment_align: 8
    .kernarg_segment_size: 288
    .language:       OpenCL C
    .language_version:
      - 2
      - 0
    .max_flat_workgroup_size: 256
    .name:           _ZN7rocprim17ROCPRIM_400000_NS6detail30init_device_scan_by_key_kernelINS1_19lookback_scan_stateINS0_5tupleIJibEEELb1ELb1EEENS1_16block_id_wrapperIjLb1EEEEEvT_jjPNS9_10value_typeET0_
    .private_segment_fixed_size: 0
    .sgpr_count:     15
    .sgpr_spill_count: 0
    .symbol:         _ZN7rocprim17ROCPRIM_400000_NS6detail30init_device_scan_by_key_kernelINS1_19lookback_scan_stateINS0_5tupleIJibEEELb1ELb1EEENS1_16block_id_wrapperIjLb1EEEEEvT_jjPNS9_10value_typeET0_.kd
    .uniform_work_group_size: 1
    .uses_dynamic_stack: false
    .vgpr_count:     9
    .vgpr_spill_count: 0
    .wavefront_size: 32
  - .args:
      - .offset:         0
        .size:           112
        .value_kind:     by_value
    .group_segment_fixed_size: 0
    .kernarg_segment_align: 8
    .kernarg_segment_size: 112
    .language:       OpenCL C
    .language_version:
      - 2
      - 0
    .max_flat_workgroup_size: 256
    .name:           _ZN7rocprim17ROCPRIM_400000_NS6detail17trampoline_kernelINS0_14default_configENS1_27scan_by_key_config_selectorIiiEEZZNS1_16scan_by_key_implILNS1_25lookback_scan_determinismE0ELb0ES3_N6thrust23THRUST_200600_302600_NS6detail15normal_iteratorINS9_10device_ptrIiEEEESE_SE_iNS9_4plusIvEENS9_8equal_toIvEEiEE10hipError_tPvRmT2_T3_T4_T5_mT6_T7_P12ihipStream_tbENKUlT_T0_E_clISt17integral_constantIbLb1EESZ_EEDaSU_SV_EUlSU_E_NS1_11comp_targetILNS1_3genE0ELNS1_11target_archE4294967295ELNS1_3gpuE0ELNS1_3repE0EEENS1_30default_config_static_selectorELNS0_4arch9wavefront6targetE0EEEvT1_
    .private_segment_fixed_size: 0
    .sgpr_count:     0
    .sgpr_spill_count: 0
    .symbol:         _ZN7rocprim17ROCPRIM_400000_NS6detail17trampoline_kernelINS0_14default_configENS1_27scan_by_key_config_selectorIiiEEZZNS1_16scan_by_key_implILNS1_25lookback_scan_determinismE0ELb0ES3_N6thrust23THRUST_200600_302600_NS6detail15normal_iteratorINS9_10device_ptrIiEEEESE_SE_iNS9_4plusIvEENS9_8equal_toIvEEiEE10hipError_tPvRmT2_T3_T4_T5_mT6_T7_P12ihipStream_tbENKUlT_T0_E_clISt17integral_constantIbLb1EESZ_EEDaSU_SV_EUlSU_E_NS1_11comp_targetILNS1_3genE0ELNS1_11target_archE4294967295ELNS1_3gpuE0ELNS1_3repE0EEENS1_30default_config_static_selectorELNS0_4arch9wavefront6targetE0EEEvT1_.kd
    .uniform_work_group_size: 1
    .uses_dynamic_stack: false
    .vgpr_count:     0
    .vgpr_spill_count: 0
    .wavefront_size: 32
  - .args:
      - .offset:         0
        .size:           112
        .value_kind:     by_value
    .group_segment_fixed_size: 0
    .kernarg_segment_align: 8
    .kernarg_segment_size: 112
    .language:       OpenCL C
    .language_version:
      - 2
      - 0
    .max_flat_workgroup_size: 256
    .name:           _ZN7rocprim17ROCPRIM_400000_NS6detail17trampoline_kernelINS0_14default_configENS1_27scan_by_key_config_selectorIiiEEZZNS1_16scan_by_key_implILNS1_25lookback_scan_determinismE0ELb0ES3_N6thrust23THRUST_200600_302600_NS6detail15normal_iteratorINS9_10device_ptrIiEEEESE_SE_iNS9_4plusIvEENS9_8equal_toIvEEiEE10hipError_tPvRmT2_T3_T4_T5_mT6_T7_P12ihipStream_tbENKUlT_T0_E_clISt17integral_constantIbLb1EESZ_EEDaSU_SV_EUlSU_E_NS1_11comp_targetILNS1_3genE10ELNS1_11target_archE1201ELNS1_3gpuE5ELNS1_3repE0EEENS1_30default_config_static_selectorELNS0_4arch9wavefront6targetE0EEEvT1_
    .private_segment_fixed_size: 0
    .sgpr_count:     0
    .sgpr_spill_count: 0
    .symbol:         _ZN7rocprim17ROCPRIM_400000_NS6detail17trampoline_kernelINS0_14default_configENS1_27scan_by_key_config_selectorIiiEEZZNS1_16scan_by_key_implILNS1_25lookback_scan_determinismE0ELb0ES3_N6thrust23THRUST_200600_302600_NS6detail15normal_iteratorINS9_10device_ptrIiEEEESE_SE_iNS9_4plusIvEENS9_8equal_toIvEEiEE10hipError_tPvRmT2_T3_T4_T5_mT6_T7_P12ihipStream_tbENKUlT_T0_E_clISt17integral_constantIbLb1EESZ_EEDaSU_SV_EUlSU_E_NS1_11comp_targetILNS1_3genE10ELNS1_11target_archE1201ELNS1_3gpuE5ELNS1_3repE0EEENS1_30default_config_static_selectorELNS0_4arch9wavefront6targetE0EEEvT1_.kd
    .uniform_work_group_size: 1
    .uses_dynamic_stack: false
    .vgpr_count:     0
    .vgpr_spill_count: 0
    .wavefront_size: 32
  - .args:
      - .offset:         0
        .size:           112
        .value_kind:     by_value
    .group_segment_fixed_size: 0
    .kernarg_segment_align: 8
    .kernarg_segment_size: 112
    .language:       OpenCL C
    .language_version:
      - 2
      - 0
    .max_flat_workgroup_size: 256
    .name:           _ZN7rocprim17ROCPRIM_400000_NS6detail17trampoline_kernelINS0_14default_configENS1_27scan_by_key_config_selectorIiiEEZZNS1_16scan_by_key_implILNS1_25lookback_scan_determinismE0ELb0ES3_N6thrust23THRUST_200600_302600_NS6detail15normal_iteratorINS9_10device_ptrIiEEEESE_SE_iNS9_4plusIvEENS9_8equal_toIvEEiEE10hipError_tPvRmT2_T3_T4_T5_mT6_T7_P12ihipStream_tbENKUlT_T0_E_clISt17integral_constantIbLb1EESZ_EEDaSU_SV_EUlSU_E_NS1_11comp_targetILNS1_3genE5ELNS1_11target_archE942ELNS1_3gpuE9ELNS1_3repE0EEENS1_30default_config_static_selectorELNS0_4arch9wavefront6targetE0EEEvT1_
    .private_segment_fixed_size: 0
    .sgpr_count:     0
    .sgpr_spill_count: 0
    .symbol:         _ZN7rocprim17ROCPRIM_400000_NS6detail17trampoline_kernelINS0_14default_configENS1_27scan_by_key_config_selectorIiiEEZZNS1_16scan_by_key_implILNS1_25lookback_scan_determinismE0ELb0ES3_N6thrust23THRUST_200600_302600_NS6detail15normal_iteratorINS9_10device_ptrIiEEEESE_SE_iNS9_4plusIvEENS9_8equal_toIvEEiEE10hipError_tPvRmT2_T3_T4_T5_mT6_T7_P12ihipStream_tbENKUlT_T0_E_clISt17integral_constantIbLb1EESZ_EEDaSU_SV_EUlSU_E_NS1_11comp_targetILNS1_3genE5ELNS1_11target_archE942ELNS1_3gpuE9ELNS1_3repE0EEENS1_30default_config_static_selectorELNS0_4arch9wavefront6targetE0EEEvT1_.kd
    .uniform_work_group_size: 1
    .uses_dynamic_stack: false
    .vgpr_count:     0
    .vgpr_spill_count: 0
    .wavefront_size: 32
  - .args:
      - .offset:         0
        .size:           112
        .value_kind:     by_value
    .group_segment_fixed_size: 0
    .kernarg_segment_align: 8
    .kernarg_segment_size: 112
    .language:       OpenCL C
    .language_version:
      - 2
      - 0
    .max_flat_workgroup_size: 256
    .name:           _ZN7rocprim17ROCPRIM_400000_NS6detail17trampoline_kernelINS0_14default_configENS1_27scan_by_key_config_selectorIiiEEZZNS1_16scan_by_key_implILNS1_25lookback_scan_determinismE0ELb0ES3_N6thrust23THRUST_200600_302600_NS6detail15normal_iteratorINS9_10device_ptrIiEEEESE_SE_iNS9_4plusIvEENS9_8equal_toIvEEiEE10hipError_tPvRmT2_T3_T4_T5_mT6_T7_P12ihipStream_tbENKUlT_T0_E_clISt17integral_constantIbLb1EESZ_EEDaSU_SV_EUlSU_E_NS1_11comp_targetILNS1_3genE4ELNS1_11target_archE910ELNS1_3gpuE8ELNS1_3repE0EEENS1_30default_config_static_selectorELNS0_4arch9wavefront6targetE0EEEvT1_
    .private_segment_fixed_size: 0
    .sgpr_count:     0
    .sgpr_spill_count: 0
    .symbol:         _ZN7rocprim17ROCPRIM_400000_NS6detail17trampoline_kernelINS0_14default_configENS1_27scan_by_key_config_selectorIiiEEZZNS1_16scan_by_key_implILNS1_25lookback_scan_determinismE0ELb0ES3_N6thrust23THRUST_200600_302600_NS6detail15normal_iteratorINS9_10device_ptrIiEEEESE_SE_iNS9_4plusIvEENS9_8equal_toIvEEiEE10hipError_tPvRmT2_T3_T4_T5_mT6_T7_P12ihipStream_tbENKUlT_T0_E_clISt17integral_constantIbLb1EESZ_EEDaSU_SV_EUlSU_E_NS1_11comp_targetILNS1_3genE4ELNS1_11target_archE910ELNS1_3gpuE8ELNS1_3repE0EEENS1_30default_config_static_selectorELNS0_4arch9wavefront6targetE0EEEvT1_.kd
    .uniform_work_group_size: 1
    .uses_dynamic_stack: false
    .vgpr_count:     0
    .vgpr_spill_count: 0
    .wavefront_size: 32
  - .args:
      - .offset:         0
        .size:           112
        .value_kind:     by_value
    .group_segment_fixed_size: 0
    .kernarg_segment_align: 8
    .kernarg_segment_size: 112
    .language:       OpenCL C
    .language_version:
      - 2
      - 0
    .max_flat_workgroup_size: 256
    .name:           _ZN7rocprim17ROCPRIM_400000_NS6detail17trampoline_kernelINS0_14default_configENS1_27scan_by_key_config_selectorIiiEEZZNS1_16scan_by_key_implILNS1_25lookback_scan_determinismE0ELb0ES3_N6thrust23THRUST_200600_302600_NS6detail15normal_iteratorINS9_10device_ptrIiEEEESE_SE_iNS9_4plusIvEENS9_8equal_toIvEEiEE10hipError_tPvRmT2_T3_T4_T5_mT6_T7_P12ihipStream_tbENKUlT_T0_E_clISt17integral_constantIbLb1EESZ_EEDaSU_SV_EUlSU_E_NS1_11comp_targetILNS1_3genE3ELNS1_11target_archE908ELNS1_3gpuE7ELNS1_3repE0EEENS1_30default_config_static_selectorELNS0_4arch9wavefront6targetE0EEEvT1_
    .private_segment_fixed_size: 0
    .sgpr_count:     0
    .sgpr_spill_count: 0
    .symbol:         _ZN7rocprim17ROCPRIM_400000_NS6detail17trampoline_kernelINS0_14default_configENS1_27scan_by_key_config_selectorIiiEEZZNS1_16scan_by_key_implILNS1_25lookback_scan_determinismE0ELb0ES3_N6thrust23THRUST_200600_302600_NS6detail15normal_iteratorINS9_10device_ptrIiEEEESE_SE_iNS9_4plusIvEENS9_8equal_toIvEEiEE10hipError_tPvRmT2_T3_T4_T5_mT6_T7_P12ihipStream_tbENKUlT_T0_E_clISt17integral_constantIbLb1EESZ_EEDaSU_SV_EUlSU_E_NS1_11comp_targetILNS1_3genE3ELNS1_11target_archE908ELNS1_3gpuE7ELNS1_3repE0EEENS1_30default_config_static_selectorELNS0_4arch9wavefront6targetE0EEEvT1_.kd
    .uniform_work_group_size: 1
    .uses_dynamic_stack: false
    .vgpr_count:     0
    .vgpr_spill_count: 0
    .wavefront_size: 32
  - .args:
      - .offset:         0
        .size:           112
        .value_kind:     by_value
    .group_segment_fixed_size: 0
    .kernarg_segment_align: 8
    .kernarg_segment_size: 112
    .language:       OpenCL C
    .language_version:
      - 2
      - 0
    .max_flat_workgroup_size: 256
    .name:           _ZN7rocprim17ROCPRIM_400000_NS6detail17trampoline_kernelINS0_14default_configENS1_27scan_by_key_config_selectorIiiEEZZNS1_16scan_by_key_implILNS1_25lookback_scan_determinismE0ELb0ES3_N6thrust23THRUST_200600_302600_NS6detail15normal_iteratorINS9_10device_ptrIiEEEESE_SE_iNS9_4plusIvEENS9_8equal_toIvEEiEE10hipError_tPvRmT2_T3_T4_T5_mT6_T7_P12ihipStream_tbENKUlT_T0_E_clISt17integral_constantIbLb1EESZ_EEDaSU_SV_EUlSU_E_NS1_11comp_targetILNS1_3genE2ELNS1_11target_archE906ELNS1_3gpuE6ELNS1_3repE0EEENS1_30default_config_static_selectorELNS0_4arch9wavefront6targetE0EEEvT1_
    .private_segment_fixed_size: 0
    .sgpr_count:     0
    .sgpr_spill_count: 0
    .symbol:         _ZN7rocprim17ROCPRIM_400000_NS6detail17trampoline_kernelINS0_14default_configENS1_27scan_by_key_config_selectorIiiEEZZNS1_16scan_by_key_implILNS1_25lookback_scan_determinismE0ELb0ES3_N6thrust23THRUST_200600_302600_NS6detail15normal_iteratorINS9_10device_ptrIiEEEESE_SE_iNS9_4plusIvEENS9_8equal_toIvEEiEE10hipError_tPvRmT2_T3_T4_T5_mT6_T7_P12ihipStream_tbENKUlT_T0_E_clISt17integral_constantIbLb1EESZ_EEDaSU_SV_EUlSU_E_NS1_11comp_targetILNS1_3genE2ELNS1_11target_archE906ELNS1_3gpuE6ELNS1_3repE0EEENS1_30default_config_static_selectorELNS0_4arch9wavefront6targetE0EEEvT1_.kd
    .uniform_work_group_size: 1
    .uses_dynamic_stack: false
    .vgpr_count:     0
    .vgpr_spill_count: 0
    .wavefront_size: 32
  - .args:
      - .offset:         0
        .size:           112
        .value_kind:     by_value
    .group_segment_fixed_size: 0
    .kernarg_segment_align: 8
    .kernarg_segment_size: 112
    .language:       OpenCL C
    .language_version:
      - 2
      - 0
    .max_flat_workgroup_size: 256
    .name:           _ZN7rocprim17ROCPRIM_400000_NS6detail17trampoline_kernelINS0_14default_configENS1_27scan_by_key_config_selectorIiiEEZZNS1_16scan_by_key_implILNS1_25lookback_scan_determinismE0ELb0ES3_N6thrust23THRUST_200600_302600_NS6detail15normal_iteratorINS9_10device_ptrIiEEEESE_SE_iNS9_4plusIvEENS9_8equal_toIvEEiEE10hipError_tPvRmT2_T3_T4_T5_mT6_T7_P12ihipStream_tbENKUlT_T0_E_clISt17integral_constantIbLb1EESZ_EEDaSU_SV_EUlSU_E_NS1_11comp_targetILNS1_3genE10ELNS1_11target_archE1200ELNS1_3gpuE4ELNS1_3repE0EEENS1_30default_config_static_selectorELNS0_4arch9wavefront6targetE0EEEvT1_
    .private_segment_fixed_size: 0
    .sgpr_count:     0
    .sgpr_spill_count: 0
    .symbol:         _ZN7rocprim17ROCPRIM_400000_NS6detail17trampoline_kernelINS0_14default_configENS1_27scan_by_key_config_selectorIiiEEZZNS1_16scan_by_key_implILNS1_25lookback_scan_determinismE0ELb0ES3_N6thrust23THRUST_200600_302600_NS6detail15normal_iteratorINS9_10device_ptrIiEEEESE_SE_iNS9_4plusIvEENS9_8equal_toIvEEiEE10hipError_tPvRmT2_T3_T4_T5_mT6_T7_P12ihipStream_tbENKUlT_T0_E_clISt17integral_constantIbLb1EESZ_EEDaSU_SV_EUlSU_E_NS1_11comp_targetILNS1_3genE10ELNS1_11target_archE1200ELNS1_3gpuE4ELNS1_3repE0EEENS1_30default_config_static_selectorELNS0_4arch9wavefront6targetE0EEEvT1_.kd
    .uniform_work_group_size: 1
    .uses_dynamic_stack: false
    .vgpr_count:     0
    .vgpr_spill_count: 0
    .wavefront_size: 32
  - .args:
      - .offset:         0
        .size:           112
        .value_kind:     by_value
    .group_segment_fixed_size: 0
    .kernarg_segment_align: 8
    .kernarg_segment_size: 112
    .language:       OpenCL C
    .language_version:
      - 2
      - 0
    .max_flat_workgroup_size: 256
    .name:           _ZN7rocprim17ROCPRIM_400000_NS6detail17trampoline_kernelINS0_14default_configENS1_27scan_by_key_config_selectorIiiEEZZNS1_16scan_by_key_implILNS1_25lookback_scan_determinismE0ELb0ES3_N6thrust23THRUST_200600_302600_NS6detail15normal_iteratorINS9_10device_ptrIiEEEESE_SE_iNS9_4plusIvEENS9_8equal_toIvEEiEE10hipError_tPvRmT2_T3_T4_T5_mT6_T7_P12ihipStream_tbENKUlT_T0_E_clISt17integral_constantIbLb1EESZ_EEDaSU_SV_EUlSU_E_NS1_11comp_targetILNS1_3genE9ELNS1_11target_archE1100ELNS1_3gpuE3ELNS1_3repE0EEENS1_30default_config_static_selectorELNS0_4arch9wavefront6targetE0EEEvT1_
    .private_segment_fixed_size: 0
    .sgpr_count:     0
    .sgpr_spill_count: 0
    .symbol:         _ZN7rocprim17ROCPRIM_400000_NS6detail17trampoline_kernelINS0_14default_configENS1_27scan_by_key_config_selectorIiiEEZZNS1_16scan_by_key_implILNS1_25lookback_scan_determinismE0ELb0ES3_N6thrust23THRUST_200600_302600_NS6detail15normal_iteratorINS9_10device_ptrIiEEEESE_SE_iNS9_4plusIvEENS9_8equal_toIvEEiEE10hipError_tPvRmT2_T3_T4_T5_mT6_T7_P12ihipStream_tbENKUlT_T0_E_clISt17integral_constantIbLb1EESZ_EEDaSU_SV_EUlSU_E_NS1_11comp_targetILNS1_3genE9ELNS1_11target_archE1100ELNS1_3gpuE3ELNS1_3repE0EEENS1_30default_config_static_selectorELNS0_4arch9wavefront6targetE0EEEvT1_.kd
    .uniform_work_group_size: 1
    .uses_dynamic_stack: false
    .vgpr_count:     0
    .vgpr_spill_count: 0
    .wavefront_size: 32
  - .args:
      - .offset:         0
        .size:           112
        .value_kind:     by_value
    .group_segment_fixed_size: 0
    .kernarg_segment_align: 8
    .kernarg_segment_size: 112
    .language:       OpenCL C
    .language_version:
      - 2
      - 0
    .max_flat_workgroup_size: 256
    .name:           _ZN7rocprim17ROCPRIM_400000_NS6detail17trampoline_kernelINS0_14default_configENS1_27scan_by_key_config_selectorIiiEEZZNS1_16scan_by_key_implILNS1_25lookback_scan_determinismE0ELb0ES3_N6thrust23THRUST_200600_302600_NS6detail15normal_iteratorINS9_10device_ptrIiEEEESE_SE_iNS9_4plusIvEENS9_8equal_toIvEEiEE10hipError_tPvRmT2_T3_T4_T5_mT6_T7_P12ihipStream_tbENKUlT_T0_E_clISt17integral_constantIbLb1EESZ_EEDaSU_SV_EUlSU_E_NS1_11comp_targetILNS1_3genE8ELNS1_11target_archE1030ELNS1_3gpuE2ELNS1_3repE0EEENS1_30default_config_static_selectorELNS0_4arch9wavefront6targetE0EEEvT1_
    .private_segment_fixed_size: 0
    .sgpr_count:     0
    .sgpr_spill_count: 0
    .symbol:         _ZN7rocprim17ROCPRIM_400000_NS6detail17trampoline_kernelINS0_14default_configENS1_27scan_by_key_config_selectorIiiEEZZNS1_16scan_by_key_implILNS1_25lookback_scan_determinismE0ELb0ES3_N6thrust23THRUST_200600_302600_NS6detail15normal_iteratorINS9_10device_ptrIiEEEESE_SE_iNS9_4plusIvEENS9_8equal_toIvEEiEE10hipError_tPvRmT2_T3_T4_T5_mT6_T7_P12ihipStream_tbENKUlT_T0_E_clISt17integral_constantIbLb1EESZ_EEDaSU_SV_EUlSU_E_NS1_11comp_targetILNS1_3genE8ELNS1_11target_archE1030ELNS1_3gpuE2ELNS1_3repE0EEENS1_30default_config_static_selectorELNS0_4arch9wavefront6targetE0EEEvT1_.kd
    .uniform_work_group_size: 1
    .uses_dynamic_stack: false
    .vgpr_count:     0
    .vgpr_spill_count: 0
    .wavefront_size: 32
  - .args:
      - .address_space:  global
        .offset:         0
        .size:           8
        .value_kind:     global_buffer
      - .offset:         8
        .size:           4
        .value_kind:     by_value
      - .offset:         12
        .size:           4
        .value_kind:     by_value
      - .address_space:  global
        .offset:         16
        .size:           8
        .value_kind:     global_buffer
      - .address_space:  global
        .offset:         24
        .size:           8
        .value_kind:     global_buffer
      - .actual_access:  write_only
        .address_space:  global
        .offset:         32
        .size:           8
        .value_kind:     global_buffer
      - .offset:         40
        .size:           8
        .value_kind:     by_value
      - .offset:         48
        .size:           4
        .value_kind:     by_value
      - .offset:         52
        .size:           1
        .value_kind:     by_value
      - .offset:         56
        .size:           4
        .value_kind:     hidden_block_count_x
      - .offset:         60
        .size:           4
        .value_kind:     hidden_block_count_y
      - .offset:         64
        .size:           4
        .value_kind:     hidden_block_count_z
      - .offset:         68
        .size:           2
        .value_kind:     hidden_group_size_x
      - .offset:         70
        .size:           2
        .value_kind:     hidden_group_size_y
      - .offset:         72
        .size:           2
        .value_kind:     hidden_group_size_z
      - .offset:         74
        .size:           2
        .value_kind:     hidden_remainder_x
      - .offset:         76
        .size:           2
        .value_kind:     hidden_remainder_y
      - .offset:         78
        .size:           2
        .value_kind:     hidden_remainder_z
      - .offset:         96
        .size:           8
        .value_kind:     hidden_global_offset_x
      - .offset:         104
        .size:           8
        .value_kind:     hidden_global_offset_y
      - .offset:         112
        .size:           8
        .value_kind:     hidden_global_offset_z
      - .offset:         120
        .size:           2
        .value_kind:     hidden_grid_dims
    .group_segment_fixed_size: 0
    .kernarg_segment_align: 8
    .kernarg_segment_size: 312
    .language:       OpenCL C
    .language_version:
      - 2
      - 0
    .max_flat_workgroup_size: 256
    .name:           _ZN7rocprim17ROCPRIM_400000_NS6detail30init_device_scan_by_key_kernelINS1_19lookback_scan_stateINS0_5tupleIJibEEELb1ELb1EEEN6thrust23THRUST_200600_302600_NS6detail15normal_iteratorINS8_10device_ptrIiEEEEjNS1_16block_id_wrapperIjLb0EEEEEvT_jjPNSG_10value_typeET0_PNSt15iterator_traitsISJ_E10value_typeEmT1_T2_
    .private_segment_fixed_size: 0
    .sgpr_count:     19
    .sgpr_spill_count: 0
    .symbol:         _ZN7rocprim17ROCPRIM_400000_NS6detail30init_device_scan_by_key_kernelINS1_19lookback_scan_stateINS0_5tupleIJibEEELb1ELb1EEEN6thrust23THRUST_200600_302600_NS6detail15normal_iteratorINS8_10device_ptrIiEEEEjNS1_16block_id_wrapperIjLb0EEEEEvT_jjPNSG_10value_typeET0_PNSt15iterator_traitsISJ_E10value_typeEmT1_T2_.kd
    .uniform_work_group_size: 1
    .uses_dynamic_stack: false
    .vgpr_count:     10
    .vgpr_spill_count: 0
    .wavefront_size: 32
  - .args:
      - .address_space:  global
        .offset:         0
        .size:           8
        .value_kind:     global_buffer
      - .offset:         8
        .size:           4
        .value_kind:     by_value
      - .offset:         12
        .size:           4
        .value_kind:     by_value
      - .address_space:  global
        .offset:         16
        .size:           8
        .value_kind:     global_buffer
      - .offset:         24
        .size:           1
        .value_kind:     by_value
      - .offset:         32
        .size:           4
        .value_kind:     hidden_block_count_x
      - .offset:         36
        .size:           4
        .value_kind:     hidden_block_count_y
      - .offset:         40
        .size:           4
        .value_kind:     hidden_block_count_z
      - .offset:         44
        .size:           2
        .value_kind:     hidden_group_size_x
      - .offset:         46
        .size:           2
        .value_kind:     hidden_group_size_y
      - .offset:         48
        .size:           2
        .value_kind:     hidden_group_size_z
      - .offset:         50
        .size:           2
        .value_kind:     hidden_remainder_x
      - .offset:         52
        .size:           2
        .value_kind:     hidden_remainder_y
      - .offset:         54
        .size:           2
        .value_kind:     hidden_remainder_z
      - .offset:         72
        .size:           8
        .value_kind:     hidden_global_offset_x
      - .offset:         80
        .size:           8
        .value_kind:     hidden_global_offset_y
      - .offset:         88
        .size:           8
        .value_kind:     hidden_global_offset_z
      - .offset:         96
        .size:           2
        .value_kind:     hidden_grid_dims
    .group_segment_fixed_size: 0
    .kernarg_segment_align: 8
    .kernarg_segment_size: 288
    .language:       OpenCL C
    .language_version:
      - 2
      - 0
    .max_flat_workgroup_size: 256
    .name:           _ZN7rocprim17ROCPRIM_400000_NS6detail30init_device_scan_by_key_kernelINS1_19lookback_scan_stateINS0_5tupleIJibEEELb1ELb1EEENS1_16block_id_wrapperIjLb0EEEEEvT_jjPNS9_10value_typeET0_
    .private_segment_fixed_size: 0
    .sgpr_count:     13
    .sgpr_spill_count: 0
    .symbol:         _ZN7rocprim17ROCPRIM_400000_NS6detail30init_device_scan_by_key_kernelINS1_19lookback_scan_stateINS0_5tupleIJibEEELb1ELb1EEENS1_16block_id_wrapperIjLb0EEEEEvT_jjPNS9_10value_typeET0_.kd
    .uniform_work_group_size: 1
    .uses_dynamic_stack: false
    .vgpr_count:     9
    .vgpr_spill_count: 0
    .wavefront_size: 32
  - .args:
      - .offset:         0
        .size:           112
        .value_kind:     by_value
    .group_segment_fixed_size: 0
    .kernarg_segment_align: 8
    .kernarg_segment_size: 112
    .language:       OpenCL C
    .language_version:
      - 2
      - 0
    .max_flat_workgroup_size: 256
    .name:           _ZN7rocprim17ROCPRIM_400000_NS6detail17trampoline_kernelINS0_14default_configENS1_27scan_by_key_config_selectorIiiEEZZNS1_16scan_by_key_implILNS1_25lookback_scan_determinismE0ELb0ES3_N6thrust23THRUST_200600_302600_NS6detail15normal_iteratorINS9_10device_ptrIiEEEESE_SE_iNS9_4plusIvEENS9_8equal_toIvEEiEE10hipError_tPvRmT2_T3_T4_T5_mT6_T7_P12ihipStream_tbENKUlT_T0_E_clISt17integral_constantIbLb1EESY_IbLb0EEEEDaSU_SV_EUlSU_E_NS1_11comp_targetILNS1_3genE0ELNS1_11target_archE4294967295ELNS1_3gpuE0ELNS1_3repE0EEENS1_30default_config_static_selectorELNS0_4arch9wavefront6targetE0EEEvT1_
    .private_segment_fixed_size: 0
    .sgpr_count:     0
    .sgpr_spill_count: 0
    .symbol:         _ZN7rocprim17ROCPRIM_400000_NS6detail17trampoline_kernelINS0_14default_configENS1_27scan_by_key_config_selectorIiiEEZZNS1_16scan_by_key_implILNS1_25lookback_scan_determinismE0ELb0ES3_N6thrust23THRUST_200600_302600_NS6detail15normal_iteratorINS9_10device_ptrIiEEEESE_SE_iNS9_4plusIvEENS9_8equal_toIvEEiEE10hipError_tPvRmT2_T3_T4_T5_mT6_T7_P12ihipStream_tbENKUlT_T0_E_clISt17integral_constantIbLb1EESY_IbLb0EEEEDaSU_SV_EUlSU_E_NS1_11comp_targetILNS1_3genE0ELNS1_11target_archE4294967295ELNS1_3gpuE0ELNS1_3repE0EEENS1_30default_config_static_selectorELNS0_4arch9wavefront6targetE0EEEvT1_.kd
    .uniform_work_group_size: 1
    .uses_dynamic_stack: false
    .vgpr_count:     0
    .vgpr_spill_count: 0
    .wavefront_size: 32
  - .args:
      - .offset:         0
        .size:           112
        .value_kind:     by_value
    .group_segment_fixed_size: 0
    .kernarg_segment_align: 8
    .kernarg_segment_size: 112
    .language:       OpenCL C
    .language_version:
      - 2
      - 0
    .max_flat_workgroup_size: 256
    .name:           _ZN7rocprim17ROCPRIM_400000_NS6detail17trampoline_kernelINS0_14default_configENS1_27scan_by_key_config_selectorIiiEEZZNS1_16scan_by_key_implILNS1_25lookback_scan_determinismE0ELb0ES3_N6thrust23THRUST_200600_302600_NS6detail15normal_iteratorINS9_10device_ptrIiEEEESE_SE_iNS9_4plusIvEENS9_8equal_toIvEEiEE10hipError_tPvRmT2_T3_T4_T5_mT6_T7_P12ihipStream_tbENKUlT_T0_E_clISt17integral_constantIbLb1EESY_IbLb0EEEEDaSU_SV_EUlSU_E_NS1_11comp_targetILNS1_3genE10ELNS1_11target_archE1201ELNS1_3gpuE5ELNS1_3repE0EEENS1_30default_config_static_selectorELNS0_4arch9wavefront6targetE0EEEvT1_
    .private_segment_fixed_size: 0
    .sgpr_count:     0
    .sgpr_spill_count: 0
    .symbol:         _ZN7rocprim17ROCPRIM_400000_NS6detail17trampoline_kernelINS0_14default_configENS1_27scan_by_key_config_selectorIiiEEZZNS1_16scan_by_key_implILNS1_25lookback_scan_determinismE0ELb0ES3_N6thrust23THRUST_200600_302600_NS6detail15normal_iteratorINS9_10device_ptrIiEEEESE_SE_iNS9_4plusIvEENS9_8equal_toIvEEiEE10hipError_tPvRmT2_T3_T4_T5_mT6_T7_P12ihipStream_tbENKUlT_T0_E_clISt17integral_constantIbLb1EESY_IbLb0EEEEDaSU_SV_EUlSU_E_NS1_11comp_targetILNS1_3genE10ELNS1_11target_archE1201ELNS1_3gpuE5ELNS1_3repE0EEENS1_30default_config_static_selectorELNS0_4arch9wavefront6targetE0EEEvT1_.kd
    .uniform_work_group_size: 1
    .uses_dynamic_stack: false
    .vgpr_count:     0
    .vgpr_spill_count: 0
    .wavefront_size: 32
  - .args:
      - .offset:         0
        .size:           112
        .value_kind:     by_value
    .group_segment_fixed_size: 0
    .kernarg_segment_align: 8
    .kernarg_segment_size: 112
    .language:       OpenCL C
    .language_version:
      - 2
      - 0
    .max_flat_workgroup_size: 256
    .name:           _ZN7rocprim17ROCPRIM_400000_NS6detail17trampoline_kernelINS0_14default_configENS1_27scan_by_key_config_selectorIiiEEZZNS1_16scan_by_key_implILNS1_25lookback_scan_determinismE0ELb0ES3_N6thrust23THRUST_200600_302600_NS6detail15normal_iteratorINS9_10device_ptrIiEEEESE_SE_iNS9_4plusIvEENS9_8equal_toIvEEiEE10hipError_tPvRmT2_T3_T4_T5_mT6_T7_P12ihipStream_tbENKUlT_T0_E_clISt17integral_constantIbLb1EESY_IbLb0EEEEDaSU_SV_EUlSU_E_NS1_11comp_targetILNS1_3genE5ELNS1_11target_archE942ELNS1_3gpuE9ELNS1_3repE0EEENS1_30default_config_static_selectorELNS0_4arch9wavefront6targetE0EEEvT1_
    .private_segment_fixed_size: 0
    .sgpr_count:     0
    .sgpr_spill_count: 0
    .symbol:         _ZN7rocprim17ROCPRIM_400000_NS6detail17trampoline_kernelINS0_14default_configENS1_27scan_by_key_config_selectorIiiEEZZNS1_16scan_by_key_implILNS1_25lookback_scan_determinismE0ELb0ES3_N6thrust23THRUST_200600_302600_NS6detail15normal_iteratorINS9_10device_ptrIiEEEESE_SE_iNS9_4plusIvEENS9_8equal_toIvEEiEE10hipError_tPvRmT2_T3_T4_T5_mT6_T7_P12ihipStream_tbENKUlT_T0_E_clISt17integral_constantIbLb1EESY_IbLb0EEEEDaSU_SV_EUlSU_E_NS1_11comp_targetILNS1_3genE5ELNS1_11target_archE942ELNS1_3gpuE9ELNS1_3repE0EEENS1_30default_config_static_selectorELNS0_4arch9wavefront6targetE0EEEvT1_.kd
    .uniform_work_group_size: 1
    .uses_dynamic_stack: false
    .vgpr_count:     0
    .vgpr_spill_count: 0
    .wavefront_size: 32
  - .args:
      - .offset:         0
        .size:           112
        .value_kind:     by_value
    .group_segment_fixed_size: 0
    .kernarg_segment_align: 8
    .kernarg_segment_size: 112
    .language:       OpenCL C
    .language_version:
      - 2
      - 0
    .max_flat_workgroup_size: 256
    .name:           _ZN7rocprim17ROCPRIM_400000_NS6detail17trampoline_kernelINS0_14default_configENS1_27scan_by_key_config_selectorIiiEEZZNS1_16scan_by_key_implILNS1_25lookback_scan_determinismE0ELb0ES3_N6thrust23THRUST_200600_302600_NS6detail15normal_iteratorINS9_10device_ptrIiEEEESE_SE_iNS9_4plusIvEENS9_8equal_toIvEEiEE10hipError_tPvRmT2_T3_T4_T5_mT6_T7_P12ihipStream_tbENKUlT_T0_E_clISt17integral_constantIbLb1EESY_IbLb0EEEEDaSU_SV_EUlSU_E_NS1_11comp_targetILNS1_3genE4ELNS1_11target_archE910ELNS1_3gpuE8ELNS1_3repE0EEENS1_30default_config_static_selectorELNS0_4arch9wavefront6targetE0EEEvT1_
    .private_segment_fixed_size: 0
    .sgpr_count:     0
    .sgpr_spill_count: 0
    .symbol:         _ZN7rocprim17ROCPRIM_400000_NS6detail17trampoline_kernelINS0_14default_configENS1_27scan_by_key_config_selectorIiiEEZZNS1_16scan_by_key_implILNS1_25lookback_scan_determinismE0ELb0ES3_N6thrust23THRUST_200600_302600_NS6detail15normal_iteratorINS9_10device_ptrIiEEEESE_SE_iNS9_4plusIvEENS9_8equal_toIvEEiEE10hipError_tPvRmT2_T3_T4_T5_mT6_T7_P12ihipStream_tbENKUlT_T0_E_clISt17integral_constantIbLb1EESY_IbLb0EEEEDaSU_SV_EUlSU_E_NS1_11comp_targetILNS1_3genE4ELNS1_11target_archE910ELNS1_3gpuE8ELNS1_3repE0EEENS1_30default_config_static_selectorELNS0_4arch9wavefront6targetE0EEEvT1_.kd
    .uniform_work_group_size: 1
    .uses_dynamic_stack: false
    .vgpr_count:     0
    .vgpr_spill_count: 0
    .wavefront_size: 32
  - .args:
      - .offset:         0
        .size:           112
        .value_kind:     by_value
    .group_segment_fixed_size: 0
    .kernarg_segment_align: 8
    .kernarg_segment_size: 112
    .language:       OpenCL C
    .language_version:
      - 2
      - 0
    .max_flat_workgroup_size: 256
    .name:           _ZN7rocprim17ROCPRIM_400000_NS6detail17trampoline_kernelINS0_14default_configENS1_27scan_by_key_config_selectorIiiEEZZNS1_16scan_by_key_implILNS1_25lookback_scan_determinismE0ELb0ES3_N6thrust23THRUST_200600_302600_NS6detail15normal_iteratorINS9_10device_ptrIiEEEESE_SE_iNS9_4plusIvEENS9_8equal_toIvEEiEE10hipError_tPvRmT2_T3_T4_T5_mT6_T7_P12ihipStream_tbENKUlT_T0_E_clISt17integral_constantIbLb1EESY_IbLb0EEEEDaSU_SV_EUlSU_E_NS1_11comp_targetILNS1_3genE3ELNS1_11target_archE908ELNS1_3gpuE7ELNS1_3repE0EEENS1_30default_config_static_selectorELNS0_4arch9wavefront6targetE0EEEvT1_
    .private_segment_fixed_size: 0
    .sgpr_count:     0
    .sgpr_spill_count: 0
    .symbol:         _ZN7rocprim17ROCPRIM_400000_NS6detail17trampoline_kernelINS0_14default_configENS1_27scan_by_key_config_selectorIiiEEZZNS1_16scan_by_key_implILNS1_25lookback_scan_determinismE0ELb0ES3_N6thrust23THRUST_200600_302600_NS6detail15normal_iteratorINS9_10device_ptrIiEEEESE_SE_iNS9_4plusIvEENS9_8equal_toIvEEiEE10hipError_tPvRmT2_T3_T4_T5_mT6_T7_P12ihipStream_tbENKUlT_T0_E_clISt17integral_constantIbLb1EESY_IbLb0EEEEDaSU_SV_EUlSU_E_NS1_11comp_targetILNS1_3genE3ELNS1_11target_archE908ELNS1_3gpuE7ELNS1_3repE0EEENS1_30default_config_static_selectorELNS0_4arch9wavefront6targetE0EEEvT1_.kd
    .uniform_work_group_size: 1
    .uses_dynamic_stack: false
    .vgpr_count:     0
    .vgpr_spill_count: 0
    .wavefront_size: 32
  - .args:
      - .offset:         0
        .size:           112
        .value_kind:     by_value
    .group_segment_fixed_size: 0
    .kernarg_segment_align: 8
    .kernarg_segment_size: 112
    .language:       OpenCL C
    .language_version:
      - 2
      - 0
    .max_flat_workgroup_size: 256
    .name:           _ZN7rocprim17ROCPRIM_400000_NS6detail17trampoline_kernelINS0_14default_configENS1_27scan_by_key_config_selectorIiiEEZZNS1_16scan_by_key_implILNS1_25lookback_scan_determinismE0ELb0ES3_N6thrust23THRUST_200600_302600_NS6detail15normal_iteratorINS9_10device_ptrIiEEEESE_SE_iNS9_4plusIvEENS9_8equal_toIvEEiEE10hipError_tPvRmT2_T3_T4_T5_mT6_T7_P12ihipStream_tbENKUlT_T0_E_clISt17integral_constantIbLb1EESY_IbLb0EEEEDaSU_SV_EUlSU_E_NS1_11comp_targetILNS1_3genE2ELNS1_11target_archE906ELNS1_3gpuE6ELNS1_3repE0EEENS1_30default_config_static_selectorELNS0_4arch9wavefront6targetE0EEEvT1_
    .private_segment_fixed_size: 0
    .sgpr_count:     0
    .sgpr_spill_count: 0
    .symbol:         _ZN7rocprim17ROCPRIM_400000_NS6detail17trampoline_kernelINS0_14default_configENS1_27scan_by_key_config_selectorIiiEEZZNS1_16scan_by_key_implILNS1_25lookback_scan_determinismE0ELb0ES3_N6thrust23THRUST_200600_302600_NS6detail15normal_iteratorINS9_10device_ptrIiEEEESE_SE_iNS9_4plusIvEENS9_8equal_toIvEEiEE10hipError_tPvRmT2_T3_T4_T5_mT6_T7_P12ihipStream_tbENKUlT_T0_E_clISt17integral_constantIbLb1EESY_IbLb0EEEEDaSU_SV_EUlSU_E_NS1_11comp_targetILNS1_3genE2ELNS1_11target_archE906ELNS1_3gpuE6ELNS1_3repE0EEENS1_30default_config_static_selectorELNS0_4arch9wavefront6targetE0EEEvT1_.kd
    .uniform_work_group_size: 1
    .uses_dynamic_stack: false
    .vgpr_count:     0
    .vgpr_spill_count: 0
    .wavefront_size: 32
  - .args:
      - .offset:         0
        .size:           112
        .value_kind:     by_value
    .group_segment_fixed_size: 0
    .kernarg_segment_align: 8
    .kernarg_segment_size: 112
    .language:       OpenCL C
    .language_version:
      - 2
      - 0
    .max_flat_workgroup_size: 256
    .name:           _ZN7rocprim17ROCPRIM_400000_NS6detail17trampoline_kernelINS0_14default_configENS1_27scan_by_key_config_selectorIiiEEZZNS1_16scan_by_key_implILNS1_25lookback_scan_determinismE0ELb0ES3_N6thrust23THRUST_200600_302600_NS6detail15normal_iteratorINS9_10device_ptrIiEEEESE_SE_iNS9_4plusIvEENS9_8equal_toIvEEiEE10hipError_tPvRmT2_T3_T4_T5_mT6_T7_P12ihipStream_tbENKUlT_T0_E_clISt17integral_constantIbLb1EESY_IbLb0EEEEDaSU_SV_EUlSU_E_NS1_11comp_targetILNS1_3genE10ELNS1_11target_archE1200ELNS1_3gpuE4ELNS1_3repE0EEENS1_30default_config_static_selectorELNS0_4arch9wavefront6targetE0EEEvT1_
    .private_segment_fixed_size: 0
    .sgpr_count:     0
    .sgpr_spill_count: 0
    .symbol:         _ZN7rocprim17ROCPRIM_400000_NS6detail17trampoline_kernelINS0_14default_configENS1_27scan_by_key_config_selectorIiiEEZZNS1_16scan_by_key_implILNS1_25lookback_scan_determinismE0ELb0ES3_N6thrust23THRUST_200600_302600_NS6detail15normal_iteratorINS9_10device_ptrIiEEEESE_SE_iNS9_4plusIvEENS9_8equal_toIvEEiEE10hipError_tPvRmT2_T3_T4_T5_mT6_T7_P12ihipStream_tbENKUlT_T0_E_clISt17integral_constantIbLb1EESY_IbLb0EEEEDaSU_SV_EUlSU_E_NS1_11comp_targetILNS1_3genE10ELNS1_11target_archE1200ELNS1_3gpuE4ELNS1_3repE0EEENS1_30default_config_static_selectorELNS0_4arch9wavefront6targetE0EEEvT1_.kd
    .uniform_work_group_size: 1
    .uses_dynamic_stack: false
    .vgpr_count:     0
    .vgpr_spill_count: 0
    .wavefront_size: 32
  - .args:
      - .offset:         0
        .size:           112
        .value_kind:     by_value
    .group_segment_fixed_size: 0
    .kernarg_segment_align: 8
    .kernarg_segment_size: 112
    .language:       OpenCL C
    .language_version:
      - 2
      - 0
    .max_flat_workgroup_size: 256
    .name:           _ZN7rocprim17ROCPRIM_400000_NS6detail17trampoline_kernelINS0_14default_configENS1_27scan_by_key_config_selectorIiiEEZZNS1_16scan_by_key_implILNS1_25lookback_scan_determinismE0ELb0ES3_N6thrust23THRUST_200600_302600_NS6detail15normal_iteratorINS9_10device_ptrIiEEEESE_SE_iNS9_4plusIvEENS9_8equal_toIvEEiEE10hipError_tPvRmT2_T3_T4_T5_mT6_T7_P12ihipStream_tbENKUlT_T0_E_clISt17integral_constantIbLb1EESY_IbLb0EEEEDaSU_SV_EUlSU_E_NS1_11comp_targetILNS1_3genE9ELNS1_11target_archE1100ELNS1_3gpuE3ELNS1_3repE0EEENS1_30default_config_static_selectorELNS0_4arch9wavefront6targetE0EEEvT1_
    .private_segment_fixed_size: 0
    .sgpr_count:     0
    .sgpr_spill_count: 0
    .symbol:         _ZN7rocprim17ROCPRIM_400000_NS6detail17trampoline_kernelINS0_14default_configENS1_27scan_by_key_config_selectorIiiEEZZNS1_16scan_by_key_implILNS1_25lookback_scan_determinismE0ELb0ES3_N6thrust23THRUST_200600_302600_NS6detail15normal_iteratorINS9_10device_ptrIiEEEESE_SE_iNS9_4plusIvEENS9_8equal_toIvEEiEE10hipError_tPvRmT2_T3_T4_T5_mT6_T7_P12ihipStream_tbENKUlT_T0_E_clISt17integral_constantIbLb1EESY_IbLb0EEEEDaSU_SV_EUlSU_E_NS1_11comp_targetILNS1_3genE9ELNS1_11target_archE1100ELNS1_3gpuE3ELNS1_3repE0EEENS1_30default_config_static_selectorELNS0_4arch9wavefront6targetE0EEEvT1_.kd
    .uniform_work_group_size: 1
    .uses_dynamic_stack: false
    .vgpr_count:     0
    .vgpr_spill_count: 0
    .wavefront_size: 32
  - .args:
      - .offset:         0
        .size:           112
        .value_kind:     by_value
    .group_segment_fixed_size: 0
    .kernarg_segment_align: 8
    .kernarg_segment_size: 112
    .language:       OpenCL C
    .language_version:
      - 2
      - 0
    .max_flat_workgroup_size: 256
    .name:           _ZN7rocprim17ROCPRIM_400000_NS6detail17trampoline_kernelINS0_14default_configENS1_27scan_by_key_config_selectorIiiEEZZNS1_16scan_by_key_implILNS1_25lookback_scan_determinismE0ELb0ES3_N6thrust23THRUST_200600_302600_NS6detail15normal_iteratorINS9_10device_ptrIiEEEESE_SE_iNS9_4plusIvEENS9_8equal_toIvEEiEE10hipError_tPvRmT2_T3_T4_T5_mT6_T7_P12ihipStream_tbENKUlT_T0_E_clISt17integral_constantIbLb1EESY_IbLb0EEEEDaSU_SV_EUlSU_E_NS1_11comp_targetILNS1_3genE8ELNS1_11target_archE1030ELNS1_3gpuE2ELNS1_3repE0EEENS1_30default_config_static_selectorELNS0_4arch9wavefront6targetE0EEEvT1_
    .private_segment_fixed_size: 0
    .sgpr_count:     0
    .sgpr_spill_count: 0
    .symbol:         _ZN7rocprim17ROCPRIM_400000_NS6detail17trampoline_kernelINS0_14default_configENS1_27scan_by_key_config_selectorIiiEEZZNS1_16scan_by_key_implILNS1_25lookback_scan_determinismE0ELb0ES3_N6thrust23THRUST_200600_302600_NS6detail15normal_iteratorINS9_10device_ptrIiEEEESE_SE_iNS9_4plusIvEENS9_8equal_toIvEEiEE10hipError_tPvRmT2_T3_T4_T5_mT6_T7_P12ihipStream_tbENKUlT_T0_E_clISt17integral_constantIbLb1EESY_IbLb0EEEEDaSU_SV_EUlSU_E_NS1_11comp_targetILNS1_3genE8ELNS1_11target_archE1030ELNS1_3gpuE2ELNS1_3repE0EEENS1_30default_config_static_selectorELNS0_4arch9wavefront6targetE0EEEvT1_.kd
    .uniform_work_group_size: 1
    .uses_dynamic_stack: false
    .vgpr_count:     0
    .vgpr_spill_count: 0
    .wavefront_size: 32
  - .args:
      - .address_space:  global
        .offset:         0
        .size:           8
        .value_kind:     global_buffer
      - .offset:         8
        .size:           4
        .value_kind:     by_value
      - .offset:         12
        .size:           4
        .value_kind:     by_value
      - .address_space:  global
        .offset:         16
        .size:           8
        .value_kind:     global_buffer
      - .address_space:  global
        .offset:         24
        .size:           8
        .value_kind:     global_buffer
      - .actual_access:  write_only
        .address_space:  global
        .offset:         32
        .size:           8
        .value_kind:     global_buffer
      - .offset:         40
        .size:           8
        .value_kind:     by_value
      - .offset:         48
        .size:           4
        .value_kind:     by_value
      - .address_space:  global
        .offset:         56
        .size:           8
        .value_kind:     global_buffer
      - .offset:         64
        .size:           4
        .value_kind:     hidden_block_count_x
      - .offset:         68
        .size:           4
        .value_kind:     hidden_block_count_y
      - .offset:         72
        .size:           4
        .value_kind:     hidden_block_count_z
      - .offset:         76
        .size:           2
        .value_kind:     hidden_group_size_x
      - .offset:         78
        .size:           2
        .value_kind:     hidden_group_size_y
      - .offset:         80
        .size:           2
        .value_kind:     hidden_group_size_z
      - .offset:         82
        .size:           2
        .value_kind:     hidden_remainder_x
      - .offset:         84
        .size:           2
        .value_kind:     hidden_remainder_y
      - .offset:         86
        .size:           2
        .value_kind:     hidden_remainder_z
      - .offset:         104
        .size:           8
        .value_kind:     hidden_global_offset_x
      - .offset:         112
        .size:           8
        .value_kind:     hidden_global_offset_y
      - .offset:         120
        .size:           8
        .value_kind:     hidden_global_offset_z
      - .offset:         128
        .size:           2
        .value_kind:     hidden_grid_dims
    .group_segment_fixed_size: 0
    .kernarg_segment_align: 8
    .kernarg_segment_size: 320
    .language:       OpenCL C
    .language_version:
      - 2
      - 0
    .max_flat_workgroup_size: 256
    .name:           _ZN7rocprim17ROCPRIM_400000_NS6detail30init_device_scan_by_key_kernelINS1_19lookback_scan_stateINS0_5tupleIJibEEELb0ELb1EEEN6thrust23THRUST_200600_302600_NS6detail15normal_iteratorINS8_10device_ptrIiEEEEjNS1_16block_id_wrapperIjLb1EEEEEvT_jjPNSG_10value_typeET0_PNSt15iterator_traitsISJ_E10value_typeEmT1_T2_
    .private_segment_fixed_size: 0
    .sgpr_count:     19
    .sgpr_spill_count: 0
    .symbol:         _ZN7rocprim17ROCPRIM_400000_NS6detail30init_device_scan_by_key_kernelINS1_19lookback_scan_stateINS0_5tupleIJibEEELb0ELb1EEEN6thrust23THRUST_200600_302600_NS6detail15normal_iteratorINS8_10device_ptrIiEEEEjNS1_16block_id_wrapperIjLb1EEEEEvT_jjPNSG_10value_typeET0_PNSt15iterator_traitsISJ_E10value_typeEmT1_T2_.kd
    .uniform_work_group_size: 1
    .uses_dynamic_stack: false
    .vgpr_count:     10
    .vgpr_spill_count: 0
    .wavefront_size: 32
  - .args:
      - .address_space:  global
        .offset:         0
        .size:           8
        .value_kind:     global_buffer
      - .offset:         8
        .size:           4
        .value_kind:     by_value
      - .offset:         12
        .size:           4
        .value_kind:     by_value
      - .address_space:  global
        .offset:         16
        .size:           8
        .value_kind:     global_buffer
      - .address_space:  global
        .offset:         24
        .size:           8
        .value_kind:     global_buffer
      - .offset:         32
        .size:           4
        .value_kind:     hidden_block_count_x
      - .offset:         36
        .size:           4
        .value_kind:     hidden_block_count_y
      - .offset:         40
        .size:           4
        .value_kind:     hidden_block_count_z
      - .offset:         44
        .size:           2
        .value_kind:     hidden_group_size_x
      - .offset:         46
        .size:           2
        .value_kind:     hidden_group_size_y
      - .offset:         48
        .size:           2
        .value_kind:     hidden_group_size_z
      - .offset:         50
        .size:           2
        .value_kind:     hidden_remainder_x
      - .offset:         52
        .size:           2
        .value_kind:     hidden_remainder_y
      - .offset:         54
        .size:           2
        .value_kind:     hidden_remainder_z
      - .offset:         72
        .size:           8
        .value_kind:     hidden_global_offset_x
      - .offset:         80
        .size:           8
        .value_kind:     hidden_global_offset_y
      - .offset:         88
        .size:           8
        .value_kind:     hidden_global_offset_z
      - .offset:         96
        .size:           2
        .value_kind:     hidden_grid_dims
    .group_segment_fixed_size: 0
    .kernarg_segment_align: 8
    .kernarg_segment_size: 288
    .language:       OpenCL C
    .language_version:
      - 2
      - 0
    .max_flat_workgroup_size: 256
    .name:           _ZN7rocprim17ROCPRIM_400000_NS6detail30init_device_scan_by_key_kernelINS1_19lookback_scan_stateINS0_5tupleIJibEEELb0ELb1EEENS1_16block_id_wrapperIjLb1EEEEEvT_jjPNS9_10value_typeET0_
    .private_segment_fixed_size: 0
    .sgpr_count:     15
    .sgpr_spill_count: 0
    .symbol:         _ZN7rocprim17ROCPRIM_400000_NS6detail30init_device_scan_by_key_kernelINS1_19lookback_scan_stateINS0_5tupleIJibEEELb0ELb1EEENS1_16block_id_wrapperIjLb1EEEEEvT_jjPNS9_10value_typeET0_.kd
    .uniform_work_group_size: 1
    .uses_dynamic_stack: false
    .vgpr_count:     9
    .vgpr_spill_count: 0
    .wavefront_size: 32
  - .args:
      - .offset:         0
        .size:           112
        .value_kind:     by_value
    .group_segment_fixed_size: 14336
    .kernarg_segment_align: 8
    .kernarg_segment_size: 112
    .language:       OpenCL C
    .language_version:
      - 2
      - 0
    .max_flat_workgroup_size: 256
    .name:           _ZN7rocprim17ROCPRIM_400000_NS6detail17trampoline_kernelINS0_14default_configENS1_27scan_by_key_config_selectorIiiEEZZNS1_16scan_by_key_implILNS1_25lookback_scan_determinismE0ELb0ES3_N6thrust23THRUST_200600_302600_NS6detail15normal_iteratorINS9_10device_ptrIiEEEESE_SE_iNS9_4plusIvEENS9_8equal_toIvEEiEE10hipError_tPvRmT2_T3_T4_T5_mT6_T7_P12ihipStream_tbENKUlT_T0_E_clISt17integral_constantIbLb0EESY_IbLb1EEEEDaSU_SV_EUlSU_E_NS1_11comp_targetILNS1_3genE0ELNS1_11target_archE4294967295ELNS1_3gpuE0ELNS1_3repE0EEENS1_30default_config_static_selectorELNS0_4arch9wavefront6targetE0EEEvT1_
    .private_segment_fixed_size: 0
    .sgpr_count:     46
    .sgpr_spill_count: 0
    .symbol:         _ZN7rocprim17ROCPRIM_400000_NS6detail17trampoline_kernelINS0_14default_configENS1_27scan_by_key_config_selectorIiiEEZZNS1_16scan_by_key_implILNS1_25lookback_scan_determinismE0ELb0ES3_N6thrust23THRUST_200600_302600_NS6detail15normal_iteratorINS9_10device_ptrIiEEEESE_SE_iNS9_4plusIvEENS9_8equal_toIvEEiEE10hipError_tPvRmT2_T3_T4_T5_mT6_T7_P12ihipStream_tbENKUlT_T0_E_clISt17integral_constantIbLb0EESY_IbLb1EEEEDaSU_SV_EUlSU_E_NS1_11comp_targetILNS1_3genE0ELNS1_11target_archE4294967295ELNS1_3gpuE0ELNS1_3repE0EEENS1_30default_config_static_selectorELNS0_4arch9wavefront6targetE0EEEvT1_.kd
    .uniform_work_group_size: 1
    .uses_dynamic_stack: false
    .vgpr_count:     60
    .vgpr_spill_count: 0
    .wavefront_size: 32
  - .args:
      - .offset:         0
        .size:           112
        .value_kind:     by_value
    .group_segment_fixed_size: 0
    .kernarg_segment_align: 8
    .kernarg_segment_size: 112
    .language:       OpenCL C
    .language_version:
      - 2
      - 0
    .max_flat_workgroup_size: 256
    .name:           _ZN7rocprim17ROCPRIM_400000_NS6detail17trampoline_kernelINS0_14default_configENS1_27scan_by_key_config_selectorIiiEEZZNS1_16scan_by_key_implILNS1_25lookback_scan_determinismE0ELb0ES3_N6thrust23THRUST_200600_302600_NS6detail15normal_iteratorINS9_10device_ptrIiEEEESE_SE_iNS9_4plusIvEENS9_8equal_toIvEEiEE10hipError_tPvRmT2_T3_T4_T5_mT6_T7_P12ihipStream_tbENKUlT_T0_E_clISt17integral_constantIbLb0EESY_IbLb1EEEEDaSU_SV_EUlSU_E_NS1_11comp_targetILNS1_3genE10ELNS1_11target_archE1201ELNS1_3gpuE5ELNS1_3repE0EEENS1_30default_config_static_selectorELNS0_4arch9wavefront6targetE0EEEvT1_
    .private_segment_fixed_size: 0
    .sgpr_count:     0
    .sgpr_spill_count: 0
    .symbol:         _ZN7rocprim17ROCPRIM_400000_NS6detail17trampoline_kernelINS0_14default_configENS1_27scan_by_key_config_selectorIiiEEZZNS1_16scan_by_key_implILNS1_25lookback_scan_determinismE0ELb0ES3_N6thrust23THRUST_200600_302600_NS6detail15normal_iteratorINS9_10device_ptrIiEEEESE_SE_iNS9_4plusIvEENS9_8equal_toIvEEiEE10hipError_tPvRmT2_T3_T4_T5_mT6_T7_P12ihipStream_tbENKUlT_T0_E_clISt17integral_constantIbLb0EESY_IbLb1EEEEDaSU_SV_EUlSU_E_NS1_11comp_targetILNS1_3genE10ELNS1_11target_archE1201ELNS1_3gpuE5ELNS1_3repE0EEENS1_30default_config_static_selectorELNS0_4arch9wavefront6targetE0EEEvT1_.kd
    .uniform_work_group_size: 1
    .uses_dynamic_stack: false
    .vgpr_count:     0
    .vgpr_spill_count: 0
    .wavefront_size: 32
  - .args:
      - .offset:         0
        .size:           112
        .value_kind:     by_value
    .group_segment_fixed_size: 0
    .kernarg_segment_align: 8
    .kernarg_segment_size: 112
    .language:       OpenCL C
    .language_version:
      - 2
      - 0
    .max_flat_workgroup_size: 256
    .name:           _ZN7rocprim17ROCPRIM_400000_NS6detail17trampoline_kernelINS0_14default_configENS1_27scan_by_key_config_selectorIiiEEZZNS1_16scan_by_key_implILNS1_25lookback_scan_determinismE0ELb0ES3_N6thrust23THRUST_200600_302600_NS6detail15normal_iteratorINS9_10device_ptrIiEEEESE_SE_iNS9_4plusIvEENS9_8equal_toIvEEiEE10hipError_tPvRmT2_T3_T4_T5_mT6_T7_P12ihipStream_tbENKUlT_T0_E_clISt17integral_constantIbLb0EESY_IbLb1EEEEDaSU_SV_EUlSU_E_NS1_11comp_targetILNS1_3genE5ELNS1_11target_archE942ELNS1_3gpuE9ELNS1_3repE0EEENS1_30default_config_static_selectorELNS0_4arch9wavefront6targetE0EEEvT1_
    .private_segment_fixed_size: 0
    .sgpr_count:     0
    .sgpr_spill_count: 0
    .symbol:         _ZN7rocprim17ROCPRIM_400000_NS6detail17trampoline_kernelINS0_14default_configENS1_27scan_by_key_config_selectorIiiEEZZNS1_16scan_by_key_implILNS1_25lookback_scan_determinismE0ELb0ES3_N6thrust23THRUST_200600_302600_NS6detail15normal_iteratorINS9_10device_ptrIiEEEESE_SE_iNS9_4plusIvEENS9_8equal_toIvEEiEE10hipError_tPvRmT2_T3_T4_T5_mT6_T7_P12ihipStream_tbENKUlT_T0_E_clISt17integral_constantIbLb0EESY_IbLb1EEEEDaSU_SV_EUlSU_E_NS1_11comp_targetILNS1_3genE5ELNS1_11target_archE942ELNS1_3gpuE9ELNS1_3repE0EEENS1_30default_config_static_selectorELNS0_4arch9wavefront6targetE0EEEvT1_.kd
    .uniform_work_group_size: 1
    .uses_dynamic_stack: false
    .vgpr_count:     0
    .vgpr_spill_count: 0
    .wavefront_size: 32
  - .args:
      - .offset:         0
        .size:           112
        .value_kind:     by_value
    .group_segment_fixed_size: 0
    .kernarg_segment_align: 8
    .kernarg_segment_size: 112
    .language:       OpenCL C
    .language_version:
      - 2
      - 0
    .max_flat_workgroup_size: 256
    .name:           _ZN7rocprim17ROCPRIM_400000_NS6detail17trampoline_kernelINS0_14default_configENS1_27scan_by_key_config_selectorIiiEEZZNS1_16scan_by_key_implILNS1_25lookback_scan_determinismE0ELb0ES3_N6thrust23THRUST_200600_302600_NS6detail15normal_iteratorINS9_10device_ptrIiEEEESE_SE_iNS9_4plusIvEENS9_8equal_toIvEEiEE10hipError_tPvRmT2_T3_T4_T5_mT6_T7_P12ihipStream_tbENKUlT_T0_E_clISt17integral_constantIbLb0EESY_IbLb1EEEEDaSU_SV_EUlSU_E_NS1_11comp_targetILNS1_3genE4ELNS1_11target_archE910ELNS1_3gpuE8ELNS1_3repE0EEENS1_30default_config_static_selectorELNS0_4arch9wavefront6targetE0EEEvT1_
    .private_segment_fixed_size: 0
    .sgpr_count:     0
    .sgpr_spill_count: 0
    .symbol:         _ZN7rocprim17ROCPRIM_400000_NS6detail17trampoline_kernelINS0_14default_configENS1_27scan_by_key_config_selectorIiiEEZZNS1_16scan_by_key_implILNS1_25lookback_scan_determinismE0ELb0ES3_N6thrust23THRUST_200600_302600_NS6detail15normal_iteratorINS9_10device_ptrIiEEEESE_SE_iNS9_4plusIvEENS9_8equal_toIvEEiEE10hipError_tPvRmT2_T3_T4_T5_mT6_T7_P12ihipStream_tbENKUlT_T0_E_clISt17integral_constantIbLb0EESY_IbLb1EEEEDaSU_SV_EUlSU_E_NS1_11comp_targetILNS1_3genE4ELNS1_11target_archE910ELNS1_3gpuE8ELNS1_3repE0EEENS1_30default_config_static_selectorELNS0_4arch9wavefront6targetE0EEEvT1_.kd
    .uniform_work_group_size: 1
    .uses_dynamic_stack: false
    .vgpr_count:     0
    .vgpr_spill_count: 0
    .wavefront_size: 32
  - .args:
      - .offset:         0
        .size:           112
        .value_kind:     by_value
    .group_segment_fixed_size: 0
    .kernarg_segment_align: 8
    .kernarg_segment_size: 112
    .language:       OpenCL C
    .language_version:
      - 2
      - 0
    .max_flat_workgroup_size: 256
    .name:           _ZN7rocprim17ROCPRIM_400000_NS6detail17trampoline_kernelINS0_14default_configENS1_27scan_by_key_config_selectorIiiEEZZNS1_16scan_by_key_implILNS1_25lookback_scan_determinismE0ELb0ES3_N6thrust23THRUST_200600_302600_NS6detail15normal_iteratorINS9_10device_ptrIiEEEESE_SE_iNS9_4plusIvEENS9_8equal_toIvEEiEE10hipError_tPvRmT2_T3_T4_T5_mT6_T7_P12ihipStream_tbENKUlT_T0_E_clISt17integral_constantIbLb0EESY_IbLb1EEEEDaSU_SV_EUlSU_E_NS1_11comp_targetILNS1_3genE3ELNS1_11target_archE908ELNS1_3gpuE7ELNS1_3repE0EEENS1_30default_config_static_selectorELNS0_4arch9wavefront6targetE0EEEvT1_
    .private_segment_fixed_size: 0
    .sgpr_count:     0
    .sgpr_spill_count: 0
    .symbol:         _ZN7rocprim17ROCPRIM_400000_NS6detail17trampoline_kernelINS0_14default_configENS1_27scan_by_key_config_selectorIiiEEZZNS1_16scan_by_key_implILNS1_25lookback_scan_determinismE0ELb0ES3_N6thrust23THRUST_200600_302600_NS6detail15normal_iteratorINS9_10device_ptrIiEEEESE_SE_iNS9_4plusIvEENS9_8equal_toIvEEiEE10hipError_tPvRmT2_T3_T4_T5_mT6_T7_P12ihipStream_tbENKUlT_T0_E_clISt17integral_constantIbLb0EESY_IbLb1EEEEDaSU_SV_EUlSU_E_NS1_11comp_targetILNS1_3genE3ELNS1_11target_archE908ELNS1_3gpuE7ELNS1_3repE0EEENS1_30default_config_static_selectorELNS0_4arch9wavefront6targetE0EEEvT1_.kd
    .uniform_work_group_size: 1
    .uses_dynamic_stack: false
    .vgpr_count:     0
    .vgpr_spill_count: 0
    .wavefront_size: 32
  - .args:
      - .offset:         0
        .size:           112
        .value_kind:     by_value
    .group_segment_fixed_size: 0
    .kernarg_segment_align: 8
    .kernarg_segment_size: 112
    .language:       OpenCL C
    .language_version:
      - 2
      - 0
    .max_flat_workgroup_size: 256
    .name:           _ZN7rocprim17ROCPRIM_400000_NS6detail17trampoline_kernelINS0_14default_configENS1_27scan_by_key_config_selectorIiiEEZZNS1_16scan_by_key_implILNS1_25lookback_scan_determinismE0ELb0ES3_N6thrust23THRUST_200600_302600_NS6detail15normal_iteratorINS9_10device_ptrIiEEEESE_SE_iNS9_4plusIvEENS9_8equal_toIvEEiEE10hipError_tPvRmT2_T3_T4_T5_mT6_T7_P12ihipStream_tbENKUlT_T0_E_clISt17integral_constantIbLb0EESY_IbLb1EEEEDaSU_SV_EUlSU_E_NS1_11comp_targetILNS1_3genE2ELNS1_11target_archE906ELNS1_3gpuE6ELNS1_3repE0EEENS1_30default_config_static_selectorELNS0_4arch9wavefront6targetE0EEEvT1_
    .private_segment_fixed_size: 0
    .sgpr_count:     0
    .sgpr_spill_count: 0
    .symbol:         _ZN7rocprim17ROCPRIM_400000_NS6detail17trampoline_kernelINS0_14default_configENS1_27scan_by_key_config_selectorIiiEEZZNS1_16scan_by_key_implILNS1_25lookback_scan_determinismE0ELb0ES3_N6thrust23THRUST_200600_302600_NS6detail15normal_iteratorINS9_10device_ptrIiEEEESE_SE_iNS9_4plusIvEENS9_8equal_toIvEEiEE10hipError_tPvRmT2_T3_T4_T5_mT6_T7_P12ihipStream_tbENKUlT_T0_E_clISt17integral_constantIbLb0EESY_IbLb1EEEEDaSU_SV_EUlSU_E_NS1_11comp_targetILNS1_3genE2ELNS1_11target_archE906ELNS1_3gpuE6ELNS1_3repE0EEENS1_30default_config_static_selectorELNS0_4arch9wavefront6targetE0EEEvT1_.kd
    .uniform_work_group_size: 1
    .uses_dynamic_stack: false
    .vgpr_count:     0
    .vgpr_spill_count: 0
    .wavefront_size: 32
  - .args:
      - .offset:         0
        .size:           112
        .value_kind:     by_value
    .group_segment_fixed_size: 0
    .kernarg_segment_align: 8
    .kernarg_segment_size: 112
    .language:       OpenCL C
    .language_version:
      - 2
      - 0
    .max_flat_workgroup_size: 256
    .name:           _ZN7rocprim17ROCPRIM_400000_NS6detail17trampoline_kernelINS0_14default_configENS1_27scan_by_key_config_selectorIiiEEZZNS1_16scan_by_key_implILNS1_25lookback_scan_determinismE0ELb0ES3_N6thrust23THRUST_200600_302600_NS6detail15normal_iteratorINS9_10device_ptrIiEEEESE_SE_iNS9_4plusIvEENS9_8equal_toIvEEiEE10hipError_tPvRmT2_T3_T4_T5_mT6_T7_P12ihipStream_tbENKUlT_T0_E_clISt17integral_constantIbLb0EESY_IbLb1EEEEDaSU_SV_EUlSU_E_NS1_11comp_targetILNS1_3genE10ELNS1_11target_archE1200ELNS1_3gpuE4ELNS1_3repE0EEENS1_30default_config_static_selectorELNS0_4arch9wavefront6targetE0EEEvT1_
    .private_segment_fixed_size: 0
    .sgpr_count:     0
    .sgpr_spill_count: 0
    .symbol:         _ZN7rocprim17ROCPRIM_400000_NS6detail17trampoline_kernelINS0_14default_configENS1_27scan_by_key_config_selectorIiiEEZZNS1_16scan_by_key_implILNS1_25lookback_scan_determinismE0ELb0ES3_N6thrust23THRUST_200600_302600_NS6detail15normal_iteratorINS9_10device_ptrIiEEEESE_SE_iNS9_4plusIvEENS9_8equal_toIvEEiEE10hipError_tPvRmT2_T3_T4_T5_mT6_T7_P12ihipStream_tbENKUlT_T0_E_clISt17integral_constantIbLb0EESY_IbLb1EEEEDaSU_SV_EUlSU_E_NS1_11comp_targetILNS1_3genE10ELNS1_11target_archE1200ELNS1_3gpuE4ELNS1_3repE0EEENS1_30default_config_static_selectorELNS0_4arch9wavefront6targetE0EEEvT1_.kd
    .uniform_work_group_size: 1
    .uses_dynamic_stack: false
    .vgpr_count:     0
    .vgpr_spill_count: 0
    .wavefront_size: 32
  - .args:
      - .offset:         0
        .size:           112
        .value_kind:     by_value
    .group_segment_fixed_size: 0
    .kernarg_segment_align: 8
    .kernarg_segment_size: 112
    .language:       OpenCL C
    .language_version:
      - 2
      - 0
    .max_flat_workgroup_size: 256
    .name:           _ZN7rocprim17ROCPRIM_400000_NS6detail17trampoline_kernelINS0_14default_configENS1_27scan_by_key_config_selectorIiiEEZZNS1_16scan_by_key_implILNS1_25lookback_scan_determinismE0ELb0ES3_N6thrust23THRUST_200600_302600_NS6detail15normal_iteratorINS9_10device_ptrIiEEEESE_SE_iNS9_4plusIvEENS9_8equal_toIvEEiEE10hipError_tPvRmT2_T3_T4_T5_mT6_T7_P12ihipStream_tbENKUlT_T0_E_clISt17integral_constantIbLb0EESY_IbLb1EEEEDaSU_SV_EUlSU_E_NS1_11comp_targetILNS1_3genE9ELNS1_11target_archE1100ELNS1_3gpuE3ELNS1_3repE0EEENS1_30default_config_static_selectorELNS0_4arch9wavefront6targetE0EEEvT1_
    .private_segment_fixed_size: 0
    .sgpr_count:     0
    .sgpr_spill_count: 0
    .symbol:         _ZN7rocprim17ROCPRIM_400000_NS6detail17trampoline_kernelINS0_14default_configENS1_27scan_by_key_config_selectorIiiEEZZNS1_16scan_by_key_implILNS1_25lookback_scan_determinismE0ELb0ES3_N6thrust23THRUST_200600_302600_NS6detail15normal_iteratorINS9_10device_ptrIiEEEESE_SE_iNS9_4plusIvEENS9_8equal_toIvEEiEE10hipError_tPvRmT2_T3_T4_T5_mT6_T7_P12ihipStream_tbENKUlT_T0_E_clISt17integral_constantIbLb0EESY_IbLb1EEEEDaSU_SV_EUlSU_E_NS1_11comp_targetILNS1_3genE9ELNS1_11target_archE1100ELNS1_3gpuE3ELNS1_3repE0EEENS1_30default_config_static_selectorELNS0_4arch9wavefront6targetE0EEEvT1_.kd
    .uniform_work_group_size: 1
    .uses_dynamic_stack: false
    .vgpr_count:     0
    .vgpr_spill_count: 0
    .wavefront_size: 32
  - .args:
      - .offset:         0
        .size:           112
        .value_kind:     by_value
    .group_segment_fixed_size: 0
    .kernarg_segment_align: 8
    .kernarg_segment_size: 112
    .language:       OpenCL C
    .language_version:
      - 2
      - 0
    .max_flat_workgroup_size: 256
    .name:           _ZN7rocprim17ROCPRIM_400000_NS6detail17trampoline_kernelINS0_14default_configENS1_27scan_by_key_config_selectorIiiEEZZNS1_16scan_by_key_implILNS1_25lookback_scan_determinismE0ELb0ES3_N6thrust23THRUST_200600_302600_NS6detail15normal_iteratorINS9_10device_ptrIiEEEESE_SE_iNS9_4plusIvEENS9_8equal_toIvEEiEE10hipError_tPvRmT2_T3_T4_T5_mT6_T7_P12ihipStream_tbENKUlT_T0_E_clISt17integral_constantIbLb0EESY_IbLb1EEEEDaSU_SV_EUlSU_E_NS1_11comp_targetILNS1_3genE8ELNS1_11target_archE1030ELNS1_3gpuE2ELNS1_3repE0EEENS1_30default_config_static_selectorELNS0_4arch9wavefront6targetE0EEEvT1_
    .private_segment_fixed_size: 0
    .sgpr_count:     0
    .sgpr_spill_count: 0
    .symbol:         _ZN7rocprim17ROCPRIM_400000_NS6detail17trampoline_kernelINS0_14default_configENS1_27scan_by_key_config_selectorIiiEEZZNS1_16scan_by_key_implILNS1_25lookback_scan_determinismE0ELb0ES3_N6thrust23THRUST_200600_302600_NS6detail15normal_iteratorINS9_10device_ptrIiEEEESE_SE_iNS9_4plusIvEENS9_8equal_toIvEEiEE10hipError_tPvRmT2_T3_T4_T5_mT6_T7_P12ihipStream_tbENKUlT_T0_E_clISt17integral_constantIbLb0EESY_IbLb1EEEEDaSU_SV_EUlSU_E_NS1_11comp_targetILNS1_3genE8ELNS1_11target_archE1030ELNS1_3gpuE2ELNS1_3repE0EEENS1_30default_config_static_selectorELNS0_4arch9wavefront6targetE0EEEvT1_.kd
    .uniform_work_group_size: 1
    .uses_dynamic_stack: false
    .vgpr_count:     0
    .vgpr_spill_count: 0
    .wavefront_size: 32
  - .args:
      - .offset:         0
        .size:           112
        .value_kind:     by_value
    .group_segment_fixed_size: 14336
    .kernarg_segment_align: 8
    .kernarg_segment_size: 112
    .language:       OpenCL C
    .language_version:
      - 2
      - 0
    .max_flat_workgroup_size: 256
    .name:           _ZN7rocprim17ROCPRIM_400000_NS6detail17trampoline_kernelINS0_14default_configENS1_27scan_by_key_config_selectorIiiEEZZNS1_16scan_by_key_implILNS1_25lookback_scan_determinismE0ELb0ES3_N6thrust23THRUST_200600_302600_NS6detail15normal_iteratorINS9_10device_ptrIiEEEESE_SE_iNS9_10multipliesIiEENS9_8equal_toIiEEiEE10hipError_tPvRmT2_T3_T4_T5_mT6_T7_P12ihipStream_tbENKUlT_T0_E_clISt17integral_constantIbLb0EESZ_EEDaSU_SV_EUlSU_E_NS1_11comp_targetILNS1_3genE0ELNS1_11target_archE4294967295ELNS1_3gpuE0ELNS1_3repE0EEENS1_30default_config_static_selectorELNS0_4arch9wavefront6targetE0EEEvT1_
    .private_segment_fixed_size: 0
    .sgpr_count:     44
    .sgpr_spill_count: 0
    .symbol:         _ZN7rocprim17ROCPRIM_400000_NS6detail17trampoline_kernelINS0_14default_configENS1_27scan_by_key_config_selectorIiiEEZZNS1_16scan_by_key_implILNS1_25lookback_scan_determinismE0ELb0ES3_N6thrust23THRUST_200600_302600_NS6detail15normal_iteratorINS9_10device_ptrIiEEEESE_SE_iNS9_10multipliesIiEENS9_8equal_toIiEEiEE10hipError_tPvRmT2_T3_T4_T5_mT6_T7_P12ihipStream_tbENKUlT_T0_E_clISt17integral_constantIbLb0EESZ_EEDaSU_SV_EUlSU_E_NS1_11comp_targetILNS1_3genE0ELNS1_11target_archE4294967295ELNS1_3gpuE0ELNS1_3repE0EEENS1_30default_config_static_selectorELNS0_4arch9wavefront6targetE0EEEvT1_.kd
    .uniform_work_group_size: 1
    .uses_dynamic_stack: false
    .vgpr_count:     60
    .vgpr_spill_count: 0
    .wavefront_size: 32
  - .args:
      - .offset:         0
        .size:           112
        .value_kind:     by_value
    .group_segment_fixed_size: 0
    .kernarg_segment_align: 8
    .kernarg_segment_size: 112
    .language:       OpenCL C
    .language_version:
      - 2
      - 0
    .max_flat_workgroup_size: 256
    .name:           _ZN7rocprim17ROCPRIM_400000_NS6detail17trampoline_kernelINS0_14default_configENS1_27scan_by_key_config_selectorIiiEEZZNS1_16scan_by_key_implILNS1_25lookback_scan_determinismE0ELb0ES3_N6thrust23THRUST_200600_302600_NS6detail15normal_iteratorINS9_10device_ptrIiEEEESE_SE_iNS9_10multipliesIiEENS9_8equal_toIiEEiEE10hipError_tPvRmT2_T3_T4_T5_mT6_T7_P12ihipStream_tbENKUlT_T0_E_clISt17integral_constantIbLb0EESZ_EEDaSU_SV_EUlSU_E_NS1_11comp_targetILNS1_3genE10ELNS1_11target_archE1201ELNS1_3gpuE5ELNS1_3repE0EEENS1_30default_config_static_selectorELNS0_4arch9wavefront6targetE0EEEvT1_
    .private_segment_fixed_size: 0
    .sgpr_count:     0
    .sgpr_spill_count: 0
    .symbol:         _ZN7rocprim17ROCPRIM_400000_NS6detail17trampoline_kernelINS0_14default_configENS1_27scan_by_key_config_selectorIiiEEZZNS1_16scan_by_key_implILNS1_25lookback_scan_determinismE0ELb0ES3_N6thrust23THRUST_200600_302600_NS6detail15normal_iteratorINS9_10device_ptrIiEEEESE_SE_iNS9_10multipliesIiEENS9_8equal_toIiEEiEE10hipError_tPvRmT2_T3_T4_T5_mT6_T7_P12ihipStream_tbENKUlT_T0_E_clISt17integral_constantIbLb0EESZ_EEDaSU_SV_EUlSU_E_NS1_11comp_targetILNS1_3genE10ELNS1_11target_archE1201ELNS1_3gpuE5ELNS1_3repE0EEENS1_30default_config_static_selectorELNS0_4arch9wavefront6targetE0EEEvT1_.kd
    .uniform_work_group_size: 1
    .uses_dynamic_stack: false
    .vgpr_count:     0
    .vgpr_spill_count: 0
    .wavefront_size: 32
  - .args:
      - .offset:         0
        .size:           112
        .value_kind:     by_value
    .group_segment_fixed_size: 0
    .kernarg_segment_align: 8
    .kernarg_segment_size: 112
    .language:       OpenCL C
    .language_version:
      - 2
      - 0
    .max_flat_workgroup_size: 256
    .name:           _ZN7rocprim17ROCPRIM_400000_NS6detail17trampoline_kernelINS0_14default_configENS1_27scan_by_key_config_selectorIiiEEZZNS1_16scan_by_key_implILNS1_25lookback_scan_determinismE0ELb0ES3_N6thrust23THRUST_200600_302600_NS6detail15normal_iteratorINS9_10device_ptrIiEEEESE_SE_iNS9_10multipliesIiEENS9_8equal_toIiEEiEE10hipError_tPvRmT2_T3_T4_T5_mT6_T7_P12ihipStream_tbENKUlT_T0_E_clISt17integral_constantIbLb0EESZ_EEDaSU_SV_EUlSU_E_NS1_11comp_targetILNS1_3genE5ELNS1_11target_archE942ELNS1_3gpuE9ELNS1_3repE0EEENS1_30default_config_static_selectorELNS0_4arch9wavefront6targetE0EEEvT1_
    .private_segment_fixed_size: 0
    .sgpr_count:     0
    .sgpr_spill_count: 0
    .symbol:         _ZN7rocprim17ROCPRIM_400000_NS6detail17trampoline_kernelINS0_14default_configENS1_27scan_by_key_config_selectorIiiEEZZNS1_16scan_by_key_implILNS1_25lookback_scan_determinismE0ELb0ES3_N6thrust23THRUST_200600_302600_NS6detail15normal_iteratorINS9_10device_ptrIiEEEESE_SE_iNS9_10multipliesIiEENS9_8equal_toIiEEiEE10hipError_tPvRmT2_T3_T4_T5_mT6_T7_P12ihipStream_tbENKUlT_T0_E_clISt17integral_constantIbLb0EESZ_EEDaSU_SV_EUlSU_E_NS1_11comp_targetILNS1_3genE5ELNS1_11target_archE942ELNS1_3gpuE9ELNS1_3repE0EEENS1_30default_config_static_selectorELNS0_4arch9wavefront6targetE0EEEvT1_.kd
    .uniform_work_group_size: 1
    .uses_dynamic_stack: false
    .vgpr_count:     0
    .vgpr_spill_count: 0
    .wavefront_size: 32
  - .args:
      - .offset:         0
        .size:           112
        .value_kind:     by_value
    .group_segment_fixed_size: 0
    .kernarg_segment_align: 8
    .kernarg_segment_size: 112
    .language:       OpenCL C
    .language_version:
      - 2
      - 0
    .max_flat_workgroup_size: 256
    .name:           _ZN7rocprim17ROCPRIM_400000_NS6detail17trampoline_kernelINS0_14default_configENS1_27scan_by_key_config_selectorIiiEEZZNS1_16scan_by_key_implILNS1_25lookback_scan_determinismE0ELb0ES3_N6thrust23THRUST_200600_302600_NS6detail15normal_iteratorINS9_10device_ptrIiEEEESE_SE_iNS9_10multipliesIiEENS9_8equal_toIiEEiEE10hipError_tPvRmT2_T3_T4_T5_mT6_T7_P12ihipStream_tbENKUlT_T0_E_clISt17integral_constantIbLb0EESZ_EEDaSU_SV_EUlSU_E_NS1_11comp_targetILNS1_3genE4ELNS1_11target_archE910ELNS1_3gpuE8ELNS1_3repE0EEENS1_30default_config_static_selectorELNS0_4arch9wavefront6targetE0EEEvT1_
    .private_segment_fixed_size: 0
    .sgpr_count:     0
    .sgpr_spill_count: 0
    .symbol:         _ZN7rocprim17ROCPRIM_400000_NS6detail17trampoline_kernelINS0_14default_configENS1_27scan_by_key_config_selectorIiiEEZZNS1_16scan_by_key_implILNS1_25lookback_scan_determinismE0ELb0ES3_N6thrust23THRUST_200600_302600_NS6detail15normal_iteratorINS9_10device_ptrIiEEEESE_SE_iNS9_10multipliesIiEENS9_8equal_toIiEEiEE10hipError_tPvRmT2_T3_T4_T5_mT6_T7_P12ihipStream_tbENKUlT_T0_E_clISt17integral_constantIbLb0EESZ_EEDaSU_SV_EUlSU_E_NS1_11comp_targetILNS1_3genE4ELNS1_11target_archE910ELNS1_3gpuE8ELNS1_3repE0EEENS1_30default_config_static_selectorELNS0_4arch9wavefront6targetE0EEEvT1_.kd
    .uniform_work_group_size: 1
    .uses_dynamic_stack: false
    .vgpr_count:     0
    .vgpr_spill_count: 0
    .wavefront_size: 32
  - .args:
      - .offset:         0
        .size:           112
        .value_kind:     by_value
    .group_segment_fixed_size: 0
    .kernarg_segment_align: 8
    .kernarg_segment_size: 112
    .language:       OpenCL C
    .language_version:
      - 2
      - 0
    .max_flat_workgroup_size: 256
    .name:           _ZN7rocprim17ROCPRIM_400000_NS6detail17trampoline_kernelINS0_14default_configENS1_27scan_by_key_config_selectorIiiEEZZNS1_16scan_by_key_implILNS1_25lookback_scan_determinismE0ELb0ES3_N6thrust23THRUST_200600_302600_NS6detail15normal_iteratorINS9_10device_ptrIiEEEESE_SE_iNS9_10multipliesIiEENS9_8equal_toIiEEiEE10hipError_tPvRmT2_T3_T4_T5_mT6_T7_P12ihipStream_tbENKUlT_T0_E_clISt17integral_constantIbLb0EESZ_EEDaSU_SV_EUlSU_E_NS1_11comp_targetILNS1_3genE3ELNS1_11target_archE908ELNS1_3gpuE7ELNS1_3repE0EEENS1_30default_config_static_selectorELNS0_4arch9wavefront6targetE0EEEvT1_
    .private_segment_fixed_size: 0
    .sgpr_count:     0
    .sgpr_spill_count: 0
    .symbol:         _ZN7rocprim17ROCPRIM_400000_NS6detail17trampoline_kernelINS0_14default_configENS1_27scan_by_key_config_selectorIiiEEZZNS1_16scan_by_key_implILNS1_25lookback_scan_determinismE0ELb0ES3_N6thrust23THRUST_200600_302600_NS6detail15normal_iteratorINS9_10device_ptrIiEEEESE_SE_iNS9_10multipliesIiEENS9_8equal_toIiEEiEE10hipError_tPvRmT2_T3_T4_T5_mT6_T7_P12ihipStream_tbENKUlT_T0_E_clISt17integral_constantIbLb0EESZ_EEDaSU_SV_EUlSU_E_NS1_11comp_targetILNS1_3genE3ELNS1_11target_archE908ELNS1_3gpuE7ELNS1_3repE0EEENS1_30default_config_static_selectorELNS0_4arch9wavefront6targetE0EEEvT1_.kd
    .uniform_work_group_size: 1
    .uses_dynamic_stack: false
    .vgpr_count:     0
    .vgpr_spill_count: 0
    .wavefront_size: 32
  - .args:
      - .offset:         0
        .size:           112
        .value_kind:     by_value
    .group_segment_fixed_size: 0
    .kernarg_segment_align: 8
    .kernarg_segment_size: 112
    .language:       OpenCL C
    .language_version:
      - 2
      - 0
    .max_flat_workgroup_size: 256
    .name:           _ZN7rocprim17ROCPRIM_400000_NS6detail17trampoline_kernelINS0_14default_configENS1_27scan_by_key_config_selectorIiiEEZZNS1_16scan_by_key_implILNS1_25lookback_scan_determinismE0ELb0ES3_N6thrust23THRUST_200600_302600_NS6detail15normal_iteratorINS9_10device_ptrIiEEEESE_SE_iNS9_10multipliesIiEENS9_8equal_toIiEEiEE10hipError_tPvRmT2_T3_T4_T5_mT6_T7_P12ihipStream_tbENKUlT_T0_E_clISt17integral_constantIbLb0EESZ_EEDaSU_SV_EUlSU_E_NS1_11comp_targetILNS1_3genE2ELNS1_11target_archE906ELNS1_3gpuE6ELNS1_3repE0EEENS1_30default_config_static_selectorELNS0_4arch9wavefront6targetE0EEEvT1_
    .private_segment_fixed_size: 0
    .sgpr_count:     0
    .sgpr_spill_count: 0
    .symbol:         _ZN7rocprim17ROCPRIM_400000_NS6detail17trampoline_kernelINS0_14default_configENS1_27scan_by_key_config_selectorIiiEEZZNS1_16scan_by_key_implILNS1_25lookback_scan_determinismE0ELb0ES3_N6thrust23THRUST_200600_302600_NS6detail15normal_iteratorINS9_10device_ptrIiEEEESE_SE_iNS9_10multipliesIiEENS9_8equal_toIiEEiEE10hipError_tPvRmT2_T3_T4_T5_mT6_T7_P12ihipStream_tbENKUlT_T0_E_clISt17integral_constantIbLb0EESZ_EEDaSU_SV_EUlSU_E_NS1_11comp_targetILNS1_3genE2ELNS1_11target_archE906ELNS1_3gpuE6ELNS1_3repE0EEENS1_30default_config_static_selectorELNS0_4arch9wavefront6targetE0EEEvT1_.kd
    .uniform_work_group_size: 1
    .uses_dynamic_stack: false
    .vgpr_count:     0
    .vgpr_spill_count: 0
    .wavefront_size: 32
  - .args:
      - .offset:         0
        .size:           112
        .value_kind:     by_value
    .group_segment_fixed_size: 0
    .kernarg_segment_align: 8
    .kernarg_segment_size: 112
    .language:       OpenCL C
    .language_version:
      - 2
      - 0
    .max_flat_workgroup_size: 256
    .name:           _ZN7rocprim17ROCPRIM_400000_NS6detail17trampoline_kernelINS0_14default_configENS1_27scan_by_key_config_selectorIiiEEZZNS1_16scan_by_key_implILNS1_25lookback_scan_determinismE0ELb0ES3_N6thrust23THRUST_200600_302600_NS6detail15normal_iteratorINS9_10device_ptrIiEEEESE_SE_iNS9_10multipliesIiEENS9_8equal_toIiEEiEE10hipError_tPvRmT2_T3_T4_T5_mT6_T7_P12ihipStream_tbENKUlT_T0_E_clISt17integral_constantIbLb0EESZ_EEDaSU_SV_EUlSU_E_NS1_11comp_targetILNS1_3genE10ELNS1_11target_archE1200ELNS1_3gpuE4ELNS1_3repE0EEENS1_30default_config_static_selectorELNS0_4arch9wavefront6targetE0EEEvT1_
    .private_segment_fixed_size: 0
    .sgpr_count:     0
    .sgpr_spill_count: 0
    .symbol:         _ZN7rocprim17ROCPRIM_400000_NS6detail17trampoline_kernelINS0_14default_configENS1_27scan_by_key_config_selectorIiiEEZZNS1_16scan_by_key_implILNS1_25lookback_scan_determinismE0ELb0ES3_N6thrust23THRUST_200600_302600_NS6detail15normal_iteratorINS9_10device_ptrIiEEEESE_SE_iNS9_10multipliesIiEENS9_8equal_toIiEEiEE10hipError_tPvRmT2_T3_T4_T5_mT6_T7_P12ihipStream_tbENKUlT_T0_E_clISt17integral_constantIbLb0EESZ_EEDaSU_SV_EUlSU_E_NS1_11comp_targetILNS1_3genE10ELNS1_11target_archE1200ELNS1_3gpuE4ELNS1_3repE0EEENS1_30default_config_static_selectorELNS0_4arch9wavefront6targetE0EEEvT1_.kd
    .uniform_work_group_size: 1
    .uses_dynamic_stack: false
    .vgpr_count:     0
    .vgpr_spill_count: 0
    .wavefront_size: 32
  - .args:
      - .offset:         0
        .size:           112
        .value_kind:     by_value
    .group_segment_fixed_size: 0
    .kernarg_segment_align: 8
    .kernarg_segment_size: 112
    .language:       OpenCL C
    .language_version:
      - 2
      - 0
    .max_flat_workgroup_size: 256
    .name:           _ZN7rocprim17ROCPRIM_400000_NS6detail17trampoline_kernelINS0_14default_configENS1_27scan_by_key_config_selectorIiiEEZZNS1_16scan_by_key_implILNS1_25lookback_scan_determinismE0ELb0ES3_N6thrust23THRUST_200600_302600_NS6detail15normal_iteratorINS9_10device_ptrIiEEEESE_SE_iNS9_10multipliesIiEENS9_8equal_toIiEEiEE10hipError_tPvRmT2_T3_T4_T5_mT6_T7_P12ihipStream_tbENKUlT_T0_E_clISt17integral_constantIbLb0EESZ_EEDaSU_SV_EUlSU_E_NS1_11comp_targetILNS1_3genE9ELNS1_11target_archE1100ELNS1_3gpuE3ELNS1_3repE0EEENS1_30default_config_static_selectorELNS0_4arch9wavefront6targetE0EEEvT1_
    .private_segment_fixed_size: 0
    .sgpr_count:     0
    .sgpr_spill_count: 0
    .symbol:         _ZN7rocprim17ROCPRIM_400000_NS6detail17trampoline_kernelINS0_14default_configENS1_27scan_by_key_config_selectorIiiEEZZNS1_16scan_by_key_implILNS1_25lookback_scan_determinismE0ELb0ES3_N6thrust23THRUST_200600_302600_NS6detail15normal_iteratorINS9_10device_ptrIiEEEESE_SE_iNS9_10multipliesIiEENS9_8equal_toIiEEiEE10hipError_tPvRmT2_T3_T4_T5_mT6_T7_P12ihipStream_tbENKUlT_T0_E_clISt17integral_constantIbLb0EESZ_EEDaSU_SV_EUlSU_E_NS1_11comp_targetILNS1_3genE9ELNS1_11target_archE1100ELNS1_3gpuE3ELNS1_3repE0EEENS1_30default_config_static_selectorELNS0_4arch9wavefront6targetE0EEEvT1_.kd
    .uniform_work_group_size: 1
    .uses_dynamic_stack: false
    .vgpr_count:     0
    .vgpr_spill_count: 0
    .wavefront_size: 32
  - .args:
      - .offset:         0
        .size:           112
        .value_kind:     by_value
    .group_segment_fixed_size: 0
    .kernarg_segment_align: 8
    .kernarg_segment_size: 112
    .language:       OpenCL C
    .language_version:
      - 2
      - 0
    .max_flat_workgroup_size: 256
    .name:           _ZN7rocprim17ROCPRIM_400000_NS6detail17trampoline_kernelINS0_14default_configENS1_27scan_by_key_config_selectorIiiEEZZNS1_16scan_by_key_implILNS1_25lookback_scan_determinismE0ELb0ES3_N6thrust23THRUST_200600_302600_NS6detail15normal_iteratorINS9_10device_ptrIiEEEESE_SE_iNS9_10multipliesIiEENS9_8equal_toIiEEiEE10hipError_tPvRmT2_T3_T4_T5_mT6_T7_P12ihipStream_tbENKUlT_T0_E_clISt17integral_constantIbLb0EESZ_EEDaSU_SV_EUlSU_E_NS1_11comp_targetILNS1_3genE8ELNS1_11target_archE1030ELNS1_3gpuE2ELNS1_3repE0EEENS1_30default_config_static_selectorELNS0_4arch9wavefront6targetE0EEEvT1_
    .private_segment_fixed_size: 0
    .sgpr_count:     0
    .sgpr_spill_count: 0
    .symbol:         _ZN7rocprim17ROCPRIM_400000_NS6detail17trampoline_kernelINS0_14default_configENS1_27scan_by_key_config_selectorIiiEEZZNS1_16scan_by_key_implILNS1_25lookback_scan_determinismE0ELb0ES3_N6thrust23THRUST_200600_302600_NS6detail15normal_iteratorINS9_10device_ptrIiEEEESE_SE_iNS9_10multipliesIiEENS9_8equal_toIiEEiEE10hipError_tPvRmT2_T3_T4_T5_mT6_T7_P12ihipStream_tbENKUlT_T0_E_clISt17integral_constantIbLb0EESZ_EEDaSU_SV_EUlSU_E_NS1_11comp_targetILNS1_3genE8ELNS1_11target_archE1030ELNS1_3gpuE2ELNS1_3repE0EEENS1_30default_config_static_selectorELNS0_4arch9wavefront6targetE0EEEvT1_.kd
    .uniform_work_group_size: 1
    .uses_dynamic_stack: false
    .vgpr_count:     0
    .vgpr_spill_count: 0
    .wavefront_size: 32
  - .args:
      - .offset:         0
        .size:           112
        .value_kind:     by_value
    .group_segment_fixed_size: 0
    .kernarg_segment_align: 8
    .kernarg_segment_size: 112
    .language:       OpenCL C
    .language_version:
      - 2
      - 0
    .max_flat_workgroup_size: 256
    .name:           _ZN7rocprim17ROCPRIM_400000_NS6detail17trampoline_kernelINS0_14default_configENS1_27scan_by_key_config_selectorIiiEEZZNS1_16scan_by_key_implILNS1_25lookback_scan_determinismE0ELb0ES3_N6thrust23THRUST_200600_302600_NS6detail15normal_iteratorINS9_10device_ptrIiEEEESE_SE_iNS9_10multipliesIiEENS9_8equal_toIiEEiEE10hipError_tPvRmT2_T3_T4_T5_mT6_T7_P12ihipStream_tbENKUlT_T0_E_clISt17integral_constantIbLb1EESZ_EEDaSU_SV_EUlSU_E_NS1_11comp_targetILNS1_3genE0ELNS1_11target_archE4294967295ELNS1_3gpuE0ELNS1_3repE0EEENS1_30default_config_static_selectorELNS0_4arch9wavefront6targetE0EEEvT1_
    .private_segment_fixed_size: 0
    .sgpr_count:     0
    .sgpr_spill_count: 0
    .symbol:         _ZN7rocprim17ROCPRIM_400000_NS6detail17trampoline_kernelINS0_14default_configENS1_27scan_by_key_config_selectorIiiEEZZNS1_16scan_by_key_implILNS1_25lookback_scan_determinismE0ELb0ES3_N6thrust23THRUST_200600_302600_NS6detail15normal_iteratorINS9_10device_ptrIiEEEESE_SE_iNS9_10multipliesIiEENS9_8equal_toIiEEiEE10hipError_tPvRmT2_T3_T4_T5_mT6_T7_P12ihipStream_tbENKUlT_T0_E_clISt17integral_constantIbLb1EESZ_EEDaSU_SV_EUlSU_E_NS1_11comp_targetILNS1_3genE0ELNS1_11target_archE4294967295ELNS1_3gpuE0ELNS1_3repE0EEENS1_30default_config_static_selectorELNS0_4arch9wavefront6targetE0EEEvT1_.kd
    .uniform_work_group_size: 1
    .uses_dynamic_stack: false
    .vgpr_count:     0
    .vgpr_spill_count: 0
    .wavefront_size: 32
  - .args:
      - .offset:         0
        .size:           112
        .value_kind:     by_value
    .group_segment_fixed_size: 0
    .kernarg_segment_align: 8
    .kernarg_segment_size: 112
    .language:       OpenCL C
    .language_version:
      - 2
      - 0
    .max_flat_workgroup_size: 256
    .name:           _ZN7rocprim17ROCPRIM_400000_NS6detail17trampoline_kernelINS0_14default_configENS1_27scan_by_key_config_selectorIiiEEZZNS1_16scan_by_key_implILNS1_25lookback_scan_determinismE0ELb0ES3_N6thrust23THRUST_200600_302600_NS6detail15normal_iteratorINS9_10device_ptrIiEEEESE_SE_iNS9_10multipliesIiEENS9_8equal_toIiEEiEE10hipError_tPvRmT2_T3_T4_T5_mT6_T7_P12ihipStream_tbENKUlT_T0_E_clISt17integral_constantIbLb1EESZ_EEDaSU_SV_EUlSU_E_NS1_11comp_targetILNS1_3genE10ELNS1_11target_archE1201ELNS1_3gpuE5ELNS1_3repE0EEENS1_30default_config_static_selectorELNS0_4arch9wavefront6targetE0EEEvT1_
    .private_segment_fixed_size: 0
    .sgpr_count:     0
    .sgpr_spill_count: 0
    .symbol:         _ZN7rocprim17ROCPRIM_400000_NS6detail17trampoline_kernelINS0_14default_configENS1_27scan_by_key_config_selectorIiiEEZZNS1_16scan_by_key_implILNS1_25lookback_scan_determinismE0ELb0ES3_N6thrust23THRUST_200600_302600_NS6detail15normal_iteratorINS9_10device_ptrIiEEEESE_SE_iNS9_10multipliesIiEENS9_8equal_toIiEEiEE10hipError_tPvRmT2_T3_T4_T5_mT6_T7_P12ihipStream_tbENKUlT_T0_E_clISt17integral_constantIbLb1EESZ_EEDaSU_SV_EUlSU_E_NS1_11comp_targetILNS1_3genE10ELNS1_11target_archE1201ELNS1_3gpuE5ELNS1_3repE0EEENS1_30default_config_static_selectorELNS0_4arch9wavefront6targetE0EEEvT1_.kd
    .uniform_work_group_size: 1
    .uses_dynamic_stack: false
    .vgpr_count:     0
    .vgpr_spill_count: 0
    .wavefront_size: 32
  - .args:
      - .offset:         0
        .size:           112
        .value_kind:     by_value
    .group_segment_fixed_size: 0
    .kernarg_segment_align: 8
    .kernarg_segment_size: 112
    .language:       OpenCL C
    .language_version:
      - 2
      - 0
    .max_flat_workgroup_size: 256
    .name:           _ZN7rocprim17ROCPRIM_400000_NS6detail17trampoline_kernelINS0_14default_configENS1_27scan_by_key_config_selectorIiiEEZZNS1_16scan_by_key_implILNS1_25lookback_scan_determinismE0ELb0ES3_N6thrust23THRUST_200600_302600_NS6detail15normal_iteratorINS9_10device_ptrIiEEEESE_SE_iNS9_10multipliesIiEENS9_8equal_toIiEEiEE10hipError_tPvRmT2_T3_T4_T5_mT6_T7_P12ihipStream_tbENKUlT_T0_E_clISt17integral_constantIbLb1EESZ_EEDaSU_SV_EUlSU_E_NS1_11comp_targetILNS1_3genE5ELNS1_11target_archE942ELNS1_3gpuE9ELNS1_3repE0EEENS1_30default_config_static_selectorELNS0_4arch9wavefront6targetE0EEEvT1_
    .private_segment_fixed_size: 0
    .sgpr_count:     0
    .sgpr_spill_count: 0
    .symbol:         _ZN7rocprim17ROCPRIM_400000_NS6detail17trampoline_kernelINS0_14default_configENS1_27scan_by_key_config_selectorIiiEEZZNS1_16scan_by_key_implILNS1_25lookback_scan_determinismE0ELb0ES3_N6thrust23THRUST_200600_302600_NS6detail15normal_iteratorINS9_10device_ptrIiEEEESE_SE_iNS9_10multipliesIiEENS9_8equal_toIiEEiEE10hipError_tPvRmT2_T3_T4_T5_mT6_T7_P12ihipStream_tbENKUlT_T0_E_clISt17integral_constantIbLb1EESZ_EEDaSU_SV_EUlSU_E_NS1_11comp_targetILNS1_3genE5ELNS1_11target_archE942ELNS1_3gpuE9ELNS1_3repE0EEENS1_30default_config_static_selectorELNS0_4arch9wavefront6targetE0EEEvT1_.kd
    .uniform_work_group_size: 1
    .uses_dynamic_stack: false
    .vgpr_count:     0
    .vgpr_spill_count: 0
    .wavefront_size: 32
  - .args:
      - .offset:         0
        .size:           112
        .value_kind:     by_value
    .group_segment_fixed_size: 0
    .kernarg_segment_align: 8
    .kernarg_segment_size: 112
    .language:       OpenCL C
    .language_version:
      - 2
      - 0
    .max_flat_workgroup_size: 256
    .name:           _ZN7rocprim17ROCPRIM_400000_NS6detail17trampoline_kernelINS0_14default_configENS1_27scan_by_key_config_selectorIiiEEZZNS1_16scan_by_key_implILNS1_25lookback_scan_determinismE0ELb0ES3_N6thrust23THRUST_200600_302600_NS6detail15normal_iteratorINS9_10device_ptrIiEEEESE_SE_iNS9_10multipliesIiEENS9_8equal_toIiEEiEE10hipError_tPvRmT2_T3_T4_T5_mT6_T7_P12ihipStream_tbENKUlT_T0_E_clISt17integral_constantIbLb1EESZ_EEDaSU_SV_EUlSU_E_NS1_11comp_targetILNS1_3genE4ELNS1_11target_archE910ELNS1_3gpuE8ELNS1_3repE0EEENS1_30default_config_static_selectorELNS0_4arch9wavefront6targetE0EEEvT1_
    .private_segment_fixed_size: 0
    .sgpr_count:     0
    .sgpr_spill_count: 0
    .symbol:         _ZN7rocprim17ROCPRIM_400000_NS6detail17trampoline_kernelINS0_14default_configENS1_27scan_by_key_config_selectorIiiEEZZNS1_16scan_by_key_implILNS1_25lookback_scan_determinismE0ELb0ES3_N6thrust23THRUST_200600_302600_NS6detail15normal_iteratorINS9_10device_ptrIiEEEESE_SE_iNS9_10multipliesIiEENS9_8equal_toIiEEiEE10hipError_tPvRmT2_T3_T4_T5_mT6_T7_P12ihipStream_tbENKUlT_T0_E_clISt17integral_constantIbLb1EESZ_EEDaSU_SV_EUlSU_E_NS1_11comp_targetILNS1_3genE4ELNS1_11target_archE910ELNS1_3gpuE8ELNS1_3repE0EEENS1_30default_config_static_selectorELNS0_4arch9wavefront6targetE0EEEvT1_.kd
    .uniform_work_group_size: 1
    .uses_dynamic_stack: false
    .vgpr_count:     0
    .vgpr_spill_count: 0
    .wavefront_size: 32
  - .args:
      - .offset:         0
        .size:           112
        .value_kind:     by_value
    .group_segment_fixed_size: 0
    .kernarg_segment_align: 8
    .kernarg_segment_size: 112
    .language:       OpenCL C
    .language_version:
      - 2
      - 0
    .max_flat_workgroup_size: 256
    .name:           _ZN7rocprim17ROCPRIM_400000_NS6detail17trampoline_kernelINS0_14default_configENS1_27scan_by_key_config_selectorIiiEEZZNS1_16scan_by_key_implILNS1_25lookback_scan_determinismE0ELb0ES3_N6thrust23THRUST_200600_302600_NS6detail15normal_iteratorINS9_10device_ptrIiEEEESE_SE_iNS9_10multipliesIiEENS9_8equal_toIiEEiEE10hipError_tPvRmT2_T3_T4_T5_mT6_T7_P12ihipStream_tbENKUlT_T0_E_clISt17integral_constantIbLb1EESZ_EEDaSU_SV_EUlSU_E_NS1_11comp_targetILNS1_3genE3ELNS1_11target_archE908ELNS1_3gpuE7ELNS1_3repE0EEENS1_30default_config_static_selectorELNS0_4arch9wavefront6targetE0EEEvT1_
    .private_segment_fixed_size: 0
    .sgpr_count:     0
    .sgpr_spill_count: 0
    .symbol:         _ZN7rocprim17ROCPRIM_400000_NS6detail17trampoline_kernelINS0_14default_configENS1_27scan_by_key_config_selectorIiiEEZZNS1_16scan_by_key_implILNS1_25lookback_scan_determinismE0ELb0ES3_N6thrust23THRUST_200600_302600_NS6detail15normal_iteratorINS9_10device_ptrIiEEEESE_SE_iNS9_10multipliesIiEENS9_8equal_toIiEEiEE10hipError_tPvRmT2_T3_T4_T5_mT6_T7_P12ihipStream_tbENKUlT_T0_E_clISt17integral_constantIbLb1EESZ_EEDaSU_SV_EUlSU_E_NS1_11comp_targetILNS1_3genE3ELNS1_11target_archE908ELNS1_3gpuE7ELNS1_3repE0EEENS1_30default_config_static_selectorELNS0_4arch9wavefront6targetE0EEEvT1_.kd
    .uniform_work_group_size: 1
    .uses_dynamic_stack: false
    .vgpr_count:     0
    .vgpr_spill_count: 0
    .wavefront_size: 32
  - .args:
      - .offset:         0
        .size:           112
        .value_kind:     by_value
    .group_segment_fixed_size: 0
    .kernarg_segment_align: 8
    .kernarg_segment_size: 112
    .language:       OpenCL C
    .language_version:
      - 2
      - 0
    .max_flat_workgroup_size: 256
    .name:           _ZN7rocprim17ROCPRIM_400000_NS6detail17trampoline_kernelINS0_14default_configENS1_27scan_by_key_config_selectorIiiEEZZNS1_16scan_by_key_implILNS1_25lookback_scan_determinismE0ELb0ES3_N6thrust23THRUST_200600_302600_NS6detail15normal_iteratorINS9_10device_ptrIiEEEESE_SE_iNS9_10multipliesIiEENS9_8equal_toIiEEiEE10hipError_tPvRmT2_T3_T4_T5_mT6_T7_P12ihipStream_tbENKUlT_T0_E_clISt17integral_constantIbLb1EESZ_EEDaSU_SV_EUlSU_E_NS1_11comp_targetILNS1_3genE2ELNS1_11target_archE906ELNS1_3gpuE6ELNS1_3repE0EEENS1_30default_config_static_selectorELNS0_4arch9wavefront6targetE0EEEvT1_
    .private_segment_fixed_size: 0
    .sgpr_count:     0
    .sgpr_spill_count: 0
    .symbol:         _ZN7rocprim17ROCPRIM_400000_NS6detail17trampoline_kernelINS0_14default_configENS1_27scan_by_key_config_selectorIiiEEZZNS1_16scan_by_key_implILNS1_25lookback_scan_determinismE0ELb0ES3_N6thrust23THRUST_200600_302600_NS6detail15normal_iteratorINS9_10device_ptrIiEEEESE_SE_iNS9_10multipliesIiEENS9_8equal_toIiEEiEE10hipError_tPvRmT2_T3_T4_T5_mT6_T7_P12ihipStream_tbENKUlT_T0_E_clISt17integral_constantIbLb1EESZ_EEDaSU_SV_EUlSU_E_NS1_11comp_targetILNS1_3genE2ELNS1_11target_archE906ELNS1_3gpuE6ELNS1_3repE0EEENS1_30default_config_static_selectorELNS0_4arch9wavefront6targetE0EEEvT1_.kd
    .uniform_work_group_size: 1
    .uses_dynamic_stack: false
    .vgpr_count:     0
    .vgpr_spill_count: 0
    .wavefront_size: 32
  - .args:
      - .offset:         0
        .size:           112
        .value_kind:     by_value
    .group_segment_fixed_size: 0
    .kernarg_segment_align: 8
    .kernarg_segment_size: 112
    .language:       OpenCL C
    .language_version:
      - 2
      - 0
    .max_flat_workgroup_size: 256
    .name:           _ZN7rocprim17ROCPRIM_400000_NS6detail17trampoline_kernelINS0_14default_configENS1_27scan_by_key_config_selectorIiiEEZZNS1_16scan_by_key_implILNS1_25lookback_scan_determinismE0ELb0ES3_N6thrust23THRUST_200600_302600_NS6detail15normal_iteratorINS9_10device_ptrIiEEEESE_SE_iNS9_10multipliesIiEENS9_8equal_toIiEEiEE10hipError_tPvRmT2_T3_T4_T5_mT6_T7_P12ihipStream_tbENKUlT_T0_E_clISt17integral_constantIbLb1EESZ_EEDaSU_SV_EUlSU_E_NS1_11comp_targetILNS1_3genE10ELNS1_11target_archE1200ELNS1_3gpuE4ELNS1_3repE0EEENS1_30default_config_static_selectorELNS0_4arch9wavefront6targetE0EEEvT1_
    .private_segment_fixed_size: 0
    .sgpr_count:     0
    .sgpr_spill_count: 0
    .symbol:         _ZN7rocprim17ROCPRIM_400000_NS6detail17trampoline_kernelINS0_14default_configENS1_27scan_by_key_config_selectorIiiEEZZNS1_16scan_by_key_implILNS1_25lookback_scan_determinismE0ELb0ES3_N6thrust23THRUST_200600_302600_NS6detail15normal_iteratorINS9_10device_ptrIiEEEESE_SE_iNS9_10multipliesIiEENS9_8equal_toIiEEiEE10hipError_tPvRmT2_T3_T4_T5_mT6_T7_P12ihipStream_tbENKUlT_T0_E_clISt17integral_constantIbLb1EESZ_EEDaSU_SV_EUlSU_E_NS1_11comp_targetILNS1_3genE10ELNS1_11target_archE1200ELNS1_3gpuE4ELNS1_3repE0EEENS1_30default_config_static_selectorELNS0_4arch9wavefront6targetE0EEEvT1_.kd
    .uniform_work_group_size: 1
    .uses_dynamic_stack: false
    .vgpr_count:     0
    .vgpr_spill_count: 0
    .wavefront_size: 32
  - .args:
      - .offset:         0
        .size:           112
        .value_kind:     by_value
    .group_segment_fixed_size: 0
    .kernarg_segment_align: 8
    .kernarg_segment_size: 112
    .language:       OpenCL C
    .language_version:
      - 2
      - 0
    .max_flat_workgroup_size: 256
    .name:           _ZN7rocprim17ROCPRIM_400000_NS6detail17trampoline_kernelINS0_14default_configENS1_27scan_by_key_config_selectorIiiEEZZNS1_16scan_by_key_implILNS1_25lookback_scan_determinismE0ELb0ES3_N6thrust23THRUST_200600_302600_NS6detail15normal_iteratorINS9_10device_ptrIiEEEESE_SE_iNS9_10multipliesIiEENS9_8equal_toIiEEiEE10hipError_tPvRmT2_T3_T4_T5_mT6_T7_P12ihipStream_tbENKUlT_T0_E_clISt17integral_constantIbLb1EESZ_EEDaSU_SV_EUlSU_E_NS1_11comp_targetILNS1_3genE9ELNS1_11target_archE1100ELNS1_3gpuE3ELNS1_3repE0EEENS1_30default_config_static_selectorELNS0_4arch9wavefront6targetE0EEEvT1_
    .private_segment_fixed_size: 0
    .sgpr_count:     0
    .sgpr_spill_count: 0
    .symbol:         _ZN7rocprim17ROCPRIM_400000_NS6detail17trampoline_kernelINS0_14default_configENS1_27scan_by_key_config_selectorIiiEEZZNS1_16scan_by_key_implILNS1_25lookback_scan_determinismE0ELb0ES3_N6thrust23THRUST_200600_302600_NS6detail15normal_iteratorINS9_10device_ptrIiEEEESE_SE_iNS9_10multipliesIiEENS9_8equal_toIiEEiEE10hipError_tPvRmT2_T3_T4_T5_mT6_T7_P12ihipStream_tbENKUlT_T0_E_clISt17integral_constantIbLb1EESZ_EEDaSU_SV_EUlSU_E_NS1_11comp_targetILNS1_3genE9ELNS1_11target_archE1100ELNS1_3gpuE3ELNS1_3repE0EEENS1_30default_config_static_selectorELNS0_4arch9wavefront6targetE0EEEvT1_.kd
    .uniform_work_group_size: 1
    .uses_dynamic_stack: false
    .vgpr_count:     0
    .vgpr_spill_count: 0
    .wavefront_size: 32
  - .args:
      - .offset:         0
        .size:           112
        .value_kind:     by_value
    .group_segment_fixed_size: 0
    .kernarg_segment_align: 8
    .kernarg_segment_size: 112
    .language:       OpenCL C
    .language_version:
      - 2
      - 0
    .max_flat_workgroup_size: 256
    .name:           _ZN7rocprim17ROCPRIM_400000_NS6detail17trampoline_kernelINS0_14default_configENS1_27scan_by_key_config_selectorIiiEEZZNS1_16scan_by_key_implILNS1_25lookback_scan_determinismE0ELb0ES3_N6thrust23THRUST_200600_302600_NS6detail15normal_iteratorINS9_10device_ptrIiEEEESE_SE_iNS9_10multipliesIiEENS9_8equal_toIiEEiEE10hipError_tPvRmT2_T3_T4_T5_mT6_T7_P12ihipStream_tbENKUlT_T0_E_clISt17integral_constantIbLb1EESZ_EEDaSU_SV_EUlSU_E_NS1_11comp_targetILNS1_3genE8ELNS1_11target_archE1030ELNS1_3gpuE2ELNS1_3repE0EEENS1_30default_config_static_selectorELNS0_4arch9wavefront6targetE0EEEvT1_
    .private_segment_fixed_size: 0
    .sgpr_count:     0
    .sgpr_spill_count: 0
    .symbol:         _ZN7rocprim17ROCPRIM_400000_NS6detail17trampoline_kernelINS0_14default_configENS1_27scan_by_key_config_selectorIiiEEZZNS1_16scan_by_key_implILNS1_25lookback_scan_determinismE0ELb0ES3_N6thrust23THRUST_200600_302600_NS6detail15normal_iteratorINS9_10device_ptrIiEEEESE_SE_iNS9_10multipliesIiEENS9_8equal_toIiEEiEE10hipError_tPvRmT2_T3_T4_T5_mT6_T7_P12ihipStream_tbENKUlT_T0_E_clISt17integral_constantIbLb1EESZ_EEDaSU_SV_EUlSU_E_NS1_11comp_targetILNS1_3genE8ELNS1_11target_archE1030ELNS1_3gpuE2ELNS1_3repE0EEENS1_30default_config_static_selectorELNS0_4arch9wavefront6targetE0EEEvT1_.kd
    .uniform_work_group_size: 1
    .uses_dynamic_stack: false
    .vgpr_count:     0
    .vgpr_spill_count: 0
    .wavefront_size: 32
  - .args:
      - .offset:         0
        .size:           112
        .value_kind:     by_value
    .group_segment_fixed_size: 0
    .kernarg_segment_align: 8
    .kernarg_segment_size: 112
    .language:       OpenCL C
    .language_version:
      - 2
      - 0
    .max_flat_workgroup_size: 256
    .name:           _ZN7rocprim17ROCPRIM_400000_NS6detail17trampoline_kernelINS0_14default_configENS1_27scan_by_key_config_selectorIiiEEZZNS1_16scan_by_key_implILNS1_25lookback_scan_determinismE0ELb0ES3_N6thrust23THRUST_200600_302600_NS6detail15normal_iteratorINS9_10device_ptrIiEEEESE_SE_iNS9_10multipliesIiEENS9_8equal_toIiEEiEE10hipError_tPvRmT2_T3_T4_T5_mT6_T7_P12ihipStream_tbENKUlT_T0_E_clISt17integral_constantIbLb1EESY_IbLb0EEEEDaSU_SV_EUlSU_E_NS1_11comp_targetILNS1_3genE0ELNS1_11target_archE4294967295ELNS1_3gpuE0ELNS1_3repE0EEENS1_30default_config_static_selectorELNS0_4arch9wavefront6targetE0EEEvT1_
    .private_segment_fixed_size: 0
    .sgpr_count:     0
    .sgpr_spill_count: 0
    .symbol:         _ZN7rocprim17ROCPRIM_400000_NS6detail17trampoline_kernelINS0_14default_configENS1_27scan_by_key_config_selectorIiiEEZZNS1_16scan_by_key_implILNS1_25lookback_scan_determinismE0ELb0ES3_N6thrust23THRUST_200600_302600_NS6detail15normal_iteratorINS9_10device_ptrIiEEEESE_SE_iNS9_10multipliesIiEENS9_8equal_toIiEEiEE10hipError_tPvRmT2_T3_T4_T5_mT6_T7_P12ihipStream_tbENKUlT_T0_E_clISt17integral_constantIbLb1EESY_IbLb0EEEEDaSU_SV_EUlSU_E_NS1_11comp_targetILNS1_3genE0ELNS1_11target_archE4294967295ELNS1_3gpuE0ELNS1_3repE0EEENS1_30default_config_static_selectorELNS0_4arch9wavefront6targetE0EEEvT1_.kd
    .uniform_work_group_size: 1
    .uses_dynamic_stack: false
    .vgpr_count:     0
    .vgpr_spill_count: 0
    .wavefront_size: 32
  - .args:
      - .offset:         0
        .size:           112
        .value_kind:     by_value
    .group_segment_fixed_size: 0
    .kernarg_segment_align: 8
    .kernarg_segment_size: 112
    .language:       OpenCL C
    .language_version:
      - 2
      - 0
    .max_flat_workgroup_size: 256
    .name:           _ZN7rocprim17ROCPRIM_400000_NS6detail17trampoline_kernelINS0_14default_configENS1_27scan_by_key_config_selectorIiiEEZZNS1_16scan_by_key_implILNS1_25lookback_scan_determinismE0ELb0ES3_N6thrust23THRUST_200600_302600_NS6detail15normal_iteratorINS9_10device_ptrIiEEEESE_SE_iNS9_10multipliesIiEENS9_8equal_toIiEEiEE10hipError_tPvRmT2_T3_T4_T5_mT6_T7_P12ihipStream_tbENKUlT_T0_E_clISt17integral_constantIbLb1EESY_IbLb0EEEEDaSU_SV_EUlSU_E_NS1_11comp_targetILNS1_3genE10ELNS1_11target_archE1201ELNS1_3gpuE5ELNS1_3repE0EEENS1_30default_config_static_selectorELNS0_4arch9wavefront6targetE0EEEvT1_
    .private_segment_fixed_size: 0
    .sgpr_count:     0
    .sgpr_spill_count: 0
    .symbol:         _ZN7rocprim17ROCPRIM_400000_NS6detail17trampoline_kernelINS0_14default_configENS1_27scan_by_key_config_selectorIiiEEZZNS1_16scan_by_key_implILNS1_25lookback_scan_determinismE0ELb0ES3_N6thrust23THRUST_200600_302600_NS6detail15normal_iteratorINS9_10device_ptrIiEEEESE_SE_iNS9_10multipliesIiEENS9_8equal_toIiEEiEE10hipError_tPvRmT2_T3_T4_T5_mT6_T7_P12ihipStream_tbENKUlT_T0_E_clISt17integral_constantIbLb1EESY_IbLb0EEEEDaSU_SV_EUlSU_E_NS1_11comp_targetILNS1_3genE10ELNS1_11target_archE1201ELNS1_3gpuE5ELNS1_3repE0EEENS1_30default_config_static_selectorELNS0_4arch9wavefront6targetE0EEEvT1_.kd
    .uniform_work_group_size: 1
    .uses_dynamic_stack: false
    .vgpr_count:     0
    .vgpr_spill_count: 0
    .wavefront_size: 32
  - .args:
      - .offset:         0
        .size:           112
        .value_kind:     by_value
    .group_segment_fixed_size: 0
    .kernarg_segment_align: 8
    .kernarg_segment_size: 112
    .language:       OpenCL C
    .language_version:
      - 2
      - 0
    .max_flat_workgroup_size: 256
    .name:           _ZN7rocprim17ROCPRIM_400000_NS6detail17trampoline_kernelINS0_14default_configENS1_27scan_by_key_config_selectorIiiEEZZNS1_16scan_by_key_implILNS1_25lookback_scan_determinismE0ELb0ES3_N6thrust23THRUST_200600_302600_NS6detail15normal_iteratorINS9_10device_ptrIiEEEESE_SE_iNS9_10multipliesIiEENS9_8equal_toIiEEiEE10hipError_tPvRmT2_T3_T4_T5_mT6_T7_P12ihipStream_tbENKUlT_T0_E_clISt17integral_constantIbLb1EESY_IbLb0EEEEDaSU_SV_EUlSU_E_NS1_11comp_targetILNS1_3genE5ELNS1_11target_archE942ELNS1_3gpuE9ELNS1_3repE0EEENS1_30default_config_static_selectorELNS0_4arch9wavefront6targetE0EEEvT1_
    .private_segment_fixed_size: 0
    .sgpr_count:     0
    .sgpr_spill_count: 0
    .symbol:         _ZN7rocprim17ROCPRIM_400000_NS6detail17trampoline_kernelINS0_14default_configENS1_27scan_by_key_config_selectorIiiEEZZNS1_16scan_by_key_implILNS1_25lookback_scan_determinismE0ELb0ES3_N6thrust23THRUST_200600_302600_NS6detail15normal_iteratorINS9_10device_ptrIiEEEESE_SE_iNS9_10multipliesIiEENS9_8equal_toIiEEiEE10hipError_tPvRmT2_T3_T4_T5_mT6_T7_P12ihipStream_tbENKUlT_T0_E_clISt17integral_constantIbLb1EESY_IbLb0EEEEDaSU_SV_EUlSU_E_NS1_11comp_targetILNS1_3genE5ELNS1_11target_archE942ELNS1_3gpuE9ELNS1_3repE0EEENS1_30default_config_static_selectorELNS0_4arch9wavefront6targetE0EEEvT1_.kd
    .uniform_work_group_size: 1
    .uses_dynamic_stack: false
    .vgpr_count:     0
    .vgpr_spill_count: 0
    .wavefront_size: 32
  - .args:
      - .offset:         0
        .size:           112
        .value_kind:     by_value
    .group_segment_fixed_size: 0
    .kernarg_segment_align: 8
    .kernarg_segment_size: 112
    .language:       OpenCL C
    .language_version:
      - 2
      - 0
    .max_flat_workgroup_size: 256
    .name:           _ZN7rocprim17ROCPRIM_400000_NS6detail17trampoline_kernelINS0_14default_configENS1_27scan_by_key_config_selectorIiiEEZZNS1_16scan_by_key_implILNS1_25lookback_scan_determinismE0ELb0ES3_N6thrust23THRUST_200600_302600_NS6detail15normal_iteratorINS9_10device_ptrIiEEEESE_SE_iNS9_10multipliesIiEENS9_8equal_toIiEEiEE10hipError_tPvRmT2_T3_T4_T5_mT6_T7_P12ihipStream_tbENKUlT_T0_E_clISt17integral_constantIbLb1EESY_IbLb0EEEEDaSU_SV_EUlSU_E_NS1_11comp_targetILNS1_3genE4ELNS1_11target_archE910ELNS1_3gpuE8ELNS1_3repE0EEENS1_30default_config_static_selectorELNS0_4arch9wavefront6targetE0EEEvT1_
    .private_segment_fixed_size: 0
    .sgpr_count:     0
    .sgpr_spill_count: 0
    .symbol:         _ZN7rocprim17ROCPRIM_400000_NS6detail17trampoline_kernelINS0_14default_configENS1_27scan_by_key_config_selectorIiiEEZZNS1_16scan_by_key_implILNS1_25lookback_scan_determinismE0ELb0ES3_N6thrust23THRUST_200600_302600_NS6detail15normal_iteratorINS9_10device_ptrIiEEEESE_SE_iNS9_10multipliesIiEENS9_8equal_toIiEEiEE10hipError_tPvRmT2_T3_T4_T5_mT6_T7_P12ihipStream_tbENKUlT_T0_E_clISt17integral_constantIbLb1EESY_IbLb0EEEEDaSU_SV_EUlSU_E_NS1_11comp_targetILNS1_3genE4ELNS1_11target_archE910ELNS1_3gpuE8ELNS1_3repE0EEENS1_30default_config_static_selectorELNS0_4arch9wavefront6targetE0EEEvT1_.kd
    .uniform_work_group_size: 1
    .uses_dynamic_stack: false
    .vgpr_count:     0
    .vgpr_spill_count: 0
    .wavefront_size: 32
  - .args:
      - .offset:         0
        .size:           112
        .value_kind:     by_value
    .group_segment_fixed_size: 0
    .kernarg_segment_align: 8
    .kernarg_segment_size: 112
    .language:       OpenCL C
    .language_version:
      - 2
      - 0
    .max_flat_workgroup_size: 256
    .name:           _ZN7rocprim17ROCPRIM_400000_NS6detail17trampoline_kernelINS0_14default_configENS1_27scan_by_key_config_selectorIiiEEZZNS1_16scan_by_key_implILNS1_25lookback_scan_determinismE0ELb0ES3_N6thrust23THRUST_200600_302600_NS6detail15normal_iteratorINS9_10device_ptrIiEEEESE_SE_iNS9_10multipliesIiEENS9_8equal_toIiEEiEE10hipError_tPvRmT2_T3_T4_T5_mT6_T7_P12ihipStream_tbENKUlT_T0_E_clISt17integral_constantIbLb1EESY_IbLb0EEEEDaSU_SV_EUlSU_E_NS1_11comp_targetILNS1_3genE3ELNS1_11target_archE908ELNS1_3gpuE7ELNS1_3repE0EEENS1_30default_config_static_selectorELNS0_4arch9wavefront6targetE0EEEvT1_
    .private_segment_fixed_size: 0
    .sgpr_count:     0
    .sgpr_spill_count: 0
    .symbol:         _ZN7rocprim17ROCPRIM_400000_NS6detail17trampoline_kernelINS0_14default_configENS1_27scan_by_key_config_selectorIiiEEZZNS1_16scan_by_key_implILNS1_25lookback_scan_determinismE0ELb0ES3_N6thrust23THRUST_200600_302600_NS6detail15normal_iteratorINS9_10device_ptrIiEEEESE_SE_iNS9_10multipliesIiEENS9_8equal_toIiEEiEE10hipError_tPvRmT2_T3_T4_T5_mT6_T7_P12ihipStream_tbENKUlT_T0_E_clISt17integral_constantIbLb1EESY_IbLb0EEEEDaSU_SV_EUlSU_E_NS1_11comp_targetILNS1_3genE3ELNS1_11target_archE908ELNS1_3gpuE7ELNS1_3repE0EEENS1_30default_config_static_selectorELNS0_4arch9wavefront6targetE0EEEvT1_.kd
    .uniform_work_group_size: 1
    .uses_dynamic_stack: false
    .vgpr_count:     0
    .vgpr_spill_count: 0
    .wavefront_size: 32
  - .args:
      - .offset:         0
        .size:           112
        .value_kind:     by_value
    .group_segment_fixed_size: 0
    .kernarg_segment_align: 8
    .kernarg_segment_size: 112
    .language:       OpenCL C
    .language_version:
      - 2
      - 0
    .max_flat_workgroup_size: 256
    .name:           _ZN7rocprim17ROCPRIM_400000_NS6detail17trampoline_kernelINS0_14default_configENS1_27scan_by_key_config_selectorIiiEEZZNS1_16scan_by_key_implILNS1_25lookback_scan_determinismE0ELb0ES3_N6thrust23THRUST_200600_302600_NS6detail15normal_iteratorINS9_10device_ptrIiEEEESE_SE_iNS9_10multipliesIiEENS9_8equal_toIiEEiEE10hipError_tPvRmT2_T3_T4_T5_mT6_T7_P12ihipStream_tbENKUlT_T0_E_clISt17integral_constantIbLb1EESY_IbLb0EEEEDaSU_SV_EUlSU_E_NS1_11comp_targetILNS1_3genE2ELNS1_11target_archE906ELNS1_3gpuE6ELNS1_3repE0EEENS1_30default_config_static_selectorELNS0_4arch9wavefront6targetE0EEEvT1_
    .private_segment_fixed_size: 0
    .sgpr_count:     0
    .sgpr_spill_count: 0
    .symbol:         _ZN7rocprim17ROCPRIM_400000_NS6detail17trampoline_kernelINS0_14default_configENS1_27scan_by_key_config_selectorIiiEEZZNS1_16scan_by_key_implILNS1_25lookback_scan_determinismE0ELb0ES3_N6thrust23THRUST_200600_302600_NS6detail15normal_iteratorINS9_10device_ptrIiEEEESE_SE_iNS9_10multipliesIiEENS9_8equal_toIiEEiEE10hipError_tPvRmT2_T3_T4_T5_mT6_T7_P12ihipStream_tbENKUlT_T0_E_clISt17integral_constantIbLb1EESY_IbLb0EEEEDaSU_SV_EUlSU_E_NS1_11comp_targetILNS1_3genE2ELNS1_11target_archE906ELNS1_3gpuE6ELNS1_3repE0EEENS1_30default_config_static_selectorELNS0_4arch9wavefront6targetE0EEEvT1_.kd
    .uniform_work_group_size: 1
    .uses_dynamic_stack: false
    .vgpr_count:     0
    .vgpr_spill_count: 0
    .wavefront_size: 32
  - .args:
      - .offset:         0
        .size:           112
        .value_kind:     by_value
    .group_segment_fixed_size: 0
    .kernarg_segment_align: 8
    .kernarg_segment_size: 112
    .language:       OpenCL C
    .language_version:
      - 2
      - 0
    .max_flat_workgroup_size: 256
    .name:           _ZN7rocprim17ROCPRIM_400000_NS6detail17trampoline_kernelINS0_14default_configENS1_27scan_by_key_config_selectorIiiEEZZNS1_16scan_by_key_implILNS1_25lookback_scan_determinismE0ELb0ES3_N6thrust23THRUST_200600_302600_NS6detail15normal_iteratorINS9_10device_ptrIiEEEESE_SE_iNS9_10multipliesIiEENS9_8equal_toIiEEiEE10hipError_tPvRmT2_T3_T4_T5_mT6_T7_P12ihipStream_tbENKUlT_T0_E_clISt17integral_constantIbLb1EESY_IbLb0EEEEDaSU_SV_EUlSU_E_NS1_11comp_targetILNS1_3genE10ELNS1_11target_archE1200ELNS1_3gpuE4ELNS1_3repE0EEENS1_30default_config_static_selectorELNS0_4arch9wavefront6targetE0EEEvT1_
    .private_segment_fixed_size: 0
    .sgpr_count:     0
    .sgpr_spill_count: 0
    .symbol:         _ZN7rocprim17ROCPRIM_400000_NS6detail17trampoline_kernelINS0_14default_configENS1_27scan_by_key_config_selectorIiiEEZZNS1_16scan_by_key_implILNS1_25lookback_scan_determinismE0ELb0ES3_N6thrust23THRUST_200600_302600_NS6detail15normal_iteratorINS9_10device_ptrIiEEEESE_SE_iNS9_10multipliesIiEENS9_8equal_toIiEEiEE10hipError_tPvRmT2_T3_T4_T5_mT6_T7_P12ihipStream_tbENKUlT_T0_E_clISt17integral_constantIbLb1EESY_IbLb0EEEEDaSU_SV_EUlSU_E_NS1_11comp_targetILNS1_3genE10ELNS1_11target_archE1200ELNS1_3gpuE4ELNS1_3repE0EEENS1_30default_config_static_selectorELNS0_4arch9wavefront6targetE0EEEvT1_.kd
    .uniform_work_group_size: 1
    .uses_dynamic_stack: false
    .vgpr_count:     0
    .vgpr_spill_count: 0
    .wavefront_size: 32
  - .args:
      - .offset:         0
        .size:           112
        .value_kind:     by_value
    .group_segment_fixed_size: 0
    .kernarg_segment_align: 8
    .kernarg_segment_size: 112
    .language:       OpenCL C
    .language_version:
      - 2
      - 0
    .max_flat_workgroup_size: 256
    .name:           _ZN7rocprim17ROCPRIM_400000_NS6detail17trampoline_kernelINS0_14default_configENS1_27scan_by_key_config_selectorIiiEEZZNS1_16scan_by_key_implILNS1_25lookback_scan_determinismE0ELb0ES3_N6thrust23THRUST_200600_302600_NS6detail15normal_iteratorINS9_10device_ptrIiEEEESE_SE_iNS9_10multipliesIiEENS9_8equal_toIiEEiEE10hipError_tPvRmT2_T3_T4_T5_mT6_T7_P12ihipStream_tbENKUlT_T0_E_clISt17integral_constantIbLb1EESY_IbLb0EEEEDaSU_SV_EUlSU_E_NS1_11comp_targetILNS1_3genE9ELNS1_11target_archE1100ELNS1_3gpuE3ELNS1_3repE0EEENS1_30default_config_static_selectorELNS0_4arch9wavefront6targetE0EEEvT1_
    .private_segment_fixed_size: 0
    .sgpr_count:     0
    .sgpr_spill_count: 0
    .symbol:         _ZN7rocprim17ROCPRIM_400000_NS6detail17trampoline_kernelINS0_14default_configENS1_27scan_by_key_config_selectorIiiEEZZNS1_16scan_by_key_implILNS1_25lookback_scan_determinismE0ELb0ES3_N6thrust23THRUST_200600_302600_NS6detail15normal_iteratorINS9_10device_ptrIiEEEESE_SE_iNS9_10multipliesIiEENS9_8equal_toIiEEiEE10hipError_tPvRmT2_T3_T4_T5_mT6_T7_P12ihipStream_tbENKUlT_T0_E_clISt17integral_constantIbLb1EESY_IbLb0EEEEDaSU_SV_EUlSU_E_NS1_11comp_targetILNS1_3genE9ELNS1_11target_archE1100ELNS1_3gpuE3ELNS1_3repE0EEENS1_30default_config_static_selectorELNS0_4arch9wavefront6targetE0EEEvT1_.kd
    .uniform_work_group_size: 1
    .uses_dynamic_stack: false
    .vgpr_count:     0
    .vgpr_spill_count: 0
    .wavefront_size: 32
  - .args:
      - .offset:         0
        .size:           112
        .value_kind:     by_value
    .group_segment_fixed_size: 0
    .kernarg_segment_align: 8
    .kernarg_segment_size: 112
    .language:       OpenCL C
    .language_version:
      - 2
      - 0
    .max_flat_workgroup_size: 256
    .name:           _ZN7rocprim17ROCPRIM_400000_NS6detail17trampoline_kernelINS0_14default_configENS1_27scan_by_key_config_selectorIiiEEZZNS1_16scan_by_key_implILNS1_25lookback_scan_determinismE0ELb0ES3_N6thrust23THRUST_200600_302600_NS6detail15normal_iteratorINS9_10device_ptrIiEEEESE_SE_iNS9_10multipliesIiEENS9_8equal_toIiEEiEE10hipError_tPvRmT2_T3_T4_T5_mT6_T7_P12ihipStream_tbENKUlT_T0_E_clISt17integral_constantIbLb1EESY_IbLb0EEEEDaSU_SV_EUlSU_E_NS1_11comp_targetILNS1_3genE8ELNS1_11target_archE1030ELNS1_3gpuE2ELNS1_3repE0EEENS1_30default_config_static_selectorELNS0_4arch9wavefront6targetE0EEEvT1_
    .private_segment_fixed_size: 0
    .sgpr_count:     0
    .sgpr_spill_count: 0
    .symbol:         _ZN7rocprim17ROCPRIM_400000_NS6detail17trampoline_kernelINS0_14default_configENS1_27scan_by_key_config_selectorIiiEEZZNS1_16scan_by_key_implILNS1_25lookback_scan_determinismE0ELb0ES3_N6thrust23THRUST_200600_302600_NS6detail15normal_iteratorINS9_10device_ptrIiEEEESE_SE_iNS9_10multipliesIiEENS9_8equal_toIiEEiEE10hipError_tPvRmT2_T3_T4_T5_mT6_T7_P12ihipStream_tbENKUlT_T0_E_clISt17integral_constantIbLb1EESY_IbLb0EEEEDaSU_SV_EUlSU_E_NS1_11comp_targetILNS1_3genE8ELNS1_11target_archE1030ELNS1_3gpuE2ELNS1_3repE0EEENS1_30default_config_static_selectorELNS0_4arch9wavefront6targetE0EEEvT1_.kd
    .uniform_work_group_size: 1
    .uses_dynamic_stack: false
    .vgpr_count:     0
    .vgpr_spill_count: 0
    .wavefront_size: 32
  - .args:
      - .offset:         0
        .size:           112
        .value_kind:     by_value
    .group_segment_fixed_size: 14336
    .kernarg_segment_align: 8
    .kernarg_segment_size: 112
    .language:       OpenCL C
    .language_version:
      - 2
      - 0
    .max_flat_workgroup_size: 256
    .name:           _ZN7rocprim17ROCPRIM_400000_NS6detail17trampoline_kernelINS0_14default_configENS1_27scan_by_key_config_selectorIiiEEZZNS1_16scan_by_key_implILNS1_25lookback_scan_determinismE0ELb0ES3_N6thrust23THRUST_200600_302600_NS6detail15normal_iteratorINS9_10device_ptrIiEEEESE_SE_iNS9_10multipliesIiEENS9_8equal_toIiEEiEE10hipError_tPvRmT2_T3_T4_T5_mT6_T7_P12ihipStream_tbENKUlT_T0_E_clISt17integral_constantIbLb0EESY_IbLb1EEEEDaSU_SV_EUlSU_E_NS1_11comp_targetILNS1_3genE0ELNS1_11target_archE4294967295ELNS1_3gpuE0ELNS1_3repE0EEENS1_30default_config_static_selectorELNS0_4arch9wavefront6targetE0EEEvT1_
    .private_segment_fixed_size: 0
    .sgpr_count:     46
    .sgpr_spill_count: 0
    .symbol:         _ZN7rocprim17ROCPRIM_400000_NS6detail17trampoline_kernelINS0_14default_configENS1_27scan_by_key_config_selectorIiiEEZZNS1_16scan_by_key_implILNS1_25lookback_scan_determinismE0ELb0ES3_N6thrust23THRUST_200600_302600_NS6detail15normal_iteratorINS9_10device_ptrIiEEEESE_SE_iNS9_10multipliesIiEENS9_8equal_toIiEEiEE10hipError_tPvRmT2_T3_T4_T5_mT6_T7_P12ihipStream_tbENKUlT_T0_E_clISt17integral_constantIbLb0EESY_IbLb1EEEEDaSU_SV_EUlSU_E_NS1_11comp_targetILNS1_3genE0ELNS1_11target_archE4294967295ELNS1_3gpuE0ELNS1_3repE0EEENS1_30default_config_static_selectorELNS0_4arch9wavefront6targetE0EEEvT1_.kd
    .uniform_work_group_size: 1
    .uses_dynamic_stack: false
    .vgpr_count:     60
    .vgpr_spill_count: 0
    .wavefront_size: 32
  - .args:
      - .offset:         0
        .size:           112
        .value_kind:     by_value
    .group_segment_fixed_size: 0
    .kernarg_segment_align: 8
    .kernarg_segment_size: 112
    .language:       OpenCL C
    .language_version:
      - 2
      - 0
    .max_flat_workgroup_size: 256
    .name:           _ZN7rocprim17ROCPRIM_400000_NS6detail17trampoline_kernelINS0_14default_configENS1_27scan_by_key_config_selectorIiiEEZZNS1_16scan_by_key_implILNS1_25lookback_scan_determinismE0ELb0ES3_N6thrust23THRUST_200600_302600_NS6detail15normal_iteratorINS9_10device_ptrIiEEEESE_SE_iNS9_10multipliesIiEENS9_8equal_toIiEEiEE10hipError_tPvRmT2_T3_T4_T5_mT6_T7_P12ihipStream_tbENKUlT_T0_E_clISt17integral_constantIbLb0EESY_IbLb1EEEEDaSU_SV_EUlSU_E_NS1_11comp_targetILNS1_3genE10ELNS1_11target_archE1201ELNS1_3gpuE5ELNS1_3repE0EEENS1_30default_config_static_selectorELNS0_4arch9wavefront6targetE0EEEvT1_
    .private_segment_fixed_size: 0
    .sgpr_count:     0
    .sgpr_spill_count: 0
    .symbol:         _ZN7rocprim17ROCPRIM_400000_NS6detail17trampoline_kernelINS0_14default_configENS1_27scan_by_key_config_selectorIiiEEZZNS1_16scan_by_key_implILNS1_25lookback_scan_determinismE0ELb0ES3_N6thrust23THRUST_200600_302600_NS6detail15normal_iteratorINS9_10device_ptrIiEEEESE_SE_iNS9_10multipliesIiEENS9_8equal_toIiEEiEE10hipError_tPvRmT2_T3_T4_T5_mT6_T7_P12ihipStream_tbENKUlT_T0_E_clISt17integral_constantIbLb0EESY_IbLb1EEEEDaSU_SV_EUlSU_E_NS1_11comp_targetILNS1_3genE10ELNS1_11target_archE1201ELNS1_3gpuE5ELNS1_3repE0EEENS1_30default_config_static_selectorELNS0_4arch9wavefront6targetE0EEEvT1_.kd
    .uniform_work_group_size: 1
    .uses_dynamic_stack: false
    .vgpr_count:     0
    .vgpr_spill_count: 0
    .wavefront_size: 32
  - .args:
      - .offset:         0
        .size:           112
        .value_kind:     by_value
    .group_segment_fixed_size: 0
    .kernarg_segment_align: 8
    .kernarg_segment_size: 112
    .language:       OpenCL C
    .language_version:
      - 2
      - 0
    .max_flat_workgroup_size: 256
    .name:           _ZN7rocprim17ROCPRIM_400000_NS6detail17trampoline_kernelINS0_14default_configENS1_27scan_by_key_config_selectorIiiEEZZNS1_16scan_by_key_implILNS1_25lookback_scan_determinismE0ELb0ES3_N6thrust23THRUST_200600_302600_NS6detail15normal_iteratorINS9_10device_ptrIiEEEESE_SE_iNS9_10multipliesIiEENS9_8equal_toIiEEiEE10hipError_tPvRmT2_T3_T4_T5_mT6_T7_P12ihipStream_tbENKUlT_T0_E_clISt17integral_constantIbLb0EESY_IbLb1EEEEDaSU_SV_EUlSU_E_NS1_11comp_targetILNS1_3genE5ELNS1_11target_archE942ELNS1_3gpuE9ELNS1_3repE0EEENS1_30default_config_static_selectorELNS0_4arch9wavefront6targetE0EEEvT1_
    .private_segment_fixed_size: 0
    .sgpr_count:     0
    .sgpr_spill_count: 0
    .symbol:         _ZN7rocprim17ROCPRIM_400000_NS6detail17trampoline_kernelINS0_14default_configENS1_27scan_by_key_config_selectorIiiEEZZNS1_16scan_by_key_implILNS1_25lookback_scan_determinismE0ELb0ES3_N6thrust23THRUST_200600_302600_NS6detail15normal_iteratorINS9_10device_ptrIiEEEESE_SE_iNS9_10multipliesIiEENS9_8equal_toIiEEiEE10hipError_tPvRmT2_T3_T4_T5_mT6_T7_P12ihipStream_tbENKUlT_T0_E_clISt17integral_constantIbLb0EESY_IbLb1EEEEDaSU_SV_EUlSU_E_NS1_11comp_targetILNS1_3genE5ELNS1_11target_archE942ELNS1_3gpuE9ELNS1_3repE0EEENS1_30default_config_static_selectorELNS0_4arch9wavefront6targetE0EEEvT1_.kd
    .uniform_work_group_size: 1
    .uses_dynamic_stack: false
    .vgpr_count:     0
    .vgpr_spill_count: 0
    .wavefront_size: 32
  - .args:
      - .offset:         0
        .size:           112
        .value_kind:     by_value
    .group_segment_fixed_size: 0
    .kernarg_segment_align: 8
    .kernarg_segment_size: 112
    .language:       OpenCL C
    .language_version:
      - 2
      - 0
    .max_flat_workgroup_size: 256
    .name:           _ZN7rocprim17ROCPRIM_400000_NS6detail17trampoline_kernelINS0_14default_configENS1_27scan_by_key_config_selectorIiiEEZZNS1_16scan_by_key_implILNS1_25lookback_scan_determinismE0ELb0ES3_N6thrust23THRUST_200600_302600_NS6detail15normal_iteratorINS9_10device_ptrIiEEEESE_SE_iNS9_10multipliesIiEENS9_8equal_toIiEEiEE10hipError_tPvRmT2_T3_T4_T5_mT6_T7_P12ihipStream_tbENKUlT_T0_E_clISt17integral_constantIbLb0EESY_IbLb1EEEEDaSU_SV_EUlSU_E_NS1_11comp_targetILNS1_3genE4ELNS1_11target_archE910ELNS1_3gpuE8ELNS1_3repE0EEENS1_30default_config_static_selectorELNS0_4arch9wavefront6targetE0EEEvT1_
    .private_segment_fixed_size: 0
    .sgpr_count:     0
    .sgpr_spill_count: 0
    .symbol:         _ZN7rocprim17ROCPRIM_400000_NS6detail17trampoline_kernelINS0_14default_configENS1_27scan_by_key_config_selectorIiiEEZZNS1_16scan_by_key_implILNS1_25lookback_scan_determinismE0ELb0ES3_N6thrust23THRUST_200600_302600_NS6detail15normal_iteratorINS9_10device_ptrIiEEEESE_SE_iNS9_10multipliesIiEENS9_8equal_toIiEEiEE10hipError_tPvRmT2_T3_T4_T5_mT6_T7_P12ihipStream_tbENKUlT_T0_E_clISt17integral_constantIbLb0EESY_IbLb1EEEEDaSU_SV_EUlSU_E_NS1_11comp_targetILNS1_3genE4ELNS1_11target_archE910ELNS1_3gpuE8ELNS1_3repE0EEENS1_30default_config_static_selectorELNS0_4arch9wavefront6targetE0EEEvT1_.kd
    .uniform_work_group_size: 1
    .uses_dynamic_stack: false
    .vgpr_count:     0
    .vgpr_spill_count: 0
    .wavefront_size: 32
  - .args:
      - .offset:         0
        .size:           112
        .value_kind:     by_value
    .group_segment_fixed_size: 0
    .kernarg_segment_align: 8
    .kernarg_segment_size: 112
    .language:       OpenCL C
    .language_version:
      - 2
      - 0
    .max_flat_workgroup_size: 256
    .name:           _ZN7rocprim17ROCPRIM_400000_NS6detail17trampoline_kernelINS0_14default_configENS1_27scan_by_key_config_selectorIiiEEZZNS1_16scan_by_key_implILNS1_25lookback_scan_determinismE0ELb0ES3_N6thrust23THRUST_200600_302600_NS6detail15normal_iteratorINS9_10device_ptrIiEEEESE_SE_iNS9_10multipliesIiEENS9_8equal_toIiEEiEE10hipError_tPvRmT2_T3_T4_T5_mT6_T7_P12ihipStream_tbENKUlT_T0_E_clISt17integral_constantIbLb0EESY_IbLb1EEEEDaSU_SV_EUlSU_E_NS1_11comp_targetILNS1_3genE3ELNS1_11target_archE908ELNS1_3gpuE7ELNS1_3repE0EEENS1_30default_config_static_selectorELNS0_4arch9wavefront6targetE0EEEvT1_
    .private_segment_fixed_size: 0
    .sgpr_count:     0
    .sgpr_spill_count: 0
    .symbol:         _ZN7rocprim17ROCPRIM_400000_NS6detail17trampoline_kernelINS0_14default_configENS1_27scan_by_key_config_selectorIiiEEZZNS1_16scan_by_key_implILNS1_25lookback_scan_determinismE0ELb0ES3_N6thrust23THRUST_200600_302600_NS6detail15normal_iteratorINS9_10device_ptrIiEEEESE_SE_iNS9_10multipliesIiEENS9_8equal_toIiEEiEE10hipError_tPvRmT2_T3_T4_T5_mT6_T7_P12ihipStream_tbENKUlT_T0_E_clISt17integral_constantIbLb0EESY_IbLb1EEEEDaSU_SV_EUlSU_E_NS1_11comp_targetILNS1_3genE3ELNS1_11target_archE908ELNS1_3gpuE7ELNS1_3repE0EEENS1_30default_config_static_selectorELNS0_4arch9wavefront6targetE0EEEvT1_.kd
    .uniform_work_group_size: 1
    .uses_dynamic_stack: false
    .vgpr_count:     0
    .vgpr_spill_count: 0
    .wavefront_size: 32
  - .args:
      - .offset:         0
        .size:           112
        .value_kind:     by_value
    .group_segment_fixed_size: 0
    .kernarg_segment_align: 8
    .kernarg_segment_size: 112
    .language:       OpenCL C
    .language_version:
      - 2
      - 0
    .max_flat_workgroup_size: 256
    .name:           _ZN7rocprim17ROCPRIM_400000_NS6detail17trampoline_kernelINS0_14default_configENS1_27scan_by_key_config_selectorIiiEEZZNS1_16scan_by_key_implILNS1_25lookback_scan_determinismE0ELb0ES3_N6thrust23THRUST_200600_302600_NS6detail15normal_iteratorINS9_10device_ptrIiEEEESE_SE_iNS9_10multipliesIiEENS9_8equal_toIiEEiEE10hipError_tPvRmT2_T3_T4_T5_mT6_T7_P12ihipStream_tbENKUlT_T0_E_clISt17integral_constantIbLb0EESY_IbLb1EEEEDaSU_SV_EUlSU_E_NS1_11comp_targetILNS1_3genE2ELNS1_11target_archE906ELNS1_3gpuE6ELNS1_3repE0EEENS1_30default_config_static_selectorELNS0_4arch9wavefront6targetE0EEEvT1_
    .private_segment_fixed_size: 0
    .sgpr_count:     0
    .sgpr_spill_count: 0
    .symbol:         _ZN7rocprim17ROCPRIM_400000_NS6detail17trampoline_kernelINS0_14default_configENS1_27scan_by_key_config_selectorIiiEEZZNS1_16scan_by_key_implILNS1_25lookback_scan_determinismE0ELb0ES3_N6thrust23THRUST_200600_302600_NS6detail15normal_iteratorINS9_10device_ptrIiEEEESE_SE_iNS9_10multipliesIiEENS9_8equal_toIiEEiEE10hipError_tPvRmT2_T3_T4_T5_mT6_T7_P12ihipStream_tbENKUlT_T0_E_clISt17integral_constantIbLb0EESY_IbLb1EEEEDaSU_SV_EUlSU_E_NS1_11comp_targetILNS1_3genE2ELNS1_11target_archE906ELNS1_3gpuE6ELNS1_3repE0EEENS1_30default_config_static_selectorELNS0_4arch9wavefront6targetE0EEEvT1_.kd
    .uniform_work_group_size: 1
    .uses_dynamic_stack: false
    .vgpr_count:     0
    .vgpr_spill_count: 0
    .wavefront_size: 32
  - .args:
      - .offset:         0
        .size:           112
        .value_kind:     by_value
    .group_segment_fixed_size: 0
    .kernarg_segment_align: 8
    .kernarg_segment_size: 112
    .language:       OpenCL C
    .language_version:
      - 2
      - 0
    .max_flat_workgroup_size: 256
    .name:           _ZN7rocprim17ROCPRIM_400000_NS6detail17trampoline_kernelINS0_14default_configENS1_27scan_by_key_config_selectorIiiEEZZNS1_16scan_by_key_implILNS1_25lookback_scan_determinismE0ELb0ES3_N6thrust23THRUST_200600_302600_NS6detail15normal_iteratorINS9_10device_ptrIiEEEESE_SE_iNS9_10multipliesIiEENS9_8equal_toIiEEiEE10hipError_tPvRmT2_T3_T4_T5_mT6_T7_P12ihipStream_tbENKUlT_T0_E_clISt17integral_constantIbLb0EESY_IbLb1EEEEDaSU_SV_EUlSU_E_NS1_11comp_targetILNS1_3genE10ELNS1_11target_archE1200ELNS1_3gpuE4ELNS1_3repE0EEENS1_30default_config_static_selectorELNS0_4arch9wavefront6targetE0EEEvT1_
    .private_segment_fixed_size: 0
    .sgpr_count:     0
    .sgpr_spill_count: 0
    .symbol:         _ZN7rocprim17ROCPRIM_400000_NS6detail17trampoline_kernelINS0_14default_configENS1_27scan_by_key_config_selectorIiiEEZZNS1_16scan_by_key_implILNS1_25lookback_scan_determinismE0ELb0ES3_N6thrust23THRUST_200600_302600_NS6detail15normal_iteratorINS9_10device_ptrIiEEEESE_SE_iNS9_10multipliesIiEENS9_8equal_toIiEEiEE10hipError_tPvRmT2_T3_T4_T5_mT6_T7_P12ihipStream_tbENKUlT_T0_E_clISt17integral_constantIbLb0EESY_IbLb1EEEEDaSU_SV_EUlSU_E_NS1_11comp_targetILNS1_3genE10ELNS1_11target_archE1200ELNS1_3gpuE4ELNS1_3repE0EEENS1_30default_config_static_selectorELNS0_4arch9wavefront6targetE0EEEvT1_.kd
    .uniform_work_group_size: 1
    .uses_dynamic_stack: false
    .vgpr_count:     0
    .vgpr_spill_count: 0
    .wavefront_size: 32
  - .args:
      - .offset:         0
        .size:           112
        .value_kind:     by_value
    .group_segment_fixed_size: 0
    .kernarg_segment_align: 8
    .kernarg_segment_size: 112
    .language:       OpenCL C
    .language_version:
      - 2
      - 0
    .max_flat_workgroup_size: 256
    .name:           _ZN7rocprim17ROCPRIM_400000_NS6detail17trampoline_kernelINS0_14default_configENS1_27scan_by_key_config_selectorIiiEEZZNS1_16scan_by_key_implILNS1_25lookback_scan_determinismE0ELb0ES3_N6thrust23THRUST_200600_302600_NS6detail15normal_iteratorINS9_10device_ptrIiEEEESE_SE_iNS9_10multipliesIiEENS9_8equal_toIiEEiEE10hipError_tPvRmT2_T3_T4_T5_mT6_T7_P12ihipStream_tbENKUlT_T0_E_clISt17integral_constantIbLb0EESY_IbLb1EEEEDaSU_SV_EUlSU_E_NS1_11comp_targetILNS1_3genE9ELNS1_11target_archE1100ELNS1_3gpuE3ELNS1_3repE0EEENS1_30default_config_static_selectorELNS0_4arch9wavefront6targetE0EEEvT1_
    .private_segment_fixed_size: 0
    .sgpr_count:     0
    .sgpr_spill_count: 0
    .symbol:         _ZN7rocprim17ROCPRIM_400000_NS6detail17trampoline_kernelINS0_14default_configENS1_27scan_by_key_config_selectorIiiEEZZNS1_16scan_by_key_implILNS1_25lookback_scan_determinismE0ELb0ES3_N6thrust23THRUST_200600_302600_NS6detail15normal_iteratorINS9_10device_ptrIiEEEESE_SE_iNS9_10multipliesIiEENS9_8equal_toIiEEiEE10hipError_tPvRmT2_T3_T4_T5_mT6_T7_P12ihipStream_tbENKUlT_T0_E_clISt17integral_constantIbLb0EESY_IbLb1EEEEDaSU_SV_EUlSU_E_NS1_11comp_targetILNS1_3genE9ELNS1_11target_archE1100ELNS1_3gpuE3ELNS1_3repE0EEENS1_30default_config_static_selectorELNS0_4arch9wavefront6targetE0EEEvT1_.kd
    .uniform_work_group_size: 1
    .uses_dynamic_stack: false
    .vgpr_count:     0
    .vgpr_spill_count: 0
    .wavefront_size: 32
  - .args:
      - .offset:         0
        .size:           112
        .value_kind:     by_value
    .group_segment_fixed_size: 0
    .kernarg_segment_align: 8
    .kernarg_segment_size: 112
    .language:       OpenCL C
    .language_version:
      - 2
      - 0
    .max_flat_workgroup_size: 256
    .name:           _ZN7rocprim17ROCPRIM_400000_NS6detail17trampoline_kernelINS0_14default_configENS1_27scan_by_key_config_selectorIiiEEZZNS1_16scan_by_key_implILNS1_25lookback_scan_determinismE0ELb0ES3_N6thrust23THRUST_200600_302600_NS6detail15normal_iteratorINS9_10device_ptrIiEEEESE_SE_iNS9_10multipliesIiEENS9_8equal_toIiEEiEE10hipError_tPvRmT2_T3_T4_T5_mT6_T7_P12ihipStream_tbENKUlT_T0_E_clISt17integral_constantIbLb0EESY_IbLb1EEEEDaSU_SV_EUlSU_E_NS1_11comp_targetILNS1_3genE8ELNS1_11target_archE1030ELNS1_3gpuE2ELNS1_3repE0EEENS1_30default_config_static_selectorELNS0_4arch9wavefront6targetE0EEEvT1_
    .private_segment_fixed_size: 0
    .sgpr_count:     0
    .sgpr_spill_count: 0
    .symbol:         _ZN7rocprim17ROCPRIM_400000_NS6detail17trampoline_kernelINS0_14default_configENS1_27scan_by_key_config_selectorIiiEEZZNS1_16scan_by_key_implILNS1_25lookback_scan_determinismE0ELb0ES3_N6thrust23THRUST_200600_302600_NS6detail15normal_iteratorINS9_10device_ptrIiEEEESE_SE_iNS9_10multipliesIiEENS9_8equal_toIiEEiEE10hipError_tPvRmT2_T3_T4_T5_mT6_T7_P12ihipStream_tbENKUlT_T0_E_clISt17integral_constantIbLb0EESY_IbLb1EEEEDaSU_SV_EUlSU_E_NS1_11comp_targetILNS1_3genE8ELNS1_11target_archE1030ELNS1_3gpuE2ELNS1_3repE0EEENS1_30default_config_static_selectorELNS0_4arch9wavefront6targetE0EEEvT1_.kd
    .uniform_work_group_size: 1
    .uses_dynamic_stack: false
    .vgpr_count:     0
    .vgpr_spill_count: 0
    .wavefront_size: 32
  - .args:
      - .offset:         0
        .size:           112
        .value_kind:     by_value
    .group_segment_fixed_size: 14336
    .kernarg_segment_align: 8
    .kernarg_segment_size: 112
    .language:       OpenCL C
    .language_version:
      - 2
      - 0
    .max_flat_workgroup_size: 256
    .name:           _ZN7rocprim17ROCPRIM_400000_NS6detail17trampoline_kernelINS0_14default_configENS1_27scan_by_key_config_selectorIiiEEZZNS1_16scan_by_key_implILNS1_25lookback_scan_determinismE0ELb0ES3_N6thrust23THRUST_200600_302600_NS6detail15normal_iteratorINS9_10device_ptrIiEEEESE_SE_iNS9_4plusIvEENS9_8equal_toIiEEiEE10hipError_tPvRmT2_T3_T4_T5_mT6_T7_P12ihipStream_tbENKUlT_T0_E_clISt17integral_constantIbLb0EESZ_EEDaSU_SV_EUlSU_E_NS1_11comp_targetILNS1_3genE0ELNS1_11target_archE4294967295ELNS1_3gpuE0ELNS1_3repE0EEENS1_30default_config_static_selectorELNS0_4arch9wavefront6targetE0EEEvT1_
    .private_segment_fixed_size: 0
    .sgpr_count:     44
    .sgpr_spill_count: 0
    .symbol:         _ZN7rocprim17ROCPRIM_400000_NS6detail17trampoline_kernelINS0_14default_configENS1_27scan_by_key_config_selectorIiiEEZZNS1_16scan_by_key_implILNS1_25lookback_scan_determinismE0ELb0ES3_N6thrust23THRUST_200600_302600_NS6detail15normal_iteratorINS9_10device_ptrIiEEEESE_SE_iNS9_4plusIvEENS9_8equal_toIiEEiEE10hipError_tPvRmT2_T3_T4_T5_mT6_T7_P12ihipStream_tbENKUlT_T0_E_clISt17integral_constantIbLb0EESZ_EEDaSU_SV_EUlSU_E_NS1_11comp_targetILNS1_3genE0ELNS1_11target_archE4294967295ELNS1_3gpuE0ELNS1_3repE0EEENS1_30default_config_static_selectorELNS0_4arch9wavefront6targetE0EEEvT1_.kd
    .uniform_work_group_size: 1
    .uses_dynamic_stack: false
    .vgpr_count:     60
    .vgpr_spill_count: 0
    .wavefront_size: 32
  - .args:
      - .offset:         0
        .size:           112
        .value_kind:     by_value
    .group_segment_fixed_size: 0
    .kernarg_segment_align: 8
    .kernarg_segment_size: 112
    .language:       OpenCL C
    .language_version:
      - 2
      - 0
    .max_flat_workgroup_size: 256
    .name:           _ZN7rocprim17ROCPRIM_400000_NS6detail17trampoline_kernelINS0_14default_configENS1_27scan_by_key_config_selectorIiiEEZZNS1_16scan_by_key_implILNS1_25lookback_scan_determinismE0ELb0ES3_N6thrust23THRUST_200600_302600_NS6detail15normal_iteratorINS9_10device_ptrIiEEEESE_SE_iNS9_4plusIvEENS9_8equal_toIiEEiEE10hipError_tPvRmT2_T3_T4_T5_mT6_T7_P12ihipStream_tbENKUlT_T0_E_clISt17integral_constantIbLb0EESZ_EEDaSU_SV_EUlSU_E_NS1_11comp_targetILNS1_3genE10ELNS1_11target_archE1201ELNS1_3gpuE5ELNS1_3repE0EEENS1_30default_config_static_selectorELNS0_4arch9wavefront6targetE0EEEvT1_
    .private_segment_fixed_size: 0
    .sgpr_count:     0
    .sgpr_spill_count: 0
    .symbol:         _ZN7rocprim17ROCPRIM_400000_NS6detail17trampoline_kernelINS0_14default_configENS1_27scan_by_key_config_selectorIiiEEZZNS1_16scan_by_key_implILNS1_25lookback_scan_determinismE0ELb0ES3_N6thrust23THRUST_200600_302600_NS6detail15normal_iteratorINS9_10device_ptrIiEEEESE_SE_iNS9_4plusIvEENS9_8equal_toIiEEiEE10hipError_tPvRmT2_T3_T4_T5_mT6_T7_P12ihipStream_tbENKUlT_T0_E_clISt17integral_constantIbLb0EESZ_EEDaSU_SV_EUlSU_E_NS1_11comp_targetILNS1_3genE10ELNS1_11target_archE1201ELNS1_3gpuE5ELNS1_3repE0EEENS1_30default_config_static_selectorELNS0_4arch9wavefront6targetE0EEEvT1_.kd
    .uniform_work_group_size: 1
    .uses_dynamic_stack: false
    .vgpr_count:     0
    .vgpr_spill_count: 0
    .wavefront_size: 32
  - .args:
      - .offset:         0
        .size:           112
        .value_kind:     by_value
    .group_segment_fixed_size: 0
    .kernarg_segment_align: 8
    .kernarg_segment_size: 112
    .language:       OpenCL C
    .language_version:
      - 2
      - 0
    .max_flat_workgroup_size: 256
    .name:           _ZN7rocprim17ROCPRIM_400000_NS6detail17trampoline_kernelINS0_14default_configENS1_27scan_by_key_config_selectorIiiEEZZNS1_16scan_by_key_implILNS1_25lookback_scan_determinismE0ELb0ES3_N6thrust23THRUST_200600_302600_NS6detail15normal_iteratorINS9_10device_ptrIiEEEESE_SE_iNS9_4plusIvEENS9_8equal_toIiEEiEE10hipError_tPvRmT2_T3_T4_T5_mT6_T7_P12ihipStream_tbENKUlT_T0_E_clISt17integral_constantIbLb0EESZ_EEDaSU_SV_EUlSU_E_NS1_11comp_targetILNS1_3genE5ELNS1_11target_archE942ELNS1_3gpuE9ELNS1_3repE0EEENS1_30default_config_static_selectorELNS0_4arch9wavefront6targetE0EEEvT1_
    .private_segment_fixed_size: 0
    .sgpr_count:     0
    .sgpr_spill_count: 0
    .symbol:         _ZN7rocprim17ROCPRIM_400000_NS6detail17trampoline_kernelINS0_14default_configENS1_27scan_by_key_config_selectorIiiEEZZNS1_16scan_by_key_implILNS1_25lookback_scan_determinismE0ELb0ES3_N6thrust23THRUST_200600_302600_NS6detail15normal_iteratorINS9_10device_ptrIiEEEESE_SE_iNS9_4plusIvEENS9_8equal_toIiEEiEE10hipError_tPvRmT2_T3_T4_T5_mT6_T7_P12ihipStream_tbENKUlT_T0_E_clISt17integral_constantIbLb0EESZ_EEDaSU_SV_EUlSU_E_NS1_11comp_targetILNS1_3genE5ELNS1_11target_archE942ELNS1_3gpuE9ELNS1_3repE0EEENS1_30default_config_static_selectorELNS0_4arch9wavefront6targetE0EEEvT1_.kd
    .uniform_work_group_size: 1
    .uses_dynamic_stack: false
    .vgpr_count:     0
    .vgpr_spill_count: 0
    .wavefront_size: 32
  - .args:
      - .offset:         0
        .size:           112
        .value_kind:     by_value
    .group_segment_fixed_size: 0
    .kernarg_segment_align: 8
    .kernarg_segment_size: 112
    .language:       OpenCL C
    .language_version:
      - 2
      - 0
    .max_flat_workgroup_size: 256
    .name:           _ZN7rocprim17ROCPRIM_400000_NS6detail17trampoline_kernelINS0_14default_configENS1_27scan_by_key_config_selectorIiiEEZZNS1_16scan_by_key_implILNS1_25lookback_scan_determinismE0ELb0ES3_N6thrust23THRUST_200600_302600_NS6detail15normal_iteratorINS9_10device_ptrIiEEEESE_SE_iNS9_4plusIvEENS9_8equal_toIiEEiEE10hipError_tPvRmT2_T3_T4_T5_mT6_T7_P12ihipStream_tbENKUlT_T0_E_clISt17integral_constantIbLb0EESZ_EEDaSU_SV_EUlSU_E_NS1_11comp_targetILNS1_3genE4ELNS1_11target_archE910ELNS1_3gpuE8ELNS1_3repE0EEENS1_30default_config_static_selectorELNS0_4arch9wavefront6targetE0EEEvT1_
    .private_segment_fixed_size: 0
    .sgpr_count:     0
    .sgpr_spill_count: 0
    .symbol:         _ZN7rocprim17ROCPRIM_400000_NS6detail17trampoline_kernelINS0_14default_configENS1_27scan_by_key_config_selectorIiiEEZZNS1_16scan_by_key_implILNS1_25lookback_scan_determinismE0ELb0ES3_N6thrust23THRUST_200600_302600_NS6detail15normal_iteratorINS9_10device_ptrIiEEEESE_SE_iNS9_4plusIvEENS9_8equal_toIiEEiEE10hipError_tPvRmT2_T3_T4_T5_mT6_T7_P12ihipStream_tbENKUlT_T0_E_clISt17integral_constantIbLb0EESZ_EEDaSU_SV_EUlSU_E_NS1_11comp_targetILNS1_3genE4ELNS1_11target_archE910ELNS1_3gpuE8ELNS1_3repE0EEENS1_30default_config_static_selectorELNS0_4arch9wavefront6targetE0EEEvT1_.kd
    .uniform_work_group_size: 1
    .uses_dynamic_stack: false
    .vgpr_count:     0
    .vgpr_spill_count: 0
    .wavefront_size: 32
  - .args:
      - .offset:         0
        .size:           112
        .value_kind:     by_value
    .group_segment_fixed_size: 0
    .kernarg_segment_align: 8
    .kernarg_segment_size: 112
    .language:       OpenCL C
    .language_version:
      - 2
      - 0
    .max_flat_workgroup_size: 256
    .name:           _ZN7rocprim17ROCPRIM_400000_NS6detail17trampoline_kernelINS0_14default_configENS1_27scan_by_key_config_selectorIiiEEZZNS1_16scan_by_key_implILNS1_25lookback_scan_determinismE0ELb0ES3_N6thrust23THRUST_200600_302600_NS6detail15normal_iteratorINS9_10device_ptrIiEEEESE_SE_iNS9_4plusIvEENS9_8equal_toIiEEiEE10hipError_tPvRmT2_T3_T4_T5_mT6_T7_P12ihipStream_tbENKUlT_T0_E_clISt17integral_constantIbLb0EESZ_EEDaSU_SV_EUlSU_E_NS1_11comp_targetILNS1_3genE3ELNS1_11target_archE908ELNS1_3gpuE7ELNS1_3repE0EEENS1_30default_config_static_selectorELNS0_4arch9wavefront6targetE0EEEvT1_
    .private_segment_fixed_size: 0
    .sgpr_count:     0
    .sgpr_spill_count: 0
    .symbol:         _ZN7rocprim17ROCPRIM_400000_NS6detail17trampoline_kernelINS0_14default_configENS1_27scan_by_key_config_selectorIiiEEZZNS1_16scan_by_key_implILNS1_25lookback_scan_determinismE0ELb0ES3_N6thrust23THRUST_200600_302600_NS6detail15normal_iteratorINS9_10device_ptrIiEEEESE_SE_iNS9_4plusIvEENS9_8equal_toIiEEiEE10hipError_tPvRmT2_T3_T4_T5_mT6_T7_P12ihipStream_tbENKUlT_T0_E_clISt17integral_constantIbLb0EESZ_EEDaSU_SV_EUlSU_E_NS1_11comp_targetILNS1_3genE3ELNS1_11target_archE908ELNS1_3gpuE7ELNS1_3repE0EEENS1_30default_config_static_selectorELNS0_4arch9wavefront6targetE0EEEvT1_.kd
    .uniform_work_group_size: 1
    .uses_dynamic_stack: false
    .vgpr_count:     0
    .vgpr_spill_count: 0
    .wavefront_size: 32
  - .args:
      - .offset:         0
        .size:           112
        .value_kind:     by_value
    .group_segment_fixed_size: 0
    .kernarg_segment_align: 8
    .kernarg_segment_size: 112
    .language:       OpenCL C
    .language_version:
      - 2
      - 0
    .max_flat_workgroup_size: 256
    .name:           _ZN7rocprim17ROCPRIM_400000_NS6detail17trampoline_kernelINS0_14default_configENS1_27scan_by_key_config_selectorIiiEEZZNS1_16scan_by_key_implILNS1_25lookback_scan_determinismE0ELb0ES3_N6thrust23THRUST_200600_302600_NS6detail15normal_iteratorINS9_10device_ptrIiEEEESE_SE_iNS9_4plusIvEENS9_8equal_toIiEEiEE10hipError_tPvRmT2_T3_T4_T5_mT6_T7_P12ihipStream_tbENKUlT_T0_E_clISt17integral_constantIbLb0EESZ_EEDaSU_SV_EUlSU_E_NS1_11comp_targetILNS1_3genE2ELNS1_11target_archE906ELNS1_3gpuE6ELNS1_3repE0EEENS1_30default_config_static_selectorELNS0_4arch9wavefront6targetE0EEEvT1_
    .private_segment_fixed_size: 0
    .sgpr_count:     0
    .sgpr_spill_count: 0
    .symbol:         _ZN7rocprim17ROCPRIM_400000_NS6detail17trampoline_kernelINS0_14default_configENS1_27scan_by_key_config_selectorIiiEEZZNS1_16scan_by_key_implILNS1_25lookback_scan_determinismE0ELb0ES3_N6thrust23THRUST_200600_302600_NS6detail15normal_iteratorINS9_10device_ptrIiEEEESE_SE_iNS9_4plusIvEENS9_8equal_toIiEEiEE10hipError_tPvRmT2_T3_T4_T5_mT6_T7_P12ihipStream_tbENKUlT_T0_E_clISt17integral_constantIbLb0EESZ_EEDaSU_SV_EUlSU_E_NS1_11comp_targetILNS1_3genE2ELNS1_11target_archE906ELNS1_3gpuE6ELNS1_3repE0EEENS1_30default_config_static_selectorELNS0_4arch9wavefront6targetE0EEEvT1_.kd
    .uniform_work_group_size: 1
    .uses_dynamic_stack: false
    .vgpr_count:     0
    .vgpr_spill_count: 0
    .wavefront_size: 32
  - .args:
      - .offset:         0
        .size:           112
        .value_kind:     by_value
    .group_segment_fixed_size: 0
    .kernarg_segment_align: 8
    .kernarg_segment_size: 112
    .language:       OpenCL C
    .language_version:
      - 2
      - 0
    .max_flat_workgroup_size: 256
    .name:           _ZN7rocprim17ROCPRIM_400000_NS6detail17trampoline_kernelINS0_14default_configENS1_27scan_by_key_config_selectorIiiEEZZNS1_16scan_by_key_implILNS1_25lookback_scan_determinismE0ELb0ES3_N6thrust23THRUST_200600_302600_NS6detail15normal_iteratorINS9_10device_ptrIiEEEESE_SE_iNS9_4plusIvEENS9_8equal_toIiEEiEE10hipError_tPvRmT2_T3_T4_T5_mT6_T7_P12ihipStream_tbENKUlT_T0_E_clISt17integral_constantIbLb0EESZ_EEDaSU_SV_EUlSU_E_NS1_11comp_targetILNS1_3genE10ELNS1_11target_archE1200ELNS1_3gpuE4ELNS1_3repE0EEENS1_30default_config_static_selectorELNS0_4arch9wavefront6targetE0EEEvT1_
    .private_segment_fixed_size: 0
    .sgpr_count:     0
    .sgpr_spill_count: 0
    .symbol:         _ZN7rocprim17ROCPRIM_400000_NS6detail17trampoline_kernelINS0_14default_configENS1_27scan_by_key_config_selectorIiiEEZZNS1_16scan_by_key_implILNS1_25lookback_scan_determinismE0ELb0ES3_N6thrust23THRUST_200600_302600_NS6detail15normal_iteratorINS9_10device_ptrIiEEEESE_SE_iNS9_4plusIvEENS9_8equal_toIiEEiEE10hipError_tPvRmT2_T3_T4_T5_mT6_T7_P12ihipStream_tbENKUlT_T0_E_clISt17integral_constantIbLb0EESZ_EEDaSU_SV_EUlSU_E_NS1_11comp_targetILNS1_3genE10ELNS1_11target_archE1200ELNS1_3gpuE4ELNS1_3repE0EEENS1_30default_config_static_selectorELNS0_4arch9wavefront6targetE0EEEvT1_.kd
    .uniform_work_group_size: 1
    .uses_dynamic_stack: false
    .vgpr_count:     0
    .vgpr_spill_count: 0
    .wavefront_size: 32
  - .args:
      - .offset:         0
        .size:           112
        .value_kind:     by_value
    .group_segment_fixed_size: 0
    .kernarg_segment_align: 8
    .kernarg_segment_size: 112
    .language:       OpenCL C
    .language_version:
      - 2
      - 0
    .max_flat_workgroup_size: 256
    .name:           _ZN7rocprim17ROCPRIM_400000_NS6detail17trampoline_kernelINS0_14default_configENS1_27scan_by_key_config_selectorIiiEEZZNS1_16scan_by_key_implILNS1_25lookback_scan_determinismE0ELb0ES3_N6thrust23THRUST_200600_302600_NS6detail15normal_iteratorINS9_10device_ptrIiEEEESE_SE_iNS9_4plusIvEENS9_8equal_toIiEEiEE10hipError_tPvRmT2_T3_T4_T5_mT6_T7_P12ihipStream_tbENKUlT_T0_E_clISt17integral_constantIbLb0EESZ_EEDaSU_SV_EUlSU_E_NS1_11comp_targetILNS1_3genE9ELNS1_11target_archE1100ELNS1_3gpuE3ELNS1_3repE0EEENS1_30default_config_static_selectorELNS0_4arch9wavefront6targetE0EEEvT1_
    .private_segment_fixed_size: 0
    .sgpr_count:     0
    .sgpr_spill_count: 0
    .symbol:         _ZN7rocprim17ROCPRIM_400000_NS6detail17trampoline_kernelINS0_14default_configENS1_27scan_by_key_config_selectorIiiEEZZNS1_16scan_by_key_implILNS1_25lookback_scan_determinismE0ELb0ES3_N6thrust23THRUST_200600_302600_NS6detail15normal_iteratorINS9_10device_ptrIiEEEESE_SE_iNS9_4plusIvEENS9_8equal_toIiEEiEE10hipError_tPvRmT2_T3_T4_T5_mT6_T7_P12ihipStream_tbENKUlT_T0_E_clISt17integral_constantIbLb0EESZ_EEDaSU_SV_EUlSU_E_NS1_11comp_targetILNS1_3genE9ELNS1_11target_archE1100ELNS1_3gpuE3ELNS1_3repE0EEENS1_30default_config_static_selectorELNS0_4arch9wavefront6targetE0EEEvT1_.kd
    .uniform_work_group_size: 1
    .uses_dynamic_stack: false
    .vgpr_count:     0
    .vgpr_spill_count: 0
    .wavefront_size: 32
  - .args:
      - .offset:         0
        .size:           112
        .value_kind:     by_value
    .group_segment_fixed_size: 0
    .kernarg_segment_align: 8
    .kernarg_segment_size: 112
    .language:       OpenCL C
    .language_version:
      - 2
      - 0
    .max_flat_workgroup_size: 256
    .name:           _ZN7rocprim17ROCPRIM_400000_NS6detail17trampoline_kernelINS0_14default_configENS1_27scan_by_key_config_selectorIiiEEZZNS1_16scan_by_key_implILNS1_25lookback_scan_determinismE0ELb0ES3_N6thrust23THRUST_200600_302600_NS6detail15normal_iteratorINS9_10device_ptrIiEEEESE_SE_iNS9_4plusIvEENS9_8equal_toIiEEiEE10hipError_tPvRmT2_T3_T4_T5_mT6_T7_P12ihipStream_tbENKUlT_T0_E_clISt17integral_constantIbLb0EESZ_EEDaSU_SV_EUlSU_E_NS1_11comp_targetILNS1_3genE8ELNS1_11target_archE1030ELNS1_3gpuE2ELNS1_3repE0EEENS1_30default_config_static_selectorELNS0_4arch9wavefront6targetE0EEEvT1_
    .private_segment_fixed_size: 0
    .sgpr_count:     0
    .sgpr_spill_count: 0
    .symbol:         _ZN7rocprim17ROCPRIM_400000_NS6detail17trampoline_kernelINS0_14default_configENS1_27scan_by_key_config_selectorIiiEEZZNS1_16scan_by_key_implILNS1_25lookback_scan_determinismE0ELb0ES3_N6thrust23THRUST_200600_302600_NS6detail15normal_iteratorINS9_10device_ptrIiEEEESE_SE_iNS9_4plusIvEENS9_8equal_toIiEEiEE10hipError_tPvRmT2_T3_T4_T5_mT6_T7_P12ihipStream_tbENKUlT_T0_E_clISt17integral_constantIbLb0EESZ_EEDaSU_SV_EUlSU_E_NS1_11comp_targetILNS1_3genE8ELNS1_11target_archE1030ELNS1_3gpuE2ELNS1_3repE0EEENS1_30default_config_static_selectorELNS0_4arch9wavefront6targetE0EEEvT1_.kd
    .uniform_work_group_size: 1
    .uses_dynamic_stack: false
    .vgpr_count:     0
    .vgpr_spill_count: 0
    .wavefront_size: 32
  - .args:
      - .offset:         0
        .size:           112
        .value_kind:     by_value
    .group_segment_fixed_size: 0
    .kernarg_segment_align: 8
    .kernarg_segment_size: 112
    .language:       OpenCL C
    .language_version:
      - 2
      - 0
    .max_flat_workgroup_size: 256
    .name:           _ZN7rocprim17ROCPRIM_400000_NS6detail17trampoline_kernelINS0_14default_configENS1_27scan_by_key_config_selectorIiiEEZZNS1_16scan_by_key_implILNS1_25lookback_scan_determinismE0ELb0ES3_N6thrust23THRUST_200600_302600_NS6detail15normal_iteratorINS9_10device_ptrIiEEEESE_SE_iNS9_4plusIvEENS9_8equal_toIiEEiEE10hipError_tPvRmT2_T3_T4_T5_mT6_T7_P12ihipStream_tbENKUlT_T0_E_clISt17integral_constantIbLb1EESZ_EEDaSU_SV_EUlSU_E_NS1_11comp_targetILNS1_3genE0ELNS1_11target_archE4294967295ELNS1_3gpuE0ELNS1_3repE0EEENS1_30default_config_static_selectorELNS0_4arch9wavefront6targetE0EEEvT1_
    .private_segment_fixed_size: 0
    .sgpr_count:     0
    .sgpr_spill_count: 0
    .symbol:         _ZN7rocprim17ROCPRIM_400000_NS6detail17trampoline_kernelINS0_14default_configENS1_27scan_by_key_config_selectorIiiEEZZNS1_16scan_by_key_implILNS1_25lookback_scan_determinismE0ELb0ES3_N6thrust23THRUST_200600_302600_NS6detail15normal_iteratorINS9_10device_ptrIiEEEESE_SE_iNS9_4plusIvEENS9_8equal_toIiEEiEE10hipError_tPvRmT2_T3_T4_T5_mT6_T7_P12ihipStream_tbENKUlT_T0_E_clISt17integral_constantIbLb1EESZ_EEDaSU_SV_EUlSU_E_NS1_11comp_targetILNS1_3genE0ELNS1_11target_archE4294967295ELNS1_3gpuE0ELNS1_3repE0EEENS1_30default_config_static_selectorELNS0_4arch9wavefront6targetE0EEEvT1_.kd
    .uniform_work_group_size: 1
    .uses_dynamic_stack: false
    .vgpr_count:     0
    .vgpr_spill_count: 0
    .wavefront_size: 32
  - .args:
      - .offset:         0
        .size:           112
        .value_kind:     by_value
    .group_segment_fixed_size: 0
    .kernarg_segment_align: 8
    .kernarg_segment_size: 112
    .language:       OpenCL C
    .language_version:
      - 2
      - 0
    .max_flat_workgroup_size: 256
    .name:           _ZN7rocprim17ROCPRIM_400000_NS6detail17trampoline_kernelINS0_14default_configENS1_27scan_by_key_config_selectorIiiEEZZNS1_16scan_by_key_implILNS1_25lookback_scan_determinismE0ELb0ES3_N6thrust23THRUST_200600_302600_NS6detail15normal_iteratorINS9_10device_ptrIiEEEESE_SE_iNS9_4plusIvEENS9_8equal_toIiEEiEE10hipError_tPvRmT2_T3_T4_T5_mT6_T7_P12ihipStream_tbENKUlT_T0_E_clISt17integral_constantIbLb1EESZ_EEDaSU_SV_EUlSU_E_NS1_11comp_targetILNS1_3genE10ELNS1_11target_archE1201ELNS1_3gpuE5ELNS1_3repE0EEENS1_30default_config_static_selectorELNS0_4arch9wavefront6targetE0EEEvT1_
    .private_segment_fixed_size: 0
    .sgpr_count:     0
    .sgpr_spill_count: 0
    .symbol:         _ZN7rocprim17ROCPRIM_400000_NS6detail17trampoline_kernelINS0_14default_configENS1_27scan_by_key_config_selectorIiiEEZZNS1_16scan_by_key_implILNS1_25lookback_scan_determinismE0ELb0ES3_N6thrust23THRUST_200600_302600_NS6detail15normal_iteratorINS9_10device_ptrIiEEEESE_SE_iNS9_4plusIvEENS9_8equal_toIiEEiEE10hipError_tPvRmT2_T3_T4_T5_mT6_T7_P12ihipStream_tbENKUlT_T0_E_clISt17integral_constantIbLb1EESZ_EEDaSU_SV_EUlSU_E_NS1_11comp_targetILNS1_3genE10ELNS1_11target_archE1201ELNS1_3gpuE5ELNS1_3repE0EEENS1_30default_config_static_selectorELNS0_4arch9wavefront6targetE0EEEvT1_.kd
    .uniform_work_group_size: 1
    .uses_dynamic_stack: false
    .vgpr_count:     0
    .vgpr_spill_count: 0
    .wavefront_size: 32
  - .args:
      - .offset:         0
        .size:           112
        .value_kind:     by_value
    .group_segment_fixed_size: 0
    .kernarg_segment_align: 8
    .kernarg_segment_size: 112
    .language:       OpenCL C
    .language_version:
      - 2
      - 0
    .max_flat_workgroup_size: 256
    .name:           _ZN7rocprim17ROCPRIM_400000_NS6detail17trampoline_kernelINS0_14default_configENS1_27scan_by_key_config_selectorIiiEEZZNS1_16scan_by_key_implILNS1_25lookback_scan_determinismE0ELb0ES3_N6thrust23THRUST_200600_302600_NS6detail15normal_iteratorINS9_10device_ptrIiEEEESE_SE_iNS9_4plusIvEENS9_8equal_toIiEEiEE10hipError_tPvRmT2_T3_T4_T5_mT6_T7_P12ihipStream_tbENKUlT_T0_E_clISt17integral_constantIbLb1EESZ_EEDaSU_SV_EUlSU_E_NS1_11comp_targetILNS1_3genE5ELNS1_11target_archE942ELNS1_3gpuE9ELNS1_3repE0EEENS1_30default_config_static_selectorELNS0_4arch9wavefront6targetE0EEEvT1_
    .private_segment_fixed_size: 0
    .sgpr_count:     0
    .sgpr_spill_count: 0
    .symbol:         _ZN7rocprim17ROCPRIM_400000_NS6detail17trampoline_kernelINS0_14default_configENS1_27scan_by_key_config_selectorIiiEEZZNS1_16scan_by_key_implILNS1_25lookback_scan_determinismE0ELb0ES3_N6thrust23THRUST_200600_302600_NS6detail15normal_iteratorINS9_10device_ptrIiEEEESE_SE_iNS9_4plusIvEENS9_8equal_toIiEEiEE10hipError_tPvRmT2_T3_T4_T5_mT6_T7_P12ihipStream_tbENKUlT_T0_E_clISt17integral_constantIbLb1EESZ_EEDaSU_SV_EUlSU_E_NS1_11comp_targetILNS1_3genE5ELNS1_11target_archE942ELNS1_3gpuE9ELNS1_3repE0EEENS1_30default_config_static_selectorELNS0_4arch9wavefront6targetE0EEEvT1_.kd
    .uniform_work_group_size: 1
    .uses_dynamic_stack: false
    .vgpr_count:     0
    .vgpr_spill_count: 0
    .wavefront_size: 32
  - .args:
      - .offset:         0
        .size:           112
        .value_kind:     by_value
    .group_segment_fixed_size: 0
    .kernarg_segment_align: 8
    .kernarg_segment_size: 112
    .language:       OpenCL C
    .language_version:
      - 2
      - 0
    .max_flat_workgroup_size: 256
    .name:           _ZN7rocprim17ROCPRIM_400000_NS6detail17trampoline_kernelINS0_14default_configENS1_27scan_by_key_config_selectorIiiEEZZNS1_16scan_by_key_implILNS1_25lookback_scan_determinismE0ELb0ES3_N6thrust23THRUST_200600_302600_NS6detail15normal_iteratorINS9_10device_ptrIiEEEESE_SE_iNS9_4plusIvEENS9_8equal_toIiEEiEE10hipError_tPvRmT2_T3_T4_T5_mT6_T7_P12ihipStream_tbENKUlT_T0_E_clISt17integral_constantIbLb1EESZ_EEDaSU_SV_EUlSU_E_NS1_11comp_targetILNS1_3genE4ELNS1_11target_archE910ELNS1_3gpuE8ELNS1_3repE0EEENS1_30default_config_static_selectorELNS0_4arch9wavefront6targetE0EEEvT1_
    .private_segment_fixed_size: 0
    .sgpr_count:     0
    .sgpr_spill_count: 0
    .symbol:         _ZN7rocprim17ROCPRIM_400000_NS6detail17trampoline_kernelINS0_14default_configENS1_27scan_by_key_config_selectorIiiEEZZNS1_16scan_by_key_implILNS1_25lookback_scan_determinismE0ELb0ES3_N6thrust23THRUST_200600_302600_NS6detail15normal_iteratorINS9_10device_ptrIiEEEESE_SE_iNS9_4plusIvEENS9_8equal_toIiEEiEE10hipError_tPvRmT2_T3_T4_T5_mT6_T7_P12ihipStream_tbENKUlT_T0_E_clISt17integral_constantIbLb1EESZ_EEDaSU_SV_EUlSU_E_NS1_11comp_targetILNS1_3genE4ELNS1_11target_archE910ELNS1_3gpuE8ELNS1_3repE0EEENS1_30default_config_static_selectorELNS0_4arch9wavefront6targetE0EEEvT1_.kd
    .uniform_work_group_size: 1
    .uses_dynamic_stack: false
    .vgpr_count:     0
    .vgpr_spill_count: 0
    .wavefront_size: 32
  - .args:
      - .offset:         0
        .size:           112
        .value_kind:     by_value
    .group_segment_fixed_size: 0
    .kernarg_segment_align: 8
    .kernarg_segment_size: 112
    .language:       OpenCL C
    .language_version:
      - 2
      - 0
    .max_flat_workgroup_size: 256
    .name:           _ZN7rocprim17ROCPRIM_400000_NS6detail17trampoline_kernelINS0_14default_configENS1_27scan_by_key_config_selectorIiiEEZZNS1_16scan_by_key_implILNS1_25lookback_scan_determinismE0ELb0ES3_N6thrust23THRUST_200600_302600_NS6detail15normal_iteratorINS9_10device_ptrIiEEEESE_SE_iNS9_4plusIvEENS9_8equal_toIiEEiEE10hipError_tPvRmT2_T3_T4_T5_mT6_T7_P12ihipStream_tbENKUlT_T0_E_clISt17integral_constantIbLb1EESZ_EEDaSU_SV_EUlSU_E_NS1_11comp_targetILNS1_3genE3ELNS1_11target_archE908ELNS1_3gpuE7ELNS1_3repE0EEENS1_30default_config_static_selectorELNS0_4arch9wavefront6targetE0EEEvT1_
    .private_segment_fixed_size: 0
    .sgpr_count:     0
    .sgpr_spill_count: 0
    .symbol:         _ZN7rocprim17ROCPRIM_400000_NS6detail17trampoline_kernelINS0_14default_configENS1_27scan_by_key_config_selectorIiiEEZZNS1_16scan_by_key_implILNS1_25lookback_scan_determinismE0ELb0ES3_N6thrust23THRUST_200600_302600_NS6detail15normal_iteratorINS9_10device_ptrIiEEEESE_SE_iNS9_4plusIvEENS9_8equal_toIiEEiEE10hipError_tPvRmT2_T3_T4_T5_mT6_T7_P12ihipStream_tbENKUlT_T0_E_clISt17integral_constantIbLb1EESZ_EEDaSU_SV_EUlSU_E_NS1_11comp_targetILNS1_3genE3ELNS1_11target_archE908ELNS1_3gpuE7ELNS1_3repE0EEENS1_30default_config_static_selectorELNS0_4arch9wavefront6targetE0EEEvT1_.kd
    .uniform_work_group_size: 1
    .uses_dynamic_stack: false
    .vgpr_count:     0
    .vgpr_spill_count: 0
    .wavefront_size: 32
  - .args:
      - .offset:         0
        .size:           112
        .value_kind:     by_value
    .group_segment_fixed_size: 0
    .kernarg_segment_align: 8
    .kernarg_segment_size: 112
    .language:       OpenCL C
    .language_version:
      - 2
      - 0
    .max_flat_workgroup_size: 256
    .name:           _ZN7rocprim17ROCPRIM_400000_NS6detail17trampoline_kernelINS0_14default_configENS1_27scan_by_key_config_selectorIiiEEZZNS1_16scan_by_key_implILNS1_25lookback_scan_determinismE0ELb0ES3_N6thrust23THRUST_200600_302600_NS6detail15normal_iteratorINS9_10device_ptrIiEEEESE_SE_iNS9_4plusIvEENS9_8equal_toIiEEiEE10hipError_tPvRmT2_T3_T4_T5_mT6_T7_P12ihipStream_tbENKUlT_T0_E_clISt17integral_constantIbLb1EESZ_EEDaSU_SV_EUlSU_E_NS1_11comp_targetILNS1_3genE2ELNS1_11target_archE906ELNS1_3gpuE6ELNS1_3repE0EEENS1_30default_config_static_selectorELNS0_4arch9wavefront6targetE0EEEvT1_
    .private_segment_fixed_size: 0
    .sgpr_count:     0
    .sgpr_spill_count: 0
    .symbol:         _ZN7rocprim17ROCPRIM_400000_NS6detail17trampoline_kernelINS0_14default_configENS1_27scan_by_key_config_selectorIiiEEZZNS1_16scan_by_key_implILNS1_25lookback_scan_determinismE0ELb0ES3_N6thrust23THRUST_200600_302600_NS6detail15normal_iteratorINS9_10device_ptrIiEEEESE_SE_iNS9_4plusIvEENS9_8equal_toIiEEiEE10hipError_tPvRmT2_T3_T4_T5_mT6_T7_P12ihipStream_tbENKUlT_T0_E_clISt17integral_constantIbLb1EESZ_EEDaSU_SV_EUlSU_E_NS1_11comp_targetILNS1_3genE2ELNS1_11target_archE906ELNS1_3gpuE6ELNS1_3repE0EEENS1_30default_config_static_selectorELNS0_4arch9wavefront6targetE0EEEvT1_.kd
    .uniform_work_group_size: 1
    .uses_dynamic_stack: false
    .vgpr_count:     0
    .vgpr_spill_count: 0
    .wavefront_size: 32
  - .args:
      - .offset:         0
        .size:           112
        .value_kind:     by_value
    .group_segment_fixed_size: 0
    .kernarg_segment_align: 8
    .kernarg_segment_size: 112
    .language:       OpenCL C
    .language_version:
      - 2
      - 0
    .max_flat_workgroup_size: 256
    .name:           _ZN7rocprim17ROCPRIM_400000_NS6detail17trampoline_kernelINS0_14default_configENS1_27scan_by_key_config_selectorIiiEEZZNS1_16scan_by_key_implILNS1_25lookback_scan_determinismE0ELb0ES3_N6thrust23THRUST_200600_302600_NS6detail15normal_iteratorINS9_10device_ptrIiEEEESE_SE_iNS9_4plusIvEENS9_8equal_toIiEEiEE10hipError_tPvRmT2_T3_T4_T5_mT6_T7_P12ihipStream_tbENKUlT_T0_E_clISt17integral_constantIbLb1EESZ_EEDaSU_SV_EUlSU_E_NS1_11comp_targetILNS1_3genE10ELNS1_11target_archE1200ELNS1_3gpuE4ELNS1_3repE0EEENS1_30default_config_static_selectorELNS0_4arch9wavefront6targetE0EEEvT1_
    .private_segment_fixed_size: 0
    .sgpr_count:     0
    .sgpr_spill_count: 0
    .symbol:         _ZN7rocprim17ROCPRIM_400000_NS6detail17trampoline_kernelINS0_14default_configENS1_27scan_by_key_config_selectorIiiEEZZNS1_16scan_by_key_implILNS1_25lookback_scan_determinismE0ELb0ES3_N6thrust23THRUST_200600_302600_NS6detail15normal_iteratorINS9_10device_ptrIiEEEESE_SE_iNS9_4plusIvEENS9_8equal_toIiEEiEE10hipError_tPvRmT2_T3_T4_T5_mT6_T7_P12ihipStream_tbENKUlT_T0_E_clISt17integral_constantIbLb1EESZ_EEDaSU_SV_EUlSU_E_NS1_11comp_targetILNS1_3genE10ELNS1_11target_archE1200ELNS1_3gpuE4ELNS1_3repE0EEENS1_30default_config_static_selectorELNS0_4arch9wavefront6targetE0EEEvT1_.kd
    .uniform_work_group_size: 1
    .uses_dynamic_stack: false
    .vgpr_count:     0
    .vgpr_spill_count: 0
    .wavefront_size: 32
  - .args:
      - .offset:         0
        .size:           112
        .value_kind:     by_value
    .group_segment_fixed_size: 0
    .kernarg_segment_align: 8
    .kernarg_segment_size: 112
    .language:       OpenCL C
    .language_version:
      - 2
      - 0
    .max_flat_workgroup_size: 256
    .name:           _ZN7rocprim17ROCPRIM_400000_NS6detail17trampoline_kernelINS0_14default_configENS1_27scan_by_key_config_selectorIiiEEZZNS1_16scan_by_key_implILNS1_25lookback_scan_determinismE0ELb0ES3_N6thrust23THRUST_200600_302600_NS6detail15normal_iteratorINS9_10device_ptrIiEEEESE_SE_iNS9_4plusIvEENS9_8equal_toIiEEiEE10hipError_tPvRmT2_T3_T4_T5_mT6_T7_P12ihipStream_tbENKUlT_T0_E_clISt17integral_constantIbLb1EESZ_EEDaSU_SV_EUlSU_E_NS1_11comp_targetILNS1_3genE9ELNS1_11target_archE1100ELNS1_3gpuE3ELNS1_3repE0EEENS1_30default_config_static_selectorELNS0_4arch9wavefront6targetE0EEEvT1_
    .private_segment_fixed_size: 0
    .sgpr_count:     0
    .sgpr_spill_count: 0
    .symbol:         _ZN7rocprim17ROCPRIM_400000_NS6detail17trampoline_kernelINS0_14default_configENS1_27scan_by_key_config_selectorIiiEEZZNS1_16scan_by_key_implILNS1_25lookback_scan_determinismE0ELb0ES3_N6thrust23THRUST_200600_302600_NS6detail15normal_iteratorINS9_10device_ptrIiEEEESE_SE_iNS9_4plusIvEENS9_8equal_toIiEEiEE10hipError_tPvRmT2_T3_T4_T5_mT6_T7_P12ihipStream_tbENKUlT_T0_E_clISt17integral_constantIbLb1EESZ_EEDaSU_SV_EUlSU_E_NS1_11comp_targetILNS1_3genE9ELNS1_11target_archE1100ELNS1_3gpuE3ELNS1_3repE0EEENS1_30default_config_static_selectorELNS0_4arch9wavefront6targetE0EEEvT1_.kd
    .uniform_work_group_size: 1
    .uses_dynamic_stack: false
    .vgpr_count:     0
    .vgpr_spill_count: 0
    .wavefront_size: 32
  - .args:
      - .offset:         0
        .size:           112
        .value_kind:     by_value
    .group_segment_fixed_size: 0
    .kernarg_segment_align: 8
    .kernarg_segment_size: 112
    .language:       OpenCL C
    .language_version:
      - 2
      - 0
    .max_flat_workgroup_size: 256
    .name:           _ZN7rocprim17ROCPRIM_400000_NS6detail17trampoline_kernelINS0_14default_configENS1_27scan_by_key_config_selectorIiiEEZZNS1_16scan_by_key_implILNS1_25lookback_scan_determinismE0ELb0ES3_N6thrust23THRUST_200600_302600_NS6detail15normal_iteratorINS9_10device_ptrIiEEEESE_SE_iNS9_4plusIvEENS9_8equal_toIiEEiEE10hipError_tPvRmT2_T3_T4_T5_mT6_T7_P12ihipStream_tbENKUlT_T0_E_clISt17integral_constantIbLb1EESZ_EEDaSU_SV_EUlSU_E_NS1_11comp_targetILNS1_3genE8ELNS1_11target_archE1030ELNS1_3gpuE2ELNS1_3repE0EEENS1_30default_config_static_selectorELNS0_4arch9wavefront6targetE0EEEvT1_
    .private_segment_fixed_size: 0
    .sgpr_count:     0
    .sgpr_spill_count: 0
    .symbol:         _ZN7rocprim17ROCPRIM_400000_NS6detail17trampoline_kernelINS0_14default_configENS1_27scan_by_key_config_selectorIiiEEZZNS1_16scan_by_key_implILNS1_25lookback_scan_determinismE0ELb0ES3_N6thrust23THRUST_200600_302600_NS6detail15normal_iteratorINS9_10device_ptrIiEEEESE_SE_iNS9_4plusIvEENS9_8equal_toIiEEiEE10hipError_tPvRmT2_T3_T4_T5_mT6_T7_P12ihipStream_tbENKUlT_T0_E_clISt17integral_constantIbLb1EESZ_EEDaSU_SV_EUlSU_E_NS1_11comp_targetILNS1_3genE8ELNS1_11target_archE1030ELNS1_3gpuE2ELNS1_3repE0EEENS1_30default_config_static_selectorELNS0_4arch9wavefront6targetE0EEEvT1_.kd
    .uniform_work_group_size: 1
    .uses_dynamic_stack: false
    .vgpr_count:     0
    .vgpr_spill_count: 0
    .wavefront_size: 32
  - .args:
      - .offset:         0
        .size:           112
        .value_kind:     by_value
    .group_segment_fixed_size: 0
    .kernarg_segment_align: 8
    .kernarg_segment_size: 112
    .language:       OpenCL C
    .language_version:
      - 2
      - 0
    .max_flat_workgroup_size: 256
    .name:           _ZN7rocprim17ROCPRIM_400000_NS6detail17trampoline_kernelINS0_14default_configENS1_27scan_by_key_config_selectorIiiEEZZNS1_16scan_by_key_implILNS1_25lookback_scan_determinismE0ELb0ES3_N6thrust23THRUST_200600_302600_NS6detail15normal_iteratorINS9_10device_ptrIiEEEESE_SE_iNS9_4plusIvEENS9_8equal_toIiEEiEE10hipError_tPvRmT2_T3_T4_T5_mT6_T7_P12ihipStream_tbENKUlT_T0_E_clISt17integral_constantIbLb1EESY_IbLb0EEEEDaSU_SV_EUlSU_E_NS1_11comp_targetILNS1_3genE0ELNS1_11target_archE4294967295ELNS1_3gpuE0ELNS1_3repE0EEENS1_30default_config_static_selectorELNS0_4arch9wavefront6targetE0EEEvT1_
    .private_segment_fixed_size: 0
    .sgpr_count:     0
    .sgpr_spill_count: 0
    .symbol:         _ZN7rocprim17ROCPRIM_400000_NS6detail17trampoline_kernelINS0_14default_configENS1_27scan_by_key_config_selectorIiiEEZZNS1_16scan_by_key_implILNS1_25lookback_scan_determinismE0ELb0ES3_N6thrust23THRUST_200600_302600_NS6detail15normal_iteratorINS9_10device_ptrIiEEEESE_SE_iNS9_4plusIvEENS9_8equal_toIiEEiEE10hipError_tPvRmT2_T3_T4_T5_mT6_T7_P12ihipStream_tbENKUlT_T0_E_clISt17integral_constantIbLb1EESY_IbLb0EEEEDaSU_SV_EUlSU_E_NS1_11comp_targetILNS1_3genE0ELNS1_11target_archE4294967295ELNS1_3gpuE0ELNS1_3repE0EEENS1_30default_config_static_selectorELNS0_4arch9wavefront6targetE0EEEvT1_.kd
    .uniform_work_group_size: 1
    .uses_dynamic_stack: false
    .vgpr_count:     0
    .vgpr_spill_count: 0
    .wavefront_size: 32
  - .args:
      - .offset:         0
        .size:           112
        .value_kind:     by_value
    .group_segment_fixed_size: 0
    .kernarg_segment_align: 8
    .kernarg_segment_size: 112
    .language:       OpenCL C
    .language_version:
      - 2
      - 0
    .max_flat_workgroup_size: 256
    .name:           _ZN7rocprim17ROCPRIM_400000_NS6detail17trampoline_kernelINS0_14default_configENS1_27scan_by_key_config_selectorIiiEEZZNS1_16scan_by_key_implILNS1_25lookback_scan_determinismE0ELb0ES3_N6thrust23THRUST_200600_302600_NS6detail15normal_iteratorINS9_10device_ptrIiEEEESE_SE_iNS9_4plusIvEENS9_8equal_toIiEEiEE10hipError_tPvRmT2_T3_T4_T5_mT6_T7_P12ihipStream_tbENKUlT_T0_E_clISt17integral_constantIbLb1EESY_IbLb0EEEEDaSU_SV_EUlSU_E_NS1_11comp_targetILNS1_3genE10ELNS1_11target_archE1201ELNS1_3gpuE5ELNS1_3repE0EEENS1_30default_config_static_selectorELNS0_4arch9wavefront6targetE0EEEvT1_
    .private_segment_fixed_size: 0
    .sgpr_count:     0
    .sgpr_spill_count: 0
    .symbol:         _ZN7rocprim17ROCPRIM_400000_NS6detail17trampoline_kernelINS0_14default_configENS1_27scan_by_key_config_selectorIiiEEZZNS1_16scan_by_key_implILNS1_25lookback_scan_determinismE0ELb0ES3_N6thrust23THRUST_200600_302600_NS6detail15normal_iteratorINS9_10device_ptrIiEEEESE_SE_iNS9_4plusIvEENS9_8equal_toIiEEiEE10hipError_tPvRmT2_T3_T4_T5_mT6_T7_P12ihipStream_tbENKUlT_T0_E_clISt17integral_constantIbLb1EESY_IbLb0EEEEDaSU_SV_EUlSU_E_NS1_11comp_targetILNS1_3genE10ELNS1_11target_archE1201ELNS1_3gpuE5ELNS1_3repE0EEENS1_30default_config_static_selectorELNS0_4arch9wavefront6targetE0EEEvT1_.kd
    .uniform_work_group_size: 1
    .uses_dynamic_stack: false
    .vgpr_count:     0
    .vgpr_spill_count: 0
    .wavefront_size: 32
  - .args:
      - .offset:         0
        .size:           112
        .value_kind:     by_value
    .group_segment_fixed_size: 0
    .kernarg_segment_align: 8
    .kernarg_segment_size: 112
    .language:       OpenCL C
    .language_version:
      - 2
      - 0
    .max_flat_workgroup_size: 256
    .name:           _ZN7rocprim17ROCPRIM_400000_NS6detail17trampoline_kernelINS0_14default_configENS1_27scan_by_key_config_selectorIiiEEZZNS1_16scan_by_key_implILNS1_25lookback_scan_determinismE0ELb0ES3_N6thrust23THRUST_200600_302600_NS6detail15normal_iteratorINS9_10device_ptrIiEEEESE_SE_iNS9_4plusIvEENS9_8equal_toIiEEiEE10hipError_tPvRmT2_T3_T4_T5_mT6_T7_P12ihipStream_tbENKUlT_T0_E_clISt17integral_constantIbLb1EESY_IbLb0EEEEDaSU_SV_EUlSU_E_NS1_11comp_targetILNS1_3genE5ELNS1_11target_archE942ELNS1_3gpuE9ELNS1_3repE0EEENS1_30default_config_static_selectorELNS0_4arch9wavefront6targetE0EEEvT1_
    .private_segment_fixed_size: 0
    .sgpr_count:     0
    .sgpr_spill_count: 0
    .symbol:         _ZN7rocprim17ROCPRIM_400000_NS6detail17trampoline_kernelINS0_14default_configENS1_27scan_by_key_config_selectorIiiEEZZNS1_16scan_by_key_implILNS1_25lookback_scan_determinismE0ELb0ES3_N6thrust23THRUST_200600_302600_NS6detail15normal_iteratorINS9_10device_ptrIiEEEESE_SE_iNS9_4plusIvEENS9_8equal_toIiEEiEE10hipError_tPvRmT2_T3_T4_T5_mT6_T7_P12ihipStream_tbENKUlT_T0_E_clISt17integral_constantIbLb1EESY_IbLb0EEEEDaSU_SV_EUlSU_E_NS1_11comp_targetILNS1_3genE5ELNS1_11target_archE942ELNS1_3gpuE9ELNS1_3repE0EEENS1_30default_config_static_selectorELNS0_4arch9wavefront6targetE0EEEvT1_.kd
    .uniform_work_group_size: 1
    .uses_dynamic_stack: false
    .vgpr_count:     0
    .vgpr_spill_count: 0
    .wavefront_size: 32
  - .args:
      - .offset:         0
        .size:           112
        .value_kind:     by_value
    .group_segment_fixed_size: 0
    .kernarg_segment_align: 8
    .kernarg_segment_size: 112
    .language:       OpenCL C
    .language_version:
      - 2
      - 0
    .max_flat_workgroup_size: 256
    .name:           _ZN7rocprim17ROCPRIM_400000_NS6detail17trampoline_kernelINS0_14default_configENS1_27scan_by_key_config_selectorIiiEEZZNS1_16scan_by_key_implILNS1_25lookback_scan_determinismE0ELb0ES3_N6thrust23THRUST_200600_302600_NS6detail15normal_iteratorINS9_10device_ptrIiEEEESE_SE_iNS9_4plusIvEENS9_8equal_toIiEEiEE10hipError_tPvRmT2_T3_T4_T5_mT6_T7_P12ihipStream_tbENKUlT_T0_E_clISt17integral_constantIbLb1EESY_IbLb0EEEEDaSU_SV_EUlSU_E_NS1_11comp_targetILNS1_3genE4ELNS1_11target_archE910ELNS1_3gpuE8ELNS1_3repE0EEENS1_30default_config_static_selectorELNS0_4arch9wavefront6targetE0EEEvT1_
    .private_segment_fixed_size: 0
    .sgpr_count:     0
    .sgpr_spill_count: 0
    .symbol:         _ZN7rocprim17ROCPRIM_400000_NS6detail17trampoline_kernelINS0_14default_configENS1_27scan_by_key_config_selectorIiiEEZZNS1_16scan_by_key_implILNS1_25lookback_scan_determinismE0ELb0ES3_N6thrust23THRUST_200600_302600_NS6detail15normal_iteratorINS9_10device_ptrIiEEEESE_SE_iNS9_4plusIvEENS9_8equal_toIiEEiEE10hipError_tPvRmT2_T3_T4_T5_mT6_T7_P12ihipStream_tbENKUlT_T0_E_clISt17integral_constantIbLb1EESY_IbLb0EEEEDaSU_SV_EUlSU_E_NS1_11comp_targetILNS1_3genE4ELNS1_11target_archE910ELNS1_3gpuE8ELNS1_3repE0EEENS1_30default_config_static_selectorELNS0_4arch9wavefront6targetE0EEEvT1_.kd
    .uniform_work_group_size: 1
    .uses_dynamic_stack: false
    .vgpr_count:     0
    .vgpr_spill_count: 0
    .wavefront_size: 32
  - .args:
      - .offset:         0
        .size:           112
        .value_kind:     by_value
    .group_segment_fixed_size: 0
    .kernarg_segment_align: 8
    .kernarg_segment_size: 112
    .language:       OpenCL C
    .language_version:
      - 2
      - 0
    .max_flat_workgroup_size: 256
    .name:           _ZN7rocprim17ROCPRIM_400000_NS6detail17trampoline_kernelINS0_14default_configENS1_27scan_by_key_config_selectorIiiEEZZNS1_16scan_by_key_implILNS1_25lookback_scan_determinismE0ELb0ES3_N6thrust23THRUST_200600_302600_NS6detail15normal_iteratorINS9_10device_ptrIiEEEESE_SE_iNS9_4plusIvEENS9_8equal_toIiEEiEE10hipError_tPvRmT2_T3_T4_T5_mT6_T7_P12ihipStream_tbENKUlT_T0_E_clISt17integral_constantIbLb1EESY_IbLb0EEEEDaSU_SV_EUlSU_E_NS1_11comp_targetILNS1_3genE3ELNS1_11target_archE908ELNS1_3gpuE7ELNS1_3repE0EEENS1_30default_config_static_selectorELNS0_4arch9wavefront6targetE0EEEvT1_
    .private_segment_fixed_size: 0
    .sgpr_count:     0
    .sgpr_spill_count: 0
    .symbol:         _ZN7rocprim17ROCPRIM_400000_NS6detail17trampoline_kernelINS0_14default_configENS1_27scan_by_key_config_selectorIiiEEZZNS1_16scan_by_key_implILNS1_25lookback_scan_determinismE0ELb0ES3_N6thrust23THRUST_200600_302600_NS6detail15normal_iteratorINS9_10device_ptrIiEEEESE_SE_iNS9_4plusIvEENS9_8equal_toIiEEiEE10hipError_tPvRmT2_T3_T4_T5_mT6_T7_P12ihipStream_tbENKUlT_T0_E_clISt17integral_constantIbLb1EESY_IbLb0EEEEDaSU_SV_EUlSU_E_NS1_11comp_targetILNS1_3genE3ELNS1_11target_archE908ELNS1_3gpuE7ELNS1_3repE0EEENS1_30default_config_static_selectorELNS0_4arch9wavefront6targetE0EEEvT1_.kd
    .uniform_work_group_size: 1
    .uses_dynamic_stack: false
    .vgpr_count:     0
    .vgpr_spill_count: 0
    .wavefront_size: 32
  - .args:
      - .offset:         0
        .size:           112
        .value_kind:     by_value
    .group_segment_fixed_size: 0
    .kernarg_segment_align: 8
    .kernarg_segment_size: 112
    .language:       OpenCL C
    .language_version:
      - 2
      - 0
    .max_flat_workgroup_size: 256
    .name:           _ZN7rocprim17ROCPRIM_400000_NS6detail17trampoline_kernelINS0_14default_configENS1_27scan_by_key_config_selectorIiiEEZZNS1_16scan_by_key_implILNS1_25lookback_scan_determinismE0ELb0ES3_N6thrust23THRUST_200600_302600_NS6detail15normal_iteratorINS9_10device_ptrIiEEEESE_SE_iNS9_4plusIvEENS9_8equal_toIiEEiEE10hipError_tPvRmT2_T3_T4_T5_mT6_T7_P12ihipStream_tbENKUlT_T0_E_clISt17integral_constantIbLb1EESY_IbLb0EEEEDaSU_SV_EUlSU_E_NS1_11comp_targetILNS1_3genE2ELNS1_11target_archE906ELNS1_3gpuE6ELNS1_3repE0EEENS1_30default_config_static_selectorELNS0_4arch9wavefront6targetE0EEEvT1_
    .private_segment_fixed_size: 0
    .sgpr_count:     0
    .sgpr_spill_count: 0
    .symbol:         _ZN7rocprim17ROCPRIM_400000_NS6detail17trampoline_kernelINS0_14default_configENS1_27scan_by_key_config_selectorIiiEEZZNS1_16scan_by_key_implILNS1_25lookback_scan_determinismE0ELb0ES3_N6thrust23THRUST_200600_302600_NS6detail15normal_iteratorINS9_10device_ptrIiEEEESE_SE_iNS9_4plusIvEENS9_8equal_toIiEEiEE10hipError_tPvRmT2_T3_T4_T5_mT6_T7_P12ihipStream_tbENKUlT_T0_E_clISt17integral_constantIbLb1EESY_IbLb0EEEEDaSU_SV_EUlSU_E_NS1_11comp_targetILNS1_3genE2ELNS1_11target_archE906ELNS1_3gpuE6ELNS1_3repE0EEENS1_30default_config_static_selectorELNS0_4arch9wavefront6targetE0EEEvT1_.kd
    .uniform_work_group_size: 1
    .uses_dynamic_stack: false
    .vgpr_count:     0
    .vgpr_spill_count: 0
    .wavefront_size: 32
  - .args:
      - .offset:         0
        .size:           112
        .value_kind:     by_value
    .group_segment_fixed_size: 0
    .kernarg_segment_align: 8
    .kernarg_segment_size: 112
    .language:       OpenCL C
    .language_version:
      - 2
      - 0
    .max_flat_workgroup_size: 256
    .name:           _ZN7rocprim17ROCPRIM_400000_NS6detail17trampoline_kernelINS0_14default_configENS1_27scan_by_key_config_selectorIiiEEZZNS1_16scan_by_key_implILNS1_25lookback_scan_determinismE0ELb0ES3_N6thrust23THRUST_200600_302600_NS6detail15normal_iteratorINS9_10device_ptrIiEEEESE_SE_iNS9_4plusIvEENS9_8equal_toIiEEiEE10hipError_tPvRmT2_T3_T4_T5_mT6_T7_P12ihipStream_tbENKUlT_T0_E_clISt17integral_constantIbLb1EESY_IbLb0EEEEDaSU_SV_EUlSU_E_NS1_11comp_targetILNS1_3genE10ELNS1_11target_archE1200ELNS1_3gpuE4ELNS1_3repE0EEENS1_30default_config_static_selectorELNS0_4arch9wavefront6targetE0EEEvT1_
    .private_segment_fixed_size: 0
    .sgpr_count:     0
    .sgpr_spill_count: 0
    .symbol:         _ZN7rocprim17ROCPRIM_400000_NS6detail17trampoline_kernelINS0_14default_configENS1_27scan_by_key_config_selectorIiiEEZZNS1_16scan_by_key_implILNS1_25lookback_scan_determinismE0ELb0ES3_N6thrust23THRUST_200600_302600_NS6detail15normal_iteratorINS9_10device_ptrIiEEEESE_SE_iNS9_4plusIvEENS9_8equal_toIiEEiEE10hipError_tPvRmT2_T3_T4_T5_mT6_T7_P12ihipStream_tbENKUlT_T0_E_clISt17integral_constantIbLb1EESY_IbLb0EEEEDaSU_SV_EUlSU_E_NS1_11comp_targetILNS1_3genE10ELNS1_11target_archE1200ELNS1_3gpuE4ELNS1_3repE0EEENS1_30default_config_static_selectorELNS0_4arch9wavefront6targetE0EEEvT1_.kd
    .uniform_work_group_size: 1
    .uses_dynamic_stack: false
    .vgpr_count:     0
    .vgpr_spill_count: 0
    .wavefront_size: 32
  - .args:
      - .offset:         0
        .size:           112
        .value_kind:     by_value
    .group_segment_fixed_size: 0
    .kernarg_segment_align: 8
    .kernarg_segment_size: 112
    .language:       OpenCL C
    .language_version:
      - 2
      - 0
    .max_flat_workgroup_size: 256
    .name:           _ZN7rocprim17ROCPRIM_400000_NS6detail17trampoline_kernelINS0_14default_configENS1_27scan_by_key_config_selectorIiiEEZZNS1_16scan_by_key_implILNS1_25lookback_scan_determinismE0ELb0ES3_N6thrust23THRUST_200600_302600_NS6detail15normal_iteratorINS9_10device_ptrIiEEEESE_SE_iNS9_4plusIvEENS9_8equal_toIiEEiEE10hipError_tPvRmT2_T3_T4_T5_mT6_T7_P12ihipStream_tbENKUlT_T0_E_clISt17integral_constantIbLb1EESY_IbLb0EEEEDaSU_SV_EUlSU_E_NS1_11comp_targetILNS1_3genE9ELNS1_11target_archE1100ELNS1_3gpuE3ELNS1_3repE0EEENS1_30default_config_static_selectorELNS0_4arch9wavefront6targetE0EEEvT1_
    .private_segment_fixed_size: 0
    .sgpr_count:     0
    .sgpr_spill_count: 0
    .symbol:         _ZN7rocprim17ROCPRIM_400000_NS6detail17trampoline_kernelINS0_14default_configENS1_27scan_by_key_config_selectorIiiEEZZNS1_16scan_by_key_implILNS1_25lookback_scan_determinismE0ELb0ES3_N6thrust23THRUST_200600_302600_NS6detail15normal_iteratorINS9_10device_ptrIiEEEESE_SE_iNS9_4plusIvEENS9_8equal_toIiEEiEE10hipError_tPvRmT2_T3_T4_T5_mT6_T7_P12ihipStream_tbENKUlT_T0_E_clISt17integral_constantIbLb1EESY_IbLb0EEEEDaSU_SV_EUlSU_E_NS1_11comp_targetILNS1_3genE9ELNS1_11target_archE1100ELNS1_3gpuE3ELNS1_3repE0EEENS1_30default_config_static_selectorELNS0_4arch9wavefront6targetE0EEEvT1_.kd
    .uniform_work_group_size: 1
    .uses_dynamic_stack: false
    .vgpr_count:     0
    .vgpr_spill_count: 0
    .wavefront_size: 32
  - .args:
      - .offset:         0
        .size:           112
        .value_kind:     by_value
    .group_segment_fixed_size: 0
    .kernarg_segment_align: 8
    .kernarg_segment_size: 112
    .language:       OpenCL C
    .language_version:
      - 2
      - 0
    .max_flat_workgroup_size: 256
    .name:           _ZN7rocprim17ROCPRIM_400000_NS6detail17trampoline_kernelINS0_14default_configENS1_27scan_by_key_config_selectorIiiEEZZNS1_16scan_by_key_implILNS1_25lookback_scan_determinismE0ELb0ES3_N6thrust23THRUST_200600_302600_NS6detail15normal_iteratorINS9_10device_ptrIiEEEESE_SE_iNS9_4plusIvEENS9_8equal_toIiEEiEE10hipError_tPvRmT2_T3_T4_T5_mT6_T7_P12ihipStream_tbENKUlT_T0_E_clISt17integral_constantIbLb1EESY_IbLb0EEEEDaSU_SV_EUlSU_E_NS1_11comp_targetILNS1_3genE8ELNS1_11target_archE1030ELNS1_3gpuE2ELNS1_3repE0EEENS1_30default_config_static_selectorELNS0_4arch9wavefront6targetE0EEEvT1_
    .private_segment_fixed_size: 0
    .sgpr_count:     0
    .sgpr_spill_count: 0
    .symbol:         _ZN7rocprim17ROCPRIM_400000_NS6detail17trampoline_kernelINS0_14default_configENS1_27scan_by_key_config_selectorIiiEEZZNS1_16scan_by_key_implILNS1_25lookback_scan_determinismE0ELb0ES3_N6thrust23THRUST_200600_302600_NS6detail15normal_iteratorINS9_10device_ptrIiEEEESE_SE_iNS9_4plusIvEENS9_8equal_toIiEEiEE10hipError_tPvRmT2_T3_T4_T5_mT6_T7_P12ihipStream_tbENKUlT_T0_E_clISt17integral_constantIbLb1EESY_IbLb0EEEEDaSU_SV_EUlSU_E_NS1_11comp_targetILNS1_3genE8ELNS1_11target_archE1030ELNS1_3gpuE2ELNS1_3repE0EEENS1_30default_config_static_selectorELNS0_4arch9wavefront6targetE0EEEvT1_.kd
    .uniform_work_group_size: 1
    .uses_dynamic_stack: false
    .vgpr_count:     0
    .vgpr_spill_count: 0
    .wavefront_size: 32
  - .args:
      - .offset:         0
        .size:           112
        .value_kind:     by_value
    .group_segment_fixed_size: 14336
    .kernarg_segment_align: 8
    .kernarg_segment_size: 112
    .language:       OpenCL C
    .language_version:
      - 2
      - 0
    .max_flat_workgroup_size: 256
    .name:           _ZN7rocprim17ROCPRIM_400000_NS6detail17trampoline_kernelINS0_14default_configENS1_27scan_by_key_config_selectorIiiEEZZNS1_16scan_by_key_implILNS1_25lookback_scan_determinismE0ELb0ES3_N6thrust23THRUST_200600_302600_NS6detail15normal_iteratorINS9_10device_ptrIiEEEESE_SE_iNS9_4plusIvEENS9_8equal_toIiEEiEE10hipError_tPvRmT2_T3_T4_T5_mT6_T7_P12ihipStream_tbENKUlT_T0_E_clISt17integral_constantIbLb0EESY_IbLb1EEEEDaSU_SV_EUlSU_E_NS1_11comp_targetILNS1_3genE0ELNS1_11target_archE4294967295ELNS1_3gpuE0ELNS1_3repE0EEENS1_30default_config_static_selectorELNS0_4arch9wavefront6targetE0EEEvT1_
    .private_segment_fixed_size: 0
    .sgpr_count:     46
    .sgpr_spill_count: 0
    .symbol:         _ZN7rocprim17ROCPRIM_400000_NS6detail17trampoline_kernelINS0_14default_configENS1_27scan_by_key_config_selectorIiiEEZZNS1_16scan_by_key_implILNS1_25lookback_scan_determinismE0ELb0ES3_N6thrust23THRUST_200600_302600_NS6detail15normal_iteratorINS9_10device_ptrIiEEEESE_SE_iNS9_4plusIvEENS9_8equal_toIiEEiEE10hipError_tPvRmT2_T3_T4_T5_mT6_T7_P12ihipStream_tbENKUlT_T0_E_clISt17integral_constantIbLb0EESY_IbLb1EEEEDaSU_SV_EUlSU_E_NS1_11comp_targetILNS1_3genE0ELNS1_11target_archE4294967295ELNS1_3gpuE0ELNS1_3repE0EEENS1_30default_config_static_selectorELNS0_4arch9wavefront6targetE0EEEvT1_.kd
    .uniform_work_group_size: 1
    .uses_dynamic_stack: false
    .vgpr_count:     60
    .vgpr_spill_count: 0
    .wavefront_size: 32
  - .args:
      - .offset:         0
        .size:           112
        .value_kind:     by_value
    .group_segment_fixed_size: 0
    .kernarg_segment_align: 8
    .kernarg_segment_size: 112
    .language:       OpenCL C
    .language_version:
      - 2
      - 0
    .max_flat_workgroup_size: 256
    .name:           _ZN7rocprim17ROCPRIM_400000_NS6detail17trampoline_kernelINS0_14default_configENS1_27scan_by_key_config_selectorIiiEEZZNS1_16scan_by_key_implILNS1_25lookback_scan_determinismE0ELb0ES3_N6thrust23THRUST_200600_302600_NS6detail15normal_iteratorINS9_10device_ptrIiEEEESE_SE_iNS9_4plusIvEENS9_8equal_toIiEEiEE10hipError_tPvRmT2_T3_T4_T5_mT6_T7_P12ihipStream_tbENKUlT_T0_E_clISt17integral_constantIbLb0EESY_IbLb1EEEEDaSU_SV_EUlSU_E_NS1_11comp_targetILNS1_3genE10ELNS1_11target_archE1201ELNS1_3gpuE5ELNS1_3repE0EEENS1_30default_config_static_selectorELNS0_4arch9wavefront6targetE0EEEvT1_
    .private_segment_fixed_size: 0
    .sgpr_count:     0
    .sgpr_spill_count: 0
    .symbol:         _ZN7rocprim17ROCPRIM_400000_NS6detail17trampoline_kernelINS0_14default_configENS1_27scan_by_key_config_selectorIiiEEZZNS1_16scan_by_key_implILNS1_25lookback_scan_determinismE0ELb0ES3_N6thrust23THRUST_200600_302600_NS6detail15normal_iteratorINS9_10device_ptrIiEEEESE_SE_iNS9_4plusIvEENS9_8equal_toIiEEiEE10hipError_tPvRmT2_T3_T4_T5_mT6_T7_P12ihipStream_tbENKUlT_T0_E_clISt17integral_constantIbLb0EESY_IbLb1EEEEDaSU_SV_EUlSU_E_NS1_11comp_targetILNS1_3genE10ELNS1_11target_archE1201ELNS1_3gpuE5ELNS1_3repE0EEENS1_30default_config_static_selectorELNS0_4arch9wavefront6targetE0EEEvT1_.kd
    .uniform_work_group_size: 1
    .uses_dynamic_stack: false
    .vgpr_count:     0
    .vgpr_spill_count: 0
    .wavefront_size: 32
  - .args:
      - .offset:         0
        .size:           112
        .value_kind:     by_value
    .group_segment_fixed_size: 0
    .kernarg_segment_align: 8
    .kernarg_segment_size: 112
    .language:       OpenCL C
    .language_version:
      - 2
      - 0
    .max_flat_workgroup_size: 256
    .name:           _ZN7rocprim17ROCPRIM_400000_NS6detail17trampoline_kernelINS0_14default_configENS1_27scan_by_key_config_selectorIiiEEZZNS1_16scan_by_key_implILNS1_25lookback_scan_determinismE0ELb0ES3_N6thrust23THRUST_200600_302600_NS6detail15normal_iteratorINS9_10device_ptrIiEEEESE_SE_iNS9_4plusIvEENS9_8equal_toIiEEiEE10hipError_tPvRmT2_T3_T4_T5_mT6_T7_P12ihipStream_tbENKUlT_T0_E_clISt17integral_constantIbLb0EESY_IbLb1EEEEDaSU_SV_EUlSU_E_NS1_11comp_targetILNS1_3genE5ELNS1_11target_archE942ELNS1_3gpuE9ELNS1_3repE0EEENS1_30default_config_static_selectorELNS0_4arch9wavefront6targetE0EEEvT1_
    .private_segment_fixed_size: 0
    .sgpr_count:     0
    .sgpr_spill_count: 0
    .symbol:         _ZN7rocprim17ROCPRIM_400000_NS6detail17trampoline_kernelINS0_14default_configENS1_27scan_by_key_config_selectorIiiEEZZNS1_16scan_by_key_implILNS1_25lookback_scan_determinismE0ELb0ES3_N6thrust23THRUST_200600_302600_NS6detail15normal_iteratorINS9_10device_ptrIiEEEESE_SE_iNS9_4plusIvEENS9_8equal_toIiEEiEE10hipError_tPvRmT2_T3_T4_T5_mT6_T7_P12ihipStream_tbENKUlT_T0_E_clISt17integral_constantIbLb0EESY_IbLb1EEEEDaSU_SV_EUlSU_E_NS1_11comp_targetILNS1_3genE5ELNS1_11target_archE942ELNS1_3gpuE9ELNS1_3repE0EEENS1_30default_config_static_selectorELNS0_4arch9wavefront6targetE0EEEvT1_.kd
    .uniform_work_group_size: 1
    .uses_dynamic_stack: false
    .vgpr_count:     0
    .vgpr_spill_count: 0
    .wavefront_size: 32
  - .args:
      - .offset:         0
        .size:           112
        .value_kind:     by_value
    .group_segment_fixed_size: 0
    .kernarg_segment_align: 8
    .kernarg_segment_size: 112
    .language:       OpenCL C
    .language_version:
      - 2
      - 0
    .max_flat_workgroup_size: 256
    .name:           _ZN7rocprim17ROCPRIM_400000_NS6detail17trampoline_kernelINS0_14default_configENS1_27scan_by_key_config_selectorIiiEEZZNS1_16scan_by_key_implILNS1_25lookback_scan_determinismE0ELb0ES3_N6thrust23THRUST_200600_302600_NS6detail15normal_iteratorINS9_10device_ptrIiEEEESE_SE_iNS9_4plusIvEENS9_8equal_toIiEEiEE10hipError_tPvRmT2_T3_T4_T5_mT6_T7_P12ihipStream_tbENKUlT_T0_E_clISt17integral_constantIbLb0EESY_IbLb1EEEEDaSU_SV_EUlSU_E_NS1_11comp_targetILNS1_3genE4ELNS1_11target_archE910ELNS1_3gpuE8ELNS1_3repE0EEENS1_30default_config_static_selectorELNS0_4arch9wavefront6targetE0EEEvT1_
    .private_segment_fixed_size: 0
    .sgpr_count:     0
    .sgpr_spill_count: 0
    .symbol:         _ZN7rocprim17ROCPRIM_400000_NS6detail17trampoline_kernelINS0_14default_configENS1_27scan_by_key_config_selectorIiiEEZZNS1_16scan_by_key_implILNS1_25lookback_scan_determinismE0ELb0ES3_N6thrust23THRUST_200600_302600_NS6detail15normal_iteratorINS9_10device_ptrIiEEEESE_SE_iNS9_4plusIvEENS9_8equal_toIiEEiEE10hipError_tPvRmT2_T3_T4_T5_mT6_T7_P12ihipStream_tbENKUlT_T0_E_clISt17integral_constantIbLb0EESY_IbLb1EEEEDaSU_SV_EUlSU_E_NS1_11comp_targetILNS1_3genE4ELNS1_11target_archE910ELNS1_3gpuE8ELNS1_3repE0EEENS1_30default_config_static_selectorELNS0_4arch9wavefront6targetE0EEEvT1_.kd
    .uniform_work_group_size: 1
    .uses_dynamic_stack: false
    .vgpr_count:     0
    .vgpr_spill_count: 0
    .wavefront_size: 32
  - .args:
      - .offset:         0
        .size:           112
        .value_kind:     by_value
    .group_segment_fixed_size: 0
    .kernarg_segment_align: 8
    .kernarg_segment_size: 112
    .language:       OpenCL C
    .language_version:
      - 2
      - 0
    .max_flat_workgroup_size: 256
    .name:           _ZN7rocprim17ROCPRIM_400000_NS6detail17trampoline_kernelINS0_14default_configENS1_27scan_by_key_config_selectorIiiEEZZNS1_16scan_by_key_implILNS1_25lookback_scan_determinismE0ELb0ES3_N6thrust23THRUST_200600_302600_NS6detail15normal_iteratorINS9_10device_ptrIiEEEESE_SE_iNS9_4plusIvEENS9_8equal_toIiEEiEE10hipError_tPvRmT2_T3_T4_T5_mT6_T7_P12ihipStream_tbENKUlT_T0_E_clISt17integral_constantIbLb0EESY_IbLb1EEEEDaSU_SV_EUlSU_E_NS1_11comp_targetILNS1_3genE3ELNS1_11target_archE908ELNS1_3gpuE7ELNS1_3repE0EEENS1_30default_config_static_selectorELNS0_4arch9wavefront6targetE0EEEvT1_
    .private_segment_fixed_size: 0
    .sgpr_count:     0
    .sgpr_spill_count: 0
    .symbol:         _ZN7rocprim17ROCPRIM_400000_NS6detail17trampoline_kernelINS0_14default_configENS1_27scan_by_key_config_selectorIiiEEZZNS1_16scan_by_key_implILNS1_25lookback_scan_determinismE0ELb0ES3_N6thrust23THRUST_200600_302600_NS6detail15normal_iteratorINS9_10device_ptrIiEEEESE_SE_iNS9_4plusIvEENS9_8equal_toIiEEiEE10hipError_tPvRmT2_T3_T4_T5_mT6_T7_P12ihipStream_tbENKUlT_T0_E_clISt17integral_constantIbLb0EESY_IbLb1EEEEDaSU_SV_EUlSU_E_NS1_11comp_targetILNS1_3genE3ELNS1_11target_archE908ELNS1_3gpuE7ELNS1_3repE0EEENS1_30default_config_static_selectorELNS0_4arch9wavefront6targetE0EEEvT1_.kd
    .uniform_work_group_size: 1
    .uses_dynamic_stack: false
    .vgpr_count:     0
    .vgpr_spill_count: 0
    .wavefront_size: 32
  - .args:
      - .offset:         0
        .size:           112
        .value_kind:     by_value
    .group_segment_fixed_size: 0
    .kernarg_segment_align: 8
    .kernarg_segment_size: 112
    .language:       OpenCL C
    .language_version:
      - 2
      - 0
    .max_flat_workgroup_size: 256
    .name:           _ZN7rocprim17ROCPRIM_400000_NS6detail17trampoline_kernelINS0_14default_configENS1_27scan_by_key_config_selectorIiiEEZZNS1_16scan_by_key_implILNS1_25lookback_scan_determinismE0ELb0ES3_N6thrust23THRUST_200600_302600_NS6detail15normal_iteratorINS9_10device_ptrIiEEEESE_SE_iNS9_4plusIvEENS9_8equal_toIiEEiEE10hipError_tPvRmT2_T3_T4_T5_mT6_T7_P12ihipStream_tbENKUlT_T0_E_clISt17integral_constantIbLb0EESY_IbLb1EEEEDaSU_SV_EUlSU_E_NS1_11comp_targetILNS1_3genE2ELNS1_11target_archE906ELNS1_3gpuE6ELNS1_3repE0EEENS1_30default_config_static_selectorELNS0_4arch9wavefront6targetE0EEEvT1_
    .private_segment_fixed_size: 0
    .sgpr_count:     0
    .sgpr_spill_count: 0
    .symbol:         _ZN7rocprim17ROCPRIM_400000_NS6detail17trampoline_kernelINS0_14default_configENS1_27scan_by_key_config_selectorIiiEEZZNS1_16scan_by_key_implILNS1_25lookback_scan_determinismE0ELb0ES3_N6thrust23THRUST_200600_302600_NS6detail15normal_iteratorINS9_10device_ptrIiEEEESE_SE_iNS9_4plusIvEENS9_8equal_toIiEEiEE10hipError_tPvRmT2_T3_T4_T5_mT6_T7_P12ihipStream_tbENKUlT_T0_E_clISt17integral_constantIbLb0EESY_IbLb1EEEEDaSU_SV_EUlSU_E_NS1_11comp_targetILNS1_3genE2ELNS1_11target_archE906ELNS1_3gpuE6ELNS1_3repE0EEENS1_30default_config_static_selectorELNS0_4arch9wavefront6targetE0EEEvT1_.kd
    .uniform_work_group_size: 1
    .uses_dynamic_stack: false
    .vgpr_count:     0
    .vgpr_spill_count: 0
    .wavefront_size: 32
  - .args:
      - .offset:         0
        .size:           112
        .value_kind:     by_value
    .group_segment_fixed_size: 0
    .kernarg_segment_align: 8
    .kernarg_segment_size: 112
    .language:       OpenCL C
    .language_version:
      - 2
      - 0
    .max_flat_workgroup_size: 256
    .name:           _ZN7rocprim17ROCPRIM_400000_NS6detail17trampoline_kernelINS0_14default_configENS1_27scan_by_key_config_selectorIiiEEZZNS1_16scan_by_key_implILNS1_25lookback_scan_determinismE0ELb0ES3_N6thrust23THRUST_200600_302600_NS6detail15normal_iteratorINS9_10device_ptrIiEEEESE_SE_iNS9_4plusIvEENS9_8equal_toIiEEiEE10hipError_tPvRmT2_T3_T4_T5_mT6_T7_P12ihipStream_tbENKUlT_T0_E_clISt17integral_constantIbLb0EESY_IbLb1EEEEDaSU_SV_EUlSU_E_NS1_11comp_targetILNS1_3genE10ELNS1_11target_archE1200ELNS1_3gpuE4ELNS1_3repE0EEENS1_30default_config_static_selectorELNS0_4arch9wavefront6targetE0EEEvT1_
    .private_segment_fixed_size: 0
    .sgpr_count:     0
    .sgpr_spill_count: 0
    .symbol:         _ZN7rocprim17ROCPRIM_400000_NS6detail17trampoline_kernelINS0_14default_configENS1_27scan_by_key_config_selectorIiiEEZZNS1_16scan_by_key_implILNS1_25lookback_scan_determinismE0ELb0ES3_N6thrust23THRUST_200600_302600_NS6detail15normal_iteratorINS9_10device_ptrIiEEEESE_SE_iNS9_4plusIvEENS9_8equal_toIiEEiEE10hipError_tPvRmT2_T3_T4_T5_mT6_T7_P12ihipStream_tbENKUlT_T0_E_clISt17integral_constantIbLb0EESY_IbLb1EEEEDaSU_SV_EUlSU_E_NS1_11comp_targetILNS1_3genE10ELNS1_11target_archE1200ELNS1_3gpuE4ELNS1_3repE0EEENS1_30default_config_static_selectorELNS0_4arch9wavefront6targetE0EEEvT1_.kd
    .uniform_work_group_size: 1
    .uses_dynamic_stack: false
    .vgpr_count:     0
    .vgpr_spill_count: 0
    .wavefront_size: 32
  - .args:
      - .offset:         0
        .size:           112
        .value_kind:     by_value
    .group_segment_fixed_size: 0
    .kernarg_segment_align: 8
    .kernarg_segment_size: 112
    .language:       OpenCL C
    .language_version:
      - 2
      - 0
    .max_flat_workgroup_size: 256
    .name:           _ZN7rocprim17ROCPRIM_400000_NS6detail17trampoline_kernelINS0_14default_configENS1_27scan_by_key_config_selectorIiiEEZZNS1_16scan_by_key_implILNS1_25lookback_scan_determinismE0ELb0ES3_N6thrust23THRUST_200600_302600_NS6detail15normal_iteratorINS9_10device_ptrIiEEEESE_SE_iNS9_4plusIvEENS9_8equal_toIiEEiEE10hipError_tPvRmT2_T3_T4_T5_mT6_T7_P12ihipStream_tbENKUlT_T0_E_clISt17integral_constantIbLb0EESY_IbLb1EEEEDaSU_SV_EUlSU_E_NS1_11comp_targetILNS1_3genE9ELNS1_11target_archE1100ELNS1_3gpuE3ELNS1_3repE0EEENS1_30default_config_static_selectorELNS0_4arch9wavefront6targetE0EEEvT1_
    .private_segment_fixed_size: 0
    .sgpr_count:     0
    .sgpr_spill_count: 0
    .symbol:         _ZN7rocprim17ROCPRIM_400000_NS6detail17trampoline_kernelINS0_14default_configENS1_27scan_by_key_config_selectorIiiEEZZNS1_16scan_by_key_implILNS1_25lookback_scan_determinismE0ELb0ES3_N6thrust23THRUST_200600_302600_NS6detail15normal_iteratorINS9_10device_ptrIiEEEESE_SE_iNS9_4plusIvEENS9_8equal_toIiEEiEE10hipError_tPvRmT2_T3_T4_T5_mT6_T7_P12ihipStream_tbENKUlT_T0_E_clISt17integral_constantIbLb0EESY_IbLb1EEEEDaSU_SV_EUlSU_E_NS1_11comp_targetILNS1_3genE9ELNS1_11target_archE1100ELNS1_3gpuE3ELNS1_3repE0EEENS1_30default_config_static_selectorELNS0_4arch9wavefront6targetE0EEEvT1_.kd
    .uniform_work_group_size: 1
    .uses_dynamic_stack: false
    .vgpr_count:     0
    .vgpr_spill_count: 0
    .wavefront_size: 32
  - .args:
      - .offset:         0
        .size:           112
        .value_kind:     by_value
    .group_segment_fixed_size: 0
    .kernarg_segment_align: 8
    .kernarg_segment_size: 112
    .language:       OpenCL C
    .language_version:
      - 2
      - 0
    .max_flat_workgroup_size: 256
    .name:           _ZN7rocprim17ROCPRIM_400000_NS6detail17trampoline_kernelINS0_14default_configENS1_27scan_by_key_config_selectorIiiEEZZNS1_16scan_by_key_implILNS1_25lookback_scan_determinismE0ELb0ES3_N6thrust23THRUST_200600_302600_NS6detail15normal_iteratorINS9_10device_ptrIiEEEESE_SE_iNS9_4plusIvEENS9_8equal_toIiEEiEE10hipError_tPvRmT2_T3_T4_T5_mT6_T7_P12ihipStream_tbENKUlT_T0_E_clISt17integral_constantIbLb0EESY_IbLb1EEEEDaSU_SV_EUlSU_E_NS1_11comp_targetILNS1_3genE8ELNS1_11target_archE1030ELNS1_3gpuE2ELNS1_3repE0EEENS1_30default_config_static_selectorELNS0_4arch9wavefront6targetE0EEEvT1_
    .private_segment_fixed_size: 0
    .sgpr_count:     0
    .sgpr_spill_count: 0
    .symbol:         _ZN7rocprim17ROCPRIM_400000_NS6detail17trampoline_kernelINS0_14default_configENS1_27scan_by_key_config_selectorIiiEEZZNS1_16scan_by_key_implILNS1_25lookback_scan_determinismE0ELb0ES3_N6thrust23THRUST_200600_302600_NS6detail15normal_iteratorINS9_10device_ptrIiEEEESE_SE_iNS9_4plusIvEENS9_8equal_toIiEEiEE10hipError_tPvRmT2_T3_T4_T5_mT6_T7_P12ihipStream_tbENKUlT_T0_E_clISt17integral_constantIbLb0EESY_IbLb1EEEEDaSU_SV_EUlSU_E_NS1_11comp_targetILNS1_3genE8ELNS1_11target_archE1030ELNS1_3gpuE2ELNS1_3repE0EEENS1_30default_config_static_selectorELNS0_4arch9wavefront6targetE0EEEvT1_.kd
    .uniform_work_group_size: 1
    .uses_dynamic_stack: false
    .vgpr_count:     0
    .vgpr_spill_count: 0
    .wavefront_size: 32
  - .args:
      - .offset:         0
        .size:           16
        .value_kind:     by_value
      - .offset:         16
        .size:           8
        .value_kind:     by_value
      - .offset:         24
        .size:           8
        .value_kind:     by_value
    .group_segment_fixed_size: 0
    .kernarg_segment_align: 8
    .kernarg_segment_size: 32
    .language:       OpenCL C
    .language_version:
      - 2
      - 0
    .max_flat_workgroup_size: 256
    .name:           _ZN6thrust23THRUST_200600_302600_NS11hip_rocprim14__parallel_for6kernelILj256ENS1_20__uninitialized_fill7functorINS0_10device_ptrIsEEsEEmLj1EEEvT0_T1_SA_
    .private_segment_fixed_size: 0
    .sgpr_count:     14
    .sgpr_spill_count: 0
    .symbol:         _ZN6thrust23THRUST_200600_302600_NS11hip_rocprim14__parallel_for6kernelILj256ENS1_20__uninitialized_fill7functorINS0_10device_ptrIsEEsEEmLj1EEEvT0_T1_SA_.kd
    .uniform_work_group_size: 1
    .uses_dynamic_stack: false
    .vgpr_count:     2
    .vgpr_spill_count: 0
    .wavefront_size: 32
  - .args:
      - .address_space:  global
        .offset:         0
        .size:           8
        .value_kind:     global_buffer
      - .offset:         8
        .size:           4
        .value_kind:     by_value
      - .offset:         12
        .size:           4
        .value_kind:     by_value
      - .address_space:  global
        .offset:         16
        .size:           8
        .value_kind:     global_buffer
      - .address_space:  global
        .offset:         24
        .size:           8
        .value_kind:     global_buffer
      - .actual_access:  write_only
        .address_space:  global
        .offset:         32
        .size:           8
        .value_kind:     global_buffer
      - .offset:         40
        .size:           8
        .value_kind:     by_value
      - .offset:         48
        .size:           4
        .value_kind:     by_value
      - .offset:         52
        .size:           1
        .value_kind:     by_value
      - .offset:         56
        .size:           4
        .value_kind:     hidden_block_count_x
      - .offset:         60
        .size:           4
        .value_kind:     hidden_block_count_y
      - .offset:         64
        .size:           4
        .value_kind:     hidden_block_count_z
      - .offset:         68
        .size:           2
        .value_kind:     hidden_group_size_x
      - .offset:         70
        .size:           2
        .value_kind:     hidden_group_size_y
      - .offset:         72
        .size:           2
        .value_kind:     hidden_group_size_z
      - .offset:         74
        .size:           2
        .value_kind:     hidden_remainder_x
      - .offset:         76
        .size:           2
        .value_kind:     hidden_remainder_y
      - .offset:         78
        .size:           2
        .value_kind:     hidden_remainder_z
      - .offset:         96
        .size:           8
        .value_kind:     hidden_global_offset_x
      - .offset:         104
        .size:           8
        .value_kind:     hidden_global_offset_y
      - .offset:         112
        .size:           8
        .value_kind:     hidden_global_offset_z
      - .offset:         120
        .size:           2
        .value_kind:     hidden_grid_dims
    .group_segment_fixed_size: 0
    .kernarg_segment_align: 8
    .kernarg_segment_size: 312
    .language:       OpenCL C
    .language_version:
      - 2
      - 0
    .max_flat_workgroup_size: 256
    .name:           _ZN7rocprim17ROCPRIM_400000_NS6detail30init_device_scan_by_key_kernelINS1_19lookback_scan_stateINS0_5tupleIJsbEEELb0ELb1EEEN6thrust23THRUST_200600_302600_NS6detail15normal_iteratorINS8_10device_ptrIsEEEEjNS1_16block_id_wrapperIjLb0EEEEEvT_jjPNSG_10value_typeET0_PNSt15iterator_traitsISJ_E10value_typeEmT1_T2_
    .private_segment_fixed_size: 0
    .sgpr_count:     18
    .sgpr_spill_count: 0
    .symbol:         _ZN7rocprim17ROCPRIM_400000_NS6detail30init_device_scan_by_key_kernelINS1_19lookback_scan_stateINS0_5tupleIJsbEEELb0ELb1EEEN6thrust23THRUST_200600_302600_NS6detail15normal_iteratorINS8_10device_ptrIsEEEEjNS1_16block_id_wrapperIjLb0EEEEEvT_jjPNSG_10value_typeET0_PNSt15iterator_traitsISJ_E10value_typeEmT1_T2_.kd
    .uniform_work_group_size: 1
    .uses_dynamic_stack: false
    .vgpr_count:     7
    .vgpr_spill_count: 0
    .wavefront_size: 32
  - .args:
      - .address_space:  global
        .offset:         0
        .size:           8
        .value_kind:     global_buffer
      - .offset:         8
        .size:           4
        .value_kind:     by_value
      - .offset:         12
        .size:           4
        .value_kind:     by_value
      - .address_space:  global
        .offset:         16
        .size:           8
        .value_kind:     global_buffer
      - .offset:         24
        .size:           1
        .value_kind:     by_value
      - .offset:         32
        .size:           4
        .value_kind:     hidden_block_count_x
      - .offset:         36
        .size:           4
        .value_kind:     hidden_block_count_y
      - .offset:         40
        .size:           4
        .value_kind:     hidden_block_count_z
      - .offset:         44
        .size:           2
        .value_kind:     hidden_group_size_x
      - .offset:         46
        .size:           2
        .value_kind:     hidden_group_size_y
      - .offset:         48
        .size:           2
        .value_kind:     hidden_group_size_z
      - .offset:         50
        .size:           2
        .value_kind:     hidden_remainder_x
      - .offset:         52
        .size:           2
        .value_kind:     hidden_remainder_y
      - .offset:         54
        .size:           2
        .value_kind:     hidden_remainder_z
      - .offset:         72
        .size:           8
        .value_kind:     hidden_global_offset_x
      - .offset:         80
        .size:           8
        .value_kind:     hidden_global_offset_y
      - .offset:         88
        .size:           8
        .value_kind:     hidden_global_offset_z
      - .offset:         96
        .size:           2
        .value_kind:     hidden_grid_dims
    .group_segment_fixed_size: 0
    .kernarg_segment_align: 8
    .kernarg_segment_size: 288
    .language:       OpenCL C
    .language_version:
      - 2
      - 0
    .max_flat_workgroup_size: 256
    .name:           _ZN7rocprim17ROCPRIM_400000_NS6detail30init_device_scan_by_key_kernelINS1_19lookback_scan_stateINS0_5tupleIJsbEEELb0ELb1EEENS1_16block_id_wrapperIjLb0EEEEEvT_jjPNS9_10value_typeET0_
    .private_segment_fixed_size: 0
    .sgpr_count:     12
    .sgpr_spill_count: 0
    .symbol:         _ZN7rocprim17ROCPRIM_400000_NS6detail30init_device_scan_by_key_kernelINS1_19lookback_scan_stateINS0_5tupleIJsbEEELb0ELb1EEENS1_16block_id_wrapperIjLb0EEEEEvT_jjPNS9_10value_typeET0_.kd
    .uniform_work_group_size: 1
    .uses_dynamic_stack: false
    .vgpr_count:     5
    .vgpr_spill_count: 0
    .wavefront_size: 32
  - .args:
      - .offset:         0
        .size:           112
        .value_kind:     by_value
    .group_segment_fixed_size: 11264
    .kernarg_segment_align: 8
    .kernarg_segment_size: 112
    .language:       OpenCL C
    .language_version:
      - 2
      - 0
    .max_flat_workgroup_size: 256
    .name:           _ZN7rocprim17ROCPRIM_400000_NS6detail17trampoline_kernelINS0_14default_configENS1_27scan_by_key_config_selectorIssEEZZNS1_16scan_by_key_implILNS1_25lookback_scan_determinismE0ELb0ES3_N6thrust23THRUST_200600_302600_NS6detail15normal_iteratorINS9_10device_ptrIsEEEESE_SE_sNS9_4plusIvEENS9_8equal_toIvEEsEE10hipError_tPvRmT2_T3_T4_T5_mT6_T7_P12ihipStream_tbENKUlT_T0_E_clISt17integral_constantIbLb0EESZ_EEDaSU_SV_EUlSU_E_NS1_11comp_targetILNS1_3genE0ELNS1_11target_archE4294967295ELNS1_3gpuE0ELNS1_3repE0EEENS1_30default_config_static_selectorELNS0_4arch9wavefront6targetE0EEEvT1_
    .private_segment_fixed_size: 0
    .sgpr_count:     52
    .sgpr_spill_count: 0
    .symbol:         _ZN7rocprim17ROCPRIM_400000_NS6detail17trampoline_kernelINS0_14default_configENS1_27scan_by_key_config_selectorIssEEZZNS1_16scan_by_key_implILNS1_25lookback_scan_determinismE0ELb0ES3_N6thrust23THRUST_200600_302600_NS6detail15normal_iteratorINS9_10device_ptrIsEEEESE_SE_sNS9_4plusIvEENS9_8equal_toIvEEsEE10hipError_tPvRmT2_T3_T4_T5_mT6_T7_P12ihipStream_tbENKUlT_T0_E_clISt17integral_constantIbLb0EESZ_EEDaSU_SV_EUlSU_E_NS1_11comp_targetILNS1_3genE0ELNS1_11target_archE4294967295ELNS1_3gpuE0ELNS1_3repE0EEENS1_30default_config_static_selectorELNS0_4arch9wavefront6targetE0EEEvT1_.kd
    .uniform_work_group_size: 1
    .uses_dynamic_stack: false
    .vgpr_count:     58
    .vgpr_spill_count: 0
    .wavefront_size: 32
  - .args:
      - .offset:         0
        .size:           112
        .value_kind:     by_value
    .group_segment_fixed_size: 0
    .kernarg_segment_align: 8
    .kernarg_segment_size: 112
    .language:       OpenCL C
    .language_version:
      - 2
      - 0
    .max_flat_workgroup_size: 128
    .name:           _ZN7rocprim17ROCPRIM_400000_NS6detail17trampoline_kernelINS0_14default_configENS1_27scan_by_key_config_selectorIssEEZZNS1_16scan_by_key_implILNS1_25lookback_scan_determinismE0ELb0ES3_N6thrust23THRUST_200600_302600_NS6detail15normal_iteratorINS9_10device_ptrIsEEEESE_SE_sNS9_4plusIvEENS9_8equal_toIvEEsEE10hipError_tPvRmT2_T3_T4_T5_mT6_T7_P12ihipStream_tbENKUlT_T0_E_clISt17integral_constantIbLb0EESZ_EEDaSU_SV_EUlSU_E_NS1_11comp_targetILNS1_3genE10ELNS1_11target_archE1201ELNS1_3gpuE5ELNS1_3repE0EEENS1_30default_config_static_selectorELNS0_4arch9wavefront6targetE0EEEvT1_
    .private_segment_fixed_size: 0
    .sgpr_count:     0
    .sgpr_spill_count: 0
    .symbol:         _ZN7rocprim17ROCPRIM_400000_NS6detail17trampoline_kernelINS0_14default_configENS1_27scan_by_key_config_selectorIssEEZZNS1_16scan_by_key_implILNS1_25lookback_scan_determinismE0ELb0ES3_N6thrust23THRUST_200600_302600_NS6detail15normal_iteratorINS9_10device_ptrIsEEEESE_SE_sNS9_4plusIvEENS9_8equal_toIvEEsEE10hipError_tPvRmT2_T3_T4_T5_mT6_T7_P12ihipStream_tbENKUlT_T0_E_clISt17integral_constantIbLb0EESZ_EEDaSU_SV_EUlSU_E_NS1_11comp_targetILNS1_3genE10ELNS1_11target_archE1201ELNS1_3gpuE5ELNS1_3repE0EEENS1_30default_config_static_selectorELNS0_4arch9wavefront6targetE0EEEvT1_.kd
    .uniform_work_group_size: 1
    .uses_dynamic_stack: false
    .vgpr_count:     0
    .vgpr_spill_count: 0
    .wavefront_size: 32
  - .args:
      - .offset:         0
        .size:           112
        .value_kind:     by_value
    .group_segment_fixed_size: 0
    .kernarg_segment_align: 8
    .kernarg_segment_size: 112
    .language:       OpenCL C
    .language_version:
      - 2
      - 0
    .max_flat_workgroup_size: 256
    .name:           _ZN7rocprim17ROCPRIM_400000_NS6detail17trampoline_kernelINS0_14default_configENS1_27scan_by_key_config_selectorIssEEZZNS1_16scan_by_key_implILNS1_25lookback_scan_determinismE0ELb0ES3_N6thrust23THRUST_200600_302600_NS6detail15normal_iteratorINS9_10device_ptrIsEEEESE_SE_sNS9_4plusIvEENS9_8equal_toIvEEsEE10hipError_tPvRmT2_T3_T4_T5_mT6_T7_P12ihipStream_tbENKUlT_T0_E_clISt17integral_constantIbLb0EESZ_EEDaSU_SV_EUlSU_E_NS1_11comp_targetILNS1_3genE5ELNS1_11target_archE942ELNS1_3gpuE9ELNS1_3repE0EEENS1_30default_config_static_selectorELNS0_4arch9wavefront6targetE0EEEvT1_
    .private_segment_fixed_size: 0
    .sgpr_count:     0
    .sgpr_spill_count: 0
    .symbol:         _ZN7rocprim17ROCPRIM_400000_NS6detail17trampoline_kernelINS0_14default_configENS1_27scan_by_key_config_selectorIssEEZZNS1_16scan_by_key_implILNS1_25lookback_scan_determinismE0ELb0ES3_N6thrust23THRUST_200600_302600_NS6detail15normal_iteratorINS9_10device_ptrIsEEEESE_SE_sNS9_4plusIvEENS9_8equal_toIvEEsEE10hipError_tPvRmT2_T3_T4_T5_mT6_T7_P12ihipStream_tbENKUlT_T0_E_clISt17integral_constantIbLb0EESZ_EEDaSU_SV_EUlSU_E_NS1_11comp_targetILNS1_3genE5ELNS1_11target_archE942ELNS1_3gpuE9ELNS1_3repE0EEENS1_30default_config_static_selectorELNS0_4arch9wavefront6targetE0EEEvT1_.kd
    .uniform_work_group_size: 1
    .uses_dynamic_stack: false
    .vgpr_count:     0
    .vgpr_spill_count: 0
    .wavefront_size: 32
  - .args:
      - .offset:         0
        .size:           112
        .value_kind:     by_value
    .group_segment_fixed_size: 0
    .kernarg_segment_align: 8
    .kernarg_segment_size: 112
    .language:       OpenCL C
    .language_version:
      - 2
      - 0
    .max_flat_workgroup_size: 256
    .name:           _ZN7rocprim17ROCPRIM_400000_NS6detail17trampoline_kernelINS0_14default_configENS1_27scan_by_key_config_selectorIssEEZZNS1_16scan_by_key_implILNS1_25lookback_scan_determinismE0ELb0ES3_N6thrust23THRUST_200600_302600_NS6detail15normal_iteratorINS9_10device_ptrIsEEEESE_SE_sNS9_4plusIvEENS9_8equal_toIvEEsEE10hipError_tPvRmT2_T3_T4_T5_mT6_T7_P12ihipStream_tbENKUlT_T0_E_clISt17integral_constantIbLb0EESZ_EEDaSU_SV_EUlSU_E_NS1_11comp_targetILNS1_3genE4ELNS1_11target_archE910ELNS1_3gpuE8ELNS1_3repE0EEENS1_30default_config_static_selectorELNS0_4arch9wavefront6targetE0EEEvT1_
    .private_segment_fixed_size: 0
    .sgpr_count:     0
    .sgpr_spill_count: 0
    .symbol:         _ZN7rocprim17ROCPRIM_400000_NS6detail17trampoline_kernelINS0_14default_configENS1_27scan_by_key_config_selectorIssEEZZNS1_16scan_by_key_implILNS1_25lookback_scan_determinismE0ELb0ES3_N6thrust23THRUST_200600_302600_NS6detail15normal_iteratorINS9_10device_ptrIsEEEESE_SE_sNS9_4plusIvEENS9_8equal_toIvEEsEE10hipError_tPvRmT2_T3_T4_T5_mT6_T7_P12ihipStream_tbENKUlT_T0_E_clISt17integral_constantIbLb0EESZ_EEDaSU_SV_EUlSU_E_NS1_11comp_targetILNS1_3genE4ELNS1_11target_archE910ELNS1_3gpuE8ELNS1_3repE0EEENS1_30default_config_static_selectorELNS0_4arch9wavefront6targetE0EEEvT1_.kd
    .uniform_work_group_size: 1
    .uses_dynamic_stack: false
    .vgpr_count:     0
    .vgpr_spill_count: 0
    .wavefront_size: 32
  - .args:
      - .offset:         0
        .size:           112
        .value_kind:     by_value
    .group_segment_fixed_size: 0
    .kernarg_segment_align: 8
    .kernarg_segment_size: 112
    .language:       OpenCL C
    .language_version:
      - 2
      - 0
    .max_flat_workgroup_size: 256
    .name:           _ZN7rocprim17ROCPRIM_400000_NS6detail17trampoline_kernelINS0_14default_configENS1_27scan_by_key_config_selectorIssEEZZNS1_16scan_by_key_implILNS1_25lookback_scan_determinismE0ELb0ES3_N6thrust23THRUST_200600_302600_NS6detail15normal_iteratorINS9_10device_ptrIsEEEESE_SE_sNS9_4plusIvEENS9_8equal_toIvEEsEE10hipError_tPvRmT2_T3_T4_T5_mT6_T7_P12ihipStream_tbENKUlT_T0_E_clISt17integral_constantIbLb0EESZ_EEDaSU_SV_EUlSU_E_NS1_11comp_targetILNS1_3genE3ELNS1_11target_archE908ELNS1_3gpuE7ELNS1_3repE0EEENS1_30default_config_static_selectorELNS0_4arch9wavefront6targetE0EEEvT1_
    .private_segment_fixed_size: 0
    .sgpr_count:     0
    .sgpr_spill_count: 0
    .symbol:         _ZN7rocprim17ROCPRIM_400000_NS6detail17trampoline_kernelINS0_14default_configENS1_27scan_by_key_config_selectorIssEEZZNS1_16scan_by_key_implILNS1_25lookback_scan_determinismE0ELb0ES3_N6thrust23THRUST_200600_302600_NS6detail15normal_iteratorINS9_10device_ptrIsEEEESE_SE_sNS9_4plusIvEENS9_8equal_toIvEEsEE10hipError_tPvRmT2_T3_T4_T5_mT6_T7_P12ihipStream_tbENKUlT_T0_E_clISt17integral_constantIbLb0EESZ_EEDaSU_SV_EUlSU_E_NS1_11comp_targetILNS1_3genE3ELNS1_11target_archE908ELNS1_3gpuE7ELNS1_3repE0EEENS1_30default_config_static_selectorELNS0_4arch9wavefront6targetE0EEEvT1_.kd
    .uniform_work_group_size: 1
    .uses_dynamic_stack: false
    .vgpr_count:     0
    .vgpr_spill_count: 0
    .wavefront_size: 32
  - .args:
      - .offset:         0
        .size:           112
        .value_kind:     by_value
    .group_segment_fixed_size: 0
    .kernarg_segment_align: 8
    .kernarg_segment_size: 112
    .language:       OpenCL C
    .language_version:
      - 2
      - 0
    .max_flat_workgroup_size: 64
    .name:           _ZN7rocprim17ROCPRIM_400000_NS6detail17trampoline_kernelINS0_14default_configENS1_27scan_by_key_config_selectorIssEEZZNS1_16scan_by_key_implILNS1_25lookback_scan_determinismE0ELb0ES3_N6thrust23THRUST_200600_302600_NS6detail15normal_iteratorINS9_10device_ptrIsEEEESE_SE_sNS9_4plusIvEENS9_8equal_toIvEEsEE10hipError_tPvRmT2_T3_T4_T5_mT6_T7_P12ihipStream_tbENKUlT_T0_E_clISt17integral_constantIbLb0EESZ_EEDaSU_SV_EUlSU_E_NS1_11comp_targetILNS1_3genE2ELNS1_11target_archE906ELNS1_3gpuE6ELNS1_3repE0EEENS1_30default_config_static_selectorELNS0_4arch9wavefront6targetE0EEEvT1_
    .private_segment_fixed_size: 0
    .sgpr_count:     0
    .sgpr_spill_count: 0
    .symbol:         _ZN7rocprim17ROCPRIM_400000_NS6detail17trampoline_kernelINS0_14default_configENS1_27scan_by_key_config_selectorIssEEZZNS1_16scan_by_key_implILNS1_25lookback_scan_determinismE0ELb0ES3_N6thrust23THRUST_200600_302600_NS6detail15normal_iteratorINS9_10device_ptrIsEEEESE_SE_sNS9_4plusIvEENS9_8equal_toIvEEsEE10hipError_tPvRmT2_T3_T4_T5_mT6_T7_P12ihipStream_tbENKUlT_T0_E_clISt17integral_constantIbLb0EESZ_EEDaSU_SV_EUlSU_E_NS1_11comp_targetILNS1_3genE2ELNS1_11target_archE906ELNS1_3gpuE6ELNS1_3repE0EEENS1_30default_config_static_selectorELNS0_4arch9wavefront6targetE0EEEvT1_.kd
    .uniform_work_group_size: 1
    .uses_dynamic_stack: false
    .vgpr_count:     0
    .vgpr_spill_count: 0
    .wavefront_size: 32
  - .args:
      - .offset:         0
        .size:           112
        .value_kind:     by_value
    .group_segment_fixed_size: 0
    .kernarg_segment_align: 8
    .kernarg_segment_size: 112
    .language:       OpenCL C
    .language_version:
      - 2
      - 0
    .max_flat_workgroup_size: 256
    .name:           _ZN7rocprim17ROCPRIM_400000_NS6detail17trampoline_kernelINS0_14default_configENS1_27scan_by_key_config_selectorIssEEZZNS1_16scan_by_key_implILNS1_25lookback_scan_determinismE0ELb0ES3_N6thrust23THRUST_200600_302600_NS6detail15normal_iteratorINS9_10device_ptrIsEEEESE_SE_sNS9_4plusIvEENS9_8equal_toIvEEsEE10hipError_tPvRmT2_T3_T4_T5_mT6_T7_P12ihipStream_tbENKUlT_T0_E_clISt17integral_constantIbLb0EESZ_EEDaSU_SV_EUlSU_E_NS1_11comp_targetILNS1_3genE10ELNS1_11target_archE1200ELNS1_3gpuE4ELNS1_3repE0EEENS1_30default_config_static_selectorELNS0_4arch9wavefront6targetE0EEEvT1_
    .private_segment_fixed_size: 0
    .sgpr_count:     0
    .sgpr_spill_count: 0
    .symbol:         _ZN7rocprim17ROCPRIM_400000_NS6detail17trampoline_kernelINS0_14default_configENS1_27scan_by_key_config_selectorIssEEZZNS1_16scan_by_key_implILNS1_25lookback_scan_determinismE0ELb0ES3_N6thrust23THRUST_200600_302600_NS6detail15normal_iteratorINS9_10device_ptrIsEEEESE_SE_sNS9_4plusIvEENS9_8equal_toIvEEsEE10hipError_tPvRmT2_T3_T4_T5_mT6_T7_P12ihipStream_tbENKUlT_T0_E_clISt17integral_constantIbLb0EESZ_EEDaSU_SV_EUlSU_E_NS1_11comp_targetILNS1_3genE10ELNS1_11target_archE1200ELNS1_3gpuE4ELNS1_3repE0EEENS1_30default_config_static_selectorELNS0_4arch9wavefront6targetE0EEEvT1_.kd
    .uniform_work_group_size: 1
    .uses_dynamic_stack: false
    .vgpr_count:     0
    .vgpr_spill_count: 0
    .wavefront_size: 32
  - .args:
      - .offset:         0
        .size:           112
        .value_kind:     by_value
    .group_segment_fixed_size: 0
    .kernarg_segment_align: 8
    .kernarg_segment_size: 112
    .language:       OpenCL C
    .language_version:
      - 2
      - 0
    .max_flat_workgroup_size: 256
    .name:           _ZN7rocprim17ROCPRIM_400000_NS6detail17trampoline_kernelINS0_14default_configENS1_27scan_by_key_config_selectorIssEEZZNS1_16scan_by_key_implILNS1_25lookback_scan_determinismE0ELb0ES3_N6thrust23THRUST_200600_302600_NS6detail15normal_iteratorINS9_10device_ptrIsEEEESE_SE_sNS9_4plusIvEENS9_8equal_toIvEEsEE10hipError_tPvRmT2_T3_T4_T5_mT6_T7_P12ihipStream_tbENKUlT_T0_E_clISt17integral_constantIbLb0EESZ_EEDaSU_SV_EUlSU_E_NS1_11comp_targetILNS1_3genE9ELNS1_11target_archE1100ELNS1_3gpuE3ELNS1_3repE0EEENS1_30default_config_static_selectorELNS0_4arch9wavefront6targetE0EEEvT1_
    .private_segment_fixed_size: 0
    .sgpr_count:     0
    .sgpr_spill_count: 0
    .symbol:         _ZN7rocprim17ROCPRIM_400000_NS6detail17trampoline_kernelINS0_14default_configENS1_27scan_by_key_config_selectorIssEEZZNS1_16scan_by_key_implILNS1_25lookback_scan_determinismE0ELb0ES3_N6thrust23THRUST_200600_302600_NS6detail15normal_iteratorINS9_10device_ptrIsEEEESE_SE_sNS9_4plusIvEENS9_8equal_toIvEEsEE10hipError_tPvRmT2_T3_T4_T5_mT6_T7_P12ihipStream_tbENKUlT_T0_E_clISt17integral_constantIbLb0EESZ_EEDaSU_SV_EUlSU_E_NS1_11comp_targetILNS1_3genE9ELNS1_11target_archE1100ELNS1_3gpuE3ELNS1_3repE0EEENS1_30default_config_static_selectorELNS0_4arch9wavefront6targetE0EEEvT1_.kd
    .uniform_work_group_size: 1
    .uses_dynamic_stack: false
    .vgpr_count:     0
    .vgpr_spill_count: 0
    .wavefront_size: 32
  - .args:
      - .offset:         0
        .size:           112
        .value_kind:     by_value
    .group_segment_fixed_size: 0
    .kernarg_segment_align: 8
    .kernarg_segment_size: 112
    .language:       OpenCL C
    .language_version:
      - 2
      - 0
    .max_flat_workgroup_size: 64
    .name:           _ZN7rocprim17ROCPRIM_400000_NS6detail17trampoline_kernelINS0_14default_configENS1_27scan_by_key_config_selectorIssEEZZNS1_16scan_by_key_implILNS1_25lookback_scan_determinismE0ELb0ES3_N6thrust23THRUST_200600_302600_NS6detail15normal_iteratorINS9_10device_ptrIsEEEESE_SE_sNS9_4plusIvEENS9_8equal_toIvEEsEE10hipError_tPvRmT2_T3_T4_T5_mT6_T7_P12ihipStream_tbENKUlT_T0_E_clISt17integral_constantIbLb0EESZ_EEDaSU_SV_EUlSU_E_NS1_11comp_targetILNS1_3genE8ELNS1_11target_archE1030ELNS1_3gpuE2ELNS1_3repE0EEENS1_30default_config_static_selectorELNS0_4arch9wavefront6targetE0EEEvT1_
    .private_segment_fixed_size: 0
    .sgpr_count:     0
    .sgpr_spill_count: 0
    .symbol:         _ZN7rocprim17ROCPRIM_400000_NS6detail17trampoline_kernelINS0_14default_configENS1_27scan_by_key_config_selectorIssEEZZNS1_16scan_by_key_implILNS1_25lookback_scan_determinismE0ELb0ES3_N6thrust23THRUST_200600_302600_NS6detail15normal_iteratorINS9_10device_ptrIsEEEESE_SE_sNS9_4plusIvEENS9_8equal_toIvEEsEE10hipError_tPvRmT2_T3_T4_T5_mT6_T7_P12ihipStream_tbENKUlT_T0_E_clISt17integral_constantIbLb0EESZ_EEDaSU_SV_EUlSU_E_NS1_11comp_targetILNS1_3genE8ELNS1_11target_archE1030ELNS1_3gpuE2ELNS1_3repE0EEENS1_30default_config_static_selectorELNS0_4arch9wavefront6targetE0EEEvT1_.kd
    .uniform_work_group_size: 1
    .uses_dynamic_stack: false
    .vgpr_count:     0
    .vgpr_spill_count: 0
    .wavefront_size: 32
  - .args:
      - .address_space:  global
        .offset:         0
        .size:           8
        .value_kind:     global_buffer
      - .offset:         8
        .size:           4
        .value_kind:     by_value
      - .offset:         12
        .size:           4
        .value_kind:     by_value
      - .address_space:  global
        .offset:         16
        .size:           8
        .value_kind:     global_buffer
      - .address_space:  global
        .offset:         24
        .size:           8
        .value_kind:     global_buffer
      - .actual_access:  write_only
        .address_space:  global
        .offset:         32
        .size:           8
        .value_kind:     global_buffer
      - .offset:         40
        .size:           8
        .value_kind:     by_value
      - .offset:         48
        .size:           4
        .value_kind:     by_value
      - .address_space:  global
        .offset:         56
        .size:           8
        .value_kind:     global_buffer
      - .offset:         64
        .size:           4
        .value_kind:     hidden_block_count_x
      - .offset:         68
        .size:           4
        .value_kind:     hidden_block_count_y
      - .offset:         72
        .size:           4
        .value_kind:     hidden_block_count_z
      - .offset:         76
        .size:           2
        .value_kind:     hidden_group_size_x
      - .offset:         78
        .size:           2
        .value_kind:     hidden_group_size_y
      - .offset:         80
        .size:           2
        .value_kind:     hidden_group_size_z
      - .offset:         82
        .size:           2
        .value_kind:     hidden_remainder_x
      - .offset:         84
        .size:           2
        .value_kind:     hidden_remainder_y
      - .offset:         86
        .size:           2
        .value_kind:     hidden_remainder_z
      - .offset:         104
        .size:           8
        .value_kind:     hidden_global_offset_x
      - .offset:         112
        .size:           8
        .value_kind:     hidden_global_offset_y
      - .offset:         120
        .size:           8
        .value_kind:     hidden_global_offset_z
      - .offset:         128
        .size:           2
        .value_kind:     hidden_grid_dims
    .group_segment_fixed_size: 0
    .kernarg_segment_align: 8
    .kernarg_segment_size: 320
    .language:       OpenCL C
    .language_version:
      - 2
      - 0
    .max_flat_workgroup_size: 256
    .name:           _ZN7rocprim17ROCPRIM_400000_NS6detail30init_device_scan_by_key_kernelINS1_19lookback_scan_stateINS0_5tupleIJsbEEELb1ELb1EEEN6thrust23THRUST_200600_302600_NS6detail15normal_iteratorINS8_10device_ptrIsEEEEjNS1_16block_id_wrapperIjLb1EEEEEvT_jjPNSG_10value_typeET0_PNSt15iterator_traitsISJ_E10value_typeEmT1_T2_
    .private_segment_fixed_size: 0
    .sgpr_count:     18
    .sgpr_spill_count: 0
    .symbol:         _ZN7rocprim17ROCPRIM_400000_NS6detail30init_device_scan_by_key_kernelINS1_19lookback_scan_stateINS0_5tupleIJsbEEELb1ELb1EEEN6thrust23THRUST_200600_302600_NS6detail15normal_iteratorINS8_10device_ptrIsEEEEjNS1_16block_id_wrapperIjLb1EEEEEvT_jjPNSG_10value_typeET0_PNSt15iterator_traitsISJ_E10value_typeEmT1_T2_.kd
    .uniform_work_group_size: 1
    .uses_dynamic_stack: false
    .vgpr_count:     7
    .vgpr_spill_count: 0
    .wavefront_size: 32
  - .args:
      - .address_space:  global
        .offset:         0
        .size:           8
        .value_kind:     global_buffer
      - .offset:         8
        .size:           4
        .value_kind:     by_value
      - .offset:         12
        .size:           4
        .value_kind:     by_value
      - .address_space:  global
        .offset:         16
        .size:           8
        .value_kind:     global_buffer
      - .address_space:  global
        .offset:         24
        .size:           8
        .value_kind:     global_buffer
      - .offset:         32
        .size:           4
        .value_kind:     hidden_block_count_x
      - .offset:         36
        .size:           4
        .value_kind:     hidden_block_count_y
      - .offset:         40
        .size:           4
        .value_kind:     hidden_block_count_z
      - .offset:         44
        .size:           2
        .value_kind:     hidden_group_size_x
      - .offset:         46
        .size:           2
        .value_kind:     hidden_group_size_y
      - .offset:         48
        .size:           2
        .value_kind:     hidden_group_size_z
      - .offset:         50
        .size:           2
        .value_kind:     hidden_remainder_x
      - .offset:         52
        .size:           2
        .value_kind:     hidden_remainder_y
      - .offset:         54
        .size:           2
        .value_kind:     hidden_remainder_z
      - .offset:         72
        .size:           8
        .value_kind:     hidden_global_offset_x
      - .offset:         80
        .size:           8
        .value_kind:     hidden_global_offset_y
      - .offset:         88
        .size:           8
        .value_kind:     hidden_global_offset_z
      - .offset:         96
        .size:           2
        .value_kind:     hidden_grid_dims
    .group_segment_fixed_size: 0
    .kernarg_segment_align: 8
    .kernarg_segment_size: 288
    .language:       OpenCL C
    .language_version:
      - 2
      - 0
    .max_flat_workgroup_size: 256
    .name:           _ZN7rocprim17ROCPRIM_400000_NS6detail30init_device_scan_by_key_kernelINS1_19lookback_scan_stateINS0_5tupleIJsbEEELb1ELb1EEENS1_16block_id_wrapperIjLb1EEEEEvT_jjPNS9_10value_typeET0_
    .private_segment_fixed_size: 0
    .sgpr_count:     14
    .sgpr_spill_count: 0
    .symbol:         _ZN7rocprim17ROCPRIM_400000_NS6detail30init_device_scan_by_key_kernelINS1_19lookback_scan_stateINS0_5tupleIJsbEEELb1ELb1EEENS1_16block_id_wrapperIjLb1EEEEEvT_jjPNS9_10value_typeET0_.kd
    .uniform_work_group_size: 1
    .uses_dynamic_stack: false
    .vgpr_count:     5
    .vgpr_spill_count: 0
    .wavefront_size: 32
  - .args:
      - .offset:         0
        .size:           112
        .value_kind:     by_value
    .group_segment_fixed_size: 0
    .kernarg_segment_align: 8
    .kernarg_segment_size: 112
    .language:       OpenCL C
    .language_version:
      - 2
      - 0
    .max_flat_workgroup_size: 256
    .name:           _ZN7rocprim17ROCPRIM_400000_NS6detail17trampoline_kernelINS0_14default_configENS1_27scan_by_key_config_selectorIssEEZZNS1_16scan_by_key_implILNS1_25lookback_scan_determinismE0ELb0ES3_N6thrust23THRUST_200600_302600_NS6detail15normal_iteratorINS9_10device_ptrIsEEEESE_SE_sNS9_4plusIvEENS9_8equal_toIvEEsEE10hipError_tPvRmT2_T3_T4_T5_mT6_T7_P12ihipStream_tbENKUlT_T0_E_clISt17integral_constantIbLb1EESZ_EEDaSU_SV_EUlSU_E_NS1_11comp_targetILNS1_3genE0ELNS1_11target_archE4294967295ELNS1_3gpuE0ELNS1_3repE0EEENS1_30default_config_static_selectorELNS0_4arch9wavefront6targetE0EEEvT1_
    .private_segment_fixed_size: 0
    .sgpr_count:     0
    .sgpr_spill_count: 0
    .symbol:         _ZN7rocprim17ROCPRIM_400000_NS6detail17trampoline_kernelINS0_14default_configENS1_27scan_by_key_config_selectorIssEEZZNS1_16scan_by_key_implILNS1_25lookback_scan_determinismE0ELb0ES3_N6thrust23THRUST_200600_302600_NS6detail15normal_iteratorINS9_10device_ptrIsEEEESE_SE_sNS9_4plusIvEENS9_8equal_toIvEEsEE10hipError_tPvRmT2_T3_T4_T5_mT6_T7_P12ihipStream_tbENKUlT_T0_E_clISt17integral_constantIbLb1EESZ_EEDaSU_SV_EUlSU_E_NS1_11comp_targetILNS1_3genE0ELNS1_11target_archE4294967295ELNS1_3gpuE0ELNS1_3repE0EEENS1_30default_config_static_selectorELNS0_4arch9wavefront6targetE0EEEvT1_.kd
    .uniform_work_group_size: 1
    .uses_dynamic_stack: false
    .vgpr_count:     0
    .vgpr_spill_count: 0
    .wavefront_size: 32
  - .args:
      - .offset:         0
        .size:           112
        .value_kind:     by_value
    .group_segment_fixed_size: 0
    .kernarg_segment_align: 8
    .kernarg_segment_size: 112
    .language:       OpenCL C
    .language_version:
      - 2
      - 0
    .max_flat_workgroup_size: 128
    .name:           _ZN7rocprim17ROCPRIM_400000_NS6detail17trampoline_kernelINS0_14default_configENS1_27scan_by_key_config_selectorIssEEZZNS1_16scan_by_key_implILNS1_25lookback_scan_determinismE0ELb0ES3_N6thrust23THRUST_200600_302600_NS6detail15normal_iteratorINS9_10device_ptrIsEEEESE_SE_sNS9_4plusIvEENS9_8equal_toIvEEsEE10hipError_tPvRmT2_T3_T4_T5_mT6_T7_P12ihipStream_tbENKUlT_T0_E_clISt17integral_constantIbLb1EESZ_EEDaSU_SV_EUlSU_E_NS1_11comp_targetILNS1_3genE10ELNS1_11target_archE1201ELNS1_3gpuE5ELNS1_3repE0EEENS1_30default_config_static_selectorELNS0_4arch9wavefront6targetE0EEEvT1_
    .private_segment_fixed_size: 0
    .sgpr_count:     0
    .sgpr_spill_count: 0
    .symbol:         _ZN7rocprim17ROCPRIM_400000_NS6detail17trampoline_kernelINS0_14default_configENS1_27scan_by_key_config_selectorIssEEZZNS1_16scan_by_key_implILNS1_25lookback_scan_determinismE0ELb0ES3_N6thrust23THRUST_200600_302600_NS6detail15normal_iteratorINS9_10device_ptrIsEEEESE_SE_sNS9_4plusIvEENS9_8equal_toIvEEsEE10hipError_tPvRmT2_T3_T4_T5_mT6_T7_P12ihipStream_tbENKUlT_T0_E_clISt17integral_constantIbLb1EESZ_EEDaSU_SV_EUlSU_E_NS1_11comp_targetILNS1_3genE10ELNS1_11target_archE1201ELNS1_3gpuE5ELNS1_3repE0EEENS1_30default_config_static_selectorELNS0_4arch9wavefront6targetE0EEEvT1_.kd
    .uniform_work_group_size: 1
    .uses_dynamic_stack: false
    .vgpr_count:     0
    .vgpr_spill_count: 0
    .wavefront_size: 32
  - .args:
      - .offset:         0
        .size:           112
        .value_kind:     by_value
    .group_segment_fixed_size: 0
    .kernarg_segment_align: 8
    .kernarg_segment_size: 112
    .language:       OpenCL C
    .language_version:
      - 2
      - 0
    .max_flat_workgroup_size: 256
    .name:           _ZN7rocprim17ROCPRIM_400000_NS6detail17trampoline_kernelINS0_14default_configENS1_27scan_by_key_config_selectorIssEEZZNS1_16scan_by_key_implILNS1_25lookback_scan_determinismE0ELb0ES3_N6thrust23THRUST_200600_302600_NS6detail15normal_iteratorINS9_10device_ptrIsEEEESE_SE_sNS9_4plusIvEENS9_8equal_toIvEEsEE10hipError_tPvRmT2_T3_T4_T5_mT6_T7_P12ihipStream_tbENKUlT_T0_E_clISt17integral_constantIbLb1EESZ_EEDaSU_SV_EUlSU_E_NS1_11comp_targetILNS1_3genE5ELNS1_11target_archE942ELNS1_3gpuE9ELNS1_3repE0EEENS1_30default_config_static_selectorELNS0_4arch9wavefront6targetE0EEEvT1_
    .private_segment_fixed_size: 0
    .sgpr_count:     0
    .sgpr_spill_count: 0
    .symbol:         _ZN7rocprim17ROCPRIM_400000_NS6detail17trampoline_kernelINS0_14default_configENS1_27scan_by_key_config_selectorIssEEZZNS1_16scan_by_key_implILNS1_25lookback_scan_determinismE0ELb0ES3_N6thrust23THRUST_200600_302600_NS6detail15normal_iteratorINS9_10device_ptrIsEEEESE_SE_sNS9_4plusIvEENS9_8equal_toIvEEsEE10hipError_tPvRmT2_T3_T4_T5_mT6_T7_P12ihipStream_tbENKUlT_T0_E_clISt17integral_constantIbLb1EESZ_EEDaSU_SV_EUlSU_E_NS1_11comp_targetILNS1_3genE5ELNS1_11target_archE942ELNS1_3gpuE9ELNS1_3repE0EEENS1_30default_config_static_selectorELNS0_4arch9wavefront6targetE0EEEvT1_.kd
    .uniform_work_group_size: 1
    .uses_dynamic_stack: false
    .vgpr_count:     0
    .vgpr_spill_count: 0
    .wavefront_size: 32
  - .args:
      - .offset:         0
        .size:           112
        .value_kind:     by_value
    .group_segment_fixed_size: 0
    .kernarg_segment_align: 8
    .kernarg_segment_size: 112
    .language:       OpenCL C
    .language_version:
      - 2
      - 0
    .max_flat_workgroup_size: 256
    .name:           _ZN7rocprim17ROCPRIM_400000_NS6detail17trampoline_kernelINS0_14default_configENS1_27scan_by_key_config_selectorIssEEZZNS1_16scan_by_key_implILNS1_25lookback_scan_determinismE0ELb0ES3_N6thrust23THRUST_200600_302600_NS6detail15normal_iteratorINS9_10device_ptrIsEEEESE_SE_sNS9_4plusIvEENS9_8equal_toIvEEsEE10hipError_tPvRmT2_T3_T4_T5_mT6_T7_P12ihipStream_tbENKUlT_T0_E_clISt17integral_constantIbLb1EESZ_EEDaSU_SV_EUlSU_E_NS1_11comp_targetILNS1_3genE4ELNS1_11target_archE910ELNS1_3gpuE8ELNS1_3repE0EEENS1_30default_config_static_selectorELNS0_4arch9wavefront6targetE0EEEvT1_
    .private_segment_fixed_size: 0
    .sgpr_count:     0
    .sgpr_spill_count: 0
    .symbol:         _ZN7rocprim17ROCPRIM_400000_NS6detail17trampoline_kernelINS0_14default_configENS1_27scan_by_key_config_selectorIssEEZZNS1_16scan_by_key_implILNS1_25lookback_scan_determinismE0ELb0ES3_N6thrust23THRUST_200600_302600_NS6detail15normal_iteratorINS9_10device_ptrIsEEEESE_SE_sNS9_4plusIvEENS9_8equal_toIvEEsEE10hipError_tPvRmT2_T3_T4_T5_mT6_T7_P12ihipStream_tbENKUlT_T0_E_clISt17integral_constantIbLb1EESZ_EEDaSU_SV_EUlSU_E_NS1_11comp_targetILNS1_3genE4ELNS1_11target_archE910ELNS1_3gpuE8ELNS1_3repE0EEENS1_30default_config_static_selectorELNS0_4arch9wavefront6targetE0EEEvT1_.kd
    .uniform_work_group_size: 1
    .uses_dynamic_stack: false
    .vgpr_count:     0
    .vgpr_spill_count: 0
    .wavefront_size: 32
  - .args:
      - .offset:         0
        .size:           112
        .value_kind:     by_value
    .group_segment_fixed_size: 0
    .kernarg_segment_align: 8
    .kernarg_segment_size: 112
    .language:       OpenCL C
    .language_version:
      - 2
      - 0
    .max_flat_workgroup_size: 256
    .name:           _ZN7rocprim17ROCPRIM_400000_NS6detail17trampoline_kernelINS0_14default_configENS1_27scan_by_key_config_selectorIssEEZZNS1_16scan_by_key_implILNS1_25lookback_scan_determinismE0ELb0ES3_N6thrust23THRUST_200600_302600_NS6detail15normal_iteratorINS9_10device_ptrIsEEEESE_SE_sNS9_4plusIvEENS9_8equal_toIvEEsEE10hipError_tPvRmT2_T3_T4_T5_mT6_T7_P12ihipStream_tbENKUlT_T0_E_clISt17integral_constantIbLb1EESZ_EEDaSU_SV_EUlSU_E_NS1_11comp_targetILNS1_3genE3ELNS1_11target_archE908ELNS1_3gpuE7ELNS1_3repE0EEENS1_30default_config_static_selectorELNS0_4arch9wavefront6targetE0EEEvT1_
    .private_segment_fixed_size: 0
    .sgpr_count:     0
    .sgpr_spill_count: 0
    .symbol:         _ZN7rocprim17ROCPRIM_400000_NS6detail17trampoline_kernelINS0_14default_configENS1_27scan_by_key_config_selectorIssEEZZNS1_16scan_by_key_implILNS1_25lookback_scan_determinismE0ELb0ES3_N6thrust23THRUST_200600_302600_NS6detail15normal_iteratorINS9_10device_ptrIsEEEESE_SE_sNS9_4plusIvEENS9_8equal_toIvEEsEE10hipError_tPvRmT2_T3_T4_T5_mT6_T7_P12ihipStream_tbENKUlT_T0_E_clISt17integral_constantIbLb1EESZ_EEDaSU_SV_EUlSU_E_NS1_11comp_targetILNS1_3genE3ELNS1_11target_archE908ELNS1_3gpuE7ELNS1_3repE0EEENS1_30default_config_static_selectorELNS0_4arch9wavefront6targetE0EEEvT1_.kd
    .uniform_work_group_size: 1
    .uses_dynamic_stack: false
    .vgpr_count:     0
    .vgpr_spill_count: 0
    .wavefront_size: 32
  - .args:
      - .offset:         0
        .size:           112
        .value_kind:     by_value
    .group_segment_fixed_size: 0
    .kernarg_segment_align: 8
    .kernarg_segment_size: 112
    .language:       OpenCL C
    .language_version:
      - 2
      - 0
    .max_flat_workgroup_size: 64
    .name:           _ZN7rocprim17ROCPRIM_400000_NS6detail17trampoline_kernelINS0_14default_configENS1_27scan_by_key_config_selectorIssEEZZNS1_16scan_by_key_implILNS1_25lookback_scan_determinismE0ELb0ES3_N6thrust23THRUST_200600_302600_NS6detail15normal_iteratorINS9_10device_ptrIsEEEESE_SE_sNS9_4plusIvEENS9_8equal_toIvEEsEE10hipError_tPvRmT2_T3_T4_T5_mT6_T7_P12ihipStream_tbENKUlT_T0_E_clISt17integral_constantIbLb1EESZ_EEDaSU_SV_EUlSU_E_NS1_11comp_targetILNS1_3genE2ELNS1_11target_archE906ELNS1_3gpuE6ELNS1_3repE0EEENS1_30default_config_static_selectorELNS0_4arch9wavefront6targetE0EEEvT1_
    .private_segment_fixed_size: 0
    .sgpr_count:     0
    .sgpr_spill_count: 0
    .symbol:         _ZN7rocprim17ROCPRIM_400000_NS6detail17trampoline_kernelINS0_14default_configENS1_27scan_by_key_config_selectorIssEEZZNS1_16scan_by_key_implILNS1_25lookback_scan_determinismE0ELb0ES3_N6thrust23THRUST_200600_302600_NS6detail15normal_iteratorINS9_10device_ptrIsEEEESE_SE_sNS9_4plusIvEENS9_8equal_toIvEEsEE10hipError_tPvRmT2_T3_T4_T5_mT6_T7_P12ihipStream_tbENKUlT_T0_E_clISt17integral_constantIbLb1EESZ_EEDaSU_SV_EUlSU_E_NS1_11comp_targetILNS1_3genE2ELNS1_11target_archE906ELNS1_3gpuE6ELNS1_3repE0EEENS1_30default_config_static_selectorELNS0_4arch9wavefront6targetE0EEEvT1_.kd
    .uniform_work_group_size: 1
    .uses_dynamic_stack: false
    .vgpr_count:     0
    .vgpr_spill_count: 0
    .wavefront_size: 32
  - .args:
      - .offset:         0
        .size:           112
        .value_kind:     by_value
    .group_segment_fixed_size: 0
    .kernarg_segment_align: 8
    .kernarg_segment_size: 112
    .language:       OpenCL C
    .language_version:
      - 2
      - 0
    .max_flat_workgroup_size: 256
    .name:           _ZN7rocprim17ROCPRIM_400000_NS6detail17trampoline_kernelINS0_14default_configENS1_27scan_by_key_config_selectorIssEEZZNS1_16scan_by_key_implILNS1_25lookback_scan_determinismE0ELb0ES3_N6thrust23THRUST_200600_302600_NS6detail15normal_iteratorINS9_10device_ptrIsEEEESE_SE_sNS9_4plusIvEENS9_8equal_toIvEEsEE10hipError_tPvRmT2_T3_T4_T5_mT6_T7_P12ihipStream_tbENKUlT_T0_E_clISt17integral_constantIbLb1EESZ_EEDaSU_SV_EUlSU_E_NS1_11comp_targetILNS1_3genE10ELNS1_11target_archE1200ELNS1_3gpuE4ELNS1_3repE0EEENS1_30default_config_static_selectorELNS0_4arch9wavefront6targetE0EEEvT1_
    .private_segment_fixed_size: 0
    .sgpr_count:     0
    .sgpr_spill_count: 0
    .symbol:         _ZN7rocprim17ROCPRIM_400000_NS6detail17trampoline_kernelINS0_14default_configENS1_27scan_by_key_config_selectorIssEEZZNS1_16scan_by_key_implILNS1_25lookback_scan_determinismE0ELb0ES3_N6thrust23THRUST_200600_302600_NS6detail15normal_iteratorINS9_10device_ptrIsEEEESE_SE_sNS9_4plusIvEENS9_8equal_toIvEEsEE10hipError_tPvRmT2_T3_T4_T5_mT6_T7_P12ihipStream_tbENKUlT_T0_E_clISt17integral_constantIbLb1EESZ_EEDaSU_SV_EUlSU_E_NS1_11comp_targetILNS1_3genE10ELNS1_11target_archE1200ELNS1_3gpuE4ELNS1_3repE0EEENS1_30default_config_static_selectorELNS0_4arch9wavefront6targetE0EEEvT1_.kd
    .uniform_work_group_size: 1
    .uses_dynamic_stack: false
    .vgpr_count:     0
    .vgpr_spill_count: 0
    .wavefront_size: 32
  - .args:
      - .offset:         0
        .size:           112
        .value_kind:     by_value
    .group_segment_fixed_size: 0
    .kernarg_segment_align: 8
    .kernarg_segment_size: 112
    .language:       OpenCL C
    .language_version:
      - 2
      - 0
    .max_flat_workgroup_size: 256
    .name:           _ZN7rocprim17ROCPRIM_400000_NS6detail17trampoline_kernelINS0_14default_configENS1_27scan_by_key_config_selectorIssEEZZNS1_16scan_by_key_implILNS1_25lookback_scan_determinismE0ELb0ES3_N6thrust23THRUST_200600_302600_NS6detail15normal_iteratorINS9_10device_ptrIsEEEESE_SE_sNS9_4plusIvEENS9_8equal_toIvEEsEE10hipError_tPvRmT2_T3_T4_T5_mT6_T7_P12ihipStream_tbENKUlT_T0_E_clISt17integral_constantIbLb1EESZ_EEDaSU_SV_EUlSU_E_NS1_11comp_targetILNS1_3genE9ELNS1_11target_archE1100ELNS1_3gpuE3ELNS1_3repE0EEENS1_30default_config_static_selectorELNS0_4arch9wavefront6targetE0EEEvT1_
    .private_segment_fixed_size: 0
    .sgpr_count:     0
    .sgpr_spill_count: 0
    .symbol:         _ZN7rocprim17ROCPRIM_400000_NS6detail17trampoline_kernelINS0_14default_configENS1_27scan_by_key_config_selectorIssEEZZNS1_16scan_by_key_implILNS1_25lookback_scan_determinismE0ELb0ES3_N6thrust23THRUST_200600_302600_NS6detail15normal_iteratorINS9_10device_ptrIsEEEESE_SE_sNS9_4plusIvEENS9_8equal_toIvEEsEE10hipError_tPvRmT2_T3_T4_T5_mT6_T7_P12ihipStream_tbENKUlT_T0_E_clISt17integral_constantIbLb1EESZ_EEDaSU_SV_EUlSU_E_NS1_11comp_targetILNS1_3genE9ELNS1_11target_archE1100ELNS1_3gpuE3ELNS1_3repE0EEENS1_30default_config_static_selectorELNS0_4arch9wavefront6targetE0EEEvT1_.kd
    .uniform_work_group_size: 1
    .uses_dynamic_stack: false
    .vgpr_count:     0
    .vgpr_spill_count: 0
    .wavefront_size: 32
  - .args:
      - .offset:         0
        .size:           112
        .value_kind:     by_value
    .group_segment_fixed_size: 0
    .kernarg_segment_align: 8
    .kernarg_segment_size: 112
    .language:       OpenCL C
    .language_version:
      - 2
      - 0
    .max_flat_workgroup_size: 64
    .name:           _ZN7rocprim17ROCPRIM_400000_NS6detail17trampoline_kernelINS0_14default_configENS1_27scan_by_key_config_selectorIssEEZZNS1_16scan_by_key_implILNS1_25lookback_scan_determinismE0ELb0ES3_N6thrust23THRUST_200600_302600_NS6detail15normal_iteratorINS9_10device_ptrIsEEEESE_SE_sNS9_4plusIvEENS9_8equal_toIvEEsEE10hipError_tPvRmT2_T3_T4_T5_mT6_T7_P12ihipStream_tbENKUlT_T0_E_clISt17integral_constantIbLb1EESZ_EEDaSU_SV_EUlSU_E_NS1_11comp_targetILNS1_3genE8ELNS1_11target_archE1030ELNS1_3gpuE2ELNS1_3repE0EEENS1_30default_config_static_selectorELNS0_4arch9wavefront6targetE0EEEvT1_
    .private_segment_fixed_size: 0
    .sgpr_count:     0
    .sgpr_spill_count: 0
    .symbol:         _ZN7rocprim17ROCPRIM_400000_NS6detail17trampoline_kernelINS0_14default_configENS1_27scan_by_key_config_selectorIssEEZZNS1_16scan_by_key_implILNS1_25lookback_scan_determinismE0ELb0ES3_N6thrust23THRUST_200600_302600_NS6detail15normal_iteratorINS9_10device_ptrIsEEEESE_SE_sNS9_4plusIvEENS9_8equal_toIvEEsEE10hipError_tPvRmT2_T3_T4_T5_mT6_T7_P12ihipStream_tbENKUlT_T0_E_clISt17integral_constantIbLb1EESZ_EEDaSU_SV_EUlSU_E_NS1_11comp_targetILNS1_3genE8ELNS1_11target_archE1030ELNS1_3gpuE2ELNS1_3repE0EEENS1_30default_config_static_selectorELNS0_4arch9wavefront6targetE0EEEvT1_.kd
    .uniform_work_group_size: 1
    .uses_dynamic_stack: false
    .vgpr_count:     0
    .vgpr_spill_count: 0
    .wavefront_size: 32
  - .args:
      - .address_space:  global
        .offset:         0
        .size:           8
        .value_kind:     global_buffer
      - .offset:         8
        .size:           4
        .value_kind:     by_value
      - .offset:         12
        .size:           4
        .value_kind:     by_value
      - .address_space:  global
        .offset:         16
        .size:           8
        .value_kind:     global_buffer
      - .address_space:  global
        .offset:         24
        .size:           8
        .value_kind:     global_buffer
      - .actual_access:  write_only
        .address_space:  global
        .offset:         32
        .size:           8
        .value_kind:     global_buffer
      - .offset:         40
        .size:           8
        .value_kind:     by_value
      - .offset:         48
        .size:           4
        .value_kind:     by_value
      - .offset:         52
        .size:           1
        .value_kind:     by_value
      - .offset:         56
        .size:           4
        .value_kind:     hidden_block_count_x
      - .offset:         60
        .size:           4
        .value_kind:     hidden_block_count_y
      - .offset:         64
        .size:           4
        .value_kind:     hidden_block_count_z
      - .offset:         68
        .size:           2
        .value_kind:     hidden_group_size_x
      - .offset:         70
        .size:           2
        .value_kind:     hidden_group_size_y
      - .offset:         72
        .size:           2
        .value_kind:     hidden_group_size_z
      - .offset:         74
        .size:           2
        .value_kind:     hidden_remainder_x
      - .offset:         76
        .size:           2
        .value_kind:     hidden_remainder_y
      - .offset:         78
        .size:           2
        .value_kind:     hidden_remainder_z
      - .offset:         96
        .size:           8
        .value_kind:     hidden_global_offset_x
      - .offset:         104
        .size:           8
        .value_kind:     hidden_global_offset_y
      - .offset:         112
        .size:           8
        .value_kind:     hidden_global_offset_z
      - .offset:         120
        .size:           2
        .value_kind:     hidden_grid_dims
    .group_segment_fixed_size: 0
    .kernarg_segment_align: 8
    .kernarg_segment_size: 312
    .language:       OpenCL C
    .language_version:
      - 2
      - 0
    .max_flat_workgroup_size: 256
    .name:           _ZN7rocprim17ROCPRIM_400000_NS6detail30init_device_scan_by_key_kernelINS1_19lookback_scan_stateINS0_5tupleIJsbEEELb1ELb1EEEN6thrust23THRUST_200600_302600_NS6detail15normal_iteratorINS8_10device_ptrIsEEEEjNS1_16block_id_wrapperIjLb0EEEEEvT_jjPNSG_10value_typeET0_PNSt15iterator_traitsISJ_E10value_typeEmT1_T2_
    .private_segment_fixed_size: 0
    .sgpr_count:     18
    .sgpr_spill_count: 0
    .symbol:         _ZN7rocprim17ROCPRIM_400000_NS6detail30init_device_scan_by_key_kernelINS1_19lookback_scan_stateINS0_5tupleIJsbEEELb1ELb1EEEN6thrust23THRUST_200600_302600_NS6detail15normal_iteratorINS8_10device_ptrIsEEEEjNS1_16block_id_wrapperIjLb0EEEEEvT_jjPNSG_10value_typeET0_PNSt15iterator_traitsISJ_E10value_typeEmT1_T2_.kd
    .uniform_work_group_size: 1
    .uses_dynamic_stack: false
    .vgpr_count:     7
    .vgpr_spill_count: 0
    .wavefront_size: 32
  - .args:
      - .address_space:  global
        .offset:         0
        .size:           8
        .value_kind:     global_buffer
      - .offset:         8
        .size:           4
        .value_kind:     by_value
      - .offset:         12
        .size:           4
        .value_kind:     by_value
      - .address_space:  global
        .offset:         16
        .size:           8
        .value_kind:     global_buffer
      - .offset:         24
        .size:           1
        .value_kind:     by_value
      - .offset:         32
        .size:           4
        .value_kind:     hidden_block_count_x
      - .offset:         36
        .size:           4
        .value_kind:     hidden_block_count_y
      - .offset:         40
        .size:           4
        .value_kind:     hidden_block_count_z
      - .offset:         44
        .size:           2
        .value_kind:     hidden_group_size_x
      - .offset:         46
        .size:           2
        .value_kind:     hidden_group_size_y
      - .offset:         48
        .size:           2
        .value_kind:     hidden_group_size_z
      - .offset:         50
        .size:           2
        .value_kind:     hidden_remainder_x
      - .offset:         52
        .size:           2
        .value_kind:     hidden_remainder_y
      - .offset:         54
        .size:           2
        .value_kind:     hidden_remainder_z
      - .offset:         72
        .size:           8
        .value_kind:     hidden_global_offset_x
      - .offset:         80
        .size:           8
        .value_kind:     hidden_global_offset_y
      - .offset:         88
        .size:           8
        .value_kind:     hidden_global_offset_z
      - .offset:         96
        .size:           2
        .value_kind:     hidden_grid_dims
    .group_segment_fixed_size: 0
    .kernarg_segment_align: 8
    .kernarg_segment_size: 288
    .language:       OpenCL C
    .language_version:
      - 2
      - 0
    .max_flat_workgroup_size: 256
    .name:           _ZN7rocprim17ROCPRIM_400000_NS6detail30init_device_scan_by_key_kernelINS1_19lookback_scan_stateINS0_5tupleIJsbEEELb1ELb1EEENS1_16block_id_wrapperIjLb0EEEEEvT_jjPNS9_10value_typeET0_
    .private_segment_fixed_size: 0
    .sgpr_count:     12
    .sgpr_spill_count: 0
    .symbol:         _ZN7rocprim17ROCPRIM_400000_NS6detail30init_device_scan_by_key_kernelINS1_19lookback_scan_stateINS0_5tupleIJsbEEELb1ELb1EEENS1_16block_id_wrapperIjLb0EEEEEvT_jjPNS9_10value_typeET0_.kd
    .uniform_work_group_size: 1
    .uses_dynamic_stack: false
    .vgpr_count:     5
    .vgpr_spill_count: 0
    .wavefront_size: 32
  - .args:
      - .offset:         0
        .size:           112
        .value_kind:     by_value
    .group_segment_fixed_size: 0
    .kernarg_segment_align: 8
    .kernarg_segment_size: 112
    .language:       OpenCL C
    .language_version:
      - 2
      - 0
    .max_flat_workgroup_size: 256
    .name:           _ZN7rocprim17ROCPRIM_400000_NS6detail17trampoline_kernelINS0_14default_configENS1_27scan_by_key_config_selectorIssEEZZNS1_16scan_by_key_implILNS1_25lookback_scan_determinismE0ELb0ES3_N6thrust23THRUST_200600_302600_NS6detail15normal_iteratorINS9_10device_ptrIsEEEESE_SE_sNS9_4plusIvEENS9_8equal_toIvEEsEE10hipError_tPvRmT2_T3_T4_T5_mT6_T7_P12ihipStream_tbENKUlT_T0_E_clISt17integral_constantIbLb1EESY_IbLb0EEEEDaSU_SV_EUlSU_E_NS1_11comp_targetILNS1_3genE0ELNS1_11target_archE4294967295ELNS1_3gpuE0ELNS1_3repE0EEENS1_30default_config_static_selectorELNS0_4arch9wavefront6targetE0EEEvT1_
    .private_segment_fixed_size: 0
    .sgpr_count:     0
    .sgpr_spill_count: 0
    .symbol:         _ZN7rocprim17ROCPRIM_400000_NS6detail17trampoline_kernelINS0_14default_configENS1_27scan_by_key_config_selectorIssEEZZNS1_16scan_by_key_implILNS1_25lookback_scan_determinismE0ELb0ES3_N6thrust23THRUST_200600_302600_NS6detail15normal_iteratorINS9_10device_ptrIsEEEESE_SE_sNS9_4plusIvEENS9_8equal_toIvEEsEE10hipError_tPvRmT2_T3_T4_T5_mT6_T7_P12ihipStream_tbENKUlT_T0_E_clISt17integral_constantIbLb1EESY_IbLb0EEEEDaSU_SV_EUlSU_E_NS1_11comp_targetILNS1_3genE0ELNS1_11target_archE4294967295ELNS1_3gpuE0ELNS1_3repE0EEENS1_30default_config_static_selectorELNS0_4arch9wavefront6targetE0EEEvT1_.kd
    .uniform_work_group_size: 1
    .uses_dynamic_stack: false
    .vgpr_count:     0
    .vgpr_spill_count: 0
    .wavefront_size: 32
  - .args:
      - .offset:         0
        .size:           112
        .value_kind:     by_value
    .group_segment_fixed_size: 0
    .kernarg_segment_align: 8
    .kernarg_segment_size: 112
    .language:       OpenCL C
    .language_version:
      - 2
      - 0
    .max_flat_workgroup_size: 128
    .name:           _ZN7rocprim17ROCPRIM_400000_NS6detail17trampoline_kernelINS0_14default_configENS1_27scan_by_key_config_selectorIssEEZZNS1_16scan_by_key_implILNS1_25lookback_scan_determinismE0ELb0ES3_N6thrust23THRUST_200600_302600_NS6detail15normal_iteratorINS9_10device_ptrIsEEEESE_SE_sNS9_4plusIvEENS9_8equal_toIvEEsEE10hipError_tPvRmT2_T3_T4_T5_mT6_T7_P12ihipStream_tbENKUlT_T0_E_clISt17integral_constantIbLb1EESY_IbLb0EEEEDaSU_SV_EUlSU_E_NS1_11comp_targetILNS1_3genE10ELNS1_11target_archE1201ELNS1_3gpuE5ELNS1_3repE0EEENS1_30default_config_static_selectorELNS0_4arch9wavefront6targetE0EEEvT1_
    .private_segment_fixed_size: 0
    .sgpr_count:     0
    .sgpr_spill_count: 0
    .symbol:         _ZN7rocprim17ROCPRIM_400000_NS6detail17trampoline_kernelINS0_14default_configENS1_27scan_by_key_config_selectorIssEEZZNS1_16scan_by_key_implILNS1_25lookback_scan_determinismE0ELb0ES3_N6thrust23THRUST_200600_302600_NS6detail15normal_iteratorINS9_10device_ptrIsEEEESE_SE_sNS9_4plusIvEENS9_8equal_toIvEEsEE10hipError_tPvRmT2_T3_T4_T5_mT6_T7_P12ihipStream_tbENKUlT_T0_E_clISt17integral_constantIbLb1EESY_IbLb0EEEEDaSU_SV_EUlSU_E_NS1_11comp_targetILNS1_3genE10ELNS1_11target_archE1201ELNS1_3gpuE5ELNS1_3repE0EEENS1_30default_config_static_selectorELNS0_4arch9wavefront6targetE0EEEvT1_.kd
    .uniform_work_group_size: 1
    .uses_dynamic_stack: false
    .vgpr_count:     0
    .vgpr_spill_count: 0
    .wavefront_size: 32
  - .args:
      - .offset:         0
        .size:           112
        .value_kind:     by_value
    .group_segment_fixed_size: 0
    .kernarg_segment_align: 8
    .kernarg_segment_size: 112
    .language:       OpenCL C
    .language_version:
      - 2
      - 0
    .max_flat_workgroup_size: 256
    .name:           _ZN7rocprim17ROCPRIM_400000_NS6detail17trampoline_kernelINS0_14default_configENS1_27scan_by_key_config_selectorIssEEZZNS1_16scan_by_key_implILNS1_25lookback_scan_determinismE0ELb0ES3_N6thrust23THRUST_200600_302600_NS6detail15normal_iteratorINS9_10device_ptrIsEEEESE_SE_sNS9_4plusIvEENS9_8equal_toIvEEsEE10hipError_tPvRmT2_T3_T4_T5_mT6_T7_P12ihipStream_tbENKUlT_T0_E_clISt17integral_constantIbLb1EESY_IbLb0EEEEDaSU_SV_EUlSU_E_NS1_11comp_targetILNS1_3genE5ELNS1_11target_archE942ELNS1_3gpuE9ELNS1_3repE0EEENS1_30default_config_static_selectorELNS0_4arch9wavefront6targetE0EEEvT1_
    .private_segment_fixed_size: 0
    .sgpr_count:     0
    .sgpr_spill_count: 0
    .symbol:         _ZN7rocprim17ROCPRIM_400000_NS6detail17trampoline_kernelINS0_14default_configENS1_27scan_by_key_config_selectorIssEEZZNS1_16scan_by_key_implILNS1_25lookback_scan_determinismE0ELb0ES3_N6thrust23THRUST_200600_302600_NS6detail15normal_iteratorINS9_10device_ptrIsEEEESE_SE_sNS9_4plusIvEENS9_8equal_toIvEEsEE10hipError_tPvRmT2_T3_T4_T5_mT6_T7_P12ihipStream_tbENKUlT_T0_E_clISt17integral_constantIbLb1EESY_IbLb0EEEEDaSU_SV_EUlSU_E_NS1_11comp_targetILNS1_3genE5ELNS1_11target_archE942ELNS1_3gpuE9ELNS1_3repE0EEENS1_30default_config_static_selectorELNS0_4arch9wavefront6targetE0EEEvT1_.kd
    .uniform_work_group_size: 1
    .uses_dynamic_stack: false
    .vgpr_count:     0
    .vgpr_spill_count: 0
    .wavefront_size: 32
  - .args:
      - .offset:         0
        .size:           112
        .value_kind:     by_value
    .group_segment_fixed_size: 0
    .kernarg_segment_align: 8
    .kernarg_segment_size: 112
    .language:       OpenCL C
    .language_version:
      - 2
      - 0
    .max_flat_workgroup_size: 256
    .name:           _ZN7rocprim17ROCPRIM_400000_NS6detail17trampoline_kernelINS0_14default_configENS1_27scan_by_key_config_selectorIssEEZZNS1_16scan_by_key_implILNS1_25lookback_scan_determinismE0ELb0ES3_N6thrust23THRUST_200600_302600_NS6detail15normal_iteratorINS9_10device_ptrIsEEEESE_SE_sNS9_4plusIvEENS9_8equal_toIvEEsEE10hipError_tPvRmT2_T3_T4_T5_mT6_T7_P12ihipStream_tbENKUlT_T0_E_clISt17integral_constantIbLb1EESY_IbLb0EEEEDaSU_SV_EUlSU_E_NS1_11comp_targetILNS1_3genE4ELNS1_11target_archE910ELNS1_3gpuE8ELNS1_3repE0EEENS1_30default_config_static_selectorELNS0_4arch9wavefront6targetE0EEEvT1_
    .private_segment_fixed_size: 0
    .sgpr_count:     0
    .sgpr_spill_count: 0
    .symbol:         _ZN7rocprim17ROCPRIM_400000_NS6detail17trampoline_kernelINS0_14default_configENS1_27scan_by_key_config_selectorIssEEZZNS1_16scan_by_key_implILNS1_25lookback_scan_determinismE0ELb0ES3_N6thrust23THRUST_200600_302600_NS6detail15normal_iteratorINS9_10device_ptrIsEEEESE_SE_sNS9_4plusIvEENS9_8equal_toIvEEsEE10hipError_tPvRmT2_T3_T4_T5_mT6_T7_P12ihipStream_tbENKUlT_T0_E_clISt17integral_constantIbLb1EESY_IbLb0EEEEDaSU_SV_EUlSU_E_NS1_11comp_targetILNS1_3genE4ELNS1_11target_archE910ELNS1_3gpuE8ELNS1_3repE0EEENS1_30default_config_static_selectorELNS0_4arch9wavefront6targetE0EEEvT1_.kd
    .uniform_work_group_size: 1
    .uses_dynamic_stack: false
    .vgpr_count:     0
    .vgpr_spill_count: 0
    .wavefront_size: 32
  - .args:
      - .offset:         0
        .size:           112
        .value_kind:     by_value
    .group_segment_fixed_size: 0
    .kernarg_segment_align: 8
    .kernarg_segment_size: 112
    .language:       OpenCL C
    .language_version:
      - 2
      - 0
    .max_flat_workgroup_size: 256
    .name:           _ZN7rocprim17ROCPRIM_400000_NS6detail17trampoline_kernelINS0_14default_configENS1_27scan_by_key_config_selectorIssEEZZNS1_16scan_by_key_implILNS1_25lookback_scan_determinismE0ELb0ES3_N6thrust23THRUST_200600_302600_NS6detail15normal_iteratorINS9_10device_ptrIsEEEESE_SE_sNS9_4plusIvEENS9_8equal_toIvEEsEE10hipError_tPvRmT2_T3_T4_T5_mT6_T7_P12ihipStream_tbENKUlT_T0_E_clISt17integral_constantIbLb1EESY_IbLb0EEEEDaSU_SV_EUlSU_E_NS1_11comp_targetILNS1_3genE3ELNS1_11target_archE908ELNS1_3gpuE7ELNS1_3repE0EEENS1_30default_config_static_selectorELNS0_4arch9wavefront6targetE0EEEvT1_
    .private_segment_fixed_size: 0
    .sgpr_count:     0
    .sgpr_spill_count: 0
    .symbol:         _ZN7rocprim17ROCPRIM_400000_NS6detail17trampoline_kernelINS0_14default_configENS1_27scan_by_key_config_selectorIssEEZZNS1_16scan_by_key_implILNS1_25lookback_scan_determinismE0ELb0ES3_N6thrust23THRUST_200600_302600_NS6detail15normal_iteratorINS9_10device_ptrIsEEEESE_SE_sNS9_4plusIvEENS9_8equal_toIvEEsEE10hipError_tPvRmT2_T3_T4_T5_mT6_T7_P12ihipStream_tbENKUlT_T0_E_clISt17integral_constantIbLb1EESY_IbLb0EEEEDaSU_SV_EUlSU_E_NS1_11comp_targetILNS1_3genE3ELNS1_11target_archE908ELNS1_3gpuE7ELNS1_3repE0EEENS1_30default_config_static_selectorELNS0_4arch9wavefront6targetE0EEEvT1_.kd
    .uniform_work_group_size: 1
    .uses_dynamic_stack: false
    .vgpr_count:     0
    .vgpr_spill_count: 0
    .wavefront_size: 32
  - .args:
      - .offset:         0
        .size:           112
        .value_kind:     by_value
    .group_segment_fixed_size: 0
    .kernarg_segment_align: 8
    .kernarg_segment_size: 112
    .language:       OpenCL C
    .language_version:
      - 2
      - 0
    .max_flat_workgroup_size: 64
    .name:           _ZN7rocprim17ROCPRIM_400000_NS6detail17trampoline_kernelINS0_14default_configENS1_27scan_by_key_config_selectorIssEEZZNS1_16scan_by_key_implILNS1_25lookback_scan_determinismE0ELb0ES3_N6thrust23THRUST_200600_302600_NS6detail15normal_iteratorINS9_10device_ptrIsEEEESE_SE_sNS9_4plusIvEENS9_8equal_toIvEEsEE10hipError_tPvRmT2_T3_T4_T5_mT6_T7_P12ihipStream_tbENKUlT_T0_E_clISt17integral_constantIbLb1EESY_IbLb0EEEEDaSU_SV_EUlSU_E_NS1_11comp_targetILNS1_3genE2ELNS1_11target_archE906ELNS1_3gpuE6ELNS1_3repE0EEENS1_30default_config_static_selectorELNS0_4arch9wavefront6targetE0EEEvT1_
    .private_segment_fixed_size: 0
    .sgpr_count:     0
    .sgpr_spill_count: 0
    .symbol:         _ZN7rocprim17ROCPRIM_400000_NS6detail17trampoline_kernelINS0_14default_configENS1_27scan_by_key_config_selectorIssEEZZNS1_16scan_by_key_implILNS1_25lookback_scan_determinismE0ELb0ES3_N6thrust23THRUST_200600_302600_NS6detail15normal_iteratorINS9_10device_ptrIsEEEESE_SE_sNS9_4plusIvEENS9_8equal_toIvEEsEE10hipError_tPvRmT2_T3_T4_T5_mT6_T7_P12ihipStream_tbENKUlT_T0_E_clISt17integral_constantIbLb1EESY_IbLb0EEEEDaSU_SV_EUlSU_E_NS1_11comp_targetILNS1_3genE2ELNS1_11target_archE906ELNS1_3gpuE6ELNS1_3repE0EEENS1_30default_config_static_selectorELNS0_4arch9wavefront6targetE0EEEvT1_.kd
    .uniform_work_group_size: 1
    .uses_dynamic_stack: false
    .vgpr_count:     0
    .vgpr_spill_count: 0
    .wavefront_size: 32
  - .args:
      - .offset:         0
        .size:           112
        .value_kind:     by_value
    .group_segment_fixed_size: 0
    .kernarg_segment_align: 8
    .kernarg_segment_size: 112
    .language:       OpenCL C
    .language_version:
      - 2
      - 0
    .max_flat_workgroup_size: 256
    .name:           _ZN7rocprim17ROCPRIM_400000_NS6detail17trampoline_kernelINS0_14default_configENS1_27scan_by_key_config_selectorIssEEZZNS1_16scan_by_key_implILNS1_25lookback_scan_determinismE0ELb0ES3_N6thrust23THRUST_200600_302600_NS6detail15normal_iteratorINS9_10device_ptrIsEEEESE_SE_sNS9_4plusIvEENS9_8equal_toIvEEsEE10hipError_tPvRmT2_T3_T4_T5_mT6_T7_P12ihipStream_tbENKUlT_T0_E_clISt17integral_constantIbLb1EESY_IbLb0EEEEDaSU_SV_EUlSU_E_NS1_11comp_targetILNS1_3genE10ELNS1_11target_archE1200ELNS1_3gpuE4ELNS1_3repE0EEENS1_30default_config_static_selectorELNS0_4arch9wavefront6targetE0EEEvT1_
    .private_segment_fixed_size: 0
    .sgpr_count:     0
    .sgpr_spill_count: 0
    .symbol:         _ZN7rocprim17ROCPRIM_400000_NS6detail17trampoline_kernelINS0_14default_configENS1_27scan_by_key_config_selectorIssEEZZNS1_16scan_by_key_implILNS1_25lookback_scan_determinismE0ELb0ES3_N6thrust23THRUST_200600_302600_NS6detail15normal_iteratorINS9_10device_ptrIsEEEESE_SE_sNS9_4plusIvEENS9_8equal_toIvEEsEE10hipError_tPvRmT2_T3_T4_T5_mT6_T7_P12ihipStream_tbENKUlT_T0_E_clISt17integral_constantIbLb1EESY_IbLb0EEEEDaSU_SV_EUlSU_E_NS1_11comp_targetILNS1_3genE10ELNS1_11target_archE1200ELNS1_3gpuE4ELNS1_3repE0EEENS1_30default_config_static_selectorELNS0_4arch9wavefront6targetE0EEEvT1_.kd
    .uniform_work_group_size: 1
    .uses_dynamic_stack: false
    .vgpr_count:     0
    .vgpr_spill_count: 0
    .wavefront_size: 32
  - .args:
      - .offset:         0
        .size:           112
        .value_kind:     by_value
    .group_segment_fixed_size: 0
    .kernarg_segment_align: 8
    .kernarg_segment_size: 112
    .language:       OpenCL C
    .language_version:
      - 2
      - 0
    .max_flat_workgroup_size: 256
    .name:           _ZN7rocprim17ROCPRIM_400000_NS6detail17trampoline_kernelINS0_14default_configENS1_27scan_by_key_config_selectorIssEEZZNS1_16scan_by_key_implILNS1_25lookback_scan_determinismE0ELb0ES3_N6thrust23THRUST_200600_302600_NS6detail15normal_iteratorINS9_10device_ptrIsEEEESE_SE_sNS9_4plusIvEENS9_8equal_toIvEEsEE10hipError_tPvRmT2_T3_T4_T5_mT6_T7_P12ihipStream_tbENKUlT_T0_E_clISt17integral_constantIbLb1EESY_IbLb0EEEEDaSU_SV_EUlSU_E_NS1_11comp_targetILNS1_3genE9ELNS1_11target_archE1100ELNS1_3gpuE3ELNS1_3repE0EEENS1_30default_config_static_selectorELNS0_4arch9wavefront6targetE0EEEvT1_
    .private_segment_fixed_size: 0
    .sgpr_count:     0
    .sgpr_spill_count: 0
    .symbol:         _ZN7rocprim17ROCPRIM_400000_NS6detail17trampoline_kernelINS0_14default_configENS1_27scan_by_key_config_selectorIssEEZZNS1_16scan_by_key_implILNS1_25lookback_scan_determinismE0ELb0ES3_N6thrust23THRUST_200600_302600_NS6detail15normal_iteratorINS9_10device_ptrIsEEEESE_SE_sNS9_4plusIvEENS9_8equal_toIvEEsEE10hipError_tPvRmT2_T3_T4_T5_mT6_T7_P12ihipStream_tbENKUlT_T0_E_clISt17integral_constantIbLb1EESY_IbLb0EEEEDaSU_SV_EUlSU_E_NS1_11comp_targetILNS1_3genE9ELNS1_11target_archE1100ELNS1_3gpuE3ELNS1_3repE0EEENS1_30default_config_static_selectorELNS0_4arch9wavefront6targetE0EEEvT1_.kd
    .uniform_work_group_size: 1
    .uses_dynamic_stack: false
    .vgpr_count:     0
    .vgpr_spill_count: 0
    .wavefront_size: 32
  - .args:
      - .offset:         0
        .size:           112
        .value_kind:     by_value
    .group_segment_fixed_size: 0
    .kernarg_segment_align: 8
    .kernarg_segment_size: 112
    .language:       OpenCL C
    .language_version:
      - 2
      - 0
    .max_flat_workgroup_size: 64
    .name:           _ZN7rocprim17ROCPRIM_400000_NS6detail17trampoline_kernelINS0_14default_configENS1_27scan_by_key_config_selectorIssEEZZNS1_16scan_by_key_implILNS1_25lookback_scan_determinismE0ELb0ES3_N6thrust23THRUST_200600_302600_NS6detail15normal_iteratorINS9_10device_ptrIsEEEESE_SE_sNS9_4plusIvEENS9_8equal_toIvEEsEE10hipError_tPvRmT2_T3_T4_T5_mT6_T7_P12ihipStream_tbENKUlT_T0_E_clISt17integral_constantIbLb1EESY_IbLb0EEEEDaSU_SV_EUlSU_E_NS1_11comp_targetILNS1_3genE8ELNS1_11target_archE1030ELNS1_3gpuE2ELNS1_3repE0EEENS1_30default_config_static_selectorELNS0_4arch9wavefront6targetE0EEEvT1_
    .private_segment_fixed_size: 0
    .sgpr_count:     0
    .sgpr_spill_count: 0
    .symbol:         _ZN7rocprim17ROCPRIM_400000_NS6detail17trampoline_kernelINS0_14default_configENS1_27scan_by_key_config_selectorIssEEZZNS1_16scan_by_key_implILNS1_25lookback_scan_determinismE0ELb0ES3_N6thrust23THRUST_200600_302600_NS6detail15normal_iteratorINS9_10device_ptrIsEEEESE_SE_sNS9_4plusIvEENS9_8equal_toIvEEsEE10hipError_tPvRmT2_T3_T4_T5_mT6_T7_P12ihipStream_tbENKUlT_T0_E_clISt17integral_constantIbLb1EESY_IbLb0EEEEDaSU_SV_EUlSU_E_NS1_11comp_targetILNS1_3genE8ELNS1_11target_archE1030ELNS1_3gpuE2ELNS1_3repE0EEENS1_30default_config_static_selectorELNS0_4arch9wavefront6targetE0EEEvT1_.kd
    .uniform_work_group_size: 1
    .uses_dynamic_stack: false
    .vgpr_count:     0
    .vgpr_spill_count: 0
    .wavefront_size: 32
  - .args:
      - .address_space:  global
        .offset:         0
        .size:           8
        .value_kind:     global_buffer
      - .offset:         8
        .size:           4
        .value_kind:     by_value
      - .offset:         12
        .size:           4
        .value_kind:     by_value
      - .address_space:  global
        .offset:         16
        .size:           8
        .value_kind:     global_buffer
      - .address_space:  global
        .offset:         24
        .size:           8
        .value_kind:     global_buffer
      - .actual_access:  write_only
        .address_space:  global
        .offset:         32
        .size:           8
        .value_kind:     global_buffer
      - .offset:         40
        .size:           8
        .value_kind:     by_value
      - .offset:         48
        .size:           4
        .value_kind:     by_value
      - .address_space:  global
        .offset:         56
        .size:           8
        .value_kind:     global_buffer
      - .offset:         64
        .size:           4
        .value_kind:     hidden_block_count_x
      - .offset:         68
        .size:           4
        .value_kind:     hidden_block_count_y
      - .offset:         72
        .size:           4
        .value_kind:     hidden_block_count_z
      - .offset:         76
        .size:           2
        .value_kind:     hidden_group_size_x
      - .offset:         78
        .size:           2
        .value_kind:     hidden_group_size_y
      - .offset:         80
        .size:           2
        .value_kind:     hidden_group_size_z
      - .offset:         82
        .size:           2
        .value_kind:     hidden_remainder_x
      - .offset:         84
        .size:           2
        .value_kind:     hidden_remainder_y
      - .offset:         86
        .size:           2
        .value_kind:     hidden_remainder_z
      - .offset:         104
        .size:           8
        .value_kind:     hidden_global_offset_x
      - .offset:         112
        .size:           8
        .value_kind:     hidden_global_offset_y
      - .offset:         120
        .size:           8
        .value_kind:     hidden_global_offset_z
      - .offset:         128
        .size:           2
        .value_kind:     hidden_grid_dims
    .group_segment_fixed_size: 0
    .kernarg_segment_align: 8
    .kernarg_segment_size: 320
    .language:       OpenCL C
    .language_version:
      - 2
      - 0
    .max_flat_workgroup_size: 256
    .name:           _ZN7rocprim17ROCPRIM_400000_NS6detail30init_device_scan_by_key_kernelINS1_19lookback_scan_stateINS0_5tupleIJsbEEELb0ELb1EEEN6thrust23THRUST_200600_302600_NS6detail15normal_iteratorINS8_10device_ptrIsEEEEjNS1_16block_id_wrapperIjLb1EEEEEvT_jjPNSG_10value_typeET0_PNSt15iterator_traitsISJ_E10value_typeEmT1_T2_
    .private_segment_fixed_size: 0
    .sgpr_count:     18
    .sgpr_spill_count: 0
    .symbol:         _ZN7rocprim17ROCPRIM_400000_NS6detail30init_device_scan_by_key_kernelINS1_19lookback_scan_stateINS0_5tupleIJsbEEELb0ELb1EEEN6thrust23THRUST_200600_302600_NS6detail15normal_iteratorINS8_10device_ptrIsEEEEjNS1_16block_id_wrapperIjLb1EEEEEvT_jjPNSG_10value_typeET0_PNSt15iterator_traitsISJ_E10value_typeEmT1_T2_.kd
    .uniform_work_group_size: 1
    .uses_dynamic_stack: false
    .vgpr_count:     7
    .vgpr_spill_count: 0
    .wavefront_size: 32
  - .args:
      - .address_space:  global
        .offset:         0
        .size:           8
        .value_kind:     global_buffer
      - .offset:         8
        .size:           4
        .value_kind:     by_value
      - .offset:         12
        .size:           4
        .value_kind:     by_value
      - .address_space:  global
        .offset:         16
        .size:           8
        .value_kind:     global_buffer
      - .address_space:  global
        .offset:         24
        .size:           8
        .value_kind:     global_buffer
      - .offset:         32
        .size:           4
        .value_kind:     hidden_block_count_x
      - .offset:         36
        .size:           4
        .value_kind:     hidden_block_count_y
      - .offset:         40
        .size:           4
        .value_kind:     hidden_block_count_z
      - .offset:         44
        .size:           2
        .value_kind:     hidden_group_size_x
      - .offset:         46
        .size:           2
        .value_kind:     hidden_group_size_y
      - .offset:         48
        .size:           2
        .value_kind:     hidden_group_size_z
      - .offset:         50
        .size:           2
        .value_kind:     hidden_remainder_x
      - .offset:         52
        .size:           2
        .value_kind:     hidden_remainder_y
      - .offset:         54
        .size:           2
        .value_kind:     hidden_remainder_z
      - .offset:         72
        .size:           8
        .value_kind:     hidden_global_offset_x
      - .offset:         80
        .size:           8
        .value_kind:     hidden_global_offset_y
      - .offset:         88
        .size:           8
        .value_kind:     hidden_global_offset_z
      - .offset:         96
        .size:           2
        .value_kind:     hidden_grid_dims
    .group_segment_fixed_size: 0
    .kernarg_segment_align: 8
    .kernarg_segment_size: 288
    .language:       OpenCL C
    .language_version:
      - 2
      - 0
    .max_flat_workgroup_size: 256
    .name:           _ZN7rocprim17ROCPRIM_400000_NS6detail30init_device_scan_by_key_kernelINS1_19lookback_scan_stateINS0_5tupleIJsbEEELb0ELb1EEENS1_16block_id_wrapperIjLb1EEEEEvT_jjPNS9_10value_typeET0_
    .private_segment_fixed_size: 0
    .sgpr_count:     14
    .sgpr_spill_count: 0
    .symbol:         _ZN7rocprim17ROCPRIM_400000_NS6detail30init_device_scan_by_key_kernelINS1_19lookback_scan_stateINS0_5tupleIJsbEEELb0ELb1EEENS1_16block_id_wrapperIjLb1EEEEEvT_jjPNS9_10value_typeET0_.kd
    .uniform_work_group_size: 1
    .uses_dynamic_stack: false
    .vgpr_count:     5
    .vgpr_spill_count: 0
    .wavefront_size: 32
  - .args:
      - .offset:         0
        .size:           112
        .value_kind:     by_value
    .group_segment_fixed_size: 11264
    .kernarg_segment_align: 8
    .kernarg_segment_size: 112
    .language:       OpenCL C
    .language_version:
      - 2
      - 0
    .max_flat_workgroup_size: 256
    .name:           _ZN7rocprim17ROCPRIM_400000_NS6detail17trampoline_kernelINS0_14default_configENS1_27scan_by_key_config_selectorIssEEZZNS1_16scan_by_key_implILNS1_25lookback_scan_determinismE0ELb0ES3_N6thrust23THRUST_200600_302600_NS6detail15normal_iteratorINS9_10device_ptrIsEEEESE_SE_sNS9_4plusIvEENS9_8equal_toIvEEsEE10hipError_tPvRmT2_T3_T4_T5_mT6_T7_P12ihipStream_tbENKUlT_T0_E_clISt17integral_constantIbLb0EESY_IbLb1EEEEDaSU_SV_EUlSU_E_NS1_11comp_targetILNS1_3genE0ELNS1_11target_archE4294967295ELNS1_3gpuE0ELNS1_3repE0EEENS1_30default_config_static_selectorELNS0_4arch9wavefront6targetE0EEEvT1_
    .private_segment_fixed_size: 0
    .sgpr_count:     53
    .sgpr_spill_count: 0
    .symbol:         _ZN7rocprim17ROCPRIM_400000_NS6detail17trampoline_kernelINS0_14default_configENS1_27scan_by_key_config_selectorIssEEZZNS1_16scan_by_key_implILNS1_25lookback_scan_determinismE0ELb0ES3_N6thrust23THRUST_200600_302600_NS6detail15normal_iteratorINS9_10device_ptrIsEEEESE_SE_sNS9_4plusIvEENS9_8equal_toIvEEsEE10hipError_tPvRmT2_T3_T4_T5_mT6_T7_P12ihipStream_tbENKUlT_T0_E_clISt17integral_constantIbLb0EESY_IbLb1EEEEDaSU_SV_EUlSU_E_NS1_11comp_targetILNS1_3genE0ELNS1_11target_archE4294967295ELNS1_3gpuE0ELNS1_3repE0EEENS1_30default_config_static_selectorELNS0_4arch9wavefront6targetE0EEEvT1_.kd
    .uniform_work_group_size: 1
    .uses_dynamic_stack: false
    .vgpr_count:     58
    .vgpr_spill_count: 0
    .wavefront_size: 32
  - .args:
      - .offset:         0
        .size:           112
        .value_kind:     by_value
    .group_segment_fixed_size: 0
    .kernarg_segment_align: 8
    .kernarg_segment_size: 112
    .language:       OpenCL C
    .language_version:
      - 2
      - 0
    .max_flat_workgroup_size: 128
    .name:           _ZN7rocprim17ROCPRIM_400000_NS6detail17trampoline_kernelINS0_14default_configENS1_27scan_by_key_config_selectorIssEEZZNS1_16scan_by_key_implILNS1_25lookback_scan_determinismE0ELb0ES3_N6thrust23THRUST_200600_302600_NS6detail15normal_iteratorINS9_10device_ptrIsEEEESE_SE_sNS9_4plusIvEENS9_8equal_toIvEEsEE10hipError_tPvRmT2_T3_T4_T5_mT6_T7_P12ihipStream_tbENKUlT_T0_E_clISt17integral_constantIbLb0EESY_IbLb1EEEEDaSU_SV_EUlSU_E_NS1_11comp_targetILNS1_3genE10ELNS1_11target_archE1201ELNS1_3gpuE5ELNS1_3repE0EEENS1_30default_config_static_selectorELNS0_4arch9wavefront6targetE0EEEvT1_
    .private_segment_fixed_size: 0
    .sgpr_count:     0
    .sgpr_spill_count: 0
    .symbol:         _ZN7rocprim17ROCPRIM_400000_NS6detail17trampoline_kernelINS0_14default_configENS1_27scan_by_key_config_selectorIssEEZZNS1_16scan_by_key_implILNS1_25lookback_scan_determinismE0ELb0ES3_N6thrust23THRUST_200600_302600_NS6detail15normal_iteratorINS9_10device_ptrIsEEEESE_SE_sNS9_4plusIvEENS9_8equal_toIvEEsEE10hipError_tPvRmT2_T3_T4_T5_mT6_T7_P12ihipStream_tbENKUlT_T0_E_clISt17integral_constantIbLb0EESY_IbLb1EEEEDaSU_SV_EUlSU_E_NS1_11comp_targetILNS1_3genE10ELNS1_11target_archE1201ELNS1_3gpuE5ELNS1_3repE0EEENS1_30default_config_static_selectorELNS0_4arch9wavefront6targetE0EEEvT1_.kd
    .uniform_work_group_size: 1
    .uses_dynamic_stack: false
    .vgpr_count:     0
    .vgpr_spill_count: 0
    .wavefront_size: 32
  - .args:
      - .offset:         0
        .size:           112
        .value_kind:     by_value
    .group_segment_fixed_size: 0
    .kernarg_segment_align: 8
    .kernarg_segment_size: 112
    .language:       OpenCL C
    .language_version:
      - 2
      - 0
    .max_flat_workgroup_size: 256
    .name:           _ZN7rocprim17ROCPRIM_400000_NS6detail17trampoline_kernelINS0_14default_configENS1_27scan_by_key_config_selectorIssEEZZNS1_16scan_by_key_implILNS1_25lookback_scan_determinismE0ELb0ES3_N6thrust23THRUST_200600_302600_NS6detail15normal_iteratorINS9_10device_ptrIsEEEESE_SE_sNS9_4plusIvEENS9_8equal_toIvEEsEE10hipError_tPvRmT2_T3_T4_T5_mT6_T7_P12ihipStream_tbENKUlT_T0_E_clISt17integral_constantIbLb0EESY_IbLb1EEEEDaSU_SV_EUlSU_E_NS1_11comp_targetILNS1_3genE5ELNS1_11target_archE942ELNS1_3gpuE9ELNS1_3repE0EEENS1_30default_config_static_selectorELNS0_4arch9wavefront6targetE0EEEvT1_
    .private_segment_fixed_size: 0
    .sgpr_count:     0
    .sgpr_spill_count: 0
    .symbol:         _ZN7rocprim17ROCPRIM_400000_NS6detail17trampoline_kernelINS0_14default_configENS1_27scan_by_key_config_selectorIssEEZZNS1_16scan_by_key_implILNS1_25lookback_scan_determinismE0ELb0ES3_N6thrust23THRUST_200600_302600_NS6detail15normal_iteratorINS9_10device_ptrIsEEEESE_SE_sNS9_4plusIvEENS9_8equal_toIvEEsEE10hipError_tPvRmT2_T3_T4_T5_mT6_T7_P12ihipStream_tbENKUlT_T0_E_clISt17integral_constantIbLb0EESY_IbLb1EEEEDaSU_SV_EUlSU_E_NS1_11comp_targetILNS1_3genE5ELNS1_11target_archE942ELNS1_3gpuE9ELNS1_3repE0EEENS1_30default_config_static_selectorELNS0_4arch9wavefront6targetE0EEEvT1_.kd
    .uniform_work_group_size: 1
    .uses_dynamic_stack: false
    .vgpr_count:     0
    .vgpr_spill_count: 0
    .wavefront_size: 32
  - .args:
      - .offset:         0
        .size:           112
        .value_kind:     by_value
    .group_segment_fixed_size: 0
    .kernarg_segment_align: 8
    .kernarg_segment_size: 112
    .language:       OpenCL C
    .language_version:
      - 2
      - 0
    .max_flat_workgroup_size: 256
    .name:           _ZN7rocprim17ROCPRIM_400000_NS6detail17trampoline_kernelINS0_14default_configENS1_27scan_by_key_config_selectorIssEEZZNS1_16scan_by_key_implILNS1_25lookback_scan_determinismE0ELb0ES3_N6thrust23THRUST_200600_302600_NS6detail15normal_iteratorINS9_10device_ptrIsEEEESE_SE_sNS9_4plusIvEENS9_8equal_toIvEEsEE10hipError_tPvRmT2_T3_T4_T5_mT6_T7_P12ihipStream_tbENKUlT_T0_E_clISt17integral_constantIbLb0EESY_IbLb1EEEEDaSU_SV_EUlSU_E_NS1_11comp_targetILNS1_3genE4ELNS1_11target_archE910ELNS1_3gpuE8ELNS1_3repE0EEENS1_30default_config_static_selectorELNS0_4arch9wavefront6targetE0EEEvT1_
    .private_segment_fixed_size: 0
    .sgpr_count:     0
    .sgpr_spill_count: 0
    .symbol:         _ZN7rocprim17ROCPRIM_400000_NS6detail17trampoline_kernelINS0_14default_configENS1_27scan_by_key_config_selectorIssEEZZNS1_16scan_by_key_implILNS1_25lookback_scan_determinismE0ELb0ES3_N6thrust23THRUST_200600_302600_NS6detail15normal_iteratorINS9_10device_ptrIsEEEESE_SE_sNS9_4plusIvEENS9_8equal_toIvEEsEE10hipError_tPvRmT2_T3_T4_T5_mT6_T7_P12ihipStream_tbENKUlT_T0_E_clISt17integral_constantIbLb0EESY_IbLb1EEEEDaSU_SV_EUlSU_E_NS1_11comp_targetILNS1_3genE4ELNS1_11target_archE910ELNS1_3gpuE8ELNS1_3repE0EEENS1_30default_config_static_selectorELNS0_4arch9wavefront6targetE0EEEvT1_.kd
    .uniform_work_group_size: 1
    .uses_dynamic_stack: false
    .vgpr_count:     0
    .vgpr_spill_count: 0
    .wavefront_size: 32
  - .args:
      - .offset:         0
        .size:           112
        .value_kind:     by_value
    .group_segment_fixed_size: 0
    .kernarg_segment_align: 8
    .kernarg_segment_size: 112
    .language:       OpenCL C
    .language_version:
      - 2
      - 0
    .max_flat_workgroup_size: 256
    .name:           _ZN7rocprim17ROCPRIM_400000_NS6detail17trampoline_kernelINS0_14default_configENS1_27scan_by_key_config_selectorIssEEZZNS1_16scan_by_key_implILNS1_25lookback_scan_determinismE0ELb0ES3_N6thrust23THRUST_200600_302600_NS6detail15normal_iteratorINS9_10device_ptrIsEEEESE_SE_sNS9_4plusIvEENS9_8equal_toIvEEsEE10hipError_tPvRmT2_T3_T4_T5_mT6_T7_P12ihipStream_tbENKUlT_T0_E_clISt17integral_constantIbLb0EESY_IbLb1EEEEDaSU_SV_EUlSU_E_NS1_11comp_targetILNS1_3genE3ELNS1_11target_archE908ELNS1_3gpuE7ELNS1_3repE0EEENS1_30default_config_static_selectorELNS0_4arch9wavefront6targetE0EEEvT1_
    .private_segment_fixed_size: 0
    .sgpr_count:     0
    .sgpr_spill_count: 0
    .symbol:         _ZN7rocprim17ROCPRIM_400000_NS6detail17trampoline_kernelINS0_14default_configENS1_27scan_by_key_config_selectorIssEEZZNS1_16scan_by_key_implILNS1_25lookback_scan_determinismE0ELb0ES3_N6thrust23THRUST_200600_302600_NS6detail15normal_iteratorINS9_10device_ptrIsEEEESE_SE_sNS9_4plusIvEENS9_8equal_toIvEEsEE10hipError_tPvRmT2_T3_T4_T5_mT6_T7_P12ihipStream_tbENKUlT_T0_E_clISt17integral_constantIbLb0EESY_IbLb1EEEEDaSU_SV_EUlSU_E_NS1_11comp_targetILNS1_3genE3ELNS1_11target_archE908ELNS1_3gpuE7ELNS1_3repE0EEENS1_30default_config_static_selectorELNS0_4arch9wavefront6targetE0EEEvT1_.kd
    .uniform_work_group_size: 1
    .uses_dynamic_stack: false
    .vgpr_count:     0
    .vgpr_spill_count: 0
    .wavefront_size: 32
  - .args:
      - .offset:         0
        .size:           112
        .value_kind:     by_value
    .group_segment_fixed_size: 0
    .kernarg_segment_align: 8
    .kernarg_segment_size: 112
    .language:       OpenCL C
    .language_version:
      - 2
      - 0
    .max_flat_workgroup_size: 64
    .name:           _ZN7rocprim17ROCPRIM_400000_NS6detail17trampoline_kernelINS0_14default_configENS1_27scan_by_key_config_selectorIssEEZZNS1_16scan_by_key_implILNS1_25lookback_scan_determinismE0ELb0ES3_N6thrust23THRUST_200600_302600_NS6detail15normal_iteratorINS9_10device_ptrIsEEEESE_SE_sNS9_4plusIvEENS9_8equal_toIvEEsEE10hipError_tPvRmT2_T3_T4_T5_mT6_T7_P12ihipStream_tbENKUlT_T0_E_clISt17integral_constantIbLb0EESY_IbLb1EEEEDaSU_SV_EUlSU_E_NS1_11comp_targetILNS1_3genE2ELNS1_11target_archE906ELNS1_3gpuE6ELNS1_3repE0EEENS1_30default_config_static_selectorELNS0_4arch9wavefront6targetE0EEEvT1_
    .private_segment_fixed_size: 0
    .sgpr_count:     0
    .sgpr_spill_count: 0
    .symbol:         _ZN7rocprim17ROCPRIM_400000_NS6detail17trampoline_kernelINS0_14default_configENS1_27scan_by_key_config_selectorIssEEZZNS1_16scan_by_key_implILNS1_25lookback_scan_determinismE0ELb0ES3_N6thrust23THRUST_200600_302600_NS6detail15normal_iteratorINS9_10device_ptrIsEEEESE_SE_sNS9_4plusIvEENS9_8equal_toIvEEsEE10hipError_tPvRmT2_T3_T4_T5_mT6_T7_P12ihipStream_tbENKUlT_T0_E_clISt17integral_constantIbLb0EESY_IbLb1EEEEDaSU_SV_EUlSU_E_NS1_11comp_targetILNS1_3genE2ELNS1_11target_archE906ELNS1_3gpuE6ELNS1_3repE0EEENS1_30default_config_static_selectorELNS0_4arch9wavefront6targetE0EEEvT1_.kd
    .uniform_work_group_size: 1
    .uses_dynamic_stack: false
    .vgpr_count:     0
    .vgpr_spill_count: 0
    .wavefront_size: 32
  - .args:
      - .offset:         0
        .size:           112
        .value_kind:     by_value
    .group_segment_fixed_size: 0
    .kernarg_segment_align: 8
    .kernarg_segment_size: 112
    .language:       OpenCL C
    .language_version:
      - 2
      - 0
    .max_flat_workgroup_size: 256
    .name:           _ZN7rocprim17ROCPRIM_400000_NS6detail17trampoline_kernelINS0_14default_configENS1_27scan_by_key_config_selectorIssEEZZNS1_16scan_by_key_implILNS1_25lookback_scan_determinismE0ELb0ES3_N6thrust23THRUST_200600_302600_NS6detail15normal_iteratorINS9_10device_ptrIsEEEESE_SE_sNS9_4plusIvEENS9_8equal_toIvEEsEE10hipError_tPvRmT2_T3_T4_T5_mT6_T7_P12ihipStream_tbENKUlT_T0_E_clISt17integral_constantIbLb0EESY_IbLb1EEEEDaSU_SV_EUlSU_E_NS1_11comp_targetILNS1_3genE10ELNS1_11target_archE1200ELNS1_3gpuE4ELNS1_3repE0EEENS1_30default_config_static_selectorELNS0_4arch9wavefront6targetE0EEEvT1_
    .private_segment_fixed_size: 0
    .sgpr_count:     0
    .sgpr_spill_count: 0
    .symbol:         _ZN7rocprim17ROCPRIM_400000_NS6detail17trampoline_kernelINS0_14default_configENS1_27scan_by_key_config_selectorIssEEZZNS1_16scan_by_key_implILNS1_25lookback_scan_determinismE0ELb0ES3_N6thrust23THRUST_200600_302600_NS6detail15normal_iteratorINS9_10device_ptrIsEEEESE_SE_sNS9_4plusIvEENS9_8equal_toIvEEsEE10hipError_tPvRmT2_T3_T4_T5_mT6_T7_P12ihipStream_tbENKUlT_T0_E_clISt17integral_constantIbLb0EESY_IbLb1EEEEDaSU_SV_EUlSU_E_NS1_11comp_targetILNS1_3genE10ELNS1_11target_archE1200ELNS1_3gpuE4ELNS1_3repE0EEENS1_30default_config_static_selectorELNS0_4arch9wavefront6targetE0EEEvT1_.kd
    .uniform_work_group_size: 1
    .uses_dynamic_stack: false
    .vgpr_count:     0
    .vgpr_spill_count: 0
    .wavefront_size: 32
  - .args:
      - .offset:         0
        .size:           112
        .value_kind:     by_value
    .group_segment_fixed_size: 0
    .kernarg_segment_align: 8
    .kernarg_segment_size: 112
    .language:       OpenCL C
    .language_version:
      - 2
      - 0
    .max_flat_workgroup_size: 256
    .name:           _ZN7rocprim17ROCPRIM_400000_NS6detail17trampoline_kernelINS0_14default_configENS1_27scan_by_key_config_selectorIssEEZZNS1_16scan_by_key_implILNS1_25lookback_scan_determinismE0ELb0ES3_N6thrust23THRUST_200600_302600_NS6detail15normal_iteratorINS9_10device_ptrIsEEEESE_SE_sNS9_4plusIvEENS9_8equal_toIvEEsEE10hipError_tPvRmT2_T3_T4_T5_mT6_T7_P12ihipStream_tbENKUlT_T0_E_clISt17integral_constantIbLb0EESY_IbLb1EEEEDaSU_SV_EUlSU_E_NS1_11comp_targetILNS1_3genE9ELNS1_11target_archE1100ELNS1_3gpuE3ELNS1_3repE0EEENS1_30default_config_static_selectorELNS0_4arch9wavefront6targetE0EEEvT1_
    .private_segment_fixed_size: 0
    .sgpr_count:     0
    .sgpr_spill_count: 0
    .symbol:         _ZN7rocprim17ROCPRIM_400000_NS6detail17trampoline_kernelINS0_14default_configENS1_27scan_by_key_config_selectorIssEEZZNS1_16scan_by_key_implILNS1_25lookback_scan_determinismE0ELb0ES3_N6thrust23THRUST_200600_302600_NS6detail15normal_iteratorINS9_10device_ptrIsEEEESE_SE_sNS9_4plusIvEENS9_8equal_toIvEEsEE10hipError_tPvRmT2_T3_T4_T5_mT6_T7_P12ihipStream_tbENKUlT_T0_E_clISt17integral_constantIbLb0EESY_IbLb1EEEEDaSU_SV_EUlSU_E_NS1_11comp_targetILNS1_3genE9ELNS1_11target_archE1100ELNS1_3gpuE3ELNS1_3repE0EEENS1_30default_config_static_selectorELNS0_4arch9wavefront6targetE0EEEvT1_.kd
    .uniform_work_group_size: 1
    .uses_dynamic_stack: false
    .vgpr_count:     0
    .vgpr_spill_count: 0
    .wavefront_size: 32
  - .args:
      - .offset:         0
        .size:           112
        .value_kind:     by_value
    .group_segment_fixed_size: 0
    .kernarg_segment_align: 8
    .kernarg_segment_size: 112
    .language:       OpenCL C
    .language_version:
      - 2
      - 0
    .max_flat_workgroup_size: 64
    .name:           _ZN7rocprim17ROCPRIM_400000_NS6detail17trampoline_kernelINS0_14default_configENS1_27scan_by_key_config_selectorIssEEZZNS1_16scan_by_key_implILNS1_25lookback_scan_determinismE0ELb0ES3_N6thrust23THRUST_200600_302600_NS6detail15normal_iteratorINS9_10device_ptrIsEEEESE_SE_sNS9_4plusIvEENS9_8equal_toIvEEsEE10hipError_tPvRmT2_T3_T4_T5_mT6_T7_P12ihipStream_tbENKUlT_T0_E_clISt17integral_constantIbLb0EESY_IbLb1EEEEDaSU_SV_EUlSU_E_NS1_11comp_targetILNS1_3genE8ELNS1_11target_archE1030ELNS1_3gpuE2ELNS1_3repE0EEENS1_30default_config_static_selectorELNS0_4arch9wavefront6targetE0EEEvT1_
    .private_segment_fixed_size: 0
    .sgpr_count:     0
    .sgpr_spill_count: 0
    .symbol:         _ZN7rocprim17ROCPRIM_400000_NS6detail17trampoline_kernelINS0_14default_configENS1_27scan_by_key_config_selectorIssEEZZNS1_16scan_by_key_implILNS1_25lookback_scan_determinismE0ELb0ES3_N6thrust23THRUST_200600_302600_NS6detail15normal_iteratorINS9_10device_ptrIsEEEESE_SE_sNS9_4plusIvEENS9_8equal_toIvEEsEE10hipError_tPvRmT2_T3_T4_T5_mT6_T7_P12ihipStream_tbENKUlT_T0_E_clISt17integral_constantIbLb0EESY_IbLb1EEEEDaSU_SV_EUlSU_E_NS1_11comp_targetILNS1_3genE8ELNS1_11target_archE1030ELNS1_3gpuE2ELNS1_3repE0EEENS1_30default_config_static_selectorELNS0_4arch9wavefront6targetE0EEEvT1_.kd
    .uniform_work_group_size: 1
    .uses_dynamic_stack: false
    .vgpr_count:     0
    .vgpr_spill_count: 0
    .wavefront_size: 32
  - .args:
      - .offset:         0
        .size:           112
        .value_kind:     by_value
    .group_segment_fixed_size: 11264
    .kernarg_segment_align: 8
    .kernarg_segment_size: 112
    .language:       OpenCL C
    .language_version:
      - 2
      - 0
    .max_flat_workgroup_size: 256
    .name:           _ZN7rocprim17ROCPRIM_400000_NS6detail17trampoline_kernelINS0_14default_configENS1_27scan_by_key_config_selectorIssEEZZNS1_16scan_by_key_implILNS1_25lookback_scan_determinismE0ELb0ES3_N6thrust23THRUST_200600_302600_NS6detail15normal_iteratorINS9_10device_ptrIsEEEESE_SE_sNS9_10multipliesIsEENS9_8equal_toIsEEsEE10hipError_tPvRmT2_T3_T4_T5_mT6_T7_P12ihipStream_tbENKUlT_T0_E_clISt17integral_constantIbLb0EESZ_EEDaSU_SV_EUlSU_E_NS1_11comp_targetILNS1_3genE0ELNS1_11target_archE4294967295ELNS1_3gpuE0ELNS1_3repE0EEENS1_30default_config_static_selectorELNS0_4arch9wavefront6targetE0EEEvT1_
    .private_segment_fixed_size: 0
    .sgpr_count:     52
    .sgpr_spill_count: 0
    .symbol:         _ZN7rocprim17ROCPRIM_400000_NS6detail17trampoline_kernelINS0_14default_configENS1_27scan_by_key_config_selectorIssEEZZNS1_16scan_by_key_implILNS1_25lookback_scan_determinismE0ELb0ES3_N6thrust23THRUST_200600_302600_NS6detail15normal_iteratorINS9_10device_ptrIsEEEESE_SE_sNS9_10multipliesIsEENS9_8equal_toIsEEsEE10hipError_tPvRmT2_T3_T4_T5_mT6_T7_P12ihipStream_tbENKUlT_T0_E_clISt17integral_constantIbLb0EESZ_EEDaSU_SV_EUlSU_E_NS1_11comp_targetILNS1_3genE0ELNS1_11target_archE4294967295ELNS1_3gpuE0ELNS1_3repE0EEENS1_30default_config_static_selectorELNS0_4arch9wavefront6targetE0EEEvT1_.kd
    .uniform_work_group_size: 1
    .uses_dynamic_stack: false
    .vgpr_count:     58
    .vgpr_spill_count: 0
    .wavefront_size: 32
  - .args:
      - .offset:         0
        .size:           112
        .value_kind:     by_value
    .group_segment_fixed_size: 0
    .kernarg_segment_align: 8
    .kernarg_segment_size: 112
    .language:       OpenCL C
    .language_version:
      - 2
      - 0
    .max_flat_workgroup_size: 128
    .name:           _ZN7rocprim17ROCPRIM_400000_NS6detail17trampoline_kernelINS0_14default_configENS1_27scan_by_key_config_selectorIssEEZZNS1_16scan_by_key_implILNS1_25lookback_scan_determinismE0ELb0ES3_N6thrust23THRUST_200600_302600_NS6detail15normal_iteratorINS9_10device_ptrIsEEEESE_SE_sNS9_10multipliesIsEENS9_8equal_toIsEEsEE10hipError_tPvRmT2_T3_T4_T5_mT6_T7_P12ihipStream_tbENKUlT_T0_E_clISt17integral_constantIbLb0EESZ_EEDaSU_SV_EUlSU_E_NS1_11comp_targetILNS1_3genE10ELNS1_11target_archE1201ELNS1_3gpuE5ELNS1_3repE0EEENS1_30default_config_static_selectorELNS0_4arch9wavefront6targetE0EEEvT1_
    .private_segment_fixed_size: 0
    .sgpr_count:     0
    .sgpr_spill_count: 0
    .symbol:         _ZN7rocprim17ROCPRIM_400000_NS6detail17trampoline_kernelINS0_14default_configENS1_27scan_by_key_config_selectorIssEEZZNS1_16scan_by_key_implILNS1_25lookback_scan_determinismE0ELb0ES3_N6thrust23THRUST_200600_302600_NS6detail15normal_iteratorINS9_10device_ptrIsEEEESE_SE_sNS9_10multipliesIsEENS9_8equal_toIsEEsEE10hipError_tPvRmT2_T3_T4_T5_mT6_T7_P12ihipStream_tbENKUlT_T0_E_clISt17integral_constantIbLb0EESZ_EEDaSU_SV_EUlSU_E_NS1_11comp_targetILNS1_3genE10ELNS1_11target_archE1201ELNS1_3gpuE5ELNS1_3repE0EEENS1_30default_config_static_selectorELNS0_4arch9wavefront6targetE0EEEvT1_.kd
    .uniform_work_group_size: 1
    .uses_dynamic_stack: false
    .vgpr_count:     0
    .vgpr_spill_count: 0
    .wavefront_size: 32
  - .args:
      - .offset:         0
        .size:           112
        .value_kind:     by_value
    .group_segment_fixed_size: 0
    .kernarg_segment_align: 8
    .kernarg_segment_size: 112
    .language:       OpenCL C
    .language_version:
      - 2
      - 0
    .max_flat_workgroup_size: 256
    .name:           _ZN7rocprim17ROCPRIM_400000_NS6detail17trampoline_kernelINS0_14default_configENS1_27scan_by_key_config_selectorIssEEZZNS1_16scan_by_key_implILNS1_25lookback_scan_determinismE0ELb0ES3_N6thrust23THRUST_200600_302600_NS6detail15normal_iteratorINS9_10device_ptrIsEEEESE_SE_sNS9_10multipliesIsEENS9_8equal_toIsEEsEE10hipError_tPvRmT2_T3_T4_T5_mT6_T7_P12ihipStream_tbENKUlT_T0_E_clISt17integral_constantIbLb0EESZ_EEDaSU_SV_EUlSU_E_NS1_11comp_targetILNS1_3genE5ELNS1_11target_archE942ELNS1_3gpuE9ELNS1_3repE0EEENS1_30default_config_static_selectorELNS0_4arch9wavefront6targetE0EEEvT1_
    .private_segment_fixed_size: 0
    .sgpr_count:     0
    .sgpr_spill_count: 0
    .symbol:         _ZN7rocprim17ROCPRIM_400000_NS6detail17trampoline_kernelINS0_14default_configENS1_27scan_by_key_config_selectorIssEEZZNS1_16scan_by_key_implILNS1_25lookback_scan_determinismE0ELb0ES3_N6thrust23THRUST_200600_302600_NS6detail15normal_iteratorINS9_10device_ptrIsEEEESE_SE_sNS9_10multipliesIsEENS9_8equal_toIsEEsEE10hipError_tPvRmT2_T3_T4_T5_mT6_T7_P12ihipStream_tbENKUlT_T0_E_clISt17integral_constantIbLb0EESZ_EEDaSU_SV_EUlSU_E_NS1_11comp_targetILNS1_3genE5ELNS1_11target_archE942ELNS1_3gpuE9ELNS1_3repE0EEENS1_30default_config_static_selectorELNS0_4arch9wavefront6targetE0EEEvT1_.kd
    .uniform_work_group_size: 1
    .uses_dynamic_stack: false
    .vgpr_count:     0
    .vgpr_spill_count: 0
    .wavefront_size: 32
  - .args:
      - .offset:         0
        .size:           112
        .value_kind:     by_value
    .group_segment_fixed_size: 0
    .kernarg_segment_align: 8
    .kernarg_segment_size: 112
    .language:       OpenCL C
    .language_version:
      - 2
      - 0
    .max_flat_workgroup_size: 256
    .name:           _ZN7rocprim17ROCPRIM_400000_NS6detail17trampoline_kernelINS0_14default_configENS1_27scan_by_key_config_selectorIssEEZZNS1_16scan_by_key_implILNS1_25lookback_scan_determinismE0ELb0ES3_N6thrust23THRUST_200600_302600_NS6detail15normal_iteratorINS9_10device_ptrIsEEEESE_SE_sNS9_10multipliesIsEENS9_8equal_toIsEEsEE10hipError_tPvRmT2_T3_T4_T5_mT6_T7_P12ihipStream_tbENKUlT_T0_E_clISt17integral_constantIbLb0EESZ_EEDaSU_SV_EUlSU_E_NS1_11comp_targetILNS1_3genE4ELNS1_11target_archE910ELNS1_3gpuE8ELNS1_3repE0EEENS1_30default_config_static_selectorELNS0_4arch9wavefront6targetE0EEEvT1_
    .private_segment_fixed_size: 0
    .sgpr_count:     0
    .sgpr_spill_count: 0
    .symbol:         _ZN7rocprim17ROCPRIM_400000_NS6detail17trampoline_kernelINS0_14default_configENS1_27scan_by_key_config_selectorIssEEZZNS1_16scan_by_key_implILNS1_25lookback_scan_determinismE0ELb0ES3_N6thrust23THRUST_200600_302600_NS6detail15normal_iteratorINS9_10device_ptrIsEEEESE_SE_sNS9_10multipliesIsEENS9_8equal_toIsEEsEE10hipError_tPvRmT2_T3_T4_T5_mT6_T7_P12ihipStream_tbENKUlT_T0_E_clISt17integral_constantIbLb0EESZ_EEDaSU_SV_EUlSU_E_NS1_11comp_targetILNS1_3genE4ELNS1_11target_archE910ELNS1_3gpuE8ELNS1_3repE0EEENS1_30default_config_static_selectorELNS0_4arch9wavefront6targetE0EEEvT1_.kd
    .uniform_work_group_size: 1
    .uses_dynamic_stack: false
    .vgpr_count:     0
    .vgpr_spill_count: 0
    .wavefront_size: 32
  - .args:
      - .offset:         0
        .size:           112
        .value_kind:     by_value
    .group_segment_fixed_size: 0
    .kernarg_segment_align: 8
    .kernarg_segment_size: 112
    .language:       OpenCL C
    .language_version:
      - 2
      - 0
    .max_flat_workgroup_size: 256
    .name:           _ZN7rocprim17ROCPRIM_400000_NS6detail17trampoline_kernelINS0_14default_configENS1_27scan_by_key_config_selectorIssEEZZNS1_16scan_by_key_implILNS1_25lookback_scan_determinismE0ELb0ES3_N6thrust23THRUST_200600_302600_NS6detail15normal_iteratorINS9_10device_ptrIsEEEESE_SE_sNS9_10multipliesIsEENS9_8equal_toIsEEsEE10hipError_tPvRmT2_T3_T4_T5_mT6_T7_P12ihipStream_tbENKUlT_T0_E_clISt17integral_constantIbLb0EESZ_EEDaSU_SV_EUlSU_E_NS1_11comp_targetILNS1_3genE3ELNS1_11target_archE908ELNS1_3gpuE7ELNS1_3repE0EEENS1_30default_config_static_selectorELNS0_4arch9wavefront6targetE0EEEvT1_
    .private_segment_fixed_size: 0
    .sgpr_count:     0
    .sgpr_spill_count: 0
    .symbol:         _ZN7rocprim17ROCPRIM_400000_NS6detail17trampoline_kernelINS0_14default_configENS1_27scan_by_key_config_selectorIssEEZZNS1_16scan_by_key_implILNS1_25lookback_scan_determinismE0ELb0ES3_N6thrust23THRUST_200600_302600_NS6detail15normal_iteratorINS9_10device_ptrIsEEEESE_SE_sNS9_10multipliesIsEENS9_8equal_toIsEEsEE10hipError_tPvRmT2_T3_T4_T5_mT6_T7_P12ihipStream_tbENKUlT_T0_E_clISt17integral_constantIbLb0EESZ_EEDaSU_SV_EUlSU_E_NS1_11comp_targetILNS1_3genE3ELNS1_11target_archE908ELNS1_3gpuE7ELNS1_3repE0EEENS1_30default_config_static_selectorELNS0_4arch9wavefront6targetE0EEEvT1_.kd
    .uniform_work_group_size: 1
    .uses_dynamic_stack: false
    .vgpr_count:     0
    .vgpr_spill_count: 0
    .wavefront_size: 32
  - .args:
      - .offset:         0
        .size:           112
        .value_kind:     by_value
    .group_segment_fixed_size: 0
    .kernarg_segment_align: 8
    .kernarg_segment_size: 112
    .language:       OpenCL C
    .language_version:
      - 2
      - 0
    .max_flat_workgroup_size: 64
    .name:           _ZN7rocprim17ROCPRIM_400000_NS6detail17trampoline_kernelINS0_14default_configENS1_27scan_by_key_config_selectorIssEEZZNS1_16scan_by_key_implILNS1_25lookback_scan_determinismE0ELb0ES3_N6thrust23THRUST_200600_302600_NS6detail15normal_iteratorINS9_10device_ptrIsEEEESE_SE_sNS9_10multipliesIsEENS9_8equal_toIsEEsEE10hipError_tPvRmT2_T3_T4_T5_mT6_T7_P12ihipStream_tbENKUlT_T0_E_clISt17integral_constantIbLb0EESZ_EEDaSU_SV_EUlSU_E_NS1_11comp_targetILNS1_3genE2ELNS1_11target_archE906ELNS1_3gpuE6ELNS1_3repE0EEENS1_30default_config_static_selectorELNS0_4arch9wavefront6targetE0EEEvT1_
    .private_segment_fixed_size: 0
    .sgpr_count:     0
    .sgpr_spill_count: 0
    .symbol:         _ZN7rocprim17ROCPRIM_400000_NS6detail17trampoline_kernelINS0_14default_configENS1_27scan_by_key_config_selectorIssEEZZNS1_16scan_by_key_implILNS1_25lookback_scan_determinismE0ELb0ES3_N6thrust23THRUST_200600_302600_NS6detail15normal_iteratorINS9_10device_ptrIsEEEESE_SE_sNS9_10multipliesIsEENS9_8equal_toIsEEsEE10hipError_tPvRmT2_T3_T4_T5_mT6_T7_P12ihipStream_tbENKUlT_T0_E_clISt17integral_constantIbLb0EESZ_EEDaSU_SV_EUlSU_E_NS1_11comp_targetILNS1_3genE2ELNS1_11target_archE906ELNS1_3gpuE6ELNS1_3repE0EEENS1_30default_config_static_selectorELNS0_4arch9wavefront6targetE0EEEvT1_.kd
    .uniform_work_group_size: 1
    .uses_dynamic_stack: false
    .vgpr_count:     0
    .vgpr_spill_count: 0
    .wavefront_size: 32
  - .args:
      - .offset:         0
        .size:           112
        .value_kind:     by_value
    .group_segment_fixed_size: 0
    .kernarg_segment_align: 8
    .kernarg_segment_size: 112
    .language:       OpenCL C
    .language_version:
      - 2
      - 0
    .max_flat_workgroup_size: 256
    .name:           _ZN7rocprim17ROCPRIM_400000_NS6detail17trampoline_kernelINS0_14default_configENS1_27scan_by_key_config_selectorIssEEZZNS1_16scan_by_key_implILNS1_25lookback_scan_determinismE0ELb0ES3_N6thrust23THRUST_200600_302600_NS6detail15normal_iteratorINS9_10device_ptrIsEEEESE_SE_sNS9_10multipliesIsEENS9_8equal_toIsEEsEE10hipError_tPvRmT2_T3_T4_T5_mT6_T7_P12ihipStream_tbENKUlT_T0_E_clISt17integral_constantIbLb0EESZ_EEDaSU_SV_EUlSU_E_NS1_11comp_targetILNS1_3genE10ELNS1_11target_archE1200ELNS1_3gpuE4ELNS1_3repE0EEENS1_30default_config_static_selectorELNS0_4arch9wavefront6targetE0EEEvT1_
    .private_segment_fixed_size: 0
    .sgpr_count:     0
    .sgpr_spill_count: 0
    .symbol:         _ZN7rocprim17ROCPRIM_400000_NS6detail17trampoline_kernelINS0_14default_configENS1_27scan_by_key_config_selectorIssEEZZNS1_16scan_by_key_implILNS1_25lookback_scan_determinismE0ELb0ES3_N6thrust23THRUST_200600_302600_NS6detail15normal_iteratorINS9_10device_ptrIsEEEESE_SE_sNS9_10multipliesIsEENS9_8equal_toIsEEsEE10hipError_tPvRmT2_T3_T4_T5_mT6_T7_P12ihipStream_tbENKUlT_T0_E_clISt17integral_constantIbLb0EESZ_EEDaSU_SV_EUlSU_E_NS1_11comp_targetILNS1_3genE10ELNS1_11target_archE1200ELNS1_3gpuE4ELNS1_3repE0EEENS1_30default_config_static_selectorELNS0_4arch9wavefront6targetE0EEEvT1_.kd
    .uniform_work_group_size: 1
    .uses_dynamic_stack: false
    .vgpr_count:     0
    .vgpr_spill_count: 0
    .wavefront_size: 32
  - .args:
      - .offset:         0
        .size:           112
        .value_kind:     by_value
    .group_segment_fixed_size: 0
    .kernarg_segment_align: 8
    .kernarg_segment_size: 112
    .language:       OpenCL C
    .language_version:
      - 2
      - 0
    .max_flat_workgroup_size: 256
    .name:           _ZN7rocprim17ROCPRIM_400000_NS6detail17trampoline_kernelINS0_14default_configENS1_27scan_by_key_config_selectorIssEEZZNS1_16scan_by_key_implILNS1_25lookback_scan_determinismE0ELb0ES3_N6thrust23THRUST_200600_302600_NS6detail15normal_iteratorINS9_10device_ptrIsEEEESE_SE_sNS9_10multipliesIsEENS9_8equal_toIsEEsEE10hipError_tPvRmT2_T3_T4_T5_mT6_T7_P12ihipStream_tbENKUlT_T0_E_clISt17integral_constantIbLb0EESZ_EEDaSU_SV_EUlSU_E_NS1_11comp_targetILNS1_3genE9ELNS1_11target_archE1100ELNS1_3gpuE3ELNS1_3repE0EEENS1_30default_config_static_selectorELNS0_4arch9wavefront6targetE0EEEvT1_
    .private_segment_fixed_size: 0
    .sgpr_count:     0
    .sgpr_spill_count: 0
    .symbol:         _ZN7rocprim17ROCPRIM_400000_NS6detail17trampoline_kernelINS0_14default_configENS1_27scan_by_key_config_selectorIssEEZZNS1_16scan_by_key_implILNS1_25lookback_scan_determinismE0ELb0ES3_N6thrust23THRUST_200600_302600_NS6detail15normal_iteratorINS9_10device_ptrIsEEEESE_SE_sNS9_10multipliesIsEENS9_8equal_toIsEEsEE10hipError_tPvRmT2_T3_T4_T5_mT6_T7_P12ihipStream_tbENKUlT_T0_E_clISt17integral_constantIbLb0EESZ_EEDaSU_SV_EUlSU_E_NS1_11comp_targetILNS1_3genE9ELNS1_11target_archE1100ELNS1_3gpuE3ELNS1_3repE0EEENS1_30default_config_static_selectorELNS0_4arch9wavefront6targetE0EEEvT1_.kd
    .uniform_work_group_size: 1
    .uses_dynamic_stack: false
    .vgpr_count:     0
    .vgpr_spill_count: 0
    .wavefront_size: 32
  - .args:
      - .offset:         0
        .size:           112
        .value_kind:     by_value
    .group_segment_fixed_size: 0
    .kernarg_segment_align: 8
    .kernarg_segment_size: 112
    .language:       OpenCL C
    .language_version:
      - 2
      - 0
    .max_flat_workgroup_size: 64
    .name:           _ZN7rocprim17ROCPRIM_400000_NS6detail17trampoline_kernelINS0_14default_configENS1_27scan_by_key_config_selectorIssEEZZNS1_16scan_by_key_implILNS1_25lookback_scan_determinismE0ELb0ES3_N6thrust23THRUST_200600_302600_NS6detail15normal_iteratorINS9_10device_ptrIsEEEESE_SE_sNS9_10multipliesIsEENS9_8equal_toIsEEsEE10hipError_tPvRmT2_T3_T4_T5_mT6_T7_P12ihipStream_tbENKUlT_T0_E_clISt17integral_constantIbLb0EESZ_EEDaSU_SV_EUlSU_E_NS1_11comp_targetILNS1_3genE8ELNS1_11target_archE1030ELNS1_3gpuE2ELNS1_3repE0EEENS1_30default_config_static_selectorELNS0_4arch9wavefront6targetE0EEEvT1_
    .private_segment_fixed_size: 0
    .sgpr_count:     0
    .sgpr_spill_count: 0
    .symbol:         _ZN7rocprim17ROCPRIM_400000_NS6detail17trampoline_kernelINS0_14default_configENS1_27scan_by_key_config_selectorIssEEZZNS1_16scan_by_key_implILNS1_25lookback_scan_determinismE0ELb0ES3_N6thrust23THRUST_200600_302600_NS6detail15normal_iteratorINS9_10device_ptrIsEEEESE_SE_sNS9_10multipliesIsEENS9_8equal_toIsEEsEE10hipError_tPvRmT2_T3_T4_T5_mT6_T7_P12ihipStream_tbENKUlT_T0_E_clISt17integral_constantIbLb0EESZ_EEDaSU_SV_EUlSU_E_NS1_11comp_targetILNS1_3genE8ELNS1_11target_archE1030ELNS1_3gpuE2ELNS1_3repE0EEENS1_30default_config_static_selectorELNS0_4arch9wavefront6targetE0EEEvT1_.kd
    .uniform_work_group_size: 1
    .uses_dynamic_stack: false
    .vgpr_count:     0
    .vgpr_spill_count: 0
    .wavefront_size: 32
  - .args:
      - .offset:         0
        .size:           112
        .value_kind:     by_value
    .group_segment_fixed_size: 0
    .kernarg_segment_align: 8
    .kernarg_segment_size: 112
    .language:       OpenCL C
    .language_version:
      - 2
      - 0
    .max_flat_workgroup_size: 256
    .name:           _ZN7rocprim17ROCPRIM_400000_NS6detail17trampoline_kernelINS0_14default_configENS1_27scan_by_key_config_selectorIssEEZZNS1_16scan_by_key_implILNS1_25lookback_scan_determinismE0ELb0ES3_N6thrust23THRUST_200600_302600_NS6detail15normal_iteratorINS9_10device_ptrIsEEEESE_SE_sNS9_10multipliesIsEENS9_8equal_toIsEEsEE10hipError_tPvRmT2_T3_T4_T5_mT6_T7_P12ihipStream_tbENKUlT_T0_E_clISt17integral_constantIbLb1EESZ_EEDaSU_SV_EUlSU_E_NS1_11comp_targetILNS1_3genE0ELNS1_11target_archE4294967295ELNS1_3gpuE0ELNS1_3repE0EEENS1_30default_config_static_selectorELNS0_4arch9wavefront6targetE0EEEvT1_
    .private_segment_fixed_size: 0
    .sgpr_count:     0
    .sgpr_spill_count: 0
    .symbol:         _ZN7rocprim17ROCPRIM_400000_NS6detail17trampoline_kernelINS0_14default_configENS1_27scan_by_key_config_selectorIssEEZZNS1_16scan_by_key_implILNS1_25lookback_scan_determinismE0ELb0ES3_N6thrust23THRUST_200600_302600_NS6detail15normal_iteratorINS9_10device_ptrIsEEEESE_SE_sNS9_10multipliesIsEENS9_8equal_toIsEEsEE10hipError_tPvRmT2_T3_T4_T5_mT6_T7_P12ihipStream_tbENKUlT_T0_E_clISt17integral_constantIbLb1EESZ_EEDaSU_SV_EUlSU_E_NS1_11comp_targetILNS1_3genE0ELNS1_11target_archE4294967295ELNS1_3gpuE0ELNS1_3repE0EEENS1_30default_config_static_selectorELNS0_4arch9wavefront6targetE0EEEvT1_.kd
    .uniform_work_group_size: 1
    .uses_dynamic_stack: false
    .vgpr_count:     0
    .vgpr_spill_count: 0
    .wavefront_size: 32
  - .args:
      - .offset:         0
        .size:           112
        .value_kind:     by_value
    .group_segment_fixed_size: 0
    .kernarg_segment_align: 8
    .kernarg_segment_size: 112
    .language:       OpenCL C
    .language_version:
      - 2
      - 0
    .max_flat_workgroup_size: 128
    .name:           _ZN7rocprim17ROCPRIM_400000_NS6detail17trampoline_kernelINS0_14default_configENS1_27scan_by_key_config_selectorIssEEZZNS1_16scan_by_key_implILNS1_25lookback_scan_determinismE0ELb0ES3_N6thrust23THRUST_200600_302600_NS6detail15normal_iteratorINS9_10device_ptrIsEEEESE_SE_sNS9_10multipliesIsEENS9_8equal_toIsEEsEE10hipError_tPvRmT2_T3_T4_T5_mT6_T7_P12ihipStream_tbENKUlT_T0_E_clISt17integral_constantIbLb1EESZ_EEDaSU_SV_EUlSU_E_NS1_11comp_targetILNS1_3genE10ELNS1_11target_archE1201ELNS1_3gpuE5ELNS1_3repE0EEENS1_30default_config_static_selectorELNS0_4arch9wavefront6targetE0EEEvT1_
    .private_segment_fixed_size: 0
    .sgpr_count:     0
    .sgpr_spill_count: 0
    .symbol:         _ZN7rocprim17ROCPRIM_400000_NS6detail17trampoline_kernelINS0_14default_configENS1_27scan_by_key_config_selectorIssEEZZNS1_16scan_by_key_implILNS1_25lookback_scan_determinismE0ELb0ES3_N6thrust23THRUST_200600_302600_NS6detail15normal_iteratorINS9_10device_ptrIsEEEESE_SE_sNS9_10multipliesIsEENS9_8equal_toIsEEsEE10hipError_tPvRmT2_T3_T4_T5_mT6_T7_P12ihipStream_tbENKUlT_T0_E_clISt17integral_constantIbLb1EESZ_EEDaSU_SV_EUlSU_E_NS1_11comp_targetILNS1_3genE10ELNS1_11target_archE1201ELNS1_3gpuE5ELNS1_3repE0EEENS1_30default_config_static_selectorELNS0_4arch9wavefront6targetE0EEEvT1_.kd
    .uniform_work_group_size: 1
    .uses_dynamic_stack: false
    .vgpr_count:     0
    .vgpr_spill_count: 0
    .wavefront_size: 32
  - .args:
      - .offset:         0
        .size:           112
        .value_kind:     by_value
    .group_segment_fixed_size: 0
    .kernarg_segment_align: 8
    .kernarg_segment_size: 112
    .language:       OpenCL C
    .language_version:
      - 2
      - 0
    .max_flat_workgroup_size: 256
    .name:           _ZN7rocprim17ROCPRIM_400000_NS6detail17trampoline_kernelINS0_14default_configENS1_27scan_by_key_config_selectorIssEEZZNS1_16scan_by_key_implILNS1_25lookback_scan_determinismE0ELb0ES3_N6thrust23THRUST_200600_302600_NS6detail15normal_iteratorINS9_10device_ptrIsEEEESE_SE_sNS9_10multipliesIsEENS9_8equal_toIsEEsEE10hipError_tPvRmT2_T3_T4_T5_mT6_T7_P12ihipStream_tbENKUlT_T0_E_clISt17integral_constantIbLb1EESZ_EEDaSU_SV_EUlSU_E_NS1_11comp_targetILNS1_3genE5ELNS1_11target_archE942ELNS1_3gpuE9ELNS1_3repE0EEENS1_30default_config_static_selectorELNS0_4arch9wavefront6targetE0EEEvT1_
    .private_segment_fixed_size: 0
    .sgpr_count:     0
    .sgpr_spill_count: 0
    .symbol:         _ZN7rocprim17ROCPRIM_400000_NS6detail17trampoline_kernelINS0_14default_configENS1_27scan_by_key_config_selectorIssEEZZNS1_16scan_by_key_implILNS1_25lookback_scan_determinismE0ELb0ES3_N6thrust23THRUST_200600_302600_NS6detail15normal_iteratorINS9_10device_ptrIsEEEESE_SE_sNS9_10multipliesIsEENS9_8equal_toIsEEsEE10hipError_tPvRmT2_T3_T4_T5_mT6_T7_P12ihipStream_tbENKUlT_T0_E_clISt17integral_constantIbLb1EESZ_EEDaSU_SV_EUlSU_E_NS1_11comp_targetILNS1_3genE5ELNS1_11target_archE942ELNS1_3gpuE9ELNS1_3repE0EEENS1_30default_config_static_selectorELNS0_4arch9wavefront6targetE0EEEvT1_.kd
    .uniform_work_group_size: 1
    .uses_dynamic_stack: false
    .vgpr_count:     0
    .vgpr_spill_count: 0
    .wavefront_size: 32
  - .args:
      - .offset:         0
        .size:           112
        .value_kind:     by_value
    .group_segment_fixed_size: 0
    .kernarg_segment_align: 8
    .kernarg_segment_size: 112
    .language:       OpenCL C
    .language_version:
      - 2
      - 0
    .max_flat_workgroup_size: 256
    .name:           _ZN7rocprim17ROCPRIM_400000_NS6detail17trampoline_kernelINS0_14default_configENS1_27scan_by_key_config_selectorIssEEZZNS1_16scan_by_key_implILNS1_25lookback_scan_determinismE0ELb0ES3_N6thrust23THRUST_200600_302600_NS6detail15normal_iteratorINS9_10device_ptrIsEEEESE_SE_sNS9_10multipliesIsEENS9_8equal_toIsEEsEE10hipError_tPvRmT2_T3_T4_T5_mT6_T7_P12ihipStream_tbENKUlT_T0_E_clISt17integral_constantIbLb1EESZ_EEDaSU_SV_EUlSU_E_NS1_11comp_targetILNS1_3genE4ELNS1_11target_archE910ELNS1_3gpuE8ELNS1_3repE0EEENS1_30default_config_static_selectorELNS0_4arch9wavefront6targetE0EEEvT1_
    .private_segment_fixed_size: 0
    .sgpr_count:     0
    .sgpr_spill_count: 0
    .symbol:         _ZN7rocprim17ROCPRIM_400000_NS6detail17trampoline_kernelINS0_14default_configENS1_27scan_by_key_config_selectorIssEEZZNS1_16scan_by_key_implILNS1_25lookback_scan_determinismE0ELb0ES3_N6thrust23THRUST_200600_302600_NS6detail15normal_iteratorINS9_10device_ptrIsEEEESE_SE_sNS9_10multipliesIsEENS9_8equal_toIsEEsEE10hipError_tPvRmT2_T3_T4_T5_mT6_T7_P12ihipStream_tbENKUlT_T0_E_clISt17integral_constantIbLb1EESZ_EEDaSU_SV_EUlSU_E_NS1_11comp_targetILNS1_3genE4ELNS1_11target_archE910ELNS1_3gpuE8ELNS1_3repE0EEENS1_30default_config_static_selectorELNS0_4arch9wavefront6targetE0EEEvT1_.kd
    .uniform_work_group_size: 1
    .uses_dynamic_stack: false
    .vgpr_count:     0
    .vgpr_spill_count: 0
    .wavefront_size: 32
  - .args:
      - .offset:         0
        .size:           112
        .value_kind:     by_value
    .group_segment_fixed_size: 0
    .kernarg_segment_align: 8
    .kernarg_segment_size: 112
    .language:       OpenCL C
    .language_version:
      - 2
      - 0
    .max_flat_workgroup_size: 256
    .name:           _ZN7rocprim17ROCPRIM_400000_NS6detail17trampoline_kernelINS0_14default_configENS1_27scan_by_key_config_selectorIssEEZZNS1_16scan_by_key_implILNS1_25lookback_scan_determinismE0ELb0ES3_N6thrust23THRUST_200600_302600_NS6detail15normal_iteratorINS9_10device_ptrIsEEEESE_SE_sNS9_10multipliesIsEENS9_8equal_toIsEEsEE10hipError_tPvRmT2_T3_T4_T5_mT6_T7_P12ihipStream_tbENKUlT_T0_E_clISt17integral_constantIbLb1EESZ_EEDaSU_SV_EUlSU_E_NS1_11comp_targetILNS1_3genE3ELNS1_11target_archE908ELNS1_3gpuE7ELNS1_3repE0EEENS1_30default_config_static_selectorELNS0_4arch9wavefront6targetE0EEEvT1_
    .private_segment_fixed_size: 0
    .sgpr_count:     0
    .sgpr_spill_count: 0
    .symbol:         _ZN7rocprim17ROCPRIM_400000_NS6detail17trampoline_kernelINS0_14default_configENS1_27scan_by_key_config_selectorIssEEZZNS1_16scan_by_key_implILNS1_25lookback_scan_determinismE0ELb0ES3_N6thrust23THRUST_200600_302600_NS6detail15normal_iteratorINS9_10device_ptrIsEEEESE_SE_sNS9_10multipliesIsEENS9_8equal_toIsEEsEE10hipError_tPvRmT2_T3_T4_T5_mT6_T7_P12ihipStream_tbENKUlT_T0_E_clISt17integral_constantIbLb1EESZ_EEDaSU_SV_EUlSU_E_NS1_11comp_targetILNS1_3genE3ELNS1_11target_archE908ELNS1_3gpuE7ELNS1_3repE0EEENS1_30default_config_static_selectorELNS0_4arch9wavefront6targetE0EEEvT1_.kd
    .uniform_work_group_size: 1
    .uses_dynamic_stack: false
    .vgpr_count:     0
    .vgpr_spill_count: 0
    .wavefront_size: 32
  - .args:
      - .offset:         0
        .size:           112
        .value_kind:     by_value
    .group_segment_fixed_size: 0
    .kernarg_segment_align: 8
    .kernarg_segment_size: 112
    .language:       OpenCL C
    .language_version:
      - 2
      - 0
    .max_flat_workgroup_size: 64
    .name:           _ZN7rocprim17ROCPRIM_400000_NS6detail17trampoline_kernelINS0_14default_configENS1_27scan_by_key_config_selectorIssEEZZNS1_16scan_by_key_implILNS1_25lookback_scan_determinismE0ELb0ES3_N6thrust23THRUST_200600_302600_NS6detail15normal_iteratorINS9_10device_ptrIsEEEESE_SE_sNS9_10multipliesIsEENS9_8equal_toIsEEsEE10hipError_tPvRmT2_T3_T4_T5_mT6_T7_P12ihipStream_tbENKUlT_T0_E_clISt17integral_constantIbLb1EESZ_EEDaSU_SV_EUlSU_E_NS1_11comp_targetILNS1_3genE2ELNS1_11target_archE906ELNS1_3gpuE6ELNS1_3repE0EEENS1_30default_config_static_selectorELNS0_4arch9wavefront6targetE0EEEvT1_
    .private_segment_fixed_size: 0
    .sgpr_count:     0
    .sgpr_spill_count: 0
    .symbol:         _ZN7rocprim17ROCPRIM_400000_NS6detail17trampoline_kernelINS0_14default_configENS1_27scan_by_key_config_selectorIssEEZZNS1_16scan_by_key_implILNS1_25lookback_scan_determinismE0ELb0ES3_N6thrust23THRUST_200600_302600_NS6detail15normal_iteratorINS9_10device_ptrIsEEEESE_SE_sNS9_10multipliesIsEENS9_8equal_toIsEEsEE10hipError_tPvRmT2_T3_T4_T5_mT6_T7_P12ihipStream_tbENKUlT_T0_E_clISt17integral_constantIbLb1EESZ_EEDaSU_SV_EUlSU_E_NS1_11comp_targetILNS1_3genE2ELNS1_11target_archE906ELNS1_3gpuE6ELNS1_3repE0EEENS1_30default_config_static_selectorELNS0_4arch9wavefront6targetE0EEEvT1_.kd
    .uniform_work_group_size: 1
    .uses_dynamic_stack: false
    .vgpr_count:     0
    .vgpr_spill_count: 0
    .wavefront_size: 32
  - .args:
      - .offset:         0
        .size:           112
        .value_kind:     by_value
    .group_segment_fixed_size: 0
    .kernarg_segment_align: 8
    .kernarg_segment_size: 112
    .language:       OpenCL C
    .language_version:
      - 2
      - 0
    .max_flat_workgroup_size: 256
    .name:           _ZN7rocprim17ROCPRIM_400000_NS6detail17trampoline_kernelINS0_14default_configENS1_27scan_by_key_config_selectorIssEEZZNS1_16scan_by_key_implILNS1_25lookback_scan_determinismE0ELb0ES3_N6thrust23THRUST_200600_302600_NS6detail15normal_iteratorINS9_10device_ptrIsEEEESE_SE_sNS9_10multipliesIsEENS9_8equal_toIsEEsEE10hipError_tPvRmT2_T3_T4_T5_mT6_T7_P12ihipStream_tbENKUlT_T0_E_clISt17integral_constantIbLb1EESZ_EEDaSU_SV_EUlSU_E_NS1_11comp_targetILNS1_3genE10ELNS1_11target_archE1200ELNS1_3gpuE4ELNS1_3repE0EEENS1_30default_config_static_selectorELNS0_4arch9wavefront6targetE0EEEvT1_
    .private_segment_fixed_size: 0
    .sgpr_count:     0
    .sgpr_spill_count: 0
    .symbol:         _ZN7rocprim17ROCPRIM_400000_NS6detail17trampoline_kernelINS0_14default_configENS1_27scan_by_key_config_selectorIssEEZZNS1_16scan_by_key_implILNS1_25lookback_scan_determinismE0ELb0ES3_N6thrust23THRUST_200600_302600_NS6detail15normal_iteratorINS9_10device_ptrIsEEEESE_SE_sNS9_10multipliesIsEENS9_8equal_toIsEEsEE10hipError_tPvRmT2_T3_T4_T5_mT6_T7_P12ihipStream_tbENKUlT_T0_E_clISt17integral_constantIbLb1EESZ_EEDaSU_SV_EUlSU_E_NS1_11comp_targetILNS1_3genE10ELNS1_11target_archE1200ELNS1_3gpuE4ELNS1_3repE0EEENS1_30default_config_static_selectorELNS0_4arch9wavefront6targetE0EEEvT1_.kd
    .uniform_work_group_size: 1
    .uses_dynamic_stack: false
    .vgpr_count:     0
    .vgpr_spill_count: 0
    .wavefront_size: 32
  - .args:
      - .offset:         0
        .size:           112
        .value_kind:     by_value
    .group_segment_fixed_size: 0
    .kernarg_segment_align: 8
    .kernarg_segment_size: 112
    .language:       OpenCL C
    .language_version:
      - 2
      - 0
    .max_flat_workgroup_size: 256
    .name:           _ZN7rocprim17ROCPRIM_400000_NS6detail17trampoline_kernelINS0_14default_configENS1_27scan_by_key_config_selectorIssEEZZNS1_16scan_by_key_implILNS1_25lookback_scan_determinismE0ELb0ES3_N6thrust23THRUST_200600_302600_NS6detail15normal_iteratorINS9_10device_ptrIsEEEESE_SE_sNS9_10multipliesIsEENS9_8equal_toIsEEsEE10hipError_tPvRmT2_T3_T4_T5_mT6_T7_P12ihipStream_tbENKUlT_T0_E_clISt17integral_constantIbLb1EESZ_EEDaSU_SV_EUlSU_E_NS1_11comp_targetILNS1_3genE9ELNS1_11target_archE1100ELNS1_3gpuE3ELNS1_3repE0EEENS1_30default_config_static_selectorELNS0_4arch9wavefront6targetE0EEEvT1_
    .private_segment_fixed_size: 0
    .sgpr_count:     0
    .sgpr_spill_count: 0
    .symbol:         _ZN7rocprim17ROCPRIM_400000_NS6detail17trampoline_kernelINS0_14default_configENS1_27scan_by_key_config_selectorIssEEZZNS1_16scan_by_key_implILNS1_25lookback_scan_determinismE0ELb0ES3_N6thrust23THRUST_200600_302600_NS6detail15normal_iteratorINS9_10device_ptrIsEEEESE_SE_sNS9_10multipliesIsEENS9_8equal_toIsEEsEE10hipError_tPvRmT2_T3_T4_T5_mT6_T7_P12ihipStream_tbENKUlT_T0_E_clISt17integral_constantIbLb1EESZ_EEDaSU_SV_EUlSU_E_NS1_11comp_targetILNS1_3genE9ELNS1_11target_archE1100ELNS1_3gpuE3ELNS1_3repE0EEENS1_30default_config_static_selectorELNS0_4arch9wavefront6targetE0EEEvT1_.kd
    .uniform_work_group_size: 1
    .uses_dynamic_stack: false
    .vgpr_count:     0
    .vgpr_spill_count: 0
    .wavefront_size: 32
  - .args:
      - .offset:         0
        .size:           112
        .value_kind:     by_value
    .group_segment_fixed_size: 0
    .kernarg_segment_align: 8
    .kernarg_segment_size: 112
    .language:       OpenCL C
    .language_version:
      - 2
      - 0
    .max_flat_workgroup_size: 64
    .name:           _ZN7rocprim17ROCPRIM_400000_NS6detail17trampoline_kernelINS0_14default_configENS1_27scan_by_key_config_selectorIssEEZZNS1_16scan_by_key_implILNS1_25lookback_scan_determinismE0ELb0ES3_N6thrust23THRUST_200600_302600_NS6detail15normal_iteratorINS9_10device_ptrIsEEEESE_SE_sNS9_10multipliesIsEENS9_8equal_toIsEEsEE10hipError_tPvRmT2_T3_T4_T5_mT6_T7_P12ihipStream_tbENKUlT_T0_E_clISt17integral_constantIbLb1EESZ_EEDaSU_SV_EUlSU_E_NS1_11comp_targetILNS1_3genE8ELNS1_11target_archE1030ELNS1_3gpuE2ELNS1_3repE0EEENS1_30default_config_static_selectorELNS0_4arch9wavefront6targetE0EEEvT1_
    .private_segment_fixed_size: 0
    .sgpr_count:     0
    .sgpr_spill_count: 0
    .symbol:         _ZN7rocprim17ROCPRIM_400000_NS6detail17trampoline_kernelINS0_14default_configENS1_27scan_by_key_config_selectorIssEEZZNS1_16scan_by_key_implILNS1_25lookback_scan_determinismE0ELb0ES3_N6thrust23THRUST_200600_302600_NS6detail15normal_iteratorINS9_10device_ptrIsEEEESE_SE_sNS9_10multipliesIsEENS9_8equal_toIsEEsEE10hipError_tPvRmT2_T3_T4_T5_mT6_T7_P12ihipStream_tbENKUlT_T0_E_clISt17integral_constantIbLb1EESZ_EEDaSU_SV_EUlSU_E_NS1_11comp_targetILNS1_3genE8ELNS1_11target_archE1030ELNS1_3gpuE2ELNS1_3repE0EEENS1_30default_config_static_selectorELNS0_4arch9wavefront6targetE0EEEvT1_.kd
    .uniform_work_group_size: 1
    .uses_dynamic_stack: false
    .vgpr_count:     0
    .vgpr_spill_count: 0
    .wavefront_size: 32
  - .args:
      - .offset:         0
        .size:           112
        .value_kind:     by_value
    .group_segment_fixed_size: 0
    .kernarg_segment_align: 8
    .kernarg_segment_size: 112
    .language:       OpenCL C
    .language_version:
      - 2
      - 0
    .max_flat_workgroup_size: 256
    .name:           _ZN7rocprim17ROCPRIM_400000_NS6detail17trampoline_kernelINS0_14default_configENS1_27scan_by_key_config_selectorIssEEZZNS1_16scan_by_key_implILNS1_25lookback_scan_determinismE0ELb0ES3_N6thrust23THRUST_200600_302600_NS6detail15normal_iteratorINS9_10device_ptrIsEEEESE_SE_sNS9_10multipliesIsEENS9_8equal_toIsEEsEE10hipError_tPvRmT2_T3_T4_T5_mT6_T7_P12ihipStream_tbENKUlT_T0_E_clISt17integral_constantIbLb1EESY_IbLb0EEEEDaSU_SV_EUlSU_E_NS1_11comp_targetILNS1_3genE0ELNS1_11target_archE4294967295ELNS1_3gpuE0ELNS1_3repE0EEENS1_30default_config_static_selectorELNS0_4arch9wavefront6targetE0EEEvT1_
    .private_segment_fixed_size: 0
    .sgpr_count:     0
    .sgpr_spill_count: 0
    .symbol:         _ZN7rocprim17ROCPRIM_400000_NS6detail17trampoline_kernelINS0_14default_configENS1_27scan_by_key_config_selectorIssEEZZNS1_16scan_by_key_implILNS1_25lookback_scan_determinismE0ELb0ES3_N6thrust23THRUST_200600_302600_NS6detail15normal_iteratorINS9_10device_ptrIsEEEESE_SE_sNS9_10multipliesIsEENS9_8equal_toIsEEsEE10hipError_tPvRmT2_T3_T4_T5_mT6_T7_P12ihipStream_tbENKUlT_T0_E_clISt17integral_constantIbLb1EESY_IbLb0EEEEDaSU_SV_EUlSU_E_NS1_11comp_targetILNS1_3genE0ELNS1_11target_archE4294967295ELNS1_3gpuE0ELNS1_3repE0EEENS1_30default_config_static_selectorELNS0_4arch9wavefront6targetE0EEEvT1_.kd
    .uniform_work_group_size: 1
    .uses_dynamic_stack: false
    .vgpr_count:     0
    .vgpr_spill_count: 0
    .wavefront_size: 32
  - .args:
      - .offset:         0
        .size:           112
        .value_kind:     by_value
    .group_segment_fixed_size: 0
    .kernarg_segment_align: 8
    .kernarg_segment_size: 112
    .language:       OpenCL C
    .language_version:
      - 2
      - 0
    .max_flat_workgroup_size: 128
    .name:           _ZN7rocprim17ROCPRIM_400000_NS6detail17trampoline_kernelINS0_14default_configENS1_27scan_by_key_config_selectorIssEEZZNS1_16scan_by_key_implILNS1_25lookback_scan_determinismE0ELb0ES3_N6thrust23THRUST_200600_302600_NS6detail15normal_iteratorINS9_10device_ptrIsEEEESE_SE_sNS9_10multipliesIsEENS9_8equal_toIsEEsEE10hipError_tPvRmT2_T3_T4_T5_mT6_T7_P12ihipStream_tbENKUlT_T0_E_clISt17integral_constantIbLb1EESY_IbLb0EEEEDaSU_SV_EUlSU_E_NS1_11comp_targetILNS1_3genE10ELNS1_11target_archE1201ELNS1_3gpuE5ELNS1_3repE0EEENS1_30default_config_static_selectorELNS0_4arch9wavefront6targetE0EEEvT1_
    .private_segment_fixed_size: 0
    .sgpr_count:     0
    .sgpr_spill_count: 0
    .symbol:         _ZN7rocprim17ROCPRIM_400000_NS6detail17trampoline_kernelINS0_14default_configENS1_27scan_by_key_config_selectorIssEEZZNS1_16scan_by_key_implILNS1_25lookback_scan_determinismE0ELb0ES3_N6thrust23THRUST_200600_302600_NS6detail15normal_iteratorINS9_10device_ptrIsEEEESE_SE_sNS9_10multipliesIsEENS9_8equal_toIsEEsEE10hipError_tPvRmT2_T3_T4_T5_mT6_T7_P12ihipStream_tbENKUlT_T0_E_clISt17integral_constantIbLb1EESY_IbLb0EEEEDaSU_SV_EUlSU_E_NS1_11comp_targetILNS1_3genE10ELNS1_11target_archE1201ELNS1_3gpuE5ELNS1_3repE0EEENS1_30default_config_static_selectorELNS0_4arch9wavefront6targetE0EEEvT1_.kd
    .uniform_work_group_size: 1
    .uses_dynamic_stack: false
    .vgpr_count:     0
    .vgpr_spill_count: 0
    .wavefront_size: 32
  - .args:
      - .offset:         0
        .size:           112
        .value_kind:     by_value
    .group_segment_fixed_size: 0
    .kernarg_segment_align: 8
    .kernarg_segment_size: 112
    .language:       OpenCL C
    .language_version:
      - 2
      - 0
    .max_flat_workgroup_size: 256
    .name:           _ZN7rocprim17ROCPRIM_400000_NS6detail17trampoline_kernelINS0_14default_configENS1_27scan_by_key_config_selectorIssEEZZNS1_16scan_by_key_implILNS1_25lookback_scan_determinismE0ELb0ES3_N6thrust23THRUST_200600_302600_NS6detail15normal_iteratorINS9_10device_ptrIsEEEESE_SE_sNS9_10multipliesIsEENS9_8equal_toIsEEsEE10hipError_tPvRmT2_T3_T4_T5_mT6_T7_P12ihipStream_tbENKUlT_T0_E_clISt17integral_constantIbLb1EESY_IbLb0EEEEDaSU_SV_EUlSU_E_NS1_11comp_targetILNS1_3genE5ELNS1_11target_archE942ELNS1_3gpuE9ELNS1_3repE0EEENS1_30default_config_static_selectorELNS0_4arch9wavefront6targetE0EEEvT1_
    .private_segment_fixed_size: 0
    .sgpr_count:     0
    .sgpr_spill_count: 0
    .symbol:         _ZN7rocprim17ROCPRIM_400000_NS6detail17trampoline_kernelINS0_14default_configENS1_27scan_by_key_config_selectorIssEEZZNS1_16scan_by_key_implILNS1_25lookback_scan_determinismE0ELb0ES3_N6thrust23THRUST_200600_302600_NS6detail15normal_iteratorINS9_10device_ptrIsEEEESE_SE_sNS9_10multipliesIsEENS9_8equal_toIsEEsEE10hipError_tPvRmT2_T3_T4_T5_mT6_T7_P12ihipStream_tbENKUlT_T0_E_clISt17integral_constantIbLb1EESY_IbLb0EEEEDaSU_SV_EUlSU_E_NS1_11comp_targetILNS1_3genE5ELNS1_11target_archE942ELNS1_3gpuE9ELNS1_3repE0EEENS1_30default_config_static_selectorELNS0_4arch9wavefront6targetE0EEEvT1_.kd
    .uniform_work_group_size: 1
    .uses_dynamic_stack: false
    .vgpr_count:     0
    .vgpr_spill_count: 0
    .wavefront_size: 32
  - .args:
      - .offset:         0
        .size:           112
        .value_kind:     by_value
    .group_segment_fixed_size: 0
    .kernarg_segment_align: 8
    .kernarg_segment_size: 112
    .language:       OpenCL C
    .language_version:
      - 2
      - 0
    .max_flat_workgroup_size: 256
    .name:           _ZN7rocprim17ROCPRIM_400000_NS6detail17trampoline_kernelINS0_14default_configENS1_27scan_by_key_config_selectorIssEEZZNS1_16scan_by_key_implILNS1_25lookback_scan_determinismE0ELb0ES3_N6thrust23THRUST_200600_302600_NS6detail15normal_iteratorINS9_10device_ptrIsEEEESE_SE_sNS9_10multipliesIsEENS9_8equal_toIsEEsEE10hipError_tPvRmT2_T3_T4_T5_mT6_T7_P12ihipStream_tbENKUlT_T0_E_clISt17integral_constantIbLb1EESY_IbLb0EEEEDaSU_SV_EUlSU_E_NS1_11comp_targetILNS1_3genE4ELNS1_11target_archE910ELNS1_3gpuE8ELNS1_3repE0EEENS1_30default_config_static_selectorELNS0_4arch9wavefront6targetE0EEEvT1_
    .private_segment_fixed_size: 0
    .sgpr_count:     0
    .sgpr_spill_count: 0
    .symbol:         _ZN7rocprim17ROCPRIM_400000_NS6detail17trampoline_kernelINS0_14default_configENS1_27scan_by_key_config_selectorIssEEZZNS1_16scan_by_key_implILNS1_25lookback_scan_determinismE0ELb0ES3_N6thrust23THRUST_200600_302600_NS6detail15normal_iteratorINS9_10device_ptrIsEEEESE_SE_sNS9_10multipliesIsEENS9_8equal_toIsEEsEE10hipError_tPvRmT2_T3_T4_T5_mT6_T7_P12ihipStream_tbENKUlT_T0_E_clISt17integral_constantIbLb1EESY_IbLb0EEEEDaSU_SV_EUlSU_E_NS1_11comp_targetILNS1_3genE4ELNS1_11target_archE910ELNS1_3gpuE8ELNS1_3repE0EEENS1_30default_config_static_selectorELNS0_4arch9wavefront6targetE0EEEvT1_.kd
    .uniform_work_group_size: 1
    .uses_dynamic_stack: false
    .vgpr_count:     0
    .vgpr_spill_count: 0
    .wavefront_size: 32
  - .args:
      - .offset:         0
        .size:           112
        .value_kind:     by_value
    .group_segment_fixed_size: 0
    .kernarg_segment_align: 8
    .kernarg_segment_size: 112
    .language:       OpenCL C
    .language_version:
      - 2
      - 0
    .max_flat_workgroup_size: 256
    .name:           _ZN7rocprim17ROCPRIM_400000_NS6detail17trampoline_kernelINS0_14default_configENS1_27scan_by_key_config_selectorIssEEZZNS1_16scan_by_key_implILNS1_25lookback_scan_determinismE0ELb0ES3_N6thrust23THRUST_200600_302600_NS6detail15normal_iteratorINS9_10device_ptrIsEEEESE_SE_sNS9_10multipliesIsEENS9_8equal_toIsEEsEE10hipError_tPvRmT2_T3_T4_T5_mT6_T7_P12ihipStream_tbENKUlT_T0_E_clISt17integral_constantIbLb1EESY_IbLb0EEEEDaSU_SV_EUlSU_E_NS1_11comp_targetILNS1_3genE3ELNS1_11target_archE908ELNS1_3gpuE7ELNS1_3repE0EEENS1_30default_config_static_selectorELNS0_4arch9wavefront6targetE0EEEvT1_
    .private_segment_fixed_size: 0
    .sgpr_count:     0
    .sgpr_spill_count: 0
    .symbol:         _ZN7rocprim17ROCPRIM_400000_NS6detail17trampoline_kernelINS0_14default_configENS1_27scan_by_key_config_selectorIssEEZZNS1_16scan_by_key_implILNS1_25lookback_scan_determinismE0ELb0ES3_N6thrust23THRUST_200600_302600_NS6detail15normal_iteratorINS9_10device_ptrIsEEEESE_SE_sNS9_10multipliesIsEENS9_8equal_toIsEEsEE10hipError_tPvRmT2_T3_T4_T5_mT6_T7_P12ihipStream_tbENKUlT_T0_E_clISt17integral_constantIbLb1EESY_IbLb0EEEEDaSU_SV_EUlSU_E_NS1_11comp_targetILNS1_3genE3ELNS1_11target_archE908ELNS1_3gpuE7ELNS1_3repE0EEENS1_30default_config_static_selectorELNS0_4arch9wavefront6targetE0EEEvT1_.kd
    .uniform_work_group_size: 1
    .uses_dynamic_stack: false
    .vgpr_count:     0
    .vgpr_spill_count: 0
    .wavefront_size: 32
  - .args:
      - .offset:         0
        .size:           112
        .value_kind:     by_value
    .group_segment_fixed_size: 0
    .kernarg_segment_align: 8
    .kernarg_segment_size: 112
    .language:       OpenCL C
    .language_version:
      - 2
      - 0
    .max_flat_workgroup_size: 64
    .name:           _ZN7rocprim17ROCPRIM_400000_NS6detail17trampoline_kernelINS0_14default_configENS1_27scan_by_key_config_selectorIssEEZZNS1_16scan_by_key_implILNS1_25lookback_scan_determinismE0ELb0ES3_N6thrust23THRUST_200600_302600_NS6detail15normal_iteratorINS9_10device_ptrIsEEEESE_SE_sNS9_10multipliesIsEENS9_8equal_toIsEEsEE10hipError_tPvRmT2_T3_T4_T5_mT6_T7_P12ihipStream_tbENKUlT_T0_E_clISt17integral_constantIbLb1EESY_IbLb0EEEEDaSU_SV_EUlSU_E_NS1_11comp_targetILNS1_3genE2ELNS1_11target_archE906ELNS1_3gpuE6ELNS1_3repE0EEENS1_30default_config_static_selectorELNS0_4arch9wavefront6targetE0EEEvT1_
    .private_segment_fixed_size: 0
    .sgpr_count:     0
    .sgpr_spill_count: 0
    .symbol:         _ZN7rocprim17ROCPRIM_400000_NS6detail17trampoline_kernelINS0_14default_configENS1_27scan_by_key_config_selectorIssEEZZNS1_16scan_by_key_implILNS1_25lookback_scan_determinismE0ELb0ES3_N6thrust23THRUST_200600_302600_NS6detail15normal_iteratorINS9_10device_ptrIsEEEESE_SE_sNS9_10multipliesIsEENS9_8equal_toIsEEsEE10hipError_tPvRmT2_T3_T4_T5_mT6_T7_P12ihipStream_tbENKUlT_T0_E_clISt17integral_constantIbLb1EESY_IbLb0EEEEDaSU_SV_EUlSU_E_NS1_11comp_targetILNS1_3genE2ELNS1_11target_archE906ELNS1_3gpuE6ELNS1_3repE0EEENS1_30default_config_static_selectorELNS0_4arch9wavefront6targetE0EEEvT1_.kd
    .uniform_work_group_size: 1
    .uses_dynamic_stack: false
    .vgpr_count:     0
    .vgpr_spill_count: 0
    .wavefront_size: 32
  - .args:
      - .offset:         0
        .size:           112
        .value_kind:     by_value
    .group_segment_fixed_size: 0
    .kernarg_segment_align: 8
    .kernarg_segment_size: 112
    .language:       OpenCL C
    .language_version:
      - 2
      - 0
    .max_flat_workgroup_size: 256
    .name:           _ZN7rocprim17ROCPRIM_400000_NS6detail17trampoline_kernelINS0_14default_configENS1_27scan_by_key_config_selectorIssEEZZNS1_16scan_by_key_implILNS1_25lookback_scan_determinismE0ELb0ES3_N6thrust23THRUST_200600_302600_NS6detail15normal_iteratorINS9_10device_ptrIsEEEESE_SE_sNS9_10multipliesIsEENS9_8equal_toIsEEsEE10hipError_tPvRmT2_T3_T4_T5_mT6_T7_P12ihipStream_tbENKUlT_T0_E_clISt17integral_constantIbLb1EESY_IbLb0EEEEDaSU_SV_EUlSU_E_NS1_11comp_targetILNS1_3genE10ELNS1_11target_archE1200ELNS1_3gpuE4ELNS1_3repE0EEENS1_30default_config_static_selectorELNS0_4arch9wavefront6targetE0EEEvT1_
    .private_segment_fixed_size: 0
    .sgpr_count:     0
    .sgpr_spill_count: 0
    .symbol:         _ZN7rocprim17ROCPRIM_400000_NS6detail17trampoline_kernelINS0_14default_configENS1_27scan_by_key_config_selectorIssEEZZNS1_16scan_by_key_implILNS1_25lookback_scan_determinismE0ELb0ES3_N6thrust23THRUST_200600_302600_NS6detail15normal_iteratorINS9_10device_ptrIsEEEESE_SE_sNS9_10multipliesIsEENS9_8equal_toIsEEsEE10hipError_tPvRmT2_T3_T4_T5_mT6_T7_P12ihipStream_tbENKUlT_T0_E_clISt17integral_constantIbLb1EESY_IbLb0EEEEDaSU_SV_EUlSU_E_NS1_11comp_targetILNS1_3genE10ELNS1_11target_archE1200ELNS1_3gpuE4ELNS1_3repE0EEENS1_30default_config_static_selectorELNS0_4arch9wavefront6targetE0EEEvT1_.kd
    .uniform_work_group_size: 1
    .uses_dynamic_stack: false
    .vgpr_count:     0
    .vgpr_spill_count: 0
    .wavefront_size: 32
  - .args:
      - .offset:         0
        .size:           112
        .value_kind:     by_value
    .group_segment_fixed_size: 0
    .kernarg_segment_align: 8
    .kernarg_segment_size: 112
    .language:       OpenCL C
    .language_version:
      - 2
      - 0
    .max_flat_workgroup_size: 256
    .name:           _ZN7rocprim17ROCPRIM_400000_NS6detail17trampoline_kernelINS0_14default_configENS1_27scan_by_key_config_selectorIssEEZZNS1_16scan_by_key_implILNS1_25lookback_scan_determinismE0ELb0ES3_N6thrust23THRUST_200600_302600_NS6detail15normal_iteratorINS9_10device_ptrIsEEEESE_SE_sNS9_10multipliesIsEENS9_8equal_toIsEEsEE10hipError_tPvRmT2_T3_T4_T5_mT6_T7_P12ihipStream_tbENKUlT_T0_E_clISt17integral_constantIbLb1EESY_IbLb0EEEEDaSU_SV_EUlSU_E_NS1_11comp_targetILNS1_3genE9ELNS1_11target_archE1100ELNS1_3gpuE3ELNS1_3repE0EEENS1_30default_config_static_selectorELNS0_4arch9wavefront6targetE0EEEvT1_
    .private_segment_fixed_size: 0
    .sgpr_count:     0
    .sgpr_spill_count: 0
    .symbol:         _ZN7rocprim17ROCPRIM_400000_NS6detail17trampoline_kernelINS0_14default_configENS1_27scan_by_key_config_selectorIssEEZZNS1_16scan_by_key_implILNS1_25lookback_scan_determinismE0ELb0ES3_N6thrust23THRUST_200600_302600_NS6detail15normal_iteratorINS9_10device_ptrIsEEEESE_SE_sNS9_10multipliesIsEENS9_8equal_toIsEEsEE10hipError_tPvRmT2_T3_T4_T5_mT6_T7_P12ihipStream_tbENKUlT_T0_E_clISt17integral_constantIbLb1EESY_IbLb0EEEEDaSU_SV_EUlSU_E_NS1_11comp_targetILNS1_3genE9ELNS1_11target_archE1100ELNS1_3gpuE3ELNS1_3repE0EEENS1_30default_config_static_selectorELNS0_4arch9wavefront6targetE0EEEvT1_.kd
    .uniform_work_group_size: 1
    .uses_dynamic_stack: false
    .vgpr_count:     0
    .vgpr_spill_count: 0
    .wavefront_size: 32
  - .args:
      - .offset:         0
        .size:           112
        .value_kind:     by_value
    .group_segment_fixed_size: 0
    .kernarg_segment_align: 8
    .kernarg_segment_size: 112
    .language:       OpenCL C
    .language_version:
      - 2
      - 0
    .max_flat_workgroup_size: 64
    .name:           _ZN7rocprim17ROCPRIM_400000_NS6detail17trampoline_kernelINS0_14default_configENS1_27scan_by_key_config_selectorIssEEZZNS1_16scan_by_key_implILNS1_25lookback_scan_determinismE0ELb0ES3_N6thrust23THRUST_200600_302600_NS6detail15normal_iteratorINS9_10device_ptrIsEEEESE_SE_sNS9_10multipliesIsEENS9_8equal_toIsEEsEE10hipError_tPvRmT2_T3_T4_T5_mT6_T7_P12ihipStream_tbENKUlT_T0_E_clISt17integral_constantIbLb1EESY_IbLb0EEEEDaSU_SV_EUlSU_E_NS1_11comp_targetILNS1_3genE8ELNS1_11target_archE1030ELNS1_3gpuE2ELNS1_3repE0EEENS1_30default_config_static_selectorELNS0_4arch9wavefront6targetE0EEEvT1_
    .private_segment_fixed_size: 0
    .sgpr_count:     0
    .sgpr_spill_count: 0
    .symbol:         _ZN7rocprim17ROCPRIM_400000_NS6detail17trampoline_kernelINS0_14default_configENS1_27scan_by_key_config_selectorIssEEZZNS1_16scan_by_key_implILNS1_25lookback_scan_determinismE0ELb0ES3_N6thrust23THRUST_200600_302600_NS6detail15normal_iteratorINS9_10device_ptrIsEEEESE_SE_sNS9_10multipliesIsEENS9_8equal_toIsEEsEE10hipError_tPvRmT2_T3_T4_T5_mT6_T7_P12ihipStream_tbENKUlT_T0_E_clISt17integral_constantIbLb1EESY_IbLb0EEEEDaSU_SV_EUlSU_E_NS1_11comp_targetILNS1_3genE8ELNS1_11target_archE1030ELNS1_3gpuE2ELNS1_3repE0EEENS1_30default_config_static_selectorELNS0_4arch9wavefront6targetE0EEEvT1_.kd
    .uniform_work_group_size: 1
    .uses_dynamic_stack: false
    .vgpr_count:     0
    .vgpr_spill_count: 0
    .wavefront_size: 32
  - .args:
      - .offset:         0
        .size:           112
        .value_kind:     by_value
    .group_segment_fixed_size: 11264
    .kernarg_segment_align: 8
    .kernarg_segment_size: 112
    .language:       OpenCL C
    .language_version:
      - 2
      - 0
    .max_flat_workgroup_size: 256
    .name:           _ZN7rocprim17ROCPRIM_400000_NS6detail17trampoline_kernelINS0_14default_configENS1_27scan_by_key_config_selectorIssEEZZNS1_16scan_by_key_implILNS1_25lookback_scan_determinismE0ELb0ES3_N6thrust23THRUST_200600_302600_NS6detail15normal_iteratorINS9_10device_ptrIsEEEESE_SE_sNS9_10multipliesIsEENS9_8equal_toIsEEsEE10hipError_tPvRmT2_T3_T4_T5_mT6_T7_P12ihipStream_tbENKUlT_T0_E_clISt17integral_constantIbLb0EESY_IbLb1EEEEDaSU_SV_EUlSU_E_NS1_11comp_targetILNS1_3genE0ELNS1_11target_archE4294967295ELNS1_3gpuE0ELNS1_3repE0EEENS1_30default_config_static_selectorELNS0_4arch9wavefront6targetE0EEEvT1_
    .private_segment_fixed_size: 0
    .sgpr_count:     53
    .sgpr_spill_count: 0
    .symbol:         _ZN7rocprim17ROCPRIM_400000_NS6detail17trampoline_kernelINS0_14default_configENS1_27scan_by_key_config_selectorIssEEZZNS1_16scan_by_key_implILNS1_25lookback_scan_determinismE0ELb0ES3_N6thrust23THRUST_200600_302600_NS6detail15normal_iteratorINS9_10device_ptrIsEEEESE_SE_sNS9_10multipliesIsEENS9_8equal_toIsEEsEE10hipError_tPvRmT2_T3_T4_T5_mT6_T7_P12ihipStream_tbENKUlT_T0_E_clISt17integral_constantIbLb0EESY_IbLb1EEEEDaSU_SV_EUlSU_E_NS1_11comp_targetILNS1_3genE0ELNS1_11target_archE4294967295ELNS1_3gpuE0ELNS1_3repE0EEENS1_30default_config_static_selectorELNS0_4arch9wavefront6targetE0EEEvT1_.kd
    .uniform_work_group_size: 1
    .uses_dynamic_stack: false
    .vgpr_count:     58
    .vgpr_spill_count: 0
    .wavefront_size: 32
  - .args:
      - .offset:         0
        .size:           112
        .value_kind:     by_value
    .group_segment_fixed_size: 0
    .kernarg_segment_align: 8
    .kernarg_segment_size: 112
    .language:       OpenCL C
    .language_version:
      - 2
      - 0
    .max_flat_workgroup_size: 128
    .name:           _ZN7rocprim17ROCPRIM_400000_NS6detail17trampoline_kernelINS0_14default_configENS1_27scan_by_key_config_selectorIssEEZZNS1_16scan_by_key_implILNS1_25lookback_scan_determinismE0ELb0ES3_N6thrust23THRUST_200600_302600_NS6detail15normal_iteratorINS9_10device_ptrIsEEEESE_SE_sNS9_10multipliesIsEENS9_8equal_toIsEEsEE10hipError_tPvRmT2_T3_T4_T5_mT6_T7_P12ihipStream_tbENKUlT_T0_E_clISt17integral_constantIbLb0EESY_IbLb1EEEEDaSU_SV_EUlSU_E_NS1_11comp_targetILNS1_3genE10ELNS1_11target_archE1201ELNS1_3gpuE5ELNS1_3repE0EEENS1_30default_config_static_selectorELNS0_4arch9wavefront6targetE0EEEvT1_
    .private_segment_fixed_size: 0
    .sgpr_count:     0
    .sgpr_spill_count: 0
    .symbol:         _ZN7rocprim17ROCPRIM_400000_NS6detail17trampoline_kernelINS0_14default_configENS1_27scan_by_key_config_selectorIssEEZZNS1_16scan_by_key_implILNS1_25lookback_scan_determinismE0ELb0ES3_N6thrust23THRUST_200600_302600_NS6detail15normal_iteratorINS9_10device_ptrIsEEEESE_SE_sNS9_10multipliesIsEENS9_8equal_toIsEEsEE10hipError_tPvRmT2_T3_T4_T5_mT6_T7_P12ihipStream_tbENKUlT_T0_E_clISt17integral_constantIbLb0EESY_IbLb1EEEEDaSU_SV_EUlSU_E_NS1_11comp_targetILNS1_3genE10ELNS1_11target_archE1201ELNS1_3gpuE5ELNS1_3repE0EEENS1_30default_config_static_selectorELNS0_4arch9wavefront6targetE0EEEvT1_.kd
    .uniform_work_group_size: 1
    .uses_dynamic_stack: false
    .vgpr_count:     0
    .vgpr_spill_count: 0
    .wavefront_size: 32
  - .args:
      - .offset:         0
        .size:           112
        .value_kind:     by_value
    .group_segment_fixed_size: 0
    .kernarg_segment_align: 8
    .kernarg_segment_size: 112
    .language:       OpenCL C
    .language_version:
      - 2
      - 0
    .max_flat_workgroup_size: 256
    .name:           _ZN7rocprim17ROCPRIM_400000_NS6detail17trampoline_kernelINS0_14default_configENS1_27scan_by_key_config_selectorIssEEZZNS1_16scan_by_key_implILNS1_25lookback_scan_determinismE0ELb0ES3_N6thrust23THRUST_200600_302600_NS6detail15normal_iteratorINS9_10device_ptrIsEEEESE_SE_sNS9_10multipliesIsEENS9_8equal_toIsEEsEE10hipError_tPvRmT2_T3_T4_T5_mT6_T7_P12ihipStream_tbENKUlT_T0_E_clISt17integral_constantIbLb0EESY_IbLb1EEEEDaSU_SV_EUlSU_E_NS1_11comp_targetILNS1_3genE5ELNS1_11target_archE942ELNS1_3gpuE9ELNS1_3repE0EEENS1_30default_config_static_selectorELNS0_4arch9wavefront6targetE0EEEvT1_
    .private_segment_fixed_size: 0
    .sgpr_count:     0
    .sgpr_spill_count: 0
    .symbol:         _ZN7rocprim17ROCPRIM_400000_NS6detail17trampoline_kernelINS0_14default_configENS1_27scan_by_key_config_selectorIssEEZZNS1_16scan_by_key_implILNS1_25lookback_scan_determinismE0ELb0ES3_N6thrust23THRUST_200600_302600_NS6detail15normal_iteratorINS9_10device_ptrIsEEEESE_SE_sNS9_10multipliesIsEENS9_8equal_toIsEEsEE10hipError_tPvRmT2_T3_T4_T5_mT6_T7_P12ihipStream_tbENKUlT_T0_E_clISt17integral_constantIbLb0EESY_IbLb1EEEEDaSU_SV_EUlSU_E_NS1_11comp_targetILNS1_3genE5ELNS1_11target_archE942ELNS1_3gpuE9ELNS1_3repE0EEENS1_30default_config_static_selectorELNS0_4arch9wavefront6targetE0EEEvT1_.kd
    .uniform_work_group_size: 1
    .uses_dynamic_stack: false
    .vgpr_count:     0
    .vgpr_spill_count: 0
    .wavefront_size: 32
  - .args:
      - .offset:         0
        .size:           112
        .value_kind:     by_value
    .group_segment_fixed_size: 0
    .kernarg_segment_align: 8
    .kernarg_segment_size: 112
    .language:       OpenCL C
    .language_version:
      - 2
      - 0
    .max_flat_workgroup_size: 256
    .name:           _ZN7rocprim17ROCPRIM_400000_NS6detail17trampoline_kernelINS0_14default_configENS1_27scan_by_key_config_selectorIssEEZZNS1_16scan_by_key_implILNS1_25lookback_scan_determinismE0ELb0ES3_N6thrust23THRUST_200600_302600_NS6detail15normal_iteratorINS9_10device_ptrIsEEEESE_SE_sNS9_10multipliesIsEENS9_8equal_toIsEEsEE10hipError_tPvRmT2_T3_T4_T5_mT6_T7_P12ihipStream_tbENKUlT_T0_E_clISt17integral_constantIbLb0EESY_IbLb1EEEEDaSU_SV_EUlSU_E_NS1_11comp_targetILNS1_3genE4ELNS1_11target_archE910ELNS1_3gpuE8ELNS1_3repE0EEENS1_30default_config_static_selectorELNS0_4arch9wavefront6targetE0EEEvT1_
    .private_segment_fixed_size: 0
    .sgpr_count:     0
    .sgpr_spill_count: 0
    .symbol:         _ZN7rocprim17ROCPRIM_400000_NS6detail17trampoline_kernelINS0_14default_configENS1_27scan_by_key_config_selectorIssEEZZNS1_16scan_by_key_implILNS1_25lookback_scan_determinismE0ELb0ES3_N6thrust23THRUST_200600_302600_NS6detail15normal_iteratorINS9_10device_ptrIsEEEESE_SE_sNS9_10multipliesIsEENS9_8equal_toIsEEsEE10hipError_tPvRmT2_T3_T4_T5_mT6_T7_P12ihipStream_tbENKUlT_T0_E_clISt17integral_constantIbLb0EESY_IbLb1EEEEDaSU_SV_EUlSU_E_NS1_11comp_targetILNS1_3genE4ELNS1_11target_archE910ELNS1_3gpuE8ELNS1_3repE0EEENS1_30default_config_static_selectorELNS0_4arch9wavefront6targetE0EEEvT1_.kd
    .uniform_work_group_size: 1
    .uses_dynamic_stack: false
    .vgpr_count:     0
    .vgpr_spill_count: 0
    .wavefront_size: 32
  - .args:
      - .offset:         0
        .size:           112
        .value_kind:     by_value
    .group_segment_fixed_size: 0
    .kernarg_segment_align: 8
    .kernarg_segment_size: 112
    .language:       OpenCL C
    .language_version:
      - 2
      - 0
    .max_flat_workgroup_size: 256
    .name:           _ZN7rocprim17ROCPRIM_400000_NS6detail17trampoline_kernelINS0_14default_configENS1_27scan_by_key_config_selectorIssEEZZNS1_16scan_by_key_implILNS1_25lookback_scan_determinismE0ELb0ES3_N6thrust23THRUST_200600_302600_NS6detail15normal_iteratorINS9_10device_ptrIsEEEESE_SE_sNS9_10multipliesIsEENS9_8equal_toIsEEsEE10hipError_tPvRmT2_T3_T4_T5_mT6_T7_P12ihipStream_tbENKUlT_T0_E_clISt17integral_constantIbLb0EESY_IbLb1EEEEDaSU_SV_EUlSU_E_NS1_11comp_targetILNS1_3genE3ELNS1_11target_archE908ELNS1_3gpuE7ELNS1_3repE0EEENS1_30default_config_static_selectorELNS0_4arch9wavefront6targetE0EEEvT1_
    .private_segment_fixed_size: 0
    .sgpr_count:     0
    .sgpr_spill_count: 0
    .symbol:         _ZN7rocprim17ROCPRIM_400000_NS6detail17trampoline_kernelINS0_14default_configENS1_27scan_by_key_config_selectorIssEEZZNS1_16scan_by_key_implILNS1_25lookback_scan_determinismE0ELb0ES3_N6thrust23THRUST_200600_302600_NS6detail15normal_iteratorINS9_10device_ptrIsEEEESE_SE_sNS9_10multipliesIsEENS9_8equal_toIsEEsEE10hipError_tPvRmT2_T3_T4_T5_mT6_T7_P12ihipStream_tbENKUlT_T0_E_clISt17integral_constantIbLb0EESY_IbLb1EEEEDaSU_SV_EUlSU_E_NS1_11comp_targetILNS1_3genE3ELNS1_11target_archE908ELNS1_3gpuE7ELNS1_3repE0EEENS1_30default_config_static_selectorELNS0_4arch9wavefront6targetE0EEEvT1_.kd
    .uniform_work_group_size: 1
    .uses_dynamic_stack: false
    .vgpr_count:     0
    .vgpr_spill_count: 0
    .wavefront_size: 32
  - .args:
      - .offset:         0
        .size:           112
        .value_kind:     by_value
    .group_segment_fixed_size: 0
    .kernarg_segment_align: 8
    .kernarg_segment_size: 112
    .language:       OpenCL C
    .language_version:
      - 2
      - 0
    .max_flat_workgroup_size: 64
    .name:           _ZN7rocprim17ROCPRIM_400000_NS6detail17trampoline_kernelINS0_14default_configENS1_27scan_by_key_config_selectorIssEEZZNS1_16scan_by_key_implILNS1_25lookback_scan_determinismE0ELb0ES3_N6thrust23THRUST_200600_302600_NS6detail15normal_iteratorINS9_10device_ptrIsEEEESE_SE_sNS9_10multipliesIsEENS9_8equal_toIsEEsEE10hipError_tPvRmT2_T3_T4_T5_mT6_T7_P12ihipStream_tbENKUlT_T0_E_clISt17integral_constantIbLb0EESY_IbLb1EEEEDaSU_SV_EUlSU_E_NS1_11comp_targetILNS1_3genE2ELNS1_11target_archE906ELNS1_3gpuE6ELNS1_3repE0EEENS1_30default_config_static_selectorELNS0_4arch9wavefront6targetE0EEEvT1_
    .private_segment_fixed_size: 0
    .sgpr_count:     0
    .sgpr_spill_count: 0
    .symbol:         _ZN7rocprim17ROCPRIM_400000_NS6detail17trampoline_kernelINS0_14default_configENS1_27scan_by_key_config_selectorIssEEZZNS1_16scan_by_key_implILNS1_25lookback_scan_determinismE0ELb0ES3_N6thrust23THRUST_200600_302600_NS6detail15normal_iteratorINS9_10device_ptrIsEEEESE_SE_sNS9_10multipliesIsEENS9_8equal_toIsEEsEE10hipError_tPvRmT2_T3_T4_T5_mT6_T7_P12ihipStream_tbENKUlT_T0_E_clISt17integral_constantIbLb0EESY_IbLb1EEEEDaSU_SV_EUlSU_E_NS1_11comp_targetILNS1_3genE2ELNS1_11target_archE906ELNS1_3gpuE6ELNS1_3repE0EEENS1_30default_config_static_selectorELNS0_4arch9wavefront6targetE0EEEvT1_.kd
    .uniform_work_group_size: 1
    .uses_dynamic_stack: false
    .vgpr_count:     0
    .vgpr_spill_count: 0
    .wavefront_size: 32
  - .args:
      - .offset:         0
        .size:           112
        .value_kind:     by_value
    .group_segment_fixed_size: 0
    .kernarg_segment_align: 8
    .kernarg_segment_size: 112
    .language:       OpenCL C
    .language_version:
      - 2
      - 0
    .max_flat_workgroup_size: 256
    .name:           _ZN7rocprim17ROCPRIM_400000_NS6detail17trampoline_kernelINS0_14default_configENS1_27scan_by_key_config_selectorIssEEZZNS1_16scan_by_key_implILNS1_25lookback_scan_determinismE0ELb0ES3_N6thrust23THRUST_200600_302600_NS6detail15normal_iteratorINS9_10device_ptrIsEEEESE_SE_sNS9_10multipliesIsEENS9_8equal_toIsEEsEE10hipError_tPvRmT2_T3_T4_T5_mT6_T7_P12ihipStream_tbENKUlT_T0_E_clISt17integral_constantIbLb0EESY_IbLb1EEEEDaSU_SV_EUlSU_E_NS1_11comp_targetILNS1_3genE10ELNS1_11target_archE1200ELNS1_3gpuE4ELNS1_3repE0EEENS1_30default_config_static_selectorELNS0_4arch9wavefront6targetE0EEEvT1_
    .private_segment_fixed_size: 0
    .sgpr_count:     0
    .sgpr_spill_count: 0
    .symbol:         _ZN7rocprim17ROCPRIM_400000_NS6detail17trampoline_kernelINS0_14default_configENS1_27scan_by_key_config_selectorIssEEZZNS1_16scan_by_key_implILNS1_25lookback_scan_determinismE0ELb0ES3_N6thrust23THRUST_200600_302600_NS6detail15normal_iteratorINS9_10device_ptrIsEEEESE_SE_sNS9_10multipliesIsEENS9_8equal_toIsEEsEE10hipError_tPvRmT2_T3_T4_T5_mT6_T7_P12ihipStream_tbENKUlT_T0_E_clISt17integral_constantIbLb0EESY_IbLb1EEEEDaSU_SV_EUlSU_E_NS1_11comp_targetILNS1_3genE10ELNS1_11target_archE1200ELNS1_3gpuE4ELNS1_3repE0EEENS1_30default_config_static_selectorELNS0_4arch9wavefront6targetE0EEEvT1_.kd
    .uniform_work_group_size: 1
    .uses_dynamic_stack: false
    .vgpr_count:     0
    .vgpr_spill_count: 0
    .wavefront_size: 32
  - .args:
      - .offset:         0
        .size:           112
        .value_kind:     by_value
    .group_segment_fixed_size: 0
    .kernarg_segment_align: 8
    .kernarg_segment_size: 112
    .language:       OpenCL C
    .language_version:
      - 2
      - 0
    .max_flat_workgroup_size: 256
    .name:           _ZN7rocprim17ROCPRIM_400000_NS6detail17trampoline_kernelINS0_14default_configENS1_27scan_by_key_config_selectorIssEEZZNS1_16scan_by_key_implILNS1_25lookback_scan_determinismE0ELb0ES3_N6thrust23THRUST_200600_302600_NS6detail15normal_iteratorINS9_10device_ptrIsEEEESE_SE_sNS9_10multipliesIsEENS9_8equal_toIsEEsEE10hipError_tPvRmT2_T3_T4_T5_mT6_T7_P12ihipStream_tbENKUlT_T0_E_clISt17integral_constantIbLb0EESY_IbLb1EEEEDaSU_SV_EUlSU_E_NS1_11comp_targetILNS1_3genE9ELNS1_11target_archE1100ELNS1_3gpuE3ELNS1_3repE0EEENS1_30default_config_static_selectorELNS0_4arch9wavefront6targetE0EEEvT1_
    .private_segment_fixed_size: 0
    .sgpr_count:     0
    .sgpr_spill_count: 0
    .symbol:         _ZN7rocprim17ROCPRIM_400000_NS6detail17trampoline_kernelINS0_14default_configENS1_27scan_by_key_config_selectorIssEEZZNS1_16scan_by_key_implILNS1_25lookback_scan_determinismE0ELb0ES3_N6thrust23THRUST_200600_302600_NS6detail15normal_iteratorINS9_10device_ptrIsEEEESE_SE_sNS9_10multipliesIsEENS9_8equal_toIsEEsEE10hipError_tPvRmT2_T3_T4_T5_mT6_T7_P12ihipStream_tbENKUlT_T0_E_clISt17integral_constantIbLb0EESY_IbLb1EEEEDaSU_SV_EUlSU_E_NS1_11comp_targetILNS1_3genE9ELNS1_11target_archE1100ELNS1_3gpuE3ELNS1_3repE0EEENS1_30default_config_static_selectorELNS0_4arch9wavefront6targetE0EEEvT1_.kd
    .uniform_work_group_size: 1
    .uses_dynamic_stack: false
    .vgpr_count:     0
    .vgpr_spill_count: 0
    .wavefront_size: 32
  - .args:
      - .offset:         0
        .size:           112
        .value_kind:     by_value
    .group_segment_fixed_size: 0
    .kernarg_segment_align: 8
    .kernarg_segment_size: 112
    .language:       OpenCL C
    .language_version:
      - 2
      - 0
    .max_flat_workgroup_size: 64
    .name:           _ZN7rocprim17ROCPRIM_400000_NS6detail17trampoline_kernelINS0_14default_configENS1_27scan_by_key_config_selectorIssEEZZNS1_16scan_by_key_implILNS1_25lookback_scan_determinismE0ELb0ES3_N6thrust23THRUST_200600_302600_NS6detail15normal_iteratorINS9_10device_ptrIsEEEESE_SE_sNS9_10multipliesIsEENS9_8equal_toIsEEsEE10hipError_tPvRmT2_T3_T4_T5_mT6_T7_P12ihipStream_tbENKUlT_T0_E_clISt17integral_constantIbLb0EESY_IbLb1EEEEDaSU_SV_EUlSU_E_NS1_11comp_targetILNS1_3genE8ELNS1_11target_archE1030ELNS1_3gpuE2ELNS1_3repE0EEENS1_30default_config_static_selectorELNS0_4arch9wavefront6targetE0EEEvT1_
    .private_segment_fixed_size: 0
    .sgpr_count:     0
    .sgpr_spill_count: 0
    .symbol:         _ZN7rocprim17ROCPRIM_400000_NS6detail17trampoline_kernelINS0_14default_configENS1_27scan_by_key_config_selectorIssEEZZNS1_16scan_by_key_implILNS1_25lookback_scan_determinismE0ELb0ES3_N6thrust23THRUST_200600_302600_NS6detail15normal_iteratorINS9_10device_ptrIsEEEESE_SE_sNS9_10multipliesIsEENS9_8equal_toIsEEsEE10hipError_tPvRmT2_T3_T4_T5_mT6_T7_P12ihipStream_tbENKUlT_T0_E_clISt17integral_constantIbLb0EESY_IbLb1EEEEDaSU_SV_EUlSU_E_NS1_11comp_targetILNS1_3genE8ELNS1_11target_archE1030ELNS1_3gpuE2ELNS1_3repE0EEENS1_30default_config_static_selectorELNS0_4arch9wavefront6targetE0EEEvT1_.kd
    .uniform_work_group_size: 1
    .uses_dynamic_stack: false
    .vgpr_count:     0
    .vgpr_spill_count: 0
    .wavefront_size: 32
  - .args:
      - .offset:         0
        .size:           112
        .value_kind:     by_value
    .group_segment_fixed_size: 11264
    .kernarg_segment_align: 8
    .kernarg_segment_size: 112
    .language:       OpenCL C
    .language_version:
      - 2
      - 0
    .max_flat_workgroup_size: 256
    .name:           _ZN7rocprim17ROCPRIM_400000_NS6detail17trampoline_kernelINS0_14default_configENS1_27scan_by_key_config_selectorIssEEZZNS1_16scan_by_key_implILNS1_25lookback_scan_determinismE0ELb0ES3_N6thrust23THRUST_200600_302600_NS6detail15normal_iteratorINS9_10device_ptrIsEEEESE_SE_sNS9_4plusIvEENS9_8equal_toIsEEsEE10hipError_tPvRmT2_T3_T4_T5_mT6_T7_P12ihipStream_tbENKUlT_T0_E_clISt17integral_constantIbLb0EESZ_EEDaSU_SV_EUlSU_E_NS1_11comp_targetILNS1_3genE0ELNS1_11target_archE4294967295ELNS1_3gpuE0ELNS1_3repE0EEENS1_30default_config_static_selectorELNS0_4arch9wavefront6targetE0EEEvT1_
    .private_segment_fixed_size: 0
    .sgpr_count:     52
    .sgpr_spill_count: 0
    .symbol:         _ZN7rocprim17ROCPRIM_400000_NS6detail17trampoline_kernelINS0_14default_configENS1_27scan_by_key_config_selectorIssEEZZNS1_16scan_by_key_implILNS1_25lookback_scan_determinismE0ELb0ES3_N6thrust23THRUST_200600_302600_NS6detail15normal_iteratorINS9_10device_ptrIsEEEESE_SE_sNS9_4plusIvEENS9_8equal_toIsEEsEE10hipError_tPvRmT2_T3_T4_T5_mT6_T7_P12ihipStream_tbENKUlT_T0_E_clISt17integral_constantIbLb0EESZ_EEDaSU_SV_EUlSU_E_NS1_11comp_targetILNS1_3genE0ELNS1_11target_archE4294967295ELNS1_3gpuE0ELNS1_3repE0EEENS1_30default_config_static_selectorELNS0_4arch9wavefront6targetE0EEEvT1_.kd
    .uniform_work_group_size: 1
    .uses_dynamic_stack: false
    .vgpr_count:     58
    .vgpr_spill_count: 0
    .wavefront_size: 32
  - .args:
      - .offset:         0
        .size:           112
        .value_kind:     by_value
    .group_segment_fixed_size: 0
    .kernarg_segment_align: 8
    .kernarg_segment_size: 112
    .language:       OpenCL C
    .language_version:
      - 2
      - 0
    .max_flat_workgroup_size: 128
    .name:           _ZN7rocprim17ROCPRIM_400000_NS6detail17trampoline_kernelINS0_14default_configENS1_27scan_by_key_config_selectorIssEEZZNS1_16scan_by_key_implILNS1_25lookback_scan_determinismE0ELb0ES3_N6thrust23THRUST_200600_302600_NS6detail15normal_iteratorINS9_10device_ptrIsEEEESE_SE_sNS9_4plusIvEENS9_8equal_toIsEEsEE10hipError_tPvRmT2_T3_T4_T5_mT6_T7_P12ihipStream_tbENKUlT_T0_E_clISt17integral_constantIbLb0EESZ_EEDaSU_SV_EUlSU_E_NS1_11comp_targetILNS1_3genE10ELNS1_11target_archE1201ELNS1_3gpuE5ELNS1_3repE0EEENS1_30default_config_static_selectorELNS0_4arch9wavefront6targetE0EEEvT1_
    .private_segment_fixed_size: 0
    .sgpr_count:     0
    .sgpr_spill_count: 0
    .symbol:         _ZN7rocprim17ROCPRIM_400000_NS6detail17trampoline_kernelINS0_14default_configENS1_27scan_by_key_config_selectorIssEEZZNS1_16scan_by_key_implILNS1_25lookback_scan_determinismE0ELb0ES3_N6thrust23THRUST_200600_302600_NS6detail15normal_iteratorINS9_10device_ptrIsEEEESE_SE_sNS9_4plusIvEENS9_8equal_toIsEEsEE10hipError_tPvRmT2_T3_T4_T5_mT6_T7_P12ihipStream_tbENKUlT_T0_E_clISt17integral_constantIbLb0EESZ_EEDaSU_SV_EUlSU_E_NS1_11comp_targetILNS1_3genE10ELNS1_11target_archE1201ELNS1_3gpuE5ELNS1_3repE0EEENS1_30default_config_static_selectorELNS0_4arch9wavefront6targetE0EEEvT1_.kd
    .uniform_work_group_size: 1
    .uses_dynamic_stack: false
    .vgpr_count:     0
    .vgpr_spill_count: 0
    .wavefront_size: 32
  - .args:
      - .offset:         0
        .size:           112
        .value_kind:     by_value
    .group_segment_fixed_size: 0
    .kernarg_segment_align: 8
    .kernarg_segment_size: 112
    .language:       OpenCL C
    .language_version:
      - 2
      - 0
    .max_flat_workgroup_size: 256
    .name:           _ZN7rocprim17ROCPRIM_400000_NS6detail17trampoline_kernelINS0_14default_configENS1_27scan_by_key_config_selectorIssEEZZNS1_16scan_by_key_implILNS1_25lookback_scan_determinismE0ELb0ES3_N6thrust23THRUST_200600_302600_NS6detail15normal_iteratorINS9_10device_ptrIsEEEESE_SE_sNS9_4plusIvEENS9_8equal_toIsEEsEE10hipError_tPvRmT2_T3_T4_T5_mT6_T7_P12ihipStream_tbENKUlT_T0_E_clISt17integral_constantIbLb0EESZ_EEDaSU_SV_EUlSU_E_NS1_11comp_targetILNS1_3genE5ELNS1_11target_archE942ELNS1_3gpuE9ELNS1_3repE0EEENS1_30default_config_static_selectorELNS0_4arch9wavefront6targetE0EEEvT1_
    .private_segment_fixed_size: 0
    .sgpr_count:     0
    .sgpr_spill_count: 0
    .symbol:         _ZN7rocprim17ROCPRIM_400000_NS6detail17trampoline_kernelINS0_14default_configENS1_27scan_by_key_config_selectorIssEEZZNS1_16scan_by_key_implILNS1_25lookback_scan_determinismE0ELb0ES3_N6thrust23THRUST_200600_302600_NS6detail15normal_iteratorINS9_10device_ptrIsEEEESE_SE_sNS9_4plusIvEENS9_8equal_toIsEEsEE10hipError_tPvRmT2_T3_T4_T5_mT6_T7_P12ihipStream_tbENKUlT_T0_E_clISt17integral_constantIbLb0EESZ_EEDaSU_SV_EUlSU_E_NS1_11comp_targetILNS1_3genE5ELNS1_11target_archE942ELNS1_3gpuE9ELNS1_3repE0EEENS1_30default_config_static_selectorELNS0_4arch9wavefront6targetE0EEEvT1_.kd
    .uniform_work_group_size: 1
    .uses_dynamic_stack: false
    .vgpr_count:     0
    .vgpr_spill_count: 0
    .wavefront_size: 32
  - .args:
      - .offset:         0
        .size:           112
        .value_kind:     by_value
    .group_segment_fixed_size: 0
    .kernarg_segment_align: 8
    .kernarg_segment_size: 112
    .language:       OpenCL C
    .language_version:
      - 2
      - 0
    .max_flat_workgroup_size: 256
    .name:           _ZN7rocprim17ROCPRIM_400000_NS6detail17trampoline_kernelINS0_14default_configENS1_27scan_by_key_config_selectorIssEEZZNS1_16scan_by_key_implILNS1_25lookback_scan_determinismE0ELb0ES3_N6thrust23THRUST_200600_302600_NS6detail15normal_iteratorINS9_10device_ptrIsEEEESE_SE_sNS9_4plusIvEENS9_8equal_toIsEEsEE10hipError_tPvRmT2_T3_T4_T5_mT6_T7_P12ihipStream_tbENKUlT_T0_E_clISt17integral_constantIbLb0EESZ_EEDaSU_SV_EUlSU_E_NS1_11comp_targetILNS1_3genE4ELNS1_11target_archE910ELNS1_3gpuE8ELNS1_3repE0EEENS1_30default_config_static_selectorELNS0_4arch9wavefront6targetE0EEEvT1_
    .private_segment_fixed_size: 0
    .sgpr_count:     0
    .sgpr_spill_count: 0
    .symbol:         _ZN7rocprim17ROCPRIM_400000_NS6detail17trampoline_kernelINS0_14default_configENS1_27scan_by_key_config_selectorIssEEZZNS1_16scan_by_key_implILNS1_25lookback_scan_determinismE0ELb0ES3_N6thrust23THRUST_200600_302600_NS6detail15normal_iteratorINS9_10device_ptrIsEEEESE_SE_sNS9_4plusIvEENS9_8equal_toIsEEsEE10hipError_tPvRmT2_T3_T4_T5_mT6_T7_P12ihipStream_tbENKUlT_T0_E_clISt17integral_constantIbLb0EESZ_EEDaSU_SV_EUlSU_E_NS1_11comp_targetILNS1_3genE4ELNS1_11target_archE910ELNS1_3gpuE8ELNS1_3repE0EEENS1_30default_config_static_selectorELNS0_4arch9wavefront6targetE0EEEvT1_.kd
    .uniform_work_group_size: 1
    .uses_dynamic_stack: false
    .vgpr_count:     0
    .vgpr_spill_count: 0
    .wavefront_size: 32
  - .args:
      - .offset:         0
        .size:           112
        .value_kind:     by_value
    .group_segment_fixed_size: 0
    .kernarg_segment_align: 8
    .kernarg_segment_size: 112
    .language:       OpenCL C
    .language_version:
      - 2
      - 0
    .max_flat_workgroup_size: 256
    .name:           _ZN7rocprim17ROCPRIM_400000_NS6detail17trampoline_kernelINS0_14default_configENS1_27scan_by_key_config_selectorIssEEZZNS1_16scan_by_key_implILNS1_25lookback_scan_determinismE0ELb0ES3_N6thrust23THRUST_200600_302600_NS6detail15normal_iteratorINS9_10device_ptrIsEEEESE_SE_sNS9_4plusIvEENS9_8equal_toIsEEsEE10hipError_tPvRmT2_T3_T4_T5_mT6_T7_P12ihipStream_tbENKUlT_T0_E_clISt17integral_constantIbLb0EESZ_EEDaSU_SV_EUlSU_E_NS1_11comp_targetILNS1_3genE3ELNS1_11target_archE908ELNS1_3gpuE7ELNS1_3repE0EEENS1_30default_config_static_selectorELNS0_4arch9wavefront6targetE0EEEvT1_
    .private_segment_fixed_size: 0
    .sgpr_count:     0
    .sgpr_spill_count: 0
    .symbol:         _ZN7rocprim17ROCPRIM_400000_NS6detail17trampoline_kernelINS0_14default_configENS1_27scan_by_key_config_selectorIssEEZZNS1_16scan_by_key_implILNS1_25lookback_scan_determinismE0ELb0ES3_N6thrust23THRUST_200600_302600_NS6detail15normal_iteratorINS9_10device_ptrIsEEEESE_SE_sNS9_4plusIvEENS9_8equal_toIsEEsEE10hipError_tPvRmT2_T3_T4_T5_mT6_T7_P12ihipStream_tbENKUlT_T0_E_clISt17integral_constantIbLb0EESZ_EEDaSU_SV_EUlSU_E_NS1_11comp_targetILNS1_3genE3ELNS1_11target_archE908ELNS1_3gpuE7ELNS1_3repE0EEENS1_30default_config_static_selectorELNS0_4arch9wavefront6targetE0EEEvT1_.kd
    .uniform_work_group_size: 1
    .uses_dynamic_stack: false
    .vgpr_count:     0
    .vgpr_spill_count: 0
    .wavefront_size: 32
  - .args:
      - .offset:         0
        .size:           112
        .value_kind:     by_value
    .group_segment_fixed_size: 0
    .kernarg_segment_align: 8
    .kernarg_segment_size: 112
    .language:       OpenCL C
    .language_version:
      - 2
      - 0
    .max_flat_workgroup_size: 64
    .name:           _ZN7rocprim17ROCPRIM_400000_NS6detail17trampoline_kernelINS0_14default_configENS1_27scan_by_key_config_selectorIssEEZZNS1_16scan_by_key_implILNS1_25lookback_scan_determinismE0ELb0ES3_N6thrust23THRUST_200600_302600_NS6detail15normal_iteratorINS9_10device_ptrIsEEEESE_SE_sNS9_4plusIvEENS9_8equal_toIsEEsEE10hipError_tPvRmT2_T3_T4_T5_mT6_T7_P12ihipStream_tbENKUlT_T0_E_clISt17integral_constantIbLb0EESZ_EEDaSU_SV_EUlSU_E_NS1_11comp_targetILNS1_3genE2ELNS1_11target_archE906ELNS1_3gpuE6ELNS1_3repE0EEENS1_30default_config_static_selectorELNS0_4arch9wavefront6targetE0EEEvT1_
    .private_segment_fixed_size: 0
    .sgpr_count:     0
    .sgpr_spill_count: 0
    .symbol:         _ZN7rocprim17ROCPRIM_400000_NS6detail17trampoline_kernelINS0_14default_configENS1_27scan_by_key_config_selectorIssEEZZNS1_16scan_by_key_implILNS1_25lookback_scan_determinismE0ELb0ES3_N6thrust23THRUST_200600_302600_NS6detail15normal_iteratorINS9_10device_ptrIsEEEESE_SE_sNS9_4plusIvEENS9_8equal_toIsEEsEE10hipError_tPvRmT2_T3_T4_T5_mT6_T7_P12ihipStream_tbENKUlT_T0_E_clISt17integral_constantIbLb0EESZ_EEDaSU_SV_EUlSU_E_NS1_11comp_targetILNS1_3genE2ELNS1_11target_archE906ELNS1_3gpuE6ELNS1_3repE0EEENS1_30default_config_static_selectorELNS0_4arch9wavefront6targetE0EEEvT1_.kd
    .uniform_work_group_size: 1
    .uses_dynamic_stack: false
    .vgpr_count:     0
    .vgpr_spill_count: 0
    .wavefront_size: 32
  - .args:
      - .offset:         0
        .size:           112
        .value_kind:     by_value
    .group_segment_fixed_size: 0
    .kernarg_segment_align: 8
    .kernarg_segment_size: 112
    .language:       OpenCL C
    .language_version:
      - 2
      - 0
    .max_flat_workgroup_size: 256
    .name:           _ZN7rocprim17ROCPRIM_400000_NS6detail17trampoline_kernelINS0_14default_configENS1_27scan_by_key_config_selectorIssEEZZNS1_16scan_by_key_implILNS1_25lookback_scan_determinismE0ELb0ES3_N6thrust23THRUST_200600_302600_NS6detail15normal_iteratorINS9_10device_ptrIsEEEESE_SE_sNS9_4plusIvEENS9_8equal_toIsEEsEE10hipError_tPvRmT2_T3_T4_T5_mT6_T7_P12ihipStream_tbENKUlT_T0_E_clISt17integral_constantIbLb0EESZ_EEDaSU_SV_EUlSU_E_NS1_11comp_targetILNS1_3genE10ELNS1_11target_archE1200ELNS1_3gpuE4ELNS1_3repE0EEENS1_30default_config_static_selectorELNS0_4arch9wavefront6targetE0EEEvT1_
    .private_segment_fixed_size: 0
    .sgpr_count:     0
    .sgpr_spill_count: 0
    .symbol:         _ZN7rocprim17ROCPRIM_400000_NS6detail17trampoline_kernelINS0_14default_configENS1_27scan_by_key_config_selectorIssEEZZNS1_16scan_by_key_implILNS1_25lookback_scan_determinismE0ELb0ES3_N6thrust23THRUST_200600_302600_NS6detail15normal_iteratorINS9_10device_ptrIsEEEESE_SE_sNS9_4plusIvEENS9_8equal_toIsEEsEE10hipError_tPvRmT2_T3_T4_T5_mT6_T7_P12ihipStream_tbENKUlT_T0_E_clISt17integral_constantIbLb0EESZ_EEDaSU_SV_EUlSU_E_NS1_11comp_targetILNS1_3genE10ELNS1_11target_archE1200ELNS1_3gpuE4ELNS1_3repE0EEENS1_30default_config_static_selectorELNS0_4arch9wavefront6targetE0EEEvT1_.kd
    .uniform_work_group_size: 1
    .uses_dynamic_stack: false
    .vgpr_count:     0
    .vgpr_spill_count: 0
    .wavefront_size: 32
  - .args:
      - .offset:         0
        .size:           112
        .value_kind:     by_value
    .group_segment_fixed_size: 0
    .kernarg_segment_align: 8
    .kernarg_segment_size: 112
    .language:       OpenCL C
    .language_version:
      - 2
      - 0
    .max_flat_workgroup_size: 256
    .name:           _ZN7rocprim17ROCPRIM_400000_NS6detail17trampoline_kernelINS0_14default_configENS1_27scan_by_key_config_selectorIssEEZZNS1_16scan_by_key_implILNS1_25lookback_scan_determinismE0ELb0ES3_N6thrust23THRUST_200600_302600_NS6detail15normal_iteratorINS9_10device_ptrIsEEEESE_SE_sNS9_4plusIvEENS9_8equal_toIsEEsEE10hipError_tPvRmT2_T3_T4_T5_mT6_T7_P12ihipStream_tbENKUlT_T0_E_clISt17integral_constantIbLb0EESZ_EEDaSU_SV_EUlSU_E_NS1_11comp_targetILNS1_3genE9ELNS1_11target_archE1100ELNS1_3gpuE3ELNS1_3repE0EEENS1_30default_config_static_selectorELNS0_4arch9wavefront6targetE0EEEvT1_
    .private_segment_fixed_size: 0
    .sgpr_count:     0
    .sgpr_spill_count: 0
    .symbol:         _ZN7rocprim17ROCPRIM_400000_NS6detail17trampoline_kernelINS0_14default_configENS1_27scan_by_key_config_selectorIssEEZZNS1_16scan_by_key_implILNS1_25lookback_scan_determinismE0ELb0ES3_N6thrust23THRUST_200600_302600_NS6detail15normal_iteratorINS9_10device_ptrIsEEEESE_SE_sNS9_4plusIvEENS9_8equal_toIsEEsEE10hipError_tPvRmT2_T3_T4_T5_mT6_T7_P12ihipStream_tbENKUlT_T0_E_clISt17integral_constantIbLb0EESZ_EEDaSU_SV_EUlSU_E_NS1_11comp_targetILNS1_3genE9ELNS1_11target_archE1100ELNS1_3gpuE3ELNS1_3repE0EEENS1_30default_config_static_selectorELNS0_4arch9wavefront6targetE0EEEvT1_.kd
    .uniform_work_group_size: 1
    .uses_dynamic_stack: false
    .vgpr_count:     0
    .vgpr_spill_count: 0
    .wavefront_size: 32
  - .args:
      - .offset:         0
        .size:           112
        .value_kind:     by_value
    .group_segment_fixed_size: 0
    .kernarg_segment_align: 8
    .kernarg_segment_size: 112
    .language:       OpenCL C
    .language_version:
      - 2
      - 0
    .max_flat_workgroup_size: 64
    .name:           _ZN7rocprim17ROCPRIM_400000_NS6detail17trampoline_kernelINS0_14default_configENS1_27scan_by_key_config_selectorIssEEZZNS1_16scan_by_key_implILNS1_25lookback_scan_determinismE0ELb0ES3_N6thrust23THRUST_200600_302600_NS6detail15normal_iteratorINS9_10device_ptrIsEEEESE_SE_sNS9_4plusIvEENS9_8equal_toIsEEsEE10hipError_tPvRmT2_T3_T4_T5_mT6_T7_P12ihipStream_tbENKUlT_T0_E_clISt17integral_constantIbLb0EESZ_EEDaSU_SV_EUlSU_E_NS1_11comp_targetILNS1_3genE8ELNS1_11target_archE1030ELNS1_3gpuE2ELNS1_3repE0EEENS1_30default_config_static_selectorELNS0_4arch9wavefront6targetE0EEEvT1_
    .private_segment_fixed_size: 0
    .sgpr_count:     0
    .sgpr_spill_count: 0
    .symbol:         _ZN7rocprim17ROCPRIM_400000_NS6detail17trampoline_kernelINS0_14default_configENS1_27scan_by_key_config_selectorIssEEZZNS1_16scan_by_key_implILNS1_25lookback_scan_determinismE0ELb0ES3_N6thrust23THRUST_200600_302600_NS6detail15normal_iteratorINS9_10device_ptrIsEEEESE_SE_sNS9_4plusIvEENS9_8equal_toIsEEsEE10hipError_tPvRmT2_T3_T4_T5_mT6_T7_P12ihipStream_tbENKUlT_T0_E_clISt17integral_constantIbLb0EESZ_EEDaSU_SV_EUlSU_E_NS1_11comp_targetILNS1_3genE8ELNS1_11target_archE1030ELNS1_3gpuE2ELNS1_3repE0EEENS1_30default_config_static_selectorELNS0_4arch9wavefront6targetE0EEEvT1_.kd
    .uniform_work_group_size: 1
    .uses_dynamic_stack: false
    .vgpr_count:     0
    .vgpr_spill_count: 0
    .wavefront_size: 32
  - .args:
      - .offset:         0
        .size:           112
        .value_kind:     by_value
    .group_segment_fixed_size: 0
    .kernarg_segment_align: 8
    .kernarg_segment_size: 112
    .language:       OpenCL C
    .language_version:
      - 2
      - 0
    .max_flat_workgroup_size: 256
    .name:           _ZN7rocprim17ROCPRIM_400000_NS6detail17trampoline_kernelINS0_14default_configENS1_27scan_by_key_config_selectorIssEEZZNS1_16scan_by_key_implILNS1_25lookback_scan_determinismE0ELb0ES3_N6thrust23THRUST_200600_302600_NS6detail15normal_iteratorINS9_10device_ptrIsEEEESE_SE_sNS9_4plusIvEENS9_8equal_toIsEEsEE10hipError_tPvRmT2_T3_T4_T5_mT6_T7_P12ihipStream_tbENKUlT_T0_E_clISt17integral_constantIbLb1EESZ_EEDaSU_SV_EUlSU_E_NS1_11comp_targetILNS1_3genE0ELNS1_11target_archE4294967295ELNS1_3gpuE0ELNS1_3repE0EEENS1_30default_config_static_selectorELNS0_4arch9wavefront6targetE0EEEvT1_
    .private_segment_fixed_size: 0
    .sgpr_count:     0
    .sgpr_spill_count: 0
    .symbol:         _ZN7rocprim17ROCPRIM_400000_NS6detail17trampoline_kernelINS0_14default_configENS1_27scan_by_key_config_selectorIssEEZZNS1_16scan_by_key_implILNS1_25lookback_scan_determinismE0ELb0ES3_N6thrust23THRUST_200600_302600_NS6detail15normal_iteratorINS9_10device_ptrIsEEEESE_SE_sNS9_4plusIvEENS9_8equal_toIsEEsEE10hipError_tPvRmT2_T3_T4_T5_mT6_T7_P12ihipStream_tbENKUlT_T0_E_clISt17integral_constantIbLb1EESZ_EEDaSU_SV_EUlSU_E_NS1_11comp_targetILNS1_3genE0ELNS1_11target_archE4294967295ELNS1_3gpuE0ELNS1_3repE0EEENS1_30default_config_static_selectorELNS0_4arch9wavefront6targetE0EEEvT1_.kd
    .uniform_work_group_size: 1
    .uses_dynamic_stack: false
    .vgpr_count:     0
    .vgpr_spill_count: 0
    .wavefront_size: 32
  - .args:
      - .offset:         0
        .size:           112
        .value_kind:     by_value
    .group_segment_fixed_size: 0
    .kernarg_segment_align: 8
    .kernarg_segment_size: 112
    .language:       OpenCL C
    .language_version:
      - 2
      - 0
    .max_flat_workgroup_size: 128
    .name:           _ZN7rocprim17ROCPRIM_400000_NS6detail17trampoline_kernelINS0_14default_configENS1_27scan_by_key_config_selectorIssEEZZNS1_16scan_by_key_implILNS1_25lookback_scan_determinismE0ELb0ES3_N6thrust23THRUST_200600_302600_NS6detail15normal_iteratorINS9_10device_ptrIsEEEESE_SE_sNS9_4plusIvEENS9_8equal_toIsEEsEE10hipError_tPvRmT2_T3_T4_T5_mT6_T7_P12ihipStream_tbENKUlT_T0_E_clISt17integral_constantIbLb1EESZ_EEDaSU_SV_EUlSU_E_NS1_11comp_targetILNS1_3genE10ELNS1_11target_archE1201ELNS1_3gpuE5ELNS1_3repE0EEENS1_30default_config_static_selectorELNS0_4arch9wavefront6targetE0EEEvT1_
    .private_segment_fixed_size: 0
    .sgpr_count:     0
    .sgpr_spill_count: 0
    .symbol:         _ZN7rocprim17ROCPRIM_400000_NS6detail17trampoline_kernelINS0_14default_configENS1_27scan_by_key_config_selectorIssEEZZNS1_16scan_by_key_implILNS1_25lookback_scan_determinismE0ELb0ES3_N6thrust23THRUST_200600_302600_NS6detail15normal_iteratorINS9_10device_ptrIsEEEESE_SE_sNS9_4plusIvEENS9_8equal_toIsEEsEE10hipError_tPvRmT2_T3_T4_T5_mT6_T7_P12ihipStream_tbENKUlT_T0_E_clISt17integral_constantIbLb1EESZ_EEDaSU_SV_EUlSU_E_NS1_11comp_targetILNS1_3genE10ELNS1_11target_archE1201ELNS1_3gpuE5ELNS1_3repE0EEENS1_30default_config_static_selectorELNS0_4arch9wavefront6targetE0EEEvT1_.kd
    .uniform_work_group_size: 1
    .uses_dynamic_stack: false
    .vgpr_count:     0
    .vgpr_spill_count: 0
    .wavefront_size: 32
  - .args:
      - .offset:         0
        .size:           112
        .value_kind:     by_value
    .group_segment_fixed_size: 0
    .kernarg_segment_align: 8
    .kernarg_segment_size: 112
    .language:       OpenCL C
    .language_version:
      - 2
      - 0
    .max_flat_workgroup_size: 256
    .name:           _ZN7rocprim17ROCPRIM_400000_NS6detail17trampoline_kernelINS0_14default_configENS1_27scan_by_key_config_selectorIssEEZZNS1_16scan_by_key_implILNS1_25lookback_scan_determinismE0ELb0ES3_N6thrust23THRUST_200600_302600_NS6detail15normal_iteratorINS9_10device_ptrIsEEEESE_SE_sNS9_4plusIvEENS9_8equal_toIsEEsEE10hipError_tPvRmT2_T3_T4_T5_mT6_T7_P12ihipStream_tbENKUlT_T0_E_clISt17integral_constantIbLb1EESZ_EEDaSU_SV_EUlSU_E_NS1_11comp_targetILNS1_3genE5ELNS1_11target_archE942ELNS1_3gpuE9ELNS1_3repE0EEENS1_30default_config_static_selectorELNS0_4arch9wavefront6targetE0EEEvT1_
    .private_segment_fixed_size: 0
    .sgpr_count:     0
    .sgpr_spill_count: 0
    .symbol:         _ZN7rocprim17ROCPRIM_400000_NS6detail17trampoline_kernelINS0_14default_configENS1_27scan_by_key_config_selectorIssEEZZNS1_16scan_by_key_implILNS1_25lookback_scan_determinismE0ELb0ES3_N6thrust23THRUST_200600_302600_NS6detail15normal_iteratorINS9_10device_ptrIsEEEESE_SE_sNS9_4plusIvEENS9_8equal_toIsEEsEE10hipError_tPvRmT2_T3_T4_T5_mT6_T7_P12ihipStream_tbENKUlT_T0_E_clISt17integral_constantIbLb1EESZ_EEDaSU_SV_EUlSU_E_NS1_11comp_targetILNS1_3genE5ELNS1_11target_archE942ELNS1_3gpuE9ELNS1_3repE0EEENS1_30default_config_static_selectorELNS0_4arch9wavefront6targetE0EEEvT1_.kd
    .uniform_work_group_size: 1
    .uses_dynamic_stack: false
    .vgpr_count:     0
    .vgpr_spill_count: 0
    .wavefront_size: 32
  - .args:
      - .offset:         0
        .size:           112
        .value_kind:     by_value
    .group_segment_fixed_size: 0
    .kernarg_segment_align: 8
    .kernarg_segment_size: 112
    .language:       OpenCL C
    .language_version:
      - 2
      - 0
    .max_flat_workgroup_size: 256
    .name:           _ZN7rocprim17ROCPRIM_400000_NS6detail17trampoline_kernelINS0_14default_configENS1_27scan_by_key_config_selectorIssEEZZNS1_16scan_by_key_implILNS1_25lookback_scan_determinismE0ELb0ES3_N6thrust23THRUST_200600_302600_NS6detail15normal_iteratorINS9_10device_ptrIsEEEESE_SE_sNS9_4plusIvEENS9_8equal_toIsEEsEE10hipError_tPvRmT2_T3_T4_T5_mT6_T7_P12ihipStream_tbENKUlT_T0_E_clISt17integral_constantIbLb1EESZ_EEDaSU_SV_EUlSU_E_NS1_11comp_targetILNS1_3genE4ELNS1_11target_archE910ELNS1_3gpuE8ELNS1_3repE0EEENS1_30default_config_static_selectorELNS0_4arch9wavefront6targetE0EEEvT1_
    .private_segment_fixed_size: 0
    .sgpr_count:     0
    .sgpr_spill_count: 0
    .symbol:         _ZN7rocprim17ROCPRIM_400000_NS6detail17trampoline_kernelINS0_14default_configENS1_27scan_by_key_config_selectorIssEEZZNS1_16scan_by_key_implILNS1_25lookback_scan_determinismE0ELb0ES3_N6thrust23THRUST_200600_302600_NS6detail15normal_iteratorINS9_10device_ptrIsEEEESE_SE_sNS9_4plusIvEENS9_8equal_toIsEEsEE10hipError_tPvRmT2_T3_T4_T5_mT6_T7_P12ihipStream_tbENKUlT_T0_E_clISt17integral_constantIbLb1EESZ_EEDaSU_SV_EUlSU_E_NS1_11comp_targetILNS1_3genE4ELNS1_11target_archE910ELNS1_3gpuE8ELNS1_3repE0EEENS1_30default_config_static_selectorELNS0_4arch9wavefront6targetE0EEEvT1_.kd
    .uniform_work_group_size: 1
    .uses_dynamic_stack: false
    .vgpr_count:     0
    .vgpr_spill_count: 0
    .wavefront_size: 32
  - .args:
      - .offset:         0
        .size:           112
        .value_kind:     by_value
    .group_segment_fixed_size: 0
    .kernarg_segment_align: 8
    .kernarg_segment_size: 112
    .language:       OpenCL C
    .language_version:
      - 2
      - 0
    .max_flat_workgroup_size: 256
    .name:           _ZN7rocprim17ROCPRIM_400000_NS6detail17trampoline_kernelINS0_14default_configENS1_27scan_by_key_config_selectorIssEEZZNS1_16scan_by_key_implILNS1_25lookback_scan_determinismE0ELb0ES3_N6thrust23THRUST_200600_302600_NS6detail15normal_iteratorINS9_10device_ptrIsEEEESE_SE_sNS9_4plusIvEENS9_8equal_toIsEEsEE10hipError_tPvRmT2_T3_T4_T5_mT6_T7_P12ihipStream_tbENKUlT_T0_E_clISt17integral_constantIbLb1EESZ_EEDaSU_SV_EUlSU_E_NS1_11comp_targetILNS1_3genE3ELNS1_11target_archE908ELNS1_3gpuE7ELNS1_3repE0EEENS1_30default_config_static_selectorELNS0_4arch9wavefront6targetE0EEEvT1_
    .private_segment_fixed_size: 0
    .sgpr_count:     0
    .sgpr_spill_count: 0
    .symbol:         _ZN7rocprim17ROCPRIM_400000_NS6detail17trampoline_kernelINS0_14default_configENS1_27scan_by_key_config_selectorIssEEZZNS1_16scan_by_key_implILNS1_25lookback_scan_determinismE0ELb0ES3_N6thrust23THRUST_200600_302600_NS6detail15normal_iteratorINS9_10device_ptrIsEEEESE_SE_sNS9_4plusIvEENS9_8equal_toIsEEsEE10hipError_tPvRmT2_T3_T4_T5_mT6_T7_P12ihipStream_tbENKUlT_T0_E_clISt17integral_constantIbLb1EESZ_EEDaSU_SV_EUlSU_E_NS1_11comp_targetILNS1_3genE3ELNS1_11target_archE908ELNS1_3gpuE7ELNS1_3repE0EEENS1_30default_config_static_selectorELNS0_4arch9wavefront6targetE0EEEvT1_.kd
    .uniform_work_group_size: 1
    .uses_dynamic_stack: false
    .vgpr_count:     0
    .vgpr_spill_count: 0
    .wavefront_size: 32
  - .args:
      - .offset:         0
        .size:           112
        .value_kind:     by_value
    .group_segment_fixed_size: 0
    .kernarg_segment_align: 8
    .kernarg_segment_size: 112
    .language:       OpenCL C
    .language_version:
      - 2
      - 0
    .max_flat_workgroup_size: 64
    .name:           _ZN7rocprim17ROCPRIM_400000_NS6detail17trampoline_kernelINS0_14default_configENS1_27scan_by_key_config_selectorIssEEZZNS1_16scan_by_key_implILNS1_25lookback_scan_determinismE0ELb0ES3_N6thrust23THRUST_200600_302600_NS6detail15normal_iteratorINS9_10device_ptrIsEEEESE_SE_sNS9_4plusIvEENS9_8equal_toIsEEsEE10hipError_tPvRmT2_T3_T4_T5_mT6_T7_P12ihipStream_tbENKUlT_T0_E_clISt17integral_constantIbLb1EESZ_EEDaSU_SV_EUlSU_E_NS1_11comp_targetILNS1_3genE2ELNS1_11target_archE906ELNS1_3gpuE6ELNS1_3repE0EEENS1_30default_config_static_selectorELNS0_4arch9wavefront6targetE0EEEvT1_
    .private_segment_fixed_size: 0
    .sgpr_count:     0
    .sgpr_spill_count: 0
    .symbol:         _ZN7rocprim17ROCPRIM_400000_NS6detail17trampoline_kernelINS0_14default_configENS1_27scan_by_key_config_selectorIssEEZZNS1_16scan_by_key_implILNS1_25lookback_scan_determinismE0ELb0ES3_N6thrust23THRUST_200600_302600_NS6detail15normal_iteratorINS9_10device_ptrIsEEEESE_SE_sNS9_4plusIvEENS9_8equal_toIsEEsEE10hipError_tPvRmT2_T3_T4_T5_mT6_T7_P12ihipStream_tbENKUlT_T0_E_clISt17integral_constantIbLb1EESZ_EEDaSU_SV_EUlSU_E_NS1_11comp_targetILNS1_3genE2ELNS1_11target_archE906ELNS1_3gpuE6ELNS1_3repE0EEENS1_30default_config_static_selectorELNS0_4arch9wavefront6targetE0EEEvT1_.kd
    .uniform_work_group_size: 1
    .uses_dynamic_stack: false
    .vgpr_count:     0
    .vgpr_spill_count: 0
    .wavefront_size: 32
  - .args:
      - .offset:         0
        .size:           112
        .value_kind:     by_value
    .group_segment_fixed_size: 0
    .kernarg_segment_align: 8
    .kernarg_segment_size: 112
    .language:       OpenCL C
    .language_version:
      - 2
      - 0
    .max_flat_workgroup_size: 256
    .name:           _ZN7rocprim17ROCPRIM_400000_NS6detail17trampoline_kernelINS0_14default_configENS1_27scan_by_key_config_selectorIssEEZZNS1_16scan_by_key_implILNS1_25lookback_scan_determinismE0ELb0ES3_N6thrust23THRUST_200600_302600_NS6detail15normal_iteratorINS9_10device_ptrIsEEEESE_SE_sNS9_4plusIvEENS9_8equal_toIsEEsEE10hipError_tPvRmT2_T3_T4_T5_mT6_T7_P12ihipStream_tbENKUlT_T0_E_clISt17integral_constantIbLb1EESZ_EEDaSU_SV_EUlSU_E_NS1_11comp_targetILNS1_3genE10ELNS1_11target_archE1200ELNS1_3gpuE4ELNS1_3repE0EEENS1_30default_config_static_selectorELNS0_4arch9wavefront6targetE0EEEvT1_
    .private_segment_fixed_size: 0
    .sgpr_count:     0
    .sgpr_spill_count: 0
    .symbol:         _ZN7rocprim17ROCPRIM_400000_NS6detail17trampoline_kernelINS0_14default_configENS1_27scan_by_key_config_selectorIssEEZZNS1_16scan_by_key_implILNS1_25lookback_scan_determinismE0ELb0ES3_N6thrust23THRUST_200600_302600_NS6detail15normal_iteratorINS9_10device_ptrIsEEEESE_SE_sNS9_4plusIvEENS9_8equal_toIsEEsEE10hipError_tPvRmT2_T3_T4_T5_mT6_T7_P12ihipStream_tbENKUlT_T0_E_clISt17integral_constantIbLb1EESZ_EEDaSU_SV_EUlSU_E_NS1_11comp_targetILNS1_3genE10ELNS1_11target_archE1200ELNS1_3gpuE4ELNS1_3repE0EEENS1_30default_config_static_selectorELNS0_4arch9wavefront6targetE0EEEvT1_.kd
    .uniform_work_group_size: 1
    .uses_dynamic_stack: false
    .vgpr_count:     0
    .vgpr_spill_count: 0
    .wavefront_size: 32
  - .args:
      - .offset:         0
        .size:           112
        .value_kind:     by_value
    .group_segment_fixed_size: 0
    .kernarg_segment_align: 8
    .kernarg_segment_size: 112
    .language:       OpenCL C
    .language_version:
      - 2
      - 0
    .max_flat_workgroup_size: 256
    .name:           _ZN7rocprim17ROCPRIM_400000_NS6detail17trampoline_kernelINS0_14default_configENS1_27scan_by_key_config_selectorIssEEZZNS1_16scan_by_key_implILNS1_25lookback_scan_determinismE0ELb0ES3_N6thrust23THRUST_200600_302600_NS6detail15normal_iteratorINS9_10device_ptrIsEEEESE_SE_sNS9_4plusIvEENS9_8equal_toIsEEsEE10hipError_tPvRmT2_T3_T4_T5_mT6_T7_P12ihipStream_tbENKUlT_T0_E_clISt17integral_constantIbLb1EESZ_EEDaSU_SV_EUlSU_E_NS1_11comp_targetILNS1_3genE9ELNS1_11target_archE1100ELNS1_3gpuE3ELNS1_3repE0EEENS1_30default_config_static_selectorELNS0_4arch9wavefront6targetE0EEEvT1_
    .private_segment_fixed_size: 0
    .sgpr_count:     0
    .sgpr_spill_count: 0
    .symbol:         _ZN7rocprim17ROCPRIM_400000_NS6detail17trampoline_kernelINS0_14default_configENS1_27scan_by_key_config_selectorIssEEZZNS1_16scan_by_key_implILNS1_25lookback_scan_determinismE0ELb0ES3_N6thrust23THRUST_200600_302600_NS6detail15normal_iteratorINS9_10device_ptrIsEEEESE_SE_sNS9_4plusIvEENS9_8equal_toIsEEsEE10hipError_tPvRmT2_T3_T4_T5_mT6_T7_P12ihipStream_tbENKUlT_T0_E_clISt17integral_constantIbLb1EESZ_EEDaSU_SV_EUlSU_E_NS1_11comp_targetILNS1_3genE9ELNS1_11target_archE1100ELNS1_3gpuE3ELNS1_3repE0EEENS1_30default_config_static_selectorELNS0_4arch9wavefront6targetE0EEEvT1_.kd
    .uniform_work_group_size: 1
    .uses_dynamic_stack: false
    .vgpr_count:     0
    .vgpr_spill_count: 0
    .wavefront_size: 32
  - .args:
      - .offset:         0
        .size:           112
        .value_kind:     by_value
    .group_segment_fixed_size: 0
    .kernarg_segment_align: 8
    .kernarg_segment_size: 112
    .language:       OpenCL C
    .language_version:
      - 2
      - 0
    .max_flat_workgroup_size: 64
    .name:           _ZN7rocprim17ROCPRIM_400000_NS6detail17trampoline_kernelINS0_14default_configENS1_27scan_by_key_config_selectorIssEEZZNS1_16scan_by_key_implILNS1_25lookback_scan_determinismE0ELb0ES3_N6thrust23THRUST_200600_302600_NS6detail15normal_iteratorINS9_10device_ptrIsEEEESE_SE_sNS9_4plusIvEENS9_8equal_toIsEEsEE10hipError_tPvRmT2_T3_T4_T5_mT6_T7_P12ihipStream_tbENKUlT_T0_E_clISt17integral_constantIbLb1EESZ_EEDaSU_SV_EUlSU_E_NS1_11comp_targetILNS1_3genE8ELNS1_11target_archE1030ELNS1_3gpuE2ELNS1_3repE0EEENS1_30default_config_static_selectorELNS0_4arch9wavefront6targetE0EEEvT1_
    .private_segment_fixed_size: 0
    .sgpr_count:     0
    .sgpr_spill_count: 0
    .symbol:         _ZN7rocprim17ROCPRIM_400000_NS6detail17trampoline_kernelINS0_14default_configENS1_27scan_by_key_config_selectorIssEEZZNS1_16scan_by_key_implILNS1_25lookback_scan_determinismE0ELb0ES3_N6thrust23THRUST_200600_302600_NS6detail15normal_iteratorINS9_10device_ptrIsEEEESE_SE_sNS9_4plusIvEENS9_8equal_toIsEEsEE10hipError_tPvRmT2_T3_T4_T5_mT6_T7_P12ihipStream_tbENKUlT_T0_E_clISt17integral_constantIbLb1EESZ_EEDaSU_SV_EUlSU_E_NS1_11comp_targetILNS1_3genE8ELNS1_11target_archE1030ELNS1_3gpuE2ELNS1_3repE0EEENS1_30default_config_static_selectorELNS0_4arch9wavefront6targetE0EEEvT1_.kd
    .uniform_work_group_size: 1
    .uses_dynamic_stack: false
    .vgpr_count:     0
    .vgpr_spill_count: 0
    .wavefront_size: 32
  - .args:
      - .offset:         0
        .size:           112
        .value_kind:     by_value
    .group_segment_fixed_size: 0
    .kernarg_segment_align: 8
    .kernarg_segment_size: 112
    .language:       OpenCL C
    .language_version:
      - 2
      - 0
    .max_flat_workgroup_size: 256
    .name:           _ZN7rocprim17ROCPRIM_400000_NS6detail17trampoline_kernelINS0_14default_configENS1_27scan_by_key_config_selectorIssEEZZNS1_16scan_by_key_implILNS1_25lookback_scan_determinismE0ELb0ES3_N6thrust23THRUST_200600_302600_NS6detail15normal_iteratorINS9_10device_ptrIsEEEESE_SE_sNS9_4plusIvEENS9_8equal_toIsEEsEE10hipError_tPvRmT2_T3_T4_T5_mT6_T7_P12ihipStream_tbENKUlT_T0_E_clISt17integral_constantIbLb1EESY_IbLb0EEEEDaSU_SV_EUlSU_E_NS1_11comp_targetILNS1_3genE0ELNS1_11target_archE4294967295ELNS1_3gpuE0ELNS1_3repE0EEENS1_30default_config_static_selectorELNS0_4arch9wavefront6targetE0EEEvT1_
    .private_segment_fixed_size: 0
    .sgpr_count:     0
    .sgpr_spill_count: 0
    .symbol:         _ZN7rocprim17ROCPRIM_400000_NS6detail17trampoline_kernelINS0_14default_configENS1_27scan_by_key_config_selectorIssEEZZNS1_16scan_by_key_implILNS1_25lookback_scan_determinismE0ELb0ES3_N6thrust23THRUST_200600_302600_NS6detail15normal_iteratorINS9_10device_ptrIsEEEESE_SE_sNS9_4plusIvEENS9_8equal_toIsEEsEE10hipError_tPvRmT2_T3_T4_T5_mT6_T7_P12ihipStream_tbENKUlT_T0_E_clISt17integral_constantIbLb1EESY_IbLb0EEEEDaSU_SV_EUlSU_E_NS1_11comp_targetILNS1_3genE0ELNS1_11target_archE4294967295ELNS1_3gpuE0ELNS1_3repE0EEENS1_30default_config_static_selectorELNS0_4arch9wavefront6targetE0EEEvT1_.kd
    .uniform_work_group_size: 1
    .uses_dynamic_stack: false
    .vgpr_count:     0
    .vgpr_spill_count: 0
    .wavefront_size: 32
  - .args:
      - .offset:         0
        .size:           112
        .value_kind:     by_value
    .group_segment_fixed_size: 0
    .kernarg_segment_align: 8
    .kernarg_segment_size: 112
    .language:       OpenCL C
    .language_version:
      - 2
      - 0
    .max_flat_workgroup_size: 128
    .name:           _ZN7rocprim17ROCPRIM_400000_NS6detail17trampoline_kernelINS0_14default_configENS1_27scan_by_key_config_selectorIssEEZZNS1_16scan_by_key_implILNS1_25lookback_scan_determinismE0ELb0ES3_N6thrust23THRUST_200600_302600_NS6detail15normal_iteratorINS9_10device_ptrIsEEEESE_SE_sNS9_4plusIvEENS9_8equal_toIsEEsEE10hipError_tPvRmT2_T3_T4_T5_mT6_T7_P12ihipStream_tbENKUlT_T0_E_clISt17integral_constantIbLb1EESY_IbLb0EEEEDaSU_SV_EUlSU_E_NS1_11comp_targetILNS1_3genE10ELNS1_11target_archE1201ELNS1_3gpuE5ELNS1_3repE0EEENS1_30default_config_static_selectorELNS0_4arch9wavefront6targetE0EEEvT1_
    .private_segment_fixed_size: 0
    .sgpr_count:     0
    .sgpr_spill_count: 0
    .symbol:         _ZN7rocprim17ROCPRIM_400000_NS6detail17trampoline_kernelINS0_14default_configENS1_27scan_by_key_config_selectorIssEEZZNS1_16scan_by_key_implILNS1_25lookback_scan_determinismE0ELb0ES3_N6thrust23THRUST_200600_302600_NS6detail15normal_iteratorINS9_10device_ptrIsEEEESE_SE_sNS9_4plusIvEENS9_8equal_toIsEEsEE10hipError_tPvRmT2_T3_T4_T5_mT6_T7_P12ihipStream_tbENKUlT_T0_E_clISt17integral_constantIbLb1EESY_IbLb0EEEEDaSU_SV_EUlSU_E_NS1_11comp_targetILNS1_3genE10ELNS1_11target_archE1201ELNS1_3gpuE5ELNS1_3repE0EEENS1_30default_config_static_selectorELNS0_4arch9wavefront6targetE0EEEvT1_.kd
    .uniform_work_group_size: 1
    .uses_dynamic_stack: false
    .vgpr_count:     0
    .vgpr_spill_count: 0
    .wavefront_size: 32
  - .args:
      - .offset:         0
        .size:           112
        .value_kind:     by_value
    .group_segment_fixed_size: 0
    .kernarg_segment_align: 8
    .kernarg_segment_size: 112
    .language:       OpenCL C
    .language_version:
      - 2
      - 0
    .max_flat_workgroup_size: 256
    .name:           _ZN7rocprim17ROCPRIM_400000_NS6detail17trampoline_kernelINS0_14default_configENS1_27scan_by_key_config_selectorIssEEZZNS1_16scan_by_key_implILNS1_25lookback_scan_determinismE0ELb0ES3_N6thrust23THRUST_200600_302600_NS6detail15normal_iteratorINS9_10device_ptrIsEEEESE_SE_sNS9_4plusIvEENS9_8equal_toIsEEsEE10hipError_tPvRmT2_T3_T4_T5_mT6_T7_P12ihipStream_tbENKUlT_T0_E_clISt17integral_constantIbLb1EESY_IbLb0EEEEDaSU_SV_EUlSU_E_NS1_11comp_targetILNS1_3genE5ELNS1_11target_archE942ELNS1_3gpuE9ELNS1_3repE0EEENS1_30default_config_static_selectorELNS0_4arch9wavefront6targetE0EEEvT1_
    .private_segment_fixed_size: 0
    .sgpr_count:     0
    .sgpr_spill_count: 0
    .symbol:         _ZN7rocprim17ROCPRIM_400000_NS6detail17trampoline_kernelINS0_14default_configENS1_27scan_by_key_config_selectorIssEEZZNS1_16scan_by_key_implILNS1_25lookback_scan_determinismE0ELb0ES3_N6thrust23THRUST_200600_302600_NS6detail15normal_iteratorINS9_10device_ptrIsEEEESE_SE_sNS9_4plusIvEENS9_8equal_toIsEEsEE10hipError_tPvRmT2_T3_T4_T5_mT6_T7_P12ihipStream_tbENKUlT_T0_E_clISt17integral_constantIbLb1EESY_IbLb0EEEEDaSU_SV_EUlSU_E_NS1_11comp_targetILNS1_3genE5ELNS1_11target_archE942ELNS1_3gpuE9ELNS1_3repE0EEENS1_30default_config_static_selectorELNS0_4arch9wavefront6targetE0EEEvT1_.kd
    .uniform_work_group_size: 1
    .uses_dynamic_stack: false
    .vgpr_count:     0
    .vgpr_spill_count: 0
    .wavefront_size: 32
  - .args:
      - .offset:         0
        .size:           112
        .value_kind:     by_value
    .group_segment_fixed_size: 0
    .kernarg_segment_align: 8
    .kernarg_segment_size: 112
    .language:       OpenCL C
    .language_version:
      - 2
      - 0
    .max_flat_workgroup_size: 256
    .name:           _ZN7rocprim17ROCPRIM_400000_NS6detail17trampoline_kernelINS0_14default_configENS1_27scan_by_key_config_selectorIssEEZZNS1_16scan_by_key_implILNS1_25lookback_scan_determinismE0ELb0ES3_N6thrust23THRUST_200600_302600_NS6detail15normal_iteratorINS9_10device_ptrIsEEEESE_SE_sNS9_4plusIvEENS9_8equal_toIsEEsEE10hipError_tPvRmT2_T3_T4_T5_mT6_T7_P12ihipStream_tbENKUlT_T0_E_clISt17integral_constantIbLb1EESY_IbLb0EEEEDaSU_SV_EUlSU_E_NS1_11comp_targetILNS1_3genE4ELNS1_11target_archE910ELNS1_3gpuE8ELNS1_3repE0EEENS1_30default_config_static_selectorELNS0_4arch9wavefront6targetE0EEEvT1_
    .private_segment_fixed_size: 0
    .sgpr_count:     0
    .sgpr_spill_count: 0
    .symbol:         _ZN7rocprim17ROCPRIM_400000_NS6detail17trampoline_kernelINS0_14default_configENS1_27scan_by_key_config_selectorIssEEZZNS1_16scan_by_key_implILNS1_25lookback_scan_determinismE0ELb0ES3_N6thrust23THRUST_200600_302600_NS6detail15normal_iteratorINS9_10device_ptrIsEEEESE_SE_sNS9_4plusIvEENS9_8equal_toIsEEsEE10hipError_tPvRmT2_T3_T4_T5_mT6_T7_P12ihipStream_tbENKUlT_T0_E_clISt17integral_constantIbLb1EESY_IbLb0EEEEDaSU_SV_EUlSU_E_NS1_11comp_targetILNS1_3genE4ELNS1_11target_archE910ELNS1_3gpuE8ELNS1_3repE0EEENS1_30default_config_static_selectorELNS0_4arch9wavefront6targetE0EEEvT1_.kd
    .uniform_work_group_size: 1
    .uses_dynamic_stack: false
    .vgpr_count:     0
    .vgpr_spill_count: 0
    .wavefront_size: 32
  - .args:
      - .offset:         0
        .size:           112
        .value_kind:     by_value
    .group_segment_fixed_size: 0
    .kernarg_segment_align: 8
    .kernarg_segment_size: 112
    .language:       OpenCL C
    .language_version:
      - 2
      - 0
    .max_flat_workgroup_size: 256
    .name:           _ZN7rocprim17ROCPRIM_400000_NS6detail17trampoline_kernelINS0_14default_configENS1_27scan_by_key_config_selectorIssEEZZNS1_16scan_by_key_implILNS1_25lookback_scan_determinismE0ELb0ES3_N6thrust23THRUST_200600_302600_NS6detail15normal_iteratorINS9_10device_ptrIsEEEESE_SE_sNS9_4plusIvEENS9_8equal_toIsEEsEE10hipError_tPvRmT2_T3_T4_T5_mT6_T7_P12ihipStream_tbENKUlT_T0_E_clISt17integral_constantIbLb1EESY_IbLb0EEEEDaSU_SV_EUlSU_E_NS1_11comp_targetILNS1_3genE3ELNS1_11target_archE908ELNS1_3gpuE7ELNS1_3repE0EEENS1_30default_config_static_selectorELNS0_4arch9wavefront6targetE0EEEvT1_
    .private_segment_fixed_size: 0
    .sgpr_count:     0
    .sgpr_spill_count: 0
    .symbol:         _ZN7rocprim17ROCPRIM_400000_NS6detail17trampoline_kernelINS0_14default_configENS1_27scan_by_key_config_selectorIssEEZZNS1_16scan_by_key_implILNS1_25lookback_scan_determinismE0ELb0ES3_N6thrust23THRUST_200600_302600_NS6detail15normal_iteratorINS9_10device_ptrIsEEEESE_SE_sNS9_4plusIvEENS9_8equal_toIsEEsEE10hipError_tPvRmT2_T3_T4_T5_mT6_T7_P12ihipStream_tbENKUlT_T0_E_clISt17integral_constantIbLb1EESY_IbLb0EEEEDaSU_SV_EUlSU_E_NS1_11comp_targetILNS1_3genE3ELNS1_11target_archE908ELNS1_3gpuE7ELNS1_3repE0EEENS1_30default_config_static_selectorELNS0_4arch9wavefront6targetE0EEEvT1_.kd
    .uniform_work_group_size: 1
    .uses_dynamic_stack: false
    .vgpr_count:     0
    .vgpr_spill_count: 0
    .wavefront_size: 32
  - .args:
      - .offset:         0
        .size:           112
        .value_kind:     by_value
    .group_segment_fixed_size: 0
    .kernarg_segment_align: 8
    .kernarg_segment_size: 112
    .language:       OpenCL C
    .language_version:
      - 2
      - 0
    .max_flat_workgroup_size: 64
    .name:           _ZN7rocprim17ROCPRIM_400000_NS6detail17trampoline_kernelINS0_14default_configENS1_27scan_by_key_config_selectorIssEEZZNS1_16scan_by_key_implILNS1_25lookback_scan_determinismE0ELb0ES3_N6thrust23THRUST_200600_302600_NS6detail15normal_iteratorINS9_10device_ptrIsEEEESE_SE_sNS9_4plusIvEENS9_8equal_toIsEEsEE10hipError_tPvRmT2_T3_T4_T5_mT6_T7_P12ihipStream_tbENKUlT_T0_E_clISt17integral_constantIbLb1EESY_IbLb0EEEEDaSU_SV_EUlSU_E_NS1_11comp_targetILNS1_3genE2ELNS1_11target_archE906ELNS1_3gpuE6ELNS1_3repE0EEENS1_30default_config_static_selectorELNS0_4arch9wavefront6targetE0EEEvT1_
    .private_segment_fixed_size: 0
    .sgpr_count:     0
    .sgpr_spill_count: 0
    .symbol:         _ZN7rocprim17ROCPRIM_400000_NS6detail17trampoline_kernelINS0_14default_configENS1_27scan_by_key_config_selectorIssEEZZNS1_16scan_by_key_implILNS1_25lookback_scan_determinismE0ELb0ES3_N6thrust23THRUST_200600_302600_NS6detail15normal_iteratorINS9_10device_ptrIsEEEESE_SE_sNS9_4plusIvEENS9_8equal_toIsEEsEE10hipError_tPvRmT2_T3_T4_T5_mT6_T7_P12ihipStream_tbENKUlT_T0_E_clISt17integral_constantIbLb1EESY_IbLb0EEEEDaSU_SV_EUlSU_E_NS1_11comp_targetILNS1_3genE2ELNS1_11target_archE906ELNS1_3gpuE6ELNS1_3repE0EEENS1_30default_config_static_selectorELNS0_4arch9wavefront6targetE0EEEvT1_.kd
    .uniform_work_group_size: 1
    .uses_dynamic_stack: false
    .vgpr_count:     0
    .vgpr_spill_count: 0
    .wavefront_size: 32
  - .args:
      - .offset:         0
        .size:           112
        .value_kind:     by_value
    .group_segment_fixed_size: 0
    .kernarg_segment_align: 8
    .kernarg_segment_size: 112
    .language:       OpenCL C
    .language_version:
      - 2
      - 0
    .max_flat_workgroup_size: 256
    .name:           _ZN7rocprim17ROCPRIM_400000_NS6detail17trampoline_kernelINS0_14default_configENS1_27scan_by_key_config_selectorIssEEZZNS1_16scan_by_key_implILNS1_25lookback_scan_determinismE0ELb0ES3_N6thrust23THRUST_200600_302600_NS6detail15normal_iteratorINS9_10device_ptrIsEEEESE_SE_sNS9_4plusIvEENS9_8equal_toIsEEsEE10hipError_tPvRmT2_T3_T4_T5_mT6_T7_P12ihipStream_tbENKUlT_T0_E_clISt17integral_constantIbLb1EESY_IbLb0EEEEDaSU_SV_EUlSU_E_NS1_11comp_targetILNS1_3genE10ELNS1_11target_archE1200ELNS1_3gpuE4ELNS1_3repE0EEENS1_30default_config_static_selectorELNS0_4arch9wavefront6targetE0EEEvT1_
    .private_segment_fixed_size: 0
    .sgpr_count:     0
    .sgpr_spill_count: 0
    .symbol:         _ZN7rocprim17ROCPRIM_400000_NS6detail17trampoline_kernelINS0_14default_configENS1_27scan_by_key_config_selectorIssEEZZNS1_16scan_by_key_implILNS1_25lookback_scan_determinismE0ELb0ES3_N6thrust23THRUST_200600_302600_NS6detail15normal_iteratorINS9_10device_ptrIsEEEESE_SE_sNS9_4plusIvEENS9_8equal_toIsEEsEE10hipError_tPvRmT2_T3_T4_T5_mT6_T7_P12ihipStream_tbENKUlT_T0_E_clISt17integral_constantIbLb1EESY_IbLb0EEEEDaSU_SV_EUlSU_E_NS1_11comp_targetILNS1_3genE10ELNS1_11target_archE1200ELNS1_3gpuE4ELNS1_3repE0EEENS1_30default_config_static_selectorELNS0_4arch9wavefront6targetE0EEEvT1_.kd
    .uniform_work_group_size: 1
    .uses_dynamic_stack: false
    .vgpr_count:     0
    .vgpr_spill_count: 0
    .wavefront_size: 32
  - .args:
      - .offset:         0
        .size:           112
        .value_kind:     by_value
    .group_segment_fixed_size: 0
    .kernarg_segment_align: 8
    .kernarg_segment_size: 112
    .language:       OpenCL C
    .language_version:
      - 2
      - 0
    .max_flat_workgroup_size: 256
    .name:           _ZN7rocprim17ROCPRIM_400000_NS6detail17trampoline_kernelINS0_14default_configENS1_27scan_by_key_config_selectorIssEEZZNS1_16scan_by_key_implILNS1_25lookback_scan_determinismE0ELb0ES3_N6thrust23THRUST_200600_302600_NS6detail15normal_iteratorINS9_10device_ptrIsEEEESE_SE_sNS9_4plusIvEENS9_8equal_toIsEEsEE10hipError_tPvRmT2_T3_T4_T5_mT6_T7_P12ihipStream_tbENKUlT_T0_E_clISt17integral_constantIbLb1EESY_IbLb0EEEEDaSU_SV_EUlSU_E_NS1_11comp_targetILNS1_3genE9ELNS1_11target_archE1100ELNS1_3gpuE3ELNS1_3repE0EEENS1_30default_config_static_selectorELNS0_4arch9wavefront6targetE0EEEvT1_
    .private_segment_fixed_size: 0
    .sgpr_count:     0
    .sgpr_spill_count: 0
    .symbol:         _ZN7rocprim17ROCPRIM_400000_NS6detail17trampoline_kernelINS0_14default_configENS1_27scan_by_key_config_selectorIssEEZZNS1_16scan_by_key_implILNS1_25lookback_scan_determinismE0ELb0ES3_N6thrust23THRUST_200600_302600_NS6detail15normal_iteratorINS9_10device_ptrIsEEEESE_SE_sNS9_4plusIvEENS9_8equal_toIsEEsEE10hipError_tPvRmT2_T3_T4_T5_mT6_T7_P12ihipStream_tbENKUlT_T0_E_clISt17integral_constantIbLb1EESY_IbLb0EEEEDaSU_SV_EUlSU_E_NS1_11comp_targetILNS1_3genE9ELNS1_11target_archE1100ELNS1_3gpuE3ELNS1_3repE0EEENS1_30default_config_static_selectorELNS0_4arch9wavefront6targetE0EEEvT1_.kd
    .uniform_work_group_size: 1
    .uses_dynamic_stack: false
    .vgpr_count:     0
    .vgpr_spill_count: 0
    .wavefront_size: 32
  - .args:
      - .offset:         0
        .size:           112
        .value_kind:     by_value
    .group_segment_fixed_size: 0
    .kernarg_segment_align: 8
    .kernarg_segment_size: 112
    .language:       OpenCL C
    .language_version:
      - 2
      - 0
    .max_flat_workgroup_size: 64
    .name:           _ZN7rocprim17ROCPRIM_400000_NS6detail17trampoline_kernelINS0_14default_configENS1_27scan_by_key_config_selectorIssEEZZNS1_16scan_by_key_implILNS1_25lookback_scan_determinismE0ELb0ES3_N6thrust23THRUST_200600_302600_NS6detail15normal_iteratorINS9_10device_ptrIsEEEESE_SE_sNS9_4plusIvEENS9_8equal_toIsEEsEE10hipError_tPvRmT2_T3_T4_T5_mT6_T7_P12ihipStream_tbENKUlT_T0_E_clISt17integral_constantIbLb1EESY_IbLb0EEEEDaSU_SV_EUlSU_E_NS1_11comp_targetILNS1_3genE8ELNS1_11target_archE1030ELNS1_3gpuE2ELNS1_3repE0EEENS1_30default_config_static_selectorELNS0_4arch9wavefront6targetE0EEEvT1_
    .private_segment_fixed_size: 0
    .sgpr_count:     0
    .sgpr_spill_count: 0
    .symbol:         _ZN7rocprim17ROCPRIM_400000_NS6detail17trampoline_kernelINS0_14default_configENS1_27scan_by_key_config_selectorIssEEZZNS1_16scan_by_key_implILNS1_25lookback_scan_determinismE0ELb0ES3_N6thrust23THRUST_200600_302600_NS6detail15normal_iteratorINS9_10device_ptrIsEEEESE_SE_sNS9_4plusIvEENS9_8equal_toIsEEsEE10hipError_tPvRmT2_T3_T4_T5_mT6_T7_P12ihipStream_tbENKUlT_T0_E_clISt17integral_constantIbLb1EESY_IbLb0EEEEDaSU_SV_EUlSU_E_NS1_11comp_targetILNS1_3genE8ELNS1_11target_archE1030ELNS1_3gpuE2ELNS1_3repE0EEENS1_30default_config_static_selectorELNS0_4arch9wavefront6targetE0EEEvT1_.kd
    .uniform_work_group_size: 1
    .uses_dynamic_stack: false
    .vgpr_count:     0
    .vgpr_spill_count: 0
    .wavefront_size: 32
  - .args:
      - .offset:         0
        .size:           112
        .value_kind:     by_value
    .group_segment_fixed_size: 11264
    .kernarg_segment_align: 8
    .kernarg_segment_size: 112
    .language:       OpenCL C
    .language_version:
      - 2
      - 0
    .max_flat_workgroup_size: 256
    .name:           _ZN7rocprim17ROCPRIM_400000_NS6detail17trampoline_kernelINS0_14default_configENS1_27scan_by_key_config_selectorIssEEZZNS1_16scan_by_key_implILNS1_25lookback_scan_determinismE0ELb0ES3_N6thrust23THRUST_200600_302600_NS6detail15normal_iteratorINS9_10device_ptrIsEEEESE_SE_sNS9_4plusIvEENS9_8equal_toIsEEsEE10hipError_tPvRmT2_T3_T4_T5_mT6_T7_P12ihipStream_tbENKUlT_T0_E_clISt17integral_constantIbLb0EESY_IbLb1EEEEDaSU_SV_EUlSU_E_NS1_11comp_targetILNS1_3genE0ELNS1_11target_archE4294967295ELNS1_3gpuE0ELNS1_3repE0EEENS1_30default_config_static_selectorELNS0_4arch9wavefront6targetE0EEEvT1_
    .private_segment_fixed_size: 0
    .sgpr_count:     53
    .sgpr_spill_count: 0
    .symbol:         _ZN7rocprim17ROCPRIM_400000_NS6detail17trampoline_kernelINS0_14default_configENS1_27scan_by_key_config_selectorIssEEZZNS1_16scan_by_key_implILNS1_25lookback_scan_determinismE0ELb0ES3_N6thrust23THRUST_200600_302600_NS6detail15normal_iteratorINS9_10device_ptrIsEEEESE_SE_sNS9_4plusIvEENS9_8equal_toIsEEsEE10hipError_tPvRmT2_T3_T4_T5_mT6_T7_P12ihipStream_tbENKUlT_T0_E_clISt17integral_constantIbLb0EESY_IbLb1EEEEDaSU_SV_EUlSU_E_NS1_11comp_targetILNS1_3genE0ELNS1_11target_archE4294967295ELNS1_3gpuE0ELNS1_3repE0EEENS1_30default_config_static_selectorELNS0_4arch9wavefront6targetE0EEEvT1_.kd
    .uniform_work_group_size: 1
    .uses_dynamic_stack: false
    .vgpr_count:     58
    .vgpr_spill_count: 0
    .wavefront_size: 32
  - .args:
      - .offset:         0
        .size:           112
        .value_kind:     by_value
    .group_segment_fixed_size: 0
    .kernarg_segment_align: 8
    .kernarg_segment_size: 112
    .language:       OpenCL C
    .language_version:
      - 2
      - 0
    .max_flat_workgroup_size: 128
    .name:           _ZN7rocprim17ROCPRIM_400000_NS6detail17trampoline_kernelINS0_14default_configENS1_27scan_by_key_config_selectorIssEEZZNS1_16scan_by_key_implILNS1_25lookback_scan_determinismE0ELb0ES3_N6thrust23THRUST_200600_302600_NS6detail15normal_iteratorINS9_10device_ptrIsEEEESE_SE_sNS9_4plusIvEENS9_8equal_toIsEEsEE10hipError_tPvRmT2_T3_T4_T5_mT6_T7_P12ihipStream_tbENKUlT_T0_E_clISt17integral_constantIbLb0EESY_IbLb1EEEEDaSU_SV_EUlSU_E_NS1_11comp_targetILNS1_3genE10ELNS1_11target_archE1201ELNS1_3gpuE5ELNS1_3repE0EEENS1_30default_config_static_selectorELNS0_4arch9wavefront6targetE0EEEvT1_
    .private_segment_fixed_size: 0
    .sgpr_count:     0
    .sgpr_spill_count: 0
    .symbol:         _ZN7rocprim17ROCPRIM_400000_NS6detail17trampoline_kernelINS0_14default_configENS1_27scan_by_key_config_selectorIssEEZZNS1_16scan_by_key_implILNS1_25lookback_scan_determinismE0ELb0ES3_N6thrust23THRUST_200600_302600_NS6detail15normal_iteratorINS9_10device_ptrIsEEEESE_SE_sNS9_4plusIvEENS9_8equal_toIsEEsEE10hipError_tPvRmT2_T3_T4_T5_mT6_T7_P12ihipStream_tbENKUlT_T0_E_clISt17integral_constantIbLb0EESY_IbLb1EEEEDaSU_SV_EUlSU_E_NS1_11comp_targetILNS1_3genE10ELNS1_11target_archE1201ELNS1_3gpuE5ELNS1_3repE0EEENS1_30default_config_static_selectorELNS0_4arch9wavefront6targetE0EEEvT1_.kd
    .uniform_work_group_size: 1
    .uses_dynamic_stack: false
    .vgpr_count:     0
    .vgpr_spill_count: 0
    .wavefront_size: 32
  - .args:
      - .offset:         0
        .size:           112
        .value_kind:     by_value
    .group_segment_fixed_size: 0
    .kernarg_segment_align: 8
    .kernarg_segment_size: 112
    .language:       OpenCL C
    .language_version:
      - 2
      - 0
    .max_flat_workgroup_size: 256
    .name:           _ZN7rocprim17ROCPRIM_400000_NS6detail17trampoline_kernelINS0_14default_configENS1_27scan_by_key_config_selectorIssEEZZNS1_16scan_by_key_implILNS1_25lookback_scan_determinismE0ELb0ES3_N6thrust23THRUST_200600_302600_NS6detail15normal_iteratorINS9_10device_ptrIsEEEESE_SE_sNS9_4plusIvEENS9_8equal_toIsEEsEE10hipError_tPvRmT2_T3_T4_T5_mT6_T7_P12ihipStream_tbENKUlT_T0_E_clISt17integral_constantIbLb0EESY_IbLb1EEEEDaSU_SV_EUlSU_E_NS1_11comp_targetILNS1_3genE5ELNS1_11target_archE942ELNS1_3gpuE9ELNS1_3repE0EEENS1_30default_config_static_selectorELNS0_4arch9wavefront6targetE0EEEvT1_
    .private_segment_fixed_size: 0
    .sgpr_count:     0
    .sgpr_spill_count: 0
    .symbol:         _ZN7rocprim17ROCPRIM_400000_NS6detail17trampoline_kernelINS0_14default_configENS1_27scan_by_key_config_selectorIssEEZZNS1_16scan_by_key_implILNS1_25lookback_scan_determinismE0ELb0ES3_N6thrust23THRUST_200600_302600_NS6detail15normal_iteratorINS9_10device_ptrIsEEEESE_SE_sNS9_4plusIvEENS9_8equal_toIsEEsEE10hipError_tPvRmT2_T3_T4_T5_mT6_T7_P12ihipStream_tbENKUlT_T0_E_clISt17integral_constantIbLb0EESY_IbLb1EEEEDaSU_SV_EUlSU_E_NS1_11comp_targetILNS1_3genE5ELNS1_11target_archE942ELNS1_3gpuE9ELNS1_3repE0EEENS1_30default_config_static_selectorELNS0_4arch9wavefront6targetE0EEEvT1_.kd
    .uniform_work_group_size: 1
    .uses_dynamic_stack: false
    .vgpr_count:     0
    .vgpr_spill_count: 0
    .wavefront_size: 32
  - .args:
      - .offset:         0
        .size:           112
        .value_kind:     by_value
    .group_segment_fixed_size: 0
    .kernarg_segment_align: 8
    .kernarg_segment_size: 112
    .language:       OpenCL C
    .language_version:
      - 2
      - 0
    .max_flat_workgroup_size: 256
    .name:           _ZN7rocprim17ROCPRIM_400000_NS6detail17trampoline_kernelINS0_14default_configENS1_27scan_by_key_config_selectorIssEEZZNS1_16scan_by_key_implILNS1_25lookback_scan_determinismE0ELb0ES3_N6thrust23THRUST_200600_302600_NS6detail15normal_iteratorINS9_10device_ptrIsEEEESE_SE_sNS9_4plusIvEENS9_8equal_toIsEEsEE10hipError_tPvRmT2_T3_T4_T5_mT6_T7_P12ihipStream_tbENKUlT_T0_E_clISt17integral_constantIbLb0EESY_IbLb1EEEEDaSU_SV_EUlSU_E_NS1_11comp_targetILNS1_3genE4ELNS1_11target_archE910ELNS1_3gpuE8ELNS1_3repE0EEENS1_30default_config_static_selectorELNS0_4arch9wavefront6targetE0EEEvT1_
    .private_segment_fixed_size: 0
    .sgpr_count:     0
    .sgpr_spill_count: 0
    .symbol:         _ZN7rocprim17ROCPRIM_400000_NS6detail17trampoline_kernelINS0_14default_configENS1_27scan_by_key_config_selectorIssEEZZNS1_16scan_by_key_implILNS1_25lookback_scan_determinismE0ELb0ES3_N6thrust23THRUST_200600_302600_NS6detail15normal_iteratorINS9_10device_ptrIsEEEESE_SE_sNS9_4plusIvEENS9_8equal_toIsEEsEE10hipError_tPvRmT2_T3_T4_T5_mT6_T7_P12ihipStream_tbENKUlT_T0_E_clISt17integral_constantIbLb0EESY_IbLb1EEEEDaSU_SV_EUlSU_E_NS1_11comp_targetILNS1_3genE4ELNS1_11target_archE910ELNS1_3gpuE8ELNS1_3repE0EEENS1_30default_config_static_selectorELNS0_4arch9wavefront6targetE0EEEvT1_.kd
    .uniform_work_group_size: 1
    .uses_dynamic_stack: false
    .vgpr_count:     0
    .vgpr_spill_count: 0
    .wavefront_size: 32
  - .args:
      - .offset:         0
        .size:           112
        .value_kind:     by_value
    .group_segment_fixed_size: 0
    .kernarg_segment_align: 8
    .kernarg_segment_size: 112
    .language:       OpenCL C
    .language_version:
      - 2
      - 0
    .max_flat_workgroup_size: 256
    .name:           _ZN7rocprim17ROCPRIM_400000_NS6detail17trampoline_kernelINS0_14default_configENS1_27scan_by_key_config_selectorIssEEZZNS1_16scan_by_key_implILNS1_25lookback_scan_determinismE0ELb0ES3_N6thrust23THRUST_200600_302600_NS6detail15normal_iteratorINS9_10device_ptrIsEEEESE_SE_sNS9_4plusIvEENS9_8equal_toIsEEsEE10hipError_tPvRmT2_T3_T4_T5_mT6_T7_P12ihipStream_tbENKUlT_T0_E_clISt17integral_constantIbLb0EESY_IbLb1EEEEDaSU_SV_EUlSU_E_NS1_11comp_targetILNS1_3genE3ELNS1_11target_archE908ELNS1_3gpuE7ELNS1_3repE0EEENS1_30default_config_static_selectorELNS0_4arch9wavefront6targetE0EEEvT1_
    .private_segment_fixed_size: 0
    .sgpr_count:     0
    .sgpr_spill_count: 0
    .symbol:         _ZN7rocprim17ROCPRIM_400000_NS6detail17trampoline_kernelINS0_14default_configENS1_27scan_by_key_config_selectorIssEEZZNS1_16scan_by_key_implILNS1_25lookback_scan_determinismE0ELb0ES3_N6thrust23THRUST_200600_302600_NS6detail15normal_iteratorINS9_10device_ptrIsEEEESE_SE_sNS9_4plusIvEENS9_8equal_toIsEEsEE10hipError_tPvRmT2_T3_T4_T5_mT6_T7_P12ihipStream_tbENKUlT_T0_E_clISt17integral_constantIbLb0EESY_IbLb1EEEEDaSU_SV_EUlSU_E_NS1_11comp_targetILNS1_3genE3ELNS1_11target_archE908ELNS1_3gpuE7ELNS1_3repE0EEENS1_30default_config_static_selectorELNS0_4arch9wavefront6targetE0EEEvT1_.kd
    .uniform_work_group_size: 1
    .uses_dynamic_stack: false
    .vgpr_count:     0
    .vgpr_spill_count: 0
    .wavefront_size: 32
  - .args:
      - .offset:         0
        .size:           112
        .value_kind:     by_value
    .group_segment_fixed_size: 0
    .kernarg_segment_align: 8
    .kernarg_segment_size: 112
    .language:       OpenCL C
    .language_version:
      - 2
      - 0
    .max_flat_workgroup_size: 64
    .name:           _ZN7rocprim17ROCPRIM_400000_NS6detail17trampoline_kernelINS0_14default_configENS1_27scan_by_key_config_selectorIssEEZZNS1_16scan_by_key_implILNS1_25lookback_scan_determinismE0ELb0ES3_N6thrust23THRUST_200600_302600_NS6detail15normal_iteratorINS9_10device_ptrIsEEEESE_SE_sNS9_4plusIvEENS9_8equal_toIsEEsEE10hipError_tPvRmT2_T3_T4_T5_mT6_T7_P12ihipStream_tbENKUlT_T0_E_clISt17integral_constantIbLb0EESY_IbLb1EEEEDaSU_SV_EUlSU_E_NS1_11comp_targetILNS1_3genE2ELNS1_11target_archE906ELNS1_3gpuE6ELNS1_3repE0EEENS1_30default_config_static_selectorELNS0_4arch9wavefront6targetE0EEEvT1_
    .private_segment_fixed_size: 0
    .sgpr_count:     0
    .sgpr_spill_count: 0
    .symbol:         _ZN7rocprim17ROCPRIM_400000_NS6detail17trampoline_kernelINS0_14default_configENS1_27scan_by_key_config_selectorIssEEZZNS1_16scan_by_key_implILNS1_25lookback_scan_determinismE0ELb0ES3_N6thrust23THRUST_200600_302600_NS6detail15normal_iteratorINS9_10device_ptrIsEEEESE_SE_sNS9_4plusIvEENS9_8equal_toIsEEsEE10hipError_tPvRmT2_T3_T4_T5_mT6_T7_P12ihipStream_tbENKUlT_T0_E_clISt17integral_constantIbLb0EESY_IbLb1EEEEDaSU_SV_EUlSU_E_NS1_11comp_targetILNS1_3genE2ELNS1_11target_archE906ELNS1_3gpuE6ELNS1_3repE0EEENS1_30default_config_static_selectorELNS0_4arch9wavefront6targetE0EEEvT1_.kd
    .uniform_work_group_size: 1
    .uses_dynamic_stack: false
    .vgpr_count:     0
    .vgpr_spill_count: 0
    .wavefront_size: 32
  - .args:
      - .offset:         0
        .size:           112
        .value_kind:     by_value
    .group_segment_fixed_size: 0
    .kernarg_segment_align: 8
    .kernarg_segment_size: 112
    .language:       OpenCL C
    .language_version:
      - 2
      - 0
    .max_flat_workgroup_size: 256
    .name:           _ZN7rocprim17ROCPRIM_400000_NS6detail17trampoline_kernelINS0_14default_configENS1_27scan_by_key_config_selectorIssEEZZNS1_16scan_by_key_implILNS1_25lookback_scan_determinismE0ELb0ES3_N6thrust23THRUST_200600_302600_NS6detail15normal_iteratorINS9_10device_ptrIsEEEESE_SE_sNS9_4plusIvEENS9_8equal_toIsEEsEE10hipError_tPvRmT2_T3_T4_T5_mT6_T7_P12ihipStream_tbENKUlT_T0_E_clISt17integral_constantIbLb0EESY_IbLb1EEEEDaSU_SV_EUlSU_E_NS1_11comp_targetILNS1_3genE10ELNS1_11target_archE1200ELNS1_3gpuE4ELNS1_3repE0EEENS1_30default_config_static_selectorELNS0_4arch9wavefront6targetE0EEEvT1_
    .private_segment_fixed_size: 0
    .sgpr_count:     0
    .sgpr_spill_count: 0
    .symbol:         _ZN7rocprim17ROCPRIM_400000_NS6detail17trampoline_kernelINS0_14default_configENS1_27scan_by_key_config_selectorIssEEZZNS1_16scan_by_key_implILNS1_25lookback_scan_determinismE0ELb0ES3_N6thrust23THRUST_200600_302600_NS6detail15normal_iteratorINS9_10device_ptrIsEEEESE_SE_sNS9_4plusIvEENS9_8equal_toIsEEsEE10hipError_tPvRmT2_T3_T4_T5_mT6_T7_P12ihipStream_tbENKUlT_T0_E_clISt17integral_constantIbLb0EESY_IbLb1EEEEDaSU_SV_EUlSU_E_NS1_11comp_targetILNS1_3genE10ELNS1_11target_archE1200ELNS1_3gpuE4ELNS1_3repE0EEENS1_30default_config_static_selectorELNS0_4arch9wavefront6targetE0EEEvT1_.kd
    .uniform_work_group_size: 1
    .uses_dynamic_stack: false
    .vgpr_count:     0
    .vgpr_spill_count: 0
    .wavefront_size: 32
  - .args:
      - .offset:         0
        .size:           112
        .value_kind:     by_value
    .group_segment_fixed_size: 0
    .kernarg_segment_align: 8
    .kernarg_segment_size: 112
    .language:       OpenCL C
    .language_version:
      - 2
      - 0
    .max_flat_workgroup_size: 256
    .name:           _ZN7rocprim17ROCPRIM_400000_NS6detail17trampoline_kernelINS0_14default_configENS1_27scan_by_key_config_selectorIssEEZZNS1_16scan_by_key_implILNS1_25lookback_scan_determinismE0ELb0ES3_N6thrust23THRUST_200600_302600_NS6detail15normal_iteratorINS9_10device_ptrIsEEEESE_SE_sNS9_4plusIvEENS9_8equal_toIsEEsEE10hipError_tPvRmT2_T3_T4_T5_mT6_T7_P12ihipStream_tbENKUlT_T0_E_clISt17integral_constantIbLb0EESY_IbLb1EEEEDaSU_SV_EUlSU_E_NS1_11comp_targetILNS1_3genE9ELNS1_11target_archE1100ELNS1_3gpuE3ELNS1_3repE0EEENS1_30default_config_static_selectorELNS0_4arch9wavefront6targetE0EEEvT1_
    .private_segment_fixed_size: 0
    .sgpr_count:     0
    .sgpr_spill_count: 0
    .symbol:         _ZN7rocprim17ROCPRIM_400000_NS6detail17trampoline_kernelINS0_14default_configENS1_27scan_by_key_config_selectorIssEEZZNS1_16scan_by_key_implILNS1_25lookback_scan_determinismE0ELb0ES3_N6thrust23THRUST_200600_302600_NS6detail15normal_iteratorINS9_10device_ptrIsEEEESE_SE_sNS9_4plusIvEENS9_8equal_toIsEEsEE10hipError_tPvRmT2_T3_T4_T5_mT6_T7_P12ihipStream_tbENKUlT_T0_E_clISt17integral_constantIbLb0EESY_IbLb1EEEEDaSU_SV_EUlSU_E_NS1_11comp_targetILNS1_3genE9ELNS1_11target_archE1100ELNS1_3gpuE3ELNS1_3repE0EEENS1_30default_config_static_selectorELNS0_4arch9wavefront6targetE0EEEvT1_.kd
    .uniform_work_group_size: 1
    .uses_dynamic_stack: false
    .vgpr_count:     0
    .vgpr_spill_count: 0
    .wavefront_size: 32
  - .args:
      - .offset:         0
        .size:           112
        .value_kind:     by_value
    .group_segment_fixed_size: 0
    .kernarg_segment_align: 8
    .kernarg_segment_size: 112
    .language:       OpenCL C
    .language_version:
      - 2
      - 0
    .max_flat_workgroup_size: 64
    .name:           _ZN7rocprim17ROCPRIM_400000_NS6detail17trampoline_kernelINS0_14default_configENS1_27scan_by_key_config_selectorIssEEZZNS1_16scan_by_key_implILNS1_25lookback_scan_determinismE0ELb0ES3_N6thrust23THRUST_200600_302600_NS6detail15normal_iteratorINS9_10device_ptrIsEEEESE_SE_sNS9_4plusIvEENS9_8equal_toIsEEsEE10hipError_tPvRmT2_T3_T4_T5_mT6_T7_P12ihipStream_tbENKUlT_T0_E_clISt17integral_constantIbLb0EESY_IbLb1EEEEDaSU_SV_EUlSU_E_NS1_11comp_targetILNS1_3genE8ELNS1_11target_archE1030ELNS1_3gpuE2ELNS1_3repE0EEENS1_30default_config_static_selectorELNS0_4arch9wavefront6targetE0EEEvT1_
    .private_segment_fixed_size: 0
    .sgpr_count:     0
    .sgpr_spill_count: 0
    .symbol:         _ZN7rocprim17ROCPRIM_400000_NS6detail17trampoline_kernelINS0_14default_configENS1_27scan_by_key_config_selectorIssEEZZNS1_16scan_by_key_implILNS1_25lookback_scan_determinismE0ELb0ES3_N6thrust23THRUST_200600_302600_NS6detail15normal_iteratorINS9_10device_ptrIsEEEESE_SE_sNS9_4plusIvEENS9_8equal_toIsEEsEE10hipError_tPvRmT2_T3_T4_T5_mT6_T7_P12ihipStream_tbENKUlT_T0_E_clISt17integral_constantIbLb0EESY_IbLb1EEEEDaSU_SV_EUlSU_E_NS1_11comp_targetILNS1_3genE8ELNS1_11target_archE1030ELNS1_3gpuE2ELNS1_3repE0EEENS1_30default_config_static_selectorELNS0_4arch9wavefront6targetE0EEEvT1_.kd
    .uniform_work_group_size: 1
    .uses_dynamic_stack: false
    .vgpr_count:     0
    .vgpr_spill_count: 0
    .wavefront_size: 32
  - .args:
      - .offset:         0
        .size:           136
        .value_kind:     by_value
    .group_segment_fixed_size: 32768
    .kernarg_segment_align: 8
    .kernarg_segment_size: 136
    .language:       OpenCL C
    .language_version:
      - 2
      - 0
    .max_flat_workgroup_size: 256
    .name:           _ZN7rocprim17ROCPRIM_400000_NS6detail17trampoline_kernelINS0_14default_configENS1_27scan_by_key_config_selectorIxxEEZZNS1_16scan_by_key_implILNS1_25lookback_scan_determinismE0ELb1ES3_N6thrust23THRUST_200600_302600_NS6detail15normal_iteratorINS9_10device_ptrIxEEEESE_SE_xNS9_4plusIvEENS9_8equal_toIvEExEE10hipError_tPvRmT2_T3_T4_T5_mT6_T7_P12ihipStream_tbENKUlT_T0_E_clISt17integral_constantIbLb0EESZ_EEDaSU_SV_EUlSU_E_NS1_11comp_targetILNS1_3genE0ELNS1_11target_archE4294967295ELNS1_3gpuE0ELNS1_3repE0EEENS1_30default_config_static_selectorELNS0_4arch9wavefront6targetE0EEEvT1_
    .private_segment_fixed_size: 0
    .sgpr_count:     59
    .sgpr_spill_count: 0
    .symbol:         _ZN7rocprim17ROCPRIM_400000_NS6detail17trampoline_kernelINS0_14default_configENS1_27scan_by_key_config_selectorIxxEEZZNS1_16scan_by_key_implILNS1_25lookback_scan_determinismE0ELb1ES3_N6thrust23THRUST_200600_302600_NS6detail15normal_iteratorINS9_10device_ptrIxEEEESE_SE_xNS9_4plusIvEENS9_8equal_toIvEExEE10hipError_tPvRmT2_T3_T4_T5_mT6_T7_P12ihipStream_tbENKUlT_T0_E_clISt17integral_constantIbLb0EESZ_EEDaSU_SV_EUlSU_E_NS1_11comp_targetILNS1_3genE0ELNS1_11target_archE4294967295ELNS1_3gpuE0ELNS1_3repE0EEENS1_30default_config_static_selectorELNS0_4arch9wavefront6targetE0EEEvT1_.kd
    .uniform_work_group_size: 1
    .uses_dynamic_stack: false
    .vgpr_count:     113
    .vgpr_spill_count: 0
    .wavefront_size: 32
  - .args:
      - .offset:         0
        .size:           136
        .value_kind:     by_value
    .group_segment_fixed_size: 0
    .kernarg_segment_align: 8
    .kernarg_segment_size: 136
    .language:       OpenCL C
    .language_version:
      - 2
      - 0
    .max_flat_workgroup_size: 256
    .name:           _ZN7rocprim17ROCPRIM_400000_NS6detail17trampoline_kernelINS0_14default_configENS1_27scan_by_key_config_selectorIxxEEZZNS1_16scan_by_key_implILNS1_25lookback_scan_determinismE0ELb1ES3_N6thrust23THRUST_200600_302600_NS6detail15normal_iteratorINS9_10device_ptrIxEEEESE_SE_xNS9_4plusIvEENS9_8equal_toIvEExEE10hipError_tPvRmT2_T3_T4_T5_mT6_T7_P12ihipStream_tbENKUlT_T0_E_clISt17integral_constantIbLb0EESZ_EEDaSU_SV_EUlSU_E_NS1_11comp_targetILNS1_3genE10ELNS1_11target_archE1201ELNS1_3gpuE5ELNS1_3repE0EEENS1_30default_config_static_selectorELNS0_4arch9wavefront6targetE0EEEvT1_
    .private_segment_fixed_size: 0
    .sgpr_count:     0
    .sgpr_spill_count: 0
    .symbol:         _ZN7rocprim17ROCPRIM_400000_NS6detail17trampoline_kernelINS0_14default_configENS1_27scan_by_key_config_selectorIxxEEZZNS1_16scan_by_key_implILNS1_25lookback_scan_determinismE0ELb1ES3_N6thrust23THRUST_200600_302600_NS6detail15normal_iteratorINS9_10device_ptrIxEEEESE_SE_xNS9_4plusIvEENS9_8equal_toIvEExEE10hipError_tPvRmT2_T3_T4_T5_mT6_T7_P12ihipStream_tbENKUlT_T0_E_clISt17integral_constantIbLb0EESZ_EEDaSU_SV_EUlSU_E_NS1_11comp_targetILNS1_3genE10ELNS1_11target_archE1201ELNS1_3gpuE5ELNS1_3repE0EEENS1_30default_config_static_selectorELNS0_4arch9wavefront6targetE0EEEvT1_.kd
    .uniform_work_group_size: 1
    .uses_dynamic_stack: false
    .vgpr_count:     0
    .vgpr_spill_count: 0
    .wavefront_size: 32
  - .args:
      - .offset:         0
        .size:           136
        .value_kind:     by_value
    .group_segment_fixed_size: 0
    .kernarg_segment_align: 8
    .kernarg_segment_size: 136
    .language:       OpenCL C
    .language_version:
      - 2
      - 0
    .max_flat_workgroup_size: 256
    .name:           _ZN7rocprim17ROCPRIM_400000_NS6detail17trampoline_kernelINS0_14default_configENS1_27scan_by_key_config_selectorIxxEEZZNS1_16scan_by_key_implILNS1_25lookback_scan_determinismE0ELb1ES3_N6thrust23THRUST_200600_302600_NS6detail15normal_iteratorINS9_10device_ptrIxEEEESE_SE_xNS9_4plusIvEENS9_8equal_toIvEExEE10hipError_tPvRmT2_T3_T4_T5_mT6_T7_P12ihipStream_tbENKUlT_T0_E_clISt17integral_constantIbLb0EESZ_EEDaSU_SV_EUlSU_E_NS1_11comp_targetILNS1_3genE5ELNS1_11target_archE942ELNS1_3gpuE9ELNS1_3repE0EEENS1_30default_config_static_selectorELNS0_4arch9wavefront6targetE0EEEvT1_
    .private_segment_fixed_size: 0
    .sgpr_count:     0
    .sgpr_spill_count: 0
    .symbol:         _ZN7rocprim17ROCPRIM_400000_NS6detail17trampoline_kernelINS0_14default_configENS1_27scan_by_key_config_selectorIxxEEZZNS1_16scan_by_key_implILNS1_25lookback_scan_determinismE0ELb1ES3_N6thrust23THRUST_200600_302600_NS6detail15normal_iteratorINS9_10device_ptrIxEEEESE_SE_xNS9_4plusIvEENS9_8equal_toIvEExEE10hipError_tPvRmT2_T3_T4_T5_mT6_T7_P12ihipStream_tbENKUlT_T0_E_clISt17integral_constantIbLb0EESZ_EEDaSU_SV_EUlSU_E_NS1_11comp_targetILNS1_3genE5ELNS1_11target_archE942ELNS1_3gpuE9ELNS1_3repE0EEENS1_30default_config_static_selectorELNS0_4arch9wavefront6targetE0EEEvT1_.kd
    .uniform_work_group_size: 1
    .uses_dynamic_stack: false
    .vgpr_count:     0
    .vgpr_spill_count: 0
    .wavefront_size: 32
  - .args:
      - .offset:         0
        .size:           136
        .value_kind:     by_value
    .group_segment_fixed_size: 0
    .kernarg_segment_align: 8
    .kernarg_segment_size: 136
    .language:       OpenCL C
    .language_version:
      - 2
      - 0
    .max_flat_workgroup_size: 64
    .name:           _ZN7rocprim17ROCPRIM_400000_NS6detail17trampoline_kernelINS0_14default_configENS1_27scan_by_key_config_selectorIxxEEZZNS1_16scan_by_key_implILNS1_25lookback_scan_determinismE0ELb1ES3_N6thrust23THRUST_200600_302600_NS6detail15normal_iteratorINS9_10device_ptrIxEEEESE_SE_xNS9_4plusIvEENS9_8equal_toIvEExEE10hipError_tPvRmT2_T3_T4_T5_mT6_T7_P12ihipStream_tbENKUlT_T0_E_clISt17integral_constantIbLb0EESZ_EEDaSU_SV_EUlSU_E_NS1_11comp_targetILNS1_3genE4ELNS1_11target_archE910ELNS1_3gpuE8ELNS1_3repE0EEENS1_30default_config_static_selectorELNS0_4arch9wavefront6targetE0EEEvT1_
    .private_segment_fixed_size: 0
    .sgpr_count:     0
    .sgpr_spill_count: 0
    .symbol:         _ZN7rocprim17ROCPRIM_400000_NS6detail17trampoline_kernelINS0_14default_configENS1_27scan_by_key_config_selectorIxxEEZZNS1_16scan_by_key_implILNS1_25lookback_scan_determinismE0ELb1ES3_N6thrust23THRUST_200600_302600_NS6detail15normal_iteratorINS9_10device_ptrIxEEEESE_SE_xNS9_4plusIvEENS9_8equal_toIvEExEE10hipError_tPvRmT2_T3_T4_T5_mT6_T7_P12ihipStream_tbENKUlT_T0_E_clISt17integral_constantIbLb0EESZ_EEDaSU_SV_EUlSU_E_NS1_11comp_targetILNS1_3genE4ELNS1_11target_archE910ELNS1_3gpuE8ELNS1_3repE0EEENS1_30default_config_static_selectorELNS0_4arch9wavefront6targetE0EEEvT1_.kd
    .uniform_work_group_size: 1
    .uses_dynamic_stack: false
    .vgpr_count:     0
    .vgpr_spill_count: 0
    .wavefront_size: 32
  - .args:
      - .offset:         0
        .size:           136
        .value_kind:     by_value
    .group_segment_fixed_size: 0
    .kernarg_segment_align: 8
    .kernarg_segment_size: 136
    .language:       OpenCL C
    .language_version:
      - 2
      - 0
    .max_flat_workgroup_size: 256
    .name:           _ZN7rocprim17ROCPRIM_400000_NS6detail17trampoline_kernelINS0_14default_configENS1_27scan_by_key_config_selectorIxxEEZZNS1_16scan_by_key_implILNS1_25lookback_scan_determinismE0ELb1ES3_N6thrust23THRUST_200600_302600_NS6detail15normal_iteratorINS9_10device_ptrIxEEEESE_SE_xNS9_4plusIvEENS9_8equal_toIvEExEE10hipError_tPvRmT2_T3_T4_T5_mT6_T7_P12ihipStream_tbENKUlT_T0_E_clISt17integral_constantIbLb0EESZ_EEDaSU_SV_EUlSU_E_NS1_11comp_targetILNS1_3genE3ELNS1_11target_archE908ELNS1_3gpuE7ELNS1_3repE0EEENS1_30default_config_static_selectorELNS0_4arch9wavefront6targetE0EEEvT1_
    .private_segment_fixed_size: 0
    .sgpr_count:     0
    .sgpr_spill_count: 0
    .symbol:         _ZN7rocprim17ROCPRIM_400000_NS6detail17trampoline_kernelINS0_14default_configENS1_27scan_by_key_config_selectorIxxEEZZNS1_16scan_by_key_implILNS1_25lookback_scan_determinismE0ELb1ES3_N6thrust23THRUST_200600_302600_NS6detail15normal_iteratorINS9_10device_ptrIxEEEESE_SE_xNS9_4plusIvEENS9_8equal_toIvEExEE10hipError_tPvRmT2_T3_T4_T5_mT6_T7_P12ihipStream_tbENKUlT_T0_E_clISt17integral_constantIbLb0EESZ_EEDaSU_SV_EUlSU_E_NS1_11comp_targetILNS1_3genE3ELNS1_11target_archE908ELNS1_3gpuE7ELNS1_3repE0EEENS1_30default_config_static_selectorELNS0_4arch9wavefront6targetE0EEEvT1_.kd
    .uniform_work_group_size: 1
    .uses_dynamic_stack: false
    .vgpr_count:     0
    .vgpr_spill_count: 0
    .wavefront_size: 32
  - .args:
      - .offset:         0
        .size:           136
        .value_kind:     by_value
    .group_segment_fixed_size: 0
    .kernarg_segment_align: 8
    .kernarg_segment_size: 136
    .language:       OpenCL C
    .language_version:
      - 2
      - 0
    .max_flat_workgroup_size: 256
    .name:           _ZN7rocprim17ROCPRIM_400000_NS6detail17trampoline_kernelINS0_14default_configENS1_27scan_by_key_config_selectorIxxEEZZNS1_16scan_by_key_implILNS1_25lookback_scan_determinismE0ELb1ES3_N6thrust23THRUST_200600_302600_NS6detail15normal_iteratorINS9_10device_ptrIxEEEESE_SE_xNS9_4plusIvEENS9_8equal_toIvEExEE10hipError_tPvRmT2_T3_T4_T5_mT6_T7_P12ihipStream_tbENKUlT_T0_E_clISt17integral_constantIbLb0EESZ_EEDaSU_SV_EUlSU_E_NS1_11comp_targetILNS1_3genE2ELNS1_11target_archE906ELNS1_3gpuE6ELNS1_3repE0EEENS1_30default_config_static_selectorELNS0_4arch9wavefront6targetE0EEEvT1_
    .private_segment_fixed_size: 0
    .sgpr_count:     0
    .sgpr_spill_count: 0
    .symbol:         _ZN7rocprim17ROCPRIM_400000_NS6detail17trampoline_kernelINS0_14default_configENS1_27scan_by_key_config_selectorIxxEEZZNS1_16scan_by_key_implILNS1_25lookback_scan_determinismE0ELb1ES3_N6thrust23THRUST_200600_302600_NS6detail15normal_iteratorINS9_10device_ptrIxEEEESE_SE_xNS9_4plusIvEENS9_8equal_toIvEExEE10hipError_tPvRmT2_T3_T4_T5_mT6_T7_P12ihipStream_tbENKUlT_T0_E_clISt17integral_constantIbLb0EESZ_EEDaSU_SV_EUlSU_E_NS1_11comp_targetILNS1_3genE2ELNS1_11target_archE906ELNS1_3gpuE6ELNS1_3repE0EEENS1_30default_config_static_selectorELNS0_4arch9wavefront6targetE0EEEvT1_.kd
    .uniform_work_group_size: 1
    .uses_dynamic_stack: false
    .vgpr_count:     0
    .vgpr_spill_count: 0
    .wavefront_size: 32
  - .args:
      - .offset:         0
        .size:           136
        .value_kind:     by_value
    .group_segment_fixed_size: 0
    .kernarg_segment_align: 8
    .kernarg_segment_size: 136
    .language:       OpenCL C
    .language_version:
      - 2
      - 0
    .max_flat_workgroup_size: 256
    .name:           _ZN7rocprim17ROCPRIM_400000_NS6detail17trampoline_kernelINS0_14default_configENS1_27scan_by_key_config_selectorIxxEEZZNS1_16scan_by_key_implILNS1_25lookback_scan_determinismE0ELb1ES3_N6thrust23THRUST_200600_302600_NS6detail15normal_iteratorINS9_10device_ptrIxEEEESE_SE_xNS9_4plusIvEENS9_8equal_toIvEExEE10hipError_tPvRmT2_T3_T4_T5_mT6_T7_P12ihipStream_tbENKUlT_T0_E_clISt17integral_constantIbLb0EESZ_EEDaSU_SV_EUlSU_E_NS1_11comp_targetILNS1_3genE10ELNS1_11target_archE1200ELNS1_3gpuE4ELNS1_3repE0EEENS1_30default_config_static_selectorELNS0_4arch9wavefront6targetE0EEEvT1_
    .private_segment_fixed_size: 0
    .sgpr_count:     0
    .sgpr_spill_count: 0
    .symbol:         _ZN7rocprim17ROCPRIM_400000_NS6detail17trampoline_kernelINS0_14default_configENS1_27scan_by_key_config_selectorIxxEEZZNS1_16scan_by_key_implILNS1_25lookback_scan_determinismE0ELb1ES3_N6thrust23THRUST_200600_302600_NS6detail15normal_iteratorINS9_10device_ptrIxEEEESE_SE_xNS9_4plusIvEENS9_8equal_toIvEExEE10hipError_tPvRmT2_T3_T4_T5_mT6_T7_P12ihipStream_tbENKUlT_T0_E_clISt17integral_constantIbLb0EESZ_EEDaSU_SV_EUlSU_E_NS1_11comp_targetILNS1_3genE10ELNS1_11target_archE1200ELNS1_3gpuE4ELNS1_3repE0EEENS1_30default_config_static_selectorELNS0_4arch9wavefront6targetE0EEEvT1_.kd
    .uniform_work_group_size: 1
    .uses_dynamic_stack: false
    .vgpr_count:     0
    .vgpr_spill_count: 0
    .wavefront_size: 32
  - .args:
      - .offset:         0
        .size:           136
        .value_kind:     by_value
    .group_segment_fixed_size: 0
    .kernarg_segment_align: 8
    .kernarg_segment_size: 136
    .language:       OpenCL C
    .language_version:
      - 2
      - 0
    .max_flat_workgroup_size: 256
    .name:           _ZN7rocprim17ROCPRIM_400000_NS6detail17trampoline_kernelINS0_14default_configENS1_27scan_by_key_config_selectorIxxEEZZNS1_16scan_by_key_implILNS1_25lookback_scan_determinismE0ELb1ES3_N6thrust23THRUST_200600_302600_NS6detail15normal_iteratorINS9_10device_ptrIxEEEESE_SE_xNS9_4plusIvEENS9_8equal_toIvEExEE10hipError_tPvRmT2_T3_T4_T5_mT6_T7_P12ihipStream_tbENKUlT_T0_E_clISt17integral_constantIbLb0EESZ_EEDaSU_SV_EUlSU_E_NS1_11comp_targetILNS1_3genE9ELNS1_11target_archE1100ELNS1_3gpuE3ELNS1_3repE0EEENS1_30default_config_static_selectorELNS0_4arch9wavefront6targetE0EEEvT1_
    .private_segment_fixed_size: 0
    .sgpr_count:     0
    .sgpr_spill_count: 0
    .symbol:         _ZN7rocprim17ROCPRIM_400000_NS6detail17trampoline_kernelINS0_14default_configENS1_27scan_by_key_config_selectorIxxEEZZNS1_16scan_by_key_implILNS1_25lookback_scan_determinismE0ELb1ES3_N6thrust23THRUST_200600_302600_NS6detail15normal_iteratorINS9_10device_ptrIxEEEESE_SE_xNS9_4plusIvEENS9_8equal_toIvEExEE10hipError_tPvRmT2_T3_T4_T5_mT6_T7_P12ihipStream_tbENKUlT_T0_E_clISt17integral_constantIbLb0EESZ_EEDaSU_SV_EUlSU_E_NS1_11comp_targetILNS1_3genE9ELNS1_11target_archE1100ELNS1_3gpuE3ELNS1_3repE0EEENS1_30default_config_static_selectorELNS0_4arch9wavefront6targetE0EEEvT1_.kd
    .uniform_work_group_size: 1
    .uses_dynamic_stack: false
    .vgpr_count:     0
    .vgpr_spill_count: 0
    .wavefront_size: 32
  - .args:
      - .offset:         0
        .size:           136
        .value_kind:     by_value
    .group_segment_fixed_size: 0
    .kernarg_segment_align: 8
    .kernarg_segment_size: 136
    .language:       OpenCL C
    .language_version:
      - 2
      - 0
    .max_flat_workgroup_size: 256
    .name:           _ZN7rocprim17ROCPRIM_400000_NS6detail17trampoline_kernelINS0_14default_configENS1_27scan_by_key_config_selectorIxxEEZZNS1_16scan_by_key_implILNS1_25lookback_scan_determinismE0ELb1ES3_N6thrust23THRUST_200600_302600_NS6detail15normal_iteratorINS9_10device_ptrIxEEEESE_SE_xNS9_4plusIvEENS9_8equal_toIvEExEE10hipError_tPvRmT2_T3_T4_T5_mT6_T7_P12ihipStream_tbENKUlT_T0_E_clISt17integral_constantIbLb0EESZ_EEDaSU_SV_EUlSU_E_NS1_11comp_targetILNS1_3genE8ELNS1_11target_archE1030ELNS1_3gpuE2ELNS1_3repE0EEENS1_30default_config_static_selectorELNS0_4arch9wavefront6targetE0EEEvT1_
    .private_segment_fixed_size: 0
    .sgpr_count:     0
    .sgpr_spill_count: 0
    .symbol:         _ZN7rocprim17ROCPRIM_400000_NS6detail17trampoline_kernelINS0_14default_configENS1_27scan_by_key_config_selectorIxxEEZZNS1_16scan_by_key_implILNS1_25lookback_scan_determinismE0ELb1ES3_N6thrust23THRUST_200600_302600_NS6detail15normal_iteratorINS9_10device_ptrIxEEEESE_SE_xNS9_4plusIvEENS9_8equal_toIvEExEE10hipError_tPvRmT2_T3_T4_T5_mT6_T7_P12ihipStream_tbENKUlT_T0_E_clISt17integral_constantIbLb0EESZ_EEDaSU_SV_EUlSU_E_NS1_11comp_targetILNS1_3genE8ELNS1_11target_archE1030ELNS1_3gpuE2ELNS1_3repE0EEENS1_30default_config_static_selectorELNS0_4arch9wavefront6targetE0EEEvT1_.kd
    .uniform_work_group_size: 1
    .uses_dynamic_stack: false
    .vgpr_count:     0
    .vgpr_spill_count: 0
    .wavefront_size: 32
  - .args:
      - .offset:         0
        .size:           136
        .value_kind:     by_value
    .group_segment_fixed_size: 0
    .kernarg_segment_align: 8
    .kernarg_segment_size: 136
    .language:       OpenCL C
    .language_version:
      - 2
      - 0
    .max_flat_workgroup_size: 256
    .name:           _ZN7rocprim17ROCPRIM_400000_NS6detail17trampoline_kernelINS0_14default_configENS1_27scan_by_key_config_selectorIxxEEZZNS1_16scan_by_key_implILNS1_25lookback_scan_determinismE0ELb1ES3_N6thrust23THRUST_200600_302600_NS6detail15normal_iteratorINS9_10device_ptrIxEEEESE_SE_xNS9_4plusIvEENS9_8equal_toIvEExEE10hipError_tPvRmT2_T3_T4_T5_mT6_T7_P12ihipStream_tbENKUlT_T0_E_clISt17integral_constantIbLb1EESZ_EEDaSU_SV_EUlSU_E_NS1_11comp_targetILNS1_3genE0ELNS1_11target_archE4294967295ELNS1_3gpuE0ELNS1_3repE0EEENS1_30default_config_static_selectorELNS0_4arch9wavefront6targetE0EEEvT1_
    .private_segment_fixed_size: 0
    .sgpr_count:     0
    .sgpr_spill_count: 0
    .symbol:         _ZN7rocprim17ROCPRIM_400000_NS6detail17trampoline_kernelINS0_14default_configENS1_27scan_by_key_config_selectorIxxEEZZNS1_16scan_by_key_implILNS1_25lookback_scan_determinismE0ELb1ES3_N6thrust23THRUST_200600_302600_NS6detail15normal_iteratorINS9_10device_ptrIxEEEESE_SE_xNS9_4plusIvEENS9_8equal_toIvEExEE10hipError_tPvRmT2_T3_T4_T5_mT6_T7_P12ihipStream_tbENKUlT_T0_E_clISt17integral_constantIbLb1EESZ_EEDaSU_SV_EUlSU_E_NS1_11comp_targetILNS1_3genE0ELNS1_11target_archE4294967295ELNS1_3gpuE0ELNS1_3repE0EEENS1_30default_config_static_selectorELNS0_4arch9wavefront6targetE0EEEvT1_.kd
    .uniform_work_group_size: 1
    .uses_dynamic_stack: false
    .vgpr_count:     0
    .vgpr_spill_count: 0
    .wavefront_size: 32
  - .args:
      - .offset:         0
        .size:           136
        .value_kind:     by_value
    .group_segment_fixed_size: 0
    .kernarg_segment_align: 8
    .kernarg_segment_size: 136
    .language:       OpenCL C
    .language_version:
      - 2
      - 0
    .max_flat_workgroup_size: 256
    .name:           _ZN7rocprim17ROCPRIM_400000_NS6detail17trampoline_kernelINS0_14default_configENS1_27scan_by_key_config_selectorIxxEEZZNS1_16scan_by_key_implILNS1_25lookback_scan_determinismE0ELb1ES3_N6thrust23THRUST_200600_302600_NS6detail15normal_iteratorINS9_10device_ptrIxEEEESE_SE_xNS9_4plusIvEENS9_8equal_toIvEExEE10hipError_tPvRmT2_T3_T4_T5_mT6_T7_P12ihipStream_tbENKUlT_T0_E_clISt17integral_constantIbLb1EESZ_EEDaSU_SV_EUlSU_E_NS1_11comp_targetILNS1_3genE10ELNS1_11target_archE1201ELNS1_3gpuE5ELNS1_3repE0EEENS1_30default_config_static_selectorELNS0_4arch9wavefront6targetE0EEEvT1_
    .private_segment_fixed_size: 0
    .sgpr_count:     0
    .sgpr_spill_count: 0
    .symbol:         _ZN7rocprim17ROCPRIM_400000_NS6detail17trampoline_kernelINS0_14default_configENS1_27scan_by_key_config_selectorIxxEEZZNS1_16scan_by_key_implILNS1_25lookback_scan_determinismE0ELb1ES3_N6thrust23THRUST_200600_302600_NS6detail15normal_iteratorINS9_10device_ptrIxEEEESE_SE_xNS9_4plusIvEENS9_8equal_toIvEExEE10hipError_tPvRmT2_T3_T4_T5_mT6_T7_P12ihipStream_tbENKUlT_T0_E_clISt17integral_constantIbLb1EESZ_EEDaSU_SV_EUlSU_E_NS1_11comp_targetILNS1_3genE10ELNS1_11target_archE1201ELNS1_3gpuE5ELNS1_3repE0EEENS1_30default_config_static_selectorELNS0_4arch9wavefront6targetE0EEEvT1_.kd
    .uniform_work_group_size: 1
    .uses_dynamic_stack: false
    .vgpr_count:     0
    .vgpr_spill_count: 0
    .wavefront_size: 32
  - .args:
      - .offset:         0
        .size:           136
        .value_kind:     by_value
    .group_segment_fixed_size: 0
    .kernarg_segment_align: 8
    .kernarg_segment_size: 136
    .language:       OpenCL C
    .language_version:
      - 2
      - 0
    .max_flat_workgroup_size: 256
    .name:           _ZN7rocprim17ROCPRIM_400000_NS6detail17trampoline_kernelINS0_14default_configENS1_27scan_by_key_config_selectorIxxEEZZNS1_16scan_by_key_implILNS1_25lookback_scan_determinismE0ELb1ES3_N6thrust23THRUST_200600_302600_NS6detail15normal_iteratorINS9_10device_ptrIxEEEESE_SE_xNS9_4plusIvEENS9_8equal_toIvEExEE10hipError_tPvRmT2_T3_T4_T5_mT6_T7_P12ihipStream_tbENKUlT_T0_E_clISt17integral_constantIbLb1EESZ_EEDaSU_SV_EUlSU_E_NS1_11comp_targetILNS1_3genE5ELNS1_11target_archE942ELNS1_3gpuE9ELNS1_3repE0EEENS1_30default_config_static_selectorELNS0_4arch9wavefront6targetE0EEEvT1_
    .private_segment_fixed_size: 0
    .sgpr_count:     0
    .sgpr_spill_count: 0
    .symbol:         _ZN7rocprim17ROCPRIM_400000_NS6detail17trampoline_kernelINS0_14default_configENS1_27scan_by_key_config_selectorIxxEEZZNS1_16scan_by_key_implILNS1_25lookback_scan_determinismE0ELb1ES3_N6thrust23THRUST_200600_302600_NS6detail15normal_iteratorINS9_10device_ptrIxEEEESE_SE_xNS9_4plusIvEENS9_8equal_toIvEExEE10hipError_tPvRmT2_T3_T4_T5_mT6_T7_P12ihipStream_tbENKUlT_T0_E_clISt17integral_constantIbLb1EESZ_EEDaSU_SV_EUlSU_E_NS1_11comp_targetILNS1_3genE5ELNS1_11target_archE942ELNS1_3gpuE9ELNS1_3repE0EEENS1_30default_config_static_selectorELNS0_4arch9wavefront6targetE0EEEvT1_.kd
    .uniform_work_group_size: 1
    .uses_dynamic_stack: false
    .vgpr_count:     0
    .vgpr_spill_count: 0
    .wavefront_size: 32
  - .args:
      - .offset:         0
        .size:           136
        .value_kind:     by_value
    .group_segment_fixed_size: 0
    .kernarg_segment_align: 8
    .kernarg_segment_size: 136
    .language:       OpenCL C
    .language_version:
      - 2
      - 0
    .max_flat_workgroup_size: 64
    .name:           _ZN7rocprim17ROCPRIM_400000_NS6detail17trampoline_kernelINS0_14default_configENS1_27scan_by_key_config_selectorIxxEEZZNS1_16scan_by_key_implILNS1_25lookback_scan_determinismE0ELb1ES3_N6thrust23THRUST_200600_302600_NS6detail15normal_iteratorINS9_10device_ptrIxEEEESE_SE_xNS9_4plusIvEENS9_8equal_toIvEExEE10hipError_tPvRmT2_T3_T4_T5_mT6_T7_P12ihipStream_tbENKUlT_T0_E_clISt17integral_constantIbLb1EESZ_EEDaSU_SV_EUlSU_E_NS1_11comp_targetILNS1_3genE4ELNS1_11target_archE910ELNS1_3gpuE8ELNS1_3repE0EEENS1_30default_config_static_selectorELNS0_4arch9wavefront6targetE0EEEvT1_
    .private_segment_fixed_size: 0
    .sgpr_count:     0
    .sgpr_spill_count: 0
    .symbol:         _ZN7rocprim17ROCPRIM_400000_NS6detail17trampoline_kernelINS0_14default_configENS1_27scan_by_key_config_selectorIxxEEZZNS1_16scan_by_key_implILNS1_25lookback_scan_determinismE0ELb1ES3_N6thrust23THRUST_200600_302600_NS6detail15normal_iteratorINS9_10device_ptrIxEEEESE_SE_xNS9_4plusIvEENS9_8equal_toIvEExEE10hipError_tPvRmT2_T3_T4_T5_mT6_T7_P12ihipStream_tbENKUlT_T0_E_clISt17integral_constantIbLb1EESZ_EEDaSU_SV_EUlSU_E_NS1_11comp_targetILNS1_3genE4ELNS1_11target_archE910ELNS1_3gpuE8ELNS1_3repE0EEENS1_30default_config_static_selectorELNS0_4arch9wavefront6targetE0EEEvT1_.kd
    .uniform_work_group_size: 1
    .uses_dynamic_stack: false
    .vgpr_count:     0
    .vgpr_spill_count: 0
    .wavefront_size: 32
  - .args:
      - .offset:         0
        .size:           136
        .value_kind:     by_value
    .group_segment_fixed_size: 0
    .kernarg_segment_align: 8
    .kernarg_segment_size: 136
    .language:       OpenCL C
    .language_version:
      - 2
      - 0
    .max_flat_workgroup_size: 256
    .name:           _ZN7rocprim17ROCPRIM_400000_NS6detail17trampoline_kernelINS0_14default_configENS1_27scan_by_key_config_selectorIxxEEZZNS1_16scan_by_key_implILNS1_25lookback_scan_determinismE0ELb1ES3_N6thrust23THRUST_200600_302600_NS6detail15normal_iteratorINS9_10device_ptrIxEEEESE_SE_xNS9_4plusIvEENS9_8equal_toIvEExEE10hipError_tPvRmT2_T3_T4_T5_mT6_T7_P12ihipStream_tbENKUlT_T0_E_clISt17integral_constantIbLb1EESZ_EEDaSU_SV_EUlSU_E_NS1_11comp_targetILNS1_3genE3ELNS1_11target_archE908ELNS1_3gpuE7ELNS1_3repE0EEENS1_30default_config_static_selectorELNS0_4arch9wavefront6targetE0EEEvT1_
    .private_segment_fixed_size: 0
    .sgpr_count:     0
    .sgpr_spill_count: 0
    .symbol:         _ZN7rocprim17ROCPRIM_400000_NS6detail17trampoline_kernelINS0_14default_configENS1_27scan_by_key_config_selectorIxxEEZZNS1_16scan_by_key_implILNS1_25lookback_scan_determinismE0ELb1ES3_N6thrust23THRUST_200600_302600_NS6detail15normal_iteratorINS9_10device_ptrIxEEEESE_SE_xNS9_4plusIvEENS9_8equal_toIvEExEE10hipError_tPvRmT2_T3_T4_T5_mT6_T7_P12ihipStream_tbENKUlT_T0_E_clISt17integral_constantIbLb1EESZ_EEDaSU_SV_EUlSU_E_NS1_11comp_targetILNS1_3genE3ELNS1_11target_archE908ELNS1_3gpuE7ELNS1_3repE0EEENS1_30default_config_static_selectorELNS0_4arch9wavefront6targetE0EEEvT1_.kd
    .uniform_work_group_size: 1
    .uses_dynamic_stack: false
    .vgpr_count:     0
    .vgpr_spill_count: 0
    .wavefront_size: 32
  - .args:
      - .offset:         0
        .size:           136
        .value_kind:     by_value
    .group_segment_fixed_size: 0
    .kernarg_segment_align: 8
    .kernarg_segment_size: 136
    .language:       OpenCL C
    .language_version:
      - 2
      - 0
    .max_flat_workgroup_size: 256
    .name:           _ZN7rocprim17ROCPRIM_400000_NS6detail17trampoline_kernelINS0_14default_configENS1_27scan_by_key_config_selectorIxxEEZZNS1_16scan_by_key_implILNS1_25lookback_scan_determinismE0ELb1ES3_N6thrust23THRUST_200600_302600_NS6detail15normal_iteratorINS9_10device_ptrIxEEEESE_SE_xNS9_4plusIvEENS9_8equal_toIvEExEE10hipError_tPvRmT2_T3_T4_T5_mT6_T7_P12ihipStream_tbENKUlT_T0_E_clISt17integral_constantIbLb1EESZ_EEDaSU_SV_EUlSU_E_NS1_11comp_targetILNS1_3genE2ELNS1_11target_archE906ELNS1_3gpuE6ELNS1_3repE0EEENS1_30default_config_static_selectorELNS0_4arch9wavefront6targetE0EEEvT1_
    .private_segment_fixed_size: 0
    .sgpr_count:     0
    .sgpr_spill_count: 0
    .symbol:         _ZN7rocprim17ROCPRIM_400000_NS6detail17trampoline_kernelINS0_14default_configENS1_27scan_by_key_config_selectorIxxEEZZNS1_16scan_by_key_implILNS1_25lookback_scan_determinismE0ELb1ES3_N6thrust23THRUST_200600_302600_NS6detail15normal_iteratorINS9_10device_ptrIxEEEESE_SE_xNS9_4plusIvEENS9_8equal_toIvEExEE10hipError_tPvRmT2_T3_T4_T5_mT6_T7_P12ihipStream_tbENKUlT_T0_E_clISt17integral_constantIbLb1EESZ_EEDaSU_SV_EUlSU_E_NS1_11comp_targetILNS1_3genE2ELNS1_11target_archE906ELNS1_3gpuE6ELNS1_3repE0EEENS1_30default_config_static_selectorELNS0_4arch9wavefront6targetE0EEEvT1_.kd
    .uniform_work_group_size: 1
    .uses_dynamic_stack: false
    .vgpr_count:     0
    .vgpr_spill_count: 0
    .wavefront_size: 32
  - .args:
      - .offset:         0
        .size:           136
        .value_kind:     by_value
    .group_segment_fixed_size: 0
    .kernarg_segment_align: 8
    .kernarg_segment_size: 136
    .language:       OpenCL C
    .language_version:
      - 2
      - 0
    .max_flat_workgroup_size: 256
    .name:           _ZN7rocprim17ROCPRIM_400000_NS6detail17trampoline_kernelINS0_14default_configENS1_27scan_by_key_config_selectorIxxEEZZNS1_16scan_by_key_implILNS1_25lookback_scan_determinismE0ELb1ES3_N6thrust23THRUST_200600_302600_NS6detail15normal_iteratorINS9_10device_ptrIxEEEESE_SE_xNS9_4plusIvEENS9_8equal_toIvEExEE10hipError_tPvRmT2_T3_T4_T5_mT6_T7_P12ihipStream_tbENKUlT_T0_E_clISt17integral_constantIbLb1EESZ_EEDaSU_SV_EUlSU_E_NS1_11comp_targetILNS1_3genE10ELNS1_11target_archE1200ELNS1_3gpuE4ELNS1_3repE0EEENS1_30default_config_static_selectorELNS0_4arch9wavefront6targetE0EEEvT1_
    .private_segment_fixed_size: 0
    .sgpr_count:     0
    .sgpr_spill_count: 0
    .symbol:         _ZN7rocprim17ROCPRIM_400000_NS6detail17trampoline_kernelINS0_14default_configENS1_27scan_by_key_config_selectorIxxEEZZNS1_16scan_by_key_implILNS1_25lookback_scan_determinismE0ELb1ES3_N6thrust23THRUST_200600_302600_NS6detail15normal_iteratorINS9_10device_ptrIxEEEESE_SE_xNS9_4plusIvEENS9_8equal_toIvEExEE10hipError_tPvRmT2_T3_T4_T5_mT6_T7_P12ihipStream_tbENKUlT_T0_E_clISt17integral_constantIbLb1EESZ_EEDaSU_SV_EUlSU_E_NS1_11comp_targetILNS1_3genE10ELNS1_11target_archE1200ELNS1_3gpuE4ELNS1_3repE0EEENS1_30default_config_static_selectorELNS0_4arch9wavefront6targetE0EEEvT1_.kd
    .uniform_work_group_size: 1
    .uses_dynamic_stack: false
    .vgpr_count:     0
    .vgpr_spill_count: 0
    .wavefront_size: 32
  - .args:
      - .offset:         0
        .size:           136
        .value_kind:     by_value
    .group_segment_fixed_size: 0
    .kernarg_segment_align: 8
    .kernarg_segment_size: 136
    .language:       OpenCL C
    .language_version:
      - 2
      - 0
    .max_flat_workgroup_size: 256
    .name:           _ZN7rocprim17ROCPRIM_400000_NS6detail17trampoline_kernelINS0_14default_configENS1_27scan_by_key_config_selectorIxxEEZZNS1_16scan_by_key_implILNS1_25lookback_scan_determinismE0ELb1ES3_N6thrust23THRUST_200600_302600_NS6detail15normal_iteratorINS9_10device_ptrIxEEEESE_SE_xNS9_4plusIvEENS9_8equal_toIvEExEE10hipError_tPvRmT2_T3_T4_T5_mT6_T7_P12ihipStream_tbENKUlT_T0_E_clISt17integral_constantIbLb1EESZ_EEDaSU_SV_EUlSU_E_NS1_11comp_targetILNS1_3genE9ELNS1_11target_archE1100ELNS1_3gpuE3ELNS1_3repE0EEENS1_30default_config_static_selectorELNS0_4arch9wavefront6targetE0EEEvT1_
    .private_segment_fixed_size: 0
    .sgpr_count:     0
    .sgpr_spill_count: 0
    .symbol:         _ZN7rocprim17ROCPRIM_400000_NS6detail17trampoline_kernelINS0_14default_configENS1_27scan_by_key_config_selectorIxxEEZZNS1_16scan_by_key_implILNS1_25lookback_scan_determinismE0ELb1ES3_N6thrust23THRUST_200600_302600_NS6detail15normal_iteratorINS9_10device_ptrIxEEEESE_SE_xNS9_4plusIvEENS9_8equal_toIvEExEE10hipError_tPvRmT2_T3_T4_T5_mT6_T7_P12ihipStream_tbENKUlT_T0_E_clISt17integral_constantIbLb1EESZ_EEDaSU_SV_EUlSU_E_NS1_11comp_targetILNS1_3genE9ELNS1_11target_archE1100ELNS1_3gpuE3ELNS1_3repE0EEENS1_30default_config_static_selectorELNS0_4arch9wavefront6targetE0EEEvT1_.kd
    .uniform_work_group_size: 1
    .uses_dynamic_stack: false
    .vgpr_count:     0
    .vgpr_spill_count: 0
    .wavefront_size: 32
  - .args:
      - .offset:         0
        .size:           136
        .value_kind:     by_value
    .group_segment_fixed_size: 0
    .kernarg_segment_align: 8
    .kernarg_segment_size: 136
    .language:       OpenCL C
    .language_version:
      - 2
      - 0
    .max_flat_workgroup_size: 256
    .name:           _ZN7rocprim17ROCPRIM_400000_NS6detail17trampoline_kernelINS0_14default_configENS1_27scan_by_key_config_selectorIxxEEZZNS1_16scan_by_key_implILNS1_25lookback_scan_determinismE0ELb1ES3_N6thrust23THRUST_200600_302600_NS6detail15normal_iteratorINS9_10device_ptrIxEEEESE_SE_xNS9_4plusIvEENS9_8equal_toIvEExEE10hipError_tPvRmT2_T3_T4_T5_mT6_T7_P12ihipStream_tbENKUlT_T0_E_clISt17integral_constantIbLb1EESZ_EEDaSU_SV_EUlSU_E_NS1_11comp_targetILNS1_3genE8ELNS1_11target_archE1030ELNS1_3gpuE2ELNS1_3repE0EEENS1_30default_config_static_selectorELNS0_4arch9wavefront6targetE0EEEvT1_
    .private_segment_fixed_size: 0
    .sgpr_count:     0
    .sgpr_spill_count: 0
    .symbol:         _ZN7rocprim17ROCPRIM_400000_NS6detail17trampoline_kernelINS0_14default_configENS1_27scan_by_key_config_selectorIxxEEZZNS1_16scan_by_key_implILNS1_25lookback_scan_determinismE0ELb1ES3_N6thrust23THRUST_200600_302600_NS6detail15normal_iteratorINS9_10device_ptrIxEEEESE_SE_xNS9_4plusIvEENS9_8equal_toIvEExEE10hipError_tPvRmT2_T3_T4_T5_mT6_T7_P12ihipStream_tbENKUlT_T0_E_clISt17integral_constantIbLb1EESZ_EEDaSU_SV_EUlSU_E_NS1_11comp_targetILNS1_3genE8ELNS1_11target_archE1030ELNS1_3gpuE2ELNS1_3repE0EEENS1_30default_config_static_selectorELNS0_4arch9wavefront6targetE0EEEvT1_.kd
    .uniform_work_group_size: 1
    .uses_dynamic_stack: false
    .vgpr_count:     0
    .vgpr_spill_count: 0
    .wavefront_size: 32
  - .args:
      - .offset:         0
        .size:           136
        .value_kind:     by_value
    .group_segment_fixed_size: 0
    .kernarg_segment_align: 8
    .kernarg_segment_size: 136
    .language:       OpenCL C
    .language_version:
      - 2
      - 0
    .max_flat_workgroup_size: 256
    .name:           _ZN7rocprim17ROCPRIM_400000_NS6detail17trampoline_kernelINS0_14default_configENS1_27scan_by_key_config_selectorIxxEEZZNS1_16scan_by_key_implILNS1_25lookback_scan_determinismE0ELb1ES3_N6thrust23THRUST_200600_302600_NS6detail15normal_iteratorINS9_10device_ptrIxEEEESE_SE_xNS9_4plusIvEENS9_8equal_toIvEExEE10hipError_tPvRmT2_T3_T4_T5_mT6_T7_P12ihipStream_tbENKUlT_T0_E_clISt17integral_constantIbLb1EESY_IbLb0EEEEDaSU_SV_EUlSU_E_NS1_11comp_targetILNS1_3genE0ELNS1_11target_archE4294967295ELNS1_3gpuE0ELNS1_3repE0EEENS1_30default_config_static_selectorELNS0_4arch9wavefront6targetE0EEEvT1_
    .private_segment_fixed_size: 0
    .sgpr_count:     0
    .sgpr_spill_count: 0
    .symbol:         _ZN7rocprim17ROCPRIM_400000_NS6detail17trampoline_kernelINS0_14default_configENS1_27scan_by_key_config_selectorIxxEEZZNS1_16scan_by_key_implILNS1_25lookback_scan_determinismE0ELb1ES3_N6thrust23THRUST_200600_302600_NS6detail15normal_iteratorINS9_10device_ptrIxEEEESE_SE_xNS9_4plusIvEENS9_8equal_toIvEExEE10hipError_tPvRmT2_T3_T4_T5_mT6_T7_P12ihipStream_tbENKUlT_T0_E_clISt17integral_constantIbLb1EESY_IbLb0EEEEDaSU_SV_EUlSU_E_NS1_11comp_targetILNS1_3genE0ELNS1_11target_archE4294967295ELNS1_3gpuE0ELNS1_3repE0EEENS1_30default_config_static_selectorELNS0_4arch9wavefront6targetE0EEEvT1_.kd
    .uniform_work_group_size: 1
    .uses_dynamic_stack: false
    .vgpr_count:     0
    .vgpr_spill_count: 0
    .wavefront_size: 32
  - .args:
      - .offset:         0
        .size:           136
        .value_kind:     by_value
    .group_segment_fixed_size: 0
    .kernarg_segment_align: 8
    .kernarg_segment_size: 136
    .language:       OpenCL C
    .language_version:
      - 2
      - 0
    .max_flat_workgroup_size: 256
    .name:           _ZN7rocprim17ROCPRIM_400000_NS6detail17trampoline_kernelINS0_14default_configENS1_27scan_by_key_config_selectorIxxEEZZNS1_16scan_by_key_implILNS1_25lookback_scan_determinismE0ELb1ES3_N6thrust23THRUST_200600_302600_NS6detail15normal_iteratorINS9_10device_ptrIxEEEESE_SE_xNS9_4plusIvEENS9_8equal_toIvEExEE10hipError_tPvRmT2_T3_T4_T5_mT6_T7_P12ihipStream_tbENKUlT_T0_E_clISt17integral_constantIbLb1EESY_IbLb0EEEEDaSU_SV_EUlSU_E_NS1_11comp_targetILNS1_3genE10ELNS1_11target_archE1201ELNS1_3gpuE5ELNS1_3repE0EEENS1_30default_config_static_selectorELNS0_4arch9wavefront6targetE0EEEvT1_
    .private_segment_fixed_size: 0
    .sgpr_count:     0
    .sgpr_spill_count: 0
    .symbol:         _ZN7rocprim17ROCPRIM_400000_NS6detail17trampoline_kernelINS0_14default_configENS1_27scan_by_key_config_selectorIxxEEZZNS1_16scan_by_key_implILNS1_25lookback_scan_determinismE0ELb1ES3_N6thrust23THRUST_200600_302600_NS6detail15normal_iteratorINS9_10device_ptrIxEEEESE_SE_xNS9_4plusIvEENS9_8equal_toIvEExEE10hipError_tPvRmT2_T3_T4_T5_mT6_T7_P12ihipStream_tbENKUlT_T0_E_clISt17integral_constantIbLb1EESY_IbLb0EEEEDaSU_SV_EUlSU_E_NS1_11comp_targetILNS1_3genE10ELNS1_11target_archE1201ELNS1_3gpuE5ELNS1_3repE0EEENS1_30default_config_static_selectorELNS0_4arch9wavefront6targetE0EEEvT1_.kd
    .uniform_work_group_size: 1
    .uses_dynamic_stack: false
    .vgpr_count:     0
    .vgpr_spill_count: 0
    .wavefront_size: 32
  - .args:
      - .offset:         0
        .size:           136
        .value_kind:     by_value
    .group_segment_fixed_size: 0
    .kernarg_segment_align: 8
    .kernarg_segment_size: 136
    .language:       OpenCL C
    .language_version:
      - 2
      - 0
    .max_flat_workgroup_size: 256
    .name:           _ZN7rocprim17ROCPRIM_400000_NS6detail17trampoline_kernelINS0_14default_configENS1_27scan_by_key_config_selectorIxxEEZZNS1_16scan_by_key_implILNS1_25lookback_scan_determinismE0ELb1ES3_N6thrust23THRUST_200600_302600_NS6detail15normal_iteratorINS9_10device_ptrIxEEEESE_SE_xNS9_4plusIvEENS9_8equal_toIvEExEE10hipError_tPvRmT2_T3_T4_T5_mT6_T7_P12ihipStream_tbENKUlT_T0_E_clISt17integral_constantIbLb1EESY_IbLb0EEEEDaSU_SV_EUlSU_E_NS1_11comp_targetILNS1_3genE5ELNS1_11target_archE942ELNS1_3gpuE9ELNS1_3repE0EEENS1_30default_config_static_selectorELNS0_4arch9wavefront6targetE0EEEvT1_
    .private_segment_fixed_size: 0
    .sgpr_count:     0
    .sgpr_spill_count: 0
    .symbol:         _ZN7rocprim17ROCPRIM_400000_NS6detail17trampoline_kernelINS0_14default_configENS1_27scan_by_key_config_selectorIxxEEZZNS1_16scan_by_key_implILNS1_25lookback_scan_determinismE0ELb1ES3_N6thrust23THRUST_200600_302600_NS6detail15normal_iteratorINS9_10device_ptrIxEEEESE_SE_xNS9_4plusIvEENS9_8equal_toIvEExEE10hipError_tPvRmT2_T3_T4_T5_mT6_T7_P12ihipStream_tbENKUlT_T0_E_clISt17integral_constantIbLb1EESY_IbLb0EEEEDaSU_SV_EUlSU_E_NS1_11comp_targetILNS1_3genE5ELNS1_11target_archE942ELNS1_3gpuE9ELNS1_3repE0EEENS1_30default_config_static_selectorELNS0_4arch9wavefront6targetE0EEEvT1_.kd
    .uniform_work_group_size: 1
    .uses_dynamic_stack: false
    .vgpr_count:     0
    .vgpr_spill_count: 0
    .wavefront_size: 32
  - .args:
      - .offset:         0
        .size:           136
        .value_kind:     by_value
    .group_segment_fixed_size: 0
    .kernarg_segment_align: 8
    .kernarg_segment_size: 136
    .language:       OpenCL C
    .language_version:
      - 2
      - 0
    .max_flat_workgroup_size: 64
    .name:           _ZN7rocprim17ROCPRIM_400000_NS6detail17trampoline_kernelINS0_14default_configENS1_27scan_by_key_config_selectorIxxEEZZNS1_16scan_by_key_implILNS1_25lookback_scan_determinismE0ELb1ES3_N6thrust23THRUST_200600_302600_NS6detail15normal_iteratorINS9_10device_ptrIxEEEESE_SE_xNS9_4plusIvEENS9_8equal_toIvEExEE10hipError_tPvRmT2_T3_T4_T5_mT6_T7_P12ihipStream_tbENKUlT_T0_E_clISt17integral_constantIbLb1EESY_IbLb0EEEEDaSU_SV_EUlSU_E_NS1_11comp_targetILNS1_3genE4ELNS1_11target_archE910ELNS1_3gpuE8ELNS1_3repE0EEENS1_30default_config_static_selectorELNS0_4arch9wavefront6targetE0EEEvT1_
    .private_segment_fixed_size: 0
    .sgpr_count:     0
    .sgpr_spill_count: 0
    .symbol:         _ZN7rocprim17ROCPRIM_400000_NS6detail17trampoline_kernelINS0_14default_configENS1_27scan_by_key_config_selectorIxxEEZZNS1_16scan_by_key_implILNS1_25lookback_scan_determinismE0ELb1ES3_N6thrust23THRUST_200600_302600_NS6detail15normal_iteratorINS9_10device_ptrIxEEEESE_SE_xNS9_4plusIvEENS9_8equal_toIvEExEE10hipError_tPvRmT2_T3_T4_T5_mT6_T7_P12ihipStream_tbENKUlT_T0_E_clISt17integral_constantIbLb1EESY_IbLb0EEEEDaSU_SV_EUlSU_E_NS1_11comp_targetILNS1_3genE4ELNS1_11target_archE910ELNS1_3gpuE8ELNS1_3repE0EEENS1_30default_config_static_selectorELNS0_4arch9wavefront6targetE0EEEvT1_.kd
    .uniform_work_group_size: 1
    .uses_dynamic_stack: false
    .vgpr_count:     0
    .vgpr_spill_count: 0
    .wavefront_size: 32
  - .args:
      - .offset:         0
        .size:           136
        .value_kind:     by_value
    .group_segment_fixed_size: 0
    .kernarg_segment_align: 8
    .kernarg_segment_size: 136
    .language:       OpenCL C
    .language_version:
      - 2
      - 0
    .max_flat_workgroup_size: 256
    .name:           _ZN7rocprim17ROCPRIM_400000_NS6detail17trampoline_kernelINS0_14default_configENS1_27scan_by_key_config_selectorIxxEEZZNS1_16scan_by_key_implILNS1_25lookback_scan_determinismE0ELb1ES3_N6thrust23THRUST_200600_302600_NS6detail15normal_iteratorINS9_10device_ptrIxEEEESE_SE_xNS9_4plusIvEENS9_8equal_toIvEExEE10hipError_tPvRmT2_T3_T4_T5_mT6_T7_P12ihipStream_tbENKUlT_T0_E_clISt17integral_constantIbLb1EESY_IbLb0EEEEDaSU_SV_EUlSU_E_NS1_11comp_targetILNS1_3genE3ELNS1_11target_archE908ELNS1_3gpuE7ELNS1_3repE0EEENS1_30default_config_static_selectorELNS0_4arch9wavefront6targetE0EEEvT1_
    .private_segment_fixed_size: 0
    .sgpr_count:     0
    .sgpr_spill_count: 0
    .symbol:         _ZN7rocprim17ROCPRIM_400000_NS6detail17trampoline_kernelINS0_14default_configENS1_27scan_by_key_config_selectorIxxEEZZNS1_16scan_by_key_implILNS1_25lookback_scan_determinismE0ELb1ES3_N6thrust23THRUST_200600_302600_NS6detail15normal_iteratorINS9_10device_ptrIxEEEESE_SE_xNS9_4plusIvEENS9_8equal_toIvEExEE10hipError_tPvRmT2_T3_T4_T5_mT6_T7_P12ihipStream_tbENKUlT_T0_E_clISt17integral_constantIbLb1EESY_IbLb0EEEEDaSU_SV_EUlSU_E_NS1_11comp_targetILNS1_3genE3ELNS1_11target_archE908ELNS1_3gpuE7ELNS1_3repE0EEENS1_30default_config_static_selectorELNS0_4arch9wavefront6targetE0EEEvT1_.kd
    .uniform_work_group_size: 1
    .uses_dynamic_stack: false
    .vgpr_count:     0
    .vgpr_spill_count: 0
    .wavefront_size: 32
  - .args:
      - .offset:         0
        .size:           136
        .value_kind:     by_value
    .group_segment_fixed_size: 0
    .kernarg_segment_align: 8
    .kernarg_segment_size: 136
    .language:       OpenCL C
    .language_version:
      - 2
      - 0
    .max_flat_workgroup_size: 256
    .name:           _ZN7rocprim17ROCPRIM_400000_NS6detail17trampoline_kernelINS0_14default_configENS1_27scan_by_key_config_selectorIxxEEZZNS1_16scan_by_key_implILNS1_25lookback_scan_determinismE0ELb1ES3_N6thrust23THRUST_200600_302600_NS6detail15normal_iteratorINS9_10device_ptrIxEEEESE_SE_xNS9_4plusIvEENS9_8equal_toIvEExEE10hipError_tPvRmT2_T3_T4_T5_mT6_T7_P12ihipStream_tbENKUlT_T0_E_clISt17integral_constantIbLb1EESY_IbLb0EEEEDaSU_SV_EUlSU_E_NS1_11comp_targetILNS1_3genE2ELNS1_11target_archE906ELNS1_3gpuE6ELNS1_3repE0EEENS1_30default_config_static_selectorELNS0_4arch9wavefront6targetE0EEEvT1_
    .private_segment_fixed_size: 0
    .sgpr_count:     0
    .sgpr_spill_count: 0
    .symbol:         _ZN7rocprim17ROCPRIM_400000_NS6detail17trampoline_kernelINS0_14default_configENS1_27scan_by_key_config_selectorIxxEEZZNS1_16scan_by_key_implILNS1_25lookback_scan_determinismE0ELb1ES3_N6thrust23THRUST_200600_302600_NS6detail15normal_iteratorINS9_10device_ptrIxEEEESE_SE_xNS9_4plusIvEENS9_8equal_toIvEExEE10hipError_tPvRmT2_T3_T4_T5_mT6_T7_P12ihipStream_tbENKUlT_T0_E_clISt17integral_constantIbLb1EESY_IbLb0EEEEDaSU_SV_EUlSU_E_NS1_11comp_targetILNS1_3genE2ELNS1_11target_archE906ELNS1_3gpuE6ELNS1_3repE0EEENS1_30default_config_static_selectorELNS0_4arch9wavefront6targetE0EEEvT1_.kd
    .uniform_work_group_size: 1
    .uses_dynamic_stack: false
    .vgpr_count:     0
    .vgpr_spill_count: 0
    .wavefront_size: 32
  - .args:
      - .offset:         0
        .size:           136
        .value_kind:     by_value
    .group_segment_fixed_size: 0
    .kernarg_segment_align: 8
    .kernarg_segment_size: 136
    .language:       OpenCL C
    .language_version:
      - 2
      - 0
    .max_flat_workgroup_size: 256
    .name:           _ZN7rocprim17ROCPRIM_400000_NS6detail17trampoline_kernelINS0_14default_configENS1_27scan_by_key_config_selectorIxxEEZZNS1_16scan_by_key_implILNS1_25lookback_scan_determinismE0ELb1ES3_N6thrust23THRUST_200600_302600_NS6detail15normal_iteratorINS9_10device_ptrIxEEEESE_SE_xNS9_4plusIvEENS9_8equal_toIvEExEE10hipError_tPvRmT2_T3_T4_T5_mT6_T7_P12ihipStream_tbENKUlT_T0_E_clISt17integral_constantIbLb1EESY_IbLb0EEEEDaSU_SV_EUlSU_E_NS1_11comp_targetILNS1_3genE10ELNS1_11target_archE1200ELNS1_3gpuE4ELNS1_3repE0EEENS1_30default_config_static_selectorELNS0_4arch9wavefront6targetE0EEEvT1_
    .private_segment_fixed_size: 0
    .sgpr_count:     0
    .sgpr_spill_count: 0
    .symbol:         _ZN7rocprim17ROCPRIM_400000_NS6detail17trampoline_kernelINS0_14default_configENS1_27scan_by_key_config_selectorIxxEEZZNS1_16scan_by_key_implILNS1_25lookback_scan_determinismE0ELb1ES3_N6thrust23THRUST_200600_302600_NS6detail15normal_iteratorINS9_10device_ptrIxEEEESE_SE_xNS9_4plusIvEENS9_8equal_toIvEExEE10hipError_tPvRmT2_T3_T4_T5_mT6_T7_P12ihipStream_tbENKUlT_T0_E_clISt17integral_constantIbLb1EESY_IbLb0EEEEDaSU_SV_EUlSU_E_NS1_11comp_targetILNS1_3genE10ELNS1_11target_archE1200ELNS1_3gpuE4ELNS1_3repE0EEENS1_30default_config_static_selectorELNS0_4arch9wavefront6targetE0EEEvT1_.kd
    .uniform_work_group_size: 1
    .uses_dynamic_stack: false
    .vgpr_count:     0
    .vgpr_spill_count: 0
    .wavefront_size: 32
  - .args:
      - .offset:         0
        .size:           136
        .value_kind:     by_value
    .group_segment_fixed_size: 0
    .kernarg_segment_align: 8
    .kernarg_segment_size: 136
    .language:       OpenCL C
    .language_version:
      - 2
      - 0
    .max_flat_workgroup_size: 256
    .name:           _ZN7rocprim17ROCPRIM_400000_NS6detail17trampoline_kernelINS0_14default_configENS1_27scan_by_key_config_selectorIxxEEZZNS1_16scan_by_key_implILNS1_25lookback_scan_determinismE0ELb1ES3_N6thrust23THRUST_200600_302600_NS6detail15normal_iteratorINS9_10device_ptrIxEEEESE_SE_xNS9_4plusIvEENS9_8equal_toIvEExEE10hipError_tPvRmT2_T3_T4_T5_mT6_T7_P12ihipStream_tbENKUlT_T0_E_clISt17integral_constantIbLb1EESY_IbLb0EEEEDaSU_SV_EUlSU_E_NS1_11comp_targetILNS1_3genE9ELNS1_11target_archE1100ELNS1_3gpuE3ELNS1_3repE0EEENS1_30default_config_static_selectorELNS0_4arch9wavefront6targetE0EEEvT1_
    .private_segment_fixed_size: 0
    .sgpr_count:     0
    .sgpr_spill_count: 0
    .symbol:         _ZN7rocprim17ROCPRIM_400000_NS6detail17trampoline_kernelINS0_14default_configENS1_27scan_by_key_config_selectorIxxEEZZNS1_16scan_by_key_implILNS1_25lookback_scan_determinismE0ELb1ES3_N6thrust23THRUST_200600_302600_NS6detail15normal_iteratorINS9_10device_ptrIxEEEESE_SE_xNS9_4plusIvEENS9_8equal_toIvEExEE10hipError_tPvRmT2_T3_T4_T5_mT6_T7_P12ihipStream_tbENKUlT_T0_E_clISt17integral_constantIbLb1EESY_IbLb0EEEEDaSU_SV_EUlSU_E_NS1_11comp_targetILNS1_3genE9ELNS1_11target_archE1100ELNS1_3gpuE3ELNS1_3repE0EEENS1_30default_config_static_selectorELNS0_4arch9wavefront6targetE0EEEvT1_.kd
    .uniform_work_group_size: 1
    .uses_dynamic_stack: false
    .vgpr_count:     0
    .vgpr_spill_count: 0
    .wavefront_size: 32
  - .args:
      - .offset:         0
        .size:           136
        .value_kind:     by_value
    .group_segment_fixed_size: 0
    .kernarg_segment_align: 8
    .kernarg_segment_size: 136
    .language:       OpenCL C
    .language_version:
      - 2
      - 0
    .max_flat_workgroup_size: 256
    .name:           _ZN7rocprim17ROCPRIM_400000_NS6detail17trampoline_kernelINS0_14default_configENS1_27scan_by_key_config_selectorIxxEEZZNS1_16scan_by_key_implILNS1_25lookback_scan_determinismE0ELb1ES3_N6thrust23THRUST_200600_302600_NS6detail15normal_iteratorINS9_10device_ptrIxEEEESE_SE_xNS9_4plusIvEENS9_8equal_toIvEExEE10hipError_tPvRmT2_T3_T4_T5_mT6_T7_P12ihipStream_tbENKUlT_T0_E_clISt17integral_constantIbLb1EESY_IbLb0EEEEDaSU_SV_EUlSU_E_NS1_11comp_targetILNS1_3genE8ELNS1_11target_archE1030ELNS1_3gpuE2ELNS1_3repE0EEENS1_30default_config_static_selectorELNS0_4arch9wavefront6targetE0EEEvT1_
    .private_segment_fixed_size: 0
    .sgpr_count:     0
    .sgpr_spill_count: 0
    .symbol:         _ZN7rocprim17ROCPRIM_400000_NS6detail17trampoline_kernelINS0_14default_configENS1_27scan_by_key_config_selectorIxxEEZZNS1_16scan_by_key_implILNS1_25lookback_scan_determinismE0ELb1ES3_N6thrust23THRUST_200600_302600_NS6detail15normal_iteratorINS9_10device_ptrIxEEEESE_SE_xNS9_4plusIvEENS9_8equal_toIvEExEE10hipError_tPvRmT2_T3_T4_T5_mT6_T7_P12ihipStream_tbENKUlT_T0_E_clISt17integral_constantIbLb1EESY_IbLb0EEEEDaSU_SV_EUlSU_E_NS1_11comp_targetILNS1_3genE8ELNS1_11target_archE1030ELNS1_3gpuE2ELNS1_3repE0EEENS1_30default_config_static_selectorELNS0_4arch9wavefront6targetE0EEEvT1_.kd
    .uniform_work_group_size: 1
    .uses_dynamic_stack: false
    .vgpr_count:     0
    .vgpr_spill_count: 0
    .wavefront_size: 32
  - .args:
      - .offset:         0
        .size:           136
        .value_kind:     by_value
    .group_segment_fixed_size: 32768
    .kernarg_segment_align: 8
    .kernarg_segment_size: 136
    .language:       OpenCL C
    .language_version:
      - 2
      - 0
    .max_flat_workgroup_size: 256
    .name:           _ZN7rocprim17ROCPRIM_400000_NS6detail17trampoline_kernelINS0_14default_configENS1_27scan_by_key_config_selectorIxxEEZZNS1_16scan_by_key_implILNS1_25lookback_scan_determinismE0ELb1ES3_N6thrust23THRUST_200600_302600_NS6detail15normal_iteratorINS9_10device_ptrIxEEEESE_SE_xNS9_4plusIvEENS9_8equal_toIvEExEE10hipError_tPvRmT2_T3_T4_T5_mT6_T7_P12ihipStream_tbENKUlT_T0_E_clISt17integral_constantIbLb0EESY_IbLb1EEEEDaSU_SV_EUlSU_E_NS1_11comp_targetILNS1_3genE0ELNS1_11target_archE4294967295ELNS1_3gpuE0ELNS1_3repE0EEENS1_30default_config_static_selectorELNS0_4arch9wavefront6targetE0EEEvT1_
    .private_segment_fixed_size: 0
    .sgpr_count:     61
    .sgpr_spill_count: 0
    .symbol:         _ZN7rocprim17ROCPRIM_400000_NS6detail17trampoline_kernelINS0_14default_configENS1_27scan_by_key_config_selectorIxxEEZZNS1_16scan_by_key_implILNS1_25lookback_scan_determinismE0ELb1ES3_N6thrust23THRUST_200600_302600_NS6detail15normal_iteratorINS9_10device_ptrIxEEEESE_SE_xNS9_4plusIvEENS9_8equal_toIvEExEE10hipError_tPvRmT2_T3_T4_T5_mT6_T7_P12ihipStream_tbENKUlT_T0_E_clISt17integral_constantIbLb0EESY_IbLb1EEEEDaSU_SV_EUlSU_E_NS1_11comp_targetILNS1_3genE0ELNS1_11target_archE4294967295ELNS1_3gpuE0ELNS1_3repE0EEENS1_30default_config_static_selectorELNS0_4arch9wavefront6targetE0EEEvT1_.kd
    .uniform_work_group_size: 1
    .uses_dynamic_stack: false
    .vgpr_count:     113
    .vgpr_spill_count: 0
    .wavefront_size: 32
  - .args:
      - .offset:         0
        .size:           136
        .value_kind:     by_value
    .group_segment_fixed_size: 0
    .kernarg_segment_align: 8
    .kernarg_segment_size: 136
    .language:       OpenCL C
    .language_version:
      - 2
      - 0
    .max_flat_workgroup_size: 256
    .name:           _ZN7rocprim17ROCPRIM_400000_NS6detail17trampoline_kernelINS0_14default_configENS1_27scan_by_key_config_selectorIxxEEZZNS1_16scan_by_key_implILNS1_25lookback_scan_determinismE0ELb1ES3_N6thrust23THRUST_200600_302600_NS6detail15normal_iteratorINS9_10device_ptrIxEEEESE_SE_xNS9_4plusIvEENS9_8equal_toIvEExEE10hipError_tPvRmT2_T3_T4_T5_mT6_T7_P12ihipStream_tbENKUlT_T0_E_clISt17integral_constantIbLb0EESY_IbLb1EEEEDaSU_SV_EUlSU_E_NS1_11comp_targetILNS1_3genE10ELNS1_11target_archE1201ELNS1_3gpuE5ELNS1_3repE0EEENS1_30default_config_static_selectorELNS0_4arch9wavefront6targetE0EEEvT1_
    .private_segment_fixed_size: 0
    .sgpr_count:     0
    .sgpr_spill_count: 0
    .symbol:         _ZN7rocprim17ROCPRIM_400000_NS6detail17trampoline_kernelINS0_14default_configENS1_27scan_by_key_config_selectorIxxEEZZNS1_16scan_by_key_implILNS1_25lookback_scan_determinismE0ELb1ES3_N6thrust23THRUST_200600_302600_NS6detail15normal_iteratorINS9_10device_ptrIxEEEESE_SE_xNS9_4plusIvEENS9_8equal_toIvEExEE10hipError_tPvRmT2_T3_T4_T5_mT6_T7_P12ihipStream_tbENKUlT_T0_E_clISt17integral_constantIbLb0EESY_IbLb1EEEEDaSU_SV_EUlSU_E_NS1_11comp_targetILNS1_3genE10ELNS1_11target_archE1201ELNS1_3gpuE5ELNS1_3repE0EEENS1_30default_config_static_selectorELNS0_4arch9wavefront6targetE0EEEvT1_.kd
    .uniform_work_group_size: 1
    .uses_dynamic_stack: false
    .vgpr_count:     0
    .vgpr_spill_count: 0
    .wavefront_size: 32
  - .args:
      - .offset:         0
        .size:           136
        .value_kind:     by_value
    .group_segment_fixed_size: 0
    .kernarg_segment_align: 8
    .kernarg_segment_size: 136
    .language:       OpenCL C
    .language_version:
      - 2
      - 0
    .max_flat_workgroup_size: 256
    .name:           _ZN7rocprim17ROCPRIM_400000_NS6detail17trampoline_kernelINS0_14default_configENS1_27scan_by_key_config_selectorIxxEEZZNS1_16scan_by_key_implILNS1_25lookback_scan_determinismE0ELb1ES3_N6thrust23THRUST_200600_302600_NS6detail15normal_iteratorINS9_10device_ptrIxEEEESE_SE_xNS9_4plusIvEENS9_8equal_toIvEExEE10hipError_tPvRmT2_T3_T4_T5_mT6_T7_P12ihipStream_tbENKUlT_T0_E_clISt17integral_constantIbLb0EESY_IbLb1EEEEDaSU_SV_EUlSU_E_NS1_11comp_targetILNS1_3genE5ELNS1_11target_archE942ELNS1_3gpuE9ELNS1_3repE0EEENS1_30default_config_static_selectorELNS0_4arch9wavefront6targetE0EEEvT1_
    .private_segment_fixed_size: 0
    .sgpr_count:     0
    .sgpr_spill_count: 0
    .symbol:         _ZN7rocprim17ROCPRIM_400000_NS6detail17trampoline_kernelINS0_14default_configENS1_27scan_by_key_config_selectorIxxEEZZNS1_16scan_by_key_implILNS1_25lookback_scan_determinismE0ELb1ES3_N6thrust23THRUST_200600_302600_NS6detail15normal_iteratorINS9_10device_ptrIxEEEESE_SE_xNS9_4plusIvEENS9_8equal_toIvEExEE10hipError_tPvRmT2_T3_T4_T5_mT6_T7_P12ihipStream_tbENKUlT_T0_E_clISt17integral_constantIbLb0EESY_IbLb1EEEEDaSU_SV_EUlSU_E_NS1_11comp_targetILNS1_3genE5ELNS1_11target_archE942ELNS1_3gpuE9ELNS1_3repE0EEENS1_30default_config_static_selectorELNS0_4arch9wavefront6targetE0EEEvT1_.kd
    .uniform_work_group_size: 1
    .uses_dynamic_stack: false
    .vgpr_count:     0
    .vgpr_spill_count: 0
    .wavefront_size: 32
  - .args:
      - .offset:         0
        .size:           136
        .value_kind:     by_value
    .group_segment_fixed_size: 0
    .kernarg_segment_align: 8
    .kernarg_segment_size: 136
    .language:       OpenCL C
    .language_version:
      - 2
      - 0
    .max_flat_workgroup_size: 64
    .name:           _ZN7rocprim17ROCPRIM_400000_NS6detail17trampoline_kernelINS0_14default_configENS1_27scan_by_key_config_selectorIxxEEZZNS1_16scan_by_key_implILNS1_25lookback_scan_determinismE0ELb1ES3_N6thrust23THRUST_200600_302600_NS6detail15normal_iteratorINS9_10device_ptrIxEEEESE_SE_xNS9_4plusIvEENS9_8equal_toIvEExEE10hipError_tPvRmT2_T3_T4_T5_mT6_T7_P12ihipStream_tbENKUlT_T0_E_clISt17integral_constantIbLb0EESY_IbLb1EEEEDaSU_SV_EUlSU_E_NS1_11comp_targetILNS1_3genE4ELNS1_11target_archE910ELNS1_3gpuE8ELNS1_3repE0EEENS1_30default_config_static_selectorELNS0_4arch9wavefront6targetE0EEEvT1_
    .private_segment_fixed_size: 0
    .sgpr_count:     0
    .sgpr_spill_count: 0
    .symbol:         _ZN7rocprim17ROCPRIM_400000_NS6detail17trampoline_kernelINS0_14default_configENS1_27scan_by_key_config_selectorIxxEEZZNS1_16scan_by_key_implILNS1_25lookback_scan_determinismE0ELb1ES3_N6thrust23THRUST_200600_302600_NS6detail15normal_iteratorINS9_10device_ptrIxEEEESE_SE_xNS9_4plusIvEENS9_8equal_toIvEExEE10hipError_tPvRmT2_T3_T4_T5_mT6_T7_P12ihipStream_tbENKUlT_T0_E_clISt17integral_constantIbLb0EESY_IbLb1EEEEDaSU_SV_EUlSU_E_NS1_11comp_targetILNS1_3genE4ELNS1_11target_archE910ELNS1_3gpuE8ELNS1_3repE0EEENS1_30default_config_static_selectorELNS0_4arch9wavefront6targetE0EEEvT1_.kd
    .uniform_work_group_size: 1
    .uses_dynamic_stack: false
    .vgpr_count:     0
    .vgpr_spill_count: 0
    .wavefront_size: 32
  - .args:
      - .offset:         0
        .size:           136
        .value_kind:     by_value
    .group_segment_fixed_size: 0
    .kernarg_segment_align: 8
    .kernarg_segment_size: 136
    .language:       OpenCL C
    .language_version:
      - 2
      - 0
    .max_flat_workgroup_size: 256
    .name:           _ZN7rocprim17ROCPRIM_400000_NS6detail17trampoline_kernelINS0_14default_configENS1_27scan_by_key_config_selectorIxxEEZZNS1_16scan_by_key_implILNS1_25lookback_scan_determinismE0ELb1ES3_N6thrust23THRUST_200600_302600_NS6detail15normal_iteratorINS9_10device_ptrIxEEEESE_SE_xNS9_4plusIvEENS9_8equal_toIvEExEE10hipError_tPvRmT2_T3_T4_T5_mT6_T7_P12ihipStream_tbENKUlT_T0_E_clISt17integral_constantIbLb0EESY_IbLb1EEEEDaSU_SV_EUlSU_E_NS1_11comp_targetILNS1_3genE3ELNS1_11target_archE908ELNS1_3gpuE7ELNS1_3repE0EEENS1_30default_config_static_selectorELNS0_4arch9wavefront6targetE0EEEvT1_
    .private_segment_fixed_size: 0
    .sgpr_count:     0
    .sgpr_spill_count: 0
    .symbol:         _ZN7rocprim17ROCPRIM_400000_NS6detail17trampoline_kernelINS0_14default_configENS1_27scan_by_key_config_selectorIxxEEZZNS1_16scan_by_key_implILNS1_25lookback_scan_determinismE0ELb1ES3_N6thrust23THRUST_200600_302600_NS6detail15normal_iteratorINS9_10device_ptrIxEEEESE_SE_xNS9_4plusIvEENS9_8equal_toIvEExEE10hipError_tPvRmT2_T3_T4_T5_mT6_T7_P12ihipStream_tbENKUlT_T0_E_clISt17integral_constantIbLb0EESY_IbLb1EEEEDaSU_SV_EUlSU_E_NS1_11comp_targetILNS1_3genE3ELNS1_11target_archE908ELNS1_3gpuE7ELNS1_3repE0EEENS1_30default_config_static_selectorELNS0_4arch9wavefront6targetE0EEEvT1_.kd
    .uniform_work_group_size: 1
    .uses_dynamic_stack: false
    .vgpr_count:     0
    .vgpr_spill_count: 0
    .wavefront_size: 32
  - .args:
      - .offset:         0
        .size:           136
        .value_kind:     by_value
    .group_segment_fixed_size: 0
    .kernarg_segment_align: 8
    .kernarg_segment_size: 136
    .language:       OpenCL C
    .language_version:
      - 2
      - 0
    .max_flat_workgroup_size: 256
    .name:           _ZN7rocprim17ROCPRIM_400000_NS6detail17trampoline_kernelINS0_14default_configENS1_27scan_by_key_config_selectorIxxEEZZNS1_16scan_by_key_implILNS1_25lookback_scan_determinismE0ELb1ES3_N6thrust23THRUST_200600_302600_NS6detail15normal_iteratorINS9_10device_ptrIxEEEESE_SE_xNS9_4plusIvEENS9_8equal_toIvEExEE10hipError_tPvRmT2_T3_T4_T5_mT6_T7_P12ihipStream_tbENKUlT_T0_E_clISt17integral_constantIbLb0EESY_IbLb1EEEEDaSU_SV_EUlSU_E_NS1_11comp_targetILNS1_3genE2ELNS1_11target_archE906ELNS1_3gpuE6ELNS1_3repE0EEENS1_30default_config_static_selectorELNS0_4arch9wavefront6targetE0EEEvT1_
    .private_segment_fixed_size: 0
    .sgpr_count:     0
    .sgpr_spill_count: 0
    .symbol:         _ZN7rocprim17ROCPRIM_400000_NS6detail17trampoline_kernelINS0_14default_configENS1_27scan_by_key_config_selectorIxxEEZZNS1_16scan_by_key_implILNS1_25lookback_scan_determinismE0ELb1ES3_N6thrust23THRUST_200600_302600_NS6detail15normal_iteratorINS9_10device_ptrIxEEEESE_SE_xNS9_4plusIvEENS9_8equal_toIvEExEE10hipError_tPvRmT2_T3_T4_T5_mT6_T7_P12ihipStream_tbENKUlT_T0_E_clISt17integral_constantIbLb0EESY_IbLb1EEEEDaSU_SV_EUlSU_E_NS1_11comp_targetILNS1_3genE2ELNS1_11target_archE906ELNS1_3gpuE6ELNS1_3repE0EEENS1_30default_config_static_selectorELNS0_4arch9wavefront6targetE0EEEvT1_.kd
    .uniform_work_group_size: 1
    .uses_dynamic_stack: false
    .vgpr_count:     0
    .vgpr_spill_count: 0
    .wavefront_size: 32
  - .args:
      - .offset:         0
        .size:           136
        .value_kind:     by_value
    .group_segment_fixed_size: 0
    .kernarg_segment_align: 8
    .kernarg_segment_size: 136
    .language:       OpenCL C
    .language_version:
      - 2
      - 0
    .max_flat_workgroup_size: 256
    .name:           _ZN7rocprim17ROCPRIM_400000_NS6detail17trampoline_kernelINS0_14default_configENS1_27scan_by_key_config_selectorIxxEEZZNS1_16scan_by_key_implILNS1_25lookback_scan_determinismE0ELb1ES3_N6thrust23THRUST_200600_302600_NS6detail15normal_iteratorINS9_10device_ptrIxEEEESE_SE_xNS9_4plusIvEENS9_8equal_toIvEExEE10hipError_tPvRmT2_T3_T4_T5_mT6_T7_P12ihipStream_tbENKUlT_T0_E_clISt17integral_constantIbLb0EESY_IbLb1EEEEDaSU_SV_EUlSU_E_NS1_11comp_targetILNS1_3genE10ELNS1_11target_archE1200ELNS1_3gpuE4ELNS1_3repE0EEENS1_30default_config_static_selectorELNS0_4arch9wavefront6targetE0EEEvT1_
    .private_segment_fixed_size: 0
    .sgpr_count:     0
    .sgpr_spill_count: 0
    .symbol:         _ZN7rocprim17ROCPRIM_400000_NS6detail17trampoline_kernelINS0_14default_configENS1_27scan_by_key_config_selectorIxxEEZZNS1_16scan_by_key_implILNS1_25lookback_scan_determinismE0ELb1ES3_N6thrust23THRUST_200600_302600_NS6detail15normal_iteratorINS9_10device_ptrIxEEEESE_SE_xNS9_4plusIvEENS9_8equal_toIvEExEE10hipError_tPvRmT2_T3_T4_T5_mT6_T7_P12ihipStream_tbENKUlT_T0_E_clISt17integral_constantIbLb0EESY_IbLb1EEEEDaSU_SV_EUlSU_E_NS1_11comp_targetILNS1_3genE10ELNS1_11target_archE1200ELNS1_3gpuE4ELNS1_3repE0EEENS1_30default_config_static_selectorELNS0_4arch9wavefront6targetE0EEEvT1_.kd
    .uniform_work_group_size: 1
    .uses_dynamic_stack: false
    .vgpr_count:     0
    .vgpr_spill_count: 0
    .wavefront_size: 32
  - .args:
      - .offset:         0
        .size:           136
        .value_kind:     by_value
    .group_segment_fixed_size: 0
    .kernarg_segment_align: 8
    .kernarg_segment_size: 136
    .language:       OpenCL C
    .language_version:
      - 2
      - 0
    .max_flat_workgroup_size: 256
    .name:           _ZN7rocprim17ROCPRIM_400000_NS6detail17trampoline_kernelINS0_14default_configENS1_27scan_by_key_config_selectorIxxEEZZNS1_16scan_by_key_implILNS1_25lookback_scan_determinismE0ELb1ES3_N6thrust23THRUST_200600_302600_NS6detail15normal_iteratorINS9_10device_ptrIxEEEESE_SE_xNS9_4plusIvEENS9_8equal_toIvEExEE10hipError_tPvRmT2_T3_T4_T5_mT6_T7_P12ihipStream_tbENKUlT_T0_E_clISt17integral_constantIbLb0EESY_IbLb1EEEEDaSU_SV_EUlSU_E_NS1_11comp_targetILNS1_3genE9ELNS1_11target_archE1100ELNS1_3gpuE3ELNS1_3repE0EEENS1_30default_config_static_selectorELNS0_4arch9wavefront6targetE0EEEvT1_
    .private_segment_fixed_size: 0
    .sgpr_count:     0
    .sgpr_spill_count: 0
    .symbol:         _ZN7rocprim17ROCPRIM_400000_NS6detail17trampoline_kernelINS0_14default_configENS1_27scan_by_key_config_selectorIxxEEZZNS1_16scan_by_key_implILNS1_25lookback_scan_determinismE0ELb1ES3_N6thrust23THRUST_200600_302600_NS6detail15normal_iteratorINS9_10device_ptrIxEEEESE_SE_xNS9_4plusIvEENS9_8equal_toIvEExEE10hipError_tPvRmT2_T3_T4_T5_mT6_T7_P12ihipStream_tbENKUlT_T0_E_clISt17integral_constantIbLb0EESY_IbLb1EEEEDaSU_SV_EUlSU_E_NS1_11comp_targetILNS1_3genE9ELNS1_11target_archE1100ELNS1_3gpuE3ELNS1_3repE0EEENS1_30default_config_static_selectorELNS0_4arch9wavefront6targetE0EEEvT1_.kd
    .uniform_work_group_size: 1
    .uses_dynamic_stack: false
    .vgpr_count:     0
    .vgpr_spill_count: 0
    .wavefront_size: 32
  - .args:
      - .offset:         0
        .size:           136
        .value_kind:     by_value
    .group_segment_fixed_size: 0
    .kernarg_segment_align: 8
    .kernarg_segment_size: 136
    .language:       OpenCL C
    .language_version:
      - 2
      - 0
    .max_flat_workgroup_size: 256
    .name:           _ZN7rocprim17ROCPRIM_400000_NS6detail17trampoline_kernelINS0_14default_configENS1_27scan_by_key_config_selectorIxxEEZZNS1_16scan_by_key_implILNS1_25lookback_scan_determinismE0ELb1ES3_N6thrust23THRUST_200600_302600_NS6detail15normal_iteratorINS9_10device_ptrIxEEEESE_SE_xNS9_4plusIvEENS9_8equal_toIvEExEE10hipError_tPvRmT2_T3_T4_T5_mT6_T7_P12ihipStream_tbENKUlT_T0_E_clISt17integral_constantIbLb0EESY_IbLb1EEEEDaSU_SV_EUlSU_E_NS1_11comp_targetILNS1_3genE8ELNS1_11target_archE1030ELNS1_3gpuE2ELNS1_3repE0EEENS1_30default_config_static_selectorELNS0_4arch9wavefront6targetE0EEEvT1_
    .private_segment_fixed_size: 0
    .sgpr_count:     0
    .sgpr_spill_count: 0
    .symbol:         _ZN7rocprim17ROCPRIM_400000_NS6detail17trampoline_kernelINS0_14default_configENS1_27scan_by_key_config_selectorIxxEEZZNS1_16scan_by_key_implILNS1_25lookback_scan_determinismE0ELb1ES3_N6thrust23THRUST_200600_302600_NS6detail15normal_iteratorINS9_10device_ptrIxEEEESE_SE_xNS9_4plusIvEENS9_8equal_toIvEExEE10hipError_tPvRmT2_T3_T4_T5_mT6_T7_P12ihipStream_tbENKUlT_T0_E_clISt17integral_constantIbLb0EESY_IbLb1EEEEDaSU_SV_EUlSU_E_NS1_11comp_targetILNS1_3genE8ELNS1_11target_archE1030ELNS1_3gpuE2ELNS1_3repE0EEENS1_30default_config_static_selectorELNS0_4arch9wavefront6targetE0EEEvT1_.kd
    .uniform_work_group_size: 1
    .uses_dynamic_stack: false
    .vgpr_count:     0
    .vgpr_spill_count: 0
    .wavefront_size: 32
  - .args:
      - .offset:         0
        .size:           136
        .value_kind:     by_value
    .group_segment_fixed_size: 32768
    .kernarg_segment_align: 8
    .kernarg_segment_size: 136
    .language:       OpenCL C
    .language_version:
      - 2
      - 0
    .max_flat_workgroup_size: 256
    .name:           _ZN7rocprim17ROCPRIM_400000_NS6detail17trampoline_kernelINS0_14default_configENS1_27scan_by_key_config_selectorIxxEEZZNS1_16scan_by_key_implILNS1_25lookback_scan_determinismE0ELb1ES3_N6thrust23THRUST_200600_302600_NS6detail15normal_iteratorINS9_10device_ptrIxEEEESE_SE_xNS9_10multipliesIxEENS9_8equal_toIxEExEE10hipError_tPvRmT2_T3_T4_T5_mT6_T7_P12ihipStream_tbENKUlT_T0_E_clISt17integral_constantIbLb0EESZ_EEDaSU_SV_EUlSU_E_NS1_11comp_targetILNS1_3genE0ELNS1_11target_archE4294967295ELNS1_3gpuE0ELNS1_3repE0EEENS1_30default_config_static_selectorELNS0_4arch9wavefront6targetE0EEEvT1_
    .private_segment_fixed_size: 0
    .sgpr_count:     59
    .sgpr_spill_count: 0
    .symbol:         _ZN7rocprim17ROCPRIM_400000_NS6detail17trampoline_kernelINS0_14default_configENS1_27scan_by_key_config_selectorIxxEEZZNS1_16scan_by_key_implILNS1_25lookback_scan_determinismE0ELb1ES3_N6thrust23THRUST_200600_302600_NS6detail15normal_iteratorINS9_10device_ptrIxEEEESE_SE_xNS9_10multipliesIxEENS9_8equal_toIxEExEE10hipError_tPvRmT2_T3_T4_T5_mT6_T7_P12ihipStream_tbENKUlT_T0_E_clISt17integral_constantIbLb0EESZ_EEDaSU_SV_EUlSU_E_NS1_11comp_targetILNS1_3genE0ELNS1_11target_archE4294967295ELNS1_3gpuE0ELNS1_3repE0EEENS1_30default_config_static_selectorELNS0_4arch9wavefront6targetE0EEEvT1_.kd
    .uniform_work_group_size: 1
    .uses_dynamic_stack: false
    .vgpr_count:     113
    .vgpr_spill_count: 0
    .wavefront_size: 32
  - .args:
      - .offset:         0
        .size:           136
        .value_kind:     by_value
    .group_segment_fixed_size: 0
    .kernarg_segment_align: 8
    .kernarg_segment_size: 136
    .language:       OpenCL C
    .language_version:
      - 2
      - 0
    .max_flat_workgroup_size: 256
    .name:           _ZN7rocprim17ROCPRIM_400000_NS6detail17trampoline_kernelINS0_14default_configENS1_27scan_by_key_config_selectorIxxEEZZNS1_16scan_by_key_implILNS1_25lookback_scan_determinismE0ELb1ES3_N6thrust23THRUST_200600_302600_NS6detail15normal_iteratorINS9_10device_ptrIxEEEESE_SE_xNS9_10multipliesIxEENS9_8equal_toIxEExEE10hipError_tPvRmT2_T3_T4_T5_mT6_T7_P12ihipStream_tbENKUlT_T0_E_clISt17integral_constantIbLb0EESZ_EEDaSU_SV_EUlSU_E_NS1_11comp_targetILNS1_3genE10ELNS1_11target_archE1201ELNS1_3gpuE5ELNS1_3repE0EEENS1_30default_config_static_selectorELNS0_4arch9wavefront6targetE0EEEvT1_
    .private_segment_fixed_size: 0
    .sgpr_count:     0
    .sgpr_spill_count: 0
    .symbol:         _ZN7rocprim17ROCPRIM_400000_NS6detail17trampoline_kernelINS0_14default_configENS1_27scan_by_key_config_selectorIxxEEZZNS1_16scan_by_key_implILNS1_25lookback_scan_determinismE0ELb1ES3_N6thrust23THRUST_200600_302600_NS6detail15normal_iteratorINS9_10device_ptrIxEEEESE_SE_xNS9_10multipliesIxEENS9_8equal_toIxEExEE10hipError_tPvRmT2_T3_T4_T5_mT6_T7_P12ihipStream_tbENKUlT_T0_E_clISt17integral_constantIbLb0EESZ_EEDaSU_SV_EUlSU_E_NS1_11comp_targetILNS1_3genE10ELNS1_11target_archE1201ELNS1_3gpuE5ELNS1_3repE0EEENS1_30default_config_static_selectorELNS0_4arch9wavefront6targetE0EEEvT1_.kd
    .uniform_work_group_size: 1
    .uses_dynamic_stack: false
    .vgpr_count:     0
    .vgpr_spill_count: 0
    .wavefront_size: 32
  - .args:
      - .offset:         0
        .size:           136
        .value_kind:     by_value
    .group_segment_fixed_size: 0
    .kernarg_segment_align: 8
    .kernarg_segment_size: 136
    .language:       OpenCL C
    .language_version:
      - 2
      - 0
    .max_flat_workgroup_size: 256
    .name:           _ZN7rocprim17ROCPRIM_400000_NS6detail17trampoline_kernelINS0_14default_configENS1_27scan_by_key_config_selectorIxxEEZZNS1_16scan_by_key_implILNS1_25lookback_scan_determinismE0ELb1ES3_N6thrust23THRUST_200600_302600_NS6detail15normal_iteratorINS9_10device_ptrIxEEEESE_SE_xNS9_10multipliesIxEENS9_8equal_toIxEExEE10hipError_tPvRmT2_T3_T4_T5_mT6_T7_P12ihipStream_tbENKUlT_T0_E_clISt17integral_constantIbLb0EESZ_EEDaSU_SV_EUlSU_E_NS1_11comp_targetILNS1_3genE5ELNS1_11target_archE942ELNS1_3gpuE9ELNS1_3repE0EEENS1_30default_config_static_selectorELNS0_4arch9wavefront6targetE0EEEvT1_
    .private_segment_fixed_size: 0
    .sgpr_count:     0
    .sgpr_spill_count: 0
    .symbol:         _ZN7rocprim17ROCPRIM_400000_NS6detail17trampoline_kernelINS0_14default_configENS1_27scan_by_key_config_selectorIxxEEZZNS1_16scan_by_key_implILNS1_25lookback_scan_determinismE0ELb1ES3_N6thrust23THRUST_200600_302600_NS6detail15normal_iteratorINS9_10device_ptrIxEEEESE_SE_xNS9_10multipliesIxEENS9_8equal_toIxEExEE10hipError_tPvRmT2_T3_T4_T5_mT6_T7_P12ihipStream_tbENKUlT_T0_E_clISt17integral_constantIbLb0EESZ_EEDaSU_SV_EUlSU_E_NS1_11comp_targetILNS1_3genE5ELNS1_11target_archE942ELNS1_3gpuE9ELNS1_3repE0EEENS1_30default_config_static_selectorELNS0_4arch9wavefront6targetE0EEEvT1_.kd
    .uniform_work_group_size: 1
    .uses_dynamic_stack: false
    .vgpr_count:     0
    .vgpr_spill_count: 0
    .wavefront_size: 32
  - .args:
      - .offset:         0
        .size:           136
        .value_kind:     by_value
    .group_segment_fixed_size: 0
    .kernarg_segment_align: 8
    .kernarg_segment_size: 136
    .language:       OpenCL C
    .language_version:
      - 2
      - 0
    .max_flat_workgroup_size: 64
    .name:           _ZN7rocprim17ROCPRIM_400000_NS6detail17trampoline_kernelINS0_14default_configENS1_27scan_by_key_config_selectorIxxEEZZNS1_16scan_by_key_implILNS1_25lookback_scan_determinismE0ELb1ES3_N6thrust23THRUST_200600_302600_NS6detail15normal_iteratorINS9_10device_ptrIxEEEESE_SE_xNS9_10multipliesIxEENS9_8equal_toIxEExEE10hipError_tPvRmT2_T3_T4_T5_mT6_T7_P12ihipStream_tbENKUlT_T0_E_clISt17integral_constantIbLb0EESZ_EEDaSU_SV_EUlSU_E_NS1_11comp_targetILNS1_3genE4ELNS1_11target_archE910ELNS1_3gpuE8ELNS1_3repE0EEENS1_30default_config_static_selectorELNS0_4arch9wavefront6targetE0EEEvT1_
    .private_segment_fixed_size: 0
    .sgpr_count:     0
    .sgpr_spill_count: 0
    .symbol:         _ZN7rocprim17ROCPRIM_400000_NS6detail17trampoline_kernelINS0_14default_configENS1_27scan_by_key_config_selectorIxxEEZZNS1_16scan_by_key_implILNS1_25lookback_scan_determinismE0ELb1ES3_N6thrust23THRUST_200600_302600_NS6detail15normal_iteratorINS9_10device_ptrIxEEEESE_SE_xNS9_10multipliesIxEENS9_8equal_toIxEExEE10hipError_tPvRmT2_T3_T4_T5_mT6_T7_P12ihipStream_tbENKUlT_T0_E_clISt17integral_constantIbLb0EESZ_EEDaSU_SV_EUlSU_E_NS1_11comp_targetILNS1_3genE4ELNS1_11target_archE910ELNS1_3gpuE8ELNS1_3repE0EEENS1_30default_config_static_selectorELNS0_4arch9wavefront6targetE0EEEvT1_.kd
    .uniform_work_group_size: 1
    .uses_dynamic_stack: false
    .vgpr_count:     0
    .vgpr_spill_count: 0
    .wavefront_size: 32
  - .args:
      - .offset:         0
        .size:           136
        .value_kind:     by_value
    .group_segment_fixed_size: 0
    .kernarg_segment_align: 8
    .kernarg_segment_size: 136
    .language:       OpenCL C
    .language_version:
      - 2
      - 0
    .max_flat_workgroup_size: 256
    .name:           _ZN7rocprim17ROCPRIM_400000_NS6detail17trampoline_kernelINS0_14default_configENS1_27scan_by_key_config_selectorIxxEEZZNS1_16scan_by_key_implILNS1_25lookback_scan_determinismE0ELb1ES3_N6thrust23THRUST_200600_302600_NS6detail15normal_iteratorINS9_10device_ptrIxEEEESE_SE_xNS9_10multipliesIxEENS9_8equal_toIxEExEE10hipError_tPvRmT2_T3_T4_T5_mT6_T7_P12ihipStream_tbENKUlT_T0_E_clISt17integral_constantIbLb0EESZ_EEDaSU_SV_EUlSU_E_NS1_11comp_targetILNS1_3genE3ELNS1_11target_archE908ELNS1_3gpuE7ELNS1_3repE0EEENS1_30default_config_static_selectorELNS0_4arch9wavefront6targetE0EEEvT1_
    .private_segment_fixed_size: 0
    .sgpr_count:     0
    .sgpr_spill_count: 0
    .symbol:         _ZN7rocprim17ROCPRIM_400000_NS6detail17trampoline_kernelINS0_14default_configENS1_27scan_by_key_config_selectorIxxEEZZNS1_16scan_by_key_implILNS1_25lookback_scan_determinismE0ELb1ES3_N6thrust23THRUST_200600_302600_NS6detail15normal_iteratorINS9_10device_ptrIxEEEESE_SE_xNS9_10multipliesIxEENS9_8equal_toIxEExEE10hipError_tPvRmT2_T3_T4_T5_mT6_T7_P12ihipStream_tbENKUlT_T0_E_clISt17integral_constantIbLb0EESZ_EEDaSU_SV_EUlSU_E_NS1_11comp_targetILNS1_3genE3ELNS1_11target_archE908ELNS1_3gpuE7ELNS1_3repE0EEENS1_30default_config_static_selectorELNS0_4arch9wavefront6targetE0EEEvT1_.kd
    .uniform_work_group_size: 1
    .uses_dynamic_stack: false
    .vgpr_count:     0
    .vgpr_spill_count: 0
    .wavefront_size: 32
  - .args:
      - .offset:         0
        .size:           136
        .value_kind:     by_value
    .group_segment_fixed_size: 0
    .kernarg_segment_align: 8
    .kernarg_segment_size: 136
    .language:       OpenCL C
    .language_version:
      - 2
      - 0
    .max_flat_workgroup_size: 256
    .name:           _ZN7rocprim17ROCPRIM_400000_NS6detail17trampoline_kernelINS0_14default_configENS1_27scan_by_key_config_selectorIxxEEZZNS1_16scan_by_key_implILNS1_25lookback_scan_determinismE0ELb1ES3_N6thrust23THRUST_200600_302600_NS6detail15normal_iteratorINS9_10device_ptrIxEEEESE_SE_xNS9_10multipliesIxEENS9_8equal_toIxEExEE10hipError_tPvRmT2_T3_T4_T5_mT6_T7_P12ihipStream_tbENKUlT_T0_E_clISt17integral_constantIbLb0EESZ_EEDaSU_SV_EUlSU_E_NS1_11comp_targetILNS1_3genE2ELNS1_11target_archE906ELNS1_3gpuE6ELNS1_3repE0EEENS1_30default_config_static_selectorELNS0_4arch9wavefront6targetE0EEEvT1_
    .private_segment_fixed_size: 0
    .sgpr_count:     0
    .sgpr_spill_count: 0
    .symbol:         _ZN7rocprim17ROCPRIM_400000_NS6detail17trampoline_kernelINS0_14default_configENS1_27scan_by_key_config_selectorIxxEEZZNS1_16scan_by_key_implILNS1_25lookback_scan_determinismE0ELb1ES3_N6thrust23THRUST_200600_302600_NS6detail15normal_iteratorINS9_10device_ptrIxEEEESE_SE_xNS9_10multipliesIxEENS9_8equal_toIxEExEE10hipError_tPvRmT2_T3_T4_T5_mT6_T7_P12ihipStream_tbENKUlT_T0_E_clISt17integral_constantIbLb0EESZ_EEDaSU_SV_EUlSU_E_NS1_11comp_targetILNS1_3genE2ELNS1_11target_archE906ELNS1_3gpuE6ELNS1_3repE0EEENS1_30default_config_static_selectorELNS0_4arch9wavefront6targetE0EEEvT1_.kd
    .uniform_work_group_size: 1
    .uses_dynamic_stack: false
    .vgpr_count:     0
    .vgpr_spill_count: 0
    .wavefront_size: 32
  - .args:
      - .offset:         0
        .size:           136
        .value_kind:     by_value
    .group_segment_fixed_size: 0
    .kernarg_segment_align: 8
    .kernarg_segment_size: 136
    .language:       OpenCL C
    .language_version:
      - 2
      - 0
    .max_flat_workgroup_size: 256
    .name:           _ZN7rocprim17ROCPRIM_400000_NS6detail17trampoline_kernelINS0_14default_configENS1_27scan_by_key_config_selectorIxxEEZZNS1_16scan_by_key_implILNS1_25lookback_scan_determinismE0ELb1ES3_N6thrust23THRUST_200600_302600_NS6detail15normal_iteratorINS9_10device_ptrIxEEEESE_SE_xNS9_10multipliesIxEENS9_8equal_toIxEExEE10hipError_tPvRmT2_T3_T4_T5_mT6_T7_P12ihipStream_tbENKUlT_T0_E_clISt17integral_constantIbLb0EESZ_EEDaSU_SV_EUlSU_E_NS1_11comp_targetILNS1_3genE10ELNS1_11target_archE1200ELNS1_3gpuE4ELNS1_3repE0EEENS1_30default_config_static_selectorELNS0_4arch9wavefront6targetE0EEEvT1_
    .private_segment_fixed_size: 0
    .sgpr_count:     0
    .sgpr_spill_count: 0
    .symbol:         _ZN7rocprim17ROCPRIM_400000_NS6detail17trampoline_kernelINS0_14default_configENS1_27scan_by_key_config_selectorIxxEEZZNS1_16scan_by_key_implILNS1_25lookback_scan_determinismE0ELb1ES3_N6thrust23THRUST_200600_302600_NS6detail15normal_iteratorINS9_10device_ptrIxEEEESE_SE_xNS9_10multipliesIxEENS9_8equal_toIxEExEE10hipError_tPvRmT2_T3_T4_T5_mT6_T7_P12ihipStream_tbENKUlT_T0_E_clISt17integral_constantIbLb0EESZ_EEDaSU_SV_EUlSU_E_NS1_11comp_targetILNS1_3genE10ELNS1_11target_archE1200ELNS1_3gpuE4ELNS1_3repE0EEENS1_30default_config_static_selectorELNS0_4arch9wavefront6targetE0EEEvT1_.kd
    .uniform_work_group_size: 1
    .uses_dynamic_stack: false
    .vgpr_count:     0
    .vgpr_spill_count: 0
    .wavefront_size: 32
  - .args:
      - .offset:         0
        .size:           136
        .value_kind:     by_value
    .group_segment_fixed_size: 0
    .kernarg_segment_align: 8
    .kernarg_segment_size: 136
    .language:       OpenCL C
    .language_version:
      - 2
      - 0
    .max_flat_workgroup_size: 256
    .name:           _ZN7rocprim17ROCPRIM_400000_NS6detail17trampoline_kernelINS0_14default_configENS1_27scan_by_key_config_selectorIxxEEZZNS1_16scan_by_key_implILNS1_25lookback_scan_determinismE0ELb1ES3_N6thrust23THRUST_200600_302600_NS6detail15normal_iteratorINS9_10device_ptrIxEEEESE_SE_xNS9_10multipliesIxEENS9_8equal_toIxEExEE10hipError_tPvRmT2_T3_T4_T5_mT6_T7_P12ihipStream_tbENKUlT_T0_E_clISt17integral_constantIbLb0EESZ_EEDaSU_SV_EUlSU_E_NS1_11comp_targetILNS1_3genE9ELNS1_11target_archE1100ELNS1_3gpuE3ELNS1_3repE0EEENS1_30default_config_static_selectorELNS0_4arch9wavefront6targetE0EEEvT1_
    .private_segment_fixed_size: 0
    .sgpr_count:     0
    .sgpr_spill_count: 0
    .symbol:         _ZN7rocprim17ROCPRIM_400000_NS6detail17trampoline_kernelINS0_14default_configENS1_27scan_by_key_config_selectorIxxEEZZNS1_16scan_by_key_implILNS1_25lookback_scan_determinismE0ELb1ES3_N6thrust23THRUST_200600_302600_NS6detail15normal_iteratorINS9_10device_ptrIxEEEESE_SE_xNS9_10multipliesIxEENS9_8equal_toIxEExEE10hipError_tPvRmT2_T3_T4_T5_mT6_T7_P12ihipStream_tbENKUlT_T0_E_clISt17integral_constantIbLb0EESZ_EEDaSU_SV_EUlSU_E_NS1_11comp_targetILNS1_3genE9ELNS1_11target_archE1100ELNS1_3gpuE3ELNS1_3repE0EEENS1_30default_config_static_selectorELNS0_4arch9wavefront6targetE0EEEvT1_.kd
    .uniform_work_group_size: 1
    .uses_dynamic_stack: false
    .vgpr_count:     0
    .vgpr_spill_count: 0
    .wavefront_size: 32
  - .args:
      - .offset:         0
        .size:           136
        .value_kind:     by_value
    .group_segment_fixed_size: 0
    .kernarg_segment_align: 8
    .kernarg_segment_size: 136
    .language:       OpenCL C
    .language_version:
      - 2
      - 0
    .max_flat_workgroup_size: 256
    .name:           _ZN7rocprim17ROCPRIM_400000_NS6detail17trampoline_kernelINS0_14default_configENS1_27scan_by_key_config_selectorIxxEEZZNS1_16scan_by_key_implILNS1_25lookback_scan_determinismE0ELb1ES3_N6thrust23THRUST_200600_302600_NS6detail15normal_iteratorINS9_10device_ptrIxEEEESE_SE_xNS9_10multipliesIxEENS9_8equal_toIxEExEE10hipError_tPvRmT2_T3_T4_T5_mT6_T7_P12ihipStream_tbENKUlT_T0_E_clISt17integral_constantIbLb0EESZ_EEDaSU_SV_EUlSU_E_NS1_11comp_targetILNS1_3genE8ELNS1_11target_archE1030ELNS1_3gpuE2ELNS1_3repE0EEENS1_30default_config_static_selectorELNS0_4arch9wavefront6targetE0EEEvT1_
    .private_segment_fixed_size: 0
    .sgpr_count:     0
    .sgpr_spill_count: 0
    .symbol:         _ZN7rocprim17ROCPRIM_400000_NS6detail17trampoline_kernelINS0_14default_configENS1_27scan_by_key_config_selectorIxxEEZZNS1_16scan_by_key_implILNS1_25lookback_scan_determinismE0ELb1ES3_N6thrust23THRUST_200600_302600_NS6detail15normal_iteratorINS9_10device_ptrIxEEEESE_SE_xNS9_10multipliesIxEENS9_8equal_toIxEExEE10hipError_tPvRmT2_T3_T4_T5_mT6_T7_P12ihipStream_tbENKUlT_T0_E_clISt17integral_constantIbLb0EESZ_EEDaSU_SV_EUlSU_E_NS1_11comp_targetILNS1_3genE8ELNS1_11target_archE1030ELNS1_3gpuE2ELNS1_3repE0EEENS1_30default_config_static_selectorELNS0_4arch9wavefront6targetE0EEEvT1_.kd
    .uniform_work_group_size: 1
    .uses_dynamic_stack: false
    .vgpr_count:     0
    .vgpr_spill_count: 0
    .wavefront_size: 32
  - .args:
      - .offset:         0
        .size:           136
        .value_kind:     by_value
    .group_segment_fixed_size: 0
    .kernarg_segment_align: 8
    .kernarg_segment_size: 136
    .language:       OpenCL C
    .language_version:
      - 2
      - 0
    .max_flat_workgroup_size: 256
    .name:           _ZN7rocprim17ROCPRIM_400000_NS6detail17trampoline_kernelINS0_14default_configENS1_27scan_by_key_config_selectorIxxEEZZNS1_16scan_by_key_implILNS1_25lookback_scan_determinismE0ELb1ES3_N6thrust23THRUST_200600_302600_NS6detail15normal_iteratorINS9_10device_ptrIxEEEESE_SE_xNS9_10multipliesIxEENS9_8equal_toIxEExEE10hipError_tPvRmT2_T3_T4_T5_mT6_T7_P12ihipStream_tbENKUlT_T0_E_clISt17integral_constantIbLb1EESZ_EEDaSU_SV_EUlSU_E_NS1_11comp_targetILNS1_3genE0ELNS1_11target_archE4294967295ELNS1_3gpuE0ELNS1_3repE0EEENS1_30default_config_static_selectorELNS0_4arch9wavefront6targetE0EEEvT1_
    .private_segment_fixed_size: 0
    .sgpr_count:     0
    .sgpr_spill_count: 0
    .symbol:         _ZN7rocprim17ROCPRIM_400000_NS6detail17trampoline_kernelINS0_14default_configENS1_27scan_by_key_config_selectorIxxEEZZNS1_16scan_by_key_implILNS1_25lookback_scan_determinismE0ELb1ES3_N6thrust23THRUST_200600_302600_NS6detail15normal_iteratorINS9_10device_ptrIxEEEESE_SE_xNS9_10multipliesIxEENS9_8equal_toIxEExEE10hipError_tPvRmT2_T3_T4_T5_mT6_T7_P12ihipStream_tbENKUlT_T0_E_clISt17integral_constantIbLb1EESZ_EEDaSU_SV_EUlSU_E_NS1_11comp_targetILNS1_3genE0ELNS1_11target_archE4294967295ELNS1_3gpuE0ELNS1_3repE0EEENS1_30default_config_static_selectorELNS0_4arch9wavefront6targetE0EEEvT1_.kd
    .uniform_work_group_size: 1
    .uses_dynamic_stack: false
    .vgpr_count:     0
    .vgpr_spill_count: 0
    .wavefront_size: 32
  - .args:
      - .offset:         0
        .size:           136
        .value_kind:     by_value
    .group_segment_fixed_size: 0
    .kernarg_segment_align: 8
    .kernarg_segment_size: 136
    .language:       OpenCL C
    .language_version:
      - 2
      - 0
    .max_flat_workgroup_size: 256
    .name:           _ZN7rocprim17ROCPRIM_400000_NS6detail17trampoline_kernelINS0_14default_configENS1_27scan_by_key_config_selectorIxxEEZZNS1_16scan_by_key_implILNS1_25lookback_scan_determinismE0ELb1ES3_N6thrust23THRUST_200600_302600_NS6detail15normal_iteratorINS9_10device_ptrIxEEEESE_SE_xNS9_10multipliesIxEENS9_8equal_toIxEExEE10hipError_tPvRmT2_T3_T4_T5_mT6_T7_P12ihipStream_tbENKUlT_T0_E_clISt17integral_constantIbLb1EESZ_EEDaSU_SV_EUlSU_E_NS1_11comp_targetILNS1_3genE10ELNS1_11target_archE1201ELNS1_3gpuE5ELNS1_3repE0EEENS1_30default_config_static_selectorELNS0_4arch9wavefront6targetE0EEEvT1_
    .private_segment_fixed_size: 0
    .sgpr_count:     0
    .sgpr_spill_count: 0
    .symbol:         _ZN7rocprim17ROCPRIM_400000_NS6detail17trampoline_kernelINS0_14default_configENS1_27scan_by_key_config_selectorIxxEEZZNS1_16scan_by_key_implILNS1_25lookback_scan_determinismE0ELb1ES3_N6thrust23THRUST_200600_302600_NS6detail15normal_iteratorINS9_10device_ptrIxEEEESE_SE_xNS9_10multipliesIxEENS9_8equal_toIxEExEE10hipError_tPvRmT2_T3_T4_T5_mT6_T7_P12ihipStream_tbENKUlT_T0_E_clISt17integral_constantIbLb1EESZ_EEDaSU_SV_EUlSU_E_NS1_11comp_targetILNS1_3genE10ELNS1_11target_archE1201ELNS1_3gpuE5ELNS1_3repE0EEENS1_30default_config_static_selectorELNS0_4arch9wavefront6targetE0EEEvT1_.kd
    .uniform_work_group_size: 1
    .uses_dynamic_stack: false
    .vgpr_count:     0
    .vgpr_spill_count: 0
    .wavefront_size: 32
  - .args:
      - .offset:         0
        .size:           136
        .value_kind:     by_value
    .group_segment_fixed_size: 0
    .kernarg_segment_align: 8
    .kernarg_segment_size: 136
    .language:       OpenCL C
    .language_version:
      - 2
      - 0
    .max_flat_workgroup_size: 256
    .name:           _ZN7rocprim17ROCPRIM_400000_NS6detail17trampoline_kernelINS0_14default_configENS1_27scan_by_key_config_selectorIxxEEZZNS1_16scan_by_key_implILNS1_25lookback_scan_determinismE0ELb1ES3_N6thrust23THRUST_200600_302600_NS6detail15normal_iteratorINS9_10device_ptrIxEEEESE_SE_xNS9_10multipliesIxEENS9_8equal_toIxEExEE10hipError_tPvRmT2_T3_T4_T5_mT6_T7_P12ihipStream_tbENKUlT_T0_E_clISt17integral_constantIbLb1EESZ_EEDaSU_SV_EUlSU_E_NS1_11comp_targetILNS1_3genE5ELNS1_11target_archE942ELNS1_3gpuE9ELNS1_3repE0EEENS1_30default_config_static_selectorELNS0_4arch9wavefront6targetE0EEEvT1_
    .private_segment_fixed_size: 0
    .sgpr_count:     0
    .sgpr_spill_count: 0
    .symbol:         _ZN7rocprim17ROCPRIM_400000_NS6detail17trampoline_kernelINS0_14default_configENS1_27scan_by_key_config_selectorIxxEEZZNS1_16scan_by_key_implILNS1_25lookback_scan_determinismE0ELb1ES3_N6thrust23THRUST_200600_302600_NS6detail15normal_iteratorINS9_10device_ptrIxEEEESE_SE_xNS9_10multipliesIxEENS9_8equal_toIxEExEE10hipError_tPvRmT2_T3_T4_T5_mT6_T7_P12ihipStream_tbENKUlT_T0_E_clISt17integral_constantIbLb1EESZ_EEDaSU_SV_EUlSU_E_NS1_11comp_targetILNS1_3genE5ELNS1_11target_archE942ELNS1_3gpuE9ELNS1_3repE0EEENS1_30default_config_static_selectorELNS0_4arch9wavefront6targetE0EEEvT1_.kd
    .uniform_work_group_size: 1
    .uses_dynamic_stack: false
    .vgpr_count:     0
    .vgpr_spill_count: 0
    .wavefront_size: 32
  - .args:
      - .offset:         0
        .size:           136
        .value_kind:     by_value
    .group_segment_fixed_size: 0
    .kernarg_segment_align: 8
    .kernarg_segment_size: 136
    .language:       OpenCL C
    .language_version:
      - 2
      - 0
    .max_flat_workgroup_size: 64
    .name:           _ZN7rocprim17ROCPRIM_400000_NS6detail17trampoline_kernelINS0_14default_configENS1_27scan_by_key_config_selectorIxxEEZZNS1_16scan_by_key_implILNS1_25lookback_scan_determinismE0ELb1ES3_N6thrust23THRUST_200600_302600_NS6detail15normal_iteratorINS9_10device_ptrIxEEEESE_SE_xNS9_10multipliesIxEENS9_8equal_toIxEExEE10hipError_tPvRmT2_T3_T4_T5_mT6_T7_P12ihipStream_tbENKUlT_T0_E_clISt17integral_constantIbLb1EESZ_EEDaSU_SV_EUlSU_E_NS1_11comp_targetILNS1_3genE4ELNS1_11target_archE910ELNS1_3gpuE8ELNS1_3repE0EEENS1_30default_config_static_selectorELNS0_4arch9wavefront6targetE0EEEvT1_
    .private_segment_fixed_size: 0
    .sgpr_count:     0
    .sgpr_spill_count: 0
    .symbol:         _ZN7rocprim17ROCPRIM_400000_NS6detail17trampoline_kernelINS0_14default_configENS1_27scan_by_key_config_selectorIxxEEZZNS1_16scan_by_key_implILNS1_25lookback_scan_determinismE0ELb1ES3_N6thrust23THRUST_200600_302600_NS6detail15normal_iteratorINS9_10device_ptrIxEEEESE_SE_xNS9_10multipliesIxEENS9_8equal_toIxEExEE10hipError_tPvRmT2_T3_T4_T5_mT6_T7_P12ihipStream_tbENKUlT_T0_E_clISt17integral_constantIbLb1EESZ_EEDaSU_SV_EUlSU_E_NS1_11comp_targetILNS1_3genE4ELNS1_11target_archE910ELNS1_3gpuE8ELNS1_3repE0EEENS1_30default_config_static_selectorELNS0_4arch9wavefront6targetE0EEEvT1_.kd
    .uniform_work_group_size: 1
    .uses_dynamic_stack: false
    .vgpr_count:     0
    .vgpr_spill_count: 0
    .wavefront_size: 32
  - .args:
      - .offset:         0
        .size:           136
        .value_kind:     by_value
    .group_segment_fixed_size: 0
    .kernarg_segment_align: 8
    .kernarg_segment_size: 136
    .language:       OpenCL C
    .language_version:
      - 2
      - 0
    .max_flat_workgroup_size: 256
    .name:           _ZN7rocprim17ROCPRIM_400000_NS6detail17trampoline_kernelINS0_14default_configENS1_27scan_by_key_config_selectorIxxEEZZNS1_16scan_by_key_implILNS1_25lookback_scan_determinismE0ELb1ES3_N6thrust23THRUST_200600_302600_NS6detail15normal_iteratorINS9_10device_ptrIxEEEESE_SE_xNS9_10multipliesIxEENS9_8equal_toIxEExEE10hipError_tPvRmT2_T3_T4_T5_mT6_T7_P12ihipStream_tbENKUlT_T0_E_clISt17integral_constantIbLb1EESZ_EEDaSU_SV_EUlSU_E_NS1_11comp_targetILNS1_3genE3ELNS1_11target_archE908ELNS1_3gpuE7ELNS1_3repE0EEENS1_30default_config_static_selectorELNS0_4arch9wavefront6targetE0EEEvT1_
    .private_segment_fixed_size: 0
    .sgpr_count:     0
    .sgpr_spill_count: 0
    .symbol:         _ZN7rocprim17ROCPRIM_400000_NS6detail17trampoline_kernelINS0_14default_configENS1_27scan_by_key_config_selectorIxxEEZZNS1_16scan_by_key_implILNS1_25lookback_scan_determinismE0ELb1ES3_N6thrust23THRUST_200600_302600_NS6detail15normal_iteratorINS9_10device_ptrIxEEEESE_SE_xNS9_10multipliesIxEENS9_8equal_toIxEExEE10hipError_tPvRmT2_T3_T4_T5_mT6_T7_P12ihipStream_tbENKUlT_T0_E_clISt17integral_constantIbLb1EESZ_EEDaSU_SV_EUlSU_E_NS1_11comp_targetILNS1_3genE3ELNS1_11target_archE908ELNS1_3gpuE7ELNS1_3repE0EEENS1_30default_config_static_selectorELNS0_4arch9wavefront6targetE0EEEvT1_.kd
    .uniform_work_group_size: 1
    .uses_dynamic_stack: false
    .vgpr_count:     0
    .vgpr_spill_count: 0
    .wavefront_size: 32
  - .args:
      - .offset:         0
        .size:           136
        .value_kind:     by_value
    .group_segment_fixed_size: 0
    .kernarg_segment_align: 8
    .kernarg_segment_size: 136
    .language:       OpenCL C
    .language_version:
      - 2
      - 0
    .max_flat_workgroup_size: 256
    .name:           _ZN7rocprim17ROCPRIM_400000_NS6detail17trampoline_kernelINS0_14default_configENS1_27scan_by_key_config_selectorIxxEEZZNS1_16scan_by_key_implILNS1_25lookback_scan_determinismE0ELb1ES3_N6thrust23THRUST_200600_302600_NS6detail15normal_iteratorINS9_10device_ptrIxEEEESE_SE_xNS9_10multipliesIxEENS9_8equal_toIxEExEE10hipError_tPvRmT2_T3_T4_T5_mT6_T7_P12ihipStream_tbENKUlT_T0_E_clISt17integral_constantIbLb1EESZ_EEDaSU_SV_EUlSU_E_NS1_11comp_targetILNS1_3genE2ELNS1_11target_archE906ELNS1_3gpuE6ELNS1_3repE0EEENS1_30default_config_static_selectorELNS0_4arch9wavefront6targetE0EEEvT1_
    .private_segment_fixed_size: 0
    .sgpr_count:     0
    .sgpr_spill_count: 0
    .symbol:         _ZN7rocprim17ROCPRIM_400000_NS6detail17trampoline_kernelINS0_14default_configENS1_27scan_by_key_config_selectorIxxEEZZNS1_16scan_by_key_implILNS1_25lookback_scan_determinismE0ELb1ES3_N6thrust23THRUST_200600_302600_NS6detail15normal_iteratorINS9_10device_ptrIxEEEESE_SE_xNS9_10multipliesIxEENS9_8equal_toIxEExEE10hipError_tPvRmT2_T3_T4_T5_mT6_T7_P12ihipStream_tbENKUlT_T0_E_clISt17integral_constantIbLb1EESZ_EEDaSU_SV_EUlSU_E_NS1_11comp_targetILNS1_3genE2ELNS1_11target_archE906ELNS1_3gpuE6ELNS1_3repE0EEENS1_30default_config_static_selectorELNS0_4arch9wavefront6targetE0EEEvT1_.kd
    .uniform_work_group_size: 1
    .uses_dynamic_stack: false
    .vgpr_count:     0
    .vgpr_spill_count: 0
    .wavefront_size: 32
  - .args:
      - .offset:         0
        .size:           136
        .value_kind:     by_value
    .group_segment_fixed_size: 0
    .kernarg_segment_align: 8
    .kernarg_segment_size: 136
    .language:       OpenCL C
    .language_version:
      - 2
      - 0
    .max_flat_workgroup_size: 256
    .name:           _ZN7rocprim17ROCPRIM_400000_NS6detail17trampoline_kernelINS0_14default_configENS1_27scan_by_key_config_selectorIxxEEZZNS1_16scan_by_key_implILNS1_25lookback_scan_determinismE0ELb1ES3_N6thrust23THRUST_200600_302600_NS6detail15normal_iteratorINS9_10device_ptrIxEEEESE_SE_xNS9_10multipliesIxEENS9_8equal_toIxEExEE10hipError_tPvRmT2_T3_T4_T5_mT6_T7_P12ihipStream_tbENKUlT_T0_E_clISt17integral_constantIbLb1EESZ_EEDaSU_SV_EUlSU_E_NS1_11comp_targetILNS1_3genE10ELNS1_11target_archE1200ELNS1_3gpuE4ELNS1_3repE0EEENS1_30default_config_static_selectorELNS0_4arch9wavefront6targetE0EEEvT1_
    .private_segment_fixed_size: 0
    .sgpr_count:     0
    .sgpr_spill_count: 0
    .symbol:         _ZN7rocprim17ROCPRIM_400000_NS6detail17trampoline_kernelINS0_14default_configENS1_27scan_by_key_config_selectorIxxEEZZNS1_16scan_by_key_implILNS1_25lookback_scan_determinismE0ELb1ES3_N6thrust23THRUST_200600_302600_NS6detail15normal_iteratorINS9_10device_ptrIxEEEESE_SE_xNS9_10multipliesIxEENS9_8equal_toIxEExEE10hipError_tPvRmT2_T3_T4_T5_mT6_T7_P12ihipStream_tbENKUlT_T0_E_clISt17integral_constantIbLb1EESZ_EEDaSU_SV_EUlSU_E_NS1_11comp_targetILNS1_3genE10ELNS1_11target_archE1200ELNS1_3gpuE4ELNS1_3repE0EEENS1_30default_config_static_selectorELNS0_4arch9wavefront6targetE0EEEvT1_.kd
    .uniform_work_group_size: 1
    .uses_dynamic_stack: false
    .vgpr_count:     0
    .vgpr_spill_count: 0
    .wavefront_size: 32
  - .args:
      - .offset:         0
        .size:           136
        .value_kind:     by_value
    .group_segment_fixed_size: 0
    .kernarg_segment_align: 8
    .kernarg_segment_size: 136
    .language:       OpenCL C
    .language_version:
      - 2
      - 0
    .max_flat_workgroup_size: 256
    .name:           _ZN7rocprim17ROCPRIM_400000_NS6detail17trampoline_kernelINS0_14default_configENS1_27scan_by_key_config_selectorIxxEEZZNS1_16scan_by_key_implILNS1_25lookback_scan_determinismE0ELb1ES3_N6thrust23THRUST_200600_302600_NS6detail15normal_iteratorINS9_10device_ptrIxEEEESE_SE_xNS9_10multipliesIxEENS9_8equal_toIxEExEE10hipError_tPvRmT2_T3_T4_T5_mT6_T7_P12ihipStream_tbENKUlT_T0_E_clISt17integral_constantIbLb1EESZ_EEDaSU_SV_EUlSU_E_NS1_11comp_targetILNS1_3genE9ELNS1_11target_archE1100ELNS1_3gpuE3ELNS1_3repE0EEENS1_30default_config_static_selectorELNS0_4arch9wavefront6targetE0EEEvT1_
    .private_segment_fixed_size: 0
    .sgpr_count:     0
    .sgpr_spill_count: 0
    .symbol:         _ZN7rocprim17ROCPRIM_400000_NS6detail17trampoline_kernelINS0_14default_configENS1_27scan_by_key_config_selectorIxxEEZZNS1_16scan_by_key_implILNS1_25lookback_scan_determinismE0ELb1ES3_N6thrust23THRUST_200600_302600_NS6detail15normal_iteratorINS9_10device_ptrIxEEEESE_SE_xNS9_10multipliesIxEENS9_8equal_toIxEExEE10hipError_tPvRmT2_T3_T4_T5_mT6_T7_P12ihipStream_tbENKUlT_T0_E_clISt17integral_constantIbLb1EESZ_EEDaSU_SV_EUlSU_E_NS1_11comp_targetILNS1_3genE9ELNS1_11target_archE1100ELNS1_3gpuE3ELNS1_3repE0EEENS1_30default_config_static_selectorELNS0_4arch9wavefront6targetE0EEEvT1_.kd
    .uniform_work_group_size: 1
    .uses_dynamic_stack: false
    .vgpr_count:     0
    .vgpr_spill_count: 0
    .wavefront_size: 32
  - .args:
      - .offset:         0
        .size:           136
        .value_kind:     by_value
    .group_segment_fixed_size: 0
    .kernarg_segment_align: 8
    .kernarg_segment_size: 136
    .language:       OpenCL C
    .language_version:
      - 2
      - 0
    .max_flat_workgroup_size: 256
    .name:           _ZN7rocprim17ROCPRIM_400000_NS6detail17trampoline_kernelINS0_14default_configENS1_27scan_by_key_config_selectorIxxEEZZNS1_16scan_by_key_implILNS1_25lookback_scan_determinismE0ELb1ES3_N6thrust23THRUST_200600_302600_NS6detail15normal_iteratorINS9_10device_ptrIxEEEESE_SE_xNS9_10multipliesIxEENS9_8equal_toIxEExEE10hipError_tPvRmT2_T3_T4_T5_mT6_T7_P12ihipStream_tbENKUlT_T0_E_clISt17integral_constantIbLb1EESZ_EEDaSU_SV_EUlSU_E_NS1_11comp_targetILNS1_3genE8ELNS1_11target_archE1030ELNS1_3gpuE2ELNS1_3repE0EEENS1_30default_config_static_selectorELNS0_4arch9wavefront6targetE0EEEvT1_
    .private_segment_fixed_size: 0
    .sgpr_count:     0
    .sgpr_spill_count: 0
    .symbol:         _ZN7rocprim17ROCPRIM_400000_NS6detail17trampoline_kernelINS0_14default_configENS1_27scan_by_key_config_selectorIxxEEZZNS1_16scan_by_key_implILNS1_25lookback_scan_determinismE0ELb1ES3_N6thrust23THRUST_200600_302600_NS6detail15normal_iteratorINS9_10device_ptrIxEEEESE_SE_xNS9_10multipliesIxEENS9_8equal_toIxEExEE10hipError_tPvRmT2_T3_T4_T5_mT6_T7_P12ihipStream_tbENKUlT_T0_E_clISt17integral_constantIbLb1EESZ_EEDaSU_SV_EUlSU_E_NS1_11comp_targetILNS1_3genE8ELNS1_11target_archE1030ELNS1_3gpuE2ELNS1_3repE0EEENS1_30default_config_static_selectorELNS0_4arch9wavefront6targetE0EEEvT1_.kd
    .uniform_work_group_size: 1
    .uses_dynamic_stack: false
    .vgpr_count:     0
    .vgpr_spill_count: 0
    .wavefront_size: 32
  - .args:
      - .offset:         0
        .size:           136
        .value_kind:     by_value
    .group_segment_fixed_size: 0
    .kernarg_segment_align: 8
    .kernarg_segment_size: 136
    .language:       OpenCL C
    .language_version:
      - 2
      - 0
    .max_flat_workgroup_size: 256
    .name:           _ZN7rocprim17ROCPRIM_400000_NS6detail17trampoline_kernelINS0_14default_configENS1_27scan_by_key_config_selectorIxxEEZZNS1_16scan_by_key_implILNS1_25lookback_scan_determinismE0ELb1ES3_N6thrust23THRUST_200600_302600_NS6detail15normal_iteratorINS9_10device_ptrIxEEEESE_SE_xNS9_10multipliesIxEENS9_8equal_toIxEExEE10hipError_tPvRmT2_T3_T4_T5_mT6_T7_P12ihipStream_tbENKUlT_T0_E_clISt17integral_constantIbLb1EESY_IbLb0EEEEDaSU_SV_EUlSU_E_NS1_11comp_targetILNS1_3genE0ELNS1_11target_archE4294967295ELNS1_3gpuE0ELNS1_3repE0EEENS1_30default_config_static_selectorELNS0_4arch9wavefront6targetE0EEEvT1_
    .private_segment_fixed_size: 0
    .sgpr_count:     0
    .sgpr_spill_count: 0
    .symbol:         _ZN7rocprim17ROCPRIM_400000_NS6detail17trampoline_kernelINS0_14default_configENS1_27scan_by_key_config_selectorIxxEEZZNS1_16scan_by_key_implILNS1_25lookback_scan_determinismE0ELb1ES3_N6thrust23THRUST_200600_302600_NS6detail15normal_iteratorINS9_10device_ptrIxEEEESE_SE_xNS9_10multipliesIxEENS9_8equal_toIxEExEE10hipError_tPvRmT2_T3_T4_T5_mT6_T7_P12ihipStream_tbENKUlT_T0_E_clISt17integral_constantIbLb1EESY_IbLb0EEEEDaSU_SV_EUlSU_E_NS1_11comp_targetILNS1_3genE0ELNS1_11target_archE4294967295ELNS1_3gpuE0ELNS1_3repE0EEENS1_30default_config_static_selectorELNS0_4arch9wavefront6targetE0EEEvT1_.kd
    .uniform_work_group_size: 1
    .uses_dynamic_stack: false
    .vgpr_count:     0
    .vgpr_spill_count: 0
    .wavefront_size: 32
  - .args:
      - .offset:         0
        .size:           136
        .value_kind:     by_value
    .group_segment_fixed_size: 0
    .kernarg_segment_align: 8
    .kernarg_segment_size: 136
    .language:       OpenCL C
    .language_version:
      - 2
      - 0
    .max_flat_workgroup_size: 256
    .name:           _ZN7rocprim17ROCPRIM_400000_NS6detail17trampoline_kernelINS0_14default_configENS1_27scan_by_key_config_selectorIxxEEZZNS1_16scan_by_key_implILNS1_25lookback_scan_determinismE0ELb1ES3_N6thrust23THRUST_200600_302600_NS6detail15normal_iteratorINS9_10device_ptrIxEEEESE_SE_xNS9_10multipliesIxEENS9_8equal_toIxEExEE10hipError_tPvRmT2_T3_T4_T5_mT6_T7_P12ihipStream_tbENKUlT_T0_E_clISt17integral_constantIbLb1EESY_IbLb0EEEEDaSU_SV_EUlSU_E_NS1_11comp_targetILNS1_3genE10ELNS1_11target_archE1201ELNS1_3gpuE5ELNS1_3repE0EEENS1_30default_config_static_selectorELNS0_4arch9wavefront6targetE0EEEvT1_
    .private_segment_fixed_size: 0
    .sgpr_count:     0
    .sgpr_spill_count: 0
    .symbol:         _ZN7rocprim17ROCPRIM_400000_NS6detail17trampoline_kernelINS0_14default_configENS1_27scan_by_key_config_selectorIxxEEZZNS1_16scan_by_key_implILNS1_25lookback_scan_determinismE0ELb1ES3_N6thrust23THRUST_200600_302600_NS6detail15normal_iteratorINS9_10device_ptrIxEEEESE_SE_xNS9_10multipliesIxEENS9_8equal_toIxEExEE10hipError_tPvRmT2_T3_T4_T5_mT6_T7_P12ihipStream_tbENKUlT_T0_E_clISt17integral_constantIbLb1EESY_IbLb0EEEEDaSU_SV_EUlSU_E_NS1_11comp_targetILNS1_3genE10ELNS1_11target_archE1201ELNS1_3gpuE5ELNS1_3repE0EEENS1_30default_config_static_selectorELNS0_4arch9wavefront6targetE0EEEvT1_.kd
    .uniform_work_group_size: 1
    .uses_dynamic_stack: false
    .vgpr_count:     0
    .vgpr_spill_count: 0
    .wavefront_size: 32
  - .args:
      - .offset:         0
        .size:           136
        .value_kind:     by_value
    .group_segment_fixed_size: 0
    .kernarg_segment_align: 8
    .kernarg_segment_size: 136
    .language:       OpenCL C
    .language_version:
      - 2
      - 0
    .max_flat_workgroup_size: 256
    .name:           _ZN7rocprim17ROCPRIM_400000_NS6detail17trampoline_kernelINS0_14default_configENS1_27scan_by_key_config_selectorIxxEEZZNS1_16scan_by_key_implILNS1_25lookback_scan_determinismE0ELb1ES3_N6thrust23THRUST_200600_302600_NS6detail15normal_iteratorINS9_10device_ptrIxEEEESE_SE_xNS9_10multipliesIxEENS9_8equal_toIxEExEE10hipError_tPvRmT2_T3_T4_T5_mT6_T7_P12ihipStream_tbENKUlT_T0_E_clISt17integral_constantIbLb1EESY_IbLb0EEEEDaSU_SV_EUlSU_E_NS1_11comp_targetILNS1_3genE5ELNS1_11target_archE942ELNS1_3gpuE9ELNS1_3repE0EEENS1_30default_config_static_selectorELNS0_4arch9wavefront6targetE0EEEvT1_
    .private_segment_fixed_size: 0
    .sgpr_count:     0
    .sgpr_spill_count: 0
    .symbol:         _ZN7rocprim17ROCPRIM_400000_NS6detail17trampoline_kernelINS0_14default_configENS1_27scan_by_key_config_selectorIxxEEZZNS1_16scan_by_key_implILNS1_25lookback_scan_determinismE0ELb1ES3_N6thrust23THRUST_200600_302600_NS6detail15normal_iteratorINS9_10device_ptrIxEEEESE_SE_xNS9_10multipliesIxEENS9_8equal_toIxEExEE10hipError_tPvRmT2_T3_T4_T5_mT6_T7_P12ihipStream_tbENKUlT_T0_E_clISt17integral_constantIbLb1EESY_IbLb0EEEEDaSU_SV_EUlSU_E_NS1_11comp_targetILNS1_3genE5ELNS1_11target_archE942ELNS1_3gpuE9ELNS1_3repE0EEENS1_30default_config_static_selectorELNS0_4arch9wavefront6targetE0EEEvT1_.kd
    .uniform_work_group_size: 1
    .uses_dynamic_stack: false
    .vgpr_count:     0
    .vgpr_spill_count: 0
    .wavefront_size: 32
  - .args:
      - .offset:         0
        .size:           136
        .value_kind:     by_value
    .group_segment_fixed_size: 0
    .kernarg_segment_align: 8
    .kernarg_segment_size: 136
    .language:       OpenCL C
    .language_version:
      - 2
      - 0
    .max_flat_workgroup_size: 64
    .name:           _ZN7rocprim17ROCPRIM_400000_NS6detail17trampoline_kernelINS0_14default_configENS1_27scan_by_key_config_selectorIxxEEZZNS1_16scan_by_key_implILNS1_25lookback_scan_determinismE0ELb1ES3_N6thrust23THRUST_200600_302600_NS6detail15normal_iteratorINS9_10device_ptrIxEEEESE_SE_xNS9_10multipliesIxEENS9_8equal_toIxEExEE10hipError_tPvRmT2_T3_T4_T5_mT6_T7_P12ihipStream_tbENKUlT_T0_E_clISt17integral_constantIbLb1EESY_IbLb0EEEEDaSU_SV_EUlSU_E_NS1_11comp_targetILNS1_3genE4ELNS1_11target_archE910ELNS1_3gpuE8ELNS1_3repE0EEENS1_30default_config_static_selectorELNS0_4arch9wavefront6targetE0EEEvT1_
    .private_segment_fixed_size: 0
    .sgpr_count:     0
    .sgpr_spill_count: 0
    .symbol:         _ZN7rocprim17ROCPRIM_400000_NS6detail17trampoline_kernelINS0_14default_configENS1_27scan_by_key_config_selectorIxxEEZZNS1_16scan_by_key_implILNS1_25lookback_scan_determinismE0ELb1ES3_N6thrust23THRUST_200600_302600_NS6detail15normal_iteratorINS9_10device_ptrIxEEEESE_SE_xNS9_10multipliesIxEENS9_8equal_toIxEExEE10hipError_tPvRmT2_T3_T4_T5_mT6_T7_P12ihipStream_tbENKUlT_T0_E_clISt17integral_constantIbLb1EESY_IbLb0EEEEDaSU_SV_EUlSU_E_NS1_11comp_targetILNS1_3genE4ELNS1_11target_archE910ELNS1_3gpuE8ELNS1_3repE0EEENS1_30default_config_static_selectorELNS0_4arch9wavefront6targetE0EEEvT1_.kd
    .uniform_work_group_size: 1
    .uses_dynamic_stack: false
    .vgpr_count:     0
    .vgpr_spill_count: 0
    .wavefront_size: 32
  - .args:
      - .offset:         0
        .size:           136
        .value_kind:     by_value
    .group_segment_fixed_size: 0
    .kernarg_segment_align: 8
    .kernarg_segment_size: 136
    .language:       OpenCL C
    .language_version:
      - 2
      - 0
    .max_flat_workgroup_size: 256
    .name:           _ZN7rocprim17ROCPRIM_400000_NS6detail17trampoline_kernelINS0_14default_configENS1_27scan_by_key_config_selectorIxxEEZZNS1_16scan_by_key_implILNS1_25lookback_scan_determinismE0ELb1ES3_N6thrust23THRUST_200600_302600_NS6detail15normal_iteratorINS9_10device_ptrIxEEEESE_SE_xNS9_10multipliesIxEENS9_8equal_toIxEExEE10hipError_tPvRmT2_T3_T4_T5_mT6_T7_P12ihipStream_tbENKUlT_T0_E_clISt17integral_constantIbLb1EESY_IbLb0EEEEDaSU_SV_EUlSU_E_NS1_11comp_targetILNS1_3genE3ELNS1_11target_archE908ELNS1_3gpuE7ELNS1_3repE0EEENS1_30default_config_static_selectorELNS0_4arch9wavefront6targetE0EEEvT1_
    .private_segment_fixed_size: 0
    .sgpr_count:     0
    .sgpr_spill_count: 0
    .symbol:         _ZN7rocprim17ROCPRIM_400000_NS6detail17trampoline_kernelINS0_14default_configENS1_27scan_by_key_config_selectorIxxEEZZNS1_16scan_by_key_implILNS1_25lookback_scan_determinismE0ELb1ES3_N6thrust23THRUST_200600_302600_NS6detail15normal_iteratorINS9_10device_ptrIxEEEESE_SE_xNS9_10multipliesIxEENS9_8equal_toIxEExEE10hipError_tPvRmT2_T3_T4_T5_mT6_T7_P12ihipStream_tbENKUlT_T0_E_clISt17integral_constantIbLb1EESY_IbLb0EEEEDaSU_SV_EUlSU_E_NS1_11comp_targetILNS1_3genE3ELNS1_11target_archE908ELNS1_3gpuE7ELNS1_3repE0EEENS1_30default_config_static_selectorELNS0_4arch9wavefront6targetE0EEEvT1_.kd
    .uniform_work_group_size: 1
    .uses_dynamic_stack: false
    .vgpr_count:     0
    .vgpr_spill_count: 0
    .wavefront_size: 32
  - .args:
      - .offset:         0
        .size:           136
        .value_kind:     by_value
    .group_segment_fixed_size: 0
    .kernarg_segment_align: 8
    .kernarg_segment_size: 136
    .language:       OpenCL C
    .language_version:
      - 2
      - 0
    .max_flat_workgroup_size: 256
    .name:           _ZN7rocprim17ROCPRIM_400000_NS6detail17trampoline_kernelINS0_14default_configENS1_27scan_by_key_config_selectorIxxEEZZNS1_16scan_by_key_implILNS1_25lookback_scan_determinismE0ELb1ES3_N6thrust23THRUST_200600_302600_NS6detail15normal_iteratorINS9_10device_ptrIxEEEESE_SE_xNS9_10multipliesIxEENS9_8equal_toIxEExEE10hipError_tPvRmT2_T3_T4_T5_mT6_T7_P12ihipStream_tbENKUlT_T0_E_clISt17integral_constantIbLb1EESY_IbLb0EEEEDaSU_SV_EUlSU_E_NS1_11comp_targetILNS1_3genE2ELNS1_11target_archE906ELNS1_3gpuE6ELNS1_3repE0EEENS1_30default_config_static_selectorELNS0_4arch9wavefront6targetE0EEEvT1_
    .private_segment_fixed_size: 0
    .sgpr_count:     0
    .sgpr_spill_count: 0
    .symbol:         _ZN7rocprim17ROCPRIM_400000_NS6detail17trampoline_kernelINS0_14default_configENS1_27scan_by_key_config_selectorIxxEEZZNS1_16scan_by_key_implILNS1_25lookback_scan_determinismE0ELb1ES3_N6thrust23THRUST_200600_302600_NS6detail15normal_iteratorINS9_10device_ptrIxEEEESE_SE_xNS9_10multipliesIxEENS9_8equal_toIxEExEE10hipError_tPvRmT2_T3_T4_T5_mT6_T7_P12ihipStream_tbENKUlT_T0_E_clISt17integral_constantIbLb1EESY_IbLb0EEEEDaSU_SV_EUlSU_E_NS1_11comp_targetILNS1_3genE2ELNS1_11target_archE906ELNS1_3gpuE6ELNS1_3repE0EEENS1_30default_config_static_selectorELNS0_4arch9wavefront6targetE0EEEvT1_.kd
    .uniform_work_group_size: 1
    .uses_dynamic_stack: false
    .vgpr_count:     0
    .vgpr_spill_count: 0
    .wavefront_size: 32
  - .args:
      - .offset:         0
        .size:           136
        .value_kind:     by_value
    .group_segment_fixed_size: 0
    .kernarg_segment_align: 8
    .kernarg_segment_size: 136
    .language:       OpenCL C
    .language_version:
      - 2
      - 0
    .max_flat_workgroup_size: 256
    .name:           _ZN7rocprim17ROCPRIM_400000_NS6detail17trampoline_kernelINS0_14default_configENS1_27scan_by_key_config_selectorIxxEEZZNS1_16scan_by_key_implILNS1_25lookback_scan_determinismE0ELb1ES3_N6thrust23THRUST_200600_302600_NS6detail15normal_iteratorINS9_10device_ptrIxEEEESE_SE_xNS9_10multipliesIxEENS9_8equal_toIxEExEE10hipError_tPvRmT2_T3_T4_T5_mT6_T7_P12ihipStream_tbENKUlT_T0_E_clISt17integral_constantIbLb1EESY_IbLb0EEEEDaSU_SV_EUlSU_E_NS1_11comp_targetILNS1_3genE10ELNS1_11target_archE1200ELNS1_3gpuE4ELNS1_3repE0EEENS1_30default_config_static_selectorELNS0_4arch9wavefront6targetE0EEEvT1_
    .private_segment_fixed_size: 0
    .sgpr_count:     0
    .sgpr_spill_count: 0
    .symbol:         _ZN7rocprim17ROCPRIM_400000_NS6detail17trampoline_kernelINS0_14default_configENS1_27scan_by_key_config_selectorIxxEEZZNS1_16scan_by_key_implILNS1_25lookback_scan_determinismE0ELb1ES3_N6thrust23THRUST_200600_302600_NS6detail15normal_iteratorINS9_10device_ptrIxEEEESE_SE_xNS9_10multipliesIxEENS9_8equal_toIxEExEE10hipError_tPvRmT2_T3_T4_T5_mT6_T7_P12ihipStream_tbENKUlT_T0_E_clISt17integral_constantIbLb1EESY_IbLb0EEEEDaSU_SV_EUlSU_E_NS1_11comp_targetILNS1_3genE10ELNS1_11target_archE1200ELNS1_3gpuE4ELNS1_3repE0EEENS1_30default_config_static_selectorELNS0_4arch9wavefront6targetE0EEEvT1_.kd
    .uniform_work_group_size: 1
    .uses_dynamic_stack: false
    .vgpr_count:     0
    .vgpr_spill_count: 0
    .wavefront_size: 32
  - .args:
      - .offset:         0
        .size:           136
        .value_kind:     by_value
    .group_segment_fixed_size: 0
    .kernarg_segment_align: 8
    .kernarg_segment_size: 136
    .language:       OpenCL C
    .language_version:
      - 2
      - 0
    .max_flat_workgroup_size: 256
    .name:           _ZN7rocprim17ROCPRIM_400000_NS6detail17trampoline_kernelINS0_14default_configENS1_27scan_by_key_config_selectorIxxEEZZNS1_16scan_by_key_implILNS1_25lookback_scan_determinismE0ELb1ES3_N6thrust23THRUST_200600_302600_NS6detail15normal_iteratorINS9_10device_ptrIxEEEESE_SE_xNS9_10multipliesIxEENS9_8equal_toIxEExEE10hipError_tPvRmT2_T3_T4_T5_mT6_T7_P12ihipStream_tbENKUlT_T0_E_clISt17integral_constantIbLb1EESY_IbLb0EEEEDaSU_SV_EUlSU_E_NS1_11comp_targetILNS1_3genE9ELNS1_11target_archE1100ELNS1_3gpuE3ELNS1_3repE0EEENS1_30default_config_static_selectorELNS0_4arch9wavefront6targetE0EEEvT1_
    .private_segment_fixed_size: 0
    .sgpr_count:     0
    .sgpr_spill_count: 0
    .symbol:         _ZN7rocprim17ROCPRIM_400000_NS6detail17trampoline_kernelINS0_14default_configENS1_27scan_by_key_config_selectorIxxEEZZNS1_16scan_by_key_implILNS1_25lookback_scan_determinismE0ELb1ES3_N6thrust23THRUST_200600_302600_NS6detail15normal_iteratorINS9_10device_ptrIxEEEESE_SE_xNS9_10multipliesIxEENS9_8equal_toIxEExEE10hipError_tPvRmT2_T3_T4_T5_mT6_T7_P12ihipStream_tbENKUlT_T0_E_clISt17integral_constantIbLb1EESY_IbLb0EEEEDaSU_SV_EUlSU_E_NS1_11comp_targetILNS1_3genE9ELNS1_11target_archE1100ELNS1_3gpuE3ELNS1_3repE0EEENS1_30default_config_static_selectorELNS0_4arch9wavefront6targetE0EEEvT1_.kd
    .uniform_work_group_size: 1
    .uses_dynamic_stack: false
    .vgpr_count:     0
    .vgpr_spill_count: 0
    .wavefront_size: 32
  - .args:
      - .offset:         0
        .size:           136
        .value_kind:     by_value
    .group_segment_fixed_size: 0
    .kernarg_segment_align: 8
    .kernarg_segment_size: 136
    .language:       OpenCL C
    .language_version:
      - 2
      - 0
    .max_flat_workgroup_size: 256
    .name:           _ZN7rocprim17ROCPRIM_400000_NS6detail17trampoline_kernelINS0_14default_configENS1_27scan_by_key_config_selectorIxxEEZZNS1_16scan_by_key_implILNS1_25lookback_scan_determinismE0ELb1ES3_N6thrust23THRUST_200600_302600_NS6detail15normal_iteratorINS9_10device_ptrIxEEEESE_SE_xNS9_10multipliesIxEENS9_8equal_toIxEExEE10hipError_tPvRmT2_T3_T4_T5_mT6_T7_P12ihipStream_tbENKUlT_T0_E_clISt17integral_constantIbLb1EESY_IbLb0EEEEDaSU_SV_EUlSU_E_NS1_11comp_targetILNS1_3genE8ELNS1_11target_archE1030ELNS1_3gpuE2ELNS1_3repE0EEENS1_30default_config_static_selectorELNS0_4arch9wavefront6targetE0EEEvT1_
    .private_segment_fixed_size: 0
    .sgpr_count:     0
    .sgpr_spill_count: 0
    .symbol:         _ZN7rocprim17ROCPRIM_400000_NS6detail17trampoline_kernelINS0_14default_configENS1_27scan_by_key_config_selectorIxxEEZZNS1_16scan_by_key_implILNS1_25lookback_scan_determinismE0ELb1ES3_N6thrust23THRUST_200600_302600_NS6detail15normal_iteratorINS9_10device_ptrIxEEEESE_SE_xNS9_10multipliesIxEENS9_8equal_toIxEExEE10hipError_tPvRmT2_T3_T4_T5_mT6_T7_P12ihipStream_tbENKUlT_T0_E_clISt17integral_constantIbLb1EESY_IbLb0EEEEDaSU_SV_EUlSU_E_NS1_11comp_targetILNS1_3genE8ELNS1_11target_archE1030ELNS1_3gpuE2ELNS1_3repE0EEENS1_30default_config_static_selectorELNS0_4arch9wavefront6targetE0EEEvT1_.kd
    .uniform_work_group_size: 1
    .uses_dynamic_stack: false
    .vgpr_count:     0
    .vgpr_spill_count: 0
    .wavefront_size: 32
  - .args:
      - .offset:         0
        .size:           136
        .value_kind:     by_value
    .group_segment_fixed_size: 32768
    .kernarg_segment_align: 8
    .kernarg_segment_size: 136
    .language:       OpenCL C
    .language_version:
      - 2
      - 0
    .max_flat_workgroup_size: 256
    .name:           _ZN7rocprim17ROCPRIM_400000_NS6detail17trampoline_kernelINS0_14default_configENS1_27scan_by_key_config_selectorIxxEEZZNS1_16scan_by_key_implILNS1_25lookback_scan_determinismE0ELb1ES3_N6thrust23THRUST_200600_302600_NS6detail15normal_iteratorINS9_10device_ptrIxEEEESE_SE_xNS9_10multipliesIxEENS9_8equal_toIxEExEE10hipError_tPvRmT2_T3_T4_T5_mT6_T7_P12ihipStream_tbENKUlT_T0_E_clISt17integral_constantIbLb0EESY_IbLb1EEEEDaSU_SV_EUlSU_E_NS1_11comp_targetILNS1_3genE0ELNS1_11target_archE4294967295ELNS1_3gpuE0ELNS1_3repE0EEENS1_30default_config_static_selectorELNS0_4arch9wavefront6targetE0EEEvT1_
    .private_segment_fixed_size: 0
    .sgpr_count:     61
    .sgpr_spill_count: 0
    .symbol:         _ZN7rocprim17ROCPRIM_400000_NS6detail17trampoline_kernelINS0_14default_configENS1_27scan_by_key_config_selectorIxxEEZZNS1_16scan_by_key_implILNS1_25lookback_scan_determinismE0ELb1ES3_N6thrust23THRUST_200600_302600_NS6detail15normal_iteratorINS9_10device_ptrIxEEEESE_SE_xNS9_10multipliesIxEENS9_8equal_toIxEExEE10hipError_tPvRmT2_T3_T4_T5_mT6_T7_P12ihipStream_tbENKUlT_T0_E_clISt17integral_constantIbLb0EESY_IbLb1EEEEDaSU_SV_EUlSU_E_NS1_11comp_targetILNS1_3genE0ELNS1_11target_archE4294967295ELNS1_3gpuE0ELNS1_3repE0EEENS1_30default_config_static_selectorELNS0_4arch9wavefront6targetE0EEEvT1_.kd
    .uniform_work_group_size: 1
    .uses_dynamic_stack: false
    .vgpr_count:     113
    .vgpr_spill_count: 0
    .wavefront_size: 32
  - .args:
      - .offset:         0
        .size:           136
        .value_kind:     by_value
    .group_segment_fixed_size: 0
    .kernarg_segment_align: 8
    .kernarg_segment_size: 136
    .language:       OpenCL C
    .language_version:
      - 2
      - 0
    .max_flat_workgroup_size: 256
    .name:           _ZN7rocprim17ROCPRIM_400000_NS6detail17trampoline_kernelINS0_14default_configENS1_27scan_by_key_config_selectorIxxEEZZNS1_16scan_by_key_implILNS1_25lookback_scan_determinismE0ELb1ES3_N6thrust23THRUST_200600_302600_NS6detail15normal_iteratorINS9_10device_ptrIxEEEESE_SE_xNS9_10multipliesIxEENS9_8equal_toIxEExEE10hipError_tPvRmT2_T3_T4_T5_mT6_T7_P12ihipStream_tbENKUlT_T0_E_clISt17integral_constantIbLb0EESY_IbLb1EEEEDaSU_SV_EUlSU_E_NS1_11comp_targetILNS1_3genE10ELNS1_11target_archE1201ELNS1_3gpuE5ELNS1_3repE0EEENS1_30default_config_static_selectorELNS0_4arch9wavefront6targetE0EEEvT1_
    .private_segment_fixed_size: 0
    .sgpr_count:     0
    .sgpr_spill_count: 0
    .symbol:         _ZN7rocprim17ROCPRIM_400000_NS6detail17trampoline_kernelINS0_14default_configENS1_27scan_by_key_config_selectorIxxEEZZNS1_16scan_by_key_implILNS1_25lookback_scan_determinismE0ELb1ES3_N6thrust23THRUST_200600_302600_NS6detail15normal_iteratorINS9_10device_ptrIxEEEESE_SE_xNS9_10multipliesIxEENS9_8equal_toIxEExEE10hipError_tPvRmT2_T3_T4_T5_mT6_T7_P12ihipStream_tbENKUlT_T0_E_clISt17integral_constantIbLb0EESY_IbLb1EEEEDaSU_SV_EUlSU_E_NS1_11comp_targetILNS1_3genE10ELNS1_11target_archE1201ELNS1_3gpuE5ELNS1_3repE0EEENS1_30default_config_static_selectorELNS0_4arch9wavefront6targetE0EEEvT1_.kd
    .uniform_work_group_size: 1
    .uses_dynamic_stack: false
    .vgpr_count:     0
    .vgpr_spill_count: 0
    .wavefront_size: 32
  - .args:
      - .offset:         0
        .size:           136
        .value_kind:     by_value
    .group_segment_fixed_size: 0
    .kernarg_segment_align: 8
    .kernarg_segment_size: 136
    .language:       OpenCL C
    .language_version:
      - 2
      - 0
    .max_flat_workgroup_size: 256
    .name:           _ZN7rocprim17ROCPRIM_400000_NS6detail17trampoline_kernelINS0_14default_configENS1_27scan_by_key_config_selectorIxxEEZZNS1_16scan_by_key_implILNS1_25lookback_scan_determinismE0ELb1ES3_N6thrust23THRUST_200600_302600_NS6detail15normal_iteratorINS9_10device_ptrIxEEEESE_SE_xNS9_10multipliesIxEENS9_8equal_toIxEExEE10hipError_tPvRmT2_T3_T4_T5_mT6_T7_P12ihipStream_tbENKUlT_T0_E_clISt17integral_constantIbLb0EESY_IbLb1EEEEDaSU_SV_EUlSU_E_NS1_11comp_targetILNS1_3genE5ELNS1_11target_archE942ELNS1_3gpuE9ELNS1_3repE0EEENS1_30default_config_static_selectorELNS0_4arch9wavefront6targetE0EEEvT1_
    .private_segment_fixed_size: 0
    .sgpr_count:     0
    .sgpr_spill_count: 0
    .symbol:         _ZN7rocprim17ROCPRIM_400000_NS6detail17trampoline_kernelINS0_14default_configENS1_27scan_by_key_config_selectorIxxEEZZNS1_16scan_by_key_implILNS1_25lookback_scan_determinismE0ELb1ES3_N6thrust23THRUST_200600_302600_NS6detail15normal_iteratorINS9_10device_ptrIxEEEESE_SE_xNS9_10multipliesIxEENS9_8equal_toIxEExEE10hipError_tPvRmT2_T3_T4_T5_mT6_T7_P12ihipStream_tbENKUlT_T0_E_clISt17integral_constantIbLb0EESY_IbLb1EEEEDaSU_SV_EUlSU_E_NS1_11comp_targetILNS1_3genE5ELNS1_11target_archE942ELNS1_3gpuE9ELNS1_3repE0EEENS1_30default_config_static_selectorELNS0_4arch9wavefront6targetE0EEEvT1_.kd
    .uniform_work_group_size: 1
    .uses_dynamic_stack: false
    .vgpr_count:     0
    .vgpr_spill_count: 0
    .wavefront_size: 32
  - .args:
      - .offset:         0
        .size:           136
        .value_kind:     by_value
    .group_segment_fixed_size: 0
    .kernarg_segment_align: 8
    .kernarg_segment_size: 136
    .language:       OpenCL C
    .language_version:
      - 2
      - 0
    .max_flat_workgroup_size: 64
    .name:           _ZN7rocprim17ROCPRIM_400000_NS6detail17trampoline_kernelINS0_14default_configENS1_27scan_by_key_config_selectorIxxEEZZNS1_16scan_by_key_implILNS1_25lookback_scan_determinismE0ELb1ES3_N6thrust23THRUST_200600_302600_NS6detail15normal_iteratorINS9_10device_ptrIxEEEESE_SE_xNS9_10multipliesIxEENS9_8equal_toIxEExEE10hipError_tPvRmT2_T3_T4_T5_mT6_T7_P12ihipStream_tbENKUlT_T0_E_clISt17integral_constantIbLb0EESY_IbLb1EEEEDaSU_SV_EUlSU_E_NS1_11comp_targetILNS1_3genE4ELNS1_11target_archE910ELNS1_3gpuE8ELNS1_3repE0EEENS1_30default_config_static_selectorELNS0_4arch9wavefront6targetE0EEEvT1_
    .private_segment_fixed_size: 0
    .sgpr_count:     0
    .sgpr_spill_count: 0
    .symbol:         _ZN7rocprim17ROCPRIM_400000_NS6detail17trampoline_kernelINS0_14default_configENS1_27scan_by_key_config_selectorIxxEEZZNS1_16scan_by_key_implILNS1_25lookback_scan_determinismE0ELb1ES3_N6thrust23THRUST_200600_302600_NS6detail15normal_iteratorINS9_10device_ptrIxEEEESE_SE_xNS9_10multipliesIxEENS9_8equal_toIxEExEE10hipError_tPvRmT2_T3_T4_T5_mT6_T7_P12ihipStream_tbENKUlT_T0_E_clISt17integral_constantIbLb0EESY_IbLb1EEEEDaSU_SV_EUlSU_E_NS1_11comp_targetILNS1_3genE4ELNS1_11target_archE910ELNS1_3gpuE8ELNS1_3repE0EEENS1_30default_config_static_selectorELNS0_4arch9wavefront6targetE0EEEvT1_.kd
    .uniform_work_group_size: 1
    .uses_dynamic_stack: false
    .vgpr_count:     0
    .vgpr_spill_count: 0
    .wavefront_size: 32
  - .args:
      - .offset:         0
        .size:           136
        .value_kind:     by_value
    .group_segment_fixed_size: 0
    .kernarg_segment_align: 8
    .kernarg_segment_size: 136
    .language:       OpenCL C
    .language_version:
      - 2
      - 0
    .max_flat_workgroup_size: 256
    .name:           _ZN7rocprim17ROCPRIM_400000_NS6detail17trampoline_kernelINS0_14default_configENS1_27scan_by_key_config_selectorIxxEEZZNS1_16scan_by_key_implILNS1_25lookback_scan_determinismE0ELb1ES3_N6thrust23THRUST_200600_302600_NS6detail15normal_iteratorINS9_10device_ptrIxEEEESE_SE_xNS9_10multipliesIxEENS9_8equal_toIxEExEE10hipError_tPvRmT2_T3_T4_T5_mT6_T7_P12ihipStream_tbENKUlT_T0_E_clISt17integral_constantIbLb0EESY_IbLb1EEEEDaSU_SV_EUlSU_E_NS1_11comp_targetILNS1_3genE3ELNS1_11target_archE908ELNS1_3gpuE7ELNS1_3repE0EEENS1_30default_config_static_selectorELNS0_4arch9wavefront6targetE0EEEvT1_
    .private_segment_fixed_size: 0
    .sgpr_count:     0
    .sgpr_spill_count: 0
    .symbol:         _ZN7rocprim17ROCPRIM_400000_NS6detail17trampoline_kernelINS0_14default_configENS1_27scan_by_key_config_selectorIxxEEZZNS1_16scan_by_key_implILNS1_25lookback_scan_determinismE0ELb1ES3_N6thrust23THRUST_200600_302600_NS6detail15normal_iteratorINS9_10device_ptrIxEEEESE_SE_xNS9_10multipliesIxEENS9_8equal_toIxEExEE10hipError_tPvRmT2_T3_T4_T5_mT6_T7_P12ihipStream_tbENKUlT_T0_E_clISt17integral_constantIbLb0EESY_IbLb1EEEEDaSU_SV_EUlSU_E_NS1_11comp_targetILNS1_3genE3ELNS1_11target_archE908ELNS1_3gpuE7ELNS1_3repE0EEENS1_30default_config_static_selectorELNS0_4arch9wavefront6targetE0EEEvT1_.kd
    .uniform_work_group_size: 1
    .uses_dynamic_stack: false
    .vgpr_count:     0
    .vgpr_spill_count: 0
    .wavefront_size: 32
  - .args:
      - .offset:         0
        .size:           136
        .value_kind:     by_value
    .group_segment_fixed_size: 0
    .kernarg_segment_align: 8
    .kernarg_segment_size: 136
    .language:       OpenCL C
    .language_version:
      - 2
      - 0
    .max_flat_workgroup_size: 256
    .name:           _ZN7rocprim17ROCPRIM_400000_NS6detail17trampoline_kernelINS0_14default_configENS1_27scan_by_key_config_selectorIxxEEZZNS1_16scan_by_key_implILNS1_25lookback_scan_determinismE0ELb1ES3_N6thrust23THRUST_200600_302600_NS6detail15normal_iteratorINS9_10device_ptrIxEEEESE_SE_xNS9_10multipliesIxEENS9_8equal_toIxEExEE10hipError_tPvRmT2_T3_T4_T5_mT6_T7_P12ihipStream_tbENKUlT_T0_E_clISt17integral_constantIbLb0EESY_IbLb1EEEEDaSU_SV_EUlSU_E_NS1_11comp_targetILNS1_3genE2ELNS1_11target_archE906ELNS1_3gpuE6ELNS1_3repE0EEENS1_30default_config_static_selectorELNS0_4arch9wavefront6targetE0EEEvT1_
    .private_segment_fixed_size: 0
    .sgpr_count:     0
    .sgpr_spill_count: 0
    .symbol:         _ZN7rocprim17ROCPRIM_400000_NS6detail17trampoline_kernelINS0_14default_configENS1_27scan_by_key_config_selectorIxxEEZZNS1_16scan_by_key_implILNS1_25lookback_scan_determinismE0ELb1ES3_N6thrust23THRUST_200600_302600_NS6detail15normal_iteratorINS9_10device_ptrIxEEEESE_SE_xNS9_10multipliesIxEENS9_8equal_toIxEExEE10hipError_tPvRmT2_T3_T4_T5_mT6_T7_P12ihipStream_tbENKUlT_T0_E_clISt17integral_constantIbLb0EESY_IbLb1EEEEDaSU_SV_EUlSU_E_NS1_11comp_targetILNS1_3genE2ELNS1_11target_archE906ELNS1_3gpuE6ELNS1_3repE0EEENS1_30default_config_static_selectorELNS0_4arch9wavefront6targetE0EEEvT1_.kd
    .uniform_work_group_size: 1
    .uses_dynamic_stack: false
    .vgpr_count:     0
    .vgpr_spill_count: 0
    .wavefront_size: 32
  - .args:
      - .offset:         0
        .size:           136
        .value_kind:     by_value
    .group_segment_fixed_size: 0
    .kernarg_segment_align: 8
    .kernarg_segment_size: 136
    .language:       OpenCL C
    .language_version:
      - 2
      - 0
    .max_flat_workgroup_size: 256
    .name:           _ZN7rocprim17ROCPRIM_400000_NS6detail17trampoline_kernelINS0_14default_configENS1_27scan_by_key_config_selectorIxxEEZZNS1_16scan_by_key_implILNS1_25lookback_scan_determinismE0ELb1ES3_N6thrust23THRUST_200600_302600_NS6detail15normal_iteratorINS9_10device_ptrIxEEEESE_SE_xNS9_10multipliesIxEENS9_8equal_toIxEExEE10hipError_tPvRmT2_T3_T4_T5_mT6_T7_P12ihipStream_tbENKUlT_T0_E_clISt17integral_constantIbLb0EESY_IbLb1EEEEDaSU_SV_EUlSU_E_NS1_11comp_targetILNS1_3genE10ELNS1_11target_archE1200ELNS1_3gpuE4ELNS1_3repE0EEENS1_30default_config_static_selectorELNS0_4arch9wavefront6targetE0EEEvT1_
    .private_segment_fixed_size: 0
    .sgpr_count:     0
    .sgpr_spill_count: 0
    .symbol:         _ZN7rocprim17ROCPRIM_400000_NS6detail17trampoline_kernelINS0_14default_configENS1_27scan_by_key_config_selectorIxxEEZZNS1_16scan_by_key_implILNS1_25lookback_scan_determinismE0ELb1ES3_N6thrust23THRUST_200600_302600_NS6detail15normal_iteratorINS9_10device_ptrIxEEEESE_SE_xNS9_10multipliesIxEENS9_8equal_toIxEExEE10hipError_tPvRmT2_T3_T4_T5_mT6_T7_P12ihipStream_tbENKUlT_T0_E_clISt17integral_constantIbLb0EESY_IbLb1EEEEDaSU_SV_EUlSU_E_NS1_11comp_targetILNS1_3genE10ELNS1_11target_archE1200ELNS1_3gpuE4ELNS1_3repE0EEENS1_30default_config_static_selectorELNS0_4arch9wavefront6targetE0EEEvT1_.kd
    .uniform_work_group_size: 1
    .uses_dynamic_stack: false
    .vgpr_count:     0
    .vgpr_spill_count: 0
    .wavefront_size: 32
  - .args:
      - .offset:         0
        .size:           136
        .value_kind:     by_value
    .group_segment_fixed_size: 0
    .kernarg_segment_align: 8
    .kernarg_segment_size: 136
    .language:       OpenCL C
    .language_version:
      - 2
      - 0
    .max_flat_workgroup_size: 256
    .name:           _ZN7rocprim17ROCPRIM_400000_NS6detail17trampoline_kernelINS0_14default_configENS1_27scan_by_key_config_selectorIxxEEZZNS1_16scan_by_key_implILNS1_25lookback_scan_determinismE0ELb1ES3_N6thrust23THRUST_200600_302600_NS6detail15normal_iteratorINS9_10device_ptrIxEEEESE_SE_xNS9_10multipliesIxEENS9_8equal_toIxEExEE10hipError_tPvRmT2_T3_T4_T5_mT6_T7_P12ihipStream_tbENKUlT_T0_E_clISt17integral_constantIbLb0EESY_IbLb1EEEEDaSU_SV_EUlSU_E_NS1_11comp_targetILNS1_3genE9ELNS1_11target_archE1100ELNS1_3gpuE3ELNS1_3repE0EEENS1_30default_config_static_selectorELNS0_4arch9wavefront6targetE0EEEvT1_
    .private_segment_fixed_size: 0
    .sgpr_count:     0
    .sgpr_spill_count: 0
    .symbol:         _ZN7rocprim17ROCPRIM_400000_NS6detail17trampoline_kernelINS0_14default_configENS1_27scan_by_key_config_selectorIxxEEZZNS1_16scan_by_key_implILNS1_25lookback_scan_determinismE0ELb1ES3_N6thrust23THRUST_200600_302600_NS6detail15normal_iteratorINS9_10device_ptrIxEEEESE_SE_xNS9_10multipliesIxEENS9_8equal_toIxEExEE10hipError_tPvRmT2_T3_T4_T5_mT6_T7_P12ihipStream_tbENKUlT_T0_E_clISt17integral_constantIbLb0EESY_IbLb1EEEEDaSU_SV_EUlSU_E_NS1_11comp_targetILNS1_3genE9ELNS1_11target_archE1100ELNS1_3gpuE3ELNS1_3repE0EEENS1_30default_config_static_selectorELNS0_4arch9wavefront6targetE0EEEvT1_.kd
    .uniform_work_group_size: 1
    .uses_dynamic_stack: false
    .vgpr_count:     0
    .vgpr_spill_count: 0
    .wavefront_size: 32
  - .args:
      - .offset:         0
        .size:           136
        .value_kind:     by_value
    .group_segment_fixed_size: 0
    .kernarg_segment_align: 8
    .kernarg_segment_size: 136
    .language:       OpenCL C
    .language_version:
      - 2
      - 0
    .max_flat_workgroup_size: 256
    .name:           _ZN7rocprim17ROCPRIM_400000_NS6detail17trampoline_kernelINS0_14default_configENS1_27scan_by_key_config_selectorIxxEEZZNS1_16scan_by_key_implILNS1_25lookback_scan_determinismE0ELb1ES3_N6thrust23THRUST_200600_302600_NS6detail15normal_iteratorINS9_10device_ptrIxEEEESE_SE_xNS9_10multipliesIxEENS9_8equal_toIxEExEE10hipError_tPvRmT2_T3_T4_T5_mT6_T7_P12ihipStream_tbENKUlT_T0_E_clISt17integral_constantIbLb0EESY_IbLb1EEEEDaSU_SV_EUlSU_E_NS1_11comp_targetILNS1_3genE8ELNS1_11target_archE1030ELNS1_3gpuE2ELNS1_3repE0EEENS1_30default_config_static_selectorELNS0_4arch9wavefront6targetE0EEEvT1_
    .private_segment_fixed_size: 0
    .sgpr_count:     0
    .sgpr_spill_count: 0
    .symbol:         _ZN7rocprim17ROCPRIM_400000_NS6detail17trampoline_kernelINS0_14default_configENS1_27scan_by_key_config_selectorIxxEEZZNS1_16scan_by_key_implILNS1_25lookback_scan_determinismE0ELb1ES3_N6thrust23THRUST_200600_302600_NS6detail15normal_iteratorINS9_10device_ptrIxEEEESE_SE_xNS9_10multipliesIxEENS9_8equal_toIxEExEE10hipError_tPvRmT2_T3_T4_T5_mT6_T7_P12ihipStream_tbENKUlT_T0_E_clISt17integral_constantIbLb0EESY_IbLb1EEEEDaSU_SV_EUlSU_E_NS1_11comp_targetILNS1_3genE8ELNS1_11target_archE1030ELNS1_3gpuE2ELNS1_3repE0EEENS1_30default_config_static_selectorELNS0_4arch9wavefront6targetE0EEEvT1_.kd
    .uniform_work_group_size: 1
    .uses_dynamic_stack: false
    .vgpr_count:     0
    .vgpr_spill_count: 0
    .wavefront_size: 32
  - .args:
      - .offset:         0
        .size:           136
        .value_kind:     by_value
    .group_segment_fixed_size: 32768
    .kernarg_segment_align: 8
    .kernarg_segment_size: 136
    .language:       OpenCL C
    .language_version:
      - 2
      - 0
    .max_flat_workgroup_size: 256
    .name:           _ZN7rocprim17ROCPRIM_400000_NS6detail17trampoline_kernelINS0_14default_configENS1_27scan_by_key_config_selectorIxxEEZZNS1_16scan_by_key_implILNS1_25lookback_scan_determinismE0ELb1ES3_N6thrust23THRUST_200600_302600_NS6detail15normal_iteratorINS9_10device_ptrIxEEEESE_SE_xNS9_4plusIvEENS9_8equal_toIxEExEE10hipError_tPvRmT2_T3_T4_T5_mT6_T7_P12ihipStream_tbENKUlT_T0_E_clISt17integral_constantIbLb0EESZ_EEDaSU_SV_EUlSU_E_NS1_11comp_targetILNS1_3genE0ELNS1_11target_archE4294967295ELNS1_3gpuE0ELNS1_3repE0EEENS1_30default_config_static_selectorELNS0_4arch9wavefront6targetE0EEEvT1_
    .private_segment_fixed_size: 0
    .sgpr_count:     59
    .sgpr_spill_count: 0
    .symbol:         _ZN7rocprim17ROCPRIM_400000_NS6detail17trampoline_kernelINS0_14default_configENS1_27scan_by_key_config_selectorIxxEEZZNS1_16scan_by_key_implILNS1_25lookback_scan_determinismE0ELb1ES3_N6thrust23THRUST_200600_302600_NS6detail15normal_iteratorINS9_10device_ptrIxEEEESE_SE_xNS9_4plusIvEENS9_8equal_toIxEExEE10hipError_tPvRmT2_T3_T4_T5_mT6_T7_P12ihipStream_tbENKUlT_T0_E_clISt17integral_constantIbLb0EESZ_EEDaSU_SV_EUlSU_E_NS1_11comp_targetILNS1_3genE0ELNS1_11target_archE4294967295ELNS1_3gpuE0ELNS1_3repE0EEENS1_30default_config_static_selectorELNS0_4arch9wavefront6targetE0EEEvT1_.kd
    .uniform_work_group_size: 1
    .uses_dynamic_stack: false
    .vgpr_count:     113
    .vgpr_spill_count: 0
    .wavefront_size: 32
  - .args:
      - .offset:         0
        .size:           136
        .value_kind:     by_value
    .group_segment_fixed_size: 0
    .kernarg_segment_align: 8
    .kernarg_segment_size: 136
    .language:       OpenCL C
    .language_version:
      - 2
      - 0
    .max_flat_workgroup_size: 256
    .name:           _ZN7rocprim17ROCPRIM_400000_NS6detail17trampoline_kernelINS0_14default_configENS1_27scan_by_key_config_selectorIxxEEZZNS1_16scan_by_key_implILNS1_25lookback_scan_determinismE0ELb1ES3_N6thrust23THRUST_200600_302600_NS6detail15normal_iteratorINS9_10device_ptrIxEEEESE_SE_xNS9_4plusIvEENS9_8equal_toIxEExEE10hipError_tPvRmT2_T3_T4_T5_mT6_T7_P12ihipStream_tbENKUlT_T0_E_clISt17integral_constantIbLb0EESZ_EEDaSU_SV_EUlSU_E_NS1_11comp_targetILNS1_3genE10ELNS1_11target_archE1201ELNS1_3gpuE5ELNS1_3repE0EEENS1_30default_config_static_selectorELNS0_4arch9wavefront6targetE0EEEvT1_
    .private_segment_fixed_size: 0
    .sgpr_count:     0
    .sgpr_spill_count: 0
    .symbol:         _ZN7rocprim17ROCPRIM_400000_NS6detail17trampoline_kernelINS0_14default_configENS1_27scan_by_key_config_selectorIxxEEZZNS1_16scan_by_key_implILNS1_25lookback_scan_determinismE0ELb1ES3_N6thrust23THRUST_200600_302600_NS6detail15normal_iteratorINS9_10device_ptrIxEEEESE_SE_xNS9_4plusIvEENS9_8equal_toIxEExEE10hipError_tPvRmT2_T3_T4_T5_mT6_T7_P12ihipStream_tbENKUlT_T0_E_clISt17integral_constantIbLb0EESZ_EEDaSU_SV_EUlSU_E_NS1_11comp_targetILNS1_3genE10ELNS1_11target_archE1201ELNS1_3gpuE5ELNS1_3repE0EEENS1_30default_config_static_selectorELNS0_4arch9wavefront6targetE0EEEvT1_.kd
    .uniform_work_group_size: 1
    .uses_dynamic_stack: false
    .vgpr_count:     0
    .vgpr_spill_count: 0
    .wavefront_size: 32
  - .args:
      - .offset:         0
        .size:           136
        .value_kind:     by_value
    .group_segment_fixed_size: 0
    .kernarg_segment_align: 8
    .kernarg_segment_size: 136
    .language:       OpenCL C
    .language_version:
      - 2
      - 0
    .max_flat_workgroup_size: 256
    .name:           _ZN7rocprim17ROCPRIM_400000_NS6detail17trampoline_kernelINS0_14default_configENS1_27scan_by_key_config_selectorIxxEEZZNS1_16scan_by_key_implILNS1_25lookback_scan_determinismE0ELb1ES3_N6thrust23THRUST_200600_302600_NS6detail15normal_iteratorINS9_10device_ptrIxEEEESE_SE_xNS9_4plusIvEENS9_8equal_toIxEExEE10hipError_tPvRmT2_T3_T4_T5_mT6_T7_P12ihipStream_tbENKUlT_T0_E_clISt17integral_constantIbLb0EESZ_EEDaSU_SV_EUlSU_E_NS1_11comp_targetILNS1_3genE5ELNS1_11target_archE942ELNS1_3gpuE9ELNS1_3repE0EEENS1_30default_config_static_selectorELNS0_4arch9wavefront6targetE0EEEvT1_
    .private_segment_fixed_size: 0
    .sgpr_count:     0
    .sgpr_spill_count: 0
    .symbol:         _ZN7rocprim17ROCPRIM_400000_NS6detail17trampoline_kernelINS0_14default_configENS1_27scan_by_key_config_selectorIxxEEZZNS1_16scan_by_key_implILNS1_25lookback_scan_determinismE0ELb1ES3_N6thrust23THRUST_200600_302600_NS6detail15normal_iteratorINS9_10device_ptrIxEEEESE_SE_xNS9_4plusIvEENS9_8equal_toIxEExEE10hipError_tPvRmT2_T3_T4_T5_mT6_T7_P12ihipStream_tbENKUlT_T0_E_clISt17integral_constantIbLb0EESZ_EEDaSU_SV_EUlSU_E_NS1_11comp_targetILNS1_3genE5ELNS1_11target_archE942ELNS1_3gpuE9ELNS1_3repE0EEENS1_30default_config_static_selectorELNS0_4arch9wavefront6targetE0EEEvT1_.kd
    .uniform_work_group_size: 1
    .uses_dynamic_stack: false
    .vgpr_count:     0
    .vgpr_spill_count: 0
    .wavefront_size: 32
  - .args:
      - .offset:         0
        .size:           136
        .value_kind:     by_value
    .group_segment_fixed_size: 0
    .kernarg_segment_align: 8
    .kernarg_segment_size: 136
    .language:       OpenCL C
    .language_version:
      - 2
      - 0
    .max_flat_workgroup_size: 64
    .name:           _ZN7rocprim17ROCPRIM_400000_NS6detail17trampoline_kernelINS0_14default_configENS1_27scan_by_key_config_selectorIxxEEZZNS1_16scan_by_key_implILNS1_25lookback_scan_determinismE0ELb1ES3_N6thrust23THRUST_200600_302600_NS6detail15normal_iteratorINS9_10device_ptrIxEEEESE_SE_xNS9_4plusIvEENS9_8equal_toIxEExEE10hipError_tPvRmT2_T3_T4_T5_mT6_T7_P12ihipStream_tbENKUlT_T0_E_clISt17integral_constantIbLb0EESZ_EEDaSU_SV_EUlSU_E_NS1_11comp_targetILNS1_3genE4ELNS1_11target_archE910ELNS1_3gpuE8ELNS1_3repE0EEENS1_30default_config_static_selectorELNS0_4arch9wavefront6targetE0EEEvT1_
    .private_segment_fixed_size: 0
    .sgpr_count:     0
    .sgpr_spill_count: 0
    .symbol:         _ZN7rocprim17ROCPRIM_400000_NS6detail17trampoline_kernelINS0_14default_configENS1_27scan_by_key_config_selectorIxxEEZZNS1_16scan_by_key_implILNS1_25lookback_scan_determinismE0ELb1ES3_N6thrust23THRUST_200600_302600_NS6detail15normal_iteratorINS9_10device_ptrIxEEEESE_SE_xNS9_4plusIvEENS9_8equal_toIxEExEE10hipError_tPvRmT2_T3_T4_T5_mT6_T7_P12ihipStream_tbENKUlT_T0_E_clISt17integral_constantIbLb0EESZ_EEDaSU_SV_EUlSU_E_NS1_11comp_targetILNS1_3genE4ELNS1_11target_archE910ELNS1_3gpuE8ELNS1_3repE0EEENS1_30default_config_static_selectorELNS0_4arch9wavefront6targetE0EEEvT1_.kd
    .uniform_work_group_size: 1
    .uses_dynamic_stack: false
    .vgpr_count:     0
    .vgpr_spill_count: 0
    .wavefront_size: 32
  - .args:
      - .offset:         0
        .size:           136
        .value_kind:     by_value
    .group_segment_fixed_size: 0
    .kernarg_segment_align: 8
    .kernarg_segment_size: 136
    .language:       OpenCL C
    .language_version:
      - 2
      - 0
    .max_flat_workgroup_size: 256
    .name:           _ZN7rocprim17ROCPRIM_400000_NS6detail17trampoline_kernelINS0_14default_configENS1_27scan_by_key_config_selectorIxxEEZZNS1_16scan_by_key_implILNS1_25lookback_scan_determinismE0ELb1ES3_N6thrust23THRUST_200600_302600_NS6detail15normal_iteratorINS9_10device_ptrIxEEEESE_SE_xNS9_4plusIvEENS9_8equal_toIxEExEE10hipError_tPvRmT2_T3_T4_T5_mT6_T7_P12ihipStream_tbENKUlT_T0_E_clISt17integral_constantIbLb0EESZ_EEDaSU_SV_EUlSU_E_NS1_11comp_targetILNS1_3genE3ELNS1_11target_archE908ELNS1_3gpuE7ELNS1_3repE0EEENS1_30default_config_static_selectorELNS0_4arch9wavefront6targetE0EEEvT1_
    .private_segment_fixed_size: 0
    .sgpr_count:     0
    .sgpr_spill_count: 0
    .symbol:         _ZN7rocprim17ROCPRIM_400000_NS6detail17trampoline_kernelINS0_14default_configENS1_27scan_by_key_config_selectorIxxEEZZNS1_16scan_by_key_implILNS1_25lookback_scan_determinismE0ELb1ES3_N6thrust23THRUST_200600_302600_NS6detail15normal_iteratorINS9_10device_ptrIxEEEESE_SE_xNS9_4plusIvEENS9_8equal_toIxEExEE10hipError_tPvRmT2_T3_T4_T5_mT6_T7_P12ihipStream_tbENKUlT_T0_E_clISt17integral_constantIbLb0EESZ_EEDaSU_SV_EUlSU_E_NS1_11comp_targetILNS1_3genE3ELNS1_11target_archE908ELNS1_3gpuE7ELNS1_3repE0EEENS1_30default_config_static_selectorELNS0_4arch9wavefront6targetE0EEEvT1_.kd
    .uniform_work_group_size: 1
    .uses_dynamic_stack: false
    .vgpr_count:     0
    .vgpr_spill_count: 0
    .wavefront_size: 32
  - .args:
      - .offset:         0
        .size:           136
        .value_kind:     by_value
    .group_segment_fixed_size: 0
    .kernarg_segment_align: 8
    .kernarg_segment_size: 136
    .language:       OpenCL C
    .language_version:
      - 2
      - 0
    .max_flat_workgroup_size: 256
    .name:           _ZN7rocprim17ROCPRIM_400000_NS6detail17trampoline_kernelINS0_14default_configENS1_27scan_by_key_config_selectorIxxEEZZNS1_16scan_by_key_implILNS1_25lookback_scan_determinismE0ELb1ES3_N6thrust23THRUST_200600_302600_NS6detail15normal_iteratorINS9_10device_ptrIxEEEESE_SE_xNS9_4plusIvEENS9_8equal_toIxEExEE10hipError_tPvRmT2_T3_T4_T5_mT6_T7_P12ihipStream_tbENKUlT_T0_E_clISt17integral_constantIbLb0EESZ_EEDaSU_SV_EUlSU_E_NS1_11comp_targetILNS1_3genE2ELNS1_11target_archE906ELNS1_3gpuE6ELNS1_3repE0EEENS1_30default_config_static_selectorELNS0_4arch9wavefront6targetE0EEEvT1_
    .private_segment_fixed_size: 0
    .sgpr_count:     0
    .sgpr_spill_count: 0
    .symbol:         _ZN7rocprim17ROCPRIM_400000_NS6detail17trampoline_kernelINS0_14default_configENS1_27scan_by_key_config_selectorIxxEEZZNS1_16scan_by_key_implILNS1_25lookback_scan_determinismE0ELb1ES3_N6thrust23THRUST_200600_302600_NS6detail15normal_iteratorINS9_10device_ptrIxEEEESE_SE_xNS9_4plusIvEENS9_8equal_toIxEExEE10hipError_tPvRmT2_T3_T4_T5_mT6_T7_P12ihipStream_tbENKUlT_T0_E_clISt17integral_constantIbLb0EESZ_EEDaSU_SV_EUlSU_E_NS1_11comp_targetILNS1_3genE2ELNS1_11target_archE906ELNS1_3gpuE6ELNS1_3repE0EEENS1_30default_config_static_selectorELNS0_4arch9wavefront6targetE0EEEvT1_.kd
    .uniform_work_group_size: 1
    .uses_dynamic_stack: false
    .vgpr_count:     0
    .vgpr_spill_count: 0
    .wavefront_size: 32
  - .args:
      - .offset:         0
        .size:           136
        .value_kind:     by_value
    .group_segment_fixed_size: 0
    .kernarg_segment_align: 8
    .kernarg_segment_size: 136
    .language:       OpenCL C
    .language_version:
      - 2
      - 0
    .max_flat_workgroup_size: 256
    .name:           _ZN7rocprim17ROCPRIM_400000_NS6detail17trampoline_kernelINS0_14default_configENS1_27scan_by_key_config_selectorIxxEEZZNS1_16scan_by_key_implILNS1_25lookback_scan_determinismE0ELb1ES3_N6thrust23THRUST_200600_302600_NS6detail15normal_iteratorINS9_10device_ptrIxEEEESE_SE_xNS9_4plusIvEENS9_8equal_toIxEExEE10hipError_tPvRmT2_T3_T4_T5_mT6_T7_P12ihipStream_tbENKUlT_T0_E_clISt17integral_constantIbLb0EESZ_EEDaSU_SV_EUlSU_E_NS1_11comp_targetILNS1_3genE10ELNS1_11target_archE1200ELNS1_3gpuE4ELNS1_3repE0EEENS1_30default_config_static_selectorELNS0_4arch9wavefront6targetE0EEEvT1_
    .private_segment_fixed_size: 0
    .sgpr_count:     0
    .sgpr_spill_count: 0
    .symbol:         _ZN7rocprim17ROCPRIM_400000_NS6detail17trampoline_kernelINS0_14default_configENS1_27scan_by_key_config_selectorIxxEEZZNS1_16scan_by_key_implILNS1_25lookback_scan_determinismE0ELb1ES3_N6thrust23THRUST_200600_302600_NS6detail15normal_iteratorINS9_10device_ptrIxEEEESE_SE_xNS9_4plusIvEENS9_8equal_toIxEExEE10hipError_tPvRmT2_T3_T4_T5_mT6_T7_P12ihipStream_tbENKUlT_T0_E_clISt17integral_constantIbLb0EESZ_EEDaSU_SV_EUlSU_E_NS1_11comp_targetILNS1_3genE10ELNS1_11target_archE1200ELNS1_3gpuE4ELNS1_3repE0EEENS1_30default_config_static_selectorELNS0_4arch9wavefront6targetE0EEEvT1_.kd
    .uniform_work_group_size: 1
    .uses_dynamic_stack: false
    .vgpr_count:     0
    .vgpr_spill_count: 0
    .wavefront_size: 32
  - .args:
      - .offset:         0
        .size:           136
        .value_kind:     by_value
    .group_segment_fixed_size: 0
    .kernarg_segment_align: 8
    .kernarg_segment_size: 136
    .language:       OpenCL C
    .language_version:
      - 2
      - 0
    .max_flat_workgroup_size: 256
    .name:           _ZN7rocprim17ROCPRIM_400000_NS6detail17trampoline_kernelINS0_14default_configENS1_27scan_by_key_config_selectorIxxEEZZNS1_16scan_by_key_implILNS1_25lookback_scan_determinismE0ELb1ES3_N6thrust23THRUST_200600_302600_NS6detail15normal_iteratorINS9_10device_ptrIxEEEESE_SE_xNS9_4plusIvEENS9_8equal_toIxEExEE10hipError_tPvRmT2_T3_T4_T5_mT6_T7_P12ihipStream_tbENKUlT_T0_E_clISt17integral_constantIbLb0EESZ_EEDaSU_SV_EUlSU_E_NS1_11comp_targetILNS1_3genE9ELNS1_11target_archE1100ELNS1_3gpuE3ELNS1_3repE0EEENS1_30default_config_static_selectorELNS0_4arch9wavefront6targetE0EEEvT1_
    .private_segment_fixed_size: 0
    .sgpr_count:     0
    .sgpr_spill_count: 0
    .symbol:         _ZN7rocprim17ROCPRIM_400000_NS6detail17trampoline_kernelINS0_14default_configENS1_27scan_by_key_config_selectorIxxEEZZNS1_16scan_by_key_implILNS1_25lookback_scan_determinismE0ELb1ES3_N6thrust23THRUST_200600_302600_NS6detail15normal_iteratorINS9_10device_ptrIxEEEESE_SE_xNS9_4plusIvEENS9_8equal_toIxEExEE10hipError_tPvRmT2_T3_T4_T5_mT6_T7_P12ihipStream_tbENKUlT_T0_E_clISt17integral_constantIbLb0EESZ_EEDaSU_SV_EUlSU_E_NS1_11comp_targetILNS1_3genE9ELNS1_11target_archE1100ELNS1_3gpuE3ELNS1_3repE0EEENS1_30default_config_static_selectorELNS0_4arch9wavefront6targetE0EEEvT1_.kd
    .uniform_work_group_size: 1
    .uses_dynamic_stack: false
    .vgpr_count:     0
    .vgpr_spill_count: 0
    .wavefront_size: 32
  - .args:
      - .offset:         0
        .size:           136
        .value_kind:     by_value
    .group_segment_fixed_size: 0
    .kernarg_segment_align: 8
    .kernarg_segment_size: 136
    .language:       OpenCL C
    .language_version:
      - 2
      - 0
    .max_flat_workgroup_size: 256
    .name:           _ZN7rocprim17ROCPRIM_400000_NS6detail17trampoline_kernelINS0_14default_configENS1_27scan_by_key_config_selectorIxxEEZZNS1_16scan_by_key_implILNS1_25lookback_scan_determinismE0ELb1ES3_N6thrust23THRUST_200600_302600_NS6detail15normal_iteratorINS9_10device_ptrIxEEEESE_SE_xNS9_4plusIvEENS9_8equal_toIxEExEE10hipError_tPvRmT2_T3_T4_T5_mT6_T7_P12ihipStream_tbENKUlT_T0_E_clISt17integral_constantIbLb0EESZ_EEDaSU_SV_EUlSU_E_NS1_11comp_targetILNS1_3genE8ELNS1_11target_archE1030ELNS1_3gpuE2ELNS1_3repE0EEENS1_30default_config_static_selectorELNS0_4arch9wavefront6targetE0EEEvT1_
    .private_segment_fixed_size: 0
    .sgpr_count:     0
    .sgpr_spill_count: 0
    .symbol:         _ZN7rocprim17ROCPRIM_400000_NS6detail17trampoline_kernelINS0_14default_configENS1_27scan_by_key_config_selectorIxxEEZZNS1_16scan_by_key_implILNS1_25lookback_scan_determinismE0ELb1ES3_N6thrust23THRUST_200600_302600_NS6detail15normal_iteratorINS9_10device_ptrIxEEEESE_SE_xNS9_4plusIvEENS9_8equal_toIxEExEE10hipError_tPvRmT2_T3_T4_T5_mT6_T7_P12ihipStream_tbENKUlT_T0_E_clISt17integral_constantIbLb0EESZ_EEDaSU_SV_EUlSU_E_NS1_11comp_targetILNS1_3genE8ELNS1_11target_archE1030ELNS1_3gpuE2ELNS1_3repE0EEENS1_30default_config_static_selectorELNS0_4arch9wavefront6targetE0EEEvT1_.kd
    .uniform_work_group_size: 1
    .uses_dynamic_stack: false
    .vgpr_count:     0
    .vgpr_spill_count: 0
    .wavefront_size: 32
  - .args:
      - .offset:         0
        .size:           136
        .value_kind:     by_value
    .group_segment_fixed_size: 0
    .kernarg_segment_align: 8
    .kernarg_segment_size: 136
    .language:       OpenCL C
    .language_version:
      - 2
      - 0
    .max_flat_workgroup_size: 256
    .name:           _ZN7rocprim17ROCPRIM_400000_NS6detail17trampoline_kernelINS0_14default_configENS1_27scan_by_key_config_selectorIxxEEZZNS1_16scan_by_key_implILNS1_25lookback_scan_determinismE0ELb1ES3_N6thrust23THRUST_200600_302600_NS6detail15normal_iteratorINS9_10device_ptrIxEEEESE_SE_xNS9_4plusIvEENS9_8equal_toIxEExEE10hipError_tPvRmT2_T3_T4_T5_mT6_T7_P12ihipStream_tbENKUlT_T0_E_clISt17integral_constantIbLb1EESZ_EEDaSU_SV_EUlSU_E_NS1_11comp_targetILNS1_3genE0ELNS1_11target_archE4294967295ELNS1_3gpuE0ELNS1_3repE0EEENS1_30default_config_static_selectorELNS0_4arch9wavefront6targetE0EEEvT1_
    .private_segment_fixed_size: 0
    .sgpr_count:     0
    .sgpr_spill_count: 0
    .symbol:         _ZN7rocprim17ROCPRIM_400000_NS6detail17trampoline_kernelINS0_14default_configENS1_27scan_by_key_config_selectorIxxEEZZNS1_16scan_by_key_implILNS1_25lookback_scan_determinismE0ELb1ES3_N6thrust23THRUST_200600_302600_NS6detail15normal_iteratorINS9_10device_ptrIxEEEESE_SE_xNS9_4plusIvEENS9_8equal_toIxEExEE10hipError_tPvRmT2_T3_T4_T5_mT6_T7_P12ihipStream_tbENKUlT_T0_E_clISt17integral_constantIbLb1EESZ_EEDaSU_SV_EUlSU_E_NS1_11comp_targetILNS1_3genE0ELNS1_11target_archE4294967295ELNS1_3gpuE0ELNS1_3repE0EEENS1_30default_config_static_selectorELNS0_4arch9wavefront6targetE0EEEvT1_.kd
    .uniform_work_group_size: 1
    .uses_dynamic_stack: false
    .vgpr_count:     0
    .vgpr_spill_count: 0
    .wavefront_size: 32
  - .args:
      - .offset:         0
        .size:           136
        .value_kind:     by_value
    .group_segment_fixed_size: 0
    .kernarg_segment_align: 8
    .kernarg_segment_size: 136
    .language:       OpenCL C
    .language_version:
      - 2
      - 0
    .max_flat_workgroup_size: 256
    .name:           _ZN7rocprim17ROCPRIM_400000_NS6detail17trampoline_kernelINS0_14default_configENS1_27scan_by_key_config_selectorIxxEEZZNS1_16scan_by_key_implILNS1_25lookback_scan_determinismE0ELb1ES3_N6thrust23THRUST_200600_302600_NS6detail15normal_iteratorINS9_10device_ptrIxEEEESE_SE_xNS9_4plusIvEENS9_8equal_toIxEExEE10hipError_tPvRmT2_T3_T4_T5_mT6_T7_P12ihipStream_tbENKUlT_T0_E_clISt17integral_constantIbLb1EESZ_EEDaSU_SV_EUlSU_E_NS1_11comp_targetILNS1_3genE10ELNS1_11target_archE1201ELNS1_3gpuE5ELNS1_3repE0EEENS1_30default_config_static_selectorELNS0_4arch9wavefront6targetE0EEEvT1_
    .private_segment_fixed_size: 0
    .sgpr_count:     0
    .sgpr_spill_count: 0
    .symbol:         _ZN7rocprim17ROCPRIM_400000_NS6detail17trampoline_kernelINS0_14default_configENS1_27scan_by_key_config_selectorIxxEEZZNS1_16scan_by_key_implILNS1_25lookback_scan_determinismE0ELb1ES3_N6thrust23THRUST_200600_302600_NS6detail15normal_iteratorINS9_10device_ptrIxEEEESE_SE_xNS9_4plusIvEENS9_8equal_toIxEExEE10hipError_tPvRmT2_T3_T4_T5_mT6_T7_P12ihipStream_tbENKUlT_T0_E_clISt17integral_constantIbLb1EESZ_EEDaSU_SV_EUlSU_E_NS1_11comp_targetILNS1_3genE10ELNS1_11target_archE1201ELNS1_3gpuE5ELNS1_3repE0EEENS1_30default_config_static_selectorELNS0_4arch9wavefront6targetE0EEEvT1_.kd
    .uniform_work_group_size: 1
    .uses_dynamic_stack: false
    .vgpr_count:     0
    .vgpr_spill_count: 0
    .wavefront_size: 32
  - .args:
      - .offset:         0
        .size:           136
        .value_kind:     by_value
    .group_segment_fixed_size: 0
    .kernarg_segment_align: 8
    .kernarg_segment_size: 136
    .language:       OpenCL C
    .language_version:
      - 2
      - 0
    .max_flat_workgroup_size: 256
    .name:           _ZN7rocprim17ROCPRIM_400000_NS6detail17trampoline_kernelINS0_14default_configENS1_27scan_by_key_config_selectorIxxEEZZNS1_16scan_by_key_implILNS1_25lookback_scan_determinismE0ELb1ES3_N6thrust23THRUST_200600_302600_NS6detail15normal_iteratorINS9_10device_ptrIxEEEESE_SE_xNS9_4plusIvEENS9_8equal_toIxEExEE10hipError_tPvRmT2_T3_T4_T5_mT6_T7_P12ihipStream_tbENKUlT_T0_E_clISt17integral_constantIbLb1EESZ_EEDaSU_SV_EUlSU_E_NS1_11comp_targetILNS1_3genE5ELNS1_11target_archE942ELNS1_3gpuE9ELNS1_3repE0EEENS1_30default_config_static_selectorELNS0_4arch9wavefront6targetE0EEEvT1_
    .private_segment_fixed_size: 0
    .sgpr_count:     0
    .sgpr_spill_count: 0
    .symbol:         _ZN7rocprim17ROCPRIM_400000_NS6detail17trampoline_kernelINS0_14default_configENS1_27scan_by_key_config_selectorIxxEEZZNS1_16scan_by_key_implILNS1_25lookback_scan_determinismE0ELb1ES3_N6thrust23THRUST_200600_302600_NS6detail15normal_iteratorINS9_10device_ptrIxEEEESE_SE_xNS9_4plusIvEENS9_8equal_toIxEExEE10hipError_tPvRmT2_T3_T4_T5_mT6_T7_P12ihipStream_tbENKUlT_T0_E_clISt17integral_constantIbLb1EESZ_EEDaSU_SV_EUlSU_E_NS1_11comp_targetILNS1_3genE5ELNS1_11target_archE942ELNS1_3gpuE9ELNS1_3repE0EEENS1_30default_config_static_selectorELNS0_4arch9wavefront6targetE0EEEvT1_.kd
    .uniform_work_group_size: 1
    .uses_dynamic_stack: false
    .vgpr_count:     0
    .vgpr_spill_count: 0
    .wavefront_size: 32
  - .args:
      - .offset:         0
        .size:           136
        .value_kind:     by_value
    .group_segment_fixed_size: 0
    .kernarg_segment_align: 8
    .kernarg_segment_size: 136
    .language:       OpenCL C
    .language_version:
      - 2
      - 0
    .max_flat_workgroup_size: 64
    .name:           _ZN7rocprim17ROCPRIM_400000_NS6detail17trampoline_kernelINS0_14default_configENS1_27scan_by_key_config_selectorIxxEEZZNS1_16scan_by_key_implILNS1_25lookback_scan_determinismE0ELb1ES3_N6thrust23THRUST_200600_302600_NS6detail15normal_iteratorINS9_10device_ptrIxEEEESE_SE_xNS9_4plusIvEENS9_8equal_toIxEExEE10hipError_tPvRmT2_T3_T4_T5_mT6_T7_P12ihipStream_tbENKUlT_T0_E_clISt17integral_constantIbLb1EESZ_EEDaSU_SV_EUlSU_E_NS1_11comp_targetILNS1_3genE4ELNS1_11target_archE910ELNS1_3gpuE8ELNS1_3repE0EEENS1_30default_config_static_selectorELNS0_4arch9wavefront6targetE0EEEvT1_
    .private_segment_fixed_size: 0
    .sgpr_count:     0
    .sgpr_spill_count: 0
    .symbol:         _ZN7rocprim17ROCPRIM_400000_NS6detail17trampoline_kernelINS0_14default_configENS1_27scan_by_key_config_selectorIxxEEZZNS1_16scan_by_key_implILNS1_25lookback_scan_determinismE0ELb1ES3_N6thrust23THRUST_200600_302600_NS6detail15normal_iteratorINS9_10device_ptrIxEEEESE_SE_xNS9_4plusIvEENS9_8equal_toIxEExEE10hipError_tPvRmT2_T3_T4_T5_mT6_T7_P12ihipStream_tbENKUlT_T0_E_clISt17integral_constantIbLb1EESZ_EEDaSU_SV_EUlSU_E_NS1_11comp_targetILNS1_3genE4ELNS1_11target_archE910ELNS1_3gpuE8ELNS1_3repE0EEENS1_30default_config_static_selectorELNS0_4arch9wavefront6targetE0EEEvT1_.kd
    .uniform_work_group_size: 1
    .uses_dynamic_stack: false
    .vgpr_count:     0
    .vgpr_spill_count: 0
    .wavefront_size: 32
  - .args:
      - .offset:         0
        .size:           136
        .value_kind:     by_value
    .group_segment_fixed_size: 0
    .kernarg_segment_align: 8
    .kernarg_segment_size: 136
    .language:       OpenCL C
    .language_version:
      - 2
      - 0
    .max_flat_workgroup_size: 256
    .name:           _ZN7rocprim17ROCPRIM_400000_NS6detail17trampoline_kernelINS0_14default_configENS1_27scan_by_key_config_selectorIxxEEZZNS1_16scan_by_key_implILNS1_25lookback_scan_determinismE0ELb1ES3_N6thrust23THRUST_200600_302600_NS6detail15normal_iteratorINS9_10device_ptrIxEEEESE_SE_xNS9_4plusIvEENS9_8equal_toIxEExEE10hipError_tPvRmT2_T3_T4_T5_mT6_T7_P12ihipStream_tbENKUlT_T0_E_clISt17integral_constantIbLb1EESZ_EEDaSU_SV_EUlSU_E_NS1_11comp_targetILNS1_3genE3ELNS1_11target_archE908ELNS1_3gpuE7ELNS1_3repE0EEENS1_30default_config_static_selectorELNS0_4arch9wavefront6targetE0EEEvT1_
    .private_segment_fixed_size: 0
    .sgpr_count:     0
    .sgpr_spill_count: 0
    .symbol:         _ZN7rocprim17ROCPRIM_400000_NS6detail17trampoline_kernelINS0_14default_configENS1_27scan_by_key_config_selectorIxxEEZZNS1_16scan_by_key_implILNS1_25lookback_scan_determinismE0ELb1ES3_N6thrust23THRUST_200600_302600_NS6detail15normal_iteratorINS9_10device_ptrIxEEEESE_SE_xNS9_4plusIvEENS9_8equal_toIxEExEE10hipError_tPvRmT2_T3_T4_T5_mT6_T7_P12ihipStream_tbENKUlT_T0_E_clISt17integral_constantIbLb1EESZ_EEDaSU_SV_EUlSU_E_NS1_11comp_targetILNS1_3genE3ELNS1_11target_archE908ELNS1_3gpuE7ELNS1_3repE0EEENS1_30default_config_static_selectorELNS0_4arch9wavefront6targetE0EEEvT1_.kd
    .uniform_work_group_size: 1
    .uses_dynamic_stack: false
    .vgpr_count:     0
    .vgpr_spill_count: 0
    .wavefront_size: 32
  - .args:
      - .offset:         0
        .size:           136
        .value_kind:     by_value
    .group_segment_fixed_size: 0
    .kernarg_segment_align: 8
    .kernarg_segment_size: 136
    .language:       OpenCL C
    .language_version:
      - 2
      - 0
    .max_flat_workgroup_size: 256
    .name:           _ZN7rocprim17ROCPRIM_400000_NS6detail17trampoline_kernelINS0_14default_configENS1_27scan_by_key_config_selectorIxxEEZZNS1_16scan_by_key_implILNS1_25lookback_scan_determinismE0ELb1ES3_N6thrust23THRUST_200600_302600_NS6detail15normal_iteratorINS9_10device_ptrIxEEEESE_SE_xNS9_4plusIvEENS9_8equal_toIxEExEE10hipError_tPvRmT2_T3_T4_T5_mT6_T7_P12ihipStream_tbENKUlT_T0_E_clISt17integral_constantIbLb1EESZ_EEDaSU_SV_EUlSU_E_NS1_11comp_targetILNS1_3genE2ELNS1_11target_archE906ELNS1_3gpuE6ELNS1_3repE0EEENS1_30default_config_static_selectorELNS0_4arch9wavefront6targetE0EEEvT1_
    .private_segment_fixed_size: 0
    .sgpr_count:     0
    .sgpr_spill_count: 0
    .symbol:         _ZN7rocprim17ROCPRIM_400000_NS6detail17trampoline_kernelINS0_14default_configENS1_27scan_by_key_config_selectorIxxEEZZNS1_16scan_by_key_implILNS1_25lookback_scan_determinismE0ELb1ES3_N6thrust23THRUST_200600_302600_NS6detail15normal_iteratorINS9_10device_ptrIxEEEESE_SE_xNS9_4plusIvEENS9_8equal_toIxEExEE10hipError_tPvRmT2_T3_T4_T5_mT6_T7_P12ihipStream_tbENKUlT_T0_E_clISt17integral_constantIbLb1EESZ_EEDaSU_SV_EUlSU_E_NS1_11comp_targetILNS1_3genE2ELNS1_11target_archE906ELNS1_3gpuE6ELNS1_3repE0EEENS1_30default_config_static_selectorELNS0_4arch9wavefront6targetE0EEEvT1_.kd
    .uniform_work_group_size: 1
    .uses_dynamic_stack: false
    .vgpr_count:     0
    .vgpr_spill_count: 0
    .wavefront_size: 32
  - .args:
      - .offset:         0
        .size:           136
        .value_kind:     by_value
    .group_segment_fixed_size: 0
    .kernarg_segment_align: 8
    .kernarg_segment_size: 136
    .language:       OpenCL C
    .language_version:
      - 2
      - 0
    .max_flat_workgroup_size: 256
    .name:           _ZN7rocprim17ROCPRIM_400000_NS6detail17trampoline_kernelINS0_14default_configENS1_27scan_by_key_config_selectorIxxEEZZNS1_16scan_by_key_implILNS1_25lookback_scan_determinismE0ELb1ES3_N6thrust23THRUST_200600_302600_NS6detail15normal_iteratorINS9_10device_ptrIxEEEESE_SE_xNS9_4plusIvEENS9_8equal_toIxEExEE10hipError_tPvRmT2_T3_T4_T5_mT6_T7_P12ihipStream_tbENKUlT_T0_E_clISt17integral_constantIbLb1EESZ_EEDaSU_SV_EUlSU_E_NS1_11comp_targetILNS1_3genE10ELNS1_11target_archE1200ELNS1_3gpuE4ELNS1_3repE0EEENS1_30default_config_static_selectorELNS0_4arch9wavefront6targetE0EEEvT1_
    .private_segment_fixed_size: 0
    .sgpr_count:     0
    .sgpr_spill_count: 0
    .symbol:         _ZN7rocprim17ROCPRIM_400000_NS6detail17trampoline_kernelINS0_14default_configENS1_27scan_by_key_config_selectorIxxEEZZNS1_16scan_by_key_implILNS1_25lookback_scan_determinismE0ELb1ES3_N6thrust23THRUST_200600_302600_NS6detail15normal_iteratorINS9_10device_ptrIxEEEESE_SE_xNS9_4plusIvEENS9_8equal_toIxEExEE10hipError_tPvRmT2_T3_T4_T5_mT6_T7_P12ihipStream_tbENKUlT_T0_E_clISt17integral_constantIbLb1EESZ_EEDaSU_SV_EUlSU_E_NS1_11comp_targetILNS1_3genE10ELNS1_11target_archE1200ELNS1_3gpuE4ELNS1_3repE0EEENS1_30default_config_static_selectorELNS0_4arch9wavefront6targetE0EEEvT1_.kd
    .uniform_work_group_size: 1
    .uses_dynamic_stack: false
    .vgpr_count:     0
    .vgpr_spill_count: 0
    .wavefront_size: 32
  - .args:
      - .offset:         0
        .size:           136
        .value_kind:     by_value
    .group_segment_fixed_size: 0
    .kernarg_segment_align: 8
    .kernarg_segment_size: 136
    .language:       OpenCL C
    .language_version:
      - 2
      - 0
    .max_flat_workgroup_size: 256
    .name:           _ZN7rocprim17ROCPRIM_400000_NS6detail17trampoline_kernelINS0_14default_configENS1_27scan_by_key_config_selectorIxxEEZZNS1_16scan_by_key_implILNS1_25lookback_scan_determinismE0ELb1ES3_N6thrust23THRUST_200600_302600_NS6detail15normal_iteratorINS9_10device_ptrIxEEEESE_SE_xNS9_4plusIvEENS9_8equal_toIxEExEE10hipError_tPvRmT2_T3_T4_T5_mT6_T7_P12ihipStream_tbENKUlT_T0_E_clISt17integral_constantIbLb1EESZ_EEDaSU_SV_EUlSU_E_NS1_11comp_targetILNS1_3genE9ELNS1_11target_archE1100ELNS1_3gpuE3ELNS1_3repE0EEENS1_30default_config_static_selectorELNS0_4arch9wavefront6targetE0EEEvT1_
    .private_segment_fixed_size: 0
    .sgpr_count:     0
    .sgpr_spill_count: 0
    .symbol:         _ZN7rocprim17ROCPRIM_400000_NS6detail17trampoline_kernelINS0_14default_configENS1_27scan_by_key_config_selectorIxxEEZZNS1_16scan_by_key_implILNS1_25lookback_scan_determinismE0ELb1ES3_N6thrust23THRUST_200600_302600_NS6detail15normal_iteratorINS9_10device_ptrIxEEEESE_SE_xNS9_4plusIvEENS9_8equal_toIxEExEE10hipError_tPvRmT2_T3_T4_T5_mT6_T7_P12ihipStream_tbENKUlT_T0_E_clISt17integral_constantIbLb1EESZ_EEDaSU_SV_EUlSU_E_NS1_11comp_targetILNS1_3genE9ELNS1_11target_archE1100ELNS1_3gpuE3ELNS1_3repE0EEENS1_30default_config_static_selectorELNS0_4arch9wavefront6targetE0EEEvT1_.kd
    .uniform_work_group_size: 1
    .uses_dynamic_stack: false
    .vgpr_count:     0
    .vgpr_spill_count: 0
    .wavefront_size: 32
  - .args:
      - .offset:         0
        .size:           136
        .value_kind:     by_value
    .group_segment_fixed_size: 0
    .kernarg_segment_align: 8
    .kernarg_segment_size: 136
    .language:       OpenCL C
    .language_version:
      - 2
      - 0
    .max_flat_workgroup_size: 256
    .name:           _ZN7rocprim17ROCPRIM_400000_NS6detail17trampoline_kernelINS0_14default_configENS1_27scan_by_key_config_selectorIxxEEZZNS1_16scan_by_key_implILNS1_25lookback_scan_determinismE0ELb1ES3_N6thrust23THRUST_200600_302600_NS6detail15normal_iteratorINS9_10device_ptrIxEEEESE_SE_xNS9_4plusIvEENS9_8equal_toIxEExEE10hipError_tPvRmT2_T3_T4_T5_mT6_T7_P12ihipStream_tbENKUlT_T0_E_clISt17integral_constantIbLb1EESZ_EEDaSU_SV_EUlSU_E_NS1_11comp_targetILNS1_3genE8ELNS1_11target_archE1030ELNS1_3gpuE2ELNS1_3repE0EEENS1_30default_config_static_selectorELNS0_4arch9wavefront6targetE0EEEvT1_
    .private_segment_fixed_size: 0
    .sgpr_count:     0
    .sgpr_spill_count: 0
    .symbol:         _ZN7rocprim17ROCPRIM_400000_NS6detail17trampoline_kernelINS0_14default_configENS1_27scan_by_key_config_selectorIxxEEZZNS1_16scan_by_key_implILNS1_25lookback_scan_determinismE0ELb1ES3_N6thrust23THRUST_200600_302600_NS6detail15normal_iteratorINS9_10device_ptrIxEEEESE_SE_xNS9_4plusIvEENS9_8equal_toIxEExEE10hipError_tPvRmT2_T3_T4_T5_mT6_T7_P12ihipStream_tbENKUlT_T0_E_clISt17integral_constantIbLb1EESZ_EEDaSU_SV_EUlSU_E_NS1_11comp_targetILNS1_3genE8ELNS1_11target_archE1030ELNS1_3gpuE2ELNS1_3repE0EEENS1_30default_config_static_selectorELNS0_4arch9wavefront6targetE0EEEvT1_.kd
    .uniform_work_group_size: 1
    .uses_dynamic_stack: false
    .vgpr_count:     0
    .vgpr_spill_count: 0
    .wavefront_size: 32
  - .args:
      - .offset:         0
        .size:           136
        .value_kind:     by_value
    .group_segment_fixed_size: 0
    .kernarg_segment_align: 8
    .kernarg_segment_size: 136
    .language:       OpenCL C
    .language_version:
      - 2
      - 0
    .max_flat_workgroup_size: 256
    .name:           _ZN7rocprim17ROCPRIM_400000_NS6detail17trampoline_kernelINS0_14default_configENS1_27scan_by_key_config_selectorIxxEEZZNS1_16scan_by_key_implILNS1_25lookback_scan_determinismE0ELb1ES3_N6thrust23THRUST_200600_302600_NS6detail15normal_iteratorINS9_10device_ptrIxEEEESE_SE_xNS9_4plusIvEENS9_8equal_toIxEExEE10hipError_tPvRmT2_T3_T4_T5_mT6_T7_P12ihipStream_tbENKUlT_T0_E_clISt17integral_constantIbLb1EESY_IbLb0EEEEDaSU_SV_EUlSU_E_NS1_11comp_targetILNS1_3genE0ELNS1_11target_archE4294967295ELNS1_3gpuE0ELNS1_3repE0EEENS1_30default_config_static_selectorELNS0_4arch9wavefront6targetE0EEEvT1_
    .private_segment_fixed_size: 0
    .sgpr_count:     0
    .sgpr_spill_count: 0
    .symbol:         _ZN7rocprim17ROCPRIM_400000_NS6detail17trampoline_kernelINS0_14default_configENS1_27scan_by_key_config_selectorIxxEEZZNS1_16scan_by_key_implILNS1_25lookback_scan_determinismE0ELb1ES3_N6thrust23THRUST_200600_302600_NS6detail15normal_iteratorINS9_10device_ptrIxEEEESE_SE_xNS9_4plusIvEENS9_8equal_toIxEExEE10hipError_tPvRmT2_T3_T4_T5_mT6_T7_P12ihipStream_tbENKUlT_T0_E_clISt17integral_constantIbLb1EESY_IbLb0EEEEDaSU_SV_EUlSU_E_NS1_11comp_targetILNS1_3genE0ELNS1_11target_archE4294967295ELNS1_3gpuE0ELNS1_3repE0EEENS1_30default_config_static_selectorELNS0_4arch9wavefront6targetE0EEEvT1_.kd
    .uniform_work_group_size: 1
    .uses_dynamic_stack: false
    .vgpr_count:     0
    .vgpr_spill_count: 0
    .wavefront_size: 32
  - .args:
      - .offset:         0
        .size:           136
        .value_kind:     by_value
    .group_segment_fixed_size: 0
    .kernarg_segment_align: 8
    .kernarg_segment_size: 136
    .language:       OpenCL C
    .language_version:
      - 2
      - 0
    .max_flat_workgroup_size: 256
    .name:           _ZN7rocprim17ROCPRIM_400000_NS6detail17trampoline_kernelINS0_14default_configENS1_27scan_by_key_config_selectorIxxEEZZNS1_16scan_by_key_implILNS1_25lookback_scan_determinismE0ELb1ES3_N6thrust23THRUST_200600_302600_NS6detail15normal_iteratorINS9_10device_ptrIxEEEESE_SE_xNS9_4plusIvEENS9_8equal_toIxEExEE10hipError_tPvRmT2_T3_T4_T5_mT6_T7_P12ihipStream_tbENKUlT_T0_E_clISt17integral_constantIbLb1EESY_IbLb0EEEEDaSU_SV_EUlSU_E_NS1_11comp_targetILNS1_3genE10ELNS1_11target_archE1201ELNS1_3gpuE5ELNS1_3repE0EEENS1_30default_config_static_selectorELNS0_4arch9wavefront6targetE0EEEvT1_
    .private_segment_fixed_size: 0
    .sgpr_count:     0
    .sgpr_spill_count: 0
    .symbol:         _ZN7rocprim17ROCPRIM_400000_NS6detail17trampoline_kernelINS0_14default_configENS1_27scan_by_key_config_selectorIxxEEZZNS1_16scan_by_key_implILNS1_25lookback_scan_determinismE0ELb1ES3_N6thrust23THRUST_200600_302600_NS6detail15normal_iteratorINS9_10device_ptrIxEEEESE_SE_xNS9_4plusIvEENS9_8equal_toIxEExEE10hipError_tPvRmT2_T3_T4_T5_mT6_T7_P12ihipStream_tbENKUlT_T0_E_clISt17integral_constantIbLb1EESY_IbLb0EEEEDaSU_SV_EUlSU_E_NS1_11comp_targetILNS1_3genE10ELNS1_11target_archE1201ELNS1_3gpuE5ELNS1_3repE0EEENS1_30default_config_static_selectorELNS0_4arch9wavefront6targetE0EEEvT1_.kd
    .uniform_work_group_size: 1
    .uses_dynamic_stack: false
    .vgpr_count:     0
    .vgpr_spill_count: 0
    .wavefront_size: 32
  - .args:
      - .offset:         0
        .size:           136
        .value_kind:     by_value
    .group_segment_fixed_size: 0
    .kernarg_segment_align: 8
    .kernarg_segment_size: 136
    .language:       OpenCL C
    .language_version:
      - 2
      - 0
    .max_flat_workgroup_size: 256
    .name:           _ZN7rocprim17ROCPRIM_400000_NS6detail17trampoline_kernelINS0_14default_configENS1_27scan_by_key_config_selectorIxxEEZZNS1_16scan_by_key_implILNS1_25lookback_scan_determinismE0ELb1ES3_N6thrust23THRUST_200600_302600_NS6detail15normal_iteratorINS9_10device_ptrIxEEEESE_SE_xNS9_4plusIvEENS9_8equal_toIxEExEE10hipError_tPvRmT2_T3_T4_T5_mT6_T7_P12ihipStream_tbENKUlT_T0_E_clISt17integral_constantIbLb1EESY_IbLb0EEEEDaSU_SV_EUlSU_E_NS1_11comp_targetILNS1_3genE5ELNS1_11target_archE942ELNS1_3gpuE9ELNS1_3repE0EEENS1_30default_config_static_selectorELNS0_4arch9wavefront6targetE0EEEvT1_
    .private_segment_fixed_size: 0
    .sgpr_count:     0
    .sgpr_spill_count: 0
    .symbol:         _ZN7rocprim17ROCPRIM_400000_NS6detail17trampoline_kernelINS0_14default_configENS1_27scan_by_key_config_selectorIxxEEZZNS1_16scan_by_key_implILNS1_25lookback_scan_determinismE0ELb1ES3_N6thrust23THRUST_200600_302600_NS6detail15normal_iteratorINS9_10device_ptrIxEEEESE_SE_xNS9_4plusIvEENS9_8equal_toIxEExEE10hipError_tPvRmT2_T3_T4_T5_mT6_T7_P12ihipStream_tbENKUlT_T0_E_clISt17integral_constantIbLb1EESY_IbLb0EEEEDaSU_SV_EUlSU_E_NS1_11comp_targetILNS1_3genE5ELNS1_11target_archE942ELNS1_3gpuE9ELNS1_3repE0EEENS1_30default_config_static_selectorELNS0_4arch9wavefront6targetE0EEEvT1_.kd
    .uniform_work_group_size: 1
    .uses_dynamic_stack: false
    .vgpr_count:     0
    .vgpr_spill_count: 0
    .wavefront_size: 32
  - .args:
      - .offset:         0
        .size:           136
        .value_kind:     by_value
    .group_segment_fixed_size: 0
    .kernarg_segment_align: 8
    .kernarg_segment_size: 136
    .language:       OpenCL C
    .language_version:
      - 2
      - 0
    .max_flat_workgroup_size: 64
    .name:           _ZN7rocprim17ROCPRIM_400000_NS6detail17trampoline_kernelINS0_14default_configENS1_27scan_by_key_config_selectorIxxEEZZNS1_16scan_by_key_implILNS1_25lookback_scan_determinismE0ELb1ES3_N6thrust23THRUST_200600_302600_NS6detail15normal_iteratorINS9_10device_ptrIxEEEESE_SE_xNS9_4plusIvEENS9_8equal_toIxEExEE10hipError_tPvRmT2_T3_T4_T5_mT6_T7_P12ihipStream_tbENKUlT_T0_E_clISt17integral_constantIbLb1EESY_IbLb0EEEEDaSU_SV_EUlSU_E_NS1_11comp_targetILNS1_3genE4ELNS1_11target_archE910ELNS1_3gpuE8ELNS1_3repE0EEENS1_30default_config_static_selectorELNS0_4arch9wavefront6targetE0EEEvT1_
    .private_segment_fixed_size: 0
    .sgpr_count:     0
    .sgpr_spill_count: 0
    .symbol:         _ZN7rocprim17ROCPRIM_400000_NS6detail17trampoline_kernelINS0_14default_configENS1_27scan_by_key_config_selectorIxxEEZZNS1_16scan_by_key_implILNS1_25lookback_scan_determinismE0ELb1ES3_N6thrust23THRUST_200600_302600_NS6detail15normal_iteratorINS9_10device_ptrIxEEEESE_SE_xNS9_4plusIvEENS9_8equal_toIxEExEE10hipError_tPvRmT2_T3_T4_T5_mT6_T7_P12ihipStream_tbENKUlT_T0_E_clISt17integral_constantIbLb1EESY_IbLb0EEEEDaSU_SV_EUlSU_E_NS1_11comp_targetILNS1_3genE4ELNS1_11target_archE910ELNS1_3gpuE8ELNS1_3repE0EEENS1_30default_config_static_selectorELNS0_4arch9wavefront6targetE0EEEvT1_.kd
    .uniform_work_group_size: 1
    .uses_dynamic_stack: false
    .vgpr_count:     0
    .vgpr_spill_count: 0
    .wavefront_size: 32
  - .args:
      - .offset:         0
        .size:           136
        .value_kind:     by_value
    .group_segment_fixed_size: 0
    .kernarg_segment_align: 8
    .kernarg_segment_size: 136
    .language:       OpenCL C
    .language_version:
      - 2
      - 0
    .max_flat_workgroup_size: 256
    .name:           _ZN7rocprim17ROCPRIM_400000_NS6detail17trampoline_kernelINS0_14default_configENS1_27scan_by_key_config_selectorIxxEEZZNS1_16scan_by_key_implILNS1_25lookback_scan_determinismE0ELb1ES3_N6thrust23THRUST_200600_302600_NS6detail15normal_iteratorINS9_10device_ptrIxEEEESE_SE_xNS9_4plusIvEENS9_8equal_toIxEExEE10hipError_tPvRmT2_T3_T4_T5_mT6_T7_P12ihipStream_tbENKUlT_T0_E_clISt17integral_constantIbLb1EESY_IbLb0EEEEDaSU_SV_EUlSU_E_NS1_11comp_targetILNS1_3genE3ELNS1_11target_archE908ELNS1_3gpuE7ELNS1_3repE0EEENS1_30default_config_static_selectorELNS0_4arch9wavefront6targetE0EEEvT1_
    .private_segment_fixed_size: 0
    .sgpr_count:     0
    .sgpr_spill_count: 0
    .symbol:         _ZN7rocprim17ROCPRIM_400000_NS6detail17trampoline_kernelINS0_14default_configENS1_27scan_by_key_config_selectorIxxEEZZNS1_16scan_by_key_implILNS1_25lookback_scan_determinismE0ELb1ES3_N6thrust23THRUST_200600_302600_NS6detail15normal_iteratorINS9_10device_ptrIxEEEESE_SE_xNS9_4plusIvEENS9_8equal_toIxEExEE10hipError_tPvRmT2_T3_T4_T5_mT6_T7_P12ihipStream_tbENKUlT_T0_E_clISt17integral_constantIbLb1EESY_IbLb0EEEEDaSU_SV_EUlSU_E_NS1_11comp_targetILNS1_3genE3ELNS1_11target_archE908ELNS1_3gpuE7ELNS1_3repE0EEENS1_30default_config_static_selectorELNS0_4arch9wavefront6targetE0EEEvT1_.kd
    .uniform_work_group_size: 1
    .uses_dynamic_stack: false
    .vgpr_count:     0
    .vgpr_spill_count: 0
    .wavefront_size: 32
  - .args:
      - .offset:         0
        .size:           136
        .value_kind:     by_value
    .group_segment_fixed_size: 0
    .kernarg_segment_align: 8
    .kernarg_segment_size: 136
    .language:       OpenCL C
    .language_version:
      - 2
      - 0
    .max_flat_workgroup_size: 256
    .name:           _ZN7rocprim17ROCPRIM_400000_NS6detail17trampoline_kernelINS0_14default_configENS1_27scan_by_key_config_selectorIxxEEZZNS1_16scan_by_key_implILNS1_25lookback_scan_determinismE0ELb1ES3_N6thrust23THRUST_200600_302600_NS6detail15normal_iteratorINS9_10device_ptrIxEEEESE_SE_xNS9_4plusIvEENS9_8equal_toIxEExEE10hipError_tPvRmT2_T3_T4_T5_mT6_T7_P12ihipStream_tbENKUlT_T0_E_clISt17integral_constantIbLb1EESY_IbLb0EEEEDaSU_SV_EUlSU_E_NS1_11comp_targetILNS1_3genE2ELNS1_11target_archE906ELNS1_3gpuE6ELNS1_3repE0EEENS1_30default_config_static_selectorELNS0_4arch9wavefront6targetE0EEEvT1_
    .private_segment_fixed_size: 0
    .sgpr_count:     0
    .sgpr_spill_count: 0
    .symbol:         _ZN7rocprim17ROCPRIM_400000_NS6detail17trampoline_kernelINS0_14default_configENS1_27scan_by_key_config_selectorIxxEEZZNS1_16scan_by_key_implILNS1_25lookback_scan_determinismE0ELb1ES3_N6thrust23THRUST_200600_302600_NS6detail15normal_iteratorINS9_10device_ptrIxEEEESE_SE_xNS9_4plusIvEENS9_8equal_toIxEExEE10hipError_tPvRmT2_T3_T4_T5_mT6_T7_P12ihipStream_tbENKUlT_T0_E_clISt17integral_constantIbLb1EESY_IbLb0EEEEDaSU_SV_EUlSU_E_NS1_11comp_targetILNS1_3genE2ELNS1_11target_archE906ELNS1_3gpuE6ELNS1_3repE0EEENS1_30default_config_static_selectorELNS0_4arch9wavefront6targetE0EEEvT1_.kd
    .uniform_work_group_size: 1
    .uses_dynamic_stack: false
    .vgpr_count:     0
    .vgpr_spill_count: 0
    .wavefront_size: 32
  - .args:
      - .offset:         0
        .size:           136
        .value_kind:     by_value
    .group_segment_fixed_size: 0
    .kernarg_segment_align: 8
    .kernarg_segment_size: 136
    .language:       OpenCL C
    .language_version:
      - 2
      - 0
    .max_flat_workgroup_size: 256
    .name:           _ZN7rocprim17ROCPRIM_400000_NS6detail17trampoline_kernelINS0_14default_configENS1_27scan_by_key_config_selectorIxxEEZZNS1_16scan_by_key_implILNS1_25lookback_scan_determinismE0ELb1ES3_N6thrust23THRUST_200600_302600_NS6detail15normal_iteratorINS9_10device_ptrIxEEEESE_SE_xNS9_4plusIvEENS9_8equal_toIxEExEE10hipError_tPvRmT2_T3_T4_T5_mT6_T7_P12ihipStream_tbENKUlT_T0_E_clISt17integral_constantIbLb1EESY_IbLb0EEEEDaSU_SV_EUlSU_E_NS1_11comp_targetILNS1_3genE10ELNS1_11target_archE1200ELNS1_3gpuE4ELNS1_3repE0EEENS1_30default_config_static_selectorELNS0_4arch9wavefront6targetE0EEEvT1_
    .private_segment_fixed_size: 0
    .sgpr_count:     0
    .sgpr_spill_count: 0
    .symbol:         _ZN7rocprim17ROCPRIM_400000_NS6detail17trampoline_kernelINS0_14default_configENS1_27scan_by_key_config_selectorIxxEEZZNS1_16scan_by_key_implILNS1_25lookback_scan_determinismE0ELb1ES3_N6thrust23THRUST_200600_302600_NS6detail15normal_iteratorINS9_10device_ptrIxEEEESE_SE_xNS9_4plusIvEENS9_8equal_toIxEExEE10hipError_tPvRmT2_T3_T4_T5_mT6_T7_P12ihipStream_tbENKUlT_T0_E_clISt17integral_constantIbLb1EESY_IbLb0EEEEDaSU_SV_EUlSU_E_NS1_11comp_targetILNS1_3genE10ELNS1_11target_archE1200ELNS1_3gpuE4ELNS1_3repE0EEENS1_30default_config_static_selectorELNS0_4arch9wavefront6targetE0EEEvT1_.kd
    .uniform_work_group_size: 1
    .uses_dynamic_stack: false
    .vgpr_count:     0
    .vgpr_spill_count: 0
    .wavefront_size: 32
  - .args:
      - .offset:         0
        .size:           136
        .value_kind:     by_value
    .group_segment_fixed_size: 0
    .kernarg_segment_align: 8
    .kernarg_segment_size: 136
    .language:       OpenCL C
    .language_version:
      - 2
      - 0
    .max_flat_workgroup_size: 256
    .name:           _ZN7rocprim17ROCPRIM_400000_NS6detail17trampoline_kernelINS0_14default_configENS1_27scan_by_key_config_selectorIxxEEZZNS1_16scan_by_key_implILNS1_25lookback_scan_determinismE0ELb1ES3_N6thrust23THRUST_200600_302600_NS6detail15normal_iteratorINS9_10device_ptrIxEEEESE_SE_xNS9_4plusIvEENS9_8equal_toIxEExEE10hipError_tPvRmT2_T3_T4_T5_mT6_T7_P12ihipStream_tbENKUlT_T0_E_clISt17integral_constantIbLb1EESY_IbLb0EEEEDaSU_SV_EUlSU_E_NS1_11comp_targetILNS1_3genE9ELNS1_11target_archE1100ELNS1_3gpuE3ELNS1_3repE0EEENS1_30default_config_static_selectorELNS0_4arch9wavefront6targetE0EEEvT1_
    .private_segment_fixed_size: 0
    .sgpr_count:     0
    .sgpr_spill_count: 0
    .symbol:         _ZN7rocprim17ROCPRIM_400000_NS6detail17trampoline_kernelINS0_14default_configENS1_27scan_by_key_config_selectorIxxEEZZNS1_16scan_by_key_implILNS1_25lookback_scan_determinismE0ELb1ES3_N6thrust23THRUST_200600_302600_NS6detail15normal_iteratorINS9_10device_ptrIxEEEESE_SE_xNS9_4plusIvEENS9_8equal_toIxEExEE10hipError_tPvRmT2_T3_T4_T5_mT6_T7_P12ihipStream_tbENKUlT_T0_E_clISt17integral_constantIbLb1EESY_IbLb0EEEEDaSU_SV_EUlSU_E_NS1_11comp_targetILNS1_3genE9ELNS1_11target_archE1100ELNS1_3gpuE3ELNS1_3repE0EEENS1_30default_config_static_selectorELNS0_4arch9wavefront6targetE0EEEvT1_.kd
    .uniform_work_group_size: 1
    .uses_dynamic_stack: false
    .vgpr_count:     0
    .vgpr_spill_count: 0
    .wavefront_size: 32
  - .args:
      - .offset:         0
        .size:           136
        .value_kind:     by_value
    .group_segment_fixed_size: 0
    .kernarg_segment_align: 8
    .kernarg_segment_size: 136
    .language:       OpenCL C
    .language_version:
      - 2
      - 0
    .max_flat_workgroup_size: 256
    .name:           _ZN7rocprim17ROCPRIM_400000_NS6detail17trampoline_kernelINS0_14default_configENS1_27scan_by_key_config_selectorIxxEEZZNS1_16scan_by_key_implILNS1_25lookback_scan_determinismE0ELb1ES3_N6thrust23THRUST_200600_302600_NS6detail15normal_iteratorINS9_10device_ptrIxEEEESE_SE_xNS9_4plusIvEENS9_8equal_toIxEExEE10hipError_tPvRmT2_T3_T4_T5_mT6_T7_P12ihipStream_tbENKUlT_T0_E_clISt17integral_constantIbLb1EESY_IbLb0EEEEDaSU_SV_EUlSU_E_NS1_11comp_targetILNS1_3genE8ELNS1_11target_archE1030ELNS1_3gpuE2ELNS1_3repE0EEENS1_30default_config_static_selectorELNS0_4arch9wavefront6targetE0EEEvT1_
    .private_segment_fixed_size: 0
    .sgpr_count:     0
    .sgpr_spill_count: 0
    .symbol:         _ZN7rocprim17ROCPRIM_400000_NS6detail17trampoline_kernelINS0_14default_configENS1_27scan_by_key_config_selectorIxxEEZZNS1_16scan_by_key_implILNS1_25lookback_scan_determinismE0ELb1ES3_N6thrust23THRUST_200600_302600_NS6detail15normal_iteratorINS9_10device_ptrIxEEEESE_SE_xNS9_4plusIvEENS9_8equal_toIxEExEE10hipError_tPvRmT2_T3_T4_T5_mT6_T7_P12ihipStream_tbENKUlT_T0_E_clISt17integral_constantIbLb1EESY_IbLb0EEEEDaSU_SV_EUlSU_E_NS1_11comp_targetILNS1_3genE8ELNS1_11target_archE1030ELNS1_3gpuE2ELNS1_3repE0EEENS1_30default_config_static_selectorELNS0_4arch9wavefront6targetE0EEEvT1_.kd
    .uniform_work_group_size: 1
    .uses_dynamic_stack: false
    .vgpr_count:     0
    .vgpr_spill_count: 0
    .wavefront_size: 32
  - .args:
      - .offset:         0
        .size:           136
        .value_kind:     by_value
    .group_segment_fixed_size: 32768
    .kernarg_segment_align: 8
    .kernarg_segment_size: 136
    .language:       OpenCL C
    .language_version:
      - 2
      - 0
    .max_flat_workgroup_size: 256
    .name:           _ZN7rocprim17ROCPRIM_400000_NS6detail17trampoline_kernelINS0_14default_configENS1_27scan_by_key_config_selectorIxxEEZZNS1_16scan_by_key_implILNS1_25lookback_scan_determinismE0ELb1ES3_N6thrust23THRUST_200600_302600_NS6detail15normal_iteratorINS9_10device_ptrIxEEEESE_SE_xNS9_4plusIvEENS9_8equal_toIxEExEE10hipError_tPvRmT2_T3_T4_T5_mT6_T7_P12ihipStream_tbENKUlT_T0_E_clISt17integral_constantIbLb0EESY_IbLb1EEEEDaSU_SV_EUlSU_E_NS1_11comp_targetILNS1_3genE0ELNS1_11target_archE4294967295ELNS1_3gpuE0ELNS1_3repE0EEENS1_30default_config_static_selectorELNS0_4arch9wavefront6targetE0EEEvT1_
    .private_segment_fixed_size: 0
    .sgpr_count:     61
    .sgpr_spill_count: 0
    .symbol:         _ZN7rocprim17ROCPRIM_400000_NS6detail17trampoline_kernelINS0_14default_configENS1_27scan_by_key_config_selectorIxxEEZZNS1_16scan_by_key_implILNS1_25lookback_scan_determinismE0ELb1ES3_N6thrust23THRUST_200600_302600_NS6detail15normal_iteratorINS9_10device_ptrIxEEEESE_SE_xNS9_4plusIvEENS9_8equal_toIxEExEE10hipError_tPvRmT2_T3_T4_T5_mT6_T7_P12ihipStream_tbENKUlT_T0_E_clISt17integral_constantIbLb0EESY_IbLb1EEEEDaSU_SV_EUlSU_E_NS1_11comp_targetILNS1_3genE0ELNS1_11target_archE4294967295ELNS1_3gpuE0ELNS1_3repE0EEENS1_30default_config_static_selectorELNS0_4arch9wavefront6targetE0EEEvT1_.kd
    .uniform_work_group_size: 1
    .uses_dynamic_stack: false
    .vgpr_count:     113
    .vgpr_spill_count: 0
    .wavefront_size: 32
  - .args:
      - .offset:         0
        .size:           136
        .value_kind:     by_value
    .group_segment_fixed_size: 0
    .kernarg_segment_align: 8
    .kernarg_segment_size: 136
    .language:       OpenCL C
    .language_version:
      - 2
      - 0
    .max_flat_workgroup_size: 256
    .name:           _ZN7rocprim17ROCPRIM_400000_NS6detail17trampoline_kernelINS0_14default_configENS1_27scan_by_key_config_selectorIxxEEZZNS1_16scan_by_key_implILNS1_25lookback_scan_determinismE0ELb1ES3_N6thrust23THRUST_200600_302600_NS6detail15normal_iteratorINS9_10device_ptrIxEEEESE_SE_xNS9_4plusIvEENS9_8equal_toIxEExEE10hipError_tPvRmT2_T3_T4_T5_mT6_T7_P12ihipStream_tbENKUlT_T0_E_clISt17integral_constantIbLb0EESY_IbLb1EEEEDaSU_SV_EUlSU_E_NS1_11comp_targetILNS1_3genE10ELNS1_11target_archE1201ELNS1_3gpuE5ELNS1_3repE0EEENS1_30default_config_static_selectorELNS0_4arch9wavefront6targetE0EEEvT1_
    .private_segment_fixed_size: 0
    .sgpr_count:     0
    .sgpr_spill_count: 0
    .symbol:         _ZN7rocprim17ROCPRIM_400000_NS6detail17trampoline_kernelINS0_14default_configENS1_27scan_by_key_config_selectorIxxEEZZNS1_16scan_by_key_implILNS1_25lookback_scan_determinismE0ELb1ES3_N6thrust23THRUST_200600_302600_NS6detail15normal_iteratorINS9_10device_ptrIxEEEESE_SE_xNS9_4plusIvEENS9_8equal_toIxEExEE10hipError_tPvRmT2_T3_T4_T5_mT6_T7_P12ihipStream_tbENKUlT_T0_E_clISt17integral_constantIbLb0EESY_IbLb1EEEEDaSU_SV_EUlSU_E_NS1_11comp_targetILNS1_3genE10ELNS1_11target_archE1201ELNS1_3gpuE5ELNS1_3repE0EEENS1_30default_config_static_selectorELNS0_4arch9wavefront6targetE0EEEvT1_.kd
    .uniform_work_group_size: 1
    .uses_dynamic_stack: false
    .vgpr_count:     0
    .vgpr_spill_count: 0
    .wavefront_size: 32
  - .args:
      - .offset:         0
        .size:           136
        .value_kind:     by_value
    .group_segment_fixed_size: 0
    .kernarg_segment_align: 8
    .kernarg_segment_size: 136
    .language:       OpenCL C
    .language_version:
      - 2
      - 0
    .max_flat_workgroup_size: 256
    .name:           _ZN7rocprim17ROCPRIM_400000_NS6detail17trampoline_kernelINS0_14default_configENS1_27scan_by_key_config_selectorIxxEEZZNS1_16scan_by_key_implILNS1_25lookback_scan_determinismE0ELb1ES3_N6thrust23THRUST_200600_302600_NS6detail15normal_iteratorINS9_10device_ptrIxEEEESE_SE_xNS9_4plusIvEENS9_8equal_toIxEExEE10hipError_tPvRmT2_T3_T4_T5_mT6_T7_P12ihipStream_tbENKUlT_T0_E_clISt17integral_constantIbLb0EESY_IbLb1EEEEDaSU_SV_EUlSU_E_NS1_11comp_targetILNS1_3genE5ELNS1_11target_archE942ELNS1_3gpuE9ELNS1_3repE0EEENS1_30default_config_static_selectorELNS0_4arch9wavefront6targetE0EEEvT1_
    .private_segment_fixed_size: 0
    .sgpr_count:     0
    .sgpr_spill_count: 0
    .symbol:         _ZN7rocprim17ROCPRIM_400000_NS6detail17trampoline_kernelINS0_14default_configENS1_27scan_by_key_config_selectorIxxEEZZNS1_16scan_by_key_implILNS1_25lookback_scan_determinismE0ELb1ES3_N6thrust23THRUST_200600_302600_NS6detail15normal_iteratorINS9_10device_ptrIxEEEESE_SE_xNS9_4plusIvEENS9_8equal_toIxEExEE10hipError_tPvRmT2_T3_T4_T5_mT6_T7_P12ihipStream_tbENKUlT_T0_E_clISt17integral_constantIbLb0EESY_IbLb1EEEEDaSU_SV_EUlSU_E_NS1_11comp_targetILNS1_3genE5ELNS1_11target_archE942ELNS1_3gpuE9ELNS1_3repE0EEENS1_30default_config_static_selectorELNS0_4arch9wavefront6targetE0EEEvT1_.kd
    .uniform_work_group_size: 1
    .uses_dynamic_stack: false
    .vgpr_count:     0
    .vgpr_spill_count: 0
    .wavefront_size: 32
  - .args:
      - .offset:         0
        .size:           136
        .value_kind:     by_value
    .group_segment_fixed_size: 0
    .kernarg_segment_align: 8
    .kernarg_segment_size: 136
    .language:       OpenCL C
    .language_version:
      - 2
      - 0
    .max_flat_workgroup_size: 64
    .name:           _ZN7rocprim17ROCPRIM_400000_NS6detail17trampoline_kernelINS0_14default_configENS1_27scan_by_key_config_selectorIxxEEZZNS1_16scan_by_key_implILNS1_25lookback_scan_determinismE0ELb1ES3_N6thrust23THRUST_200600_302600_NS6detail15normal_iteratorINS9_10device_ptrIxEEEESE_SE_xNS9_4plusIvEENS9_8equal_toIxEExEE10hipError_tPvRmT2_T3_T4_T5_mT6_T7_P12ihipStream_tbENKUlT_T0_E_clISt17integral_constantIbLb0EESY_IbLb1EEEEDaSU_SV_EUlSU_E_NS1_11comp_targetILNS1_3genE4ELNS1_11target_archE910ELNS1_3gpuE8ELNS1_3repE0EEENS1_30default_config_static_selectorELNS0_4arch9wavefront6targetE0EEEvT1_
    .private_segment_fixed_size: 0
    .sgpr_count:     0
    .sgpr_spill_count: 0
    .symbol:         _ZN7rocprim17ROCPRIM_400000_NS6detail17trampoline_kernelINS0_14default_configENS1_27scan_by_key_config_selectorIxxEEZZNS1_16scan_by_key_implILNS1_25lookback_scan_determinismE0ELb1ES3_N6thrust23THRUST_200600_302600_NS6detail15normal_iteratorINS9_10device_ptrIxEEEESE_SE_xNS9_4plusIvEENS9_8equal_toIxEExEE10hipError_tPvRmT2_T3_T4_T5_mT6_T7_P12ihipStream_tbENKUlT_T0_E_clISt17integral_constantIbLb0EESY_IbLb1EEEEDaSU_SV_EUlSU_E_NS1_11comp_targetILNS1_3genE4ELNS1_11target_archE910ELNS1_3gpuE8ELNS1_3repE0EEENS1_30default_config_static_selectorELNS0_4arch9wavefront6targetE0EEEvT1_.kd
    .uniform_work_group_size: 1
    .uses_dynamic_stack: false
    .vgpr_count:     0
    .vgpr_spill_count: 0
    .wavefront_size: 32
  - .args:
      - .offset:         0
        .size:           136
        .value_kind:     by_value
    .group_segment_fixed_size: 0
    .kernarg_segment_align: 8
    .kernarg_segment_size: 136
    .language:       OpenCL C
    .language_version:
      - 2
      - 0
    .max_flat_workgroup_size: 256
    .name:           _ZN7rocprim17ROCPRIM_400000_NS6detail17trampoline_kernelINS0_14default_configENS1_27scan_by_key_config_selectorIxxEEZZNS1_16scan_by_key_implILNS1_25lookback_scan_determinismE0ELb1ES3_N6thrust23THRUST_200600_302600_NS6detail15normal_iteratorINS9_10device_ptrIxEEEESE_SE_xNS9_4plusIvEENS9_8equal_toIxEExEE10hipError_tPvRmT2_T3_T4_T5_mT6_T7_P12ihipStream_tbENKUlT_T0_E_clISt17integral_constantIbLb0EESY_IbLb1EEEEDaSU_SV_EUlSU_E_NS1_11comp_targetILNS1_3genE3ELNS1_11target_archE908ELNS1_3gpuE7ELNS1_3repE0EEENS1_30default_config_static_selectorELNS0_4arch9wavefront6targetE0EEEvT1_
    .private_segment_fixed_size: 0
    .sgpr_count:     0
    .sgpr_spill_count: 0
    .symbol:         _ZN7rocprim17ROCPRIM_400000_NS6detail17trampoline_kernelINS0_14default_configENS1_27scan_by_key_config_selectorIxxEEZZNS1_16scan_by_key_implILNS1_25lookback_scan_determinismE0ELb1ES3_N6thrust23THRUST_200600_302600_NS6detail15normal_iteratorINS9_10device_ptrIxEEEESE_SE_xNS9_4plusIvEENS9_8equal_toIxEExEE10hipError_tPvRmT2_T3_T4_T5_mT6_T7_P12ihipStream_tbENKUlT_T0_E_clISt17integral_constantIbLb0EESY_IbLb1EEEEDaSU_SV_EUlSU_E_NS1_11comp_targetILNS1_3genE3ELNS1_11target_archE908ELNS1_3gpuE7ELNS1_3repE0EEENS1_30default_config_static_selectorELNS0_4arch9wavefront6targetE0EEEvT1_.kd
    .uniform_work_group_size: 1
    .uses_dynamic_stack: false
    .vgpr_count:     0
    .vgpr_spill_count: 0
    .wavefront_size: 32
  - .args:
      - .offset:         0
        .size:           136
        .value_kind:     by_value
    .group_segment_fixed_size: 0
    .kernarg_segment_align: 8
    .kernarg_segment_size: 136
    .language:       OpenCL C
    .language_version:
      - 2
      - 0
    .max_flat_workgroup_size: 256
    .name:           _ZN7rocprim17ROCPRIM_400000_NS6detail17trampoline_kernelINS0_14default_configENS1_27scan_by_key_config_selectorIxxEEZZNS1_16scan_by_key_implILNS1_25lookback_scan_determinismE0ELb1ES3_N6thrust23THRUST_200600_302600_NS6detail15normal_iteratorINS9_10device_ptrIxEEEESE_SE_xNS9_4plusIvEENS9_8equal_toIxEExEE10hipError_tPvRmT2_T3_T4_T5_mT6_T7_P12ihipStream_tbENKUlT_T0_E_clISt17integral_constantIbLb0EESY_IbLb1EEEEDaSU_SV_EUlSU_E_NS1_11comp_targetILNS1_3genE2ELNS1_11target_archE906ELNS1_3gpuE6ELNS1_3repE0EEENS1_30default_config_static_selectorELNS0_4arch9wavefront6targetE0EEEvT1_
    .private_segment_fixed_size: 0
    .sgpr_count:     0
    .sgpr_spill_count: 0
    .symbol:         _ZN7rocprim17ROCPRIM_400000_NS6detail17trampoline_kernelINS0_14default_configENS1_27scan_by_key_config_selectorIxxEEZZNS1_16scan_by_key_implILNS1_25lookback_scan_determinismE0ELb1ES3_N6thrust23THRUST_200600_302600_NS6detail15normal_iteratorINS9_10device_ptrIxEEEESE_SE_xNS9_4plusIvEENS9_8equal_toIxEExEE10hipError_tPvRmT2_T3_T4_T5_mT6_T7_P12ihipStream_tbENKUlT_T0_E_clISt17integral_constantIbLb0EESY_IbLb1EEEEDaSU_SV_EUlSU_E_NS1_11comp_targetILNS1_3genE2ELNS1_11target_archE906ELNS1_3gpuE6ELNS1_3repE0EEENS1_30default_config_static_selectorELNS0_4arch9wavefront6targetE0EEEvT1_.kd
    .uniform_work_group_size: 1
    .uses_dynamic_stack: false
    .vgpr_count:     0
    .vgpr_spill_count: 0
    .wavefront_size: 32
  - .args:
      - .offset:         0
        .size:           136
        .value_kind:     by_value
    .group_segment_fixed_size: 0
    .kernarg_segment_align: 8
    .kernarg_segment_size: 136
    .language:       OpenCL C
    .language_version:
      - 2
      - 0
    .max_flat_workgroup_size: 256
    .name:           _ZN7rocprim17ROCPRIM_400000_NS6detail17trampoline_kernelINS0_14default_configENS1_27scan_by_key_config_selectorIxxEEZZNS1_16scan_by_key_implILNS1_25lookback_scan_determinismE0ELb1ES3_N6thrust23THRUST_200600_302600_NS6detail15normal_iteratorINS9_10device_ptrIxEEEESE_SE_xNS9_4plusIvEENS9_8equal_toIxEExEE10hipError_tPvRmT2_T3_T4_T5_mT6_T7_P12ihipStream_tbENKUlT_T0_E_clISt17integral_constantIbLb0EESY_IbLb1EEEEDaSU_SV_EUlSU_E_NS1_11comp_targetILNS1_3genE10ELNS1_11target_archE1200ELNS1_3gpuE4ELNS1_3repE0EEENS1_30default_config_static_selectorELNS0_4arch9wavefront6targetE0EEEvT1_
    .private_segment_fixed_size: 0
    .sgpr_count:     0
    .sgpr_spill_count: 0
    .symbol:         _ZN7rocprim17ROCPRIM_400000_NS6detail17trampoline_kernelINS0_14default_configENS1_27scan_by_key_config_selectorIxxEEZZNS1_16scan_by_key_implILNS1_25lookback_scan_determinismE0ELb1ES3_N6thrust23THRUST_200600_302600_NS6detail15normal_iteratorINS9_10device_ptrIxEEEESE_SE_xNS9_4plusIvEENS9_8equal_toIxEExEE10hipError_tPvRmT2_T3_T4_T5_mT6_T7_P12ihipStream_tbENKUlT_T0_E_clISt17integral_constantIbLb0EESY_IbLb1EEEEDaSU_SV_EUlSU_E_NS1_11comp_targetILNS1_3genE10ELNS1_11target_archE1200ELNS1_3gpuE4ELNS1_3repE0EEENS1_30default_config_static_selectorELNS0_4arch9wavefront6targetE0EEEvT1_.kd
    .uniform_work_group_size: 1
    .uses_dynamic_stack: false
    .vgpr_count:     0
    .vgpr_spill_count: 0
    .wavefront_size: 32
  - .args:
      - .offset:         0
        .size:           136
        .value_kind:     by_value
    .group_segment_fixed_size: 0
    .kernarg_segment_align: 8
    .kernarg_segment_size: 136
    .language:       OpenCL C
    .language_version:
      - 2
      - 0
    .max_flat_workgroup_size: 256
    .name:           _ZN7rocprim17ROCPRIM_400000_NS6detail17trampoline_kernelINS0_14default_configENS1_27scan_by_key_config_selectorIxxEEZZNS1_16scan_by_key_implILNS1_25lookback_scan_determinismE0ELb1ES3_N6thrust23THRUST_200600_302600_NS6detail15normal_iteratorINS9_10device_ptrIxEEEESE_SE_xNS9_4plusIvEENS9_8equal_toIxEExEE10hipError_tPvRmT2_T3_T4_T5_mT6_T7_P12ihipStream_tbENKUlT_T0_E_clISt17integral_constantIbLb0EESY_IbLb1EEEEDaSU_SV_EUlSU_E_NS1_11comp_targetILNS1_3genE9ELNS1_11target_archE1100ELNS1_3gpuE3ELNS1_3repE0EEENS1_30default_config_static_selectorELNS0_4arch9wavefront6targetE0EEEvT1_
    .private_segment_fixed_size: 0
    .sgpr_count:     0
    .sgpr_spill_count: 0
    .symbol:         _ZN7rocprim17ROCPRIM_400000_NS6detail17trampoline_kernelINS0_14default_configENS1_27scan_by_key_config_selectorIxxEEZZNS1_16scan_by_key_implILNS1_25lookback_scan_determinismE0ELb1ES3_N6thrust23THRUST_200600_302600_NS6detail15normal_iteratorINS9_10device_ptrIxEEEESE_SE_xNS9_4plusIvEENS9_8equal_toIxEExEE10hipError_tPvRmT2_T3_T4_T5_mT6_T7_P12ihipStream_tbENKUlT_T0_E_clISt17integral_constantIbLb0EESY_IbLb1EEEEDaSU_SV_EUlSU_E_NS1_11comp_targetILNS1_3genE9ELNS1_11target_archE1100ELNS1_3gpuE3ELNS1_3repE0EEENS1_30default_config_static_selectorELNS0_4arch9wavefront6targetE0EEEvT1_.kd
    .uniform_work_group_size: 1
    .uses_dynamic_stack: false
    .vgpr_count:     0
    .vgpr_spill_count: 0
    .wavefront_size: 32
  - .args:
      - .offset:         0
        .size:           136
        .value_kind:     by_value
    .group_segment_fixed_size: 0
    .kernarg_segment_align: 8
    .kernarg_segment_size: 136
    .language:       OpenCL C
    .language_version:
      - 2
      - 0
    .max_flat_workgroup_size: 256
    .name:           _ZN7rocprim17ROCPRIM_400000_NS6detail17trampoline_kernelINS0_14default_configENS1_27scan_by_key_config_selectorIxxEEZZNS1_16scan_by_key_implILNS1_25lookback_scan_determinismE0ELb1ES3_N6thrust23THRUST_200600_302600_NS6detail15normal_iteratorINS9_10device_ptrIxEEEESE_SE_xNS9_4plusIvEENS9_8equal_toIxEExEE10hipError_tPvRmT2_T3_T4_T5_mT6_T7_P12ihipStream_tbENKUlT_T0_E_clISt17integral_constantIbLb0EESY_IbLb1EEEEDaSU_SV_EUlSU_E_NS1_11comp_targetILNS1_3genE8ELNS1_11target_archE1030ELNS1_3gpuE2ELNS1_3repE0EEENS1_30default_config_static_selectorELNS0_4arch9wavefront6targetE0EEEvT1_
    .private_segment_fixed_size: 0
    .sgpr_count:     0
    .sgpr_spill_count: 0
    .symbol:         _ZN7rocprim17ROCPRIM_400000_NS6detail17trampoline_kernelINS0_14default_configENS1_27scan_by_key_config_selectorIxxEEZZNS1_16scan_by_key_implILNS1_25lookback_scan_determinismE0ELb1ES3_N6thrust23THRUST_200600_302600_NS6detail15normal_iteratorINS9_10device_ptrIxEEEESE_SE_xNS9_4plusIvEENS9_8equal_toIxEExEE10hipError_tPvRmT2_T3_T4_T5_mT6_T7_P12ihipStream_tbENKUlT_T0_E_clISt17integral_constantIbLb0EESY_IbLb1EEEEDaSU_SV_EUlSU_E_NS1_11comp_targetILNS1_3genE8ELNS1_11target_archE1030ELNS1_3gpuE2ELNS1_3repE0EEENS1_30default_config_static_selectorELNS0_4arch9wavefront6targetE0EEEvT1_.kd
    .uniform_work_group_size: 1
    .uses_dynamic_stack: false
    .vgpr_count:     0
    .vgpr_spill_count: 0
    .wavefront_size: 32
  - .args:
      - .offset:         0
        .size:           112
        .value_kind:     by_value
    .group_segment_fixed_size: 14336
    .kernarg_segment_align: 8
    .kernarg_segment_size: 112
    .language:       OpenCL C
    .language_version:
      - 2
      - 0
    .max_flat_workgroup_size: 256
    .name:           _ZN7rocprim17ROCPRIM_400000_NS6detail17trampoline_kernelINS0_14default_configENS1_27scan_by_key_config_selectorIiiEEZZNS1_16scan_by_key_implILNS1_25lookback_scan_determinismE0ELb1ES3_N6thrust23THRUST_200600_302600_NS6detail15normal_iteratorINS9_10device_ptrIiEEEESE_SE_iNS9_4plusIvEENS9_8equal_toIvEEiEE10hipError_tPvRmT2_T3_T4_T5_mT6_T7_P12ihipStream_tbENKUlT_T0_E_clISt17integral_constantIbLb0EESZ_EEDaSU_SV_EUlSU_E_NS1_11comp_targetILNS1_3genE0ELNS1_11target_archE4294967295ELNS1_3gpuE0ELNS1_3repE0EEENS1_30default_config_static_selectorELNS0_4arch9wavefront6targetE0EEEvT1_
    .private_segment_fixed_size: 0
    .sgpr_count:     39
    .sgpr_spill_count: 0
    .symbol:         _ZN7rocprim17ROCPRIM_400000_NS6detail17trampoline_kernelINS0_14default_configENS1_27scan_by_key_config_selectorIiiEEZZNS1_16scan_by_key_implILNS1_25lookback_scan_determinismE0ELb1ES3_N6thrust23THRUST_200600_302600_NS6detail15normal_iteratorINS9_10device_ptrIiEEEESE_SE_iNS9_4plusIvEENS9_8equal_toIvEEiEE10hipError_tPvRmT2_T3_T4_T5_mT6_T7_P12ihipStream_tbENKUlT_T0_E_clISt17integral_constantIbLb0EESZ_EEDaSU_SV_EUlSU_E_NS1_11comp_targetILNS1_3genE0ELNS1_11target_archE4294967295ELNS1_3gpuE0ELNS1_3repE0EEENS1_30default_config_static_selectorELNS0_4arch9wavefront6targetE0EEEvT1_.kd
    .uniform_work_group_size: 1
    .uses_dynamic_stack: false
    .vgpr_count:     62
    .vgpr_spill_count: 0
    .wavefront_size: 32
  - .args:
      - .offset:         0
        .size:           112
        .value_kind:     by_value
    .group_segment_fixed_size: 0
    .kernarg_segment_align: 8
    .kernarg_segment_size: 112
    .language:       OpenCL C
    .language_version:
      - 2
      - 0
    .max_flat_workgroup_size: 256
    .name:           _ZN7rocprim17ROCPRIM_400000_NS6detail17trampoline_kernelINS0_14default_configENS1_27scan_by_key_config_selectorIiiEEZZNS1_16scan_by_key_implILNS1_25lookback_scan_determinismE0ELb1ES3_N6thrust23THRUST_200600_302600_NS6detail15normal_iteratorINS9_10device_ptrIiEEEESE_SE_iNS9_4plusIvEENS9_8equal_toIvEEiEE10hipError_tPvRmT2_T3_T4_T5_mT6_T7_P12ihipStream_tbENKUlT_T0_E_clISt17integral_constantIbLb0EESZ_EEDaSU_SV_EUlSU_E_NS1_11comp_targetILNS1_3genE10ELNS1_11target_archE1201ELNS1_3gpuE5ELNS1_3repE0EEENS1_30default_config_static_selectorELNS0_4arch9wavefront6targetE0EEEvT1_
    .private_segment_fixed_size: 0
    .sgpr_count:     0
    .sgpr_spill_count: 0
    .symbol:         _ZN7rocprim17ROCPRIM_400000_NS6detail17trampoline_kernelINS0_14default_configENS1_27scan_by_key_config_selectorIiiEEZZNS1_16scan_by_key_implILNS1_25lookback_scan_determinismE0ELb1ES3_N6thrust23THRUST_200600_302600_NS6detail15normal_iteratorINS9_10device_ptrIiEEEESE_SE_iNS9_4plusIvEENS9_8equal_toIvEEiEE10hipError_tPvRmT2_T3_T4_T5_mT6_T7_P12ihipStream_tbENKUlT_T0_E_clISt17integral_constantIbLb0EESZ_EEDaSU_SV_EUlSU_E_NS1_11comp_targetILNS1_3genE10ELNS1_11target_archE1201ELNS1_3gpuE5ELNS1_3repE0EEENS1_30default_config_static_selectorELNS0_4arch9wavefront6targetE0EEEvT1_.kd
    .uniform_work_group_size: 1
    .uses_dynamic_stack: false
    .vgpr_count:     0
    .vgpr_spill_count: 0
    .wavefront_size: 32
  - .args:
      - .offset:         0
        .size:           112
        .value_kind:     by_value
    .group_segment_fixed_size: 0
    .kernarg_segment_align: 8
    .kernarg_segment_size: 112
    .language:       OpenCL C
    .language_version:
      - 2
      - 0
    .max_flat_workgroup_size: 256
    .name:           _ZN7rocprim17ROCPRIM_400000_NS6detail17trampoline_kernelINS0_14default_configENS1_27scan_by_key_config_selectorIiiEEZZNS1_16scan_by_key_implILNS1_25lookback_scan_determinismE0ELb1ES3_N6thrust23THRUST_200600_302600_NS6detail15normal_iteratorINS9_10device_ptrIiEEEESE_SE_iNS9_4plusIvEENS9_8equal_toIvEEiEE10hipError_tPvRmT2_T3_T4_T5_mT6_T7_P12ihipStream_tbENKUlT_T0_E_clISt17integral_constantIbLb0EESZ_EEDaSU_SV_EUlSU_E_NS1_11comp_targetILNS1_3genE5ELNS1_11target_archE942ELNS1_3gpuE9ELNS1_3repE0EEENS1_30default_config_static_selectorELNS0_4arch9wavefront6targetE0EEEvT1_
    .private_segment_fixed_size: 0
    .sgpr_count:     0
    .sgpr_spill_count: 0
    .symbol:         _ZN7rocprim17ROCPRIM_400000_NS6detail17trampoline_kernelINS0_14default_configENS1_27scan_by_key_config_selectorIiiEEZZNS1_16scan_by_key_implILNS1_25lookback_scan_determinismE0ELb1ES3_N6thrust23THRUST_200600_302600_NS6detail15normal_iteratorINS9_10device_ptrIiEEEESE_SE_iNS9_4plusIvEENS9_8equal_toIvEEiEE10hipError_tPvRmT2_T3_T4_T5_mT6_T7_P12ihipStream_tbENKUlT_T0_E_clISt17integral_constantIbLb0EESZ_EEDaSU_SV_EUlSU_E_NS1_11comp_targetILNS1_3genE5ELNS1_11target_archE942ELNS1_3gpuE9ELNS1_3repE0EEENS1_30default_config_static_selectorELNS0_4arch9wavefront6targetE0EEEvT1_.kd
    .uniform_work_group_size: 1
    .uses_dynamic_stack: false
    .vgpr_count:     0
    .vgpr_spill_count: 0
    .wavefront_size: 32
  - .args:
      - .offset:         0
        .size:           112
        .value_kind:     by_value
    .group_segment_fixed_size: 0
    .kernarg_segment_align: 8
    .kernarg_segment_size: 112
    .language:       OpenCL C
    .language_version:
      - 2
      - 0
    .max_flat_workgroup_size: 256
    .name:           _ZN7rocprim17ROCPRIM_400000_NS6detail17trampoline_kernelINS0_14default_configENS1_27scan_by_key_config_selectorIiiEEZZNS1_16scan_by_key_implILNS1_25lookback_scan_determinismE0ELb1ES3_N6thrust23THRUST_200600_302600_NS6detail15normal_iteratorINS9_10device_ptrIiEEEESE_SE_iNS9_4plusIvEENS9_8equal_toIvEEiEE10hipError_tPvRmT2_T3_T4_T5_mT6_T7_P12ihipStream_tbENKUlT_T0_E_clISt17integral_constantIbLb0EESZ_EEDaSU_SV_EUlSU_E_NS1_11comp_targetILNS1_3genE4ELNS1_11target_archE910ELNS1_3gpuE8ELNS1_3repE0EEENS1_30default_config_static_selectorELNS0_4arch9wavefront6targetE0EEEvT1_
    .private_segment_fixed_size: 0
    .sgpr_count:     0
    .sgpr_spill_count: 0
    .symbol:         _ZN7rocprim17ROCPRIM_400000_NS6detail17trampoline_kernelINS0_14default_configENS1_27scan_by_key_config_selectorIiiEEZZNS1_16scan_by_key_implILNS1_25lookback_scan_determinismE0ELb1ES3_N6thrust23THRUST_200600_302600_NS6detail15normal_iteratorINS9_10device_ptrIiEEEESE_SE_iNS9_4plusIvEENS9_8equal_toIvEEiEE10hipError_tPvRmT2_T3_T4_T5_mT6_T7_P12ihipStream_tbENKUlT_T0_E_clISt17integral_constantIbLb0EESZ_EEDaSU_SV_EUlSU_E_NS1_11comp_targetILNS1_3genE4ELNS1_11target_archE910ELNS1_3gpuE8ELNS1_3repE0EEENS1_30default_config_static_selectorELNS0_4arch9wavefront6targetE0EEEvT1_.kd
    .uniform_work_group_size: 1
    .uses_dynamic_stack: false
    .vgpr_count:     0
    .vgpr_spill_count: 0
    .wavefront_size: 32
  - .args:
      - .offset:         0
        .size:           112
        .value_kind:     by_value
    .group_segment_fixed_size: 0
    .kernarg_segment_align: 8
    .kernarg_segment_size: 112
    .language:       OpenCL C
    .language_version:
      - 2
      - 0
    .max_flat_workgroup_size: 256
    .name:           _ZN7rocprim17ROCPRIM_400000_NS6detail17trampoline_kernelINS0_14default_configENS1_27scan_by_key_config_selectorIiiEEZZNS1_16scan_by_key_implILNS1_25lookback_scan_determinismE0ELb1ES3_N6thrust23THRUST_200600_302600_NS6detail15normal_iteratorINS9_10device_ptrIiEEEESE_SE_iNS9_4plusIvEENS9_8equal_toIvEEiEE10hipError_tPvRmT2_T3_T4_T5_mT6_T7_P12ihipStream_tbENKUlT_T0_E_clISt17integral_constantIbLb0EESZ_EEDaSU_SV_EUlSU_E_NS1_11comp_targetILNS1_3genE3ELNS1_11target_archE908ELNS1_3gpuE7ELNS1_3repE0EEENS1_30default_config_static_selectorELNS0_4arch9wavefront6targetE0EEEvT1_
    .private_segment_fixed_size: 0
    .sgpr_count:     0
    .sgpr_spill_count: 0
    .symbol:         _ZN7rocprim17ROCPRIM_400000_NS6detail17trampoline_kernelINS0_14default_configENS1_27scan_by_key_config_selectorIiiEEZZNS1_16scan_by_key_implILNS1_25lookback_scan_determinismE0ELb1ES3_N6thrust23THRUST_200600_302600_NS6detail15normal_iteratorINS9_10device_ptrIiEEEESE_SE_iNS9_4plusIvEENS9_8equal_toIvEEiEE10hipError_tPvRmT2_T3_T4_T5_mT6_T7_P12ihipStream_tbENKUlT_T0_E_clISt17integral_constantIbLb0EESZ_EEDaSU_SV_EUlSU_E_NS1_11comp_targetILNS1_3genE3ELNS1_11target_archE908ELNS1_3gpuE7ELNS1_3repE0EEENS1_30default_config_static_selectorELNS0_4arch9wavefront6targetE0EEEvT1_.kd
    .uniform_work_group_size: 1
    .uses_dynamic_stack: false
    .vgpr_count:     0
    .vgpr_spill_count: 0
    .wavefront_size: 32
  - .args:
      - .offset:         0
        .size:           112
        .value_kind:     by_value
    .group_segment_fixed_size: 0
    .kernarg_segment_align: 8
    .kernarg_segment_size: 112
    .language:       OpenCL C
    .language_version:
      - 2
      - 0
    .max_flat_workgroup_size: 256
    .name:           _ZN7rocprim17ROCPRIM_400000_NS6detail17trampoline_kernelINS0_14default_configENS1_27scan_by_key_config_selectorIiiEEZZNS1_16scan_by_key_implILNS1_25lookback_scan_determinismE0ELb1ES3_N6thrust23THRUST_200600_302600_NS6detail15normal_iteratorINS9_10device_ptrIiEEEESE_SE_iNS9_4plusIvEENS9_8equal_toIvEEiEE10hipError_tPvRmT2_T3_T4_T5_mT6_T7_P12ihipStream_tbENKUlT_T0_E_clISt17integral_constantIbLb0EESZ_EEDaSU_SV_EUlSU_E_NS1_11comp_targetILNS1_3genE2ELNS1_11target_archE906ELNS1_3gpuE6ELNS1_3repE0EEENS1_30default_config_static_selectorELNS0_4arch9wavefront6targetE0EEEvT1_
    .private_segment_fixed_size: 0
    .sgpr_count:     0
    .sgpr_spill_count: 0
    .symbol:         _ZN7rocprim17ROCPRIM_400000_NS6detail17trampoline_kernelINS0_14default_configENS1_27scan_by_key_config_selectorIiiEEZZNS1_16scan_by_key_implILNS1_25lookback_scan_determinismE0ELb1ES3_N6thrust23THRUST_200600_302600_NS6detail15normal_iteratorINS9_10device_ptrIiEEEESE_SE_iNS9_4plusIvEENS9_8equal_toIvEEiEE10hipError_tPvRmT2_T3_T4_T5_mT6_T7_P12ihipStream_tbENKUlT_T0_E_clISt17integral_constantIbLb0EESZ_EEDaSU_SV_EUlSU_E_NS1_11comp_targetILNS1_3genE2ELNS1_11target_archE906ELNS1_3gpuE6ELNS1_3repE0EEENS1_30default_config_static_selectorELNS0_4arch9wavefront6targetE0EEEvT1_.kd
    .uniform_work_group_size: 1
    .uses_dynamic_stack: false
    .vgpr_count:     0
    .vgpr_spill_count: 0
    .wavefront_size: 32
  - .args:
      - .offset:         0
        .size:           112
        .value_kind:     by_value
    .group_segment_fixed_size: 0
    .kernarg_segment_align: 8
    .kernarg_segment_size: 112
    .language:       OpenCL C
    .language_version:
      - 2
      - 0
    .max_flat_workgroup_size: 256
    .name:           _ZN7rocprim17ROCPRIM_400000_NS6detail17trampoline_kernelINS0_14default_configENS1_27scan_by_key_config_selectorIiiEEZZNS1_16scan_by_key_implILNS1_25lookback_scan_determinismE0ELb1ES3_N6thrust23THRUST_200600_302600_NS6detail15normal_iteratorINS9_10device_ptrIiEEEESE_SE_iNS9_4plusIvEENS9_8equal_toIvEEiEE10hipError_tPvRmT2_T3_T4_T5_mT6_T7_P12ihipStream_tbENKUlT_T0_E_clISt17integral_constantIbLb0EESZ_EEDaSU_SV_EUlSU_E_NS1_11comp_targetILNS1_3genE10ELNS1_11target_archE1200ELNS1_3gpuE4ELNS1_3repE0EEENS1_30default_config_static_selectorELNS0_4arch9wavefront6targetE0EEEvT1_
    .private_segment_fixed_size: 0
    .sgpr_count:     0
    .sgpr_spill_count: 0
    .symbol:         _ZN7rocprim17ROCPRIM_400000_NS6detail17trampoline_kernelINS0_14default_configENS1_27scan_by_key_config_selectorIiiEEZZNS1_16scan_by_key_implILNS1_25lookback_scan_determinismE0ELb1ES3_N6thrust23THRUST_200600_302600_NS6detail15normal_iteratorINS9_10device_ptrIiEEEESE_SE_iNS9_4plusIvEENS9_8equal_toIvEEiEE10hipError_tPvRmT2_T3_T4_T5_mT6_T7_P12ihipStream_tbENKUlT_T0_E_clISt17integral_constantIbLb0EESZ_EEDaSU_SV_EUlSU_E_NS1_11comp_targetILNS1_3genE10ELNS1_11target_archE1200ELNS1_3gpuE4ELNS1_3repE0EEENS1_30default_config_static_selectorELNS0_4arch9wavefront6targetE0EEEvT1_.kd
    .uniform_work_group_size: 1
    .uses_dynamic_stack: false
    .vgpr_count:     0
    .vgpr_spill_count: 0
    .wavefront_size: 32
  - .args:
      - .offset:         0
        .size:           112
        .value_kind:     by_value
    .group_segment_fixed_size: 0
    .kernarg_segment_align: 8
    .kernarg_segment_size: 112
    .language:       OpenCL C
    .language_version:
      - 2
      - 0
    .max_flat_workgroup_size: 256
    .name:           _ZN7rocprim17ROCPRIM_400000_NS6detail17trampoline_kernelINS0_14default_configENS1_27scan_by_key_config_selectorIiiEEZZNS1_16scan_by_key_implILNS1_25lookback_scan_determinismE0ELb1ES3_N6thrust23THRUST_200600_302600_NS6detail15normal_iteratorINS9_10device_ptrIiEEEESE_SE_iNS9_4plusIvEENS9_8equal_toIvEEiEE10hipError_tPvRmT2_T3_T4_T5_mT6_T7_P12ihipStream_tbENKUlT_T0_E_clISt17integral_constantIbLb0EESZ_EEDaSU_SV_EUlSU_E_NS1_11comp_targetILNS1_3genE9ELNS1_11target_archE1100ELNS1_3gpuE3ELNS1_3repE0EEENS1_30default_config_static_selectorELNS0_4arch9wavefront6targetE0EEEvT1_
    .private_segment_fixed_size: 0
    .sgpr_count:     0
    .sgpr_spill_count: 0
    .symbol:         _ZN7rocprim17ROCPRIM_400000_NS6detail17trampoline_kernelINS0_14default_configENS1_27scan_by_key_config_selectorIiiEEZZNS1_16scan_by_key_implILNS1_25lookback_scan_determinismE0ELb1ES3_N6thrust23THRUST_200600_302600_NS6detail15normal_iteratorINS9_10device_ptrIiEEEESE_SE_iNS9_4plusIvEENS9_8equal_toIvEEiEE10hipError_tPvRmT2_T3_T4_T5_mT6_T7_P12ihipStream_tbENKUlT_T0_E_clISt17integral_constantIbLb0EESZ_EEDaSU_SV_EUlSU_E_NS1_11comp_targetILNS1_3genE9ELNS1_11target_archE1100ELNS1_3gpuE3ELNS1_3repE0EEENS1_30default_config_static_selectorELNS0_4arch9wavefront6targetE0EEEvT1_.kd
    .uniform_work_group_size: 1
    .uses_dynamic_stack: false
    .vgpr_count:     0
    .vgpr_spill_count: 0
    .wavefront_size: 32
  - .args:
      - .offset:         0
        .size:           112
        .value_kind:     by_value
    .group_segment_fixed_size: 0
    .kernarg_segment_align: 8
    .kernarg_segment_size: 112
    .language:       OpenCL C
    .language_version:
      - 2
      - 0
    .max_flat_workgroup_size: 256
    .name:           _ZN7rocprim17ROCPRIM_400000_NS6detail17trampoline_kernelINS0_14default_configENS1_27scan_by_key_config_selectorIiiEEZZNS1_16scan_by_key_implILNS1_25lookback_scan_determinismE0ELb1ES3_N6thrust23THRUST_200600_302600_NS6detail15normal_iteratorINS9_10device_ptrIiEEEESE_SE_iNS9_4plusIvEENS9_8equal_toIvEEiEE10hipError_tPvRmT2_T3_T4_T5_mT6_T7_P12ihipStream_tbENKUlT_T0_E_clISt17integral_constantIbLb0EESZ_EEDaSU_SV_EUlSU_E_NS1_11comp_targetILNS1_3genE8ELNS1_11target_archE1030ELNS1_3gpuE2ELNS1_3repE0EEENS1_30default_config_static_selectorELNS0_4arch9wavefront6targetE0EEEvT1_
    .private_segment_fixed_size: 0
    .sgpr_count:     0
    .sgpr_spill_count: 0
    .symbol:         _ZN7rocprim17ROCPRIM_400000_NS6detail17trampoline_kernelINS0_14default_configENS1_27scan_by_key_config_selectorIiiEEZZNS1_16scan_by_key_implILNS1_25lookback_scan_determinismE0ELb1ES3_N6thrust23THRUST_200600_302600_NS6detail15normal_iteratorINS9_10device_ptrIiEEEESE_SE_iNS9_4plusIvEENS9_8equal_toIvEEiEE10hipError_tPvRmT2_T3_T4_T5_mT6_T7_P12ihipStream_tbENKUlT_T0_E_clISt17integral_constantIbLb0EESZ_EEDaSU_SV_EUlSU_E_NS1_11comp_targetILNS1_3genE8ELNS1_11target_archE1030ELNS1_3gpuE2ELNS1_3repE0EEENS1_30default_config_static_selectorELNS0_4arch9wavefront6targetE0EEEvT1_.kd
    .uniform_work_group_size: 1
    .uses_dynamic_stack: false
    .vgpr_count:     0
    .vgpr_spill_count: 0
    .wavefront_size: 32
  - .args:
      - .offset:         0
        .size:           112
        .value_kind:     by_value
    .group_segment_fixed_size: 0
    .kernarg_segment_align: 8
    .kernarg_segment_size: 112
    .language:       OpenCL C
    .language_version:
      - 2
      - 0
    .max_flat_workgroup_size: 256
    .name:           _ZN7rocprim17ROCPRIM_400000_NS6detail17trampoline_kernelINS0_14default_configENS1_27scan_by_key_config_selectorIiiEEZZNS1_16scan_by_key_implILNS1_25lookback_scan_determinismE0ELb1ES3_N6thrust23THRUST_200600_302600_NS6detail15normal_iteratorINS9_10device_ptrIiEEEESE_SE_iNS9_4plusIvEENS9_8equal_toIvEEiEE10hipError_tPvRmT2_T3_T4_T5_mT6_T7_P12ihipStream_tbENKUlT_T0_E_clISt17integral_constantIbLb1EESZ_EEDaSU_SV_EUlSU_E_NS1_11comp_targetILNS1_3genE0ELNS1_11target_archE4294967295ELNS1_3gpuE0ELNS1_3repE0EEENS1_30default_config_static_selectorELNS0_4arch9wavefront6targetE0EEEvT1_
    .private_segment_fixed_size: 0
    .sgpr_count:     0
    .sgpr_spill_count: 0
    .symbol:         _ZN7rocprim17ROCPRIM_400000_NS6detail17trampoline_kernelINS0_14default_configENS1_27scan_by_key_config_selectorIiiEEZZNS1_16scan_by_key_implILNS1_25lookback_scan_determinismE0ELb1ES3_N6thrust23THRUST_200600_302600_NS6detail15normal_iteratorINS9_10device_ptrIiEEEESE_SE_iNS9_4plusIvEENS9_8equal_toIvEEiEE10hipError_tPvRmT2_T3_T4_T5_mT6_T7_P12ihipStream_tbENKUlT_T0_E_clISt17integral_constantIbLb1EESZ_EEDaSU_SV_EUlSU_E_NS1_11comp_targetILNS1_3genE0ELNS1_11target_archE4294967295ELNS1_3gpuE0ELNS1_3repE0EEENS1_30default_config_static_selectorELNS0_4arch9wavefront6targetE0EEEvT1_.kd
    .uniform_work_group_size: 1
    .uses_dynamic_stack: false
    .vgpr_count:     0
    .vgpr_spill_count: 0
    .wavefront_size: 32
  - .args:
      - .offset:         0
        .size:           112
        .value_kind:     by_value
    .group_segment_fixed_size: 0
    .kernarg_segment_align: 8
    .kernarg_segment_size: 112
    .language:       OpenCL C
    .language_version:
      - 2
      - 0
    .max_flat_workgroup_size: 256
    .name:           _ZN7rocprim17ROCPRIM_400000_NS6detail17trampoline_kernelINS0_14default_configENS1_27scan_by_key_config_selectorIiiEEZZNS1_16scan_by_key_implILNS1_25lookback_scan_determinismE0ELb1ES3_N6thrust23THRUST_200600_302600_NS6detail15normal_iteratorINS9_10device_ptrIiEEEESE_SE_iNS9_4plusIvEENS9_8equal_toIvEEiEE10hipError_tPvRmT2_T3_T4_T5_mT6_T7_P12ihipStream_tbENKUlT_T0_E_clISt17integral_constantIbLb1EESZ_EEDaSU_SV_EUlSU_E_NS1_11comp_targetILNS1_3genE10ELNS1_11target_archE1201ELNS1_3gpuE5ELNS1_3repE0EEENS1_30default_config_static_selectorELNS0_4arch9wavefront6targetE0EEEvT1_
    .private_segment_fixed_size: 0
    .sgpr_count:     0
    .sgpr_spill_count: 0
    .symbol:         _ZN7rocprim17ROCPRIM_400000_NS6detail17trampoline_kernelINS0_14default_configENS1_27scan_by_key_config_selectorIiiEEZZNS1_16scan_by_key_implILNS1_25lookback_scan_determinismE0ELb1ES3_N6thrust23THRUST_200600_302600_NS6detail15normal_iteratorINS9_10device_ptrIiEEEESE_SE_iNS9_4plusIvEENS9_8equal_toIvEEiEE10hipError_tPvRmT2_T3_T4_T5_mT6_T7_P12ihipStream_tbENKUlT_T0_E_clISt17integral_constantIbLb1EESZ_EEDaSU_SV_EUlSU_E_NS1_11comp_targetILNS1_3genE10ELNS1_11target_archE1201ELNS1_3gpuE5ELNS1_3repE0EEENS1_30default_config_static_selectorELNS0_4arch9wavefront6targetE0EEEvT1_.kd
    .uniform_work_group_size: 1
    .uses_dynamic_stack: false
    .vgpr_count:     0
    .vgpr_spill_count: 0
    .wavefront_size: 32
  - .args:
      - .offset:         0
        .size:           112
        .value_kind:     by_value
    .group_segment_fixed_size: 0
    .kernarg_segment_align: 8
    .kernarg_segment_size: 112
    .language:       OpenCL C
    .language_version:
      - 2
      - 0
    .max_flat_workgroup_size: 256
    .name:           _ZN7rocprim17ROCPRIM_400000_NS6detail17trampoline_kernelINS0_14default_configENS1_27scan_by_key_config_selectorIiiEEZZNS1_16scan_by_key_implILNS1_25lookback_scan_determinismE0ELb1ES3_N6thrust23THRUST_200600_302600_NS6detail15normal_iteratorINS9_10device_ptrIiEEEESE_SE_iNS9_4plusIvEENS9_8equal_toIvEEiEE10hipError_tPvRmT2_T3_T4_T5_mT6_T7_P12ihipStream_tbENKUlT_T0_E_clISt17integral_constantIbLb1EESZ_EEDaSU_SV_EUlSU_E_NS1_11comp_targetILNS1_3genE5ELNS1_11target_archE942ELNS1_3gpuE9ELNS1_3repE0EEENS1_30default_config_static_selectorELNS0_4arch9wavefront6targetE0EEEvT1_
    .private_segment_fixed_size: 0
    .sgpr_count:     0
    .sgpr_spill_count: 0
    .symbol:         _ZN7rocprim17ROCPRIM_400000_NS6detail17trampoline_kernelINS0_14default_configENS1_27scan_by_key_config_selectorIiiEEZZNS1_16scan_by_key_implILNS1_25lookback_scan_determinismE0ELb1ES3_N6thrust23THRUST_200600_302600_NS6detail15normal_iteratorINS9_10device_ptrIiEEEESE_SE_iNS9_4plusIvEENS9_8equal_toIvEEiEE10hipError_tPvRmT2_T3_T4_T5_mT6_T7_P12ihipStream_tbENKUlT_T0_E_clISt17integral_constantIbLb1EESZ_EEDaSU_SV_EUlSU_E_NS1_11comp_targetILNS1_3genE5ELNS1_11target_archE942ELNS1_3gpuE9ELNS1_3repE0EEENS1_30default_config_static_selectorELNS0_4arch9wavefront6targetE0EEEvT1_.kd
    .uniform_work_group_size: 1
    .uses_dynamic_stack: false
    .vgpr_count:     0
    .vgpr_spill_count: 0
    .wavefront_size: 32
  - .args:
      - .offset:         0
        .size:           112
        .value_kind:     by_value
    .group_segment_fixed_size: 0
    .kernarg_segment_align: 8
    .kernarg_segment_size: 112
    .language:       OpenCL C
    .language_version:
      - 2
      - 0
    .max_flat_workgroup_size: 256
    .name:           _ZN7rocprim17ROCPRIM_400000_NS6detail17trampoline_kernelINS0_14default_configENS1_27scan_by_key_config_selectorIiiEEZZNS1_16scan_by_key_implILNS1_25lookback_scan_determinismE0ELb1ES3_N6thrust23THRUST_200600_302600_NS6detail15normal_iteratorINS9_10device_ptrIiEEEESE_SE_iNS9_4plusIvEENS9_8equal_toIvEEiEE10hipError_tPvRmT2_T3_T4_T5_mT6_T7_P12ihipStream_tbENKUlT_T0_E_clISt17integral_constantIbLb1EESZ_EEDaSU_SV_EUlSU_E_NS1_11comp_targetILNS1_3genE4ELNS1_11target_archE910ELNS1_3gpuE8ELNS1_3repE0EEENS1_30default_config_static_selectorELNS0_4arch9wavefront6targetE0EEEvT1_
    .private_segment_fixed_size: 0
    .sgpr_count:     0
    .sgpr_spill_count: 0
    .symbol:         _ZN7rocprim17ROCPRIM_400000_NS6detail17trampoline_kernelINS0_14default_configENS1_27scan_by_key_config_selectorIiiEEZZNS1_16scan_by_key_implILNS1_25lookback_scan_determinismE0ELb1ES3_N6thrust23THRUST_200600_302600_NS6detail15normal_iteratorINS9_10device_ptrIiEEEESE_SE_iNS9_4plusIvEENS9_8equal_toIvEEiEE10hipError_tPvRmT2_T3_T4_T5_mT6_T7_P12ihipStream_tbENKUlT_T0_E_clISt17integral_constantIbLb1EESZ_EEDaSU_SV_EUlSU_E_NS1_11comp_targetILNS1_3genE4ELNS1_11target_archE910ELNS1_3gpuE8ELNS1_3repE0EEENS1_30default_config_static_selectorELNS0_4arch9wavefront6targetE0EEEvT1_.kd
    .uniform_work_group_size: 1
    .uses_dynamic_stack: false
    .vgpr_count:     0
    .vgpr_spill_count: 0
    .wavefront_size: 32
  - .args:
      - .offset:         0
        .size:           112
        .value_kind:     by_value
    .group_segment_fixed_size: 0
    .kernarg_segment_align: 8
    .kernarg_segment_size: 112
    .language:       OpenCL C
    .language_version:
      - 2
      - 0
    .max_flat_workgroup_size: 256
    .name:           _ZN7rocprim17ROCPRIM_400000_NS6detail17trampoline_kernelINS0_14default_configENS1_27scan_by_key_config_selectorIiiEEZZNS1_16scan_by_key_implILNS1_25lookback_scan_determinismE0ELb1ES3_N6thrust23THRUST_200600_302600_NS6detail15normal_iteratorINS9_10device_ptrIiEEEESE_SE_iNS9_4plusIvEENS9_8equal_toIvEEiEE10hipError_tPvRmT2_T3_T4_T5_mT6_T7_P12ihipStream_tbENKUlT_T0_E_clISt17integral_constantIbLb1EESZ_EEDaSU_SV_EUlSU_E_NS1_11comp_targetILNS1_3genE3ELNS1_11target_archE908ELNS1_3gpuE7ELNS1_3repE0EEENS1_30default_config_static_selectorELNS0_4arch9wavefront6targetE0EEEvT1_
    .private_segment_fixed_size: 0
    .sgpr_count:     0
    .sgpr_spill_count: 0
    .symbol:         _ZN7rocprim17ROCPRIM_400000_NS6detail17trampoline_kernelINS0_14default_configENS1_27scan_by_key_config_selectorIiiEEZZNS1_16scan_by_key_implILNS1_25lookback_scan_determinismE0ELb1ES3_N6thrust23THRUST_200600_302600_NS6detail15normal_iteratorINS9_10device_ptrIiEEEESE_SE_iNS9_4plusIvEENS9_8equal_toIvEEiEE10hipError_tPvRmT2_T3_T4_T5_mT6_T7_P12ihipStream_tbENKUlT_T0_E_clISt17integral_constantIbLb1EESZ_EEDaSU_SV_EUlSU_E_NS1_11comp_targetILNS1_3genE3ELNS1_11target_archE908ELNS1_3gpuE7ELNS1_3repE0EEENS1_30default_config_static_selectorELNS0_4arch9wavefront6targetE0EEEvT1_.kd
    .uniform_work_group_size: 1
    .uses_dynamic_stack: false
    .vgpr_count:     0
    .vgpr_spill_count: 0
    .wavefront_size: 32
  - .args:
      - .offset:         0
        .size:           112
        .value_kind:     by_value
    .group_segment_fixed_size: 0
    .kernarg_segment_align: 8
    .kernarg_segment_size: 112
    .language:       OpenCL C
    .language_version:
      - 2
      - 0
    .max_flat_workgroup_size: 256
    .name:           _ZN7rocprim17ROCPRIM_400000_NS6detail17trampoline_kernelINS0_14default_configENS1_27scan_by_key_config_selectorIiiEEZZNS1_16scan_by_key_implILNS1_25lookback_scan_determinismE0ELb1ES3_N6thrust23THRUST_200600_302600_NS6detail15normal_iteratorINS9_10device_ptrIiEEEESE_SE_iNS9_4plusIvEENS9_8equal_toIvEEiEE10hipError_tPvRmT2_T3_T4_T5_mT6_T7_P12ihipStream_tbENKUlT_T0_E_clISt17integral_constantIbLb1EESZ_EEDaSU_SV_EUlSU_E_NS1_11comp_targetILNS1_3genE2ELNS1_11target_archE906ELNS1_3gpuE6ELNS1_3repE0EEENS1_30default_config_static_selectorELNS0_4arch9wavefront6targetE0EEEvT1_
    .private_segment_fixed_size: 0
    .sgpr_count:     0
    .sgpr_spill_count: 0
    .symbol:         _ZN7rocprim17ROCPRIM_400000_NS6detail17trampoline_kernelINS0_14default_configENS1_27scan_by_key_config_selectorIiiEEZZNS1_16scan_by_key_implILNS1_25lookback_scan_determinismE0ELb1ES3_N6thrust23THRUST_200600_302600_NS6detail15normal_iteratorINS9_10device_ptrIiEEEESE_SE_iNS9_4plusIvEENS9_8equal_toIvEEiEE10hipError_tPvRmT2_T3_T4_T5_mT6_T7_P12ihipStream_tbENKUlT_T0_E_clISt17integral_constantIbLb1EESZ_EEDaSU_SV_EUlSU_E_NS1_11comp_targetILNS1_3genE2ELNS1_11target_archE906ELNS1_3gpuE6ELNS1_3repE0EEENS1_30default_config_static_selectorELNS0_4arch9wavefront6targetE0EEEvT1_.kd
    .uniform_work_group_size: 1
    .uses_dynamic_stack: false
    .vgpr_count:     0
    .vgpr_spill_count: 0
    .wavefront_size: 32
  - .args:
      - .offset:         0
        .size:           112
        .value_kind:     by_value
    .group_segment_fixed_size: 0
    .kernarg_segment_align: 8
    .kernarg_segment_size: 112
    .language:       OpenCL C
    .language_version:
      - 2
      - 0
    .max_flat_workgroup_size: 256
    .name:           _ZN7rocprim17ROCPRIM_400000_NS6detail17trampoline_kernelINS0_14default_configENS1_27scan_by_key_config_selectorIiiEEZZNS1_16scan_by_key_implILNS1_25lookback_scan_determinismE0ELb1ES3_N6thrust23THRUST_200600_302600_NS6detail15normal_iteratorINS9_10device_ptrIiEEEESE_SE_iNS9_4plusIvEENS9_8equal_toIvEEiEE10hipError_tPvRmT2_T3_T4_T5_mT6_T7_P12ihipStream_tbENKUlT_T0_E_clISt17integral_constantIbLb1EESZ_EEDaSU_SV_EUlSU_E_NS1_11comp_targetILNS1_3genE10ELNS1_11target_archE1200ELNS1_3gpuE4ELNS1_3repE0EEENS1_30default_config_static_selectorELNS0_4arch9wavefront6targetE0EEEvT1_
    .private_segment_fixed_size: 0
    .sgpr_count:     0
    .sgpr_spill_count: 0
    .symbol:         _ZN7rocprim17ROCPRIM_400000_NS6detail17trampoline_kernelINS0_14default_configENS1_27scan_by_key_config_selectorIiiEEZZNS1_16scan_by_key_implILNS1_25lookback_scan_determinismE0ELb1ES3_N6thrust23THRUST_200600_302600_NS6detail15normal_iteratorINS9_10device_ptrIiEEEESE_SE_iNS9_4plusIvEENS9_8equal_toIvEEiEE10hipError_tPvRmT2_T3_T4_T5_mT6_T7_P12ihipStream_tbENKUlT_T0_E_clISt17integral_constantIbLb1EESZ_EEDaSU_SV_EUlSU_E_NS1_11comp_targetILNS1_3genE10ELNS1_11target_archE1200ELNS1_3gpuE4ELNS1_3repE0EEENS1_30default_config_static_selectorELNS0_4arch9wavefront6targetE0EEEvT1_.kd
    .uniform_work_group_size: 1
    .uses_dynamic_stack: false
    .vgpr_count:     0
    .vgpr_spill_count: 0
    .wavefront_size: 32
  - .args:
      - .offset:         0
        .size:           112
        .value_kind:     by_value
    .group_segment_fixed_size: 0
    .kernarg_segment_align: 8
    .kernarg_segment_size: 112
    .language:       OpenCL C
    .language_version:
      - 2
      - 0
    .max_flat_workgroup_size: 256
    .name:           _ZN7rocprim17ROCPRIM_400000_NS6detail17trampoline_kernelINS0_14default_configENS1_27scan_by_key_config_selectorIiiEEZZNS1_16scan_by_key_implILNS1_25lookback_scan_determinismE0ELb1ES3_N6thrust23THRUST_200600_302600_NS6detail15normal_iteratorINS9_10device_ptrIiEEEESE_SE_iNS9_4plusIvEENS9_8equal_toIvEEiEE10hipError_tPvRmT2_T3_T4_T5_mT6_T7_P12ihipStream_tbENKUlT_T0_E_clISt17integral_constantIbLb1EESZ_EEDaSU_SV_EUlSU_E_NS1_11comp_targetILNS1_3genE9ELNS1_11target_archE1100ELNS1_3gpuE3ELNS1_3repE0EEENS1_30default_config_static_selectorELNS0_4arch9wavefront6targetE0EEEvT1_
    .private_segment_fixed_size: 0
    .sgpr_count:     0
    .sgpr_spill_count: 0
    .symbol:         _ZN7rocprim17ROCPRIM_400000_NS6detail17trampoline_kernelINS0_14default_configENS1_27scan_by_key_config_selectorIiiEEZZNS1_16scan_by_key_implILNS1_25lookback_scan_determinismE0ELb1ES3_N6thrust23THRUST_200600_302600_NS6detail15normal_iteratorINS9_10device_ptrIiEEEESE_SE_iNS9_4plusIvEENS9_8equal_toIvEEiEE10hipError_tPvRmT2_T3_T4_T5_mT6_T7_P12ihipStream_tbENKUlT_T0_E_clISt17integral_constantIbLb1EESZ_EEDaSU_SV_EUlSU_E_NS1_11comp_targetILNS1_3genE9ELNS1_11target_archE1100ELNS1_3gpuE3ELNS1_3repE0EEENS1_30default_config_static_selectorELNS0_4arch9wavefront6targetE0EEEvT1_.kd
    .uniform_work_group_size: 1
    .uses_dynamic_stack: false
    .vgpr_count:     0
    .vgpr_spill_count: 0
    .wavefront_size: 32
  - .args:
      - .offset:         0
        .size:           112
        .value_kind:     by_value
    .group_segment_fixed_size: 0
    .kernarg_segment_align: 8
    .kernarg_segment_size: 112
    .language:       OpenCL C
    .language_version:
      - 2
      - 0
    .max_flat_workgroup_size: 256
    .name:           _ZN7rocprim17ROCPRIM_400000_NS6detail17trampoline_kernelINS0_14default_configENS1_27scan_by_key_config_selectorIiiEEZZNS1_16scan_by_key_implILNS1_25lookback_scan_determinismE0ELb1ES3_N6thrust23THRUST_200600_302600_NS6detail15normal_iteratorINS9_10device_ptrIiEEEESE_SE_iNS9_4plusIvEENS9_8equal_toIvEEiEE10hipError_tPvRmT2_T3_T4_T5_mT6_T7_P12ihipStream_tbENKUlT_T0_E_clISt17integral_constantIbLb1EESZ_EEDaSU_SV_EUlSU_E_NS1_11comp_targetILNS1_3genE8ELNS1_11target_archE1030ELNS1_3gpuE2ELNS1_3repE0EEENS1_30default_config_static_selectorELNS0_4arch9wavefront6targetE0EEEvT1_
    .private_segment_fixed_size: 0
    .sgpr_count:     0
    .sgpr_spill_count: 0
    .symbol:         _ZN7rocprim17ROCPRIM_400000_NS6detail17trampoline_kernelINS0_14default_configENS1_27scan_by_key_config_selectorIiiEEZZNS1_16scan_by_key_implILNS1_25lookback_scan_determinismE0ELb1ES3_N6thrust23THRUST_200600_302600_NS6detail15normal_iteratorINS9_10device_ptrIiEEEESE_SE_iNS9_4plusIvEENS9_8equal_toIvEEiEE10hipError_tPvRmT2_T3_T4_T5_mT6_T7_P12ihipStream_tbENKUlT_T0_E_clISt17integral_constantIbLb1EESZ_EEDaSU_SV_EUlSU_E_NS1_11comp_targetILNS1_3genE8ELNS1_11target_archE1030ELNS1_3gpuE2ELNS1_3repE0EEENS1_30default_config_static_selectorELNS0_4arch9wavefront6targetE0EEEvT1_.kd
    .uniform_work_group_size: 1
    .uses_dynamic_stack: false
    .vgpr_count:     0
    .vgpr_spill_count: 0
    .wavefront_size: 32
  - .args:
      - .offset:         0
        .size:           112
        .value_kind:     by_value
    .group_segment_fixed_size: 0
    .kernarg_segment_align: 8
    .kernarg_segment_size: 112
    .language:       OpenCL C
    .language_version:
      - 2
      - 0
    .max_flat_workgroup_size: 256
    .name:           _ZN7rocprim17ROCPRIM_400000_NS6detail17trampoline_kernelINS0_14default_configENS1_27scan_by_key_config_selectorIiiEEZZNS1_16scan_by_key_implILNS1_25lookback_scan_determinismE0ELb1ES3_N6thrust23THRUST_200600_302600_NS6detail15normal_iteratorINS9_10device_ptrIiEEEESE_SE_iNS9_4plusIvEENS9_8equal_toIvEEiEE10hipError_tPvRmT2_T3_T4_T5_mT6_T7_P12ihipStream_tbENKUlT_T0_E_clISt17integral_constantIbLb1EESY_IbLb0EEEEDaSU_SV_EUlSU_E_NS1_11comp_targetILNS1_3genE0ELNS1_11target_archE4294967295ELNS1_3gpuE0ELNS1_3repE0EEENS1_30default_config_static_selectorELNS0_4arch9wavefront6targetE0EEEvT1_
    .private_segment_fixed_size: 0
    .sgpr_count:     0
    .sgpr_spill_count: 0
    .symbol:         _ZN7rocprim17ROCPRIM_400000_NS6detail17trampoline_kernelINS0_14default_configENS1_27scan_by_key_config_selectorIiiEEZZNS1_16scan_by_key_implILNS1_25lookback_scan_determinismE0ELb1ES3_N6thrust23THRUST_200600_302600_NS6detail15normal_iteratorINS9_10device_ptrIiEEEESE_SE_iNS9_4plusIvEENS9_8equal_toIvEEiEE10hipError_tPvRmT2_T3_T4_T5_mT6_T7_P12ihipStream_tbENKUlT_T0_E_clISt17integral_constantIbLb1EESY_IbLb0EEEEDaSU_SV_EUlSU_E_NS1_11comp_targetILNS1_3genE0ELNS1_11target_archE4294967295ELNS1_3gpuE0ELNS1_3repE0EEENS1_30default_config_static_selectorELNS0_4arch9wavefront6targetE0EEEvT1_.kd
    .uniform_work_group_size: 1
    .uses_dynamic_stack: false
    .vgpr_count:     0
    .vgpr_spill_count: 0
    .wavefront_size: 32
  - .args:
      - .offset:         0
        .size:           112
        .value_kind:     by_value
    .group_segment_fixed_size: 0
    .kernarg_segment_align: 8
    .kernarg_segment_size: 112
    .language:       OpenCL C
    .language_version:
      - 2
      - 0
    .max_flat_workgroup_size: 256
    .name:           _ZN7rocprim17ROCPRIM_400000_NS6detail17trampoline_kernelINS0_14default_configENS1_27scan_by_key_config_selectorIiiEEZZNS1_16scan_by_key_implILNS1_25lookback_scan_determinismE0ELb1ES3_N6thrust23THRUST_200600_302600_NS6detail15normal_iteratorINS9_10device_ptrIiEEEESE_SE_iNS9_4plusIvEENS9_8equal_toIvEEiEE10hipError_tPvRmT2_T3_T4_T5_mT6_T7_P12ihipStream_tbENKUlT_T0_E_clISt17integral_constantIbLb1EESY_IbLb0EEEEDaSU_SV_EUlSU_E_NS1_11comp_targetILNS1_3genE10ELNS1_11target_archE1201ELNS1_3gpuE5ELNS1_3repE0EEENS1_30default_config_static_selectorELNS0_4arch9wavefront6targetE0EEEvT1_
    .private_segment_fixed_size: 0
    .sgpr_count:     0
    .sgpr_spill_count: 0
    .symbol:         _ZN7rocprim17ROCPRIM_400000_NS6detail17trampoline_kernelINS0_14default_configENS1_27scan_by_key_config_selectorIiiEEZZNS1_16scan_by_key_implILNS1_25lookback_scan_determinismE0ELb1ES3_N6thrust23THRUST_200600_302600_NS6detail15normal_iteratorINS9_10device_ptrIiEEEESE_SE_iNS9_4plusIvEENS9_8equal_toIvEEiEE10hipError_tPvRmT2_T3_T4_T5_mT6_T7_P12ihipStream_tbENKUlT_T0_E_clISt17integral_constantIbLb1EESY_IbLb0EEEEDaSU_SV_EUlSU_E_NS1_11comp_targetILNS1_3genE10ELNS1_11target_archE1201ELNS1_3gpuE5ELNS1_3repE0EEENS1_30default_config_static_selectorELNS0_4arch9wavefront6targetE0EEEvT1_.kd
    .uniform_work_group_size: 1
    .uses_dynamic_stack: false
    .vgpr_count:     0
    .vgpr_spill_count: 0
    .wavefront_size: 32
  - .args:
      - .offset:         0
        .size:           112
        .value_kind:     by_value
    .group_segment_fixed_size: 0
    .kernarg_segment_align: 8
    .kernarg_segment_size: 112
    .language:       OpenCL C
    .language_version:
      - 2
      - 0
    .max_flat_workgroup_size: 256
    .name:           _ZN7rocprim17ROCPRIM_400000_NS6detail17trampoline_kernelINS0_14default_configENS1_27scan_by_key_config_selectorIiiEEZZNS1_16scan_by_key_implILNS1_25lookback_scan_determinismE0ELb1ES3_N6thrust23THRUST_200600_302600_NS6detail15normal_iteratorINS9_10device_ptrIiEEEESE_SE_iNS9_4plusIvEENS9_8equal_toIvEEiEE10hipError_tPvRmT2_T3_T4_T5_mT6_T7_P12ihipStream_tbENKUlT_T0_E_clISt17integral_constantIbLb1EESY_IbLb0EEEEDaSU_SV_EUlSU_E_NS1_11comp_targetILNS1_3genE5ELNS1_11target_archE942ELNS1_3gpuE9ELNS1_3repE0EEENS1_30default_config_static_selectorELNS0_4arch9wavefront6targetE0EEEvT1_
    .private_segment_fixed_size: 0
    .sgpr_count:     0
    .sgpr_spill_count: 0
    .symbol:         _ZN7rocprim17ROCPRIM_400000_NS6detail17trampoline_kernelINS0_14default_configENS1_27scan_by_key_config_selectorIiiEEZZNS1_16scan_by_key_implILNS1_25lookback_scan_determinismE0ELb1ES3_N6thrust23THRUST_200600_302600_NS6detail15normal_iteratorINS9_10device_ptrIiEEEESE_SE_iNS9_4plusIvEENS9_8equal_toIvEEiEE10hipError_tPvRmT2_T3_T4_T5_mT6_T7_P12ihipStream_tbENKUlT_T0_E_clISt17integral_constantIbLb1EESY_IbLb0EEEEDaSU_SV_EUlSU_E_NS1_11comp_targetILNS1_3genE5ELNS1_11target_archE942ELNS1_3gpuE9ELNS1_3repE0EEENS1_30default_config_static_selectorELNS0_4arch9wavefront6targetE0EEEvT1_.kd
    .uniform_work_group_size: 1
    .uses_dynamic_stack: false
    .vgpr_count:     0
    .vgpr_spill_count: 0
    .wavefront_size: 32
  - .args:
      - .offset:         0
        .size:           112
        .value_kind:     by_value
    .group_segment_fixed_size: 0
    .kernarg_segment_align: 8
    .kernarg_segment_size: 112
    .language:       OpenCL C
    .language_version:
      - 2
      - 0
    .max_flat_workgroup_size: 256
    .name:           _ZN7rocprim17ROCPRIM_400000_NS6detail17trampoline_kernelINS0_14default_configENS1_27scan_by_key_config_selectorIiiEEZZNS1_16scan_by_key_implILNS1_25lookback_scan_determinismE0ELb1ES3_N6thrust23THRUST_200600_302600_NS6detail15normal_iteratorINS9_10device_ptrIiEEEESE_SE_iNS9_4plusIvEENS9_8equal_toIvEEiEE10hipError_tPvRmT2_T3_T4_T5_mT6_T7_P12ihipStream_tbENKUlT_T0_E_clISt17integral_constantIbLb1EESY_IbLb0EEEEDaSU_SV_EUlSU_E_NS1_11comp_targetILNS1_3genE4ELNS1_11target_archE910ELNS1_3gpuE8ELNS1_3repE0EEENS1_30default_config_static_selectorELNS0_4arch9wavefront6targetE0EEEvT1_
    .private_segment_fixed_size: 0
    .sgpr_count:     0
    .sgpr_spill_count: 0
    .symbol:         _ZN7rocprim17ROCPRIM_400000_NS6detail17trampoline_kernelINS0_14default_configENS1_27scan_by_key_config_selectorIiiEEZZNS1_16scan_by_key_implILNS1_25lookback_scan_determinismE0ELb1ES3_N6thrust23THRUST_200600_302600_NS6detail15normal_iteratorINS9_10device_ptrIiEEEESE_SE_iNS9_4plusIvEENS9_8equal_toIvEEiEE10hipError_tPvRmT2_T3_T4_T5_mT6_T7_P12ihipStream_tbENKUlT_T0_E_clISt17integral_constantIbLb1EESY_IbLb0EEEEDaSU_SV_EUlSU_E_NS1_11comp_targetILNS1_3genE4ELNS1_11target_archE910ELNS1_3gpuE8ELNS1_3repE0EEENS1_30default_config_static_selectorELNS0_4arch9wavefront6targetE0EEEvT1_.kd
    .uniform_work_group_size: 1
    .uses_dynamic_stack: false
    .vgpr_count:     0
    .vgpr_spill_count: 0
    .wavefront_size: 32
  - .args:
      - .offset:         0
        .size:           112
        .value_kind:     by_value
    .group_segment_fixed_size: 0
    .kernarg_segment_align: 8
    .kernarg_segment_size: 112
    .language:       OpenCL C
    .language_version:
      - 2
      - 0
    .max_flat_workgroup_size: 256
    .name:           _ZN7rocprim17ROCPRIM_400000_NS6detail17trampoline_kernelINS0_14default_configENS1_27scan_by_key_config_selectorIiiEEZZNS1_16scan_by_key_implILNS1_25lookback_scan_determinismE0ELb1ES3_N6thrust23THRUST_200600_302600_NS6detail15normal_iteratorINS9_10device_ptrIiEEEESE_SE_iNS9_4plusIvEENS9_8equal_toIvEEiEE10hipError_tPvRmT2_T3_T4_T5_mT6_T7_P12ihipStream_tbENKUlT_T0_E_clISt17integral_constantIbLb1EESY_IbLb0EEEEDaSU_SV_EUlSU_E_NS1_11comp_targetILNS1_3genE3ELNS1_11target_archE908ELNS1_3gpuE7ELNS1_3repE0EEENS1_30default_config_static_selectorELNS0_4arch9wavefront6targetE0EEEvT1_
    .private_segment_fixed_size: 0
    .sgpr_count:     0
    .sgpr_spill_count: 0
    .symbol:         _ZN7rocprim17ROCPRIM_400000_NS6detail17trampoline_kernelINS0_14default_configENS1_27scan_by_key_config_selectorIiiEEZZNS1_16scan_by_key_implILNS1_25lookback_scan_determinismE0ELb1ES3_N6thrust23THRUST_200600_302600_NS6detail15normal_iteratorINS9_10device_ptrIiEEEESE_SE_iNS9_4plusIvEENS9_8equal_toIvEEiEE10hipError_tPvRmT2_T3_T4_T5_mT6_T7_P12ihipStream_tbENKUlT_T0_E_clISt17integral_constantIbLb1EESY_IbLb0EEEEDaSU_SV_EUlSU_E_NS1_11comp_targetILNS1_3genE3ELNS1_11target_archE908ELNS1_3gpuE7ELNS1_3repE0EEENS1_30default_config_static_selectorELNS0_4arch9wavefront6targetE0EEEvT1_.kd
    .uniform_work_group_size: 1
    .uses_dynamic_stack: false
    .vgpr_count:     0
    .vgpr_spill_count: 0
    .wavefront_size: 32
  - .args:
      - .offset:         0
        .size:           112
        .value_kind:     by_value
    .group_segment_fixed_size: 0
    .kernarg_segment_align: 8
    .kernarg_segment_size: 112
    .language:       OpenCL C
    .language_version:
      - 2
      - 0
    .max_flat_workgroup_size: 256
    .name:           _ZN7rocprim17ROCPRIM_400000_NS6detail17trampoline_kernelINS0_14default_configENS1_27scan_by_key_config_selectorIiiEEZZNS1_16scan_by_key_implILNS1_25lookback_scan_determinismE0ELb1ES3_N6thrust23THRUST_200600_302600_NS6detail15normal_iteratorINS9_10device_ptrIiEEEESE_SE_iNS9_4plusIvEENS9_8equal_toIvEEiEE10hipError_tPvRmT2_T3_T4_T5_mT6_T7_P12ihipStream_tbENKUlT_T0_E_clISt17integral_constantIbLb1EESY_IbLb0EEEEDaSU_SV_EUlSU_E_NS1_11comp_targetILNS1_3genE2ELNS1_11target_archE906ELNS1_3gpuE6ELNS1_3repE0EEENS1_30default_config_static_selectorELNS0_4arch9wavefront6targetE0EEEvT1_
    .private_segment_fixed_size: 0
    .sgpr_count:     0
    .sgpr_spill_count: 0
    .symbol:         _ZN7rocprim17ROCPRIM_400000_NS6detail17trampoline_kernelINS0_14default_configENS1_27scan_by_key_config_selectorIiiEEZZNS1_16scan_by_key_implILNS1_25lookback_scan_determinismE0ELb1ES3_N6thrust23THRUST_200600_302600_NS6detail15normal_iteratorINS9_10device_ptrIiEEEESE_SE_iNS9_4plusIvEENS9_8equal_toIvEEiEE10hipError_tPvRmT2_T3_T4_T5_mT6_T7_P12ihipStream_tbENKUlT_T0_E_clISt17integral_constantIbLb1EESY_IbLb0EEEEDaSU_SV_EUlSU_E_NS1_11comp_targetILNS1_3genE2ELNS1_11target_archE906ELNS1_3gpuE6ELNS1_3repE0EEENS1_30default_config_static_selectorELNS0_4arch9wavefront6targetE0EEEvT1_.kd
    .uniform_work_group_size: 1
    .uses_dynamic_stack: false
    .vgpr_count:     0
    .vgpr_spill_count: 0
    .wavefront_size: 32
  - .args:
      - .offset:         0
        .size:           112
        .value_kind:     by_value
    .group_segment_fixed_size: 0
    .kernarg_segment_align: 8
    .kernarg_segment_size: 112
    .language:       OpenCL C
    .language_version:
      - 2
      - 0
    .max_flat_workgroup_size: 256
    .name:           _ZN7rocprim17ROCPRIM_400000_NS6detail17trampoline_kernelINS0_14default_configENS1_27scan_by_key_config_selectorIiiEEZZNS1_16scan_by_key_implILNS1_25lookback_scan_determinismE0ELb1ES3_N6thrust23THRUST_200600_302600_NS6detail15normal_iteratorINS9_10device_ptrIiEEEESE_SE_iNS9_4plusIvEENS9_8equal_toIvEEiEE10hipError_tPvRmT2_T3_T4_T5_mT6_T7_P12ihipStream_tbENKUlT_T0_E_clISt17integral_constantIbLb1EESY_IbLb0EEEEDaSU_SV_EUlSU_E_NS1_11comp_targetILNS1_3genE10ELNS1_11target_archE1200ELNS1_3gpuE4ELNS1_3repE0EEENS1_30default_config_static_selectorELNS0_4arch9wavefront6targetE0EEEvT1_
    .private_segment_fixed_size: 0
    .sgpr_count:     0
    .sgpr_spill_count: 0
    .symbol:         _ZN7rocprim17ROCPRIM_400000_NS6detail17trampoline_kernelINS0_14default_configENS1_27scan_by_key_config_selectorIiiEEZZNS1_16scan_by_key_implILNS1_25lookback_scan_determinismE0ELb1ES3_N6thrust23THRUST_200600_302600_NS6detail15normal_iteratorINS9_10device_ptrIiEEEESE_SE_iNS9_4plusIvEENS9_8equal_toIvEEiEE10hipError_tPvRmT2_T3_T4_T5_mT6_T7_P12ihipStream_tbENKUlT_T0_E_clISt17integral_constantIbLb1EESY_IbLb0EEEEDaSU_SV_EUlSU_E_NS1_11comp_targetILNS1_3genE10ELNS1_11target_archE1200ELNS1_3gpuE4ELNS1_3repE0EEENS1_30default_config_static_selectorELNS0_4arch9wavefront6targetE0EEEvT1_.kd
    .uniform_work_group_size: 1
    .uses_dynamic_stack: false
    .vgpr_count:     0
    .vgpr_spill_count: 0
    .wavefront_size: 32
  - .args:
      - .offset:         0
        .size:           112
        .value_kind:     by_value
    .group_segment_fixed_size: 0
    .kernarg_segment_align: 8
    .kernarg_segment_size: 112
    .language:       OpenCL C
    .language_version:
      - 2
      - 0
    .max_flat_workgroup_size: 256
    .name:           _ZN7rocprim17ROCPRIM_400000_NS6detail17trampoline_kernelINS0_14default_configENS1_27scan_by_key_config_selectorIiiEEZZNS1_16scan_by_key_implILNS1_25lookback_scan_determinismE0ELb1ES3_N6thrust23THRUST_200600_302600_NS6detail15normal_iteratorINS9_10device_ptrIiEEEESE_SE_iNS9_4plusIvEENS9_8equal_toIvEEiEE10hipError_tPvRmT2_T3_T4_T5_mT6_T7_P12ihipStream_tbENKUlT_T0_E_clISt17integral_constantIbLb1EESY_IbLb0EEEEDaSU_SV_EUlSU_E_NS1_11comp_targetILNS1_3genE9ELNS1_11target_archE1100ELNS1_3gpuE3ELNS1_3repE0EEENS1_30default_config_static_selectorELNS0_4arch9wavefront6targetE0EEEvT1_
    .private_segment_fixed_size: 0
    .sgpr_count:     0
    .sgpr_spill_count: 0
    .symbol:         _ZN7rocprim17ROCPRIM_400000_NS6detail17trampoline_kernelINS0_14default_configENS1_27scan_by_key_config_selectorIiiEEZZNS1_16scan_by_key_implILNS1_25lookback_scan_determinismE0ELb1ES3_N6thrust23THRUST_200600_302600_NS6detail15normal_iteratorINS9_10device_ptrIiEEEESE_SE_iNS9_4plusIvEENS9_8equal_toIvEEiEE10hipError_tPvRmT2_T3_T4_T5_mT6_T7_P12ihipStream_tbENKUlT_T0_E_clISt17integral_constantIbLb1EESY_IbLb0EEEEDaSU_SV_EUlSU_E_NS1_11comp_targetILNS1_3genE9ELNS1_11target_archE1100ELNS1_3gpuE3ELNS1_3repE0EEENS1_30default_config_static_selectorELNS0_4arch9wavefront6targetE0EEEvT1_.kd
    .uniform_work_group_size: 1
    .uses_dynamic_stack: false
    .vgpr_count:     0
    .vgpr_spill_count: 0
    .wavefront_size: 32
  - .args:
      - .offset:         0
        .size:           112
        .value_kind:     by_value
    .group_segment_fixed_size: 0
    .kernarg_segment_align: 8
    .kernarg_segment_size: 112
    .language:       OpenCL C
    .language_version:
      - 2
      - 0
    .max_flat_workgroup_size: 256
    .name:           _ZN7rocprim17ROCPRIM_400000_NS6detail17trampoline_kernelINS0_14default_configENS1_27scan_by_key_config_selectorIiiEEZZNS1_16scan_by_key_implILNS1_25lookback_scan_determinismE0ELb1ES3_N6thrust23THRUST_200600_302600_NS6detail15normal_iteratorINS9_10device_ptrIiEEEESE_SE_iNS9_4plusIvEENS9_8equal_toIvEEiEE10hipError_tPvRmT2_T3_T4_T5_mT6_T7_P12ihipStream_tbENKUlT_T0_E_clISt17integral_constantIbLb1EESY_IbLb0EEEEDaSU_SV_EUlSU_E_NS1_11comp_targetILNS1_3genE8ELNS1_11target_archE1030ELNS1_3gpuE2ELNS1_3repE0EEENS1_30default_config_static_selectorELNS0_4arch9wavefront6targetE0EEEvT1_
    .private_segment_fixed_size: 0
    .sgpr_count:     0
    .sgpr_spill_count: 0
    .symbol:         _ZN7rocprim17ROCPRIM_400000_NS6detail17trampoline_kernelINS0_14default_configENS1_27scan_by_key_config_selectorIiiEEZZNS1_16scan_by_key_implILNS1_25lookback_scan_determinismE0ELb1ES3_N6thrust23THRUST_200600_302600_NS6detail15normal_iteratorINS9_10device_ptrIiEEEESE_SE_iNS9_4plusIvEENS9_8equal_toIvEEiEE10hipError_tPvRmT2_T3_T4_T5_mT6_T7_P12ihipStream_tbENKUlT_T0_E_clISt17integral_constantIbLb1EESY_IbLb0EEEEDaSU_SV_EUlSU_E_NS1_11comp_targetILNS1_3genE8ELNS1_11target_archE1030ELNS1_3gpuE2ELNS1_3repE0EEENS1_30default_config_static_selectorELNS0_4arch9wavefront6targetE0EEEvT1_.kd
    .uniform_work_group_size: 1
    .uses_dynamic_stack: false
    .vgpr_count:     0
    .vgpr_spill_count: 0
    .wavefront_size: 32
  - .args:
      - .offset:         0
        .size:           112
        .value_kind:     by_value
    .group_segment_fixed_size: 14336
    .kernarg_segment_align: 8
    .kernarg_segment_size: 112
    .language:       OpenCL C
    .language_version:
      - 2
      - 0
    .max_flat_workgroup_size: 256
    .name:           _ZN7rocprim17ROCPRIM_400000_NS6detail17trampoline_kernelINS0_14default_configENS1_27scan_by_key_config_selectorIiiEEZZNS1_16scan_by_key_implILNS1_25lookback_scan_determinismE0ELb1ES3_N6thrust23THRUST_200600_302600_NS6detail15normal_iteratorINS9_10device_ptrIiEEEESE_SE_iNS9_4plusIvEENS9_8equal_toIvEEiEE10hipError_tPvRmT2_T3_T4_T5_mT6_T7_P12ihipStream_tbENKUlT_T0_E_clISt17integral_constantIbLb0EESY_IbLb1EEEEDaSU_SV_EUlSU_E_NS1_11comp_targetILNS1_3genE0ELNS1_11target_archE4294967295ELNS1_3gpuE0ELNS1_3repE0EEENS1_30default_config_static_selectorELNS0_4arch9wavefront6targetE0EEEvT1_
    .private_segment_fixed_size: 0
    .sgpr_count:     41
    .sgpr_spill_count: 0
    .symbol:         _ZN7rocprim17ROCPRIM_400000_NS6detail17trampoline_kernelINS0_14default_configENS1_27scan_by_key_config_selectorIiiEEZZNS1_16scan_by_key_implILNS1_25lookback_scan_determinismE0ELb1ES3_N6thrust23THRUST_200600_302600_NS6detail15normal_iteratorINS9_10device_ptrIiEEEESE_SE_iNS9_4plusIvEENS9_8equal_toIvEEiEE10hipError_tPvRmT2_T3_T4_T5_mT6_T7_P12ihipStream_tbENKUlT_T0_E_clISt17integral_constantIbLb0EESY_IbLb1EEEEDaSU_SV_EUlSU_E_NS1_11comp_targetILNS1_3genE0ELNS1_11target_archE4294967295ELNS1_3gpuE0ELNS1_3repE0EEENS1_30default_config_static_selectorELNS0_4arch9wavefront6targetE0EEEvT1_.kd
    .uniform_work_group_size: 1
    .uses_dynamic_stack: false
    .vgpr_count:     62
    .vgpr_spill_count: 0
    .wavefront_size: 32
  - .args:
      - .offset:         0
        .size:           112
        .value_kind:     by_value
    .group_segment_fixed_size: 0
    .kernarg_segment_align: 8
    .kernarg_segment_size: 112
    .language:       OpenCL C
    .language_version:
      - 2
      - 0
    .max_flat_workgroup_size: 256
    .name:           _ZN7rocprim17ROCPRIM_400000_NS6detail17trampoline_kernelINS0_14default_configENS1_27scan_by_key_config_selectorIiiEEZZNS1_16scan_by_key_implILNS1_25lookback_scan_determinismE0ELb1ES3_N6thrust23THRUST_200600_302600_NS6detail15normal_iteratorINS9_10device_ptrIiEEEESE_SE_iNS9_4plusIvEENS9_8equal_toIvEEiEE10hipError_tPvRmT2_T3_T4_T5_mT6_T7_P12ihipStream_tbENKUlT_T0_E_clISt17integral_constantIbLb0EESY_IbLb1EEEEDaSU_SV_EUlSU_E_NS1_11comp_targetILNS1_3genE10ELNS1_11target_archE1201ELNS1_3gpuE5ELNS1_3repE0EEENS1_30default_config_static_selectorELNS0_4arch9wavefront6targetE0EEEvT1_
    .private_segment_fixed_size: 0
    .sgpr_count:     0
    .sgpr_spill_count: 0
    .symbol:         _ZN7rocprim17ROCPRIM_400000_NS6detail17trampoline_kernelINS0_14default_configENS1_27scan_by_key_config_selectorIiiEEZZNS1_16scan_by_key_implILNS1_25lookback_scan_determinismE0ELb1ES3_N6thrust23THRUST_200600_302600_NS6detail15normal_iteratorINS9_10device_ptrIiEEEESE_SE_iNS9_4plusIvEENS9_8equal_toIvEEiEE10hipError_tPvRmT2_T3_T4_T5_mT6_T7_P12ihipStream_tbENKUlT_T0_E_clISt17integral_constantIbLb0EESY_IbLb1EEEEDaSU_SV_EUlSU_E_NS1_11comp_targetILNS1_3genE10ELNS1_11target_archE1201ELNS1_3gpuE5ELNS1_3repE0EEENS1_30default_config_static_selectorELNS0_4arch9wavefront6targetE0EEEvT1_.kd
    .uniform_work_group_size: 1
    .uses_dynamic_stack: false
    .vgpr_count:     0
    .vgpr_spill_count: 0
    .wavefront_size: 32
  - .args:
      - .offset:         0
        .size:           112
        .value_kind:     by_value
    .group_segment_fixed_size: 0
    .kernarg_segment_align: 8
    .kernarg_segment_size: 112
    .language:       OpenCL C
    .language_version:
      - 2
      - 0
    .max_flat_workgroup_size: 256
    .name:           _ZN7rocprim17ROCPRIM_400000_NS6detail17trampoline_kernelINS0_14default_configENS1_27scan_by_key_config_selectorIiiEEZZNS1_16scan_by_key_implILNS1_25lookback_scan_determinismE0ELb1ES3_N6thrust23THRUST_200600_302600_NS6detail15normal_iteratorINS9_10device_ptrIiEEEESE_SE_iNS9_4plusIvEENS9_8equal_toIvEEiEE10hipError_tPvRmT2_T3_T4_T5_mT6_T7_P12ihipStream_tbENKUlT_T0_E_clISt17integral_constantIbLb0EESY_IbLb1EEEEDaSU_SV_EUlSU_E_NS1_11comp_targetILNS1_3genE5ELNS1_11target_archE942ELNS1_3gpuE9ELNS1_3repE0EEENS1_30default_config_static_selectorELNS0_4arch9wavefront6targetE0EEEvT1_
    .private_segment_fixed_size: 0
    .sgpr_count:     0
    .sgpr_spill_count: 0
    .symbol:         _ZN7rocprim17ROCPRIM_400000_NS6detail17trampoline_kernelINS0_14default_configENS1_27scan_by_key_config_selectorIiiEEZZNS1_16scan_by_key_implILNS1_25lookback_scan_determinismE0ELb1ES3_N6thrust23THRUST_200600_302600_NS6detail15normal_iteratorINS9_10device_ptrIiEEEESE_SE_iNS9_4plusIvEENS9_8equal_toIvEEiEE10hipError_tPvRmT2_T3_T4_T5_mT6_T7_P12ihipStream_tbENKUlT_T0_E_clISt17integral_constantIbLb0EESY_IbLb1EEEEDaSU_SV_EUlSU_E_NS1_11comp_targetILNS1_3genE5ELNS1_11target_archE942ELNS1_3gpuE9ELNS1_3repE0EEENS1_30default_config_static_selectorELNS0_4arch9wavefront6targetE0EEEvT1_.kd
    .uniform_work_group_size: 1
    .uses_dynamic_stack: false
    .vgpr_count:     0
    .vgpr_spill_count: 0
    .wavefront_size: 32
  - .args:
      - .offset:         0
        .size:           112
        .value_kind:     by_value
    .group_segment_fixed_size: 0
    .kernarg_segment_align: 8
    .kernarg_segment_size: 112
    .language:       OpenCL C
    .language_version:
      - 2
      - 0
    .max_flat_workgroup_size: 256
    .name:           _ZN7rocprim17ROCPRIM_400000_NS6detail17trampoline_kernelINS0_14default_configENS1_27scan_by_key_config_selectorIiiEEZZNS1_16scan_by_key_implILNS1_25lookback_scan_determinismE0ELb1ES3_N6thrust23THRUST_200600_302600_NS6detail15normal_iteratorINS9_10device_ptrIiEEEESE_SE_iNS9_4plusIvEENS9_8equal_toIvEEiEE10hipError_tPvRmT2_T3_T4_T5_mT6_T7_P12ihipStream_tbENKUlT_T0_E_clISt17integral_constantIbLb0EESY_IbLb1EEEEDaSU_SV_EUlSU_E_NS1_11comp_targetILNS1_3genE4ELNS1_11target_archE910ELNS1_3gpuE8ELNS1_3repE0EEENS1_30default_config_static_selectorELNS0_4arch9wavefront6targetE0EEEvT1_
    .private_segment_fixed_size: 0
    .sgpr_count:     0
    .sgpr_spill_count: 0
    .symbol:         _ZN7rocprim17ROCPRIM_400000_NS6detail17trampoline_kernelINS0_14default_configENS1_27scan_by_key_config_selectorIiiEEZZNS1_16scan_by_key_implILNS1_25lookback_scan_determinismE0ELb1ES3_N6thrust23THRUST_200600_302600_NS6detail15normal_iteratorINS9_10device_ptrIiEEEESE_SE_iNS9_4plusIvEENS9_8equal_toIvEEiEE10hipError_tPvRmT2_T3_T4_T5_mT6_T7_P12ihipStream_tbENKUlT_T0_E_clISt17integral_constantIbLb0EESY_IbLb1EEEEDaSU_SV_EUlSU_E_NS1_11comp_targetILNS1_3genE4ELNS1_11target_archE910ELNS1_3gpuE8ELNS1_3repE0EEENS1_30default_config_static_selectorELNS0_4arch9wavefront6targetE0EEEvT1_.kd
    .uniform_work_group_size: 1
    .uses_dynamic_stack: false
    .vgpr_count:     0
    .vgpr_spill_count: 0
    .wavefront_size: 32
  - .args:
      - .offset:         0
        .size:           112
        .value_kind:     by_value
    .group_segment_fixed_size: 0
    .kernarg_segment_align: 8
    .kernarg_segment_size: 112
    .language:       OpenCL C
    .language_version:
      - 2
      - 0
    .max_flat_workgroup_size: 256
    .name:           _ZN7rocprim17ROCPRIM_400000_NS6detail17trampoline_kernelINS0_14default_configENS1_27scan_by_key_config_selectorIiiEEZZNS1_16scan_by_key_implILNS1_25lookback_scan_determinismE0ELb1ES3_N6thrust23THRUST_200600_302600_NS6detail15normal_iteratorINS9_10device_ptrIiEEEESE_SE_iNS9_4plusIvEENS9_8equal_toIvEEiEE10hipError_tPvRmT2_T3_T4_T5_mT6_T7_P12ihipStream_tbENKUlT_T0_E_clISt17integral_constantIbLb0EESY_IbLb1EEEEDaSU_SV_EUlSU_E_NS1_11comp_targetILNS1_3genE3ELNS1_11target_archE908ELNS1_3gpuE7ELNS1_3repE0EEENS1_30default_config_static_selectorELNS0_4arch9wavefront6targetE0EEEvT1_
    .private_segment_fixed_size: 0
    .sgpr_count:     0
    .sgpr_spill_count: 0
    .symbol:         _ZN7rocprim17ROCPRIM_400000_NS6detail17trampoline_kernelINS0_14default_configENS1_27scan_by_key_config_selectorIiiEEZZNS1_16scan_by_key_implILNS1_25lookback_scan_determinismE0ELb1ES3_N6thrust23THRUST_200600_302600_NS6detail15normal_iteratorINS9_10device_ptrIiEEEESE_SE_iNS9_4plusIvEENS9_8equal_toIvEEiEE10hipError_tPvRmT2_T3_T4_T5_mT6_T7_P12ihipStream_tbENKUlT_T0_E_clISt17integral_constantIbLb0EESY_IbLb1EEEEDaSU_SV_EUlSU_E_NS1_11comp_targetILNS1_3genE3ELNS1_11target_archE908ELNS1_3gpuE7ELNS1_3repE0EEENS1_30default_config_static_selectorELNS0_4arch9wavefront6targetE0EEEvT1_.kd
    .uniform_work_group_size: 1
    .uses_dynamic_stack: false
    .vgpr_count:     0
    .vgpr_spill_count: 0
    .wavefront_size: 32
  - .args:
      - .offset:         0
        .size:           112
        .value_kind:     by_value
    .group_segment_fixed_size: 0
    .kernarg_segment_align: 8
    .kernarg_segment_size: 112
    .language:       OpenCL C
    .language_version:
      - 2
      - 0
    .max_flat_workgroup_size: 256
    .name:           _ZN7rocprim17ROCPRIM_400000_NS6detail17trampoline_kernelINS0_14default_configENS1_27scan_by_key_config_selectorIiiEEZZNS1_16scan_by_key_implILNS1_25lookback_scan_determinismE0ELb1ES3_N6thrust23THRUST_200600_302600_NS6detail15normal_iteratorINS9_10device_ptrIiEEEESE_SE_iNS9_4plusIvEENS9_8equal_toIvEEiEE10hipError_tPvRmT2_T3_T4_T5_mT6_T7_P12ihipStream_tbENKUlT_T0_E_clISt17integral_constantIbLb0EESY_IbLb1EEEEDaSU_SV_EUlSU_E_NS1_11comp_targetILNS1_3genE2ELNS1_11target_archE906ELNS1_3gpuE6ELNS1_3repE0EEENS1_30default_config_static_selectorELNS0_4arch9wavefront6targetE0EEEvT1_
    .private_segment_fixed_size: 0
    .sgpr_count:     0
    .sgpr_spill_count: 0
    .symbol:         _ZN7rocprim17ROCPRIM_400000_NS6detail17trampoline_kernelINS0_14default_configENS1_27scan_by_key_config_selectorIiiEEZZNS1_16scan_by_key_implILNS1_25lookback_scan_determinismE0ELb1ES3_N6thrust23THRUST_200600_302600_NS6detail15normal_iteratorINS9_10device_ptrIiEEEESE_SE_iNS9_4plusIvEENS9_8equal_toIvEEiEE10hipError_tPvRmT2_T3_T4_T5_mT6_T7_P12ihipStream_tbENKUlT_T0_E_clISt17integral_constantIbLb0EESY_IbLb1EEEEDaSU_SV_EUlSU_E_NS1_11comp_targetILNS1_3genE2ELNS1_11target_archE906ELNS1_3gpuE6ELNS1_3repE0EEENS1_30default_config_static_selectorELNS0_4arch9wavefront6targetE0EEEvT1_.kd
    .uniform_work_group_size: 1
    .uses_dynamic_stack: false
    .vgpr_count:     0
    .vgpr_spill_count: 0
    .wavefront_size: 32
  - .args:
      - .offset:         0
        .size:           112
        .value_kind:     by_value
    .group_segment_fixed_size: 0
    .kernarg_segment_align: 8
    .kernarg_segment_size: 112
    .language:       OpenCL C
    .language_version:
      - 2
      - 0
    .max_flat_workgroup_size: 256
    .name:           _ZN7rocprim17ROCPRIM_400000_NS6detail17trampoline_kernelINS0_14default_configENS1_27scan_by_key_config_selectorIiiEEZZNS1_16scan_by_key_implILNS1_25lookback_scan_determinismE0ELb1ES3_N6thrust23THRUST_200600_302600_NS6detail15normal_iteratorINS9_10device_ptrIiEEEESE_SE_iNS9_4plusIvEENS9_8equal_toIvEEiEE10hipError_tPvRmT2_T3_T4_T5_mT6_T7_P12ihipStream_tbENKUlT_T0_E_clISt17integral_constantIbLb0EESY_IbLb1EEEEDaSU_SV_EUlSU_E_NS1_11comp_targetILNS1_3genE10ELNS1_11target_archE1200ELNS1_3gpuE4ELNS1_3repE0EEENS1_30default_config_static_selectorELNS0_4arch9wavefront6targetE0EEEvT1_
    .private_segment_fixed_size: 0
    .sgpr_count:     0
    .sgpr_spill_count: 0
    .symbol:         _ZN7rocprim17ROCPRIM_400000_NS6detail17trampoline_kernelINS0_14default_configENS1_27scan_by_key_config_selectorIiiEEZZNS1_16scan_by_key_implILNS1_25lookback_scan_determinismE0ELb1ES3_N6thrust23THRUST_200600_302600_NS6detail15normal_iteratorINS9_10device_ptrIiEEEESE_SE_iNS9_4plusIvEENS9_8equal_toIvEEiEE10hipError_tPvRmT2_T3_T4_T5_mT6_T7_P12ihipStream_tbENKUlT_T0_E_clISt17integral_constantIbLb0EESY_IbLb1EEEEDaSU_SV_EUlSU_E_NS1_11comp_targetILNS1_3genE10ELNS1_11target_archE1200ELNS1_3gpuE4ELNS1_3repE0EEENS1_30default_config_static_selectorELNS0_4arch9wavefront6targetE0EEEvT1_.kd
    .uniform_work_group_size: 1
    .uses_dynamic_stack: false
    .vgpr_count:     0
    .vgpr_spill_count: 0
    .wavefront_size: 32
  - .args:
      - .offset:         0
        .size:           112
        .value_kind:     by_value
    .group_segment_fixed_size: 0
    .kernarg_segment_align: 8
    .kernarg_segment_size: 112
    .language:       OpenCL C
    .language_version:
      - 2
      - 0
    .max_flat_workgroup_size: 256
    .name:           _ZN7rocprim17ROCPRIM_400000_NS6detail17trampoline_kernelINS0_14default_configENS1_27scan_by_key_config_selectorIiiEEZZNS1_16scan_by_key_implILNS1_25lookback_scan_determinismE0ELb1ES3_N6thrust23THRUST_200600_302600_NS6detail15normal_iteratorINS9_10device_ptrIiEEEESE_SE_iNS9_4plusIvEENS9_8equal_toIvEEiEE10hipError_tPvRmT2_T3_T4_T5_mT6_T7_P12ihipStream_tbENKUlT_T0_E_clISt17integral_constantIbLb0EESY_IbLb1EEEEDaSU_SV_EUlSU_E_NS1_11comp_targetILNS1_3genE9ELNS1_11target_archE1100ELNS1_3gpuE3ELNS1_3repE0EEENS1_30default_config_static_selectorELNS0_4arch9wavefront6targetE0EEEvT1_
    .private_segment_fixed_size: 0
    .sgpr_count:     0
    .sgpr_spill_count: 0
    .symbol:         _ZN7rocprim17ROCPRIM_400000_NS6detail17trampoline_kernelINS0_14default_configENS1_27scan_by_key_config_selectorIiiEEZZNS1_16scan_by_key_implILNS1_25lookback_scan_determinismE0ELb1ES3_N6thrust23THRUST_200600_302600_NS6detail15normal_iteratorINS9_10device_ptrIiEEEESE_SE_iNS9_4plusIvEENS9_8equal_toIvEEiEE10hipError_tPvRmT2_T3_T4_T5_mT6_T7_P12ihipStream_tbENKUlT_T0_E_clISt17integral_constantIbLb0EESY_IbLb1EEEEDaSU_SV_EUlSU_E_NS1_11comp_targetILNS1_3genE9ELNS1_11target_archE1100ELNS1_3gpuE3ELNS1_3repE0EEENS1_30default_config_static_selectorELNS0_4arch9wavefront6targetE0EEEvT1_.kd
    .uniform_work_group_size: 1
    .uses_dynamic_stack: false
    .vgpr_count:     0
    .vgpr_spill_count: 0
    .wavefront_size: 32
  - .args:
      - .offset:         0
        .size:           112
        .value_kind:     by_value
    .group_segment_fixed_size: 0
    .kernarg_segment_align: 8
    .kernarg_segment_size: 112
    .language:       OpenCL C
    .language_version:
      - 2
      - 0
    .max_flat_workgroup_size: 256
    .name:           _ZN7rocprim17ROCPRIM_400000_NS6detail17trampoline_kernelINS0_14default_configENS1_27scan_by_key_config_selectorIiiEEZZNS1_16scan_by_key_implILNS1_25lookback_scan_determinismE0ELb1ES3_N6thrust23THRUST_200600_302600_NS6detail15normal_iteratorINS9_10device_ptrIiEEEESE_SE_iNS9_4plusIvEENS9_8equal_toIvEEiEE10hipError_tPvRmT2_T3_T4_T5_mT6_T7_P12ihipStream_tbENKUlT_T0_E_clISt17integral_constantIbLb0EESY_IbLb1EEEEDaSU_SV_EUlSU_E_NS1_11comp_targetILNS1_3genE8ELNS1_11target_archE1030ELNS1_3gpuE2ELNS1_3repE0EEENS1_30default_config_static_selectorELNS0_4arch9wavefront6targetE0EEEvT1_
    .private_segment_fixed_size: 0
    .sgpr_count:     0
    .sgpr_spill_count: 0
    .symbol:         _ZN7rocprim17ROCPRIM_400000_NS6detail17trampoline_kernelINS0_14default_configENS1_27scan_by_key_config_selectorIiiEEZZNS1_16scan_by_key_implILNS1_25lookback_scan_determinismE0ELb1ES3_N6thrust23THRUST_200600_302600_NS6detail15normal_iteratorINS9_10device_ptrIiEEEESE_SE_iNS9_4plusIvEENS9_8equal_toIvEEiEE10hipError_tPvRmT2_T3_T4_T5_mT6_T7_P12ihipStream_tbENKUlT_T0_E_clISt17integral_constantIbLb0EESY_IbLb1EEEEDaSU_SV_EUlSU_E_NS1_11comp_targetILNS1_3genE8ELNS1_11target_archE1030ELNS1_3gpuE2ELNS1_3repE0EEENS1_30default_config_static_selectorELNS0_4arch9wavefront6targetE0EEEvT1_.kd
    .uniform_work_group_size: 1
    .uses_dynamic_stack: false
    .vgpr_count:     0
    .vgpr_spill_count: 0
    .wavefront_size: 32
  - .args:
      - .offset:         0
        .size:           112
        .value_kind:     by_value
    .group_segment_fixed_size: 14336
    .kernarg_segment_align: 8
    .kernarg_segment_size: 112
    .language:       OpenCL C
    .language_version:
      - 2
      - 0
    .max_flat_workgroup_size: 256
    .name:           _ZN7rocprim17ROCPRIM_400000_NS6detail17trampoline_kernelINS0_14default_configENS1_27scan_by_key_config_selectorIiiEEZZNS1_16scan_by_key_implILNS1_25lookback_scan_determinismE0ELb1ES3_N6thrust23THRUST_200600_302600_NS6detail15normal_iteratorINS9_10device_ptrIiEEEESE_SE_iNS9_10multipliesIiEENS9_8equal_toIiEEiEE10hipError_tPvRmT2_T3_T4_T5_mT6_T7_P12ihipStream_tbENKUlT_T0_E_clISt17integral_constantIbLb0EESZ_EEDaSU_SV_EUlSU_E_NS1_11comp_targetILNS1_3genE0ELNS1_11target_archE4294967295ELNS1_3gpuE0ELNS1_3repE0EEENS1_30default_config_static_selectorELNS0_4arch9wavefront6targetE0EEEvT1_
    .private_segment_fixed_size: 0
    .sgpr_count:     39
    .sgpr_spill_count: 0
    .symbol:         _ZN7rocprim17ROCPRIM_400000_NS6detail17trampoline_kernelINS0_14default_configENS1_27scan_by_key_config_selectorIiiEEZZNS1_16scan_by_key_implILNS1_25lookback_scan_determinismE0ELb1ES3_N6thrust23THRUST_200600_302600_NS6detail15normal_iteratorINS9_10device_ptrIiEEEESE_SE_iNS9_10multipliesIiEENS9_8equal_toIiEEiEE10hipError_tPvRmT2_T3_T4_T5_mT6_T7_P12ihipStream_tbENKUlT_T0_E_clISt17integral_constantIbLb0EESZ_EEDaSU_SV_EUlSU_E_NS1_11comp_targetILNS1_3genE0ELNS1_11target_archE4294967295ELNS1_3gpuE0ELNS1_3repE0EEENS1_30default_config_static_selectorELNS0_4arch9wavefront6targetE0EEEvT1_.kd
    .uniform_work_group_size: 1
    .uses_dynamic_stack: false
    .vgpr_count:     62
    .vgpr_spill_count: 0
    .wavefront_size: 32
  - .args:
      - .offset:         0
        .size:           112
        .value_kind:     by_value
    .group_segment_fixed_size: 0
    .kernarg_segment_align: 8
    .kernarg_segment_size: 112
    .language:       OpenCL C
    .language_version:
      - 2
      - 0
    .max_flat_workgroup_size: 256
    .name:           _ZN7rocprim17ROCPRIM_400000_NS6detail17trampoline_kernelINS0_14default_configENS1_27scan_by_key_config_selectorIiiEEZZNS1_16scan_by_key_implILNS1_25lookback_scan_determinismE0ELb1ES3_N6thrust23THRUST_200600_302600_NS6detail15normal_iteratorINS9_10device_ptrIiEEEESE_SE_iNS9_10multipliesIiEENS9_8equal_toIiEEiEE10hipError_tPvRmT2_T3_T4_T5_mT6_T7_P12ihipStream_tbENKUlT_T0_E_clISt17integral_constantIbLb0EESZ_EEDaSU_SV_EUlSU_E_NS1_11comp_targetILNS1_3genE10ELNS1_11target_archE1201ELNS1_3gpuE5ELNS1_3repE0EEENS1_30default_config_static_selectorELNS0_4arch9wavefront6targetE0EEEvT1_
    .private_segment_fixed_size: 0
    .sgpr_count:     0
    .sgpr_spill_count: 0
    .symbol:         _ZN7rocprim17ROCPRIM_400000_NS6detail17trampoline_kernelINS0_14default_configENS1_27scan_by_key_config_selectorIiiEEZZNS1_16scan_by_key_implILNS1_25lookback_scan_determinismE0ELb1ES3_N6thrust23THRUST_200600_302600_NS6detail15normal_iteratorINS9_10device_ptrIiEEEESE_SE_iNS9_10multipliesIiEENS9_8equal_toIiEEiEE10hipError_tPvRmT2_T3_T4_T5_mT6_T7_P12ihipStream_tbENKUlT_T0_E_clISt17integral_constantIbLb0EESZ_EEDaSU_SV_EUlSU_E_NS1_11comp_targetILNS1_3genE10ELNS1_11target_archE1201ELNS1_3gpuE5ELNS1_3repE0EEENS1_30default_config_static_selectorELNS0_4arch9wavefront6targetE0EEEvT1_.kd
    .uniform_work_group_size: 1
    .uses_dynamic_stack: false
    .vgpr_count:     0
    .vgpr_spill_count: 0
    .wavefront_size: 32
  - .args:
      - .offset:         0
        .size:           112
        .value_kind:     by_value
    .group_segment_fixed_size: 0
    .kernarg_segment_align: 8
    .kernarg_segment_size: 112
    .language:       OpenCL C
    .language_version:
      - 2
      - 0
    .max_flat_workgroup_size: 256
    .name:           _ZN7rocprim17ROCPRIM_400000_NS6detail17trampoline_kernelINS0_14default_configENS1_27scan_by_key_config_selectorIiiEEZZNS1_16scan_by_key_implILNS1_25lookback_scan_determinismE0ELb1ES3_N6thrust23THRUST_200600_302600_NS6detail15normal_iteratorINS9_10device_ptrIiEEEESE_SE_iNS9_10multipliesIiEENS9_8equal_toIiEEiEE10hipError_tPvRmT2_T3_T4_T5_mT6_T7_P12ihipStream_tbENKUlT_T0_E_clISt17integral_constantIbLb0EESZ_EEDaSU_SV_EUlSU_E_NS1_11comp_targetILNS1_3genE5ELNS1_11target_archE942ELNS1_3gpuE9ELNS1_3repE0EEENS1_30default_config_static_selectorELNS0_4arch9wavefront6targetE0EEEvT1_
    .private_segment_fixed_size: 0
    .sgpr_count:     0
    .sgpr_spill_count: 0
    .symbol:         _ZN7rocprim17ROCPRIM_400000_NS6detail17trampoline_kernelINS0_14default_configENS1_27scan_by_key_config_selectorIiiEEZZNS1_16scan_by_key_implILNS1_25lookback_scan_determinismE0ELb1ES3_N6thrust23THRUST_200600_302600_NS6detail15normal_iteratorINS9_10device_ptrIiEEEESE_SE_iNS9_10multipliesIiEENS9_8equal_toIiEEiEE10hipError_tPvRmT2_T3_T4_T5_mT6_T7_P12ihipStream_tbENKUlT_T0_E_clISt17integral_constantIbLb0EESZ_EEDaSU_SV_EUlSU_E_NS1_11comp_targetILNS1_3genE5ELNS1_11target_archE942ELNS1_3gpuE9ELNS1_3repE0EEENS1_30default_config_static_selectorELNS0_4arch9wavefront6targetE0EEEvT1_.kd
    .uniform_work_group_size: 1
    .uses_dynamic_stack: false
    .vgpr_count:     0
    .vgpr_spill_count: 0
    .wavefront_size: 32
  - .args:
      - .offset:         0
        .size:           112
        .value_kind:     by_value
    .group_segment_fixed_size: 0
    .kernarg_segment_align: 8
    .kernarg_segment_size: 112
    .language:       OpenCL C
    .language_version:
      - 2
      - 0
    .max_flat_workgroup_size: 256
    .name:           _ZN7rocprim17ROCPRIM_400000_NS6detail17trampoline_kernelINS0_14default_configENS1_27scan_by_key_config_selectorIiiEEZZNS1_16scan_by_key_implILNS1_25lookback_scan_determinismE0ELb1ES3_N6thrust23THRUST_200600_302600_NS6detail15normal_iteratorINS9_10device_ptrIiEEEESE_SE_iNS9_10multipliesIiEENS9_8equal_toIiEEiEE10hipError_tPvRmT2_T3_T4_T5_mT6_T7_P12ihipStream_tbENKUlT_T0_E_clISt17integral_constantIbLb0EESZ_EEDaSU_SV_EUlSU_E_NS1_11comp_targetILNS1_3genE4ELNS1_11target_archE910ELNS1_3gpuE8ELNS1_3repE0EEENS1_30default_config_static_selectorELNS0_4arch9wavefront6targetE0EEEvT1_
    .private_segment_fixed_size: 0
    .sgpr_count:     0
    .sgpr_spill_count: 0
    .symbol:         _ZN7rocprim17ROCPRIM_400000_NS6detail17trampoline_kernelINS0_14default_configENS1_27scan_by_key_config_selectorIiiEEZZNS1_16scan_by_key_implILNS1_25lookback_scan_determinismE0ELb1ES3_N6thrust23THRUST_200600_302600_NS6detail15normal_iteratorINS9_10device_ptrIiEEEESE_SE_iNS9_10multipliesIiEENS9_8equal_toIiEEiEE10hipError_tPvRmT2_T3_T4_T5_mT6_T7_P12ihipStream_tbENKUlT_T0_E_clISt17integral_constantIbLb0EESZ_EEDaSU_SV_EUlSU_E_NS1_11comp_targetILNS1_3genE4ELNS1_11target_archE910ELNS1_3gpuE8ELNS1_3repE0EEENS1_30default_config_static_selectorELNS0_4arch9wavefront6targetE0EEEvT1_.kd
    .uniform_work_group_size: 1
    .uses_dynamic_stack: false
    .vgpr_count:     0
    .vgpr_spill_count: 0
    .wavefront_size: 32
  - .args:
      - .offset:         0
        .size:           112
        .value_kind:     by_value
    .group_segment_fixed_size: 0
    .kernarg_segment_align: 8
    .kernarg_segment_size: 112
    .language:       OpenCL C
    .language_version:
      - 2
      - 0
    .max_flat_workgroup_size: 256
    .name:           _ZN7rocprim17ROCPRIM_400000_NS6detail17trampoline_kernelINS0_14default_configENS1_27scan_by_key_config_selectorIiiEEZZNS1_16scan_by_key_implILNS1_25lookback_scan_determinismE0ELb1ES3_N6thrust23THRUST_200600_302600_NS6detail15normal_iteratorINS9_10device_ptrIiEEEESE_SE_iNS9_10multipliesIiEENS9_8equal_toIiEEiEE10hipError_tPvRmT2_T3_T4_T5_mT6_T7_P12ihipStream_tbENKUlT_T0_E_clISt17integral_constantIbLb0EESZ_EEDaSU_SV_EUlSU_E_NS1_11comp_targetILNS1_3genE3ELNS1_11target_archE908ELNS1_3gpuE7ELNS1_3repE0EEENS1_30default_config_static_selectorELNS0_4arch9wavefront6targetE0EEEvT1_
    .private_segment_fixed_size: 0
    .sgpr_count:     0
    .sgpr_spill_count: 0
    .symbol:         _ZN7rocprim17ROCPRIM_400000_NS6detail17trampoline_kernelINS0_14default_configENS1_27scan_by_key_config_selectorIiiEEZZNS1_16scan_by_key_implILNS1_25lookback_scan_determinismE0ELb1ES3_N6thrust23THRUST_200600_302600_NS6detail15normal_iteratorINS9_10device_ptrIiEEEESE_SE_iNS9_10multipliesIiEENS9_8equal_toIiEEiEE10hipError_tPvRmT2_T3_T4_T5_mT6_T7_P12ihipStream_tbENKUlT_T0_E_clISt17integral_constantIbLb0EESZ_EEDaSU_SV_EUlSU_E_NS1_11comp_targetILNS1_3genE3ELNS1_11target_archE908ELNS1_3gpuE7ELNS1_3repE0EEENS1_30default_config_static_selectorELNS0_4arch9wavefront6targetE0EEEvT1_.kd
    .uniform_work_group_size: 1
    .uses_dynamic_stack: false
    .vgpr_count:     0
    .vgpr_spill_count: 0
    .wavefront_size: 32
  - .args:
      - .offset:         0
        .size:           112
        .value_kind:     by_value
    .group_segment_fixed_size: 0
    .kernarg_segment_align: 8
    .kernarg_segment_size: 112
    .language:       OpenCL C
    .language_version:
      - 2
      - 0
    .max_flat_workgroup_size: 256
    .name:           _ZN7rocprim17ROCPRIM_400000_NS6detail17trampoline_kernelINS0_14default_configENS1_27scan_by_key_config_selectorIiiEEZZNS1_16scan_by_key_implILNS1_25lookback_scan_determinismE0ELb1ES3_N6thrust23THRUST_200600_302600_NS6detail15normal_iteratorINS9_10device_ptrIiEEEESE_SE_iNS9_10multipliesIiEENS9_8equal_toIiEEiEE10hipError_tPvRmT2_T3_T4_T5_mT6_T7_P12ihipStream_tbENKUlT_T0_E_clISt17integral_constantIbLb0EESZ_EEDaSU_SV_EUlSU_E_NS1_11comp_targetILNS1_3genE2ELNS1_11target_archE906ELNS1_3gpuE6ELNS1_3repE0EEENS1_30default_config_static_selectorELNS0_4arch9wavefront6targetE0EEEvT1_
    .private_segment_fixed_size: 0
    .sgpr_count:     0
    .sgpr_spill_count: 0
    .symbol:         _ZN7rocprim17ROCPRIM_400000_NS6detail17trampoline_kernelINS0_14default_configENS1_27scan_by_key_config_selectorIiiEEZZNS1_16scan_by_key_implILNS1_25lookback_scan_determinismE0ELb1ES3_N6thrust23THRUST_200600_302600_NS6detail15normal_iteratorINS9_10device_ptrIiEEEESE_SE_iNS9_10multipliesIiEENS9_8equal_toIiEEiEE10hipError_tPvRmT2_T3_T4_T5_mT6_T7_P12ihipStream_tbENKUlT_T0_E_clISt17integral_constantIbLb0EESZ_EEDaSU_SV_EUlSU_E_NS1_11comp_targetILNS1_3genE2ELNS1_11target_archE906ELNS1_3gpuE6ELNS1_3repE0EEENS1_30default_config_static_selectorELNS0_4arch9wavefront6targetE0EEEvT1_.kd
    .uniform_work_group_size: 1
    .uses_dynamic_stack: false
    .vgpr_count:     0
    .vgpr_spill_count: 0
    .wavefront_size: 32
  - .args:
      - .offset:         0
        .size:           112
        .value_kind:     by_value
    .group_segment_fixed_size: 0
    .kernarg_segment_align: 8
    .kernarg_segment_size: 112
    .language:       OpenCL C
    .language_version:
      - 2
      - 0
    .max_flat_workgroup_size: 256
    .name:           _ZN7rocprim17ROCPRIM_400000_NS6detail17trampoline_kernelINS0_14default_configENS1_27scan_by_key_config_selectorIiiEEZZNS1_16scan_by_key_implILNS1_25lookback_scan_determinismE0ELb1ES3_N6thrust23THRUST_200600_302600_NS6detail15normal_iteratorINS9_10device_ptrIiEEEESE_SE_iNS9_10multipliesIiEENS9_8equal_toIiEEiEE10hipError_tPvRmT2_T3_T4_T5_mT6_T7_P12ihipStream_tbENKUlT_T0_E_clISt17integral_constantIbLb0EESZ_EEDaSU_SV_EUlSU_E_NS1_11comp_targetILNS1_3genE10ELNS1_11target_archE1200ELNS1_3gpuE4ELNS1_3repE0EEENS1_30default_config_static_selectorELNS0_4arch9wavefront6targetE0EEEvT1_
    .private_segment_fixed_size: 0
    .sgpr_count:     0
    .sgpr_spill_count: 0
    .symbol:         _ZN7rocprim17ROCPRIM_400000_NS6detail17trampoline_kernelINS0_14default_configENS1_27scan_by_key_config_selectorIiiEEZZNS1_16scan_by_key_implILNS1_25lookback_scan_determinismE0ELb1ES3_N6thrust23THRUST_200600_302600_NS6detail15normal_iteratorINS9_10device_ptrIiEEEESE_SE_iNS9_10multipliesIiEENS9_8equal_toIiEEiEE10hipError_tPvRmT2_T3_T4_T5_mT6_T7_P12ihipStream_tbENKUlT_T0_E_clISt17integral_constantIbLb0EESZ_EEDaSU_SV_EUlSU_E_NS1_11comp_targetILNS1_3genE10ELNS1_11target_archE1200ELNS1_3gpuE4ELNS1_3repE0EEENS1_30default_config_static_selectorELNS0_4arch9wavefront6targetE0EEEvT1_.kd
    .uniform_work_group_size: 1
    .uses_dynamic_stack: false
    .vgpr_count:     0
    .vgpr_spill_count: 0
    .wavefront_size: 32
  - .args:
      - .offset:         0
        .size:           112
        .value_kind:     by_value
    .group_segment_fixed_size: 0
    .kernarg_segment_align: 8
    .kernarg_segment_size: 112
    .language:       OpenCL C
    .language_version:
      - 2
      - 0
    .max_flat_workgroup_size: 256
    .name:           _ZN7rocprim17ROCPRIM_400000_NS6detail17trampoline_kernelINS0_14default_configENS1_27scan_by_key_config_selectorIiiEEZZNS1_16scan_by_key_implILNS1_25lookback_scan_determinismE0ELb1ES3_N6thrust23THRUST_200600_302600_NS6detail15normal_iteratorINS9_10device_ptrIiEEEESE_SE_iNS9_10multipliesIiEENS9_8equal_toIiEEiEE10hipError_tPvRmT2_T3_T4_T5_mT6_T7_P12ihipStream_tbENKUlT_T0_E_clISt17integral_constantIbLb0EESZ_EEDaSU_SV_EUlSU_E_NS1_11comp_targetILNS1_3genE9ELNS1_11target_archE1100ELNS1_3gpuE3ELNS1_3repE0EEENS1_30default_config_static_selectorELNS0_4arch9wavefront6targetE0EEEvT1_
    .private_segment_fixed_size: 0
    .sgpr_count:     0
    .sgpr_spill_count: 0
    .symbol:         _ZN7rocprim17ROCPRIM_400000_NS6detail17trampoline_kernelINS0_14default_configENS1_27scan_by_key_config_selectorIiiEEZZNS1_16scan_by_key_implILNS1_25lookback_scan_determinismE0ELb1ES3_N6thrust23THRUST_200600_302600_NS6detail15normal_iteratorINS9_10device_ptrIiEEEESE_SE_iNS9_10multipliesIiEENS9_8equal_toIiEEiEE10hipError_tPvRmT2_T3_T4_T5_mT6_T7_P12ihipStream_tbENKUlT_T0_E_clISt17integral_constantIbLb0EESZ_EEDaSU_SV_EUlSU_E_NS1_11comp_targetILNS1_3genE9ELNS1_11target_archE1100ELNS1_3gpuE3ELNS1_3repE0EEENS1_30default_config_static_selectorELNS0_4arch9wavefront6targetE0EEEvT1_.kd
    .uniform_work_group_size: 1
    .uses_dynamic_stack: false
    .vgpr_count:     0
    .vgpr_spill_count: 0
    .wavefront_size: 32
  - .args:
      - .offset:         0
        .size:           112
        .value_kind:     by_value
    .group_segment_fixed_size: 0
    .kernarg_segment_align: 8
    .kernarg_segment_size: 112
    .language:       OpenCL C
    .language_version:
      - 2
      - 0
    .max_flat_workgroup_size: 256
    .name:           _ZN7rocprim17ROCPRIM_400000_NS6detail17trampoline_kernelINS0_14default_configENS1_27scan_by_key_config_selectorIiiEEZZNS1_16scan_by_key_implILNS1_25lookback_scan_determinismE0ELb1ES3_N6thrust23THRUST_200600_302600_NS6detail15normal_iteratorINS9_10device_ptrIiEEEESE_SE_iNS9_10multipliesIiEENS9_8equal_toIiEEiEE10hipError_tPvRmT2_T3_T4_T5_mT6_T7_P12ihipStream_tbENKUlT_T0_E_clISt17integral_constantIbLb0EESZ_EEDaSU_SV_EUlSU_E_NS1_11comp_targetILNS1_3genE8ELNS1_11target_archE1030ELNS1_3gpuE2ELNS1_3repE0EEENS1_30default_config_static_selectorELNS0_4arch9wavefront6targetE0EEEvT1_
    .private_segment_fixed_size: 0
    .sgpr_count:     0
    .sgpr_spill_count: 0
    .symbol:         _ZN7rocprim17ROCPRIM_400000_NS6detail17trampoline_kernelINS0_14default_configENS1_27scan_by_key_config_selectorIiiEEZZNS1_16scan_by_key_implILNS1_25lookback_scan_determinismE0ELb1ES3_N6thrust23THRUST_200600_302600_NS6detail15normal_iteratorINS9_10device_ptrIiEEEESE_SE_iNS9_10multipliesIiEENS9_8equal_toIiEEiEE10hipError_tPvRmT2_T3_T4_T5_mT6_T7_P12ihipStream_tbENKUlT_T0_E_clISt17integral_constantIbLb0EESZ_EEDaSU_SV_EUlSU_E_NS1_11comp_targetILNS1_3genE8ELNS1_11target_archE1030ELNS1_3gpuE2ELNS1_3repE0EEENS1_30default_config_static_selectorELNS0_4arch9wavefront6targetE0EEEvT1_.kd
    .uniform_work_group_size: 1
    .uses_dynamic_stack: false
    .vgpr_count:     0
    .vgpr_spill_count: 0
    .wavefront_size: 32
  - .args:
      - .offset:         0
        .size:           112
        .value_kind:     by_value
    .group_segment_fixed_size: 0
    .kernarg_segment_align: 8
    .kernarg_segment_size: 112
    .language:       OpenCL C
    .language_version:
      - 2
      - 0
    .max_flat_workgroup_size: 256
    .name:           _ZN7rocprim17ROCPRIM_400000_NS6detail17trampoline_kernelINS0_14default_configENS1_27scan_by_key_config_selectorIiiEEZZNS1_16scan_by_key_implILNS1_25lookback_scan_determinismE0ELb1ES3_N6thrust23THRUST_200600_302600_NS6detail15normal_iteratorINS9_10device_ptrIiEEEESE_SE_iNS9_10multipliesIiEENS9_8equal_toIiEEiEE10hipError_tPvRmT2_T3_T4_T5_mT6_T7_P12ihipStream_tbENKUlT_T0_E_clISt17integral_constantIbLb1EESZ_EEDaSU_SV_EUlSU_E_NS1_11comp_targetILNS1_3genE0ELNS1_11target_archE4294967295ELNS1_3gpuE0ELNS1_3repE0EEENS1_30default_config_static_selectorELNS0_4arch9wavefront6targetE0EEEvT1_
    .private_segment_fixed_size: 0
    .sgpr_count:     0
    .sgpr_spill_count: 0
    .symbol:         _ZN7rocprim17ROCPRIM_400000_NS6detail17trampoline_kernelINS0_14default_configENS1_27scan_by_key_config_selectorIiiEEZZNS1_16scan_by_key_implILNS1_25lookback_scan_determinismE0ELb1ES3_N6thrust23THRUST_200600_302600_NS6detail15normal_iteratorINS9_10device_ptrIiEEEESE_SE_iNS9_10multipliesIiEENS9_8equal_toIiEEiEE10hipError_tPvRmT2_T3_T4_T5_mT6_T7_P12ihipStream_tbENKUlT_T0_E_clISt17integral_constantIbLb1EESZ_EEDaSU_SV_EUlSU_E_NS1_11comp_targetILNS1_3genE0ELNS1_11target_archE4294967295ELNS1_3gpuE0ELNS1_3repE0EEENS1_30default_config_static_selectorELNS0_4arch9wavefront6targetE0EEEvT1_.kd
    .uniform_work_group_size: 1
    .uses_dynamic_stack: false
    .vgpr_count:     0
    .vgpr_spill_count: 0
    .wavefront_size: 32
  - .args:
      - .offset:         0
        .size:           112
        .value_kind:     by_value
    .group_segment_fixed_size: 0
    .kernarg_segment_align: 8
    .kernarg_segment_size: 112
    .language:       OpenCL C
    .language_version:
      - 2
      - 0
    .max_flat_workgroup_size: 256
    .name:           _ZN7rocprim17ROCPRIM_400000_NS6detail17trampoline_kernelINS0_14default_configENS1_27scan_by_key_config_selectorIiiEEZZNS1_16scan_by_key_implILNS1_25lookback_scan_determinismE0ELb1ES3_N6thrust23THRUST_200600_302600_NS6detail15normal_iteratorINS9_10device_ptrIiEEEESE_SE_iNS9_10multipliesIiEENS9_8equal_toIiEEiEE10hipError_tPvRmT2_T3_T4_T5_mT6_T7_P12ihipStream_tbENKUlT_T0_E_clISt17integral_constantIbLb1EESZ_EEDaSU_SV_EUlSU_E_NS1_11comp_targetILNS1_3genE10ELNS1_11target_archE1201ELNS1_3gpuE5ELNS1_3repE0EEENS1_30default_config_static_selectorELNS0_4arch9wavefront6targetE0EEEvT1_
    .private_segment_fixed_size: 0
    .sgpr_count:     0
    .sgpr_spill_count: 0
    .symbol:         _ZN7rocprim17ROCPRIM_400000_NS6detail17trampoline_kernelINS0_14default_configENS1_27scan_by_key_config_selectorIiiEEZZNS1_16scan_by_key_implILNS1_25lookback_scan_determinismE0ELb1ES3_N6thrust23THRUST_200600_302600_NS6detail15normal_iteratorINS9_10device_ptrIiEEEESE_SE_iNS9_10multipliesIiEENS9_8equal_toIiEEiEE10hipError_tPvRmT2_T3_T4_T5_mT6_T7_P12ihipStream_tbENKUlT_T0_E_clISt17integral_constantIbLb1EESZ_EEDaSU_SV_EUlSU_E_NS1_11comp_targetILNS1_3genE10ELNS1_11target_archE1201ELNS1_3gpuE5ELNS1_3repE0EEENS1_30default_config_static_selectorELNS0_4arch9wavefront6targetE0EEEvT1_.kd
    .uniform_work_group_size: 1
    .uses_dynamic_stack: false
    .vgpr_count:     0
    .vgpr_spill_count: 0
    .wavefront_size: 32
  - .args:
      - .offset:         0
        .size:           112
        .value_kind:     by_value
    .group_segment_fixed_size: 0
    .kernarg_segment_align: 8
    .kernarg_segment_size: 112
    .language:       OpenCL C
    .language_version:
      - 2
      - 0
    .max_flat_workgroup_size: 256
    .name:           _ZN7rocprim17ROCPRIM_400000_NS6detail17trampoline_kernelINS0_14default_configENS1_27scan_by_key_config_selectorIiiEEZZNS1_16scan_by_key_implILNS1_25lookback_scan_determinismE0ELb1ES3_N6thrust23THRUST_200600_302600_NS6detail15normal_iteratorINS9_10device_ptrIiEEEESE_SE_iNS9_10multipliesIiEENS9_8equal_toIiEEiEE10hipError_tPvRmT2_T3_T4_T5_mT6_T7_P12ihipStream_tbENKUlT_T0_E_clISt17integral_constantIbLb1EESZ_EEDaSU_SV_EUlSU_E_NS1_11comp_targetILNS1_3genE5ELNS1_11target_archE942ELNS1_3gpuE9ELNS1_3repE0EEENS1_30default_config_static_selectorELNS0_4arch9wavefront6targetE0EEEvT1_
    .private_segment_fixed_size: 0
    .sgpr_count:     0
    .sgpr_spill_count: 0
    .symbol:         _ZN7rocprim17ROCPRIM_400000_NS6detail17trampoline_kernelINS0_14default_configENS1_27scan_by_key_config_selectorIiiEEZZNS1_16scan_by_key_implILNS1_25lookback_scan_determinismE0ELb1ES3_N6thrust23THRUST_200600_302600_NS6detail15normal_iteratorINS9_10device_ptrIiEEEESE_SE_iNS9_10multipliesIiEENS9_8equal_toIiEEiEE10hipError_tPvRmT2_T3_T4_T5_mT6_T7_P12ihipStream_tbENKUlT_T0_E_clISt17integral_constantIbLb1EESZ_EEDaSU_SV_EUlSU_E_NS1_11comp_targetILNS1_3genE5ELNS1_11target_archE942ELNS1_3gpuE9ELNS1_3repE0EEENS1_30default_config_static_selectorELNS0_4arch9wavefront6targetE0EEEvT1_.kd
    .uniform_work_group_size: 1
    .uses_dynamic_stack: false
    .vgpr_count:     0
    .vgpr_spill_count: 0
    .wavefront_size: 32
  - .args:
      - .offset:         0
        .size:           112
        .value_kind:     by_value
    .group_segment_fixed_size: 0
    .kernarg_segment_align: 8
    .kernarg_segment_size: 112
    .language:       OpenCL C
    .language_version:
      - 2
      - 0
    .max_flat_workgroup_size: 256
    .name:           _ZN7rocprim17ROCPRIM_400000_NS6detail17trampoline_kernelINS0_14default_configENS1_27scan_by_key_config_selectorIiiEEZZNS1_16scan_by_key_implILNS1_25lookback_scan_determinismE0ELb1ES3_N6thrust23THRUST_200600_302600_NS6detail15normal_iteratorINS9_10device_ptrIiEEEESE_SE_iNS9_10multipliesIiEENS9_8equal_toIiEEiEE10hipError_tPvRmT2_T3_T4_T5_mT6_T7_P12ihipStream_tbENKUlT_T0_E_clISt17integral_constantIbLb1EESZ_EEDaSU_SV_EUlSU_E_NS1_11comp_targetILNS1_3genE4ELNS1_11target_archE910ELNS1_3gpuE8ELNS1_3repE0EEENS1_30default_config_static_selectorELNS0_4arch9wavefront6targetE0EEEvT1_
    .private_segment_fixed_size: 0
    .sgpr_count:     0
    .sgpr_spill_count: 0
    .symbol:         _ZN7rocprim17ROCPRIM_400000_NS6detail17trampoline_kernelINS0_14default_configENS1_27scan_by_key_config_selectorIiiEEZZNS1_16scan_by_key_implILNS1_25lookback_scan_determinismE0ELb1ES3_N6thrust23THRUST_200600_302600_NS6detail15normal_iteratorINS9_10device_ptrIiEEEESE_SE_iNS9_10multipliesIiEENS9_8equal_toIiEEiEE10hipError_tPvRmT2_T3_T4_T5_mT6_T7_P12ihipStream_tbENKUlT_T0_E_clISt17integral_constantIbLb1EESZ_EEDaSU_SV_EUlSU_E_NS1_11comp_targetILNS1_3genE4ELNS1_11target_archE910ELNS1_3gpuE8ELNS1_3repE0EEENS1_30default_config_static_selectorELNS0_4arch9wavefront6targetE0EEEvT1_.kd
    .uniform_work_group_size: 1
    .uses_dynamic_stack: false
    .vgpr_count:     0
    .vgpr_spill_count: 0
    .wavefront_size: 32
  - .args:
      - .offset:         0
        .size:           112
        .value_kind:     by_value
    .group_segment_fixed_size: 0
    .kernarg_segment_align: 8
    .kernarg_segment_size: 112
    .language:       OpenCL C
    .language_version:
      - 2
      - 0
    .max_flat_workgroup_size: 256
    .name:           _ZN7rocprim17ROCPRIM_400000_NS6detail17trampoline_kernelINS0_14default_configENS1_27scan_by_key_config_selectorIiiEEZZNS1_16scan_by_key_implILNS1_25lookback_scan_determinismE0ELb1ES3_N6thrust23THRUST_200600_302600_NS6detail15normal_iteratorINS9_10device_ptrIiEEEESE_SE_iNS9_10multipliesIiEENS9_8equal_toIiEEiEE10hipError_tPvRmT2_T3_T4_T5_mT6_T7_P12ihipStream_tbENKUlT_T0_E_clISt17integral_constantIbLb1EESZ_EEDaSU_SV_EUlSU_E_NS1_11comp_targetILNS1_3genE3ELNS1_11target_archE908ELNS1_3gpuE7ELNS1_3repE0EEENS1_30default_config_static_selectorELNS0_4arch9wavefront6targetE0EEEvT1_
    .private_segment_fixed_size: 0
    .sgpr_count:     0
    .sgpr_spill_count: 0
    .symbol:         _ZN7rocprim17ROCPRIM_400000_NS6detail17trampoline_kernelINS0_14default_configENS1_27scan_by_key_config_selectorIiiEEZZNS1_16scan_by_key_implILNS1_25lookback_scan_determinismE0ELb1ES3_N6thrust23THRUST_200600_302600_NS6detail15normal_iteratorINS9_10device_ptrIiEEEESE_SE_iNS9_10multipliesIiEENS9_8equal_toIiEEiEE10hipError_tPvRmT2_T3_T4_T5_mT6_T7_P12ihipStream_tbENKUlT_T0_E_clISt17integral_constantIbLb1EESZ_EEDaSU_SV_EUlSU_E_NS1_11comp_targetILNS1_3genE3ELNS1_11target_archE908ELNS1_3gpuE7ELNS1_3repE0EEENS1_30default_config_static_selectorELNS0_4arch9wavefront6targetE0EEEvT1_.kd
    .uniform_work_group_size: 1
    .uses_dynamic_stack: false
    .vgpr_count:     0
    .vgpr_spill_count: 0
    .wavefront_size: 32
  - .args:
      - .offset:         0
        .size:           112
        .value_kind:     by_value
    .group_segment_fixed_size: 0
    .kernarg_segment_align: 8
    .kernarg_segment_size: 112
    .language:       OpenCL C
    .language_version:
      - 2
      - 0
    .max_flat_workgroup_size: 256
    .name:           _ZN7rocprim17ROCPRIM_400000_NS6detail17trampoline_kernelINS0_14default_configENS1_27scan_by_key_config_selectorIiiEEZZNS1_16scan_by_key_implILNS1_25lookback_scan_determinismE0ELb1ES3_N6thrust23THRUST_200600_302600_NS6detail15normal_iteratorINS9_10device_ptrIiEEEESE_SE_iNS9_10multipliesIiEENS9_8equal_toIiEEiEE10hipError_tPvRmT2_T3_T4_T5_mT6_T7_P12ihipStream_tbENKUlT_T0_E_clISt17integral_constantIbLb1EESZ_EEDaSU_SV_EUlSU_E_NS1_11comp_targetILNS1_3genE2ELNS1_11target_archE906ELNS1_3gpuE6ELNS1_3repE0EEENS1_30default_config_static_selectorELNS0_4arch9wavefront6targetE0EEEvT1_
    .private_segment_fixed_size: 0
    .sgpr_count:     0
    .sgpr_spill_count: 0
    .symbol:         _ZN7rocprim17ROCPRIM_400000_NS6detail17trampoline_kernelINS0_14default_configENS1_27scan_by_key_config_selectorIiiEEZZNS1_16scan_by_key_implILNS1_25lookback_scan_determinismE0ELb1ES3_N6thrust23THRUST_200600_302600_NS6detail15normal_iteratorINS9_10device_ptrIiEEEESE_SE_iNS9_10multipliesIiEENS9_8equal_toIiEEiEE10hipError_tPvRmT2_T3_T4_T5_mT6_T7_P12ihipStream_tbENKUlT_T0_E_clISt17integral_constantIbLb1EESZ_EEDaSU_SV_EUlSU_E_NS1_11comp_targetILNS1_3genE2ELNS1_11target_archE906ELNS1_3gpuE6ELNS1_3repE0EEENS1_30default_config_static_selectorELNS0_4arch9wavefront6targetE0EEEvT1_.kd
    .uniform_work_group_size: 1
    .uses_dynamic_stack: false
    .vgpr_count:     0
    .vgpr_spill_count: 0
    .wavefront_size: 32
  - .args:
      - .offset:         0
        .size:           112
        .value_kind:     by_value
    .group_segment_fixed_size: 0
    .kernarg_segment_align: 8
    .kernarg_segment_size: 112
    .language:       OpenCL C
    .language_version:
      - 2
      - 0
    .max_flat_workgroup_size: 256
    .name:           _ZN7rocprim17ROCPRIM_400000_NS6detail17trampoline_kernelINS0_14default_configENS1_27scan_by_key_config_selectorIiiEEZZNS1_16scan_by_key_implILNS1_25lookback_scan_determinismE0ELb1ES3_N6thrust23THRUST_200600_302600_NS6detail15normal_iteratorINS9_10device_ptrIiEEEESE_SE_iNS9_10multipliesIiEENS9_8equal_toIiEEiEE10hipError_tPvRmT2_T3_T4_T5_mT6_T7_P12ihipStream_tbENKUlT_T0_E_clISt17integral_constantIbLb1EESZ_EEDaSU_SV_EUlSU_E_NS1_11comp_targetILNS1_3genE10ELNS1_11target_archE1200ELNS1_3gpuE4ELNS1_3repE0EEENS1_30default_config_static_selectorELNS0_4arch9wavefront6targetE0EEEvT1_
    .private_segment_fixed_size: 0
    .sgpr_count:     0
    .sgpr_spill_count: 0
    .symbol:         _ZN7rocprim17ROCPRIM_400000_NS6detail17trampoline_kernelINS0_14default_configENS1_27scan_by_key_config_selectorIiiEEZZNS1_16scan_by_key_implILNS1_25lookback_scan_determinismE0ELb1ES3_N6thrust23THRUST_200600_302600_NS6detail15normal_iteratorINS9_10device_ptrIiEEEESE_SE_iNS9_10multipliesIiEENS9_8equal_toIiEEiEE10hipError_tPvRmT2_T3_T4_T5_mT6_T7_P12ihipStream_tbENKUlT_T0_E_clISt17integral_constantIbLb1EESZ_EEDaSU_SV_EUlSU_E_NS1_11comp_targetILNS1_3genE10ELNS1_11target_archE1200ELNS1_3gpuE4ELNS1_3repE0EEENS1_30default_config_static_selectorELNS0_4arch9wavefront6targetE0EEEvT1_.kd
    .uniform_work_group_size: 1
    .uses_dynamic_stack: false
    .vgpr_count:     0
    .vgpr_spill_count: 0
    .wavefront_size: 32
  - .args:
      - .offset:         0
        .size:           112
        .value_kind:     by_value
    .group_segment_fixed_size: 0
    .kernarg_segment_align: 8
    .kernarg_segment_size: 112
    .language:       OpenCL C
    .language_version:
      - 2
      - 0
    .max_flat_workgroup_size: 256
    .name:           _ZN7rocprim17ROCPRIM_400000_NS6detail17trampoline_kernelINS0_14default_configENS1_27scan_by_key_config_selectorIiiEEZZNS1_16scan_by_key_implILNS1_25lookback_scan_determinismE0ELb1ES3_N6thrust23THRUST_200600_302600_NS6detail15normal_iteratorINS9_10device_ptrIiEEEESE_SE_iNS9_10multipliesIiEENS9_8equal_toIiEEiEE10hipError_tPvRmT2_T3_T4_T5_mT6_T7_P12ihipStream_tbENKUlT_T0_E_clISt17integral_constantIbLb1EESZ_EEDaSU_SV_EUlSU_E_NS1_11comp_targetILNS1_3genE9ELNS1_11target_archE1100ELNS1_3gpuE3ELNS1_3repE0EEENS1_30default_config_static_selectorELNS0_4arch9wavefront6targetE0EEEvT1_
    .private_segment_fixed_size: 0
    .sgpr_count:     0
    .sgpr_spill_count: 0
    .symbol:         _ZN7rocprim17ROCPRIM_400000_NS6detail17trampoline_kernelINS0_14default_configENS1_27scan_by_key_config_selectorIiiEEZZNS1_16scan_by_key_implILNS1_25lookback_scan_determinismE0ELb1ES3_N6thrust23THRUST_200600_302600_NS6detail15normal_iteratorINS9_10device_ptrIiEEEESE_SE_iNS9_10multipliesIiEENS9_8equal_toIiEEiEE10hipError_tPvRmT2_T3_T4_T5_mT6_T7_P12ihipStream_tbENKUlT_T0_E_clISt17integral_constantIbLb1EESZ_EEDaSU_SV_EUlSU_E_NS1_11comp_targetILNS1_3genE9ELNS1_11target_archE1100ELNS1_3gpuE3ELNS1_3repE0EEENS1_30default_config_static_selectorELNS0_4arch9wavefront6targetE0EEEvT1_.kd
    .uniform_work_group_size: 1
    .uses_dynamic_stack: false
    .vgpr_count:     0
    .vgpr_spill_count: 0
    .wavefront_size: 32
  - .args:
      - .offset:         0
        .size:           112
        .value_kind:     by_value
    .group_segment_fixed_size: 0
    .kernarg_segment_align: 8
    .kernarg_segment_size: 112
    .language:       OpenCL C
    .language_version:
      - 2
      - 0
    .max_flat_workgroup_size: 256
    .name:           _ZN7rocprim17ROCPRIM_400000_NS6detail17trampoline_kernelINS0_14default_configENS1_27scan_by_key_config_selectorIiiEEZZNS1_16scan_by_key_implILNS1_25lookback_scan_determinismE0ELb1ES3_N6thrust23THRUST_200600_302600_NS6detail15normal_iteratorINS9_10device_ptrIiEEEESE_SE_iNS9_10multipliesIiEENS9_8equal_toIiEEiEE10hipError_tPvRmT2_T3_T4_T5_mT6_T7_P12ihipStream_tbENKUlT_T0_E_clISt17integral_constantIbLb1EESZ_EEDaSU_SV_EUlSU_E_NS1_11comp_targetILNS1_3genE8ELNS1_11target_archE1030ELNS1_3gpuE2ELNS1_3repE0EEENS1_30default_config_static_selectorELNS0_4arch9wavefront6targetE0EEEvT1_
    .private_segment_fixed_size: 0
    .sgpr_count:     0
    .sgpr_spill_count: 0
    .symbol:         _ZN7rocprim17ROCPRIM_400000_NS6detail17trampoline_kernelINS0_14default_configENS1_27scan_by_key_config_selectorIiiEEZZNS1_16scan_by_key_implILNS1_25lookback_scan_determinismE0ELb1ES3_N6thrust23THRUST_200600_302600_NS6detail15normal_iteratorINS9_10device_ptrIiEEEESE_SE_iNS9_10multipliesIiEENS9_8equal_toIiEEiEE10hipError_tPvRmT2_T3_T4_T5_mT6_T7_P12ihipStream_tbENKUlT_T0_E_clISt17integral_constantIbLb1EESZ_EEDaSU_SV_EUlSU_E_NS1_11comp_targetILNS1_3genE8ELNS1_11target_archE1030ELNS1_3gpuE2ELNS1_3repE0EEENS1_30default_config_static_selectorELNS0_4arch9wavefront6targetE0EEEvT1_.kd
    .uniform_work_group_size: 1
    .uses_dynamic_stack: false
    .vgpr_count:     0
    .vgpr_spill_count: 0
    .wavefront_size: 32
  - .args:
      - .offset:         0
        .size:           112
        .value_kind:     by_value
    .group_segment_fixed_size: 0
    .kernarg_segment_align: 8
    .kernarg_segment_size: 112
    .language:       OpenCL C
    .language_version:
      - 2
      - 0
    .max_flat_workgroup_size: 256
    .name:           _ZN7rocprim17ROCPRIM_400000_NS6detail17trampoline_kernelINS0_14default_configENS1_27scan_by_key_config_selectorIiiEEZZNS1_16scan_by_key_implILNS1_25lookback_scan_determinismE0ELb1ES3_N6thrust23THRUST_200600_302600_NS6detail15normal_iteratorINS9_10device_ptrIiEEEESE_SE_iNS9_10multipliesIiEENS9_8equal_toIiEEiEE10hipError_tPvRmT2_T3_T4_T5_mT6_T7_P12ihipStream_tbENKUlT_T0_E_clISt17integral_constantIbLb1EESY_IbLb0EEEEDaSU_SV_EUlSU_E_NS1_11comp_targetILNS1_3genE0ELNS1_11target_archE4294967295ELNS1_3gpuE0ELNS1_3repE0EEENS1_30default_config_static_selectorELNS0_4arch9wavefront6targetE0EEEvT1_
    .private_segment_fixed_size: 0
    .sgpr_count:     0
    .sgpr_spill_count: 0
    .symbol:         _ZN7rocprim17ROCPRIM_400000_NS6detail17trampoline_kernelINS0_14default_configENS1_27scan_by_key_config_selectorIiiEEZZNS1_16scan_by_key_implILNS1_25lookback_scan_determinismE0ELb1ES3_N6thrust23THRUST_200600_302600_NS6detail15normal_iteratorINS9_10device_ptrIiEEEESE_SE_iNS9_10multipliesIiEENS9_8equal_toIiEEiEE10hipError_tPvRmT2_T3_T4_T5_mT6_T7_P12ihipStream_tbENKUlT_T0_E_clISt17integral_constantIbLb1EESY_IbLb0EEEEDaSU_SV_EUlSU_E_NS1_11comp_targetILNS1_3genE0ELNS1_11target_archE4294967295ELNS1_3gpuE0ELNS1_3repE0EEENS1_30default_config_static_selectorELNS0_4arch9wavefront6targetE0EEEvT1_.kd
    .uniform_work_group_size: 1
    .uses_dynamic_stack: false
    .vgpr_count:     0
    .vgpr_spill_count: 0
    .wavefront_size: 32
  - .args:
      - .offset:         0
        .size:           112
        .value_kind:     by_value
    .group_segment_fixed_size: 0
    .kernarg_segment_align: 8
    .kernarg_segment_size: 112
    .language:       OpenCL C
    .language_version:
      - 2
      - 0
    .max_flat_workgroup_size: 256
    .name:           _ZN7rocprim17ROCPRIM_400000_NS6detail17trampoline_kernelINS0_14default_configENS1_27scan_by_key_config_selectorIiiEEZZNS1_16scan_by_key_implILNS1_25lookback_scan_determinismE0ELb1ES3_N6thrust23THRUST_200600_302600_NS6detail15normal_iteratorINS9_10device_ptrIiEEEESE_SE_iNS9_10multipliesIiEENS9_8equal_toIiEEiEE10hipError_tPvRmT2_T3_T4_T5_mT6_T7_P12ihipStream_tbENKUlT_T0_E_clISt17integral_constantIbLb1EESY_IbLb0EEEEDaSU_SV_EUlSU_E_NS1_11comp_targetILNS1_3genE10ELNS1_11target_archE1201ELNS1_3gpuE5ELNS1_3repE0EEENS1_30default_config_static_selectorELNS0_4arch9wavefront6targetE0EEEvT1_
    .private_segment_fixed_size: 0
    .sgpr_count:     0
    .sgpr_spill_count: 0
    .symbol:         _ZN7rocprim17ROCPRIM_400000_NS6detail17trampoline_kernelINS0_14default_configENS1_27scan_by_key_config_selectorIiiEEZZNS1_16scan_by_key_implILNS1_25lookback_scan_determinismE0ELb1ES3_N6thrust23THRUST_200600_302600_NS6detail15normal_iteratorINS9_10device_ptrIiEEEESE_SE_iNS9_10multipliesIiEENS9_8equal_toIiEEiEE10hipError_tPvRmT2_T3_T4_T5_mT6_T7_P12ihipStream_tbENKUlT_T0_E_clISt17integral_constantIbLb1EESY_IbLb0EEEEDaSU_SV_EUlSU_E_NS1_11comp_targetILNS1_3genE10ELNS1_11target_archE1201ELNS1_3gpuE5ELNS1_3repE0EEENS1_30default_config_static_selectorELNS0_4arch9wavefront6targetE0EEEvT1_.kd
    .uniform_work_group_size: 1
    .uses_dynamic_stack: false
    .vgpr_count:     0
    .vgpr_spill_count: 0
    .wavefront_size: 32
  - .args:
      - .offset:         0
        .size:           112
        .value_kind:     by_value
    .group_segment_fixed_size: 0
    .kernarg_segment_align: 8
    .kernarg_segment_size: 112
    .language:       OpenCL C
    .language_version:
      - 2
      - 0
    .max_flat_workgroup_size: 256
    .name:           _ZN7rocprim17ROCPRIM_400000_NS6detail17trampoline_kernelINS0_14default_configENS1_27scan_by_key_config_selectorIiiEEZZNS1_16scan_by_key_implILNS1_25lookback_scan_determinismE0ELb1ES3_N6thrust23THRUST_200600_302600_NS6detail15normal_iteratorINS9_10device_ptrIiEEEESE_SE_iNS9_10multipliesIiEENS9_8equal_toIiEEiEE10hipError_tPvRmT2_T3_T4_T5_mT6_T7_P12ihipStream_tbENKUlT_T0_E_clISt17integral_constantIbLb1EESY_IbLb0EEEEDaSU_SV_EUlSU_E_NS1_11comp_targetILNS1_3genE5ELNS1_11target_archE942ELNS1_3gpuE9ELNS1_3repE0EEENS1_30default_config_static_selectorELNS0_4arch9wavefront6targetE0EEEvT1_
    .private_segment_fixed_size: 0
    .sgpr_count:     0
    .sgpr_spill_count: 0
    .symbol:         _ZN7rocprim17ROCPRIM_400000_NS6detail17trampoline_kernelINS0_14default_configENS1_27scan_by_key_config_selectorIiiEEZZNS1_16scan_by_key_implILNS1_25lookback_scan_determinismE0ELb1ES3_N6thrust23THRUST_200600_302600_NS6detail15normal_iteratorINS9_10device_ptrIiEEEESE_SE_iNS9_10multipliesIiEENS9_8equal_toIiEEiEE10hipError_tPvRmT2_T3_T4_T5_mT6_T7_P12ihipStream_tbENKUlT_T0_E_clISt17integral_constantIbLb1EESY_IbLb0EEEEDaSU_SV_EUlSU_E_NS1_11comp_targetILNS1_3genE5ELNS1_11target_archE942ELNS1_3gpuE9ELNS1_3repE0EEENS1_30default_config_static_selectorELNS0_4arch9wavefront6targetE0EEEvT1_.kd
    .uniform_work_group_size: 1
    .uses_dynamic_stack: false
    .vgpr_count:     0
    .vgpr_spill_count: 0
    .wavefront_size: 32
  - .args:
      - .offset:         0
        .size:           112
        .value_kind:     by_value
    .group_segment_fixed_size: 0
    .kernarg_segment_align: 8
    .kernarg_segment_size: 112
    .language:       OpenCL C
    .language_version:
      - 2
      - 0
    .max_flat_workgroup_size: 256
    .name:           _ZN7rocprim17ROCPRIM_400000_NS6detail17trampoline_kernelINS0_14default_configENS1_27scan_by_key_config_selectorIiiEEZZNS1_16scan_by_key_implILNS1_25lookback_scan_determinismE0ELb1ES3_N6thrust23THRUST_200600_302600_NS6detail15normal_iteratorINS9_10device_ptrIiEEEESE_SE_iNS9_10multipliesIiEENS9_8equal_toIiEEiEE10hipError_tPvRmT2_T3_T4_T5_mT6_T7_P12ihipStream_tbENKUlT_T0_E_clISt17integral_constantIbLb1EESY_IbLb0EEEEDaSU_SV_EUlSU_E_NS1_11comp_targetILNS1_3genE4ELNS1_11target_archE910ELNS1_3gpuE8ELNS1_3repE0EEENS1_30default_config_static_selectorELNS0_4arch9wavefront6targetE0EEEvT1_
    .private_segment_fixed_size: 0
    .sgpr_count:     0
    .sgpr_spill_count: 0
    .symbol:         _ZN7rocprim17ROCPRIM_400000_NS6detail17trampoline_kernelINS0_14default_configENS1_27scan_by_key_config_selectorIiiEEZZNS1_16scan_by_key_implILNS1_25lookback_scan_determinismE0ELb1ES3_N6thrust23THRUST_200600_302600_NS6detail15normal_iteratorINS9_10device_ptrIiEEEESE_SE_iNS9_10multipliesIiEENS9_8equal_toIiEEiEE10hipError_tPvRmT2_T3_T4_T5_mT6_T7_P12ihipStream_tbENKUlT_T0_E_clISt17integral_constantIbLb1EESY_IbLb0EEEEDaSU_SV_EUlSU_E_NS1_11comp_targetILNS1_3genE4ELNS1_11target_archE910ELNS1_3gpuE8ELNS1_3repE0EEENS1_30default_config_static_selectorELNS0_4arch9wavefront6targetE0EEEvT1_.kd
    .uniform_work_group_size: 1
    .uses_dynamic_stack: false
    .vgpr_count:     0
    .vgpr_spill_count: 0
    .wavefront_size: 32
  - .args:
      - .offset:         0
        .size:           112
        .value_kind:     by_value
    .group_segment_fixed_size: 0
    .kernarg_segment_align: 8
    .kernarg_segment_size: 112
    .language:       OpenCL C
    .language_version:
      - 2
      - 0
    .max_flat_workgroup_size: 256
    .name:           _ZN7rocprim17ROCPRIM_400000_NS6detail17trampoline_kernelINS0_14default_configENS1_27scan_by_key_config_selectorIiiEEZZNS1_16scan_by_key_implILNS1_25lookback_scan_determinismE0ELb1ES3_N6thrust23THRUST_200600_302600_NS6detail15normal_iteratorINS9_10device_ptrIiEEEESE_SE_iNS9_10multipliesIiEENS9_8equal_toIiEEiEE10hipError_tPvRmT2_T3_T4_T5_mT6_T7_P12ihipStream_tbENKUlT_T0_E_clISt17integral_constantIbLb1EESY_IbLb0EEEEDaSU_SV_EUlSU_E_NS1_11comp_targetILNS1_3genE3ELNS1_11target_archE908ELNS1_3gpuE7ELNS1_3repE0EEENS1_30default_config_static_selectorELNS0_4arch9wavefront6targetE0EEEvT1_
    .private_segment_fixed_size: 0
    .sgpr_count:     0
    .sgpr_spill_count: 0
    .symbol:         _ZN7rocprim17ROCPRIM_400000_NS6detail17trampoline_kernelINS0_14default_configENS1_27scan_by_key_config_selectorIiiEEZZNS1_16scan_by_key_implILNS1_25lookback_scan_determinismE0ELb1ES3_N6thrust23THRUST_200600_302600_NS6detail15normal_iteratorINS9_10device_ptrIiEEEESE_SE_iNS9_10multipliesIiEENS9_8equal_toIiEEiEE10hipError_tPvRmT2_T3_T4_T5_mT6_T7_P12ihipStream_tbENKUlT_T0_E_clISt17integral_constantIbLb1EESY_IbLb0EEEEDaSU_SV_EUlSU_E_NS1_11comp_targetILNS1_3genE3ELNS1_11target_archE908ELNS1_3gpuE7ELNS1_3repE0EEENS1_30default_config_static_selectorELNS0_4arch9wavefront6targetE0EEEvT1_.kd
    .uniform_work_group_size: 1
    .uses_dynamic_stack: false
    .vgpr_count:     0
    .vgpr_spill_count: 0
    .wavefront_size: 32
  - .args:
      - .offset:         0
        .size:           112
        .value_kind:     by_value
    .group_segment_fixed_size: 0
    .kernarg_segment_align: 8
    .kernarg_segment_size: 112
    .language:       OpenCL C
    .language_version:
      - 2
      - 0
    .max_flat_workgroup_size: 256
    .name:           _ZN7rocprim17ROCPRIM_400000_NS6detail17trampoline_kernelINS0_14default_configENS1_27scan_by_key_config_selectorIiiEEZZNS1_16scan_by_key_implILNS1_25lookback_scan_determinismE0ELb1ES3_N6thrust23THRUST_200600_302600_NS6detail15normal_iteratorINS9_10device_ptrIiEEEESE_SE_iNS9_10multipliesIiEENS9_8equal_toIiEEiEE10hipError_tPvRmT2_T3_T4_T5_mT6_T7_P12ihipStream_tbENKUlT_T0_E_clISt17integral_constantIbLb1EESY_IbLb0EEEEDaSU_SV_EUlSU_E_NS1_11comp_targetILNS1_3genE2ELNS1_11target_archE906ELNS1_3gpuE6ELNS1_3repE0EEENS1_30default_config_static_selectorELNS0_4arch9wavefront6targetE0EEEvT1_
    .private_segment_fixed_size: 0
    .sgpr_count:     0
    .sgpr_spill_count: 0
    .symbol:         _ZN7rocprim17ROCPRIM_400000_NS6detail17trampoline_kernelINS0_14default_configENS1_27scan_by_key_config_selectorIiiEEZZNS1_16scan_by_key_implILNS1_25lookback_scan_determinismE0ELb1ES3_N6thrust23THRUST_200600_302600_NS6detail15normal_iteratorINS9_10device_ptrIiEEEESE_SE_iNS9_10multipliesIiEENS9_8equal_toIiEEiEE10hipError_tPvRmT2_T3_T4_T5_mT6_T7_P12ihipStream_tbENKUlT_T0_E_clISt17integral_constantIbLb1EESY_IbLb0EEEEDaSU_SV_EUlSU_E_NS1_11comp_targetILNS1_3genE2ELNS1_11target_archE906ELNS1_3gpuE6ELNS1_3repE0EEENS1_30default_config_static_selectorELNS0_4arch9wavefront6targetE0EEEvT1_.kd
    .uniform_work_group_size: 1
    .uses_dynamic_stack: false
    .vgpr_count:     0
    .vgpr_spill_count: 0
    .wavefront_size: 32
  - .args:
      - .offset:         0
        .size:           112
        .value_kind:     by_value
    .group_segment_fixed_size: 0
    .kernarg_segment_align: 8
    .kernarg_segment_size: 112
    .language:       OpenCL C
    .language_version:
      - 2
      - 0
    .max_flat_workgroup_size: 256
    .name:           _ZN7rocprim17ROCPRIM_400000_NS6detail17trampoline_kernelINS0_14default_configENS1_27scan_by_key_config_selectorIiiEEZZNS1_16scan_by_key_implILNS1_25lookback_scan_determinismE0ELb1ES3_N6thrust23THRUST_200600_302600_NS6detail15normal_iteratorINS9_10device_ptrIiEEEESE_SE_iNS9_10multipliesIiEENS9_8equal_toIiEEiEE10hipError_tPvRmT2_T3_T4_T5_mT6_T7_P12ihipStream_tbENKUlT_T0_E_clISt17integral_constantIbLb1EESY_IbLb0EEEEDaSU_SV_EUlSU_E_NS1_11comp_targetILNS1_3genE10ELNS1_11target_archE1200ELNS1_3gpuE4ELNS1_3repE0EEENS1_30default_config_static_selectorELNS0_4arch9wavefront6targetE0EEEvT1_
    .private_segment_fixed_size: 0
    .sgpr_count:     0
    .sgpr_spill_count: 0
    .symbol:         _ZN7rocprim17ROCPRIM_400000_NS6detail17trampoline_kernelINS0_14default_configENS1_27scan_by_key_config_selectorIiiEEZZNS1_16scan_by_key_implILNS1_25lookback_scan_determinismE0ELb1ES3_N6thrust23THRUST_200600_302600_NS6detail15normal_iteratorINS9_10device_ptrIiEEEESE_SE_iNS9_10multipliesIiEENS9_8equal_toIiEEiEE10hipError_tPvRmT2_T3_T4_T5_mT6_T7_P12ihipStream_tbENKUlT_T0_E_clISt17integral_constantIbLb1EESY_IbLb0EEEEDaSU_SV_EUlSU_E_NS1_11comp_targetILNS1_3genE10ELNS1_11target_archE1200ELNS1_3gpuE4ELNS1_3repE0EEENS1_30default_config_static_selectorELNS0_4arch9wavefront6targetE0EEEvT1_.kd
    .uniform_work_group_size: 1
    .uses_dynamic_stack: false
    .vgpr_count:     0
    .vgpr_spill_count: 0
    .wavefront_size: 32
  - .args:
      - .offset:         0
        .size:           112
        .value_kind:     by_value
    .group_segment_fixed_size: 0
    .kernarg_segment_align: 8
    .kernarg_segment_size: 112
    .language:       OpenCL C
    .language_version:
      - 2
      - 0
    .max_flat_workgroup_size: 256
    .name:           _ZN7rocprim17ROCPRIM_400000_NS6detail17trampoline_kernelINS0_14default_configENS1_27scan_by_key_config_selectorIiiEEZZNS1_16scan_by_key_implILNS1_25lookback_scan_determinismE0ELb1ES3_N6thrust23THRUST_200600_302600_NS6detail15normal_iteratorINS9_10device_ptrIiEEEESE_SE_iNS9_10multipliesIiEENS9_8equal_toIiEEiEE10hipError_tPvRmT2_T3_T4_T5_mT6_T7_P12ihipStream_tbENKUlT_T0_E_clISt17integral_constantIbLb1EESY_IbLb0EEEEDaSU_SV_EUlSU_E_NS1_11comp_targetILNS1_3genE9ELNS1_11target_archE1100ELNS1_3gpuE3ELNS1_3repE0EEENS1_30default_config_static_selectorELNS0_4arch9wavefront6targetE0EEEvT1_
    .private_segment_fixed_size: 0
    .sgpr_count:     0
    .sgpr_spill_count: 0
    .symbol:         _ZN7rocprim17ROCPRIM_400000_NS6detail17trampoline_kernelINS0_14default_configENS1_27scan_by_key_config_selectorIiiEEZZNS1_16scan_by_key_implILNS1_25lookback_scan_determinismE0ELb1ES3_N6thrust23THRUST_200600_302600_NS6detail15normal_iteratorINS9_10device_ptrIiEEEESE_SE_iNS9_10multipliesIiEENS9_8equal_toIiEEiEE10hipError_tPvRmT2_T3_T4_T5_mT6_T7_P12ihipStream_tbENKUlT_T0_E_clISt17integral_constantIbLb1EESY_IbLb0EEEEDaSU_SV_EUlSU_E_NS1_11comp_targetILNS1_3genE9ELNS1_11target_archE1100ELNS1_3gpuE3ELNS1_3repE0EEENS1_30default_config_static_selectorELNS0_4arch9wavefront6targetE0EEEvT1_.kd
    .uniform_work_group_size: 1
    .uses_dynamic_stack: false
    .vgpr_count:     0
    .vgpr_spill_count: 0
    .wavefront_size: 32
  - .args:
      - .offset:         0
        .size:           112
        .value_kind:     by_value
    .group_segment_fixed_size: 0
    .kernarg_segment_align: 8
    .kernarg_segment_size: 112
    .language:       OpenCL C
    .language_version:
      - 2
      - 0
    .max_flat_workgroup_size: 256
    .name:           _ZN7rocprim17ROCPRIM_400000_NS6detail17trampoline_kernelINS0_14default_configENS1_27scan_by_key_config_selectorIiiEEZZNS1_16scan_by_key_implILNS1_25lookback_scan_determinismE0ELb1ES3_N6thrust23THRUST_200600_302600_NS6detail15normal_iteratorINS9_10device_ptrIiEEEESE_SE_iNS9_10multipliesIiEENS9_8equal_toIiEEiEE10hipError_tPvRmT2_T3_T4_T5_mT6_T7_P12ihipStream_tbENKUlT_T0_E_clISt17integral_constantIbLb1EESY_IbLb0EEEEDaSU_SV_EUlSU_E_NS1_11comp_targetILNS1_3genE8ELNS1_11target_archE1030ELNS1_3gpuE2ELNS1_3repE0EEENS1_30default_config_static_selectorELNS0_4arch9wavefront6targetE0EEEvT1_
    .private_segment_fixed_size: 0
    .sgpr_count:     0
    .sgpr_spill_count: 0
    .symbol:         _ZN7rocprim17ROCPRIM_400000_NS6detail17trampoline_kernelINS0_14default_configENS1_27scan_by_key_config_selectorIiiEEZZNS1_16scan_by_key_implILNS1_25lookback_scan_determinismE0ELb1ES3_N6thrust23THRUST_200600_302600_NS6detail15normal_iteratorINS9_10device_ptrIiEEEESE_SE_iNS9_10multipliesIiEENS9_8equal_toIiEEiEE10hipError_tPvRmT2_T3_T4_T5_mT6_T7_P12ihipStream_tbENKUlT_T0_E_clISt17integral_constantIbLb1EESY_IbLb0EEEEDaSU_SV_EUlSU_E_NS1_11comp_targetILNS1_3genE8ELNS1_11target_archE1030ELNS1_3gpuE2ELNS1_3repE0EEENS1_30default_config_static_selectorELNS0_4arch9wavefront6targetE0EEEvT1_.kd
    .uniform_work_group_size: 1
    .uses_dynamic_stack: false
    .vgpr_count:     0
    .vgpr_spill_count: 0
    .wavefront_size: 32
  - .args:
      - .offset:         0
        .size:           112
        .value_kind:     by_value
    .group_segment_fixed_size: 14336
    .kernarg_segment_align: 8
    .kernarg_segment_size: 112
    .language:       OpenCL C
    .language_version:
      - 2
      - 0
    .max_flat_workgroup_size: 256
    .name:           _ZN7rocprim17ROCPRIM_400000_NS6detail17trampoline_kernelINS0_14default_configENS1_27scan_by_key_config_selectorIiiEEZZNS1_16scan_by_key_implILNS1_25lookback_scan_determinismE0ELb1ES3_N6thrust23THRUST_200600_302600_NS6detail15normal_iteratorINS9_10device_ptrIiEEEESE_SE_iNS9_10multipliesIiEENS9_8equal_toIiEEiEE10hipError_tPvRmT2_T3_T4_T5_mT6_T7_P12ihipStream_tbENKUlT_T0_E_clISt17integral_constantIbLb0EESY_IbLb1EEEEDaSU_SV_EUlSU_E_NS1_11comp_targetILNS1_3genE0ELNS1_11target_archE4294967295ELNS1_3gpuE0ELNS1_3repE0EEENS1_30default_config_static_selectorELNS0_4arch9wavefront6targetE0EEEvT1_
    .private_segment_fixed_size: 0
    .sgpr_count:     41
    .sgpr_spill_count: 0
    .symbol:         _ZN7rocprim17ROCPRIM_400000_NS6detail17trampoline_kernelINS0_14default_configENS1_27scan_by_key_config_selectorIiiEEZZNS1_16scan_by_key_implILNS1_25lookback_scan_determinismE0ELb1ES3_N6thrust23THRUST_200600_302600_NS6detail15normal_iteratorINS9_10device_ptrIiEEEESE_SE_iNS9_10multipliesIiEENS9_8equal_toIiEEiEE10hipError_tPvRmT2_T3_T4_T5_mT6_T7_P12ihipStream_tbENKUlT_T0_E_clISt17integral_constantIbLb0EESY_IbLb1EEEEDaSU_SV_EUlSU_E_NS1_11comp_targetILNS1_3genE0ELNS1_11target_archE4294967295ELNS1_3gpuE0ELNS1_3repE0EEENS1_30default_config_static_selectorELNS0_4arch9wavefront6targetE0EEEvT1_.kd
    .uniform_work_group_size: 1
    .uses_dynamic_stack: false
    .vgpr_count:     62
    .vgpr_spill_count: 0
    .wavefront_size: 32
  - .args:
      - .offset:         0
        .size:           112
        .value_kind:     by_value
    .group_segment_fixed_size: 0
    .kernarg_segment_align: 8
    .kernarg_segment_size: 112
    .language:       OpenCL C
    .language_version:
      - 2
      - 0
    .max_flat_workgroup_size: 256
    .name:           _ZN7rocprim17ROCPRIM_400000_NS6detail17trampoline_kernelINS0_14default_configENS1_27scan_by_key_config_selectorIiiEEZZNS1_16scan_by_key_implILNS1_25lookback_scan_determinismE0ELb1ES3_N6thrust23THRUST_200600_302600_NS6detail15normal_iteratorINS9_10device_ptrIiEEEESE_SE_iNS9_10multipliesIiEENS9_8equal_toIiEEiEE10hipError_tPvRmT2_T3_T4_T5_mT6_T7_P12ihipStream_tbENKUlT_T0_E_clISt17integral_constantIbLb0EESY_IbLb1EEEEDaSU_SV_EUlSU_E_NS1_11comp_targetILNS1_3genE10ELNS1_11target_archE1201ELNS1_3gpuE5ELNS1_3repE0EEENS1_30default_config_static_selectorELNS0_4arch9wavefront6targetE0EEEvT1_
    .private_segment_fixed_size: 0
    .sgpr_count:     0
    .sgpr_spill_count: 0
    .symbol:         _ZN7rocprim17ROCPRIM_400000_NS6detail17trampoline_kernelINS0_14default_configENS1_27scan_by_key_config_selectorIiiEEZZNS1_16scan_by_key_implILNS1_25lookback_scan_determinismE0ELb1ES3_N6thrust23THRUST_200600_302600_NS6detail15normal_iteratorINS9_10device_ptrIiEEEESE_SE_iNS9_10multipliesIiEENS9_8equal_toIiEEiEE10hipError_tPvRmT2_T3_T4_T5_mT6_T7_P12ihipStream_tbENKUlT_T0_E_clISt17integral_constantIbLb0EESY_IbLb1EEEEDaSU_SV_EUlSU_E_NS1_11comp_targetILNS1_3genE10ELNS1_11target_archE1201ELNS1_3gpuE5ELNS1_3repE0EEENS1_30default_config_static_selectorELNS0_4arch9wavefront6targetE0EEEvT1_.kd
    .uniform_work_group_size: 1
    .uses_dynamic_stack: false
    .vgpr_count:     0
    .vgpr_spill_count: 0
    .wavefront_size: 32
  - .args:
      - .offset:         0
        .size:           112
        .value_kind:     by_value
    .group_segment_fixed_size: 0
    .kernarg_segment_align: 8
    .kernarg_segment_size: 112
    .language:       OpenCL C
    .language_version:
      - 2
      - 0
    .max_flat_workgroup_size: 256
    .name:           _ZN7rocprim17ROCPRIM_400000_NS6detail17trampoline_kernelINS0_14default_configENS1_27scan_by_key_config_selectorIiiEEZZNS1_16scan_by_key_implILNS1_25lookback_scan_determinismE0ELb1ES3_N6thrust23THRUST_200600_302600_NS6detail15normal_iteratorINS9_10device_ptrIiEEEESE_SE_iNS9_10multipliesIiEENS9_8equal_toIiEEiEE10hipError_tPvRmT2_T3_T4_T5_mT6_T7_P12ihipStream_tbENKUlT_T0_E_clISt17integral_constantIbLb0EESY_IbLb1EEEEDaSU_SV_EUlSU_E_NS1_11comp_targetILNS1_3genE5ELNS1_11target_archE942ELNS1_3gpuE9ELNS1_3repE0EEENS1_30default_config_static_selectorELNS0_4arch9wavefront6targetE0EEEvT1_
    .private_segment_fixed_size: 0
    .sgpr_count:     0
    .sgpr_spill_count: 0
    .symbol:         _ZN7rocprim17ROCPRIM_400000_NS6detail17trampoline_kernelINS0_14default_configENS1_27scan_by_key_config_selectorIiiEEZZNS1_16scan_by_key_implILNS1_25lookback_scan_determinismE0ELb1ES3_N6thrust23THRUST_200600_302600_NS6detail15normal_iteratorINS9_10device_ptrIiEEEESE_SE_iNS9_10multipliesIiEENS9_8equal_toIiEEiEE10hipError_tPvRmT2_T3_T4_T5_mT6_T7_P12ihipStream_tbENKUlT_T0_E_clISt17integral_constantIbLb0EESY_IbLb1EEEEDaSU_SV_EUlSU_E_NS1_11comp_targetILNS1_3genE5ELNS1_11target_archE942ELNS1_3gpuE9ELNS1_3repE0EEENS1_30default_config_static_selectorELNS0_4arch9wavefront6targetE0EEEvT1_.kd
    .uniform_work_group_size: 1
    .uses_dynamic_stack: false
    .vgpr_count:     0
    .vgpr_spill_count: 0
    .wavefront_size: 32
  - .args:
      - .offset:         0
        .size:           112
        .value_kind:     by_value
    .group_segment_fixed_size: 0
    .kernarg_segment_align: 8
    .kernarg_segment_size: 112
    .language:       OpenCL C
    .language_version:
      - 2
      - 0
    .max_flat_workgroup_size: 256
    .name:           _ZN7rocprim17ROCPRIM_400000_NS6detail17trampoline_kernelINS0_14default_configENS1_27scan_by_key_config_selectorIiiEEZZNS1_16scan_by_key_implILNS1_25lookback_scan_determinismE0ELb1ES3_N6thrust23THRUST_200600_302600_NS6detail15normal_iteratorINS9_10device_ptrIiEEEESE_SE_iNS9_10multipliesIiEENS9_8equal_toIiEEiEE10hipError_tPvRmT2_T3_T4_T5_mT6_T7_P12ihipStream_tbENKUlT_T0_E_clISt17integral_constantIbLb0EESY_IbLb1EEEEDaSU_SV_EUlSU_E_NS1_11comp_targetILNS1_3genE4ELNS1_11target_archE910ELNS1_3gpuE8ELNS1_3repE0EEENS1_30default_config_static_selectorELNS0_4arch9wavefront6targetE0EEEvT1_
    .private_segment_fixed_size: 0
    .sgpr_count:     0
    .sgpr_spill_count: 0
    .symbol:         _ZN7rocprim17ROCPRIM_400000_NS6detail17trampoline_kernelINS0_14default_configENS1_27scan_by_key_config_selectorIiiEEZZNS1_16scan_by_key_implILNS1_25lookback_scan_determinismE0ELb1ES3_N6thrust23THRUST_200600_302600_NS6detail15normal_iteratorINS9_10device_ptrIiEEEESE_SE_iNS9_10multipliesIiEENS9_8equal_toIiEEiEE10hipError_tPvRmT2_T3_T4_T5_mT6_T7_P12ihipStream_tbENKUlT_T0_E_clISt17integral_constantIbLb0EESY_IbLb1EEEEDaSU_SV_EUlSU_E_NS1_11comp_targetILNS1_3genE4ELNS1_11target_archE910ELNS1_3gpuE8ELNS1_3repE0EEENS1_30default_config_static_selectorELNS0_4arch9wavefront6targetE0EEEvT1_.kd
    .uniform_work_group_size: 1
    .uses_dynamic_stack: false
    .vgpr_count:     0
    .vgpr_spill_count: 0
    .wavefront_size: 32
  - .args:
      - .offset:         0
        .size:           112
        .value_kind:     by_value
    .group_segment_fixed_size: 0
    .kernarg_segment_align: 8
    .kernarg_segment_size: 112
    .language:       OpenCL C
    .language_version:
      - 2
      - 0
    .max_flat_workgroup_size: 256
    .name:           _ZN7rocprim17ROCPRIM_400000_NS6detail17trampoline_kernelINS0_14default_configENS1_27scan_by_key_config_selectorIiiEEZZNS1_16scan_by_key_implILNS1_25lookback_scan_determinismE0ELb1ES3_N6thrust23THRUST_200600_302600_NS6detail15normal_iteratorINS9_10device_ptrIiEEEESE_SE_iNS9_10multipliesIiEENS9_8equal_toIiEEiEE10hipError_tPvRmT2_T3_T4_T5_mT6_T7_P12ihipStream_tbENKUlT_T0_E_clISt17integral_constantIbLb0EESY_IbLb1EEEEDaSU_SV_EUlSU_E_NS1_11comp_targetILNS1_3genE3ELNS1_11target_archE908ELNS1_3gpuE7ELNS1_3repE0EEENS1_30default_config_static_selectorELNS0_4arch9wavefront6targetE0EEEvT1_
    .private_segment_fixed_size: 0
    .sgpr_count:     0
    .sgpr_spill_count: 0
    .symbol:         _ZN7rocprim17ROCPRIM_400000_NS6detail17trampoline_kernelINS0_14default_configENS1_27scan_by_key_config_selectorIiiEEZZNS1_16scan_by_key_implILNS1_25lookback_scan_determinismE0ELb1ES3_N6thrust23THRUST_200600_302600_NS6detail15normal_iteratorINS9_10device_ptrIiEEEESE_SE_iNS9_10multipliesIiEENS9_8equal_toIiEEiEE10hipError_tPvRmT2_T3_T4_T5_mT6_T7_P12ihipStream_tbENKUlT_T0_E_clISt17integral_constantIbLb0EESY_IbLb1EEEEDaSU_SV_EUlSU_E_NS1_11comp_targetILNS1_3genE3ELNS1_11target_archE908ELNS1_3gpuE7ELNS1_3repE0EEENS1_30default_config_static_selectorELNS0_4arch9wavefront6targetE0EEEvT1_.kd
    .uniform_work_group_size: 1
    .uses_dynamic_stack: false
    .vgpr_count:     0
    .vgpr_spill_count: 0
    .wavefront_size: 32
  - .args:
      - .offset:         0
        .size:           112
        .value_kind:     by_value
    .group_segment_fixed_size: 0
    .kernarg_segment_align: 8
    .kernarg_segment_size: 112
    .language:       OpenCL C
    .language_version:
      - 2
      - 0
    .max_flat_workgroup_size: 256
    .name:           _ZN7rocprim17ROCPRIM_400000_NS6detail17trampoline_kernelINS0_14default_configENS1_27scan_by_key_config_selectorIiiEEZZNS1_16scan_by_key_implILNS1_25lookback_scan_determinismE0ELb1ES3_N6thrust23THRUST_200600_302600_NS6detail15normal_iteratorINS9_10device_ptrIiEEEESE_SE_iNS9_10multipliesIiEENS9_8equal_toIiEEiEE10hipError_tPvRmT2_T3_T4_T5_mT6_T7_P12ihipStream_tbENKUlT_T0_E_clISt17integral_constantIbLb0EESY_IbLb1EEEEDaSU_SV_EUlSU_E_NS1_11comp_targetILNS1_3genE2ELNS1_11target_archE906ELNS1_3gpuE6ELNS1_3repE0EEENS1_30default_config_static_selectorELNS0_4arch9wavefront6targetE0EEEvT1_
    .private_segment_fixed_size: 0
    .sgpr_count:     0
    .sgpr_spill_count: 0
    .symbol:         _ZN7rocprim17ROCPRIM_400000_NS6detail17trampoline_kernelINS0_14default_configENS1_27scan_by_key_config_selectorIiiEEZZNS1_16scan_by_key_implILNS1_25lookback_scan_determinismE0ELb1ES3_N6thrust23THRUST_200600_302600_NS6detail15normal_iteratorINS9_10device_ptrIiEEEESE_SE_iNS9_10multipliesIiEENS9_8equal_toIiEEiEE10hipError_tPvRmT2_T3_T4_T5_mT6_T7_P12ihipStream_tbENKUlT_T0_E_clISt17integral_constantIbLb0EESY_IbLb1EEEEDaSU_SV_EUlSU_E_NS1_11comp_targetILNS1_3genE2ELNS1_11target_archE906ELNS1_3gpuE6ELNS1_3repE0EEENS1_30default_config_static_selectorELNS0_4arch9wavefront6targetE0EEEvT1_.kd
    .uniform_work_group_size: 1
    .uses_dynamic_stack: false
    .vgpr_count:     0
    .vgpr_spill_count: 0
    .wavefront_size: 32
  - .args:
      - .offset:         0
        .size:           112
        .value_kind:     by_value
    .group_segment_fixed_size: 0
    .kernarg_segment_align: 8
    .kernarg_segment_size: 112
    .language:       OpenCL C
    .language_version:
      - 2
      - 0
    .max_flat_workgroup_size: 256
    .name:           _ZN7rocprim17ROCPRIM_400000_NS6detail17trampoline_kernelINS0_14default_configENS1_27scan_by_key_config_selectorIiiEEZZNS1_16scan_by_key_implILNS1_25lookback_scan_determinismE0ELb1ES3_N6thrust23THRUST_200600_302600_NS6detail15normal_iteratorINS9_10device_ptrIiEEEESE_SE_iNS9_10multipliesIiEENS9_8equal_toIiEEiEE10hipError_tPvRmT2_T3_T4_T5_mT6_T7_P12ihipStream_tbENKUlT_T0_E_clISt17integral_constantIbLb0EESY_IbLb1EEEEDaSU_SV_EUlSU_E_NS1_11comp_targetILNS1_3genE10ELNS1_11target_archE1200ELNS1_3gpuE4ELNS1_3repE0EEENS1_30default_config_static_selectorELNS0_4arch9wavefront6targetE0EEEvT1_
    .private_segment_fixed_size: 0
    .sgpr_count:     0
    .sgpr_spill_count: 0
    .symbol:         _ZN7rocprim17ROCPRIM_400000_NS6detail17trampoline_kernelINS0_14default_configENS1_27scan_by_key_config_selectorIiiEEZZNS1_16scan_by_key_implILNS1_25lookback_scan_determinismE0ELb1ES3_N6thrust23THRUST_200600_302600_NS6detail15normal_iteratorINS9_10device_ptrIiEEEESE_SE_iNS9_10multipliesIiEENS9_8equal_toIiEEiEE10hipError_tPvRmT2_T3_T4_T5_mT6_T7_P12ihipStream_tbENKUlT_T0_E_clISt17integral_constantIbLb0EESY_IbLb1EEEEDaSU_SV_EUlSU_E_NS1_11comp_targetILNS1_3genE10ELNS1_11target_archE1200ELNS1_3gpuE4ELNS1_3repE0EEENS1_30default_config_static_selectorELNS0_4arch9wavefront6targetE0EEEvT1_.kd
    .uniform_work_group_size: 1
    .uses_dynamic_stack: false
    .vgpr_count:     0
    .vgpr_spill_count: 0
    .wavefront_size: 32
  - .args:
      - .offset:         0
        .size:           112
        .value_kind:     by_value
    .group_segment_fixed_size: 0
    .kernarg_segment_align: 8
    .kernarg_segment_size: 112
    .language:       OpenCL C
    .language_version:
      - 2
      - 0
    .max_flat_workgroup_size: 256
    .name:           _ZN7rocprim17ROCPRIM_400000_NS6detail17trampoline_kernelINS0_14default_configENS1_27scan_by_key_config_selectorIiiEEZZNS1_16scan_by_key_implILNS1_25lookback_scan_determinismE0ELb1ES3_N6thrust23THRUST_200600_302600_NS6detail15normal_iteratorINS9_10device_ptrIiEEEESE_SE_iNS9_10multipliesIiEENS9_8equal_toIiEEiEE10hipError_tPvRmT2_T3_T4_T5_mT6_T7_P12ihipStream_tbENKUlT_T0_E_clISt17integral_constantIbLb0EESY_IbLb1EEEEDaSU_SV_EUlSU_E_NS1_11comp_targetILNS1_3genE9ELNS1_11target_archE1100ELNS1_3gpuE3ELNS1_3repE0EEENS1_30default_config_static_selectorELNS0_4arch9wavefront6targetE0EEEvT1_
    .private_segment_fixed_size: 0
    .sgpr_count:     0
    .sgpr_spill_count: 0
    .symbol:         _ZN7rocprim17ROCPRIM_400000_NS6detail17trampoline_kernelINS0_14default_configENS1_27scan_by_key_config_selectorIiiEEZZNS1_16scan_by_key_implILNS1_25lookback_scan_determinismE0ELb1ES3_N6thrust23THRUST_200600_302600_NS6detail15normal_iteratorINS9_10device_ptrIiEEEESE_SE_iNS9_10multipliesIiEENS9_8equal_toIiEEiEE10hipError_tPvRmT2_T3_T4_T5_mT6_T7_P12ihipStream_tbENKUlT_T0_E_clISt17integral_constantIbLb0EESY_IbLb1EEEEDaSU_SV_EUlSU_E_NS1_11comp_targetILNS1_3genE9ELNS1_11target_archE1100ELNS1_3gpuE3ELNS1_3repE0EEENS1_30default_config_static_selectorELNS0_4arch9wavefront6targetE0EEEvT1_.kd
    .uniform_work_group_size: 1
    .uses_dynamic_stack: false
    .vgpr_count:     0
    .vgpr_spill_count: 0
    .wavefront_size: 32
  - .args:
      - .offset:         0
        .size:           112
        .value_kind:     by_value
    .group_segment_fixed_size: 0
    .kernarg_segment_align: 8
    .kernarg_segment_size: 112
    .language:       OpenCL C
    .language_version:
      - 2
      - 0
    .max_flat_workgroup_size: 256
    .name:           _ZN7rocprim17ROCPRIM_400000_NS6detail17trampoline_kernelINS0_14default_configENS1_27scan_by_key_config_selectorIiiEEZZNS1_16scan_by_key_implILNS1_25lookback_scan_determinismE0ELb1ES3_N6thrust23THRUST_200600_302600_NS6detail15normal_iteratorINS9_10device_ptrIiEEEESE_SE_iNS9_10multipliesIiEENS9_8equal_toIiEEiEE10hipError_tPvRmT2_T3_T4_T5_mT6_T7_P12ihipStream_tbENKUlT_T0_E_clISt17integral_constantIbLb0EESY_IbLb1EEEEDaSU_SV_EUlSU_E_NS1_11comp_targetILNS1_3genE8ELNS1_11target_archE1030ELNS1_3gpuE2ELNS1_3repE0EEENS1_30default_config_static_selectorELNS0_4arch9wavefront6targetE0EEEvT1_
    .private_segment_fixed_size: 0
    .sgpr_count:     0
    .sgpr_spill_count: 0
    .symbol:         _ZN7rocprim17ROCPRIM_400000_NS6detail17trampoline_kernelINS0_14default_configENS1_27scan_by_key_config_selectorIiiEEZZNS1_16scan_by_key_implILNS1_25lookback_scan_determinismE0ELb1ES3_N6thrust23THRUST_200600_302600_NS6detail15normal_iteratorINS9_10device_ptrIiEEEESE_SE_iNS9_10multipliesIiEENS9_8equal_toIiEEiEE10hipError_tPvRmT2_T3_T4_T5_mT6_T7_P12ihipStream_tbENKUlT_T0_E_clISt17integral_constantIbLb0EESY_IbLb1EEEEDaSU_SV_EUlSU_E_NS1_11comp_targetILNS1_3genE8ELNS1_11target_archE1030ELNS1_3gpuE2ELNS1_3repE0EEENS1_30default_config_static_selectorELNS0_4arch9wavefront6targetE0EEEvT1_.kd
    .uniform_work_group_size: 1
    .uses_dynamic_stack: false
    .vgpr_count:     0
    .vgpr_spill_count: 0
    .wavefront_size: 32
  - .args:
      - .offset:         0
        .size:           112
        .value_kind:     by_value
    .group_segment_fixed_size: 14336
    .kernarg_segment_align: 8
    .kernarg_segment_size: 112
    .language:       OpenCL C
    .language_version:
      - 2
      - 0
    .max_flat_workgroup_size: 256
    .name:           _ZN7rocprim17ROCPRIM_400000_NS6detail17trampoline_kernelINS0_14default_configENS1_27scan_by_key_config_selectorIiiEEZZNS1_16scan_by_key_implILNS1_25lookback_scan_determinismE0ELb1ES3_N6thrust23THRUST_200600_302600_NS6detail15normal_iteratorINS9_10device_ptrIiEEEESE_SE_iNS9_4plusIvEENS9_8equal_toIiEEiEE10hipError_tPvRmT2_T3_T4_T5_mT6_T7_P12ihipStream_tbENKUlT_T0_E_clISt17integral_constantIbLb0EESZ_EEDaSU_SV_EUlSU_E_NS1_11comp_targetILNS1_3genE0ELNS1_11target_archE4294967295ELNS1_3gpuE0ELNS1_3repE0EEENS1_30default_config_static_selectorELNS0_4arch9wavefront6targetE0EEEvT1_
    .private_segment_fixed_size: 0
    .sgpr_count:     39
    .sgpr_spill_count: 0
    .symbol:         _ZN7rocprim17ROCPRIM_400000_NS6detail17trampoline_kernelINS0_14default_configENS1_27scan_by_key_config_selectorIiiEEZZNS1_16scan_by_key_implILNS1_25lookback_scan_determinismE0ELb1ES3_N6thrust23THRUST_200600_302600_NS6detail15normal_iteratorINS9_10device_ptrIiEEEESE_SE_iNS9_4plusIvEENS9_8equal_toIiEEiEE10hipError_tPvRmT2_T3_T4_T5_mT6_T7_P12ihipStream_tbENKUlT_T0_E_clISt17integral_constantIbLb0EESZ_EEDaSU_SV_EUlSU_E_NS1_11comp_targetILNS1_3genE0ELNS1_11target_archE4294967295ELNS1_3gpuE0ELNS1_3repE0EEENS1_30default_config_static_selectorELNS0_4arch9wavefront6targetE0EEEvT1_.kd
    .uniform_work_group_size: 1
    .uses_dynamic_stack: false
    .vgpr_count:     62
    .vgpr_spill_count: 0
    .wavefront_size: 32
  - .args:
      - .offset:         0
        .size:           112
        .value_kind:     by_value
    .group_segment_fixed_size: 0
    .kernarg_segment_align: 8
    .kernarg_segment_size: 112
    .language:       OpenCL C
    .language_version:
      - 2
      - 0
    .max_flat_workgroup_size: 256
    .name:           _ZN7rocprim17ROCPRIM_400000_NS6detail17trampoline_kernelINS0_14default_configENS1_27scan_by_key_config_selectorIiiEEZZNS1_16scan_by_key_implILNS1_25lookback_scan_determinismE0ELb1ES3_N6thrust23THRUST_200600_302600_NS6detail15normal_iteratorINS9_10device_ptrIiEEEESE_SE_iNS9_4plusIvEENS9_8equal_toIiEEiEE10hipError_tPvRmT2_T3_T4_T5_mT6_T7_P12ihipStream_tbENKUlT_T0_E_clISt17integral_constantIbLb0EESZ_EEDaSU_SV_EUlSU_E_NS1_11comp_targetILNS1_3genE10ELNS1_11target_archE1201ELNS1_3gpuE5ELNS1_3repE0EEENS1_30default_config_static_selectorELNS0_4arch9wavefront6targetE0EEEvT1_
    .private_segment_fixed_size: 0
    .sgpr_count:     0
    .sgpr_spill_count: 0
    .symbol:         _ZN7rocprim17ROCPRIM_400000_NS6detail17trampoline_kernelINS0_14default_configENS1_27scan_by_key_config_selectorIiiEEZZNS1_16scan_by_key_implILNS1_25lookback_scan_determinismE0ELb1ES3_N6thrust23THRUST_200600_302600_NS6detail15normal_iteratorINS9_10device_ptrIiEEEESE_SE_iNS9_4plusIvEENS9_8equal_toIiEEiEE10hipError_tPvRmT2_T3_T4_T5_mT6_T7_P12ihipStream_tbENKUlT_T0_E_clISt17integral_constantIbLb0EESZ_EEDaSU_SV_EUlSU_E_NS1_11comp_targetILNS1_3genE10ELNS1_11target_archE1201ELNS1_3gpuE5ELNS1_3repE0EEENS1_30default_config_static_selectorELNS0_4arch9wavefront6targetE0EEEvT1_.kd
    .uniform_work_group_size: 1
    .uses_dynamic_stack: false
    .vgpr_count:     0
    .vgpr_spill_count: 0
    .wavefront_size: 32
  - .args:
      - .offset:         0
        .size:           112
        .value_kind:     by_value
    .group_segment_fixed_size: 0
    .kernarg_segment_align: 8
    .kernarg_segment_size: 112
    .language:       OpenCL C
    .language_version:
      - 2
      - 0
    .max_flat_workgroup_size: 256
    .name:           _ZN7rocprim17ROCPRIM_400000_NS6detail17trampoline_kernelINS0_14default_configENS1_27scan_by_key_config_selectorIiiEEZZNS1_16scan_by_key_implILNS1_25lookback_scan_determinismE0ELb1ES3_N6thrust23THRUST_200600_302600_NS6detail15normal_iteratorINS9_10device_ptrIiEEEESE_SE_iNS9_4plusIvEENS9_8equal_toIiEEiEE10hipError_tPvRmT2_T3_T4_T5_mT6_T7_P12ihipStream_tbENKUlT_T0_E_clISt17integral_constantIbLb0EESZ_EEDaSU_SV_EUlSU_E_NS1_11comp_targetILNS1_3genE5ELNS1_11target_archE942ELNS1_3gpuE9ELNS1_3repE0EEENS1_30default_config_static_selectorELNS0_4arch9wavefront6targetE0EEEvT1_
    .private_segment_fixed_size: 0
    .sgpr_count:     0
    .sgpr_spill_count: 0
    .symbol:         _ZN7rocprim17ROCPRIM_400000_NS6detail17trampoline_kernelINS0_14default_configENS1_27scan_by_key_config_selectorIiiEEZZNS1_16scan_by_key_implILNS1_25lookback_scan_determinismE0ELb1ES3_N6thrust23THRUST_200600_302600_NS6detail15normal_iteratorINS9_10device_ptrIiEEEESE_SE_iNS9_4plusIvEENS9_8equal_toIiEEiEE10hipError_tPvRmT2_T3_T4_T5_mT6_T7_P12ihipStream_tbENKUlT_T0_E_clISt17integral_constantIbLb0EESZ_EEDaSU_SV_EUlSU_E_NS1_11comp_targetILNS1_3genE5ELNS1_11target_archE942ELNS1_3gpuE9ELNS1_3repE0EEENS1_30default_config_static_selectorELNS0_4arch9wavefront6targetE0EEEvT1_.kd
    .uniform_work_group_size: 1
    .uses_dynamic_stack: false
    .vgpr_count:     0
    .vgpr_spill_count: 0
    .wavefront_size: 32
  - .args:
      - .offset:         0
        .size:           112
        .value_kind:     by_value
    .group_segment_fixed_size: 0
    .kernarg_segment_align: 8
    .kernarg_segment_size: 112
    .language:       OpenCL C
    .language_version:
      - 2
      - 0
    .max_flat_workgroup_size: 256
    .name:           _ZN7rocprim17ROCPRIM_400000_NS6detail17trampoline_kernelINS0_14default_configENS1_27scan_by_key_config_selectorIiiEEZZNS1_16scan_by_key_implILNS1_25lookback_scan_determinismE0ELb1ES3_N6thrust23THRUST_200600_302600_NS6detail15normal_iteratorINS9_10device_ptrIiEEEESE_SE_iNS9_4plusIvEENS9_8equal_toIiEEiEE10hipError_tPvRmT2_T3_T4_T5_mT6_T7_P12ihipStream_tbENKUlT_T0_E_clISt17integral_constantIbLb0EESZ_EEDaSU_SV_EUlSU_E_NS1_11comp_targetILNS1_3genE4ELNS1_11target_archE910ELNS1_3gpuE8ELNS1_3repE0EEENS1_30default_config_static_selectorELNS0_4arch9wavefront6targetE0EEEvT1_
    .private_segment_fixed_size: 0
    .sgpr_count:     0
    .sgpr_spill_count: 0
    .symbol:         _ZN7rocprim17ROCPRIM_400000_NS6detail17trampoline_kernelINS0_14default_configENS1_27scan_by_key_config_selectorIiiEEZZNS1_16scan_by_key_implILNS1_25lookback_scan_determinismE0ELb1ES3_N6thrust23THRUST_200600_302600_NS6detail15normal_iteratorINS9_10device_ptrIiEEEESE_SE_iNS9_4plusIvEENS9_8equal_toIiEEiEE10hipError_tPvRmT2_T3_T4_T5_mT6_T7_P12ihipStream_tbENKUlT_T0_E_clISt17integral_constantIbLb0EESZ_EEDaSU_SV_EUlSU_E_NS1_11comp_targetILNS1_3genE4ELNS1_11target_archE910ELNS1_3gpuE8ELNS1_3repE0EEENS1_30default_config_static_selectorELNS0_4arch9wavefront6targetE0EEEvT1_.kd
    .uniform_work_group_size: 1
    .uses_dynamic_stack: false
    .vgpr_count:     0
    .vgpr_spill_count: 0
    .wavefront_size: 32
  - .args:
      - .offset:         0
        .size:           112
        .value_kind:     by_value
    .group_segment_fixed_size: 0
    .kernarg_segment_align: 8
    .kernarg_segment_size: 112
    .language:       OpenCL C
    .language_version:
      - 2
      - 0
    .max_flat_workgroup_size: 256
    .name:           _ZN7rocprim17ROCPRIM_400000_NS6detail17trampoline_kernelINS0_14default_configENS1_27scan_by_key_config_selectorIiiEEZZNS1_16scan_by_key_implILNS1_25lookback_scan_determinismE0ELb1ES3_N6thrust23THRUST_200600_302600_NS6detail15normal_iteratorINS9_10device_ptrIiEEEESE_SE_iNS9_4plusIvEENS9_8equal_toIiEEiEE10hipError_tPvRmT2_T3_T4_T5_mT6_T7_P12ihipStream_tbENKUlT_T0_E_clISt17integral_constantIbLb0EESZ_EEDaSU_SV_EUlSU_E_NS1_11comp_targetILNS1_3genE3ELNS1_11target_archE908ELNS1_3gpuE7ELNS1_3repE0EEENS1_30default_config_static_selectorELNS0_4arch9wavefront6targetE0EEEvT1_
    .private_segment_fixed_size: 0
    .sgpr_count:     0
    .sgpr_spill_count: 0
    .symbol:         _ZN7rocprim17ROCPRIM_400000_NS6detail17trampoline_kernelINS0_14default_configENS1_27scan_by_key_config_selectorIiiEEZZNS1_16scan_by_key_implILNS1_25lookback_scan_determinismE0ELb1ES3_N6thrust23THRUST_200600_302600_NS6detail15normal_iteratorINS9_10device_ptrIiEEEESE_SE_iNS9_4plusIvEENS9_8equal_toIiEEiEE10hipError_tPvRmT2_T3_T4_T5_mT6_T7_P12ihipStream_tbENKUlT_T0_E_clISt17integral_constantIbLb0EESZ_EEDaSU_SV_EUlSU_E_NS1_11comp_targetILNS1_3genE3ELNS1_11target_archE908ELNS1_3gpuE7ELNS1_3repE0EEENS1_30default_config_static_selectorELNS0_4arch9wavefront6targetE0EEEvT1_.kd
    .uniform_work_group_size: 1
    .uses_dynamic_stack: false
    .vgpr_count:     0
    .vgpr_spill_count: 0
    .wavefront_size: 32
  - .args:
      - .offset:         0
        .size:           112
        .value_kind:     by_value
    .group_segment_fixed_size: 0
    .kernarg_segment_align: 8
    .kernarg_segment_size: 112
    .language:       OpenCL C
    .language_version:
      - 2
      - 0
    .max_flat_workgroup_size: 256
    .name:           _ZN7rocprim17ROCPRIM_400000_NS6detail17trampoline_kernelINS0_14default_configENS1_27scan_by_key_config_selectorIiiEEZZNS1_16scan_by_key_implILNS1_25lookback_scan_determinismE0ELb1ES3_N6thrust23THRUST_200600_302600_NS6detail15normal_iteratorINS9_10device_ptrIiEEEESE_SE_iNS9_4plusIvEENS9_8equal_toIiEEiEE10hipError_tPvRmT2_T3_T4_T5_mT6_T7_P12ihipStream_tbENKUlT_T0_E_clISt17integral_constantIbLb0EESZ_EEDaSU_SV_EUlSU_E_NS1_11comp_targetILNS1_3genE2ELNS1_11target_archE906ELNS1_3gpuE6ELNS1_3repE0EEENS1_30default_config_static_selectorELNS0_4arch9wavefront6targetE0EEEvT1_
    .private_segment_fixed_size: 0
    .sgpr_count:     0
    .sgpr_spill_count: 0
    .symbol:         _ZN7rocprim17ROCPRIM_400000_NS6detail17trampoline_kernelINS0_14default_configENS1_27scan_by_key_config_selectorIiiEEZZNS1_16scan_by_key_implILNS1_25lookback_scan_determinismE0ELb1ES3_N6thrust23THRUST_200600_302600_NS6detail15normal_iteratorINS9_10device_ptrIiEEEESE_SE_iNS9_4plusIvEENS9_8equal_toIiEEiEE10hipError_tPvRmT2_T3_T4_T5_mT6_T7_P12ihipStream_tbENKUlT_T0_E_clISt17integral_constantIbLb0EESZ_EEDaSU_SV_EUlSU_E_NS1_11comp_targetILNS1_3genE2ELNS1_11target_archE906ELNS1_3gpuE6ELNS1_3repE0EEENS1_30default_config_static_selectorELNS0_4arch9wavefront6targetE0EEEvT1_.kd
    .uniform_work_group_size: 1
    .uses_dynamic_stack: false
    .vgpr_count:     0
    .vgpr_spill_count: 0
    .wavefront_size: 32
  - .args:
      - .offset:         0
        .size:           112
        .value_kind:     by_value
    .group_segment_fixed_size: 0
    .kernarg_segment_align: 8
    .kernarg_segment_size: 112
    .language:       OpenCL C
    .language_version:
      - 2
      - 0
    .max_flat_workgroup_size: 256
    .name:           _ZN7rocprim17ROCPRIM_400000_NS6detail17trampoline_kernelINS0_14default_configENS1_27scan_by_key_config_selectorIiiEEZZNS1_16scan_by_key_implILNS1_25lookback_scan_determinismE0ELb1ES3_N6thrust23THRUST_200600_302600_NS6detail15normal_iteratorINS9_10device_ptrIiEEEESE_SE_iNS9_4plusIvEENS9_8equal_toIiEEiEE10hipError_tPvRmT2_T3_T4_T5_mT6_T7_P12ihipStream_tbENKUlT_T0_E_clISt17integral_constantIbLb0EESZ_EEDaSU_SV_EUlSU_E_NS1_11comp_targetILNS1_3genE10ELNS1_11target_archE1200ELNS1_3gpuE4ELNS1_3repE0EEENS1_30default_config_static_selectorELNS0_4arch9wavefront6targetE0EEEvT1_
    .private_segment_fixed_size: 0
    .sgpr_count:     0
    .sgpr_spill_count: 0
    .symbol:         _ZN7rocprim17ROCPRIM_400000_NS6detail17trampoline_kernelINS0_14default_configENS1_27scan_by_key_config_selectorIiiEEZZNS1_16scan_by_key_implILNS1_25lookback_scan_determinismE0ELb1ES3_N6thrust23THRUST_200600_302600_NS6detail15normal_iteratorINS9_10device_ptrIiEEEESE_SE_iNS9_4plusIvEENS9_8equal_toIiEEiEE10hipError_tPvRmT2_T3_T4_T5_mT6_T7_P12ihipStream_tbENKUlT_T0_E_clISt17integral_constantIbLb0EESZ_EEDaSU_SV_EUlSU_E_NS1_11comp_targetILNS1_3genE10ELNS1_11target_archE1200ELNS1_3gpuE4ELNS1_3repE0EEENS1_30default_config_static_selectorELNS0_4arch9wavefront6targetE0EEEvT1_.kd
    .uniform_work_group_size: 1
    .uses_dynamic_stack: false
    .vgpr_count:     0
    .vgpr_spill_count: 0
    .wavefront_size: 32
  - .args:
      - .offset:         0
        .size:           112
        .value_kind:     by_value
    .group_segment_fixed_size: 0
    .kernarg_segment_align: 8
    .kernarg_segment_size: 112
    .language:       OpenCL C
    .language_version:
      - 2
      - 0
    .max_flat_workgroup_size: 256
    .name:           _ZN7rocprim17ROCPRIM_400000_NS6detail17trampoline_kernelINS0_14default_configENS1_27scan_by_key_config_selectorIiiEEZZNS1_16scan_by_key_implILNS1_25lookback_scan_determinismE0ELb1ES3_N6thrust23THRUST_200600_302600_NS6detail15normal_iteratorINS9_10device_ptrIiEEEESE_SE_iNS9_4plusIvEENS9_8equal_toIiEEiEE10hipError_tPvRmT2_T3_T4_T5_mT6_T7_P12ihipStream_tbENKUlT_T0_E_clISt17integral_constantIbLb0EESZ_EEDaSU_SV_EUlSU_E_NS1_11comp_targetILNS1_3genE9ELNS1_11target_archE1100ELNS1_3gpuE3ELNS1_3repE0EEENS1_30default_config_static_selectorELNS0_4arch9wavefront6targetE0EEEvT1_
    .private_segment_fixed_size: 0
    .sgpr_count:     0
    .sgpr_spill_count: 0
    .symbol:         _ZN7rocprim17ROCPRIM_400000_NS6detail17trampoline_kernelINS0_14default_configENS1_27scan_by_key_config_selectorIiiEEZZNS1_16scan_by_key_implILNS1_25lookback_scan_determinismE0ELb1ES3_N6thrust23THRUST_200600_302600_NS6detail15normal_iteratorINS9_10device_ptrIiEEEESE_SE_iNS9_4plusIvEENS9_8equal_toIiEEiEE10hipError_tPvRmT2_T3_T4_T5_mT6_T7_P12ihipStream_tbENKUlT_T0_E_clISt17integral_constantIbLb0EESZ_EEDaSU_SV_EUlSU_E_NS1_11comp_targetILNS1_3genE9ELNS1_11target_archE1100ELNS1_3gpuE3ELNS1_3repE0EEENS1_30default_config_static_selectorELNS0_4arch9wavefront6targetE0EEEvT1_.kd
    .uniform_work_group_size: 1
    .uses_dynamic_stack: false
    .vgpr_count:     0
    .vgpr_spill_count: 0
    .wavefront_size: 32
  - .args:
      - .offset:         0
        .size:           112
        .value_kind:     by_value
    .group_segment_fixed_size: 0
    .kernarg_segment_align: 8
    .kernarg_segment_size: 112
    .language:       OpenCL C
    .language_version:
      - 2
      - 0
    .max_flat_workgroup_size: 256
    .name:           _ZN7rocprim17ROCPRIM_400000_NS6detail17trampoline_kernelINS0_14default_configENS1_27scan_by_key_config_selectorIiiEEZZNS1_16scan_by_key_implILNS1_25lookback_scan_determinismE0ELb1ES3_N6thrust23THRUST_200600_302600_NS6detail15normal_iteratorINS9_10device_ptrIiEEEESE_SE_iNS9_4plusIvEENS9_8equal_toIiEEiEE10hipError_tPvRmT2_T3_T4_T5_mT6_T7_P12ihipStream_tbENKUlT_T0_E_clISt17integral_constantIbLb0EESZ_EEDaSU_SV_EUlSU_E_NS1_11comp_targetILNS1_3genE8ELNS1_11target_archE1030ELNS1_3gpuE2ELNS1_3repE0EEENS1_30default_config_static_selectorELNS0_4arch9wavefront6targetE0EEEvT1_
    .private_segment_fixed_size: 0
    .sgpr_count:     0
    .sgpr_spill_count: 0
    .symbol:         _ZN7rocprim17ROCPRIM_400000_NS6detail17trampoline_kernelINS0_14default_configENS1_27scan_by_key_config_selectorIiiEEZZNS1_16scan_by_key_implILNS1_25lookback_scan_determinismE0ELb1ES3_N6thrust23THRUST_200600_302600_NS6detail15normal_iteratorINS9_10device_ptrIiEEEESE_SE_iNS9_4plusIvEENS9_8equal_toIiEEiEE10hipError_tPvRmT2_T3_T4_T5_mT6_T7_P12ihipStream_tbENKUlT_T0_E_clISt17integral_constantIbLb0EESZ_EEDaSU_SV_EUlSU_E_NS1_11comp_targetILNS1_3genE8ELNS1_11target_archE1030ELNS1_3gpuE2ELNS1_3repE0EEENS1_30default_config_static_selectorELNS0_4arch9wavefront6targetE0EEEvT1_.kd
    .uniform_work_group_size: 1
    .uses_dynamic_stack: false
    .vgpr_count:     0
    .vgpr_spill_count: 0
    .wavefront_size: 32
  - .args:
      - .offset:         0
        .size:           112
        .value_kind:     by_value
    .group_segment_fixed_size: 0
    .kernarg_segment_align: 8
    .kernarg_segment_size: 112
    .language:       OpenCL C
    .language_version:
      - 2
      - 0
    .max_flat_workgroup_size: 256
    .name:           _ZN7rocprim17ROCPRIM_400000_NS6detail17trampoline_kernelINS0_14default_configENS1_27scan_by_key_config_selectorIiiEEZZNS1_16scan_by_key_implILNS1_25lookback_scan_determinismE0ELb1ES3_N6thrust23THRUST_200600_302600_NS6detail15normal_iteratorINS9_10device_ptrIiEEEESE_SE_iNS9_4plusIvEENS9_8equal_toIiEEiEE10hipError_tPvRmT2_T3_T4_T5_mT6_T7_P12ihipStream_tbENKUlT_T0_E_clISt17integral_constantIbLb1EESZ_EEDaSU_SV_EUlSU_E_NS1_11comp_targetILNS1_3genE0ELNS1_11target_archE4294967295ELNS1_3gpuE0ELNS1_3repE0EEENS1_30default_config_static_selectorELNS0_4arch9wavefront6targetE0EEEvT1_
    .private_segment_fixed_size: 0
    .sgpr_count:     0
    .sgpr_spill_count: 0
    .symbol:         _ZN7rocprim17ROCPRIM_400000_NS6detail17trampoline_kernelINS0_14default_configENS1_27scan_by_key_config_selectorIiiEEZZNS1_16scan_by_key_implILNS1_25lookback_scan_determinismE0ELb1ES3_N6thrust23THRUST_200600_302600_NS6detail15normal_iteratorINS9_10device_ptrIiEEEESE_SE_iNS9_4plusIvEENS9_8equal_toIiEEiEE10hipError_tPvRmT2_T3_T4_T5_mT6_T7_P12ihipStream_tbENKUlT_T0_E_clISt17integral_constantIbLb1EESZ_EEDaSU_SV_EUlSU_E_NS1_11comp_targetILNS1_3genE0ELNS1_11target_archE4294967295ELNS1_3gpuE0ELNS1_3repE0EEENS1_30default_config_static_selectorELNS0_4arch9wavefront6targetE0EEEvT1_.kd
    .uniform_work_group_size: 1
    .uses_dynamic_stack: false
    .vgpr_count:     0
    .vgpr_spill_count: 0
    .wavefront_size: 32
  - .args:
      - .offset:         0
        .size:           112
        .value_kind:     by_value
    .group_segment_fixed_size: 0
    .kernarg_segment_align: 8
    .kernarg_segment_size: 112
    .language:       OpenCL C
    .language_version:
      - 2
      - 0
    .max_flat_workgroup_size: 256
    .name:           _ZN7rocprim17ROCPRIM_400000_NS6detail17trampoline_kernelINS0_14default_configENS1_27scan_by_key_config_selectorIiiEEZZNS1_16scan_by_key_implILNS1_25lookback_scan_determinismE0ELb1ES3_N6thrust23THRUST_200600_302600_NS6detail15normal_iteratorINS9_10device_ptrIiEEEESE_SE_iNS9_4plusIvEENS9_8equal_toIiEEiEE10hipError_tPvRmT2_T3_T4_T5_mT6_T7_P12ihipStream_tbENKUlT_T0_E_clISt17integral_constantIbLb1EESZ_EEDaSU_SV_EUlSU_E_NS1_11comp_targetILNS1_3genE10ELNS1_11target_archE1201ELNS1_3gpuE5ELNS1_3repE0EEENS1_30default_config_static_selectorELNS0_4arch9wavefront6targetE0EEEvT1_
    .private_segment_fixed_size: 0
    .sgpr_count:     0
    .sgpr_spill_count: 0
    .symbol:         _ZN7rocprim17ROCPRIM_400000_NS6detail17trampoline_kernelINS0_14default_configENS1_27scan_by_key_config_selectorIiiEEZZNS1_16scan_by_key_implILNS1_25lookback_scan_determinismE0ELb1ES3_N6thrust23THRUST_200600_302600_NS6detail15normal_iteratorINS9_10device_ptrIiEEEESE_SE_iNS9_4plusIvEENS9_8equal_toIiEEiEE10hipError_tPvRmT2_T3_T4_T5_mT6_T7_P12ihipStream_tbENKUlT_T0_E_clISt17integral_constantIbLb1EESZ_EEDaSU_SV_EUlSU_E_NS1_11comp_targetILNS1_3genE10ELNS1_11target_archE1201ELNS1_3gpuE5ELNS1_3repE0EEENS1_30default_config_static_selectorELNS0_4arch9wavefront6targetE0EEEvT1_.kd
    .uniform_work_group_size: 1
    .uses_dynamic_stack: false
    .vgpr_count:     0
    .vgpr_spill_count: 0
    .wavefront_size: 32
  - .args:
      - .offset:         0
        .size:           112
        .value_kind:     by_value
    .group_segment_fixed_size: 0
    .kernarg_segment_align: 8
    .kernarg_segment_size: 112
    .language:       OpenCL C
    .language_version:
      - 2
      - 0
    .max_flat_workgroup_size: 256
    .name:           _ZN7rocprim17ROCPRIM_400000_NS6detail17trampoline_kernelINS0_14default_configENS1_27scan_by_key_config_selectorIiiEEZZNS1_16scan_by_key_implILNS1_25lookback_scan_determinismE0ELb1ES3_N6thrust23THRUST_200600_302600_NS6detail15normal_iteratorINS9_10device_ptrIiEEEESE_SE_iNS9_4plusIvEENS9_8equal_toIiEEiEE10hipError_tPvRmT2_T3_T4_T5_mT6_T7_P12ihipStream_tbENKUlT_T0_E_clISt17integral_constantIbLb1EESZ_EEDaSU_SV_EUlSU_E_NS1_11comp_targetILNS1_3genE5ELNS1_11target_archE942ELNS1_3gpuE9ELNS1_3repE0EEENS1_30default_config_static_selectorELNS0_4arch9wavefront6targetE0EEEvT1_
    .private_segment_fixed_size: 0
    .sgpr_count:     0
    .sgpr_spill_count: 0
    .symbol:         _ZN7rocprim17ROCPRIM_400000_NS6detail17trampoline_kernelINS0_14default_configENS1_27scan_by_key_config_selectorIiiEEZZNS1_16scan_by_key_implILNS1_25lookback_scan_determinismE0ELb1ES3_N6thrust23THRUST_200600_302600_NS6detail15normal_iteratorINS9_10device_ptrIiEEEESE_SE_iNS9_4plusIvEENS9_8equal_toIiEEiEE10hipError_tPvRmT2_T3_T4_T5_mT6_T7_P12ihipStream_tbENKUlT_T0_E_clISt17integral_constantIbLb1EESZ_EEDaSU_SV_EUlSU_E_NS1_11comp_targetILNS1_3genE5ELNS1_11target_archE942ELNS1_3gpuE9ELNS1_3repE0EEENS1_30default_config_static_selectorELNS0_4arch9wavefront6targetE0EEEvT1_.kd
    .uniform_work_group_size: 1
    .uses_dynamic_stack: false
    .vgpr_count:     0
    .vgpr_spill_count: 0
    .wavefront_size: 32
  - .args:
      - .offset:         0
        .size:           112
        .value_kind:     by_value
    .group_segment_fixed_size: 0
    .kernarg_segment_align: 8
    .kernarg_segment_size: 112
    .language:       OpenCL C
    .language_version:
      - 2
      - 0
    .max_flat_workgroup_size: 256
    .name:           _ZN7rocprim17ROCPRIM_400000_NS6detail17trampoline_kernelINS0_14default_configENS1_27scan_by_key_config_selectorIiiEEZZNS1_16scan_by_key_implILNS1_25lookback_scan_determinismE0ELb1ES3_N6thrust23THRUST_200600_302600_NS6detail15normal_iteratorINS9_10device_ptrIiEEEESE_SE_iNS9_4plusIvEENS9_8equal_toIiEEiEE10hipError_tPvRmT2_T3_T4_T5_mT6_T7_P12ihipStream_tbENKUlT_T0_E_clISt17integral_constantIbLb1EESZ_EEDaSU_SV_EUlSU_E_NS1_11comp_targetILNS1_3genE4ELNS1_11target_archE910ELNS1_3gpuE8ELNS1_3repE0EEENS1_30default_config_static_selectorELNS0_4arch9wavefront6targetE0EEEvT1_
    .private_segment_fixed_size: 0
    .sgpr_count:     0
    .sgpr_spill_count: 0
    .symbol:         _ZN7rocprim17ROCPRIM_400000_NS6detail17trampoline_kernelINS0_14default_configENS1_27scan_by_key_config_selectorIiiEEZZNS1_16scan_by_key_implILNS1_25lookback_scan_determinismE0ELb1ES3_N6thrust23THRUST_200600_302600_NS6detail15normal_iteratorINS9_10device_ptrIiEEEESE_SE_iNS9_4plusIvEENS9_8equal_toIiEEiEE10hipError_tPvRmT2_T3_T4_T5_mT6_T7_P12ihipStream_tbENKUlT_T0_E_clISt17integral_constantIbLb1EESZ_EEDaSU_SV_EUlSU_E_NS1_11comp_targetILNS1_3genE4ELNS1_11target_archE910ELNS1_3gpuE8ELNS1_3repE0EEENS1_30default_config_static_selectorELNS0_4arch9wavefront6targetE0EEEvT1_.kd
    .uniform_work_group_size: 1
    .uses_dynamic_stack: false
    .vgpr_count:     0
    .vgpr_spill_count: 0
    .wavefront_size: 32
  - .args:
      - .offset:         0
        .size:           112
        .value_kind:     by_value
    .group_segment_fixed_size: 0
    .kernarg_segment_align: 8
    .kernarg_segment_size: 112
    .language:       OpenCL C
    .language_version:
      - 2
      - 0
    .max_flat_workgroup_size: 256
    .name:           _ZN7rocprim17ROCPRIM_400000_NS6detail17trampoline_kernelINS0_14default_configENS1_27scan_by_key_config_selectorIiiEEZZNS1_16scan_by_key_implILNS1_25lookback_scan_determinismE0ELb1ES3_N6thrust23THRUST_200600_302600_NS6detail15normal_iteratorINS9_10device_ptrIiEEEESE_SE_iNS9_4plusIvEENS9_8equal_toIiEEiEE10hipError_tPvRmT2_T3_T4_T5_mT6_T7_P12ihipStream_tbENKUlT_T0_E_clISt17integral_constantIbLb1EESZ_EEDaSU_SV_EUlSU_E_NS1_11comp_targetILNS1_3genE3ELNS1_11target_archE908ELNS1_3gpuE7ELNS1_3repE0EEENS1_30default_config_static_selectorELNS0_4arch9wavefront6targetE0EEEvT1_
    .private_segment_fixed_size: 0
    .sgpr_count:     0
    .sgpr_spill_count: 0
    .symbol:         _ZN7rocprim17ROCPRIM_400000_NS6detail17trampoline_kernelINS0_14default_configENS1_27scan_by_key_config_selectorIiiEEZZNS1_16scan_by_key_implILNS1_25lookback_scan_determinismE0ELb1ES3_N6thrust23THRUST_200600_302600_NS6detail15normal_iteratorINS9_10device_ptrIiEEEESE_SE_iNS9_4plusIvEENS9_8equal_toIiEEiEE10hipError_tPvRmT2_T3_T4_T5_mT6_T7_P12ihipStream_tbENKUlT_T0_E_clISt17integral_constantIbLb1EESZ_EEDaSU_SV_EUlSU_E_NS1_11comp_targetILNS1_3genE3ELNS1_11target_archE908ELNS1_3gpuE7ELNS1_3repE0EEENS1_30default_config_static_selectorELNS0_4arch9wavefront6targetE0EEEvT1_.kd
    .uniform_work_group_size: 1
    .uses_dynamic_stack: false
    .vgpr_count:     0
    .vgpr_spill_count: 0
    .wavefront_size: 32
  - .args:
      - .offset:         0
        .size:           112
        .value_kind:     by_value
    .group_segment_fixed_size: 0
    .kernarg_segment_align: 8
    .kernarg_segment_size: 112
    .language:       OpenCL C
    .language_version:
      - 2
      - 0
    .max_flat_workgroup_size: 256
    .name:           _ZN7rocprim17ROCPRIM_400000_NS6detail17trampoline_kernelINS0_14default_configENS1_27scan_by_key_config_selectorIiiEEZZNS1_16scan_by_key_implILNS1_25lookback_scan_determinismE0ELb1ES3_N6thrust23THRUST_200600_302600_NS6detail15normal_iteratorINS9_10device_ptrIiEEEESE_SE_iNS9_4plusIvEENS9_8equal_toIiEEiEE10hipError_tPvRmT2_T3_T4_T5_mT6_T7_P12ihipStream_tbENKUlT_T0_E_clISt17integral_constantIbLb1EESZ_EEDaSU_SV_EUlSU_E_NS1_11comp_targetILNS1_3genE2ELNS1_11target_archE906ELNS1_3gpuE6ELNS1_3repE0EEENS1_30default_config_static_selectorELNS0_4arch9wavefront6targetE0EEEvT1_
    .private_segment_fixed_size: 0
    .sgpr_count:     0
    .sgpr_spill_count: 0
    .symbol:         _ZN7rocprim17ROCPRIM_400000_NS6detail17trampoline_kernelINS0_14default_configENS1_27scan_by_key_config_selectorIiiEEZZNS1_16scan_by_key_implILNS1_25lookback_scan_determinismE0ELb1ES3_N6thrust23THRUST_200600_302600_NS6detail15normal_iteratorINS9_10device_ptrIiEEEESE_SE_iNS9_4plusIvEENS9_8equal_toIiEEiEE10hipError_tPvRmT2_T3_T4_T5_mT6_T7_P12ihipStream_tbENKUlT_T0_E_clISt17integral_constantIbLb1EESZ_EEDaSU_SV_EUlSU_E_NS1_11comp_targetILNS1_3genE2ELNS1_11target_archE906ELNS1_3gpuE6ELNS1_3repE0EEENS1_30default_config_static_selectorELNS0_4arch9wavefront6targetE0EEEvT1_.kd
    .uniform_work_group_size: 1
    .uses_dynamic_stack: false
    .vgpr_count:     0
    .vgpr_spill_count: 0
    .wavefront_size: 32
  - .args:
      - .offset:         0
        .size:           112
        .value_kind:     by_value
    .group_segment_fixed_size: 0
    .kernarg_segment_align: 8
    .kernarg_segment_size: 112
    .language:       OpenCL C
    .language_version:
      - 2
      - 0
    .max_flat_workgroup_size: 256
    .name:           _ZN7rocprim17ROCPRIM_400000_NS6detail17trampoline_kernelINS0_14default_configENS1_27scan_by_key_config_selectorIiiEEZZNS1_16scan_by_key_implILNS1_25lookback_scan_determinismE0ELb1ES3_N6thrust23THRUST_200600_302600_NS6detail15normal_iteratorINS9_10device_ptrIiEEEESE_SE_iNS9_4plusIvEENS9_8equal_toIiEEiEE10hipError_tPvRmT2_T3_T4_T5_mT6_T7_P12ihipStream_tbENKUlT_T0_E_clISt17integral_constantIbLb1EESZ_EEDaSU_SV_EUlSU_E_NS1_11comp_targetILNS1_3genE10ELNS1_11target_archE1200ELNS1_3gpuE4ELNS1_3repE0EEENS1_30default_config_static_selectorELNS0_4arch9wavefront6targetE0EEEvT1_
    .private_segment_fixed_size: 0
    .sgpr_count:     0
    .sgpr_spill_count: 0
    .symbol:         _ZN7rocprim17ROCPRIM_400000_NS6detail17trampoline_kernelINS0_14default_configENS1_27scan_by_key_config_selectorIiiEEZZNS1_16scan_by_key_implILNS1_25lookback_scan_determinismE0ELb1ES3_N6thrust23THRUST_200600_302600_NS6detail15normal_iteratorINS9_10device_ptrIiEEEESE_SE_iNS9_4plusIvEENS9_8equal_toIiEEiEE10hipError_tPvRmT2_T3_T4_T5_mT6_T7_P12ihipStream_tbENKUlT_T0_E_clISt17integral_constantIbLb1EESZ_EEDaSU_SV_EUlSU_E_NS1_11comp_targetILNS1_3genE10ELNS1_11target_archE1200ELNS1_3gpuE4ELNS1_3repE0EEENS1_30default_config_static_selectorELNS0_4arch9wavefront6targetE0EEEvT1_.kd
    .uniform_work_group_size: 1
    .uses_dynamic_stack: false
    .vgpr_count:     0
    .vgpr_spill_count: 0
    .wavefront_size: 32
  - .args:
      - .offset:         0
        .size:           112
        .value_kind:     by_value
    .group_segment_fixed_size: 0
    .kernarg_segment_align: 8
    .kernarg_segment_size: 112
    .language:       OpenCL C
    .language_version:
      - 2
      - 0
    .max_flat_workgroup_size: 256
    .name:           _ZN7rocprim17ROCPRIM_400000_NS6detail17trampoline_kernelINS0_14default_configENS1_27scan_by_key_config_selectorIiiEEZZNS1_16scan_by_key_implILNS1_25lookback_scan_determinismE0ELb1ES3_N6thrust23THRUST_200600_302600_NS6detail15normal_iteratorINS9_10device_ptrIiEEEESE_SE_iNS9_4plusIvEENS9_8equal_toIiEEiEE10hipError_tPvRmT2_T3_T4_T5_mT6_T7_P12ihipStream_tbENKUlT_T0_E_clISt17integral_constantIbLb1EESZ_EEDaSU_SV_EUlSU_E_NS1_11comp_targetILNS1_3genE9ELNS1_11target_archE1100ELNS1_3gpuE3ELNS1_3repE0EEENS1_30default_config_static_selectorELNS0_4arch9wavefront6targetE0EEEvT1_
    .private_segment_fixed_size: 0
    .sgpr_count:     0
    .sgpr_spill_count: 0
    .symbol:         _ZN7rocprim17ROCPRIM_400000_NS6detail17trampoline_kernelINS0_14default_configENS1_27scan_by_key_config_selectorIiiEEZZNS1_16scan_by_key_implILNS1_25lookback_scan_determinismE0ELb1ES3_N6thrust23THRUST_200600_302600_NS6detail15normal_iteratorINS9_10device_ptrIiEEEESE_SE_iNS9_4plusIvEENS9_8equal_toIiEEiEE10hipError_tPvRmT2_T3_T4_T5_mT6_T7_P12ihipStream_tbENKUlT_T0_E_clISt17integral_constantIbLb1EESZ_EEDaSU_SV_EUlSU_E_NS1_11comp_targetILNS1_3genE9ELNS1_11target_archE1100ELNS1_3gpuE3ELNS1_3repE0EEENS1_30default_config_static_selectorELNS0_4arch9wavefront6targetE0EEEvT1_.kd
    .uniform_work_group_size: 1
    .uses_dynamic_stack: false
    .vgpr_count:     0
    .vgpr_spill_count: 0
    .wavefront_size: 32
  - .args:
      - .offset:         0
        .size:           112
        .value_kind:     by_value
    .group_segment_fixed_size: 0
    .kernarg_segment_align: 8
    .kernarg_segment_size: 112
    .language:       OpenCL C
    .language_version:
      - 2
      - 0
    .max_flat_workgroup_size: 256
    .name:           _ZN7rocprim17ROCPRIM_400000_NS6detail17trampoline_kernelINS0_14default_configENS1_27scan_by_key_config_selectorIiiEEZZNS1_16scan_by_key_implILNS1_25lookback_scan_determinismE0ELb1ES3_N6thrust23THRUST_200600_302600_NS6detail15normal_iteratorINS9_10device_ptrIiEEEESE_SE_iNS9_4plusIvEENS9_8equal_toIiEEiEE10hipError_tPvRmT2_T3_T4_T5_mT6_T7_P12ihipStream_tbENKUlT_T0_E_clISt17integral_constantIbLb1EESZ_EEDaSU_SV_EUlSU_E_NS1_11comp_targetILNS1_3genE8ELNS1_11target_archE1030ELNS1_3gpuE2ELNS1_3repE0EEENS1_30default_config_static_selectorELNS0_4arch9wavefront6targetE0EEEvT1_
    .private_segment_fixed_size: 0
    .sgpr_count:     0
    .sgpr_spill_count: 0
    .symbol:         _ZN7rocprim17ROCPRIM_400000_NS6detail17trampoline_kernelINS0_14default_configENS1_27scan_by_key_config_selectorIiiEEZZNS1_16scan_by_key_implILNS1_25lookback_scan_determinismE0ELb1ES3_N6thrust23THRUST_200600_302600_NS6detail15normal_iteratorINS9_10device_ptrIiEEEESE_SE_iNS9_4plusIvEENS9_8equal_toIiEEiEE10hipError_tPvRmT2_T3_T4_T5_mT6_T7_P12ihipStream_tbENKUlT_T0_E_clISt17integral_constantIbLb1EESZ_EEDaSU_SV_EUlSU_E_NS1_11comp_targetILNS1_3genE8ELNS1_11target_archE1030ELNS1_3gpuE2ELNS1_3repE0EEENS1_30default_config_static_selectorELNS0_4arch9wavefront6targetE0EEEvT1_.kd
    .uniform_work_group_size: 1
    .uses_dynamic_stack: false
    .vgpr_count:     0
    .vgpr_spill_count: 0
    .wavefront_size: 32
  - .args:
      - .offset:         0
        .size:           112
        .value_kind:     by_value
    .group_segment_fixed_size: 0
    .kernarg_segment_align: 8
    .kernarg_segment_size: 112
    .language:       OpenCL C
    .language_version:
      - 2
      - 0
    .max_flat_workgroup_size: 256
    .name:           _ZN7rocprim17ROCPRIM_400000_NS6detail17trampoline_kernelINS0_14default_configENS1_27scan_by_key_config_selectorIiiEEZZNS1_16scan_by_key_implILNS1_25lookback_scan_determinismE0ELb1ES3_N6thrust23THRUST_200600_302600_NS6detail15normal_iteratorINS9_10device_ptrIiEEEESE_SE_iNS9_4plusIvEENS9_8equal_toIiEEiEE10hipError_tPvRmT2_T3_T4_T5_mT6_T7_P12ihipStream_tbENKUlT_T0_E_clISt17integral_constantIbLb1EESY_IbLb0EEEEDaSU_SV_EUlSU_E_NS1_11comp_targetILNS1_3genE0ELNS1_11target_archE4294967295ELNS1_3gpuE0ELNS1_3repE0EEENS1_30default_config_static_selectorELNS0_4arch9wavefront6targetE0EEEvT1_
    .private_segment_fixed_size: 0
    .sgpr_count:     0
    .sgpr_spill_count: 0
    .symbol:         _ZN7rocprim17ROCPRIM_400000_NS6detail17trampoline_kernelINS0_14default_configENS1_27scan_by_key_config_selectorIiiEEZZNS1_16scan_by_key_implILNS1_25lookback_scan_determinismE0ELb1ES3_N6thrust23THRUST_200600_302600_NS6detail15normal_iteratorINS9_10device_ptrIiEEEESE_SE_iNS9_4plusIvEENS9_8equal_toIiEEiEE10hipError_tPvRmT2_T3_T4_T5_mT6_T7_P12ihipStream_tbENKUlT_T0_E_clISt17integral_constantIbLb1EESY_IbLb0EEEEDaSU_SV_EUlSU_E_NS1_11comp_targetILNS1_3genE0ELNS1_11target_archE4294967295ELNS1_3gpuE0ELNS1_3repE0EEENS1_30default_config_static_selectorELNS0_4arch9wavefront6targetE0EEEvT1_.kd
    .uniform_work_group_size: 1
    .uses_dynamic_stack: false
    .vgpr_count:     0
    .vgpr_spill_count: 0
    .wavefront_size: 32
  - .args:
      - .offset:         0
        .size:           112
        .value_kind:     by_value
    .group_segment_fixed_size: 0
    .kernarg_segment_align: 8
    .kernarg_segment_size: 112
    .language:       OpenCL C
    .language_version:
      - 2
      - 0
    .max_flat_workgroup_size: 256
    .name:           _ZN7rocprim17ROCPRIM_400000_NS6detail17trampoline_kernelINS0_14default_configENS1_27scan_by_key_config_selectorIiiEEZZNS1_16scan_by_key_implILNS1_25lookback_scan_determinismE0ELb1ES3_N6thrust23THRUST_200600_302600_NS6detail15normal_iteratorINS9_10device_ptrIiEEEESE_SE_iNS9_4plusIvEENS9_8equal_toIiEEiEE10hipError_tPvRmT2_T3_T4_T5_mT6_T7_P12ihipStream_tbENKUlT_T0_E_clISt17integral_constantIbLb1EESY_IbLb0EEEEDaSU_SV_EUlSU_E_NS1_11comp_targetILNS1_3genE10ELNS1_11target_archE1201ELNS1_3gpuE5ELNS1_3repE0EEENS1_30default_config_static_selectorELNS0_4arch9wavefront6targetE0EEEvT1_
    .private_segment_fixed_size: 0
    .sgpr_count:     0
    .sgpr_spill_count: 0
    .symbol:         _ZN7rocprim17ROCPRIM_400000_NS6detail17trampoline_kernelINS0_14default_configENS1_27scan_by_key_config_selectorIiiEEZZNS1_16scan_by_key_implILNS1_25lookback_scan_determinismE0ELb1ES3_N6thrust23THRUST_200600_302600_NS6detail15normal_iteratorINS9_10device_ptrIiEEEESE_SE_iNS9_4plusIvEENS9_8equal_toIiEEiEE10hipError_tPvRmT2_T3_T4_T5_mT6_T7_P12ihipStream_tbENKUlT_T0_E_clISt17integral_constantIbLb1EESY_IbLb0EEEEDaSU_SV_EUlSU_E_NS1_11comp_targetILNS1_3genE10ELNS1_11target_archE1201ELNS1_3gpuE5ELNS1_3repE0EEENS1_30default_config_static_selectorELNS0_4arch9wavefront6targetE0EEEvT1_.kd
    .uniform_work_group_size: 1
    .uses_dynamic_stack: false
    .vgpr_count:     0
    .vgpr_spill_count: 0
    .wavefront_size: 32
  - .args:
      - .offset:         0
        .size:           112
        .value_kind:     by_value
    .group_segment_fixed_size: 0
    .kernarg_segment_align: 8
    .kernarg_segment_size: 112
    .language:       OpenCL C
    .language_version:
      - 2
      - 0
    .max_flat_workgroup_size: 256
    .name:           _ZN7rocprim17ROCPRIM_400000_NS6detail17trampoline_kernelINS0_14default_configENS1_27scan_by_key_config_selectorIiiEEZZNS1_16scan_by_key_implILNS1_25lookback_scan_determinismE0ELb1ES3_N6thrust23THRUST_200600_302600_NS6detail15normal_iteratorINS9_10device_ptrIiEEEESE_SE_iNS9_4plusIvEENS9_8equal_toIiEEiEE10hipError_tPvRmT2_T3_T4_T5_mT6_T7_P12ihipStream_tbENKUlT_T0_E_clISt17integral_constantIbLb1EESY_IbLb0EEEEDaSU_SV_EUlSU_E_NS1_11comp_targetILNS1_3genE5ELNS1_11target_archE942ELNS1_3gpuE9ELNS1_3repE0EEENS1_30default_config_static_selectorELNS0_4arch9wavefront6targetE0EEEvT1_
    .private_segment_fixed_size: 0
    .sgpr_count:     0
    .sgpr_spill_count: 0
    .symbol:         _ZN7rocprim17ROCPRIM_400000_NS6detail17trampoline_kernelINS0_14default_configENS1_27scan_by_key_config_selectorIiiEEZZNS1_16scan_by_key_implILNS1_25lookback_scan_determinismE0ELb1ES3_N6thrust23THRUST_200600_302600_NS6detail15normal_iteratorINS9_10device_ptrIiEEEESE_SE_iNS9_4plusIvEENS9_8equal_toIiEEiEE10hipError_tPvRmT2_T3_T4_T5_mT6_T7_P12ihipStream_tbENKUlT_T0_E_clISt17integral_constantIbLb1EESY_IbLb0EEEEDaSU_SV_EUlSU_E_NS1_11comp_targetILNS1_3genE5ELNS1_11target_archE942ELNS1_3gpuE9ELNS1_3repE0EEENS1_30default_config_static_selectorELNS0_4arch9wavefront6targetE0EEEvT1_.kd
    .uniform_work_group_size: 1
    .uses_dynamic_stack: false
    .vgpr_count:     0
    .vgpr_spill_count: 0
    .wavefront_size: 32
  - .args:
      - .offset:         0
        .size:           112
        .value_kind:     by_value
    .group_segment_fixed_size: 0
    .kernarg_segment_align: 8
    .kernarg_segment_size: 112
    .language:       OpenCL C
    .language_version:
      - 2
      - 0
    .max_flat_workgroup_size: 256
    .name:           _ZN7rocprim17ROCPRIM_400000_NS6detail17trampoline_kernelINS0_14default_configENS1_27scan_by_key_config_selectorIiiEEZZNS1_16scan_by_key_implILNS1_25lookback_scan_determinismE0ELb1ES3_N6thrust23THRUST_200600_302600_NS6detail15normal_iteratorINS9_10device_ptrIiEEEESE_SE_iNS9_4plusIvEENS9_8equal_toIiEEiEE10hipError_tPvRmT2_T3_T4_T5_mT6_T7_P12ihipStream_tbENKUlT_T0_E_clISt17integral_constantIbLb1EESY_IbLb0EEEEDaSU_SV_EUlSU_E_NS1_11comp_targetILNS1_3genE4ELNS1_11target_archE910ELNS1_3gpuE8ELNS1_3repE0EEENS1_30default_config_static_selectorELNS0_4arch9wavefront6targetE0EEEvT1_
    .private_segment_fixed_size: 0
    .sgpr_count:     0
    .sgpr_spill_count: 0
    .symbol:         _ZN7rocprim17ROCPRIM_400000_NS6detail17trampoline_kernelINS0_14default_configENS1_27scan_by_key_config_selectorIiiEEZZNS1_16scan_by_key_implILNS1_25lookback_scan_determinismE0ELb1ES3_N6thrust23THRUST_200600_302600_NS6detail15normal_iteratorINS9_10device_ptrIiEEEESE_SE_iNS9_4plusIvEENS9_8equal_toIiEEiEE10hipError_tPvRmT2_T3_T4_T5_mT6_T7_P12ihipStream_tbENKUlT_T0_E_clISt17integral_constantIbLb1EESY_IbLb0EEEEDaSU_SV_EUlSU_E_NS1_11comp_targetILNS1_3genE4ELNS1_11target_archE910ELNS1_3gpuE8ELNS1_3repE0EEENS1_30default_config_static_selectorELNS0_4arch9wavefront6targetE0EEEvT1_.kd
    .uniform_work_group_size: 1
    .uses_dynamic_stack: false
    .vgpr_count:     0
    .vgpr_spill_count: 0
    .wavefront_size: 32
  - .args:
      - .offset:         0
        .size:           112
        .value_kind:     by_value
    .group_segment_fixed_size: 0
    .kernarg_segment_align: 8
    .kernarg_segment_size: 112
    .language:       OpenCL C
    .language_version:
      - 2
      - 0
    .max_flat_workgroup_size: 256
    .name:           _ZN7rocprim17ROCPRIM_400000_NS6detail17trampoline_kernelINS0_14default_configENS1_27scan_by_key_config_selectorIiiEEZZNS1_16scan_by_key_implILNS1_25lookback_scan_determinismE0ELb1ES3_N6thrust23THRUST_200600_302600_NS6detail15normal_iteratorINS9_10device_ptrIiEEEESE_SE_iNS9_4plusIvEENS9_8equal_toIiEEiEE10hipError_tPvRmT2_T3_T4_T5_mT6_T7_P12ihipStream_tbENKUlT_T0_E_clISt17integral_constantIbLb1EESY_IbLb0EEEEDaSU_SV_EUlSU_E_NS1_11comp_targetILNS1_3genE3ELNS1_11target_archE908ELNS1_3gpuE7ELNS1_3repE0EEENS1_30default_config_static_selectorELNS0_4arch9wavefront6targetE0EEEvT1_
    .private_segment_fixed_size: 0
    .sgpr_count:     0
    .sgpr_spill_count: 0
    .symbol:         _ZN7rocprim17ROCPRIM_400000_NS6detail17trampoline_kernelINS0_14default_configENS1_27scan_by_key_config_selectorIiiEEZZNS1_16scan_by_key_implILNS1_25lookback_scan_determinismE0ELb1ES3_N6thrust23THRUST_200600_302600_NS6detail15normal_iteratorINS9_10device_ptrIiEEEESE_SE_iNS9_4plusIvEENS9_8equal_toIiEEiEE10hipError_tPvRmT2_T3_T4_T5_mT6_T7_P12ihipStream_tbENKUlT_T0_E_clISt17integral_constantIbLb1EESY_IbLb0EEEEDaSU_SV_EUlSU_E_NS1_11comp_targetILNS1_3genE3ELNS1_11target_archE908ELNS1_3gpuE7ELNS1_3repE0EEENS1_30default_config_static_selectorELNS0_4arch9wavefront6targetE0EEEvT1_.kd
    .uniform_work_group_size: 1
    .uses_dynamic_stack: false
    .vgpr_count:     0
    .vgpr_spill_count: 0
    .wavefront_size: 32
  - .args:
      - .offset:         0
        .size:           112
        .value_kind:     by_value
    .group_segment_fixed_size: 0
    .kernarg_segment_align: 8
    .kernarg_segment_size: 112
    .language:       OpenCL C
    .language_version:
      - 2
      - 0
    .max_flat_workgroup_size: 256
    .name:           _ZN7rocprim17ROCPRIM_400000_NS6detail17trampoline_kernelINS0_14default_configENS1_27scan_by_key_config_selectorIiiEEZZNS1_16scan_by_key_implILNS1_25lookback_scan_determinismE0ELb1ES3_N6thrust23THRUST_200600_302600_NS6detail15normal_iteratorINS9_10device_ptrIiEEEESE_SE_iNS9_4plusIvEENS9_8equal_toIiEEiEE10hipError_tPvRmT2_T3_T4_T5_mT6_T7_P12ihipStream_tbENKUlT_T0_E_clISt17integral_constantIbLb1EESY_IbLb0EEEEDaSU_SV_EUlSU_E_NS1_11comp_targetILNS1_3genE2ELNS1_11target_archE906ELNS1_3gpuE6ELNS1_3repE0EEENS1_30default_config_static_selectorELNS0_4arch9wavefront6targetE0EEEvT1_
    .private_segment_fixed_size: 0
    .sgpr_count:     0
    .sgpr_spill_count: 0
    .symbol:         _ZN7rocprim17ROCPRIM_400000_NS6detail17trampoline_kernelINS0_14default_configENS1_27scan_by_key_config_selectorIiiEEZZNS1_16scan_by_key_implILNS1_25lookback_scan_determinismE0ELb1ES3_N6thrust23THRUST_200600_302600_NS6detail15normal_iteratorINS9_10device_ptrIiEEEESE_SE_iNS9_4plusIvEENS9_8equal_toIiEEiEE10hipError_tPvRmT2_T3_T4_T5_mT6_T7_P12ihipStream_tbENKUlT_T0_E_clISt17integral_constantIbLb1EESY_IbLb0EEEEDaSU_SV_EUlSU_E_NS1_11comp_targetILNS1_3genE2ELNS1_11target_archE906ELNS1_3gpuE6ELNS1_3repE0EEENS1_30default_config_static_selectorELNS0_4arch9wavefront6targetE0EEEvT1_.kd
    .uniform_work_group_size: 1
    .uses_dynamic_stack: false
    .vgpr_count:     0
    .vgpr_spill_count: 0
    .wavefront_size: 32
  - .args:
      - .offset:         0
        .size:           112
        .value_kind:     by_value
    .group_segment_fixed_size: 0
    .kernarg_segment_align: 8
    .kernarg_segment_size: 112
    .language:       OpenCL C
    .language_version:
      - 2
      - 0
    .max_flat_workgroup_size: 256
    .name:           _ZN7rocprim17ROCPRIM_400000_NS6detail17trampoline_kernelINS0_14default_configENS1_27scan_by_key_config_selectorIiiEEZZNS1_16scan_by_key_implILNS1_25lookback_scan_determinismE0ELb1ES3_N6thrust23THRUST_200600_302600_NS6detail15normal_iteratorINS9_10device_ptrIiEEEESE_SE_iNS9_4plusIvEENS9_8equal_toIiEEiEE10hipError_tPvRmT2_T3_T4_T5_mT6_T7_P12ihipStream_tbENKUlT_T0_E_clISt17integral_constantIbLb1EESY_IbLb0EEEEDaSU_SV_EUlSU_E_NS1_11comp_targetILNS1_3genE10ELNS1_11target_archE1200ELNS1_3gpuE4ELNS1_3repE0EEENS1_30default_config_static_selectorELNS0_4arch9wavefront6targetE0EEEvT1_
    .private_segment_fixed_size: 0
    .sgpr_count:     0
    .sgpr_spill_count: 0
    .symbol:         _ZN7rocprim17ROCPRIM_400000_NS6detail17trampoline_kernelINS0_14default_configENS1_27scan_by_key_config_selectorIiiEEZZNS1_16scan_by_key_implILNS1_25lookback_scan_determinismE0ELb1ES3_N6thrust23THRUST_200600_302600_NS6detail15normal_iteratorINS9_10device_ptrIiEEEESE_SE_iNS9_4plusIvEENS9_8equal_toIiEEiEE10hipError_tPvRmT2_T3_T4_T5_mT6_T7_P12ihipStream_tbENKUlT_T0_E_clISt17integral_constantIbLb1EESY_IbLb0EEEEDaSU_SV_EUlSU_E_NS1_11comp_targetILNS1_3genE10ELNS1_11target_archE1200ELNS1_3gpuE4ELNS1_3repE0EEENS1_30default_config_static_selectorELNS0_4arch9wavefront6targetE0EEEvT1_.kd
    .uniform_work_group_size: 1
    .uses_dynamic_stack: false
    .vgpr_count:     0
    .vgpr_spill_count: 0
    .wavefront_size: 32
  - .args:
      - .offset:         0
        .size:           112
        .value_kind:     by_value
    .group_segment_fixed_size: 0
    .kernarg_segment_align: 8
    .kernarg_segment_size: 112
    .language:       OpenCL C
    .language_version:
      - 2
      - 0
    .max_flat_workgroup_size: 256
    .name:           _ZN7rocprim17ROCPRIM_400000_NS6detail17trampoline_kernelINS0_14default_configENS1_27scan_by_key_config_selectorIiiEEZZNS1_16scan_by_key_implILNS1_25lookback_scan_determinismE0ELb1ES3_N6thrust23THRUST_200600_302600_NS6detail15normal_iteratorINS9_10device_ptrIiEEEESE_SE_iNS9_4plusIvEENS9_8equal_toIiEEiEE10hipError_tPvRmT2_T3_T4_T5_mT6_T7_P12ihipStream_tbENKUlT_T0_E_clISt17integral_constantIbLb1EESY_IbLb0EEEEDaSU_SV_EUlSU_E_NS1_11comp_targetILNS1_3genE9ELNS1_11target_archE1100ELNS1_3gpuE3ELNS1_3repE0EEENS1_30default_config_static_selectorELNS0_4arch9wavefront6targetE0EEEvT1_
    .private_segment_fixed_size: 0
    .sgpr_count:     0
    .sgpr_spill_count: 0
    .symbol:         _ZN7rocprim17ROCPRIM_400000_NS6detail17trampoline_kernelINS0_14default_configENS1_27scan_by_key_config_selectorIiiEEZZNS1_16scan_by_key_implILNS1_25lookback_scan_determinismE0ELb1ES3_N6thrust23THRUST_200600_302600_NS6detail15normal_iteratorINS9_10device_ptrIiEEEESE_SE_iNS9_4plusIvEENS9_8equal_toIiEEiEE10hipError_tPvRmT2_T3_T4_T5_mT6_T7_P12ihipStream_tbENKUlT_T0_E_clISt17integral_constantIbLb1EESY_IbLb0EEEEDaSU_SV_EUlSU_E_NS1_11comp_targetILNS1_3genE9ELNS1_11target_archE1100ELNS1_3gpuE3ELNS1_3repE0EEENS1_30default_config_static_selectorELNS0_4arch9wavefront6targetE0EEEvT1_.kd
    .uniform_work_group_size: 1
    .uses_dynamic_stack: false
    .vgpr_count:     0
    .vgpr_spill_count: 0
    .wavefront_size: 32
  - .args:
      - .offset:         0
        .size:           112
        .value_kind:     by_value
    .group_segment_fixed_size: 0
    .kernarg_segment_align: 8
    .kernarg_segment_size: 112
    .language:       OpenCL C
    .language_version:
      - 2
      - 0
    .max_flat_workgroup_size: 256
    .name:           _ZN7rocprim17ROCPRIM_400000_NS6detail17trampoline_kernelINS0_14default_configENS1_27scan_by_key_config_selectorIiiEEZZNS1_16scan_by_key_implILNS1_25lookback_scan_determinismE0ELb1ES3_N6thrust23THRUST_200600_302600_NS6detail15normal_iteratorINS9_10device_ptrIiEEEESE_SE_iNS9_4plusIvEENS9_8equal_toIiEEiEE10hipError_tPvRmT2_T3_T4_T5_mT6_T7_P12ihipStream_tbENKUlT_T0_E_clISt17integral_constantIbLb1EESY_IbLb0EEEEDaSU_SV_EUlSU_E_NS1_11comp_targetILNS1_3genE8ELNS1_11target_archE1030ELNS1_3gpuE2ELNS1_3repE0EEENS1_30default_config_static_selectorELNS0_4arch9wavefront6targetE0EEEvT1_
    .private_segment_fixed_size: 0
    .sgpr_count:     0
    .sgpr_spill_count: 0
    .symbol:         _ZN7rocprim17ROCPRIM_400000_NS6detail17trampoline_kernelINS0_14default_configENS1_27scan_by_key_config_selectorIiiEEZZNS1_16scan_by_key_implILNS1_25lookback_scan_determinismE0ELb1ES3_N6thrust23THRUST_200600_302600_NS6detail15normal_iteratorINS9_10device_ptrIiEEEESE_SE_iNS9_4plusIvEENS9_8equal_toIiEEiEE10hipError_tPvRmT2_T3_T4_T5_mT6_T7_P12ihipStream_tbENKUlT_T0_E_clISt17integral_constantIbLb1EESY_IbLb0EEEEDaSU_SV_EUlSU_E_NS1_11comp_targetILNS1_3genE8ELNS1_11target_archE1030ELNS1_3gpuE2ELNS1_3repE0EEENS1_30default_config_static_selectorELNS0_4arch9wavefront6targetE0EEEvT1_.kd
    .uniform_work_group_size: 1
    .uses_dynamic_stack: false
    .vgpr_count:     0
    .vgpr_spill_count: 0
    .wavefront_size: 32
  - .args:
      - .offset:         0
        .size:           112
        .value_kind:     by_value
    .group_segment_fixed_size: 14336
    .kernarg_segment_align: 8
    .kernarg_segment_size: 112
    .language:       OpenCL C
    .language_version:
      - 2
      - 0
    .max_flat_workgroup_size: 256
    .name:           _ZN7rocprim17ROCPRIM_400000_NS6detail17trampoline_kernelINS0_14default_configENS1_27scan_by_key_config_selectorIiiEEZZNS1_16scan_by_key_implILNS1_25lookback_scan_determinismE0ELb1ES3_N6thrust23THRUST_200600_302600_NS6detail15normal_iteratorINS9_10device_ptrIiEEEESE_SE_iNS9_4plusIvEENS9_8equal_toIiEEiEE10hipError_tPvRmT2_T3_T4_T5_mT6_T7_P12ihipStream_tbENKUlT_T0_E_clISt17integral_constantIbLb0EESY_IbLb1EEEEDaSU_SV_EUlSU_E_NS1_11comp_targetILNS1_3genE0ELNS1_11target_archE4294967295ELNS1_3gpuE0ELNS1_3repE0EEENS1_30default_config_static_selectorELNS0_4arch9wavefront6targetE0EEEvT1_
    .private_segment_fixed_size: 0
    .sgpr_count:     41
    .sgpr_spill_count: 0
    .symbol:         _ZN7rocprim17ROCPRIM_400000_NS6detail17trampoline_kernelINS0_14default_configENS1_27scan_by_key_config_selectorIiiEEZZNS1_16scan_by_key_implILNS1_25lookback_scan_determinismE0ELb1ES3_N6thrust23THRUST_200600_302600_NS6detail15normal_iteratorINS9_10device_ptrIiEEEESE_SE_iNS9_4plusIvEENS9_8equal_toIiEEiEE10hipError_tPvRmT2_T3_T4_T5_mT6_T7_P12ihipStream_tbENKUlT_T0_E_clISt17integral_constantIbLb0EESY_IbLb1EEEEDaSU_SV_EUlSU_E_NS1_11comp_targetILNS1_3genE0ELNS1_11target_archE4294967295ELNS1_3gpuE0ELNS1_3repE0EEENS1_30default_config_static_selectorELNS0_4arch9wavefront6targetE0EEEvT1_.kd
    .uniform_work_group_size: 1
    .uses_dynamic_stack: false
    .vgpr_count:     62
    .vgpr_spill_count: 0
    .wavefront_size: 32
  - .args:
      - .offset:         0
        .size:           112
        .value_kind:     by_value
    .group_segment_fixed_size: 0
    .kernarg_segment_align: 8
    .kernarg_segment_size: 112
    .language:       OpenCL C
    .language_version:
      - 2
      - 0
    .max_flat_workgroup_size: 256
    .name:           _ZN7rocprim17ROCPRIM_400000_NS6detail17trampoline_kernelINS0_14default_configENS1_27scan_by_key_config_selectorIiiEEZZNS1_16scan_by_key_implILNS1_25lookback_scan_determinismE0ELb1ES3_N6thrust23THRUST_200600_302600_NS6detail15normal_iteratorINS9_10device_ptrIiEEEESE_SE_iNS9_4plusIvEENS9_8equal_toIiEEiEE10hipError_tPvRmT2_T3_T4_T5_mT6_T7_P12ihipStream_tbENKUlT_T0_E_clISt17integral_constantIbLb0EESY_IbLb1EEEEDaSU_SV_EUlSU_E_NS1_11comp_targetILNS1_3genE10ELNS1_11target_archE1201ELNS1_3gpuE5ELNS1_3repE0EEENS1_30default_config_static_selectorELNS0_4arch9wavefront6targetE0EEEvT1_
    .private_segment_fixed_size: 0
    .sgpr_count:     0
    .sgpr_spill_count: 0
    .symbol:         _ZN7rocprim17ROCPRIM_400000_NS6detail17trampoline_kernelINS0_14default_configENS1_27scan_by_key_config_selectorIiiEEZZNS1_16scan_by_key_implILNS1_25lookback_scan_determinismE0ELb1ES3_N6thrust23THRUST_200600_302600_NS6detail15normal_iteratorINS9_10device_ptrIiEEEESE_SE_iNS9_4plusIvEENS9_8equal_toIiEEiEE10hipError_tPvRmT2_T3_T4_T5_mT6_T7_P12ihipStream_tbENKUlT_T0_E_clISt17integral_constantIbLb0EESY_IbLb1EEEEDaSU_SV_EUlSU_E_NS1_11comp_targetILNS1_3genE10ELNS1_11target_archE1201ELNS1_3gpuE5ELNS1_3repE0EEENS1_30default_config_static_selectorELNS0_4arch9wavefront6targetE0EEEvT1_.kd
    .uniform_work_group_size: 1
    .uses_dynamic_stack: false
    .vgpr_count:     0
    .vgpr_spill_count: 0
    .wavefront_size: 32
  - .args:
      - .offset:         0
        .size:           112
        .value_kind:     by_value
    .group_segment_fixed_size: 0
    .kernarg_segment_align: 8
    .kernarg_segment_size: 112
    .language:       OpenCL C
    .language_version:
      - 2
      - 0
    .max_flat_workgroup_size: 256
    .name:           _ZN7rocprim17ROCPRIM_400000_NS6detail17trampoline_kernelINS0_14default_configENS1_27scan_by_key_config_selectorIiiEEZZNS1_16scan_by_key_implILNS1_25lookback_scan_determinismE0ELb1ES3_N6thrust23THRUST_200600_302600_NS6detail15normal_iteratorINS9_10device_ptrIiEEEESE_SE_iNS9_4plusIvEENS9_8equal_toIiEEiEE10hipError_tPvRmT2_T3_T4_T5_mT6_T7_P12ihipStream_tbENKUlT_T0_E_clISt17integral_constantIbLb0EESY_IbLb1EEEEDaSU_SV_EUlSU_E_NS1_11comp_targetILNS1_3genE5ELNS1_11target_archE942ELNS1_3gpuE9ELNS1_3repE0EEENS1_30default_config_static_selectorELNS0_4arch9wavefront6targetE0EEEvT1_
    .private_segment_fixed_size: 0
    .sgpr_count:     0
    .sgpr_spill_count: 0
    .symbol:         _ZN7rocprim17ROCPRIM_400000_NS6detail17trampoline_kernelINS0_14default_configENS1_27scan_by_key_config_selectorIiiEEZZNS1_16scan_by_key_implILNS1_25lookback_scan_determinismE0ELb1ES3_N6thrust23THRUST_200600_302600_NS6detail15normal_iteratorINS9_10device_ptrIiEEEESE_SE_iNS9_4plusIvEENS9_8equal_toIiEEiEE10hipError_tPvRmT2_T3_T4_T5_mT6_T7_P12ihipStream_tbENKUlT_T0_E_clISt17integral_constantIbLb0EESY_IbLb1EEEEDaSU_SV_EUlSU_E_NS1_11comp_targetILNS1_3genE5ELNS1_11target_archE942ELNS1_3gpuE9ELNS1_3repE0EEENS1_30default_config_static_selectorELNS0_4arch9wavefront6targetE0EEEvT1_.kd
    .uniform_work_group_size: 1
    .uses_dynamic_stack: false
    .vgpr_count:     0
    .vgpr_spill_count: 0
    .wavefront_size: 32
  - .args:
      - .offset:         0
        .size:           112
        .value_kind:     by_value
    .group_segment_fixed_size: 0
    .kernarg_segment_align: 8
    .kernarg_segment_size: 112
    .language:       OpenCL C
    .language_version:
      - 2
      - 0
    .max_flat_workgroup_size: 256
    .name:           _ZN7rocprim17ROCPRIM_400000_NS6detail17trampoline_kernelINS0_14default_configENS1_27scan_by_key_config_selectorIiiEEZZNS1_16scan_by_key_implILNS1_25lookback_scan_determinismE0ELb1ES3_N6thrust23THRUST_200600_302600_NS6detail15normal_iteratorINS9_10device_ptrIiEEEESE_SE_iNS9_4plusIvEENS9_8equal_toIiEEiEE10hipError_tPvRmT2_T3_T4_T5_mT6_T7_P12ihipStream_tbENKUlT_T0_E_clISt17integral_constantIbLb0EESY_IbLb1EEEEDaSU_SV_EUlSU_E_NS1_11comp_targetILNS1_3genE4ELNS1_11target_archE910ELNS1_3gpuE8ELNS1_3repE0EEENS1_30default_config_static_selectorELNS0_4arch9wavefront6targetE0EEEvT1_
    .private_segment_fixed_size: 0
    .sgpr_count:     0
    .sgpr_spill_count: 0
    .symbol:         _ZN7rocprim17ROCPRIM_400000_NS6detail17trampoline_kernelINS0_14default_configENS1_27scan_by_key_config_selectorIiiEEZZNS1_16scan_by_key_implILNS1_25lookback_scan_determinismE0ELb1ES3_N6thrust23THRUST_200600_302600_NS6detail15normal_iteratorINS9_10device_ptrIiEEEESE_SE_iNS9_4plusIvEENS9_8equal_toIiEEiEE10hipError_tPvRmT2_T3_T4_T5_mT6_T7_P12ihipStream_tbENKUlT_T0_E_clISt17integral_constantIbLb0EESY_IbLb1EEEEDaSU_SV_EUlSU_E_NS1_11comp_targetILNS1_3genE4ELNS1_11target_archE910ELNS1_3gpuE8ELNS1_3repE0EEENS1_30default_config_static_selectorELNS0_4arch9wavefront6targetE0EEEvT1_.kd
    .uniform_work_group_size: 1
    .uses_dynamic_stack: false
    .vgpr_count:     0
    .vgpr_spill_count: 0
    .wavefront_size: 32
  - .args:
      - .offset:         0
        .size:           112
        .value_kind:     by_value
    .group_segment_fixed_size: 0
    .kernarg_segment_align: 8
    .kernarg_segment_size: 112
    .language:       OpenCL C
    .language_version:
      - 2
      - 0
    .max_flat_workgroup_size: 256
    .name:           _ZN7rocprim17ROCPRIM_400000_NS6detail17trampoline_kernelINS0_14default_configENS1_27scan_by_key_config_selectorIiiEEZZNS1_16scan_by_key_implILNS1_25lookback_scan_determinismE0ELb1ES3_N6thrust23THRUST_200600_302600_NS6detail15normal_iteratorINS9_10device_ptrIiEEEESE_SE_iNS9_4plusIvEENS9_8equal_toIiEEiEE10hipError_tPvRmT2_T3_T4_T5_mT6_T7_P12ihipStream_tbENKUlT_T0_E_clISt17integral_constantIbLb0EESY_IbLb1EEEEDaSU_SV_EUlSU_E_NS1_11comp_targetILNS1_3genE3ELNS1_11target_archE908ELNS1_3gpuE7ELNS1_3repE0EEENS1_30default_config_static_selectorELNS0_4arch9wavefront6targetE0EEEvT1_
    .private_segment_fixed_size: 0
    .sgpr_count:     0
    .sgpr_spill_count: 0
    .symbol:         _ZN7rocprim17ROCPRIM_400000_NS6detail17trampoline_kernelINS0_14default_configENS1_27scan_by_key_config_selectorIiiEEZZNS1_16scan_by_key_implILNS1_25lookback_scan_determinismE0ELb1ES3_N6thrust23THRUST_200600_302600_NS6detail15normal_iteratorINS9_10device_ptrIiEEEESE_SE_iNS9_4plusIvEENS9_8equal_toIiEEiEE10hipError_tPvRmT2_T3_T4_T5_mT6_T7_P12ihipStream_tbENKUlT_T0_E_clISt17integral_constantIbLb0EESY_IbLb1EEEEDaSU_SV_EUlSU_E_NS1_11comp_targetILNS1_3genE3ELNS1_11target_archE908ELNS1_3gpuE7ELNS1_3repE0EEENS1_30default_config_static_selectorELNS0_4arch9wavefront6targetE0EEEvT1_.kd
    .uniform_work_group_size: 1
    .uses_dynamic_stack: false
    .vgpr_count:     0
    .vgpr_spill_count: 0
    .wavefront_size: 32
  - .args:
      - .offset:         0
        .size:           112
        .value_kind:     by_value
    .group_segment_fixed_size: 0
    .kernarg_segment_align: 8
    .kernarg_segment_size: 112
    .language:       OpenCL C
    .language_version:
      - 2
      - 0
    .max_flat_workgroup_size: 256
    .name:           _ZN7rocprim17ROCPRIM_400000_NS6detail17trampoline_kernelINS0_14default_configENS1_27scan_by_key_config_selectorIiiEEZZNS1_16scan_by_key_implILNS1_25lookback_scan_determinismE0ELb1ES3_N6thrust23THRUST_200600_302600_NS6detail15normal_iteratorINS9_10device_ptrIiEEEESE_SE_iNS9_4plusIvEENS9_8equal_toIiEEiEE10hipError_tPvRmT2_T3_T4_T5_mT6_T7_P12ihipStream_tbENKUlT_T0_E_clISt17integral_constantIbLb0EESY_IbLb1EEEEDaSU_SV_EUlSU_E_NS1_11comp_targetILNS1_3genE2ELNS1_11target_archE906ELNS1_3gpuE6ELNS1_3repE0EEENS1_30default_config_static_selectorELNS0_4arch9wavefront6targetE0EEEvT1_
    .private_segment_fixed_size: 0
    .sgpr_count:     0
    .sgpr_spill_count: 0
    .symbol:         _ZN7rocprim17ROCPRIM_400000_NS6detail17trampoline_kernelINS0_14default_configENS1_27scan_by_key_config_selectorIiiEEZZNS1_16scan_by_key_implILNS1_25lookback_scan_determinismE0ELb1ES3_N6thrust23THRUST_200600_302600_NS6detail15normal_iteratorINS9_10device_ptrIiEEEESE_SE_iNS9_4plusIvEENS9_8equal_toIiEEiEE10hipError_tPvRmT2_T3_T4_T5_mT6_T7_P12ihipStream_tbENKUlT_T0_E_clISt17integral_constantIbLb0EESY_IbLb1EEEEDaSU_SV_EUlSU_E_NS1_11comp_targetILNS1_3genE2ELNS1_11target_archE906ELNS1_3gpuE6ELNS1_3repE0EEENS1_30default_config_static_selectorELNS0_4arch9wavefront6targetE0EEEvT1_.kd
    .uniform_work_group_size: 1
    .uses_dynamic_stack: false
    .vgpr_count:     0
    .vgpr_spill_count: 0
    .wavefront_size: 32
  - .args:
      - .offset:         0
        .size:           112
        .value_kind:     by_value
    .group_segment_fixed_size: 0
    .kernarg_segment_align: 8
    .kernarg_segment_size: 112
    .language:       OpenCL C
    .language_version:
      - 2
      - 0
    .max_flat_workgroup_size: 256
    .name:           _ZN7rocprim17ROCPRIM_400000_NS6detail17trampoline_kernelINS0_14default_configENS1_27scan_by_key_config_selectorIiiEEZZNS1_16scan_by_key_implILNS1_25lookback_scan_determinismE0ELb1ES3_N6thrust23THRUST_200600_302600_NS6detail15normal_iteratorINS9_10device_ptrIiEEEESE_SE_iNS9_4plusIvEENS9_8equal_toIiEEiEE10hipError_tPvRmT2_T3_T4_T5_mT6_T7_P12ihipStream_tbENKUlT_T0_E_clISt17integral_constantIbLb0EESY_IbLb1EEEEDaSU_SV_EUlSU_E_NS1_11comp_targetILNS1_3genE10ELNS1_11target_archE1200ELNS1_3gpuE4ELNS1_3repE0EEENS1_30default_config_static_selectorELNS0_4arch9wavefront6targetE0EEEvT1_
    .private_segment_fixed_size: 0
    .sgpr_count:     0
    .sgpr_spill_count: 0
    .symbol:         _ZN7rocprim17ROCPRIM_400000_NS6detail17trampoline_kernelINS0_14default_configENS1_27scan_by_key_config_selectorIiiEEZZNS1_16scan_by_key_implILNS1_25lookback_scan_determinismE0ELb1ES3_N6thrust23THRUST_200600_302600_NS6detail15normal_iteratorINS9_10device_ptrIiEEEESE_SE_iNS9_4plusIvEENS9_8equal_toIiEEiEE10hipError_tPvRmT2_T3_T4_T5_mT6_T7_P12ihipStream_tbENKUlT_T0_E_clISt17integral_constantIbLb0EESY_IbLb1EEEEDaSU_SV_EUlSU_E_NS1_11comp_targetILNS1_3genE10ELNS1_11target_archE1200ELNS1_3gpuE4ELNS1_3repE0EEENS1_30default_config_static_selectorELNS0_4arch9wavefront6targetE0EEEvT1_.kd
    .uniform_work_group_size: 1
    .uses_dynamic_stack: false
    .vgpr_count:     0
    .vgpr_spill_count: 0
    .wavefront_size: 32
  - .args:
      - .offset:         0
        .size:           112
        .value_kind:     by_value
    .group_segment_fixed_size: 0
    .kernarg_segment_align: 8
    .kernarg_segment_size: 112
    .language:       OpenCL C
    .language_version:
      - 2
      - 0
    .max_flat_workgroup_size: 256
    .name:           _ZN7rocprim17ROCPRIM_400000_NS6detail17trampoline_kernelINS0_14default_configENS1_27scan_by_key_config_selectorIiiEEZZNS1_16scan_by_key_implILNS1_25lookback_scan_determinismE0ELb1ES3_N6thrust23THRUST_200600_302600_NS6detail15normal_iteratorINS9_10device_ptrIiEEEESE_SE_iNS9_4plusIvEENS9_8equal_toIiEEiEE10hipError_tPvRmT2_T3_T4_T5_mT6_T7_P12ihipStream_tbENKUlT_T0_E_clISt17integral_constantIbLb0EESY_IbLb1EEEEDaSU_SV_EUlSU_E_NS1_11comp_targetILNS1_3genE9ELNS1_11target_archE1100ELNS1_3gpuE3ELNS1_3repE0EEENS1_30default_config_static_selectorELNS0_4arch9wavefront6targetE0EEEvT1_
    .private_segment_fixed_size: 0
    .sgpr_count:     0
    .sgpr_spill_count: 0
    .symbol:         _ZN7rocprim17ROCPRIM_400000_NS6detail17trampoline_kernelINS0_14default_configENS1_27scan_by_key_config_selectorIiiEEZZNS1_16scan_by_key_implILNS1_25lookback_scan_determinismE0ELb1ES3_N6thrust23THRUST_200600_302600_NS6detail15normal_iteratorINS9_10device_ptrIiEEEESE_SE_iNS9_4plusIvEENS9_8equal_toIiEEiEE10hipError_tPvRmT2_T3_T4_T5_mT6_T7_P12ihipStream_tbENKUlT_T0_E_clISt17integral_constantIbLb0EESY_IbLb1EEEEDaSU_SV_EUlSU_E_NS1_11comp_targetILNS1_3genE9ELNS1_11target_archE1100ELNS1_3gpuE3ELNS1_3repE0EEENS1_30default_config_static_selectorELNS0_4arch9wavefront6targetE0EEEvT1_.kd
    .uniform_work_group_size: 1
    .uses_dynamic_stack: false
    .vgpr_count:     0
    .vgpr_spill_count: 0
    .wavefront_size: 32
  - .args:
      - .offset:         0
        .size:           112
        .value_kind:     by_value
    .group_segment_fixed_size: 0
    .kernarg_segment_align: 8
    .kernarg_segment_size: 112
    .language:       OpenCL C
    .language_version:
      - 2
      - 0
    .max_flat_workgroup_size: 256
    .name:           _ZN7rocprim17ROCPRIM_400000_NS6detail17trampoline_kernelINS0_14default_configENS1_27scan_by_key_config_selectorIiiEEZZNS1_16scan_by_key_implILNS1_25lookback_scan_determinismE0ELb1ES3_N6thrust23THRUST_200600_302600_NS6detail15normal_iteratorINS9_10device_ptrIiEEEESE_SE_iNS9_4plusIvEENS9_8equal_toIiEEiEE10hipError_tPvRmT2_T3_T4_T5_mT6_T7_P12ihipStream_tbENKUlT_T0_E_clISt17integral_constantIbLb0EESY_IbLb1EEEEDaSU_SV_EUlSU_E_NS1_11comp_targetILNS1_3genE8ELNS1_11target_archE1030ELNS1_3gpuE2ELNS1_3repE0EEENS1_30default_config_static_selectorELNS0_4arch9wavefront6targetE0EEEvT1_
    .private_segment_fixed_size: 0
    .sgpr_count:     0
    .sgpr_spill_count: 0
    .symbol:         _ZN7rocprim17ROCPRIM_400000_NS6detail17trampoline_kernelINS0_14default_configENS1_27scan_by_key_config_selectorIiiEEZZNS1_16scan_by_key_implILNS1_25lookback_scan_determinismE0ELb1ES3_N6thrust23THRUST_200600_302600_NS6detail15normal_iteratorINS9_10device_ptrIiEEEESE_SE_iNS9_4plusIvEENS9_8equal_toIiEEiEE10hipError_tPvRmT2_T3_T4_T5_mT6_T7_P12ihipStream_tbENKUlT_T0_E_clISt17integral_constantIbLb0EESY_IbLb1EEEEDaSU_SV_EUlSU_E_NS1_11comp_targetILNS1_3genE8ELNS1_11target_archE1030ELNS1_3gpuE2ELNS1_3repE0EEENS1_30default_config_static_selectorELNS0_4arch9wavefront6targetE0EEEvT1_.kd
    .uniform_work_group_size: 1
    .uses_dynamic_stack: false
    .vgpr_count:     0
    .vgpr_spill_count: 0
    .wavefront_size: 32
  - .args:
      - .offset:         0
        .size:           112
        .value_kind:     by_value
    .group_segment_fixed_size: 11264
    .kernarg_segment_align: 8
    .kernarg_segment_size: 112
    .language:       OpenCL C
    .language_version:
      - 2
      - 0
    .max_flat_workgroup_size: 256
    .name:           _ZN7rocprim17ROCPRIM_400000_NS6detail17trampoline_kernelINS0_14default_configENS1_27scan_by_key_config_selectorIssEEZZNS1_16scan_by_key_implILNS1_25lookback_scan_determinismE0ELb1ES3_N6thrust23THRUST_200600_302600_NS6detail15normal_iteratorINS9_10device_ptrIsEEEESE_SE_sNS9_4plusIvEENS9_8equal_toIvEEsEE10hipError_tPvRmT2_T3_T4_T5_mT6_T7_P12ihipStream_tbENKUlT_T0_E_clISt17integral_constantIbLb0EESZ_EEDaSU_SV_EUlSU_E_NS1_11comp_targetILNS1_3genE0ELNS1_11target_archE4294967295ELNS1_3gpuE0ELNS1_3repE0EEENS1_30default_config_static_selectorELNS0_4arch9wavefront6targetE0EEEvT1_
    .private_segment_fixed_size: 0
    .sgpr_count:     47
    .sgpr_spill_count: 0
    .symbol:         _ZN7rocprim17ROCPRIM_400000_NS6detail17trampoline_kernelINS0_14default_configENS1_27scan_by_key_config_selectorIssEEZZNS1_16scan_by_key_implILNS1_25lookback_scan_determinismE0ELb1ES3_N6thrust23THRUST_200600_302600_NS6detail15normal_iteratorINS9_10device_ptrIsEEEESE_SE_sNS9_4plusIvEENS9_8equal_toIvEEsEE10hipError_tPvRmT2_T3_T4_T5_mT6_T7_P12ihipStream_tbENKUlT_T0_E_clISt17integral_constantIbLb0EESZ_EEDaSU_SV_EUlSU_E_NS1_11comp_targetILNS1_3genE0ELNS1_11target_archE4294967295ELNS1_3gpuE0ELNS1_3repE0EEENS1_30default_config_static_selectorELNS0_4arch9wavefront6targetE0EEEvT1_.kd
    .uniform_work_group_size: 1
    .uses_dynamic_stack: false
    .vgpr_count:     56
    .vgpr_spill_count: 0
    .wavefront_size: 32
  - .args:
      - .offset:         0
        .size:           112
        .value_kind:     by_value
    .group_segment_fixed_size: 0
    .kernarg_segment_align: 8
    .kernarg_segment_size: 112
    .language:       OpenCL C
    .language_version:
      - 2
      - 0
    .max_flat_workgroup_size: 128
    .name:           _ZN7rocprim17ROCPRIM_400000_NS6detail17trampoline_kernelINS0_14default_configENS1_27scan_by_key_config_selectorIssEEZZNS1_16scan_by_key_implILNS1_25lookback_scan_determinismE0ELb1ES3_N6thrust23THRUST_200600_302600_NS6detail15normal_iteratorINS9_10device_ptrIsEEEESE_SE_sNS9_4plusIvEENS9_8equal_toIvEEsEE10hipError_tPvRmT2_T3_T4_T5_mT6_T7_P12ihipStream_tbENKUlT_T0_E_clISt17integral_constantIbLb0EESZ_EEDaSU_SV_EUlSU_E_NS1_11comp_targetILNS1_3genE10ELNS1_11target_archE1201ELNS1_3gpuE5ELNS1_3repE0EEENS1_30default_config_static_selectorELNS0_4arch9wavefront6targetE0EEEvT1_
    .private_segment_fixed_size: 0
    .sgpr_count:     0
    .sgpr_spill_count: 0
    .symbol:         _ZN7rocprim17ROCPRIM_400000_NS6detail17trampoline_kernelINS0_14default_configENS1_27scan_by_key_config_selectorIssEEZZNS1_16scan_by_key_implILNS1_25lookback_scan_determinismE0ELb1ES3_N6thrust23THRUST_200600_302600_NS6detail15normal_iteratorINS9_10device_ptrIsEEEESE_SE_sNS9_4plusIvEENS9_8equal_toIvEEsEE10hipError_tPvRmT2_T3_T4_T5_mT6_T7_P12ihipStream_tbENKUlT_T0_E_clISt17integral_constantIbLb0EESZ_EEDaSU_SV_EUlSU_E_NS1_11comp_targetILNS1_3genE10ELNS1_11target_archE1201ELNS1_3gpuE5ELNS1_3repE0EEENS1_30default_config_static_selectorELNS0_4arch9wavefront6targetE0EEEvT1_.kd
    .uniform_work_group_size: 1
    .uses_dynamic_stack: false
    .vgpr_count:     0
    .vgpr_spill_count: 0
    .wavefront_size: 32
  - .args:
      - .offset:         0
        .size:           112
        .value_kind:     by_value
    .group_segment_fixed_size: 0
    .kernarg_segment_align: 8
    .kernarg_segment_size: 112
    .language:       OpenCL C
    .language_version:
      - 2
      - 0
    .max_flat_workgroup_size: 256
    .name:           _ZN7rocprim17ROCPRIM_400000_NS6detail17trampoline_kernelINS0_14default_configENS1_27scan_by_key_config_selectorIssEEZZNS1_16scan_by_key_implILNS1_25lookback_scan_determinismE0ELb1ES3_N6thrust23THRUST_200600_302600_NS6detail15normal_iteratorINS9_10device_ptrIsEEEESE_SE_sNS9_4plusIvEENS9_8equal_toIvEEsEE10hipError_tPvRmT2_T3_T4_T5_mT6_T7_P12ihipStream_tbENKUlT_T0_E_clISt17integral_constantIbLb0EESZ_EEDaSU_SV_EUlSU_E_NS1_11comp_targetILNS1_3genE5ELNS1_11target_archE942ELNS1_3gpuE9ELNS1_3repE0EEENS1_30default_config_static_selectorELNS0_4arch9wavefront6targetE0EEEvT1_
    .private_segment_fixed_size: 0
    .sgpr_count:     0
    .sgpr_spill_count: 0
    .symbol:         _ZN7rocprim17ROCPRIM_400000_NS6detail17trampoline_kernelINS0_14default_configENS1_27scan_by_key_config_selectorIssEEZZNS1_16scan_by_key_implILNS1_25lookback_scan_determinismE0ELb1ES3_N6thrust23THRUST_200600_302600_NS6detail15normal_iteratorINS9_10device_ptrIsEEEESE_SE_sNS9_4plusIvEENS9_8equal_toIvEEsEE10hipError_tPvRmT2_T3_T4_T5_mT6_T7_P12ihipStream_tbENKUlT_T0_E_clISt17integral_constantIbLb0EESZ_EEDaSU_SV_EUlSU_E_NS1_11comp_targetILNS1_3genE5ELNS1_11target_archE942ELNS1_3gpuE9ELNS1_3repE0EEENS1_30default_config_static_selectorELNS0_4arch9wavefront6targetE0EEEvT1_.kd
    .uniform_work_group_size: 1
    .uses_dynamic_stack: false
    .vgpr_count:     0
    .vgpr_spill_count: 0
    .wavefront_size: 32
  - .args:
      - .offset:         0
        .size:           112
        .value_kind:     by_value
    .group_segment_fixed_size: 0
    .kernarg_segment_align: 8
    .kernarg_segment_size: 112
    .language:       OpenCL C
    .language_version:
      - 2
      - 0
    .max_flat_workgroup_size: 256
    .name:           _ZN7rocprim17ROCPRIM_400000_NS6detail17trampoline_kernelINS0_14default_configENS1_27scan_by_key_config_selectorIssEEZZNS1_16scan_by_key_implILNS1_25lookback_scan_determinismE0ELb1ES3_N6thrust23THRUST_200600_302600_NS6detail15normal_iteratorINS9_10device_ptrIsEEEESE_SE_sNS9_4plusIvEENS9_8equal_toIvEEsEE10hipError_tPvRmT2_T3_T4_T5_mT6_T7_P12ihipStream_tbENKUlT_T0_E_clISt17integral_constantIbLb0EESZ_EEDaSU_SV_EUlSU_E_NS1_11comp_targetILNS1_3genE4ELNS1_11target_archE910ELNS1_3gpuE8ELNS1_3repE0EEENS1_30default_config_static_selectorELNS0_4arch9wavefront6targetE0EEEvT1_
    .private_segment_fixed_size: 0
    .sgpr_count:     0
    .sgpr_spill_count: 0
    .symbol:         _ZN7rocprim17ROCPRIM_400000_NS6detail17trampoline_kernelINS0_14default_configENS1_27scan_by_key_config_selectorIssEEZZNS1_16scan_by_key_implILNS1_25lookback_scan_determinismE0ELb1ES3_N6thrust23THRUST_200600_302600_NS6detail15normal_iteratorINS9_10device_ptrIsEEEESE_SE_sNS9_4plusIvEENS9_8equal_toIvEEsEE10hipError_tPvRmT2_T3_T4_T5_mT6_T7_P12ihipStream_tbENKUlT_T0_E_clISt17integral_constantIbLb0EESZ_EEDaSU_SV_EUlSU_E_NS1_11comp_targetILNS1_3genE4ELNS1_11target_archE910ELNS1_3gpuE8ELNS1_3repE0EEENS1_30default_config_static_selectorELNS0_4arch9wavefront6targetE0EEEvT1_.kd
    .uniform_work_group_size: 1
    .uses_dynamic_stack: false
    .vgpr_count:     0
    .vgpr_spill_count: 0
    .wavefront_size: 32
  - .args:
      - .offset:         0
        .size:           112
        .value_kind:     by_value
    .group_segment_fixed_size: 0
    .kernarg_segment_align: 8
    .kernarg_segment_size: 112
    .language:       OpenCL C
    .language_version:
      - 2
      - 0
    .max_flat_workgroup_size: 256
    .name:           _ZN7rocprim17ROCPRIM_400000_NS6detail17trampoline_kernelINS0_14default_configENS1_27scan_by_key_config_selectorIssEEZZNS1_16scan_by_key_implILNS1_25lookback_scan_determinismE0ELb1ES3_N6thrust23THRUST_200600_302600_NS6detail15normal_iteratorINS9_10device_ptrIsEEEESE_SE_sNS9_4plusIvEENS9_8equal_toIvEEsEE10hipError_tPvRmT2_T3_T4_T5_mT6_T7_P12ihipStream_tbENKUlT_T0_E_clISt17integral_constantIbLb0EESZ_EEDaSU_SV_EUlSU_E_NS1_11comp_targetILNS1_3genE3ELNS1_11target_archE908ELNS1_3gpuE7ELNS1_3repE0EEENS1_30default_config_static_selectorELNS0_4arch9wavefront6targetE0EEEvT1_
    .private_segment_fixed_size: 0
    .sgpr_count:     0
    .sgpr_spill_count: 0
    .symbol:         _ZN7rocprim17ROCPRIM_400000_NS6detail17trampoline_kernelINS0_14default_configENS1_27scan_by_key_config_selectorIssEEZZNS1_16scan_by_key_implILNS1_25lookback_scan_determinismE0ELb1ES3_N6thrust23THRUST_200600_302600_NS6detail15normal_iteratorINS9_10device_ptrIsEEEESE_SE_sNS9_4plusIvEENS9_8equal_toIvEEsEE10hipError_tPvRmT2_T3_T4_T5_mT6_T7_P12ihipStream_tbENKUlT_T0_E_clISt17integral_constantIbLb0EESZ_EEDaSU_SV_EUlSU_E_NS1_11comp_targetILNS1_3genE3ELNS1_11target_archE908ELNS1_3gpuE7ELNS1_3repE0EEENS1_30default_config_static_selectorELNS0_4arch9wavefront6targetE0EEEvT1_.kd
    .uniform_work_group_size: 1
    .uses_dynamic_stack: false
    .vgpr_count:     0
    .vgpr_spill_count: 0
    .wavefront_size: 32
  - .args:
      - .offset:         0
        .size:           112
        .value_kind:     by_value
    .group_segment_fixed_size: 0
    .kernarg_segment_align: 8
    .kernarg_segment_size: 112
    .language:       OpenCL C
    .language_version:
      - 2
      - 0
    .max_flat_workgroup_size: 64
    .name:           _ZN7rocprim17ROCPRIM_400000_NS6detail17trampoline_kernelINS0_14default_configENS1_27scan_by_key_config_selectorIssEEZZNS1_16scan_by_key_implILNS1_25lookback_scan_determinismE0ELb1ES3_N6thrust23THRUST_200600_302600_NS6detail15normal_iteratorINS9_10device_ptrIsEEEESE_SE_sNS9_4plusIvEENS9_8equal_toIvEEsEE10hipError_tPvRmT2_T3_T4_T5_mT6_T7_P12ihipStream_tbENKUlT_T0_E_clISt17integral_constantIbLb0EESZ_EEDaSU_SV_EUlSU_E_NS1_11comp_targetILNS1_3genE2ELNS1_11target_archE906ELNS1_3gpuE6ELNS1_3repE0EEENS1_30default_config_static_selectorELNS0_4arch9wavefront6targetE0EEEvT1_
    .private_segment_fixed_size: 0
    .sgpr_count:     0
    .sgpr_spill_count: 0
    .symbol:         _ZN7rocprim17ROCPRIM_400000_NS6detail17trampoline_kernelINS0_14default_configENS1_27scan_by_key_config_selectorIssEEZZNS1_16scan_by_key_implILNS1_25lookback_scan_determinismE0ELb1ES3_N6thrust23THRUST_200600_302600_NS6detail15normal_iteratorINS9_10device_ptrIsEEEESE_SE_sNS9_4plusIvEENS9_8equal_toIvEEsEE10hipError_tPvRmT2_T3_T4_T5_mT6_T7_P12ihipStream_tbENKUlT_T0_E_clISt17integral_constantIbLb0EESZ_EEDaSU_SV_EUlSU_E_NS1_11comp_targetILNS1_3genE2ELNS1_11target_archE906ELNS1_3gpuE6ELNS1_3repE0EEENS1_30default_config_static_selectorELNS0_4arch9wavefront6targetE0EEEvT1_.kd
    .uniform_work_group_size: 1
    .uses_dynamic_stack: false
    .vgpr_count:     0
    .vgpr_spill_count: 0
    .wavefront_size: 32
  - .args:
      - .offset:         0
        .size:           112
        .value_kind:     by_value
    .group_segment_fixed_size: 0
    .kernarg_segment_align: 8
    .kernarg_segment_size: 112
    .language:       OpenCL C
    .language_version:
      - 2
      - 0
    .max_flat_workgroup_size: 256
    .name:           _ZN7rocprim17ROCPRIM_400000_NS6detail17trampoline_kernelINS0_14default_configENS1_27scan_by_key_config_selectorIssEEZZNS1_16scan_by_key_implILNS1_25lookback_scan_determinismE0ELb1ES3_N6thrust23THRUST_200600_302600_NS6detail15normal_iteratorINS9_10device_ptrIsEEEESE_SE_sNS9_4plusIvEENS9_8equal_toIvEEsEE10hipError_tPvRmT2_T3_T4_T5_mT6_T7_P12ihipStream_tbENKUlT_T0_E_clISt17integral_constantIbLb0EESZ_EEDaSU_SV_EUlSU_E_NS1_11comp_targetILNS1_3genE10ELNS1_11target_archE1200ELNS1_3gpuE4ELNS1_3repE0EEENS1_30default_config_static_selectorELNS0_4arch9wavefront6targetE0EEEvT1_
    .private_segment_fixed_size: 0
    .sgpr_count:     0
    .sgpr_spill_count: 0
    .symbol:         _ZN7rocprim17ROCPRIM_400000_NS6detail17trampoline_kernelINS0_14default_configENS1_27scan_by_key_config_selectorIssEEZZNS1_16scan_by_key_implILNS1_25lookback_scan_determinismE0ELb1ES3_N6thrust23THRUST_200600_302600_NS6detail15normal_iteratorINS9_10device_ptrIsEEEESE_SE_sNS9_4plusIvEENS9_8equal_toIvEEsEE10hipError_tPvRmT2_T3_T4_T5_mT6_T7_P12ihipStream_tbENKUlT_T0_E_clISt17integral_constantIbLb0EESZ_EEDaSU_SV_EUlSU_E_NS1_11comp_targetILNS1_3genE10ELNS1_11target_archE1200ELNS1_3gpuE4ELNS1_3repE0EEENS1_30default_config_static_selectorELNS0_4arch9wavefront6targetE0EEEvT1_.kd
    .uniform_work_group_size: 1
    .uses_dynamic_stack: false
    .vgpr_count:     0
    .vgpr_spill_count: 0
    .wavefront_size: 32
  - .args:
      - .offset:         0
        .size:           112
        .value_kind:     by_value
    .group_segment_fixed_size: 0
    .kernarg_segment_align: 8
    .kernarg_segment_size: 112
    .language:       OpenCL C
    .language_version:
      - 2
      - 0
    .max_flat_workgroup_size: 256
    .name:           _ZN7rocprim17ROCPRIM_400000_NS6detail17trampoline_kernelINS0_14default_configENS1_27scan_by_key_config_selectorIssEEZZNS1_16scan_by_key_implILNS1_25lookback_scan_determinismE0ELb1ES3_N6thrust23THRUST_200600_302600_NS6detail15normal_iteratorINS9_10device_ptrIsEEEESE_SE_sNS9_4plusIvEENS9_8equal_toIvEEsEE10hipError_tPvRmT2_T3_T4_T5_mT6_T7_P12ihipStream_tbENKUlT_T0_E_clISt17integral_constantIbLb0EESZ_EEDaSU_SV_EUlSU_E_NS1_11comp_targetILNS1_3genE9ELNS1_11target_archE1100ELNS1_3gpuE3ELNS1_3repE0EEENS1_30default_config_static_selectorELNS0_4arch9wavefront6targetE0EEEvT1_
    .private_segment_fixed_size: 0
    .sgpr_count:     0
    .sgpr_spill_count: 0
    .symbol:         _ZN7rocprim17ROCPRIM_400000_NS6detail17trampoline_kernelINS0_14default_configENS1_27scan_by_key_config_selectorIssEEZZNS1_16scan_by_key_implILNS1_25lookback_scan_determinismE0ELb1ES3_N6thrust23THRUST_200600_302600_NS6detail15normal_iteratorINS9_10device_ptrIsEEEESE_SE_sNS9_4plusIvEENS9_8equal_toIvEEsEE10hipError_tPvRmT2_T3_T4_T5_mT6_T7_P12ihipStream_tbENKUlT_T0_E_clISt17integral_constantIbLb0EESZ_EEDaSU_SV_EUlSU_E_NS1_11comp_targetILNS1_3genE9ELNS1_11target_archE1100ELNS1_3gpuE3ELNS1_3repE0EEENS1_30default_config_static_selectorELNS0_4arch9wavefront6targetE0EEEvT1_.kd
    .uniform_work_group_size: 1
    .uses_dynamic_stack: false
    .vgpr_count:     0
    .vgpr_spill_count: 0
    .wavefront_size: 32
  - .args:
      - .offset:         0
        .size:           112
        .value_kind:     by_value
    .group_segment_fixed_size: 0
    .kernarg_segment_align: 8
    .kernarg_segment_size: 112
    .language:       OpenCL C
    .language_version:
      - 2
      - 0
    .max_flat_workgroup_size: 64
    .name:           _ZN7rocprim17ROCPRIM_400000_NS6detail17trampoline_kernelINS0_14default_configENS1_27scan_by_key_config_selectorIssEEZZNS1_16scan_by_key_implILNS1_25lookback_scan_determinismE0ELb1ES3_N6thrust23THRUST_200600_302600_NS6detail15normal_iteratorINS9_10device_ptrIsEEEESE_SE_sNS9_4plusIvEENS9_8equal_toIvEEsEE10hipError_tPvRmT2_T3_T4_T5_mT6_T7_P12ihipStream_tbENKUlT_T0_E_clISt17integral_constantIbLb0EESZ_EEDaSU_SV_EUlSU_E_NS1_11comp_targetILNS1_3genE8ELNS1_11target_archE1030ELNS1_3gpuE2ELNS1_3repE0EEENS1_30default_config_static_selectorELNS0_4arch9wavefront6targetE0EEEvT1_
    .private_segment_fixed_size: 0
    .sgpr_count:     0
    .sgpr_spill_count: 0
    .symbol:         _ZN7rocprim17ROCPRIM_400000_NS6detail17trampoline_kernelINS0_14default_configENS1_27scan_by_key_config_selectorIssEEZZNS1_16scan_by_key_implILNS1_25lookback_scan_determinismE0ELb1ES3_N6thrust23THRUST_200600_302600_NS6detail15normal_iteratorINS9_10device_ptrIsEEEESE_SE_sNS9_4plusIvEENS9_8equal_toIvEEsEE10hipError_tPvRmT2_T3_T4_T5_mT6_T7_P12ihipStream_tbENKUlT_T0_E_clISt17integral_constantIbLb0EESZ_EEDaSU_SV_EUlSU_E_NS1_11comp_targetILNS1_3genE8ELNS1_11target_archE1030ELNS1_3gpuE2ELNS1_3repE0EEENS1_30default_config_static_selectorELNS0_4arch9wavefront6targetE0EEEvT1_.kd
    .uniform_work_group_size: 1
    .uses_dynamic_stack: false
    .vgpr_count:     0
    .vgpr_spill_count: 0
    .wavefront_size: 32
  - .args:
      - .offset:         0
        .size:           112
        .value_kind:     by_value
    .group_segment_fixed_size: 0
    .kernarg_segment_align: 8
    .kernarg_segment_size: 112
    .language:       OpenCL C
    .language_version:
      - 2
      - 0
    .max_flat_workgroup_size: 256
    .name:           _ZN7rocprim17ROCPRIM_400000_NS6detail17trampoline_kernelINS0_14default_configENS1_27scan_by_key_config_selectorIssEEZZNS1_16scan_by_key_implILNS1_25lookback_scan_determinismE0ELb1ES3_N6thrust23THRUST_200600_302600_NS6detail15normal_iteratorINS9_10device_ptrIsEEEESE_SE_sNS9_4plusIvEENS9_8equal_toIvEEsEE10hipError_tPvRmT2_T3_T4_T5_mT6_T7_P12ihipStream_tbENKUlT_T0_E_clISt17integral_constantIbLb1EESZ_EEDaSU_SV_EUlSU_E_NS1_11comp_targetILNS1_3genE0ELNS1_11target_archE4294967295ELNS1_3gpuE0ELNS1_3repE0EEENS1_30default_config_static_selectorELNS0_4arch9wavefront6targetE0EEEvT1_
    .private_segment_fixed_size: 0
    .sgpr_count:     0
    .sgpr_spill_count: 0
    .symbol:         _ZN7rocprim17ROCPRIM_400000_NS6detail17trampoline_kernelINS0_14default_configENS1_27scan_by_key_config_selectorIssEEZZNS1_16scan_by_key_implILNS1_25lookback_scan_determinismE0ELb1ES3_N6thrust23THRUST_200600_302600_NS6detail15normal_iteratorINS9_10device_ptrIsEEEESE_SE_sNS9_4plusIvEENS9_8equal_toIvEEsEE10hipError_tPvRmT2_T3_T4_T5_mT6_T7_P12ihipStream_tbENKUlT_T0_E_clISt17integral_constantIbLb1EESZ_EEDaSU_SV_EUlSU_E_NS1_11comp_targetILNS1_3genE0ELNS1_11target_archE4294967295ELNS1_3gpuE0ELNS1_3repE0EEENS1_30default_config_static_selectorELNS0_4arch9wavefront6targetE0EEEvT1_.kd
    .uniform_work_group_size: 1
    .uses_dynamic_stack: false
    .vgpr_count:     0
    .vgpr_spill_count: 0
    .wavefront_size: 32
  - .args:
      - .offset:         0
        .size:           112
        .value_kind:     by_value
    .group_segment_fixed_size: 0
    .kernarg_segment_align: 8
    .kernarg_segment_size: 112
    .language:       OpenCL C
    .language_version:
      - 2
      - 0
    .max_flat_workgroup_size: 128
    .name:           _ZN7rocprim17ROCPRIM_400000_NS6detail17trampoline_kernelINS0_14default_configENS1_27scan_by_key_config_selectorIssEEZZNS1_16scan_by_key_implILNS1_25lookback_scan_determinismE0ELb1ES3_N6thrust23THRUST_200600_302600_NS6detail15normal_iteratorINS9_10device_ptrIsEEEESE_SE_sNS9_4plusIvEENS9_8equal_toIvEEsEE10hipError_tPvRmT2_T3_T4_T5_mT6_T7_P12ihipStream_tbENKUlT_T0_E_clISt17integral_constantIbLb1EESZ_EEDaSU_SV_EUlSU_E_NS1_11comp_targetILNS1_3genE10ELNS1_11target_archE1201ELNS1_3gpuE5ELNS1_3repE0EEENS1_30default_config_static_selectorELNS0_4arch9wavefront6targetE0EEEvT1_
    .private_segment_fixed_size: 0
    .sgpr_count:     0
    .sgpr_spill_count: 0
    .symbol:         _ZN7rocprim17ROCPRIM_400000_NS6detail17trampoline_kernelINS0_14default_configENS1_27scan_by_key_config_selectorIssEEZZNS1_16scan_by_key_implILNS1_25lookback_scan_determinismE0ELb1ES3_N6thrust23THRUST_200600_302600_NS6detail15normal_iteratorINS9_10device_ptrIsEEEESE_SE_sNS9_4plusIvEENS9_8equal_toIvEEsEE10hipError_tPvRmT2_T3_T4_T5_mT6_T7_P12ihipStream_tbENKUlT_T0_E_clISt17integral_constantIbLb1EESZ_EEDaSU_SV_EUlSU_E_NS1_11comp_targetILNS1_3genE10ELNS1_11target_archE1201ELNS1_3gpuE5ELNS1_3repE0EEENS1_30default_config_static_selectorELNS0_4arch9wavefront6targetE0EEEvT1_.kd
    .uniform_work_group_size: 1
    .uses_dynamic_stack: false
    .vgpr_count:     0
    .vgpr_spill_count: 0
    .wavefront_size: 32
  - .args:
      - .offset:         0
        .size:           112
        .value_kind:     by_value
    .group_segment_fixed_size: 0
    .kernarg_segment_align: 8
    .kernarg_segment_size: 112
    .language:       OpenCL C
    .language_version:
      - 2
      - 0
    .max_flat_workgroup_size: 256
    .name:           _ZN7rocprim17ROCPRIM_400000_NS6detail17trampoline_kernelINS0_14default_configENS1_27scan_by_key_config_selectorIssEEZZNS1_16scan_by_key_implILNS1_25lookback_scan_determinismE0ELb1ES3_N6thrust23THRUST_200600_302600_NS6detail15normal_iteratorINS9_10device_ptrIsEEEESE_SE_sNS9_4plusIvEENS9_8equal_toIvEEsEE10hipError_tPvRmT2_T3_T4_T5_mT6_T7_P12ihipStream_tbENKUlT_T0_E_clISt17integral_constantIbLb1EESZ_EEDaSU_SV_EUlSU_E_NS1_11comp_targetILNS1_3genE5ELNS1_11target_archE942ELNS1_3gpuE9ELNS1_3repE0EEENS1_30default_config_static_selectorELNS0_4arch9wavefront6targetE0EEEvT1_
    .private_segment_fixed_size: 0
    .sgpr_count:     0
    .sgpr_spill_count: 0
    .symbol:         _ZN7rocprim17ROCPRIM_400000_NS6detail17trampoline_kernelINS0_14default_configENS1_27scan_by_key_config_selectorIssEEZZNS1_16scan_by_key_implILNS1_25lookback_scan_determinismE0ELb1ES3_N6thrust23THRUST_200600_302600_NS6detail15normal_iteratorINS9_10device_ptrIsEEEESE_SE_sNS9_4plusIvEENS9_8equal_toIvEEsEE10hipError_tPvRmT2_T3_T4_T5_mT6_T7_P12ihipStream_tbENKUlT_T0_E_clISt17integral_constantIbLb1EESZ_EEDaSU_SV_EUlSU_E_NS1_11comp_targetILNS1_3genE5ELNS1_11target_archE942ELNS1_3gpuE9ELNS1_3repE0EEENS1_30default_config_static_selectorELNS0_4arch9wavefront6targetE0EEEvT1_.kd
    .uniform_work_group_size: 1
    .uses_dynamic_stack: false
    .vgpr_count:     0
    .vgpr_spill_count: 0
    .wavefront_size: 32
  - .args:
      - .offset:         0
        .size:           112
        .value_kind:     by_value
    .group_segment_fixed_size: 0
    .kernarg_segment_align: 8
    .kernarg_segment_size: 112
    .language:       OpenCL C
    .language_version:
      - 2
      - 0
    .max_flat_workgroup_size: 256
    .name:           _ZN7rocprim17ROCPRIM_400000_NS6detail17trampoline_kernelINS0_14default_configENS1_27scan_by_key_config_selectorIssEEZZNS1_16scan_by_key_implILNS1_25lookback_scan_determinismE0ELb1ES3_N6thrust23THRUST_200600_302600_NS6detail15normal_iteratorINS9_10device_ptrIsEEEESE_SE_sNS9_4plusIvEENS9_8equal_toIvEEsEE10hipError_tPvRmT2_T3_T4_T5_mT6_T7_P12ihipStream_tbENKUlT_T0_E_clISt17integral_constantIbLb1EESZ_EEDaSU_SV_EUlSU_E_NS1_11comp_targetILNS1_3genE4ELNS1_11target_archE910ELNS1_3gpuE8ELNS1_3repE0EEENS1_30default_config_static_selectorELNS0_4arch9wavefront6targetE0EEEvT1_
    .private_segment_fixed_size: 0
    .sgpr_count:     0
    .sgpr_spill_count: 0
    .symbol:         _ZN7rocprim17ROCPRIM_400000_NS6detail17trampoline_kernelINS0_14default_configENS1_27scan_by_key_config_selectorIssEEZZNS1_16scan_by_key_implILNS1_25lookback_scan_determinismE0ELb1ES3_N6thrust23THRUST_200600_302600_NS6detail15normal_iteratorINS9_10device_ptrIsEEEESE_SE_sNS9_4plusIvEENS9_8equal_toIvEEsEE10hipError_tPvRmT2_T3_T4_T5_mT6_T7_P12ihipStream_tbENKUlT_T0_E_clISt17integral_constantIbLb1EESZ_EEDaSU_SV_EUlSU_E_NS1_11comp_targetILNS1_3genE4ELNS1_11target_archE910ELNS1_3gpuE8ELNS1_3repE0EEENS1_30default_config_static_selectorELNS0_4arch9wavefront6targetE0EEEvT1_.kd
    .uniform_work_group_size: 1
    .uses_dynamic_stack: false
    .vgpr_count:     0
    .vgpr_spill_count: 0
    .wavefront_size: 32
  - .args:
      - .offset:         0
        .size:           112
        .value_kind:     by_value
    .group_segment_fixed_size: 0
    .kernarg_segment_align: 8
    .kernarg_segment_size: 112
    .language:       OpenCL C
    .language_version:
      - 2
      - 0
    .max_flat_workgroup_size: 256
    .name:           _ZN7rocprim17ROCPRIM_400000_NS6detail17trampoline_kernelINS0_14default_configENS1_27scan_by_key_config_selectorIssEEZZNS1_16scan_by_key_implILNS1_25lookback_scan_determinismE0ELb1ES3_N6thrust23THRUST_200600_302600_NS6detail15normal_iteratorINS9_10device_ptrIsEEEESE_SE_sNS9_4plusIvEENS9_8equal_toIvEEsEE10hipError_tPvRmT2_T3_T4_T5_mT6_T7_P12ihipStream_tbENKUlT_T0_E_clISt17integral_constantIbLb1EESZ_EEDaSU_SV_EUlSU_E_NS1_11comp_targetILNS1_3genE3ELNS1_11target_archE908ELNS1_3gpuE7ELNS1_3repE0EEENS1_30default_config_static_selectorELNS0_4arch9wavefront6targetE0EEEvT1_
    .private_segment_fixed_size: 0
    .sgpr_count:     0
    .sgpr_spill_count: 0
    .symbol:         _ZN7rocprim17ROCPRIM_400000_NS6detail17trampoline_kernelINS0_14default_configENS1_27scan_by_key_config_selectorIssEEZZNS1_16scan_by_key_implILNS1_25lookback_scan_determinismE0ELb1ES3_N6thrust23THRUST_200600_302600_NS6detail15normal_iteratorINS9_10device_ptrIsEEEESE_SE_sNS9_4plusIvEENS9_8equal_toIvEEsEE10hipError_tPvRmT2_T3_T4_T5_mT6_T7_P12ihipStream_tbENKUlT_T0_E_clISt17integral_constantIbLb1EESZ_EEDaSU_SV_EUlSU_E_NS1_11comp_targetILNS1_3genE3ELNS1_11target_archE908ELNS1_3gpuE7ELNS1_3repE0EEENS1_30default_config_static_selectorELNS0_4arch9wavefront6targetE0EEEvT1_.kd
    .uniform_work_group_size: 1
    .uses_dynamic_stack: false
    .vgpr_count:     0
    .vgpr_spill_count: 0
    .wavefront_size: 32
  - .args:
      - .offset:         0
        .size:           112
        .value_kind:     by_value
    .group_segment_fixed_size: 0
    .kernarg_segment_align: 8
    .kernarg_segment_size: 112
    .language:       OpenCL C
    .language_version:
      - 2
      - 0
    .max_flat_workgroup_size: 64
    .name:           _ZN7rocprim17ROCPRIM_400000_NS6detail17trampoline_kernelINS0_14default_configENS1_27scan_by_key_config_selectorIssEEZZNS1_16scan_by_key_implILNS1_25lookback_scan_determinismE0ELb1ES3_N6thrust23THRUST_200600_302600_NS6detail15normal_iteratorINS9_10device_ptrIsEEEESE_SE_sNS9_4plusIvEENS9_8equal_toIvEEsEE10hipError_tPvRmT2_T3_T4_T5_mT6_T7_P12ihipStream_tbENKUlT_T0_E_clISt17integral_constantIbLb1EESZ_EEDaSU_SV_EUlSU_E_NS1_11comp_targetILNS1_3genE2ELNS1_11target_archE906ELNS1_3gpuE6ELNS1_3repE0EEENS1_30default_config_static_selectorELNS0_4arch9wavefront6targetE0EEEvT1_
    .private_segment_fixed_size: 0
    .sgpr_count:     0
    .sgpr_spill_count: 0
    .symbol:         _ZN7rocprim17ROCPRIM_400000_NS6detail17trampoline_kernelINS0_14default_configENS1_27scan_by_key_config_selectorIssEEZZNS1_16scan_by_key_implILNS1_25lookback_scan_determinismE0ELb1ES3_N6thrust23THRUST_200600_302600_NS6detail15normal_iteratorINS9_10device_ptrIsEEEESE_SE_sNS9_4plusIvEENS9_8equal_toIvEEsEE10hipError_tPvRmT2_T3_T4_T5_mT6_T7_P12ihipStream_tbENKUlT_T0_E_clISt17integral_constantIbLb1EESZ_EEDaSU_SV_EUlSU_E_NS1_11comp_targetILNS1_3genE2ELNS1_11target_archE906ELNS1_3gpuE6ELNS1_3repE0EEENS1_30default_config_static_selectorELNS0_4arch9wavefront6targetE0EEEvT1_.kd
    .uniform_work_group_size: 1
    .uses_dynamic_stack: false
    .vgpr_count:     0
    .vgpr_spill_count: 0
    .wavefront_size: 32
  - .args:
      - .offset:         0
        .size:           112
        .value_kind:     by_value
    .group_segment_fixed_size: 0
    .kernarg_segment_align: 8
    .kernarg_segment_size: 112
    .language:       OpenCL C
    .language_version:
      - 2
      - 0
    .max_flat_workgroup_size: 256
    .name:           _ZN7rocprim17ROCPRIM_400000_NS6detail17trampoline_kernelINS0_14default_configENS1_27scan_by_key_config_selectorIssEEZZNS1_16scan_by_key_implILNS1_25lookback_scan_determinismE0ELb1ES3_N6thrust23THRUST_200600_302600_NS6detail15normal_iteratorINS9_10device_ptrIsEEEESE_SE_sNS9_4plusIvEENS9_8equal_toIvEEsEE10hipError_tPvRmT2_T3_T4_T5_mT6_T7_P12ihipStream_tbENKUlT_T0_E_clISt17integral_constantIbLb1EESZ_EEDaSU_SV_EUlSU_E_NS1_11comp_targetILNS1_3genE10ELNS1_11target_archE1200ELNS1_3gpuE4ELNS1_3repE0EEENS1_30default_config_static_selectorELNS0_4arch9wavefront6targetE0EEEvT1_
    .private_segment_fixed_size: 0
    .sgpr_count:     0
    .sgpr_spill_count: 0
    .symbol:         _ZN7rocprim17ROCPRIM_400000_NS6detail17trampoline_kernelINS0_14default_configENS1_27scan_by_key_config_selectorIssEEZZNS1_16scan_by_key_implILNS1_25lookback_scan_determinismE0ELb1ES3_N6thrust23THRUST_200600_302600_NS6detail15normal_iteratorINS9_10device_ptrIsEEEESE_SE_sNS9_4plusIvEENS9_8equal_toIvEEsEE10hipError_tPvRmT2_T3_T4_T5_mT6_T7_P12ihipStream_tbENKUlT_T0_E_clISt17integral_constantIbLb1EESZ_EEDaSU_SV_EUlSU_E_NS1_11comp_targetILNS1_3genE10ELNS1_11target_archE1200ELNS1_3gpuE4ELNS1_3repE0EEENS1_30default_config_static_selectorELNS0_4arch9wavefront6targetE0EEEvT1_.kd
    .uniform_work_group_size: 1
    .uses_dynamic_stack: false
    .vgpr_count:     0
    .vgpr_spill_count: 0
    .wavefront_size: 32
  - .args:
      - .offset:         0
        .size:           112
        .value_kind:     by_value
    .group_segment_fixed_size: 0
    .kernarg_segment_align: 8
    .kernarg_segment_size: 112
    .language:       OpenCL C
    .language_version:
      - 2
      - 0
    .max_flat_workgroup_size: 256
    .name:           _ZN7rocprim17ROCPRIM_400000_NS6detail17trampoline_kernelINS0_14default_configENS1_27scan_by_key_config_selectorIssEEZZNS1_16scan_by_key_implILNS1_25lookback_scan_determinismE0ELb1ES3_N6thrust23THRUST_200600_302600_NS6detail15normal_iteratorINS9_10device_ptrIsEEEESE_SE_sNS9_4plusIvEENS9_8equal_toIvEEsEE10hipError_tPvRmT2_T3_T4_T5_mT6_T7_P12ihipStream_tbENKUlT_T0_E_clISt17integral_constantIbLb1EESZ_EEDaSU_SV_EUlSU_E_NS1_11comp_targetILNS1_3genE9ELNS1_11target_archE1100ELNS1_3gpuE3ELNS1_3repE0EEENS1_30default_config_static_selectorELNS0_4arch9wavefront6targetE0EEEvT1_
    .private_segment_fixed_size: 0
    .sgpr_count:     0
    .sgpr_spill_count: 0
    .symbol:         _ZN7rocprim17ROCPRIM_400000_NS6detail17trampoline_kernelINS0_14default_configENS1_27scan_by_key_config_selectorIssEEZZNS1_16scan_by_key_implILNS1_25lookback_scan_determinismE0ELb1ES3_N6thrust23THRUST_200600_302600_NS6detail15normal_iteratorINS9_10device_ptrIsEEEESE_SE_sNS9_4plusIvEENS9_8equal_toIvEEsEE10hipError_tPvRmT2_T3_T4_T5_mT6_T7_P12ihipStream_tbENKUlT_T0_E_clISt17integral_constantIbLb1EESZ_EEDaSU_SV_EUlSU_E_NS1_11comp_targetILNS1_3genE9ELNS1_11target_archE1100ELNS1_3gpuE3ELNS1_3repE0EEENS1_30default_config_static_selectorELNS0_4arch9wavefront6targetE0EEEvT1_.kd
    .uniform_work_group_size: 1
    .uses_dynamic_stack: false
    .vgpr_count:     0
    .vgpr_spill_count: 0
    .wavefront_size: 32
  - .args:
      - .offset:         0
        .size:           112
        .value_kind:     by_value
    .group_segment_fixed_size: 0
    .kernarg_segment_align: 8
    .kernarg_segment_size: 112
    .language:       OpenCL C
    .language_version:
      - 2
      - 0
    .max_flat_workgroup_size: 64
    .name:           _ZN7rocprim17ROCPRIM_400000_NS6detail17trampoline_kernelINS0_14default_configENS1_27scan_by_key_config_selectorIssEEZZNS1_16scan_by_key_implILNS1_25lookback_scan_determinismE0ELb1ES3_N6thrust23THRUST_200600_302600_NS6detail15normal_iteratorINS9_10device_ptrIsEEEESE_SE_sNS9_4plusIvEENS9_8equal_toIvEEsEE10hipError_tPvRmT2_T3_T4_T5_mT6_T7_P12ihipStream_tbENKUlT_T0_E_clISt17integral_constantIbLb1EESZ_EEDaSU_SV_EUlSU_E_NS1_11comp_targetILNS1_3genE8ELNS1_11target_archE1030ELNS1_3gpuE2ELNS1_3repE0EEENS1_30default_config_static_selectorELNS0_4arch9wavefront6targetE0EEEvT1_
    .private_segment_fixed_size: 0
    .sgpr_count:     0
    .sgpr_spill_count: 0
    .symbol:         _ZN7rocprim17ROCPRIM_400000_NS6detail17trampoline_kernelINS0_14default_configENS1_27scan_by_key_config_selectorIssEEZZNS1_16scan_by_key_implILNS1_25lookback_scan_determinismE0ELb1ES3_N6thrust23THRUST_200600_302600_NS6detail15normal_iteratorINS9_10device_ptrIsEEEESE_SE_sNS9_4plusIvEENS9_8equal_toIvEEsEE10hipError_tPvRmT2_T3_T4_T5_mT6_T7_P12ihipStream_tbENKUlT_T0_E_clISt17integral_constantIbLb1EESZ_EEDaSU_SV_EUlSU_E_NS1_11comp_targetILNS1_3genE8ELNS1_11target_archE1030ELNS1_3gpuE2ELNS1_3repE0EEENS1_30default_config_static_selectorELNS0_4arch9wavefront6targetE0EEEvT1_.kd
    .uniform_work_group_size: 1
    .uses_dynamic_stack: false
    .vgpr_count:     0
    .vgpr_spill_count: 0
    .wavefront_size: 32
  - .args:
      - .offset:         0
        .size:           112
        .value_kind:     by_value
    .group_segment_fixed_size: 0
    .kernarg_segment_align: 8
    .kernarg_segment_size: 112
    .language:       OpenCL C
    .language_version:
      - 2
      - 0
    .max_flat_workgroup_size: 256
    .name:           _ZN7rocprim17ROCPRIM_400000_NS6detail17trampoline_kernelINS0_14default_configENS1_27scan_by_key_config_selectorIssEEZZNS1_16scan_by_key_implILNS1_25lookback_scan_determinismE0ELb1ES3_N6thrust23THRUST_200600_302600_NS6detail15normal_iteratorINS9_10device_ptrIsEEEESE_SE_sNS9_4plusIvEENS9_8equal_toIvEEsEE10hipError_tPvRmT2_T3_T4_T5_mT6_T7_P12ihipStream_tbENKUlT_T0_E_clISt17integral_constantIbLb1EESY_IbLb0EEEEDaSU_SV_EUlSU_E_NS1_11comp_targetILNS1_3genE0ELNS1_11target_archE4294967295ELNS1_3gpuE0ELNS1_3repE0EEENS1_30default_config_static_selectorELNS0_4arch9wavefront6targetE0EEEvT1_
    .private_segment_fixed_size: 0
    .sgpr_count:     0
    .sgpr_spill_count: 0
    .symbol:         _ZN7rocprim17ROCPRIM_400000_NS6detail17trampoline_kernelINS0_14default_configENS1_27scan_by_key_config_selectorIssEEZZNS1_16scan_by_key_implILNS1_25lookback_scan_determinismE0ELb1ES3_N6thrust23THRUST_200600_302600_NS6detail15normal_iteratorINS9_10device_ptrIsEEEESE_SE_sNS9_4plusIvEENS9_8equal_toIvEEsEE10hipError_tPvRmT2_T3_T4_T5_mT6_T7_P12ihipStream_tbENKUlT_T0_E_clISt17integral_constantIbLb1EESY_IbLb0EEEEDaSU_SV_EUlSU_E_NS1_11comp_targetILNS1_3genE0ELNS1_11target_archE4294967295ELNS1_3gpuE0ELNS1_3repE0EEENS1_30default_config_static_selectorELNS0_4arch9wavefront6targetE0EEEvT1_.kd
    .uniform_work_group_size: 1
    .uses_dynamic_stack: false
    .vgpr_count:     0
    .vgpr_spill_count: 0
    .wavefront_size: 32
  - .args:
      - .offset:         0
        .size:           112
        .value_kind:     by_value
    .group_segment_fixed_size: 0
    .kernarg_segment_align: 8
    .kernarg_segment_size: 112
    .language:       OpenCL C
    .language_version:
      - 2
      - 0
    .max_flat_workgroup_size: 128
    .name:           _ZN7rocprim17ROCPRIM_400000_NS6detail17trampoline_kernelINS0_14default_configENS1_27scan_by_key_config_selectorIssEEZZNS1_16scan_by_key_implILNS1_25lookback_scan_determinismE0ELb1ES3_N6thrust23THRUST_200600_302600_NS6detail15normal_iteratorINS9_10device_ptrIsEEEESE_SE_sNS9_4plusIvEENS9_8equal_toIvEEsEE10hipError_tPvRmT2_T3_T4_T5_mT6_T7_P12ihipStream_tbENKUlT_T0_E_clISt17integral_constantIbLb1EESY_IbLb0EEEEDaSU_SV_EUlSU_E_NS1_11comp_targetILNS1_3genE10ELNS1_11target_archE1201ELNS1_3gpuE5ELNS1_3repE0EEENS1_30default_config_static_selectorELNS0_4arch9wavefront6targetE0EEEvT1_
    .private_segment_fixed_size: 0
    .sgpr_count:     0
    .sgpr_spill_count: 0
    .symbol:         _ZN7rocprim17ROCPRIM_400000_NS6detail17trampoline_kernelINS0_14default_configENS1_27scan_by_key_config_selectorIssEEZZNS1_16scan_by_key_implILNS1_25lookback_scan_determinismE0ELb1ES3_N6thrust23THRUST_200600_302600_NS6detail15normal_iteratorINS9_10device_ptrIsEEEESE_SE_sNS9_4plusIvEENS9_8equal_toIvEEsEE10hipError_tPvRmT2_T3_T4_T5_mT6_T7_P12ihipStream_tbENKUlT_T0_E_clISt17integral_constantIbLb1EESY_IbLb0EEEEDaSU_SV_EUlSU_E_NS1_11comp_targetILNS1_3genE10ELNS1_11target_archE1201ELNS1_3gpuE5ELNS1_3repE0EEENS1_30default_config_static_selectorELNS0_4arch9wavefront6targetE0EEEvT1_.kd
    .uniform_work_group_size: 1
    .uses_dynamic_stack: false
    .vgpr_count:     0
    .vgpr_spill_count: 0
    .wavefront_size: 32
  - .args:
      - .offset:         0
        .size:           112
        .value_kind:     by_value
    .group_segment_fixed_size: 0
    .kernarg_segment_align: 8
    .kernarg_segment_size: 112
    .language:       OpenCL C
    .language_version:
      - 2
      - 0
    .max_flat_workgroup_size: 256
    .name:           _ZN7rocprim17ROCPRIM_400000_NS6detail17trampoline_kernelINS0_14default_configENS1_27scan_by_key_config_selectorIssEEZZNS1_16scan_by_key_implILNS1_25lookback_scan_determinismE0ELb1ES3_N6thrust23THRUST_200600_302600_NS6detail15normal_iteratorINS9_10device_ptrIsEEEESE_SE_sNS9_4plusIvEENS9_8equal_toIvEEsEE10hipError_tPvRmT2_T3_T4_T5_mT6_T7_P12ihipStream_tbENKUlT_T0_E_clISt17integral_constantIbLb1EESY_IbLb0EEEEDaSU_SV_EUlSU_E_NS1_11comp_targetILNS1_3genE5ELNS1_11target_archE942ELNS1_3gpuE9ELNS1_3repE0EEENS1_30default_config_static_selectorELNS0_4arch9wavefront6targetE0EEEvT1_
    .private_segment_fixed_size: 0
    .sgpr_count:     0
    .sgpr_spill_count: 0
    .symbol:         _ZN7rocprim17ROCPRIM_400000_NS6detail17trampoline_kernelINS0_14default_configENS1_27scan_by_key_config_selectorIssEEZZNS1_16scan_by_key_implILNS1_25lookback_scan_determinismE0ELb1ES3_N6thrust23THRUST_200600_302600_NS6detail15normal_iteratorINS9_10device_ptrIsEEEESE_SE_sNS9_4plusIvEENS9_8equal_toIvEEsEE10hipError_tPvRmT2_T3_T4_T5_mT6_T7_P12ihipStream_tbENKUlT_T0_E_clISt17integral_constantIbLb1EESY_IbLb0EEEEDaSU_SV_EUlSU_E_NS1_11comp_targetILNS1_3genE5ELNS1_11target_archE942ELNS1_3gpuE9ELNS1_3repE0EEENS1_30default_config_static_selectorELNS0_4arch9wavefront6targetE0EEEvT1_.kd
    .uniform_work_group_size: 1
    .uses_dynamic_stack: false
    .vgpr_count:     0
    .vgpr_spill_count: 0
    .wavefront_size: 32
  - .args:
      - .offset:         0
        .size:           112
        .value_kind:     by_value
    .group_segment_fixed_size: 0
    .kernarg_segment_align: 8
    .kernarg_segment_size: 112
    .language:       OpenCL C
    .language_version:
      - 2
      - 0
    .max_flat_workgroup_size: 256
    .name:           _ZN7rocprim17ROCPRIM_400000_NS6detail17trampoline_kernelINS0_14default_configENS1_27scan_by_key_config_selectorIssEEZZNS1_16scan_by_key_implILNS1_25lookback_scan_determinismE0ELb1ES3_N6thrust23THRUST_200600_302600_NS6detail15normal_iteratorINS9_10device_ptrIsEEEESE_SE_sNS9_4plusIvEENS9_8equal_toIvEEsEE10hipError_tPvRmT2_T3_T4_T5_mT6_T7_P12ihipStream_tbENKUlT_T0_E_clISt17integral_constantIbLb1EESY_IbLb0EEEEDaSU_SV_EUlSU_E_NS1_11comp_targetILNS1_3genE4ELNS1_11target_archE910ELNS1_3gpuE8ELNS1_3repE0EEENS1_30default_config_static_selectorELNS0_4arch9wavefront6targetE0EEEvT1_
    .private_segment_fixed_size: 0
    .sgpr_count:     0
    .sgpr_spill_count: 0
    .symbol:         _ZN7rocprim17ROCPRIM_400000_NS6detail17trampoline_kernelINS0_14default_configENS1_27scan_by_key_config_selectorIssEEZZNS1_16scan_by_key_implILNS1_25lookback_scan_determinismE0ELb1ES3_N6thrust23THRUST_200600_302600_NS6detail15normal_iteratorINS9_10device_ptrIsEEEESE_SE_sNS9_4plusIvEENS9_8equal_toIvEEsEE10hipError_tPvRmT2_T3_T4_T5_mT6_T7_P12ihipStream_tbENKUlT_T0_E_clISt17integral_constantIbLb1EESY_IbLb0EEEEDaSU_SV_EUlSU_E_NS1_11comp_targetILNS1_3genE4ELNS1_11target_archE910ELNS1_3gpuE8ELNS1_3repE0EEENS1_30default_config_static_selectorELNS0_4arch9wavefront6targetE0EEEvT1_.kd
    .uniform_work_group_size: 1
    .uses_dynamic_stack: false
    .vgpr_count:     0
    .vgpr_spill_count: 0
    .wavefront_size: 32
  - .args:
      - .offset:         0
        .size:           112
        .value_kind:     by_value
    .group_segment_fixed_size: 0
    .kernarg_segment_align: 8
    .kernarg_segment_size: 112
    .language:       OpenCL C
    .language_version:
      - 2
      - 0
    .max_flat_workgroup_size: 256
    .name:           _ZN7rocprim17ROCPRIM_400000_NS6detail17trampoline_kernelINS0_14default_configENS1_27scan_by_key_config_selectorIssEEZZNS1_16scan_by_key_implILNS1_25lookback_scan_determinismE0ELb1ES3_N6thrust23THRUST_200600_302600_NS6detail15normal_iteratorINS9_10device_ptrIsEEEESE_SE_sNS9_4plusIvEENS9_8equal_toIvEEsEE10hipError_tPvRmT2_T3_T4_T5_mT6_T7_P12ihipStream_tbENKUlT_T0_E_clISt17integral_constantIbLb1EESY_IbLb0EEEEDaSU_SV_EUlSU_E_NS1_11comp_targetILNS1_3genE3ELNS1_11target_archE908ELNS1_3gpuE7ELNS1_3repE0EEENS1_30default_config_static_selectorELNS0_4arch9wavefront6targetE0EEEvT1_
    .private_segment_fixed_size: 0
    .sgpr_count:     0
    .sgpr_spill_count: 0
    .symbol:         _ZN7rocprim17ROCPRIM_400000_NS6detail17trampoline_kernelINS0_14default_configENS1_27scan_by_key_config_selectorIssEEZZNS1_16scan_by_key_implILNS1_25lookback_scan_determinismE0ELb1ES3_N6thrust23THRUST_200600_302600_NS6detail15normal_iteratorINS9_10device_ptrIsEEEESE_SE_sNS9_4plusIvEENS9_8equal_toIvEEsEE10hipError_tPvRmT2_T3_T4_T5_mT6_T7_P12ihipStream_tbENKUlT_T0_E_clISt17integral_constantIbLb1EESY_IbLb0EEEEDaSU_SV_EUlSU_E_NS1_11comp_targetILNS1_3genE3ELNS1_11target_archE908ELNS1_3gpuE7ELNS1_3repE0EEENS1_30default_config_static_selectorELNS0_4arch9wavefront6targetE0EEEvT1_.kd
    .uniform_work_group_size: 1
    .uses_dynamic_stack: false
    .vgpr_count:     0
    .vgpr_spill_count: 0
    .wavefront_size: 32
  - .args:
      - .offset:         0
        .size:           112
        .value_kind:     by_value
    .group_segment_fixed_size: 0
    .kernarg_segment_align: 8
    .kernarg_segment_size: 112
    .language:       OpenCL C
    .language_version:
      - 2
      - 0
    .max_flat_workgroup_size: 64
    .name:           _ZN7rocprim17ROCPRIM_400000_NS6detail17trampoline_kernelINS0_14default_configENS1_27scan_by_key_config_selectorIssEEZZNS1_16scan_by_key_implILNS1_25lookback_scan_determinismE0ELb1ES3_N6thrust23THRUST_200600_302600_NS6detail15normal_iteratorINS9_10device_ptrIsEEEESE_SE_sNS9_4plusIvEENS9_8equal_toIvEEsEE10hipError_tPvRmT2_T3_T4_T5_mT6_T7_P12ihipStream_tbENKUlT_T0_E_clISt17integral_constantIbLb1EESY_IbLb0EEEEDaSU_SV_EUlSU_E_NS1_11comp_targetILNS1_3genE2ELNS1_11target_archE906ELNS1_3gpuE6ELNS1_3repE0EEENS1_30default_config_static_selectorELNS0_4arch9wavefront6targetE0EEEvT1_
    .private_segment_fixed_size: 0
    .sgpr_count:     0
    .sgpr_spill_count: 0
    .symbol:         _ZN7rocprim17ROCPRIM_400000_NS6detail17trampoline_kernelINS0_14default_configENS1_27scan_by_key_config_selectorIssEEZZNS1_16scan_by_key_implILNS1_25lookback_scan_determinismE0ELb1ES3_N6thrust23THRUST_200600_302600_NS6detail15normal_iteratorINS9_10device_ptrIsEEEESE_SE_sNS9_4plusIvEENS9_8equal_toIvEEsEE10hipError_tPvRmT2_T3_T4_T5_mT6_T7_P12ihipStream_tbENKUlT_T0_E_clISt17integral_constantIbLb1EESY_IbLb0EEEEDaSU_SV_EUlSU_E_NS1_11comp_targetILNS1_3genE2ELNS1_11target_archE906ELNS1_3gpuE6ELNS1_3repE0EEENS1_30default_config_static_selectorELNS0_4arch9wavefront6targetE0EEEvT1_.kd
    .uniform_work_group_size: 1
    .uses_dynamic_stack: false
    .vgpr_count:     0
    .vgpr_spill_count: 0
    .wavefront_size: 32
  - .args:
      - .offset:         0
        .size:           112
        .value_kind:     by_value
    .group_segment_fixed_size: 0
    .kernarg_segment_align: 8
    .kernarg_segment_size: 112
    .language:       OpenCL C
    .language_version:
      - 2
      - 0
    .max_flat_workgroup_size: 256
    .name:           _ZN7rocprim17ROCPRIM_400000_NS6detail17trampoline_kernelINS0_14default_configENS1_27scan_by_key_config_selectorIssEEZZNS1_16scan_by_key_implILNS1_25lookback_scan_determinismE0ELb1ES3_N6thrust23THRUST_200600_302600_NS6detail15normal_iteratorINS9_10device_ptrIsEEEESE_SE_sNS9_4plusIvEENS9_8equal_toIvEEsEE10hipError_tPvRmT2_T3_T4_T5_mT6_T7_P12ihipStream_tbENKUlT_T0_E_clISt17integral_constantIbLb1EESY_IbLb0EEEEDaSU_SV_EUlSU_E_NS1_11comp_targetILNS1_3genE10ELNS1_11target_archE1200ELNS1_3gpuE4ELNS1_3repE0EEENS1_30default_config_static_selectorELNS0_4arch9wavefront6targetE0EEEvT1_
    .private_segment_fixed_size: 0
    .sgpr_count:     0
    .sgpr_spill_count: 0
    .symbol:         _ZN7rocprim17ROCPRIM_400000_NS6detail17trampoline_kernelINS0_14default_configENS1_27scan_by_key_config_selectorIssEEZZNS1_16scan_by_key_implILNS1_25lookback_scan_determinismE0ELb1ES3_N6thrust23THRUST_200600_302600_NS6detail15normal_iteratorINS9_10device_ptrIsEEEESE_SE_sNS9_4plusIvEENS9_8equal_toIvEEsEE10hipError_tPvRmT2_T3_T4_T5_mT6_T7_P12ihipStream_tbENKUlT_T0_E_clISt17integral_constantIbLb1EESY_IbLb0EEEEDaSU_SV_EUlSU_E_NS1_11comp_targetILNS1_3genE10ELNS1_11target_archE1200ELNS1_3gpuE4ELNS1_3repE0EEENS1_30default_config_static_selectorELNS0_4arch9wavefront6targetE0EEEvT1_.kd
    .uniform_work_group_size: 1
    .uses_dynamic_stack: false
    .vgpr_count:     0
    .vgpr_spill_count: 0
    .wavefront_size: 32
  - .args:
      - .offset:         0
        .size:           112
        .value_kind:     by_value
    .group_segment_fixed_size: 0
    .kernarg_segment_align: 8
    .kernarg_segment_size: 112
    .language:       OpenCL C
    .language_version:
      - 2
      - 0
    .max_flat_workgroup_size: 256
    .name:           _ZN7rocprim17ROCPRIM_400000_NS6detail17trampoline_kernelINS0_14default_configENS1_27scan_by_key_config_selectorIssEEZZNS1_16scan_by_key_implILNS1_25lookback_scan_determinismE0ELb1ES3_N6thrust23THRUST_200600_302600_NS6detail15normal_iteratorINS9_10device_ptrIsEEEESE_SE_sNS9_4plusIvEENS9_8equal_toIvEEsEE10hipError_tPvRmT2_T3_T4_T5_mT6_T7_P12ihipStream_tbENKUlT_T0_E_clISt17integral_constantIbLb1EESY_IbLb0EEEEDaSU_SV_EUlSU_E_NS1_11comp_targetILNS1_3genE9ELNS1_11target_archE1100ELNS1_3gpuE3ELNS1_3repE0EEENS1_30default_config_static_selectorELNS0_4arch9wavefront6targetE0EEEvT1_
    .private_segment_fixed_size: 0
    .sgpr_count:     0
    .sgpr_spill_count: 0
    .symbol:         _ZN7rocprim17ROCPRIM_400000_NS6detail17trampoline_kernelINS0_14default_configENS1_27scan_by_key_config_selectorIssEEZZNS1_16scan_by_key_implILNS1_25lookback_scan_determinismE0ELb1ES3_N6thrust23THRUST_200600_302600_NS6detail15normal_iteratorINS9_10device_ptrIsEEEESE_SE_sNS9_4plusIvEENS9_8equal_toIvEEsEE10hipError_tPvRmT2_T3_T4_T5_mT6_T7_P12ihipStream_tbENKUlT_T0_E_clISt17integral_constantIbLb1EESY_IbLb0EEEEDaSU_SV_EUlSU_E_NS1_11comp_targetILNS1_3genE9ELNS1_11target_archE1100ELNS1_3gpuE3ELNS1_3repE0EEENS1_30default_config_static_selectorELNS0_4arch9wavefront6targetE0EEEvT1_.kd
    .uniform_work_group_size: 1
    .uses_dynamic_stack: false
    .vgpr_count:     0
    .vgpr_spill_count: 0
    .wavefront_size: 32
  - .args:
      - .offset:         0
        .size:           112
        .value_kind:     by_value
    .group_segment_fixed_size: 0
    .kernarg_segment_align: 8
    .kernarg_segment_size: 112
    .language:       OpenCL C
    .language_version:
      - 2
      - 0
    .max_flat_workgroup_size: 64
    .name:           _ZN7rocprim17ROCPRIM_400000_NS6detail17trampoline_kernelINS0_14default_configENS1_27scan_by_key_config_selectorIssEEZZNS1_16scan_by_key_implILNS1_25lookback_scan_determinismE0ELb1ES3_N6thrust23THRUST_200600_302600_NS6detail15normal_iteratorINS9_10device_ptrIsEEEESE_SE_sNS9_4plusIvEENS9_8equal_toIvEEsEE10hipError_tPvRmT2_T3_T4_T5_mT6_T7_P12ihipStream_tbENKUlT_T0_E_clISt17integral_constantIbLb1EESY_IbLb0EEEEDaSU_SV_EUlSU_E_NS1_11comp_targetILNS1_3genE8ELNS1_11target_archE1030ELNS1_3gpuE2ELNS1_3repE0EEENS1_30default_config_static_selectorELNS0_4arch9wavefront6targetE0EEEvT1_
    .private_segment_fixed_size: 0
    .sgpr_count:     0
    .sgpr_spill_count: 0
    .symbol:         _ZN7rocprim17ROCPRIM_400000_NS6detail17trampoline_kernelINS0_14default_configENS1_27scan_by_key_config_selectorIssEEZZNS1_16scan_by_key_implILNS1_25lookback_scan_determinismE0ELb1ES3_N6thrust23THRUST_200600_302600_NS6detail15normal_iteratorINS9_10device_ptrIsEEEESE_SE_sNS9_4plusIvEENS9_8equal_toIvEEsEE10hipError_tPvRmT2_T3_T4_T5_mT6_T7_P12ihipStream_tbENKUlT_T0_E_clISt17integral_constantIbLb1EESY_IbLb0EEEEDaSU_SV_EUlSU_E_NS1_11comp_targetILNS1_3genE8ELNS1_11target_archE1030ELNS1_3gpuE2ELNS1_3repE0EEENS1_30default_config_static_selectorELNS0_4arch9wavefront6targetE0EEEvT1_.kd
    .uniform_work_group_size: 1
    .uses_dynamic_stack: false
    .vgpr_count:     0
    .vgpr_spill_count: 0
    .wavefront_size: 32
  - .args:
      - .offset:         0
        .size:           112
        .value_kind:     by_value
    .group_segment_fixed_size: 11264
    .kernarg_segment_align: 8
    .kernarg_segment_size: 112
    .language:       OpenCL C
    .language_version:
      - 2
      - 0
    .max_flat_workgroup_size: 256
    .name:           _ZN7rocprim17ROCPRIM_400000_NS6detail17trampoline_kernelINS0_14default_configENS1_27scan_by_key_config_selectorIssEEZZNS1_16scan_by_key_implILNS1_25lookback_scan_determinismE0ELb1ES3_N6thrust23THRUST_200600_302600_NS6detail15normal_iteratorINS9_10device_ptrIsEEEESE_SE_sNS9_4plusIvEENS9_8equal_toIvEEsEE10hipError_tPvRmT2_T3_T4_T5_mT6_T7_P12ihipStream_tbENKUlT_T0_E_clISt17integral_constantIbLb0EESY_IbLb1EEEEDaSU_SV_EUlSU_E_NS1_11comp_targetILNS1_3genE0ELNS1_11target_archE4294967295ELNS1_3gpuE0ELNS1_3repE0EEENS1_30default_config_static_selectorELNS0_4arch9wavefront6targetE0EEEvT1_
    .private_segment_fixed_size: 0
    .sgpr_count:     48
    .sgpr_spill_count: 0
    .symbol:         _ZN7rocprim17ROCPRIM_400000_NS6detail17trampoline_kernelINS0_14default_configENS1_27scan_by_key_config_selectorIssEEZZNS1_16scan_by_key_implILNS1_25lookback_scan_determinismE0ELb1ES3_N6thrust23THRUST_200600_302600_NS6detail15normal_iteratorINS9_10device_ptrIsEEEESE_SE_sNS9_4plusIvEENS9_8equal_toIvEEsEE10hipError_tPvRmT2_T3_T4_T5_mT6_T7_P12ihipStream_tbENKUlT_T0_E_clISt17integral_constantIbLb0EESY_IbLb1EEEEDaSU_SV_EUlSU_E_NS1_11comp_targetILNS1_3genE0ELNS1_11target_archE4294967295ELNS1_3gpuE0ELNS1_3repE0EEENS1_30default_config_static_selectorELNS0_4arch9wavefront6targetE0EEEvT1_.kd
    .uniform_work_group_size: 1
    .uses_dynamic_stack: false
    .vgpr_count:     57
    .vgpr_spill_count: 0
    .wavefront_size: 32
  - .args:
      - .offset:         0
        .size:           112
        .value_kind:     by_value
    .group_segment_fixed_size: 0
    .kernarg_segment_align: 8
    .kernarg_segment_size: 112
    .language:       OpenCL C
    .language_version:
      - 2
      - 0
    .max_flat_workgroup_size: 128
    .name:           _ZN7rocprim17ROCPRIM_400000_NS6detail17trampoline_kernelINS0_14default_configENS1_27scan_by_key_config_selectorIssEEZZNS1_16scan_by_key_implILNS1_25lookback_scan_determinismE0ELb1ES3_N6thrust23THRUST_200600_302600_NS6detail15normal_iteratorINS9_10device_ptrIsEEEESE_SE_sNS9_4plusIvEENS9_8equal_toIvEEsEE10hipError_tPvRmT2_T3_T4_T5_mT6_T7_P12ihipStream_tbENKUlT_T0_E_clISt17integral_constantIbLb0EESY_IbLb1EEEEDaSU_SV_EUlSU_E_NS1_11comp_targetILNS1_3genE10ELNS1_11target_archE1201ELNS1_3gpuE5ELNS1_3repE0EEENS1_30default_config_static_selectorELNS0_4arch9wavefront6targetE0EEEvT1_
    .private_segment_fixed_size: 0
    .sgpr_count:     0
    .sgpr_spill_count: 0
    .symbol:         _ZN7rocprim17ROCPRIM_400000_NS6detail17trampoline_kernelINS0_14default_configENS1_27scan_by_key_config_selectorIssEEZZNS1_16scan_by_key_implILNS1_25lookback_scan_determinismE0ELb1ES3_N6thrust23THRUST_200600_302600_NS6detail15normal_iteratorINS9_10device_ptrIsEEEESE_SE_sNS9_4plusIvEENS9_8equal_toIvEEsEE10hipError_tPvRmT2_T3_T4_T5_mT6_T7_P12ihipStream_tbENKUlT_T0_E_clISt17integral_constantIbLb0EESY_IbLb1EEEEDaSU_SV_EUlSU_E_NS1_11comp_targetILNS1_3genE10ELNS1_11target_archE1201ELNS1_3gpuE5ELNS1_3repE0EEENS1_30default_config_static_selectorELNS0_4arch9wavefront6targetE0EEEvT1_.kd
    .uniform_work_group_size: 1
    .uses_dynamic_stack: false
    .vgpr_count:     0
    .vgpr_spill_count: 0
    .wavefront_size: 32
  - .args:
      - .offset:         0
        .size:           112
        .value_kind:     by_value
    .group_segment_fixed_size: 0
    .kernarg_segment_align: 8
    .kernarg_segment_size: 112
    .language:       OpenCL C
    .language_version:
      - 2
      - 0
    .max_flat_workgroup_size: 256
    .name:           _ZN7rocprim17ROCPRIM_400000_NS6detail17trampoline_kernelINS0_14default_configENS1_27scan_by_key_config_selectorIssEEZZNS1_16scan_by_key_implILNS1_25lookback_scan_determinismE0ELb1ES3_N6thrust23THRUST_200600_302600_NS6detail15normal_iteratorINS9_10device_ptrIsEEEESE_SE_sNS9_4plusIvEENS9_8equal_toIvEEsEE10hipError_tPvRmT2_T3_T4_T5_mT6_T7_P12ihipStream_tbENKUlT_T0_E_clISt17integral_constantIbLb0EESY_IbLb1EEEEDaSU_SV_EUlSU_E_NS1_11comp_targetILNS1_3genE5ELNS1_11target_archE942ELNS1_3gpuE9ELNS1_3repE0EEENS1_30default_config_static_selectorELNS0_4arch9wavefront6targetE0EEEvT1_
    .private_segment_fixed_size: 0
    .sgpr_count:     0
    .sgpr_spill_count: 0
    .symbol:         _ZN7rocprim17ROCPRIM_400000_NS6detail17trampoline_kernelINS0_14default_configENS1_27scan_by_key_config_selectorIssEEZZNS1_16scan_by_key_implILNS1_25lookback_scan_determinismE0ELb1ES3_N6thrust23THRUST_200600_302600_NS6detail15normal_iteratorINS9_10device_ptrIsEEEESE_SE_sNS9_4plusIvEENS9_8equal_toIvEEsEE10hipError_tPvRmT2_T3_T4_T5_mT6_T7_P12ihipStream_tbENKUlT_T0_E_clISt17integral_constantIbLb0EESY_IbLb1EEEEDaSU_SV_EUlSU_E_NS1_11comp_targetILNS1_3genE5ELNS1_11target_archE942ELNS1_3gpuE9ELNS1_3repE0EEENS1_30default_config_static_selectorELNS0_4arch9wavefront6targetE0EEEvT1_.kd
    .uniform_work_group_size: 1
    .uses_dynamic_stack: false
    .vgpr_count:     0
    .vgpr_spill_count: 0
    .wavefront_size: 32
  - .args:
      - .offset:         0
        .size:           112
        .value_kind:     by_value
    .group_segment_fixed_size: 0
    .kernarg_segment_align: 8
    .kernarg_segment_size: 112
    .language:       OpenCL C
    .language_version:
      - 2
      - 0
    .max_flat_workgroup_size: 256
    .name:           _ZN7rocprim17ROCPRIM_400000_NS6detail17trampoline_kernelINS0_14default_configENS1_27scan_by_key_config_selectorIssEEZZNS1_16scan_by_key_implILNS1_25lookback_scan_determinismE0ELb1ES3_N6thrust23THRUST_200600_302600_NS6detail15normal_iteratorINS9_10device_ptrIsEEEESE_SE_sNS9_4plusIvEENS9_8equal_toIvEEsEE10hipError_tPvRmT2_T3_T4_T5_mT6_T7_P12ihipStream_tbENKUlT_T0_E_clISt17integral_constantIbLb0EESY_IbLb1EEEEDaSU_SV_EUlSU_E_NS1_11comp_targetILNS1_3genE4ELNS1_11target_archE910ELNS1_3gpuE8ELNS1_3repE0EEENS1_30default_config_static_selectorELNS0_4arch9wavefront6targetE0EEEvT1_
    .private_segment_fixed_size: 0
    .sgpr_count:     0
    .sgpr_spill_count: 0
    .symbol:         _ZN7rocprim17ROCPRIM_400000_NS6detail17trampoline_kernelINS0_14default_configENS1_27scan_by_key_config_selectorIssEEZZNS1_16scan_by_key_implILNS1_25lookback_scan_determinismE0ELb1ES3_N6thrust23THRUST_200600_302600_NS6detail15normal_iteratorINS9_10device_ptrIsEEEESE_SE_sNS9_4plusIvEENS9_8equal_toIvEEsEE10hipError_tPvRmT2_T3_T4_T5_mT6_T7_P12ihipStream_tbENKUlT_T0_E_clISt17integral_constantIbLb0EESY_IbLb1EEEEDaSU_SV_EUlSU_E_NS1_11comp_targetILNS1_3genE4ELNS1_11target_archE910ELNS1_3gpuE8ELNS1_3repE0EEENS1_30default_config_static_selectorELNS0_4arch9wavefront6targetE0EEEvT1_.kd
    .uniform_work_group_size: 1
    .uses_dynamic_stack: false
    .vgpr_count:     0
    .vgpr_spill_count: 0
    .wavefront_size: 32
  - .args:
      - .offset:         0
        .size:           112
        .value_kind:     by_value
    .group_segment_fixed_size: 0
    .kernarg_segment_align: 8
    .kernarg_segment_size: 112
    .language:       OpenCL C
    .language_version:
      - 2
      - 0
    .max_flat_workgroup_size: 256
    .name:           _ZN7rocprim17ROCPRIM_400000_NS6detail17trampoline_kernelINS0_14default_configENS1_27scan_by_key_config_selectorIssEEZZNS1_16scan_by_key_implILNS1_25lookback_scan_determinismE0ELb1ES3_N6thrust23THRUST_200600_302600_NS6detail15normal_iteratorINS9_10device_ptrIsEEEESE_SE_sNS9_4plusIvEENS9_8equal_toIvEEsEE10hipError_tPvRmT2_T3_T4_T5_mT6_T7_P12ihipStream_tbENKUlT_T0_E_clISt17integral_constantIbLb0EESY_IbLb1EEEEDaSU_SV_EUlSU_E_NS1_11comp_targetILNS1_3genE3ELNS1_11target_archE908ELNS1_3gpuE7ELNS1_3repE0EEENS1_30default_config_static_selectorELNS0_4arch9wavefront6targetE0EEEvT1_
    .private_segment_fixed_size: 0
    .sgpr_count:     0
    .sgpr_spill_count: 0
    .symbol:         _ZN7rocprim17ROCPRIM_400000_NS6detail17trampoline_kernelINS0_14default_configENS1_27scan_by_key_config_selectorIssEEZZNS1_16scan_by_key_implILNS1_25lookback_scan_determinismE0ELb1ES3_N6thrust23THRUST_200600_302600_NS6detail15normal_iteratorINS9_10device_ptrIsEEEESE_SE_sNS9_4plusIvEENS9_8equal_toIvEEsEE10hipError_tPvRmT2_T3_T4_T5_mT6_T7_P12ihipStream_tbENKUlT_T0_E_clISt17integral_constantIbLb0EESY_IbLb1EEEEDaSU_SV_EUlSU_E_NS1_11comp_targetILNS1_3genE3ELNS1_11target_archE908ELNS1_3gpuE7ELNS1_3repE0EEENS1_30default_config_static_selectorELNS0_4arch9wavefront6targetE0EEEvT1_.kd
    .uniform_work_group_size: 1
    .uses_dynamic_stack: false
    .vgpr_count:     0
    .vgpr_spill_count: 0
    .wavefront_size: 32
  - .args:
      - .offset:         0
        .size:           112
        .value_kind:     by_value
    .group_segment_fixed_size: 0
    .kernarg_segment_align: 8
    .kernarg_segment_size: 112
    .language:       OpenCL C
    .language_version:
      - 2
      - 0
    .max_flat_workgroup_size: 64
    .name:           _ZN7rocprim17ROCPRIM_400000_NS6detail17trampoline_kernelINS0_14default_configENS1_27scan_by_key_config_selectorIssEEZZNS1_16scan_by_key_implILNS1_25lookback_scan_determinismE0ELb1ES3_N6thrust23THRUST_200600_302600_NS6detail15normal_iteratorINS9_10device_ptrIsEEEESE_SE_sNS9_4plusIvEENS9_8equal_toIvEEsEE10hipError_tPvRmT2_T3_T4_T5_mT6_T7_P12ihipStream_tbENKUlT_T0_E_clISt17integral_constantIbLb0EESY_IbLb1EEEEDaSU_SV_EUlSU_E_NS1_11comp_targetILNS1_3genE2ELNS1_11target_archE906ELNS1_3gpuE6ELNS1_3repE0EEENS1_30default_config_static_selectorELNS0_4arch9wavefront6targetE0EEEvT1_
    .private_segment_fixed_size: 0
    .sgpr_count:     0
    .sgpr_spill_count: 0
    .symbol:         _ZN7rocprim17ROCPRIM_400000_NS6detail17trampoline_kernelINS0_14default_configENS1_27scan_by_key_config_selectorIssEEZZNS1_16scan_by_key_implILNS1_25lookback_scan_determinismE0ELb1ES3_N6thrust23THRUST_200600_302600_NS6detail15normal_iteratorINS9_10device_ptrIsEEEESE_SE_sNS9_4plusIvEENS9_8equal_toIvEEsEE10hipError_tPvRmT2_T3_T4_T5_mT6_T7_P12ihipStream_tbENKUlT_T0_E_clISt17integral_constantIbLb0EESY_IbLb1EEEEDaSU_SV_EUlSU_E_NS1_11comp_targetILNS1_3genE2ELNS1_11target_archE906ELNS1_3gpuE6ELNS1_3repE0EEENS1_30default_config_static_selectorELNS0_4arch9wavefront6targetE0EEEvT1_.kd
    .uniform_work_group_size: 1
    .uses_dynamic_stack: false
    .vgpr_count:     0
    .vgpr_spill_count: 0
    .wavefront_size: 32
  - .args:
      - .offset:         0
        .size:           112
        .value_kind:     by_value
    .group_segment_fixed_size: 0
    .kernarg_segment_align: 8
    .kernarg_segment_size: 112
    .language:       OpenCL C
    .language_version:
      - 2
      - 0
    .max_flat_workgroup_size: 256
    .name:           _ZN7rocprim17ROCPRIM_400000_NS6detail17trampoline_kernelINS0_14default_configENS1_27scan_by_key_config_selectorIssEEZZNS1_16scan_by_key_implILNS1_25lookback_scan_determinismE0ELb1ES3_N6thrust23THRUST_200600_302600_NS6detail15normal_iteratorINS9_10device_ptrIsEEEESE_SE_sNS9_4plusIvEENS9_8equal_toIvEEsEE10hipError_tPvRmT2_T3_T4_T5_mT6_T7_P12ihipStream_tbENKUlT_T0_E_clISt17integral_constantIbLb0EESY_IbLb1EEEEDaSU_SV_EUlSU_E_NS1_11comp_targetILNS1_3genE10ELNS1_11target_archE1200ELNS1_3gpuE4ELNS1_3repE0EEENS1_30default_config_static_selectorELNS0_4arch9wavefront6targetE0EEEvT1_
    .private_segment_fixed_size: 0
    .sgpr_count:     0
    .sgpr_spill_count: 0
    .symbol:         _ZN7rocprim17ROCPRIM_400000_NS6detail17trampoline_kernelINS0_14default_configENS1_27scan_by_key_config_selectorIssEEZZNS1_16scan_by_key_implILNS1_25lookback_scan_determinismE0ELb1ES3_N6thrust23THRUST_200600_302600_NS6detail15normal_iteratorINS9_10device_ptrIsEEEESE_SE_sNS9_4plusIvEENS9_8equal_toIvEEsEE10hipError_tPvRmT2_T3_T4_T5_mT6_T7_P12ihipStream_tbENKUlT_T0_E_clISt17integral_constantIbLb0EESY_IbLb1EEEEDaSU_SV_EUlSU_E_NS1_11comp_targetILNS1_3genE10ELNS1_11target_archE1200ELNS1_3gpuE4ELNS1_3repE0EEENS1_30default_config_static_selectorELNS0_4arch9wavefront6targetE0EEEvT1_.kd
    .uniform_work_group_size: 1
    .uses_dynamic_stack: false
    .vgpr_count:     0
    .vgpr_spill_count: 0
    .wavefront_size: 32
  - .args:
      - .offset:         0
        .size:           112
        .value_kind:     by_value
    .group_segment_fixed_size: 0
    .kernarg_segment_align: 8
    .kernarg_segment_size: 112
    .language:       OpenCL C
    .language_version:
      - 2
      - 0
    .max_flat_workgroup_size: 256
    .name:           _ZN7rocprim17ROCPRIM_400000_NS6detail17trampoline_kernelINS0_14default_configENS1_27scan_by_key_config_selectorIssEEZZNS1_16scan_by_key_implILNS1_25lookback_scan_determinismE0ELb1ES3_N6thrust23THRUST_200600_302600_NS6detail15normal_iteratorINS9_10device_ptrIsEEEESE_SE_sNS9_4plusIvEENS9_8equal_toIvEEsEE10hipError_tPvRmT2_T3_T4_T5_mT6_T7_P12ihipStream_tbENKUlT_T0_E_clISt17integral_constantIbLb0EESY_IbLb1EEEEDaSU_SV_EUlSU_E_NS1_11comp_targetILNS1_3genE9ELNS1_11target_archE1100ELNS1_3gpuE3ELNS1_3repE0EEENS1_30default_config_static_selectorELNS0_4arch9wavefront6targetE0EEEvT1_
    .private_segment_fixed_size: 0
    .sgpr_count:     0
    .sgpr_spill_count: 0
    .symbol:         _ZN7rocprim17ROCPRIM_400000_NS6detail17trampoline_kernelINS0_14default_configENS1_27scan_by_key_config_selectorIssEEZZNS1_16scan_by_key_implILNS1_25lookback_scan_determinismE0ELb1ES3_N6thrust23THRUST_200600_302600_NS6detail15normal_iteratorINS9_10device_ptrIsEEEESE_SE_sNS9_4plusIvEENS9_8equal_toIvEEsEE10hipError_tPvRmT2_T3_T4_T5_mT6_T7_P12ihipStream_tbENKUlT_T0_E_clISt17integral_constantIbLb0EESY_IbLb1EEEEDaSU_SV_EUlSU_E_NS1_11comp_targetILNS1_3genE9ELNS1_11target_archE1100ELNS1_3gpuE3ELNS1_3repE0EEENS1_30default_config_static_selectorELNS0_4arch9wavefront6targetE0EEEvT1_.kd
    .uniform_work_group_size: 1
    .uses_dynamic_stack: false
    .vgpr_count:     0
    .vgpr_spill_count: 0
    .wavefront_size: 32
  - .args:
      - .offset:         0
        .size:           112
        .value_kind:     by_value
    .group_segment_fixed_size: 0
    .kernarg_segment_align: 8
    .kernarg_segment_size: 112
    .language:       OpenCL C
    .language_version:
      - 2
      - 0
    .max_flat_workgroup_size: 64
    .name:           _ZN7rocprim17ROCPRIM_400000_NS6detail17trampoline_kernelINS0_14default_configENS1_27scan_by_key_config_selectorIssEEZZNS1_16scan_by_key_implILNS1_25lookback_scan_determinismE0ELb1ES3_N6thrust23THRUST_200600_302600_NS6detail15normal_iteratorINS9_10device_ptrIsEEEESE_SE_sNS9_4plusIvEENS9_8equal_toIvEEsEE10hipError_tPvRmT2_T3_T4_T5_mT6_T7_P12ihipStream_tbENKUlT_T0_E_clISt17integral_constantIbLb0EESY_IbLb1EEEEDaSU_SV_EUlSU_E_NS1_11comp_targetILNS1_3genE8ELNS1_11target_archE1030ELNS1_3gpuE2ELNS1_3repE0EEENS1_30default_config_static_selectorELNS0_4arch9wavefront6targetE0EEEvT1_
    .private_segment_fixed_size: 0
    .sgpr_count:     0
    .sgpr_spill_count: 0
    .symbol:         _ZN7rocprim17ROCPRIM_400000_NS6detail17trampoline_kernelINS0_14default_configENS1_27scan_by_key_config_selectorIssEEZZNS1_16scan_by_key_implILNS1_25lookback_scan_determinismE0ELb1ES3_N6thrust23THRUST_200600_302600_NS6detail15normal_iteratorINS9_10device_ptrIsEEEESE_SE_sNS9_4plusIvEENS9_8equal_toIvEEsEE10hipError_tPvRmT2_T3_T4_T5_mT6_T7_P12ihipStream_tbENKUlT_T0_E_clISt17integral_constantIbLb0EESY_IbLb1EEEEDaSU_SV_EUlSU_E_NS1_11comp_targetILNS1_3genE8ELNS1_11target_archE1030ELNS1_3gpuE2ELNS1_3repE0EEENS1_30default_config_static_selectorELNS0_4arch9wavefront6targetE0EEEvT1_.kd
    .uniform_work_group_size: 1
    .uses_dynamic_stack: false
    .vgpr_count:     0
    .vgpr_spill_count: 0
    .wavefront_size: 32
  - .args:
      - .offset:         0
        .size:           112
        .value_kind:     by_value
    .group_segment_fixed_size: 11264
    .kernarg_segment_align: 8
    .kernarg_segment_size: 112
    .language:       OpenCL C
    .language_version:
      - 2
      - 0
    .max_flat_workgroup_size: 256
    .name:           _ZN7rocprim17ROCPRIM_400000_NS6detail17trampoline_kernelINS0_14default_configENS1_27scan_by_key_config_selectorIssEEZZNS1_16scan_by_key_implILNS1_25lookback_scan_determinismE0ELb1ES3_N6thrust23THRUST_200600_302600_NS6detail15normal_iteratorINS9_10device_ptrIsEEEESE_SE_sNS9_10multipliesIsEENS9_8equal_toIsEEsEE10hipError_tPvRmT2_T3_T4_T5_mT6_T7_P12ihipStream_tbENKUlT_T0_E_clISt17integral_constantIbLb0EESZ_EEDaSU_SV_EUlSU_E_NS1_11comp_targetILNS1_3genE0ELNS1_11target_archE4294967295ELNS1_3gpuE0ELNS1_3repE0EEENS1_30default_config_static_selectorELNS0_4arch9wavefront6targetE0EEEvT1_
    .private_segment_fixed_size: 0
    .sgpr_count:     47
    .sgpr_spill_count: 0
    .symbol:         _ZN7rocprim17ROCPRIM_400000_NS6detail17trampoline_kernelINS0_14default_configENS1_27scan_by_key_config_selectorIssEEZZNS1_16scan_by_key_implILNS1_25lookback_scan_determinismE0ELb1ES3_N6thrust23THRUST_200600_302600_NS6detail15normal_iteratorINS9_10device_ptrIsEEEESE_SE_sNS9_10multipliesIsEENS9_8equal_toIsEEsEE10hipError_tPvRmT2_T3_T4_T5_mT6_T7_P12ihipStream_tbENKUlT_T0_E_clISt17integral_constantIbLb0EESZ_EEDaSU_SV_EUlSU_E_NS1_11comp_targetILNS1_3genE0ELNS1_11target_archE4294967295ELNS1_3gpuE0ELNS1_3repE0EEENS1_30default_config_static_selectorELNS0_4arch9wavefront6targetE0EEEvT1_.kd
    .uniform_work_group_size: 1
    .uses_dynamic_stack: false
    .vgpr_count:     56
    .vgpr_spill_count: 0
    .wavefront_size: 32
  - .args:
      - .offset:         0
        .size:           112
        .value_kind:     by_value
    .group_segment_fixed_size: 0
    .kernarg_segment_align: 8
    .kernarg_segment_size: 112
    .language:       OpenCL C
    .language_version:
      - 2
      - 0
    .max_flat_workgroup_size: 128
    .name:           _ZN7rocprim17ROCPRIM_400000_NS6detail17trampoline_kernelINS0_14default_configENS1_27scan_by_key_config_selectorIssEEZZNS1_16scan_by_key_implILNS1_25lookback_scan_determinismE0ELb1ES3_N6thrust23THRUST_200600_302600_NS6detail15normal_iteratorINS9_10device_ptrIsEEEESE_SE_sNS9_10multipliesIsEENS9_8equal_toIsEEsEE10hipError_tPvRmT2_T3_T4_T5_mT6_T7_P12ihipStream_tbENKUlT_T0_E_clISt17integral_constantIbLb0EESZ_EEDaSU_SV_EUlSU_E_NS1_11comp_targetILNS1_3genE10ELNS1_11target_archE1201ELNS1_3gpuE5ELNS1_3repE0EEENS1_30default_config_static_selectorELNS0_4arch9wavefront6targetE0EEEvT1_
    .private_segment_fixed_size: 0
    .sgpr_count:     0
    .sgpr_spill_count: 0
    .symbol:         _ZN7rocprim17ROCPRIM_400000_NS6detail17trampoline_kernelINS0_14default_configENS1_27scan_by_key_config_selectorIssEEZZNS1_16scan_by_key_implILNS1_25lookback_scan_determinismE0ELb1ES3_N6thrust23THRUST_200600_302600_NS6detail15normal_iteratorINS9_10device_ptrIsEEEESE_SE_sNS9_10multipliesIsEENS9_8equal_toIsEEsEE10hipError_tPvRmT2_T3_T4_T5_mT6_T7_P12ihipStream_tbENKUlT_T0_E_clISt17integral_constantIbLb0EESZ_EEDaSU_SV_EUlSU_E_NS1_11comp_targetILNS1_3genE10ELNS1_11target_archE1201ELNS1_3gpuE5ELNS1_3repE0EEENS1_30default_config_static_selectorELNS0_4arch9wavefront6targetE0EEEvT1_.kd
    .uniform_work_group_size: 1
    .uses_dynamic_stack: false
    .vgpr_count:     0
    .vgpr_spill_count: 0
    .wavefront_size: 32
  - .args:
      - .offset:         0
        .size:           112
        .value_kind:     by_value
    .group_segment_fixed_size: 0
    .kernarg_segment_align: 8
    .kernarg_segment_size: 112
    .language:       OpenCL C
    .language_version:
      - 2
      - 0
    .max_flat_workgroup_size: 256
    .name:           _ZN7rocprim17ROCPRIM_400000_NS6detail17trampoline_kernelINS0_14default_configENS1_27scan_by_key_config_selectorIssEEZZNS1_16scan_by_key_implILNS1_25lookback_scan_determinismE0ELb1ES3_N6thrust23THRUST_200600_302600_NS6detail15normal_iteratorINS9_10device_ptrIsEEEESE_SE_sNS9_10multipliesIsEENS9_8equal_toIsEEsEE10hipError_tPvRmT2_T3_T4_T5_mT6_T7_P12ihipStream_tbENKUlT_T0_E_clISt17integral_constantIbLb0EESZ_EEDaSU_SV_EUlSU_E_NS1_11comp_targetILNS1_3genE5ELNS1_11target_archE942ELNS1_3gpuE9ELNS1_3repE0EEENS1_30default_config_static_selectorELNS0_4arch9wavefront6targetE0EEEvT1_
    .private_segment_fixed_size: 0
    .sgpr_count:     0
    .sgpr_spill_count: 0
    .symbol:         _ZN7rocprim17ROCPRIM_400000_NS6detail17trampoline_kernelINS0_14default_configENS1_27scan_by_key_config_selectorIssEEZZNS1_16scan_by_key_implILNS1_25lookback_scan_determinismE0ELb1ES3_N6thrust23THRUST_200600_302600_NS6detail15normal_iteratorINS9_10device_ptrIsEEEESE_SE_sNS9_10multipliesIsEENS9_8equal_toIsEEsEE10hipError_tPvRmT2_T3_T4_T5_mT6_T7_P12ihipStream_tbENKUlT_T0_E_clISt17integral_constantIbLb0EESZ_EEDaSU_SV_EUlSU_E_NS1_11comp_targetILNS1_3genE5ELNS1_11target_archE942ELNS1_3gpuE9ELNS1_3repE0EEENS1_30default_config_static_selectorELNS0_4arch9wavefront6targetE0EEEvT1_.kd
    .uniform_work_group_size: 1
    .uses_dynamic_stack: false
    .vgpr_count:     0
    .vgpr_spill_count: 0
    .wavefront_size: 32
  - .args:
      - .offset:         0
        .size:           112
        .value_kind:     by_value
    .group_segment_fixed_size: 0
    .kernarg_segment_align: 8
    .kernarg_segment_size: 112
    .language:       OpenCL C
    .language_version:
      - 2
      - 0
    .max_flat_workgroup_size: 256
    .name:           _ZN7rocprim17ROCPRIM_400000_NS6detail17trampoline_kernelINS0_14default_configENS1_27scan_by_key_config_selectorIssEEZZNS1_16scan_by_key_implILNS1_25lookback_scan_determinismE0ELb1ES3_N6thrust23THRUST_200600_302600_NS6detail15normal_iteratorINS9_10device_ptrIsEEEESE_SE_sNS9_10multipliesIsEENS9_8equal_toIsEEsEE10hipError_tPvRmT2_T3_T4_T5_mT6_T7_P12ihipStream_tbENKUlT_T0_E_clISt17integral_constantIbLb0EESZ_EEDaSU_SV_EUlSU_E_NS1_11comp_targetILNS1_3genE4ELNS1_11target_archE910ELNS1_3gpuE8ELNS1_3repE0EEENS1_30default_config_static_selectorELNS0_4arch9wavefront6targetE0EEEvT1_
    .private_segment_fixed_size: 0
    .sgpr_count:     0
    .sgpr_spill_count: 0
    .symbol:         _ZN7rocprim17ROCPRIM_400000_NS6detail17trampoline_kernelINS0_14default_configENS1_27scan_by_key_config_selectorIssEEZZNS1_16scan_by_key_implILNS1_25lookback_scan_determinismE0ELb1ES3_N6thrust23THRUST_200600_302600_NS6detail15normal_iteratorINS9_10device_ptrIsEEEESE_SE_sNS9_10multipliesIsEENS9_8equal_toIsEEsEE10hipError_tPvRmT2_T3_T4_T5_mT6_T7_P12ihipStream_tbENKUlT_T0_E_clISt17integral_constantIbLb0EESZ_EEDaSU_SV_EUlSU_E_NS1_11comp_targetILNS1_3genE4ELNS1_11target_archE910ELNS1_3gpuE8ELNS1_3repE0EEENS1_30default_config_static_selectorELNS0_4arch9wavefront6targetE0EEEvT1_.kd
    .uniform_work_group_size: 1
    .uses_dynamic_stack: false
    .vgpr_count:     0
    .vgpr_spill_count: 0
    .wavefront_size: 32
  - .args:
      - .offset:         0
        .size:           112
        .value_kind:     by_value
    .group_segment_fixed_size: 0
    .kernarg_segment_align: 8
    .kernarg_segment_size: 112
    .language:       OpenCL C
    .language_version:
      - 2
      - 0
    .max_flat_workgroup_size: 256
    .name:           _ZN7rocprim17ROCPRIM_400000_NS6detail17trampoline_kernelINS0_14default_configENS1_27scan_by_key_config_selectorIssEEZZNS1_16scan_by_key_implILNS1_25lookback_scan_determinismE0ELb1ES3_N6thrust23THRUST_200600_302600_NS6detail15normal_iteratorINS9_10device_ptrIsEEEESE_SE_sNS9_10multipliesIsEENS9_8equal_toIsEEsEE10hipError_tPvRmT2_T3_T4_T5_mT6_T7_P12ihipStream_tbENKUlT_T0_E_clISt17integral_constantIbLb0EESZ_EEDaSU_SV_EUlSU_E_NS1_11comp_targetILNS1_3genE3ELNS1_11target_archE908ELNS1_3gpuE7ELNS1_3repE0EEENS1_30default_config_static_selectorELNS0_4arch9wavefront6targetE0EEEvT1_
    .private_segment_fixed_size: 0
    .sgpr_count:     0
    .sgpr_spill_count: 0
    .symbol:         _ZN7rocprim17ROCPRIM_400000_NS6detail17trampoline_kernelINS0_14default_configENS1_27scan_by_key_config_selectorIssEEZZNS1_16scan_by_key_implILNS1_25lookback_scan_determinismE0ELb1ES3_N6thrust23THRUST_200600_302600_NS6detail15normal_iteratorINS9_10device_ptrIsEEEESE_SE_sNS9_10multipliesIsEENS9_8equal_toIsEEsEE10hipError_tPvRmT2_T3_T4_T5_mT6_T7_P12ihipStream_tbENKUlT_T0_E_clISt17integral_constantIbLb0EESZ_EEDaSU_SV_EUlSU_E_NS1_11comp_targetILNS1_3genE3ELNS1_11target_archE908ELNS1_3gpuE7ELNS1_3repE0EEENS1_30default_config_static_selectorELNS0_4arch9wavefront6targetE0EEEvT1_.kd
    .uniform_work_group_size: 1
    .uses_dynamic_stack: false
    .vgpr_count:     0
    .vgpr_spill_count: 0
    .wavefront_size: 32
  - .args:
      - .offset:         0
        .size:           112
        .value_kind:     by_value
    .group_segment_fixed_size: 0
    .kernarg_segment_align: 8
    .kernarg_segment_size: 112
    .language:       OpenCL C
    .language_version:
      - 2
      - 0
    .max_flat_workgroup_size: 64
    .name:           _ZN7rocprim17ROCPRIM_400000_NS6detail17trampoline_kernelINS0_14default_configENS1_27scan_by_key_config_selectorIssEEZZNS1_16scan_by_key_implILNS1_25lookback_scan_determinismE0ELb1ES3_N6thrust23THRUST_200600_302600_NS6detail15normal_iteratorINS9_10device_ptrIsEEEESE_SE_sNS9_10multipliesIsEENS9_8equal_toIsEEsEE10hipError_tPvRmT2_T3_T4_T5_mT6_T7_P12ihipStream_tbENKUlT_T0_E_clISt17integral_constantIbLb0EESZ_EEDaSU_SV_EUlSU_E_NS1_11comp_targetILNS1_3genE2ELNS1_11target_archE906ELNS1_3gpuE6ELNS1_3repE0EEENS1_30default_config_static_selectorELNS0_4arch9wavefront6targetE0EEEvT1_
    .private_segment_fixed_size: 0
    .sgpr_count:     0
    .sgpr_spill_count: 0
    .symbol:         _ZN7rocprim17ROCPRIM_400000_NS6detail17trampoline_kernelINS0_14default_configENS1_27scan_by_key_config_selectorIssEEZZNS1_16scan_by_key_implILNS1_25lookback_scan_determinismE0ELb1ES3_N6thrust23THRUST_200600_302600_NS6detail15normal_iteratorINS9_10device_ptrIsEEEESE_SE_sNS9_10multipliesIsEENS9_8equal_toIsEEsEE10hipError_tPvRmT2_T3_T4_T5_mT6_T7_P12ihipStream_tbENKUlT_T0_E_clISt17integral_constantIbLb0EESZ_EEDaSU_SV_EUlSU_E_NS1_11comp_targetILNS1_3genE2ELNS1_11target_archE906ELNS1_3gpuE6ELNS1_3repE0EEENS1_30default_config_static_selectorELNS0_4arch9wavefront6targetE0EEEvT1_.kd
    .uniform_work_group_size: 1
    .uses_dynamic_stack: false
    .vgpr_count:     0
    .vgpr_spill_count: 0
    .wavefront_size: 32
  - .args:
      - .offset:         0
        .size:           112
        .value_kind:     by_value
    .group_segment_fixed_size: 0
    .kernarg_segment_align: 8
    .kernarg_segment_size: 112
    .language:       OpenCL C
    .language_version:
      - 2
      - 0
    .max_flat_workgroup_size: 256
    .name:           _ZN7rocprim17ROCPRIM_400000_NS6detail17trampoline_kernelINS0_14default_configENS1_27scan_by_key_config_selectorIssEEZZNS1_16scan_by_key_implILNS1_25lookback_scan_determinismE0ELb1ES3_N6thrust23THRUST_200600_302600_NS6detail15normal_iteratorINS9_10device_ptrIsEEEESE_SE_sNS9_10multipliesIsEENS9_8equal_toIsEEsEE10hipError_tPvRmT2_T3_T4_T5_mT6_T7_P12ihipStream_tbENKUlT_T0_E_clISt17integral_constantIbLb0EESZ_EEDaSU_SV_EUlSU_E_NS1_11comp_targetILNS1_3genE10ELNS1_11target_archE1200ELNS1_3gpuE4ELNS1_3repE0EEENS1_30default_config_static_selectorELNS0_4arch9wavefront6targetE0EEEvT1_
    .private_segment_fixed_size: 0
    .sgpr_count:     0
    .sgpr_spill_count: 0
    .symbol:         _ZN7rocprim17ROCPRIM_400000_NS6detail17trampoline_kernelINS0_14default_configENS1_27scan_by_key_config_selectorIssEEZZNS1_16scan_by_key_implILNS1_25lookback_scan_determinismE0ELb1ES3_N6thrust23THRUST_200600_302600_NS6detail15normal_iteratorINS9_10device_ptrIsEEEESE_SE_sNS9_10multipliesIsEENS9_8equal_toIsEEsEE10hipError_tPvRmT2_T3_T4_T5_mT6_T7_P12ihipStream_tbENKUlT_T0_E_clISt17integral_constantIbLb0EESZ_EEDaSU_SV_EUlSU_E_NS1_11comp_targetILNS1_3genE10ELNS1_11target_archE1200ELNS1_3gpuE4ELNS1_3repE0EEENS1_30default_config_static_selectorELNS0_4arch9wavefront6targetE0EEEvT1_.kd
    .uniform_work_group_size: 1
    .uses_dynamic_stack: false
    .vgpr_count:     0
    .vgpr_spill_count: 0
    .wavefront_size: 32
  - .args:
      - .offset:         0
        .size:           112
        .value_kind:     by_value
    .group_segment_fixed_size: 0
    .kernarg_segment_align: 8
    .kernarg_segment_size: 112
    .language:       OpenCL C
    .language_version:
      - 2
      - 0
    .max_flat_workgroup_size: 256
    .name:           _ZN7rocprim17ROCPRIM_400000_NS6detail17trampoline_kernelINS0_14default_configENS1_27scan_by_key_config_selectorIssEEZZNS1_16scan_by_key_implILNS1_25lookback_scan_determinismE0ELb1ES3_N6thrust23THRUST_200600_302600_NS6detail15normal_iteratorINS9_10device_ptrIsEEEESE_SE_sNS9_10multipliesIsEENS9_8equal_toIsEEsEE10hipError_tPvRmT2_T3_T4_T5_mT6_T7_P12ihipStream_tbENKUlT_T0_E_clISt17integral_constantIbLb0EESZ_EEDaSU_SV_EUlSU_E_NS1_11comp_targetILNS1_3genE9ELNS1_11target_archE1100ELNS1_3gpuE3ELNS1_3repE0EEENS1_30default_config_static_selectorELNS0_4arch9wavefront6targetE0EEEvT1_
    .private_segment_fixed_size: 0
    .sgpr_count:     0
    .sgpr_spill_count: 0
    .symbol:         _ZN7rocprim17ROCPRIM_400000_NS6detail17trampoline_kernelINS0_14default_configENS1_27scan_by_key_config_selectorIssEEZZNS1_16scan_by_key_implILNS1_25lookback_scan_determinismE0ELb1ES3_N6thrust23THRUST_200600_302600_NS6detail15normal_iteratorINS9_10device_ptrIsEEEESE_SE_sNS9_10multipliesIsEENS9_8equal_toIsEEsEE10hipError_tPvRmT2_T3_T4_T5_mT6_T7_P12ihipStream_tbENKUlT_T0_E_clISt17integral_constantIbLb0EESZ_EEDaSU_SV_EUlSU_E_NS1_11comp_targetILNS1_3genE9ELNS1_11target_archE1100ELNS1_3gpuE3ELNS1_3repE0EEENS1_30default_config_static_selectorELNS0_4arch9wavefront6targetE0EEEvT1_.kd
    .uniform_work_group_size: 1
    .uses_dynamic_stack: false
    .vgpr_count:     0
    .vgpr_spill_count: 0
    .wavefront_size: 32
  - .args:
      - .offset:         0
        .size:           112
        .value_kind:     by_value
    .group_segment_fixed_size: 0
    .kernarg_segment_align: 8
    .kernarg_segment_size: 112
    .language:       OpenCL C
    .language_version:
      - 2
      - 0
    .max_flat_workgroup_size: 64
    .name:           _ZN7rocprim17ROCPRIM_400000_NS6detail17trampoline_kernelINS0_14default_configENS1_27scan_by_key_config_selectorIssEEZZNS1_16scan_by_key_implILNS1_25lookback_scan_determinismE0ELb1ES3_N6thrust23THRUST_200600_302600_NS6detail15normal_iteratorINS9_10device_ptrIsEEEESE_SE_sNS9_10multipliesIsEENS9_8equal_toIsEEsEE10hipError_tPvRmT2_T3_T4_T5_mT6_T7_P12ihipStream_tbENKUlT_T0_E_clISt17integral_constantIbLb0EESZ_EEDaSU_SV_EUlSU_E_NS1_11comp_targetILNS1_3genE8ELNS1_11target_archE1030ELNS1_3gpuE2ELNS1_3repE0EEENS1_30default_config_static_selectorELNS0_4arch9wavefront6targetE0EEEvT1_
    .private_segment_fixed_size: 0
    .sgpr_count:     0
    .sgpr_spill_count: 0
    .symbol:         _ZN7rocprim17ROCPRIM_400000_NS6detail17trampoline_kernelINS0_14default_configENS1_27scan_by_key_config_selectorIssEEZZNS1_16scan_by_key_implILNS1_25lookback_scan_determinismE0ELb1ES3_N6thrust23THRUST_200600_302600_NS6detail15normal_iteratorINS9_10device_ptrIsEEEESE_SE_sNS9_10multipliesIsEENS9_8equal_toIsEEsEE10hipError_tPvRmT2_T3_T4_T5_mT6_T7_P12ihipStream_tbENKUlT_T0_E_clISt17integral_constantIbLb0EESZ_EEDaSU_SV_EUlSU_E_NS1_11comp_targetILNS1_3genE8ELNS1_11target_archE1030ELNS1_3gpuE2ELNS1_3repE0EEENS1_30default_config_static_selectorELNS0_4arch9wavefront6targetE0EEEvT1_.kd
    .uniform_work_group_size: 1
    .uses_dynamic_stack: false
    .vgpr_count:     0
    .vgpr_spill_count: 0
    .wavefront_size: 32
  - .args:
      - .offset:         0
        .size:           112
        .value_kind:     by_value
    .group_segment_fixed_size: 0
    .kernarg_segment_align: 8
    .kernarg_segment_size: 112
    .language:       OpenCL C
    .language_version:
      - 2
      - 0
    .max_flat_workgroup_size: 256
    .name:           _ZN7rocprim17ROCPRIM_400000_NS6detail17trampoline_kernelINS0_14default_configENS1_27scan_by_key_config_selectorIssEEZZNS1_16scan_by_key_implILNS1_25lookback_scan_determinismE0ELb1ES3_N6thrust23THRUST_200600_302600_NS6detail15normal_iteratorINS9_10device_ptrIsEEEESE_SE_sNS9_10multipliesIsEENS9_8equal_toIsEEsEE10hipError_tPvRmT2_T3_T4_T5_mT6_T7_P12ihipStream_tbENKUlT_T0_E_clISt17integral_constantIbLb1EESZ_EEDaSU_SV_EUlSU_E_NS1_11comp_targetILNS1_3genE0ELNS1_11target_archE4294967295ELNS1_3gpuE0ELNS1_3repE0EEENS1_30default_config_static_selectorELNS0_4arch9wavefront6targetE0EEEvT1_
    .private_segment_fixed_size: 0
    .sgpr_count:     0
    .sgpr_spill_count: 0
    .symbol:         _ZN7rocprim17ROCPRIM_400000_NS6detail17trampoline_kernelINS0_14default_configENS1_27scan_by_key_config_selectorIssEEZZNS1_16scan_by_key_implILNS1_25lookback_scan_determinismE0ELb1ES3_N6thrust23THRUST_200600_302600_NS6detail15normal_iteratorINS9_10device_ptrIsEEEESE_SE_sNS9_10multipliesIsEENS9_8equal_toIsEEsEE10hipError_tPvRmT2_T3_T4_T5_mT6_T7_P12ihipStream_tbENKUlT_T0_E_clISt17integral_constantIbLb1EESZ_EEDaSU_SV_EUlSU_E_NS1_11comp_targetILNS1_3genE0ELNS1_11target_archE4294967295ELNS1_3gpuE0ELNS1_3repE0EEENS1_30default_config_static_selectorELNS0_4arch9wavefront6targetE0EEEvT1_.kd
    .uniform_work_group_size: 1
    .uses_dynamic_stack: false
    .vgpr_count:     0
    .vgpr_spill_count: 0
    .wavefront_size: 32
  - .args:
      - .offset:         0
        .size:           112
        .value_kind:     by_value
    .group_segment_fixed_size: 0
    .kernarg_segment_align: 8
    .kernarg_segment_size: 112
    .language:       OpenCL C
    .language_version:
      - 2
      - 0
    .max_flat_workgroup_size: 128
    .name:           _ZN7rocprim17ROCPRIM_400000_NS6detail17trampoline_kernelINS0_14default_configENS1_27scan_by_key_config_selectorIssEEZZNS1_16scan_by_key_implILNS1_25lookback_scan_determinismE0ELb1ES3_N6thrust23THRUST_200600_302600_NS6detail15normal_iteratorINS9_10device_ptrIsEEEESE_SE_sNS9_10multipliesIsEENS9_8equal_toIsEEsEE10hipError_tPvRmT2_T3_T4_T5_mT6_T7_P12ihipStream_tbENKUlT_T0_E_clISt17integral_constantIbLb1EESZ_EEDaSU_SV_EUlSU_E_NS1_11comp_targetILNS1_3genE10ELNS1_11target_archE1201ELNS1_3gpuE5ELNS1_3repE0EEENS1_30default_config_static_selectorELNS0_4arch9wavefront6targetE0EEEvT1_
    .private_segment_fixed_size: 0
    .sgpr_count:     0
    .sgpr_spill_count: 0
    .symbol:         _ZN7rocprim17ROCPRIM_400000_NS6detail17trampoline_kernelINS0_14default_configENS1_27scan_by_key_config_selectorIssEEZZNS1_16scan_by_key_implILNS1_25lookback_scan_determinismE0ELb1ES3_N6thrust23THRUST_200600_302600_NS6detail15normal_iteratorINS9_10device_ptrIsEEEESE_SE_sNS9_10multipliesIsEENS9_8equal_toIsEEsEE10hipError_tPvRmT2_T3_T4_T5_mT6_T7_P12ihipStream_tbENKUlT_T0_E_clISt17integral_constantIbLb1EESZ_EEDaSU_SV_EUlSU_E_NS1_11comp_targetILNS1_3genE10ELNS1_11target_archE1201ELNS1_3gpuE5ELNS1_3repE0EEENS1_30default_config_static_selectorELNS0_4arch9wavefront6targetE0EEEvT1_.kd
    .uniform_work_group_size: 1
    .uses_dynamic_stack: false
    .vgpr_count:     0
    .vgpr_spill_count: 0
    .wavefront_size: 32
  - .args:
      - .offset:         0
        .size:           112
        .value_kind:     by_value
    .group_segment_fixed_size: 0
    .kernarg_segment_align: 8
    .kernarg_segment_size: 112
    .language:       OpenCL C
    .language_version:
      - 2
      - 0
    .max_flat_workgroup_size: 256
    .name:           _ZN7rocprim17ROCPRIM_400000_NS6detail17trampoline_kernelINS0_14default_configENS1_27scan_by_key_config_selectorIssEEZZNS1_16scan_by_key_implILNS1_25lookback_scan_determinismE0ELb1ES3_N6thrust23THRUST_200600_302600_NS6detail15normal_iteratorINS9_10device_ptrIsEEEESE_SE_sNS9_10multipliesIsEENS9_8equal_toIsEEsEE10hipError_tPvRmT2_T3_T4_T5_mT6_T7_P12ihipStream_tbENKUlT_T0_E_clISt17integral_constantIbLb1EESZ_EEDaSU_SV_EUlSU_E_NS1_11comp_targetILNS1_3genE5ELNS1_11target_archE942ELNS1_3gpuE9ELNS1_3repE0EEENS1_30default_config_static_selectorELNS0_4arch9wavefront6targetE0EEEvT1_
    .private_segment_fixed_size: 0
    .sgpr_count:     0
    .sgpr_spill_count: 0
    .symbol:         _ZN7rocprim17ROCPRIM_400000_NS6detail17trampoline_kernelINS0_14default_configENS1_27scan_by_key_config_selectorIssEEZZNS1_16scan_by_key_implILNS1_25lookback_scan_determinismE0ELb1ES3_N6thrust23THRUST_200600_302600_NS6detail15normal_iteratorINS9_10device_ptrIsEEEESE_SE_sNS9_10multipliesIsEENS9_8equal_toIsEEsEE10hipError_tPvRmT2_T3_T4_T5_mT6_T7_P12ihipStream_tbENKUlT_T0_E_clISt17integral_constantIbLb1EESZ_EEDaSU_SV_EUlSU_E_NS1_11comp_targetILNS1_3genE5ELNS1_11target_archE942ELNS1_3gpuE9ELNS1_3repE0EEENS1_30default_config_static_selectorELNS0_4arch9wavefront6targetE0EEEvT1_.kd
    .uniform_work_group_size: 1
    .uses_dynamic_stack: false
    .vgpr_count:     0
    .vgpr_spill_count: 0
    .wavefront_size: 32
  - .args:
      - .offset:         0
        .size:           112
        .value_kind:     by_value
    .group_segment_fixed_size: 0
    .kernarg_segment_align: 8
    .kernarg_segment_size: 112
    .language:       OpenCL C
    .language_version:
      - 2
      - 0
    .max_flat_workgroup_size: 256
    .name:           _ZN7rocprim17ROCPRIM_400000_NS6detail17trampoline_kernelINS0_14default_configENS1_27scan_by_key_config_selectorIssEEZZNS1_16scan_by_key_implILNS1_25lookback_scan_determinismE0ELb1ES3_N6thrust23THRUST_200600_302600_NS6detail15normal_iteratorINS9_10device_ptrIsEEEESE_SE_sNS9_10multipliesIsEENS9_8equal_toIsEEsEE10hipError_tPvRmT2_T3_T4_T5_mT6_T7_P12ihipStream_tbENKUlT_T0_E_clISt17integral_constantIbLb1EESZ_EEDaSU_SV_EUlSU_E_NS1_11comp_targetILNS1_3genE4ELNS1_11target_archE910ELNS1_3gpuE8ELNS1_3repE0EEENS1_30default_config_static_selectorELNS0_4arch9wavefront6targetE0EEEvT1_
    .private_segment_fixed_size: 0
    .sgpr_count:     0
    .sgpr_spill_count: 0
    .symbol:         _ZN7rocprim17ROCPRIM_400000_NS6detail17trampoline_kernelINS0_14default_configENS1_27scan_by_key_config_selectorIssEEZZNS1_16scan_by_key_implILNS1_25lookback_scan_determinismE0ELb1ES3_N6thrust23THRUST_200600_302600_NS6detail15normal_iteratorINS9_10device_ptrIsEEEESE_SE_sNS9_10multipliesIsEENS9_8equal_toIsEEsEE10hipError_tPvRmT2_T3_T4_T5_mT6_T7_P12ihipStream_tbENKUlT_T0_E_clISt17integral_constantIbLb1EESZ_EEDaSU_SV_EUlSU_E_NS1_11comp_targetILNS1_3genE4ELNS1_11target_archE910ELNS1_3gpuE8ELNS1_3repE0EEENS1_30default_config_static_selectorELNS0_4arch9wavefront6targetE0EEEvT1_.kd
    .uniform_work_group_size: 1
    .uses_dynamic_stack: false
    .vgpr_count:     0
    .vgpr_spill_count: 0
    .wavefront_size: 32
  - .args:
      - .offset:         0
        .size:           112
        .value_kind:     by_value
    .group_segment_fixed_size: 0
    .kernarg_segment_align: 8
    .kernarg_segment_size: 112
    .language:       OpenCL C
    .language_version:
      - 2
      - 0
    .max_flat_workgroup_size: 256
    .name:           _ZN7rocprim17ROCPRIM_400000_NS6detail17trampoline_kernelINS0_14default_configENS1_27scan_by_key_config_selectorIssEEZZNS1_16scan_by_key_implILNS1_25lookback_scan_determinismE0ELb1ES3_N6thrust23THRUST_200600_302600_NS6detail15normal_iteratorINS9_10device_ptrIsEEEESE_SE_sNS9_10multipliesIsEENS9_8equal_toIsEEsEE10hipError_tPvRmT2_T3_T4_T5_mT6_T7_P12ihipStream_tbENKUlT_T0_E_clISt17integral_constantIbLb1EESZ_EEDaSU_SV_EUlSU_E_NS1_11comp_targetILNS1_3genE3ELNS1_11target_archE908ELNS1_3gpuE7ELNS1_3repE0EEENS1_30default_config_static_selectorELNS0_4arch9wavefront6targetE0EEEvT1_
    .private_segment_fixed_size: 0
    .sgpr_count:     0
    .sgpr_spill_count: 0
    .symbol:         _ZN7rocprim17ROCPRIM_400000_NS6detail17trampoline_kernelINS0_14default_configENS1_27scan_by_key_config_selectorIssEEZZNS1_16scan_by_key_implILNS1_25lookback_scan_determinismE0ELb1ES3_N6thrust23THRUST_200600_302600_NS6detail15normal_iteratorINS9_10device_ptrIsEEEESE_SE_sNS9_10multipliesIsEENS9_8equal_toIsEEsEE10hipError_tPvRmT2_T3_T4_T5_mT6_T7_P12ihipStream_tbENKUlT_T0_E_clISt17integral_constantIbLb1EESZ_EEDaSU_SV_EUlSU_E_NS1_11comp_targetILNS1_3genE3ELNS1_11target_archE908ELNS1_3gpuE7ELNS1_3repE0EEENS1_30default_config_static_selectorELNS0_4arch9wavefront6targetE0EEEvT1_.kd
    .uniform_work_group_size: 1
    .uses_dynamic_stack: false
    .vgpr_count:     0
    .vgpr_spill_count: 0
    .wavefront_size: 32
  - .args:
      - .offset:         0
        .size:           112
        .value_kind:     by_value
    .group_segment_fixed_size: 0
    .kernarg_segment_align: 8
    .kernarg_segment_size: 112
    .language:       OpenCL C
    .language_version:
      - 2
      - 0
    .max_flat_workgroup_size: 64
    .name:           _ZN7rocprim17ROCPRIM_400000_NS6detail17trampoline_kernelINS0_14default_configENS1_27scan_by_key_config_selectorIssEEZZNS1_16scan_by_key_implILNS1_25lookback_scan_determinismE0ELb1ES3_N6thrust23THRUST_200600_302600_NS6detail15normal_iteratorINS9_10device_ptrIsEEEESE_SE_sNS9_10multipliesIsEENS9_8equal_toIsEEsEE10hipError_tPvRmT2_T3_T4_T5_mT6_T7_P12ihipStream_tbENKUlT_T0_E_clISt17integral_constantIbLb1EESZ_EEDaSU_SV_EUlSU_E_NS1_11comp_targetILNS1_3genE2ELNS1_11target_archE906ELNS1_3gpuE6ELNS1_3repE0EEENS1_30default_config_static_selectorELNS0_4arch9wavefront6targetE0EEEvT1_
    .private_segment_fixed_size: 0
    .sgpr_count:     0
    .sgpr_spill_count: 0
    .symbol:         _ZN7rocprim17ROCPRIM_400000_NS6detail17trampoline_kernelINS0_14default_configENS1_27scan_by_key_config_selectorIssEEZZNS1_16scan_by_key_implILNS1_25lookback_scan_determinismE0ELb1ES3_N6thrust23THRUST_200600_302600_NS6detail15normal_iteratorINS9_10device_ptrIsEEEESE_SE_sNS9_10multipliesIsEENS9_8equal_toIsEEsEE10hipError_tPvRmT2_T3_T4_T5_mT6_T7_P12ihipStream_tbENKUlT_T0_E_clISt17integral_constantIbLb1EESZ_EEDaSU_SV_EUlSU_E_NS1_11comp_targetILNS1_3genE2ELNS1_11target_archE906ELNS1_3gpuE6ELNS1_3repE0EEENS1_30default_config_static_selectorELNS0_4arch9wavefront6targetE0EEEvT1_.kd
    .uniform_work_group_size: 1
    .uses_dynamic_stack: false
    .vgpr_count:     0
    .vgpr_spill_count: 0
    .wavefront_size: 32
  - .args:
      - .offset:         0
        .size:           112
        .value_kind:     by_value
    .group_segment_fixed_size: 0
    .kernarg_segment_align: 8
    .kernarg_segment_size: 112
    .language:       OpenCL C
    .language_version:
      - 2
      - 0
    .max_flat_workgroup_size: 256
    .name:           _ZN7rocprim17ROCPRIM_400000_NS6detail17trampoline_kernelINS0_14default_configENS1_27scan_by_key_config_selectorIssEEZZNS1_16scan_by_key_implILNS1_25lookback_scan_determinismE0ELb1ES3_N6thrust23THRUST_200600_302600_NS6detail15normal_iteratorINS9_10device_ptrIsEEEESE_SE_sNS9_10multipliesIsEENS9_8equal_toIsEEsEE10hipError_tPvRmT2_T3_T4_T5_mT6_T7_P12ihipStream_tbENKUlT_T0_E_clISt17integral_constantIbLb1EESZ_EEDaSU_SV_EUlSU_E_NS1_11comp_targetILNS1_3genE10ELNS1_11target_archE1200ELNS1_3gpuE4ELNS1_3repE0EEENS1_30default_config_static_selectorELNS0_4arch9wavefront6targetE0EEEvT1_
    .private_segment_fixed_size: 0
    .sgpr_count:     0
    .sgpr_spill_count: 0
    .symbol:         _ZN7rocprim17ROCPRIM_400000_NS6detail17trampoline_kernelINS0_14default_configENS1_27scan_by_key_config_selectorIssEEZZNS1_16scan_by_key_implILNS1_25lookback_scan_determinismE0ELb1ES3_N6thrust23THRUST_200600_302600_NS6detail15normal_iteratorINS9_10device_ptrIsEEEESE_SE_sNS9_10multipliesIsEENS9_8equal_toIsEEsEE10hipError_tPvRmT2_T3_T4_T5_mT6_T7_P12ihipStream_tbENKUlT_T0_E_clISt17integral_constantIbLb1EESZ_EEDaSU_SV_EUlSU_E_NS1_11comp_targetILNS1_3genE10ELNS1_11target_archE1200ELNS1_3gpuE4ELNS1_3repE0EEENS1_30default_config_static_selectorELNS0_4arch9wavefront6targetE0EEEvT1_.kd
    .uniform_work_group_size: 1
    .uses_dynamic_stack: false
    .vgpr_count:     0
    .vgpr_spill_count: 0
    .wavefront_size: 32
  - .args:
      - .offset:         0
        .size:           112
        .value_kind:     by_value
    .group_segment_fixed_size: 0
    .kernarg_segment_align: 8
    .kernarg_segment_size: 112
    .language:       OpenCL C
    .language_version:
      - 2
      - 0
    .max_flat_workgroup_size: 256
    .name:           _ZN7rocprim17ROCPRIM_400000_NS6detail17trampoline_kernelINS0_14default_configENS1_27scan_by_key_config_selectorIssEEZZNS1_16scan_by_key_implILNS1_25lookback_scan_determinismE0ELb1ES3_N6thrust23THRUST_200600_302600_NS6detail15normal_iteratorINS9_10device_ptrIsEEEESE_SE_sNS9_10multipliesIsEENS9_8equal_toIsEEsEE10hipError_tPvRmT2_T3_T4_T5_mT6_T7_P12ihipStream_tbENKUlT_T0_E_clISt17integral_constantIbLb1EESZ_EEDaSU_SV_EUlSU_E_NS1_11comp_targetILNS1_3genE9ELNS1_11target_archE1100ELNS1_3gpuE3ELNS1_3repE0EEENS1_30default_config_static_selectorELNS0_4arch9wavefront6targetE0EEEvT1_
    .private_segment_fixed_size: 0
    .sgpr_count:     0
    .sgpr_spill_count: 0
    .symbol:         _ZN7rocprim17ROCPRIM_400000_NS6detail17trampoline_kernelINS0_14default_configENS1_27scan_by_key_config_selectorIssEEZZNS1_16scan_by_key_implILNS1_25lookback_scan_determinismE0ELb1ES3_N6thrust23THRUST_200600_302600_NS6detail15normal_iteratorINS9_10device_ptrIsEEEESE_SE_sNS9_10multipliesIsEENS9_8equal_toIsEEsEE10hipError_tPvRmT2_T3_T4_T5_mT6_T7_P12ihipStream_tbENKUlT_T0_E_clISt17integral_constantIbLb1EESZ_EEDaSU_SV_EUlSU_E_NS1_11comp_targetILNS1_3genE9ELNS1_11target_archE1100ELNS1_3gpuE3ELNS1_3repE0EEENS1_30default_config_static_selectorELNS0_4arch9wavefront6targetE0EEEvT1_.kd
    .uniform_work_group_size: 1
    .uses_dynamic_stack: false
    .vgpr_count:     0
    .vgpr_spill_count: 0
    .wavefront_size: 32
  - .args:
      - .offset:         0
        .size:           112
        .value_kind:     by_value
    .group_segment_fixed_size: 0
    .kernarg_segment_align: 8
    .kernarg_segment_size: 112
    .language:       OpenCL C
    .language_version:
      - 2
      - 0
    .max_flat_workgroup_size: 64
    .name:           _ZN7rocprim17ROCPRIM_400000_NS6detail17trampoline_kernelINS0_14default_configENS1_27scan_by_key_config_selectorIssEEZZNS1_16scan_by_key_implILNS1_25lookback_scan_determinismE0ELb1ES3_N6thrust23THRUST_200600_302600_NS6detail15normal_iteratorINS9_10device_ptrIsEEEESE_SE_sNS9_10multipliesIsEENS9_8equal_toIsEEsEE10hipError_tPvRmT2_T3_T4_T5_mT6_T7_P12ihipStream_tbENKUlT_T0_E_clISt17integral_constantIbLb1EESZ_EEDaSU_SV_EUlSU_E_NS1_11comp_targetILNS1_3genE8ELNS1_11target_archE1030ELNS1_3gpuE2ELNS1_3repE0EEENS1_30default_config_static_selectorELNS0_4arch9wavefront6targetE0EEEvT1_
    .private_segment_fixed_size: 0
    .sgpr_count:     0
    .sgpr_spill_count: 0
    .symbol:         _ZN7rocprim17ROCPRIM_400000_NS6detail17trampoline_kernelINS0_14default_configENS1_27scan_by_key_config_selectorIssEEZZNS1_16scan_by_key_implILNS1_25lookback_scan_determinismE0ELb1ES3_N6thrust23THRUST_200600_302600_NS6detail15normal_iteratorINS9_10device_ptrIsEEEESE_SE_sNS9_10multipliesIsEENS9_8equal_toIsEEsEE10hipError_tPvRmT2_T3_T4_T5_mT6_T7_P12ihipStream_tbENKUlT_T0_E_clISt17integral_constantIbLb1EESZ_EEDaSU_SV_EUlSU_E_NS1_11comp_targetILNS1_3genE8ELNS1_11target_archE1030ELNS1_3gpuE2ELNS1_3repE0EEENS1_30default_config_static_selectorELNS0_4arch9wavefront6targetE0EEEvT1_.kd
    .uniform_work_group_size: 1
    .uses_dynamic_stack: false
    .vgpr_count:     0
    .vgpr_spill_count: 0
    .wavefront_size: 32
  - .args:
      - .offset:         0
        .size:           112
        .value_kind:     by_value
    .group_segment_fixed_size: 0
    .kernarg_segment_align: 8
    .kernarg_segment_size: 112
    .language:       OpenCL C
    .language_version:
      - 2
      - 0
    .max_flat_workgroup_size: 256
    .name:           _ZN7rocprim17ROCPRIM_400000_NS6detail17trampoline_kernelINS0_14default_configENS1_27scan_by_key_config_selectorIssEEZZNS1_16scan_by_key_implILNS1_25lookback_scan_determinismE0ELb1ES3_N6thrust23THRUST_200600_302600_NS6detail15normal_iteratorINS9_10device_ptrIsEEEESE_SE_sNS9_10multipliesIsEENS9_8equal_toIsEEsEE10hipError_tPvRmT2_T3_T4_T5_mT6_T7_P12ihipStream_tbENKUlT_T0_E_clISt17integral_constantIbLb1EESY_IbLb0EEEEDaSU_SV_EUlSU_E_NS1_11comp_targetILNS1_3genE0ELNS1_11target_archE4294967295ELNS1_3gpuE0ELNS1_3repE0EEENS1_30default_config_static_selectorELNS0_4arch9wavefront6targetE0EEEvT1_
    .private_segment_fixed_size: 0
    .sgpr_count:     0
    .sgpr_spill_count: 0
    .symbol:         _ZN7rocprim17ROCPRIM_400000_NS6detail17trampoline_kernelINS0_14default_configENS1_27scan_by_key_config_selectorIssEEZZNS1_16scan_by_key_implILNS1_25lookback_scan_determinismE0ELb1ES3_N6thrust23THRUST_200600_302600_NS6detail15normal_iteratorINS9_10device_ptrIsEEEESE_SE_sNS9_10multipliesIsEENS9_8equal_toIsEEsEE10hipError_tPvRmT2_T3_T4_T5_mT6_T7_P12ihipStream_tbENKUlT_T0_E_clISt17integral_constantIbLb1EESY_IbLb0EEEEDaSU_SV_EUlSU_E_NS1_11comp_targetILNS1_3genE0ELNS1_11target_archE4294967295ELNS1_3gpuE0ELNS1_3repE0EEENS1_30default_config_static_selectorELNS0_4arch9wavefront6targetE0EEEvT1_.kd
    .uniform_work_group_size: 1
    .uses_dynamic_stack: false
    .vgpr_count:     0
    .vgpr_spill_count: 0
    .wavefront_size: 32
  - .args:
      - .offset:         0
        .size:           112
        .value_kind:     by_value
    .group_segment_fixed_size: 0
    .kernarg_segment_align: 8
    .kernarg_segment_size: 112
    .language:       OpenCL C
    .language_version:
      - 2
      - 0
    .max_flat_workgroup_size: 128
    .name:           _ZN7rocprim17ROCPRIM_400000_NS6detail17trampoline_kernelINS0_14default_configENS1_27scan_by_key_config_selectorIssEEZZNS1_16scan_by_key_implILNS1_25lookback_scan_determinismE0ELb1ES3_N6thrust23THRUST_200600_302600_NS6detail15normal_iteratorINS9_10device_ptrIsEEEESE_SE_sNS9_10multipliesIsEENS9_8equal_toIsEEsEE10hipError_tPvRmT2_T3_T4_T5_mT6_T7_P12ihipStream_tbENKUlT_T0_E_clISt17integral_constantIbLb1EESY_IbLb0EEEEDaSU_SV_EUlSU_E_NS1_11comp_targetILNS1_3genE10ELNS1_11target_archE1201ELNS1_3gpuE5ELNS1_3repE0EEENS1_30default_config_static_selectorELNS0_4arch9wavefront6targetE0EEEvT1_
    .private_segment_fixed_size: 0
    .sgpr_count:     0
    .sgpr_spill_count: 0
    .symbol:         _ZN7rocprim17ROCPRIM_400000_NS6detail17trampoline_kernelINS0_14default_configENS1_27scan_by_key_config_selectorIssEEZZNS1_16scan_by_key_implILNS1_25lookback_scan_determinismE0ELb1ES3_N6thrust23THRUST_200600_302600_NS6detail15normal_iteratorINS9_10device_ptrIsEEEESE_SE_sNS9_10multipliesIsEENS9_8equal_toIsEEsEE10hipError_tPvRmT2_T3_T4_T5_mT6_T7_P12ihipStream_tbENKUlT_T0_E_clISt17integral_constantIbLb1EESY_IbLb0EEEEDaSU_SV_EUlSU_E_NS1_11comp_targetILNS1_3genE10ELNS1_11target_archE1201ELNS1_3gpuE5ELNS1_3repE0EEENS1_30default_config_static_selectorELNS0_4arch9wavefront6targetE0EEEvT1_.kd
    .uniform_work_group_size: 1
    .uses_dynamic_stack: false
    .vgpr_count:     0
    .vgpr_spill_count: 0
    .wavefront_size: 32
  - .args:
      - .offset:         0
        .size:           112
        .value_kind:     by_value
    .group_segment_fixed_size: 0
    .kernarg_segment_align: 8
    .kernarg_segment_size: 112
    .language:       OpenCL C
    .language_version:
      - 2
      - 0
    .max_flat_workgroup_size: 256
    .name:           _ZN7rocprim17ROCPRIM_400000_NS6detail17trampoline_kernelINS0_14default_configENS1_27scan_by_key_config_selectorIssEEZZNS1_16scan_by_key_implILNS1_25lookback_scan_determinismE0ELb1ES3_N6thrust23THRUST_200600_302600_NS6detail15normal_iteratorINS9_10device_ptrIsEEEESE_SE_sNS9_10multipliesIsEENS9_8equal_toIsEEsEE10hipError_tPvRmT2_T3_T4_T5_mT6_T7_P12ihipStream_tbENKUlT_T0_E_clISt17integral_constantIbLb1EESY_IbLb0EEEEDaSU_SV_EUlSU_E_NS1_11comp_targetILNS1_3genE5ELNS1_11target_archE942ELNS1_3gpuE9ELNS1_3repE0EEENS1_30default_config_static_selectorELNS0_4arch9wavefront6targetE0EEEvT1_
    .private_segment_fixed_size: 0
    .sgpr_count:     0
    .sgpr_spill_count: 0
    .symbol:         _ZN7rocprim17ROCPRIM_400000_NS6detail17trampoline_kernelINS0_14default_configENS1_27scan_by_key_config_selectorIssEEZZNS1_16scan_by_key_implILNS1_25lookback_scan_determinismE0ELb1ES3_N6thrust23THRUST_200600_302600_NS6detail15normal_iteratorINS9_10device_ptrIsEEEESE_SE_sNS9_10multipliesIsEENS9_8equal_toIsEEsEE10hipError_tPvRmT2_T3_T4_T5_mT6_T7_P12ihipStream_tbENKUlT_T0_E_clISt17integral_constantIbLb1EESY_IbLb0EEEEDaSU_SV_EUlSU_E_NS1_11comp_targetILNS1_3genE5ELNS1_11target_archE942ELNS1_3gpuE9ELNS1_3repE0EEENS1_30default_config_static_selectorELNS0_4arch9wavefront6targetE0EEEvT1_.kd
    .uniform_work_group_size: 1
    .uses_dynamic_stack: false
    .vgpr_count:     0
    .vgpr_spill_count: 0
    .wavefront_size: 32
  - .args:
      - .offset:         0
        .size:           112
        .value_kind:     by_value
    .group_segment_fixed_size: 0
    .kernarg_segment_align: 8
    .kernarg_segment_size: 112
    .language:       OpenCL C
    .language_version:
      - 2
      - 0
    .max_flat_workgroup_size: 256
    .name:           _ZN7rocprim17ROCPRIM_400000_NS6detail17trampoline_kernelINS0_14default_configENS1_27scan_by_key_config_selectorIssEEZZNS1_16scan_by_key_implILNS1_25lookback_scan_determinismE0ELb1ES3_N6thrust23THRUST_200600_302600_NS6detail15normal_iteratorINS9_10device_ptrIsEEEESE_SE_sNS9_10multipliesIsEENS9_8equal_toIsEEsEE10hipError_tPvRmT2_T3_T4_T5_mT6_T7_P12ihipStream_tbENKUlT_T0_E_clISt17integral_constantIbLb1EESY_IbLb0EEEEDaSU_SV_EUlSU_E_NS1_11comp_targetILNS1_3genE4ELNS1_11target_archE910ELNS1_3gpuE8ELNS1_3repE0EEENS1_30default_config_static_selectorELNS0_4arch9wavefront6targetE0EEEvT1_
    .private_segment_fixed_size: 0
    .sgpr_count:     0
    .sgpr_spill_count: 0
    .symbol:         _ZN7rocprim17ROCPRIM_400000_NS6detail17trampoline_kernelINS0_14default_configENS1_27scan_by_key_config_selectorIssEEZZNS1_16scan_by_key_implILNS1_25lookback_scan_determinismE0ELb1ES3_N6thrust23THRUST_200600_302600_NS6detail15normal_iteratorINS9_10device_ptrIsEEEESE_SE_sNS9_10multipliesIsEENS9_8equal_toIsEEsEE10hipError_tPvRmT2_T3_T4_T5_mT6_T7_P12ihipStream_tbENKUlT_T0_E_clISt17integral_constantIbLb1EESY_IbLb0EEEEDaSU_SV_EUlSU_E_NS1_11comp_targetILNS1_3genE4ELNS1_11target_archE910ELNS1_3gpuE8ELNS1_3repE0EEENS1_30default_config_static_selectorELNS0_4arch9wavefront6targetE0EEEvT1_.kd
    .uniform_work_group_size: 1
    .uses_dynamic_stack: false
    .vgpr_count:     0
    .vgpr_spill_count: 0
    .wavefront_size: 32
  - .args:
      - .offset:         0
        .size:           112
        .value_kind:     by_value
    .group_segment_fixed_size: 0
    .kernarg_segment_align: 8
    .kernarg_segment_size: 112
    .language:       OpenCL C
    .language_version:
      - 2
      - 0
    .max_flat_workgroup_size: 256
    .name:           _ZN7rocprim17ROCPRIM_400000_NS6detail17trampoline_kernelINS0_14default_configENS1_27scan_by_key_config_selectorIssEEZZNS1_16scan_by_key_implILNS1_25lookback_scan_determinismE0ELb1ES3_N6thrust23THRUST_200600_302600_NS6detail15normal_iteratorINS9_10device_ptrIsEEEESE_SE_sNS9_10multipliesIsEENS9_8equal_toIsEEsEE10hipError_tPvRmT2_T3_T4_T5_mT6_T7_P12ihipStream_tbENKUlT_T0_E_clISt17integral_constantIbLb1EESY_IbLb0EEEEDaSU_SV_EUlSU_E_NS1_11comp_targetILNS1_3genE3ELNS1_11target_archE908ELNS1_3gpuE7ELNS1_3repE0EEENS1_30default_config_static_selectorELNS0_4arch9wavefront6targetE0EEEvT1_
    .private_segment_fixed_size: 0
    .sgpr_count:     0
    .sgpr_spill_count: 0
    .symbol:         _ZN7rocprim17ROCPRIM_400000_NS6detail17trampoline_kernelINS0_14default_configENS1_27scan_by_key_config_selectorIssEEZZNS1_16scan_by_key_implILNS1_25lookback_scan_determinismE0ELb1ES3_N6thrust23THRUST_200600_302600_NS6detail15normal_iteratorINS9_10device_ptrIsEEEESE_SE_sNS9_10multipliesIsEENS9_8equal_toIsEEsEE10hipError_tPvRmT2_T3_T4_T5_mT6_T7_P12ihipStream_tbENKUlT_T0_E_clISt17integral_constantIbLb1EESY_IbLb0EEEEDaSU_SV_EUlSU_E_NS1_11comp_targetILNS1_3genE3ELNS1_11target_archE908ELNS1_3gpuE7ELNS1_3repE0EEENS1_30default_config_static_selectorELNS0_4arch9wavefront6targetE0EEEvT1_.kd
    .uniform_work_group_size: 1
    .uses_dynamic_stack: false
    .vgpr_count:     0
    .vgpr_spill_count: 0
    .wavefront_size: 32
  - .args:
      - .offset:         0
        .size:           112
        .value_kind:     by_value
    .group_segment_fixed_size: 0
    .kernarg_segment_align: 8
    .kernarg_segment_size: 112
    .language:       OpenCL C
    .language_version:
      - 2
      - 0
    .max_flat_workgroup_size: 64
    .name:           _ZN7rocprim17ROCPRIM_400000_NS6detail17trampoline_kernelINS0_14default_configENS1_27scan_by_key_config_selectorIssEEZZNS1_16scan_by_key_implILNS1_25lookback_scan_determinismE0ELb1ES3_N6thrust23THRUST_200600_302600_NS6detail15normal_iteratorINS9_10device_ptrIsEEEESE_SE_sNS9_10multipliesIsEENS9_8equal_toIsEEsEE10hipError_tPvRmT2_T3_T4_T5_mT6_T7_P12ihipStream_tbENKUlT_T0_E_clISt17integral_constantIbLb1EESY_IbLb0EEEEDaSU_SV_EUlSU_E_NS1_11comp_targetILNS1_3genE2ELNS1_11target_archE906ELNS1_3gpuE6ELNS1_3repE0EEENS1_30default_config_static_selectorELNS0_4arch9wavefront6targetE0EEEvT1_
    .private_segment_fixed_size: 0
    .sgpr_count:     0
    .sgpr_spill_count: 0
    .symbol:         _ZN7rocprim17ROCPRIM_400000_NS6detail17trampoline_kernelINS0_14default_configENS1_27scan_by_key_config_selectorIssEEZZNS1_16scan_by_key_implILNS1_25lookback_scan_determinismE0ELb1ES3_N6thrust23THRUST_200600_302600_NS6detail15normal_iteratorINS9_10device_ptrIsEEEESE_SE_sNS9_10multipliesIsEENS9_8equal_toIsEEsEE10hipError_tPvRmT2_T3_T4_T5_mT6_T7_P12ihipStream_tbENKUlT_T0_E_clISt17integral_constantIbLb1EESY_IbLb0EEEEDaSU_SV_EUlSU_E_NS1_11comp_targetILNS1_3genE2ELNS1_11target_archE906ELNS1_3gpuE6ELNS1_3repE0EEENS1_30default_config_static_selectorELNS0_4arch9wavefront6targetE0EEEvT1_.kd
    .uniform_work_group_size: 1
    .uses_dynamic_stack: false
    .vgpr_count:     0
    .vgpr_spill_count: 0
    .wavefront_size: 32
  - .args:
      - .offset:         0
        .size:           112
        .value_kind:     by_value
    .group_segment_fixed_size: 0
    .kernarg_segment_align: 8
    .kernarg_segment_size: 112
    .language:       OpenCL C
    .language_version:
      - 2
      - 0
    .max_flat_workgroup_size: 256
    .name:           _ZN7rocprim17ROCPRIM_400000_NS6detail17trampoline_kernelINS0_14default_configENS1_27scan_by_key_config_selectorIssEEZZNS1_16scan_by_key_implILNS1_25lookback_scan_determinismE0ELb1ES3_N6thrust23THRUST_200600_302600_NS6detail15normal_iteratorINS9_10device_ptrIsEEEESE_SE_sNS9_10multipliesIsEENS9_8equal_toIsEEsEE10hipError_tPvRmT2_T3_T4_T5_mT6_T7_P12ihipStream_tbENKUlT_T0_E_clISt17integral_constantIbLb1EESY_IbLb0EEEEDaSU_SV_EUlSU_E_NS1_11comp_targetILNS1_3genE10ELNS1_11target_archE1200ELNS1_3gpuE4ELNS1_3repE0EEENS1_30default_config_static_selectorELNS0_4arch9wavefront6targetE0EEEvT1_
    .private_segment_fixed_size: 0
    .sgpr_count:     0
    .sgpr_spill_count: 0
    .symbol:         _ZN7rocprim17ROCPRIM_400000_NS6detail17trampoline_kernelINS0_14default_configENS1_27scan_by_key_config_selectorIssEEZZNS1_16scan_by_key_implILNS1_25lookback_scan_determinismE0ELb1ES3_N6thrust23THRUST_200600_302600_NS6detail15normal_iteratorINS9_10device_ptrIsEEEESE_SE_sNS9_10multipliesIsEENS9_8equal_toIsEEsEE10hipError_tPvRmT2_T3_T4_T5_mT6_T7_P12ihipStream_tbENKUlT_T0_E_clISt17integral_constantIbLb1EESY_IbLb0EEEEDaSU_SV_EUlSU_E_NS1_11comp_targetILNS1_3genE10ELNS1_11target_archE1200ELNS1_3gpuE4ELNS1_3repE0EEENS1_30default_config_static_selectorELNS0_4arch9wavefront6targetE0EEEvT1_.kd
    .uniform_work_group_size: 1
    .uses_dynamic_stack: false
    .vgpr_count:     0
    .vgpr_spill_count: 0
    .wavefront_size: 32
  - .args:
      - .offset:         0
        .size:           112
        .value_kind:     by_value
    .group_segment_fixed_size: 0
    .kernarg_segment_align: 8
    .kernarg_segment_size: 112
    .language:       OpenCL C
    .language_version:
      - 2
      - 0
    .max_flat_workgroup_size: 256
    .name:           _ZN7rocprim17ROCPRIM_400000_NS6detail17trampoline_kernelINS0_14default_configENS1_27scan_by_key_config_selectorIssEEZZNS1_16scan_by_key_implILNS1_25lookback_scan_determinismE0ELb1ES3_N6thrust23THRUST_200600_302600_NS6detail15normal_iteratorINS9_10device_ptrIsEEEESE_SE_sNS9_10multipliesIsEENS9_8equal_toIsEEsEE10hipError_tPvRmT2_T3_T4_T5_mT6_T7_P12ihipStream_tbENKUlT_T0_E_clISt17integral_constantIbLb1EESY_IbLb0EEEEDaSU_SV_EUlSU_E_NS1_11comp_targetILNS1_3genE9ELNS1_11target_archE1100ELNS1_3gpuE3ELNS1_3repE0EEENS1_30default_config_static_selectorELNS0_4arch9wavefront6targetE0EEEvT1_
    .private_segment_fixed_size: 0
    .sgpr_count:     0
    .sgpr_spill_count: 0
    .symbol:         _ZN7rocprim17ROCPRIM_400000_NS6detail17trampoline_kernelINS0_14default_configENS1_27scan_by_key_config_selectorIssEEZZNS1_16scan_by_key_implILNS1_25lookback_scan_determinismE0ELb1ES3_N6thrust23THRUST_200600_302600_NS6detail15normal_iteratorINS9_10device_ptrIsEEEESE_SE_sNS9_10multipliesIsEENS9_8equal_toIsEEsEE10hipError_tPvRmT2_T3_T4_T5_mT6_T7_P12ihipStream_tbENKUlT_T0_E_clISt17integral_constantIbLb1EESY_IbLb0EEEEDaSU_SV_EUlSU_E_NS1_11comp_targetILNS1_3genE9ELNS1_11target_archE1100ELNS1_3gpuE3ELNS1_3repE0EEENS1_30default_config_static_selectorELNS0_4arch9wavefront6targetE0EEEvT1_.kd
    .uniform_work_group_size: 1
    .uses_dynamic_stack: false
    .vgpr_count:     0
    .vgpr_spill_count: 0
    .wavefront_size: 32
  - .args:
      - .offset:         0
        .size:           112
        .value_kind:     by_value
    .group_segment_fixed_size: 0
    .kernarg_segment_align: 8
    .kernarg_segment_size: 112
    .language:       OpenCL C
    .language_version:
      - 2
      - 0
    .max_flat_workgroup_size: 64
    .name:           _ZN7rocprim17ROCPRIM_400000_NS6detail17trampoline_kernelINS0_14default_configENS1_27scan_by_key_config_selectorIssEEZZNS1_16scan_by_key_implILNS1_25lookback_scan_determinismE0ELb1ES3_N6thrust23THRUST_200600_302600_NS6detail15normal_iteratorINS9_10device_ptrIsEEEESE_SE_sNS9_10multipliesIsEENS9_8equal_toIsEEsEE10hipError_tPvRmT2_T3_T4_T5_mT6_T7_P12ihipStream_tbENKUlT_T0_E_clISt17integral_constantIbLb1EESY_IbLb0EEEEDaSU_SV_EUlSU_E_NS1_11comp_targetILNS1_3genE8ELNS1_11target_archE1030ELNS1_3gpuE2ELNS1_3repE0EEENS1_30default_config_static_selectorELNS0_4arch9wavefront6targetE0EEEvT1_
    .private_segment_fixed_size: 0
    .sgpr_count:     0
    .sgpr_spill_count: 0
    .symbol:         _ZN7rocprim17ROCPRIM_400000_NS6detail17trampoline_kernelINS0_14default_configENS1_27scan_by_key_config_selectorIssEEZZNS1_16scan_by_key_implILNS1_25lookback_scan_determinismE0ELb1ES3_N6thrust23THRUST_200600_302600_NS6detail15normal_iteratorINS9_10device_ptrIsEEEESE_SE_sNS9_10multipliesIsEENS9_8equal_toIsEEsEE10hipError_tPvRmT2_T3_T4_T5_mT6_T7_P12ihipStream_tbENKUlT_T0_E_clISt17integral_constantIbLb1EESY_IbLb0EEEEDaSU_SV_EUlSU_E_NS1_11comp_targetILNS1_3genE8ELNS1_11target_archE1030ELNS1_3gpuE2ELNS1_3repE0EEENS1_30default_config_static_selectorELNS0_4arch9wavefront6targetE0EEEvT1_.kd
    .uniform_work_group_size: 1
    .uses_dynamic_stack: false
    .vgpr_count:     0
    .vgpr_spill_count: 0
    .wavefront_size: 32
  - .args:
      - .offset:         0
        .size:           112
        .value_kind:     by_value
    .group_segment_fixed_size: 11264
    .kernarg_segment_align: 8
    .kernarg_segment_size: 112
    .language:       OpenCL C
    .language_version:
      - 2
      - 0
    .max_flat_workgroup_size: 256
    .name:           _ZN7rocprim17ROCPRIM_400000_NS6detail17trampoline_kernelINS0_14default_configENS1_27scan_by_key_config_selectorIssEEZZNS1_16scan_by_key_implILNS1_25lookback_scan_determinismE0ELb1ES3_N6thrust23THRUST_200600_302600_NS6detail15normal_iteratorINS9_10device_ptrIsEEEESE_SE_sNS9_10multipliesIsEENS9_8equal_toIsEEsEE10hipError_tPvRmT2_T3_T4_T5_mT6_T7_P12ihipStream_tbENKUlT_T0_E_clISt17integral_constantIbLb0EESY_IbLb1EEEEDaSU_SV_EUlSU_E_NS1_11comp_targetILNS1_3genE0ELNS1_11target_archE4294967295ELNS1_3gpuE0ELNS1_3repE0EEENS1_30default_config_static_selectorELNS0_4arch9wavefront6targetE0EEEvT1_
    .private_segment_fixed_size: 0
    .sgpr_count:     48
    .sgpr_spill_count: 0
    .symbol:         _ZN7rocprim17ROCPRIM_400000_NS6detail17trampoline_kernelINS0_14default_configENS1_27scan_by_key_config_selectorIssEEZZNS1_16scan_by_key_implILNS1_25lookback_scan_determinismE0ELb1ES3_N6thrust23THRUST_200600_302600_NS6detail15normal_iteratorINS9_10device_ptrIsEEEESE_SE_sNS9_10multipliesIsEENS9_8equal_toIsEEsEE10hipError_tPvRmT2_T3_T4_T5_mT6_T7_P12ihipStream_tbENKUlT_T0_E_clISt17integral_constantIbLb0EESY_IbLb1EEEEDaSU_SV_EUlSU_E_NS1_11comp_targetILNS1_3genE0ELNS1_11target_archE4294967295ELNS1_3gpuE0ELNS1_3repE0EEENS1_30default_config_static_selectorELNS0_4arch9wavefront6targetE0EEEvT1_.kd
    .uniform_work_group_size: 1
    .uses_dynamic_stack: false
    .vgpr_count:     57
    .vgpr_spill_count: 0
    .wavefront_size: 32
  - .args:
      - .offset:         0
        .size:           112
        .value_kind:     by_value
    .group_segment_fixed_size: 0
    .kernarg_segment_align: 8
    .kernarg_segment_size: 112
    .language:       OpenCL C
    .language_version:
      - 2
      - 0
    .max_flat_workgroup_size: 128
    .name:           _ZN7rocprim17ROCPRIM_400000_NS6detail17trampoline_kernelINS0_14default_configENS1_27scan_by_key_config_selectorIssEEZZNS1_16scan_by_key_implILNS1_25lookback_scan_determinismE0ELb1ES3_N6thrust23THRUST_200600_302600_NS6detail15normal_iteratorINS9_10device_ptrIsEEEESE_SE_sNS9_10multipliesIsEENS9_8equal_toIsEEsEE10hipError_tPvRmT2_T3_T4_T5_mT6_T7_P12ihipStream_tbENKUlT_T0_E_clISt17integral_constantIbLb0EESY_IbLb1EEEEDaSU_SV_EUlSU_E_NS1_11comp_targetILNS1_3genE10ELNS1_11target_archE1201ELNS1_3gpuE5ELNS1_3repE0EEENS1_30default_config_static_selectorELNS0_4arch9wavefront6targetE0EEEvT1_
    .private_segment_fixed_size: 0
    .sgpr_count:     0
    .sgpr_spill_count: 0
    .symbol:         _ZN7rocprim17ROCPRIM_400000_NS6detail17trampoline_kernelINS0_14default_configENS1_27scan_by_key_config_selectorIssEEZZNS1_16scan_by_key_implILNS1_25lookback_scan_determinismE0ELb1ES3_N6thrust23THRUST_200600_302600_NS6detail15normal_iteratorINS9_10device_ptrIsEEEESE_SE_sNS9_10multipliesIsEENS9_8equal_toIsEEsEE10hipError_tPvRmT2_T3_T4_T5_mT6_T7_P12ihipStream_tbENKUlT_T0_E_clISt17integral_constantIbLb0EESY_IbLb1EEEEDaSU_SV_EUlSU_E_NS1_11comp_targetILNS1_3genE10ELNS1_11target_archE1201ELNS1_3gpuE5ELNS1_3repE0EEENS1_30default_config_static_selectorELNS0_4arch9wavefront6targetE0EEEvT1_.kd
    .uniform_work_group_size: 1
    .uses_dynamic_stack: false
    .vgpr_count:     0
    .vgpr_spill_count: 0
    .wavefront_size: 32
  - .args:
      - .offset:         0
        .size:           112
        .value_kind:     by_value
    .group_segment_fixed_size: 0
    .kernarg_segment_align: 8
    .kernarg_segment_size: 112
    .language:       OpenCL C
    .language_version:
      - 2
      - 0
    .max_flat_workgroup_size: 256
    .name:           _ZN7rocprim17ROCPRIM_400000_NS6detail17trampoline_kernelINS0_14default_configENS1_27scan_by_key_config_selectorIssEEZZNS1_16scan_by_key_implILNS1_25lookback_scan_determinismE0ELb1ES3_N6thrust23THRUST_200600_302600_NS6detail15normal_iteratorINS9_10device_ptrIsEEEESE_SE_sNS9_10multipliesIsEENS9_8equal_toIsEEsEE10hipError_tPvRmT2_T3_T4_T5_mT6_T7_P12ihipStream_tbENKUlT_T0_E_clISt17integral_constantIbLb0EESY_IbLb1EEEEDaSU_SV_EUlSU_E_NS1_11comp_targetILNS1_3genE5ELNS1_11target_archE942ELNS1_3gpuE9ELNS1_3repE0EEENS1_30default_config_static_selectorELNS0_4arch9wavefront6targetE0EEEvT1_
    .private_segment_fixed_size: 0
    .sgpr_count:     0
    .sgpr_spill_count: 0
    .symbol:         _ZN7rocprim17ROCPRIM_400000_NS6detail17trampoline_kernelINS0_14default_configENS1_27scan_by_key_config_selectorIssEEZZNS1_16scan_by_key_implILNS1_25lookback_scan_determinismE0ELb1ES3_N6thrust23THRUST_200600_302600_NS6detail15normal_iteratorINS9_10device_ptrIsEEEESE_SE_sNS9_10multipliesIsEENS9_8equal_toIsEEsEE10hipError_tPvRmT2_T3_T4_T5_mT6_T7_P12ihipStream_tbENKUlT_T0_E_clISt17integral_constantIbLb0EESY_IbLb1EEEEDaSU_SV_EUlSU_E_NS1_11comp_targetILNS1_3genE5ELNS1_11target_archE942ELNS1_3gpuE9ELNS1_3repE0EEENS1_30default_config_static_selectorELNS0_4arch9wavefront6targetE0EEEvT1_.kd
    .uniform_work_group_size: 1
    .uses_dynamic_stack: false
    .vgpr_count:     0
    .vgpr_spill_count: 0
    .wavefront_size: 32
  - .args:
      - .offset:         0
        .size:           112
        .value_kind:     by_value
    .group_segment_fixed_size: 0
    .kernarg_segment_align: 8
    .kernarg_segment_size: 112
    .language:       OpenCL C
    .language_version:
      - 2
      - 0
    .max_flat_workgroup_size: 256
    .name:           _ZN7rocprim17ROCPRIM_400000_NS6detail17trampoline_kernelINS0_14default_configENS1_27scan_by_key_config_selectorIssEEZZNS1_16scan_by_key_implILNS1_25lookback_scan_determinismE0ELb1ES3_N6thrust23THRUST_200600_302600_NS6detail15normal_iteratorINS9_10device_ptrIsEEEESE_SE_sNS9_10multipliesIsEENS9_8equal_toIsEEsEE10hipError_tPvRmT2_T3_T4_T5_mT6_T7_P12ihipStream_tbENKUlT_T0_E_clISt17integral_constantIbLb0EESY_IbLb1EEEEDaSU_SV_EUlSU_E_NS1_11comp_targetILNS1_3genE4ELNS1_11target_archE910ELNS1_3gpuE8ELNS1_3repE0EEENS1_30default_config_static_selectorELNS0_4arch9wavefront6targetE0EEEvT1_
    .private_segment_fixed_size: 0
    .sgpr_count:     0
    .sgpr_spill_count: 0
    .symbol:         _ZN7rocprim17ROCPRIM_400000_NS6detail17trampoline_kernelINS0_14default_configENS1_27scan_by_key_config_selectorIssEEZZNS1_16scan_by_key_implILNS1_25lookback_scan_determinismE0ELb1ES3_N6thrust23THRUST_200600_302600_NS6detail15normal_iteratorINS9_10device_ptrIsEEEESE_SE_sNS9_10multipliesIsEENS9_8equal_toIsEEsEE10hipError_tPvRmT2_T3_T4_T5_mT6_T7_P12ihipStream_tbENKUlT_T0_E_clISt17integral_constantIbLb0EESY_IbLb1EEEEDaSU_SV_EUlSU_E_NS1_11comp_targetILNS1_3genE4ELNS1_11target_archE910ELNS1_3gpuE8ELNS1_3repE0EEENS1_30default_config_static_selectorELNS0_4arch9wavefront6targetE0EEEvT1_.kd
    .uniform_work_group_size: 1
    .uses_dynamic_stack: false
    .vgpr_count:     0
    .vgpr_spill_count: 0
    .wavefront_size: 32
  - .args:
      - .offset:         0
        .size:           112
        .value_kind:     by_value
    .group_segment_fixed_size: 0
    .kernarg_segment_align: 8
    .kernarg_segment_size: 112
    .language:       OpenCL C
    .language_version:
      - 2
      - 0
    .max_flat_workgroup_size: 256
    .name:           _ZN7rocprim17ROCPRIM_400000_NS6detail17trampoline_kernelINS0_14default_configENS1_27scan_by_key_config_selectorIssEEZZNS1_16scan_by_key_implILNS1_25lookback_scan_determinismE0ELb1ES3_N6thrust23THRUST_200600_302600_NS6detail15normal_iteratorINS9_10device_ptrIsEEEESE_SE_sNS9_10multipliesIsEENS9_8equal_toIsEEsEE10hipError_tPvRmT2_T3_T4_T5_mT6_T7_P12ihipStream_tbENKUlT_T0_E_clISt17integral_constantIbLb0EESY_IbLb1EEEEDaSU_SV_EUlSU_E_NS1_11comp_targetILNS1_3genE3ELNS1_11target_archE908ELNS1_3gpuE7ELNS1_3repE0EEENS1_30default_config_static_selectorELNS0_4arch9wavefront6targetE0EEEvT1_
    .private_segment_fixed_size: 0
    .sgpr_count:     0
    .sgpr_spill_count: 0
    .symbol:         _ZN7rocprim17ROCPRIM_400000_NS6detail17trampoline_kernelINS0_14default_configENS1_27scan_by_key_config_selectorIssEEZZNS1_16scan_by_key_implILNS1_25lookback_scan_determinismE0ELb1ES3_N6thrust23THRUST_200600_302600_NS6detail15normal_iteratorINS9_10device_ptrIsEEEESE_SE_sNS9_10multipliesIsEENS9_8equal_toIsEEsEE10hipError_tPvRmT2_T3_T4_T5_mT6_T7_P12ihipStream_tbENKUlT_T0_E_clISt17integral_constantIbLb0EESY_IbLb1EEEEDaSU_SV_EUlSU_E_NS1_11comp_targetILNS1_3genE3ELNS1_11target_archE908ELNS1_3gpuE7ELNS1_3repE0EEENS1_30default_config_static_selectorELNS0_4arch9wavefront6targetE0EEEvT1_.kd
    .uniform_work_group_size: 1
    .uses_dynamic_stack: false
    .vgpr_count:     0
    .vgpr_spill_count: 0
    .wavefront_size: 32
  - .args:
      - .offset:         0
        .size:           112
        .value_kind:     by_value
    .group_segment_fixed_size: 0
    .kernarg_segment_align: 8
    .kernarg_segment_size: 112
    .language:       OpenCL C
    .language_version:
      - 2
      - 0
    .max_flat_workgroup_size: 64
    .name:           _ZN7rocprim17ROCPRIM_400000_NS6detail17trampoline_kernelINS0_14default_configENS1_27scan_by_key_config_selectorIssEEZZNS1_16scan_by_key_implILNS1_25lookback_scan_determinismE0ELb1ES3_N6thrust23THRUST_200600_302600_NS6detail15normal_iteratorINS9_10device_ptrIsEEEESE_SE_sNS9_10multipliesIsEENS9_8equal_toIsEEsEE10hipError_tPvRmT2_T3_T4_T5_mT6_T7_P12ihipStream_tbENKUlT_T0_E_clISt17integral_constantIbLb0EESY_IbLb1EEEEDaSU_SV_EUlSU_E_NS1_11comp_targetILNS1_3genE2ELNS1_11target_archE906ELNS1_3gpuE6ELNS1_3repE0EEENS1_30default_config_static_selectorELNS0_4arch9wavefront6targetE0EEEvT1_
    .private_segment_fixed_size: 0
    .sgpr_count:     0
    .sgpr_spill_count: 0
    .symbol:         _ZN7rocprim17ROCPRIM_400000_NS6detail17trampoline_kernelINS0_14default_configENS1_27scan_by_key_config_selectorIssEEZZNS1_16scan_by_key_implILNS1_25lookback_scan_determinismE0ELb1ES3_N6thrust23THRUST_200600_302600_NS6detail15normal_iteratorINS9_10device_ptrIsEEEESE_SE_sNS9_10multipliesIsEENS9_8equal_toIsEEsEE10hipError_tPvRmT2_T3_T4_T5_mT6_T7_P12ihipStream_tbENKUlT_T0_E_clISt17integral_constantIbLb0EESY_IbLb1EEEEDaSU_SV_EUlSU_E_NS1_11comp_targetILNS1_3genE2ELNS1_11target_archE906ELNS1_3gpuE6ELNS1_3repE0EEENS1_30default_config_static_selectorELNS0_4arch9wavefront6targetE0EEEvT1_.kd
    .uniform_work_group_size: 1
    .uses_dynamic_stack: false
    .vgpr_count:     0
    .vgpr_spill_count: 0
    .wavefront_size: 32
  - .args:
      - .offset:         0
        .size:           112
        .value_kind:     by_value
    .group_segment_fixed_size: 0
    .kernarg_segment_align: 8
    .kernarg_segment_size: 112
    .language:       OpenCL C
    .language_version:
      - 2
      - 0
    .max_flat_workgroup_size: 256
    .name:           _ZN7rocprim17ROCPRIM_400000_NS6detail17trampoline_kernelINS0_14default_configENS1_27scan_by_key_config_selectorIssEEZZNS1_16scan_by_key_implILNS1_25lookback_scan_determinismE0ELb1ES3_N6thrust23THRUST_200600_302600_NS6detail15normal_iteratorINS9_10device_ptrIsEEEESE_SE_sNS9_10multipliesIsEENS9_8equal_toIsEEsEE10hipError_tPvRmT2_T3_T4_T5_mT6_T7_P12ihipStream_tbENKUlT_T0_E_clISt17integral_constantIbLb0EESY_IbLb1EEEEDaSU_SV_EUlSU_E_NS1_11comp_targetILNS1_3genE10ELNS1_11target_archE1200ELNS1_3gpuE4ELNS1_3repE0EEENS1_30default_config_static_selectorELNS0_4arch9wavefront6targetE0EEEvT1_
    .private_segment_fixed_size: 0
    .sgpr_count:     0
    .sgpr_spill_count: 0
    .symbol:         _ZN7rocprim17ROCPRIM_400000_NS6detail17trampoline_kernelINS0_14default_configENS1_27scan_by_key_config_selectorIssEEZZNS1_16scan_by_key_implILNS1_25lookback_scan_determinismE0ELb1ES3_N6thrust23THRUST_200600_302600_NS6detail15normal_iteratorINS9_10device_ptrIsEEEESE_SE_sNS9_10multipliesIsEENS9_8equal_toIsEEsEE10hipError_tPvRmT2_T3_T4_T5_mT6_T7_P12ihipStream_tbENKUlT_T0_E_clISt17integral_constantIbLb0EESY_IbLb1EEEEDaSU_SV_EUlSU_E_NS1_11comp_targetILNS1_3genE10ELNS1_11target_archE1200ELNS1_3gpuE4ELNS1_3repE0EEENS1_30default_config_static_selectorELNS0_4arch9wavefront6targetE0EEEvT1_.kd
    .uniform_work_group_size: 1
    .uses_dynamic_stack: false
    .vgpr_count:     0
    .vgpr_spill_count: 0
    .wavefront_size: 32
  - .args:
      - .offset:         0
        .size:           112
        .value_kind:     by_value
    .group_segment_fixed_size: 0
    .kernarg_segment_align: 8
    .kernarg_segment_size: 112
    .language:       OpenCL C
    .language_version:
      - 2
      - 0
    .max_flat_workgroup_size: 256
    .name:           _ZN7rocprim17ROCPRIM_400000_NS6detail17trampoline_kernelINS0_14default_configENS1_27scan_by_key_config_selectorIssEEZZNS1_16scan_by_key_implILNS1_25lookback_scan_determinismE0ELb1ES3_N6thrust23THRUST_200600_302600_NS6detail15normal_iteratorINS9_10device_ptrIsEEEESE_SE_sNS9_10multipliesIsEENS9_8equal_toIsEEsEE10hipError_tPvRmT2_T3_T4_T5_mT6_T7_P12ihipStream_tbENKUlT_T0_E_clISt17integral_constantIbLb0EESY_IbLb1EEEEDaSU_SV_EUlSU_E_NS1_11comp_targetILNS1_3genE9ELNS1_11target_archE1100ELNS1_3gpuE3ELNS1_3repE0EEENS1_30default_config_static_selectorELNS0_4arch9wavefront6targetE0EEEvT1_
    .private_segment_fixed_size: 0
    .sgpr_count:     0
    .sgpr_spill_count: 0
    .symbol:         _ZN7rocprim17ROCPRIM_400000_NS6detail17trampoline_kernelINS0_14default_configENS1_27scan_by_key_config_selectorIssEEZZNS1_16scan_by_key_implILNS1_25lookback_scan_determinismE0ELb1ES3_N6thrust23THRUST_200600_302600_NS6detail15normal_iteratorINS9_10device_ptrIsEEEESE_SE_sNS9_10multipliesIsEENS9_8equal_toIsEEsEE10hipError_tPvRmT2_T3_T4_T5_mT6_T7_P12ihipStream_tbENKUlT_T0_E_clISt17integral_constantIbLb0EESY_IbLb1EEEEDaSU_SV_EUlSU_E_NS1_11comp_targetILNS1_3genE9ELNS1_11target_archE1100ELNS1_3gpuE3ELNS1_3repE0EEENS1_30default_config_static_selectorELNS0_4arch9wavefront6targetE0EEEvT1_.kd
    .uniform_work_group_size: 1
    .uses_dynamic_stack: false
    .vgpr_count:     0
    .vgpr_spill_count: 0
    .wavefront_size: 32
  - .args:
      - .offset:         0
        .size:           112
        .value_kind:     by_value
    .group_segment_fixed_size: 0
    .kernarg_segment_align: 8
    .kernarg_segment_size: 112
    .language:       OpenCL C
    .language_version:
      - 2
      - 0
    .max_flat_workgroup_size: 64
    .name:           _ZN7rocprim17ROCPRIM_400000_NS6detail17trampoline_kernelINS0_14default_configENS1_27scan_by_key_config_selectorIssEEZZNS1_16scan_by_key_implILNS1_25lookback_scan_determinismE0ELb1ES3_N6thrust23THRUST_200600_302600_NS6detail15normal_iteratorINS9_10device_ptrIsEEEESE_SE_sNS9_10multipliesIsEENS9_8equal_toIsEEsEE10hipError_tPvRmT2_T3_T4_T5_mT6_T7_P12ihipStream_tbENKUlT_T0_E_clISt17integral_constantIbLb0EESY_IbLb1EEEEDaSU_SV_EUlSU_E_NS1_11comp_targetILNS1_3genE8ELNS1_11target_archE1030ELNS1_3gpuE2ELNS1_3repE0EEENS1_30default_config_static_selectorELNS0_4arch9wavefront6targetE0EEEvT1_
    .private_segment_fixed_size: 0
    .sgpr_count:     0
    .sgpr_spill_count: 0
    .symbol:         _ZN7rocprim17ROCPRIM_400000_NS6detail17trampoline_kernelINS0_14default_configENS1_27scan_by_key_config_selectorIssEEZZNS1_16scan_by_key_implILNS1_25lookback_scan_determinismE0ELb1ES3_N6thrust23THRUST_200600_302600_NS6detail15normal_iteratorINS9_10device_ptrIsEEEESE_SE_sNS9_10multipliesIsEENS9_8equal_toIsEEsEE10hipError_tPvRmT2_T3_T4_T5_mT6_T7_P12ihipStream_tbENKUlT_T0_E_clISt17integral_constantIbLb0EESY_IbLb1EEEEDaSU_SV_EUlSU_E_NS1_11comp_targetILNS1_3genE8ELNS1_11target_archE1030ELNS1_3gpuE2ELNS1_3repE0EEENS1_30default_config_static_selectorELNS0_4arch9wavefront6targetE0EEEvT1_.kd
    .uniform_work_group_size: 1
    .uses_dynamic_stack: false
    .vgpr_count:     0
    .vgpr_spill_count: 0
    .wavefront_size: 32
  - .args:
      - .offset:         0
        .size:           112
        .value_kind:     by_value
    .group_segment_fixed_size: 11264
    .kernarg_segment_align: 8
    .kernarg_segment_size: 112
    .language:       OpenCL C
    .language_version:
      - 2
      - 0
    .max_flat_workgroup_size: 256
    .name:           _ZN7rocprim17ROCPRIM_400000_NS6detail17trampoline_kernelINS0_14default_configENS1_27scan_by_key_config_selectorIssEEZZNS1_16scan_by_key_implILNS1_25lookback_scan_determinismE0ELb1ES3_N6thrust23THRUST_200600_302600_NS6detail15normal_iteratorINS9_10device_ptrIsEEEESE_SE_sNS9_4plusIvEENS9_8equal_toIsEEsEE10hipError_tPvRmT2_T3_T4_T5_mT6_T7_P12ihipStream_tbENKUlT_T0_E_clISt17integral_constantIbLb0EESZ_EEDaSU_SV_EUlSU_E_NS1_11comp_targetILNS1_3genE0ELNS1_11target_archE4294967295ELNS1_3gpuE0ELNS1_3repE0EEENS1_30default_config_static_selectorELNS0_4arch9wavefront6targetE0EEEvT1_
    .private_segment_fixed_size: 0
    .sgpr_count:     47
    .sgpr_spill_count: 0
    .symbol:         _ZN7rocprim17ROCPRIM_400000_NS6detail17trampoline_kernelINS0_14default_configENS1_27scan_by_key_config_selectorIssEEZZNS1_16scan_by_key_implILNS1_25lookback_scan_determinismE0ELb1ES3_N6thrust23THRUST_200600_302600_NS6detail15normal_iteratorINS9_10device_ptrIsEEEESE_SE_sNS9_4plusIvEENS9_8equal_toIsEEsEE10hipError_tPvRmT2_T3_T4_T5_mT6_T7_P12ihipStream_tbENKUlT_T0_E_clISt17integral_constantIbLb0EESZ_EEDaSU_SV_EUlSU_E_NS1_11comp_targetILNS1_3genE0ELNS1_11target_archE4294967295ELNS1_3gpuE0ELNS1_3repE0EEENS1_30default_config_static_selectorELNS0_4arch9wavefront6targetE0EEEvT1_.kd
    .uniform_work_group_size: 1
    .uses_dynamic_stack: false
    .vgpr_count:     56
    .vgpr_spill_count: 0
    .wavefront_size: 32
  - .args:
      - .offset:         0
        .size:           112
        .value_kind:     by_value
    .group_segment_fixed_size: 0
    .kernarg_segment_align: 8
    .kernarg_segment_size: 112
    .language:       OpenCL C
    .language_version:
      - 2
      - 0
    .max_flat_workgroup_size: 128
    .name:           _ZN7rocprim17ROCPRIM_400000_NS6detail17trampoline_kernelINS0_14default_configENS1_27scan_by_key_config_selectorIssEEZZNS1_16scan_by_key_implILNS1_25lookback_scan_determinismE0ELb1ES3_N6thrust23THRUST_200600_302600_NS6detail15normal_iteratorINS9_10device_ptrIsEEEESE_SE_sNS9_4plusIvEENS9_8equal_toIsEEsEE10hipError_tPvRmT2_T3_T4_T5_mT6_T7_P12ihipStream_tbENKUlT_T0_E_clISt17integral_constantIbLb0EESZ_EEDaSU_SV_EUlSU_E_NS1_11comp_targetILNS1_3genE10ELNS1_11target_archE1201ELNS1_3gpuE5ELNS1_3repE0EEENS1_30default_config_static_selectorELNS0_4arch9wavefront6targetE0EEEvT1_
    .private_segment_fixed_size: 0
    .sgpr_count:     0
    .sgpr_spill_count: 0
    .symbol:         _ZN7rocprim17ROCPRIM_400000_NS6detail17trampoline_kernelINS0_14default_configENS1_27scan_by_key_config_selectorIssEEZZNS1_16scan_by_key_implILNS1_25lookback_scan_determinismE0ELb1ES3_N6thrust23THRUST_200600_302600_NS6detail15normal_iteratorINS9_10device_ptrIsEEEESE_SE_sNS9_4plusIvEENS9_8equal_toIsEEsEE10hipError_tPvRmT2_T3_T4_T5_mT6_T7_P12ihipStream_tbENKUlT_T0_E_clISt17integral_constantIbLb0EESZ_EEDaSU_SV_EUlSU_E_NS1_11comp_targetILNS1_3genE10ELNS1_11target_archE1201ELNS1_3gpuE5ELNS1_3repE0EEENS1_30default_config_static_selectorELNS0_4arch9wavefront6targetE0EEEvT1_.kd
    .uniform_work_group_size: 1
    .uses_dynamic_stack: false
    .vgpr_count:     0
    .vgpr_spill_count: 0
    .wavefront_size: 32
  - .args:
      - .offset:         0
        .size:           112
        .value_kind:     by_value
    .group_segment_fixed_size: 0
    .kernarg_segment_align: 8
    .kernarg_segment_size: 112
    .language:       OpenCL C
    .language_version:
      - 2
      - 0
    .max_flat_workgroup_size: 256
    .name:           _ZN7rocprim17ROCPRIM_400000_NS6detail17trampoline_kernelINS0_14default_configENS1_27scan_by_key_config_selectorIssEEZZNS1_16scan_by_key_implILNS1_25lookback_scan_determinismE0ELb1ES3_N6thrust23THRUST_200600_302600_NS6detail15normal_iteratorINS9_10device_ptrIsEEEESE_SE_sNS9_4plusIvEENS9_8equal_toIsEEsEE10hipError_tPvRmT2_T3_T4_T5_mT6_T7_P12ihipStream_tbENKUlT_T0_E_clISt17integral_constantIbLb0EESZ_EEDaSU_SV_EUlSU_E_NS1_11comp_targetILNS1_3genE5ELNS1_11target_archE942ELNS1_3gpuE9ELNS1_3repE0EEENS1_30default_config_static_selectorELNS0_4arch9wavefront6targetE0EEEvT1_
    .private_segment_fixed_size: 0
    .sgpr_count:     0
    .sgpr_spill_count: 0
    .symbol:         _ZN7rocprim17ROCPRIM_400000_NS6detail17trampoline_kernelINS0_14default_configENS1_27scan_by_key_config_selectorIssEEZZNS1_16scan_by_key_implILNS1_25lookback_scan_determinismE0ELb1ES3_N6thrust23THRUST_200600_302600_NS6detail15normal_iteratorINS9_10device_ptrIsEEEESE_SE_sNS9_4plusIvEENS9_8equal_toIsEEsEE10hipError_tPvRmT2_T3_T4_T5_mT6_T7_P12ihipStream_tbENKUlT_T0_E_clISt17integral_constantIbLb0EESZ_EEDaSU_SV_EUlSU_E_NS1_11comp_targetILNS1_3genE5ELNS1_11target_archE942ELNS1_3gpuE9ELNS1_3repE0EEENS1_30default_config_static_selectorELNS0_4arch9wavefront6targetE0EEEvT1_.kd
    .uniform_work_group_size: 1
    .uses_dynamic_stack: false
    .vgpr_count:     0
    .vgpr_spill_count: 0
    .wavefront_size: 32
  - .args:
      - .offset:         0
        .size:           112
        .value_kind:     by_value
    .group_segment_fixed_size: 0
    .kernarg_segment_align: 8
    .kernarg_segment_size: 112
    .language:       OpenCL C
    .language_version:
      - 2
      - 0
    .max_flat_workgroup_size: 256
    .name:           _ZN7rocprim17ROCPRIM_400000_NS6detail17trampoline_kernelINS0_14default_configENS1_27scan_by_key_config_selectorIssEEZZNS1_16scan_by_key_implILNS1_25lookback_scan_determinismE0ELb1ES3_N6thrust23THRUST_200600_302600_NS6detail15normal_iteratorINS9_10device_ptrIsEEEESE_SE_sNS9_4plusIvEENS9_8equal_toIsEEsEE10hipError_tPvRmT2_T3_T4_T5_mT6_T7_P12ihipStream_tbENKUlT_T0_E_clISt17integral_constantIbLb0EESZ_EEDaSU_SV_EUlSU_E_NS1_11comp_targetILNS1_3genE4ELNS1_11target_archE910ELNS1_3gpuE8ELNS1_3repE0EEENS1_30default_config_static_selectorELNS0_4arch9wavefront6targetE0EEEvT1_
    .private_segment_fixed_size: 0
    .sgpr_count:     0
    .sgpr_spill_count: 0
    .symbol:         _ZN7rocprim17ROCPRIM_400000_NS6detail17trampoline_kernelINS0_14default_configENS1_27scan_by_key_config_selectorIssEEZZNS1_16scan_by_key_implILNS1_25lookback_scan_determinismE0ELb1ES3_N6thrust23THRUST_200600_302600_NS6detail15normal_iteratorINS9_10device_ptrIsEEEESE_SE_sNS9_4plusIvEENS9_8equal_toIsEEsEE10hipError_tPvRmT2_T3_T4_T5_mT6_T7_P12ihipStream_tbENKUlT_T0_E_clISt17integral_constantIbLb0EESZ_EEDaSU_SV_EUlSU_E_NS1_11comp_targetILNS1_3genE4ELNS1_11target_archE910ELNS1_3gpuE8ELNS1_3repE0EEENS1_30default_config_static_selectorELNS0_4arch9wavefront6targetE0EEEvT1_.kd
    .uniform_work_group_size: 1
    .uses_dynamic_stack: false
    .vgpr_count:     0
    .vgpr_spill_count: 0
    .wavefront_size: 32
  - .args:
      - .offset:         0
        .size:           112
        .value_kind:     by_value
    .group_segment_fixed_size: 0
    .kernarg_segment_align: 8
    .kernarg_segment_size: 112
    .language:       OpenCL C
    .language_version:
      - 2
      - 0
    .max_flat_workgroup_size: 256
    .name:           _ZN7rocprim17ROCPRIM_400000_NS6detail17trampoline_kernelINS0_14default_configENS1_27scan_by_key_config_selectorIssEEZZNS1_16scan_by_key_implILNS1_25lookback_scan_determinismE0ELb1ES3_N6thrust23THRUST_200600_302600_NS6detail15normal_iteratorINS9_10device_ptrIsEEEESE_SE_sNS9_4plusIvEENS9_8equal_toIsEEsEE10hipError_tPvRmT2_T3_T4_T5_mT6_T7_P12ihipStream_tbENKUlT_T0_E_clISt17integral_constantIbLb0EESZ_EEDaSU_SV_EUlSU_E_NS1_11comp_targetILNS1_3genE3ELNS1_11target_archE908ELNS1_3gpuE7ELNS1_3repE0EEENS1_30default_config_static_selectorELNS0_4arch9wavefront6targetE0EEEvT1_
    .private_segment_fixed_size: 0
    .sgpr_count:     0
    .sgpr_spill_count: 0
    .symbol:         _ZN7rocprim17ROCPRIM_400000_NS6detail17trampoline_kernelINS0_14default_configENS1_27scan_by_key_config_selectorIssEEZZNS1_16scan_by_key_implILNS1_25lookback_scan_determinismE0ELb1ES3_N6thrust23THRUST_200600_302600_NS6detail15normal_iteratorINS9_10device_ptrIsEEEESE_SE_sNS9_4plusIvEENS9_8equal_toIsEEsEE10hipError_tPvRmT2_T3_T4_T5_mT6_T7_P12ihipStream_tbENKUlT_T0_E_clISt17integral_constantIbLb0EESZ_EEDaSU_SV_EUlSU_E_NS1_11comp_targetILNS1_3genE3ELNS1_11target_archE908ELNS1_3gpuE7ELNS1_3repE0EEENS1_30default_config_static_selectorELNS0_4arch9wavefront6targetE0EEEvT1_.kd
    .uniform_work_group_size: 1
    .uses_dynamic_stack: false
    .vgpr_count:     0
    .vgpr_spill_count: 0
    .wavefront_size: 32
  - .args:
      - .offset:         0
        .size:           112
        .value_kind:     by_value
    .group_segment_fixed_size: 0
    .kernarg_segment_align: 8
    .kernarg_segment_size: 112
    .language:       OpenCL C
    .language_version:
      - 2
      - 0
    .max_flat_workgroup_size: 64
    .name:           _ZN7rocprim17ROCPRIM_400000_NS6detail17trampoline_kernelINS0_14default_configENS1_27scan_by_key_config_selectorIssEEZZNS1_16scan_by_key_implILNS1_25lookback_scan_determinismE0ELb1ES3_N6thrust23THRUST_200600_302600_NS6detail15normal_iteratorINS9_10device_ptrIsEEEESE_SE_sNS9_4plusIvEENS9_8equal_toIsEEsEE10hipError_tPvRmT2_T3_T4_T5_mT6_T7_P12ihipStream_tbENKUlT_T0_E_clISt17integral_constantIbLb0EESZ_EEDaSU_SV_EUlSU_E_NS1_11comp_targetILNS1_3genE2ELNS1_11target_archE906ELNS1_3gpuE6ELNS1_3repE0EEENS1_30default_config_static_selectorELNS0_4arch9wavefront6targetE0EEEvT1_
    .private_segment_fixed_size: 0
    .sgpr_count:     0
    .sgpr_spill_count: 0
    .symbol:         _ZN7rocprim17ROCPRIM_400000_NS6detail17trampoline_kernelINS0_14default_configENS1_27scan_by_key_config_selectorIssEEZZNS1_16scan_by_key_implILNS1_25lookback_scan_determinismE0ELb1ES3_N6thrust23THRUST_200600_302600_NS6detail15normal_iteratorINS9_10device_ptrIsEEEESE_SE_sNS9_4plusIvEENS9_8equal_toIsEEsEE10hipError_tPvRmT2_T3_T4_T5_mT6_T7_P12ihipStream_tbENKUlT_T0_E_clISt17integral_constantIbLb0EESZ_EEDaSU_SV_EUlSU_E_NS1_11comp_targetILNS1_3genE2ELNS1_11target_archE906ELNS1_3gpuE6ELNS1_3repE0EEENS1_30default_config_static_selectorELNS0_4arch9wavefront6targetE0EEEvT1_.kd
    .uniform_work_group_size: 1
    .uses_dynamic_stack: false
    .vgpr_count:     0
    .vgpr_spill_count: 0
    .wavefront_size: 32
  - .args:
      - .offset:         0
        .size:           112
        .value_kind:     by_value
    .group_segment_fixed_size: 0
    .kernarg_segment_align: 8
    .kernarg_segment_size: 112
    .language:       OpenCL C
    .language_version:
      - 2
      - 0
    .max_flat_workgroup_size: 256
    .name:           _ZN7rocprim17ROCPRIM_400000_NS6detail17trampoline_kernelINS0_14default_configENS1_27scan_by_key_config_selectorIssEEZZNS1_16scan_by_key_implILNS1_25lookback_scan_determinismE0ELb1ES3_N6thrust23THRUST_200600_302600_NS6detail15normal_iteratorINS9_10device_ptrIsEEEESE_SE_sNS9_4plusIvEENS9_8equal_toIsEEsEE10hipError_tPvRmT2_T3_T4_T5_mT6_T7_P12ihipStream_tbENKUlT_T0_E_clISt17integral_constantIbLb0EESZ_EEDaSU_SV_EUlSU_E_NS1_11comp_targetILNS1_3genE10ELNS1_11target_archE1200ELNS1_3gpuE4ELNS1_3repE0EEENS1_30default_config_static_selectorELNS0_4arch9wavefront6targetE0EEEvT1_
    .private_segment_fixed_size: 0
    .sgpr_count:     0
    .sgpr_spill_count: 0
    .symbol:         _ZN7rocprim17ROCPRIM_400000_NS6detail17trampoline_kernelINS0_14default_configENS1_27scan_by_key_config_selectorIssEEZZNS1_16scan_by_key_implILNS1_25lookback_scan_determinismE0ELb1ES3_N6thrust23THRUST_200600_302600_NS6detail15normal_iteratorINS9_10device_ptrIsEEEESE_SE_sNS9_4plusIvEENS9_8equal_toIsEEsEE10hipError_tPvRmT2_T3_T4_T5_mT6_T7_P12ihipStream_tbENKUlT_T0_E_clISt17integral_constantIbLb0EESZ_EEDaSU_SV_EUlSU_E_NS1_11comp_targetILNS1_3genE10ELNS1_11target_archE1200ELNS1_3gpuE4ELNS1_3repE0EEENS1_30default_config_static_selectorELNS0_4arch9wavefront6targetE0EEEvT1_.kd
    .uniform_work_group_size: 1
    .uses_dynamic_stack: false
    .vgpr_count:     0
    .vgpr_spill_count: 0
    .wavefront_size: 32
  - .args:
      - .offset:         0
        .size:           112
        .value_kind:     by_value
    .group_segment_fixed_size: 0
    .kernarg_segment_align: 8
    .kernarg_segment_size: 112
    .language:       OpenCL C
    .language_version:
      - 2
      - 0
    .max_flat_workgroup_size: 256
    .name:           _ZN7rocprim17ROCPRIM_400000_NS6detail17trampoline_kernelINS0_14default_configENS1_27scan_by_key_config_selectorIssEEZZNS1_16scan_by_key_implILNS1_25lookback_scan_determinismE0ELb1ES3_N6thrust23THRUST_200600_302600_NS6detail15normal_iteratorINS9_10device_ptrIsEEEESE_SE_sNS9_4plusIvEENS9_8equal_toIsEEsEE10hipError_tPvRmT2_T3_T4_T5_mT6_T7_P12ihipStream_tbENKUlT_T0_E_clISt17integral_constantIbLb0EESZ_EEDaSU_SV_EUlSU_E_NS1_11comp_targetILNS1_3genE9ELNS1_11target_archE1100ELNS1_3gpuE3ELNS1_3repE0EEENS1_30default_config_static_selectorELNS0_4arch9wavefront6targetE0EEEvT1_
    .private_segment_fixed_size: 0
    .sgpr_count:     0
    .sgpr_spill_count: 0
    .symbol:         _ZN7rocprim17ROCPRIM_400000_NS6detail17trampoline_kernelINS0_14default_configENS1_27scan_by_key_config_selectorIssEEZZNS1_16scan_by_key_implILNS1_25lookback_scan_determinismE0ELb1ES3_N6thrust23THRUST_200600_302600_NS6detail15normal_iteratorINS9_10device_ptrIsEEEESE_SE_sNS9_4plusIvEENS9_8equal_toIsEEsEE10hipError_tPvRmT2_T3_T4_T5_mT6_T7_P12ihipStream_tbENKUlT_T0_E_clISt17integral_constantIbLb0EESZ_EEDaSU_SV_EUlSU_E_NS1_11comp_targetILNS1_3genE9ELNS1_11target_archE1100ELNS1_3gpuE3ELNS1_3repE0EEENS1_30default_config_static_selectorELNS0_4arch9wavefront6targetE0EEEvT1_.kd
    .uniform_work_group_size: 1
    .uses_dynamic_stack: false
    .vgpr_count:     0
    .vgpr_spill_count: 0
    .wavefront_size: 32
  - .args:
      - .offset:         0
        .size:           112
        .value_kind:     by_value
    .group_segment_fixed_size: 0
    .kernarg_segment_align: 8
    .kernarg_segment_size: 112
    .language:       OpenCL C
    .language_version:
      - 2
      - 0
    .max_flat_workgroup_size: 64
    .name:           _ZN7rocprim17ROCPRIM_400000_NS6detail17trampoline_kernelINS0_14default_configENS1_27scan_by_key_config_selectorIssEEZZNS1_16scan_by_key_implILNS1_25lookback_scan_determinismE0ELb1ES3_N6thrust23THRUST_200600_302600_NS6detail15normal_iteratorINS9_10device_ptrIsEEEESE_SE_sNS9_4plusIvEENS9_8equal_toIsEEsEE10hipError_tPvRmT2_T3_T4_T5_mT6_T7_P12ihipStream_tbENKUlT_T0_E_clISt17integral_constantIbLb0EESZ_EEDaSU_SV_EUlSU_E_NS1_11comp_targetILNS1_3genE8ELNS1_11target_archE1030ELNS1_3gpuE2ELNS1_3repE0EEENS1_30default_config_static_selectorELNS0_4arch9wavefront6targetE0EEEvT1_
    .private_segment_fixed_size: 0
    .sgpr_count:     0
    .sgpr_spill_count: 0
    .symbol:         _ZN7rocprim17ROCPRIM_400000_NS6detail17trampoline_kernelINS0_14default_configENS1_27scan_by_key_config_selectorIssEEZZNS1_16scan_by_key_implILNS1_25lookback_scan_determinismE0ELb1ES3_N6thrust23THRUST_200600_302600_NS6detail15normal_iteratorINS9_10device_ptrIsEEEESE_SE_sNS9_4plusIvEENS9_8equal_toIsEEsEE10hipError_tPvRmT2_T3_T4_T5_mT6_T7_P12ihipStream_tbENKUlT_T0_E_clISt17integral_constantIbLb0EESZ_EEDaSU_SV_EUlSU_E_NS1_11comp_targetILNS1_3genE8ELNS1_11target_archE1030ELNS1_3gpuE2ELNS1_3repE0EEENS1_30default_config_static_selectorELNS0_4arch9wavefront6targetE0EEEvT1_.kd
    .uniform_work_group_size: 1
    .uses_dynamic_stack: false
    .vgpr_count:     0
    .vgpr_spill_count: 0
    .wavefront_size: 32
  - .args:
      - .offset:         0
        .size:           112
        .value_kind:     by_value
    .group_segment_fixed_size: 0
    .kernarg_segment_align: 8
    .kernarg_segment_size: 112
    .language:       OpenCL C
    .language_version:
      - 2
      - 0
    .max_flat_workgroup_size: 256
    .name:           _ZN7rocprim17ROCPRIM_400000_NS6detail17trampoline_kernelINS0_14default_configENS1_27scan_by_key_config_selectorIssEEZZNS1_16scan_by_key_implILNS1_25lookback_scan_determinismE0ELb1ES3_N6thrust23THRUST_200600_302600_NS6detail15normal_iteratorINS9_10device_ptrIsEEEESE_SE_sNS9_4plusIvEENS9_8equal_toIsEEsEE10hipError_tPvRmT2_T3_T4_T5_mT6_T7_P12ihipStream_tbENKUlT_T0_E_clISt17integral_constantIbLb1EESZ_EEDaSU_SV_EUlSU_E_NS1_11comp_targetILNS1_3genE0ELNS1_11target_archE4294967295ELNS1_3gpuE0ELNS1_3repE0EEENS1_30default_config_static_selectorELNS0_4arch9wavefront6targetE0EEEvT1_
    .private_segment_fixed_size: 0
    .sgpr_count:     0
    .sgpr_spill_count: 0
    .symbol:         _ZN7rocprim17ROCPRIM_400000_NS6detail17trampoline_kernelINS0_14default_configENS1_27scan_by_key_config_selectorIssEEZZNS1_16scan_by_key_implILNS1_25lookback_scan_determinismE0ELb1ES3_N6thrust23THRUST_200600_302600_NS6detail15normal_iteratorINS9_10device_ptrIsEEEESE_SE_sNS9_4plusIvEENS9_8equal_toIsEEsEE10hipError_tPvRmT2_T3_T4_T5_mT6_T7_P12ihipStream_tbENKUlT_T0_E_clISt17integral_constantIbLb1EESZ_EEDaSU_SV_EUlSU_E_NS1_11comp_targetILNS1_3genE0ELNS1_11target_archE4294967295ELNS1_3gpuE0ELNS1_3repE0EEENS1_30default_config_static_selectorELNS0_4arch9wavefront6targetE0EEEvT1_.kd
    .uniform_work_group_size: 1
    .uses_dynamic_stack: false
    .vgpr_count:     0
    .vgpr_spill_count: 0
    .wavefront_size: 32
  - .args:
      - .offset:         0
        .size:           112
        .value_kind:     by_value
    .group_segment_fixed_size: 0
    .kernarg_segment_align: 8
    .kernarg_segment_size: 112
    .language:       OpenCL C
    .language_version:
      - 2
      - 0
    .max_flat_workgroup_size: 128
    .name:           _ZN7rocprim17ROCPRIM_400000_NS6detail17trampoline_kernelINS0_14default_configENS1_27scan_by_key_config_selectorIssEEZZNS1_16scan_by_key_implILNS1_25lookback_scan_determinismE0ELb1ES3_N6thrust23THRUST_200600_302600_NS6detail15normal_iteratorINS9_10device_ptrIsEEEESE_SE_sNS9_4plusIvEENS9_8equal_toIsEEsEE10hipError_tPvRmT2_T3_T4_T5_mT6_T7_P12ihipStream_tbENKUlT_T0_E_clISt17integral_constantIbLb1EESZ_EEDaSU_SV_EUlSU_E_NS1_11comp_targetILNS1_3genE10ELNS1_11target_archE1201ELNS1_3gpuE5ELNS1_3repE0EEENS1_30default_config_static_selectorELNS0_4arch9wavefront6targetE0EEEvT1_
    .private_segment_fixed_size: 0
    .sgpr_count:     0
    .sgpr_spill_count: 0
    .symbol:         _ZN7rocprim17ROCPRIM_400000_NS6detail17trampoline_kernelINS0_14default_configENS1_27scan_by_key_config_selectorIssEEZZNS1_16scan_by_key_implILNS1_25lookback_scan_determinismE0ELb1ES3_N6thrust23THRUST_200600_302600_NS6detail15normal_iteratorINS9_10device_ptrIsEEEESE_SE_sNS9_4plusIvEENS9_8equal_toIsEEsEE10hipError_tPvRmT2_T3_T4_T5_mT6_T7_P12ihipStream_tbENKUlT_T0_E_clISt17integral_constantIbLb1EESZ_EEDaSU_SV_EUlSU_E_NS1_11comp_targetILNS1_3genE10ELNS1_11target_archE1201ELNS1_3gpuE5ELNS1_3repE0EEENS1_30default_config_static_selectorELNS0_4arch9wavefront6targetE0EEEvT1_.kd
    .uniform_work_group_size: 1
    .uses_dynamic_stack: false
    .vgpr_count:     0
    .vgpr_spill_count: 0
    .wavefront_size: 32
  - .args:
      - .offset:         0
        .size:           112
        .value_kind:     by_value
    .group_segment_fixed_size: 0
    .kernarg_segment_align: 8
    .kernarg_segment_size: 112
    .language:       OpenCL C
    .language_version:
      - 2
      - 0
    .max_flat_workgroup_size: 256
    .name:           _ZN7rocprim17ROCPRIM_400000_NS6detail17trampoline_kernelINS0_14default_configENS1_27scan_by_key_config_selectorIssEEZZNS1_16scan_by_key_implILNS1_25lookback_scan_determinismE0ELb1ES3_N6thrust23THRUST_200600_302600_NS6detail15normal_iteratorINS9_10device_ptrIsEEEESE_SE_sNS9_4plusIvEENS9_8equal_toIsEEsEE10hipError_tPvRmT2_T3_T4_T5_mT6_T7_P12ihipStream_tbENKUlT_T0_E_clISt17integral_constantIbLb1EESZ_EEDaSU_SV_EUlSU_E_NS1_11comp_targetILNS1_3genE5ELNS1_11target_archE942ELNS1_3gpuE9ELNS1_3repE0EEENS1_30default_config_static_selectorELNS0_4arch9wavefront6targetE0EEEvT1_
    .private_segment_fixed_size: 0
    .sgpr_count:     0
    .sgpr_spill_count: 0
    .symbol:         _ZN7rocprim17ROCPRIM_400000_NS6detail17trampoline_kernelINS0_14default_configENS1_27scan_by_key_config_selectorIssEEZZNS1_16scan_by_key_implILNS1_25lookback_scan_determinismE0ELb1ES3_N6thrust23THRUST_200600_302600_NS6detail15normal_iteratorINS9_10device_ptrIsEEEESE_SE_sNS9_4plusIvEENS9_8equal_toIsEEsEE10hipError_tPvRmT2_T3_T4_T5_mT6_T7_P12ihipStream_tbENKUlT_T0_E_clISt17integral_constantIbLb1EESZ_EEDaSU_SV_EUlSU_E_NS1_11comp_targetILNS1_3genE5ELNS1_11target_archE942ELNS1_3gpuE9ELNS1_3repE0EEENS1_30default_config_static_selectorELNS0_4arch9wavefront6targetE0EEEvT1_.kd
    .uniform_work_group_size: 1
    .uses_dynamic_stack: false
    .vgpr_count:     0
    .vgpr_spill_count: 0
    .wavefront_size: 32
  - .args:
      - .offset:         0
        .size:           112
        .value_kind:     by_value
    .group_segment_fixed_size: 0
    .kernarg_segment_align: 8
    .kernarg_segment_size: 112
    .language:       OpenCL C
    .language_version:
      - 2
      - 0
    .max_flat_workgroup_size: 256
    .name:           _ZN7rocprim17ROCPRIM_400000_NS6detail17trampoline_kernelINS0_14default_configENS1_27scan_by_key_config_selectorIssEEZZNS1_16scan_by_key_implILNS1_25lookback_scan_determinismE0ELb1ES3_N6thrust23THRUST_200600_302600_NS6detail15normal_iteratorINS9_10device_ptrIsEEEESE_SE_sNS9_4plusIvEENS9_8equal_toIsEEsEE10hipError_tPvRmT2_T3_T4_T5_mT6_T7_P12ihipStream_tbENKUlT_T0_E_clISt17integral_constantIbLb1EESZ_EEDaSU_SV_EUlSU_E_NS1_11comp_targetILNS1_3genE4ELNS1_11target_archE910ELNS1_3gpuE8ELNS1_3repE0EEENS1_30default_config_static_selectorELNS0_4arch9wavefront6targetE0EEEvT1_
    .private_segment_fixed_size: 0
    .sgpr_count:     0
    .sgpr_spill_count: 0
    .symbol:         _ZN7rocprim17ROCPRIM_400000_NS6detail17trampoline_kernelINS0_14default_configENS1_27scan_by_key_config_selectorIssEEZZNS1_16scan_by_key_implILNS1_25lookback_scan_determinismE0ELb1ES3_N6thrust23THRUST_200600_302600_NS6detail15normal_iteratorINS9_10device_ptrIsEEEESE_SE_sNS9_4plusIvEENS9_8equal_toIsEEsEE10hipError_tPvRmT2_T3_T4_T5_mT6_T7_P12ihipStream_tbENKUlT_T0_E_clISt17integral_constantIbLb1EESZ_EEDaSU_SV_EUlSU_E_NS1_11comp_targetILNS1_3genE4ELNS1_11target_archE910ELNS1_3gpuE8ELNS1_3repE0EEENS1_30default_config_static_selectorELNS0_4arch9wavefront6targetE0EEEvT1_.kd
    .uniform_work_group_size: 1
    .uses_dynamic_stack: false
    .vgpr_count:     0
    .vgpr_spill_count: 0
    .wavefront_size: 32
  - .args:
      - .offset:         0
        .size:           112
        .value_kind:     by_value
    .group_segment_fixed_size: 0
    .kernarg_segment_align: 8
    .kernarg_segment_size: 112
    .language:       OpenCL C
    .language_version:
      - 2
      - 0
    .max_flat_workgroup_size: 256
    .name:           _ZN7rocprim17ROCPRIM_400000_NS6detail17trampoline_kernelINS0_14default_configENS1_27scan_by_key_config_selectorIssEEZZNS1_16scan_by_key_implILNS1_25lookback_scan_determinismE0ELb1ES3_N6thrust23THRUST_200600_302600_NS6detail15normal_iteratorINS9_10device_ptrIsEEEESE_SE_sNS9_4plusIvEENS9_8equal_toIsEEsEE10hipError_tPvRmT2_T3_T4_T5_mT6_T7_P12ihipStream_tbENKUlT_T0_E_clISt17integral_constantIbLb1EESZ_EEDaSU_SV_EUlSU_E_NS1_11comp_targetILNS1_3genE3ELNS1_11target_archE908ELNS1_3gpuE7ELNS1_3repE0EEENS1_30default_config_static_selectorELNS0_4arch9wavefront6targetE0EEEvT1_
    .private_segment_fixed_size: 0
    .sgpr_count:     0
    .sgpr_spill_count: 0
    .symbol:         _ZN7rocprim17ROCPRIM_400000_NS6detail17trampoline_kernelINS0_14default_configENS1_27scan_by_key_config_selectorIssEEZZNS1_16scan_by_key_implILNS1_25lookback_scan_determinismE0ELb1ES3_N6thrust23THRUST_200600_302600_NS6detail15normal_iteratorINS9_10device_ptrIsEEEESE_SE_sNS9_4plusIvEENS9_8equal_toIsEEsEE10hipError_tPvRmT2_T3_T4_T5_mT6_T7_P12ihipStream_tbENKUlT_T0_E_clISt17integral_constantIbLb1EESZ_EEDaSU_SV_EUlSU_E_NS1_11comp_targetILNS1_3genE3ELNS1_11target_archE908ELNS1_3gpuE7ELNS1_3repE0EEENS1_30default_config_static_selectorELNS0_4arch9wavefront6targetE0EEEvT1_.kd
    .uniform_work_group_size: 1
    .uses_dynamic_stack: false
    .vgpr_count:     0
    .vgpr_spill_count: 0
    .wavefront_size: 32
  - .args:
      - .offset:         0
        .size:           112
        .value_kind:     by_value
    .group_segment_fixed_size: 0
    .kernarg_segment_align: 8
    .kernarg_segment_size: 112
    .language:       OpenCL C
    .language_version:
      - 2
      - 0
    .max_flat_workgroup_size: 64
    .name:           _ZN7rocprim17ROCPRIM_400000_NS6detail17trampoline_kernelINS0_14default_configENS1_27scan_by_key_config_selectorIssEEZZNS1_16scan_by_key_implILNS1_25lookback_scan_determinismE0ELb1ES3_N6thrust23THRUST_200600_302600_NS6detail15normal_iteratorINS9_10device_ptrIsEEEESE_SE_sNS9_4plusIvEENS9_8equal_toIsEEsEE10hipError_tPvRmT2_T3_T4_T5_mT6_T7_P12ihipStream_tbENKUlT_T0_E_clISt17integral_constantIbLb1EESZ_EEDaSU_SV_EUlSU_E_NS1_11comp_targetILNS1_3genE2ELNS1_11target_archE906ELNS1_3gpuE6ELNS1_3repE0EEENS1_30default_config_static_selectorELNS0_4arch9wavefront6targetE0EEEvT1_
    .private_segment_fixed_size: 0
    .sgpr_count:     0
    .sgpr_spill_count: 0
    .symbol:         _ZN7rocprim17ROCPRIM_400000_NS6detail17trampoline_kernelINS0_14default_configENS1_27scan_by_key_config_selectorIssEEZZNS1_16scan_by_key_implILNS1_25lookback_scan_determinismE0ELb1ES3_N6thrust23THRUST_200600_302600_NS6detail15normal_iteratorINS9_10device_ptrIsEEEESE_SE_sNS9_4plusIvEENS9_8equal_toIsEEsEE10hipError_tPvRmT2_T3_T4_T5_mT6_T7_P12ihipStream_tbENKUlT_T0_E_clISt17integral_constantIbLb1EESZ_EEDaSU_SV_EUlSU_E_NS1_11comp_targetILNS1_3genE2ELNS1_11target_archE906ELNS1_3gpuE6ELNS1_3repE0EEENS1_30default_config_static_selectorELNS0_4arch9wavefront6targetE0EEEvT1_.kd
    .uniform_work_group_size: 1
    .uses_dynamic_stack: false
    .vgpr_count:     0
    .vgpr_spill_count: 0
    .wavefront_size: 32
  - .args:
      - .offset:         0
        .size:           112
        .value_kind:     by_value
    .group_segment_fixed_size: 0
    .kernarg_segment_align: 8
    .kernarg_segment_size: 112
    .language:       OpenCL C
    .language_version:
      - 2
      - 0
    .max_flat_workgroup_size: 256
    .name:           _ZN7rocprim17ROCPRIM_400000_NS6detail17trampoline_kernelINS0_14default_configENS1_27scan_by_key_config_selectorIssEEZZNS1_16scan_by_key_implILNS1_25lookback_scan_determinismE0ELb1ES3_N6thrust23THRUST_200600_302600_NS6detail15normal_iteratorINS9_10device_ptrIsEEEESE_SE_sNS9_4plusIvEENS9_8equal_toIsEEsEE10hipError_tPvRmT2_T3_T4_T5_mT6_T7_P12ihipStream_tbENKUlT_T0_E_clISt17integral_constantIbLb1EESZ_EEDaSU_SV_EUlSU_E_NS1_11comp_targetILNS1_3genE10ELNS1_11target_archE1200ELNS1_3gpuE4ELNS1_3repE0EEENS1_30default_config_static_selectorELNS0_4arch9wavefront6targetE0EEEvT1_
    .private_segment_fixed_size: 0
    .sgpr_count:     0
    .sgpr_spill_count: 0
    .symbol:         _ZN7rocprim17ROCPRIM_400000_NS6detail17trampoline_kernelINS0_14default_configENS1_27scan_by_key_config_selectorIssEEZZNS1_16scan_by_key_implILNS1_25lookback_scan_determinismE0ELb1ES3_N6thrust23THRUST_200600_302600_NS6detail15normal_iteratorINS9_10device_ptrIsEEEESE_SE_sNS9_4plusIvEENS9_8equal_toIsEEsEE10hipError_tPvRmT2_T3_T4_T5_mT6_T7_P12ihipStream_tbENKUlT_T0_E_clISt17integral_constantIbLb1EESZ_EEDaSU_SV_EUlSU_E_NS1_11comp_targetILNS1_3genE10ELNS1_11target_archE1200ELNS1_3gpuE4ELNS1_3repE0EEENS1_30default_config_static_selectorELNS0_4arch9wavefront6targetE0EEEvT1_.kd
    .uniform_work_group_size: 1
    .uses_dynamic_stack: false
    .vgpr_count:     0
    .vgpr_spill_count: 0
    .wavefront_size: 32
  - .args:
      - .offset:         0
        .size:           112
        .value_kind:     by_value
    .group_segment_fixed_size: 0
    .kernarg_segment_align: 8
    .kernarg_segment_size: 112
    .language:       OpenCL C
    .language_version:
      - 2
      - 0
    .max_flat_workgroup_size: 256
    .name:           _ZN7rocprim17ROCPRIM_400000_NS6detail17trampoline_kernelINS0_14default_configENS1_27scan_by_key_config_selectorIssEEZZNS1_16scan_by_key_implILNS1_25lookback_scan_determinismE0ELb1ES3_N6thrust23THRUST_200600_302600_NS6detail15normal_iteratorINS9_10device_ptrIsEEEESE_SE_sNS9_4plusIvEENS9_8equal_toIsEEsEE10hipError_tPvRmT2_T3_T4_T5_mT6_T7_P12ihipStream_tbENKUlT_T0_E_clISt17integral_constantIbLb1EESZ_EEDaSU_SV_EUlSU_E_NS1_11comp_targetILNS1_3genE9ELNS1_11target_archE1100ELNS1_3gpuE3ELNS1_3repE0EEENS1_30default_config_static_selectorELNS0_4arch9wavefront6targetE0EEEvT1_
    .private_segment_fixed_size: 0
    .sgpr_count:     0
    .sgpr_spill_count: 0
    .symbol:         _ZN7rocprim17ROCPRIM_400000_NS6detail17trampoline_kernelINS0_14default_configENS1_27scan_by_key_config_selectorIssEEZZNS1_16scan_by_key_implILNS1_25lookback_scan_determinismE0ELb1ES3_N6thrust23THRUST_200600_302600_NS6detail15normal_iteratorINS9_10device_ptrIsEEEESE_SE_sNS9_4plusIvEENS9_8equal_toIsEEsEE10hipError_tPvRmT2_T3_T4_T5_mT6_T7_P12ihipStream_tbENKUlT_T0_E_clISt17integral_constantIbLb1EESZ_EEDaSU_SV_EUlSU_E_NS1_11comp_targetILNS1_3genE9ELNS1_11target_archE1100ELNS1_3gpuE3ELNS1_3repE0EEENS1_30default_config_static_selectorELNS0_4arch9wavefront6targetE0EEEvT1_.kd
    .uniform_work_group_size: 1
    .uses_dynamic_stack: false
    .vgpr_count:     0
    .vgpr_spill_count: 0
    .wavefront_size: 32
  - .args:
      - .offset:         0
        .size:           112
        .value_kind:     by_value
    .group_segment_fixed_size: 0
    .kernarg_segment_align: 8
    .kernarg_segment_size: 112
    .language:       OpenCL C
    .language_version:
      - 2
      - 0
    .max_flat_workgroup_size: 64
    .name:           _ZN7rocprim17ROCPRIM_400000_NS6detail17trampoline_kernelINS0_14default_configENS1_27scan_by_key_config_selectorIssEEZZNS1_16scan_by_key_implILNS1_25lookback_scan_determinismE0ELb1ES3_N6thrust23THRUST_200600_302600_NS6detail15normal_iteratorINS9_10device_ptrIsEEEESE_SE_sNS9_4plusIvEENS9_8equal_toIsEEsEE10hipError_tPvRmT2_T3_T4_T5_mT6_T7_P12ihipStream_tbENKUlT_T0_E_clISt17integral_constantIbLb1EESZ_EEDaSU_SV_EUlSU_E_NS1_11comp_targetILNS1_3genE8ELNS1_11target_archE1030ELNS1_3gpuE2ELNS1_3repE0EEENS1_30default_config_static_selectorELNS0_4arch9wavefront6targetE0EEEvT1_
    .private_segment_fixed_size: 0
    .sgpr_count:     0
    .sgpr_spill_count: 0
    .symbol:         _ZN7rocprim17ROCPRIM_400000_NS6detail17trampoline_kernelINS0_14default_configENS1_27scan_by_key_config_selectorIssEEZZNS1_16scan_by_key_implILNS1_25lookback_scan_determinismE0ELb1ES3_N6thrust23THRUST_200600_302600_NS6detail15normal_iteratorINS9_10device_ptrIsEEEESE_SE_sNS9_4plusIvEENS9_8equal_toIsEEsEE10hipError_tPvRmT2_T3_T4_T5_mT6_T7_P12ihipStream_tbENKUlT_T0_E_clISt17integral_constantIbLb1EESZ_EEDaSU_SV_EUlSU_E_NS1_11comp_targetILNS1_3genE8ELNS1_11target_archE1030ELNS1_3gpuE2ELNS1_3repE0EEENS1_30default_config_static_selectorELNS0_4arch9wavefront6targetE0EEEvT1_.kd
    .uniform_work_group_size: 1
    .uses_dynamic_stack: false
    .vgpr_count:     0
    .vgpr_spill_count: 0
    .wavefront_size: 32
  - .args:
      - .offset:         0
        .size:           112
        .value_kind:     by_value
    .group_segment_fixed_size: 0
    .kernarg_segment_align: 8
    .kernarg_segment_size: 112
    .language:       OpenCL C
    .language_version:
      - 2
      - 0
    .max_flat_workgroup_size: 256
    .name:           _ZN7rocprim17ROCPRIM_400000_NS6detail17trampoline_kernelINS0_14default_configENS1_27scan_by_key_config_selectorIssEEZZNS1_16scan_by_key_implILNS1_25lookback_scan_determinismE0ELb1ES3_N6thrust23THRUST_200600_302600_NS6detail15normal_iteratorINS9_10device_ptrIsEEEESE_SE_sNS9_4plusIvEENS9_8equal_toIsEEsEE10hipError_tPvRmT2_T3_T4_T5_mT6_T7_P12ihipStream_tbENKUlT_T0_E_clISt17integral_constantIbLb1EESY_IbLb0EEEEDaSU_SV_EUlSU_E_NS1_11comp_targetILNS1_3genE0ELNS1_11target_archE4294967295ELNS1_3gpuE0ELNS1_3repE0EEENS1_30default_config_static_selectorELNS0_4arch9wavefront6targetE0EEEvT1_
    .private_segment_fixed_size: 0
    .sgpr_count:     0
    .sgpr_spill_count: 0
    .symbol:         _ZN7rocprim17ROCPRIM_400000_NS6detail17trampoline_kernelINS0_14default_configENS1_27scan_by_key_config_selectorIssEEZZNS1_16scan_by_key_implILNS1_25lookback_scan_determinismE0ELb1ES3_N6thrust23THRUST_200600_302600_NS6detail15normal_iteratorINS9_10device_ptrIsEEEESE_SE_sNS9_4plusIvEENS9_8equal_toIsEEsEE10hipError_tPvRmT2_T3_T4_T5_mT6_T7_P12ihipStream_tbENKUlT_T0_E_clISt17integral_constantIbLb1EESY_IbLb0EEEEDaSU_SV_EUlSU_E_NS1_11comp_targetILNS1_3genE0ELNS1_11target_archE4294967295ELNS1_3gpuE0ELNS1_3repE0EEENS1_30default_config_static_selectorELNS0_4arch9wavefront6targetE0EEEvT1_.kd
    .uniform_work_group_size: 1
    .uses_dynamic_stack: false
    .vgpr_count:     0
    .vgpr_spill_count: 0
    .wavefront_size: 32
  - .args:
      - .offset:         0
        .size:           112
        .value_kind:     by_value
    .group_segment_fixed_size: 0
    .kernarg_segment_align: 8
    .kernarg_segment_size: 112
    .language:       OpenCL C
    .language_version:
      - 2
      - 0
    .max_flat_workgroup_size: 128
    .name:           _ZN7rocprim17ROCPRIM_400000_NS6detail17trampoline_kernelINS0_14default_configENS1_27scan_by_key_config_selectorIssEEZZNS1_16scan_by_key_implILNS1_25lookback_scan_determinismE0ELb1ES3_N6thrust23THRUST_200600_302600_NS6detail15normal_iteratorINS9_10device_ptrIsEEEESE_SE_sNS9_4plusIvEENS9_8equal_toIsEEsEE10hipError_tPvRmT2_T3_T4_T5_mT6_T7_P12ihipStream_tbENKUlT_T0_E_clISt17integral_constantIbLb1EESY_IbLb0EEEEDaSU_SV_EUlSU_E_NS1_11comp_targetILNS1_3genE10ELNS1_11target_archE1201ELNS1_3gpuE5ELNS1_3repE0EEENS1_30default_config_static_selectorELNS0_4arch9wavefront6targetE0EEEvT1_
    .private_segment_fixed_size: 0
    .sgpr_count:     0
    .sgpr_spill_count: 0
    .symbol:         _ZN7rocprim17ROCPRIM_400000_NS6detail17trampoline_kernelINS0_14default_configENS1_27scan_by_key_config_selectorIssEEZZNS1_16scan_by_key_implILNS1_25lookback_scan_determinismE0ELb1ES3_N6thrust23THRUST_200600_302600_NS6detail15normal_iteratorINS9_10device_ptrIsEEEESE_SE_sNS9_4plusIvEENS9_8equal_toIsEEsEE10hipError_tPvRmT2_T3_T4_T5_mT6_T7_P12ihipStream_tbENKUlT_T0_E_clISt17integral_constantIbLb1EESY_IbLb0EEEEDaSU_SV_EUlSU_E_NS1_11comp_targetILNS1_3genE10ELNS1_11target_archE1201ELNS1_3gpuE5ELNS1_3repE0EEENS1_30default_config_static_selectorELNS0_4arch9wavefront6targetE0EEEvT1_.kd
    .uniform_work_group_size: 1
    .uses_dynamic_stack: false
    .vgpr_count:     0
    .vgpr_spill_count: 0
    .wavefront_size: 32
  - .args:
      - .offset:         0
        .size:           112
        .value_kind:     by_value
    .group_segment_fixed_size: 0
    .kernarg_segment_align: 8
    .kernarg_segment_size: 112
    .language:       OpenCL C
    .language_version:
      - 2
      - 0
    .max_flat_workgroup_size: 256
    .name:           _ZN7rocprim17ROCPRIM_400000_NS6detail17trampoline_kernelINS0_14default_configENS1_27scan_by_key_config_selectorIssEEZZNS1_16scan_by_key_implILNS1_25lookback_scan_determinismE0ELb1ES3_N6thrust23THRUST_200600_302600_NS6detail15normal_iteratorINS9_10device_ptrIsEEEESE_SE_sNS9_4plusIvEENS9_8equal_toIsEEsEE10hipError_tPvRmT2_T3_T4_T5_mT6_T7_P12ihipStream_tbENKUlT_T0_E_clISt17integral_constantIbLb1EESY_IbLb0EEEEDaSU_SV_EUlSU_E_NS1_11comp_targetILNS1_3genE5ELNS1_11target_archE942ELNS1_3gpuE9ELNS1_3repE0EEENS1_30default_config_static_selectorELNS0_4arch9wavefront6targetE0EEEvT1_
    .private_segment_fixed_size: 0
    .sgpr_count:     0
    .sgpr_spill_count: 0
    .symbol:         _ZN7rocprim17ROCPRIM_400000_NS6detail17trampoline_kernelINS0_14default_configENS1_27scan_by_key_config_selectorIssEEZZNS1_16scan_by_key_implILNS1_25lookback_scan_determinismE0ELb1ES3_N6thrust23THRUST_200600_302600_NS6detail15normal_iteratorINS9_10device_ptrIsEEEESE_SE_sNS9_4plusIvEENS9_8equal_toIsEEsEE10hipError_tPvRmT2_T3_T4_T5_mT6_T7_P12ihipStream_tbENKUlT_T0_E_clISt17integral_constantIbLb1EESY_IbLb0EEEEDaSU_SV_EUlSU_E_NS1_11comp_targetILNS1_3genE5ELNS1_11target_archE942ELNS1_3gpuE9ELNS1_3repE0EEENS1_30default_config_static_selectorELNS0_4arch9wavefront6targetE0EEEvT1_.kd
    .uniform_work_group_size: 1
    .uses_dynamic_stack: false
    .vgpr_count:     0
    .vgpr_spill_count: 0
    .wavefront_size: 32
  - .args:
      - .offset:         0
        .size:           112
        .value_kind:     by_value
    .group_segment_fixed_size: 0
    .kernarg_segment_align: 8
    .kernarg_segment_size: 112
    .language:       OpenCL C
    .language_version:
      - 2
      - 0
    .max_flat_workgroup_size: 256
    .name:           _ZN7rocprim17ROCPRIM_400000_NS6detail17trampoline_kernelINS0_14default_configENS1_27scan_by_key_config_selectorIssEEZZNS1_16scan_by_key_implILNS1_25lookback_scan_determinismE0ELb1ES3_N6thrust23THRUST_200600_302600_NS6detail15normal_iteratorINS9_10device_ptrIsEEEESE_SE_sNS9_4plusIvEENS9_8equal_toIsEEsEE10hipError_tPvRmT2_T3_T4_T5_mT6_T7_P12ihipStream_tbENKUlT_T0_E_clISt17integral_constantIbLb1EESY_IbLb0EEEEDaSU_SV_EUlSU_E_NS1_11comp_targetILNS1_3genE4ELNS1_11target_archE910ELNS1_3gpuE8ELNS1_3repE0EEENS1_30default_config_static_selectorELNS0_4arch9wavefront6targetE0EEEvT1_
    .private_segment_fixed_size: 0
    .sgpr_count:     0
    .sgpr_spill_count: 0
    .symbol:         _ZN7rocprim17ROCPRIM_400000_NS6detail17trampoline_kernelINS0_14default_configENS1_27scan_by_key_config_selectorIssEEZZNS1_16scan_by_key_implILNS1_25lookback_scan_determinismE0ELb1ES3_N6thrust23THRUST_200600_302600_NS6detail15normal_iteratorINS9_10device_ptrIsEEEESE_SE_sNS9_4plusIvEENS9_8equal_toIsEEsEE10hipError_tPvRmT2_T3_T4_T5_mT6_T7_P12ihipStream_tbENKUlT_T0_E_clISt17integral_constantIbLb1EESY_IbLb0EEEEDaSU_SV_EUlSU_E_NS1_11comp_targetILNS1_3genE4ELNS1_11target_archE910ELNS1_3gpuE8ELNS1_3repE0EEENS1_30default_config_static_selectorELNS0_4arch9wavefront6targetE0EEEvT1_.kd
    .uniform_work_group_size: 1
    .uses_dynamic_stack: false
    .vgpr_count:     0
    .vgpr_spill_count: 0
    .wavefront_size: 32
  - .args:
      - .offset:         0
        .size:           112
        .value_kind:     by_value
    .group_segment_fixed_size: 0
    .kernarg_segment_align: 8
    .kernarg_segment_size: 112
    .language:       OpenCL C
    .language_version:
      - 2
      - 0
    .max_flat_workgroup_size: 256
    .name:           _ZN7rocprim17ROCPRIM_400000_NS6detail17trampoline_kernelINS0_14default_configENS1_27scan_by_key_config_selectorIssEEZZNS1_16scan_by_key_implILNS1_25lookback_scan_determinismE0ELb1ES3_N6thrust23THRUST_200600_302600_NS6detail15normal_iteratorINS9_10device_ptrIsEEEESE_SE_sNS9_4plusIvEENS9_8equal_toIsEEsEE10hipError_tPvRmT2_T3_T4_T5_mT6_T7_P12ihipStream_tbENKUlT_T0_E_clISt17integral_constantIbLb1EESY_IbLb0EEEEDaSU_SV_EUlSU_E_NS1_11comp_targetILNS1_3genE3ELNS1_11target_archE908ELNS1_3gpuE7ELNS1_3repE0EEENS1_30default_config_static_selectorELNS0_4arch9wavefront6targetE0EEEvT1_
    .private_segment_fixed_size: 0
    .sgpr_count:     0
    .sgpr_spill_count: 0
    .symbol:         _ZN7rocprim17ROCPRIM_400000_NS6detail17trampoline_kernelINS0_14default_configENS1_27scan_by_key_config_selectorIssEEZZNS1_16scan_by_key_implILNS1_25lookback_scan_determinismE0ELb1ES3_N6thrust23THRUST_200600_302600_NS6detail15normal_iteratorINS9_10device_ptrIsEEEESE_SE_sNS9_4plusIvEENS9_8equal_toIsEEsEE10hipError_tPvRmT2_T3_T4_T5_mT6_T7_P12ihipStream_tbENKUlT_T0_E_clISt17integral_constantIbLb1EESY_IbLb0EEEEDaSU_SV_EUlSU_E_NS1_11comp_targetILNS1_3genE3ELNS1_11target_archE908ELNS1_3gpuE7ELNS1_3repE0EEENS1_30default_config_static_selectorELNS0_4arch9wavefront6targetE0EEEvT1_.kd
    .uniform_work_group_size: 1
    .uses_dynamic_stack: false
    .vgpr_count:     0
    .vgpr_spill_count: 0
    .wavefront_size: 32
  - .args:
      - .offset:         0
        .size:           112
        .value_kind:     by_value
    .group_segment_fixed_size: 0
    .kernarg_segment_align: 8
    .kernarg_segment_size: 112
    .language:       OpenCL C
    .language_version:
      - 2
      - 0
    .max_flat_workgroup_size: 64
    .name:           _ZN7rocprim17ROCPRIM_400000_NS6detail17trampoline_kernelINS0_14default_configENS1_27scan_by_key_config_selectorIssEEZZNS1_16scan_by_key_implILNS1_25lookback_scan_determinismE0ELb1ES3_N6thrust23THRUST_200600_302600_NS6detail15normal_iteratorINS9_10device_ptrIsEEEESE_SE_sNS9_4plusIvEENS9_8equal_toIsEEsEE10hipError_tPvRmT2_T3_T4_T5_mT6_T7_P12ihipStream_tbENKUlT_T0_E_clISt17integral_constantIbLb1EESY_IbLb0EEEEDaSU_SV_EUlSU_E_NS1_11comp_targetILNS1_3genE2ELNS1_11target_archE906ELNS1_3gpuE6ELNS1_3repE0EEENS1_30default_config_static_selectorELNS0_4arch9wavefront6targetE0EEEvT1_
    .private_segment_fixed_size: 0
    .sgpr_count:     0
    .sgpr_spill_count: 0
    .symbol:         _ZN7rocprim17ROCPRIM_400000_NS6detail17trampoline_kernelINS0_14default_configENS1_27scan_by_key_config_selectorIssEEZZNS1_16scan_by_key_implILNS1_25lookback_scan_determinismE0ELb1ES3_N6thrust23THRUST_200600_302600_NS6detail15normal_iteratorINS9_10device_ptrIsEEEESE_SE_sNS9_4plusIvEENS9_8equal_toIsEEsEE10hipError_tPvRmT2_T3_T4_T5_mT6_T7_P12ihipStream_tbENKUlT_T0_E_clISt17integral_constantIbLb1EESY_IbLb0EEEEDaSU_SV_EUlSU_E_NS1_11comp_targetILNS1_3genE2ELNS1_11target_archE906ELNS1_3gpuE6ELNS1_3repE0EEENS1_30default_config_static_selectorELNS0_4arch9wavefront6targetE0EEEvT1_.kd
    .uniform_work_group_size: 1
    .uses_dynamic_stack: false
    .vgpr_count:     0
    .vgpr_spill_count: 0
    .wavefront_size: 32
  - .args:
      - .offset:         0
        .size:           112
        .value_kind:     by_value
    .group_segment_fixed_size: 0
    .kernarg_segment_align: 8
    .kernarg_segment_size: 112
    .language:       OpenCL C
    .language_version:
      - 2
      - 0
    .max_flat_workgroup_size: 256
    .name:           _ZN7rocprim17ROCPRIM_400000_NS6detail17trampoline_kernelINS0_14default_configENS1_27scan_by_key_config_selectorIssEEZZNS1_16scan_by_key_implILNS1_25lookback_scan_determinismE0ELb1ES3_N6thrust23THRUST_200600_302600_NS6detail15normal_iteratorINS9_10device_ptrIsEEEESE_SE_sNS9_4plusIvEENS9_8equal_toIsEEsEE10hipError_tPvRmT2_T3_T4_T5_mT6_T7_P12ihipStream_tbENKUlT_T0_E_clISt17integral_constantIbLb1EESY_IbLb0EEEEDaSU_SV_EUlSU_E_NS1_11comp_targetILNS1_3genE10ELNS1_11target_archE1200ELNS1_3gpuE4ELNS1_3repE0EEENS1_30default_config_static_selectorELNS0_4arch9wavefront6targetE0EEEvT1_
    .private_segment_fixed_size: 0
    .sgpr_count:     0
    .sgpr_spill_count: 0
    .symbol:         _ZN7rocprim17ROCPRIM_400000_NS6detail17trampoline_kernelINS0_14default_configENS1_27scan_by_key_config_selectorIssEEZZNS1_16scan_by_key_implILNS1_25lookback_scan_determinismE0ELb1ES3_N6thrust23THRUST_200600_302600_NS6detail15normal_iteratorINS9_10device_ptrIsEEEESE_SE_sNS9_4plusIvEENS9_8equal_toIsEEsEE10hipError_tPvRmT2_T3_T4_T5_mT6_T7_P12ihipStream_tbENKUlT_T0_E_clISt17integral_constantIbLb1EESY_IbLb0EEEEDaSU_SV_EUlSU_E_NS1_11comp_targetILNS1_3genE10ELNS1_11target_archE1200ELNS1_3gpuE4ELNS1_3repE0EEENS1_30default_config_static_selectorELNS0_4arch9wavefront6targetE0EEEvT1_.kd
    .uniform_work_group_size: 1
    .uses_dynamic_stack: false
    .vgpr_count:     0
    .vgpr_spill_count: 0
    .wavefront_size: 32
  - .args:
      - .offset:         0
        .size:           112
        .value_kind:     by_value
    .group_segment_fixed_size: 0
    .kernarg_segment_align: 8
    .kernarg_segment_size: 112
    .language:       OpenCL C
    .language_version:
      - 2
      - 0
    .max_flat_workgroup_size: 256
    .name:           _ZN7rocprim17ROCPRIM_400000_NS6detail17trampoline_kernelINS0_14default_configENS1_27scan_by_key_config_selectorIssEEZZNS1_16scan_by_key_implILNS1_25lookback_scan_determinismE0ELb1ES3_N6thrust23THRUST_200600_302600_NS6detail15normal_iteratorINS9_10device_ptrIsEEEESE_SE_sNS9_4plusIvEENS9_8equal_toIsEEsEE10hipError_tPvRmT2_T3_T4_T5_mT6_T7_P12ihipStream_tbENKUlT_T0_E_clISt17integral_constantIbLb1EESY_IbLb0EEEEDaSU_SV_EUlSU_E_NS1_11comp_targetILNS1_3genE9ELNS1_11target_archE1100ELNS1_3gpuE3ELNS1_3repE0EEENS1_30default_config_static_selectorELNS0_4arch9wavefront6targetE0EEEvT1_
    .private_segment_fixed_size: 0
    .sgpr_count:     0
    .sgpr_spill_count: 0
    .symbol:         _ZN7rocprim17ROCPRIM_400000_NS6detail17trampoline_kernelINS0_14default_configENS1_27scan_by_key_config_selectorIssEEZZNS1_16scan_by_key_implILNS1_25lookback_scan_determinismE0ELb1ES3_N6thrust23THRUST_200600_302600_NS6detail15normal_iteratorINS9_10device_ptrIsEEEESE_SE_sNS9_4plusIvEENS9_8equal_toIsEEsEE10hipError_tPvRmT2_T3_T4_T5_mT6_T7_P12ihipStream_tbENKUlT_T0_E_clISt17integral_constantIbLb1EESY_IbLb0EEEEDaSU_SV_EUlSU_E_NS1_11comp_targetILNS1_3genE9ELNS1_11target_archE1100ELNS1_3gpuE3ELNS1_3repE0EEENS1_30default_config_static_selectorELNS0_4arch9wavefront6targetE0EEEvT1_.kd
    .uniform_work_group_size: 1
    .uses_dynamic_stack: false
    .vgpr_count:     0
    .vgpr_spill_count: 0
    .wavefront_size: 32
  - .args:
      - .offset:         0
        .size:           112
        .value_kind:     by_value
    .group_segment_fixed_size: 0
    .kernarg_segment_align: 8
    .kernarg_segment_size: 112
    .language:       OpenCL C
    .language_version:
      - 2
      - 0
    .max_flat_workgroup_size: 64
    .name:           _ZN7rocprim17ROCPRIM_400000_NS6detail17trampoline_kernelINS0_14default_configENS1_27scan_by_key_config_selectorIssEEZZNS1_16scan_by_key_implILNS1_25lookback_scan_determinismE0ELb1ES3_N6thrust23THRUST_200600_302600_NS6detail15normal_iteratorINS9_10device_ptrIsEEEESE_SE_sNS9_4plusIvEENS9_8equal_toIsEEsEE10hipError_tPvRmT2_T3_T4_T5_mT6_T7_P12ihipStream_tbENKUlT_T0_E_clISt17integral_constantIbLb1EESY_IbLb0EEEEDaSU_SV_EUlSU_E_NS1_11comp_targetILNS1_3genE8ELNS1_11target_archE1030ELNS1_3gpuE2ELNS1_3repE0EEENS1_30default_config_static_selectorELNS0_4arch9wavefront6targetE0EEEvT1_
    .private_segment_fixed_size: 0
    .sgpr_count:     0
    .sgpr_spill_count: 0
    .symbol:         _ZN7rocprim17ROCPRIM_400000_NS6detail17trampoline_kernelINS0_14default_configENS1_27scan_by_key_config_selectorIssEEZZNS1_16scan_by_key_implILNS1_25lookback_scan_determinismE0ELb1ES3_N6thrust23THRUST_200600_302600_NS6detail15normal_iteratorINS9_10device_ptrIsEEEESE_SE_sNS9_4plusIvEENS9_8equal_toIsEEsEE10hipError_tPvRmT2_T3_T4_T5_mT6_T7_P12ihipStream_tbENKUlT_T0_E_clISt17integral_constantIbLb1EESY_IbLb0EEEEDaSU_SV_EUlSU_E_NS1_11comp_targetILNS1_3genE8ELNS1_11target_archE1030ELNS1_3gpuE2ELNS1_3repE0EEENS1_30default_config_static_selectorELNS0_4arch9wavefront6targetE0EEEvT1_.kd
    .uniform_work_group_size: 1
    .uses_dynamic_stack: false
    .vgpr_count:     0
    .vgpr_spill_count: 0
    .wavefront_size: 32
  - .args:
      - .offset:         0
        .size:           112
        .value_kind:     by_value
    .group_segment_fixed_size: 11264
    .kernarg_segment_align: 8
    .kernarg_segment_size: 112
    .language:       OpenCL C
    .language_version:
      - 2
      - 0
    .max_flat_workgroup_size: 256
    .name:           _ZN7rocprim17ROCPRIM_400000_NS6detail17trampoline_kernelINS0_14default_configENS1_27scan_by_key_config_selectorIssEEZZNS1_16scan_by_key_implILNS1_25lookback_scan_determinismE0ELb1ES3_N6thrust23THRUST_200600_302600_NS6detail15normal_iteratorINS9_10device_ptrIsEEEESE_SE_sNS9_4plusIvEENS9_8equal_toIsEEsEE10hipError_tPvRmT2_T3_T4_T5_mT6_T7_P12ihipStream_tbENKUlT_T0_E_clISt17integral_constantIbLb0EESY_IbLb1EEEEDaSU_SV_EUlSU_E_NS1_11comp_targetILNS1_3genE0ELNS1_11target_archE4294967295ELNS1_3gpuE0ELNS1_3repE0EEENS1_30default_config_static_selectorELNS0_4arch9wavefront6targetE0EEEvT1_
    .private_segment_fixed_size: 0
    .sgpr_count:     48
    .sgpr_spill_count: 0
    .symbol:         _ZN7rocprim17ROCPRIM_400000_NS6detail17trampoline_kernelINS0_14default_configENS1_27scan_by_key_config_selectorIssEEZZNS1_16scan_by_key_implILNS1_25lookback_scan_determinismE0ELb1ES3_N6thrust23THRUST_200600_302600_NS6detail15normal_iteratorINS9_10device_ptrIsEEEESE_SE_sNS9_4plusIvEENS9_8equal_toIsEEsEE10hipError_tPvRmT2_T3_T4_T5_mT6_T7_P12ihipStream_tbENKUlT_T0_E_clISt17integral_constantIbLb0EESY_IbLb1EEEEDaSU_SV_EUlSU_E_NS1_11comp_targetILNS1_3genE0ELNS1_11target_archE4294967295ELNS1_3gpuE0ELNS1_3repE0EEENS1_30default_config_static_selectorELNS0_4arch9wavefront6targetE0EEEvT1_.kd
    .uniform_work_group_size: 1
    .uses_dynamic_stack: false
    .vgpr_count:     57
    .vgpr_spill_count: 0
    .wavefront_size: 32
  - .args:
      - .offset:         0
        .size:           112
        .value_kind:     by_value
    .group_segment_fixed_size: 0
    .kernarg_segment_align: 8
    .kernarg_segment_size: 112
    .language:       OpenCL C
    .language_version:
      - 2
      - 0
    .max_flat_workgroup_size: 128
    .name:           _ZN7rocprim17ROCPRIM_400000_NS6detail17trampoline_kernelINS0_14default_configENS1_27scan_by_key_config_selectorIssEEZZNS1_16scan_by_key_implILNS1_25lookback_scan_determinismE0ELb1ES3_N6thrust23THRUST_200600_302600_NS6detail15normal_iteratorINS9_10device_ptrIsEEEESE_SE_sNS9_4plusIvEENS9_8equal_toIsEEsEE10hipError_tPvRmT2_T3_T4_T5_mT6_T7_P12ihipStream_tbENKUlT_T0_E_clISt17integral_constantIbLb0EESY_IbLb1EEEEDaSU_SV_EUlSU_E_NS1_11comp_targetILNS1_3genE10ELNS1_11target_archE1201ELNS1_3gpuE5ELNS1_3repE0EEENS1_30default_config_static_selectorELNS0_4arch9wavefront6targetE0EEEvT1_
    .private_segment_fixed_size: 0
    .sgpr_count:     0
    .sgpr_spill_count: 0
    .symbol:         _ZN7rocprim17ROCPRIM_400000_NS6detail17trampoline_kernelINS0_14default_configENS1_27scan_by_key_config_selectorIssEEZZNS1_16scan_by_key_implILNS1_25lookback_scan_determinismE0ELb1ES3_N6thrust23THRUST_200600_302600_NS6detail15normal_iteratorINS9_10device_ptrIsEEEESE_SE_sNS9_4plusIvEENS9_8equal_toIsEEsEE10hipError_tPvRmT2_T3_T4_T5_mT6_T7_P12ihipStream_tbENKUlT_T0_E_clISt17integral_constantIbLb0EESY_IbLb1EEEEDaSU_SV_EUlSU_E_NS1_11comp_targetILNS1_3genE10ELNS1_11target_archE1201ELNS1_3gpuE5ELNS1_3repE0EEENS1_30default_config_static_selectorELNS0_4arch9wavefront6targetE0EEEvT1_.kd
    .uniform_work_group_size: 1
    .uses_dynamic_stack: false
    .vgpr_count:     0
    .vgpr_spill_count: 0
    .wavefront_size: 32
  - .args:
      - .offset:         0
        .size:           112
        .value_kind:     by_value
    .group_segment_fixed_size: 0
    .kernarg_segment_align: 8
    .kernarg_segment_size: 112
    .language:       OpenCL C
    .language_version:
      - 2
      - 0
    .max_flat_workgroup_size: 256
    .name:           _ZN7rocprim17ROCPRIM_400000_NS6detail17trampoline_kernelINS0_14default_configENS1_27scan_by_key_config_selectorIssEEZZNS1_16scan_by_key_implILNS1_25lookback_scan_determinismE0ELb1ES3_N6thrust23THRUST_200600_302600_NS6detail15normal_iteratorINS9_10device_ptrIsEEEESE_SE_sNS9_4plusIvEENS9_8equal_toIsEEsEE10hipError_tPvRmT2_T3_T4_T5_mT6_T7_P12ihipStream_tbENKUlT_T0_E_clISt17integral_constantIbLb0EESY_IbLb1EEEEDaSU_SV_EUlSU_E_NS1_11comp_targetILNS1_3genE5ELNS1_11target_archE942ELNS1_3gpuE9ELNS1_3repE0EEENS1_30default_config_static_selectorELNS0_4arch9wavefront6targetE0EEEvT1_
    .private_segment_fixed_size: 0
    .sgpr_count:     0
    .sgpr_spill_count: 0
    .symbol:         _ZN7rocprim17ROCPRIM_400000_NS6detail17trampoline_kernelINS0_14default_configENS1_27scan_by_key_config_selectorIssEEZZNS1_16scan_by_key_implILNS1_25lookback_scan_determinismE0ELb1ES3_N6thrust23THRUST_200600_302600_NS6detail15normal_iteratorINS9_10device_ptrIsEEEESE_SE_sNS9_4plusIvEENS9_8equal_toIsEEsEE10hipError_tPvRmT2_T3_T4_T5_mT6_T7_P12ihipStream_tbENKUlT_T0_E_clISt17integral_constantIbLb0EESY_IbLb1EEEEDaSU_SV_EUlSU_E_NS1_11comp_targetILNS1_3genE5ELNS1_11target_archE942ELNS1_3gpuE9ELNS1_3repE0EEENS1_30default_config_static_selectorELNS0_4arch9wavefront6targetE0EEEvT1_.kd
    .uniform_work_group_size: 1
    .uses_dynamic_stack: false
    .vgpr_count:     0
    .vgpr_spill_count: 0
    .wavefront_size: 32
  - .args:
      - .offset:         0
        .size:           112
        .value_kind:     by_value
    .group_segment_fixed_size: 0
    .kernarg_segment_align: 8
    .kernarg_segment_size: 112
    .language:       OpenCL C
    .language_version:
      - 2
      - 0
    .max_flat_workgroup_size: 256
    .name:           _ZN7rocprim17ROCPRIM_400000_NS6detail17trampoline_kernelINS0_14default_configENS1_27scan_by_key_config_selectorIssEEZZNS1_16scan_by_key_implILNS1_25lookback_scan_determinismE0ELb1ES3_N6thrust23THRUST_200600_302600_NS6detail15normal_iteratorINS9_10device_ptrIsEEEESE_SE_sNS9_4plusIvEENS9_8equal_toIsEEsEE10hipError_tPvRmT2_T3_T4_T5_mT6_T7_P12ihipStream_tbENKUlT_T0_E_clISt17integral_constantIbLb0EESY_IbLb1EEEEDaSU_SV_EUlSU_E_NS1_11comp_targetILNS1_3genE4ELNS1_11target_archE910ELNS1_3gpuE8ELNS1_3repE0EEENS1_30default_config_static_selectorELNS0_4arch9wavefront6targetE0EEEvT1_
    .private_segment_fixed_size: 0
    .sgpr_count:     0
    .sgpr_spill_count: 0
    .symbol:         _ZN7rocprim17ROCPRIM_400000_NS6detail17trampoline_kernelINS0_14default_configENS1_27scan_by_key_config_selectorIssEEZZNS1_16scan_by_key_implILNS1_25lookback_scan_determinismE0ELb1ES3_N6thrust23THRUST_200600_302600_NS6detail15normal_iteratorINS9_10device_ptrIsEEEESE_SE_sNS9_4plusIvEENS9_8equal_toIsEEsEE10hipError_tPvRmT2_T3_T4_T5_mT6_T7_P12ihipStream_tbENKUlT_T0_E_clISt17integral_constantIbLb0EESY_IbLb1EEEEDaSU_SV_EUlSU_E_NS1_11comp_targetILNS1_3genE4ELNS1_11target_archE910ELNS1_3gpuE8ELNS1_3repE0EEENS1_30default_config_static_selectorELNS0_4arch9wavefront6targetE0EEEvT1_.kd
    .uniform_work_group_size: 1
    .uses_dynamic_stack: false
    .vgpr_count:     0
    .vgpr_spill_count: 0
    .wavefront_size: 32
  - .args:
      - .offset:         0
        .size:           112
        .value_kind:     by_value
    .group_segment_fixed_size: 0
    .kernarg_segment_align: 8
    .kernarg_segment_size: 112
    .language:       OpenCL C
    .language_version:
      - 2
      - 0
    .max_flat_workgroup_size: 256
    .name:           _ZN7rocprim17ROCPRIM_400000_NS6detail17trampoline_kernelINS0_14default_configENS1_27scan_by_key_config_selectorIssEEZZNS1_16scan_by_key_implILNS1_25lookback_scan_determinismE0ELb1ES3_N6thrust23THRUST_200600_302600_NS6detail15normal_iteratorINS9_10device_ptrIsEEEESE_SE_sNS9_4plusIvEENS9_8equal_toIsEEsEE10hipError_tPvRmT2_T3_T4_T5_mT6_T7_P12ihipStream_tbENKUlT_T0_E_clISt17integral_constantIbLb0EESY_IbLb1EEEEDaSU_SV_EUlSU_E_NS1_11comp_targetILNS1_3genE3ELNS1_11target_archE908ELNS1_3gpuE7ELNS1_3repE0EEENS1_30default_config_static_selectorELNS0_4arch9wavefront6targetE0EEEvT1_
    .private_segment_fixed_size: 0
    .sgpr_count:     0
    .sgpr_spill_count: 0
    .symbol:         _ZN7rocprim17ROCPRIM_400000_NS6detail17trampoline_kernelINS0_14default_configENS1_27scan_by_key_config_selectorIssEEZZNS1_16scan_by_key_implILNS1_25lookback_scan_determinismE0ELb1ES3_N6thrust23THRUST_200600_302600_NS6detail15normal_iteratorINS9_10device_ptrIsEEEESE_SE_sNS9_4plusIvEENS9_8equal_toIsEEsEE10hipError_tPvRmT2_T3_T4_T5_mT6_T7_P12ihipStream_tbENKUlT_T0_E_clISt17integral_constantIbLb0EESY_IbLb1EEEEDaSU_SV_EUlSU_E_NS1_11comp_targetILNS1_3genE3ELNS1_11target_archE908ELNS1_3gpuE7ELNS1_3repE0EEENS1_30default_config_static_selectorELNS0_4arch9wavefront6targetE0EEEvT1_.kd
    .uniform_work_group_size: 1
    .uses_dynamic_stack: false
    .vgpr_count:     0
    .vgpr_spill_count: 0
    .wavefront_size: 32
  - .args:
      - .offset:         0
        .size:           112
        .value_kind:     by_value
    .group_segment_fixed_size: 0
    .kernarg_segment_align: 8
    .kernarg_segment_size: 112
    .language:       OpenCL C
    .language_version:
      - 2
      - 0
    .max_flat_workgroup_size: 64
    .name:           _ZN7rocprim17ROCPRIM_400000_NS6detail17trampoline_kernelINS0_14default_configENS1_27scan_by_key_config_selectorIssEEZZNS1_16scan_by_key_implILNS1_25lookback_scan_determinismE0ELb1ES3_N6thrust23THRUST_200600_302600_NS6detail15normal_iteratorINS9_10device_ptrIsEEEESE_SE_sNS9_4plusIvEENS9_8equal_toIsEEsEE10hipError_tPvRmT2_T3_T4_T5_mT6_T7_P12ihipStream_tbENKUlT_T0_E_clISt17integral_constantIbLb0EESY_IbLb1EEEEDaSU_SV_EUlSU_E_NS1_11comp_targetILNS1_3genE2ELNS1_11target_archE906ELNS1_3gpuE6ELNS1_3repE0EEENS1_30default_config_static_selectorELNS0_4arch9wavefront6targetE0EEEvT1_
    .private_segment_fixed_size: 0
    .sgpr_count:     0
    .sgpr_spill_count: 0
    .symbol:         _ZN7rocprim17ROCPRIM_400000_NS6detail17trampoline_kernelINS0_14default_configENS1_27scan_by_key_config_selectorIssEEZZNS1_16scan_by_key_implILNS1_25lookback_scan_determinismE0ELb1ES3_N6thrust23THRUST_200600_302600_NS6detail15normal_iteratorINS9_10device_ptrIsEEEESE_SE_sNS9_4plusIvEENS9_8equal_toIsEEsEE10hipError_tPvRmT2_T3_T4_T5_mT6_T7_P12ihipStream_tbENKUlT_T0_E_clISt17integral_constantIbLb0EESY_IbLb1EEEEDaSU_SV_EUlSU_E_NS1_11comp_targetILNS1_3genE2ELNS1_11target_archE906ELNS1_3gpuE6ELNS1_3repE0EEENS1_30default_config_static_selectorELNS0_4arch9wavefront6targetE0EEEvT1_.kd
    .uniform_work_group_size: 1
    .uses_dynamic_stack: false
    .vgpr_count:     0
    .vgpr_spill_count: 0
    .wavefront_size: 32
  - .args:
      - .offset:         0
        .size:           112
        .value_kind:     by_value
    .group_segment_fixed_size: 0
    .kernarg_segment_align: 8
    .kernarg_segment_size: 112
    .language:       OpenCL C
    .language_version:
      - 2
      - 0
    .max_flat_workgroup_size: 256
    .name:           _ZN7rocprim17ROCPRIM_400000_NS6detail17trampoline_kernelINS0_14default_configENS1_27scan_by_key_config_selectorIssEEZZNS1_16scan_by_key_implILNS1_25lookback_scan_determinismE0ELb1ES3_N6thrust23THRUST_200600_302600_NS6detail15normal_iteratorINS9_10device_ptrIsEEEESE_SE_sNS9_4plusIvEENS9_8equal_toIsEEsEE10hipError_tPvRmT2_T3_T4_T5_mT6_T7_P12ihipStream_tbENKUlT_T0_E_clISt17integral_constantIbLb0EESY_IbLb1EEEEDaSU_SV_EUlSU_E_NS1_11comp_targetILNS1_3genE10ELNS1_11target_archE1200ELNS1_3gpuE4ELNS1_3repE0EEENS1_30default_config_static_selectorELNS0_4arch9wavefront6targetE0EEEvT1_
    .private_segment_fixed_size: 0
    .sgpr_count:     0
    .sgpr_spill_count: 0
    .symbol:         _ZN7rocprim17ROCPRIM_400000_NS6detail17trampoline_kernelINS0_14default_configENS1_27scan_by_key_config_selectorIssEEZZNS1_16scan_by_key_implILNS1_25lookback_scan_determinismE0ELb1ES3_N6thrust23THRUST_200600_302600_NS6detail15normal_iteratorINS9_10device_ptrIsEEEESE_SE_sNS9_4plusIvEENS9_8equal_toIsEEsEE10hipError_tPvRmT2_T3_T4_T5_mT6_T7_P12ihipStream_tbENKUlT_T0_E_clISt17integral_constantIbLb0EESY_IbLb1EEEEDaSU_SV_EUlSU_E_NS1_11comp_targetILNS1_3genE10ELNS1_11target_archE1200ELNS1_3gpuE4ELNS1_3repE0EEENS1_30default_config_static_selectorELNS0_4arch9wavefront6targetE0EEEvT1_.kd
    .uniform_work_group_size: 1
    .uses_dynamic_stack: false
    .vgpr_count:     0
    .vgpr_spill_count: 0
    .wavefront_size: 32
  - .args:
      - .offset:         0
        .size:           112
        .value_kind:     by_value
    .group_segment_fixed_size: 0
    .kernarg_segment_align: 8
    .kernarg_segment_size: 112
    .language:       OpenCL C
    .language_version:
      - 2
      - 0
    .max_flat_workgroup_size: 256
    .name:           _ZN7rocprim17ROCPRIM_400000_NS6detail17trampoline_kernelINS0_14default_configENS1_27scan_by_key_config_selectorIssEEZZNS1_16scan_by_key_implILNS1_25lookback_scan_determinismE0ELb1ES3_N6thrust23THRUST_200600_302600_NS6detail15normal_iteratorINS9_10device_ptrIsEEEESE_SE_sNS9_4plusIvEENS9_8equal_toIsEEsEE10hipError_tPvRmT2_T3_T4_T5_mT6_T7_P12ihipStream_tbENKUlT_T0_E_clISt17integral_constantIbLb0EESY_IbLb1EEEEDaSU_SV_EUlSU_E_NS1_11comp_targetILNS1_3genE9ELNS1_11target_archE1100ELNS1_3gpuE3ELNS1_3repE0EEENS1_30default_config_static_selectorELNS0_4arch9wavefront6targetE0EEEvT1_
    .private_segment_fixed_size: 0
    .sgpr_count:     0
    .sgpr_spill_count: 0
    .symbol:         _ZN7rocprim17ROCPRIM_400000_NS6detail17trampoline_kernelINS0_14default_configENS1_27scan_by_key_config_selectorIssEEZZNS1_16scan_by_key_implILNS1_25lookback_scan_determinismE0ELb1ES3_N6thrust23THRUST_200600_302600_NS6detail15normal_iteratorINS9_10device_ptrIsEEEESE_SE_sNS9_4plusIvEENS9_8equal_toIsEEsEE10hipError_tPvRmT2_T3_T4_T5_mT6_T7_P12ihipStream_tbENKUlT_T0_E_clISt17integral_constantIbLb0EESY_IbLb1EEEEDaSU_SV_EUlSU_E_NS1_11comp_targetILNS1_3genE9ELNS1_11target_archE1100ELNS1_3gpuE3ELNS1_3repE0EEENS1_30default_config_static_selectorELNS0_4arch9wavefront6targetE0EEEvT1_.kd
    .uniform_work_group_size: 1
    .uses_dynamic_stack: false
    .vgpr_count:     0
    .vgpr_spill_count: 0
    .wavefront_size: 32
  - .args:
      - .offset:         0
        .size:           112
        .value_kind:     by_value
    .group_segment_fixed_size: 0
    .kernarg_segment_align: 8
    .kernarg_segment_size: 112
    .language:       OpenCL C
    .language_version:
      - 2
      - 0
    .max_flat_workgroup_size: 64
    .name:           _ZN7rocprim17ROCPRIM_400000_NS6detail17trampoline_kernelINS0_14default_configENS1_27scan_by_key_config_selectorIssEEZZNS1_16scan_by_key_implILNS1_25lookback_scan_determinismE0ELb1ES3_N6thrust23THRUST_200600_302600_NS6detail15normal_iteratorINS9_10device_ptrIsEEEESE_SE_sNS9_4plusIvEENS9_8equal_toIsEEsEE10hipError_tPvRmT2_T3_T4_T5_mT6_T7_P12ihipStream_tbENKUlT_T0_E_clISt17integral_constantIbLb0EESY_IbLb1EEEEDaSU_SV_EUlSU_E_NS1_11comp_targetILNS1_3genE8ELNS1_11target_archE1030ELNS1_3gpuE2ELNS1_3repE0EEENS1_30default_config_static_selectorELNS0_4arch9wavefront6targetE0EEEvT1_
    .private_segment_fixed_size: 0
    .sgpr_count:     0
    .sgpr_spill_count: 0
    .symbol:         _ZN7rocprim17ROCPRIM_400000_NS6detail17trampoline_kernelINS0_14default_configENS1_27scan_by_key_config_selectorIssEEZZNS1_16scan_by_key_implILNS1_25lookback_scan_determinismE0ELb1ES3_N6thrust23THRUST_200600_302600_NS6detail15normal_iteratorINS9_10device_ptrIsEEEESE_SE_sNS9_4plusIvEENS9_8equal_toIsEEsEE10hipError_tPvRmT2_T3_T4_T5_mT6_T7_P12ihipStream_tbENKUlT_T0_E_clISt17integral_constantIbLb0EESY_IbLb1EEEEDaSU_SV_EUlSU_E_NS1_11comp_targetILNS1_3genE8ELNS1_11target_archE1030ELNS1_3gpuE2ELNS1_3repE0EEENS1_30default_config_static_selectorELNS0_4arch9wavefront6targetE0EEEvT1_.kd
    .uniform_work_group_size: 1
    .uses_dynamic_stack: false
    .vgpr_count:     0
    .vgpr_spill_count: 0
    .wavefront_size: 32
  - .args:
      - .offset:         0
        .size:           136
        .value_kind:     by_value
    .group_segment_fixed_size: 32768
    .kernarg_segment_align: 8
    .kernarg_segment_size: 136
    .language:       OpenCL C
    .language_version:
      - 2
      - 0
    .max_flat_workgroup_size: 256
    .name:           _ZN7rocprim17ROCPRIM_400000_NS6detail17trampoline_kernelINS0_14default_configENS1_27scan_by_key_config_selectorIxxEEZZNS1_16scan_by_key_implILNS1_25lookback_scan_determinismE0ELb0ES3_N6thrust23THRUST_200600_302600_NS6detail15normal_iteratorINS9_10device_ptrIxEEEESE_SE_xNS9_4plusIxEE19head_flag_predicatexEE10hipError_tPvRmT2_T3_T4_T5_mT6_T7_P12ihipStream_tbENKUlT_T0_E_clISt17integral_constantIbLb0EESY_EEDaST_SU_EUlST_E_NS1_11comp_targetILNS1_3genE0ELNS1_11target_archE4294967295ELNS1_3gpuE0ELNS1_3repE0EEENS1_30default_config_static_selectorELNS0_4arch9wavefront6targetE0EEEvT1_
    .private_segment_fixed_size: 0
    .sgpr_count:     55
    .sgpr_spill_count: 0
    .symbol:         _ZN7rocprim17ROCPRIM_400000_NS6detail17trampoline_kernelINS0_14default_configENS1_27scan_by_key_config_selectorIxxEEZZNS1_16scan_by_key_implILNS1_25lookback_scan_determinismE0ELb0ES3_N6thrust23THRUST_200600_302600_NS6detail15normal_iteratorINS9_10device_ptrIxEEEESE_SE_xNS9_4plusIxEE19head_flag_predicatexEE10hipError_tPvRmT2_T3_T4_T5_mT6_T7_P12ihipStream_tbENKUlT_T0_E_clISt17integral_constantIbLb0EESY_EEDaST_SU_EUlST_E_NS1_11comp_targetILNS1_3genE0ELNS1_11target_archE4294967295ELNS1_3gpuE0ELNS1_3repE0EEENS1_30default_config_static_selectorELNS0_4arch9wavefront6targetE0EEEvT1_.kd
    .uniform_work_group_size: 1
    .uses_dynamic_stack: false
    .vgpr_count:     106
    .vgpr_spill_count: 0
    .wavefront_size: 32
  - .args:
      - .offset:         0
        .size:           136
        .value_kind:     by_value
    .group_segment_fixed_size: 0
    .kernarg_segment_align: 8
    .kernarg_segment_size: 136
    .language:       OpenCL C
    .language_version:
      - 2
      - 0
    .max_flat_workgroup_size: 256
    .name:           _ZN7rocprim17ROCPRIM_400000_NS6detail17trampoline_kernelINS0_14default_configENS1_27scan_by_key_config_selectorIxxEEZZNS1_16scan_by_key_implILNS1_25lookback_scan_determinismE0ELb0ES3_N6thrust23THRUST_200600_302600_NS6detail15normal_iteratorINS9_10device_ptrIxEEEESE_SE_xNS9_4plusIxEE19head_flag_predicatexEE10hipError_tPvRmT2_T3_T4_T5_mT6_T7_P12ihipStream_tbENKUlT_T0_E_clISt17integral_constantIbLb0EESY_EEDaST_SU_EUlST_E_NS1_11comp_targetILNS1_3genE10ELNS1_11target_archE1201ELNS1_3gpuE5ELNS1_3repE0EEENS1_30default_config_static_selectorELNS0_4arch9wavefront6targetE0EEEvT1_
    .private_segment_fixed_size: 0
    .sgpr_count:     0
    .sgpr_spill_count: 0
    .symbol:         _ZN7rocprim17ROCPRIM_400000_NS6detail17trampoline_kernelINS0_14default_configENS1_27scan_by_key_config_selectorIxxEEZZNS1_16scan_by_key_implILNS1_25lookback_scan_determinismE0ELb0ES3_N6thrust23THRUST_200600_302600_NS6detail15normal_iteratorINS9_10device_ptrIxEEEESE_SE_xNS9_4plusIxEE19head_flag_predicatexEE10hipError_tPvRmT2_T3_T4_T5_mT6_T7_P12ihipStream_tbENKUlT_T0_E_clISt17integral_constantIbLb0EESY_EEDaST_SU_EUlST_E_NS1_11comp_targetILNS1_3genE10ELNS1_11target_archE1201ELNS1_3gpuE5ELNS1_3repE0EEENS1_30default_config_static_selectorELNS0_4arch9wavefront6targetE0EEEvT1_.kd
    .uniform_work_group_size: 1
    .uses_dynamic_stack: false
    .vgpr_count:     0
    .vgpr_spill_count: 0
    .wavefront_size: 32
  - .args:
      - .offset:         0
        .size:           136
        .value_kind:     by_value
    .group_segment_fixed_size: 0
    .kernarg_segment_align: 8
    .kernarg_segment_size: 136
    .language:       OpenCL C
    .language_version:
      - 2
      - 0
    .max_flat_workgroup_size: 256
    .name:           _ZN7rocprim17ROCPRIM_400000_NS6detail17trampoline_kernelINS0_14default_configENS1_27scan_by_key_config_selectorIxxEEZZNS1_16scan_by_key_implILNS1_25lookback_scan_determinismE0ELb0ES3_N6thrust23THRUST_200600_302600_NS6detail15normal_iteratorINS9_10device_ptrIxEEEESE_SE_xNS9_4plusIxEE19head_flag_predicatexEE10hipError_tPvRmT2_T3_T4_T5_mT6_T7_P12ihipStream_tbENKUlT_T0_E_clISt17integral_constantIbLb0EESY_EEDaST_SU_EUlST_E_NS1_11comp_targetILNS1_3genE5ELNS1_11target_archE942ELNS1_3gpuE9ELNS1_3repE0EEENS1_30default_config_static_selectorELNS0_4arch9wavefront6targetE0EEEvT1_
    .private_segment_fixed_size: 0
    .sgpr_count:     0
    .sgpr_spill_count: 0
    .symbol:         _ZN7rocprim17ROCPRIM_400000_NS6detail17trampoline_kernelINS0_14default_configENS1_27scan_by_key_config_selectorIxxEEZZNS1_16scan_by_key_implILNS1_25lookback_scan_determinismE0ELb0ES3_N6thrust23THRUST_200600_302600_NS6detail15normal_iteratorINS9_10device_ptrIxEEEESE_SE_xNS9_4plusIxEE19head_flag_predicatexEE10hipError_tPvRmT2_T3_T4_T5_mT6_T7_P12ihipStream_tbENKUlT_T0_E_clISt17integral_constantIbLb0EESY_EEDaST_SU_EUlST_E_NS1_11comp_targetILNS1_3genE5ELNS1_11target_archE942ELNS1_3gpuE9ELNS1_3repE0EEENS1_30default_config_static_selectorELNS0_4arch9wavefront6targetE0EEEvT1_.kd
    .uniform_work_group_size: 1
    .uses_dynamic_stack: false
    .vgpr_count:     0
    .vgpr_spill_count: 0
    .wavefront_size: 32
  - .args:
      - .offset:         0
        .size:           136
        .value_kind:     by_value
    .group_segment_fixed_size: 0
    .kernarg_segment_align: 8
    .kernarg_segment_size: 136
    .language:       OpenCL C
    .language_version:
      - 2
      - 0
    .max_flat_workgroup_size: 64
    .name:           _ZN7rocprim17ROCPRIM_400000_NS6detail17trampoline_kernelINS0_14default_configENS1_27scan_by_key_config_selectorIxxEEZZNS1_16scan_by_key_implILNS1_25lookback_scan_determinismE0ELb0ES3_N6thrust23THRUST_200600_302600_NS6detail15normal_iteratorINS9_10device_ptrIxEEEESE_SE_xNS9_4plusIxEE19head_flag_predicatexEE10hipError_tPvRmT2_T3_T4_T5_mT6_T7_P12ihipStream_tbENKUlT_T0_E_clISt17integral_constantIbLb0EESY_EEDaST_SU_EUlST_E_NS1_11comp_targetILNS1_3genE4ELNS1_11target_archE910ELNS1_3gpuE8ELNS1_3repE0EEENS1_30default_config_static_selectorELNS0_4arch9wavefront6targetE0EEEvT1_
    .private_segment_fixed_size: 0
    .sgpr_count:     0
    .sgpr_spill_count: 0
    .symbol:         _ZN7rocprim17ROCPRIM_400000_NS6detail17trampoline_kernelINS0_14default_configENS1_27scan_by_key_config_selectorIxxEEZZNS1_16scan_by_key_implILNS1_25lookback_scan_determinismE0ELb0ES3_N6thrust23THRUST_200600_302600_NS6detail15normal_iteratorINS9_10device_ptrIxEEEESE_SE_xNS9_4plusIxEE19head_flag_predicatexEE10hipError_tPvRmT2_T3_T4_T5_mT6_T7_P12ihipStream_tbENKUlT_T0_E_clISt17integral_constantIbLb0EESY_EEDaST_SU_EUlST_E_NS1_11comp_targetILNS1_3genE4ELNS1_11target_archE910ELNS1_3gpuE8ELNS1_3repE0EEENS1_30default_config_static_selectorELNS0_4arch9wavefront6targetE0EEEvT1_.kd
    .uniform_work_group_size: 1
    .uses_dynamic_stack: false
    .vgpr_count:     0
    .vgpr_spill_count: 0
    .wavefront_size: 32
  - .args:
      - .offset:         0
        .size:           136
        .value_kind:     by_value
    .group_segment_fixed_size: 0
    .kernarg_segment_align: 8
    .kernarg_segment_size: 136
    .language:       OpenCL C
    .language_version:
      - 2
      - 0
    .max_flat_workgroup_size: 256
    .name:           _ZN7rocprim17ROCPRIM_400000_NS6detail17trampoline_kernelINS0_14default_configENS1_27scan_by_key_config_selectorIxxEEZZNS1_16scan_by_key_implILNS1_25lookback_scan_determinismE0ELb0ES3_N6thrust23THRUST_200600_302600_NS6detail15normal_iteratorINS9_10device_ptrIxEEEESE_SE_xNS9_4plusIxEE19head_flag_predicatexEE10hipError_tPvRmT2_T3_T4_T5_mT6_T7_P12ihipStream_tbENKUlT_T0_E_clISt17integral_constantIbLb0EESY_EEDaST_SU_EUlST_E_NS1_11comp_targetILNS1_3genE3ELNS1_11target_archE908ELNS1_3gpuE7ELNS1_3repE0EEENS1_30default_config_static_selectorELNS0_4arch9wavefront6targetE0EEEvT1_
    .private_segment_fixed_size: 0
    .sgpr_count:     0
    .sgpr_spill_count: 0
    .symbol:         _ZN7rocprim17ROCPRIM_400000_NS6detail17trampoline_kernelINS0_14default_configENS1_27scan_by_key_config_selectorIxxEEZZNS1_16scan_by_key_implILNS1_25lookback_scan_determinismE0ELb0ES3_N6thrust23THRUST_200600_302600_NS6detail15normal_iteratorINS9_10device_ptrIxEEEESE_SE_xNS9_4plusIxEE19head_flag_predicatexEE10hipError_tPvRmT2_T3_T4_T5_mT6_T7_P12ihipStream_tbENKUlT_T0_E_clISt17integral_constantIbLb0EESY_EEDaST_SU_EUlST_E_NS1_11comp_targetILNS1_3genE3ELNS1_11target_archE908ELNS1_3gpuE7ELNS1_3repE0EEENS1_30default_config_static_selectorELNS0_4arch9wavefront6targetE0EEEvT1_.kd
    .uniform_work_group_size: 1
    .uses_dynamic_stack: false
    .vgpr_count:     0
    .vgpr_spill_count: 0
    .wavefront_size: 32
  - .args:
      - .offset:         0
        .size:           136
        .value_kind:     by_value
    .group_segment_fixed_size: 0
    .kernarg_segment_align: 8
    .kernarg_segment_size: 136
    .language:       OpenCL C
    .language_version:
      - 2
      - 0
    .max_flat_workgroup_size: 256
    .name:           _ZN7rocprim17ROCPRIM_400000_NS6detail17trampoline_kernelINS0_14default_configENS1_27scan_by_key_config_selectorIxxEEZZNS1_16scan_by_key_implILNS1_25lookback_scan_determinismE0ELb0ES3_N6thrust23THRUST_200600_302600_NS6detail15normal_iteratorINS9_10device_ptrIxEEEESE_SE_xNS9_4plusIxEE19head_flag_predicatexEE10hipError_tPvRmT2_T3_T4_T5_mT6_T7_P12ihipStream_tbENKUlT_T0_E_clISt17integral_constantIbLb0EESY_EEDaST_SU_EUlST_E_NS1_11comp_targetILNS1_3genE2ELNS1_11target_archE906ELNS1_3gpuE6ELNS1_3repE0EEENS1_30default_config_static_selectorELNS0_4arch9wavefront6targetE0EEEvT1_
    .private_segment_fixed_size: 0
    .sgpr_count:     0
    .sgpr_spill_count: 0
    .symbol:         _ZN7rocprim17ROCPRIM_400000_NS6detail17trampoline_kernelINS0_14default_configENS1_27scan_by_key_config_selectorIxxEEZZNS1_16scan_by_key_implILNS1_25lookback_scan_determinismE0ELb0ES3_N6thrust23THRUST_200600_302600_NS6detail15normal_iteratorINS9_10device_ptrIxEEEESE_SE_xNS9_4plusIxEE19head_flag_predicatexEE10hipError_tPvRmT2_T3_T4_T5_mT6_T7_P12ihipStream_tbENKUlT_T0_E_clISt17integral_constantIbLb0EESY_EEDaST_SU_EUlST_E_NS1_11comp_targetILNS1_3genE2ELNS1_11target_archE906ELNS1_3gpuE6ELNS1_3repE0EEENS1_30default_config_static_selectorELNS0_4arch9wavefront6targetE0EEEvT1_.kd
    .uniform_work_group_size: 1
    .uses_dynamic_stack: false
    .vgpr_count:     0
    .vgpr_spill_count: 0
    .wavefront_size: 32
  - .args:
      - .offset:         0
        .size:           136
        .value_kind:     by_value
    .group_segment_fixed_size: 0
    .kernarg_segment_align: 8
    .kernarg_segment_size: 136
    .language:       OpenCL C
    .language_version:
      - 2
      - 0
    .max_flat_workgroup_size: 256
    .name:           _ZN7rocprim17ROCPRIM_400000_NS6detail17trampoline_kernelINS0_14default_configENS1_27scan_by_key_config_selectorIxxEEZZNS1_16scan_by_key_implILNS1_25lookback_scan_determinismE0ELb0ES3_N6thrust23THRUST_200600_302600_NS6detail15normal_iteratorINS9_10device_ptrIxEEEESE_SE_xNS9_4plusIxEE19head_flag_predicatexEE10hipError_tPvRmT2_T3_T4_T5_mT6_T7_P12ihipStream_tbENKUlT_T0_E_clISt17integral_constantIbLb0EESY_EEDaST_SU_EUlST_E_NS1_11comp_targetILNS1_3genE10ELNS1_11target_archE1200ELNS1_3gpuE4ELNS1_3repE0EEENS1_30default_config_static_selectorELNS0_4arch9wavefront6targetE0EEEvT1_
    .private_segment_fixed_size: 0
    .sgpr_count:     0
    .sgpr_spill_count: 0
    .symbol:         _ZN7rocprim17ROCPRIM_400000_NS6detail17trampoline_kernelINS0_14default_configENS1_27scan_by_key_config_selectorIxxEEZZNS1_16scan_by_key_implILNS1_25lookback_scan_determinismE0ELb0ES3_N6thrust23THRUST_200600_302600_NS6detail15normal_iteratorINS9_10device_ptrIxEEEESE_SE_xNS9_4plusIxEE19head_flag_predicatexEE10hipError_tPvRmT2_T3_T4_T5_mT6_T7_P12ihipStream_tbENKUlT_T0_E_clISt17integral_constantIbLb0EESY_EEDaST_SU_EUlST_E_NS1_11comp_targetILNS1_3genE10ELNS1_11target_archE1200ELNS1_3gpuE4ELNS1_3repE0EEENS1_30default_config_static_selectorELNS0_4arch9wavefront6targetE0EEEvT1_.kd
    .uniform_work_group_size: 1
    .uses_dynamic_stack: false
    .vgpr_count:     0
    .vgpr_spill_count: 0
    .wavefront_size: 32
  - .args:
      - .offset:         0
        .size:           136
        .value_kind:     by_value
    .group_segment_fixed_size: 0
    .kernarg_segment_align: 8
    .kernarg_segment_size: 136
    .language:       OpenCL C
    .language_version:
      - 2
      - 0
    .max_flat_workgroup_size: 256
    .name:           _ZN7rocprim17ROCPRIM_400000_NS6detail17trampoline_kernelINS0_14default_configENS1_27scan_by_key_config_selectorIxxEEZZNS1_16scan_by_key_implILNS1_25lookback_scan_determinismE0ELb0ES3_N6thrust23THRUST_200600_302600_NS6detail15normal_iteratorINS9_10device_ptrIxEEEESE_SE_xNS9_4plusIxEE19head_flag_predicatexEE10hipError_tPvRmT2_T3_T4_T5_mT6_T7_P12ihipStream_tbENKUlT_T0_E_clISt17integral_constantIbLb0EESY_EEDaST_SU_EUlST_E_NS1_11comp_targetILNS1_3genE9ELNS1_11target_archE1100ELNS1_3gpuE3ELNS1_3repE0EEENS1_30default_config_static_selectorELNS0_4arch9wavefront6targetE0EEEvT1_
    .private_segment_fixed_size: 0
    .sgpr_count:     0
    .sgpr_spill_count: 0
    .symbol:         _ZN7rocprim17ROCPRIM_400000_NS6detail17trampoline_kernelINS0_14default_configENS1_27scan_by_key_config_selectorIxxEEZZNS1_16scan_by_key_implILNS1_25lookback_scan_determinismE0ELb0ES3_N6thrust23THRUST_200600_302600_NS6detail15normal_iteratorINS9_10device_ptrIxEEEESE_SE_xNS9_4plusIxEE19head_flag_predicatexEE10hipError_tPvRmT2_T3_T4_T5_mT6_T7_P12ihipStream_tbENKUlT_T0_E_clISt17integral_constantIbLb0EESY_EEDaST_SU_EUlST_E_NS1_11comp_targetILNS1_3genE9ELNS1_11target_archE1100ELNS1_3gpuE3ELNS1_3repE0EEENS1_30default_config_static_selectorELNS0_4arch9wavefront6targetE0EEEvT1_.kd
    .uniform_work_group_size: 1
    .uses_dynamic_stack: false
    .vgpr_count:     0
    .vgpr_spill_count: 0
    .wavefront_size: 32
  - .args:
      - .offset:         0
        .size:           136
        .value_kind:     by_value
    .group_segment_fixed_size: 0
    .kernarg_segment_align: 8
    .kernarg_segment_size: 136
    .language:       OpenCL C
    .language_version:
      - 2
      - 0
    .max_flat_workgroup_size: 256
    .name:           _ZN7rocprim17ROCPRIM_400000_NS6detail17trampoline_kernelINS0_14default_configENS1_27scan_by_key_config_selectorIxxEEZZNS1_16scan_by_key_implILNS1_25lookback_scan_determinismE0ELb0ES3_N6thrust23THRUST_200600_302600_NS6detail15normal_iteratorINS9_10device_ptrIxEEEESE_SE_xNS9_4plusIxEE19head_flag_predicatexEE10hipError_tPvRmT2_T3_T4_T5_mT6_T7_P12ihipStream_tbENKUlT_T0_E_clISt17integral_constantIbLb0EESY_EEDaST_SU_EUlST_E_NS1_11comp_targetILNS1_3genE8ELNS1_11target_archE1030ELNS1_3gpuE2ELNS1_3repE0EEENS1_30default_config_static_selectorELNS0_4arch9wavefront6targetE0EEEvT1_
    .private_segment_fixed_size: 0
    .sgpr_count:     0
    .sgpr_spill_count: 0
    .symbol:         _ZN7rocprim17ROCPRIM_400000_NS6detail17trampoline_kernelINS0_14default_configENS1_27scan_by_key_config_selectorIxxEEZZNS1_16scan_by_key_implILNS1_25lookback_scan_determinismE0ELb0ES3_N6thrust23THRUST_200600_302600_NS6detail15normal_iteratorINS9_10device_ptrIxEEEESE_SE_xNS9_4plusIxEE19head_flag_predicatexEE10hipError_tPvRmT2_T3_T4_T5_mT6_T7_P12ihipStream_tbENKUlT_T0_E_clISt17integral_constantIbLb0EESY_EEDaST_SU_EUlST_E_NS1_11comp_targetILNS1_3genE8ELNS1_11target_archE1030ELNS1_3gpuE2ELNS1_3repE0EEENS1_30default_config_static_selectorELNS0_4arch9wavefront6targetE0EEEvT1_.kd
    .uniform_work_group_size: 1
    .uses_dynamic_stack: false
    .vgpr_count:     0
    .vgpr_spill_count: 0
    .wavefront_size: 32
  - .args:
      - .offset:         0
        .size:           136
        .value_kind:     by_value
    .group_segment_fixed_size: 0
    .kernarg_segment_align: 8
    .kernarg_segment_size: 136
    .language:       OpenCL C
    .language_version:
      - 2
      - 0
    .max_flat_workgroup_size: 256
    .name:           _ZN7rocprim17ROCPRIM_400000_NS6detail17trampoline_kernelINS0_14default_configENS1_27scan_by_key_config_selectorIxxEEZZNS1_16scan_by_key_implILNS1_25lookback_scan_determinismE0ELb0ES3_N6thrust23THRUST_200600_302600_NS6detail15normal_iteratorINS9_10device_ptrIxEEEESE_SE_xNS9_4plusIxEE19head_flag_predicatexEE10hipError_tPvRmT2_T3_T4_T5_mT6_T7_P12ihipStream_tbENKUlT_T0_E_clISt17integral_constantIbLb1EESY_EEDaST_SU_EUlST_E_NS1_11comp_targetILNS1_3genE0ELNS1_11target_archE4294967295ELNS1_3gpuE0ELNS1_3repE0EEENS1_30default_config_static_selectorELNS0_4arch9wavefront6targetE0EEEvT1_
    .private_segment_fixed_size: 0
    .sgpr_count:     0
    .sgpr_spill_count: 0
    .symbol:         _ZN7rocprim17ROCPRIM_400000_NS6detail17trampoline_kernelINS0_14default_configENS1_27scan_by_key_config_selectorIxxEEZZNS1_16scan_by_key_implILNS1_25lookback_scan_determinismE0ELb0ES3_N6thrust23THRUST_200600_302600_NS6detail15normal_iteratorINS9_10device_ptrIxEEEESE_SE_xNS9_4plusIxEE19head_flag_predicatexEE10hipError_tPvRmT2_T3_T4_T5_mT6_T7_P12ihipStream_tbENKUlT_T0_E_clISt17integral_constantIbLb1EESY_EEDaST_SU_EUlST_E_NS1_11comp_targetILNS1_3genE0ELNS1_11target_archE4294967295ELNS1_3gpuE0ELNS1_3repE0EEENS1_30default_config_static_selectorELNS0_4arch9wavefront6targetE0EEEvT1_.kd
    .uniform_work_group_size: 1
    .uses_dynamic_stack: false
    .vgpr_count:     0
    .vgpr_spill_count: 0
    .wavefront_size: 32
  - .args:
      - .offset:         0
        .size:           136
        .value_kind:     by_value
    .group_segment_fixed_size: 0
    .kernarg_segment_align: 8
    .kernarg_segment_size: 136
    .language:       OpenCL C
    .language_version:
      - 2
      - 0
    .max_flat_workgroup_size: 256
    .name:           _ZN7rocprim17ROCPRIM_400000_NS6detail17trampoline_kernelINS0_14default_configENS1_27scan_by_key_config_selectorIxxEEZZNS1_16scan_by_key_implILNS1_25lookback_scan_determinismE0ELb0ES3_N6thrust23THRUST_200600_302600_NS6detail15normal_iteratorINS9_10device_ptrIxEEEESE_SE_xNS9_4plusIxEE19head_flag_predicatexEE10hipError_tPvRmT2_T3_T4_T5_mT6_T7_P12ihipStream_tbENKUlT_T0_E_clISt17integral_constantIbLb1EESY_EEDaST_SU_EUlST_E_NS1_11comp_targetILNS1_3genE10ELNS1_11target_archE1201ELNS1_3gpuE5ELNS1_3repE0EEENS1_30default_config_static_selectorELNS0_4arch9wavefront6targetE0EEEvT1_
    .private_segment_fixed_size: 0
    .sgpr_count:     0
    .sgpr_spill_count: 0
    .symbol:         _ZN7rocprim17ROCPRIM_400000_NS6detail17trampoline_kernelINS0_14default_configENS1_27scan_by_key_config_selectorIxxEEZZNS1_16scan_by_key_implILNS1_25lookback_scan_determinismE0ELb0ES3_N6thrust23THRUST_200600_302600_NS6detail15normal_iteratorINS9_10device_ptrIxEEEESE_SE_xNS9_4plusIxEE19head_flag_predicatexEE10hipError_tPvRmT2_T3_T4_T5_mT6_T7_P12ihipStream_tbENKUlT_T0_E_clISt17integral_constantIbLb1EESY_EEDaST_SU_EUlST_E_NS1_11comp_targetILNS1_3genE10ELNS1_11target_archE1201ELNS1_3gpuE5ELNS1_3repE0EEENS1_30default_config_static_selectorELNS0_4arch9wavefront6targetE0EEEvT1_.kd
    .uniform_work_group_size: 1
    .uses_dynamic_stack: false
    .vgpr_count:     0
    .vgpr_spill_count: 0
    .wavefront_size: 32
  - .args:
      - .offset:         0
        .size:           136
        .value_kind:     by_value
    .group_segment_fixed_size: 0
    .kernarg_segment_align: 8
    .kernarg_segment_size: 136
    .language:       OpenCL C
    .language_version:
      - 2
      - 0
    .max_flat_workgroup_size: 256
    .name:           _ZN7rocprim17ROCPRIM_400000_NS6detail17trampoline_kernelINS0_14default_configENS1_27scan_by_key_config_selectorIxxEEZZNS1_16scan_by_key_implILNS1_25lookback_scan_determinismE0ELb0ES3_N6thrust23THRUST_200600_302600_NS6detail15normal_iteratorINS9_10device_ptrIxEEEESE_SE_xNS9_4plusIxEE19head_flag_predicatexEE10hipError_tPvRmT2_T3_T4_T5_mT6_T7_P12ihipStream_tbENKUlT_T0_E_clISt17integral_constantIbLb1EESY_EEDaST_SU_EUlST_E_NS1_11comp_targetILNS1_3genE5ELNS1_11target_archE942ELNS1_3gpuE9ELNS1_3repE0EEENS1_30default_config_static_selectorELNS0_4arch9wavefront6targetE0EEEvT1_
    .private_segment_fixed_size: 0
    .sgpr_count:     0
    .sgpr_spill_count: 0
    .symbol:         _ZN7rocprim17ROCPRIM_400000_NS6detail17trampoline_kernelINS0_14default_configENS1_27scan_by_key_config_selectorIxxEEZZNS1_16scan_by_key_implILNS1_25lookback_scan_determinismE0ELb0ES3_N6thrust23THRUST_200600_302600_NS6detail15normal_iteratorINS9_10device_ptrIxEEEESE_SE_xNS9_4plusIxEE19head_flag_predicatexEE10hipError_tPvRmT2_T3_T4_T5_mT6_T7_P12ihipStream_tbENKUlT_T0_E_clISt17integral_constantIbLb1EESY_EEDaST_SU_EUlST_E_NS1_11comp_targetILNS1_3genE5ELNS1_11target_archE942ELNS1_3gpuE9ELNS1_3repE0EEENS1_30default_config_static_selectorELNS0_4arch9wavefront6targetE0EEEvT1_.kd
    .uniform_work_group_size: 1
    .uses_dynamic_stack: false
    .vgpr_count:     0
    .vgpr_spill_count: 0
    .wavefront_size: 32
  - .args:
      - .offset:         0
        .size:           136
        .value_kind:     by_value
    .group_segment_fixed_size: 0
    .kernarg_segment_align: 8
    .kernarg_segment_size: 136
    .language:       OpenCL C
    .language_version:
      - 2
      - 0
    .max_flat_workgroup_size: 64
    .name:           _ZN7rocprim17ROCPRIM_400000_NS6detail17trampoline_kernelINS0_14default_configENS1_27scan_by_key_config_selectorIxxEEZZNS1_16scan_by_key_implILNS1_25lookback_scan_determinismE0ELb0ES3_N6thrust23THRUST_200600_302600_NS6detail15normal_iteratorINS9_10device_ptrIxEEEESE_SE_xNS9_4plusIxEE19head_flag_predicatexEE10hipError_tPvRmT2_T3_T4_T5_mT6_T7_P12ihipStream_tbENKUlT_T0_E_clISt17integral_constantIbLb1EESY_EEDaST_SU_EUlST_E_NS1_11comp_targetILNS1_3genE4ELNS1_11target_archE910ELNS1_3gpuE8ELNS1_3repE0EEENS1_30default_config_static_selectorELNS0_4arch9wavefront6targetE0EEEvT1_
    .private_segment_fixed_size: 0
    .sgpr_count:     0
    .sgpr_spill_count: 0
    .symbol:         _ZN7rocprim17ROCPRIM_400000_NS6detail17trampoline_kernelINS0_14default_configENS1_27scan_by_key_config_selectorIxxEEZZNS1_16scan_by_key_implILNS1_25lookback_scan_determinismE0ELb0ES3_N6thrust23THRUST_200600_302600_NS6detail15normal_iteratorINS9_10device_ptrIxEEEESE_SE_xNS9_4plusIxEE19head_flag_predicatexEE10hipError_tPvRmT2_T3_T4_T5_mT6_T7_P12ihipStream_tbENKUlT_T0_E_clISt17integral_constantIbLb1EESY_EEDaST_SU_EUlST_E_NS1_11comp_targetILNS1_3genE4ELNS1_11target_archE910ELNS1_3gpuE8ELNS1_3repE0EEENS1_30default_config_static_selectorELNS0_4arch9wavefront6targetE0EEEvT1_.kd
    .uniform_work_group_size: 1
    .uses_dynamic_stack: false
    .vgpr_count:     0
    .vgpr_spill_count: 0
    .wavefront_size: 32
  - .args:
      - .offset:         0
        .size:           136
        .value_kind:     by_value
    .group_segment_fixed_size: 0
    .kernarg_segment_align: 8
    .kernarg_segment_size: 136
    .language:       OpenCL C
    .language_version:
      - 2
      - 0
    .max_flat_workgroup_size: 256
    .name:           _ZN7rocprim17ROCPRIM_400000_NS6detail17trampoline_kernelINS0_14default_configENS1_27scan_by_key_config_selectorIxxEEZZNS1_16scan_by_key_implILNS1_25lookback_scan_determinismE0ELb0ES3_N6thrust23THRUST_200600_302600_NS6detail15normal_iteratorINS9_10device_ptrIxEEEESE_SE_xNS9_4plusIxEE19head_flag_predicatexEE10hipError_tPvRmT2_T3_T4_T5_mT6_T7_P12ihipStream_tbENKUlT_T0_E_clISt17integral_constantIbLb1EESY_EEDaST_SU_EUlST_E_NS1_11comp_targetILNS1_3genE3ELNS1_11target_archE908ELNS1_3gpuE7ELNS1_3repE0EEENS1_30default_config_static_selectorELNS0_4arch9wavefront6targetE0EEEvT1_
    .private_segment_fixed_size: 0
    .sgpr_count:     0
    .sgpr_spill_count: 0
    .symbol:         _ZN7rocprim17ROCPRIM_400000_NS6detail17trampoline_kernelINS0_14default_configENS1_27scan_by_key_config_selectorIxxEEZZNS1_16scan_by_key_implILNS1_25lookback_scan_determinismE0ELb0ES3_N6thrust23THRUST_200600_302600_NS6detail15normal_iteratorINS9_10device_ptrIxEEEESE_SE_xNS9_4plusIxEE19head_flag_predicatexEE10hipError_tPvRmT2_T3_T4_T5_mT6_T7_P12ihipStream_tbENKUlT_T0_E_clISt17integral_constantIbLb1EESY_EEDaST_SU_EUlST_E_NS1_11comp_targetILNS1_3genE3ELNS1_11target_archE908ELNS1_3gpuE7ELNS1_3repE0EEENS1_30default_config_static_selectorELNS0_4arch9wavefront6targetE0EEEvT1_.kd
    .uniform_work_group_size: 1
    .uses_dynamic_stack: false
    .vgpr_count:     0
    .vgpr_spill_count: 0
    .wavefront_size: 32
  - .args:
      - .offset:         0
        .size:           136
        .value_kind:     by_value
    .group_segment_fixed_size: 0
    .kernarg_segment_align: 8
    .kernarg_segment_size: 136
    .language:       OpenCL C
    .language_version:
      - 2
      - 0
    .max_flat_workgroup_size: 256
    .name:           _ZN7rocprim17ROCPRIM_400000_NS6detail17trampoline_kernelINS0_14default_configENS1_27scan_by_key_config_selectorIxxEEZZNS1_16scan_by_key_implILNS1_25lookback_scan_determinismE0ELb0ES3_N6thrust23THRUST_200600_302600_NS6detail15normal_iteratorINS9_10device_ptrIxEEEESE_SE_xNS9_4plusIxEE19head_flag_predicatexEE10hipError_tPvRmT2_T3_T4_T5_mT6_T7_P12ihipStream_tbENKUlT_T0_E_clISt17integral_constantIbLb1EESY_EEDaST_SU_EUlST_E_NS1_11comp_targetILNS1_3genE2ELNS1_11target_archE906ELNS1_3gpuE6ELNS1_3repE0EEENS1_30default_config_static_selectorELNS0_4arch9wavefront6targetE0EEEvT1_
    .private_segment_fixed_size: 0
    .sgpr_count:     0
    .sgpr_spill_count: 0
    .symbol:         _ZN7rocprim17ROCPRIM_400000_NS6detail17trampoline_kernelINS0_14default_configENS1_27scan_by_key_config_selectorIxxEEZZNS1_16scan_by_key_implILNS1_25lookback_scan_determinismE0ELb0ES3_N6thrust23THRUST_200600_302600_NS6detail15normal_iteratorINS9_10device_ptrIxEEEESE_SE_xNS9_4plusIxEE19head_flag_predicatexEE10hipError_tPvRmT2_T3_T4_T5_mT6_T7_P12ihipStream_tbENKUlT_T0_E_clISt17integral_constantIbLb1EESY_EEDaST_SU_EUlST_E_NS1_11comp_targetILNS1_3genE2ELNS1_11target_archE906ELNS1_3gpuE6ELNS1_3repE0EEENS1_30default_config_static_selectorELNS0_4arch9wavefront6targetE0EEEvT1_.kd
    .uniform_work_group_size: 1
    .uses_dynamic_stack: false
    .vgpr_count:     0
    .vgpr_spill_count: 0
    .wavefront_size: 32
  - .args:
      - .offset:         0
        .size:           136
        .value_kind:     by_value
    .group_segment_fixed_size: 0
    .kernarg_segment_align: 8
    .kernarg_segment_size: 136
    .language:       OpenCL C
    .language_version:
      - 2
      - 0
    .max_flat_workgroup_size: 256
    .name:           _ZN7rocprim17ROCPRIM_400000_NS6detail17trampoline_kernelINS0_14default_configENS1_27scan_by_key_config_selectorIxxEEZZNS1_16scan_by_key_implILNS1_25lookback_scan_determinismE0ELb0ES3_N6thrust23THRUST_200600_302600_NS6detail15normal_iteratorINS9_10device_ptrIxEEEESE_SE_xNS9_4plusIxEE19head_flag_predicatexEE10hipError_tPvRmT2_T3_T4_T5_mT6_T7_P12ihipStream_tbENKUlT_T0_E_clISt17integral_constantIbLb1EESY_EEDaST_SU_EUlST_E_NS1_11comp_targetILNS1_3genE10ELNS1_11target_archE1200ELNS1_3gpuE4ELNS1_3repE0EEENS1_30default_config_static_selectorELNS0_4arch9wavefront6targetE0EEEvT1_
    .private_segment_fixed_size: 0
    .sgpr_count:     0
    .sgpr_spill_count: 0
    .symbol:         _ZN7rocprim17ROCPRIM_400000_NS6detail17trampoline_kernelINS0_14default_configENS1_27scan_by_key_config_selectorIxxEEZZNS1_16scan_by_key_implILNS1_25lookback_scan_determinismE0ELb0ES3_N6thrust23THRUST_200600_302600_NS6detail15normal_iteratorINS9_10device_ptrIxEEEESE_SE_xNS9_4plusIxEE19head_flag_predicatexEE10hipError_tPvRmT2_T3_T4_T5_mT6_T7_P12ihipStream_tbENKUlT_T0_E_clISt17integral_constantIbLb1EESY_EEDaST_SU_EUlST_E_NS1_11comp_targetILNS1_3genE10ELNS1_11target_archE1200ELNS1_3gpuE4ELNS1_3repE0EEENS1_30default_config_static_selectorELNS0_4arch9wavefront6targetE0EEEvT1_.kd
    .uniform_work_group_size: 1
    .uses_dynamic_stack: false
    .vgpr_count:     0
    .vgpr_spill_count: 0
    .wavefront_size: 32
  - .args:
      - .offset:         0
        .size:           136
        .value_kind:     by_value
    .group_segment_fixed_size: 0
    .kernarg_segment_align: 8
    .kernarg_segment_size: 136
    .language:       OpenCL C
    .language_version:
      - 2
      - 0
    .max_flat_workgroup_size: 256
    .name:           _ZN7rocprim17ROCPRIM_400000_NS6detail17trampoline_kernelINS0_14default_configENS1_27scan_by_key_config_selectorIxxEEZZNS1_16scan_by_key_implILNS1_25lookback_scan_determinismE0ELb0ES3_N6thrust23THRUST_200600_302600_NS6detail15normal_iteratorINS9_10device_ptrIxEEEESE_SE_xNS9_4plusIxEE19head_flag_predicatexEE10hipError_tPvRmT2_T3_T4_T5_mT6_T7_P12ihipStream_tbENKUlT_T0_E_clISt17integral_constantIbLb1EESY_EEDaST_SU_EUlST_E_NS1_11comp_targetILNS1_3genE9ELNS1_11target_archE1100ELNS1_3gpuE3ELNS1_3repE0EEENS1_30default_config_static_selectorELNS0_4arch9wavefront6targetE0EEEvT1_
    .private_segment_fixed_size: 0
    .sgpr_count:     0
    .sgpr_spill_count: 0
    .symbol:         _ZN7rocprim17ROCPRIM_400000_NS6detail17trampoline_kernelINS0_14default_configENS1_27scan_by_key_config_selectorIxxEEZZNS1_16scan_by_key_implILNS1_25lookback_scan_determinismE0ELb0ES3_N6thrust23THRUST_200600_302600_NS6detail15normal_iteratorINS9_10device_ptrIxEEEESE_SE_xNS9_4plusIxEE19head_flag_predicatexEE10hipError_tPvRmT2_T3_T4_T5_mT6_T7_P12ihipStream_tbENKUlT_T0_E_clISt17integral_constantIbLb1EESY_EEDaST_SU_EUlST_E_NS1_11comp_targetILNS1_3genE9ELNS1_11target_archE1100ELNS1_3gpuE3ELNS1_3repE0EEENS1_30default_config_static_selectorELNS0_4arch9wavefront6targetE0EEEvT1_.kd
    .uniform_work_group_size: 1
    .uses_dynamic_stack: false
    .vgpr_count:     0
    .vgpr_spill_count: 0
    .wavefront_size: 32
  - .args:
      - .offset:         0
        .size:           136
        .value_kind:     by_value
    .group_segment_fixed_size: 0
    .kernarg_segment_align: 8
    .kernarg_segment_size: 136
    .language:       OpenCL C
    .language_version:
      - 2
      - 0
    .max_flat_workgroup_size: 256
    .name:           _ZN7rocprim17ROCPRIM_400000_NS6detail17trampoline_kernelINS0_14default_configENS1_27scan_by_key_config_selectorIxxEEZZNS1_16scan_by_key_implILNS1_25lookback_scan_determinismE0ELb0ES3_N6thrust23THRUST_200600_302600_NS6detail15normal_iteratorINS9_10device_ptrIxEEEESE_SE_xNS9_4plusIxEE19head_flag_predicatexEE10hipError_tPvRmT2_T3_T4_T5_mT6_T7_P12ihipStream_tbENKUlT_T0_E_clISt17integral_constantIbLb1EESY_EEDaST_SU_EUlST_E_NS1_11comp_targetILNS1_3genE8ELNS1_11target_archE1030ELNS1_3gpuE2ELNS1_3repE0EEENS1_30default_config_static_selectorELNS0_4arch9wavefront6targetE0EEEvT1_
    .private_segment_fixed_size: 0
    .sgpr_count:     0
    .sgpr_spill_count: 0
    .symbol:         _ZN7rocprim17ROCPRIM_400000_NS6detail17trampoline_kernelINS0_14default_configENS1_27scan_by_key_config_selectorIxxEEZZNS1_16scan_by_key_implILNS1_25lookback_scan_determinismE0ELb0ES3_N6thrust23THRUST_200600_302600_NS6detail15normal_iteratorINS9_10device_ptrIxEEEESE_SE_xNS9_4plusIxEE19head_flag_predicatexEE10hipError_tPvRmT2_T3_T4_T5_mT6_T7_P12ihipStream_tbENKUlT_T0_E_clISt17integral_constantIbLb1EESY_EEDaST_SU_EUlST_E_NS1_11comp_targetILNS1_3genE8ELNS1_11target_archE1030ELNS1_3gpuE2ELNS1_3repE0EEENS1_30default_config_static_selectorELNS0_4arch9wavefront6targetE0EEEvT1_.kd
    .uniform_work_group_size: 1
    .uses_dynamic_stack: false
    .vgpr_count:     0
    .vgpr_spill_count: 0
    .wavefront_size: 32
  - .args:
      - .offset:         0
        .size:           136
        .value_kind:     by_value
    .group_segment_fixed_size: 0
    .kernarg_segment_align: 8
    .kernarg_segment_size: 136
    .language:       OpenCL C
    .language_version:
      - 2
      - 0
    .max_flat_workgroup_size: 256
    .name:           _ZN7rocprim17ROCPRIM_400000_NS6detail17trampoline_kernelINS0_14default_configENS1_27scan_by_key_config_selectorIxxEEZZNS1_16scan_by_key_implILNS1_25lookback_scan_determinismE0ELb0ES3_N6thrust23THRUST_200600_302600_NS6detail15normal_iteratorINS9_10device_ptrIxEEEESE_SE_xNS9_4plusIxEE19head_flag_predicatexEE10hipError_tPvRmT2_T3_T4_T5_mT6_T7_P12ihipStream_tbENKUlT_T0_E_clISt17integral_constantIbLb1EESX_IbLb0EEEEDaST_SU_EUlST_E_NS1_11comp_targetILNS1_3genE0ELNS1_11target_archE4294967295ELNS1_3gpuE0ELNS1_3repE0EEENS1_30default_config_static_selectorELNS0_4arch9wavefront6targetE0EEEvT1_
    .private_segment_fixed_size: 0
    .sgpr_count:     0
    .sgpr_spill_count: 0
    .symbol:         _ZN7rocprim17ROCPRIM_400000_NS6detail17trampoline_kernelINS0_14default_configENS1_27scan_by_key_config_selectorIxxEEZZNS1_16scan_by_key_implILNS1_25lookback_scan_determinismE0ELb0ES3_N6thrust23THRUST_200600_302600_NS6detail15normal_iteratorINS9_10device_ptrIxEEEESE_SE_xNS9_4plusIxEE19head_flag_predicatexEE10hipError_tPvRmT2_T3_T4_T5_mT6_T7_P12ihipStream_tbENKUlT_T0_E_clISt17integral_constantIbLb1EESX_IbLb0EEEEDaST_SU_EUlST_E_NS1_11comp_targetILNS1_3genE0ELNS1_11target_archE4294967295ELNS1_3gpuE0ELNS1_3repE0EEENS1_30default_config_static_selectorELNS0_4arch9wavefront6targetE0EEEvT1_.kd
    .uniform_work_group_size: 1
    .uses_dynamic_stack: false
    .vgpr_count:     0
    .vgpr_spill_count: 0
    .wavefront_size: 32
  - .args:
      - .offset:         0
        .size:           136
        .value_kind:     by_value
    .group_segment_fixed_size: 0
    .kernarg_segment_align: 8
    .kernarg_segment_size: 136
    .language:       OpenCL C
    .language_version:
      - 2
      - 0
    .max_flat_workgroup_size: 256
    .name:           _ZN7rocprim17ROCPRIM_400000_NS6detail17trampoline_kernelINS0_14default_configENS1_27scan_by_key_config_selectorIxxEEZZNS1_16scan_by_key_implILNS1_25lookback_scan_determinismE0ELb0ES3_N6thrust23THRUST_200600_302600_NS6detail15normal_iteratorINS9_10device_ptrIxEEEESE_SE_xNS9_4plusIxEE19head_flag_predicatexEE10hipError_tPvRmT2_T3_T4_T5_mT6_T7_P12ihipStream_tbENKUlT_T0_E_clISt17integral_constantIbLb1EESX_IbLb0EEEEDaST_SU_EUlST_E_NS1_11comp_targetILNS1_3genE10ELNS1_11target_archE1201ELNS1_3gpuE5ELNS1_3repE0EEENS1_30default_config_static_selectorELNS0_4arch9wavefront6targetE0EEEvT1_
    .private_segment_fixed_size: 0
    .sgpr_count:     0
    .sgpr_spill_count: 0
    .symbol:         _ZN7rocprim17ROCPRIM_400000_NS6detail17trampoline_kernelINS0_14default_configENS1_27scan_by_key_config_selectorIxxEEZZNS1_16scan_by_key_implILNS1_25lookback_scan_determinismE0ELb0ES3_N6thrust23THRUST_200600_302600_NS6detail15normal_iteratorINS9_10device_ptrIxEEEESE_SE_xNS9_4plusIxEE19head_flag_predicatexEE10hipError_tPvRmT2_T3_T4_T5_mT6_T7_P12ihipStream_tbENKUlT_T0_E_clISt17integral_constantIbLb1EESX_IbLb0EEEEDaST_SU_EUlST_E_NS1_11comp_targetILNS1_3genE10ELNS1_11target_archE1201ELNS1_3gpuE5ELNS1_3repE0EEENS1_30default_config_static_selectorELNS0_4arch9wavefront6targetE0EEEvT1_.kd
    .uniform_work_group_size: 1
    .uses_dynamic_stack: false
    .vgpr_count:     0
    .vgpr_spill_count: 0
    .wavefront_size: 32
  - .args:
      - .offset:         0
        .size:           136
        .value_kind:     by_value
    .group_segment_fixed_size: 0
    .kernarg_segment_align: 8
    .kernarg_segment_size: 136
    .language:       OpenCL C
    .language_version:
      - 2
      - 0
    .max_flat_workgroup_size: 256
    .name:           _ZN7rocprim17ROCPRIM_400000_NS6detail17trampoline_kernelINS0_14default_configENS1_27scan_by_key_config_selectorIxxEEZZNS1_16scan_by_key_implILNS1_25lookback_scan_determinismE0ELb0ES3_N6thrust23THRUST_200600_302600_NS6detail15normal_iteratorINS9_10device_ptrIxEEEESE_SE_xNS9_4plusIxEE19head_flag_predicatexEE10hipError_tPvRmT2_T3_T4_T5_mT6_T7_P12ihipStream_tbENKUlT_T0_E_clISt17integral_constantIbLb1EESX_IbLb0EEEEDaST_SU_EUlST_E_NS1_11comp_targetILNS1_3genE5ELNS1_11target_archE942ELNS1_3gpuE9ELNS1_3repE0EEENS1_30default_config_static_selectorELNS0_4arch9wavefront6targetE0EEEvT1_
    .private_segment_fixed_size: 0
    .sgpr_count:     0
    .sgpr_spill_count: 0
    .symbol:         _ZN7rocprim17ROCPRIM_400000_NS6detail17trampoline_kernelINS0_14default_configENS1_27scan_by_key_config_selectorIxxEEZZNS1_16scan_by_key_implILNS1_25lookback_scan_determinismE0ELb0ES3_N6thrust23THRUST_200600_302600_NS6detail15normal_iteratorINS9_10device_ptrIxEEEESE_SE_xNS9_4plusIxEE19head_flag_predicatexEE10hipError_tPvRmT2_T3_T4_T5_mT6_T7_P12ihipStream_tbENKUlT_T0_E_clISt17integral_constantIbLb1EESX_IbLb0EEEEDaST_SU_EUlST_E_NS1_11comp_targetILNS1_3genE5ELNS1_11target_archE942ELNS1_3gpuE9ELNS1_3repE0EEENS1_30default_config_static_selectorELNS0_4arch9wavefront6targetE0EEEvT1_.kd
    .uniform_work_group_size: 1
    .uses_dynamic_stack: false
    .vgpr_count:     0
    .vgpr_spill_count: 0
    .wavefront_size: 32
  - .args:
      - .offset:         0
        .size:           136
        .value_kind:     by_value
    .group_segment_fixed_size: 0
    .kernarg_segment_align: 8
    .kernarg_segment_size: 136
    .language:       OpenCL C
    .language_version:
      - 2
      - 0
    .max_flat_workgroup_size: 64
    .name:           _ZN7rocprim17ROCPRIM_400000_NS6detail17trampoline_kernelINS0_14default_configENS1_27scan_by_key_config_selectorIxxEEZZNS1_16scan_by_key_implILNS1_25lookback_scan_determinismE0ELb0ES3_N6thrust23THRUST_200600_302600_NS6detail15normal_iteratorINS9_10device_ptrIxEEEESE_SE_xNS9_4plusIxEE19head_flag_predicatexEE10hipError_tPvRmT2_T3_T4_T5_mT6_T7_P12ihipStream_tbENKUlT_T0_E_clISt17integral_constantIbLb1EESX_IbLb0EEEEDaST_SU_EUlST_E_NS1_11comp_targetILNS1_3genE4ELNS1_11target_archE910ELNS1_3gpuE8ELNS1_3repE0EEENS1_30default_config_static_selectorELNS0_4arch9wavefront6targetE0EEEvT1_
    .private_segment_fixed_size: 0
    .sgpr_count:     0
    .sgpr_spill_count: 0
    .symbol:         _ZN7rocprim17ROCPRIM_400000_NS6detail17trampoline_kernelINS0_14default_configENS1_27scan_by_key_config_selectorIxxEEZZNS1_16scan_by_key_implILNS1_25lookback_scan_determinismE0ELb0ES3_N6thrust23THRUST_200600_302600_NS6detail15normal_iteratorINS9_10device_ptrIxEEEESE_SE_xNS9_4plusIxEE19head_flag_predicatexEE10hipError_tPvRmT2_T3_T4_T5_mT6_T7_P12ihipStream_tbENKUlT_T0_E_clISt17integral_constantIbLb1EESX_IbLb0EEEEDaST_SU_EUlST_E_NS1_11comp_targetILNS1_3genE4ELNS1_11target_archE910ELNS1_3gpuE8ELNS1_3repE0EEENS1_30default_config_static_selectorELNS0_4arch9wavefront6targetE0EEEvT1_.kd
    .uniform_work_group_size: 1
    .uses_dynamic_stack: false
    .vgpr_count:     0
    .vgpr_spill_count: 0
    .wavefront_size: 32
  - .args:
      - .offset:         0
        .size:           136
        .value_kind:     by_value
    .group_segment_fixed_size: 0
    .kernarg_segment_align: 8
    .kernarg_segment_size: 136
    .language:       OpenCL C
    .language_version:
      - 2
      - 0
    .max_flat_workgroup_size: 256
    .name:           _ZN7rocprim17ROCPRIM_400000_NS6detail17trampoline_kernelINS0_14default_configENS1_27scan_by_key_config_selectorIxxEEZZNS1_16scan_by_key_implILNS1_25lookback_scan_determinismE0ELb0ES3_N6thrust23THRUST_200600_302600_NS6detail15normal_iteratorINS9_10device_ptrIxEEEESE_SE_xNS9_4plusIxEE19head_flag_predicatexEE10hipError_tPvRmT2_T3_T4_T5_mT6_T7_P12ihipStream_tbENKUlT_T0_E_clISt17integral_constantIbLb1EESX_IbLb0EEEEDaST_SU_EUlST_E_NS1_11comp_targetILNS1_3genE3ELNS1_11target_archE908ELNS1_3gpuE7ELNS1_3repE0EEENS1_30default_config_static_selectorELNS0_4arch9wavefront6targetE0EEEvT1_
    .private_segment_fixed_size: 0
    .sgpr_count:     0
    .sgpr_spill_count: 0
    .symbol:         _ZN7rocprim17ROCPRIM_400000_NS6detail17trampoline_kernelINS0_14default_configENS1_27scan_by_key_config_selectorIxxEEZZNS1_16scan_by_key_implILNS1_25lookback_scan_determinismE0ELb0ES3_N6thrust23THRUST_200600_302600_NS6detail15normal_iteratorINS9_10device_ptrIxEEEESE_SE_xNS9_4plusIxEE19head_flag_predicatexEE10hipError_tPvRmT2_T3_T4_T5_mT6_T7_P12ihipStream_tbENKUlT_T0_E_clISt17integral_constantIbLb1EESX_IbLb0EEEEDaST_SU_EUlST_E_NS1_11comp_targetILNS1_3genE3ELNS1_11target_archE908ELNS1_3gpuE7ELNS1_3repE0EEENS1_30default_config_static_selectorELNS0_4arch9wavefront6targetE0EEEvT1_.kd
    .uniform_work_group_size: 1
    .uses_dynamic_stack: false
    .vgpr_count:     0
    .vgpr_spill_count: 0
    .wavefront_size: 32
  - .args:
      - .offset:         0
        .size:           136
        .value_kind:     by_value
    .group_segment_fixed_size: 0
    .kernarg_segment_align: 8
    .kernarg_segment_size: 136
    .language:       OpenCL C
    .language_version:
      - 2
      - 0
    .max_flat_workgroup_size: 256
    .name:           _ZN7rocprim17ROCPRIM_400000_NS6detail17trampoline_kernelINS0_14default_configENS1_27scan_by_key_config_selectorIxxEEZZNS1_16scan_by_key_implILNS1_25lookback_scan_determinismE0ELb0ES3_N6thrust23THRUST_200600_302600_NS6detail15normal_iteratorINS9_10device_ptrIxEEEESE_SE_xNS9_4plusIxEE19head_flag_predicatexEE10hipError_tPvRmT2_T3_T4_T5_mT6_T7_P12ihipStream_tbENKUlT_T0_E_clISt17integral_constantIbLb1EESX_IbLb0EEEEDaST_SU_EUlST_E_NS1_11comp_targetILNS1_3genE2ELNS1_11target_archE906ELNS1_3gpuE6ELNS1_3repE0EEENS1_30default_config_static_selectorELNS0_4arch9wavefront6targetE0EEEvT1_
    .private_segment_fixed_size: 0
    .sgpr_count:     0
    .sgpr_spill_count: 0
    .symbol:         _ZN7rocprim17ROCPRIM_400000_NS6detail17trampoline_kernelINS0_14default_configENS1_27scan_by_key_config_selectorIxxEEZZNS1_16scan_by_key_implILNS1_25lookback_scan_determinismE0ELb0ES3_N6thrust23THRUST_200600_302600_NS6detail15normal_iteratorINS9_10device_ptrIxEEEESE_SE_xNS9_4plusIxEE19head_flag_predicatexEE10hipError_tPvRmT2_T3_T4_T5_mT6_T7_P12ihipStream_tbENKUlT_T0_E_clISt17integral_constantIbLb1EESX_IbLb0EEEEDaST_SU_EUlST_E_NS1_11comp_targetILNS1_3genE2ELNS1_11target_archE906ELNS1_3gpuE6ELNS1_3repE0EEENS1_30default_config_static_selectorELNS0_4arch9wavefront6targetE0EEEvT1_.kd
    .uniform_work_group_size: 1
    .uses_dynamic_stack: false
    .vgpr_count:     0
    .vgpr_spill_count: 0
    .wavefront_size: 32
  - .args:
      - .offset:         0
        .size:           136
        .value_kind:     by_value
    .group_segment_fixed_size: 0
    .kernarg_segment_align: 8
    .kernarg_segment_size: 136
    .language:       OpenCL C
    .language_version:
      - 2
      - 0
    .max_flat_workgroup_size: 256
    .name:           _ZN7rocprim17ROCPRIM_400000_NS6detail17trampoline_kernelINS0_14default_configENS1_27scan_by_key_config_selectorIxxEEZZNS1_16scan_by_key_implILNS1_25lookback_scan_determinismE0ELb0ES3_N6thrust23THRUST_200600_302600_NS6detail15normal_iteratorINS9_10device_ptrIxEEEESE_SE_xNS9_4plusIxEE19head_flag_predicatexEE10hipError_tPvRmT2_T3_T4_T5_mT6_T7_P12ihipStream_tbENKUlT_T0_E_clISt17integral_constantIbLb1EESX_IbLb0EEEEDaST_SU_EUlST_E_NS1_11comp_targetILNS1_3genE10ELNS1_11target_archE1200ELNS1_3gpuE4ELNS1_3repE0EEENS1_30default_config_static_selectorELNS0_4arch9wavefront6targetE0EEEvT1_
    .private_segment_fixed_size: 0
    .sgpr_count:     0
    .sgpr_spill_count: 0
    .symbol:         _ZN7rocprim17ROCPRIM_400000_NS6detail17trampoline_kernelINS0_14default_configENS1_27scan_by_key_config_selectorIxxEEZZNS1_16scan_by_key_implILNS1_25lookback_scan_determinismE0ELb0ES3_N6thrust23THRUST_200600_302600_NS6detail15normal_iteratorINS9_10device_ptrIxEEEESE_SE_xNS9_4plusIxEE19head_flag_predicatexEE10hipError_tPvRmT2_T3_T4_T5_mT6_T7_P12ihipStream_tbENKUlT_T0_E_clISt17integral_constantIbLb1EESX_IbLb0EEEEDaST_SU_EUlST_E_NS1_11comp_targetILNS1_3genE10ELNS1_11target_archE1200ELNS1_3gpuE4ELNS1_3repE0EEENS1_30default_config_static_selectorELNS0_4arch9wavefront6targetE0EEEvT1_.kd
    .uniform_work_group_size: 1
    .uses_dynamic_stack: false
    .vgpr_count:     0
    .vgpr_spill_count: 0
    .wavefront_size: 32
  - .args:
      - .offset:         0
        .size:           136
        .value_kind:     by_value
    .group_segment_fixed_size: 0
    .kernarg_segment_align: 8
    .kernarg_segment_size: 136
    .language:       OpenCL C
    .language_version:
      - 2
      - 0
    .max_flat_workgroup_size: 256
    .name:           _ZN7rocprim17ROCPRIM_400000_NS6detail17trampoline_kernelINS0_14default_configENS1_27scan_by_key_config_selectorIxxEEZZNS1_16scan_by_key_implILNS1_25lookback_scan_determinismE0ELb0ES3_N6thrust23THRUST_200600_302600_NS6detail15normal_iteratorINS9_10device_ptrIxEEEESE_SE_xNS9_4plusIxEE19head_flag_predicatexEE10hipError_tPvRmT2_T3_T4_T5_mT6_T7_P12ihipStream_tbENKUlT_T0_E_clISt17integral_constantIbLb1EESX_IbLb0EEEEDaST_SU_EUlST_E_NS1_11comp_targetILNS1_3genE9ELNS1_11target_archE1100ELNS1_3gpuE3ELNS1_3repE0EEENS1_30default_config_static_selectorELNS0_4arch9wavefront6targetE0EEEvT1_
    .private_segment_fixed_size: 0
    .sgpr_count:     0
    .sgpr_spill_count: 0
    .symbol:         _ZN7rocprim17ROCPRIM_400000_NS6detail17trampoline_kernelINS0_14default_configENS1_27scan_by_key_config_selectorIxxEEZZNS1_16scan_by_key_implILNS1_25lookback_scan_determinismE0ELb0ES3_N6thrust23THRUST_200600_302600_NS6detail15normal_iteratorINS9_10device_ptrIxEEEESE_SE_xNS9_4plusIxEE19head_flag_predicatexEE10hipError_tPvRmT2_T3_T4_T5_mT6_T7_P12ihipStream_tbENKUlT_T0_E_clISt17integral_constantIbLb1EESX_IbLb0EEEEDaST_SU_EUlST_E_NS1_11comp_targetILNS1_3genE9ELNS1_11target_archE1100ELNS1_3gpuE3ELNS1_3repE0EEENS1_30default_config_static_selectorELNS0_4arch9wavefront6targetE0EEEvT1_.kd
    .uniform_work_group_size: 1
    .uses_dynamic_stack: false
    .vgpr_count:     0
    .vgpr_spill_count: 0
    .wavefront_size: 32
  - .args:
      - .offset:         0
        .size:           136
        .value_kind:     by_value
    .group_segment_fixed_size: 0
    .kernarg_segment_align: 8
    .kernarg_segment_size: 136
    .language:       OpenCL C
    .language_version:
      - 2
      - 0
    .max_flat_workgroup_size: 256
    .name:           _ZN7rocprim17ROCPRIM_400000_NS6detail17trampoline_kernelINS0_14default_configENS1_27scan_by_key_config_selectorIxxEEZZNS1_16scan_by_key_implILNS1_25lookback_scan_determinismE0ELb0ES3_N6thrust23THRUST_200600_302600_NS6detail15normal_iteratorINS9_10device_ptrIxEEEESE_SE_xNS9_4plusIxEE19head_flag_predicatexEE10hipError_tPvRmT2_T3_T4_T5_mT6_T7_P12ihipStream_tbENKUlT_T0_E_clISt17integral_constantIbLb1EESX_IbLb0EEEEDaST_SU_EUlST_E_NS1_11comp_targetILNS1_3genE8ELNS1_11target_archE1030ELNS1_3gpuE2ELNS1_3repE0EEENS1_30default_config_static_selectorELNS0_4arch9wavefront6targetE0EEEvT1_
    .private_segment_fixed_size: 0
    .sgpr_count:     0
    .sgpr_spill_count: 0
    .symbol:         _ZN7rocprim17ROCPRIM_400000_NS6detail17trampoline_kernelINS0_14default_configENS1_27scan_by_key_config_selectorIxxEEZZNS1_16scan_by_key_implILNS1_25lookback_scan_determinismE0ELb0ES3_N6thrust23THRUST_200600_302600_NS6detail15normal_iteratorINS9_10device_ptrIxEEEESE_SE_xNS9_4plusIxEE19head_flag_predicatexEE10hipError_tPvRmT2_T3_T4_T5_mT6_T7_P12ihipStream_tbENKUlT_T0_E_clISt17integral_constantIbLb1EESX_IbLb0EEEEDaST_SU_EUlST_E_NS1_11comp_targetILNS1_3genE8ELNS1_11target_archE1030ELNS1_3gpuE2ELNS1_3repE0EEENS1_30default_config_static_selectorELNS0_4arch9wavefront6targetE0EEEvT1_.kd
    .uniform_work_group_size: 1
    .uses_dynamic_stack: false
    .vgpr_count:     0
    .vgpr_spill_count: 0
    .wavefront_size: 32
  - .args:
      - .offset:         0
        .size:           136
        .value_kind:     by_value
    .group_segment_fixed_size: 32768
    .kernarg_segment_align: 8
    .kernarg_segment_size: 136
    .language:       OpenCL C
    .language_version:
      - 2
      - 0
    .max_flat_workgroup_size: 256
    .name:           _ZN7rocprim17ROCPRIM_400000_NS6detail17trampoline_kernelINS0_14default_configENS1_27scan_by_key_config_selectorIxxEEZZNS1_16scan_by_key_implILNS1_25lookback_scan_determinismE0ELb0ES3_N6thrust23THRUST_200600_302600_NS6detail15normal_iteratorINS9_10device_ptrIxEEEESE_SE_xNS9_4plusIxEE19head_flag_predicatexEE10hipError_tPvRmT2_T3_T4_T5_mT6_T7_P12ihipStream_tbENKUlT_T0_E_clISt17integral_constantIbLb0EESX_IbLb1EEEEDaST_SU_EUlST_E_NS1_11comp_targetILNS1_3genE0ELNS1_11target_archE4294967295ELNS1_3gpuE0ELNS1_3repE0EEENS1_30default_config_static_selectorELNS0_4arch9wavefront6targetE0EEEvT1_
    .private_segment_fixed_size: 0
    .sgpr_count:     57
    .sgpr_spill_count: 0
    .symbol:         _ZN7rocprim17ROCPRIM_400000_NS6detail17trampoline_kernelINS0_14default_configENS1_27scan_by_key_config_selectorIxxEEZZNS1_16scan_by_key_implILNS1_25lookback_scan_determinismE0ELb0ES3_N6thrust23THRUST_200600_302600_NS6detail15normal_iteratorINS9_10device_ptrIxEEEESE_SE_xNS9_4plusIxEE19head_flag_predicatexEE10hipError_tPvRmT2_T3_T4_T5_mT6_T7_P12ihipStream_tbENKUlT_T0_E_clISt17integral_constantIbLb0EESX_IbLb1EEEEDaST_SU_EUlST_E_NS1_11comp_targetILNS1_3genE0ELNS1_11target_archE4294967295ELNS1_3gpuE0ELNS1_3repE0EEENS1_30default_config_static_selectorELNS0_4arch9wavefront6targetE0EEEvT1_.kd
    .uniform_work_group_size: 1
    .uses_dynamic_stack: false
    .vgpr_count:     106
    .vgpr_spill_count: 0
    .wavefront_size: 32
  - .args:
      - .offset:         0
        .size:           136
        .value_kind:     by_value
    .group_segment_fixed_size: 0
    .kernarg_segment_align: 8
    .kernarg_segment_size: 136
    .language:       OpenCL C
    .language_version:
      - 2
      - 0
    .max_flat_workgroup_size: 256
    .name:           _ZN7rocprim17ROCPRIM_400000_NS6detail17trampoline_kernelINS0_14default_configENS1_27scan_by_key_config_selectorIxxEEZZNS1_16scan_by_key_implILNS1_25lookback_scan_determinismE0ELb0ES3_N6thrust23THRUST_200600_302600_NS6detail15normal_iteratorINS9_10device_ptrIxEEEESE_SE_xNS9_4plusIxEE19head_flag_predicatexEE10hipError_tPvRmT2_T3_T4_T5_mT6_T7_P12ihipStream_tbENKUlT_T0_E_clISt17integral_constantIbLb0EESX_IbLb1EEEEDaST_SU_EUlST_E_NS1_11comp_targetILNS1_3genE10ELNS1_11target_archE1201ELNS1_3gpuE5ELNS1_3repE0EEENS1_30default_config_static_selectorELNS0_4arch9wavefront6targetE0EEEvT1_
    .private_segment_fixed_size: 0
    .sgpr_count:     0
    .sgpr_spill_count: 0
    .symbol:         _ZN7rocprim17ROCPRIM_400000_NS6detail17trampoline_kernelINS0_14default_configENS1_27scan_by_key_config_selectorIxxEEZZNS1_16scan_by_key_implILNS1_25lookback_scan_determinismE0ELb0ES3_N6thrust23THRUST_200600_302600_NS6detail15normal_iteratorINS9_10device_ptrIxEEEESE_SE_xNS9_4plusIxEE19head_flag_predicatexEE10hipError_tPvRmT2_T3_T4_T5_mT6_T7_P12ihipStream_tbENKUlT_T0_E_clISt17integral_constantIbLb0EESX_IbLb1EEEEDaST_SU_EUlST_E_NS1_11comp_targetILNS1_3genE10ELNS1_11target_archE1201ELNS1_3gpuE5ELNS1_3repE0EEENS1_30default_config_static_selectorELNS0_4arch9wavefront6targetE0EEEvT1_.kd
    .uniform_work_group_size: 1
    .uses_dynamic_stack: false
    .vgpr_count:     0
    .vgpr_spill_count: 0
    .wavefront_size: 32
  - .args:
      - .offset:         0
        .size:           136
        .value_kind:     by_value
    .group_segment_fixed_size: 0
    .kernarg_segment_align: 8
    .kernarg_segment_size: 136
    .language:       OpenCL C
    .language_version:
      - 2
      - 0
    .max_flat_workgroup_size: 256
    .name:           _ZN7rocprim17ROCPRIM_400000_NS6detail17trampoline_kernelINS0_14default_configENS1_27scan_by_key_config_selectorIxxEEZZNS1_16scan_by_key_implILNS1_25lookback_scan_determinismE0ELb0ES3_N6thrust23THRUST_200600_302600_NS6detail15normal_iteratorINS9_10device_ptrIxEEEESE_SE_xNS9_4plusIxEE19head_flag_predicatexEE10hipError_tPvRmT2_T3_T4_T5_mT6_T7_P12ihipStream_tbENKUlT_T0_E_clISt17integral_constantIbLb0EESX_IbLb1EEEEDaST_SU_EUlST_E_NS1_11comp_targetILNS1_3genE5ELNS1_11target_archE942ELNS1_3gpuE9ELNS1_3repE0EEENS1_30default_config_static_selectorELNS0_4arch9wavefront6targetE0EEEvT1_
    .private_segment_fixed_size: 0
    .sgpr_count:     0
    .sgpr_spill_count: 0
    .symbol:         _ZN7rocprim17ROCPRIM_400000_NS6detail17trampoline_kernelINS0_14default_configENS1_27scan_by_key_config_selectorIxxEEZZNS1_16scan_by_key_implILNS1_25lookback_scan_determinismE0ELb0ES3_N6thrust23THRUST_200600_302600_NS6detail15normal_iteratorINS9_10device_ptrIxEEEESE_SE_xNS9_4plusIxEE19head_flag_predicatexEE10hipError_tPvRmT2_T3_T4_T5_mT6_T7_P12ihipStream_tbENKUlT_T0_E_clISt17integral_constantIbLb0EESX_IbLb1EEEEDaST_SU_EUlST_E_NS1_11comp_targetILNS1_3genE5ELNS1_11target_archE942ELNS1_3gpuE9ELNS1_3repE0EEENS1_30default_config_static_selectorELNS0_4arch9wavefront6targetE0EEEvT1_.kd
    .uniform_work_group_size: 1
    .uses_dynamic_stack: false
    .vgpr_count:     0
    .vgpr_spill_count: 0
    .wavefront_size: 32
  - .args:
      - .offset:         0
        .size:           136
        .value_kind:     by_value
    .group_segment_fixed_size: 0
    .kernarg_segment_align: 8
    .kernarg_segment_size: 136
    .language:       OpenCL C
    .language_version:
      - 2
      - 0
    .max_flat_workgroup_size: 64
    .name:           _ZN7rocprim17ROCPRIM_400000_NS6detail17trampoline_kernelINS0_14default_configENS1_27scan_by_key_config_selectorIxxEEZZNS1_16scan_by_key_implILNS1_25lookback_scan_determinismE0ELb0ES3_N6thrust23THRUST_200600_302600_NS6detail15normal_iteratorINS9_10device_ptrIxEEEESE_SE_xNS9_4plusIxEE19head_flag_predicatexEE10hipError_tPvRmT2_T3_T4_T5_mT6_T7_P12ihipStream_tbENKUlT_T0_E_clISt17integral_constantIbLb0EESX_IbLb1EEEEDaST_SU_EUlST_E_NS1_11comp_targetILNS1_3genE4ELNS1_11target_archE910ELNS1_3gpuE8ELNS1_3repE0EEENS1_30default_config_static_selectorELNS0_4arch9wavefront6targetE0EEEvT1_
    .private_segment_fixed_size: 0
    .sgpr_count:     0
    .sgpr_spill_count: 0
    .symbol:         _ZN7rocprim17ROCPRIM_400000_NS6detail17trampoline_kernelINS0_14default_configENS1_27scan_by_key_config_selectorIxxEEZZNS1_16scan_by_key_implILNS1_25lookback_scan_determinismE0ELb0ES3_N6thrust23THRUST_200600_302600_NS6detail15normal_iteratorINS9_10device_ptrIxEEEESE_SE_xNS9_4plusIxEE19head_flag_predicatexEE10hipError_tPvRmT2_T3_T4_T5_mT6_T7_P12ihipStream_tbENKUlT_T0_E_clISt17integral_constantIbLb0EESX_IbLb1EEEEDaST_SU_EUlST_E_NS1_11comp_targetILNS1_3genE4ELNS1_11target_archE910ELNS1_3gpuE8ELNS1_3repE0EEENS1_30default_config_static_selectorELNS0_4arch9wavefront6targetE0EEEvT1_.kd
    .uniform_work_group_size: 1
    .uses_dynamic_stack: false
    .vgpr_count:     0
    .vgpr_spill_count: 0
    .wavefront_size: 32
  - .args:
      - .offset:         0
        .size:           136
        .value_kind:     by_value
    .group_segment_fixed_size: 0
    .kernarg_segment_align: 8
    .kernarg_segment_size: 136
    .language:       OpenCL C
    .language_version:
      - 2
      - 0
    .max_flat_workgroup_size: 256
    .name:           _ZN7rocprim17ROCPRIM_400000_NS6detail17trampoline_kernelINS0_14default_configENS1_27scan_by_key_config_selectorIxxEEZZNS1_16scan_by_key_implILNS1_25lookback_scan_determinismE0ELb0ES3_N6thrust23THRUST_200600_302600_NS6detail15normal_iteratorINS9_10device_ptrIxEEEESE_SE_xNS9_4plusIxEE19head_flag_predicatexEE10hipError_tPvRmT2_T3_T4_T5_mT6_T7_P12ihipStream_tbENKUlT_T0_E_clISt17integral_constantIbLb0EESX_IbLb1EEEEDaST_SU_EUlST_E_NS1_11comp_targetILNS1_3genE3ELNS1_11target_archE908ELNS1_3gpuE7ELNS1_3repE0EEENS1_30default_config_static_selectorELNS0_4arch9wavefront6targetE0EEEvT1_
    .private_segment_fixed_size: 0
    .sgpr_count:     0
    .sgpr_spill_count: 0
    .symbol:         _ZN7rocprim17ROCPRIM_400000_NS6detail17trampoline_kernelINS0_14default_configENS1_27scan_by_key_config_selectorIxxEEZZNS1_16scan_by_key_implILNS1_25lookback_scan_determinismE0ELb0ES3_N6thrust23THRUST_200600_302600_NS6detail15normal_iteratorINS9_10device_ptrIxEEEESE_SE_xNS9_4plusIxEE19head_flag_predicatexEE10hipError_tPvRmT2_T3_T4_T5_mT6_T7_P12ihipStream_tbENKUlT_T0_E_clISt17integral_constantIbLb0EESX_IbLb1EEEEDaST_SU_EUlST_E_NS1_11comp_targetILNS1_3genE3ELNS1_11target_archE908ELNS1_3gpuE7ELNS1_3repE0EEENS1_30default_config_static_selectorELNS0_4arch9wavefront6targetE0EEEvT1_.kd
    .uniform_work_group_size: 1
    .uses_dynamic_stack: false
    .vgpr_count:     0
    .vgpr_spill_count: 0
    .wavefront_size: 32
  - .args:
      - .offset:         0
        .size:           136
        .value_kind:     by_value
    .group_segment_fixed_size: 0
    .kernarg_segment_align: 8
    .kernarg_segment_size: 136
    .language:       OpenCL C
    .language_version:
      - 2
      - 0
    .max_flat_workgroup_size: 256
    .name:           _ZN7rocprim17ROCPRIM_400000_NS6detail17trampoline_kernelINS0_14default_configENS1_27scan_by_key_config_selectorIxxEEZZNS1_16scan_by_key_implILNS1_25lookback_scan_determinismE0ELb0ES3_N6thrust23THRUST_200600_302600_NS6detail15normal_iteratorINS9_10device_ptrIxEEEESE_SE_xNS9_4plusIxEE19head_flag_predicatexEE10hipError_tPvRmT2_T3_T4_T5_mT6_T7_P12ihipStream_tbENKUlT_T0_E_clISt17integral_constantIbLb0EESX_IbLb1EEEEDaST_SU_EUlST_E_NS1_11comp_targetILNS1_3genE2ELNS1_11target_archE906ELNS1_3gpuE6ELNS1_3repE0EEENS1_30default_config_static_selectorELNS0_4arch9wavefront6targetE0EEEvT1_
    .private_segment_fixed_size: 0
    .sgpr_count:     0
    .sgpr_spill_count: 0
    .symbol:         _ZN7rocprim17ROCPRIM_400000_NS6detail17trampoline_kernelINS0_14default_configENS1_27scan_by_key_config_selectorIxxEEZZNS1_16scan_by_key_implILNS1_25lookback_scan_determinismE0ELb0ES3_N6thrust23THRUST_200600_302600_NS6detail15normal_iteratorINS9_10device_ptrIxEEEESE_SE_xNS9_4plusIxEE19head_flag_predicatexEE10hipError_tPvRmT2_T3_T4_T5_mT6_T7_P12ihipStream_tbENKUlT_T0_E_clISt17integral_constantIbLb0EESX_IbLb1EEEEDaST_SU_EUlST_E_NS1_11comp_targetILNS1_3genE2ELNS1_11target_archE906ELNS1_3gpuE6ELNS1_3repE0EEENS1_30default_config_static_selectorELNS0_4arch9wavefront6targetE0EEEvT1_.kd
    .uniform_work_group_size: 1
    .uses_dynamic_stack: false
    .vgpr_count:     0
    .vgpr_spill_count: 0
    .wavefront_size: 32
  - .args:
      - .offset:         0
        .size:           136
        .value_kind:     by_value
    .group_segment_fixed_size: 0
    .kernarg_segment_align: 8
    .kernarg_segment_size: 136
    .language:       OpenCL C
    .language_version:
      - 2
      - 0
    .max_flat_workgroup_size: 256
    .name:           _ZN7rocprim17ROCPRIM_400000_NS6detail17trampoline_kernelINS0_14default_configENS1_27scan_by_key_config_selectorIxxEEZZNS1_16scan_by_key_implILNS1_25lookback_scan_determinismE0ELb0ES3_N6thrust23THRUST_200600_302600_NS6detail15normal_iteratorINS9_10device_ptrIxEEEESE_SE_xNS9_4plusIxEE19head_flag_predicatexEE10hipError_tPvRmT2_T3_T4_T5_mT6_T7_P12ihipStream_tbENKUlT_T0_E_clISt17integral_constantIbLb0EESX_IbLb1EEEEDaST_SU_EUlST_E_NS1_11comp_targetILNS1_3genE10ELNS1_11target_archE1200ELNS1_3gpuE4ELNS1_3repE0EEENS1_30default_config_static_selectorELNS0_4arch9wavefront6targetE0EEEvT1_
    .private_segment_fixed_size: 0
    .sgpr_count:     0
    .sgpr_spill_count: 0
    .symbol:         _ZN7rocprim17ROCPRIM_400000_NS6detail17trampoline_kernelINS0_14default_configENS1_27scan_by_key_config_selectorIxxEEZZNS1_16scan_by_key_implILNS1_25lookback_scan_determinismE0ELb0ES3_N6thrust23THRUST_200600_302600_NS6detail15normal_iteratorINS9_10device_ptrIxEEEESE_SE_xNS9_4plusIxEE19head_flag_predicatexEE10hipError_tPvRmT2_T3_T4_T5_mT6_T7_P12ihipStream_tbENKUlT_T0_E_clISt17integral_constantIbLb0EESX_IbLb1EEEEDaST_SU_EUlST_E_NS1_11comp_targetILNS1_3genE10ELNS1_11target_archE1200ELNS1_3gpuE4ELNS1_3repE0EEENS1_30default_config_static_selectorELNS0_4arch9wavefront6targetE0EEEvT1_.kd
    .uniform_work_group_size: 1
    .uses_dynamic_stack: false
    .vgpr_count:     0
    .vgpr_spill_count: 0
    .wavefront_size: 32
  - .args:
      - .offset:         0
        .size:           136
        .value_kind:     by_value
    .group_segment_fixed_size: 0
    .kernarg_segment_align: 8
    .kernarg_segment_size: 136
    .language:       OpenCL C
    .language_version:
      - 2
      - 0
    .max_flat_workgroup_size: 256
    .name:           _ZN7rocprim17ROCPRIM_400000_NS6detail17trampoline_kernelINS0_14default_configENS1_27scan_by_key_config_selectorIxxEEZZNS1_16scan_by_key_implILNS1_25lookback_scan_determinismE0ELb0ES3_N6thrust23THRUST_200600_302600_NS6detail15normal_iteratorINS9_10device_ptrIxEEEESE_SE_xNS9_4plusIxEE19head_flag_predicatexEE10hipError_tPvRmT2_T3_T4_T5_mT6_T7_P12ihipStream_tbENKUlT_T0_E_clISt17integral_constantIbLb0EESX_IbLb1EEEEDaST_SU_EUlST_E_NS1_11comp_targetILNS1_3genE9ELNS1_11target_archE1100ELNS1_3gpuE3ELNS1_3repE0EEENS1_30default_config_static_selectorELNS0_4arch9wavefront6targetE0EEEvT1_
    .private_segment_fixed_size: 0
    .sgpr_count:     0
    .sgpr_spill_count: 0
    .symbol:         _ZN7rocprim17ROCPRIM_400000_NS6detail17trampoline_kernelINS0_14default_configENS1_27scan_by_key_config_selectorIxxEEZZNS1_16scan_by_key_implILNS1_25lookback_scan_determinismE0ELb0ES3_N6thrust23THRUST_200600_302600_NS6detail15normal_iteratorINS9_10device_ptrIxEEEESE_SE_xNS9_4plusIxEE19head_flag_predicatexEE10hipError_tPvRmT2_T3_T4_T5_mT6_T7_P12ihipStream_tbENKUlT_T0_E_clISt17integral_constantIbLb0EESX_IbLb1EEEEDaST_SU_EUlST_E_NS1_11comp_targetILNS1_3genE9ELNS1_11target_archE1100ELNS1_3gpuE3ELNS1_3repE0EEENS1_30default_config_static_selectorELNS0_4arch9wavefront6targetE0EEEvT1_.kd
    .uniform_work_group_size: 1
    .uses_dynamic_stack: false
    .vgpr_count:     0
    .vgpr_spill_count: 0
    .wavefront_size: 32
  - .args:
      - .offset:         0
        .size:           136
        .value_kind:     by_value
    .group_segment_fixed_size: 0
    .kernarg_segment_align: 8
    .kernarg_segment_size: 136
    .language:       OpenCL C
    .language_version:
      - 2
      - 0
    .max_flat_workgroup_size: 256
    .name:           _ZN7rocprim17ROCPRIM_400000_NS6detail17trampoline_kernelINS0_14default_configENS1_27scan_by_key_config_selectorIxxEEZZNS1_16scan_by_key_implILNS1_25lookback_scan_determinismE0ELb0ES3_N6thrust23THRUST_200600_302600_NS6detail15normal_iteratorINS9_10device_ptrIxEEEESE_SE_xNS9_4plusIxEE19head_flag_predicatexEE10hipError_tPvRmT2_T3_T4_T5_mT6_T7_P12ihipStream_tbENKUlT_T0_E_clISt17integral_constantIbLb0EESX_IbLb1EEEEDaST_SU_EUlST_E_NS1_11comp_targetILNS1_3genE8ELNS1_11target_archE1030ELNS1_3gpuE2ELNS1_3repE0EEENS1_30default_config_static_selectorELNS0_4arch9wavefront6targetE0EEEvT1_
    .private_segment_fixed_size: 0
    .sgpr_count:     0
    .sgpr_spill_count: 0
    .symbol:         _ZN7rocprim17ROCPRIM_400000_NS6detail17trampoline_kernelINS0_14default_configENS1_27scan_by_key_config_selectorIxxEEZZNS1_16scan_by_key_implILNS1_25lookback_scan_determinismE0ELb0ES3_N6thrust23THRUST_200600_302600_NS6detail15normal_iteratorINS9_10device_ptrIxEEEESE_SE_xNS9_4plusIxEE19head_flag_predicatexEE10hipError_tPvRmT2_T3_T4_T5_mT6_T7_P12ihipStream_tbENKUlT_T0_E_clISt17integral_constantIbLb0EESX_IbLb1EEEEDaST_SU_EUlST_E_NS1_11comp_targetILNS1_3genE8ELNS1_11target_archE1030ELNS1_3gpuE2ELNS1_3repE0EEENS1_30default_config_static_selectorELNS0_4arch9wavefront6targetE0EEEvT1_.kd
    .uniform_work_group_size: 1
    .uses_dynamic_stack: false
    .vgpr_count:     0
    .vgpr_spill_count: 0
    .wavefront_size: 32
  - .args:
      - .offset:         0
        .size:           136
        .value_kind:     by_value
    .group_segment_fixed_size: 32768
    .kernarg_segment_align: 8
    .kernarg_segment_size: 136
    .language:       OpenCL C
    .language_version:
      - 2
      - 0
    .max_flat_workgroup_size: 256
    .name:           _ZN7rocprim17ROCPRIM_400000_NS6detail17trampoline_kernelINS0_14default_configENS1_27scan_by_key_config_selectorIxxEEZZNS1_16scan_by_key_implILNS1_25lookback_scan_determinismE0ELb1ES3_N6thrust23THRUST_200600_302600_NS6detail15normal_iteratorINS9_10device_ptrIxEEEESE_SE_xNS9_4plusIxEE19head_flag_predicatexEE10hipError_tPvRmT2_T3_T4_T5_mT6_T7_P12ihipStream_tbENKUlT_T0_E_clISt17integral_constantIbLb0EESY_EEDaST_SU_EUlST_E_NS1_11comp_targetILNS1_3genE0ELNS1_11target_archE4294967295ELNS1_3gpuE0ELNS1_3repE0EEENS1_30default_config_static_selectorELNS0_4arch9wavefront6targetE0EEEvT1_
    .private_segment_fixed_size: 0
    .sgpr_count:     59
    .sgpr_spill_count: 0
    .symbol:         _ZN7rocprim17ROCPRIM_400000_NS6detail17trampoline_kernelINS0_14default_configENS1_27scan_by_key_config_selectorIxxEEZZNS1_16scan_by_key_implILNS1_25lookback_scan_determinismE0ELb1ES3_N6thrust23THRUST_200600_302600_NS6detail15normal_iteratorINS9_10device_ptrIxEEEESE_SE_xNS9_4plusIxEE19head_flag_predicatexEE10hipError_tPvRmT2_T3_T4_T5_mT6_T7_P12ihipStream_tbENKUlT_T0_E_clISt17integral_constantIbLb0EESY_EEDaST_SU_EUlST_E_NS1_11comp_targetILNS1_3genE0ELNS1_11target_archE4294967295ELNS1_3gpuE0ELNS1_3repE0EEENS1_30default_config_static_selectorELNS0_4arch9wavefront6targetE0EEEvT1_.kd
    .uniform_work_group_size: 1
    .uses_dynamic_stack: false
    .vgpr_count:     111
    .vgpr_spill_count: 0
    .wavefront_size: 32
  - .args:
      - .offset:         0
        .size:           136
        .value_kind:     by_value
    .group_segment_fixed_size: 0
    .kernarg_segment_align: 8
    .kernarg_segment_size: 136
    .language:       OpenCL C
    .language_version:
      - 2
      - 0
    .max_flat_workgroup_size: 256
    .name:           _ZN7rocprim17ROCPRIM_400000_NS6detail17trampoline_kernelINS0_14default_configENS1_27scan_by_key_config_selectorIxxEEZZNS1_16scan_by_key_implILNS1_25lookback_scan_determinismE0ELb1ES3_N6thrust23THRUST_200600_302600_NS6detail15normal_iteratorINS9_10device_ptrIxEEEESE_SE_xNS9_4plusIxEE19head_flag_predicatexEE10hipError_tPvRmT2_T3_T4_T5_mT6_T7_P12ihipStream_tbENKUlT_T0_E_clISt17integral_constantIbLb0EESY_EEDaST_SU_EUlST_E_NS1_11comp_targetILNS1_3genE10ELNS1_11target_archE1201ELNS1_3gpuE5ELNS1_3repE0EEENS1_30default_config_static_selectorELNS0_4arch9wavefront6targetE0EEEvT1_
    .private_segment_fixed_size: 0
    .sgpr_count:     0
    .sgpr_spill_count: 0
    .symbol:         _ZN7rocprim17ROCPRIM_400000_NS6detail17trampoline_kernelINS0_14default_configENS1_27scan_by_key_config_selectorIxxEEZZNS1_16scan_by_key_implILNS1_25lookback_scan_determinismE0ELb1ES3_N6thrust23THRUST_200600_302600_NS6detail15normal_iteratorINS9_10device_ptrIxEEEESE_SE_xNS9_4plusIxEE19head_flag_predicatexEE10hipError_tPvRmT2_T3_T4_T5_mT6_T7_P12ihipStream_tbENKUlT_T0_E_clISt17integral_constantIbLb0EESY_EEDaST_SU_EUlST_E_NS1_11comp_targetILNS1_3genE10ELNS1_11target_archE1201ELNS1_3gpuE5ELNS1_3repE0EEENS1_30default_config_static_selectorELNS0_4arch9wavefront6targetE0EEEvT1_.kd
    .uniform_work_group_size: 1
    .uses_dynamic_stack: false
    .vgpr_count:     0
    .vgpr_spill_count: 0
    .wavefront_size: 32
  - .args:
      - .offset:         0
        .size:           136
        .value_kind:     by_value
    .group_segment_fixed_size: 0
    .kernarg_segment_align: 8
    .kernarg_segment_size: 136
    .language:       OpenCL C
    .language_version:
      - 2
      - 0
    .max_flat_workgroup_size: 256
    .name:           _ZN7rocprim17ROCPRIM_400000_NS6detail17trampoline_kernelINS0_14default_configENS1_27scan_by_key_config_selectorIxxEEZZNS1_16scan_by_key_implILNS1_25lookback_scan_determinismE0ELb1ES3_N6thrust23THRUST_200600_302600_NS6detail15normal_iteratorINS9_10device_ptrIxEEEESE_SE_xNS9_4plusIxEE19head_flag_predicatexEE10hipError_tPvRmT2_T3_T4_T5_mT6_T7_P12ihipStream_tbENKUlT_T0_E_clISt17integral_constantIbLb0EESY_EEDaST_SU_EUlST_E_NS1_11comp_targetILNS1_3genE5ELNS1_11target_archE942ELNS1_3gpuE9ELNS1_3repE0EEENS1_30default_config_static_selectorELNS0_4arch9wavefront6targetE0EEEvT1_
    .private_segment_fixed_size: 0
    .sgpr_count:     0
    .sgpr_spill_count: 0
    .symbol:         _ZN7rocprim17ROCPRIM_400000_NS6detail17trampoline_kernelINS0_14default_configENS1_27scan_by_key_config_selectorIxxEEZZNS1_16scan_by_key_implILNS1_25lookback_scan_determinismE0ELb1ES3_N6thrust23THRUST_200600_302600_NS6detail15normal_iteratorINS9_10device_ptrIxEEEESE_SE_xNS9_4plusIxEE19head_flag_predicatexEE10hipError_tPvRmT2_T3_T4_T5_mT6_T7_P12ihipStream_tbENKUlT_T0_E_clISt17integral_constantIbLb0EESY_EEDaST_SU_EUlST_E_NS1_11comp_targetILNS1_3genE5ELNS1_11target_archE942ELNS1_3gpuE9ELNS1_3repE0EEENS1_30default_config_static_selectorELNS0_4arch9wavefront6targetE0EEEvT1_.kd
    .uniform_work_group_size: 1
    .uses_dynamic_stack: false
    .vgpr_count:     0
    .vgpr_spill_count: 0
    .wavefront_size: 32
  - .args:
      - .offset:         0
        .size:           136
        .value_kind:     by_value
    .group_segment_fixed_size: 0
    .kernarg_segment_align: 8
    .kernarg_segment_size: 136
    .language:       OpenCL C
    .language_version:
      - 2
      - 0
    .max_flat_workgroup_size: 64
    .name:           _ZN7rocprim17ROCPRIM_400000_NS6detail17trampoline_kernelINS0_14default_configENS1_27scan_by_key_config_selectorIxxEEZZNS1_16scan_by_key_implILNS1_25lookback_scan_determinismE0ELb1ES3_N6thrust23THRUST_200600_302600_NS6detail15normal_iteratorINS9_10device_ptrIxEEEESE_SE_xNS9_4plusIxEE19head_flag_predicatexEE10hipError_tPvRmT2_T3_T4_T5_mT6_T7_P12ihipStream_tbENKUlT_T0_E_clISt17integral_constantIbLb0EESY_EEDaST_SU_EUlST_E_NS1_11comp_targetILNS1_3genE4ELNS1_11target_archE910ELNS1_3gpuE8ELNS1_3repE0EEENS1_30default_config_static_selectorELNS0_4arch9wavefront6targetE0EEEvT1_
    .private_segment_fixed_size: 0
    .sgpr_count:     0
    .sgpr_spill_count: 0
    .symbol:         _ZN7rocprim17ROCPRIM_400000_NS6detail17trampoline_kernelINS0_14default_configENS1_27scan_by_key_config_selectorIxxEEZZNS1_16scan_by_key_implILNS1_25lookback_scan_determinismE0ELb1ES3_N6thrust23THRUST_200600_302600_NS6detail15normal_iteratorINS9_10device_ptrIxEEEESE_SE_xNS9_4plusIxEE19head_flag_predicatexEE10hipError_tPvRmT2_T3_T4_T5_mT6_T7_P12ihipStream_tbENKUlT_T0_E_clISt17integral_constantIbLb0EESY_EEDaST_SU_EUlST_E_NS1_11comp_targetILNS1_3genE4ELNS1_11target_archE910ELNS1_3gpuE8ELNS1_3repE0EEENS1_30default_config_static_selectorELNS0_4arch9wavefront6targetE0EEEvT1_.kd
    .uniform_work_group_size: 1
    .uses_dynamic_stack: false
    .vgpr_count:     0
    .vgpr_spill_count: 0
    .wavefront_size: 32
  - .args:
      - .offset:         0
        .size:           136
        .value_kind:     by_value
    .group_segment_fixed_size: 0
    .kernarg_segment_align: 8
    .kernarg_segment_size: 136
    .language:       OpenCL C
    .language_version:
      - 2
      - 0
    .max_flat_workgroup_size: 256
    .name:           _ZN7rocprim17ROCPRIM_400000_NS6detail17trampoline_kernelINS0_14default_configENS1_27scan_by_key_config_selectorIxxEEZZNS1_16scan_by_key_implILNS1_25lookback_scan_determinismE0ELb1ES3_N6thrust23THRUST_200600_302600_NS6detail15normal_iteratorINS9_10device_ptrIxEEEESE_SE_xNS9_4plusIxEE19head_flag_predicatexEE10hipError_tPvRmT2_T3_T4_T5_mT6_T7_P12ihipStream_tbENKUlT_T0_E_clISt17integral_constantIbLb0EESY_EEDaST_SU_EUlST_E_NS1_11comp_targetILNS1_3genE3ELNS1_11target_archE908ELNS1_3gpuE7ELNS1_3repE0EEENS1_30default_config_static_selectorELNS0_4arch9wavefront6targetE0EEEvT1_
    .private_segment_fixed_size: 0
    .sgpr_count:     0
    .sgpr_spill_count: 0
    .symbol:         _ZN7rocprim17ROCPRIM_400000_NS6detail17trampoline_kernelINS0_14default_configENS1_27scan_by_key_config_selectorIxxEEZZNS1_16scan_by_key_implILNS1_25lookback_scan_determinismE0ELb1ES3_N6thrust23THRUST_200600_302600_NS6detail15normal_iteratorINS9_10device_ptrIxEEEESE_SE_xNS9_4plusIxEE19head_flag_predicatexEE10hipError_tPvRmT2_T3_T4_T5_mT6_T7_P12ihipStream_tbENKUlT_T0_E_clISt17integral_constantIbLb0EESY_EEDaST_SU_EUlST_E_NS1_11comp_targetILNS1_3genE3ELNS1_11target_archE908ELNS1_3gpuE7ELNS1_3repE0EEENS1_30default_config_static_selectorELNS0_4arch9wavefront6targetE0EEEvT1_.kd
    .uniform_work_group_size: 1
    .uses_dynamic_stack: false
    .vgpr_count:     0
    .vgpr_spill_count: 0
    .wavefront_size: 32
  - .args:
      - .offset:         0
        .size:           136
        .value_kind:     by_value
    .group_segment_fixed_size: 0
    .kernarg_segment_align: 8
    .kernarg_segment_size: 136
    .language:       OpenCL C
    .language_version:
      - 2
      - 0
    .max_flat_workgroup_size: 256
    .name:           _ZN7rocprim17ROCPRIM_400000_NS6detail17trampoline_kernelINS0_14default_configENS1_27scan_by_key_config_selectorIxxEEZZNS1_16scan_by_key_implILNS1_25lookback_scan_determinismE0ELb1ES3_N6thrust23THRUST_200600_302600_NS6detail15normal_iteratorINS9_10device_ptrIxEEEESE_SE_xNS9_4plusIxEE19head_flag_predicatexEE10hipError_tPvRmT2_T3_T4_T5_mT6_T7_P12ihipStream_tbENKUlT_T0_E_clISt17integral_constantIbLb0EESY_EEDaST_SU_EUlST_E_NS1_11comp_targetILNS1_3genE2ELNS1_11target_archE906ELNS1_3gpuE6ELNS1_3repE0EEENS1_30default_config_static_selectorELNS0_4arch9wavefront6targetE0EEEvT1_
    .private_segment_fixed_size: 0
    .sgpr_count:     0
    .sgpr_spill_count: 0
    .symbol:         _ZN7rocprim17ROCPRIM_400000_NS6detail17trampoline_kernelINS0_14default_configENS1_27scan_by_key_config_selectorIxxEEZZNS1_16scan_by_key_implILNS1_25lookback_scan_determinismE0ELb1ES3_N6thrust23THRUST_200600_302600_NS6detail15normal_iteratorINS9_10device_ptrIxEEEESE_SE_xNS9_4plusIxEE19head_flag_predicatexEE10hipError_tPvRmT2_T3_T4_T5_mT6_T7_P12ihipStream_tbENKUlT_T0_E_clISt17integral_constantIbLb0EESY_EEDaST_SU_EUlST_E_NS1_11comp_targetILNS1_3genE2ELNS1_11target_archE906ELNS1_3gpuE6ELNS1_3repE0EEENS1_30default_config_static_selectorELNS0_4arch9wavefront6targetE0EEEvT1_.kd
    .uniform_work_group_size: 1
    .uses_dynamic_stack: false
    .vgpr_count:     0
    .vgpr_spill_count: 0
    .wavefront_size: 32
  - .args:
      - .offset:         0
        .size:           136
        .value_kind:     by_value
    .group_segment_fixed_size: 0
    .kernarg_segment_align: 8
    .kernarg_segment_size: 136
    .language:       OpenCL C
    .language_version:
      - 2
      - 0
    .max_flat_workgroup_size: 256
    .name:           _ZN7rocprim17ROCPRIM_400000_NS6detail17trampoline_kernelINS0_14default_configENS1_27scan_by_key_config_selectorIxxEEZZNS1_16scan_by_key_implILNS1_25lookback_scan_determinismE0ELb1ES3_N6thrust23THRUST_200600_302600_NS6detail15normal_iteratorINS9_10device_ptrIxEEEESE_SE_xNS9_4plusIxEE19head_flag_predicatexEE10hipError_tPvRmT2_T3_T4_T5_mT6_T7_P12ihipStream_tbENKUlT_T0_E_clISt17integral_constantIbLb0EESY_EEDaST_SU_EUlST_E_NS1_11comp_targetILNS1_3genE10ELNS1_11target_archE1200ELNS1_3gpuE4ELNS1_3repE0EEENS1_30default_config_static_selectorELNS0_4arch9wavefront6targetE0EEEvT1_
    .private_segment_fixed_size: 0
    .sgpr_count:     0
    .sgpr_spill_count: 0
    .symbol:         _ZN7rocprim17ROCPRIM_400000_NS6detail17trampoline_kernelINS0_14default_configENS1_27scan_by_key_config_selectorIxxEEZZNS1_16scan_by_key_implILNS1_25lookback_scan_determinismE0ELb1ES3_N6thrust23THRUST_200600_302600_NS6detail15normal_iteratorINS9_10device_ptrIxEEEESE_SE_xNS9_4plusIxEE19head_flag_predicatexEE10hipError_tPvRmT2_T3_T4_T5_mT6_T7_P12ihipStream_tbENKUlT_T0_E_clISt17integral_constantIbLb0EESY_EEDaST_SU_EUlST_E_NS1_11comp_targetILNS1_3genE10ELNS1_11target_archE1200ELNS1_3gpuE4ELNS1_3repE0EEENS1_30default_config_static_selectorELNS0_4arch9wavefront6targetE0EEEvT1_.kd
    .uniform_work_group_size: 1
    .uses_dynamic_stack: false
    .vgpr_count:     0
    .vgpr_spill_count: 0
    .wavefront_size: 32
  - .args:
      - .offset:         0
        .size:           136
        .value_kind:     by_value
    .group_segment_fixed_size: 0
    .kernarg_segment_align: 8
    .kernarg_segment_size: 136
    .language:       OpenCL C
    .language_version:
      - 2
      - 0
    .max_flat_workgroup_size: 256
    .name:           _ZN7rocprim17ROCPRIM_400000_NS6detail17trampoline_kernelINS0_14default_configENS1_27scan_by_key_config_selectorIxxEEZZNS1_16scan_by_key_implILNS1_25lookback_scan_determinismE0ELb1ES3_N6thrust23THRUST_200600_302600_NS6detail15normal_iteratorINS9_10device_ptrIxEEEESE_SE_xNS9_4plusIxEE19head_flag_predicatexEE10hipError_tPvRmT2_T3_T4_T5_mT6_T7_P12ihipStream_tbENKUlT_T0_E_clISt17integral_constantIbLb0EESY_EEDaST_SU_EUlST_E_NS1_11comp_targetILNS1_3genE9ELNS1_11target_archE1100ELNS1_3gpuE3ELNS1_3repE0EEENS1_30default_config_static_selectorELNS0_4arch9wavefront6targetE0EEEvT1_
    .private_segment_fixed_size: 0
    .sgpr_count:     0
    .sgpr_spill_count: 0
    .symbol:         _ZN7rocprim17ROCPRIM_400000_NS6detail17trampoline_kernelINS0_14default_configENS1_27scan_by_key_config_selectorIxxEEZZNS1_16scan_by_key_implILNS1_25lookback_scan_determinismE0ELb1ES3_N6thrust23THRUST_200600_302600_NS6detail15normal_iteratorINS9_10device_ptrIxEEEESE_SE_xNS9_4plusIxEE19head_flag_predicatexEE10hipError_tPvRmT2_T3_T4_T5_mT6_T7_P12ihipStream_tbENKUlT_T0_E_clISt17integral_constantIbLb0EESY_EEDaST_SU_EUlST_E_NS1_11comp_targetILNS1_3genE9ELNS1_11target_archE1100ELNS1_3gpuE3ELNS1_3repE0EEENS1_30default_config_static_selectorELNS0_4arch9wavefront6targetE0EEEvT1_.kd
    .uniform_work_group_size: 1
    .uses_dynamic_stack: false
    .vgpr_count:     0
    .vgpr_spill_count: 0
    .wavefront_size: 32
  - .args:
      - .offset:         0
        .size:           136
        .value_kind:     by_value
    .group_segment_fixed_size: 0
    .kernarg_segment_align: 8
    .kernarg_segment_size: 136
    .language:       OpenCL C
    .language_version:
      - 2
      - 0
    .max_flat_workgroup_size: 256
    .name:           _ZN7rocprim17ROCPRIM_400000_NS6detail17trampoline_kernelINS0_14default_configENS1_27scan_by_key_config_selectorIxxEEZZNS1_16scan_by_key_implILNS1_25lookback_scan_determinismE0ELb1ES3_N6thrust23THRUST_200600_302600_NS6detail15normal_iteratorINS9_10device_ptrIxEEEESE_SE_xNS9_4plusIxEE19head_flag_predicatexEE10hipError_tPvRmT2_T3_T4_T5_mT6_T7_P12ihipStream_tbENKUlT_T0_E_clISt17integral_constantIbLb0EESY_EEDaST_SU_EUlST_E_NS1_11comp_targetILNS1_3genE8ELNS1_11target_archE1030ELNS1_3gpuE2ELNS1_3repE0EEENS1_30default_config_static_selectorELNS0_4arch9wavefront6targetE0EEEvT1_
    .private_segment_fixed_size: 0
    .sgpr_count:     0
    .sgpr_spill_count: 0
    .symbol:         _ZN7rocprim17ROCPRIM_400000_NS6detail17trampoline_kernelINS0_14default_configENS1_27scan_by_key_config_selectorIxxEEZZNS1_16scan_by_key_implILNS1_25lookback_scan_determinismE0ELb1ES3_N6thrust23THRUST_200600_302600_NS6detail15normal_iteratorINS9_10device_ptrIxEEEESE_SE_xNS9_4plusIxEE19head_flag_predicatexEE10hipError_tPvRmT2_T3_T4_T5_mT6_T7_P12ihipStream_tbENKUlT_T0_E_clISt17integral_constantIbLb0EESY_EEDaST_SU_EUlST_E_NS1_11comp_targetILNS1_3genE8ELNS1_11target_archE1030ELNS1_3gpuE2ELNS1_3repE0EEENS1_30default_config_static_selectorELNS0_4arch9wavefront6targetE0EEEvT1_.kd
    .uniform_work_group_size: 1
    .uses_dynamic_stack: false
    .vgpr_count:     0
    .vgpr_spill_count: 0
    .wavefront_size: 32
  - .args:
      - .offset:         0
        .size:           136
        .value_kind:     by_value
    .group_segment_fixed_size: 0
    .kernarg_segment_align: 8
    .kernarg_segment_size: 136
    .language:       OpenCL C
    .language_version:
      - 2
      - 0
    .max_flat_workgroup_size: 256
    .name:           _ZN7rocprim17ROCPRIM_400000_NS6detail17trampoline_kernelINS0_14default_configENS1_27scan_by_key_config_selectorIxxEEZZNS1_16scan_by_key_implILNS1_25lookback_scan_determinismE0ELb1ES3_N6thrust23THRUST_200600_302600_NS6detail15normal_iteratorINS9_10device_ptrIxEEEESE_SE_xNS9_4plusIxEE19head_flag_predicatexEE10hipError_tPvRmT2_T3_T4_T5_mT6_T7_P12ihipStream_tbENKUlT_T0_E_clISt17integral_constantIbLb1EESY_EEDaST_SU_EUlST_E_NS1_11comp_targetILNS1_3genE0ELNS1_11target_archE4294967295ELNS1_3gpuE0ELNS1_3repE0EEENS1_30default_config_static_selectorELNS0_4arch9wavefront6targetE0EEEvT1_
    .private_segment_fixed_size: 0
    .sgpr_count:     0
    .sgpr_spill_count: 0
    .symbol:         _ZN7rocprim17ROCPRIM_400000_NS6detail17trampoline_kernelINS0_14default_configENS1_27scan_by_key_config_selectorIxxEEZZNS1_16scan_by_key_implILNS1_25lookback_scan_determinismE0ELb1ES3_N6thrust23THRUST_200600_302600_NS6detail15normal_iteratorINS9_10device_ptrIxEEEESE_SE_xNS9_4plusIxEE19head_flag_predicatexEE10hipError_tPvRmT2_T3_T4_T5_mT6_T7_P12ihipStream_tbENKUlT_T0_E_clISt17integral_constantIbLb1EESY_EEDaST_SU_EUlST_E_NS1_11comp_targetILNS1_3genE0ELNS1_11target_archE4294967295ELNS1_3gpuE0ELNS1_3repE0EEENS1_30default_config_static_selectorELNS0_4arch9wavefront6targetE0EEEvT1_.kd
    .uniform_work_group_size: 1
    .uses_dynamic_stack: false
    .vgpr_count:     0
    .vgpr_spill_count: 0
    .wavefront_size: 32
  - .args:
      - .offset:         0
        .size:           136
        .value_kind:     by_value
    .group_segment_fixed_size: 0
    .kernarg_segment_align: 8
    .kernarg_segment_size: 136
    .language:       OpenCL C
    .language_version:
      - 2
      - 0
    .max_flat_workgroup_size: 256
    .name:           _ZN7rocprim17ROCPRIM_400000_NS6detail17trampoline_kernelINS0_14default_configENS1_27scan_by_key_config_selectorIxxEEZZNS1_16scan_by_key_implILNS1_25lookback_scan_determinismE0ELb1ES3_N6thrust23THRUST_200600_302600_NS6detail15normal_iteratorINS9_10device_ptrIxEEEESE_SE_xNS9_4plusIxEE19head_flag_predicatexEE10hipError_tPvRmT2_T3_T4_T5_mT6_T7_P12ihipStream_tbENKUlT_T0_E_clISt17integral_constantIbLb1EESY_EEDaST_SU_EUlST_E_NS1_11comp_targetILNS1_3genE10ELNS1_11target_archE1201ELNS1_3gpuE5ELNS1_3repE0EEENS1_30default_config_static_selectorELNS0_4arch9wavefront6targetE0EEEvT1_
    .private_segment_fixed_size: 0
    .sgpr_count:     0
    .sgpr_spill_count: 0
    .symbol:         _ZN7rocprim17ROCPRIM_400000_NS6detail17trampoline_kernelINS0_14default_configENS1_27scan_by_key_config_selectorIxxEEZZNS1_16scan_by_key_implILNS1_25lookback_scan_determinismE0ELb1ES3_N6thrust23THRUST_200600_302600_NS6detail15normal_iteratorINS9_10device_ptrIxEEEESE_SE_xNS9_4plusIxEE19head_flag_predicatexEE10hipError_tPvRmT2_T3_T4_T5_mT6_T7_P12ihipStream_tbENKUlT_T0_E_clISt17integral_constantIbLb1EESY_EEDaST_SU_EUlST_E_NS1_11comp_targetILNS1_3genE10ELNS1_11target_archE1201ELNS1_3gpuE5ELNS1_3repE0EEENS1_30default_config_static_selectorELNS0_4arch9wavefront6targetE0EEEvT1_.kd
    .uniform_work_group_size: 1
    .uses_dynamic_stack: false
    .vgpr_count:     0
    .vgpr_spill_count: 0
    .wavefront_size: 32
  - .args:
      - .offset:         0
        .size:           136
        .value_kind:     by_value
    .group_segment_fixed_size: 0
    .kernarg_segment_align: 8
    .kernarg_segment_size: 136
    .language:       OpenCL C
    .language_version:
      - 2
      - 0
    .max_flat_workgroup_size: 256
    .name:           _ZN7rocprim17ROCPRIM_400000_NS6detail17trampoline_kernelINS0_14default_configENS1_27scan_by_key_config_selectorIxxEEZZNS1_16scan_by_key_implILNS1_25lookback_scan_determinismE0ELb1ES3_N6thrust23THRUST_200600_302600_NS6detail15normal_iteratorINS9_10device_ptrIxEEEESE_SE_xNS9_4plusIxEE19head_flag_predicatexEE10hipError_tPvRmT2_T3_T4_T5_mT6_T7_P12ihipStream_tbENKUlT_T0_E_clISt17integral_constantIbLb1EESY_EEDaST_SU_EUlST_E_NS1_11comp_targetILNS1_3genE5ELNS1_11target_archE942ELNS1_3gpuE9ELNS1_3repE0EEENS1_30default_config_static_selectorELNS0_4arch9wavefront6targetE0EEEvT1_
    .private_segment_fixed_size: 0
    .sgpr_count:     0
    .sgpr_spill_count: 0
    .symbol:         _ZN7rocprim17ROCPRIM_400000_NS6detail17trampoline_kernelINS0_14default_configENS1_27scan_by_key_config_selectorIxxEEZZNS1_16scan_by_key_implILNS1_25lookback_scan_determinismE0ELb1ES3_N6thrust23THRUST_200600_302600_NS6detail15normal_iteratorINS9_10device_ptrIxEEEESE_SE_xNS9_4plusIxEE19head_flag_predicatexEE10hipError_tPvRmT2_T3_T4_T5_mT6_T7_P12ihipStream_tbENKUlT_T0_E_clISt17integral_constantIbLb1EESY_EEDaST_SU_EUlST_E_NS1_11comp_targetILNS1_3genE5ELNS1_11target_archE942ELNS1_3gpuE9ELNS1_3repE0EEENS1_30default_config_static_selectorELNS0_4arch9wavefront6targetE0EEEvT1_.kd
    .uniform_work_group_size: 1
    .uses_dynamic_stack: false
    .vgpr_count:     0
    .vgpr_spill_count: 0
    .wavefront_size: 32
  - .args:
      - .offset:         0
        .size:           136
        .value_kind:     by_value
    .group_segment_fixed_size: 0
    .kernarg_segment_align: 8
    .kernarg_segment_size: 136
    .language:       OpenCL C
    .language_version:
      - 2
      - 0
    .max_flat_workgroup_size: 64
    .name:           _ZN7rocprim17ROCPRIM_400000_NS6detail17trampoline_kernelINS0_14default_configENS1_27scan_by_key_config_selectorIxxEEZZNS1_16scan_by_key_implILNS1_25lookback_scan_determinismE0ELb1ES3_N6thrust23THRUST_200600_302600_NS6detail15normal_iteratorINS9_10device_ptrIxEEEESE_SE_xNS9_4plusIxEE19head_flag_predicatexEE10hipError_tPvRmT2_T3_T4_T5_mT6_T7_P12ihipStream_tbENKUlT_T0_E_clISt17integral_constantIbLb1EESY_EEDaST_SU_EUlST_E_NS1_11comp_targetILNS1_3genE4ELNS1_11target_archE910ELNS1_3gpuE8ELNS1_3repE0EEENS1_30default_config_static_selectorELNS0_4arch9wavefront6targetE0EEEvT1_
    .private_segment_fixed_size: 0
    .sgpr_count:     0
    .sgpr_spill_count: 0
    .symbol:         _ZN7rocprim17ROCPRIM_400000_NS6detail17trampoline_kernelINS0_14default_configENS1_27scan_by_key_config_selectorIxxEEZZNS1_16scan_by_key_implILNS1_25lookback_scan_determinismE0ELb1ES3_N6thrust23THRUST_200600_302600_NS6detail15normal_iteratorINS9_10device_ptrIxEEEESE_SE_xNS9_4plusIxEE19head_flag_predicatexEE10hipError_tPvRmT2_T3_T4_T5_mT6_T7_P12ihipStream_tbENKUlT_T0_E_clISt17integral_constantIbLb1EESY_EEDaST_SU_EUlST_E_NS1_11comp_targetILNS1_3genE4ELNS1_11target_archE910ELNS1_3gpuE8ELNS1_3repE0EEENS1_30default_config_static_selectorELNS0_4arch9wavefront6targetE0EEEvT1_.kd
    .uniform_work_group_size: 1
    .uses_dynamic_stack: false
    .vgpr_count:     0
    .vgpr_spill_count: 0
    .wavefront_size: 32
  - .args:
      - .offset:         0
        .size:           136
        .value_kind:     by_value
    .group_segment_fixed_size: 0
    .kernarg_segment_align: 8
    .kernarg_segment_size: 136
    .language:       OpenCL C
    .language_version:
      - 2
      - 0
    .max_flat_workgroup_size: 256
    .name:           _ZN7rocprim17ROCPRIM_400000_NS6detail17trampoline_kernelINS0_14default_configENS1_27scan_by_key_config_selectorIxxEEZZNS1_16scan_by_key_implILNS1_25lookback_scan_determinismE0ELb1ES3_N6thrust23THRUST_200600_302600_NS6detail15normal_iteratorINS9_10device_ptrIxEEEESE_SE_xNS9_4plusIxEE19head_flag_predicatexEE10hipError_tPvRmT2_T3_T4_T5_mT6_T7_P12ihipStream_tbENKUlT_T0_E_clISt17integral_constantIbLb1EESY_EEDaST_SU_EUlST_E_NS1_11comp_targetILNS1_3genE3ELNS1_11target_archE908ELNS1_3gpuE7ELNS1_3repE0EEENS1_30default_config_static_selectorELNS0_4arch9wavefront6targetE0EEEvT1_
    .private_segment_fixed_size: 0
    .sgpr_count:     0
    .sgpr_spill_count: 0
    .symbol:         _ZN7rocprim17ROCPRIM_400000_NS6detail17trampoline_kernelINS0_14default_configENS1_27scan_by_key_config_selectorIxxEEZZNS1_16scan_by_key_implILNS1_25lookback_scan_determinismE0ELb1ES3_N6thrust23THRUST_200600_302600_NS6detail15normal_iteratorINS9_10device_ptrIxEEEESE_SE_xNS9_4plusIxEE19head_flag_predicatexEE10hipError_tPvRmT2_T3_T4_T5_mT6_T7_P12ihipStream_tbENKUlT_T0_E_clISt17integral_constantIbLb1EESY_EEDaST_SU_EUlST_E_NS1_11comp_targetILNS1_3genE3ELNS1_11target_archE908ELNS1_3gpuE7ELNS1_3repE0EEENS1_30default_config_static_selectorELNS0_4arch9wavefront6targetE0EEEvT1_.kd
    .uniform_work_group_size: 1
    .uses_dynamic_stack: false
    .vgpr_count:     0
    .vgpr_spill_count: 0
    .wavefront_size: 32
  - .args:
      - .offset:         0
        .size:           136
        .value_kind:     by_value
    .group_segment_fixed_size: 0
    .kernarg_segment_align: 8
    .kernarg_segment_size: 136
    .language:       OpenCL C
    .language_version:
      - 2
      - 0
    .max_flat_workgroup_size: 256
    .name:           _ZN7rocprim17ROCPRIM_400000_NS6detail17trampoline_kernelINS0_14default_configENS1_27scan_by_key_config_selectorIxxEEZZNS1_16scan_by_key_implILNS1_25lookback_scan_determinismE0ELb1ES3_N6thrust23THRUST_200600_302600_NS6detail15normal_iteratorINS9_10device_ptrIxEEEESE_SE_xNS9_4plusIxEE19head_flag_predicatexEE10hipError_tPvRmT2_T3_T4_T5_mT6_T7_P12ihipStream_tbENKUlT_T0_E_clISt17integral_constantIbLb1EESY_EEDaST_SU_EUlST_E_NS1_11comp_targetILNS1_3genE2ELNS1_11target_archE906ELNS1_3gpuE6ELNS1_3repE0EEENS1_30default_config_static_selectorELNS0_4arch9wavefront6targetE0EEEvT1_
    .private_segment_fixed_size: 0
    .sgpr_count:     0
    .sgpr_spill_count: 0
    .symbol:         _ZN7rocprim17ROCPRIM_400000_NS6detail17trampoline_kernelINS0_14default_configENS1_27scan_by_key_config_selectorIxxEEZZNS1_16scan_by_key_implILNS1_25lookback_scan_determinismE0ELb1ES3_N6thrust23THRUST_200600_302600_NS6detail15normal_iteratorINS9_10device_ptrIxEEEESE_SE_xNS9_4plusIxEE19head_flag_predicatexEE10hipError_tPvRmT2_T3_T4_T5_mT6_T7_P12ihipStream_tbENKUlT_T0_E_clISt17integral_constantIbLb1EESY_EEDaST_SU_EUlST_E_NS1_11comp_targetILNS1_3genE2ELNS1_11target_archE906ELNS1_3gpuE6ELNS1_3repE0EEENS1_30default_config_static_selectorELNS0_4arch9wavefront6targetE0EEEvT1_.kd
    .uniform_work_group_size: 1
    .uses_dynamic_stack: false
    .vgpr_count:     0
    .vgpr_spill_count: 0
    .wavefront_size: 32
  - .args:
      - .offset:         0
        .size:           136
        .value_kind:     by_value
    .group_segment_fixed_size: 0
    .kernarg_segment_align: 8
    .kernarg_segment_size: 136
    .language:       OpenCL C
    .language_version:
      - 2
      - 0
    .max_flat_workgroup_size: 256
    .name:           _ZN7rocprim17ROCPRIM_400000_NS6detail17trampoline_kernelINS0_14default_configENS1_27scan_by_key_config_selectorIxxEEZZNS1_16scan_by_key_implILNS1_25lookback_scan_determinismE0ELb1ES3_N6thrust23THRUST_200600_302600_NS6detail15normal_iteratorINS9_10device_ptrIxEEEESE_SE_xNS9_4plusIxEE19head_flag_predicatexEE10hipError_tPvRmT2_T3_T4_T5_mT6_T7_P12ihipStream_tbENKUlT_T0_E_clISt17integral_constantIbLb1EESY_EEDaST_SU_EUlST_E_NS1_11comp_targetILNS1_3genE10ELNS1_11target_archE1200ELNS1_3gpuE4ELNS1_3repE0EEENS1_30default_config_static_selectorELNS0_4arch9wavefront6targetE0EEEvT1_
    .private_segment_fixed_size: 0
    .sgpr_count:     0
    .sgpr_spill_count: 0
    .symbol:         _ZN7rocprim17ROCPRIM_400000_NS6detail17trampoline_kernelINS0_14default_configENS1_27scan_by_key_config_selectorIxxEEZZNS1_16scan_by_key_implILNS1_25lookback_scan_determinismE0ELb1ES3_N6thrust23THRUST_200600_302600_NS6detail15normal_iteratorINS9_10device_ptrIxEEEESE_SE_xNS9_4plusIxEE19head_flag_predicatexEE10hipError_tPvRmT2_T3_T4_T5_mT6_T7_P12ihipStream_tbENKUlT_T0_E_clISt17integral_constantIbLb1EESY_EEDaST_SU_EUlST_E_NS1_11comp_targetILNS1_3genE10ELNS1_11target_archE1200ELNS1_3gpuE4ELNS1_3repE0EEENS1_30default_config_static_selectorELNS0_4arch9wavefront6targetE0EEEvT1_.kd
    .uniform_work_group_size: 1
    .uses_dynamic_stack: false
    .vgpr_count:     0
    .vgpr_spill_count: 0
    .wavefront_size: 32
  - .args:
      - .offset:         0
        .size:           136
        .value_kind:     by_value
    .group_segment_fixed_size: 0
    .kernarg_segment_align: 8
    .kernarg_segment_size: 136
    .language:       OpenCL C
    .language_version:
      - 2
      - 0
    .max_flat_workgroup_size: 256
    .name:           _ZN7rocprim17ROCPRIM_400000_NS6detail17trampoline_kernelINS0_14default_configENS1_27scan_by_key_config_selectorIxxEEZZNS1_16scan_by_key_implILNS1_25lookback_scan_determinismE0ELb1ES3_N6thrust23THRUST_200600_302600_NS6detail15normal_iteratorINS9_10device_ptrIxEEEESE_SE_xNS9_4plusIxEE19head_flag_predicatexEE10hipError_tPvRmT2_T3_T4_T5_mT6_T7_P12ihipStream_tbENKUlT_T0_E_clISt17integral_constantIbLb1EESY_EEDaST_SU_EUlST_E_NS1_11comp_targetILNS1_3genE9ELNS1_11target_archE1100ELNS1_3gpuE3ELNS1_3repE0EEENS1_30default_config_static_selectorELNS0_4arch9wavefront6targetE0EEEvT1_
    .private_segment_fixed_size: 0
    .sgpr_count:     0
    .sgpr_spill_count: 0
    .symbol:         _ZN7rocprim17ROCPRIM_400000_NS6detail17trampoline_kernelINS0_14default_configENS1_27scan_by_key_config_selectorIxxEEZZNS1_16scan_by_key_implILNS1_25lookback_scan_determinismE0ELb1ES3_N6thrust23THRUST_200600_302600_NS6detail15normal_iteratorINS9_10device_ptrIxEEEESE_SE_xNS9_4plusIxEE19head_flag_predicatexEE10hipError_tPvRmT2_T3_T4_T5_mT6_T7_P12ihipStream_tbENKUlT_T0_E_clISt17integral_constantIbLb1EESY_EEDaST_SU_EUlST_E_NS1_11comp_targetILNS1_3genE9ELNS1_11target_archE1100ELNS1_3gpuE3ELNS1_3repE0EEENS1_30default_config_static_selectorELNS0_4arch9wavefront6targetE0EEEvT1_.kd
    .uniform_work_group_size: 1
    .uses_dynamic_stack: false
    .vgpr_count:     0
    .vgpr_spill_count: 0
    .wavefront_size: 32
  - .args:
      - .offset:         0
        .size:           136
        .value_kind:     by_value
    .group_segment_fixed_size: 0
    .kernarg_segment_align: 8
    .kernarg_segment_size: 136
    .language:       OpenCL C
    .language_version:
      - 2
      - 0
    .max_flat_workgroup_size: 256
    .name:           _ZN7rocprim17ROCPRIM_400000_NS6detail17trampoline_kernelINS0_14default_configENS1_27scan_by_key_config_selectorIxxEEZZNS1_16scan_by_key_implILNS1_25lookback_scan_determinismE0ELb1ES3_N6thrust23THRUST_200600_302600_NS6detail15normal_iteratorINS9_10device_ptrIxEEEESE_SE_xNS9_4plusIxEE19head_flag_predicatexEE10hipError_tPvRmT2_T3_T4_T5_mT6_T7_P12ihipStream_tbENKUlT_T0_E_clISt17integral_constantIbLb1EESY_EEDaST_SU_EUlST_E_NS1_11comp_targetILNS1_3genE8ELNS1_11target_archE1030ELNS1_3gpuE2ELNS1_3repE0EEENS1_30default_config_static_selectorELNS0_4arch9wavefront6targetE0EEEvT1_
    .private_segment_fixed_size: 0
    .sgpr_count:     0
    .sgpr_spill_count: 0
    .symbol:         _ZN7rocprim17ROCPRIM_400000_NS6detail17trampoline_kernelINS0_14default_configENS1_27scan_by_key_config_selectorIxxEEZZNS1_16scan_by_key_implILNS1_25lookback_scan_determinismE0ELb1ES3_N6thrust23THRUST_200600_302600_NS6detail15normal_iteratorINS9_10device_ptrIxEEEESE_SE_xNS9_4plusIxEE19head_flag_predicatexEE10hipError_tPvRmT2_T3_T4_T5_mT6_T7_P12ihipStream_tbENKUlT_T0_E_clISt17integral_constantIbLb1EESY_EEDaST_SU_EUlST_E_NS1_11comp_targetILNS1_3genE8ELNS1_11target_archE1030ELNS1_3gpuE2ELNS1_3repE0EEENS1_30default_config_static_selectorELNS0_4arch9wavefront6targetE0EEEvT1_.kd
    .uniform_work_group_size: 1
    .uses_dynamic_stack: false
    .vgpr_count:     0
    .vgpr_spill_count: 0
    .wavefront_size: 32
  - .args:
      - .offset:         0
        .size:           136
        .value_kind:     by_value
    .group_segment_fixed_size: 0
    .kernarg_segment_align: 8
    .kernarg_segment_size: 136
    .language:       OpenCL C
    .language_version:
      - 2
      - 0
    .max_flat_workgroup_size: 256
    .name:           _ZN7rocprim17ROCPRIM_400000_NS6detail17trampoline_kernelINS0_14default_configENS1_27scan_by_key_config_selectorIxxEEZZNS1_16scan_by_key_implILNS1_25lookback_scan_determinismE0ELb1ES3_N6thrust23THRUST_200600_302600_NS6detail15normal_iteratorINS9_10device_ptrIxEEEESE_SE_xNS9_4plusIxEE19head_flag_predicatexEE10hipError_tPvRmT2_T3_T4_T5_mT6_T7_P12ihipStream_tbENKUlT_T0_E_clISt17integral_constantIbLb1EESX_IbLb0EEEEDaST_SU_EUlST_E_NS1_11comp_targetILNS1_3genE0ELNS1_11target_archE4294967295ELNS1_3gpuE0ELNS1_3repE0EEENS1_30default_config_static_selectorELNS0_4arch9wavefront6targetE0EEEvT1_
    .private_segment_fixed_size: 0
    .sgpr_count:     0
    .sgpr_spill_count: 0
    .symbol:         _ZN7rocprim17ROCPRIM_400000_NS6detail17trampoline_kernelINS0_14default_configENS1_27scan_by_key_config_selectorIxxEEZZNS1_16scan_by_key_implILNS1_25lookback_scan_determinismE0ELb1ES3_N6thrust23THRUST_200600_302600_NS6detail15normal_iteratorINS9_10device_ptrIxEEEESE_SE_xNS9_4plusIxEE19head_flag_predicatexEE10hipError_tPvRmT2_T3_T4_T5_mT6_T7_P12ihipStream_tbENKUlT_T0_E_clISt17integral_constantIbLb1EESX_IbLb0EEEEDaST_SU_EUlST_E_NS1_11comp_targetILNS1_3genE0ELNS1_11target_archE4294967295ELNS1_3gpuE0ELNS1_3repE0EEENS1_30default_config_static_selectorELNS0_4arch9wavefront6targetE0EEEvT1_.kd
    .uniform_work_group_size: 1
    .uses_dynamic_stack: false
    .vgpr_count:     0
    .vgpr_spill_count: 0
    .wavefront_size: 32
  - .args:
      - .offset:         0
        .size:           136
        .value_kind:     by_value
    .group_segment_fixed_size: 0
    .kernarg_segment_align: 8
    .kernarg_segment_size: 136
    .language:       OpenCL C
    .language_version:
      - 2
      - 0
    .max_flat_workgroup_size: 256
    .name:           _ZN7rocprim17ROCPRIM_400000_NS6detail17trampoline_kernelINS0_14default_configENS1_27scan_by_key_config_selectorIxxEEZZNS1_16scan_by_key_implILNS1_25lookback_scan_determinismE0ELb1ES3_N6thrust23THRUST_200600_302600_NS6detail15normal_iteratorINS9_10device_ptrIxEEEESE_SE_xNS9_4plusIxEE19head_flag_predicatexEE10hipError_tPvRmT2_T3_T4_T5_mT6_T7_P12ihipStream_tbENKUlT_T0_E_clISt17integral_constantIbLb1EESX_IbLb0EEEEDaST_SU_EUlST_E_NS1_11comp_targetILNS1_3genE10ELNS1_11target_archE1201ELNS1_3gpuE5ELNS1_3repE0EEENS1_30default_config_static_selectorELNS0_4arch9wavefront6targetE0EEEvT1_
    .private_segment_fixed_size: 0
    .sgpr_count:     0
    .sgpr_spill_count: 0
    .symbol:         _ZN7rocprim17ROCPRIM_400000_NS6detail17trampoline_kernelINS0_14default_configENS1_27scan_by_key_config_selectorIxxEEZZNS1_16scan_by_key_implILNS1_25lookback_scan_determinismE0ELb1ES3_N6thrust23THRUST_200600_302600_NS6detail15normal_iteratorINS9_10device_ptrIxEEEESE_SE_xNS9_4plusIxEE19head_flag_predicatexEE10hipError_tPvRmT2_T3_T4_T5_mT6_T7_P12ihipStream_tbENKUlT_T0_E_clISt17integral_constantIbLb1EESX_IbLb0EEEEDaST_SU_EUlST_E_NS1_11comp_targetILNS1_3genE10ELNS1_11target_archE1201ELNS1_3gpuE5ELNS1_3repE0EEENS1_30default_config_static_selectorELNS0_4arch9wavefront6targetE0EEEvT1_.kd
    .uniform_work_group_size: 1
    .uses_dynamic_stack: false
    .vgpr_count:     0
    .vgpr_spill_count: 0
    .wavefront_size: 32
  - .args:
      - .offset:         0
        .size:           136
        .value_kind:     by_value
    .group_segment_fixed_size: 0
    .kernarg_segment_align: 8
    .kernarg_segment_size: 136
    .language:       OpenCL C
    .language_version:
      - 2
      - 0
    .max_flat_workgroup_size: 256
    .name:           _ZN7rocprim17ROCPRIM_400000_NS6detail17trampoline_kernelINS0_14default_configENS1_27scan_by_key_config_selectorIxxEEZZNS1_16scan_by_key_implILNS1_25lookback_scan_determinismE0ELb1ES3_N6thrust23THRUST_200600_302600_NS6detail15normal_iteratorINS9_10device_ptrIxEEEESE_SE_xNS9_4plusIxEE19head_flag_predicatexEE10hipError_tPvRmT2_T3_T4_T5_mT6_T7_P12ihipStream_tbENKUlT_T0_E_clISt17integral_constantIbLb1EESX_IbLb0EEEEDaST_SU_EUlST_E_NS1_11comp_targetILNS1_3genE5ELNS1_11target_archE942ELNS1_3gpuE9ELNS1_3repE0EEENS1_30default_config_static_selectorELNS0_4arch9wavefront6targetE0EEEvT1_
    .private_segment_fixed_size: 0
    .sgpr_count:     0
    .sgpr_spill_count: 0
    .symbol:         _ZN7rocprim17ROCPRIM_400000_NS6detail17trampoline_kernelINS0_14default_configENS1_27scan_by_key_config_selectorIxxEEZZNS1_16scan_by_key_implILNS1_25lookback_scan_determinismE0ELb1ES3_N6thrust23THRUST_200600_302600_NS6detail15normal_iteratorINS9_10device_ptrIxEEEESE_SE_xNS9_4plusIxEE19head_flag_predicatexEE10hipError_tPvRmT2_T3_T4_T5_mT6_T7_P12ihipStream_tbENKUlT_T0_E_clISt17integral_constantIbLb1EESX_IbLb0EEEEDaST_SU_EUlST_E_NS1_11comp_targetILNS1_3genE5ELNS1_11target_archE942ELNS1_3gpuE9ELNS1_3repE0EEENS1_30default_config_static_selectorELNS0_4arch9wavefront6targetE0EEEvT1_.kd
    .uniform_work_group_size: 1
    .uses_dynamic_stack: false
    .vgpr_count:     0
    .vgpr_spill_count: 0
    .wavefront_size: 32
  - .args:
      - .offset:         0
        .size:           136
        .value_kind:     by_value
    .group_segment_fixed_size: 0
    .kernarg_segment_align: 8
    .kernarg_segment_size: 136
    .language:       OpenCL C
    .language_version:
      - 2
      - 0
    .max_flat_workgroup_size: 64
    .name:           _ZN7rocprim17ROCPRIM_400000_NS6detail17trampoline_kernelINS0_14default_configENS1_27scan_by_key_config_selectorIxxEEZZNS1_16scan_by_key_implILNS1_25lookback_scan_determinismE0ELb1ES3_N6thrust23THRUST_200600_302600_NS6detail15normal_iteratorINS9_10device_ptrIxEEEESE_SE_xNS9_4plusIxEE19head_flag_predicatexEE10hipError_tPvRmT2_T3_T4_T5_mT6_T7_P12ihipStream_tbENKUlT_T0_E_clISt17integral_constantIbLb1EESX_IbLb0EEEEDaST_SU_EUlST_E_NS1_11comp_targetILNS1_3genE4ELNS1_11target_archE910ELNS1_3gpuE8ELNS1_3repE0EEENS1_30default_config_static_selectorELNS0_4arch9wavefront6targetE0EEEvT1_
    .private_segment_fixed_size: 0
    .sgpr_count:     0
    .sgpr_spill_count: 0
    .symbol:         _ZN7rocprim17ROCPRIM_400000_NS6detail17trampoline_kernelINS0_14default_configENS1_27scan_by_key_config_selectorIxxEEZZNS1_16scan_by_key_implILNS1_25lookback_scan_determinismE0ELb1ES3_N6thrust23THRUST_200600_302600_NS6detail15normal_iteratorINS9_10device_ptrIxEEEESE_SE_xNS9_4plusIxEE19head_flag_predicatexEE10hipError_tPvRmT2_T3_T4_T5_mT6_T7_P12ihipStream_tbENKUlT_T0_E_clISt17integral_constantIbLb1EESX_IbLb0EEEEDaST_SU_EUlST_E_NS1_11comp_targetILNS1_3genE4ELNS1_11target_archE910ELNS1_3gpuE8ELNS1_3repE0EEENS1_30default_config_static_selectorELNS0_4arch9wavefront6targetE0EEEvT1_.kd
    .uniform_work_group_size: 1
    .uses_dynamic_stack: false
    .vgpr_count:     0
    .vgpr_spill_count: 0
    .wavefront_size: 32
  - .args:
      - .offset:         0
        .size:           136
        .value_kind:     by_value
    .group_segment_fixed_size: 0
    .kernarg_segment_align: 8
    .kernarg_segment_size: 136
    .language:       OpenCL C
    .language_version:
      - 2
      - 0
    .max_flat_workgroup_size: 256
    .name:           _ZN7rocprim17ROCPRIM_400000_NS6detail17trampoline_kernelINS0_14default_configENS1_27scan_by_key_config_selectorIxxEEZZNS1_16scan_by_key_implILNS1_25lookback_scan_determinismE0ELb1ES3_N6thrust23THRUST_200600_302600_NS6detail15normal_iteratorINS9_10device_ptrIxEEEESE_SE_xNS9_4plusIxEE19head_flag_predicatexEE10hipError_tPvRmT2_T3_T4_T5_mT6_T7_P12ihipStream_tbENKUlT_T0_E_clISt17integral_constantIbLb1EESX_IbLb0EEEEDaST_SU_EUlST_E_NS1_11comp_targetILNS1_3genE3ELNS1_11target_archE908ELNS1_3gpuE7ELNS1_3repE0EEENS1_30default_config_static_selectorELNS0_4arch9wavefront6targetE0EEEvT1_
    .private_segment_fixed_size: 0
    .sgpr_count:     0
    .sgpr_spill_count: 0
    .symbol:         _ZN7rocprim17ROCPRIM_400000_NS6detail17trampoline_kernelINS0_14default_configENS1_27scan_by_key_config_selectorIxxEEZZNS1_16scan_by_key_implILNS1_25lookback_scan_determinismE0ELb1ES3_N6thrust23THRUST_200600_302600_NS6detail15normal_iteratorINS9_10device_ptrIxEEEESE_SE_xNS9_4plusIxEE19head_flag_predicatexEE10hipError_tPvRmT2_T3_T4_T5_mT6_T7_P12ihipStream_tbENKUlT_T0_E_clISt17integral_constantIbLb1EESX_IbLb0EEEEDaST_SU_EUlST_E_NS1_11comp_targetILNS1_3genE3ELNS1_11target_archE908ELNS1_3gpuE7ELNS1_3repE0EEENS1_30default_config_static_selectorELNS0_4arch9wavefront6targetE0EEEvT1_.kd
    .uniform_work_group_size: 1
    .uses_dynamic_stack: false
    .vgpr_count:     0
    .vgpr_spill_count: 0
    .wavefront_size: 32
  - .args:
      - .offset:         0
        .size:           136
        .value_kind:     by_value
    .group_segment_fixed_size: 0
    .kernarg_segment_align: 8
    .kernarg_segment_size: 136
    .language:       OpenCL C
    .language_version:
      - 2
      - 0
    .max_flat_workgroup_size: 256
    .name:           _ZN7rocprim17ROCPRIM_400000_NS6detail17trampoline_kernelINS0_14default_configENS1_27scan_by_key_config_selectorIxxEEZZNS1_16scan_by_key_implILNS1_25lookback_scan_determinismE0ELb1ES3_N6thrust23THRUST_200600_302600_NS6detail15normal_iteratorINS9_10device_ptrIxEEEESE_SE_xNS9_4plusIxEE19head_flag_predicatexEE10hipError_tPvRmT2_T3_T4_T5_mT6_T7_P12ihipStream_tbENKUlT_T0_E_clISt17integral_constantIbLb1EESX_IbLb0EEEEDaST_SU_EUlST_E_NS1_11comp_targetILNS1_3genE2ELNS1_11target_archE906ELNS1_3gpuE6ELNS1_3repE0EEENS1_30default_config_static_selectorELNS0_4arch9wavefront6targetE0EEEvT1_
    .private_segment_fixed_size: 0
    .sgpr_count:     0
    .sgpr_spill_count: 0
    .symbol:         _ZN7rocprim17ROCPRIM_400000_NS6detail17trampoline_kernelINS0_14default_configENS1_27scan_by_key_config_selectorIxxEEZZNS1_16scan_by_key_implILNS1_25lookback_scan_determinismE0ELb1ES3_N6thrust23THRUST_200600_302600_NS6detail15normal_iteratorINS9_10device_ptrIxEEEESE_SE_xNS9_4plusIxEE19head_flag_predicatexEE10hipError_tPvRmT2_T3_T4_T5_mT6_T7_P12ihipStream_tbENKUlT_T0_E_clISt17integral_constantIbLb1EESX_IbLb0EEEEDaST_SU_EUlST_E_NS1_11comp_targetILNS1_3genE2ELNS1_11target_archE906ELNS1_3gpuE6ELNS1_3repE0EEENS1_30default_config_static_selectorELNS0_4arch9wavefront6targetE0EEEvT1_.kd
    .uniform_work_group_size: 1
    .uses_dynamic_stack: false
    .vgpr_count:     0
    .vgpr_spill_count: 0
    .wavefront_size: 32
  - .args:
      - .offset:         0
        .size:           136
        .value_kind:     by_value
    .group_segment_fixed_size: 0
    .kernarg_segment_align: 8
    .kernarg_segment_size: 136
    .language:       OpenCL C
    .language_version:
      - 2
      - 0
    .max_flat_workgroup_size: 256
    .name:           _ZN7rocprim17ROCPRIM_400000_NS6detail17trampoline_kernelINS0_14default_configENS1_27scan_by_key_config_selectorIxxEEZZNS1_16scan_by_key_implILNS1_25lookback_scan_determinismE0ELb1ES3_N6thrust23THRUST_200600_302600_NS6detail15normal_iteratorINS9_10device_ptrIxEEEESE_SE_xNS9_4plusIxEE19head_flag_predicatexEE10hipError_tPvRmT2_T3_T4_T5_mT6_T7_P12ihipStream_tbENKUlT_T0_E_clISt17integral_constantIbLb1EESX_IbLb0EEEEDaST_SU_EUlST_E_NS1_11comp_targetILNS1_3genE10ELNS1_11target_archE1200ELNS1_3gpuE4ELNS1_3repE0EEENS1_30default_config_static_selectorELNS0_4arch9wavefront6targetE0EEEvT1_
    .private_segment_fixed_size: 0
    .sgpr_count:     0
    .sgpr_spill_count: 0
    .symbol:         _ZN7rocprim17ROCPRIM_400000_NS6detail17trampoline_kernelINS0_14default_configENS1_27scan_by_key_config_selectorIxxEEZZNS1_16scan_by_key_implILNS1_25lookback_scan_determinismE0ELb1ES3_N6thrust23THRUST_200600_302600_NS6detail15normal_iteratorINS9_10device_ptrIxEEEESE_SE_xNS9_4plusIxEE19head_flag_predicatexEE10hipError_tPvRmT2_T3_T4_T5_mT6_T7_P12ihipStream_tbENKUlT_T0_E_clISt17integral_constantIbLb1EESX_IbLb0EEEEDaST_SU_EUlST_E_NS1_11comp_targetILNS1_3genE10ELNS1_11target_archE1200ELNS1_3gpuE4ELNS1_3repE0EEENS1_30default_config_static_selectorELNS0_4arch9wavefront6targetE0EEEvT1_.kd
    .uniform_work_group_size: 1
    .uses_dynamic_stack: false
    .vgpr_count:     0
    .vgpr_spill_count: 0
    .wavefront_size: 32
  - .args:
      - .offset:         0
        .size:           136
        .value_kind:     by_value
    .group_segment_fixed_size: 0
    .kernarg_segment_align: 8
    .kernarg_segment_size: 136
    .language:       OpenCL C
    .language_version:
      - 2
      - 0
    .max_flat_workgroup_size: 256
    .name:           _ZN7rocprim17ROCPRIM_400000_NS6detail17trampoline_kernelINS0_14default_configENS1_27scan_by_key_config_selectorIxxEEZZNS1_16scan_by_key_implILNS1_25lookback_scan_determinismE0ELb1ES3_N6thrust23THRUST_200600_302600_NS6detail15normal_iteratorINS9_10device_ptrIxEEEESE_SE_xNS9_4plusIxEE19head_flag_predicatexEE10hipError_tPvRmT2_T3_T4_T5_mT6_T7_P12ihipStream_tbENKUlT_T0_E_clISt17integral_constantIbLb1EESX_IbLb0EEEEDaST_SU_EUlST_E_NS1_11comp_targetILNS1_3genE9ELNS1_11target_archE1100ELNS1_3gpuE3ELNS1_3repE0EEENS1_30default_config_static_selectorELNS0_4arch9wavefront6targetE0EEEvT1_
    .private_segment_fixed_size: 0
    .sgpr_count:     0
    .sgpr_spill_count: 0
    .symbol:         _ZN7rocprim17ROCPRIM_400000_NS6detail17trampoline_kernelINS0_14default_configENS1_27scan_by_key_config_selectorIxxEEZZNS1_16scan_by_key_implILNS1_25lookback_scan_determinismE0ELb1ES3_N6thrust23THRUST_200600_302600_NS6detail15normal_iteratorINS9_10device_ptrIxEEEESE_SE_xNS9_4plusIxEE19head_flag_predicatexEE10hipError_tPvRmT2_T3_T4_T5_mT6_T7_P12ihipStream_tbENKUlT_T0_E_clISt17integral_constantIbLb1EESX_IbLb0EEEEDaST_SU_EUlST_E_NS1_11comp_targetILNS1_3genE9ELNS1_11target_archE1100ELNS1_3gpuE3ELNS1_3repE0EEENS1_30default_config_static_selectorELNS0_4arch9wavefront6targetE0EEEvT1_.kd
    .uniform_work_group_size: 1
    .uses_dynamic_stack: false
    .vgpr_count:     0
    .vgpr_spill_count: 0
    .wavefront_size: 32
  - .args:
      - .offset:         0
        .size:           136
        .value_kind:     by_value
    .group_segment_fixed_size: 0
    .kernarg_segment_align: 8
    .kernarg_segment_size: 136
    .language:       OpenCL C
    .language_version:
      - 2
      - 0
    .max_flat_workgroup_size: 256
    .name:           _ZN7rocprim17ROCPRIM_400000_NS6detail17trampoline_kernelINS0_14default_configENS1_27scan_by_key_config_selectorIxxEEZZNS1_16scan_by_key_implILNS1_25lookback_scan_determinismE0ELb1ES3_N6thrust23THRUST_200600_302600_NS6detail15normal_iteratorINS9_10device_ptrIxEEEESE_SE_xNS9_4plusIxEE19head_flag_predicatexEE10hipError_tPvRmT2_T3_T4_T5_mT6_T7_P12ihipStream_tbENKUlT_T0_E_clISt17integral_constantIbLb1EESX_IbLb0EEEEDaST_SU_EUlST_E_NS1_11comp_targetILNS1_3genE8ELNS1_11target_archE1030ELNS1_3gpuE2ELNS1_3repE0EEENS1_30default_config_static_selectorELNS0_4arch9wavefront6targetE0EEEvT1_
    .private_segment_fixed_size: 0
    .sgpr_count:     0
    .sgpr_spill_count: 0
    .symbol:         _ZN7rocprim17ROCPRIM_400000_NS6detail17trampoline_kernelINS0_14default_configENS1_27scan_by_key_config_selectorIxxEEZZNS1_16scan_by_key_implILNS1_25lookback_scan_determinismE0ELb1ES3_N6thrust23THRUST_200600_302600_NS6detail15normal_iteratorINS9_10device_ptrIxEEEESE_SE_xNS9_4plusIxEE19head_flag_predicatexEE10hipError_tPvRmT2_T3_T4_T5_mT6_T7_P12ihipStream_tbENKUlT_T0_E_clISt17integral_constantIbLb1EESX_IbLb0EEEEDaST_SU_EUlST_E_NS1_11comp_targetILNS1_3genE8ELNS1_11target_archE1030ELNS1_3gpuE2ELNS1_3repE0EEENS1_30default_config_static_selectorELNS0_4arch9wavefront6targetE0EEEvT1_.kd
    .uniform_work_group_size: 1
    .uses_dynamic_stack: false
    .vgpr_count:     0
    .vgpr_spill_count: 0
    .wavefront_size: 32
  - .args:
      - .offset:         0
        .size:           136
        .value_kind:     by_value
    .group_segment_fixed_size: 32768
    .kernarg_segment_align: 8
    .kernarg_segment_size: 136
    .language:       OpenCL C
    .language_version:
      - 2
      - 0
    .max_flat_workgroup_size: 256
    .name:           _ZN7rocprim17ROCPRIM_400000_NS6detail17trampoline_kernelINS0_14default_configENS1_27scan_by_key_config_selectorIxxEEZZNS1_16scan_by_key_implILNS1_25lookback_scan_determinismE0ELb1ES3_N6thrust23THRUST_200600_302600_NS6detail15normal_iteratorINS9_10device_ptrIxEEEESE_SE_xNS9_4plusIxEE19head_flag_predicatexEE10hipError_tPvRmT2_T3_T4_T5_mT6_T7_P12ihipStream_tbENKUlT_T0_E_clISt17integral_constantIbLb0EESX_IbLb1EEEEDaST_SU_EUlST_E_NS1_11comp_targetILNS1_3genE0ELNS1_11target_archE4294967295ELNS1_3gpuE0ELNS1_3repE0EEENS1_30default_config_static_selectorELNS0_4arch9wavefront6targetE0EEEvT1_
    .private_segment_fixed_size: 0
    .sgpr_count:     61
    .sgpr_spill_count: 0
    .symbol:         _ZN7rocprim17ROCPRIM_400000_NS6detail17trampoline_kernelINS0_14default_configENS1_27scan_by_key_config_selectorIxxEEZZNS1_16scan_by_key_implILNS1_25lookback_scan_determinismE0ELb1ES3_N6thrust23THRUST_200600_302600_NS6detail15normal_iteratorINS9_10device_ptrIxEEEESE_SE_xNS9_4plusIxEE19head_flag_predicatexEE10hipError_tPvRmT2_T3_T4_T5_mT6_T7_P12ihipStream_tbENKUlT_T0_E_clISt17integral_constantIbLb0EESX_IbLb1EEEEDaST_SU_EUlST_E_NS1_11comp_targetILNS1_3genE0ELNS1_11target_archE4294967295ELNS1_3gpuE0ELNS1_3repE0EEENS1_30default_config_static_selectorELNS0_4arch9wavefront6targetE0EEEvT1_.kd
    .uniform_work_group_size: 1
    .uses_dynamic_stack: false
    .vgpr_count:     111
    .vgpr_spill_count: 0
    .wavefront_size: 32
  - .args:
      - .offset:         0
        .size:           136
        .value_kind:     by_value
    .group_segment_fixed_size: 0
    .kernarg_segment_align: 8
    .kernarg_segment_size: 136
    .language:       OpenCL C
    .language_version:
      - 2
      - 0
    .max_flat_workgroup_size: 256
    .name:           _ZN7rocprim17ROCPRIM_400000_NS6detail17trampoline_kernelINS0_14default_configENS1_27scan_by_key_config_selectorIxxEEZZNS1_16scan_by_key_implILNS1_25lookback_scan_determinismE0ELb1ES3_N6thrust23THRUST_200600_302600_NS6detail15normal_iteratorINS9_10device_ptrIxEEEESE_SE_xNS9_4plusIxEE19head_flag_predicatexEE10hipError_tPvRmT2_T3_T4_T5_mT6_T7_P12ihipStream_tbENKUlT_T0_E_clISt17integral_constantIbLb0EESX_IbLb1EEEEDaST_SU_EUlST_E_NS1_11comp_targetILNS1_3genE10ELNS1_11target_archE1201ELNS1_3gpuE5ELNS1_3repE0EEENS1_30default_config_static_selectorELNS0_4arch9wavefront6targetE0EEEvT1_
    .private_segment_fixed_size: 0
    .sgpr_count:     0
    .sgpr_spill_count: 0
    .symbol:         _ZN7rocprim17ROCPRIM_400000_NS6detail17trampoline_kernelINS0_14default_configENS1_27scan_by_key_config_selectorIxxEEZZNS1_16scan_by_key_implILNS1_25lookback_scan_determinismE0ELb1ES3_N6thrust23THRUST_200600_302600_NS6detail15normal_iteratorINS9_10device_ptrIxEEEESE_SE_xNS9_4plusIxEE19head_flag_predicatexEE10hipError_tPvRmT2_T3_T4_T5_mT6_T7_P12ihipStream_tbENKUlT_T0_E_clISt17integral_constantIbLb0EESX_IbLb1EEEEDaST_SU_EUlST_E_NS1_11comp_targetILNS1_3genE10ELNS1_11target_archE1201ELNS1_3gpuE5ELNS1_3repE0EEENS1_30default_config_static_selectorELNS0_4arch9wavefront6targetE0EEEvT1_.kd
    .uniform_work_group_size: 1
    .uses_dynamic_stack: false
    .vgpr_count:     0
    .vgpr_spill_count: 0
    .wavefront_size: 32
  - .args:
      - .offset:         0
        .size:           136
        .value_kind:     by_value
    .group_segment_fixed_size: 0
    .kernarg_segment_align: 8
    .kernarg_segment_size: 136
    .language:       OpenCL C
    .language_version:
      - 2
      - 0
    .max_flat_workgroup_size: 256
    .name:           _ZN7rocprim17ROCPRIM_400000_NS6detail17trampoline_kernelINS0_14default_configENS1_27scan_by_key_config_selectorIxxEEZZNS1_16scan_by_key_implILNS1_25lookback_scan_determinismE0ELb1ES3_N6thrust23THRUST_200600_302600_NS6detail15normal_iteratorINS9_10device_ptrIxEEEESE_SE_xNS9_4plusIxEE19head_flag_predicatexEE10hipError_tPvRmT2_T3_T4_T5_mT6_T7_P12ihipStream_tbENKUlT_T0_E_clISt17integral_constantIbLb0EESX_IbLb1EEEEDaST_SU_EUlST_E_NS1_11comp_targetILNS1_3genE5ELNS1_11target_archE942ELNS1_3gpuE9ELNS1_3repE0EEENS1_30default_config_static_selectorELNS0_4arch9wavefront6targetE0EEEvT1_
    .private_segment_fixed_size: 0
    .sgpr_count:     0
    .sgpr_spill_count: 0
    .symbol:         _ZN7rocprim17ROCPRIM_400000_NS6detail17trampoline_kernelINS0_14default_configENS1_27scan_by_key_config_selectorIxxEEZZNS1_16scan_by_key_implILNS1_25lookback_scan_determinismE0ELb1ES3_N6thrust23THRUST_200600_302600_NS6detail15normal_iteratorINS9_10device_ptrIxEEEESE_SE_xNS9_4plusIxEE19head_flag_predicatexEE10hipError_tPvRmT2_T3_T4_T5_mT6_T7_P12ihipStream_tbENKUlT_T0_E_clISt17integral_constantIbLb0EESX_IbLb1EEEEDaST_SU_EUlST_E_NS1_11comp_targetILNS1_3genE5ELNS1_11target_archE942ELNS1_3gpuE9ELNS1_3repE0EEENS1_30default_config_static_selectorELNS0_4arch9wavefront6targetE0EEEvT1_.kd
    .uniform_work_group_size: 1
    .uses_dynamic_stack: false
    .vgpr_count:     0
    .vgpr_spill_count: 0
    .wavefront_size: 32
  - .args:
      - .offset:         0
        .size:           136
        .value_kind:     by_value
    .group_segment_fixed_size: 0
    .kernarg_segment_align: 8
    .kernarg_segment_size: 136
    .language:       OpenCL C
    .language_version:
      - 2
      - 0
    .max_flat_workgroup_size: 64
    .name:           _ZN7rocprim17ROCPRIM_400000_NS6detail17trampoline_kernelINS0_14default_configENS1_27scan_by_key_config_selectorIxxEEZZNS1_16scan_by_key_implILNS1_25lookback_scan_determinismE0ELb1ES3_N6thrust23THRUST_200600_302600_NS6detail15normal_iteratorINS9_10device_ptrIxEEEESE_SE_xNS9_4plusIxEE19head_flag_predicatexEE10hipError_tPvRmT2_T3_T4_T5_mT6_T7_P12ihipStream_tbENKUlT_T0_E_clISt17integral_constantIbLb0EESX_IbLb1EEEEDaST_SU_EUlST_E_NS1_11comp_targetILNS1_3genE4ELNS1_11target_archE910ELNS1_3gpuE8ELNS1_3repE0EEENS1_30default_config_static_selectorELNS0_4arch9wavefront6targetE0EEEvT1_
    .private_segment_fixed_size: 0
    .sgpr_count:     0
    .sgpr_spill_count: 0
    .symbol:         _ZN7rocprim17ROCPRIM_400000_NS6detail17trampoline_kernelINS0_14default_configENS1_27scan_by_key_config_selectorIxxEEZZNS1_16scan_by_key_implILNS1_25lookback_scan_determinismE0ELb1ES3_N6thrust23THRUST_200600_302600_NS6detail15normal_iteratorINS9_10device_ptrIxEEEESE_SE_xNS9_4plusIxEE19head_flag_predicatexEE10hipError_tPvRmT2_T3_T4_T5_mT6_T7_P12ihipStream_tbENKUlT_T0_E_clISt17integral_constantIbLb0EESX_IbLb1EEEEDaST_SU_EUlST_E_NS1_11comp_targetILNS1_3genE4ELNS1_11target_archE910ELNS1_3gpuE8ELNS1_3repE0EEENS1_30default_config_static_selectorELNS0_4arch9wavefront6targetE0EEEvT1_.kd
    .uniform_work_group_size: 1
    .uses_dynamic_stack: false
    .vgpr_count:     0
    .vgpr_spill_count: 0
    .wavefront_size: 32
  - .args:
      - .offset:         0
        .size:           136
        .value_kind:     by_value
    .group_segment_fixed_size: 0
    .kernarg_segment_align: 8
    .kernarg_segment_size: 136
    .language:       OpenCL C
    .language_version:
      - 2
      - 0
    .max_flat_workgroup_size: 256
    .name:           _ZN7rocprim17ROCPRIM_400000_NS6detail17trampoline_kernelINS0_14default_configENS1_27scan_by_key_config_selectorIxxEEZZNS1_16scan_by_key_implILNS1_25lookback_scan_determinismE0ELb1ES3_N6thrust23THRUST_200600_302600_NS6detail15normal_iteratorINS9_10device_ptrIxEEEESE_SE_xNS9_4plusIxEE19head_flag_predicatexEE10hipError_tPvRmT2_T3_T4_T5_mT6_T7_P12ihipStream_tbENKUlT_T0_E_clISt17integral_constantIbLb0EESX_IbLb1EEEEDaST_SU_EUlST_E_NS1_11comp_targetILNS1_3genE3ELNS1_11target_archE908ELNS1_3gpuE7ELNS1_3repE0EEENS1_30default_config_static_selectorELNS0_4arch9wavefront6targetE0EEEvT1_
    .private_segment_fixed_size: 0
    .sgpr_count:     0
    .sgpr_spill_count: 0
    .symbol:         _ZN7rocprim17ROCPRIM_400000_NS6detail17trampoline_kernelINS0_14default_configENS1_27scan_by_key_config_selectorIxxEEZZNS1_16scan_by_key_implILNS1_25lookback_scan_determinismE0ELb1ES3_N6thrust23THRUST_200600_302600_NS6detail15normal_iteratorINS9_10device_ptrIxEEEESE_SE_xNS9_4plusIxEE19head_flag_predicatexEE10hipError_tPvRmT2_T3_T4_T5_mT6_T7_P12ihipStream_tbENKUlT_T0_E_clISt17integral_constantIbLb0EESX_IbLb1EEEEDaST_SU_EUlST_E_NS1_11comp_targetILNS1_3genE3ELNS1_11target_archE908ELNS1_3gpuE7ELNS1_3repE0EEENS1_30default_config_static_selectorELNS0_4arch9wavefront6targetE0EEEvT1_.kd
    .uniform_work_group_size: 1
    .uses_dynamic_stack: false
    .vgpr_count:     0
    .vgpr_spill_count: 0
    .wavefront_size: 32
  - .args:
      - .offset:         0
        .size:           136
        .value_kind:     by_value
    .group_segment_fixed_size: 0
    .kernarg_segment_align: 8
    .kernarg_segment_size: 136
    .language:       OpenCL C
    .language_version:
      - 2
      - 0
    .max_flat_workgroup_size: 256
    .name:           _ZN7rocprim17ROCPRIM_400000_NS6detail17trampoline_kernelINS0_14default_configENS1_27scan_by_key_config_selectorIxxEEZZNS1_16scan_by_key_implILNS1_25lookback_scan_determinismE0ELb1ES3_N6thrust23THRUST_200600_302600_NS6detail15normal_iteratorINS9_10device_ptrIxEEEESE_SE_xNS9_4plusIxEE19head_flag_predicatexEE10hipError_tPvRmT2_T3_T4_T5_mT6_T7_P12ihipStream_tbENKUlT_T0_E_clISt17integral_constantIbLb0EESX_IbLb1EEEEDaST_SU_EUlST_E_NS1_11comp_targetILNS1_3genE2ELNS1_11target_archE906ELNS1_3gpuE6ELNS1_3repE0EEENS1_30default_config_static_selectorELNS0_4arch9wavefront6targetE0EEEvT1_
    .private_segment_fixed_size: 0
    .sgpr_count:     0
    .sgpr_spill_count: 0
    .symbol:         _ZN7rocprim17ROCPRIM_400000_NS6detail17trampoline_kernelINS0_14default_configENS1_27scan_by_key_config_selectorIxxEEZZNS1_16scan_by_key_implILNS1_25lookback_scan_determinismE0ELb1ES3_N6thrust23THRUST_200600_302600_NS6detail15normal_iteratorINS9_10device_ptrIxEEEESE_SE_xNS9_4plusIxEE19head_flag_predicatexEE10hipError_tPvRmT2_T3_T4_T5_mT6_T7_P12ihipStream_tbENKUlT_T0_E_clISt17integral_constantIbLb0EESX_IbLb1EEEEDaST_SU_EUlST_E_NS1_11comp_targetILNS1_3genE2ELNS1_11target_archE906ELNS1_3gpuE6ELNS1_3repE0EEENS1_30default_config_static_selectorELNS0_4arch9wavefront6targetE0EEEvT1_.kd
    .uniform_work_group_size: 1
    .uses_dynamic_stack: false
    .vgpr_count:     0
    .vgpr_spill_count: 0
    .wavefront_size: 32
  - .args:
      - .offset:         0
        .size:           136
        .value_kind:     by_value
    .group_segment_fixed_size: 0
    .kernarg_segment_align: 8
    .kernarg_segment_size: 136
    .language:       OpenCL C
    .language_version:
      - 2
      - 0
    .max_flat_workgroup_size: 256
    .name:           _ZN7rocprim17ROCPRIM_400000_NS6detail17trampoline_kernelINS0_14default_configENS1_27scan_by_key_config_selectorIxxEEZZNS1_16scan_by_key_implILNS1_25lookback_scan_determinismE0ELb1ES3_N6thrust23THRUST_200600_302600_NS6detail15normal_iteratorINS9_10device_ptrIxEEEESE_SE_xNS9_4plusIxEE19head_flag_predicatexEE10hipError_tPvRmT2_T3_T4_T5_mT6_T7_P12ihipStream_tbENKUlT_T0_E_clISt17integral_constantIbLb0EESX_IbLb1EEEEDaST_SU_EUlST_E_NS1_11comp_targetILNS1_3genE10ELNS1_11target_archE1200ELNS1_3gpuE4ELNS1_3repE0EEENS1_30default_config_static_selectorELNS0_4arch9wavefront6targetE0EEEvT1_
    .private_segment_fixed_size: 0
    .sgpr_count:     0
    .sgpr_spill_count: 0
    .symbol:         _ZN7rocprim17ROCPRIM_400000_NS6detail17trampoline_kernelINS0_14default_configENS1_27scan_by_key_config_selectorIxxEEZZNS1_16scan_by_key_implILNS1_25lookback_scan_determinismE0ELb1ES3_N6thrust23THRUST_200600_302600_NS6detail15normal_iteratorINS9_10device_ptrIxEEEESE_SE_xNS9_4plusIxEE19head_flag_predicatexEE10hipError_tPvRmT2_T3_T4_T5_mT6_T7_P12ihipStream_tbENKUlT_T0_E_clISt17integral_constantIbLb0EESX_IbLb1EEEEDaST_SU_EUlST_E_NS1_11comp_targetILNS1_3genE10ELNS1_11target_archE1200ELNS1_3gpuE4ELNS1_3repE0EEENS1_30default_config_static_selectorELNS0_4arch9wavefront6targetE0EEEvT1_.kd
    .uniform_work_group_size: 1
    .uses_dynamic_stack: false
    .vgpr_count:     0
    .vgpr_spill_count: 0
    .wavefront_size: 32
  - .args:
      - .offset:         0
        .size:           136
        .value_kind:     by_value
    .group_segment_fixed_size: 0
    .kernarg_segment_align: 8
    .kernarg_segment_size: 136
    .language:       OpenCL C
    .language_version:
      - 2
      - 0
    .max_flat_workgroup_size: 256
    .name:           _ZN7rocprim17ROCPRIM_400000_NS6detail17trampoline_kernelINS0_14default_configENS1_27scan_by_key_config_selectorIxxEEZZNS1_16scan_by_key_implILNS1_25lookback_scan_determinismE0ELb1ES3_N6thrust23THRUST_200600_302600_NS6detail15normal_iteratorINS9_10device_ptrIxEEEESE_SE_xNS9_4plusIxEE19head_flag_predicatexEE10hipError_tPvRmT2_T3_T4_T5_mT6_T7_P12ihipStream_tbENKUlT_T0_E_clISt17integral_constantIbLb0EESX_IbLb1EEEEDaST_SU_EUlST_E_NS1_11comp_targetILNS1_3genE9ELNS1_11target_archE1100ELNS1_3gpuE3ELNS1_3repE0EEENS1_30default_config_static_selectorELNS0_4arch9wavefront6targetE0EEEvT1_
    .private_segment_fixed_size: 0
    .sgpr_count:     0
    .sgpr_spill_count: 0
    .symbol:         _ZN7rocprim17ROCPRIM_400000_NS6detail17trampoline_kernelINS0_14default_configENS1_27scan_by_key_config_selectorIxxEEZZNS1_16scan_by_key_implILNS1_25lookback_scan_determinismE0ELb1ES3_N6thrust23THRUST_200600_302600_NS6detail15normal_iteratorINS9_10device_ptrIxEEEESE_SE_xNS9_4plusIxEE19head_flag_predicatexEE10hipError_tPvRmT2_T3_T4_T5_mT6_T7_P12ihipStream_tbENKUlT_T0_E_clISt17integral_constantIbLb0EESX_IbLb1EEEEDaST_SU_EUlST_E_NS1_11comp_targetILNS1_3genE9ELNS1_11target_archE1100ELNS1_3gpuE3ELNS1_3repE0EEENS1_30default_config_static_selectorELNS0_4arch9wavefront6targetE0EEEvT1_.kd
    .uniform_work_group_size: 1
    .uses_dynamic_stack: false
    .vgpr_count:     0
    .vgpr_spill_count: 0
    .wavefront_size: 32
  - .args:
      - .offset:         0
        .size:           136
        .value_kind:     by_value
    .group_segment_fixed_size: 0
    .kernarg_segment_align: 8
    .kernarg_segment_size: 136
    .language:       OpenCL C
    .language_version:
      - 2
      - 0
    .max_flat_workgroup_size: 256
    .name:           _ZN7rocprim17ROCPRIM_400000_NS6detail17trampoline_kernelINS0_14default_configENS1_27scan_by_key_config_selectorIxxEEZZNS1_16scan_by_key_implILNS1_25lookback_scan_determinismE0ELb1ES3_N6thrust23THRUST_200600_302600_NS6detail15normal_iteratorINS9_10device_ptrIxEEEESE_SE_xNS9_4plusIxEE19head_flag_predicatexEE10hipError_tPvRmT2_T3_T4_T5_mT6_T7_P12ihipStream_tbENKUlT_T0_E_clISt17integral_constantIbLb0EESX_IbLb1EEEEDaST_SU_EUlST_E_NS1_11comp_targetILNS1_3genE8ELNS1_11target_archE1030ELNS1_3gpuE2ELNS1_3repE0EEENS1_30default_config_static_selectorELNS0_4arch9wavefront6targetE0EEEvT1_
    .private_segment_fixed_size: 0
    .sgpr_count:     0
    .sgpr_spill_count: 0
    .symbol:         _ZN7rocprim17ROCPRIM_400000_NS6detail17trampoline_kernelINS0_14default_configENS1_27scan_by_key_config_selectorIxxEEZZNS1_16scan_by_key_implILNS1_25lookback_scan_determinismE0ELb1ES3_N6thrust23THRUST_200600_302600_NS6detail15normal_iteratorINS9_10device_ptrIxEEEESE_SE_xNS9_4plusIxEE19head_flag_predicatexEE10hipError_tPvRmT2_T3_T4_T5_mT6_T7_P12ihipStream_tbENKUlT_T0_E_clISt17integral_constantIbLb0EESX_IbLb1EEEEDaST_SU_EUlST_E_NS1_11comp_targetILNS1_3genE8ELNS1_11target_archE1030ELNS1_3gpuE2ELNS1_3repE0EEENS1_30default_config_static_selectorELNS0_4arch9wavefront6targetE0EEEvT1_.kd
    .uniform_work_group_size: 1
    .uses_dynamic_stack: false
    .vgpr_count:     0
    .vgpr_spill_count: 0
    .wavefront_size: 32
  - .args:
      - .offset:         0
        .size:           112
        .value_kind:     by_value
    .group_segment_fixed_size: 14336
    .kernarg_segment_align: 8
    .kernarg_segment_size: 112
    .language:       OpenCL C
    .language_version:
      - 2
      - 0
    .max_flat_workgroup_size: 256
    .name:           _ZN7rocprim17ROCPRIM_400000_NS6detail17trampoline_kernelINS0_14default_configENS1_27scan_by_key_config_selectorIiiEEZZNS1_16scan_by_key_implILNS1_25lookback_scan_determinismE0ELb0ES3_N6thrust23THRUST_200600_302600_NS6detail15normal_iteratorINS9_10device_ptrIiEEEESE_SE_iNS9_4plusIiEE19head_flag_predicateiEE10hipError_tPvRmT2_T3_T4_T5_mT6_T7_P12ihipStream_tbENKUlT_T0_E_clISt17integral_constantIbLb0EESY_EEDaST_SU_EUlST_E_NS1_11comp_targetILNS1_3genE0ELNS1_11target_archE4294967295ELNS1_3gpuE0ELNS1_3repE0EEENS1_30default_config_static_selectorELNS0_4arch9wavefront6targetE0EEEvT1_
    .private_segment_fixed_size: 0
    .sgpr_count:     37
    .sgpr_spill_count: 0
    .symbol:         _ZN7rocprim17ROCPRIM_400000_NS6detail17trampoline_kernelINS0_14default_configENS1_27scan_by_key_config_selectorIiiEEZZNS1_16scan_by_key_implILNS1_25lookback_scan_determinismE0ELb0ES3_N6thrust23THRUST_200600_302600_NS6detail15normal_iteratorINS9_10device_ptrIiEEEESE_SE_iNS9_4plusIiEE19head_flag_predicateiEE10hipError_tPvRmT2_T3_T4_T5_mT6_T7_P12ihipStream_tbENKUlT_T0_E_clISt17integral_constantIbLb0EESY_EEDaST_SU_EUlST_E_NS1_11comp_targetILNS1_3genE0ELNS1_11target_archE4294967295ELNS1_3gpuE0ELNS1_3repE0EEENS1_30default_config_static_selectorELNS0_4arch9wavefront6targetE0EEEvT1_.kd
    .uniform_work_group_size: 1
    .uses_dynamic_stack: false
    .vgpr_count:     62
    .vgpr_spill_count: 0
    .wavefront_size: 32
  - .args:
      - .offset:         0
        .size:           112
        .value_kind:     by_value
    .group_segment_fixed_size: 0
    .kernarg_segment_align: 8
    .kernarg_segment_size: 112
    .language:       OpenCL C
    .language_version:
      - 2
      - 0
    .max_flat_workgroup_size: 256
    .name:           _ZN7rocprim17ROCPRIM_400000_NS6detail17trampoline_kernelINS0_14default_configENS1_27scan_by_key_config_selectorIiiEEZZNS1_16scan_by_key_implILNS1_25lookback_scan_determinismE0ELb0ES3_N6thrust23THRUST_200600_302600_NS6detail15normal_iteratorINS9_10device_ptrIiEEEESE_SE_iNS9_4plusIiEE19head_flag_predicateiEE10hipError_tPvRmT2_T3_T4_T5_mT6_T7_P12ihipStream_tbENKUlT_T0_E_clISt17integral_constantIbLb0EESY_EEDaST_SU_EUlST_E_NS1_11comp_targetILNS1_3genE10ELNS1_11target_archE1201ELNS1_3gpuE5ELNS1_3repE0EEENS1_30default_config_static_selectorELNS0_4arch9wavefront6targetE0EEEvT1_
    .private_segment_fixed_size: 0
    .sgpr_count:     0
    .sgpr_spill_count: 0
    .symbol:         _ZN7rocprim17ROCPRIM_400000_NS6detail17trampoline_kernelINS0_14default_configENS1_27scan_by_key_config_selectorIiiEEZZNS1_16scan_by_key_implILNS1_25lookback_scan_determinismE0ELb0ES3_N6thrust23THRUST_200600_302600_NS6detail15normal_iteratorINS9_10device_ptrIiEEEESE_SE_iNS9_4plusIiEE19head_flag_predicateiEE10hipError_tPvRmT2_T3_T4_T5_mT6_T7_P12ihipStream_tbENKUlT_T0_E_clISt17integral_constantIbLb0EESY_EEDaST_SU_EUlST_E_NS1_11comp_targetILNS1_3genE10ELNS1_11target_archE1201ELNS1_3gpuE5ELNS1_3repE0EEENS1_30default_config_static_selectorELNS0_4arch9wavefront6targetE0EEEvT1_.kd
    .uniform_work_group_size: 1
    .uses_dynamic_stack: false
    .vgpr_count:     0
    .vgpr_spill_count: 0
    .wavefront_size: 32
  - .args:
      - .offset:         0
        .size:           112
        .value_kind:     by_value
    .group_segment_fixed_size: 0
    .kernarg_segment_align: 8
    .kernarg_segment_size: 112
    .language:       OpenCL C
    .language_version:
      - 2
      - 0
    .max_flat_workgroup_size: 256
    .name:           _ZN7rocprim17ROCPRIM_400000_NS6detail17trampoline_kernelINS0_14default_configENS1_27scan_by_key_config_selectorIiiEEZZNS1_16scan_by_key_implILNS1_25lookback_scan_determinismE0ELb0ES3_N6thrust23THRUST_200600_302600_NS6detail15normal_iteratorINS9_10device_ptrIiEEEESE_SE_iNS9_4plusIiEE19head_flag_predicateiEE10hipError_tPvRmT2_T3_T4_T5_mT6_T7_P12ihipStream_tbENKUlT_T0_E_clISt17integral_constantIbLb0EESY_EEDaST_SU_EUlST_E_NS1_11comp_targetILNS1_3genE5ELNS1_11target_archE942ELNS1_3gpuE9ELNS1_3repE0EEENS1_30default_config_static_selectorELNS0_4arch9wavefront6targetE0EEEvT1_
    .private_segment_fixed_size: 0
    .sgpr_count:     0
    .sgpr_spill_count: 0
    .symbol:         _ZN7rocprim17ROCPRIM_400000_NS6detail17trampoline_kernelINS0_14default_configENS1_27scan_by_key_config_selectorIiiEEZZNS1_16scan_by_key_implILNS1_25lookback_scan_determinismE0ELb0ES3_N6thrust23THRUST_200600_302600_NS6detail15normal_iteratorINS9_10device_ptrIiEEEESE_SE_iNS9_4plusIiEE19head_flag_predicateiEE10hipError_tPvRmT2_T3_T4_T5_mT6_T7_P12ihipStream_tbENKUlT_T0_E_clISt17integral_constantIbLb0EESY_EEDaST_SU_EUlST_E_NS1_11comp_targetILNS1_3genE5ELNS1_11target_archE942ELNS1_3gpuE9ELNS1_3repE0EEENS1_30default_config_static_selectorELNS0_4arch9wavefront6targetE0EEEvT1_.kd
    .uniform_work_group_size: 1
    .uses_dynamic_stack: false
    .vgpr_count:     0
    .vgpr_spill_count: 0
    .wavefront_size: 32
  - .args:
      - .offset:         0
        .size:           112
        .value_kind:     by_value
    .group_segment_fixed_size: 0
    .kernarg_segment_align: 8
    .kernarg_segment_size: 112
    .language:       OpenCL C
    .language_version:
      - 2
      - 0
    .max_flat_workgroup_size: 256
    .name:           _ZN7rocprim17ROCPRIM_400000_NS6detail17trampoline_kernelINS0_14default_configENS1_27scan_by_key_config_selectorIiiEEZZNS1_16scan_by_key_implILNS1_25lookback_scan_determinismE0ELb0ES3_N6thrust23THRUST_200600_302600_NS6detail15normal_iteratorINS9_10device_ptrIiEEEESE_SE_iNS9_4plusIiEE19head_flag_predicateiEE10hipError_tPvRmT2_T3_T4_T5_mT6_T7_P12ihipStream_tbENKUlT_T0_E_clISt17integral_constantIbLb0EESY_EEDaST_SU_EUlST_E_NS1_11comp_targetILNS1_3genE4ELNS1_11target_archE910ELNS1_3gpuE8ELNS1_3repE0EEENS1_30default_config_static_selectorELNS0_4arch9wavefront6targetE0EEEvT1_
    .private_segment_fixed_size: 0
    .sgpr_count:     0
    .sgpr_spill_count: 0
    .symbol:         _ZN7rocprim17ROCPRIM_400000_NS6detail17trampoline_kernelINS0_14default_configENS1_27scan_by_key_config_selectorIiiEEZZNS1_16scan_by_key_implILNS1_25lookback_scan_determinismE0ELb0ES3_N6thrust23THRUST_200600_302600_NS6detail15normal_iteratorINS9_10device_ptrIiEEEESE_SE_iNS9_4plusIiEE19head_flag_predicateiEE10hipError_tPvRmT2_T3_T4_T5_mT6_T7_P12ihipStream_tbENKUlT_T0_E_clISt17integral_constantIbLb0EESY_EEDaST_SU_EUlST_E_NS1_11comp_targetILNS1_3genE4ELNS1_11target_archE910ELNS1_3gpuE8ELNS1_3repE0EEENS1_30default_config_static_selectorELNS0_4arch9wavefront6targetE0EEEvT1_.kd
    .uniform_work_group_size: 1
    .uses_dynamic_stack: false
    .vgpr_count:     0
    .vgpr_spill_count: 0
    .wavefront_size: 32
  - .args:
      - .offset:         0
        .size:           112
        .value_kind:     by_value
    .group_segment_fixed_size: 0
    .kernarg_segment_align: 8
    .kernarg_segment_size: 112
    .language:       OpenCL C
    .language_version:
      - 2
      - 0
    .max_flat_workgroup_size: 256
    .name:           _ZN7rocprim17ROCPRIM_400000_NS6detail17trampoline_kernelINS0_14default_configENS1_27scan_by_key_config_selectorIiiEEZZNS1_16scan_by_key_implILNS1_25lookback_scan_determinismE0ELb0ES3_N6thrust23THRUST_200600_302600_NS6detail15normal_iteratorINS9_10device_ptrIiEEEESE_SE_iNS9_4plusIiEE19head_flag_predicateiEE10hipError_tPvRmT2_T3_T4_T5_mT6_T7_P12ihipStream_tbENKUlT_T0_E_clISt17integral_constantIbLb0EESY_EEDaST_SU_EUlST_E_NS1_11comp_targetILNS1_3genE3ELNS1_11target_archE908ELNS1_3gpuE7ELNS1_3repE0EEENS1_30default_config_static_selectorELNS0_4arch9wavefront6targetE0EEEvT1_
    .private_segment_fixed_size: 0
    .sgpr_count:     0
    .sgpr_spill_count: 0
    .symbol:         _ZN7rocprim17ROCPRIM_400000_NS6detail17trampoline_kernelINS0_14default_configENS1_27scan_by_key_config_selectorIiiEEZZNS1_16scan_by_key_implILNS1_25lookback_scan_determinismE0ELb0ES3_N6thrust23THRUST_200600_302600_NS6detail15normal_iteratorINS9_10device_ptrIiEEEESE_SE_iNS9_4plusIiEE19head_flag_predicateiEE10hipError_tPvRmT2_T3_T4_T5_mT6_T7_P12ihipStream_tbENKUlT_T0_E_clISt17integral_constantIbLb0EESY_EEDaST_SU_EUlST_E_NS1_11comp_targetILNS1_3genE3ELNS1_11target_archE908ELNS1_3gpuE7ELNS1_3repE0EEENS1_30default_config_static_selectorELNS0_4arch9wavefront6targetE0EEEvT1_.kd
    .uniform_work_group_size: 1
    .uses_dynamic_stack: false
    .vgpr_count:     0
    .vgpr_spill_count: 0
    .wavefront_size: 32
  - .args:
      - .offset:         0
        .size:           112
        .value_kind:     by_value
    .group_segment_fixed_size: 0
    .kernarg_segment_align: 8
    .kernarg_segment_size: 112
    .language:       OpenCL C
    .language_version:
      - 2
      - 0
    .max_flat_workgroup_size: 256
    .name:           _ZN7rocprim17ROCPRIM_400000_NS6detail17trampoline_kernelINS0_14default_configENS1_27scan_by_key_config_selectorIiiEEZZNS1_16scan_by_key_implILNS1_25lookback_scan_determinismE0ELb0ES3_N6thrust23THRUST_200600_302600_NS6detail15normal_iteratorINS9_10device_ptrIiEEEESE_SE_iNS9_4plusIiEE19head_flag_predicateiEE10hipError_tPvRmT2_T3_T4_T5_mT6_T7_P12ihipStream_tbENKUlT_T0_E_clISt17integral_constantIbLb0EESY_EEDaST_SU_EUlST_E_NS1_11comp_targetILNS1_3genE2ELNS1_11target_archE906ELNS1_3gpuE6ELNS1_3repE0EEENS1_30default_config_static_selectorELNS0_4arch9wavefront6targetE0EEEvT1_
    .private_segment_fixed_size: 0
    .sgpr_count:     0
    .sgpr_spill_count: 0
    .symbol:         _ZN7rocprim17ROCPRIM_400000_NS6detail17trampoline_kernelINS0_14default_configENS1_27scan_by_key_config_selectorIiiEEZZNS1_16scan_by_key_implILNS1_25lookback_scan_determinismE0ELb0ES3_N6thrust23THRUST_200600_302600_NS6detail15normal_iteratorINS9_10device_ptrIiEEEESE_SE_iNS9_4plusIiEE19head_flag_predicateiEE10hipError_tPvRmT2_T3_T4_T5_mT6_T7_P12ihipStream_tbENKUlT_T0_E_clISt17integral_constantIbLb0EESY_EEDaST_SU_EUlST_E_NS1_11comp_targetILNS1_3genE2ELNS1_11target_archE906ELNS1_3gpuE6ELNS1_3repE0EEENS1_30default_config_static_selectorELNS0_4arch9wavefront6targetE0EEEvT1_.kd
    .uniform_work_group_size: 1
    .uses_dynamic_stack: false
    .vgpr_count:     0
    .vgpr_spill_count: 0
    .wavefront_size: 32
  - .args:
      - .offset:         0
        .size:           112
        .value_kind:     by_value
    .group_segment_fixed_size: 0
    .kernarg_segment_align: 8
    .kernarg_segment_size: 112
    .language:       OpenCL C
    .language_version:
      - 2
      - 0
    .max_flat_workgroup_size: 256
    .name:           _ZN7rocprim17ROCPRIM_400000_NS6detail17trampoline_kernelINS0_14default_configENS1_27scan_by_key_config_selectorIiiEEZZNS1_16scan_by_key_implILNS1_25lookback_scan_determinismE0ELb0ES3_N6thrust23THRUST_200600_302600_NS6detail15normal_iteratorINS9_10device_ptrIiEEEESE_SE_iNS9_4plusIiEE19head_flag_predicateiEE10hipError_tPvRmT2_T3_T4_T5_mT6_T7_P12ihipStream_tbENKUlT_T0_E_clISt17integral_constantIbLb0EESY_EEDaST_SU_EUlST_E_NS1_11comp_targetILNS1_3genE10ELNS1_11target_archE1200ELNS1_3gpuE4ELNS1_3repE0EEENS1_30default_config_static_selectorELNS0_4arch9wavefront6targetE0EEEvT1_
    .private_segment_fixed_size: 0
    .sgpr_count:     0
    .sgpr_spill_count: 0
    .symbol:         _ZN7rocprim17ROCPRIM_400000_NS6detail17trampoline_kernelINS0_14default_configENS1_27scan_by_key_config_selectorIiiEEZZNS1_16scan_by_key_implILNS1_25lookback_scan_determinismE0ELb0ES3_N6thrust23THRUST_200600_302600_NS6detail15normal_iteratorINS9_10device_ptrIiEEEESE_SE_iNS9_4plusIiEE19head_flag_predicateiEE10hipError_tPvRmT2_T3_T4_T5_mT6_T7_P12ihipStream_tbENKUlT_T0_E_clISt17integral_constantIbLb0EESY_EEDaST_SU_EUlST_E_NS1_11comp_targetILNS1_3genE10ELNS1_11target_archE1200ELNS1_3gpuE4ELNS1_3repE0EEENS1_30default_config_static_selectorELNS0_4arch9wavefront6targetE0EEEvT1_.kd
    .uniform_work_group_size: 1
    .uses_dynamic_stack: false
    .vgpr_count:     0
    .vgpr_spill_count: 0
    .wavefront_size: 32
  - .args:
      - .offset:         0
        .size:           112
        .value_kind:     by_value
    .group_segment_fixed_size: 0
    .kernarg_segment_align: 8
    .kernarg_segment_size: 112
    .language:       OpenCL C
    .language_version:
      - 2
      - 0
    .max_flat_workgroup_size: 256
    .name:           _ZN7rocprim17ROCPRIM_400000_NS6detail17trampoline_kernelINS0_14default_configENS1_27scan_by_key_config_selectorIiiEEZZNS1_16scan_by_key_implILNS1_25lookback_scan_determinismE0ELb0ES3_N6thrust23THRUST_200600_302600_NS6detail15normal_iteratorINS9_10device_ptrIiEEEESE_SE_iNS9_4plusIiEE19head_flag_predicateiEE10hipError_tPvRmT2_T3_T4_T5_mT6_T7_P12ihipStream_tbENKUlT_T0_E_clISt17integral_constantIbLb0EESY_EEDaST_SU_EUlST_E_NS1_11comp_targetILNS1_3genE9ELNS1_11target_archE1100ELNS1_3gpuE3ELNS1_3repE0EEENS1_30default_config_static_selectorELNS0_4arch9wavefront6targetE0EEEvT1_
    .private_segment_fixed_size: 0
    .sgpr_count:     0
    .sgpr_spill_count: 0
    .symbol:         _ZN7rocprim17ROCPRIM_400000_NS6detail17trampoline_kernelINS0_14default_configENS1_27scan_by_key_config_selectorIiiEEZZNS1_16scan_by_key_implILNS1_25lookback_scan_determinismE0ELb0ES3_N6thrust23THRUST_200600_302600_NS6detail15normal_iteratorINS9_10device_ptrIiEEEESE_SE_iNS9_4plusIiEE19head_flag_predicateiEE10hipError_tPvRmT2_T3_T4_T5_mT6_T7_P12ihipStream_tbENKUlT_T0_E_clISt17integral_constantIbLb0EESY_EEDaST_SU_EUlST_E_NS1_11comp_targetILNS1_3genE9ELNS1_11target_archE1100ELNS1_3gpuE3ELNS1_3repE0EEENS1_30default_config_static_selectorELNS0_4arch9wavefront6targetE0EEEvT1_.kd
    .uniform_work_group_size: 1
    .uses_dynamic_stack: false
    .vgpr_count:     0
    .vgpr_spill_count: 0
    .wavefront_size: 32
  - .args:
      - .offset:         0
        .size:           112
        .value_kind:     by_value
    .group_segment_fixed_size: 0
    .kernarg_segment_align: 8
    .kernarg_segment_size: 112
    .language:       OpenCL C
    .language_version:
      - 2
      - 0
    .max_flat_workgroup_size: 256
    .name:           _ZN7rocprim17ROCPRIM_400000_NS6detail17trampoline_kernelINS0_14default_configENS1_27scan_by_key_config_selectorIiiEEZZNS1_16scan_by_key_implILNS1_25lookback_scan_determinismE0ELb0ES3_N6thrust23THRUST_200600_302600_NS6detail15normal_iteratorINS9_10device_ptrIiEEEESE_SE_iNS9_4plusIiEE19head_flag_predicateiEE10hipError_tPvRmT2_T3_T4_T5_mT6_T7_P12ihipStream_tbENKUlT_T0_E_clISt17integral_constantIbLb0EESY_EEDaST_SU_EUlST_E_NS1_11comp_targetILNS1_3genE8ELNS1_11target_archE1030ELNS1_3gpuE2ELNS1_3repE0EEENS1_30default_config_static_selectorELNS0_4arch9wavefront6targetE0EEEvT1_
    .private_segment_fixed_size: 0
    .sgpr_count:     0
    .sgpr_spill_count: 0
    .symbol:         _ZN7rocprim17ROCPRIM_400000_NS6detail17trampoline_kernelINS0_14default_configENS1_27scan_by_key_config_selectorIiiEEZZNS1_16scan_by_key_implILNS1_25lookback_scan_determinismE0ELb0ES3_N6thrust23THRUST_200600_302600_NS6detail15normal_iteratorINS9_10device_ptrIiEEEESE_SE_iNS9_4plusIiEE19head_flag_predicateiEE10hipError_tPvRmT2_T3_T4_T5_mT6_T7_P12ihipStream_tbENKUlT_T0_E_clISt17integral_constantIbLb0EESY_EEDaST_SU_EUlST_E_NS1_11comp_targetILNS1_3genE8ELNS1_11target_archE1030ELNS1_3gpuE2ELNS1_3repE0EEENS1_30default_config_static_selectorELNS0_4arch9wavefront6targetE0EEEvT1_.kd
    .uniform_work_group_size: 1
    .uses_dynamic_stack: false
    .vgpr_count:     0
    .vgpr_spill_count: 0
    .wavefront_size: 32
  - .args:
      - .offset:         0
        .size:           112
        .value_kind:     by_value
    .group_segment_fixed_size: 0
    .kernarg_segment_align: 8
    .kernarg_segment_size: 112
    .language:       OpenCL C
    .language_version:
      - 2
      - 0
    .max_flat_workgroup_size: 256
    .name:           _ZN7rocprim17ROCPRIM_400000_NS6detail17trampoline_kernelINS0_14default_configENS1_27scan_by_key_config_selectorIiiEEZZNS1_16scan_by_key_implILNS1_25lookback_scan_determinismE0ELb0ES3_N6thrust23THRUST_200600_302600_NS6detail15normal_iteratorINS9_10device_ptrIiEEEESE_SE_iNS9_4plusIiEE19head_flag_predicateiEE10hipError_tPvRmT2_T3_T4_T5_mT6_T7_P12ihipStream_tbENKUlT_T0_E_clISt17integral_constantIbLb1EESY_EEDaST_SU_EUlST_E_NS1_11comp_targetILNS1_3genE0ELNS1_11target_archE4294967295ELNS1_3gpuE0ELNS1_3repE0EEENS1_30default_config_static_selectorELNS0_4arch9wavefront6targetE0EEEvT1_
    .private_segment_fixed_size: 0
    .sgpr_count:     0
    .sgpr_spill_count: 0
    .symbol:         _ZN7rocprim17ROCPRIM_400000_NS6detail17trampoline_kernelINS0_14default_configENS1_27scan_by_key_config_selectorIiiEEZZNS1_16scan_by_key_implILNS1_25lookback_scan_determinismE0ELb0ES3_N6thrust23THRUST_200600_302600_NS6detail15normal_iteratorINS9_10device_ptrIiEEEESE_SE_iNS9_4plusIiEE19head_flag_predicateiEE10hipError_tPvRmT2_T3_T4_T5_mT6_T7_P12ihipStream_tbENKUlT_T0_E_clISt17integral_constantIbLb1EESY_EEDaST_SU_EUlST_E_NS1_11comp_targetILNS1_3genE0ELNS1_11target_archE4294967295ELNS1_3gpuE0ELNS1_3repE0EEENS1_30default_config_static_selectorELNS0_4arch9wavefront6targetE0EEEvT1_.kd
    .uniform_work_group_size: 1
    .uses_dynamic_stack: false
    .vgpr_count:     0
    .vgpr_spill_count: 0
    .wavefront_size: 32
  - .args:
      - .offset:         0
        .size:           112
        .value_kind:     by_value
    .group_segment_fixed_size: 0
    .kernarg_segment_align: 8
    .kernarg_segment_size: 112
    .language:       OpenCL C
    .language_version:
      - 2
      - 0
    .max_flat_workgroup_size: 256
    .name:           _ZN7rocprim17ROCPRIM_400000_NS6detail17trampoline_kernelINS0_14default_configENS1_27scan_by_key_config_selectorIiiEEZZNS1_16scan_by_key_implILNS1_25lookback_scan_determinismE0ELb0ES3_N6thrust23THRUST_200600_302600_NS6detail15normal_iteratorINS9_10device_ptrIiEEEESE_SE_iNS9_4plusIiEE19head_flag_predicateiEE10hipError_tPvRmT2_T3_T4_T5_mT6_T7_P12ihipStream_tbENKUlT_T0_E_clISt17integral_constantIbLb1EESY_EEDaST_SU_EUlST_E_NS1_11comp_targetILNS1_3genE10ELNS1_11target_archE1201ELNS1_3gpuE5ELNS1_3repE0EEENS1_30default_config_static_selectorELNS0_4arch9wavefront6targetE0EEEvT1_
    .private_segment_fixed_size: 0
    .sgpr_count:     0
    .sgpr_spill_count: 0
    .symbol:         _ZN7rocprim17ROCPRIM_400000_NS6detail17trampoline_kernelINS0_14default_configENS1_27scan_by_key_config_selectorIiiEEZZNS1_16scan_by_key_implILNS1_25lookback_scan_determinismE0ELb0ES3_N6thrust23THRUST_200600_302600_NS6detail15normal_iteratorINS9_10device_ptrIiEEEESE_SE_iNS9_4plusIiEE19head_flag_predicateiEE10hipError_tPvRmT2_T3_T4_T5_mT6_T7_P12ihipStream_tbENKUlT_T0_E_clISt17integral_constantIbLb1EESY_EEDaST_SU_EUlST_E_NS1_11comp_targetILNS1_3genE10ELNS1_11target_archE1201ELNS1_3gpuE5ELNS1_3repE0EEENS1_30default_config_static_selectorELNS0_4arch9wavefront6targetE0EEEvT1_.kd
    .uniform_work_group_size: 1
    .uses_dynamic_stack: false
    .vgpr_count:     0
    .vgpr_spill_count: 0
    .wavefront_size: 32
  - .args:
      - .offset:         0
        .size:           112
        .value_kind:     by_value
    .group_segment_fixed_size: 0
    .kernarg_segment_align: 8
    .kernarg_segment_size: 112
    .language:       OpenCL C
    .language_version:
      - 2
      - 0
    .max_flat_workgroup_size: 256
    .name:           _ZN7rocprim17ROCPRIM_400000_NS6detail17trampoline_kernelINS0_14default_configENS1_27scan_by_key_config_selectorIiiEEZZNS1_16scan_by_key_implILNS1_25lookback_scan_determinismE0ELb0ES3_N6thrust23THRUST_200600_302600_NS6detail15normal_iteratorINS9_10device_ptrIiEEEESE_SE_iNS9_4plusIiEE19head_flag_predicateiEE10hipError_tPvRmT2_T3_T4_T5_mT6_T7_P12ihipStream_tbENKUlT_T0_E_clISt17integral_constantIbLb1EESY_EEDaST_SU_EUlST_E_NS1_11comp_targetILNS1_3genE5ELNS1_11target_archE942ELNS1_3gpuE9ELNS1_3repE0EEENS1_30default_config_static_selectorELNS0_4arch9wavefront6targetE0EEEvT1_
    .private_segment_fixed_size: 0
    .sgpr_count:     0
    .sgpr_spill_count: 0
    .symbol:         _ZN7rocprim17ROCPRIM_400000_NS6detail17trampoline_kernelINS0_14default_configENS1_27scan_by_key_config_selectorIiiEEZZNS1_16scan_by_key_implILNS1_25lookback_scan_determinismE0ELb0ES3_N6thrust23THRUST_200600_302600_NS6detail15normal_iteratorINS9_10device_ptrIiEEEESE_SE_iNS9_4plusIiEE19head_flag_predicateiEE10hipError_tPvRmT2_T3_T4_T5_mT6_T7_P12ihipStream_tbENKUlT_T0_E_clISt17integral_constantIbLb1EESY_EEDaST_SU_EUlST_E_NS1_11comp_targetILNS1_3genE5ELNS1_11target_archE942ELNS1_3gpuE9ELNS1_3repE0EEENS1_30default_config_static_selectorELNS0_4arch9wavefront6targetE0EEEvT1_.kd
    .uniform_work_group_size: 1
    .uses_dynamic_stack: false
    .vgpr_count:     0
    .vgpr_spill_count: 0
    .wavefront_size: 32
  - .args:
      - .offset:         0
        .size:           112
        .value_kind:     by_value
    .group_segment_fixed_size: 0
    .kernarg_segment_align: 8
    .kernarg_segment_size: 112
    .language:       OpenCL C
    .language_version:
      - 2
      - 0
    .max_flat_workgroup_size: 256
    .name:           _ZN7rocprim17ROCPRIM_400000_NS6detail17trampoline_kernelINS0_14default_configENS1_27scan_by_key_config_selectorIiiEEZZNS1_16scan_by_key_implILNS1_25lookback_scan_determinismE0ELb0ES3_N6thrust23THRUST_200600_302600_NS6detail15normal_iteratorINS9_10device_ptrIiEEEESE_SE_iNS9_4plusIiEE19head_flag_predicateiEE10hipError_tPvRmT2_T3_T4_T5_mT6_T7_P12ihipStream_tbENKUlT_T0_E_clISt17integral_constantIbLb1EESY_EEDaST_SU_EUlST_E_NS1_11comp_targetILNS1_3genE4ELNS1_11target_archE910ELNS1_3gpuE8ELNS1_3repE0EEENS1_30default_config_static_selectorELNS0_4arch9wavefront6targetE0EEEvT1_
    .private_segment_fixed_size: 0
    .sgpr_count:     0
    .sgpr_spill_count: 0
    .symbol:         _ZN7rocprim17ROCPRIM_400000_NS6detail17trampoline_kernelINS0_14default_configENS1_27scan_by_key_config_selectorIiiEEZZNS1_16scan_by_key_implILNS1_25lookback_scan_determinismE0ELb0ES3_N6thrust23THRUST_200600_302600_NS6detail15normal_iteratorINS9_10device_ptrIiEEEESE_SE_iNS9_4plusIiEE19head_flag_predicateiEE10hipError_tPvRmT2_T3_T4_T5_mT6_T7_P12ihipStream_tbENKUlT_T0_E_clISt17integral_constantIbLb1EESY_EEDaST_SU_EUlST_E_NS1_11comp_targetILNS1_3genE4ELNS1_11target_archE910ELNS1_3gpuE8ELNS1_3repE0EEENS1_30default_config_static_selectorELNS0_4arch9wavefront6targetE0EEEvT1_.kd
    .uniform_work_group_size: 1
    .uses_dynamic_stack: false
    .vgpr_count:     0
    .vgpr_spill_count: 0
    .wavefront_size: 32
  - .args:
      - .offset:         0
        .size:           112
        .value_kind:     by_value
    .group_segment_fixed_size: 0
    .kernarg_segment_align: 8
    .kernarg_segment_size: 112
    .language:       OpenCL C
    .language_version:
      - 2
      - 0
    .max_flat_workgroup_size: 256
    .name:           _ZN7rocprim17ROCPRIM_400000_NS6detail17trampoline_kernelINS0_14default_configENS1_27scan_by_key_config_selectorIiiEEZZNS1_16scan_by_key_implILNS1_25lookback_scan_determinismE0ELb0ES3_N6thrust23THRUST_200600_302600_NS6detail15normal_iteratorINS9_10device_ptrIiEEEESE_SE_iNS9_4plusIiEE19head_flag_predicateiEE10hipError_tPvRmT2_T3_T4_T5_mT6_T7_P12ihipStream_tbENKUlT_T0_E_clISt17integral_constantIbLb1EESY_EEDaST_SU_EUlST_E_NS1_11comp_targetILNS1_3genE3ELNS1_11target_archE908ELNS1_3gpuE7ELNS1_3repE0EEENS1_30default_config_static_selectorELNS0_4arch9wavefront6targetE0EEEvT1_
    .private_segment_fixed_size: 0
    .sgpr_count:     0
    .sgpr_spill_count: 0
    .symbol:         _ZN7rocprim17ROCPRIM_400000_NS6detail17trampoline_kernelINS0_14default_configENS1_27scan_by_key_config_selectorIiiEEZZNS1_16scan_by_key_implILNS1_25lookback_scan_determinismE0ELb0ES3_N6thrust23THRUST_200600_302600_NS6detail15normal_iteratorINS9_10device_ptrIiEEEESE_SE_iNS9_4plusIiEE19head_flag_predicateiEE10hipError_tPvRmT2_T3_T4_T5_mT6_T7_P12ihipStream_tbENKUlT_T0_E_clISt17integral_constantIbLb1EESY_EEDaST_SU_EUlST_E_NS1_11comp_targetILNS1_3genE3ELNS1_11target_archE908ELNS1_3gpuE7ELNS1_3repE0EEENS1_30default_config_static_selectorELNS0_4arch9wavefront6targetE0EEEvT1_.kd
    .uniform_work_group_size: 1
    .uses_dynamic_stack: false
    .vgpr_count:     0
    .vgpr_spill_count: 0
    .wavefront_size: 32
  - .args:
      - .offset:         0
        .size:           112
        .value_kind:     by_value
    .group_segment_fixed_size: 0
    .kernarg_segment_align: 8
    .kernarg_segment_size: 112
    .language:       OpenCL C
    .language_version:
      - 2
      - 0
    .max_flat_workgroup_size: 256
    .name:           _ZN7rocprim17ROCPRIM_400000_NS6detail17trampoline_kernelINS0_14default_configENS1_27scan_by_key_config_selectorIiiEEZZNS1_16scan_by_key_implILNS1_25lookback_scan_determinismE0ELb0ES3_N6thrust23THRUST_200600_302600_NS6detail15normal_iteratorINS9_10device_ptrIiEEEESE_SE_iNS9_4plusIiEE19head_flag_predicateiEE10hipError_tPvRmT2_T3_T4_T5_mT6_T7_P12ihipStream_tbENKUlT_T0_E_clISt17integral_constantIbLb1EESY_EEDaST_SU_EUlST_E_NS1_11comp_targetILNS1_3genE2ELNS1_11target_archE906ELNS1_3gpuE6ELNS1_3repE0EEENS1_30default_config_static_selectorELNS0_4arch9wavefront6targetE0EEEvT1_
    .private_segment_fixed_size: 0
    .sgpr_count:     0
    .sgpr_spill_count: 0
    .symbol:         _ZN7rocprim17ROCPRIM_400000_NS6detail17trampoline_kernelINS0_14default_configENS1_27scan_by_key_config_selectorIiiEEZZNS1_16scan_by_key_implILNS1_25lookback_scan_determinismE0ELb0ES3_N6thrust23THRUST_200600_302600_NS6detail15normal_iteratorINS9_10device_ptrIiEEEESE_SE_iNS9_4plusIiEE19head_flag_predicateiEE10hipError_tPvRmT2_T3_T4_T5_mT6_T7_P12ihipStream_tbENKUlT_T0_E_clISt17integral_constantIbLb1EESY_EEDaST_SU_EUlST_E_NS1_11comp_targetILNS1_3genE2ELNS1_11target_archE906ELNS1_3gpuE6ELNS1_3repE0EEENS1_30default_config_static_selectorELNS0_4arch9wavefront6targetE0EEEvT1_.kd
    .uniform_work_group_size: 1
    .uses_dynamic_stack: false
    .vgpr_count:     0
    .vgpr_spill_count: 0
    .wavefront_size: 32
  - .args:
      - .offset:         0
        .size:           112
        .value_kind:     by_value
    .group_segment_fixed_size: 0
    .kernarg_segment_align: 8
    .kernarg_segment_size: 112
    .language:       OpenCL C
    .language_version:
      - 2
      - 0
    .max_flat_workgroup_size: 256
    .name:           _ZN7rocprim17ROCPRIM_400000_NS6detail17trampoline_kernelINS0_14default_configENS1_27scan_by_key_config_selectorIiiEEZZNS1_16scan_by_key_implILNS1_25lookback_scan_determinismE0ELb0ES3_N6thrust23THRUST_200600_302600_NS6detail15normal_iteratorINS9_10device_ptrIiEEEESE_SE_iNS9_4plusIiEE19head_flag_predicateiEE10hipError_tPvRmT2_T3_T4_T5_mT6_T7_P12ihipStream_tbENKUlT_T0_E_clISt17integral_constantIbLb1EESY_EEDaST_SU_EUlST_E_NS1_11comp_targetILNS1_3genE10ELNS1_11target_archE1200ELNS1_3gpuE4ELNS1_3repE0EEENS1_30default_config_static_selectorELNS0_4arch9wavefront6targetE0EEEvT1_
    .private_segment_fixed_size: 0
    .sgpr_count:     0
    .sgpr_spill_count: 0
    .symbol:         _ZN7rocprim17ROCPRIM_400000_NS6detail17trampoline_kernelINS0_14default_configENS1_27scan_by_key_config_selectorIiiEEZZNS1_16scan_by_key_implILNS1_25lookback_scan_determinismE0ELb0ES3_N6thrust23THRUST_200600_302600_NS6detail15normal_iteratorINS9_10device_ptrIiEEEESE_SE_iNS9_4plusIiEE19head_flag_predicateiEE10hipError_tPvRmT2_T3_T4_T5_mT6_T7_P12ihipStream_tbENKUlT_T0_E_clISt17integral_constantIbLb1EESY_EEDaST_SU_EUlST_E_NS1_11comp_targetILNS1_3genE10ELNS1_11target_archE1200ELNS1_3gpuE4ELNS1_3repE0EEENS1_30default_config_static_selectorELNS0_4arch9wavefront6targetE0EEEvT1_.kd
    .uniform_work_group_size: 1
    .uses_dynamic_stack: false
    .vgpr_count:     0
    .vgpr_spill_count: 0
    .wavefront_size: 32
  - .args:
      - .offset:         0
        .size:           112
        .value_kind:     by_value
    .group_segment_fixed_size: 0
    .kernarg_segment_align: 8
    .kernarg_segment_size: 112
    .language:       OpenCL C
    .language_version:
      - 2
      - 0
    .max_flat_workgroup_size: 256
    .name:           _ZN7rocprim17ROCPRIM_400000_NS6detail17trampoline_kernelINS0_14default_configENS1_27scan_by_key_config_selectorIiiEEZZNS1_16scan_by_key_implILNS1_25lookback_scan_determinismE0ELb0ES3_N6thrust23THRUST_200600_302600_NS6detail15normal_iteratorINS9_10device_ptrIiEEEESE_SE_iNS9_4plusIiEE19head_flag_predicateiEE10hipError_tPvRmT2_T3_T4_T5_mT6_T7_P12ihipStream_tbENKUlT_T0_E_clISt17integral_constantIbLb1EESY_EEDaST_SU_EUlST_E_NS1_11comp_targetILNS1_3genE9ELNS1_11target_archE1100ELNS1_3gpuE3ELNS1_3repE0EEENS1_30default_config_static_selectorELNS0_4arch9wavefront6targetE0EEEvT1_
    .private_segment_fixed_size: 0
    .sgpr_count:     0
    .sgpr_spill_count: 0
    .symbol:         _ZN7rocprim17ROCPRIM_400000_NS6detail17trampoline_kernelINS0_14default_configENS1_27scan_by_key_config_selectorIiiEEZZNS1_16scan_by_key_implILNS1_25lookback_scan_determinismE0ELb0ES3_N6thrust23THRUST_200600_302600_NS6detail15normal_iteratorINS9_10device_ptrIiEEEESE_SE_iNS9_4plusIiEE19head_flag_predicateiEE10hipError_tPvRmT2_T3_T4_T5_mT6_T7_P12ihipStream_tbENKUlT_T0_E_clISt17integral_constantIbLb1EESY_EEDaST_SU_EUlST_E_NS1_11comp_targetILNS1_3genE9ELNS1_11target_archE1100ELNS1_3gpuE3ELNS1_3repE0EEENS1_30default_config_static_selectorELNS0_4arch9wavefront6targetE0EEEvT1_.kd
    .uniform_work_group_size: 1
    .uses_dynamic_stack: false
    .vgpr_count:     0
    .vgpr_spill_count: 0
    .wavefront_size: 32
  - .args:
      - .offset:         0
        .size:           112
        .value_kind:     by_value
    .group_segment_fixed_size: 0
    .kernarg_segment_align: 8
    .kernarg_segment_size: 112
    .language:       OpenCL C
    .language_version:
      - 2
      - 0
    .max_flat_workgroup_size: 256
    .name:           _ZN7rocprim17ROCPRIM_400000_NS6detail17trampoline_kernelINS0_14default_configENS1_27scan_by_key_config_selectorIiiEEZZNS1_16scan_by_key_implILNS1_25lookback_scan_determinismE0ELb0ES3_N6thrust23THRUST_200600_302600_NS6detail15normal_iteratorINS9_10device_ptrIiEEEESE_SE_iNS9_4plusIiEE19head_flag_predicateiEE10hipError_tPvRmT2_T3_T4_T5_mT6_T7_P12ihipStream_tbENKUlT_T0_E_clISt17integral_constantIbLb1EESY_EEDaST_SU_EUlST_E_NS1_11comp_targetILNS1_3genE8ELNS1_11target_archE1030ELNS1_3gpuE2ELNS1_3repE0EEENS1_30default_config_static_selectorELNS0_4arch9wavefront6targetE0EEEvT1_
    .private_segment_fixed_size: 0
    .sgpr_count:     0
    .sgpr_spill_count: 0
    .symbol:         _ZN7rocprim17ROCPRIM_400000_NS6detail17trampoline_kernelINS0_14default_configENS1_27scan_by_key_config_selectorIiiEEZZNS1_16scan_by_key_implILNS1_25lookback_scan_determinismE0ELb0ES3_N6thrust23THRUST_200600_302600_NS6detail15normal_iteratorINS9_10device_ptrIiEEEESE_SE_iNS9_4plusIiEE19head_flag_predicateiEE10hipError_tPvRmT2_T3_T4_T5_mT6_T7_P12ihipStream_tbENKUlT_T0_E_clISt17integral_constantIbLb1EESY_EEDaST_SU_EUlST_E_NS1_11comp_targetILNS1_3genE8ELNS1_11target_archE1030ELNS1_3gpuE2ELNS1_3repE0EEENS1_30default_config_static_selectorELNS0_4arch9wavefront6targetE0EEEvT1_.kd
    .uniform_work_group_size: 1
    .uses_dynamic_stack: false
    .vgpr_count:     0
    .vgpr_spill_count: 0
    .wavefront_size: 32
  - .args:
      - .offset:         0
        .size:           112
        .value_kind:     by_value
    .group_segment_fixed_size: 0
    .kernarg_segment_align: 8
    .kernarg_segment_size: 112
    .language:       OpenCL C
    .language_version:
      - 2
      - 0
    .max_flat_workgroup_size: 256
    .name:           _ZN7rocprim17ROCPRIM_400000_NS6detail17trampoline_kernelINS0_14default_configENS1_27scan_by_key_config_selectorIiiEEZZNS1_16scan_by_key_implILNS1_25lookback_scan_determinismE0ELb0ES3_N6thrust23THRUST_200600_302600_NS6detail15normal_iteratorINS9_10device_ptrIiEEEESE_SE_iNS9_4plusIiEE19head_flag_predicateiEE10hipError_tPvRmT2_T3_T4_T5_mT6_T7_P12ihipStream_tbENKUlT_T0_E_clISt17integral_constantIbLb1EESX_IbLb0EEEEDaST_SU_EUlST_E_NS1_11comp_targetILNS1_3genE0ELNS1_11target_archE4294967295ELNS1_3gpuE0ELNS1_3repE0EEENS1_30default_config_static_selectorELNS0_4arch9wavefront6targetE0EEEvT1_
    .private_segment_fixed_size: 0
    .sgpr_count:     0
    .sgpr_spill_count: 0
    .symbol:         _ZN7rocprim17ROCPRIM_400000_NS6detail17trampoline_kernelINS0_14default_configENS1_27scan_by_key_config_selectorIiiEEZZNS1_16scan_by_key_implILNS1_25lookback_scan_determinismE0ELb0ES3_N6thrust23THRUST_200600_302600_NS6detail15normal_iteratorINS9_10device_ptrIiEEEESE_SE_iNS9_4plusIiEE19head_flag_predicateiEE10hipError_tPvRmT2_T3_T4_T5_mT6_T7_P12ihipStream_tbENKUlT_T0_E_clISt17integral_constantIbLb1EESX_IbLb0EEEEDaST_SU_EUlST_E_NS1_11comp_targetILNS1_3genE0ELNS1_11target_archE4294967295ELNS1_3gpuE0ELNS1_3repE0EEENS1_30default_config_static_selectorELNS0_4arch9wavefront6targetE0EEEvT1_.kd
    .uniform_work_group_size: 1
    .uses_dynamic_stack: false
    .vgpr_count:     0
    .vgpr_spill_count: 0
    .wavefront_size: 32
  - .args:
      - .offset:         0
        .size:           112
        .value_kind:     by_value
    .group_segment_fixed_size: 0
    .kernarg_segment_align: 8
    .kernarg_segment_size: 112
    .language:       OpenCL C
    .language_version:
      - 2
      - 0
    .max_flat_workgroup_size: 256
    .name:           _ZN7rocprim17ROCPRIM_400000_NS6detail17trampoline_kernelINS0_14default_configENS1_27scan_by_key_config_selectorIiiEEZZNS1_16scan_by_key_implILNS1_25lookback_scan_determinismE0ELb0ES3_N6thrust23THRUST_200600_302600_NS6detail15normal_iteratorINS9_10device_ptrIiEEEESE_SE_iNS9_4plusIiEE19head_flag_predicateiEE10hipError_tPvRmT2_T3_T4_T5_mT6_T7_P12ihipStream_tbENKUlT_T0_E_clISt17integral_constantIbLb1EESX_IbLb0EEEEDaST_SU_EUlST_E_NS1_11comp_targetILNS1_3genE10ELNS1_11target_archE1201ELNS1_3gpuE5ELNS1_3repE0EEENS1_30default_config_static_selectorELNS0_4arch9wavefront6targetE0EEEvT1_
    .private_segment_fixed_size: 0
    .sgpr_count:     0
    .sgpr_spill_count: 0
    .symbol:         _ZN7rocprim17ROCPRIM_400000_NS6detail17trampoline_kernelINS0_14default_configENS1_27scan_by_key_config_selectorIiiEEZZNS1_16scan_by_key_implILNS1_25lookback_scan_determinismE0ELb0ES3_N6thrust23THRUST_200600_302600_NS6detail15normal_iteratorINS9_10device_ptrIiEEEESE_SE_iNS9_4plusIiEE19head_flag_predicateiEE10hipError_tPvRmT2_T3_T4_T5_mT6_T7_P12ihipStream_tbENKUlT_T0_E_clISt17integral_constantIbLb1EESX_IbLb0EEEEDaST_SU_EUlST_E_NS1_11comp_targetILNS1_3genE10ELNS1_11target_archE1201ELNS1_3gpuE5ELNS1_3repE0EEENS1_30default_config_static_selectorELNS0_4arch9wavefront6targetE0EEEvT1_.kd
    .uniform_work_group_size: 1
    .uses_dynamic_stack: false
    .vgpr_count:     0
    .vgpr_spill_count: 0
    .wavefront_size: 32
  - .args:
      - .offset:         0
        .size:           112
        .value_kind:     by_value
    .group_segment_fixed_size: 0
    .kernarg_segment_align: 8
    .kernarg_segment_size: 112
    .language:       OpenCL C
    .language_version:
      - 2
      - 0
    .max_flat_workgroup_size: 256
    .name:           _ZN7rocprim17ROCPRIM_400000_NS6detail17trampoline_kernelINS0_14default_configENS1_27scan_by_key_config_selectorIiiEEZZNS1_16scan_by_key_implILNS1_25lookback_scan_determinismE0ELb0ES3_N6thrust23THRUST_200600_302600_NS6detail15normal_iteratorINS9_10device_ptrIiEEEESE_SE_iNS9_4plusIiEE19head_flag_predicateiEE10hipError_tPvRmT2_T3_T4_T5_mT6_T7_P12ihipStream_tbENKUlT_T0_E_clISt17integral_constantIbLb1EESX_IbLb0EEEEDaST_SU_EUlST_E_NS1_11comp_targetILNS1_3genE5ELNS1_11target_archE942ELNS1_3gpuE9ELNS1_3repE0EEENS1_30default_config_static_selectorELNS0_4arch9wavefront6targetE0EEEvT1_
    .private_segment_fixed_size: 0
    .sgpr_count:     0
    .sgpr_spill_count: 0
    .symbol:         _ZN7rocprim17ROCPRIM_400000_NS6detail17trampoline_kernelINS0_14default_configENS1_27scan_by_key_config_selectorIiiEEZZNS1_16scan_by_key_implILNS1_25lookback_scan_determinismE0ELb0ES3_N6thrust23THRUST_200600_302600_NS6detail15normal_iteratorINS9_10device_ptrIiEEEESE_SE_iNS9_4plusIiEE19head_flag_predicateiEE10hipError_tPvRmT2_T3_T4_T5_mT6_T7_P12ihipStream_tbENKUlT_T0_E_clISt17integral_constantIbLb1EESX_IbLb0EEEEDaST_SU_EUlST_E_NS1_11comp_targetILNS1_3genE5ELNS1_11target_archE942ELNS1_3gpuE9ELNS1_3repE0EEENS1_30default_config_static_selectorELNS0_4arch9wavefront6targetE0EEEvT1_.kd
    .uniform_work_group_size: 1
    .uses_dynamic_stack: false
    .vgpr_count:     0
    .vgpr_spill_count: 0
    .wavefront_size: 32
  - .args:
      - .offset:         0
        .size:           112
        .value_kind:     by_value
    .group_segment_fixed_size: 0
    .kernarg_segment_align: 8
    .kernarg_segment_size: 112
    .language:       OpenCL C
    .language_version:
      - 2
      - 0
    .max_flat_workgroup_size: 256
    .name:           _ZN7rocprim17ROCPRIM_400000_NS6detail17trampoline_kernelINS0_14default_configENS1_27scan_by_key_config_selectorIiiEEZZNS1_16scan_by_key_implILNS1_25lookback_scan_determinismE0ELb0ES3_N6thrust23THRUST_200600_302600_NS6detail15normal_iteratorINS9_10device_ptrIiEEEESE_SE_iNS9_4plusIiEE19head_flag_predicateiEE10hipError_tPvRmT2_T3_T4_T5_mT6_T7_P12ihipStream_tbENKUlT_T0_E_clISt17integral_constantIbLb1EESX_IbLb0EEEEDaST_SU_EUlST_E_NS1_11comp_targetILNS1_3genE4ELNS1_11target_archE910ELNS1_3gpuE8ELNS1_3repE0EEENS1_30default_config_static_selectorELNS0_4arch9wavefront6targetE0EEEvT1_
    .private_segment_fixed_size: 0
    .sgpr_count:     0
    .sgpr_spill_count: 0
    .symbol:         _ZN7rocprim17ROCPRIM_400000_NS6detail17trampoline_kernelINS0_14default_configENS1_27scan_by_key_config_selectorIiiEEZZNS1_16scan_by_key_implILNS1_25lookback_scan_determinismE0ELb0ES3_N6thrust23THRUST_200600_302600_NS6detail15normal_iteratorINS9_10device_ptrIiEEEESE_SE_iNS9_4plusIiEE19head_flag_predicateiEE10hipError_tPvRmT2_T3_T4_T5_mT6_T7_P12ihipStream_tbENKUlT_T0_E_clISt17integral_constantIbLb1EESX_IbLb0EEEEDaST_SU_EUlST_E_NS1_11comp_targetILNS1_3genE4ELNS1_11target_archE910ELNS1_3gpuE8ELNS1_3repE0EEENS1_30default_config_static_selectorELNS0_4arch9wavefront6targetE0EEEvT1_.kd
    .uniform_work_group_size: 1
    .uses_dynamic_stack: false
    .vgpr_count:     0
    .vgpr_spill_count: 0
    .wavefront_size: 32
  - .args:
      - .offset:         0
        .size:           112
        .value_kind:     by_value
    .group_segment_fixed_size: 0
    .kernarg_segment_align: 8
    .kernarg_segment_size: 112
    .language:       OpenCL C
    .language_version:
      - 2
      - 0
    .max_flat_workgroup_size: 256
    .name:           _ZN7rocprim17ROCPRIM_400000_NS6detail17trampoline_kernelINS0_14default_configENS1_27scan_by_key_config_selectorIiiEEZZNS1_16scan_by_key_implILNS1_25lookback_scan_determinismE0ELb0ES3_N6thrust23THRUST_200600_302600_NS6detail15normal_iteratorINS9_10device_ptrIiEEEESE_SE_iNS9_4plusIiEE19head_flag_predicateiEE10hipError_tPvRmT2_T3_T4_T5_mT6_T7_P12ihipStream_tbENKUlT_T0_E_clISt17integral_constantIbLb1EESX_IbLb0EEEEDaST_SU_EUlST_E_NS1_11comp_targetILNS1_3genE3ELNS1_11target_archE908ELNS1_3gpuE7ELNS1_3repE0EEENS1_30default_config_static_selectorELNS0_4arch9wavefront6targetE0EEEvT1_
    .private_segment_fixed_size: 0
    .sgpr_count:     0
    .sgpr_spill_count: 0
    .symbol:         _ZN7rocprim17ROCPRIM_400000_NS6detail17trampoline_kernelINS0_14default_configENS1_27scan_by_key_config_selectorIiiEEZZNS1_16scan_by_key_implILNS1_25lookback_scan_determinismE0ELb0ES3_N6thrust23THRUST_200600_302600_NS6detail15normal_iteratorINS9_10device_ptrIiEEEESE_SE_iNS9_4plusIiEE19head_flag_predicateiEE10hipError_tPvRmT2_T3_T4_T5_mT6_T7_P12ihipStream_tbENKUlT_T0_E_clISt17integral_constantIbLb1EESX_IbLb0EEEEDaST_SU_EUlST_E_NS1_11comp_targetILNS1_3genE3ELNS1_11target_archE908ELNS1_3gpuE7ELNS1_3repE0EEENS1_30default_config_static_selectorELNS0_4arch9wavefront6targetE0EEEvT1_.kd
    .uniform_work_group_size: 1
    .uses_dynamic_stack: false
    .vgpr_count:     0
    .vgpr_spill_count: 0
    .wavefront_size: 32
  - .args:
      - .offset:         0
        .size:           112
        .value_kind:     by_value
    .group_segment_fixed_size: 0
    .kernarg_segment_align: 8
    .kernarg_segment_size: 112
    .language:       OpenCL C
    .language_version:
      - 2
      - 0
    .max_flat_workgroup_size: 256
    .name:           _ZN7rocprim17ROCPRIM_400000_NS6detail17trampoline_kernelINS0_14default_configENS1_27scan_by_key_config_selectorIiiEEZZNS1_16scan_by_key_implILNS1_25lookback_scan_determinismE0ELb0ES3_N6thrust23THRUST_200600_302600_NS6detail15normal_iteratorINS9_10device_ptrIiEEEESE_SE_iNS9_4plusIiEE19head_flag_predicateiEE10hipError_tPvRmT2_T3_T4_T5_mT6_T7_P12ihipStream_tbENKUlT_T0_E_clISt17integral_constantIbLb1EESX_IbLb0EEEEDaST_SU_EUlST_E_NS1_11comp_targetILNS1_3genE2ELNS1_11target_archE906ELNS1_3gpuE6ELNS1_3repE0EEENS1_30default_config_static_selectorELNS0_4arch9wavefront6targetE0EEEvT1_
    .private_segment_fixed_size: 0
    .sgpr_count:     0
    .sgpr_spill_count: 0
    .symbol:         _ZN7rocprim17ROCPRIM_400000_NS6detail17trampoline_kernelINS0_14default_configENS1_27scan_by_key_config_selectorIiiEEZZNS1_16scan_by_key_implILNS1_25lookback_scan_determinismE0ELb0ES3_N6thrust23THRUST_200600_302600_NS6detail15normal_iteratorINS9_10device_ptrIiEEEESE_SE_iNS9_4plusIiEE19head_flag_predicateiEE10hipError_tPvRmT2_T3_T4_T5_mT6_T7_P12ihipStream_tbENKUlT_T0_E_clISt17integral_constantIbLb1EESX_IbLb0EEEEDaST_SU_EUlST_E_NS1_11comp_targetILNS1_3genE2ELNS1_11target_archE906ELNS1_3gpuE6ELNS1_3repE0EEENS1_30default_config_static_selectorELNS0_4arch9wavefront6targetE0EEEvT1_.kd
    .uniform_work_group_size: 1
    .uses_dynamic_stack: false
    .vgpr_count:     0
    .vgpr_spill_count: 0
    .wavefront_size: 32
  - .args:
      - .offset:         0
        .size:           112
        .value_kind:     by_value
    .group_segment_fixed_size: 0
    .kernarg_segment_align: 8
    .kernarg_segment_size: 112
    .language:       OpenCL C
    .language_version:
      - 2
      - 0
    .max_flat_workgroup_size: 256
    .name:           _ZN7rocprim17ROCPRIM_400000_NS6detail17trampoline_kernelINS0_14default_configENS1_27scan_by_key_config_selectorIiiEEZZNS1_16scan_by_key_implILNS1_25lookback_scan_determinismE0ELb0ES3_N6thrust23THRUST_200600_302600_NS6detail15normal_iteratorINS9_10device_ptrIiEEEESE_SE_iNS9_4plusIiEE19head_flag_predicateiEE10hipError_tPvRmT2_T3_T4_T5_mT6_T7_P12ihipStream_tbENKUlT_T0_E_clISt17integral_constantIbLb1EESX_IbLb0EEEEDaST_SU_EUlST_E_NS1_11comp_targetILNS1_3genE10ELNS1_11target_archE1200ELNS1_3gpuE4ELNS1_3repE0EEENS1_30default_config_static_selectorELNS0_4arch9wavefront6targetE0EEEvT1_
    .private_segment_fixed_size: 0
    .sgpr_count:     0
    .sgpr_spill_count: 0
    .symbol:         _ZN7rocprim17ROCPRIM_400000_NS6detail17trampoline_kernelINS0_14default_configENS1_27scan_by_key_config_selectorIiiEEZZNS1_16scan_by_key_implILNS1_25lookback_scan_determinismE0ELb0ES3_N6thrust23THRUST_200600_302600_NS6detail15normal_iteratorINS9_10device_ptrIiEEEESE_SE_iNS9_4plusIiEE19head_flag_predicateiEE10hipError_tPvRmT2_T3_T4_T5_mT6_T7_P12ihipStream_tbENKUlT_T0_E_clISt17integral_constantIbLb1EESX_IbLb0EEEEDaST_SU_EUlST_E_NS1_11comp_targetILNS1_3genE10ELNS1_11target_archE1200ELNS1_3gpuE4ELNS1_3repE0EEENS1_30default_config_static_selectorELNS0_4arch9wavefront6targetE0EEEvT1_.kd
    .uniform_work_group_size: 1
    .uses_dynamic_stack: false
    .vgpr_count:     0
    .vgpr_spill_count: 0
    .wavefront_size: 32
  - .args:
      - .offset:         0
        .size:           112
        .value_kind:     by_value
    .group_segment_fixed_size: 0
    .kernarg_segment_align: 8
    .kernarg_segment_size: 112
    .language:       OpenCL C
    .language_version:
      - 2
      - 0
    .max_flat_workgroup_size: 256
    .name:           _ZN7rocprim17ROCPRIM_400000_NS6detail17trampoline_kernelINS0_14default_configENS1_27scan_by_key_config_selectorIiiEEZZNS1_16scan_by_key_implILNS1_25lookback_scan_determinismE0ELb0ES3_N6thrust23THRUST_200600_302600_NS6detail15normal_iteratorINS9_10device_ptrIiEEEESE_SE_iNS9_4plusIiEE19head_flag_predicateiEE10hipError_tPvRmT2_T3_T4_T5_mT6_T7_P12ihipStream_tbENKUlT_T0_E_clISt17integral_constantIbLb1EESX_IbLb0EEEEDaST_SU_EUlST_E_NS1_11comp_targetILNS1_3genE9ELNS1_11target_archE1100ELNS1_3gpuE3ELNS1_3repE0EEENS1_30default_config_static_selectorELNS0_4arch9wavefront6targetE0EEEvT1_
    .private_segment_fixed_size: 0
    .sgpr_count:     0
    .sgpr_spill_count: 0
    .symbol:         _ZN7rocprim17ROCPRIM_400000_NS6detail17trampoline_kernelINS0_14default_configENS1_27scan_by_key_config_selectorIiiEEZZNS1_16scan_by_key_implILNS1_25lookback_scan_determinismE0ELb0ES3_N6thrust23THRUST_200600_302600_NS6detail15normal_iteratorINS9_10device_ptrIiEEEESE_SE_iNS9_4plusIiEE19head_flag_predicateiEE10hipError_tPvRmT2_T3_T4_T5_mT6_T7_P12ihipStream_tbENKUlT_T0_E_clISt17integral_constantIbLb1EESX_IbLb0EEEEDaST_SU_EUlST_E_NS1_11comp_targetILNS1_3genE9ELNS1_11target_archE1100ELNS1_3gpuE3ELNS1_3repE0EEENS1_30default_config_static_selectorELNS0_4arch9wavefront6targetE0EEEvT1_.kd
    .uniform_work_group_size: 1
    .uses_dynamic_stack: false
    .vgpr_count:     0
    .vgpr_spill_count: 0
    .wavefront_size: 32
  - .args:
      - .offset:         0
        .size:           112
        .value_kind:     by_value
    .group_segment_fixed_size: 0
    .kernarg_segment_align: 8
    .kernarg_segment_size: 112
    .language:       OpenCL C
    .language_version:
      - 2
      - 0
    .max_flat_workgroup_size: 256
    .name:           _ZN7rocprim17ROCPRIM_400000_NS6detail17trampoline_kernelINS0_14default_configENS1_27scan_by_key_config_selectorIiiEEZZNS1_16scan_by_key_implILNS1_25lookback_scan_determinismE0ELb0ES3_N6thrust23THRUST_200600_302600_NS6detail15normal_iteratorINS9_10device_ptrIiEEEESE_SE_iNS9_4plusIiEE19head_flag_predicateiEE10hipError_tPvRmT2_T3_T4_T5_mT6_T7_P12ihipStream_tbENKUlT_T0_E_clISt17integral_constantIbLb1EESX_IbLb0EEEEDaST_SU_EUlST_E_NS1_11comp_targetILNS1_3genE8ELNS1_11target_archE1030ELNS1_3gpuE2ELNS1_3repE0EEENS1_30default_config_static_selectorELNS0_4arch9wavefront6targetE0EEEvT1_
    .private_segment_fixed_size: 0
    .sgpr_count:     0
    .sgpr_spill_count: 0
    .symbol:         _ZN7rocprim17ROCPRIM_400000_NS6detail17trampoline_kernelINS0_14default_configENS1_27scan_by_key_config_selectorIiiEEZZNS1_16scan_by_key_implILNS1_25lookback_scan_determinismE0ELb0ES3_N6thrust23THRUST_200600_302600_NS6detail15normal_iteratorINS9_10device_ptrIiEEEESE_SE_iNS9_4plusIiEE19head_flag_predicateiEE10hipError_tPvRmT2_T3_T4_T5_mT6_T7_P12ihipStream_tbENKUlT_T0_E_clISt17integral_constantIbLb1EESX_IbLb0EEEEDaST_SU_EUlST_E_NS1_11comp_targetILNS1_3genE8ELNS1_11target_archE1030ELNS1_3gpuE2ELNS1_3repE0EEENS1_30default_config_static_selectorELNS0_4arch9wavefront6targetE0EEEvT1_.kd
    .uniform_work_group_size: 1
    .uses_dynamic_stack: false
    .vgpr_count:     0
    .vgpr_spill_count: 0
    .wavefront_size: 32
  - .args:
      - .offset:         0
        .size:           112
        .value_kind:     by_value
    .group_segment_fixed_size: 14336
    .kernarg_segment_align: 8
    .kernarg_segment_size: 112
    .language:       OpenCL C
    .language_version:
      - 2
      - 0
    .max_flat_workgroup_size: 256
    .name:           _ZN7rocprim17ROCPRIM_400000_NS6detail17trampoline_kernelINS0_14default_configENS1_27scan_by_key_config_selectorIiiEEZZNS1_16scan_by_key_implILNS1_25lookback_scan_determinismE0ELb0ES3_N6thrust23THRUST_200600_302600_NS6detail15normal_iteratorINS9_10device_ptrIiEEEESE_SE_iNS9_4plusIiEE19head_flag_predicateiEE10hipError_tPvRmT2_T3_T4_T5_mT6_T7_P12ihipStream_tbENKUlT_T0_E_clISt17integral_constantIbLb0EESX_IbLb1EEEEDaST_SU_EUlST_E_NS1_11comp_targetILNS1_3genE0ELNS1_11target_archE4294967295ELNS1_3gpuE0ELNS1_3repE0EEENS1_30default_config_static_selectorELNS0_4arch9wavefront6targetE0EEEvT1_
    .private_segment_fixed_size: 0
    .sgpr_count:     39
    .sgpr_spill_count: 0
    .symbol:         _ZN7rocprim17ROCPRIM_400000_NS6detail17trampoline_kernelINS0_14default_configENS1_27scan_by_key_config_selectorIiiEEZZNS1_16scan_by_key_implILNS1_25lookback_scan_determinismE0ELb0ES3_N6thrust23THRUST_200600_302600_NS6detail15normal_iteratorINS9_10device_ptrIiEEEESE_SE_iNS9_4plusIiEE19head_flag_predicateiEE10hipError_tPvRmT2_T3_T4_T5_mT6_T7_P12ihipStream_tbENKUlT_T0_E_clISt17integral_constantIbLb0EESX_IbLb1EEEEDaST_SU_EUlST_E_NS1_11comp_targetILNS1_3genE0ELNS1_11target_archE4294967295ELNS1_3gpuE0ELNS1_3repE0EEENS1_30default_config_static_selectorELNS0_4arch9wavefront6targetE0EEEvT1_.kd
    .uniform_work_group_size: 1
    .uses_dynamic_stack: false
    .vgpr_count:     62
    .vgpr_spill_count: 0
    .wavefront_size: 32
  - .args:
      - .offset:         0
        .size:           112
        .value_kind:     by_value
    .group_segment_fixed_size: 0
    .kernarg_segment_align: 8
    .kernarg_segment_size: 112
    .language:       OpenCL C
    .language_version:
      - 2
      - 0
    .max_flat_workgroup_size: 256
    .name:           _ZN7rocprim17ROCPRIM_400000_NS6detail17trampoline_kernelINS0_14default_configENS1_27scan_by_key_config_selectorIiiEEZZNS1_16scan_by_key_implILNS1_25lookback_scan_determinismE0ELb0ES3_N6thrust23THRUST_200600_302600_NS6detail15normal_iteratorINS9_10device_ptrIiEEEESE_SE_iNS9_4plusIiEE19head_flag_predicateiEE10hipError_tPvRmT2_T3_T4_T5_mT6_T7_P12ihipStream_tbENKUlT_T0_E_clISt17integral_constantIbLb0EESX_IbLb1EEEEDaST_SU_EUlST_E_NS1_11comp_targetILNS1_3genE10ELNS1_11target_archE1201ELNS1_3gpuE5ELNS1_3repE0EEENS1_30default_config_static_selectorELNS0_4arch9wavefront6targetE0EEEvT1_
    .private_segment_fixed_size: 0
    .sgpr_count:     0
    .sgpr_spill_count: 0
    .symbol:         _ZN7rocprim17ROCPRIM_400000_NS6detail17trampoline_kernelINS0_14default_configENS1_27scan_by_key_config_selectorIiiEEZZNS1_16scan_by_key_implILNS1_25lookback_scan_determinismE0ELb0ES3_N6thrust23THRUST_200600_302600_NS6detail15normal_iteratorINS9_10device_ptrIiEEEESE_SE_iNS9_4plusIiEE19head_flag_predicateiEE10hipError_tPvRmT2_T3_T4_T5_mT6_T7_P12ihipStream_tbENKUlT_T0_E_clISt17integral_constantIbLb0EESX_IbLb1EEEEDaST_SU_EUlST_E_NS1_11comp_targetILNS1_3genE10ELNS1_11target_archE1201ELNS1_3gpuE5ELNS1_3repE0EEENS1_30default_config_static_selectorELNS0_4arch9wavefront6targetE0EEEvT1_.kd
    .uniform_work_group_size: 1
    .uses_dynamic_stack: false
    .vgpr_count:     0
    .vgpr_spill_count: 0
    .wavefront_size: 32
  - .args:
      - .offset:         0
        .size:           112
        .value_kind:     by_value
    .group_segment_fixed_size: 0
    .kernarg_segment_align: 8
    .kernarg_segment_size: 112
    .language:       OpenCL C
    .language_version:
      - 2
      - 0
    .max_flat_workgroup_size: 256
    .name:           _ZN7rocprim17ROCPRIM_400000_NS6detail17trampoline_kernelINS0_14default_configENS1_27scan_by_key_config_selectorIiiEEZZNS1_16scan_by_key_implILNS1_25lookback_scan_determinismE0ELb0ES3_N6thrust23THRUST_200600_302600_NS6detail15normal_iteratorINS9_10device_ptrIiEEEESE_SE_iNS9_4plusIiEE19head_flag_predicateiEE10hipError_tPvRmT2_T3_T4_T5_mT6_T7_P12ihipStream_tbENKUlT_T0_E_clISt17integral_constantIbLb0EESX_IbLb1EEEEDaST_SU_EUlST_E_NS1_11comp_targetILNS1_3genE5ELNS1_11target_archE942ELNS1_3gpuE9ELNS1_3repE0EEENS1_30default_config_static_selectorELNS0_4arch9wavefront6targetE0EEEvT1_
    .private_segment_fixed_size: 0
    .sgpr_count:     0
    .sgpr_spill_count: 0
    .symbol:         _ZN7rocprim17ROCPRIM_400000_NS6detail17trampoline_kernelINS0_14default_configENS1_27scan_by_key_config_selectorIiiEEZZNS1_16scan_by_key_implILNS1_25lookback_scan_determinismE0ELb0ES3_N6thrust23THRUST_200600_302600_NS6detail15normal_iteratorINS9_10device_ptrIiEEEESE_SE_iNS9_4plusIiEE19head_flag_predicateiEE10hipError_tPvRmT2_T3_T4_T5_mT6_T7_P12ihipStream_tbENKUlT_T0_E_clISt17integral_constantIbLb0EESX_IbLb1EEEEDaST_SU_EUlST_E_NS1_11comp_targetILNS1_3genE5ELNS1_11target_archE942ELNS1_3gpuE9ELNS1_3repE0EEENS1_30default_config_static_selectorELNS0_4arch9wavefront6targetE0EEEvT1_.kd
    .uniform_work_group_size: 1
    .uses_dynamic_stack: false
    .vgpr_count:     0
    .vgpr_spill_count: 0
    .wavefront_size: 32
  - .args:
      - .offset:         0
        .size:           112
        .value_kind:     by_value
    .group_segment_fixed_size: 0
    .kernarg_segment_align: 8
    .kernarg_segment_size: 112
    .language:       OpenCL C
    .language_version:
      - 2
      - 0
    .max_flat_workgroup_size: 256
    .name:           _ZN7rocprim17ROCPRIM_400000_NS6detail17trampoline_kernelINS0_14default_configENS1_27scan_by_key_config_selectorIiiEEZZNS1_16scan_by_key_implILNS1_25lookback_scan_determinismE0ELb0ES3_N6thrust23THRUST_200600_302600_NS6detail15normal_iteratorINS9_10device_ptrIiEEEESE_SE_iNS9_4plusIiEE19head_flag_predicateiEE10hipError_tPvRmT2_T3_T4_T5_mT6_T7_P12ihipStream_tbENKUlT_T0_E_clISt17integral_constantIbLb0EESX_IbLb1EEEEDaST_SU_EUlST_E_NS1_11comp_targetILNS1_3genE4ELNS1_11target_archE910ELNS1_3gpuE8ELNS1_3repE0EEENS1_30default_config_static_selectorELNS0_4arch9wavefront6targetE0EEEvT1_
    .private_segment_fixed_size: 0
    .sgpr_count:     0
    .sgpr_spill_count: 0
    .symbol:         _ZN7rocprim17ROCPRIM_400000_NS6detail17trampoline_kernelINS0_14default_configENS1_27scan_by_key_config_selectorIiiEEZZNS1_16scan_by_key_implILNS1_25lookback_scan_determinismE0ELb0ES3_N6thrust23THRUST_200600_302600_NS6detail15normal_iteratorINS9_10device_ptrIiEEEESE_SE_iNS9_4plusIiEE19head_flag_predicateiEE10hipError_tPvRmT2_T3_T4_T5_mT6_T7_P12ihipStream_tbENKUlT_T0_E_clISt17integral_constantIbLb0EESX_IbLb1EEEEDaST_SU_EUlST_E_NS1_11comp_targetILNS1_3genE4ELNS1_11target_archE910ELNS1_3gpuE8ELNS1_3repE0EEENS1_30default_config_static_selectorELNS0_4arch9wavefront6targetE0EEEvT1_.kd
    .uniform_work_group_size: 1
    .uses_dynamic_stack: false
    .vgpr_count:     0
    .vgpr_spill_count: 0
    .wavefront_size: 32
  - .args:
      - .offset:         0
        .size:           112
        .value_kind:     by_value
    .group_segment_fixed_size: 0
    .kernarg_segment_align: 8
    .kernarg_segment_size: 112
    .language:       OpenCL C
    .language_version:
      - 2
      - 0
    .max_flat_workgroup_size: 256
    .name:           _ZN7rocprim17ROCPRIM_400000_NS6detail17trampoline_kernelINS0_14default_configENS1_27scan_by_key_config_selectorIiiEEZZNS1_16scan_by_key_implILNS1_25lookback_scan_determinismE0ELb0ES3_N6thrust23THRUST_200600_302600_NS6detail15normal_iteratorINS9_10device_ptrIiEEEESE_SE_iNS9_4plusIiEE19head_flag_predicateiEE10hipError_tPvRmT2_T3_T4_T5_mT6_T7_P12ihipStream_tbENKUlT_T0_E_clISt17integral_constantIbLb0EESX_IbLb1EEEEDaST_SU_EUlST_E_NS1_11comp_targetILNS1_3genE3ELNS1_11target_archE908ELNS1_3gpuE7ELNS1_3repE0EEENS1_30default_config_static_selectorELNS0_4arch9wavefront6targetE0EEEvT1_
    .private_segment_fixed_size: 0
    .sgpr_count:     0
    .sgpr_spill_count: 0
    .symbol:         _ZN7rocprim17ROCPRIM_400000_NS6detail17trampoline_kernelINS0_14default_configENS1_27scan_by_key_config_selectorIiiEEZZNS1_16scan_by_key_implILNS1_25lookback_scan_determinismE0ELb0ES3_N6thrust23THRUST_200600_302600_NS6detail15normal_iteratorINS9_10device_ptrIiEEEESE_SE_iNS9_4plusIiEE19head_flag_predicateiEE10hipError_tPvRmT2_T3_T4_T5_mT6_T7_P12ihipStream_tbENKUlT_T0_E_clISt17integral_constantIbLb0EESX_IbLb1EEEEDaST_SU_EUlST_E_NS1_11comp_targetILNS1_3genE3ELNS1_11target_archE908ELNS1_3gpuE7ELNS1_3repE0EEENS1_30default_config_static_selectorELNS0_4arch9wavefront6targetE0EEEvT1_.kd
    .uniform_work_group_size: 1
    .uses_dynamic_stack: false
    .vgpr_count:     0
    .vgpr_spill_count: 0
    .wavefront_size: 32
  - .args:
      - .offset:         0
        .size:           112
        .value_kind:     by_value
    .group_segment_fixed_size: 0
    .kernarg_segment_align: 8
    .kernarg_segment_size: 112
    .language:       OpenCL C
    .language_version:
      - 2
      - 0
    .max_flat_workgroup_size: 256
    .name:           _ZN7rocprim17ROCPRIM_400000_NS6detail17trampoline_kernelINS0_14default_configENS1_27scan_by_key_config_selectorIiiEEZZNS1_16scan_by_key_implILNS1_25lookback_scan_determinismE0ELb0ES3_N6thrust23THRUST_200600_302600_NS6detail15normal_iteratorINS9_10device_ptrIiEEEESE_SE_iNS9_4plusIiEE19head_flag_predicateiEE10hipError_tPvRmT2_T3_T4_T5_mT6_T7_P12ihipStream_tbENKUlT_T0_E_clISt17integral_constantIbLb0EESX_IbLb1EEEEDaST_SU_EUlST_E_NS1_11comp_targetILNS1_3genE2ELNS1_11target_archE906ELNS1_3gpuE6ELNS1_3repE0EEENS1_30default_config_static_selectorELNS0_4arch9wavefront6targetE0EEEvT1_
    .private_segment_fixed_size: 0
    .sgpr_count:     0
    .sgpr_spill_count: 0
    .symbol:         _ZN7rocprim17ROCPRIM_400000_NS6detail17trampoline_kernelINS0_14default_configENS1_27scan_by_key_config_selectorIiiEEZZNS1_16scan_by_key_implILNS1_25lookback_scan_determinismE0ELb0ES3_N6thrust23THRUST_200600_302600_NS6detail15normal_iteratorINS9_10device_ptrIiEEEESE_SE_iNS9_4plusIiEE19head_flag_predicateiEE10hipError_tPvRmT2_T3_T4_T5_mT6_T7_P12ihipStream_tbENKUlT_T0_E_clISt17integral_constantIbLb0EESX_IbLb1EEEEDaST_SU_EUlST_E_NS1_11comp_targetILNS1_3genE2ELNS1_11target_archE906ELNS1_3gpuE6ELNS1_3repE0EEENS1_30default_config_static_selectorELNS0_4arch9wavefront6targetE0EEEvT1_.kd
    .uniform_work_group_size: 1
    .uses_dynamic_stack: false
    .vgpr_count:     0
    .vgpr_spill_count: 0
    .wavefront_size: 32
  - .args:
      - .offset:         0
        .size:           112
        .value_kind:     by_value
    .group_segment_fixed_size: 0
    .kernarg_segment_align: 8
    .kernarg_segment_size: 112
    .language:       OpenCL C
    .language_version:
      - 2
      - 0
    .max_flat_workgroup_size: 256
    .name:           _ZN7rocprim17ROCPRIM_400000_NS6detail17trampoline_kernelINS0_14default_configENS1_27scan_by_key_config_selectorIiiEEZZNS1_16scan_by_key_implILNS1_25lookback_scan_determinismE0ELb0ES3_N6thrust23THRUST_200600_302600_NS6detail15normal_iteratorINS9_10device_ptrIiEEEESE_SE_iNS9_4plusIiEE19head_flag_predicateiEE10hipError_tPvRmT2_T3_T4_T5_mT6_T7_P12ihipStream_tbENKUlT_T0_E_clISt17integral_constantIbLb0EESX_IbLb1EEEEDaST_SU_EUlST_E_NS1_11comp_targetILNS1_3genE10ELNS1_11target_archE1200ELNS1_3gpuE4ELNS1_3repE0EEENS1_30default_config_static_selectorELNS0_4arch9wavefront6targetE0EEEvT1_
    .private_segment_fixed_size: 0
    .sgpr_count:     0
    .sgpr_spill_count: 0
    .symbol:         _ZN7rocprim17ROCPRIM_400000_NS6detail17trampoline_kernelINS0_14default_configENS1_27scan_by_key_config_selectorIiiEEZZNS1_16scan_by_key_implILNS1_25lookback_scan_determinismE0ELb0ES3_N6thrust23THRUST_200600_302600_NS6detail15normal_iteratorINS9_10device_ptrIiEEEESE_SE_iNS9_4plusIiEE19head_flag_predicateiEE10hipError_tPvRmT2_T3_T4_T5_mT6_T7_P12ihipStream_tbENKUlT_T0_E_clISt17integral_constantIbLb0EESX_IbLb1EEEEDaST_SU_EUlST_E_NS1_11comp_targetILNS1_3genE10ELNS1_11target_archE1200ELNS1_3gpuE4ELNS1_3repE0EEENS1_30default_config_static_selectorELNS0_4arch9wavefront6targetE0EEEvT1_.kd
    .uniform_work_group_size: 1
    .uses_dynamic_stack: false
    .vgpr_count:     0
    .vgpr_spill_count: 0
    .wavefront_size: 32
  - .args:
      - .offset:         0
        .size:           112
        .value_kind:     by_value
    .group_segment_fixed_size: 0
    .kernarg_segment_align: 8
    .kernarg_segment_size: 112
    .language:       OpenCL C
    .language_version:
      - 2
      - 0
    .max_flat_workgroup_size: 256
    .name:           _ZN7rocprim17ROCPRIM_400000_NS6detail17trampoline_kernelINS0_14default_configENS1_27scan_by_key_config_selectorIiiEEZZNS1_16scan_by_key_implILNS1_25lookback_scan_determinismE0ELb0ES3_N6thrust23THRUST_200600_302600_NS6detail15normal_iteratorINS9_10device_ptrIiEEEESE_SE_iNS9_4plusIiEE19head_flag_predicateiEE10hipError_tPvRmT2_T3_T4_T5_mT6_T7_P12ihipStream_tbENKUlT_T0_E_clISt17integral_constantIbLb0EESX_IbLb1EEEEDaST_SU_EUlST_E_NS1_11comp_targetILNS1_3genE9ELNS1_11target_archE1100ELNS1_3gpuE3ELNS1_3repE0EEENS1_30default_config_static_selectorELNS0_4arch9wavefront6targetE0EEEvT1_
    .private_segment_fixed_size: 0
    .sgpr_count:     0
    .sgpr_spill_count: 0
    .symbol:         _ZN7rocprim17ROCPRIM_400000_NS6detail17trampoline_kernelINS0_14default_configENS1_27scan_by_key_config_selectorIiiEEZZNS1_16scan_by_key_implILNS1_25lookback_scan_determinismE0ELb0ES3_N6thrust23THRUST_200600_302600_NS6detail15normal_iteratorINS9_10device_ptrIiEEEESE_SE_iNS9_4plusIiEE19head_flag_predicateiEE10hipError_tPvRmT2_T3_T4_T5_mT6_T7_P12ihipStream_tbENKUlT_T0_E_clISt17integral_constantIbLb0EESX_IbLb1EEEEDaST_SU_EUlST_E_NS1_11comp_targetILNS1_3genE9ELNS1_11target_archE1100ELNS1_3gpuE3ELNS1_3repE0EEENS1_30default_config_static_selectorELNS0_4arch9wavefront6targetE0EEEvT1_.kd
    .uniform_work_group_size: 1
    .uses_dynamic_stack: false
    .vgpr_count:     0
    .vgpr_spill_count: 0
    .wavefront_size: 32
  - .args:
      - .offset:         0
        .size:           112
        .value_kind:     by_value
    .group_segment_fixed_size: 0
    .kernarg_segment_align: 8
    .kernarg_segment_size: 112
    .language:       OpenCL C
    .language_version:
      - 2
      - 0
    .max_flat_workgroup_size: 256
    .name:           _ZN7rocprim17ROCPRIM_400000_NS6detail17trampoline_kernelINS0_14default_configENS1_27scan_by_key_config_selectorIiiEEZZNS1_16scan_by_key_implILNS1_25lookback_scan_determinismE0ELb0ES3_N6thrust23THRUST_200600_302600_NS6detail15normal_iteratorINS9_10device_ptrIiEEEESE_SE_iNS9_4plusIiEE19head_flag_predicateiEE10hipError_tPvRmT2_T3_T4_T5_mT6_T7_P12ihipStream_tbENKUlT_T0_E_clISt17integral_constantIbLb0EESX_IbLb1EEEEDaST_SU_EUlST_E_NS1_11comp_targetILNS1_3genE8ELNS1_11target_archE1030ELNS1_3gpuE2ELNS1_3repE0EEENS1_30default_config_static_selectorELNS0_4arch9wavefront6targetE0EEEvT1_
    .private_segment_fixed_size: 0
    .sgpr_count:     0
    .sgpr_spill_count: 0
    .symbol:         _ZN7rocprim17ROCPRIM_400000_NS6detail17trampoline_kernelINS0_14default_configENS1_27scan_by_key_config_selectorIiiEEZZNS1_16scan_by_key_implILNS1_25lookback_scan_determinismE0ELb0ES3_N6thrust23THRUST_200600_302600_NS6detail15normal_iteratorINS9_10device_ptrIiEEEESE_SE_iNS9_4plusIiEE19head_flag_predicateiEE10hipError_tPvRmT2_T3_T4_T5_mT6_T7_P12ihipStream_tbENKUlT_T0_E_clISt17integral_constantIbLb0EESX_IbLb1EEEEDaST_SU_EUlST_E_NS1_11comp_targetILNS1_3genE8ELNS1_11target_archE1030ELNS1_3gpuE2ELNS1_3repE0EEENS1_30default_config_static_selectorELNS0_4arch9wavefront6targetE0EEEvT1_.kd
    .uniform_work_group_size: 1
    .uses_dynamic_stack: false
    .vgpr_count:     0
    .vgpr_spill_count: 0
    .wavefront_size: 32
  - .args:
      - .offset:         0
        .size:           112
        .value_kind:     by_value
    .group_segment_fixed_size: 14336
    .kernarg_segment_align: 8
    .kernarg_segment_size: 112
    .language:       OpenCL C
    .language_version:
      - 2
      - 0
    .max_flat_workgroup_size: 256
    .name:           _ZN7rocprim17ROCPRIM_400000_NS6detail17trampoline_kernelINS0_14default_configENS1_27scan_by_key_config_selectorIiiEEZZNS1_16scan_by_key_implILNS1_25lookback_scan_determinismE0ELb1ES3_N6thrust23THRUST_200600_302600_NS6detail15normal_iteratorINS9_10device_ptrIiEEEESE_SE_iNS9_4plusIiEE19head_flag_predicateiEE10hipError_tPvRmT2_T3_T4_T5_mT6_T7_P12ihipStream_tbENKUlT_T0_E_clISt17integral_constantIbLb0EESY_EEDaST_SU_EUlST_E_NS1_11comp_targetILNS1_3genE0ELNS1_11target_archE4294967295ELNS1_3gpuE0ELNS1_3repE0EEENS1_30default_config_static_selectorELNS0_4arch9wavefront6targetE0EEEvT1_
    .private_segment_fixed_size: 0
    .sgpr_count:     39
    .sgpr_spill_count: 0
    .symbol:         _ZN7rocprim17ROCPRIM_400000_NS6detail17trampoline_kernelINS0_14default_configENS1_27scan_by_key_config_selectorIiiEEZZNS1_16scan_by_key_implILNS1_25lookback_scan_determinismE0ELb1ES3_N6thrust23THRUST_200600_302600_NS6detail15normal_iteratorINS9_10device_ptrIiEEEESE_SE_iNS9_4plusIiEE19head_flag_predicateiEE10hipError_tPvRmT2_T3_T4_T5_mT6_T7_P12ihipStream_tbENKUlT_T0_E_clISt17integral_constantIbLb0EESY_EEDaST_SU_EUlST_E_NS1_11comp_targetILNS1_3genE0ELNS1_11target_archE4294967295ELNS1_3gpuE0ELNS1_3repE0EEENS1_30default_config_static_selectorELNS0_4arch9wavefront6targetE0EEEvT1_.kd
    .uniform_work_group_size: 1
    .uses_dynamic_stack: false
    .vgpr_count:     60
    .vgpr_spill_count: 0
    .wavefront_size: 32
  - .args:
      - .offset:         0
        .size:           112
        .value_kind:     by_value
    .group_segment_fixed_size: 0
    .kernarg_segment_align: 8
    .kernarg_segment_size: 112
    .language:       OpenCL C
    .language_version:
      - 2
      - 0
    .max_flat_workgroup_size: 256
    .name:           _ZN7rocprim17ROCPRIM_400000_NS6detail17trampoline_kernelINS0_14default_configENS1_27scan_by_key_config_selectorIiiEEZZNS1_16scan_by_key_implILNS1_25lookback_scan_determinismE0ELb1ES3_N6thrust23THRUST_200600_302600_NS6detail15normal_iteratorINS9_10device_ptrIiEEEESE_SE_iNS9_4plusIiEE19head_flag_predicateiEE10hipError_tPvRmT2_T3_T4_T5_mT6_T7_P12ihipStream_tbENKUlT_T0_E_clISt17integral_constantIbLb0EESY_EEDaST_SU_EUlST_E_NS1_11comp_targetILNS1_3genE10ELNS1_11target_archE1201ELNS1_3gpuE5ELNS1_3repE0EEENS1_30default_config_static_selectorELNS0_4arch9wavefront6targetE0EEEvT1_
    .private_segment_fixed_size: 0
    .sgpr_count:     0
    .sgpr_spill_count: 0
    .symbol:         _ZN7rocprim17ROCPRIM_400000_NS6detail17trampoline_kernelINS0_14default_configENS1_27scan_by_key_config_selectorIiiEEZZNS1_16scan_by_key_implILNS1_25lookback_scan_determinismE0ELb1ES3_N6thrust23THRUST_200600_302600_NS6detail15normal_iteratorINS9_10device_ptrIiEEEESE_SE_iNS9_4plusIiEE19head_flag_predicateiEE10hipError_tPvRmT2_T3_T4_T5_mT6_T7_P12ihipStream_tbENKUlT_T0_E_clISt17integral_constantIbLb0EESY_EEDaST_SU_EUlST_E_NS1_11comp_targetILNS1_3genE10ELNS1_11target_archE1201ELNS1_3gpuE5ELNS1_3repE0EEENS1_30default_config_static_selectorELNS0_4arch9wavefront6targetE0EEEvT1_.kd
    .uniform_work_group_size: 1
    .uses_dynamic_stack: false
    .vgpr_count:     0
    .vgpr_spill_count: 0
    .wavefront_size: 32
  - .args:
      - .offset:         0
        .size:           112
        .value_kind:     by_value
    .group_segment_fixed_size: 0
    .kernarg_segment_align: 8
    .kernarg_segment_size: 112
    .language:       OpenCL C
    .language_version:
      - 2
      - 0
    .max_flat_workgroup_size: 256
    .name:           _ZN7rocprim17ROCPRIM_400000_NS6detail17trampoline_kernelINS0_14default_configENS1_27scan_by_key_config_selectorIiiEEZZNS1_16scan_by_key_implILNS1_25lookback_scan_determinismE0ELb1ES3_N6thrust23THRUST_200600_302600_NS6detail15normal_iteratorINS9_10device_ptrIiEEEESE_SE_iNS9_4plusIiEE19head_flag_predicateiEE10hipError_tPvRmT2_T3_T4_T5_mT6_T7_P12ihipStream_tbENKUlT_T0_E_clISt17integral_constantIbLb0EESY_EEDaST_SU_EUlST_E_NS1_11comp_targetILNS1_3genE5ELNS1_11target_archE942ELNS1_3gpuE9ELNS1_3repE0EEENS1_30default_config_static_selectorELNS0_4arch9wavefront6targetE0EEEvT1_
    .private_segment_fixed_size: 0
    .sgpr_count:     0
    .sgpr_spill_count: 0
    .symbol:         _ZN7rocprim17ROCPRIM_400000_NS6detail17trampoline_kernelINS0_14default_configENS1_27scan_by_key_config_selectorIiiEEZZNS1_16scan_by_key_implILNS1_25lookback_scan_determinismE0ELb1ES3_N6thrust23THRUST_200600_302600_NS6detail15normal_iteratorINS9_10device_ptrIiEEEESE_SE_iNS9_4plusIiEE19head_flag_predicateiEE10hipError_tPvRmT2_T3_T4_T5_mT6_T7_P12ihipStream_tbENKUlT_T0_E_clISt17integral_constantIbLb0EESY_EEDaST_SU_EUlST_E_NS1_11comp_targetILNS1_3genE5ELNS1_11target_archE942ELNS1_3gpuE9ELNS1_3repE0EEENS1_30default_config_static_selectorELNS0_4arch9wavefront6targetE0EEEvT1_.kd
    .uniform_work_group_size: 1
    .uses_dynamic_stack: false
    .vgpr_count:     0
    .vgpr_spill_count: 0
    .wavefront_size: 32
  - .args:
      - .offset:         0
        .size:           112
        .value_kind:     by_value
    .group_segment_fixed_size: 0
    .kernarg_segment_align: 8
    .kernarg_segment_size: 112
    .language:       OpenCL C
    .language_version:
      - 2
      - 0
    .max_flat_workgroup_size: 256
    .name:           _ZN7rocprim17ROCPRIM_400000_NS6detail17trampoline_kernelINS0_14default_configENS1_27scan_by_key_config_selectorIiiEEZZNS1_16scan_by_key_implILNS1_25lookback_scan_determinismE0ELb1ES3_N6thrust23THRUST_200600_302600_NS6detail15normal_iteratorINS9_10device_ptrIiEEEESE_SE_iNS9_4plusIiEE19head_flag_predicateiEE10hipError_tPvRmT2_T3_T4_T5_mT6_T7_P12ihipStream_tbENKUlT_T0_E_clISt17integral_constantIbLb0EESY_EEDaST_SU_EUlST_E_NS1_11comp_targetILNS1_3genE4ELNS1_11target_archE910ELNS1_3gpuE8ELNS1_3repE0EEENS1_30default_config_static_selectorELNS0_4arch9wavefront6targetE0EEEvT1_
    .private_segment_fixed_size: 0
    .sgpr_count:     0
    .sgpr_spill_count: 0
    .symbol:         _ZN7rocprim17ROCPRIM_400000_NS6detail17trampoline_kernelINS0_14default_configENS1_27scan_by_key_config_selectorIiiEEZZNS1_16scan_by_key_implILNS1_25lookback_scan_determinismE0ELb1ES3_N6thrust23THRUST_200600_302600_NS6detail15normal_iteratorINS9_10device_ptrIiEEEESE_SE_iNS9_4plusIiEE19head_flag_predicateiEE10hipError_tPvRmT2_T3_T4_T5_mT6_T7_P12ihipStream_tbENKUlT_T0_E_clISt17integral_constantIbLb0EESY_EEDaST_SU_EUlST_E_NS1_11comp_targetILNS1_3genE4ELNS1_11target_archE910ELNS1_3gpuE8ELNS1_3repE0EEENS1_30default_config_static_selectorELNS0_4arch9wavefront6targetE0EEEvT1_.kd
    .uniform_work_group_size: 1
    .uses_dynamic_stack: false
    .vgpr_count:     0
    .vgpr_spill_count: 0
    .wavefront_size: 32
  - .args:
      - .offset:         0
        .size:           112
        .value_kind:     by_value
    .group_segment_fixed_size: 0
    .kernarg_segment_align: 8
    .kernarg_segment_size: 112
    .language:       OpenCL C
    .language_version:
      - 2
      - 0
    .max_flat_workgroup_size: 256
    .name:           _ZN7rocprim17ROCPRIM_400000_NS6detail17trampoline_kernelINS0_14default_configENS1_27scan_by_key_config_selectorIiiEEZZNS1_16scan_by_key_implILNS1_25lookback_scan_determinismE0ELb1ES3_N6thrust23THRUST_200600_302600_NS6detail15normal_iteratorINS9_10device_ptrIiEEEESE_SE_iNS9_4plusIiEE19head_flag_predicateiEE10hipError_tPvRmT2_T3_T4_T5_mT6_T7_P12ihipStream_tbENKUlT_T0_E_clISt17integral_constantIbLb0EESY_EEDaST_SU_EUlST_E_NS1_11comp_targetILNS1_3genE3ELNS1_11target_archE908ELNS1_3gpuE7ELNS1_3repE0EEENS1_30default_config_static_selectorELNS0_4arch9wavefront6targetE0EEEvT1_
    .private_segment_fixed_size: 0
    .sgpr_count:     0
    .sgpr_spill_count: 0
    .symbol:         _ZN7rocprim17ROCPRIM_400000_NS6detail17trampoline_kernelINS0_14default_configENS1_27scan_by_key_config_selectorIiiEEZZNS1_16scan_by_key_implILNS1_25lookback_scan_determinismE0ELb1ES3_N6thrust23THRUST_200600_302600_NS6detail15normal_iteratorINS9_10device_ptrIiEEEESE_SE_iNS9_4plusIiEE19head_flag_predicateiEE10hipError_tPvRmT2_T3_T4_T5_mT6_T7_P12ihipStream_tbENKUlT_T0_E_clISt17integral_constantIbLb0EESY_EEDaST_SU_EUlST_E_NS1_11comp_targetILNS1_3genE3ELNS1_11target_archE908ELNS1_3gpuE7ELNS1_3repE0EEENS1_30default_config_static_selectorELNS0_4arch9wavefront6targetE0EEEvT1_.kd
    .uniform_work_group_size: 1
    .uses_dynamic_stack: false
    .vgpr_count:     0
    .vgpr_spill_count: 0
    .wavefront_size: 32
  - .args:
      - .offset:         0
        .size:           112
        .value_kind:     by_value
    .group_segment_fixed_size: 0
    .kernarg_segment_align: 8
    .kernarg_segment_size: 112
    .language:       OpenCL C
    .language_version:
      - 2
      - 0
    .max_flat_workgroup_size: 256
    .name:           _ZN7rocprim17ROCPRIM_400000_NS6detail17trampoline_kernelINS0_14default_configENS1_27scan_by_key_config_selectorIiiEEZZNS1_16scan_by_key_implILNS1_25lookback_scan_determinismE0ELb1ES3_N6thrust23THRUST_200600_302600_NS6detail15normal_iteratorINS9_10device_ptrIiEEEESE_SE_iNS9_4plusIiEE19head_flag_predicateiEE10hipError_tPvRmT2_T3_T4_T5_mT6_T7_P12ihipStream_tbENKUlT_T0_E_clISt17integral_constantIbLb0EESY_EEDaST_SU_EUlST_E_NS1_11comp_targetILNS1_3genE2ELNS1_11target_archE906ELNS1_3gpuE6ELNS1_3repE0EEENS1_30default_config_static_selectorELNS0_4arch9wavefront6targetE0EEEvT1_
    .private_segment_fixed_size: 0
    .sgpr_count:     0
    .sgpr_spill_count: 0
    .symbol:         _ZN7rocprim17ROCPRIM_400000_NS6detail17trampoline_kernelINS0_14default_configENS1_27scan_by_key_config_selectorIiiEEZZNS1_16scan_by_key_implILNS1_25lookback_scan_determinismE0ELb1ES3_N6thrust23THRUST_200600_302600_NS6detail15normal_iteratorINS9_10device_ptrIiEEEESE_SE_iNS9_4plusIiEE19head_flag_predicateiEE10hipError_tPvRmT2_T3_T4_T5_mT6_T7_P12ihipStream_tbENKUlT_T0_E_clISt17integral_constantIbLb0EESY_EEDaST_SU_EUlST_E_NS1_11comp_targetILNS1_3genE2ELNS1_11target_archE906ELNS1_3gpuE6ELNS1_3repE0EEENS1_30default_config_static_selectorELNS0_4arch9wavefront6targetE0EEEvT1_.kd
    .uniform_work_group_size: 1
    .uses_dynamic_stack: false
    .vgpr_count:     0
    .vgpr_spill_count: 0
    .wavefront_size: 32
  - .args:
      - .offset:         0
        .size:           112
        .value_kind:     by_value
    .group_segment_fixed_size: 0
    .kernarg_segment_align: 8
    .kernarg_segment_size: 112
    .language:       OpenCL C
    .language_version:
      - 2
      - 0
    .max_flat_workgroup_size: 256
    .name:           _ZN7rocprim17ROCPRIM_400000_NS6detail17trampoline_kernelINS0_14default_configENS1_27scan_by_key_config_selectorIiiEEZZNS1_16scan_by_key_implILNS1_25lookback_scan_determinismE0ELb1ES3_N6thrust23THRUST_200600_302600_NS6detail15normal_iteratorINS9_10device_ptrIiEEEESE_SE_iNS9_4plusIiEE19head_flag_predicateiEE10hipError_tPvRmT2_T3_T4_T5_mT6_T7_P12ihipStream_tbENKUlT_T0_E_clISt17integral_constantIbLb0EESY_EEDaST_SU_EUlST_E_NS1_11comp_targetILNS1_3genE10ELNS1_11target_archE1200ELNS1_3gpuE4ELNS1_3repE0EEENS1_30default_config_static_selectorELNS0_4arch9wavefront6targetE0EEEvT1_
    .private_segment_fixed_size: 0
    .sgpr_count:     0
    .sgpr_spill_count: 0
    .symbol:         _ZN7rocprim17ROCPRIM_400000_NS6detail17trampoline_kernelINS0_14default_configENS1_27scan_by_key_config_selectorIiiEEZZNS1_16scan_by_key_implILNS1_25lookback_scan_determinismE0ELb1ES3_N6thrust23THRUST_200600_302600_NS6detail15normal_iteratorINS9_10device_ptrIiEEEESE_SE_iNS9_4plusIiEE19head_flag_predicateiEE10hipError_tPvRmT2_T3_T4_T5_mT6_T7_P12ihipStream_tbENKUlT_T0_E_clISt17integral_constantIbLb0EESY_EEDaST_SU_EUlST_E_NS1_11comp_targetILNS1_3genE10ELNS1_11target_archE1200ELNS1_3gpuE4ELNS1_3repE0EEENS1_30default_config_static_selectorELNS0_4arch9wavefront6targetE0EEEvT1_.kd
    .uniform_work_group_size: 1
    .uses_dynamic_stack: false
    .vgpr_count:     0
    .vgpr_spill_count: 0
    .wavefront_size: 32
  - .args:
      - .offset:         0
        .size:           112
        .value_kind:     by_value
    .group_segment_fixed_size: 0
    .kernarg_segment_align: 8
    .kernarg_segment_size: 112
    .language:       OpenCL C
    .language_version:
      - 2
      - 0
    .max_flat_workgroup_size: 256
    .name:           _ZN7rocprim17ROCPRIM_400000_NS6detail17trampoline_kernelINS0_14default_configENS1_27scan_by_key_config_selectorIiiEEZZNS1_16scan_by_key_implILNS1_25lookback_scan_determinismE0ELb1ES3_N6thrust23THRUST_200600_302600_NS6detail15normal_iteratorINS9_10device_ptrIiEEEESE_SE_iNS9_4plusIiEE19head_flag_predicateiEE10hipError_tPvRmT2_T3_T4_T5_mT6_T7_P12ihipStream_tbENKUlT_T0_E_clISt17integral_constantIbLb0EESY_EEDaST_SU_EUlST_E_NS1_11comp_targetILNS1_3genE9ELNS1_11target_archE1100ELNS1_3gpuE3ELNS1_3repE0EEENS1_30default_config_static_selectorELNS0_4arch9wavefront6targetE0EEEvT1_
    .private_segment_fixed_size: 0
    .sgpr_count:     0
    .sgpr_spill_count: 0
    .symbol:         _ZN7rocprim17ROCPRIM_400000_NS6detail17trampoline_kernelINS0_14default_configENS1_27scan_by_key_config_selectorIiiEEZZNS1_16scan_by_key_implILNS1_25lookback_scan_determinismE0ELb1ES3_N6thrust23THRUST_200600_302600_NS6detail15normal_iteratorINS9_10device_ptrIiEEEESE_SE_iNS9_4plusIiEE19head_flag_predicateiEE10hipError_tPvRmT2_T3_T4_T5_mT6_T7_P12ihipStream_tbENKUlT_T0_E_clISt17integral_constantIbLb0EESY_EEDaST_SU_EUlST_E_NS1_11comp_targetILNS1_3genE9ELNS1_11target_archE1100ELNS1_3gpuE3ELNS1_3repE0EEENS1_30default_config_static_selectorELNS0_4arch9wavefront6targetE0EEEvT1_.kd
    .uniform_work_group_size: 1
    .uses_dynamic_stack: false
    .vgpr_count:     0
    .vgpr_spill_count: 0
    .wavefront_size: 32
  - .args:
      - .offset:         0
        .size:           112
        .value_kind:     by_value
    .group_segment_fixed_size: 0
    .kernarg_segment_align: 8
    .kernarg_segment_size: 112
    .language:       OpenCL C
    .language_version:
      - 2
      - 0
    .max_flat_workgroup_size: 256
    .name:           _ZN7rocprim17ROCPRIM_400000_NS6detail17trampoline_kernelINS0_14default_configENS1_27scan_by_key_config_selectorIiiEEZZNS1_16scan_by_key_implILNS1_25lookback_scan_determinismE0ELb1ES3_N6thrust23THRUST_200600_302600_NS6detail15normal_iteratorINS9_10device_ptrIiEEEESE_SE_iNS9_4plusIiEE19head_flag_predicateiEE10hipError_tPvRmT2_T3_T4_T5_mT6_T7_P12ihipStream_tbENKUlT_T0_E_clISt17integral_constantIbLb0EESY_EEDaST_SU_EUlST_E_NS1_11comp_targetILNS1_3genE8ELNS1_11target_archE1030ELNS1_3gpuE2ELNS1_3repE0EEENS1_30default_config_static_selectorELNS0_4arch9wavefront6targetE0EEEvT1_
    .private_segment_fixed_size: 0
    .sgpr_count:     0
    .sgpr_spill_count: 0
    .symbol:         _ZN7rocprim17ROCPRIM_400000_NS6detail17trampoline_kernelINS0_14default_configENS1_27scan_by_key_config_selectorIiiEEZZNS1_16scan_by_key_implILNS1_25lookback_scan_determinismE0ELb1ES3_N6thrust23THRUST_200600_302600_NS6detail15normal_iteratorINS9_10device_ptrIiEEEESE_SE_iNS9_4plusIiEE19head_flag_predicateiEE10hipError_tPvRmT2_T3_T4_T5_mT6_T7_P12ihipStream_tbENKUlT_T0_E_clISt17integral_constantIbLb0EESY_EEDaST_SU_EUlST_E_NS1_11comp_targetILNS1_3genE8ELNS1_11target_archE1030ELNS1_3gpuE2ELNS1_3repE0EEENS1_30default_config_static_selectorELNS0_4arch9wavefront6targetE0EEEvT1_.kd
    .uniform_work_group_size: 1
    .uses_dynamic_stack: false
    .vgpr_count:     0
    .vgpr_spill_count: 0
    .wavefront_size: 32
  - .args:
      - .offset:         0
        .size:           112
        .value_kind:     by_value
    .group_segment_fixed_size: 0
    .kernarg_segment_align: 8
    .kernarg_segment_size: 112
    .language:       OpenCL C
    .language_version:
      - 2
      - 0
    .max_flat_workgroup_size: 256
    .name:           _ZN7rocprim17ROCPRIM_400000_NS6detail17trampoline_kernelINS0_14default_configENS1_27scan_by_key_config_selectorIiiEEZZNS1_16scan_by_key_implILNS1_25lookback_scan_determinismE0ELb1ES3_N6thrust23THRUST_200600_302600_NS6detail15normal_iteratorINS9_10device_ptrIiEEEESE_SE_iNS9_4plusIiEE19head_flag_predicateiEE10hipError_tPvRmT2_T3_T4_T5_mT6_T7_P12ihipStream_tbENKUlT_T0_E_clISt17integral_constantIbLb1EESY_EEDaST_SU_EUlST_E_NS1_11comp_targetILNS1_3genE0ELNS1_11target_archE4294967295ELNS1_3gpuE0ELNS1_3repE0EEENS1_30default_config_static_selectorELNS0_4arch9wavefront6targetE0EEEvT1_
    .private_segment_fixed_size: 0
    .sgpr_count:     0
    .sgpr_spill_count: 0
    .symbol:         _ZN7rocprim17ROCPRIM_400000_NS6detail17trampoline_kernelINS0_14default_configENS1_27scan_by_key_config_selectorIiiEEZZNS1_16scan_by_key_implILNS1_25lookback_scan_determinismE0ELb1ES3_N6thrust23THRUST_200600_302600_NS6detail15normal_iteratorINS9_10device_ptrIiEEEESE_SE_iNS9_4plusIiEE19head_flag_predicateiEE10hipError_tPvRmT2_T3_T4_T5_mT6_T7_P12ihipStream_tbENKUlT_T0_E_clISt17integral_constantIbLb1EESY_EEDaST_SU_EUlST_E_NS1_11comp_targetILNS1_3genE0ELNS1_11target_archE4294967295ELNS1_3gpuE0ELNS1_3repE0EEENS1_30default_config_static_selectorELNS0_4arch9wavefront6targetE0EEEvT1_.kd
    .uniform_work_group_size: 1
    .uses_dynamic_stack: false
    .vgpr_count:     0
    .vgpr_spill_count: 0
    .wavefront_size: 32
  - .args:
      - .offset:         0
        .size:           112
        .value_kind:     by_value
    .group_segment_fixed_size: 0
    .kernarg_segment_align: 8
    .kernarg_segment_size: 112
    .language:       OpenCL C
    .language_version:
      - 2
      - 0
    .max_flat_workgroup_size: 256
    .name:           _ZN7rocprim17ROCPRIM_400000_NS6detail17trampoline_kernelINS0_14default_configENS1_27scan_by_key_config_selectorIiiEEZZNS1_16scan_by_key_implILNS1_25lookback_scan_determinismE0ELb1ES3_N6thrust23THRUST_200600_302600_NS6detail15normal_iteratorINS9_10device_ptrIiEEEESE_SE_iNS9_4plusIiEE19head_flag_predicateiEE10hipError_tPvRmT2_T3_T4_T5_mT6_T7_P12ihipStream_tbENKUlT_T0_E_clISt17integral_constantIbLb1EESY_EEDaST_SU_EUlST_E_NS1_11comp_targetILNS1_3genE10ELNS1_11target_archE1201ELNS1_3gpuE5ELNS1_3repE0EEENS1_30default_config_static_selectorELNS0_4arch9wavefront6targetE0EEEvT1_
    .private_segment_fixed_size: 0
    .sgpr_count:     0
    .sgpr_spill_count: 0
    .symbol:         _ZN7rocprim17ROCPRIM_400000_NS6detail17trampoline_kernelINS0_14default_configENS1_27scan_by_key_config_selectorIiiEEZZNS1_16scan_by_key_implILNS1_25lookback_scan_determinismE0ELb1ES3_N6thrust23THRUST_200600_302600_NS6detail15normal_iteratorINS9_10device_ptrIiEEEESE_SE_iNS9_4plusIiEE19head_flag_predicateiEE10hipError_tPvRmT2_T3_T4_T5_mT6_T7_P12ihipStream_tbENKUlT_T0_E_clISt17integral_constantIbLb1EESY_EEDaST_SU_EUlST_E_NS1_11comp_targetILNS1_3genE10ELNS1_11target_archE1201ELNS1_3gpuE5ELNS1_3repE0EEENS1_30default_config_static_selectorELNS0_4arch9wavefront6targetE0EEEvT1_.kd
    .uniform_work_group_size: 1
    .uses_dynamic_stack: false
    .vgpr_count:     0
    .vgpr_spill_count: 0
    .wavefront_size: 32
  - .args:
      - .offset:         0
        .size:           112
        .value_kind:     by_value
    .group_segment_fixed_size: 0
    .kernarg_segment_align: 8
    .kernarg_segment_size: 112
    .language:       OpenCL C
    .language_version:
      - 2
      - 0
    .max_flat_workgroup_size: 256
    .name:           _ZN7rocprim17ROCPRIM_400000_NS6detail17trampoline_kernelINS0_14default_configENS1_27scan_by_key_config_selectorIiiEEZZNS1_16scan_by_key_implILNS1_25lookback_scan_determinismE0ELb1ES3_N6thrust23THRUST_200600_302600_NS6detail15normal_iteratorINS9_10device_ptrIiEEEESE_SE_iNS9_4plusIiEE19head_flag_predicateiEE10hipError_tPvRmT2_T3_T4_T5_mT6_T7_P12ihipStream_tbENKUlT_T0_E_clISt17integral_constantIbLb1EESY_EEDaST_SU_EUlST_E_NS1_11comp_targetILNS1_3genE5ELNS1_11target_archE942ELNS1_3gpuE9ELNS1_3repE0EEENS1_30default_config_static_selectorELNS0_4arch9wavefront6targetE0EEEvT1_
    .private_segment_fixed_size: 0
    .sgpr_count:     0
    .sgpr_spill_count: 0
    .symbol:         _ZN7rocprim17ROCPRIM_400000_NS6detail17trampoline_kernelINS0_14default_configENS1_27scan_by_key_config_selectorIiiEEZZNS1_16scan_by_key_implILNS1_25lookback_scan_determinismE0ELb1ES3_N6thrust23THRUST_200600_302600_NS6detail15normal_iteratorINS9_10device_ptrIiEEEESE_SE_iNS9_4plusIiEE19head_flag_predicateiEE10hipError_tPvRmT2_T3_T4_T5_mT6_T7_P12ihipStream_tbENKUlT_T0_E_clISt17integral_constantIbLb1EESY_EEDaST_SU_EUlST_E_NS1_11comp_targetILNS1_3genE5ELNS1_11target_archE942ELNS1_3gpuE9ELNS1_3repE0EEENS1_30default_config_static_selectorELNS0_4arch9wavefront6targetE0EEEvT1_.kd
    .uniform_work_group_size: 1
    .uses_dynamic_stack: false
    .vgpr_count:     0
    .vgpr_spill_count: 0
    .wavefront_size: 32
  - .args:
      - .offset:         0
        .size:           112
        .value_kind:     by_value
    .group_segment_fixed_size: 0
    .kernarg_segment_align: 8
    .kernarg_segment_size: 112
    .language:       OpenCL C
    .language_version:
      - 2
      - 0
    .max_flat_workgroup_size: 256
    .name:           _ZN7rocprim17ROCPRIM_400000_NS6detail17trampoline_kernelINS0_14default_configENS1_27scan_by_key_config_selectorIiiEEZZNS1_16scan_by_key_implILNS1_25lookback_scan_determinismE0ELb1ES3_N6thrust23THRUST_200600_302600_NS6detail15normal_iteratorINS9_10device_ptrIiEEEESE_SE_iNS9_4plusIiEE19head_flag_predicateiEE10hipError_tPvRmT2_T3_T4_T5_mT6_T7_P12ihipStream_tbENKUlT_T0_E_clISt17integral_constantIbLb1EESY_EEDaST_SU_EUlST_E_NS1_11comp_targetILNS1_3genE4ELNS1_11target_archE910ELNS1_3gpuE8ELNS1_3repE0EEENS1_30default_config_static_selectorELNS0_4arch9wavefront6targetE0EEEvT1_
    .private_segment_fixed_size: 0
    .sgpr_count:     0
    .sgpr_spill_count: 0
    .symbol:         _ZN7rocprim17ROCPRIM_400000_NS6detail17trampoline_kernelINS0_14default_configENS1_27scan_by_key_config_selectorIiiEEZZNS1_16scan_by_key_implILNS1_25lookback_scan_determinismE0ELb1ES3_N6thrust23THRUST_200600_302600_NS6detail15normal_iteratorINS9_10device_ptrIiEEEESE_SE_iNS9_4plusIiEE19head_flag_predicateiEE10hipError_tPvRmT2_T3_T4_T5_mT6_T7_P12ihipStream_tbENKUlT_T0_E_clISt17integral_constantIbLb1EESY_EEDaST_SU_EUlST_E_NS1_11comp_targetILNS1_3genE4ELNS1_11target_archE910ELNS1_3gpuE8ELNS1_3repE0EEENS1_30default_config_static_selectorELNS0_4arch9wavefront6targetE0EEEvT1_.kd
    .uniform_work_group_size: 1
    .uses_dynamic_stack: false
    .vgpr_count:     0
    .vgpr_spill_count: 0
    .wavefront_size: 32
  - .args:
      - .offset:         0
        .size:           112
        .value_kind:     by_value
    .group_segment_fixed_size: 0
    .kernarg_segment_align: 8
    .kernarg_segment_size: 112
    .language:       OpenCL C
    .language_version:
      - 2
      - 0
    .max_flat_workgroup_size: 256
    .name:           _ZN7rocprim17ROCPRIM_400000_NS6detail17trampoline_kernelINS0_14default_configENS1_27scan_by_key_config_selectorIiiEEZZNS1_16scan_by_key_implILNS1_25lookback_scan_determinismE0ELb1ES3_N6thrust23THRUST_200600_302600_NS6detail15normal_iteratorINS9_10device_ptrIiEEEESE_SE_iNS9_4plusIiEE19head_flag_predicateiEE10hipError_tPvRmT2_T3_T4_T5_mT6_T7_P12ihipStream_tbENKUlT_T0_E_clISt17integral_constantIbLb1EESY_EEDaST_SU_EUlST_E_NS1_11comp_targetILNS1_3genE3ELNS1_11target_archE908ELNS1_3gpuE7ELNS1_3repE0EEENS1_30default_config_static_selectorELNS0_4arch9wavefront6targetE0EEEvT1_
    .private_segment_fixed_size: 0
    .sgpr_count:     0
    .sgpr_spill_count: 0
    .symbol:         _ZN7rocprim17ROCPRIM_400000_NS6detail17trampoline_kernelINS0_14default_configENS1_27scan_by_key_config_selectorIiiEEZZNS1_16scan_by_key_implILNS1_25lookback_scan_determinismE0ELb1ES3_N6thrust23THRUST_200600_302600_NS6detail15normal_iteratorINS9_10device_ptrIiEEEESE_SE_iNS9_4plusIiEE19head_flag_predicateiEE10hipError_tPvRmT2_T3_T4_T5_mT6_T7_P12ihipStream_tbENKUlT_T0_E_clISt17integral_constantIbLb1EESY_EEDaST_SU_EUlST_E_NS1_11comp_targetILNS1_3genE3ELNS1_11target_archE908ELNS1_3gpuE7ELNS1_3repE0EEENS1_30default_config_static_selectorELNS0_4arch9wavefront6targetE0EEEvT1_.kd
    .uniform_work_group_size: 1
    .uses_dynamic_stack: false
    .vgpr_count:     0
    .vgpr_spill_count: 0
    .wavefront_size: 32
  - .args:
      - .offset:         0
        .size:           112
        .value_kind:     by_value
    .group_segment_fixed_size: 0
    .kernarg_segment_align: 8
    .kernarg_segment_size: 112
    .language:       OpenCL C
    .language_version:
      - 2
      - 0
    .max_flat_workgroup_size: 256
    .name:           _ZN7rocprim17ROCPRIM_400000_NS6detail17trampoline_kernelINS0_14default_configENS1_27scan_by_key_config_selectorIiiEEZZNS1_16scan_by_key_implILNS1_25lookback_scan_determinismE0ELb1ES3_N6thrust23THRUST_200600_302600_NS6detail15normal_iteratorINS9_10device_ptrIiEEEESE_SE_iNS9_4plusIiEE19head_flag_predicateiEE10hipError_tPvRmT2_T3_T4_T5_mT6_T7_P12ihipStream_tbENKUlT_T0_E_clISt17integral_constantIbLb1EESY_EEDaST_SU_EUlST_E_NS1_11comp_targetILNS1_3genE2ELNS1_11target_archE906ELNS1_3gpuE6ELNS1_3repE0EEENS1_30default_config_static_selectorELNS0_4arch9wavefront6targetE0EEEvT1_
    .private_segment_fixed_size: 0
    .sgpr_count:     0
    .sgpr_spill_count: 0
    .symbol:         _ZN7rocprim17ROCPRIM_400000_NS6detail17trampoline_kernelINS0_14default_configENS1_27scan_by_key_config_selectorIiiEEZZNS1_16scan_by_key_implILNS1_25lookback_scan_determinismE0ELb1ES3_N6thrust23THRUST_200600_302600_NS6detail15normal_iteratorINS9_10device_ptrIiEEEESE_SE_iNS9_4plusIiEE19head_flag_predicateiEE10hipError_tPvRmT2_T3_T4_T5_mT6_T7_P12ihipStream_tbENKUlT_T0_E_clISt17integral_constantIbLb1EESY_EEDaST_SU_EUlST_E_NS1_11comp_targetILNS1_3genE2ELNS1_11target_archE906ELNS1_3gpuE6ELNS1_3repE0EEENS1_30default_config_static_selectorELNS0_4arch9wavefront6targetE0EEEvT1_.kd
    .uniform_work_group_size: 1
    .uses_dynamic_stack: false
    .vgpr_count:     0
    .vgpr_spill_count: 0
    .wavefront_size: 32
  - .args:
      - .offset:         0
        .size:           112
        .value_kind:     by_value
    .group_segment_fixed_size: 0
    .kernarg_segment_align: 8
    .kernarg_segment_size: 112
    .language:       OpenCL C
    .language_version:
      - 2
      - 0
    .max_flat_workgroup_size: 256
    .name:           _ZN7rocprim17ROCPRIM_400000_NS6detail17trampoline_kernelINS0_14default_configENS1_27scan_by_key_config_selectorIiiEEZZNS1_16scan_by_key_implILNS1_25lookback_scan_determinismE0ELb1ES3_N6thrust23THRUST_200600_302600_NS6detail15normal_iteratorINS9_10device_ptrIiEEEESE_SE_iNS9_4plusIiEE19head_flag_predicateiEE10hipError_tPvRmT2_T3_T4_T5_mT6_T7_P12ihipStream_tbENKUlT_T0_E_clISt17integral_constantIbLb1EESY_EEDaST_SU_EUlST_E_NS1_11comp_targetILNS1_3genE10ELNS1_11target_archE1200ELNS1_3gpuE4ELNS1_3repE0EEENS1_30default_config_static_selectorELNS0_4arch9wavefront6targetE0EEEvT1_
    .private_segment_fixed_size: 0
    .sgpr_count:     0
    .sgpr_spill_count: 0
    .symbol:         _ZN7rocprim17ROCPRIM_400000_NS6detail17trampoline_kernelINS0_14default_configENS1_27scan_by_key_config_selectorIiiEEZZNS1_16scan_by_key_implILNS1_25lookback_scan_determinismE0ELb1ES3_N6thrust23THRUST_200600_302600_NS6detail15normal_iteratorINS9_10device_ptrIiEEEESE_SE_iNS9_4plusIiEE19head_flag_predicateiEE10hipError_tPvRmT2_T3_T4_T5_mT6_T7_P12ihipStream_tbENKUlT_T0_E_clISt17integral_constantIbLb1EESY_EEDaST_SU_EUlST_E_NS1_11comp_targetILNS1_3genE10ELNS1_11target_archE1200ELNS1_3gpuE4ELNS1_3repE0EEENS1_30default_config_static_selectorELNS0_4arch9wavefront6targetE0EEEvT1_.kd
    .uniform_work_group_size: 1
    .uses_dynamic_stack: false
    .vgpr_count:     0
    .vgpr_spill_count: 0
    .wavefront_size: 32
  - .args:
      - .offset:         0
        .size:           112
        .value_kind:     by_value
    .group_segment_fixed_size: 0
    .kernarg_segment_align: 8
    .kernarg_segment_size: 112
    .language:       OpenCL C
    .language_version:
      - 2
      - 0
    .max_flat_workgroup_size: 256
    .name:           _ZN7rocprim17ROCPRIM_400000_NS6detail17trampoline_kernelINS0_14default_configENS1_27scan_by_key_config_selectorIiiEEZZNS1_16scan_by_key_implILNS1_25lookback_scan_determinismE0ELb1ES3_N6thrust23THRUST_200600_302600_NS6detail15normal_iteratorINS9_10device_ptrIiEEEESE_SE_iNS9_4plusIiEE19head_flag_predicateiEE10hipError_tPvRmT2_T3_T4_T5_mT6_T7_P12ihipStream_tbENKUlT_T0_E_clISt17integral_constantIbLb1EESY_EEDaST_SU_EUlST_E_NS1_11comp_targetILNS1_3genE9ELNS1_11target_archE1100ELNS1_3gpuE3ELNS1_3repE0EEENS1_30default_config_static_selectorELNS0_4arch9wavefront6targetE0EEEvT1_
    .private_segment_fixed_size: 0
    .sgpr_count:     0
    .sgpr_spill_count: 0
    .symbol:         _ZN7rocprim17ROCPRIM_400000_NS6detail17trampoline_kernelINS0_14default_configENS1_27scan_by_key_config_selectorIiiEEZZNS1_16scan_by_key_implILNS1_25lookback_scan_determinismE0ELb1ES3_N6thrust23THRUST_200600_302600_NS6detail15normal_iteratorINS9_10device_ptrIiEEEESE_SE_iNS9_4plusIiEE19head_flag_predicateiEE10hipError_tPvRmT2_T3_T4_T5_mT6_T7_P12ihipStream_tbENKUlT_T0_E_clISt17integral_constantIbLb1EESY_EEDaST_SU_EUlST_E_NS1_11comp_targetILNS1_3genE9ELNS1_11target_archE1100ELNS1_3gpuE3ELNS1_3repE0EEENS1_30default_config_static_selectorELNS0_4arch9wavefront6targetE0EEEvT1_.kd
    .uniform_work_group_size: 1
    .uses_dynamic_stack: false
    .vgpr_count:     0
    .vgpr_spill_count: 0
    .wavefront_size: 32
  - .args:
      - .offset:         0
        .size:           112
        .value_kind:     by_value
    .group_segment_fixed_size: 0
    .kernarg_segment_align: 8
    .kernarg_segment_size: 112
    .language:       OpenCL C
    .language_version:
      - 2
      - 0
    .max_flat_workgroup_size: 256
    .name:           _ZN7rocprim17ROCPRIM_400000_NS6detail17trampoline_kernelINS0_14default_configENS1_27scan_by_key_config_selectorIiiEEZZNS1_16scan_by_key_implILNS1_25lookback_scan_determinismE0ELb1ES3_N6thrust23THRUST_200600_302600_NS6detail15normal_iteratorINS9_10device_ptrIiEEEESE_SE_iNS9_4plusIiEE19head_flag_predicateiEE10hipError_tPvRmT2_T3_T4_T5_mT6_T7_P12ihipStream_tbENKUlT_T0_E_clISt17integral_constantIbLb1EESY_EEDaST_SU_EUlST_E_NS1_11comp_targetILNS1_3genE8ELNS1_11target_archE1030ELNS1_3gpuE2ELNS1_3repE0EEENS1_30default_config_static_selectorELNS0_4arch9wavefront6targetE0EEEvT1_
    .private_segment_fixed_size: 0
    .sgpr_count:     0
    .sgpr_spill_count: 0
    .symbol:         _ZN7rocprim17ROCPRIM_400000_NS6detail17trampoline_kernelINS0_14default_configENS1_27scan_by_key_config_selectorIiiEEZZNS1_16scan_by_key_implILNS1_25lookback_scan_determinismE0ELb1ES3_N6thrust23THRUST_200600_302600_NS6detail15normal_iteratorINS9_10device_ptrIiEEEESE_SE_iNS9_4plusIiEE19head_flag_predicateiEE10hipError_tPvRmT2_T3_T4_T5_mT6_T7_P12ihipStream_tbENKUlT_T0_E_clISt17integral_constantIbLb1EESY_EEDaST_SU_EUlST_E_NS1_11comp_targetILNS1_3genE8ELNS1_11target_archE1030ELNS1_3gpuE2ELNS1_3repE0EEENS1_30default_config_static_selectorELNS0_4arch9wavefront6targetE0EEEvT1_.kd
    .uniform_work_group_size: 1
    .uses_dynamic_stack: false
    .vgpr_count:     0
    .vgpr_spill_count: 0
    .wavefront_size: 32
  - .args:
      - .offset:         0
        .size:           112
        .value_kind:     by_value
    .group_segment_fixed_size: 0
    .kernarg_segment_align: 8
    .kernarg_segment_size: 112
    .language:       OpenCL C
    .language_version:
      - 2
      - 0
    .max_flat_workgroup_size: 256
    .name:           _ZN7rocprim17ROCPRIM_400000_NS6detail17trampoline_kernelINS0_14default_configENS1_27scan_by_key_config_selectorIiiEEZZNS1_16scan_by_key_implILNS1_25lookback_scan_determinismE0ELb1ES3_N6thrust23THRUST_200600_302600_NS6detail15normal_iteratorINS9_10device_ptrIiEEEESE_SE_iNS9_4plusIiEE19head_flag_predicateiEE10hipError_tPvRmT2_T3_T4_T5_mT6_T7_P12ihipStream_tbENKUlT_T0_E_clISt17integral_constantIbLb1EESX_IbLb0EEEEDaST_SU_EUlST_E_NS1_11comp_targetILNS1_3genE0ELNS1_11target_archE4294967295ELNS1_3gpuE0ELNS1_3repE0EEENS1_30default_config_static_selectorELNS0_4arch9wavefront6targetE0EEEvT1_
    .private_segment_fixed_size: 0
    .sgpr_count:     0
    .sgpr_spill_count: 0
    .symbol:         _ZN7rocprim17ROCPRIM_400000_NS6detail17trampoline_kernelINS0_14default_configENS1_27scan_by_key_config_selectorIiiEEZZNS1_16scan_by_key_implILNS1_25lookback_scan_determinismE0ELb1ES3_N6thrust23THRUST_200600_302600_NS6detail15normal_iteratorINS9_10device_ptrIiEEEESE_SE_iNS9_4plusIiEE19head_flag_predicateiEE10hipError_tPvRmT2_T3_T4_T5_mT6_T7_P12ihipStream_tbENKUlT_T0_E_clISt17integral_constantIbLb1EESX_IbLb0EEEEDaST_SU_EUlST_E_NS1_11comp_targetILNS1_3genE0ELNS1_11target_archE4294967295ELNS1_3gpuE0ELNS1_3repE0EEENS1_30default_config_static_selectorELNS0_4arch9wavefront6targetE0EEEvT1_.kd
    .uniform_work_group_size: 1
    .uses_dynamic_stack: false
    .vgpr_count:     0
    .vgpr_spill_count: 0
    .wavefront_size: 32
  - .args:
      - .offset:         0
        .size:           112
        .value_kind:     by_value
    .group_segment_fixed_size: 0
    .kernarg_segment_align: 8
    .kernarg_segment_size: 112
    .language:       OpenCL C
    .language_version:
      - 2
      - 0
    .max_flat_workgroup_size: 256
    .name:           _ZN7rocprim17ROCPRIM_400000_NS6detail17trampoline_kernelINS0_14default_configENS1_27scan_by_key_config_selectorIiiEEZZNS1_16scan_by_key_implILNS1_25lookback_scan_determinismE0ELb1ES3_N6thrust23THRUST_200600_302600_NS6detail15normal_iteratorINS9_10device_ptrIiEEEESE_SE_iNS9_4plusIiEE19head_flag_predicateiEE10hipError_tPvRmT2_T3_T4_T5_mT6_T7_P12ihipStream_tbENKUlT_T0_E_clISt17integral_constantIbLb1EESX_IbLb0EEEEDaST_SU_EUlST_E_NS1_11comp_targetILNS1_3genE10ELNS1_11target_archE1201ELNS1_3gpuE5ELNS1_3repE0EEENS1_30default_config_static_selectorELNS0_4arch9wavefront6targetE0EEEvT1_
    .private_segment_fixed_size: 0
    .sgpr_count:     0
    .sgpr_spill_count: 0
    .symbol:         _ZN7rocprim17ROCPRIM_400000_NS6detail17trampoline_kernelINS0_14default_configENS1_27scan_by_key_config_selectorIiiEEZZNS1_16scan_by_key_implILNS1_25lookback_scan_determinismE0ELb1ES3_N6thrust23THRUST_200600_302600_NS6detail15normal_iteratorINS9_10device_ptrIiEEEESE_SE_iNS9_4plusIiEE19head_flag_predicateiEE10hipError_tPvRmT2_T3_T4_T5_mT6_T7_P12ihipStream_tbENKUlT_T0_E_clISt17integral_constantIbLb1EESX_IbLb0EEEEDaST_SU_EUlST_E_NS1_11comp_targetILNS1_3genE10ELNS1_11target_archE1201ELNS1_3gpuE5ELNS1_3repE0EEENS1_30default_config_static_selectorELNS0_4arch9wavefront6targetE0EEEvT1_.kd
    .uniform_work_group_size: 1
    .uses_dynamic_stack: false
    .vgpr_count:     0
    .vgpr_spill_count: 0
    .wavefront_size: 32
  - .args:
      - .offset:         0
        .size:           112
        .value_kind:     by_value
    .group_segment_fixed_size: 0
    .kernarg_segment_align: 8
    .kernarg_segment_size: 112
    .language:       OpenCL C
    .language_version:
      - 2
      - 0
    .max_flat_workgroup_size: 256
    .name:           _ZN7rocprim17ROCPRIM_400000_NS6detail17trampoline_kernelINS0_14default_configENS1_27scan_by_key_config_selectorIiiEEZZNS1_16scan_by_key_implILNS1_25lookback_scan_determinismE0ELb1ES3_N6thrust23THRUST_200600_302600_NS6detail15normal_iteratorINS9_10device_ptrIiEEEESE_SE_iNS9_4plusIiEE19head_flag_predicateiEE10hipError_tPvRmT2_T3_T4_T5_mT6_T7_P12ihipStream_tbENKUlT_T0_E_clISt17integral_constantIbLb1EESX_IbLb0EEEEDaST_SU_EUlST_E_NS1_11comp_targetILNS1_3genE5ELNS1_11target_archE942ELNS1_3gpuE9ELNS1_3repE0EEENS1_30default_config_static_selectorELNS0_4arch9wavefront6targetE0EEEvT1_
    .private_segment_fixed_size: 0
    .sgpr_count:     0
    .sgpr_spill_count: 0
    .symbol:         _ZN7rocprim17ROCPRIM_400000_NS6detail17trampoline_kernelINS0_14default_configENS1_27scan_by_key_config_selectorIiiEEZZNS1_16scan_by_key_implILNS1_25lookback_scan_determinismE0ELb1ES3_N6thrust23THRUST_200600_302600_NS6detail15normal_iteratorINS9_10device_ptrIiEEEESE_SE_iNS9_4plusIiEE19head_flag_predicateiEE10hipError_tPvRmT2_T3_T4_T5_mT6_T7_P12ihipStream_tbENKUlT_T0_E_clISt17integral_constantIbLb1EESX_IbLb0EEEEDaST_SU_EUlST_E_NS1_11comp_targetILNS1_3genE5ELNS1_11target_archE942ELNS1_3gpuE9ELNS1_3repE0EEENS1_30default_config_static_selectorELNS0_4arch9wavefront6targetE0EEEvT1_.kd
    .uniform_work_group_size: 1
    .uses_dynamic_stack: false
    .vgpr_count:     0
    .vgpr_spill_count: 0
    .wavefront_size: 32
  - .args:
      - .offset:         0
        .size:           112
        .value_kind:     by_value
    .group_segment_fixed_size: 0
    .kernarg_segment_align: 8
    .kernarg_segment_size: 112
    .language:       OpenCL C
    .language_version:
      - 2
      - 0
    .max_flat_workgroup_size: 256
    .name:           _ZN7rocprim17ROCPRIM_400000_NS6detail17trampoline_kernelINS0_14default_configENS1_27scan_by_key_config_selectorIiiEEZZNS1_16scan_by_key_implILNS1_25lookback_scan_determinismE0ELb1ES3_N6thrust23THRUST_200600_302600_NS6detail15normal_iteratorINS9_10device_ptrIiEEEESE_SE_iNS9_4plusIiEE19head_flag_predicateiEE10hipError_tPvRmT2_T3_T4_T5_mT6_T7_P12ihipStream_tbENKUlT_T0_E_clISt17integral_constantIbLb1EESX_IbLb0EEEEDaST_SU_EUlST_E_NS1_11comp_targetILNS1_3genE4ELNS1_11target_archE910ELNS1_3gpuE8ELNS1_3repE0EEENS1_30default_config_static_selectorELNS0_4arch9wavefront6targetE0EEEvT1_
    .private_segment_fixed_size: 0
    .sgpr_count:     0
    .sgpr_spill_count: 0
    .symbol:         _ZN7rocprim17ROCPRIM_400000_NS6detail17trampoline_kernelINS0_14default_configENS1_27scan_by_key_config_selectorIiiEEZZNS1_16scan_by_key_implILNS1_25lookback_scan_determinismE0ELb1ES3_N6thrust23THRUST_200600_302600_NS6detail15normal_iteratorINS9_10device_ptrIiEEEESE_SE_iNS9_4plusIiEE19head_flag_predicateiEE10hipError_tPvRmT2_T3_T4_T5_mT6_T7_P12ihipStream_tbENKUlT_T0_E_clISt17integral_constantIbLb1EESX_IbLb0EEEEDaST_SU_EUlST_E_NS1_11comp_targetILNS1_3genE4ELNS1_11target_archE910ELNS1_3gpuE8ELNS1_3repE0EEENS1_30default_config_static_selectorELNS0_4arch9wavefront6targetE0EEEvT1_.kd
    .uniform_work_group_size: 1
    .uses_dynamic_stack: false
    .vgpr_count:     0
    .vgpr_spill_count: 0
    .wavefront_size: 32
  - .args:
      - .offset:         0
        .size:           112
        .value_kind:     by_value
    .group_segment_fixed_size: 0
    .kernarg_segment_align: 8
    .kernarg_segment_size: 112
    .language:       OpenCL C
    .language_version:
      - 2
      - 0
    .max_flat_workgroup_size: 256
    .name:           _ZN7rocprim17ROCPRIM_400000_NS6detail17trampoline_kernelINS0_14default_configENS1_27scan_by_key_config_selectorIiiEEZZNS1_16scan_by_key_implILNS1_25lookback_scan_determinismE0ELb1ES3_N6thrust23THRUST_200600_302600_NS6detail15normal_iteratorINS9_10device_ptrIiEEEESE_SE_iNS9_4plusIiEE19head_flag_predicateiEE10hipError_tPvRmT2_T3_T4_T5_mT6_T7_P12ihipStream_tbENKUlT_T0_E_clISt17integral_constantIbLb1EESX_IbLb0EEEEDaST_SU_EUlST_E_NS1_11comp_targetILNS1_3genE3ELNS1_11target_archE908ELNS1_3gpuE7ELNS1_3repE0EEENS1_30default_config_static_selectorELNS0_4arch9wavefront6targetE0EEEvT1_
    .private_segment_fixed_size: 0
    .sgpr_count:     0
    .sgpr_spill_count: 0
    .symbol:         _ZN7rocprim17ROCPRIM_400000_NS6detail17trampoline_kernelINS0_14default_configENS1_27scan_by_key_config_selectorIiiEEZZNS1_16scan_by_key_implILNS1_25lookback_scan_determinismE0ELb1ES3_N6thrust23THRUST_200600_302600_NS6detail15normal_iteratorINS9_10device_ptrIiEEEESE_SE_iNS9_4plusIiEE19head_flag_predicateiEE10hipError_tPvRmT2_T3_T4_T5_mT6_T7_P12ihipStream_tbENKUlT_T0_E_clISt17integral_constantIbLb1EESX_IbLb0EEEEDaST_SU_EUlST_E_NS1_11comp_targetILNS1_3genE3ELNS1_11target_archE908ELNS1_3gpuE7ELNS1_3repE0EEENS1_30default_config_static_selectorELNS0_4arch9wavefront6targetE0EEEvT1_.kd
    .uniform_work_group_size: 1
    .uses_dynamic_stack: false
    .vgpr_count:     0
    .vgpr_spill_count: 0
    .wavefront_size: 32
  - .args:
      - .offset:         0
        .size:           112
        .value_kind:     by_value
    .group_segment_fixed_size: 0
    .kernarg_segment_align: 8
    .kernarg_segment_size: 112
    .language:       OpenCL C
    .language_version:
      - 2
      - 0
    .max_flat_workgroup_size: 256
    .name:           _ZN7rocprim17ROCPRIM_400000_NS6detail17trampoline_kernelINS0_14default_configENS1_27scan_by_key_config_selectorIiiEEZZNS1_16scan_by_key_implILNS1_25lookback_scan_determinismE0ELb1ES3_N6thrust23THRUST_200600_302600_NS6detail15normal_iteratorINS9_10device_ptrIiEEEESE_SE_iNS9_4plusIiEE19head_flag_predicateiEE10hipError_tPvRmT2_T3_T4_T5_mT6_T7_P12ihipStream_tbENKUlT_T0_E_clISt17integral_constantIbLb1EESX_IbLb0EEEEDaST_SU_EUlST_E_NS1_11comp_targetILNS1_3genE2ELNS1_11target_archE906ELNS1_3gpuE6ELNS1_3repE0EEENS1_30default_config_static_selectorELNS0_4arch9wavefront6targetE0EEEvT1_
    .private_segment_fixed_size: 0
    .sgpr_count:     0
    .sgpr_spill_count: 0
    .symbol:         _ZN7rocprim17ROCPRIM_400000_NS6detail17trampoline_kernelINS0_14default_configENS1_27scan_by_key_config_selectorIiiEEZZNS1_16scan_by_key_implILNS1_25lookback_scan_determinismE0ELb1ES3_N6thrust23THRUST_200600_302600_NS6detail15normal_iteratorINS9_10device_ptrIiEEEESE_SE_iNS9_4plusIiEE19head_flag_predicateiEE10hipError_tPvRmT2_T3_T4_T5_mT6_T7_P12ihipStream_tbENKUlT_T0_E_clISt17integral_constantIbLb1EESX_IbLb0EEEEDaST_SU_EUlST_E_NS1_11comp_targetILNS1_3genE2ELNS1_11target_archE906ELNS1_3gpuE6ELNS1_3repE0EEENS1_30default_config_static_selectorELNS0_4arch9wavefront6targetE0EEEvT1_.kd
    .uniform_work_group_size: 1
    .uses_dynamic_stack: false
    .vgpr_count:     0
    .vgpr_spill_count: 0
    .wavefront_size: 32
  - .args:
      - .offset:         0
        .size:           112
        .value_kind:     by_value
    .group_segment_fixed_size: 0
    .kernarg_segment_align: 8
    .kernarg_segment_size: 112
    .language:       OpenCL C
    .language_version:
      - 2
      - 0
    .max_flat_workgroup_size: 256
    .name:           _ZN7rocprim17ROCPRIM_400000_NS6detail17trampoline_kernelINS0_14default_configENS1_27scan_by_key_config_selectorIiiEEZZNS1_16scan_by_key_implILNS1_25lookback_scan_determinismE0ELb1ES3_N6thrust23THRUST_200600_302600_NS6detail15normal_iteratorINS9_10device_ptrIiEEEESE_SE_iNS9_4plusIiEE19head_flag_predicateiEE10hipError_tPvRmT2_T3_T4_T5_mT6_T7_P12ihipStream_tbENKUlT_T0_E_clISt17integral_constantIbLb1EESX_IbLb0EEEEDaST_SU_EUlST_E_NS1_11comp_targetILNS1_3genE10ELNS1_11target_archE1200ELNS1_3gpuE4ELNS1_3repE0EEENS1_30default_config_static_selectorELNS0_4arch9wavefront6targetE0EEEvT1_
    .private_segment_fixed_size: 0
    .sgpr_count:     0
    .sgpr_spill_count: 0
    .symbol:         _ZN7rocprim17ROCPRIM_400000_NS6detail17trampoline_kernelINS0_14default_configENS1_27scan_by_key_config_selectorIiiEEZZNS1_16scan_by_key_implILNS1_25lookback_scan_determinismE0ELb1ES3_N6thrust23THRUST_200600_302600_NS6detail15normal_iteratorINS9_10device_ptrIiEEEESE_SE_iNS9_4plusIiEE19head_flag_predicateiEE10hipError_tPvRmT2_T3_T4_T5_mT6_T7_P12ihipStream_tbENKUlT_T0_E_clISt17integral_constantIbLb1EESX_IbLb0EEEEDaST_SU_EUlST_E_NS1_11comp_targetILNS1_3genE10ELNS1_11target_archE1200ELNS1_3gpuE4ELNS1_3repE0EEENS1_30default_config_static_selectorELNS0_4arch9wavefront6targetE0EEEvT1_.kd
    .uniform_work_group_size: 1
    .uses_dynamic_stack: false
    .vgpr_count:     0
    .vgpr_spill_count: 0
    .wavefront_size: 32
  - .args:
      - .offset:         0
        .size:           112
        .value_kind:     by_value
    .group_segment_fixed_size: 0
    .kernarg_segment_align: 8
    .kernarg_segment_size: 112
    .language:       OpenCL C
    .language_version:
      - 2
      - 0
    .max_flat_workgroup_size: 256
    .name:           _ZN7rocprim17ROCPRIM_400000_NS6detail17trampoline_kernelINS0_14default_configENS1_27scan_by_key_config_selectorIiiEEZZNS1_16scan_by_key_implILNS1_25lookback_scan_determinismE0ELb1ES3_N6thrust23THRUST_200600_302600_NS6detail15normal_iteratorINS9_10device_ptrIiEEEESE_SE_iNS9_4plusIiEE19head_flag_predicateiEE10hipError_tPvRmT2_T3_T4_T5_mT6_T7_P12ihipStream_tbENKUlT_T0_E_clISt17integral_constantIbLb1EESX_IbLb0EEEEDaST_SU_EUlST_E_NS1_11comp_targetILNS1_3genE9ELNS1_11target_archE1100ELNS1_3gpuE3ELNS1_3repE0EEENS1_30default_config_static_selectorELNS0_4arch9wavefront6targetE0EEEvT1_
    .private_segment_fixed_size: 0
    .sgpr_count:     0
    .sgpr_spill_count: 0
    .symbol:         _ZN7rocprim17ROCPRIM_400000_NS6detail17trampoline_kernelINS0_14default_configENS1_27scan_by_key_config_selectorIiiEEZZNS1_16scan_by_key_implILNS1_25lookback_scan_determinismE0ELb1ES3_N6thrust23THRUST_200600_302600_NS6detail15normal_iteratorINS9_10device_ptrIiEEEESE_SE_iNS9_4plusIiEE19head_flag_predicateiEE10hipError_tPvRmT2_T3_T4_T5_mT6_T7_P12ihipStream_tbENKUlT_T0_E_clISt17integral_constantIbLb1EESX_IbLb0EEEEDaST_SU_EUlST_E_NS1_11comp_targetILNS1_3genE9ELNS1_11target_archE1100ELNS1_3gpuE3ELNS1_3repE0EEENS1_30default_config_static_selectorELNS0_4arch9wavefront6targetE0EEEvT1_.kd
    .uniform_work_group_size: 1
    .uses_dynamic_stack: false
    .vgpr_count:     0
    .vgpr_spill_count: 0
    .wavefront_size: 32
  - .args:
      - .offset:         0
        .size:           112
        .value_kind:     by_value
    .group_segment_fixed_size: 0
    .kernarg_segment_align: 8
    .kernarg_segment_size: 112
    .language:       OpenCL C
    .language_version:
      - 2
      - 0
    .max_flat_workgroup_size: 256
    .name:           _ZN7rocprim17ROCPRIM_400000_NS6detail17trampoline_kernelINS0_14default_configENS1_27scan_by_key_config_selectorIiiEEZZNS1_16scan_by_key_implILNS1_25lookback_scan_determinismE0ELb1ES3_N6thrust23THRUST_200600_302600_NS6detail15normal_iteratorINS9_10device_ptrIiEEEESE_SE_iNS9_4plusIiEE19head_flag_predicateiEE10hipError_tPvRmT2_T3_T4_T5_mT6_T7_P12ihipStream_tbENKUlT_T0_E_clISt17integral_constantIbLb1EESX_IbLb0EEEEDaST_SU_EUlST_E_NS1_11comp_targetILNS1_3genE8ELNS1_11target_archE1030ELNS1_3gpuE2ELNS1_3repE0EEENS1_30default_config_static_selectorELNS0_4arch9wavefront6targetE0EEEvT1_
    .private_segment_fixed_size: 0
    .sgpr_count:     0
    .sgpr_spill_count: 0
    .symbol:         _ZN7rocprim17ROCPRIM_400000_NS6detail17trampoline_kernelINS0_14default_configENS1_27scan_by_key_config_selectorIiiEEZZNS1_16scan_by_key_implILNS1_25lookback_scan_determinismE0ELb1ES3_N6thrust23THRUST_200600_302600_NS6detail15normal_iteratorINS9_10device_ptrIiEEEESE_SE_iNS9_4plusIiEE19head_flag_predicateiEE10hipError_tPvRmT2_T3_T4_T5_mT6_T7_P12ihipStream_tbENKUlT_T0_E_clISt17integral_constantIbLb1EESX_IbLb0EEEEDaST_SU_EUlST_E_NS1_11comp_targetILNS1_3genE8ELNS1_11target_archE1030ELNS1_3gpuE2ELNS1_3repE0EEENS1_30default_config_static_selectorELNS0_4arch9wavefront6targetE0EEEvT1_.kd
    .uniform_work_group_size: 1
    .uses_dynamic_stack: false
    .vgpr_count:     0
    .vgpr_spill_count: 0
    .wavefront_size: 32
  - .args:
      - .offset:         0
        .size:           112
        .value_kind:     by_value
    .group_segment_fixed_size: 14336
    .kernarg_segment_align: 8
    .kernarg_segment_size: 112
    .language:       OpenCL C
    .language_version:
      - 2
      - 0
    .max_flat_workgroup_size: 256
    .name:           _ZN7rocprim17ROCPRIM_400000_NS6detail17trampoline_kernelINS0_14default_configENS1_27scan_by_key_config_selectorIiiEEZZNS1_16scan_by_key_implILNS1_25lookback_scan_determinismE0ELb1ES3_N6thrust23THRUST_200600_302600_NS6detail15normal_iteratorINS9_10device_ptrIiEEEESE_SE_iNS9_4plusIiEE19head_flag_predicateiEE10hipError_tPvRmT2_T3_T4_T5_mT6_T7_P12ihipStream_tbENKUlT_T0_E_clISt17integral_constantIbLb0EESX_IbLb1EEEEDaST_SU_EUlST_E_NS1_11comp_targetILNS1_3genE0ELNS1_11target_archE4294967295ELNS1_3gpuE0ELNS1_3repE0EEENS1_30default_config_static_selectorELNS0_4arch9wavefront6targetE0EEEvT1_
    .private_segment_fixed_size: 0
    .sgpr_count:     41
    .sgpr_spill_count: 0
    .symbol:         _ZN7rocprim17ROCPRIM_400000_NS6detail17trampoline_kernelINS0_14default_configENS1_27scan_by_key_config_selectorIiiEEZZNS1_16scan_by_key_implILNS1_25lookback_scan_determinismE0ELb1ES3_N6thrust23THRUST_200600_302600_NS6detail15normal_iteratorINS9_10device_ptrIiEEEESE_SE_iNS9_4plusIiEE19head_flag_predicateiEE10hipError_tPvRmT2_T3_T4_T5_mT6_T7_P12ihipStream_tbENKUlT_T0_E_clISt17integral_constantIbLb0EESX_IbLb1EEEEDaST_SU_EUlST_E_NS1_11comp_targetILNS1_3genE0ELNS1_11target_archE4294967295ELNS1_3gpuE0ELNS1_3repE0EEENS1_30default_config_static_selectorELNS0_4arch9wavefront6targetE0EEEvT1_.kd
    .uniform_work_group_size: 1
    .uses_dynamic_stack: false
    .vgpr_count:     60
    .vgpr_spill_count: 0
    .wavefront_size: 32
  - .args:
      - .offset:         0
        .size:           112
        .value_kind:     by_value
    .group_segment_fixed_size: 0
    .kernarg_segment_align: 8
    .kernarg_segment_size: 112
    .language:       OpenCL C
    .language_version:
      - 2
      - 0
    .max_flat_workgroup_size: 256
    .name:           _ZN7rocprim17ROCPRIM_400000_NS6detail17trampoline_kernelINS0_14default_configENS1_27scan_by_key_config_selectorIiiEEZZNS1_16scan_by_key_implILNS1_25lookback_scan_determinismE0ELb1ES3_N6thrust23THRUST_200600_302600_NS6detail15normal_iteratorINS9_10device_ptrIiEEEESE_SE_iNS9_4plusIiEE19head_flag_predicateiEE10hipError_tPvRmT2_T3_T4_T5_mT6_T7_P12ihipStream_tbENKUlT_T0_E_clISt17integral_constantIbLb0EESX_IbLb1EEEEDaST_SU_EUlST_E_NS1_11comp_targetILNS1_3genE10ELNS1_11target_archE1201ELNS1_3gpuE5ELNS1_3repE0EEENS1_30default_config_static_selectorELNS0_4arch9wavefront6targetE0EEEvT1_
    .private_segment_fixed_size: 0
    .sgpr_count:     0
    .sgpr_spill_count: 0
    .symbol:         _ZN7rocprim17ROCPRIM_400000_NS6detail17trampoline_kernelINS0_14default_configENS1_27scan_by_key_config_selectorIiiEEZZNS1_16scan_by_key_implILNS1_25lookback_scan_determinismE0ELb1ES3_N6thrust23THRUST_200600_302600_NS6detail15normal_iteratorINS9_10device_ptrIiEEEESE_SE_iNS9_4plusIiEE19head_flag_predicateiEE10hipError_tPvRmT2_T3_T4_T5_mT6_T7_P12ihipStream_tbENKUlT_T0_E_clISt17integral_constantIbLb0EESX_IbLb1EEEEDaST_SU_EUlST_E_NS1_11comp_targetILNS1_3genE10ELNS1_11target_archE1201ELNS1_3gpuE5ELNS1_3repE0EEENS1_30default_config_static_selectorELNS0_4arch9wavefront6targetE0EEEvT1_.kd
    .uniform_work_group_size: 1
    .uses_dynamic_stack: false
    .vgpr_count:     0
    .vgpr_spill_count: 0
    .wavefront_size: 32
  - .args:
      - .offset:         0
        .size:           112
        .value_kind:     by_value
    .group_segment_fixed_size: 0
    .kernarg_segment_align: 8
    .kernarg_segment_size: 112
    .language:       OpenCL C
    .language_version:
      - 2
      - 0
    .max_flat_workgroup_size: 256
    .name:           _ZN7rocprim17ROCPRIM_400000_NS6detail17trampoline_kernelINS0_14default_configENS1_27scan_by_key_config_selectorIiiEEZZNS1_16scan_by_key_implILNS1_25lookback_scan_determinismE0ELb1ES3_N6thrust23THRUST_200600_302600_NS6detail15normal_iteratorINS9_10device_ptrIiEEEESE_SE_iNS9_4plusIiEE19head_flag_predicateiEE10hipError_tPvRmT2_T3_T4_T5_mT6_T7_P12ihipStream_tbENKUlT_T0_E_clISt17integral_constantIbLb0EESX_IbLb1EEEEDaST_SU_EUlST_E_NS1_11comp_targetILNS1_3genE5ELNS1_11target_archE942ELNS1_3gpuE9ELNS1_3repE0EEENS1_30default_config_static_selectorELNS0_4arch9wavefront6targetE0EEEvT1_
    .private_segment_fixed_size: 0
    .sgpr_count:     0
    .sgpr_spill_count: 0
    .symbol:         _ZN7rocprim17ROCPRIM_400000_NS6detail17trampoline_kernelINS0_14default_configENS1_27scan_by_key_config_selectorIiiEEZZNS1_16scan_by_key_implILNS1_25lookback_scan_determinismE0ELb1ES3_N6thrust23THRUST_200600_302600_NS6detail15normal_iteratorINS9_10device_ptrIiEEEESE_SE_iNS9_4plusIiEE19head_flag_predicateiEE10hipError_tPvRmT2_T3_T4_T5_mT6_T7_P12ihipStream_tbENKUlT_T0_E_clISt17integral_constantIbLb0EESX_IbLb1EEEEDaST_SU_EUlST_E_NS1_11comp_targetILNS1_3genE5ELNS1_11target_archE942ELNS1_3gpuE9ELNS1_3repE0EEENS1_30default_config_static_selectorELNS0_4arch9wavefront6targetE0EEEvT1_.kd
    .uniform_work_group_size: 1
    .uses_dynamic_stack: false
    .vgpr_count:     0
    .vgpr_spill_count: 0
    .wavefront_size: 32
  - .args:
      - .offset:         0
        .size:           112
        .value_kind:     by_value
    .group_segment_fixed_size: 0
    .kernarg_segment_align: 8
    .kernarg_segment_size: 112
    .language:       OpenCL C
    .language_version:
      - 2
      - 0
    .max_flat_workgroup_size: 256
    .name:           _ZN7rocprim17ROCPRIM_400000_NS6detail17trampoline_kernelINS0_14default_configENS1_27scan_by_key_config_selectorIiiEEZZNS1_16scan_by_key_implILNS1_25lookback_scan_determinismE0ELb1ES3_N6thrust23THRUST_200600_302600_NS6detail15normal_iteratorINS9_10device_ptrIiEEEESE_SE_iNS9_4plusIiEE19head_flag_predicateiEE10hipError_tPvRmT2_T3_T4_T5_mT6_T7_P12ihipStream_tbENKUlT_T0_E_clISt17integral_constantIbLb0EESX_IbLb1EEEEDaST_SU_EUlST_E_NS1_11comp_targetILNS1_3genE4ELNS1_11target_archE910ELNS1_3gpuE8ELNS1_3repE0EEENS1_30default_config_static_selectorELNS0_4arch9wavefront6targetE0EEEvT1_
    .private_segment_fixed_size: 0
    .sgpr_count:     0
    .sgpr_spill_count: 0
    .symbol:         _ZN7rocprim17ROCPRIM_400000_NS6detail17trampoline_kernelINS0_14default_configENS1_27scan_by_key_config_selectorIiiEEZZNS1_16scan_by_key_implILNS1_25lookback_scan_determinismE0ELb1ES3_N6thrust23THRUST_200600_302600_NS6detail15normal_iteratorINS9_10device_ptrIiEEEESE_SE_iNS9_4plusIiEE19head_flag_predicateiEE10hipError_tPvRmT2_T3_T4_T5_mT6_T7_P12ihipStream_tbENKUlT_T0_E_clISt17integral_constantIbLb0EESX_IbLb1EEEEDaST_SU_EUlST_E_NS1_11comp_targetILNS1_3genE4ELNS1_11target_archE910ELNS1_3gpuE8ELNS1_3repE0EEENS1_30default_config_static_selectorELNS0_4arch9wavefront6targetE0EEEvT1_.kd
    .uniform_work_group_size: 1
    .uses_dynamic_stack: false
    .vgpr_count:     0
    .vgpr_spill_count: 0
    .wavefront_size: 32
  - .args:
      - .offset:         0
        .size:           112
        .value_kind:     by_value
    .group_segment_fixed_size: 0
    .kernarg_segment_align: 8
    .kernarg_segment_size: 112
    .language:       OpenCL C
    .language_version:
      - 2
      - 0
    .max_flat_workgroup_size: 256
    .name:           _ZN7rocprim17ROCPRIM_400000_NS6detail17trampoline_kernelINS0_14default_configENS1_27scan_by_key_config_selectorIiiEEZZNS1_16scan_by_key_implILNS1_25lookback_scan_determinismE0ELb1ES3_N6thrust23THRUST_200600_302600_NS6detail15normal_iteratorINS9_10device_ptrIiEEEESE_SE_iNS9_4plusIiEE19head_flag_predicateiEE10hipError_tPvRmT2_T3_T4_T5_mT6_T7_P12ihipStream_tbENKUlT_T0_E_clISt17integral_constantIbLb0EESX_IbLb1EEEEDaST_SU_EUlST_E_NS1_11comp_targetILNS1_3genE3ELNS1_11target_archE908ELNS1_3gpuE7ELNS1_3repE0EEENS1_30default_config_static_selectorELNS0_4arch9wavefront6targetE0EEEvT1_
    .private_segment_fixed_size: 0
    .sgpr_count:     0
    .sgpr_spill_count: 0
    .symbol:         _ZN7rocprim17ROCPRIM_400000_NS6detail17trampoline_kernelINS0_14default_configENS1_27scan_by_key_config_selectorIiiEEZZNS1_16scan_by_key_implILNS1_25lookback_scan_determinismE0ELb1ES3_N6thrust23THRUST_200600_302600_NS6detail15normal_iteratorINS9_10device_ptrIiEEEESE_SE_iNS9_4plusIiEE19head_flag_predicateiEE10hipError_tPvRmT2_T3_T4_T5_mT6_T7_P12ihipStream_tbENKUlT_T0_E_clISt17integral_constantIbLb0EESX_IbLb1EEEEDaST_SU_EUlST_E_NS1_11comp_targetILNS1_3genE3ELNS1_11target_archE908ELNS1_3gpuE7ELNS1_3repE0EEENS1_30default_config_static_selectorELNS0_4arch9wavefront6targetE0EEEvT1_.kd
    .uniform_work_group_size: 1
    .uses_dynamic_stack: false
    .vgpr_count:     0
    .vgpr_spill_count: 0
    .wavefront_size: 32
  - .args:
      - .offset:         0
        .size:           112
        .value_kind:     by_value
    .group_segment_fixed_size: 0
    .kernarg_segment_align: 8
    .kernarg_segment_size: 112
    .language:       OpenCL C
    .language_version:
      - 2
      - 0
    .max_flat_workgroup_size: 256
    .name:           _ZN7rocprim17ROCPRIM_400000_NS6detail17trampoline_kernelINS0_14default_configENS1_27scan_by_key_config_selectorIiiEEZZNS1_16scan_by_key_implILNS1_25lookback_scan_determinismE0ELb1ES3_N6thrust23THRUST_200600_302600_NS6detail15normal_iteratorINS9_10device_ptrIiEEEESE_SE_iNS9_4plusIiEE19head_flag_predicateiEE10hipError_tPvRmT2_T3_T4_T5_mT6_T7_P12ihipStream_tbENKUlT_T0_E_clISt17integral_constantIbLb0EESX_IbLb1EEEEDaST_SU_EUlST_E_NS1_11comp_targetILNS1_3genE2ELNS1_11target_archE906ELNS1_3gpuE6ELNS1_3repE0EEENS1_30default_config_static_selectorELNS0_4arch9wavefront6targetE0EEEvT1_
    .private_segment_fixed_size: 0
    .sgpr_count:     0
    .sgpr_spill_count: 0
    .symbol:         _ZN7rocprim17ROCPRIM_400000_NS6detail17trampoline_kernelINS0_14default_configENS1_27scan_by_key_config_selectorIiiEEZZNS1_16scan_by_key_implILNS1_25lookback_scan_determinismE0ELb1ES3_N6thrust23THRUST_200600_302600_NS6detail15normal_iteratorINS9_10device_ptrIiEEEESE_SE_iNS9_4plusIiEE19head_flag_predicateiEE10hipError_tPvRmT2_T3_T4_T5_mT6_T7_P12ihipStream_tbENKUlT_T0_E_clISt17integral_constantIbLb0EESX_IbLb1EEEEDaST_SU_EUlST_E_NS1_11comp_targetILNS1_3genE2ELNS1_11target_archE906ELNS1_3gpuE6ELNS1_3repE0EEENS1_30default_config_static_selectorELNS0_4arch9wavefront6targetE0EEEvT1_.kd
    .uniform_work_group_size: 1
    .uses_dynamic_stack: false
    .vgpr_count:     0
    .vgpr_spill_count: 0
    .wavefront_size: 32
  - .args:
      - .offset:         0
        .size:           112
        .value_kind:     by_value
    .group_segment_fixed_size: 0
    .kernarg_segment_align: 8
    .kernarg_segment_size: 112
    .language:       OpenCL C
    .language_version:
      - 2
      - 0
    .max_flat_workgroup_size: 256
    .name:           _ZN7rocprim17ROCPRIM_400000_NS6detail17trampoline_kernelINS0_14default_configENS1_27scan_by_key_config_selectorIiiEEZZNS1_16scan_by_key_implILNS1_25lookback_scan_determinismE0ELb1ES3_N6thrust23THRUST_200600_302600_NS6detail15normal_iteratorINS9_10device_ptrIiEEEESE_SE_iNS9_4plusIiEE19head_flag_predicateiEE10hipError_tPvRmT2_T3_T4_T5_mT6_T7_P12ihipStream_tbENKUlT_T0_E_clISt17integral_constantIbLb0EESX_IbLb1EEEEDaST_SU_EUlST_E_NS1_11comp_targetILNS1_3genE10ELNS1_11target_archE1200ELNS1_3gpuE4ELNS1_3repE0EEENS1_30default_config_static_selectorELNS0_4arch9wavefront6targetE0EEEvT1_
    .private_segment_fixed_size: 0
    .sgpr_count:     0
    .sgpr_spill_count: 0
    .symbol:         _ZN7rocprim17ROCPRIM_400000_NS6detail17trampoline_kernelINS0_14default_configENS1_27scan_by_key_config_selectorIiiEEZZNS1_16scan_by_key_implILNS1_25lookback_scan_determinismE0ELb1ES3_N6thrust23THRUST_200600_302600_NS6detail15normal_iteratorINS9_10device_ptrIiEEEESE_SE_iNS9_4plusIiEE19head_flag_predicateiEE10hipError_tPvRmT2_T3_T4_T5_mT6_T7_P12ihipStream_tbENKUlT_T0_E_clISt17integral_constantIbLb0EESX_IbLb1EEEEDaST_SU_EUlST_E_NS1_11comp_targetILNS1_3genE10ELNS1_11target_archE1200ELNS1_3gpuE4ELNS1_3repE0EEENS1_30default_config_static_selectorELNS0_4arch9wavefront6targetE0EEEvT1_.kd
    .uniform_work_group_size: 1
    .uses_dynamic_stack: false
    .vgpr_count:     0
    .vgpr_spill_count: 0
    .wavefront_size: 32
  - .args:
      - .offset:         0
        .size:           112
        .value_kind:     by_value
    .group_segment_fixed_size: 0
    .kernarg_segment_align: 8
    .kernarg_segment_size: 112
    .language:       OpenCL C
    .language_version:
      - 2
      - 0
    .max_flat_workgroup_size: 256
    .name:           _ZN7rocprim17ROCPRIM_400000_NS6detail17trampoline_kernelINS0_14default_configENS1_27scan_by_key_config_selectorIiiEEZZNS1_16scan_by_key_implILNS1_25lookback_scan_determinismE0ELb1ES3_N6thrust23THRUST_200600_302600_NS6detail15normal_iteratorINS9_10device_ptrIiEEEESE_SE_iNS9_4plusIiEE19head_flag_predicateiEE10hipError_tPvRmT2_T3_T4_T5_mT6_T7_P12ihipStream_tbENKUlT_T0_E_clISt17integral_constantIbLb0EESX_IbLb1EEEEDaST_SU_EUlST_E_NS1_11comp_targetILNS1_3genE9ELNS1_11target_archE1100ELNS1_3gpuE3ELNS1_3repE0EEENS1_30default_config_static_selectorELNS0_4arch9wavefront6targetE0EEEvT1_
    .private_segment_fixed_size: 0
    .sgpr_count:     0
    .sgpr_spill_count: 0
    .symbol:         _ZN7rocprim17ROCPRIM_400000_NS6detail17trampoline_kernelINS0_14default_configENS1_27scan_by_key_config_selectorIiiEEZZNS1_16scan_by_key_implILNS1_25lookback_scan_determinismE0ELb1ES3_N6thrust23THRUST_200600_302600_NS6detail15normal_iteratorINS9_10device_ptrIiEEEESE_SE_iNS9_4plusIiEE19head_flag_predicateiEE10hipError_tPvRmT2_T3_T4_T5_mT6_T7_P12ihipStream_tbENKUlT_T0_E_clISt17integral_constantIbLb0EESX_IbLb1EEEEDaST_SU_EUlST_E_NS1_11comp_targetILNS1_3genE9ELNS1_11target_archE1100ELNS1_3gpuE3ELNS1_3repE0EEENS1_30default_config_static_selectorELNS0_4arch9wavefront6targetE0EEEvT1_.kd
    .uniform_work_group_size: 1
    .uses_dynamic_stack: false
    .vgpr_count:     0
    .vgpr_spill_count: 0
    .wavefront_size: 32
  - .args:
      - .offset:         0
        .size:           112
        .value_kind:     by_value
    .group_segment_fixed_size: 0
    .kernarg_segment_align: 8
    .kernarg_segment_size: 112
    .language:       OpenCL C
    .language_version:
      - 2
      - 0
    .max_flat_workgroup_size: 256
    .name:           _ZN7rocprim17ROCPRIM_400000_NS6detail17trampoline_kernelINS0_14default_configENS1_27scan_by_key_config_selectorIiiEEZZNS1_16scan_by_key_implILNS1_25lookback_scan_determinismE0ELb1ES3_N6thrust23THRUST_200600_302600_NS6detail15normal_iteratorINS9_10device_ptrIiEEEESE_SE_iNS9_4plusIiEE19head_flag_predicateiEE10hipError_tPvRmT2_T3_T4_T5_mT6_T7_P12ihipStream_tbENKUlT_T0_E_clISt17integral_constantIbLb0EESX_IbLb1EEEEDaST_SU_EUlST_E_NS1_11comp_targetILNS1_3genE8ELNS1_11target_archE1030ELNS1_3gpuE2ELNS1_3repE0EEENS1_30default_config_static_selectorELNS0_4arch9wavefront6targetE0EEEvT1_
    .private_segment_fixed_size: 0
    .sgpr_count:     0
    .sgpr_spill_count: 0
    .symbol:         _ZN7rocprim17ROCPRIM_400000_NS6detail17trampoline_kernelINS0_14default_configENS1_27scan_by_key_config_selectorIiiEEZZNS1_16scan_by_key_implILNS1_25lookback_scan_determinismE0ELb1ES3_N6thrust23THRUST_200600_302600_NS6detail15normal_iteratorINS9_10device_ptrIiEEEESE_SE_iNS9_4plusIiEE19head_flag_predicateiEE10hipError_tPvRmT2_T3_T4_T5_mT6_T7_P12ihipStream_tbENKUlT_T0_E_clISt17integral_constantIbLb0EESX_IbLb1EEEEDaST_SU_EUlST_E_NS1_11comp_targetILNS1_3genE8ELNS1_11target_archE1030ELNS1_3gpuE2ELNS1_3repE0EEENS1_30default_config_static_selectorELNS0_4arch9wavefront6targetE0EEEvT1_.kd
    .uniform_work_group_size: 1
    .uses_dynamic_stack: false
    .vgpr_count:     0
    .vgpr_spill_count: 0
    .wavefront_size: 32
  - .args:
      - .offset:         0
        .size:           112
        .value_kind:     by_value
    .group_segment_fixed_size: 11264
    .kernarg_segment_align: 8
    .kernarg_segment_size: 112
    .language:       OpenCL C
    .language_version:
      - 2
      - 0
    .max_flat_workgroup_size: 256
    .name:           _ZN7rocprim17ROCPRIM_400000_NS6detail17trampoline_kernelINS0_14default_configENS1_27scan_by_key_config_selectorIssEEZZNS1_16scan_by_key_implILNS1_25lookback_scan_determinismE0ELb0ES3_N6thrust23THRUST_200600_302600_NS6detail15normal_iteratorINS9_10device_ptrIsEEEESE_SE_sNS9_4plusIsEE19head_flag_predicatesEE10hipError_tPvRmT2_T3_T4_T5_mT6_T7_P12ihipStream_tbENKUlT_T0_E_clISt17integral_constantIbLb0EESY_EEDaST_SU_EUlST_E_NS1_11comp_targetILNS1_3genE0ELNS1_11target_archE4294967295ELNS1_3gpuE0ELNS1_3repE0EEENS1_30default_config_static_selectorELNS0_4arch9wavefront6targetE0EEEvT1_
    .private_segment_fixed_size: 0
    .sgpr_count:     45
    .sgpr_spill_count: 0
    .symbol:         _ZN7rocprim17ROCPRIM_400000_NS6detail17trampoline_kernelINS0_14default_configENS1_27scan_by_key_config_selectorIssEEZZNS1_16scan_by_key_implILNS1_25lookback_scan_determinismE0ELb0ES3_N6thrust23THRUST_200600_302600_NS6detail15normal_iteratorINS9_10device_ptrIsEEEESE_SE_sNS9_4plusIsEE19head_flag_predicatesEE10hipError_tPvRmT2_T3_T4_T5_mT6_T7_P12ihipStream_tbENKUlT_T0_E_clISt17integral_constantIbLb0EESY_EEDaST_SU_EUlST_E_NS1_11comp_targetILNS1_3genE0ELNS1_11target_archE4294967295ELNS1_3gpuE0ELNS1_3repE0EEENS1_30default_config_static_selectorELNS0_4arch9wavefront6targetE0EEEvT1_.kd
    .uniform_work_group_size: 1
    .uses_dynamic_stack: false
    .vgpr_count:     58
    .vgpr_spill_count: 0
    .wavefront_size: 32
  - .args:
      - .offset:         0
        .size:           112
        .value_kind:     by_value
    .group_segment_fixed_size: 0
    .kernarg_segment_align: 8
    .kernarg_segment_size: 112
    .language:       OpenCL C
    .language_version:
      - 2
      - 0
    .max_flat_workgroup_size: 128
    .name:           _ZN7rocprim17ROCPRIM_400000_NS6detail17trampoline_kernelINS0_14default_configENS1_27scan_by_key_config_selectorIssEEZZNS1_16scan_by_key_implILNS1_25lookback_scan_determinismE0ELb0ES3_N6thrust23THRUST_200600_302600_NS6detail15normal_iteratorINS9_10device_ptrIsEEEESE_SE_sNS9_4plusIsEE19head_flag_predicatesEE10hipError_tPvRmT2_T3_T4_T5_mT6_T7_P12ihipStream_tbENKUlT_T0_E_clISt17integral_constantIbLb0EESY_EEDaST_SU_EUlST_E_NS1_11comp_targetILNS1_3genE10ELNS1_11target_archE1201ELNS1_3gpuE5ELNS1_3repE0EEENS1_30default_config_static_selectorELNS0_4arch9wavefront6targetE0EEEvT1_
    .private_segment_fixed_size: 0
    .sgpr_count:     0
    .sgpr_spill_count: 0
    .symbol:         _ZN7rocprim17ROCPRIM_400000_NS6detail17trampoline_kernelINS0_14default_configENS1_27scan_by_key_config_selectorIssEEZZNS1_16scan_by_key_implILNS1_25lookback_scan_determinismE0ELb0ES3_N6thrust23THRUST_200600_302600_NS6detail15normal_iteratorINS9_10device_ptrIsEEEESE_SE_sNS9_4plusIsEE19head_flag_predicatesEE10hipError_tPvRmT2_T3_T4_T5_mT6_T7_P12ihipStream_tbENKUlT_T0_E_clISt17integral_constantIbLb0EESY_EEDaST_SU_EUlST_E_NS1_11comp_targetILNS1_3genE10ELNS1_11target_archE1201ELNS1_3gpuE5ELNS1_3repE0EEENS1_30default_config_static_selectorELNS0_4arch9wavefront6targetE0EEEvT1_.kd
    .uniform_work_group_size: 1
    .uses_dynamic_stack: false
    .vgpr_count:     0
    .vgpr_spill_count: 0
    .wavefront_size: 32
  - .args:
      - .offset:         0
        .size:           112
        .value_kind:     by_value
    .group_segment_fixed_size: 0
    .kernarg_segment_align: 8
    .kernarg_segment_size: 112
    .language:       OpenCL C
    .language_version:
      - 2
      - 0
    .max_flat_workgroup_size: 256
    .name:           _ZN7rocprim17ROCPRIM_400000_NS6detail17trampoline_kernelINS0_14default_configENS1_27scan_by_key_config_selectorIssEEZZNS1_16scan_by_key_implILNS1_25lookback_scan_determinismE0ELb0ES3_N6thrust23THRUST_200600_302600_NS6detail15normal_iteratorINS9_10device_ptrIsEEEESE_SE_sNS9_4plusIsEE19head_flag_predicatesEE10hipError_tPvRmT2_T3_T4_T5_mT6_T7_P12ihipStream_tbENKUlT_T0_E_clISt17integral_constantIbLb0EESY_EEDaST_SU_EUlST_E_NS1_11comp_targetILNS1_3genE5ELNS1_11target_archE942ELNS1_3gpuE9ELNS1_3repE0EEENS1_30default_config_static_selectorELNS0_4arch9wavefront6targetE0EEEvT1_
    .private_segment_fixed_size: 0
    .sgpr_count:     0
    .sgpr_spill_count: 0
    .symbol:         _ZN7rocprim17ROCPRIM_400000_NS6detail17trampoline_kernelINS0_14default_configENS1_27scan_by_key_config_selectorIssEEZZNS1_16scan_by_key_implILNS1_25lookback_scan_determinismE0ELb0ES3_N6thrust23THRUST_200600_302600_NS6detail15normal_iteratorINS9_10device_ptrIsEEEESE_SE_sNS9_4plusIsEE19head_flag_predicatesEE10hipError_tPvRmT2_T3_T4_T5_mT6_T7_P12ihipStream_tbENKUlT_T0_E_clISt17integral_constantIbLb0EESY_EEDaST_SU_EUlST_E_NS1_11comp_targetILNS1_3genE5ELNS1_11target_archE942ELNS1_3gpuE9ELNS1_3repE0EEENS1_30default_config_static_selectorELNS0_4arch9wavefront6targetE0EEEvT1_.kd
    .uniform_work_group_size: 1
    .uses_dynamic_stack: false
    .vgpr_count:     0
    .vgpr_spill_count: 0
    .wavefront_size: 32
  - .args:
      - .offset:         0
        .size:           112
        .value_kind:     by_value
    .group_segment_fixed_size: 0
    .kernarg_segment_align: 8
    .kernarg_segment_size: 112
    .language:       OpenCL C
    .language_version:
      - 2
      - 0
    .max_flat_workgroup_size: 256
    .name:           _ZN7rocprim17ROCPRIM_400000_NS6detail17trampoline_kernelINS0_14default_configENS1_27scan_by_key_config_selectorIssEEZZNS1_16scan_by_key_implILNS1_25lookback_scan_determinismE0ELb0ES3_N6thrust23THRUST_200600_302600_NS6detail15normal_iteratorINS9_10device_ptrIsEEEESE_SE_sNS9_4plusIsEE19head_flag_predicatesEE10hipError_tPvRmT2_T3_T4_T5_mT6_T7_P12ihipStream_tbENKUlT_T0_E_clISt17integral_constantIbLb0EESY_EEDaST_SU_EUlST_E_NS1_11comp_targetILNS1_3genE4ELNS1_11target_archE910ELNS1_3gpuE8ELNS1_3repE0EEENS1_30default_config_static_selectorELNS0_4arch9wavefront6targetE0EEEvT1_
    .private_segment_fixed_size: 0
    .sgpr_count:     0
    .sgpr_spill_count: 0
    .symbol:         _ZN7rocprim17ROCPRIM_400000_NS6detail17trampoline_kernelINS0_14default_configENS1_27scan_by_key_config_selectorIssEEZZNS1_16scan_by_key_implILNS1_25lookback_scan_determinismE0ELb0ES3_N6thrust23THRUST_200600_302600_NS6detail15normal_iteratorINS9_10device_ptrIsEEEESE_SE_sNS9_4plusIsEE19head_flag_predicatesEE10hipError_tPvRmT2_T3_T4_T5_mT6_T7_P12ihipStream_tbENKUlT_T0_E_clISt17integral_constantIbLb0EESY_EEDaST_SU_EUlST_E_NS1_11comp_targetILNS1_3genE4ELNS1_11target_archE910ELNS1_3gpuE8ELNS1_3repE0EEENS1_30default_config_static_selectorELNS0_4arch9wavefront6targetE0EEEvT1_.kd
    .uniform_work_group_size: 1
    .uses_dynamic_stack: false
    .vgpr_count:     0
    .vgpr_spill_count: 0
    .wavefront_size: 32
  - .args:
      - .offset:         0
        .size:           112
        .value_kind:     by_value
    .group_segment_fixed_size: 0
    .kernarg_segment_align: 8
    .kernarg_segment_size: 112
    .language:       OpenCL C
    .language_version:
      - 2
      - 0
    .max_flat_workgroup_size: 256
    .name:           _ZN7rocprim17ROCPRIM_400000_NS6detail17trampoline_kernelINS0_14default_configENS1_27scan_by_key_config_selectorIssEEZZNS1_16scan_by_key_implILNS1_25lookback_scan_determinismE0ELb0ES3_N6thrust23THRUST_200600_302600_NS6detail15normal_iteratorINS9_10device_ptrIsEEEESE_SE_sNS9_4plusIsEE19head_flag_predicatesEE10hipError_tPvRmT2_T3_T4_T5_mT6_T7_P12ihipStream_tbENKUlT_T0_E_clISt17integral_constantIbLb0EESY_EEDaST_SU_EUlST_E_NS1_11comp_targetILNS1_3genE3ELNS1_11target_archE908ELNS1_3gpuE7ELNS1_3repE0EEENS1_30default_config_static_selectorELNS0_4arch9wavefront6targetE0EEEvT1_
    .private_segment_fixed_size: 0
    .sgpr_count:     0
    .sgpr_spill_count: 0
    .symbol:         _ZN7rocprim17ROCPRIM_400000_NS6detail17trampoline_kernelINS0_14default_configENS1_27scan_by_key_config_selectorIssEEZZNS1_16scan_by_key_implILNS1_25lookback_scan_determinismE0ELb0ES3_N6thrust23THRUST_200600_302600_NS6detail15normal_iteratorINS9_10device_ptrIsEEEESE_SE_sNS9_4plusIsEE19head_flag_predicatesEE10hipError_tPvRmT2_T3_T4_T5_mT6_T7_P12ihipStream_tbENKUlT_T0_E_clISt17integral_constantIbLb0EESY_EEDaST_SU_EUlST_E_NS1_11comp_targetILNS1_3genE3ELNS1_11target_archE908ELNS1_3gpuE7ELNS1_3repE0EEENS1_30default_config_static_selectorELNS0_4arch9wavefront6targetE0EEEvT1_.kd
    .uniform_work_group_size: 1
    .uses_dynamic_stack: false
    .vgpr_count:     0
    .vgpr_spill_count: 0
    .wavefront_size: 32
  - .args:
      - .offset:         0
        .size:           112
        .value_kind:     by_value
    .group_segment_fixed_size: 0
    .kernarg_segment_align: 8
    .kernarg_segment_size: 112
    .language:       OpenCL C
    .language_version:
      - 2
      - 0
    .max_flat_workgroup_size: 64
    .name:           _ZN7rocprim17ROCPRIM_400000_NS6detail17trampoline_kernelINS0_14default_configENS1_27scan_by_key_config_selectorIssEEZZNS1_16scan_by_key_implILNS1_25lookback_scan_determinismE0ELb0ES3_N6thrust23THRUST_200600_302600_NS6detail15normal_iteratorINS9_10device_ptrIsEEEESE_SE_sNS9_4plusIsEE19head_flag_predicatesEE10hipError_tPvRmT2_T3_T4_T5_mT6_T7_P12ihipStream_tbENKUlT_T0_E_clISt17integral_constantIbLb0EESY_EEDaST_SU_EUlST_E_NS1_11comp_targetILNS1_3genE2ELNS1_11target_archE906ELNS1_3gpuE6ELNS1_3repE0EEENS1_30default_config_static_selectorELNS0_4arch9wavefront6targetE0EEEvT1_
    .private_segment_fixed_size: 0
    .sgpr_count:     0
    .sgpr_spill_count: 0
    .symbol:         _ZN7rocprim17ROCPRIM_400000_NS6detail17trampoline_kernelINS0_14default_configENS1_27scan_by_key_config_selectorIssEEZZNS1_16scan_by_key_implILNS1_25lookback_scan_determinismE0ELb0ES3_N6thrust23THRUST_200600_302600_NS6detail15normal_iteratorINS9_10device_ptrIsEEEESE_SE_sNS9_4plusIsEE19head_flag_predicatesEE10hipError_tPvRmT2_T3_T4_T5_mT6_T7_P12ihipStream_tbENKUlT_T0_E_clISt17integral_constantIbLb0EESY_EEDaST_SU_EUlST_E_NS1_11comp_targetILNS1_3genE2ELNS1_11target_archE906ELNS1_3gpuE6ELNS1_3repE0EEENS1_30default_config_static_selectorELNS0_4arch9wavefront6targetE0EEEvT1_.kd
    .uniform_work_group_size: 1
    .uses_dynamic_stack: false
    .vgpr_count:     0
    .vgpr_spill_count: 0
    .wavefront_size: 32
  - .args:
      - .offset:         0
        .size:           112
        .value_kind:     by_value
    .group_segment_fixed_size: 0
    .kernarg_segment_align: 8
    .kernarg_segment_size: 112
    .language:       OpenCL C
    .language_version:
      - 2
      - 0
    .max_flat_workgroup_size: 256
    .name:           _ZN7rocprim17ROCPRIM_400000_NS6detail17trampoline_kernelINS0_14default_configENS1_27scan_by_key_config_selectorIssEEZZNS1_16scan_by_key_implILNS1_25lookback_scan_determinismE0ELb0ES3_N6thrust23THRUST_200600_302600_NS6detail15normal_iteratorINS9_10device_ptrIsEEEESE_SE_sNS9_4plusIsEE19head_flag_predicatesEE10hipError_tPvRmT2_T3_T4_T5_mT6_T7_P12ihipStream_tbENKUlT_T0_E_clISt17integral_constantIbLb0EESY_EEDaST_SU_EUlST_E_NS1_11comp_targetILNS1_3genE10ELNS1_11target_archE1200ELNS1_3gpuE4ELNS1_3repE0EEENS1_30default_config_static_selectorELNS0_4arch9wavefront6targetE0EEEvT1_
    .private_segment_fixed_size: 0
    .sgpr_count:     0
    .sgpr_spill_count: 0
    .symbol:         _ZN7rocprim17ROCPRIM_400000_NS6detail17trampoline_kernelINS0_14default_configENS1_27scan_by_key_config_selectorIssEEZZNS1_16scan_by_key_implILNS1_25lookback_scan_determinismE0ELb0ES3_N6thrust23THRUST_200600_302600_NS6detail15normal_iteratorINS9_10device_ptrIsEEEESE_SE_sNS9_4plusIsEE19head_flag_predicatesEE10hipError_tPvRmT2_T3_T4_T5_mT6_T7_P12ihipStream_tbENKUlT_T0_E_clISt17integral_constantIbLb0EESY_EEDaST_SU_EUlST_E_NS1_11comp_targetILNS1_3genE10ELNS1_11target_archE1200ELNS1_3gpuE4ELNS1_3repE0EEENS1_30default_config_static_selectorELNS0_4arch9wavefront6targetE0EEEvT1_.kd
    .uniform_work_group_size: 1
    .uses_dynamic_stack: false
    .vgpr_count:     0
    .vgpr_spill_count: 0
    .wavefront_size: 32
  - .args:
      - .offset:         0
        .size:           112
        .value_kind:     by_value
    .group_segment_fixed_size: 0
    .kernarg_segment_align: 8
    .kernarg_segment_size: 112
    .language:       OpenCL C
    .language_version:
      - 2
      - 0
    .max_flat_workgroup_size: 256
    .name:           _ZN7rocprim17ROCPRIM_400000_NS6detail17trampoline_kernelINS0_14default_configENS1_27scan_by_key_config_selectorIssEEZZNS1_16scan_by_key_implILNS1_25lookback_scan_determinismE0ELb0ES3_N6thrust23THRUST_200600_302600_NS6detail15normal_iteratorINS9_10device_ptrIsEEEESE_SE_sNS9_4plusIsEE19head_flag_predicatesEE10hipError_tPvRmT2_T3_T4_T5_mT6_T7_P12ihipStream_tbENKUlT_T0_E_clISt17integral_constantIbLb0EESY_EEDaST_SU_EUlST_E_NS1_11comp_targetILNS1_3genE9ELNS1_11target_archE1100ELNS1_3gpuE3ELNS1_3repE0EEENS1_30default_config_static_selectorELNS0_4arch9wavefront6targetE0EEEvT1_
    .private_segment_fixed_size: 0
    .sgpr_count:     0
    .sgpr_spill_count: 0
    .symbol:         _ZN7rocprim17ROCPRIM_400000_NS6detail17trampoline_kernelINS0_14default_configENS1_27scan_by_key_config_selectorIssEEZZNS1_16scan_by_key_implILNS1_25lookback_scan_determinismE0ELb0ES3_N6thrust23THRUST_200600_302600_NS6detail15normal_iteratorINS9_10device_ptrIsEEEESE_SE_sNS9_4plusIsEE19head_flag_predicatesEE10hipError_tPvRmT2_T3_T4_T5_mT6_T7_P12ihipStream_tbENKUlT_T0_E_clISt17integral_constantIbLb0EESY_EEDaST_SU_EUlST_E_NS1_11comp_targetILNS1_3genE9ELNS1_11target_archE1100ELNS1_3gpuE3ELNS1_3repE0EEENS1_30default_config_static_selectorELNS0_4arch9wavefront6targetE0EEEvT1_.kd
    .uniform_work_group_size: 1
    .uses_dynamic_stack: false
    .vgpr_count:     0
    .vgpr_spill_count: 0
    .wavefront_size: 32
  - .args:
      - .offset:         0
        .size:           112
        .value_kind:     by_value
    .group_segment_fixed_size: 0
    .kernarg_segment_align: 8
    .kernarg_segment_size: 112
    .language:       OpenCL C
    .language_version:
      - 2
      - 0
    .max_flat_workgroup_size: 64
    .name:           _ZN7rocprim17ROCPRIM_400000_NS6detail17trampoline_kernelINS0_14default_configENS1_27scan_by_key_config_selectorIssEEZZNS1_16scan_by_key_implILNS1_25lookback_scan_determinismE0ELb0ES3_N6thrust23THRUST_200600_302600_NS6detail15normal_iteratorINS9_10device_ptrIsEEEESE_SE_sNS9_4plusIsEE19head_flag_predicatesEE10hipError_tPvRmT2_T3_T4_T5_mT6_T7_P12ihipStream_tbENKUlT_T0_E_clISt17integral_constantIbLb0EESY_EEDaST_SU_EUlST_E_NS1_11comp_targetILNS1_3genE8ELNS1_11target_archE1030ELNS1_3gpuE2ELNS1_3repE0EEENS1_30default_config_static_selectorELNS0_4arch9wavefront6targetE0EEEvT1_
    .private_segment_fixed_size: 0
    .sgpr_count:     0
    .sgpr_spill_count: 0
    .symbol:         _ZN7rocprim17ROCPRIM_400000_NS6detail17trampoline_kernelINS0_14default_configENS1_27scan_by_key_config_selectorIssEEZZNS1_16scan_by_key_implILNS1_25lookback_scan_determinismE0ELb0ES3_N6thrust23THRUST_200600_302600_NS6detail15normal_iteratorINS9_10device_ptrIsEEEESE_SE_sNS9_4plusIsEE19head_flag_predicatesEE10hipError_tPvRmT2_T3_T4_T5_mT6_T7_P12ihipStream_tbENKUlT_T0_E_clISt17integral_constantIbLb0EESY_EEDaST_SU_EUlST_E_NS1_11comp_targetILNS1_3genE8ELNS1_11target_archE1030ELNS1_3gpuE2ELNS1_3repE0EEENS1_30default_config_static_selectorELNS0_4arch9wavefront6targetE0EEEvT1_.kd
    .uniform_work_group_size: 1
    .uses_dynamic_stack: false
    .vgpr_count:     0
    .vgpr_spill_count: 0
    .wavefront_size: 32
  - .args:
      - .offset:         0
        .size:           112
        .value_kind:     by_value
    .group_segment_fixed_size: 0
    .kernarg_segment_align: 8
    .kernarg_segment_size: 112
    .language:       OpenCL C
    .language_version:
      - 2
      - 0
    .max_flat_workgroup_size: 256
    .name:           _ZN7rocprim17ROCPRIM_400000_NS6detail17trampoline_kernelINS0_14default_configENS1_27scan_by_key_config_selectorIssEEZZNS1_16scan_by_key_implILNS1_25lookback_scan_determinismE0ELb0ES3_N6thrust23THRUST_200600_302600_NS6detail15normal_iteratorINS9_10device_ptrIsEEEESE_SE_sNS9_4plusIsEE19head_flag_predicatesEE10hipError_tPvRmT2_T3_T4_T5_mT6_T7_P12ihipStream_tbENKUlT_T0_E_clISt17integral_constantIbLb1EESY_EEDaST_SU_EUlST_E_NS1_11comp_targetILNS1_3genE0ELNS1_11target_archE4294967295ELNS1_3gpuE0ELNS1_3repE0EEENS1_30default_config_static_selectorELNS0_4arch9wavefront6targetE0EEEvT1_
    .private_segment_fixed_size: 0
    .sgpr_count:     0
    .sgpr_spill_count: 0
    .symbol:         _ZN7rocprim17ROCPRIM_400000_NS6detail17trampoline_kernelINS0_14default_configENS1_27scan_by_key_config_selectorIssEEZZNS1_16scan_by_key_implILNS1_25lookback_scan_determinismE0ELb0ES3_N6thrust23THRUST_200600_302600_NS6detail15normal_iteratorINS9_10device_ptrIsEEEESE_SE_sNS9_4plusIsEE19head_flag_predicatesEE10hipError_tPvRmT2_T3_T4_T5_mT6_T7_P12ihipStream_tbENKUlT_T0_E_clISt17integral_constantIbLb1EESY_EEDaST_SU_EUlST_E_NS1_11comp_targetILNS1_3genE0ELNS1_11target_archE4294967295ELNS1_3gpuE0ELNS1_3repE0EEENS1_30default_config_static_selectorELNS0_4arch9wavefront6targetE0EEEvT1_.kd
    .uniform_work_group_size: 1
    .uses_dynamic_stack: false
    .vgpr_count:     0
    .vgpr_spill_count: 0
    .wavefront_size: 32
  - .args:
      - .offset:         0
        .size:           112
        .value_kind:     by_value
    .group_segment_fixed_size: 0
    .kernarg_segment_align: 8
    .kernarg_segment_size: 112
    .language:       OpenCL C
    .language_version:
      - 2
      - 0
    .max_flat_workgroup_size: 128
    .name:           _ZN7rocprim17ROCPRIM_400000_NS6detail17trampoline_kernelINS0_14default_configENS1_27scan_by_key_config_selectorIssEEZZNS1_16scan_by_key_implILNS1_25lookback_scan_determinismE0ELb0ES3_N6thrust23THRUST_200600_302600_NS6detail15normal_iteratorINS9_10device_ptrIsEEEESE_SE_sNS9_4plusIsEE19head_flag_predicatesEE10hipError_tPvRmT2_T3_T4_T5_mT6_T7_P12ihipStream_tbENKUlT_T0_E_clISt17integral_constantIbLb1EESY_EEDaST_SU_EUlST_E_NS1_11comp_targetILNS1_3genE10ELNS1_11target_archE1201ELNS1_3gpuE5ELNS1_3repE0EEENS1_30default_config_static_selectorELNS0_4arch9wavefront6targetE0EEEvT1_
    .private_segment_fixed_size: 0
    .sgpr_count:     0
    .sgpr_spill_count: 0
    .symbol:         _ZN7rocprim17ROCPRIM_400000_NS6detail17trampoline_kernelINS0_14default_configENS1_27scan_by_key_config_selectorIssEEZZNS1_16scan_by_key_implILNS1_25lookback_scan_determinismE0ELb0ES3_N6thrust23THRUST_200600_302600_NS6detail15normal_iteratorINS9_10device_ptrIsEEEESE_SE_sNS9_4plusIsEE19head_flag_predicatesEE10hipError_tPvRmT2_T3_T4_T5_mT6_T7_P12ihipStream_tbENKUlT_T0_E_clISt17integral_constantIbLb1EESY_EEDaST_SU_EUlST_E_NS1_11comp_targetILNS1_3genE10ELNS1_11target_archE1201ELNS1_3gpuE5ELNS1_3repE0EEENS1_30default_config_static_selectorELNS0_4arch9wavefront6targetE0EEEvT1_.kd
    .uniform_work_group_size: 1
    .uses_dynamic_stack: false
    .vgpr_count:     0
    .vgpr_spill_count: 0
    .wavefront_size: 32
  - .args:
      - .offset:         0
        .size:           112
        .value_kind:     by_value
    .group_segment_fixed_size: 0
    .kernarg_segment_align: 8
    .kernarg_segment_size: 112
    .language:       OpenCL C
    .language_version:
      - 2
      - 0
    .max_flat_workgroup_size: 256
    .name:           _ZN7rocprim17ROCPRIM_400000_NS6detail17trampoline_kernelINS0_14default_configENS1_27scan_by_key_config_selectorIssEEZZNS1_16scan_by_key_implILNS1_25lookback_scan_determinismE0ELb0ES3_N6thrust23THRUST_200600_302600_NS6detail15normal_iteratorINS9_10device_ptrIsEEEESE_SE_sNS9_4plusIsEE19head_flag_predicatesEE10hipError_tPvRmT2_T3_T4_T5_mT6_T7_P12ihipStream_tbENKUlT_T0_E_clISt17integral_constantIbLb1EESY_EEDaST_SU_EUlST_E_NS1_11comp_targetILNS1_3genE5ELNS1_11target_archE942ELNS1_3gpuE9ELNS1_3repE0EEENS1_30default_config_static_selectorELNS0_4arch9wavefront6targetE0EEEvT1_
    .private_segment_fixed_size: 0
    .sgpr_count:     0
    .sgpr_spill_count: 0
    .symbol:         _ZN7rocprim17ROCPRIM_400000_NS6detail17trampoline_kernelINS0_14default_configENS1_27scan_by_key_config_selectorIssEEZZNS1_16scan_by_key_implILNS1_25lookback_scan_determinismE0ELb0ES3_N6thrust23THRUST_200600_302600_NS6detail15normal_iteratorINS9_10device_ptrIsEEEESE_SE_sNS9_4plusIsEE19head_flag_predicatesEE10hipError_tPvRmT2_T3_T4_T5_mT6_T7_P12ihipStream_tbENKUlT_T0_E_clISt17integral_constantIbLb1EESY_EEDaST_SU_EUlST_E_NS1_11comp_targetILNS1_3genE5ELNS1_11target_archE942ELNS1_3gpuE9ELNS1_3repE0EEENS1_30default_config_static_selectorELNS0_4arch9wavefront6targetE0EEEvT1_.kd
    .uniform_work_group_size: 1
    .uses_dynamic_stack: false
    .vgpr_count:     0
    .vgpr_spill_count: 0
    .wavefront_size: 32
  - .args:
      - .offset:         0
        .size:           112
        .value_kind:     by_value
    .group_segment_fixed_size: 0
    .kernarg_segment_align: 8
    .kernarg_segment_size: 112
    .language:       OpenCL C
    .language_version:
      - 2
      - 0
    .max_flat_workgroup_size: 256
    .name:           _ZN7rocprim17ROCPRIM_400000_NS6detail17trampoline_kernelINS0_14default_configENS1_27scan_by_key_config_selectorIssEEZZNS1_16scan_by_key_implILNS1_25lookback_scan_determinismE0ELb0ES3_N6thrust23THRUST_200600_302600_NS6detail15normal_iteratorINS9_10device_ptrIsEEEESE_SE_sNS9_4plusIsEE19head_flag_predicatesEE10hipError_tPvRmT2_T3_T4_T5_mT6_T7_P12ihipStream_tbENKUlT_T0_E_clISt17integral_constantIbLb1EESY_EEDaST_SU_EUlST_E_NS1_11comp_targetILNS1_3genE4ELNS1_11target_archE910ELNS1_3gpuE8ELNS1_3repE0EEENS1_30default_config_static_selectorELNS0_4arch9wavefront6targetE0EEEvT1_
    .private_segment_fixed_size: 0
    .sgpr_count:     0
    .sgpr_spill_count: 0
    .symbol:         _ZN7rocprim17ROCPRIM_400000_NS6detail17trampoline_kernelINS0_14default_configENS1_27scan_by_key_config_selectorIssEEZZNS1_16scan_by_key_implILNS1_25lookback_scan_determinismE0ELb0ES3_N6thrust23THRUST_200600_302600_NS6detail15normal_iteratorINS9_10device_ptrIsEEEESE_SE_sNS9_4plusIsEE19head_flag_predicatesEE10hipError_tPvRmT2_T3_T4_T5_mT6_T7_P12ihipStream_tbENKUlT_T0_E_clISt17integral_constantIbLb1EESY_EEDaST_SU_EUlST_E_NS1_11comp_targetILNS1_3genE4ELNS1_11target_archE910ELNS1_3gpuE8ELNS1_3repE0EEENS1_30default_config_static_selectorELNS0_4arch9wavefront6targetE0EEEvT1_.kd
    .uniform_work_group_size: 1
    .uses_dynamic_stack: false
    .vgpr_count:     0
    .vgpr_spill_count: 0
    .wavefront_size: 32
  - .args:
      - .offset:         0
        .size:           112
        .value_kind:     by_value
    .group_segment_fixed_size: 0
    .kernarg_segment_align: 8
    .kernarg_segment_size: 112
    .language:       OpenCL C
    .language_version:
      - 2
      - 0
    .max_flat_workgroup_size: 256
    .name:           _ZN7rocprim17ROCPRIM_400000_NS6detail17trampoline_kernelINS0_14default_configENS1_27scan_by_key_config_selectorIssEEZZNS1_16scan_by_key_implILNS1_25lookback_scan_determinismE0ELb0ES3_N6thrust23THRUST_200600_302600_NS6detail15normal_iteratorINS9_10device_ptrIsEEEESE_SE_sNS9_4plusIsEE19head_flag_predicatesEE10hipError_tPvRmT2_T3_T4_T5_mT6_T7_P12ihipStream_tbENKUlT_T0_E_clISt17integral_constantIbLb1EESY_EEDaST_SU_EUlST_E_NS1_11comp_targetILNS1_3genE3ELNS1_11target_archE908ELNS1_3gpuE7ELNS1_3repE0EEENS1_30default_config_static_selectorELNS0_4arch9wavefront6targetE0EEEvT1_
    .private_segment_fixed_size: 0
    .sgpr_count:     0
    .sgpr_spill_count: 0
    .symbol:         _ZN7rocprim17ROCPRIM_400000_NS6detail17trampoline_kernelINS0_14default_configENS1_27scan_by_key_config_selectorIssEEZZNS1_16scan_by_key_implILNS1_25lookback_scan_determinismE0ELb0ES3_N6thrust23THRUST_200600_302600_NS6detail15normal_iteratorINS9_10device_ptrIsEEEESE_SE_sNS9_4plusIsEE19head_flag_predicatesEE10hipError_tPvRmT2_T3_T4_T5_mT6_T7_P12ihipStream_tbENKUlT_T0_E_clISt17integral_constantIbLb1EESY_EEDaST_SU_EUlST_E_NS1_11comp_targetILNS1_3genE3ELNS1_11target_archE908ELNS1_3gpuE7ELNS1_3repE0EEENS1_30default_config_static_selectorELNS0_4arch9wavefront6targetE0EEEvT1_.kd
    .uniform_work_group_size: 1
    .uses_dynamic_stack: false
    .vgpr_count:     0
    .vgpr_spill_count: 0
    .wavefront_size: 32
  - .args:
      - .offset:         0
        .size:           112
        .value_kind:     by_value
    .group_segment_fixed_size: 0
    .kernarg_segment_align: 8
    .kernarg_segment_size: 112
    .language:       OpenCL C
    .language_version:
      - 2
      - 0
    .max_flat_workgroup_size: 64
    .name:           _ZN7rocprim17ROCPRIM_400000_NS6detail17trampoline_kernelINS0_14default_configENS1_27scan_by_key_config_selectorIssEEZZNS1_16scan_by_key_implILNS1_25lookback_scan_determinismE0ELb0ES3_N6thrust23THRUST_200600_302600_NS6detail15normal_iteratorINS9_10device_ptrIsEEEESE_SE_sNS9_4plusIsEE19head_flag_predicatesEE10hipError_tPvRmT2_T3_T4_T5_mT6_T7_P12ihipStream_tbENKUlT_T0_E_clISt17integral_constantIbLb1EESY_EEDaST_SU_EUlST_E_NS1_11comp_targetILNS1_3genE2ELNS1_11target_archE906ELNS1_3gpuE6ELNS1_3repE0EEENS1_30default_config_static_selectorELNS0_4arch9wavefront6targetE0EEEvT1_
    .private_segment_fixed_size: 0
    .sgpr_count:     0
    .sgpr_spill_count: 0
    .symbol:         _ZN7rocprim17ROCPRIM_400000_NS6detail17trampoline_kernelINS0_14default_configENS1_27scan_by_key_config_selectorIssEEZZNS1_16scan_by_key_implILNS1_25lookback_scan_determinismE0ELb0ES3_N6thrust23THRUST_200600_302600_NS6detail15normal_iteratorINS9_10device_ptrIsEEEESE_SE_sNS9_4plusIsEE19head_flag_predicatesEE10hipError_tPvRmT2_T3_T4_T5_mT6_T7_P12ihipStream_tbENKUlT_T0_E_clISt17integral_constantIbLb1EESY_EEDaST_SU_EUlST_E_NS1_11comp_targetILNS1_3genE2ELNS1_11target_archE906ELNS1_3gpuE6ELNS1_3repE0EEENS1_30default_config_static_selectorELNS0_4arch9wavefront6targetE0EEEvT1_.kd
    .uniform_work_group_size: 1
    .uses_dynamic_stack: false
    .vgpr_count:     0
    .vgpr_spill_count: 0
    .wavefront_size: 32
  - .args:
      - .offset:         0
        .size:           112
        .value_kind:     by_value
    .group_segment_fixed_size: 0
    .kernarg_segment_align: 8
    .kernarg_segment_size: 112
    .language:       OpenCL C
    .language_version:
      - 2
      - 0
    .max_flat_workgroup_size: 256
    .name:           _ZN7rocprim17ROCPRIM_400000_NS6detail17trampoline_kernelINS0_14default_configENS1_27scan_by_key_config_selectorIssEEZZNS1_16scan_by_key_implILNS1_25lookback_scan_determinismE0ELb0ES3_N6thrust23THRUST_200600_302600_NS6detail15normal_iteratorINS9_10device_ptrIsEEEESE_SE_sNS9_4plusIsEE19head_flag_predicatesEE10hipError_tPvRmT2_T3_T4_T5_mT6_T7_P12ihipStream_tbENKUlT_T0_E_clISt17integral_constantIbLb1EESY_EEDaST_SU_EUlST_E_NS1_11comp_targetILNS1_3genE10ELNS1_11target_archE1200ELNS1_3gpuE4ELNS1_3repE0EEENS1_30default_config_static_selectorELNS0_4arch9wavefront6targetE0EEEvT1_
    .private_segment_fixed_size: 0
    .sgpr_count:     0
    .sgpr_spill_count: 0
    .symbol:         _ZN7rocprim17ROCPRIM_400000_NS6detail17trampoline_kernelINS0_14default_configENS1_27scan_by_key_config_selectorIssEEZZNS1_16scan_by_key_implILNS1_25lookback_scan_determinismE0ELb0ES3_N6thrust23THRUST_200600_302600_NS6detail15normal_iteratorINS9_10device_ptrIsEEEESE_SE_sNS9_4plusIsEE19head_flag_predicatesEE10hipError_tPvRmT2_T3_T4_T5_mT6_T7_P12ihipStream_tbENKUlT_T0_E_clISt17integral_constantIbLb1EESY_EEDaST_SU_EUlST_E_NS1_11comp_targetILNS1_3genE10ELNS1_11target_archE1200ELNS1_3gpuE4ELNS1_3repE0EEENS1_30default_config_static_selectorELNS0_4arch9wavefront6targetE0EEEvT1_.kd
    .uniform_work_group_size: 1
    .uses_dynamic_stack: false
    .vgpr_count:     0
    .vgpr_spill_count: 0
    .wavefront_size: 32
  - .args:
      - .offset:         0
        .size:           112
        .value_kind:     by_value
    .group_segment_fixed_size: 0
    .kernarg_segment_align: 8
    .kernarg_segment_size: 112
    .language:       OpenCL C
    .language_version:
      - 2
      - 0
    .max_flat_workgroup_size: 256
    .name:           _ZN7rocprim17ROCPRIM_400000_NS6detail17trampoline_kernelINS0_14default_configENS1_27scan_by_key_config_selectorIssEEZZNS1_16scan_by_key_implILNS1_25lookback_scan_determinismE0ELb0ES3_N6thrust23THRUST_200600_302600_NS6detail15normal_iteratorINS9_10device_ptrIsEEEESE_SE_sNS9_4plusIsEE19head_flag_predicatesEE10hipError_tPvRmT2_T3_T4_T5_mT6_T7_P12ihipStream_tbENKUlT_T0_E_clISt17integral_constantIbLb1EESY_EEDaST_SU_EUlST_E_NS1_11comp_targetILNS1_3genE9ELNS1_11target_archE1100ELNS1_3gpuE3ELNS1_3repE0EEENS1_30default_config_static_selectorELNS0_4arch9wavefront6targetE0EEEvT1_
    .private_segment_fixed_size: 0
    .sgpr_count:     0
    .sgpr_spill_count: 0
    .symbol:         _ZN7rocprim17ROCPRIM_400000_NS6detail17trampoline_kernelINS0_14default_configENS1_27scan_by_key_config_selectorIssEEZZNS1_16scan_by_key_implILNS1_25lookback_scan_determinismE0ELb0ES3_N6thrust23THRUST_200600_302600_NS6detail15normal_iteratorINS9_10device_ptrIsEEEESE_SE_sNS9_4plusIsEE19head_flag_predicatesEE10hipError_tPvRmT2_T3_T4_T5_mT6_T7_P12ihipStream_tbENKUlT_T0_E_clISt17integral_constantIbLb1EESY_EEDaST_SU_EUlST_E_NS1_11comp_targetILNS1_3genE9ELNS1_11target_archE1100ELNS1_3gpuE3ELNS1_3repE0EEENS1_30default_config_static_selectorELNS0_4arch9wavefront6targetE0EEEvT1_.kd
    .uniform_work_group_size: 1
    .uses_dynamic_stack: false
    .vgpr_count:     0
    .vgpr_spill_count: 0
    .wavefront_size: 32
  - .args:
      - .offset:         0
        .size:           112
        .value_kind:     by_value
    .group_segment_fixed_size: 0
    .kernarg_segment_align: 8
    .kernarg_segment_size: 112
    .language:       OpenCL C
    .language_version:
      - 2
      - 0
    .max_flat_workgroup_size: 64
    .name:           _ZN7rocprim17ROCPRIM_400000_NS6detail17trampoline_kernelINS0_14default_configENS1_27scan_by_key_config_selectorIssEEZZNS1_16scan_by_key_implILNS1_25lookback_scan_determinismE0ELb0ES3_N6thrust23THRUST_200600_302600_NS6detail15normal_iteratorINS9_10device_ptrIsEEEESE_SE_sNS9_4plusIsEE19head_flag_predicatesEE10hipError_tPvRmT2_T3_T4_T5_mT6_T7_P12ihipStream_tbENKUlT_T0_E_clISt17integral_constantIbLb1EESY_EEDaST_SU_EUlST_E_NS1_11comp_targetILNS1_3genE8ELNS1_11target_archE1030ELNS1_3gpuE2ELNS1_3repE0EEENS1_30default_config_static_selectorELNS0_4arch9wavefront6targetE0EEEvT1_
    .private_segment_fixed_size: 0
    .sgpr_count:     0
    .sgpr_spill_count: 0
    .symbol:         _ZN7rocprim17ROCPRIM_400000_NS6detail17trampoline_kernelINS0_14default_configENS1_27scan_by_key_config_selectorIssEEZZNS1_16scan_by_key_implILNS1_25lookback_scan_determinismE0ELb0ES3_N6thrust23THRUST_200600_302600_NS6detail15normal_iteratorINS9_10device_ptrIsEEEESE_SE_sNS9_4plusIsEE19head_flag_predicatesEE10hipError_tPvRmT2_T3_T4_T5_mT6_T7_P12ihipStream_tbENKUlT_T0_E_clISt17integral_constantIbLb1EESY_EEDaST_SU_EUlST_E_NS1_11comp_targetILNS1_3genE8ELNS1_11target_archE1030ELNS1_3gpuE2ELNS1_3repE0EEENS1_30default_config_static_selectorELNS0_4arch9wavefront6targetE0EEEvT1_.kd
    .uniform_work_group_size: 1
    .uses_dynamic_stack: false
    .vgpr_count:     0
    .vgpr_spill_count: 0
    .wavefront_size: 32
  - .args:
      - .offset:         0
        .size:           112
        .value_kind:     by_value
    .group_segment_fixed_size: 0
    .kernarg_segment_align: 8
    .kernarg_segment_size: 112
    .language:       OpenCL C
    .language_version:
      - 2
      - 0
    .max_flat_workgroup_size: 256
    .name:           _ZN7rocprim17ROCPRIM_400000_NS6detail17trampoline_kernelINS0_14default_configENS1_27scan_by_key_config_selectorIssEEZZNS1_16scan_by_key_implILNS1_25lookback_scan_determinismE0ELb0ES3_N6thrust23THRUST_200600_302600_NS6detail15normal_iteratorINS9_10device_ptrIsEEEESE_SE_sNS9_4plusIsEE19head_flag_predicatesEE10hipError_tPvRmT2_T3_T4_T5_mT6_T7_P12ihipStream_tbENKUlT_T0_E_clISt17integral_constantIbLb1EESX_IbLb0EEEEDaST_SU_EUlST_E_NS1_11comp_targetILNS1_3genE0ELNS1_11target_archE4294967295ELNS1_3gpuE0ELNS1_3repE0EEENS1_30default_config_static_selectorELNS0_4arch9wavefront6targetE0EEEvT1_
    .private_segment_fixed_size: 0
    .sgpr_count:     0
    .sgpr_spill_count: 0
    .symbol:         _ZN7rocprim17ROCPRIM_400000_NS6detail17trampoline_kernelINS0_14default_configENS1_27scan_by_key_config_selectorIssEEZZNS1_16scan_by_key_implILNS1_25lookback_scan_determinismE0ELb0ES3_N6thrust23THRUST_200600_302600_NS6detail15normal_iteratorINS9_10device_ptrIsEEEESE_SE_sNS9_4plusIsEE19head_flag_predicatesEE10hipError_tPvRmT2_T3_T4_T5_mT6_T7_P12ihipStream_tbENKUlT_T0_E_clISt17integral_constantIbLb1EESX_IbLb0EEEEDaST_SU_EUlST_E_NS1_11comp_targetILNS1_3genE0ELNS1_11target_archE4294967295ELNS1_3gpuE0ELNS1_3repE0EEENS1_30default_config_static_selectorELNS0_4arch9wavefront6targetE0EEEvT1_.kd
    .uniform_work_group_size: 1
    .uses_dynamic_stack: false
    .vgpr_count:     0
    .vgpr_spill_count: 0
    .wavefront_size: 32
  - .args:
      - .offset:         0
        .size:           112
        .value_kind:     by_value
    .group_segment_fixed_size: 0
    .kernarg_segment_align: 8
    .kernarg_segment_size: 112
    .language:       OpenCL C
    .language_version:
      - 2
      - 0
    .max_flat_workgroup_size: 128
    .name:           _ZN7rocprim17ROCPRIM_400000_NS6detail17trampoline_kernelINS0_14default_configENS1_27scan_by_key_config_selectorIssEEZZNS1_16scan_by_key_implILNS1_25lookback_scan_determinismE0ELb0ES3_N6thrust23THRUST_200600_302600_NS6detail15normal_iteratorINS9_10device_ptrIsEEEESE_SE_sNS9_4plusIsEE19head_flag_predicatesEE10hipError_tPvRmT2_T3_T4_T5_mT6_T7_P12ihipStream_tbENKUlT_T0_E_clISt17integral_constantIbLb1EESX_IbLb0EEEEDaST_SU_EUlST_E_NS1_11comp_targetILNS1_3genE10ELNS1_11target_archE1201ELNS1_3gpuE5ELNS1_3repE0EEENS1_30default_config_static_selectorELNS0_4arch9wavefront6targetE0EEEvT1_
    .private_segment_fixed_size: 0
    .sgpr_count:     0
    .sgpr_spill_count: 0
    .symbol:         _ZN7rocprim17ROCPRIM_400000_NS6detail17trampoline_kernelINS0_14default_configENS1_27scan_by_key_config_selectorIssEEZZNS1_16scan_by_key_implILNS1_25lookback_scan_determinismE0ELb0ES3_N6thrust23THRUST_200600_302600_NS6detail15normal_iteratorINS9_10device_ptrIsEEEESE_SE_sNS9_4plusIsEE19head_flag_predicatesEE10hipError_tPvRmT2_T3_T4_T5_mT6_T7_P12ihipStream_tbENKUlT_T0_E_clISt17integral_constantIbLb1EESX_IbLb0EEEEDaST_SU_EUlST_E_NS1_11comp_targetILNS1_3genE10ELNS1_11target_archE1201ELNS1_3gpuE5ELNS1_3repE0EEENS1_30default_config_static_selectorELNS0_4arch9wavefront6targetE0EEEvT1_.kd
    .uniform_work_group_size: 1
    .uses_dynamic_stack: false
    .vgpr_count:     0
    .vgpr_spill_count: 0
    .wavefront_size: 32
  - .args:
      - .offset:         0
        .size:           112
        .value_kind:     by_value
    .group_segment_fixed_size: 0
    .kernarg_segment_align: 8
    .kernarg_segment_size: 112
    .language:       OpenCL C
    .language_version:
      - 2
      - 0
    .max_flat_workgroup_size: 256
    .name:           _ZN7rocprim17ROCPRIM_400000_NS6detail17trampoline_kernelINS0_14default_configENS1_27scan_by_key_config_selectorIssEEZZNS1_16scan_by_key_implILNS1_25lookback_scan_determinismE0ELb0ES3_N6thrust23THRUST_200600_302600_NS6detail15normal_iteratorINS9_10device_ptrIsEEEESE_SE_sNS9_4plusIsEE19head_flag_predicatesEE10hipError_tPvRmT2_T3_T4_T5_mT6_T7_P12ihipStream_tbENKUlT_T0_E_clISt17integral_constantIbLb1EESX_IbLb0EEEEDaST_SU_EUlST_E_NS1_11comp_targetILNS1_3genE5ELNS1_11target_archE942ELNS1_3gpuE9ELNS1_3repE0EEENS1_30default_config_static_selectorELNS0_4arch9wavefront6targetE0EEEvT1_
    .private_segment_fixed_size: 0
    .sgpr_count:     0
    .sgpr_spill_count: 0
    .symbol:         _ZN7rocprim17ROCPRIM_400000_NS6detail17trampoline_kernelINS0_14default_configENS1_27scan_by_key_config_selectorIssEEZZNS1_16scan_by_key_implILNS1_25lookback_scan_determinismE0ELb0ES3_N6thrust23THRUST_200600_302600_NS6detail15normal_iteratorINS9_10device_ptrIsEEEESE_SE_sNS9_4plusIsEE19head_flag_predicatesEE10hipError_tPvRmT2_T3_T4_T5_mT6_T7_P12ihipStream_tbENKUlT_T0_E_clISt17integral_constantIbLb1EESX_IbLb0EEEEDaST_SU_EUlST_E_NS1_11comp_targetILNS1_3genE5ELNS1_11target_archE942ELNS1_3gpuE9ELNS1_3repE0EEENS1_30default_config_static_selectorELNS0_4arch9wavefront6targetE0EEEvT1_.kd
    .uniform_work_group_size: 1
    .uses_dynamic_stack: false
    .vgpr_count:     0
    .vgpr_spill_count: 0
    .wavefront_size: 32
  - .args:
      - .offset:         0
        .size:           112
        .value_kind:     by_value
    .group_segment_fixed_size: 0
    .kernarg_segment_align: 8
    .kernarg_segment_size: 112
    .language:       OpenCL C
    .language_version:
      - 2
      - 0
    .max_flat_workgroup_size: 256
    .name:           _ZN7rocprim17ROCPRIM_400000_NS6detail17trampoline_kernelINS0_14default_configENS1_27scan_by_key_config_selectorIssEEZZNS1_16scan_by_key_implILNS1_25lookback_scan_determinismE0ELb0ES3_N6thrust23THRUST_200600_302600_NS6detail15normal_iteratorINS9_10device_ptrIsEEEESE_SE_sNS9_4plusIsEE19head_flag_predicatesEE10hipError_tPvRmT2_T3_T4_T5_mT6_T7_P12ihipStream_tbENKUlT_T0_E_clISt17integral_constantIbLb1EESX_IbLb0EEEEDaST_SU_EUlST_E_NS1_11comp_targetILNS1_3genE4ELNS1_11target_archE910ELNS1_3gpuE8ELNS1_3repE0EEENS1_30default_config_static_selectorELNS0_4arch9wavefront6targetE0EEEvT1_
    .private_segment_fixed_size: 0
    .sgpr_count:     0
    .sgpr_spill_count: 0
    .symbol:         _ZN7rocprim17ROCPRIM_400000_NS6detail17trampoline_kernelINS0_14default_configENS1_27scan_by_key_config_selectorIssEEZZNS1_16scan_by_key_implILNS1_25lookback_scan_determinismE0ELb0ES3_N6thrust23THRUST_200600_302600_NS6detail15normal_iteratorINS9_10device_ptrIsEEEESE_SE_sNS9_4plusIsEE19head_flag_predicatesEE10hipError_tPvRmT2_T3_T4_T5_mT6_T7_P12ihipStream_tbENKUlT_T0_E_clISt17integral_constantIbLb1EESX_IbLb0EEEEDaST_SU_EUlST_E_NS1_11comp_targetILNS1_3genE4ELNS1_11target_archE910ELNS1_3gpuE8ELNS1_3repE0EEENS1_30default_config_static_selectorELNS0_4arch9wavefront6targetE0EEEvT1_.kd
    .uniform_work_group_size: 1
    .uses_dynamic_stack: false
    .vgpr_count:     0
    .vgpr_spill_count: 0
    .wavefront_size: 32
  - .args:
      - .offset:         0
        .size:           112
        .value_kind:     by_value
    .group_segment_fixed_size: 0
    .kernarg_segment_align: 8
    .kernarg_segment_size: 112
    .language:       OpenCL C
    .language_version:
      - 2
      - 0
    .max_flat_workgroup_size: 256
    .name:           _ZN7rocprim17ROCPRIM_400000_NS6detail17trampoline_kernelINS0_14default_configENS1_27scan_by_key_config_selectorIssEEZZNS1_16scan_by_key_implILNS1_25lookback_scan_determinismE0ELb0ES3_N6thrust23THRUST_200600_302600_NS6detail15normal_iteratorINS9_10device_ptrIsEEEESE_SE_sNS9_4plusIsEE19head_flag_predicatesEE10hipError_tPvRmT2_T3_T4_T5_mT6_T7_P12ihipStream_tbENKUlT_T0_E_clISt17integral_constantIbLb1EESX_IbLb0EEEEDaST_SU_EUlST_E_NS1_11comp_targetILNS1_3genE3ELNS1_11target_archE908ELNS1_3gpuE7ELNS1_3repE0EEENS1_30default_config_static_selectorELNS0_4arch9wavefront6targetE0EEEvT1_
    .private_segment_fixed_size: 0
    .sgpr_count:     0
    .sgpr_spill_count: 0
    .symbol:         _ZN7rocprim17ROCPRIM_400000_NS6detail17trampoline_kernelINS0_14default_configENS1_27scan_by_key_config_selectorIssEEZZNS1_16scan_by_key_implILNS1_25lookback_scan_determinismE0ELb0ES3_N6thrust23THRUST_200600_302600_NS6detail15normal_iteratorINS9_10device_ptrIsEEEESE_SE_sNS9_4plusIsEE19head_flag_predicatesEE10hipError_tPvRmT2_T3_T4_T5_mT6_T7_P12ihipStream_tbENKUlT_T0_E_clISt17integral_constantIbLb1EESX_IbLb0EEEEDaST_SU_EUlST_E_NS1_11comp_targetILNS1_3genE3ELNS1_11target_archE908ELNS1_3gpuE7ELNS1_3repE0EEENS1_30default_config_static_selectorELNS0_4arch9wavefront6targetE0EEEvT1_.kd
    .uniform_work_group_size: 1
    .uses_dynamic_stack: false
    .vgpr_count:     0
    .vgpr_spill_count: 0
    .wavefront_size: 32
  - .args:
      - .offset:         0
        .size:           112
        .value_kind:     by_value
    .group_segment_fixed_size: 0
    .kernarg_segment_align: 8
    .kernarg_segment_size: 112
    .language:       OpenCL C
    .language_version:
      - 2
      - 0
    .max_flat_workgroup_size: 64
    .name:           _ZN7rocprim17ROCPRIM_400000_NS6detail17trampoline_kernelINS0_14default_configENS1_27scan_by_key_config_selectorIssEEZZNS1_16scan_by_key_implILNS1_25lookback_scan_determinismE0ELb0ES3_N6thrust23THRUST_200600_302600_NS6detail15normal_iteratorINS9_10device_ptrIsEEEESE_SE_sNS9_4plusIsEE19head_flag_predicatesEE10hipError_tPvRmT2_T3_T4_T5_mT6_T7_P12ihipStream_tbENKUlT_T0_E_clISt17integral_constantIbLb1EESX_IbLb0EEEEDaST_SU_EUlST_E_NS1_11comp_targetILNS1_3genE2ELNS1_11target_archE906ELNS1_3gpuE6ELNS1_3repE0EEENS1_30default_config_static_selectorELNS0_4arch9wavefront6targetE0EEEvT1_
    .private_segment_fixed_size: 0
    .sgpr_count:     0
    .sgpr_spill_count: 0
    .symbol:         _ZN7rocprim17ROCPRIM_400000_NS6detail17trampoline_kernelINS0_14default_configENS1_27scan_by_key_config_selectorIssEEZZNS1_16scan_by_key_implILNS1_25lookback_scan_determinismE0ELb0ES3_N6thrust23THRUST_200600_302600_NS6detail15normal_iteratorINS9_10device_ptrIsEEEESE_SE_sNS9_4plusIsEE19head_flag_predicatesEE10hipError_tPvRmT2_T3_T4_T5_mT6_T7_P12ihipStream_tbENKUlT_T0_E_clISt17integral_constantIbLb1EESX_IbLb0EEEEDaST_SU_EUlST_E_NS1_11comp_targetILNS1_3genE2ELNS1_11target_archE906ELNS1_3gpuE6ELNS1_3repE0EEENS1_30default_config_static_selectorELNS0_4arch9wavefront6targetE0EEEvT1_.kd
    .uniform_work_group_size: 1
    .uses_dynamic_stack: false
    .vgpr_count:     0
    .vgpr_spill_count: 0
    .wavefront_size: 32
  - .args:
      - .offset:         0
        .size:           112
        .value_kind:     by_value
    .group_segment_fixed_size: 0
    .kernarg_segment_align: 8
    .kernarg_segment_size: 112
    .language:       OpenCL C
    .language_version:
      - 2
      - 0
    .max_flat_workgroup_size: 256
    .name:           _ZN7rocprim17ROCPRIM_400000_NS6detail17trampoline_kernelINS0_14default_configENS1_27scan_by_key_config_selectorIssEEZZNS1_16scan_by_key_implILNS1_25lookback_scan_determinismE0ELb0ES3_N6thrust23THRUST_200600_302600_NS6detail15normal_iteratorINS9_10device_ptrIsEEEESE_SE_sNS9_4plusIsEE19head_flag_predicatesEE10hipError_tPvRmT2_T3_T4_T5_mT6_T7_P12ihipStream_tbENKUlT_T0_E_clISt17integral_constantIbLb1EESX_IbLb0EEEEDaST_SU_EUlST_E_NS1_11comp_targetILNS1_3genE10ELNS1_11target_archE1200ELNS1_3gpuE4ELNS1_3repE0EEENS1_30default_config_static_selectorELNS0_4arch9wavefront6targetE0EEEvT1_
    .private_segment_fixed_size: 0
    .sgpr_count:     0
    .sgpr_spill_count: 0
    .symbol:         _ZN7rocprim17ROCPRIM_400000_NS6detail17trampoline_kernelINS0_14default_configENS1_27scan_by_key_config_selectorIssEEZZNS1_16scan_by_key_implILNS1_25lookback_scan_determinismE0ELb0ES3_N6thrust23THRUST_200600_302600_NS6detail15normal_iteratorINS9_10device_ptrIsEEEESE_SE_sNS9_4plusIsEE19head_flag_predicatesEE10hipError_tPvRmT2_T3_T4_T5_mT6_T7_P12ihipStream_tbENKUlT_T0_E_clISt17integral_constantIbLb1EESX_IbLb0EEEEDaST_SU_EUlST_E_NS1_11comp_targetILNS1_3genE10ELNS1_11target_archE1200ELNS1_3gpuE4ELNS1_3repE0EEENS1_30default_config_static_selectorELNS0_4arch9wavefront6targetE0EEEvT1_.kd
    .uniform_work_group_size: 1
    .uses_dynamic_stack: false
    .vgpr_count:     0
    .vgpr_spill_count: 0
    .wavefront_size: 32
  - .args:
      - .offset:         0
        .size:           112
        .value_kind:     by_value
    .group_segment_fixed_size: 0
    .kernarg_segment_align: 8
    .kernarg_segment_size: 112
    .language:       OpenCL C
    .language_version:
      - 2
      - 0
    .max_flat_workgroup_size: 256
    .name:           _ZN7rocprim17ROCPRIM_400000_NS6detail17trampoline_kernelINS0_14default_configENS1_27scan_by_key_config_selectorIssEEZZNS1_16scan_by_key_implILNS1_25lookback_scan_determinismE0ELb0ES3_N6thrust23THRUST_200600_302600_NS6detail15normal_iteratorINS9_10device_ptrIsEEEESE_SE_sNS9_4plusIsEE19head_flag_predicatesEE10hipError_tPvRmT2_T3_T4_T5_mT6_T7_P12ihipStream_tbENKUlT_T0_E_clISt17integral_constantIbLb1EESX_IbLb0EEEEDaST_SU_EUlST_E_NS1_11comp_targetILNS1_3genE9ELNS1_11target_archE1100ELNS1_3gpuE3ELNS1_3repE0EEENS1_30default_config_static_selectorELNS0_4arch9wavefront6targetE0EEEvT1_
    .private_segment_fixed_size: 0
    .sgpr_count:     0
    .sgpr_spill_count: 0
    .symbol:         _ZN7rocprim17ROCPRIM_400000_NS6detail17trampoline_kernelINS0_14default_configENS1_27scan_by_key_config_selectorIssEEZZNS1_16scan_by_key_implILNS1_25lookback_scan_determinismE0ELb0ES3_N6thrust23THRUST_200600_302600_NS6detail15normal_iteratorINS9_10device_ptrIsEEEESE_SE_sNS9_4plusIsEE19head_flag_predicatesEE10hipError_tPvRmT2_T3_T4_T5_mT6_T7_P12ihipStream_tbENKUlT_T0_E_clISt17integral_constantIbLb1EESX_IbLb0EEEEDaST_SU_EUlST_E_NS1_11comp_targetILNS1_3genE9ELNS1_11target_archE1100ELNS1_3gpuE3ELNS1_3repE0EEENS1_30default_config_static_selectorELNS0_4arch9wavefront6targetE0EEEvT1_.kd
    .uniform_work_group_size: 1
    .uses_dynamic_stack: false
    .vgpr_count:     0
    .vgpr_spill_count: 0
    .wavefront_size: 32
  - .args:
      - .offset:         0
        .size:           112
        .value_kind:     by_value
    .group_segment_fixed_size: 0
    .kernarg_segment_align: 8
    .kernarg_segment_size: 112
    .language:       OpenCL C
    .language_version:
      - 2
      - 0
    .max_flat_workgroup_size: 64
    .name:           _ZN7rocprim17ROCPRIM_400000_NS6detail17trampoline_kernelINS0_14default_configENS1_27scan_by_key_config_selectorIssEEZZNS1_16scan_by_key_implILNS1_25lookback_scan_determinismE0ELb0ES3_N6thrust23THRUST_200600_302600_NS6detail15normal_iteratorINS9_10device_ptrIsEEEESE_SE_sNS9_4plusIsEE19head_flag_predicatesEE10hipError_tPvRmT2_T3_T4_T5_mT6_T7_P12ihipStream_tbENKUlT_T0_E_clISt17integral_constantIbLb1EESX_IbLb0EEEEDaST_SU_EUlST_E_NS1_11comp_targetILNS1_3genE8ELNS1_11target_archE1030ELNS1_3gpuE2ELNS1_3repE0EEENS1_30default_config_static_selectorELNS0_4arch9wavefront6targetE0EEEvT1_
    .private_segment_fixed_size: 0
    .sgpr_count:     0
    .sgpr_spill_count: 0
    .symbol:         _ZN7rocprim17ROCPRIM_400000_NS6detail17trampoline_kernelINS0_14default_configENS1_27scan_by_key_config_selectorIssEEZZNS1_16scan_by_key_implILNS1_25lookback_scan_determinismE0ELb0ES3_N6thrust23THRUST_200600_302600_NS6detail15normal_iteratorINS9_10device_ptrIsEEEESE_SE_sNS9_4plusIsEE19head_flag_predicatesEE10hipError_tPvRmT2_T3_T4_T5_mT6_T7_P12ihipStream_tbENKUlT_T0_E_clISt17integral_constantIbLb1EESX_IbLb0EEEEDaST_SU_EUlST_E_NS1_11comp_targetILNS1_3genE8ELNS1_11target_archE1030ELNS1_3gpuE2ELNS1_3repE0EEENS1_30default_config_static_selectorELNS0_4arch9wavefront6targetE0EEEvT1_.kd
    .uniform_work_group_size: 1
    .uses_dynamic_stack: false
    .vgpr_count:     0
    .vgpr_spill_count: 0
    .wavefront_size: 32
  - .args:
      - .offset:         0
        .size:           112
        .value_kind:     by_value
    .group_segment_fixed_size: 11264
    .kernarg_segment_align: 8
    .kernarg_segment_size: 112
    .language:       OpenCL C
    .language_version:
      - 2
      - 0
    .max_flat_workgroup_size: 256
    .name:           _ZN7rocprim17ROCPRIM_400000_NS6detail17trampoline_kernelINS0_14default_configENS1_27scan_by_key_config_selectorIssEEZZNS1_16scan_by_key_implILNS1_25lookback_scan_determinismE0ELb0ES3_N6thrust23THRUST_200600_302600_NS6detail15normal_iteratorINS9_10device_ptrIsEEEESE_SE_sNS9_4plusIsEE19head_flag_predicatesEE10hipError_tPvRmT2_T3_T4_T5_mT6_T7_P12ihipStream_tbENKUlT_T0_E_clISt17integral_constantIbLb0EESX_IbLb1EEEEDaST_SU_EUlST_E_NS1_11comp_targetILNS1_3genE0ELNS1_11target_archE4294967295ELNS1_3gpuE0ELNS1_3repE0EEENS1_30default_config_static_selectorELNS0_4arch9wavefront6targetE0EEEvT1_
    .private_segment_fixed_size: 0
    .sgpr_count:     46
    .sgpr_spill_count: 0
    .symbol:         _ZN7rocprim17ROCPRIM_400000_NS6detail17trampoline_kernelINS0_14default_configENS1_27scan_by_key_config_selectorIssEEZZNS1_16scan_by_key_implILNS1_25lookback_scan_determinismE0ELb0ES3_N6thrust23THRUST_200600_302600_NS6detail15normal_iteratorINS9_10device_ptrIsEEEESE_SE_sNS9_4plusIsEE19head_flag_predicatesEE10hipError_tPvRmT2_T3_T4_T5_mT6_T7_P12ihipStream_tbENKUlT_T0_E_clISt17integral_constantIbLb0EESX_IbLb1EEEEDaST_SU_EUlST_E_NS1_11comp_targetILNS1_3genE0ELNS1_11target_archE4294967295ELNS1_3gpuE0ELNS1_3repE0EEENS1_30default_config_static_selectorELNS0_4arch9wavefront6targetE0EEEvT1_.kd
    .uniform_work_group_size: 1
    .uses_dynamic_stack: false
    .vgpr_count:     58
    .vgpr_spill_count: 0
    .wavefront_size: 32
  - .args:
      - .offset:         0
        .size:           112
        .value_kind:     by_value
    .group_segment_fixed_size: 0
    .kernarg_segment_align: 8
    .kernarg_segment_size: 112
    .language:       OpenCL C
    .language_version:
      - 2
      - 0
    .max_flat_workgroup_size: 128
    .name:           _ZN7rocprim17ROCPRIM_400000_NS6detail17trampoline_kernelINS0_14default_configENS1_27scan_by_key_config_selectorIssEEZZNS1_16scan_by_key_implILNS1_25lookback_scan_determinismE0ELb0ES3_N6thrust23THRUST_200600_302600_NS6detail15normal_iteratorINS9_10device_ptrIsEEEESE_SE_sNS9_4plusIsEE19head_flag_predicatesEE10hipError_tPvRmT2_T3_T4_T5_mT6_T7_P12ihipStream_tbENKUlT_T0_E_clISt17integral_constantIbLb0EESX_IbLb1EEEEDaST_SU_EUlST_E_NS1_11comp_targetILNS1_3genE10ELNS1_11target_archE1201ELNS1_3gpuE5ELNS1_3repE0EEENS1_30default_config_static_selectorELNS0_4arch9wavefront6targetE0EEEvT1_
    .private_segment_fixed_size: 0
    .sgpr_count:     0
    .sgpr_spill_count: 0
    .symbol:         _ZN7rocprim17ROCPRIM_400000_NS6detail17trampoline_kernelINS0_14default_configENS1_27scan_by_key_config_selectorIssEEZZNS1_16scan_by_key_implILNS1_25lookback_scan_determinismE0ELb0ES3_N6thrust23THRUST_200600_302600_NS6detail15normal_iteratorINS9_10device_ptrIsEEEESE_SE_sNS9_4plusIsEE19head_flag_predicatesEE10hipError_tPvRmT2_T3_T4_T5_mT6_T7_P12ihipStream_tbENKUlT_T0_E_clISt17integral_constantIbLb0EESX_IbLb1EEEEDaST_SU_EUlST_E_NS1_11comp_targetILNS1_3genE10ELNS1_11target_archE1201ELNS1_3gpuE5ELNS1_3repE0EEENS1_30default_config_static_selectorELNS0_4arch9wavefront6targetE0EEEvT1_.kd
    .uniform_work_group_size: 1
    .uses_dynamic_stack: false
    .vgpr_count:     0
    .vgpr_spill_count: 0
    .wavefront_size: 32
  - .args:
      - .offset:         0
        .size:           112
        .value_kind:     by_value
    .group_segment_fixed_size: 0
    .kernarg_segment_align: 8
    .kernarg_segment_size: 112
    .language:       OpenCL C
    .language_version:
      - 2
      - 0
    .max_flat_workgroup_size: 256
    .name:           _ZN7rocprim17ROCPRIM_400000_NS6detail17trampoline_kernelINS0_14default_configENS1_27scan_by_key_config_selectorIssEEZZNS1_16scan_by_key_implILNS1_25lookback_scan_determinismE0ELb0ES3_N6thrust23THRUST_200600_302600_NS6detail15normal_iteratorINS9_10device_ptrIsEEEESE_SE_sNS9_4plusIsEE19head_flag_predicatesEE10hipError_tPvRmT2_T3_T4_T5_mT6_T7_P12ihipStream_tbENKUlT_T0_E_clISt17integral_constantIbLb0EESX_IbLb1EEEEDaST_SU_EUlST_E_NS1_11comp_targetILNS1_3genE5ELNS1_11target_archE942ELNS1_3gpuE9ELNS1_3repE0EEENS1_30default_config_static_selectorELNS0_4arch9wavefront6targetE0EEEvT1_
    .private_segment_fixed_size: 0
    .sgpr_count:     0
    .sgpr_spill_count: 0
    .symbol:         _ZN7rocprim17ROCPRIM_400000_NS6detail17trampoline_kernelINS0_14default_configENS1_27scan_by_key_config_selectorIssEEZZNS1_16scan_by_key_implILNS1_25lookback_scan_determinismE0ELb0ES3_N6thrust23THRUST_200600_302600_NS6detail15normal_iteratorINS9_10device_ptrIsEEEESE_SE_sNS9_4plusIsEE19head_flag_predicatesEE10hipError_tPvRmT2_T3_T4_T5_mT6_T7_P12ihipStream_tbENKUlT_T0_E_clISt17integral_constantIbLb0EESX_IbLb1EEEEDaST_SU_EUlST_E_NS1_11comp_targetILNS1_3genE5ELNS1_11target_archE942ELNS1_3gpuE9ELNS1_3repE0EEENS1_30default_config_static_selectorELNS0_4arch9wavefront6targetE0EEEvT1_.kd
    .uniform_work_group_size: 1
    .uses_dynamic_stack: false
    .vgpr_count:     0
    .vgpr_spill_count: 0
    .wavefront_size: 32
  - .args:
      - .offset:         0
        .size:           112
        .value_kind:     by_value
    .group_segment_fixed_size: 0
    .kernarg_segment_align: 8
    .kernarg_segment_size: 112
    .language:       OpenCL C
    .language_version:
      - 2
      - 0
    .max_flat_workgroup_size: 256
    .name:           _ZN7rocprim17ROCPRIM_400000_NS6detail17trampoline_kernelINS0_14default_configENS1_27scan_by_key_config_selectorIssEEZZNS1_16scan_by_key_implILNS1_25lookback_scan_determinismE0ELb0ES3_N6thrust23THRUST_200600_302600_NS6detail15normal_iteratorINS9_10device_ptrIsEEEESE_SE_sNS9_4plusIsEE19head_flag_predicatesEE10hipError_tPvRmT2_T3_T4_T5_mT6_T7_P12ihipStream_tbENKUlT_T0_E_clISt17integral_constantIbLb0EESX_IbLb1EEEEDaST_SU_EUlST_E_NS1_11comp_targetILNS1_3genE4ELNS1_11target_archE910ELNS1_3gpuE8ELNS1_3repE0EEENS1_30default_config_static_selectorELNS0_4arch9wavefront6targetE0EEEvT1_
    .private_segment_fixed_size: 0
    .sgpr_count:     0
    .sgpr_spill_count: 0
    .symbol:         _ZN7rocprim17ROCPRIM_400000_NS6detail17trampoline_kernelINS0_14default_configENS1_27scan_by_key_config_selectorIssEEZZNS1_16scan_by_key_implILNS1_25lookback_scan_determinismE0ELb0ES3_N6thrust23THRUST_200600_302600_NS6detail15normal_iteratorINS9_10device_ptrIsEEEESE_SE_sNS9_4plusIsEE19head_flag_predicatesEE10hipError_tPvRmT2_T3_T4_T5_mT6_T7_P12ihipStream_tbENKUlT_T0_E_clISt17integral_constantIbLb0EESX_IbLb1EEEEDaST_SU_EUlST_E_NS1_11comp_targetILNS1_3genE4ELNS1_11target_archE910ELNS1_3gpuE8ELNS1_3repE0EEENS1_30default_config_static_selectorELNS0_4arch9wavefront6targetE0EEEvT1_.kd
    .uniform_work_group_size: 1
    .uses_dynamic_stack: false
    .vgpr_count:     0
    .vgpr_spill_count: 0
    .wavefront_size: 32
  - .args:
      - .offset:         0
        .size:           112
        .value_kind:     by_value
    .group_segment_fixed_size: 0
    .kernarg_segment_align: 8
    .kernarg_segment_size: 112
    .language:       OpenCL C
    .language_version:
      - 2
      - 0
    .max_flat_workgroup_size: 256
    .name:           _ZN7rocprim17ROCPRIM_400000_NS6detail17trampoline_kernelINS0_14default_configENS1_27scan_by_key_config_selectorIssEEZZNS1_16scan_by_key_implILNS1_25lookback_scan_determinismE0ELb0ES3_N6thrust23THRUST_200600_302600_NS6detail15normal_iteratorINS9_10device_ptrIsEEEESE_SE_sNS9_4plusIsEE19head_flag_predicatesEE10hipError_tPvRmT2_T3_T4_T5_mT6_T7_P12ihipStream_tbENKUlT_T0_E_clISt17integral_constantIbLb0EESX_IbLb1EEEEDaST_SU_EUlST_E_NS1_11comp_targetILNS1_3genE3ELNS1_11target_archE908ELNS1_3gpuE7ELNS1_3repE0EEENS1_30default_config_static_selectorELNS0_4arch9wavefront6targetE0EEEvT1_
    .private_segment_fixed_size: 0
    .sgpr_count:     0
    .sgpr_spill_count: 0
    .symbol:         _ZN7rocprim17ROCPRIM_400000_NS6detail17trampoline_kernelINS0_14default_configENS1_27scan_by_key_config_selectorIssEEZZNS1_16scan_by_key_implILNS1_25lookback_scan_determinismE0ELb0ES3_N6thrust23THRUST_200600_302600_NS6detail15normal_iteratorINS9_10device_ptrIsEEEESE_SE_sNS9_4plusIsEE19head_flag_predicatesEE10hipError_tPvRmT2_T3_T4_T5_mT6_T7_P12ihipStream_tbENKUlT_T0_E_clISt17integral_constantIbLb0EESX_IbLb1EEEEDaST_SU_EUlST_E_NS1_11comp_targetILNS1_3genE3ELNS1_11target_archE908ELNS1_3gpuE7ELNS1_3repE0EEENS1_30default_config_static_selectorELNS0_4arch9wavefront6targetE0EEEvT1_.kd
    .uniform_work_group_size: 1
    .uses_dynamic_stack: false
    .vgpr_count:     0
    .vgpr_spill_count: 0
    .wavefront_size: 32
  - .args:
      - .offset:         0
        .size:           112
        .value_kind:     by_value
    .group_segment_fixed_size: 0
    .kernarg_segment_align: 8
    .kernarg_segment_size: 112
    .language:       OpenCL C
    .language_version:
      - 2
      - 0
    .max_flat_workgroup_size: 64
    .name:           _ZN7rocprim17ROCPRIM_400000_NS6detail17trampoline_kernelINS0_14default_configENS1_27scan_by_key_config_selectorIssEEZZNS1_16scan_by_key_implILNS1_25lookback_scan_determinismE0ELb0ES3_N6thrust23THRUST_200600_302600_NS6detail15normal_iteratorINS9_10device_ptrIsEEEESE_SE_sNS9_4plusIsEE19head_flag_predicatesEE10hipError_tPvRmT2_T3_T4_T5_mT6_T7_P12ihipStream_tbENKUlT_T0_E_clISt17integral_constantIbLb0EESX_IbLb1EEEEDaST_SU_EUlST_E_NS1_11comp_targetILNS1_3genE2ELNS1_11target_archE906ELNS1_3gpuE6ELNS1_3repE0EEENS1_30default_config_static_selectorELNS0_4arch9wavefront6targetE0EEEvT1_
    .private_segment_fixed_size: 0
    .sgpr_count:     0
    .sgpr_spill_count: 0
    .symbol:         _ZN7rocprim17ROCPRIM_400000_NS6detail17trampoline_kernelINS0_14default_configENS1_27scan_by_key_config_selectorIssEEZZNS1_16scan_by_key_implILNS1_25lookback_scan_determinismE0ELb0ES3_N6thrust23THRUST_200600_302600_NS6detail15normal_iteratorINS9_10device_ptrIsEEEESE_SE_sNS9_4plusIsEE19head_flag_predicatesEE10hipError_tPvRmT2_T3_T4_T5_mT6_T7_P12ihipStream_tbENKUlT_T0_E_clISt17integral_constantIbLb0EESX_IbLb1EEEEDaST_SU_EUlST_E_NS1_11comp_targetILNS1_3genE2ELNS1_11target_archE906ELNS1_3gpuE6ELNS1_3repE0EEENS1_30default_config_static_selectorELNS0_4arch9wavefront6targetE0EEEvT1_.kd
    .uniform_work_group_size: 1
    .uses_dynamic_stack: false
    .vgpr_count:     0
    .vgpr_spill_count: 0
    .wavefront_size: 32
  - .args:
      - .offset:         0
        .size:           112
        .value_kind:     by_value
    .group_segment_fixed_size: 0
    .kernarg_segment_align: 8
    .kernarg_segment_size: 112
    .language:       OpenCL C
    .language_version:
      - 2
      - 0
    .max_flat_workgroup_size: 256
    .name:           _ZN7rocprim17ROCPRIM_400000_NS6detail17trampoline_kernelINS0_14default_configENS1_27scan_by_key_config_selectorIssEEZZNS1_16scan_by_key_implILNS1_25lookback_scan_determinismE0ELb0ES3_N6thrust23THRUST_200600_302600_NS6detail15normal_iteratorINS9_10device_ptrIsEEEESE_SE_sNS9_4plusIsEE19head_flag_predicatesEE10hipError_tPvRmT2_T3_T4_T5_mT6_T7_P12ihipStream_tbENKUlT_T0_E_clISt17integral_constantIbLb0EESX_IbLb1EEEEDaST_SU_EUlST_E_NS1_11comp_targetILNS1_3genE10ELNS1_11target_archE1200ELNS1_3gpuE4ELNS1_3repE0EEENS1_30default_config_static_selectorELNS0_4arch9wavefront6targetE0EEEvT1_
    .private_segment_fixed_size: 0
    .sgpr_count:     0
    .sgpr_spill_count: 0
    .symbol:         _ZN7rocprim17ROCPRIM_400000_NS6detail17trampoline_kernelINS0_14default_configENS1_27scan_by_key_config_selectorIssEEZZNS1_16scan_by_key_implILNS1_25lookback_scan_determinismE0ELb0ES3_N6thrust23THRUST_200600_302600_NS6detail15normal_iteratorINS9_10device_ptrIsEEEESE_SE_sNS9_4plusIsEE19head_flag_predicatesEE10hipError_tPvRmT2_T3_T4_T5_mT6_T7_P12ihipStream_tbENKUlT_T0_E_clISt17integral_constantIbLb0EESX_IbLb1EEEEDaST_SU_EUlST_E_NS1_11comp_targetILNS1_3genE10ELNS1_11target_archE1200ELNS1_3gpuE4ELNS1_3repE0EEENS1_30default_config_static_selectorELNS0_4arch9wavefront6targetE0EEEvT1_.kd
    .uniform_work_group_size: 1
    .uses_dynamic_stack: false
    .vgpr_count:     0
    .vgpr_spill_count: 0
    .wavefront_size: 32
  - .args:
      - .offset:         0
        .size:           112
        .value_kind:     by_value
    .group_segment_fixed_size: 0
    .kernarg_segment_align: 8
    .kernarg_segment_size: 112
    .language:       OpenCL C
    .language_version:
      - 2
      - 0
    .max_flat_workgroup_size: 256
    .name:           _ZN7rocprim17ROCPRIM_400000_NS6detail17trampoline_kernelINS0_14default_configENS1_27scan_by_key_config_selectorIssEEZZNS1_16scan_by_key_implILNS1_25lookback_scan_determinismE0ELb0ES3_N6thrust23THRUST_200600_302600_NS6detail15normal_iteratorINS9_10device_ptrIsEEEESE_SE_sNS9_4plusIsEE19head_flag_predicatesEE10hipError_tPvRmT2_T3_T4_T5_mT6_T7_P12ihipStream_tbENKUlT_T0_E_clISt17integral_constantIbLb0EESX_IbLb1EEEEDaST_SU_EUlST_E_NS1_11comp_targetILNS1_3genE9ELNS1_11target_archE1100ELNS1_3gpuE3ELNS1_3repE0EEENS1_30default_config_static_selectorELNS0_4arch9wavefront6targetE0EEEvT1_
    .private_segment_fixed_size: 0
    .sgpr_count:     0
    .sgpr_spill_count: 0
    .symbol:         _ZN7rocprim17ROCPRIM_400000_NS6detail17trampoline_kernelINS0_14default_configENS1_27scan_by_key_config_selectorIssEEZZNS1_16scan_by_key_implILNS1_25lookback_scan_determinismE0ELb0ES3_N6thrust23THRUST_200600_302600_NS6detail15normal_iteratorINS9_10device_ptrIsEEEESE_SE_sNS9_4plusIsEE19head_flag_predicatesEE10hipError_tPvRmT2_T3_T4_T5_mT6_T7_P12ihipStream_tbENKUlT_T0_E_clISt17integral_constantIbLb0EESX_IbLb1EEEEDaST_SU_EUlST_E_NS1_11comp_targetILNS1_3genE9ELNS1_11target_archE1100ELNS1_3gpuE3ELNS1_3repE0EEENS1_30default_config_static_selectorELNS0_4arch9wavefront6targetE0EEEvT1_.kd
    .uniform_work_group_size: 1
    .uses_dynamic_stack: false
    .vgpr_count:     0
    .vgpr_spill_count: 0
    .wavefront_size: 32
  - .args:
      - .offset:         0
        .size:           112
        .value_kind:     by_value
    .group_segment_fixed_size: 0
    .kernarg_segment_align: 8
    .kernarg_segment_size: 112
    .language:       OpenCL C
    .language_version:
      - 2
      - 0
    .max_flat_workgroup_size: 64
    .name:           _ZN7rocprim17ROCPRIM_400000_NS6detail17trampoline_kernelINS0_14default_configENS1_27scan_by_key_config_selectorIssEEZZNS1_16scan_by_key_implILNS1_25lookback_scan_determinismE0ELb0ES3_N6thrust23THRUST_200600_302600_NS6detail15normal_iteratorINS9_10device_ptrIsEEEESE_SE_sNS9_4plusIsEE19head_flag_predicatesEE10hipError_tPvRmT2_T3_T4_T5_mT6_T7_P12ihipStream_tbENKUlT_T0_E_clISt17integral_constantIbLb0EESX_IbLb1EEEEDaST_SU_EUlST_E_NS1_11comp_targetILNS1_3genE8ELNS1_11target_archE1030ELNS1_3gpuE2ELNS1_3repE0EEENS1_30default_config_static_selectorELNS0_4arch9wavefront6targetE0EEEvT1_
    .private_segment_fixed_size: 0
    .sgpr_count:     0
    .sgpr_spill_count: 0
    .symbol:         _ZN7rocprim17ROCPRIM_400000_NS6detail17trampoline_kernelINS0_14default_configENS1_27scan_by_key_config_selectorIssEEZZNS1_16scan_by_key_implILNS1_25lookback_scan_determinismE0ELb0ES3_N6thrust23THRUST_200600_302600_NS6detail15normal_iteratorINS9_10device_ptrIsEEEESE_SE_sNS9_4plusIsEE19head_flag_predicatesEE10hipError_tPvRmT2_T3_T4_T5_mT6_T7_P12ihipStream_tbENKUlT_T0_E_clISt17integral_constantIbLb0EESX_IbLb1EEEEDaST_SU_EUlST_E_NS1_11comp_targetILNS1_3genE8ELNS1_11target_archE1030ELNS1_3gpuE2ELNS1_3repE0EEENS1_30default_config_static_selectorELNS0_4arch9wavefront6targetE0EEEvT1_.kd
    .uniform_work_group_size: 1
    .uses_dynamic_stack: false
    .vgpr_count:     0
    .vgpr_spill_count: 0
    .wavefront_size: 32
  - .args:
      - .offset:         0
        .size:           112
        .value_kind:     by_value
    .group_segment_fixed_size: 11264
    .kernarg_segment_align: 8
    .kernarg_segment_size: 112
    .language:       OpenCL C
    .language_version:
      - 2
      - 0
    .max_flat_workgroup_size: 256
    .name:           _ZN7rocprim17ROCPRIM_400000_NS6detail17trampoline_kernelINS0_14default_configENS1_27scan_by_key_config_selectorIssEEZZNS1_16scan_by_key_implILNS1_25lookback_scan_determinismE0ELb1ES3_N6thrust23THRUST_200600_302600_NS6detail15normal_iteratorINS9_10device_ptrIsEEEESE_SE_sNS9_4plusIsEE19head_flag_predicatesEE10hipError_tPvRmT2_T3_T4_T5_mT6_T7_P12ihipStream_tbENKUlT_T0_E_clISt17integral_constantIbLb0EESY_EEDaST_SU_EUlST_E_NS1_11comp_targetILNS1_3genE0ELNS1_11target_archE4294967295ELNS1_3gpuE0ELNS1_3repE0EEENS1_30default_config_static_selectorELNS0_4arch9wavefront6targetE0EEEvT1_
    .private_segment_fixed_size: 0
    .sgpr_count:     47
    .sgpr_spill_count: 0
    .symbol:         _ZN7rocprim17ROCPRIM_400000_NS6detail17trampoline_kernelINS0_14default_configENS1_27scan_by_key_config_selectorIssEEZZNS1_16scan_by_key_implILNS1_25lookback_scan_determinismE0ELb1ES3_N6thrust23THRUST_200600_302600_NS6detail15normal_iteratorINS9_10device_ptrIsEEEESE_SE_sNS9_4plusIsEE19head_flag_predicatesEE10hipError_tPvRmT2_T3_T4_T5_mT6_T7_P12ihipStream_tbENKUlT_T0_E_clISt17integral_constantIbLb0EESY_EEDaST_SU_EUlST_E_NS1_11comp_targetILNS1_3genE0ELNS1_11target_archE4294967295ELNS1_3gpuE0ELNS1_3repE0EEENS1_30default_config_static_selectorELNS0_4arch9wavefront6targetE0EEEvT1_.kd
    .uniform_work_group_size: 1
    .uses_dynamic_stack: false
    .vgpr_count:     56
    .vgpr_spill_count: 0
    .wavefront_size: 32
  - .args:
      - .offset:         0
        .size:           112
        .value_kind:     by_value
    .group_segment_fixed_size: 0
    .kernarg_segment_align: 8
    .kernarg_segment_size: 112
    .language:       OpenCL C
    .language_version:
      - 2
      - 0
    .max_flat_workgroup_size: 128
    .name:           _ZN7rocprim17ROCPRIM_400000_NS6detail17trampoline_kernelINS0_14default_configENS1_27scan_by_key_config_selectorIssEEZZNS1_16scan_by_key_implILNS1_25lookback_scan_determinismE0ELb1ES3_N6thrust23THRUST_200600_302600_NS6detail15normal_iteratorINS9_10device_ptrIsEEEESE_SE_sNS9_4plusIsEE19head_flag_predicatesEE10hipError_tPvRmT2_T3_T4_T5_mT6_T7_P12ihipStream_tbENKUlT_T0_E_clISt17integral_constantIbLb0EESY_EEDaST_SU_EUlST_E_NS1_11comp_targetILNS1_3genE10ELNS1_11target_archE1201ELNS1_3gpuE5ELNS1_3repE0EEENS1_30default_config_static_selectorELNS0_4arch9wavefront6targetE0EEEvT1_
    .private_segment_fixed_size: 0
    .sgpr_count:     0
    .sgpr_spill_count: 0
    .symbol:         _ZN7rocprim17ROCPRIM_400000_NS6detail17trampoline_kernelINS0_14default_configENS1_27scan_by_key_config_selectorIssEEZZNS1_16scan_by_key_implILNS1_25lookback_scan_determinismE0ELb1ES3_N6thrust23THRUST_200600_302600_NS6detail15normal_iteratorINS9_10device_ptrIsEEEESE_SE_sNS9_4plusIsEE19head_flag_predicatesEE10hipError_tPvRmT2_T3_T4_T5_mT6_T7_P12ihipStream_tbENKUlT_T0_E_clISt17integral_constantIbLb0EESY_EEDaST_SU_EUlST_E_NS1_11comp_targetILNS1_3genE10ELNS1_11target_archE1201ELNS1_3gpuE5ELNS1_3repE0EEENS1_30default_config_static_selectorELNS0_4arch9wavefront6targetE0EEEvT1_.kd
    .uniform_work_group_size: 1
    .uses_dynamic_stack: false
    .vgpr_count:     0
    .vgpr_spill_count: 0
    .wavefront_size: 32
  - .args:
      - .offset:         0
        .size:           112
        .value_kind:     by_value
    .group_segment_fixed_size: 0
    .kernarg_segment_align: 8
    .kernarg_segment_size: 112
    .language:       OpenCL C
    .language_version:
      - 2
      - 0
    .max_flat_workgroup_size: 256
    .name:           _ZN7rocprim17ROCPRIM_400000_NS6detail17trampoline_kernelINS0_14default_configENS1_27scan_by_key_config_selectorIssEEZZNS1_16scan_by_key_implILNS1_25lookback_scan_determinismE0ELb1ES3_N6thrust23THRUST_200600_302600_NS6detail15normal_iteratorINS9_10device_ptrIsEEEESE_SE_sNS9_4plusIsEE19head_flag_predicatesEE10hipError_tPvRmT2_T3_T4_T5_mT6_T7_P12ihipStream_tbENKUlT_T0_E_clISt17integral_constantIbLb0EESY_EEDaST_SU_EUlST_E_NS1_11comp_targetILNS1_3genE5ELNS1_11target_archE942ELNS1_3gpuE9ELNS1_3repE0EEENS1_30default_config_static_selectorELNS0_4arch9wavefront6targetE0EEEvT1_
    .private_segment_fixed_size: 0
    .sgpr_count:     0
    .sgpr_spill_count: 0
    .symbol:         _ZN7rocprim17ROCPRIM_400000_NS6detail17trampoline_kernelINS0_14default_configENS1_27scan_by_key_config_selectorIssEEZZNS1_16scan_by_key_implILNS1_25lookback_scan_determinismE0ELb1ES3_N6thrust23THRUST_200600_302600_NS6detail15normal_iteratorINS9_10device_ptrIsEEEESE_SE_sNS9_4plusIsEE19head_flag_predicatesEE10hipError_tPvRmT2_T3_T4_T5_mT6_T7_P12ihipStream_tbENKUlT_T0_E_clISt17integral_constantIbLb0EESY_EEDaST_SU_EUlST_E_NS1_11comp_targetILNS1_3genE5ELNS1_11target_archE942ELNS1_3gpuE9ELNS1_3repE0EEENS1_30default_config_static_selectorELNS0_4arch9wavefront6targetE0EEEvT1_.kd
    .uniform_work_group_size: 1
    .uses_dynamic_stack: false
    .vgpr_count:     0
    .vgpr_spill_count: 0
    .wavefront_size: 32
  - .args:
      - .offset:         0
        .size:           112
        .value_kind:     by_value
    .group_segment_fixed_size: 0
    .kernarg_segment_align: 8
    .kernarg_segment_size: 112
    .language:       OpenCL C
    .language_version:
      - 2
      - 0
    .max_flat_workgroup_size: 256
    .name:           _ZN7rocprim17ROCPRIM_400000_NS6detail17trampoline_kernelINS0_14default_configENS1_27scan_by_key_config_selectorIssEEZZNS1_16scan_by_key_implILNS1_25lookback_scan_determinismE0ELb1ES3_N6thrust23THRUST_200600_302600_NS6detail15normal_iteratorINS9_10device_ptrIsEEEESE_SE_sNS9_4plusIsEE19head_flag_predicatesEE10hipError_tPvRmT2_T3_T4_T5_mT6_T7_P12ihipStream_tbENKUlT_T0_E_clISt17integral_constantIbLb0EESY_EEDaST_SU_EUlST_E_NS1_11comp_targetILNS1_3genE4ELNS1_11target_archE910ELNS1_3gpuE8ELNS1_3repE0EEENS1_30default_config_static_selectorELNS0_4arch9wavefront6targetE0EEEvT1_
    .private_segment_fixed_size: 0
    .sgpr_count:     0
    .sgpr_spill_count: 0
    .symbol:         _ZN7rocprim17ROCPRIM_400000_NS6detail17trampoline_kernelINS0_14default_configENS1_27scan_by_key_config_selectorIssEEZZNS1_16scan_by_key_implILNS1_25lookback_scan_determinismE0ELb1ES3_N6thrust23THRUST_200600_302600_NS6detail15normal_iteratorINS9_10device_ptrIsEEEESE_SE_sNS9_4plusIsEE19head_flag_predicatesEE10hipError_tPvRmT2_T3_T4_T5_mT6_T7_P12ihipStream_tbENKUlT_T0_E_clISt17integral_constantIbLb0EESY_EEDaST_SU_EUlST_E_NS1_11comp_targetILNS1_3genE4ELNS1_11target_archE910ELNS1_3gpuE8ELNS1_3repE0EEENS1_30default_config_static_selectorELNS0_4arch9wavefront6targetE0EEEvT1_.kd
    .uniform_work_group_size: 1
    .uses_dynamic_stack: false
    .vgpr_count:     0
    .vgpr_spill_count: 0
    .wavefront_size: 32
  - .args:
      - .offset:         0
        .size:           112
        .value_kind:     by_value
    .group_segment_fixed_size: 0
    .kernarg_segment_align: 8
    .kernarg_segment_size: 112
    .language:       OpenCL C
    .language_version:
      - 2
      - 0
    .max_flat_workgroup_size: 256
    .name:           _ZN7rocprim17ROCPRIM_400000_NS6detail17trampoline_kernelINS0_14default_configENS1_27scan_by_key_config_selectorIssEEZZNS1_16scan_by_key_implILNS1_25lookback_scan_determinismE0ELb1ES3_N6thrust23THRUST_200600_302600_NS6detail15normal_iteratorINS9_10device_ptrIsEEEESE_SE_sNS9_4plusIsEE19head_flag_predicatesEE10hipError_tPvRmT2_T3_T4_T5_mT6_T7_P12ihipStream_tbENKUlT_T0_E_clISt17integral_constantIbLb0EESY_EEDaST_SU_EUlST_E_NS1_11comp_targetILNS1_3genE3ELNS1_11target_archE908ELNS1_3gpuE7ELNS1_3repE0EEENS1_30default_config_static_selectorELNS0_4arch9wavefront6targetE0EEEvT1_
    .private_segment_fixed_size: 0
    .sgpr_count:     0
    .sgpr_spill_count: 0
    .symbol:         _ZN7rocprim17ROCPRIM_400000_NS6detail17trampoline_kernelINS0_14default_configENS1_27scan_by_key_config_selectorIssEEZZNS1_16scan_by_key_implILNS1_25lookback_scan_determinismE0ELb1ES3_N6thrust23THRUST_200600_302600_NS6detail15normal_iteratorINS9_10device_ptrIsEEEESE_SE_sNS9_4plusIsEE19head_flag_predicatesEE10hipError_tPvRmT2_T3_T4_T5_mT6_T7_P12ihipStream_tbENKUlT_T0_E_clISt17integral_constantIbLb0EESY_EEDaST_SU_EUlST_E_NS1_11comp_targetILNS1_3genE3ELNS1_11target_archE908ELNS1_3gpuE7ELNS1_3repE0EEENS1_30default_config_static_selectorELNS0_4arch9wavefront6targetE0EEEvT1_.kd
    .uniform_work_group_size: 1
    .uses_dynamic_stack: false
    .vgpr_count:     0
    .vgpr_spill_count: 0
    .wavefront_size: 32
  - .args:
      - .offset:         0
        .size:           112
        .value_kind:     by_value
    .group_segment_fixed_size: 0
    .kernarg_segment_align: 8
    .kernarg_segment_size: 112
    .language:       OpenCL C
    .language_version:
      - 2
      - 0
    .max_flat_workgroup_size: 64
    .name:           _ZN7rocprim17ROCPRIM_400000_NS6detail17trampoline_kernelINS0_14default_configENS1_27scan_by_key_config_selectorIssEEZZNS1_16scan_by_key_implILNS1_25lookback_scan_determinismE0ELb1ES3_N6thrust23THRUST_200600_302600_NS6detail15normal_iteratorINS9_10device_ptrIsEEEESE_SE_sNS9_4plusIsEE19head_flag_predicatesEE10hipError_tPvRmT2_T3_T4_T5_mT6_T7_P12ihipStream_tbENKUlT_T0_E_clISt17integral_constantIbLb0EESY_EEDaST_SU_EUlST_E_NS1_11comp_targetILNS1_3genE2ELNS1_11target_archE906ELNS1_3gpuE6ELNS1_3repE0EEENS1_30default_config_static_selectorELNS0_4arch9wavefront6targetE0EEEvT1_
    .private_segment_fixed_size: 0
    .sgpr_count:     0
    .sgpr_spill_count: 0
    .symbol:         _ZN7rocprim17ROCPRIM_400000_NS6detail17trampoline_kernelINS0_14default_configENS1_27scan_by_key_config_selectorIssEEZZNS1_16scan_by_key_implILNS1_25lookback_scan_determinismE0ELb1ES3_N6thrust23THRUST_200600_302600_NS6detail15normal_iteratorINS9_10device_ptrIsEEEESE_SE_sNS9_4plusIsEE19head_flag_predicatesEE10hipError_tPvRmT2_T3_T4_T5_mT6_T7_P12ihipStream_tbENKUlT_T0_E_clISt17integral_constantIbLb0EESY_EEDaST_SU_EUlST_E_NS1_11comp_targetILNS1_3genE2ELNS1_11target_archE906ELNS1_3gpuE6ELNS1_3repE0EEENS1_30default_config_static_selectorELNS0_4arch9wavefront6targetE0EEEvT1_.kd
    .uniform_work_group_size: 1
    .uses_dynamic_stack: false
    .vgpr_count:     0
    .vgpr_spill_count: 0
    .wavefront_size: 32
  - .args:
      - .offset:         0
        .size:           112
        .value_kind:     by_value
    .group_segment_fixed_size: 0
    .kernarg_segment_align: 8
    .kernarg_segment_size: 112
    .language:       OpenCL C
    .language_version:
      - 2
      - 0
    .max_flat_workgroup_size: 256
    .name:           _ZN7rocprim17ROCPRIM_400000_NS6detail17trampoline_kernelINS0_14default_configENS1_27scan_by_key_config_selectorIssEEZZNS1_16scan_by_key_implILNS1_25lookback_scan_determinismE0ELb1ES3_N6thrust23THRUST_200600_302600_NS6detail15normal_iteratorINS9_10device_ptrIsEEEESE_SE_sNS9_4plusIsEE19head_flag_predicatesEE10hipError_tPvRmT2_T3_T4_T5_mT6_T7_P12ihipStream_tbENKUlT_T0_E_clISt17integral_constantIbLb0EESY_EEDaST_SU_EUlST_E_NS1_11comp_targetILNS1_3genE10ELNS1_11target_archE1200ELNS1_3gpuE4ELNS1_3repE0EEENS1_30default_config_static_selectorELNS0_4arch9wavefront6targetE0EEEvT1_
    .private_segment_fixed_size: 0
    .sgpr_count:     0
    .sgpr_spill_count: 0
    .symbol:         _ZN7rocprim17ROCPRIM_400000_NS6detail17trampoline_kernelINS0_14default_configENS1_27scan_by_key_config_selectorIssEEZZNS1_16scan_by_key_implILNS1_25lookback_scan_determinismE0ELb1ES3_N6thrust23THRUST_200600_302600_NS6detail15normal_iteratorINS9_10device_ptrIsEEEESE_SE_sNS9_4plusIsEE19head_flag_predicatesEE10hipError_tPvRmT2_T3_T4_T5_mT6_T7_P12ihipStream_tbENKUlT_T0_E_clISt17integral_constantIbLb0EESY_EEDaST_SU_EUlST_E_NS1_11comp_targetILNS1_3genE10ELNS1_11target_archE1200ELNS1_3gpuE4ELNS1_3repE0EEENS1_30default_config_static_selectorELNS0_4arch9wavefront6targetE0EEEvT1_.kd
    .uniform_work_group_size: 1
    .uses_dynamic_stack: false
    .vgpr_count:     0
    .vgpr_spill_count: 0
    .wavefront_size: 32
  - .args:
      - .offset:         0
        .size:           112
        .value_kind:     by_value
    .group_segment_fixed_size: 0
    .kernarg_segment_align: 8
    .kernarg_segment_size: 112
    .language:       OpenCL C
    .language_version:
      - 2
      - 0
    .max_flat_workgroup_size: 256
    .name:           _ZN7rocprim17ROCPRIM_400000_NS6detail17trampoline_kernelINS0_14default_configENS1_27scan_by_key_config_selectorIssEEZZNS1_16scan_by_key_implILNS1_25lookback_scan_determinismE0ELb1ES3_N6thrust23THRUST_200600_302600_NS6detail15normal_iteratorINS9_10device_ptrIsEEEESE_SE_sNS9_4plusIsEE19head_flag_predicatesEE10hipError_tPvRmT2_T3_T4_T5_mT6_T7_P12ihipStream_tbENKUlT_T0_E_clISt17integral_constantIbLb0EESY_EEDaST_SU_EUlST_E_NS1_11comp_targetILNS1_3genE9ELNS1_11target_archE1100ELNS1_3gpuE3ELNS1_3repE0EEENS1_30default_config_static_selectorELNS0_4arch9wavefront6targetE0EEEvT1_
    .private_segment_fixed_size: 0
    .sgpr_count:     0
    .sgpr_spill_count: 0
    .symbol:         _ZN7rocprim17ROCPRIM_400000_NS6detail17trampoline_kernelINS0_14default_configENS1_27scan_by_key_config_selectorIssEEZZNS1_16scan_by_key_implILNS1_25lookback_scan_determinismE0ELb1ES3_N6thrust23THRUST_200600_302600_NS6detail15normal_iteratorINS9_10device_ptrIsEEEESE_SE_sNS9_4plusIsEE19head_flag_predicatesEE10hipError_tPvRmT2_T3_T4_T5_mT6_T7_P12ihipStream_tbENKUlT_T0_E_clISt17integral_constantIbLb0EESY_EEDaST_SU_EUlST_E_NS1_11comp_targetILNS1_3genE9ELNS1_11target_archE1100ELNS1_3gpuE3ELNS1_3repE0EEENS1_30default_config_static_selectorELNS0_4arch9wavefront6targetE0EEEvT1_.kd
    .uniform_work_group_size: 1
    .uses_dynamic_stack: false
    .vgpr_count:     0
    .vgpr_spill_count: 0
    .wavefront_size: 32
  - .args:
      - .offset:         0
        .size:           112
        .value_kind:     by_value
    .group_segment_fixed_size: 0
    .kernarg_segment_align: 8
    .kernarg_segment_size: 112
    .language:       OpenCL C
    .language_version:
      - 2
      - 0
    .max_flat_workgroup_size: 64
    .name:           _ZN7rocprim17ROCPRIM_400000_NS6detail17trampoline_kernelINS0_14default_configENS1_27scan_by_key_config_selectorIssEEZZNS1_16scan_by_key_implILNS1_25lookback_scan_determinismE0ELb1ES3_N6thrust23THRUST_200600_302600_NS6detail15normal_iteratorINS9_10device_ptrIsEEEESE_SE_sNS9_4plusIsEE19head_flag_predicatesEE10hipError_tPvRmT2_T3_T4_T5_mT6_T7_P12ihipStream_tbENKUlT_T0_E_clISt17integral_constantIbLb0EESY_EEDaST_SU_EUlST_E_NS1_11comp_targetILNS1_3genE8ELNS1_11target_archE1030ELNS1_3gpuE2ELNS1_3repE0EEENS1_30default_config_static_selectorELNS0_4arch9wavefront6targetE0EEEvT1_
    .private_segment_fixed_size: 0
    .sgpr_count:     0
    .sgpr_spill_count: 0
    .symbol:         _ZN7rocprim17ROCPRIM_400000_NS6detail17trampoline_kernelINS0_14default_configENS1_27scan_by_key_config_selectorIssEEZZNS1_16scan_by_key_implILNS1_25lookback_scan_determinismE0ELb1ES3_N6thrust23THRUST_200600_302600_NS6detail15normal_iteratorINS9_10device_ptrIsEEEESE_SE_sNS9_4plusIsEE19head_flag_predicatesEE10hipError_tPvRmT2_T3_T4_T5_mT6_T7_P12ihipStream_tbENKUlT_T0_E_clISt17integral_constantIbLb0EESY_EEDaST_SU_EUlST_E_NS1_11comp_targetILNS1_3genE8ELNS1_11target_archE1030ELNS1_3gpuE2ELNS1_3repE0EEENS1_30default_config_static_selectorELNS0_4arch9wavefront6targetE0EEEvT1_.kd
    .uniform_work_group_size: 1
    .uses_dynamic_stack: false
    .vgpr_count:     0
    .vgpr_spill_count: 0
    .wavefront_size: 32
  - .args:
      - .offset:         0
        .size:           112
        .value_kind:     by_value
    .group_segment_fixed_size: 0
    .kernarg_segment_align: 8
    .kernarg_segment_size: 112
    .language:       OpenCL C
    .language_version:
      - 2
      - 0
    .max_flat_workgroup_size: 256
    .name:           _ZN7rocprim17ROCPRIM_400000_NS6detail17trampoline_kernelINS0_14default_configENS1_27scan_by_key_config_selectorIssEEZZNS1_16scan_by_key_implILNS1_25lookback_scan_determinismE0ELb1ES3_N6thrust23THRUST_200600_302600_NS6detail15normal_iteratorINS9_10device_ptrIsEEEESE_SE_sNS9_4plusIsEE19head_flag_predicatesEE10hipError_tPvRmT2_T3_T4_T5_mT6_T7_P12ihipStream_tbENKUlT_T0_E_clISt17integral_constantIbLb1EESY_EEDaST_SU_EUlST_E_NS1_11comp_targetILNS1_3genE0ELNS1_11target_archE4294967295ELNS1_3gpuE0ELNS1_3repE0EEENS1_30default_config_static_selectorELNS0_4arch9wavefront6targetE0EEEvT1_
    .private_segment_fixed_size: 0
    .sgpr_count:     0
    .sgpr_spill_count: 0
    .symbol:         _ZN7rocprim17ROCPRIM_400000_NS6detail17trampoline_kernelINS0_14default_configENS1_27scan_by_key_config_selectorIssEEZZNS1_16scan_by_key_implILNS1_25lookback_scan_determinismE0ELb1ES3_N6thrust23THRUST_200600_302600_NS6detail15normal_iteratorINS9_10device_ptrIsEEEESE_SE_sNS9_4plusIsEE19head_flag_predicatesEE10hipError_tPvRmT2_T3_T4_T5_mT6_T7_P12ihipStream_tbENKUlT_T0_E_clISt17integral_constantIbLb1EESY_EEDaST_SU_EUlST_E_NS1_11comp_targetILNS1_3genE0ELNS1_11target_archE4294967295ELNS1_3gpuE0ELNS1_3repE0EEENS1_30default_config_static_selectorELNS0_4arch9wavefront6targetE0EEEvT1_.kd
    .uniform_work_group_size: 1
    .uses_dynamic_stack: false
    .vgpr_count:     0
    .vgpr_spill_count: 0
    .wavefront_size: 32
  - .args:
      - .offset:         0
        .size:           112
        .value_kind:     by_value
    .group_segment_fixed_size: 0
    .kernarg_segment_align: 8
    .kernarg_segment_size: 112
    .language:       OpenCL C
    .language_version:
      - 2
      - 0
    .max_flat_workgroup_size: 128
    .name:           _ZN7rocprim17ROCPRIM_400000_NS6detail17trampoline_kernelINS0_14default_configENS1_27scan_by_key_config_selectorIssEEZZNS1_16scan_by_key_implILNS1_25lookback_scan_determinismE0ELb1ES3_N6thrust23THRUST_200600_302600_NS6detail15normal_iteratorINS9_10device_ptrIsEEEESE_SE_sNS9_4plusIsEE19head_flag_predicatesEE10hipError_tPvRmT2_T3_T4_T5_mT6_T7_P12ihipStream_tbENKUlT_T0_E_clISt17integral_constantIbLb1EESY_EEDaST_SU_EUlST_E_NS1_11comp_targetILNS1_3genE10ELNS1_11target_archE1201ELNS1_3gpuE5ELNS1_3repE0EEENS1_30default_config_static_selectorELNS0_4arch9wavefront6targetE0EEEvT1_
    .private_segment_fixed_size: 0
    .sgpr_count:     0
    .sgpr_spill_count: 0
    .symbol:         _ZN7rocprim17ROCPRIM_400000_NS6detail17trampoline_kernelINS0_14default_configENS1_27scan_by_key_config_selectorIssEEZZNS1_16scan_by_key_implILNS1_25lookback_scan_determinismE0ELb1ES3_N6thrust23THRUST_200600_302600_NS6detail15normal_iteratorINS9_10device_ptrIsEEEESE_SE_sNS9_4plusIsEE19head_flag_predicatesEE10hipError_tPvRmT2_T3_T4_T5_mT6_T7_P12ihipStream_tbENKUlT_T0_E_clISt17integral_constantIbLb1EESY_EEDaST_SU_EUlST_E_NS1_11comp_targetILNS1_3genE10ELNS1_11target_archE1201ELNS1_3gpuE5ELNS1_3repE0EEENS1_30default_config_static_selectorELNS0_4arch9wavefront6targetE0EEEvT1_.kd
    .uniform_work_group_size: 1
    .uses_dynamic_stack: false
    .vgpr_count:     0
    .vgpr_spill_count: 0
    .wavefront_size: 32
  - .args:
      - .offset:         0
        .size:           112
        .value_kind:     by_value
    .group_segment_fixed_size: 0
    .kernarg_segment_align: 8
    .kernarg_segment_size: 112
    .language:       OpenCL C
    .language_version:
      - 2
      - 0
    .max_flat_workgroup_size: 256
    .name:           _ZN7rocprim17ROCPRIM_400000_NS6detail17trampoline_kernelINS0_14default_configENS1_27scan_by_key_config_selectorIssEEZZNS1_16scan_by_key_implILNS1_25lookback_scan_determinismE0ELb1ES3_N6thrust23THRUST_200600_302600_NS6detail15normal_iteratorINS9_10device_ptrIsEEEESE_SE_sNS9_4plusIsEE19head_flag_predicatesEE10hipError_tPvRmT2_T3_T4_T5_mT6_T7_P12ihipStream_tbENKUlT_T0_E_clISt17integral_constantIbLb1EESY_EEDaST_SU_EUlST_E_NS1_11comp_targetILNS1_3genE5ELNS1_11target_archE942ELNS1_3gpuE9ELNS1_3repE0EEENS1_30default_config_static_selectorELNS0_4arch9wavefront6targetE0EEEvT1_
    .private_segment_fixed_size: 0
    .sgpr_count:     0
    .sgpr_spill_count: 0
    .symbol:         _ZN7rocprim17ROCPRIM_400000_NS6detail17trampoline_kernelINS0_14default_configENS1_27scan_by_key_config_selectorIssEEZZNS1_16scan_by_key_implILNS1_25lookback_scan_determinismE0ELb1ES3_N6thrust23THRUST_200600_302600_NS6detail15normal_iteratorINS9_10device_ptrIsEEEESE_SE_sNS9_4plusIsEE19head_flag_predicatesEE10hipError_tPvRmT2_T3_T4_T5_mT6_T7_P12ihipStream_tbENKUlT_T0_E_clISt17integral_constantIbLb1EESY_EEDaST_SU_EUlST_E_NS1_11comp_targetILNS1_3genE5ELNS1_11target_archE942ELNS1_3gpuE9ELNS1_3repE0EEENS1_30default_config_static_selectorELNS0_4arch9wavefront6targetE0EEEvT1_.kd
    .uniform_work_group_size: 1
    .uses_dynamic_stack: false
    .vgpr_count:     0
    .vgpr_spill_count: 0
    .wavefront_size: 32
  - .args:
      - .offset:         0
        .size:           112
        .value_kind:     by_value
    .group_segment_fixed_size: 0
    .kernarg_segment_align: 8
    .kernarg_segment_size: 112
    .language:       OpenCL C
    .language_version:
      - 2
      - 0
    .max_flat_workgroup_size: 256
    .name:           _ZN7rocprim17ROCPRIM_400000_NS6detail17trampoline_kernelINS0_14default_configENS1_27scan_by_key_config_selectorIssEEZZNS1_16scan_by_key_implILNS1_25lookback_scan_determinismE0ELb1ES3_N6thrust23THRUST_200600_302600_NS6detail15normal_iteratorINS9_10device_ptrIsEEEESE_SE_sNS9_4plusIsEE19head_flag_predicatesEE10hipError_tPvRmT2_T3_T4_T5_mT6_T7_P12ihipStream_tbENKUlT_T0_E_clISt17integral_constantIbLb1EESY_EEDaST_SU_EUlST_E_NS1_11comp_targetILNS1_3genE4ELNS1_11target_archE910ELNS1_3gpuE8ELNS1_3repE0EEENS1_30default_config_static_selectorELNS0_4arch9wavefront6targetE0EEEvT1_
    .private_segment_fixed_size: 0
    .sgpr_count:     0
    .sgpr_spill_count: 0
    .symbol:         _ZN7rocprim17ROCPRIM_400000_NS6detail17trampoline_kernelINS0_14default_configENS1_27scan_by_key_config_selectorIssEEZZNS1_16scan_by_key_implILNS1_25lookback_scan_determinismE0ELb1ES3_N6thrust23THRUST_200600_302600_NS6detail15normal_iteratorINS9_10device_ptrIsEEEESE_SE_sNS9_4plusIsEE19head_flag_predicatesEE10hipError_tPvRmT2_T3_T4_T5_mT6_T7_P12ihipStream_tbENKUlT_T0_E_clISt17integral_constantIbLb1EESY_EEDaST_SU_EUlST_E_NS1_11comp_targetILNS1_3genE4ELNS1_11target_archE910ELNS1_3gpuE8ELNS1_3repE0EEENS1_30default_config_static_selectorELNS0_4arch9wavefront6targetE0EEEvT1_.kd
    .uniform_work_group_size: 1
    .uses_dynamic_stack: false
    .vgpr_count:     0
    .vgpr_spill_count: 0
    .wavefront_size: 32
  - .args:
      - .offset:         0
        .size:           112
        .value_kind:     by_value
    .group_segment_fixed_size: 0
    .kernarg_segment_align: 8
    .kernarg_segment_size: 112
    .language:       OpenCL C
    .language_version:
      - 2
      - 0
    .max_flat_workgroup_size: 256
    .name:           _ZN7rocprim17ROCPRIM_400000_NS6detail17trampoline_kernelINS0_14default_configENS1_27scan_by_key_config_selectorIssEEZZNS1_16scan_by_key_implILNS1_25lookback_scan_determinismE0ELb1ES3_N6thrust23THRUST_200600_302600_NS6detail15normal_iteratorINS9_10device_ptrIsEEEESE_SE_sNS9_4plusIsEE19head_flag_predicatesEE10hipError_tPvRmT2_T3_T4_T5_mT6_T7_P12ihipStream_tbENKUlT_T0_E_clISt17integral_constantIbLb1EESY_EEDaST_SU_EUlST_E_NS1_11comp_targetILNS1_3genE3ELNS1_11target_archE908ELNS1_3gpuE7ELNS1_3repE0EEENS1_30default_config_static_selectorELNS0_4arch9wavefront6targetE0EEEvT1_
    .private_segment_fixed_size: 0
    .sgpr_count:     0
    .sgpr_spill_count: 0
    .symbol:         _ZN7rocprim17ROCPRIM_400000_NS6detail17trampoline_kernelINS0_14default_configENS1_27scan_by_key_config_selectorIssEEZZNS1_16scan_by_key_implILNS1_25lookback_scan_determinismE0ELb1ES3_N6thrust23THRUST_200600_302600_NS6detail15normal_iteratorINS9_10device_ptrIsEEEESE_SE_sNS9_4plusIsEE19head_flag_predicatesEE10hipError_tPvRmT2_T3_T4_T5_mT6_T7_P12ihipStream_tbENKUlT_T0_E_clISt17integral_constantIbLb1EESY_EEDaST_SU_EUlST_E_NS1_11comp_targetILNS1_3genE3ELNS1_11target_archE908ELNS1_3gpuE7ELNS1_3repE0EEENS1_30default_config_static_selectorELNS0_4arch9wavefront6targetE0EEEvT1_.kd
    .uniform_work_group_size: 1
    .uses_dynamic_stack: false
    .vgpr_count:     0
    .vgpr_spill_count: 0
    .wavefront_size: 32
  - .args:
      - .offset:         0
        .size:           112
        .value_kind:     by_value
    .group_segment_fixed_size: 0
    .kernarg_segment_align: 8
    .kernarg_segment_size: 112
    .language:       OpenCL C
    .language_version:
      - 2
      - 0
    .max_flat_workgroup_size: 64
    .name:           _ZN7rocprim17ROCPRIM_400000_NS6detail17trampoline_kernelINS0_14default_configENS1_27scan_by_key_config_selectorIssEEZZNS1_16scan_by_key_implILNS1_25lookback_scan_determinismE0ELb1ES3_N6thrust23THRUST_200600_302600_NS6detail15normal_iteratorINS9_10device_ptrIsEEEESE_SE_sNS9_4plusIsEE19head_flag_predicatesEE10hipError_tPvRmT2_T3_T4_T5_mT6_T7_P12ihipStream_tbENKUlT_T0_E_clISt17integral_constantIbLb1EESY_EEDaST_SU_EUlST_E_NS1_11comp_targetILNS1_3genE2ELNS1_11target_archE906ELNS1_3gpuE6ELNS1_3repE0EEENS1_30default_config_static_selectorELNS0_4arch9wavefront6targetE0EEEvT1_
    .private_segment_fixed_size: 0
    .sgpr_count:     0
    .sgpr_spill_count: 0
    .symbol:         _ZN7rocprim17ROCPRIM_400000_NS6detail17trampoline_kernelINS0_14default_configENS1_27scan_by_key_config_selectorIssEEZZNS1_16scan_by_key_implILNS1_25lookback_scan_determinismE0ELb1ES3_N6thrust23THRUST_200600_302600_NS6detail15normal_iteratorINS9_10device_ptrIsEEEESE_SE_sNS9_4plusIsEE19head_flag_predicatesEE10hipError_tPvRmT2_T3_T4_T5_mT6_T7_P12ihipStream_tbENKUlT_T0_E_clISt17integral_constantIbLb1EESY_EEDaST_SU_EUlST_E_NS1_11comp_targetILNS1_3genE2ELNS1_11target_archE906ELNS1_3gpuE6ELNS1_3repE0EEENS1_30default_config_static_selectorELNS0_4arch9wavefront6targetE0EEEvT1_.kd
    .uniform_work_group_size: 1
    .uses_dynamic_stack: false
    .vgpr_count:     0
    .vgpr_spill_count: 0
    .wavefront_size: 32
  - .args:
      - .offset:         0
        .size:           112
        .value_kind:     by_value
    .group_segment_fixed_size: 0
    .kernarg_segment_align: 8
    .kernarg_segment_size: 112
    .language:       OpenCL C
    .language_version:
      - 2
      - 0
    .max_flat_workgroup_size: 256
    .name:           _ZN7rocprim17ROCPRIM_400000_NS6detail17trampoline_kernelINS0_14default_configENS1_27scan_by_key_config_selectorIssEEZZNS1_16scan_by_key_implILNS1_25lookback_scan_determinismE0ELb1ES3_N6thrust23THRUST_200600_302600_NS6detail15normal_iteratorINS9_10device_ptrIsEEEESE_SE_sNS9_4plusIsEE19head_flag_predicatesEE10hipError_tPvRmT2_T3_T4_T5_mT6_T7_P12ihipStream_tbENKUlT_T0_E_clISt17integral_constantIbLb1EESY_EEDaST_SU_EUlST_E_NS1_11comp_targetILNS1_3genE10ELNS1_11target_archE1200ELNS1_3gpuE4ELNS1_3repE0EEENS1_30default_config_static_selectorELNS0_4arch9wavefront6targetE0EEEvT1_
    .private_segment_fixed_size: 0
    .sgpr_count:     0
    .sgpr_spill_count: 0
    .symbol:         _ZN7rocprim17ROCPRIM_400000_NS6detail17trampoline_kernelINS0_14default_configENS1_27scan_by_key_config_selectorIssEEZZNS1_16scan_by_key_implILNS1_25lookback_scan_determinismE0ELb1ES3_N6thrust23THRUST_200600_302600_NS6detail15normal_iteratorINS9_10device_ptrIsEEEESE_SE_sNS9_4plusIsEE19head_flag_predicatesEE10hipError_tPvRmT2_T3_T4_T5_mT6_T7_P12ihipStream_tbENKUlT_T0_E_clISt17integral_constantIbLb1EESY_EEDaST_SU_EUlST_E_NS1_11comp_targetILNS1_3genE10ELNS1_11target_archE1200ELNS1_3gpuE4ELNS1_3repE0EEENS1_30default_config_static_selectorELNS0_4arch9wavefront6targetE0EEEvT1_.kd
    .uniform_work_group_size: 1
    .uses_dynamic_stack: false
    .vgpr_count:     0
    .vgpr_spill_count: 0
    .wavefront_size: 32
  - .args:
      - .offset:         0
        .size:           112
        .value_kind:     by_value
    .group_segment_fixed_size: 0
    .kernarg_segment_align: 8
    .kernarg_segment_size: 112
    .language:       OpenCL C
    .language_version:
      - 2
      - 0
    .max_flat_workgroup_size: 256
    .name:           _ZN7rocprim17ROCPRIM_400000_NS6detail17trampoline_kernelINS0_14default_configENS1_27scan_by_key_config_selectorIssEEZZNS1_16scan_by_key_implILNS1_25lookback_scan_determinismE0ELb1ES3_N6thrust23THRUST_200600_302600_NS6detail15normal_iteratorINS9_10device_ptrIsEEEESE_SE_sNS9_4plusIsEE19head_flag_predicatesEE10hipError_tPvRmT2_T3_T4_T5_mT6_T7_P12ihipStream_tbENKUlT_T0_E_clISt17integral_constantIbLb1EESY_EEDaST_SU_EUlST_E_NS1_11comp_targetILNS1_3genE9ELNS1_11target_archE1100ELNS1_3gpuE3ELNS1_3repE0EEENS1_30default_config_static_selectorELNS0_4arch9wavefront6targetE0EEEvT1_
    .private_segment_fixed_size: 0
    .sgpr_count:     0
    .sgpr_spill_count: 0
    .symbol:         _ZN7rocprim17ROCPRIM_400000_NS6detail17trampoline_kernelINS0_14default_configENS1_27scan_by_key_config_selectorIssEEZZNS1_16scan_by_key_implILNS1_25lookback_scan_determinismE0ELb1ES3_N6thrust23THRUST_200600_302600_NS6detail15normal_iteratorINS9_10device_ptrIsEEEESE_SE_sNS9_4plusIsEE19head_flag_predicatesEE10hipError_tPvRmT2_T3_T4_T5_mT6_T7_P12ihipStream_tbENKUlT_T0_E_clISt17integral_constantIbLb1EESY_EEDaST_SU_EUlST_E_NS1_11comp_targetILNS1_3genE9ELNS1_11target_archE1100ELNS1_3gpuE3ELNS1_3repE0EEENS1_30default_config_static_selectorELNS0_4arch9wavefront6targetE0EEEvT1_.kd
    .uniform_work_group_size: 1
    .uses_dynamic_stack: false
    .vgpr_count:     0
    .vgpr_spill_count: 0
    .wavefront_size: 32
  - .args:
      - .offset:         0
        .size:           112
        .value_kind:     by_value
    .group_segment_fixed_size: 0
    .kernarg_segment_align: 8
    .kernarg_segment_size: 112
    .language:       OpenCL C
    .language_version:
      - 2
      - 0
    .max_flat_workgroup_size: 64
    .name:           _ZN7rocprim17ROCPRIM_400000_NS6detail17trampoline_kernelINS0_14default_configENS1_27scan_by_key_config_selectorIssEEZZNS1_16scan_by_key_implILNS1_25lookback_scan_determinismE0ELb1ES3_N6thrust23THRUST_200600_302600_NS6detail15normal_iteratorINS9_10device_ptrIsEEEESE_SE_sNS9_4plusIsEE19head_flag_predicatesEE10hipError_tPvRmT2_T3_T4_T5_mT6_T7_P12ihipStream_tbENKUlT_T0_E_clISt17integral_constantIbLb1EESY_EEDaST_SU_EUlST_E_NS1_11comp_targetILNS1_3genE8ELNS1_11target_archE1030ELNS1_3gpuE2ELNS1_3repE0EEENS1_30default_config_static_selectorELNS0_4arch9wavefront6targetE0EEEvT1_
    .private_segment_fixed_size: 0
    .sgpr_count:     0
    .sgpr_spill_count: 0
    .symbol:         _ZN7rocprim17ROCPRIM_400000_NS6detail17trampoline_kernelINS0_14default_configENS1_27scan_by_key_config_selectorIssEEZZNS1_16scan_by_key_implILNS1_25lookback_scan_determinismE0ELb1ES3_N6thrust23THRUST_200600_302600_NS6detail15normal_iteratorINS9_10device_ptrIsEEEESE_SE_sNS9_4plusIsEE19head_flag_predicatesEE10hipError_tPvRmT2_T3_T4_T5_mT6_T7_P12ihipStream_tbENKUlT_T0_E_clISt17integral_constantIbLb1EESY_EEDaST_SU_EUlST_E_NS1_11comp_targetILNS1_3genE8ELNS1_11target_archE1030ELNS1_3gpuE2ELNS1_3repE0EEENS1_30default_config_static_selectorELNS0_4arch9wavefront6targetE0EEEvT1_.kd
    .uniform_work_group_size: 1
    .uses_dynamic_stack: false
    .vgpr_count:     0
    .vgpr_spill_count: 0
    .wavefront_size: 32
  - .args:
      - .offset:         0
        .size:           112
        .value_kind:     by_value
    .group_segment_fixed_size: 0
    .kernarg_segment_align: 8
    .kernarg_segment_size: 112
    .language:       OpenCL C
    .language_version:
      - 2
      - 0
    .max_flat_workgroup_size: 256
    .name:           _ZN7rocprim17ROCPRIM_400000_NS6detail17trampoline_kernelINS0_14default_configENS1_27scan_by_key_config_selectorIssEEZZNS1_16scan_by_key_implILNS1_25lookback_scan_determinismE0ELb1ES3_N6thrust23THRUST_200600_302600_NS6detail15normal_iteratorINS9_10device_ptrIsEEEESE_SE_sNS9_4plusIsEE19head_flag_predicatesEE10hipError_tPvRmT2_T3_T4_T5_mT6_T7_P12ihipStream_tbENKUlT_T0_E_clISt17integral_constantIbLb1EESX_IbLb0EEEEDaST_SU_EUlST_E_NS1_11comp_targetILNS1_3genE0ELNS1_11target_archE4294967295ELNS1_3gpuE0ELNS1_3repE0EEENS1_30default_config_static_selectorELNS0_4arch9wavefront6targetE0EEEvT1_
    .private_segment_fixed_size: 0
    .sgpr_count:     0
    .sgpr_spill_count: 0
    .symbol:         _ZN7rocprim17ROCPRIM_400000_NS6detail17trampoline_kernelINS0_14default_configENS1_27scan_by_key_config_selectorIssEEZZNS1_16scan_by_key_implILNS1_25lookback_scan_determinismE0ELb1ES3_N6thrust23THRUST_200600_302600_NS6detail15normal_iteratorINS9_10device_ptrIsEEEESE_SE_sNS9_4plusIsEE19head_flag_predicatesEE10hipError_tPvRmT2_T3_T4_T5_mT6_T7_P12ihipStream_tbENKUlT_T0_E_clISt17integral_constantIbLb1EESX_IbLb0EEEEDaST_SU_EUlST_E_NS1_11comp_targetILNS1_3genE0ELNS1_11target_archE4294967295ELNS1_3gpuE0ELNS1_3repE0EEENS1_30default_config_static_selectorELNS0_4arch9wavefront6targetE0EEEvT1_.kd
    .uniform_work_group_size: 1
    .uses_dynamic_stack: false
    .vgpr_count:     0
    .vgpr_spill_count: 0
    .wavefront_size: 32
  - .args:
      - .offset:         0
        .size:           112
        .value_kind:     by_value
    .group_segment_fixed_size: 0
    .kernarg_segment_align: 8
    .kernarg_segment_size: 112
    .language:       OpenCL C
    .language_version:
      - 2
      - 0
    .max_flat_workgroup_size: 128
    .name:           _ZN7rocprim17ROCPRIM_400000_NS6detail17trampoline_kernelINS0_14default_configENS1_27scan_by_key_config_selectorIssEEZZNS1_16scan_by_key_implILNS1_25lookback_scan_determinismE0ELb1ES3_N6thrust23THRUST_200600_302600_NS6detail15normal_iteratorINS9_10device_ptrIsEEEESE_SE_sNS9_4plusIsEE19head_flag_predicatesEE10hipError_tPvRmT2_T3_T4_T5_mT6_T7_P12ihipStream_tbENKUlT_T0_E_clISt17integral_constantIbLb1EESX_IbLb0EEEEDaST_SU_EUlST_E_NS1_11comp_targetILNS1_3genE10ELNS1_11target_archE1201ELNS1_3gpuE5ELNS1_3repE0EEENS1_30default_config_static_selectorELNS0_4arch9wavefront6targetE0EEEvT1_
    .private_segment_fixed_size: 0
    .sgpr_count:     0
    .sgpr_spill_count: 0
    .symbol:         _ZN7rocprim17ROCPRIM_400000_NS6detail17trampoline_kernelINS0_14default_configENS1_27scan_by_key_config_selectorIssEEZZNS1_16scan_by_key_implILNS1_25lookback_scan_determinismE0ELb1ES3_N6thrust23THRUST_200600_302600_NS6detail15normal_iteratorINS9_10device_ptrIsEEEESE_SE_sNS9_4plusIsEE19head_flag_predicatesEE10hipError_tPvRmT2_T3_T4_T5_mT6_T7_P12ihipStream_tbENKUlT_T0_E_clISt17integral_constantIbLb1EESX_IbLb0EEEEDaST_SU_EUlST_E_NS1_11comp_targetILNS1_3genE10ELNS1_11target_archE1201ELNS1_3gpuE5ELNS1_3repE0EEENS1_30default_config_static_selectorELNS0_4arch9wavefront6targetE0EEEvT1_.kd
    .uniform_work_group_size: 1
    .uses_dynamic_stack: false
    .vgpr_count:     0
    .vgpr_spill_count: 0
    .wavefront_size: 32
  - .args:
      - .offset:         0
        .size:           112
        .value_kind:     by_value
    .group_segment_fixed_size: 0
    .kernarg_segment_align: 8
    .kernarg_segment_size: 112
    .language:       OpenCL C
    .language_version:
      - 2
      - 0
    .max_flat_workgroup_size: 256
    .name:           _ZN7rocprim17ROCPRIM_400000_NS6detail17trampoline_kernelINS0_14default_configENS1_27scan_by_key_config_selectorIssEEZZNS1_16scan_by_key_implILNS1_25lookback_scan_determinismE0ELb1ES3_N6thrust23THRUST_200600_302600_NS6detail15normal_iteratorINS9_10device_ptrIsEEEESE_SE_sNS9_4plusIsEE19head_flag_predicatesEE10hipError_tPvRmT2_T3_T4_T5_mT6_T7_P12ihipStream_tbENKUlT_T0_E_clISt17integral_constantIbLb1EESX_IbLb0EEEEDaST_SU_EUlST_E_NS1_11comp_targetILNS1_3genE5ELNS1_11target_archE942ELNS1_3gpuE9ELNS1_3repE0EEENS1_30default_config_static_selectorELNS0_4arch9wavefront6targetE0EEEvT1_
    .private_segment_fixed_size: 0
    .sgpr_count:     0
    .sgpr_spill_count: 0
    .symbol:         _ZN7rocprim17ROCPRIM_400000_NS6detail17trampoline_kernelINS0_14default_configENS1_27scan_by_key_config_selectorIssEEZZNS1_16scan_by_key_implILNS1_25lookback_scan_determinismE0ELb1ES3_N6thrust23THRUST_200600_302600_NS6detail15normal_iteratorINS9_10device_ptrIsEEEESE_SE_sNS9_4plusIsEE19head_flag_predicatesEE10hipError_tPvRmT2_T3_T4_T5_mT6_T7_P12ihipStream_tbENKUlT_T0_E_clISt17integral_constantIbLb1EESX_IbLb0EEEEDaST_SU_EUlST_E_NS1_11comp_targetILNS1_3genE5ELNS1_11target_archE942ELNS1_3gpuE9ELNS1_3repE0EEENS1_30default_config_static_selectorELNS0_4arch9wavefront6targetE0EEEvT1_.kd
    .uniform_work_group_size: 1
    .uses_dynamic_stack: false
    .vgpr_count:     0
    .vgpr_spill_count: 0
    .wavefront_size: 32
  - .args:
      - .offset:         0
        .size:           112
        .value_kind:     by_value
    .group_segment_fixed_size: 0
    .kernarg_segment_align: 8
    .kernarg_segment_size: 112
    .language:       OpenCL C
    .language_version:
      - 2
      - 0
    .max_flat_workgroup_size: 256
    .name:           _ZN7rocprim17ROCPRIM_400000_NS6detail17trampoline_kernelINS0_14default_configENS1_27scan_by_key_config_selectorIssEEZZNS1_16scan_by_key_implILNS1_25lookback_scan_determinismE0ELb1ES3_N6thrust23THRUST_200600_302600_NS6detail15normal_iteratorINS9_10device_ptrIsEEEESE_SE_sNS9_4plusIsEE19head_flag_predicatesEE10hipError_tPvRmT2_T3_T4_T5_mT6_T7_P12ihipStream_tbENKUlT_T0_E_clISt17integral_constantIbLb1EESX_IbLb0EEEEDaST_SU_EUlST_E_NS1_11comp_targetILNS1_3genE4ELNS1_11target_archE910ELNS1_3gpuE8ELNS1_3repE0EEENS1_30default_config_static_selectorELNS0_4arch9wavefront6targetE0EEEvT1_
    .private_segment_fixed_size: 0
    .sgpr_count:     0
    .sgpr_spill_count: 0
    .symbol:         _ZN7rocprim17ROCPRIM_400000_NS6detail17trampoline_kernelINS0_14default_configENS1_27scan_by_key_config_selectorIssEEZZNS1_16scan_by_key_implILNS1_25lookback_scan_determinismE0ELb1ES3_N6thrust23THRUST_200600_302600_NS6detail15normal_iteratorINS9_10device_ptrIsEEEESE_SE_sNS9_4plusIsEE19head_flag_predicatesEE10hipError_tPvRmT2_T3_T4_T5_mT6_T7_P12ihipStream_tbENKUlT_T0_E_clISt17integral_constantIbLb1EESX_IbLb0EEEEDaST_SU_EUlST_E_NS1_11comp_targetILNS1_3genE4ELNS1_11target_archE910ELNS1_3gpuE8ELNS1_3repE0EEENS1_30default_config_static_selectorELNS0_4arch9wavefront6targetE0EEEvT1_.kd
    .uniform_work_group_size: 1
    .uses_dynamic_stack: false
    .vgpr_count:     0
    .vgpr_spill_count: 0
    .wavefront_size: 32
  - .args:
      - .offset:         0
        .size:           112
        .value_kind:     by_value
    .group_segment_fixed_size: 0
    .kernarg_segment_align: 8
    .kernarg_segment_size: 112
    .language:       OpenCL C
    .language_version:
      - 2
      - 0
    .max_flat_workgroup_size: 256
    .name:           _ZN7rocprim17ROCPRIM_400000_NS6detail17trampoline_kernelINS0_14default_configENS1_27scan_by_key_config_selectorIssEEZZNS1_16scan_by_key_implILNS1_25lookback_scan_determinismE0ELb1ES3_N6thrust23THRUST_200600_302600_NS6detail15normal_iteratorINS9_10device_ptrIsEEEESE_SE_sNS9_4plusIsEE19head_flag_predicatesEE10hipError_tPvRmT2_T3_T4_T5_mT6_T7_P12ihipStream_tbENKUlT_T0_E_clISt17integral_constantIbLb1EESX_IbLb0EEEEDaST_SU_EUlST_E_NS1_11comp_targetILNS1_3genE3ELNS1_11target_archE908ELNS1_3gpuE7ELNS1_3repE0EEENS1_30default_config_static_selectorELNS0_4arch9wavefront6targetE0EEEvT1_
    .private_segment_fixed_size: 0
    .sgpr_count:     0
    .sgpr_spill_count: 0
    .symbol:         _ZN7rocprim17ROCPRIM_400000_NS6detail17trampoline_kernelINS0_14default_configENS1_27scan_by_key_config_selectorIssEEZZNS1_16scan_by_key_implILNS1_25lookback_scan_determinismE0ELb1ES3_N6thrust23THRUST_200600_302600_NS6detail15normal_iteratorINS9_10device_ptrIsEEEESE_SE_sNS9_4plusIsEE19head_flag_predicatesEE10hipError_tPvRmT2_T3_T4_T5_mT6_T7_P12ihipStream_tbENKUlT_T0_E_clISt17integral_constantIbLb1EESX_IbLb0EEEEDaST_SU_EUlST_E_NS1_11comp_targetILNS1_3genE3ELNS1_11target_archE908ELNS1_3gpuE7ELNS1_3repE0EEENS1_30default_config_static_selectorELNS0_4arch9wavefront6targetE0EEEvT1_.kd
    .uniform_work_group_size: 1
    .uses_dynamic_stack: false
    .vgpr_count:     0
    .vgpr_spill_count: 0
    .wavefront_size: 32
  - .args:
      - .offset:         0
        .size:           112
        .value_kind:     by_value
    .group_segment_fixed_size: 0
    .kernarg_segment_align: 8
    .kernarg_segment_size: 112
    .language:       OpenCL C
    .language_version:
      - 2
      - 0
    .max_flat_workgroup_size: 64
    .name:           _ZN7rocprim17ROCPRIM_400000_NS6detail17trampoline_kernelINS0_14default_configENS1_27scan_by_key_config_selectorIssEEZZNS1_16scan_by_key_implILNS1_25lookback_scan_determinismE0ELb1ES3_N6thrust23THRUST_200600_302600_NS6detail15normal_iteratorINS9_10device_ptrIsEEEESE_SE_sNS9_4plusIsEE19head_flag_predicatesEE10hipError_tPvRmT2_T3_T4_T5_mT6_T7_P12ihipStream_tbENKUlT_T0_E_clISt17integral_constantIbLb1EESX_IbLb0EEEEDaST_SU_EUlST_E_NS1_11comp_targetILNS1_3genE2ELNS1_11target_archE906ELNS1_3gpuE6ELNS1_3repE0EEENS1_30default_config_static_selectorELNS0_4arch9wavefront6targetE0EEEvT1_
    .private_segment_fixed_size: 0
    .sgpr_count:     0
    .sgpr_spill_count: 0
    .symbol:         _ZN7rocprim17ROCPRIM_400000_NS6detail17trampoline_kernelINS0_14default_configENS1_27scan_by_key_config_selectorIssEEZZNS1_16scan_by_key_implILNS1_25lookback_scan_determinismE0ELb1ES3_N6thrust23THRUST_200600_302600_NS6detail15normal_iteratorINS9_10device_ptrIsEEEESE_SE_sNS9_4plusIsEE19head_flag_predicatesEE10hipError_tPvRmT2_T3_T4_T5_mT6_T7_P12ihipStream_tbENKUlT_T0_E_clISt17integral_constantIbLb1EESX_IbLb0EEEEDaST_SU_EUlST_E_NS1_11comp_targetILNS1_3genE2ELNS1_11target_archE906ELNS1_3gpuE6ELNS1_3repE0EEENS1_30default_config_static_selectorELNS0_4arch9wavefront6targetE0EEEvT1_.kd
    .uniform_work_group_size: 1
    .uses_dynamic_stack: false
    .vgpr_count:     0
    .vgpr_spill_count: 0
    .wavefront_size: 32
  - .args:
      - .offset:         0
        .size:           112
        .value_kind:     by_value
    .group_segment_fixed_size: 0
    .kernarg_segment_align: 8
    .kernarg_segment_size: 112
    .language:       OpenCL C
    .language_version:
      - 2
      - 0
    .max_flat_workgroup_size: 256
    .name:           _ZN7rocprim17ROCPRIM_400000_NS6detail17trampoline_kernelINS0_14default_configENS1_27scan_by_key_config_selectorIssEEZZNS1_16scan_by_key_implILNS1_25lookback_scan_determinismE0ELb1ES3_N6thrust23THRUST_200600_302600_NS6detail15normal_iteratorINS9_10device_ptrIsEEEESE_SE_sNS9_4plusIsEE19head_flag_predicatesEE10hipError_tPvRmT2_T3_T4_T5_mT6_T7_P12ihipStream_tbENKUlT_T0_E_clISt17integral_constantIbLb1EESX_IbLb0EEEEDaST_SU_EUlST_E_NS1_11comp_targetILNS1_3genE10ELNS1_11target_archE1200ELNS1_3gpuE4ELNS1_3repE0EEENS1_30default_config_static_selectorELNS0_4arch9wavefront6targetE0EEEvT1_
    .private_segment_fixed_size: 0
    .sgpr_count:     0
    .sgpr_spill_count: 0
    .symbol:         _ZN7rocprim17ROCPRIM_400000_NS6detail17trampoline_kernelINS0_14default_configENS1_27scan_by_key_config_selectorIssEEZZNS1_16scan_by_key_implILNS1_25lookback_scan_determinismE0ELb1ES3_N6thrust23THRUST_200600_302600_NS6detail15normal_iteratorINS9_10device_ptrIsEEEESE_SE_sNS9_4plusIsEE19head_flag_predicatesEE10hipError_tPvRmT2_T3_T4_T5_mT6_T7_P12ihipStream_tbENKUlT_T0_E_clISt17integral_constantIbLb1EESX_IbLb0EEEEDaST_SU_EUlST_E_NS1_11comp_targetILNS1_3genE10ELNS1_11target_archE1200ELNS1_3gpuE4ELNS1_3repE0EEENS1_30default_config_static_selectorELNS0_4arch9wavefront6targetE0EEEvT1_.kd
    .uniform_work_group_size: 1
    .uses_dynamic_stack: false
    .vgpr_count:     0
    .vgpr_spill_count: 0
    .wavefront_size: 32
  - .args:
      - .offset:         0
        .size:           112
        .value_kind:     by_value
    .group_segment_fixed_size: 0
    .kernarg_segment_align: 8
    .kernarg_segment_size: 112
    .language:       OpenCL C
    .language_version:
      - 2
      - 0
    .max_flat_workgroup_size: 256
    .name:           _ZN7rocprim17ROCPRIM_400000_NS6detail17trampoline_kernelINS0_14default_configENS1_27scan_by_key_config_selectorIssEEZZNS1_16scan_by_key_implILNS1_25lookback_scan_determinismE0ELb1ES3_N6thrust23THRUST_200600_302600_NS6detail15normal_iteratorINS9_10device_ptrIsEEEESE_SE_sNS9_4plusIsEE19head_flag_predicatesEE10hipError_tPvRmT2_T3_T4_T5_mT6_T7_P12ihipStream_tbENKUlT_T0_E_clISt17integral_constantIbLb1EESX_IbLb0EEEEDaST_SU_EUlST_E_NS1_11comp_targetILNS1_3genE9ELNS1_11target_archE1100ELNS1_3gpuE3ELNS1_3repE0EEENS1_30default_config_static_selectorELNS0_4arch9wavefront6targetE0EEEvT1_
    .private_segment_fixed_size: 0
    .sgpr_count:     0
    .sgpr_spill_count: 0
    .symbol:         _ZN7rocprim17ROCPRIM_400000_NS6detail17trampoline_kernelINS0_14default_configENS1_27scan_by_key_config_selectorIssEEZZNS1_16scan_by_key_implILNS1_25lookback_scan_determinismE0ELb1ES3_N6thrust23THRUST_200600_302600_NS6detail15normal_iteratorINS9_10device_ptrIsEEEESE_SE_sNS9_4plusIsEE19head_flag_predicatesEE10hipError_tPvRmT2_T3_T4_T5_mT6_T7_P12ihipStream_tbENKUlT_T0_E_clISt17integral_constantIbLb1EESX_IbLb0EEEEDaST_SU_EUlST_E_NS1_11comp_targetILNS1_3genE9ELNS1_11target_archE1100ELNS1_3gpuE3ELNS1_3repE0EEENS1_30default_config_static_selectorELNS0_4arch9wavefront6targetE0EEEvT1_.kd
    .uniform_work_group_size: 1
    .uses_dynamic_stack: false
    .vgpr_count:     0
    .vgpr_spill_count: 0
    .wavefront_size: 32
  - .args:
      - .offset:         0
        .size:           112
        .value_kind:     by_value
    .group_segment_fixed_size: 0
    .kernarg_segment_align: 8
    .kernarg_segment_size: 112
    .language:       OpenCL C
    .language_version:
      - 2
      - 0
    .max_flat_workgroup_size: 64
    .name:           _ZN7rocprim17ROCPRIM_400000_NS6detail17trampoline_kernelINS0_14default_configENS1_27scan_by_key_config_selectorIssEEZZNS1_16scan_by_key_implILNS1_25lookback_scan_determinismE0ELb1ES3_N6thrust23THRUST_200600_302600_NS6detail15normal_iteratorINS9_10device_ptrIsEEEESE_SE_sNS9_4plusIsEE19head_flag_predicatesEE10hipError_tPvRmT2_T3_T4_T5_mT6_T7_P12ihipStream_tbENKUlT_T0_E_clISt17integral_constantIbLb1EESX_IbLb0EEEEDaST_SU_EUlST_E_NS1_11comp_targetILNS1_3genE8ELNS1_11target_archE1030ELNS1_3gpuE2ELNS1_3repE0EEENS1_30default_config_static_selectorELNS0_4arch9wavefront6targetE0EEEvT1_
    .private_segment_fixed_size: 0
    .sgpr_count:     0
    .sgpr_spill_count: 0
    .symbol:         _ZN7rocprim17ROCPRIM_400000_NS6detail17trampoline_kernelINS0_14default_configENS1_27scan_by_key_config_selectorIssEEZZNS1_16scan_by_key_implILNS1_25lookback_scan_determinismE0ELb1ES3_N6thrust23THRUST_200600_302600_NS6detail15normal_iteratorINS9_10device_ptrIsEEEESE_SE_sNS9_4plusIsEE19head_flag_predicatesEE10hipError_tPvRmT2_T3_T4_T5_mT6_T7_P12ihipStream_tbENKUlT_T0_E_clISt17integral_constantIbLb1EESX_IbLb0EEEEDaST_SU_EUlST_E_NS1_11comp_targetILNS1_3genE8ELNS1_11target_archE1030ELNS1_3gpuE2ELNS1_3repE0EEENS1_30default_config_static_selectorELNS0_4arch9wavefront6targetE0EEEvT1_.kd
    .uniform_work_group_size: 1
    .uses_dynamic_stack: false
    .vgpr_count:     0
    .vgpr_spill_count: 0
    .wavefront_size: 32
  - .args:
      - .offset:         0
        .size:           112
        .value_kind:     by_value
    .group_segment_fixed_size: 11264
    .kernarg_segment_align: 8
    .kernarg_segment_size: 112
    .language:       OpenCL C
    .language_version:
      - 2
      - 0
    .max_flat_workgroup_size: 256
    .name:           _ZN7rocprim17ROCPRIM_400000_NS6detail17trampoline_kernelINS0_14default_configENS1_27scan_by_key_config_selectorIssEEZZNS1_16scan_by_key_implILNS1_25lookback_scan_determinismE0ELb1ES3_N6thrust23THRUST_200600_302600_NS6detail15normal_iteratorINS9_10device_ptrIsEEEESE_SE_sNS9_4plusIsEE19head_flag_predicatesEE10hipError_tPvRmT2_T3_T4_T5_mT6_T7_P12ihipStream_tbENKUlT_T0_E_clISt17integral_constantIbLb0EESX_IbLb1EEEEDaST_SU_EUlST_E_NS1_11comp_targetILNS1_3genE0ELNS1_11target_archE4294967295ELNS1_3gpuE0ELNS1_3repE0EEENS1_30default_config_static_selectorELNS0_4arch9wavefront6targetE0EEEvT1_
    .private_segment_fixed_size: 0
    .sgpr_count:     48
    .sgpr_spill_count: 0
    .symbol:         _ZN7rocprim17ROCPRIM_400000_NS6detail17trampoline_kernelINS0_14default_configENS1_27scan_by_key_config_selectorIssEEZZNS1_16scan_by_key_implILNS1_25lookback_scan_determinismE0ELb1ES3_N6thrust23THRUST_200600_302600_NS6detail15normal_iteratorINS9_10device_ptrIsEEEESE_SE_sNS9_4plusIsEE19head_flag_predicatesEE10hipError_tPvRmT2_T3_T4_T5_mT6_T7_P12ihipStream_tbENKUlT_T0_E_clISt17integral_constantIbLb0EESX_IbLb1EEEEDaST_SU_EUlST_E_NS1_11comp_targetILNS1_3genE0ELNS1_11target_archE4294967295ELNS1_3gpuE0ELNS1_3repE0EEENS1_30default_config_static_selectorELNS0_4arch9wavefront6targetE0EEEvT1_.kd
    .uniform_work_group_size: 1
    .uses_dynamic_stack: false
    .vgpr_count:     57
    .vgpr_spill_count: 0
    .wavefront_size: 32
  - .args:
      - .offset:         0
        .size:           112
        .value_kind:     by_value
    .group_segment_fixed_size: 0
    .kernarg_segment_align: 8
    .kernarg_segment_size: 112
    .language:       OpenCL C
    .language_version:
      - 2
      - 0
    .max_flat_workgroup_size: 128
    .name:           _ZN7rocprim17ROCPRIM_400000_NS6detail17trampoline_kernelINS0_14default_configENS1_27scan_by_key_config_selectorIssEEZZNS1_16scan_by_key_implILNS1_25lookback_scan_determinismE0ELb1ES3_N6thrust23THRUST_200600_302600_NS6detail15normal_iteratorINS9_10device_ptrIsEEEESE_SE_sNS9_4plusIsEE19head_flag_predicatesEE10hipError_tPvRmT2_T3_T4_T5_mT6_T7_P12ihipStream_tbENKUlT_T0_E_clISt17integral_constantIbLb0EESX_IbLb1EEEEDaST_SU_EUlST_E_NS1_11comp_targetILNS1_3genE10ELNS1_11target_archE1201ELNS1_3gpuE5ELNS1_3repE0EEENS1_30default_config_static_selectorELNS0_4arch9wavefront6targetE0EEEvT1_
    .private_segment_fixed_size: 0
    .sgpr_count:     0
    .sgpr_spill_count: 0
    .symbol:         _ZN7rocprim17ROCPRIM_400000_NS6detail17trampoline_kernelINS0_14default_configENS1_27scan_by_key_config_selectorIssEEZZNS1_16scan_by_key_implILNS1_25lookback_scan_determinismE0ELb1ES3_N6thrust23THRUST_200600_302600_NS6detail15normal_iteratorINS9_10device_ptrIsEEEESE_SE_sNS9_4plusIsEE19head_flag_predicatesEE10hipError_tPvRmT2_T3_T4_T5_mT6_T7_P12ihipStream_tbENKUlT_T0_E_clISt17integral_constantIbLb0EESX_IbLb1EEEEDaST_SU_EUlST_E_NS1_11comp_targetILNS1_3genE10ELNS1_11target_archE1201ELNS1_3gpuE5ELNS1_3repE0EEENS1_30default_config_static_selectorELNS0_4arch9wavefront6targetE0EEEvT1_.kd
    .uniform_work_group_size: 1
    .uses_dynamic_stack: false
    .vgpr_count:     0
    .vgpr_spill_count: 0
    .wavefront_size: 32
  - .args:
      - .offset:         0
        .size:           112
        .value_kind:     by_value
    .group_segment_fixed_size: 0
    .kernarg_segment_align: 8
    .kernarg_segment_size: 112
    .language:       OpenCL C
    .language_version:
      - 2
      - 0
    .max_flat_workgroup_size: 256
    .name:           _ZN7rocprim17ROCPRIM_400000_NS6detail17trampoline_kernelINS0_14default_configENS1_27scan_by_key_config_selectorIssEEZZNS1_16scan_by_key_implILNS1_25lookback_scan_determinismE0ELb1ES3_N6thrust23THRUST_200600_302600_NS6detail15normal_iteratorINS9_10device_ptrIsEEEESE_SE_sNS9_4plusIsEE19head_flag_predicatesEE10hipError_tPvRmT2_T3_T4_T5_mT6_T7_P12ihipStream_tbENKUlT_T0_E_clISt17integral_constantIbLb0EESX_IbLb1EEEEDaST_SU_EUlST_E_NS1_11comp_targetILNS1_3genE5ELNS1_11target_archE942ELNS1_3gpuE9ELNS1_3repE0EEENS1_30default_config_static_selectorELNS0_4arch9wavefront6targetE0EEEvT1_
    .private_segment_fixed_size: 0
    .sgpr_count:     0
    .sgpr_spill_count: 0
    .symbol:         _ZN7rocprim17ROCPRIM_400000_NS6detail17trampoline_kernelINS0_14default_configENS1_27scan_by_key_config_selectorIssEEZZNS1_16scan_by_key_implILNS1_25lookback_scan_determinismE0ELb1ES3_N6thrust23THRUST_200600_302600_NS6detail15normal_iteratorINS9_10device_ptrIsEEEESE_SE_sNS9_4plusIsEE19head_flag_predicatesEE10hipError_tPvRmT2_T3_T4_T5_mT6_T7_P12ihipStream_tbENKUlT_T0_E_clISt17integral_constantIbLb0EESX_IbLb1EEEEDaST_SU_EUlST_E_NS1_11comp_targetILNS1_3genE5ELNS1_11target_archE942ELNS1_3gpuE9ELNS1_3repE0EEENS1_30default_config_static_selectorELNS0_4arch9wavefront6targetE0EEEvT1_.kd
    .uniform_work_group_size: 1
    .uses_dynamic_stack: false
    .vgpr_count:     0
    .vgpr_spill_count: 0
    .wavefront_size: 32
  - .args:
      - .offset:         0
        .size:           112
        .value_kind:     by_value
    .group_segment_fixed_size: 0
    .kernarg_segment_align: 8
    .kernarg_segment_size: 112
    .language:       OpenCL C
    .language_version:
      - 2
      - 0
    .max_flat_workgroup_size: 256
    .name:           _ZN7rocprim17ROCPRIM_400000_NS6detail17trampoline_kernelINS0_14default_configENS1_27scan_by_key_config_selectorIssEEZZNS1_16scan_by_key_implILNS1_25lookback_scan_determinismE0ELb1ES3_N6thrust23THRUST_200600_302600_NS6detail15normal_iteratorINS9_10device_ptrIsEEEESE_SE_sNS9_4plusIsEE19head_flag_predicatesEE10hipError_tPvRmT2_T3_T4_T5_mT6_T7_P12ihipStream_tbENKUlT_T0_E_clISt17integral_constantIbLb0EESX_IbLb1EEEEDaST_SU_EUlST_E_NS1_11comp_targetILNS1_3genE4ELNS1_11target_archE910ELNS1_3gpuE8ELNS1_3repE0EEENS1_30default_config_static_selectorELNS0_4arch9wavefront6targetE0EEEvT1_
    .private_segment_fixed_size: 0
    .sgpr_count:     0
    .sgpr_spill_count: 0
    .symbol:         _ZN7rocprim17ROCPRIM_400000_NS6detail17trampoline_kernelINS0_14default_configENS1_27scan_by_key_config_selectorIssEEZZNS1_16scan_by_key_implILNS1_25lookback_scan_determinismE0ELb1ES3_N6thrust23THRUST_200600_302600_NS6detail15normal_iteratorINS9_10device_ptrIsEEEESE_SE_sNS9_4plusIsEE19head_flag_predicatesEE10hipError_tPvRmT2_T3_T4_T5_mT6_T7_P12ihipStream_tbENKUlT_T0_E_clISt17integral_constantIbLb0EESX_IbLb1EEEEDaST_SU_EUlST_E_NS1_11comp_targetILNS1_3genE4ELNS1_11target_archE910ELNS1_3gpuE8ELNS1_3repE0EEENS1_30default_config_static_selectorELNS0_4arch9wavefront6targetE0EEEvT1_.kd
    .uniform_work_group_size: 1
    .uses_dynamic_stack: false
    .vgpr_count:     0
    .vgpr_spill_count: 0
    .wavefront_size: 32
  - .args:
      - .offset:         0
        .size:           112
        .value_kind:     by_value
    .group_segment_fixed_size: 0
    .kernarg_segment_align: 8
    .kernarg_segment_size: 112
    .language:       OpenCL C
    .language_version:
      - 2
      - 0
    .max_flat_workgroup_size: 256
    .name:           _ZN7rocprim17ROCPRIM_400000_NS6detail17trampoline_kernelINS0_14default_configENS1_27scan_by_key_config_selectorIssEEZZNS1_16scan_by_key_implILNS1_25lookback_scan_determinismE0ELb1ES3_N6thrust23THRUST_200600_302600_NS6detail15normal_iteratorINS9_10device_ptrIsEEEESE_SE_sNS9_4plusIsEE19head_flag_predicatesEE10hipError_tPvRmT2_T3_T4_T5_mT6_T7_P12ihipStream_tbENKUlT_T0_E_clISt17integral_constantIbLb0EESX_IbLb1EEEEDaST_SU_EUlST_E_NS1_11comp_targetILNS1_3genE3ELNS1_11target_archE908ELNS1_3gpuE7ELNS1_3repE0EEENS1_30default_config_static_selectorELNS0_4arch9wavefront6targetE0EEEvT1_
    .private_segment_fixed_size: 0
    .sgpr_count:     0
    .sgpr_spill_count: 0
    .symbol:         _ZN7rocprim17ROCPRIM_400000_NS6detail17trampoline_kernelINS0_14default_configENS1_27scan_by_key_config_selectorIssEEZZNS1_16scan_by_key_implILNS1_25lookback_scan_determinismE0ELb1ES3_N6thrust23THRUST_200600_302600_NS6detail15normal_iteratorINS9_10device_ptrIsEEEESE_SE_sNS9_4plusIsEE19head_flag_predicatesEE10hipError_tPvRmT2_T3_T4_T5_mT6_T7_P12ihipStream_tbENKUlT_T0_E_clISt17integral_constantIbLb0EESX_IbLb1EEEEDaST_SU_EUlST_E_NS1_11comp_targetILNS1_3genE3ELNS1_11target_archE908ELNS1_3gpuE7ELNS1_3repE0EEENS1_30default_config_static_selectorELNS0_4arch9wavefront6targetE0EEEvT1_.kd
    .uniform_work_group_size: 1
    .uses_dynamic_stack: false
    .vgpr_count:     0
    .vgpr_spill_count: 0
    .wavefront_size: 32
  - .args:
      - .offset:         0
        .size:           112
        .value_kind:     by_value
    .group_segment_fixed_size: 0
    .kernarg_segment_align: 8
    .kernarg_segment_size: 112
    .language:       OpenCL C
    .language_version:
      - 2
      - 0
    .max_flat_workgroup_size: 64
    .name:           _ZN7rocprim17ROCPRIM_400000_NS6detail17trampoline_kernelINS0_14default_configENS1_27scan_by_key_config_selectorIssEEZZNS1_16scan_by_key_implILNS1_25lookback_scan_determinismE0ELb1ES3_N6thrust23THRUST_200600_302600_NS6detail15normal_iteratorINS9_10device_ptrIsEEEESE_SE_sNS9_4plusIsEE19head_flag_predicatesEE10hipError_tPvRmT2_T3_T4_T5_mT6_T7_P12ihipStream_tbENKUlT_T0_E_clISt17integral_constantIbLb0EESX_IbLb1EEEEDaST_SU_EUlST_E_NS1_11comp_targetILNS1_3genE2ELNS1_11target_archE906ELNS1_3gpuE6ELNS1_3repE0EEENS1_30default_config_static_selectorELNS0_4arch9wavefront6targetE0EEEvT1_
    .private_segment_fixed_size: 0
    .sgpr_count:     0
    .sgpr_spill_count: 0
    .symbol:         _ZN7rocprim17ROCPRIM_400000_NS6detail17trampoline_kernelINS0_14default_configENS1_27scan_by_key_config_selectorIssEEZZNS1_16scan_by_key_implILNS1_25lookback_scan_determinismE0ELb1ES3_N6thrust23THRUST_200600_302600_NS6detail15normal_iteratorINS9_10device_ptrIsEEEESE_SE_sNS9_4plusIsEE19head_flag_predicatesEE10hipError_tPvRmT2_T3_T4_T5_mT6_T7_P12ihipStream_tbENKUlT_T0_E_clISt17integral_constantIbLb0EESX_IbLb1EEEEDaST_SU_EUlST_E_NS1_11comp_targetILNS1_3genE2ELNS1_11target_archE906ELNS1_3gpuE6ELNS1_3repE0EEENS1_30default_config_static_selectorELNS0_4arch9wavefront6targetE0EEEvT1_.kd
    .uniform_work_group_size: 1
    .uses_dynamic_stack: false
    .vgpr_count:     0
    .vgpr_spill_count: 0
    .wavefront_size: 32
  - .args:
      - .offset:         0
        .size:           112
        .value_kind:     by_value
    .group_segment_fixed_size: 0
    .kernarg_segment_align: 8
    .kernarg_segment_size: 112
    .language:       OpenCL C
    .language_version:
      - 2
      - 0
    .max_flat_workgroup_size: 256
    .name:           _ZN7rocprim17ROCPRIM_400000_NS6detail17trampoline_kernelINS0_14default_configENS1_27scan_by_key_config_selectorIssEEZZNS1_16scan_by_key_implILNS1_25lookback_scan_determinismE0ELb1ES3_N6thrust23THRUST_200600_302600_NS6detail15normal_iteratorINS9_10device_ptrIsEEEESE_SE_sNS9_4plusIsEE19head_flag_predicatesEE10hipError_tPvRmT2_T3_T4_T5_mT6_T7_P12ihipStream_tbENKUlT_T0_E_clISt17integral_constantIbLb0EESX_IbLb1EEEEDaST_SU_EUlST_E_NS1_11comp_targetILNS1_3genE10ELNS1_11target_archE1200ELNS1_3gpuE4ELNS1_3repE0EEENS1_30default_config_static_selectorELNS0_4arch9wavefront6targetE0EEEvT1_
    .private_segment_fixed_size: 0
    .sgpr_count:     0
    .sgpr_spill_count: 0
    .symbol:         _ZN7rocprim17ROCPRIM_400000_NS6detail17trampoline_kernelINS0_14default_configENS1_27scan_by_key_config_selectorIssEEZZNS1_16scan_by_key_implILNS1_25lookback_scan_determinismE0ELb1ES3_N6thrust23THRUST_200600_302600_NS6detail15normal_iteratorINS9_10device_ptrIsEEEESE_SE_sNS9_4plusIsEE19head_flag_predicatesEE10hipError_tPvRmT2_T3_T4_T5_mT6_T7_P12ihipStream_tbENKUlT_T0_E_clISt17integral_constantIbLb0EESX_IbLb1EEEEDaST_SU_EUlST_E_NS1_11comp_targetILNS1_3genE10ELNS1_11target_archE1200ELNS1_3gpuE4ELNS1_3repE0EEENS1_30default_config_static_selectorELNS0_4arch9wavefront6targetE0EEEvT1_.kd
    .uniform_work_group_size: 1
    .uses_dynamic_stack: false
    .vgpr_count:     0
    .vgpr_spill_count: 0
    .wavefront_size: 32
  - .args:
      - .offset:         0
        .size:           112
        .value_kind:     by_value
    .group_segment_fixed_size: 0
    .kernarg_segment_align: 8
    .kernarg_segment_size: 112
    .language:       OpenCL C
    .language_version:
      - 2
      - 0
    .max_flat_workgroup_size: 256
    .name:           _ZN7rocprim17ROCPRIM_400000_NS6detail17trampoline_kernelINS0_14default_configENS1_27scan_by_key_config_selectorIssEEZZNS1_16scan_by_key_implILNS1_25lookback_scan_determinismE0ELb1ES3_N6thrust23THRUST_200600_302600_NS6detail15normal_iteratorINS9_10device_ptrIsEEEESE_SE_sNS9_4plusIsEE19head_flag_predicatesEE10hipError_tPvRmT2_T3_T4_T5_mT6_T7_P12ihipStream_tbENKUlT_T0_E_clISt17integral_constantIbLb0EESX_IbLb1EEEEDaST_SU_EUlST_E_NS1_11comp_targetILNS1_3genE9ELNS1_11target_archE1100ELNS1_3gpuE3ELNS1_3repE0EEENS1_30default_config_static_selectorELNS0_4arch9wavefront6targetE0EEEvT1_
    .private_segment_fixed_size: 0
    .sgpr_count:     0
    .sgpr_spill_count: 0
    .symbol:         _ZN7rocprim17ROCPRIM_400000_NS6detail17trampoline_kernelINS0_14default_configENS1_27scan_by_key_config_selectorIssEEZZNS1_16scan_by_key_implILNS1_25lookback_scan_determinismE0ELb1ES3_N6thrust23THRUST_200600_302600_NS6detail15normal_iteratorINS9_10device_ptrIsEEEESE_SE_sNS9_4plusIsEE19head_flag_predicatesEE10hipError_tPvRmT2_T3_T4_T5_mT6_T7_P12ihipStream_tbENKUlT_T0_E_clISt17integral_constantIbLb0EESX_IbLb1EEEEDaST_SU_EUlST_E_NS1_11comp_targetILNS1_3genE9ELNS1_11target_archE1100ELNS1_3gpuE3ELNS1_3repE0EEENS1_30default_config_static_selectorELNS0_4arch9wavefront6targetE0EEEvT1_.kd
    .uniform_work_group_size: 1
    .uses_dynamic_stack: false
    .vgpr_count:     0
    .vgpr_spill_count: 0
    .wavefront_size: 32
  - .args:
      - .offset:         0
        .size:           112
        .value_kind:     by_value
    .group_segment_fixed_size: 0
    .kernarg_segment_align: 8
    .kernarg_segment_size: 112
    .language:       OpenCL C
    .language_version:
      - 2
      - 0
    .max_flat_workgroup_size: 64
    .name:           _ZN7rocprim17ROCPRIM_400000_NS6detail17trampoline_kernelINS0_14default_configENS1_27scan_by_key_config_selectorIssEEZZNS1_16scan_by_key_implILNS1_25lookback_scan_determinismE0ELb1ES3_N6thrust23THRUST_200600_302600_NS6detail15normal_iteratorINS9_10device_ptrIsEEEESE_SE_sNS9_4plusIsEE19head_flag_predicatesEE10hipError_tPvRmT2_T3_T4_T5_mT6_T7_P12ihipStream_tbENKUlT_T0_E_clISt17integral_constantIbLb0EESX_IbLb1EEEEDaST_SU_EUlST_E_NS1_11comp_targetILNS1_3genE8ELNS1_11target_archE1030ELNS1_3gpuE2ELNS1_3repE0EEENS1_30default_config_static_selectorELNS0_4arch9wavefront6targetE0EEEvT1_
    .private_segment_fixed_size: 0
    .sgpr_count:     0
    .sgpr_spill_count: 0
    .symbol:         _ZN7rocprim17ROCPRIM_400000_NS6detail17trampoline_kernelINS0_14default_configENS1_27scan_by_key_config_selectorIssEEZZNS1_16scan_by_key_implILNS1_25lookback_scan_determinismE0ELb1ES3_N6thrust23THRUST_200600_302600_NS6detail15normal_iteratorINS9_10device_ptrIsEEEESE_SE_sNS9_4plusIsEE19head_flag_predicatesEE10hipError_tPvRmT2_T3_T4_T5_mT6_T7_P12ihipStream_tbENKUlT_T0_E_clISt17integral_constantIbLb0EESX_IbLb1EEEEDaST_SU_EUlST_E_NS1_11comp_targetILNS1_3genE8ELNS1_11target_archE1030ELNS1_3gpuE2ELNS1_3repE0EEENS1_30default_config_static_selectorELNS0_4arch9wavefront6targetE0EEEvT1_.kd
    .uniform_work_group_size: 1
    .uses_dynamic_stack: false
    .vgpr_count:     0
    .vgpr_spill_count: 0
    .wavefront_size: 32
  - .args:
      - .offset:         0
        .size:           144
        .value_kind:     by_value
    .group_segment_fixed_size: 32768
    .kernarg_segment_align: 8
    .kernarg_segment_size: 144
    .language:       OpenCL C
    .language_version:
      - 2
      - 0
    .max_flat_workgroup_size: 256
    .name:           _ZN7rocprim17ROCPRIM_400000_NS6detail17trampoline_kernelINS0_14default_configENS1_27scan_by_key_config_selectorIxxEEZZNS1_16scan_by_key_implILNS1_25lookback_scan_determinismE0ELb0ES3_N6thrust23THRUST_200600_302600_NS6detail15normal_iteratorINS9_10device_ptrIxEEEENS9_18transform_iteratorINS9_6negateIxEESE_NS9_11use_defaultESI_EESE_xNS9_4plusIvEENS9_8equal_toIvEExEE10hipError_tPvRmT2_T3_T4_T5_mT6_T7_P12ihipStream_tbENKUlT_T0_E_clISt17integral_constantIbLb0EES14_EEDaSZ_S10_EUlSZ_E_NS1_11comp_targetILNS1_3genE0ELNS1_11target_archE4294967295ELNS1_3gpuE0ELNS1_3repE0EEENS1_30default_config_static_selectorELNS0_4arch9wavefront6targetE0EEEvT1_
    .private_segment_fixed_size: 0
    .sgpr_count:     50
    .sgpr_spill_count: 0
    .symbol:         _ZN7rocprim17ROCPRIM_400000_NS6detail17trampoline_kernelINS0_14default_configENS1_27scan_by_key_config_selectorIxxEEZZNS1_16scan_by_key_implILNS1_25lookback_scan_determinismE0ELb0ES3_N6thrust23THRUST_200600_302600_NS6detail15normal_iteratorINS9_10device_ptrIxEEEENS9_18transform_iteratorINS9_6negateIxEESE_NS9_11use_defaultESI_EESE_xNS9_4plusIvEENS9_8equal_toIvEExEE10hipError_tPvRmT2_T3_T4_T5_mT6_T7_P12ihipStream_tbENKUlT_T0_E_clISt17integral_constantIbLb0EES14_EEDaSZ_S10_EUlSZ_E_NS1_11comp_targetILNS1_3genE0ELNS1_11target_archE4294967295ELNS1_3gpuE0ELNS1_3repE0EEENS1_30default_config_static_selectorELNS0_4arch9wavefront6targetE0EEEvT1_.kd
    .uniform_work_group_size: 1
    .uses_dynamic_stack: false
    .vgpr_count:     111
    .vgpr_spill_count: 0
    .wavefront_size: 32
  - .args:
      - .offset:         0
        .size:           144
        .value_kind:     by_value
    .group_segment_fixed_size: 0
    .kernarg_segment_align: 8
    .kernarg_segment_size: 144
    .language:       OpenCL C
    .language_version:
      - 2
      - 0
    .max_flat_workgroup_size: 256
    .name:           _ZN7rocprim17ROCPRIM_400000_NS6detail17trampoline_kernelINS0_14default_configENS1_27scan_by_key_config_selectorIxxEEZZNS1_16scan_by_key_implILNS1_25lookback_scan_determinismE0ELb0ES3_N6thrust23THRUST_200600_302600_NS6detail15normal_iteratorINS9_10device_ptrIxEEEENS9_18transform_iteratorINS9_6negateIxEESE_NS9_11use_defaultESI_EESE_xNS9_4plusIvEENS9_8equal_toIvEExEE10hipError_tPvRmT2_T3_T4_T5_mT6_T7_P12ihipStream_tbENKUlT_T0_E_clISt17integral_constantIbLb0EES14_EEDaSZ_S10_EUlSZ_E_NS1_11comp_targetILNS1_3genE10ELNS1_11target_archE1201ELNS1_3gpuE5ELNS1_3repE0EEENS1_30default_config_static_selectorELNS0_4arch9wavefront6targetE0EEEvT1_
    .private_segment_fixed_size: 0
    .sgpr_count:     0
    .sgpr_spill_count: 0
    .symbol:         _ZN7rocprim17ROCPRIM_400000_NS6detail17trampoline_kernelINS0_14default_configENS1_27scan_by_key_config_selectorIxxEEZZNS1_16scan_by_key_implILNS1_25lookback_scan_determinismE0ELb0ES3_N6thrust23THRUST_200600_302600_NS6detail15normal_iteratorINS9_10device_ptrIxEEEENS9_18transform_iteratorINS9_6negateIxEESE_NS9_11use_defaultESI_EESE_xNS9_4plusIvEENS9_8equal_toIvEExEE10hipError_tPvRmT2_T3_T4_T5_mT6_T7_P12ihipStream_tbENKUlT_T0_E_clISt17integral_constantIbLb0EES14_EEDaSZ_S10_EUlSZ_E_NS1_11comp_targetILNS1_3genE10ELNS1_11target_archE1201ELNS1_3gpuE5ELNS1_3repE0EEENS1_30default_config_static_selectorELNS0_4arch9wavefront6targetE0EEEvT1_.kd
    .uniform_work_group_size: 1
    .uses_dynamic_stack: false
    .vgpr_count:     0
    .vgpr_spill_count: 0
    .wavefront_size: 32
  - .args:
      - .offset:         0
        .size:           144
        .value_kind:     by_value
    .group_segment_fixed_size: 0
    .kernarg_segment_align: 8
    .kernarg_segment_size: 144
    .language:       OpenCL C
    .language_version:
      - 2
      - 0
    .max_flat_workgroup_size: 256
    .name:           _ZN7rocprim17ROCPRIM_400000_NS6detail17trampoline_kernelINS0_14default_configENS1_27scan_by_key_config_selectorIxxEEZZNS1_16scan_by_key_implILNS1_25lookback_scan_determinismE0ELb0ES3_N6thrust23THRUST_200600_302600_NS6detail15normal_iteratorINS9_10device_ptrIxEEEENS9_18transform_iteratorINS9_6negateIxEESE_NS9_11use_defaultESI_EESE_xNS9_4plusIvEENS9_8equal_toIvEExEE10hipError_tPvRmT2_T3_T4_T5_mT6_T7_P12ihipStream_tbENKUlT_T0_E_clISt17integral_constantIbLb0EES14_EEDaSZ_S10_EUlSZ_E_NS1_11comp_targetILNS1_3genE5ELNS1_11target_archE942ELNS1_3gpuE9ELNS1_3repE0EEENS1_30default_config_static_selectorELNS0_4arch9wavefront6targetE0EEEvT1_
    .private_segment_fixed_size: 0
    .sgpr_count:     0
    .sgpr_spill_count: 0
    .symbol:         _ZN7rocprim17ROCPRIM_400000_NS6detail17trampoline_kernelINS0_14default_configENS1_27scan_by_key_config_selectorIxxEEZZNS1_16scan_by_key_implILNS1_25lookback_scan_determinismE0ELb0ES3_N6thrust23THRUST_200600_302600_NS6detail15normal_iteratorINS9_10device_ptrIxEEEENS9_18transform_iteratorINS9_6negateIxEESE_NS9_11use_defaultESI_EESE_xNS9_4plusIvEENS9_8equal_toIvEExEE10hipError_tPvRmT2_T3_T4_T5_mT6_T7_P12ihipStream_tbENKUlT_T0_E_clISt17integral_constantIbLb0EES14_EEDaSZ_S10_EUlSZ_E_NS1_11comp_targetILNS1_3genE5ELNS1_11target_archE942ELNS1_3gpuE9ELNS1_3repE0EEENS1_30default_config_static_selectorELNS0_4arch9wavefront6targetE0EEEvT1_.kd
    .uniform_work_group_size: 1
    .uses_dynamic_stack: false
    .vgpr_count:     0
    .vgpr_spill_count: 0
    .wavefront_size: 32
  - .args:
      - .offset:         0
        .size:           144
        .value_kind:     by_value
    .group_segment_fixed_size: 0
    .kernarg_segment_align: 8
    .kernarg_segment_size: 144
    .language:       OpenCL C
    .language_version:
      - 2
      - 0
    .max_flat_workgroup_size: 64
    .name:           _ZN7rocprim17ROCPRIM_400000_NS6detail17trampoline_kernelINS0_14default_configENS1_27scan_by_key_config_selectorIxxEEZZNS1_16scan_by_key_implILNS1_25lookback_scan_determinismE0ELb0ES3_N6thrust23THRUST_200600_302600_NS6detail15normal_iteratorINS9_10device_ptrIxEEEENS9_18transform_iteratorINS9_6negateIxEESE_NS9_11use_defaultESI_EESE_xNS9_4plusIvEENS9_8equal_toIvEExEE10hipError_tPvRmT2_T3_T4_T5_mT6_T7_P12ihipStream_tbENKUlT_T0_E_clISt17integral_constantIbLb0EES14_EEDaSZ_S10_EUlSZ_E_NS1_11comp_targetILNS1_3genE4ELNS1_11target_archE910ELNS1_3gpuE8ELNS1_3repE0EEENS1_30default_config_static_selectorELNS0_4arch9wavefront6targetE0EEEvT1_
    .private_segment_fixed_size: 0
    .sgpr_count:     0
    .sgpr_spill_count: 0
    .symbol:         _ZN7rocprim17ROCPRIM_400000_NS6detail17trampoline_kernelINS0_14default_configENS1_27scan_by_key_config_selectorIxxEEZZNS1_16scan_by_key_implILNS1_25lookback_scan_determinismE0ELb0ES3_N6thrust23THRUST_200600_302600_NS6detail15normal_iteratorINS9_10device_ptrIxEEEENS9_18transform_iteratorINS9_6negateIxEESE_NS9_11use_defaultESI_EESE_xNS9_4plusIvEENS9_8equal_toIvEExEE10hipError_tPvRmT2_T3_T4_T5_mT6_T7_P12ihipStream_tbENKUlT_T0_E_clISt17integral_constantIbLb0EES14_EEDaSZ_S10_EUlSZ_E_NS1_11comp_targetILNS1_3genE4ELNS1_11target_archE910ELNS1_3gpuE8ELNS1_3repE0EEENS1_30default_config_static_selectorELNS0_4arch9wavefront6targetE0EEEvT1_.kd
    .uniform_work_group_size: 1
    .uses_dynamic_stack: false
    .vgpr_count:     0
    .vgpr_spill_count: 0
    .wavefront_size: 32
  - .args:
      - .offset:         0
        .size:           144
        .value_kind:     by_value
    .group_segment_fixed_size: 0
    .kernarg_segment_align: 8
    .kernarg_segment_size: 144
    .language:       OpenCL C
    .language_version:
      - 2
      - 0
    .max_flat_workgroup_size: 256
    .name:           _ZN7rocprim17ROCPRIM_400000_NS6detail17trampoline_kernelINS0_14default_configENS1_27scan_by_key_config_selectorIxxEEZZNS1_16scan_by_key_implILNS1_25lookback_scan_determinismE0ELb0ES3_N6thrust23THRUST_200600_302600_NS6detail15normal_iteratorINS9_10device_ptrIxEEEENS9_18transform_iteratorINS9_6negateIxEESE_NS9_11use_defaultESI_EESE_xNS9_4plusIvEENS9_8equal_toIvEExEE10hipError_tPvRmT2_T3_T4_T5_mT6_T7_P12ihipStream_tbENKUlT_T0_E_clISt17integral_constantIbLb0EES14_EEDaSZ_S10_EUlSZ_E_NS1_11comp_targetILNS1_3genE3ELNS1_11target_archE908ELNS1_3gpuE7ELNS1_3repE0EEENS1_30default_config_static_selectorELNS0_4arch9wavefront6targetE0EEEvT1_
    .private_segment_fixed_size: 0
    .sgpr_count:     0
    .sgpr_spill_count: 0
    .symbol:         _ZN7rocprim17ROCPRIM_400000_NS6detail17trampoline_kernelINS0_14default_configENS1_27scan_by_key_config_selectorIxxEEZZNS1_16scan_by_key_implILNS1_25lookback_scan_determinismE0ELb0ES3_N6thrust23THRUST_200600_302600_NS6detail15normal_iteratorINS9_10device_ptrIxEEEENS9_18transform_iteratorINS9_6negateIxEESE_NS9_11use_defaultESI_EESE_xNS9_4plusIvEENS9_8equal_toIvEExEE10hipError_tPvRmT2_T3_T4_T5_mT6_T7_P12ihipStream_tbENKUlT_T0_E_clISt17integral_constantIbLb0EES14_EEDaSZ_S10_EUlSZ_E_NS1_11comp_targetILNS1_3genE3ELNS1_11target_archE908ELNS1_3gpuE7ELNS1_3repE0EEENS1_30default_config_static_selectorELNS0_4arch9wavefront6targetE0EEEvT1_.kd
    .uniform_work_group_size: 1
    .uses_dynamic_stack: false
    .vgpr_count:     0
    .vgpr_spill_count: 0
    .wavefront_size: 32
  - .args:
      - .offset:         0
        .size:           144
        .value_kind:     by_value
    .group_segment_fixed_size: 0
    .kernarg_segment_align: 8
    .kernarg_segment_size: 144
    .language:       OpenCL C
    .language_version:
      - 2
      - 0
    .max_flat_workgroup_size: 256
    .name:           _ZN7rocprim17ROCPRIM_400000_NS6detail17trampoline_kernelINS0_14default_configENS1_27scan_by_key_config_selectorIxxEEZZNS1_16scan_by_key_implILNS1_25lookback_scan_determinismE0ELb0ES3_N6thrust23THRUST_200600_302600_NS6detail15normal_iteratorINS9_10device_ptrIxEEEENS9_18transform_iteratorINS9_6negateIxEESE_NS9_11use_defaultESI_EESE_xNS9_4plusIvEENS9_8equal_toIvEExEE10hipError_tPvRmT2_T3_T4_T5_mT6_T7_P12ihipStream_tbENKUlT_T0_E_clISt17integral_constantIbLb0EES14_EEDaSZ_S10_EUlSZ_E_NS1_11comp_targetILNS1_3genE2ELNS1_11target_archE906ELNS1_3gpuE6ELNS1_3repE0EEENS1_30default_config_static_selectorELNS0_4arch9wavefront6targetE0EEEvT1_
    .private_segment_fixed_size: 0
    .sgpr_count:     0
    .sgpr_spill_count: 0
    .symbol:         _ZN7rocprim17ROCPRIM_400000_NS6detail17trampoline_kernelINS0_14default_configENS1_27scan_by_key_config_selectorIxxEEZZNS1_16scan_by_key_implILNS1_25lookback_scan_determinismE0ELb0ES3_N6thrust23THRUST_200600_302600_NS6detail15normal_iteratorINS9_10device_ptrIxEEEENS9_18transform_iteratorINS9_6negateIxEESE_NS9_11use_defaultESI_EESE_xNS9_4plusIvEENS9_8equal_toIvEExEE10hipError_tPvRmT2_T3_T4_T5_mT6_T7_P12ihipStream_tbENKUlT_T0_E_clISt17integral_constantIbLb0EES14_EEDaSZ_S10_EUlSZ_E_NS1_11comp_targetILNS1_3genE2ELNS1_11target_archE906ELNS1_3gpuE6ELNS1_3repE0EEENS1_30default_config_static_selectorELNS0_4arch9wavefront6targetE0EEEvT1_.kd
    .uniform_work_group_size: 1
    .uses_dynamic_stack: false
    .vgpr_count:     0
    .vgpr_spill_count: 0
    .wavefront_size: 32
  - .args:
      - .offset:         0
        .size:           144
        .value_kind:     by_value
    .group_segment_fixed_size: 0
    .kernarg_segment_align: 8
    .kernarg_segment_size: 144
    .language:       OpenCL C
    .language_version:
      - 2
      - 0
    .max_flat_workgroup_size: 256
    .name:           _ZN7rocprim17ROCPRIM_400000_NS6detail17trampoline_kernelINS0_14default_configENS1_27scan_by_key_config_selectorIxxEEZZNS1_16scan_by_key_implILNS1_25lookback_scan_determinismE0ELb0ES3_N6thrust23THRUST_200600_302600_NS6detail15normal_iteratorINS9_10device_ptrIxEEEENS9_18transform_iteratorINS9_6negateIxEESE_NS9_11use_defaultESI_EESE_xNS9_4plusIvEENS9_8equal_toIvEExEE10hipError_tPvRmT2_T3_T4_T5_mT6_T7_P12ihipStream_tbENKUlT_T0_E_clISt17integral_constantIbLb0EES14_EEDaSZ_S10_EUlSZ_E_NS1_11comp_targetILNS1_3genE10ELNS1_11target_archE1200ELNS1_3gpuE4ELNS1_3repE0EEENS1_30default_config_static_selectorELNS0_4arch9wavefront6targetE0EEEvT1_
    .private_segment_fixed_size: 0
    .sgpr_count:     0
    .sgpr_spill_count: 0
    .symbol:         _ZN7rocprim17ROCPRIM_400000_NS6detail17trampoline_kernelINS0_14default_configENS1_27scan_by_key_config_selectorIxxEEZZNS1_16scan_by_key_implILNS1_25lookback_scan_determinismE0ELb0ES3_N6thrust23THRUST_200600_302600_NS6detail15normal_iteratorINS9_10device_ptrIxEEEENS9_18transform_iteratorINS9_6negateIxEESE_NS9_11use_defaultESI_EESE_xNS9_4plusIvEENS9_8equal_toIvEExEE10hipError_tPvRmT2_T3_T4_T5_mT6_T7_P12ihipStream_tbENKUlT_T0_E_clISt17integral_constantIbLb0EES14_EEDaSZ_S10_EUlSZ_E_NS1_11comp_targetILNS1_3genE10ELNS1_11target_archE1200ELNS1_3gpuE4ELNS1_3repE0EEENS1_30default_config_static_selectorELNS0_4arch9wavefront6targetE0EEEvT1_.kd
    .uniform_work_group_size: 1
    .uses_dynamic_stack: false
    .vgpr_count:     0
    .vgpr_spill_count: 0
    .wavefront_size: 32
  - .args:
      - .offset:         0
        .size:           144
        .value_kind:     by_value
    .group_segment_fixed_size: 0
    .kernarg_segment_align: 8
    .kernarg_segment_size: 144
    .language:       OpenCL C
    .language_version:
      - 2
      - 0
    .max_flat_workgroup_size: 256
    .name:           _ZN7rocprim17ROCPRIM_400000_NS6detail17trampoline_kernelINS0_14default_configENS1_27scan_by_key_config_selectorIxxEEZZNS1_16scan_by_key_implILNS1_25lookback_scan_determinismE0ELb0ES3_N6thrust23THRUST_200600_302600_NS6detail15normal_iteratorINS9_10device_ptrIxEEEENS9_18transform_iteratorINS9_6negateIxEESE_NS9_11use_defaultESI_EESE_xNS9_4plusIvEENS9_8equal_toIvEExEE10hipError_tPvRmT2_T3_T4_T5_mT6_T7_P12ihipStream_tbENKUlT_T0_E_clISt17integral_constantIbLb0EES14_EEDaSZ_S10_EUlSZ_E_NS1_11comp_targetILNS1_3genE9ELNS1_11target_archE1100ELNS1_3gpuE3ELNS1_3repE0EEENS1_30default_config_static_selectorELNS0_4arch9wavefront6targetE0EEEvT1_
    .private_segment_fixed_size: 0
    .sgpr_count:     0
    .sgpr_spill_count: 0
    .symbol:         _ZN7rocprim17ROCPRIM_400000_NS6detail17trampoline_kernelINS0_14default_configENS1_27scan_by_key_config_selectorIxxEEZZNS1_16scan_by_key_implILNS1_25lookback_scan_determinismE0ELb0ES3_N6thrust23THRUST_200600_302600_NS6detail15normal_iteratorINS9_10device_ptrIxEEEENS9_18transform_iteratorINS9_6negateIxEESE_NS9_11use_defaultESI_EESE_xNS9_4plusIvEENS9_8equal_toIvEExEE10hipError_tPvRmT2_T3_T4_T5_mT6_T7_P12ihipStream_tbENKUlT_T0_E_clISt17integral_constantIbLb0EES14_EEDaSZ_S10_EUlSZ_E_NS1_11comp_targetILNS1_3genE9ELNS1_11target_archE1100ELNS1_3gpuE3ELNS1_3repE0EEENS1_30default_config_static_selectorELNS0_4arch9wavefront6targetE0EEEvT1_.kd
    .uniform_work_group_size: 1
    .uses_dynamic_stack: false
    .vgpr_count:     0
    .vgpr_spill_count: 0
    .wavefront_size: 32
  - .args:
      - .offset:         0
        .size:           144
        .value_kind:     by_value
    .group_segment_fixed_size: 0
    .kernarg_segment_align: 8
    .kernarg_segment_size: 144
    .language:       OpenCL C
    .language_version:
      - 2
      - 0
    .max_flat_workgroup_size: 256
    .name:           _ZN7rocprim17ROCPRIM_400000_NS6detail17trampoline_kernelINS0_14default_configENS1_27scan_by_key_config_selectorIxxEEZZNS1_16scan_by_key_implILNS1_25lookback_scan_determinismE0ELb0ES3_N6thrust23THRUST_200600_302600_NS6detail15normal_iteratorINS9_10device_ptrIxEEEENS9_18transform_iteratorINS9_6negateIxEESE_NS9_11use_defaultESI_EESE_xNS9_4plusIvEENS9_8equal_toIvEExEE10hipError_tPvRmT2_T3_T4_T5_mT6_T7_P12ihipStream_tbENKUlT_T0_E_clISt17integral_constantIbLb0EES14_EEDaSZ_S10_EUlSZ_E_NS1_11comp_targetILNS1_3genE8ELNS1_11target_archE1030ELNS1_3gpuE2ELNS1_3repE0EEENS1_30default_config_static_selectorELNS0_4arch9wavefront6targetE0EEEvT1_
    .private_segment_fixed_size: 0
    .sgpr_count:     0
    .sgpr_spill_count: 0
    .symbol:         _ZN7rocprim17ROCPRIM_400000_NS6detail17trampoline_kernelINS0_14default_configENS1_27scan_by_key_config_selectorIxxEEZZNS1_16scan_by_key_implILNS1_25lookback_scan_determinismE0ELb0ES3_N6thrust23THRUST_200600_302600_NS6detail15normal_iteratorINS9_10device_ptrIxEEEENS9_18transform_iteratorINS9_6negateIxEESE_NS9_11use_defaultESI_EESE_xNS9_4plusIvEENS9_8equal_toIvEExEE10hipError_tPvRmT2_T3_T4_T5_mT6_T7_P12ihipStream_tbENKUlT_T0_E_clISt17integral_constantIbLb0EES14_EEDaSZ_S10_EUlSZ_E_NS1_11comp_targetILNS1_3genE8ELNS1_11target_archE1030ELNS1_3gpuE2ELNS1_3repE0EEENS1_30default_config_static_selectorELNS0_4arch9wavefront6targetE0EEEvT1_.kd
    .uniform_work_group_size: 1
    .uses_dynamic_stack: false
    .vgpr_count:     0
    .vgpr_spill_count: 0
    .wavefront_size: 32
  - .args:
      - .offset:         0
        .size:           144
        .value_kind:     by_value
    .group_segment_fixed_size: 0
    .kernarg_segment_align: 8
    .kernarg_segment_size: 144
    .language:       OpenCL C
    .language_version:
      - 2
      - 0
    .max_flat_workgroup_size: 256
    .name:           _ZN7rocprim17ROCPRIM_400000_NS6detail17trampoline_kernelINS0_14default_configENS1_27scan_by_key_config_selectorIxxEEZZNS1_16scan_by_key_implILNS1_25lookback_scan_determinismE0ELb0ES3_N6thrust23THRUST_200600_302600_NS6detail15normal_iteratorINS9_10device_ptrIxEEEENS9_18transform_iteratorINS9_6negateIxEESE_NS9_11use_defaultESI_EESE_xNS9_4plusIvEENS9_8equal_toIvEExEE10hipError_tPvRmT2_T3_T4_T5_mT6_T7_P12ihipStream_tbENKUlT_T0_E_clISt17integral_constantIbLb1EES14_EEDaSZ_S10_EUlSZ_E_NS1_11comp_targetILNS1_3genE0ELNS1_11target_archE4294967295ELNS1_3gpuE0ELNS1_3repE0EEENS1_30default_config_static_selectorELNS0_4arch9wavefront6targetE0EEEvT1_
    .private_segment_fixed_size: 0
    .sgpr_count:     0
    .sgpr_spill_count: 0
    .symbol:         _ZN7rocprim17ROCPRIM_400000_NS6detail17trampoline_kernelINS0_14default_configENS1_27scan_by_key_config_selectorIxxEEZZNS1_16scan_by_key_implILNS1_25lookback_scan_determinismE0ELb0ES3_N6thrust23THRUST_200600_302600_NS6detail15normal_iteratorINS9_10device_ptrIxEEEENS9_18transform_iteratorINS9_6negateIxEESE_NS9_11use_defaultESI_EESE_xNS9_4plusIvEENS9_8equal_toIvEExEE10hipError_tPvRmT2_T3_T4_T5_mT6_T7_P12ihipStream_tbENKUlT_T0_E_clISt17integral_constantIbLb1EES14_EEDaSZ_S10_EUlSZ_E_NS1_11comp_targetILNS1_3genE0ELNS1_11target_archE4294967295ELNS1_3gpuE0ELNS1_3repE0EEENS1_30default_config_static_selectorELNS0_4arch9wavefront6targetE0EEEvT1_.kd
    .uniform_work_group_size: 1
    .uses_dynamic_stack: false
    .vgpr_count:     0
    .vgpr_spill_count: 0
    .wavefront_size: 32
  - .args:
      - .offset:         0
        .size:           144
        .value_kind:     by_value
    .group_segment_fixed_size: 0
    .kernarg_segment_align: 8
    .kernarg_segment_size: 144
    .language:       OpenCL C
    .language_version:
      - 2
      - 0
    .max_flat_workgroup_size: 256
    .name:           _ZN7rocprim17ROCPRIM_400000_NS6detail17trampoline_kernelINS0_14default_configENS1_27scan_by_key_config_selectorIxxEEZZNS1_16scan_by_key_implILNS1_25lookback_scan_determinismE0ELb0ES3_N6thrust23THRUST_200600_302600_NS6detail15normal_iteratorINS9_10device_ptrIxEEEENS9_18transform_iteratorINS9_6negateIxEESE_NS9_11use_defaultESI_EESE_xNS9_4plusIvEENS9_8equal_toIvEExEE10hipError_tPvRmT2_T3_T4_T5_mT6_T7_P12ihipStream_tbENKUlT_T0_E_clISt17integral_constantIbLb1EES14_EEDaSZ_S10_EUlSZ_E_NS1_11comp_targetILNS1_3genE10ELNS1_11target_archE1201ELNS1_3gpuE5ELNS1_3repE0EEENS1_30default_config_static_selectorELNS0_4arch9wavefront6targetE0EEEvT1_
    .private_segment_fixed_size: 0
    .sgpr_count:     0
    .sgpr_spill_count: 0
    .symbol:         _ZN7rocprim17ROCPRIM_400000_NS6detail17trampoline_kernelINS0_14default_configENS1_27scan_by_key_config_selectorIxxEEZZNS1_16scan_by_key_implILNS1_25lookback_scan_determinismE0ELb0ES3_N6thrust23THRUST_200600_302600_NS6detail15normal_iteratorINS9_10device_ptrIxEEEENS9_18transform_iteratorINS9_6negateIxEESE_NS9_11use_defaultESI_EESE_xNS9_4plusIvEENS9_8equal_toIvEExEE10hipError_tPvRmT2_T3_T4_T5_mT6_T7_P12ihipStream_tbENKUlT_T0_E_clISt17integral_constantIbLb1EES14_EEDaSZ_S10_EUlSZ_E_NS1_11comp_targetILNS1_3genE10ELNS1_11target_archE1201ELNS1_3gpuE5ELNS1_3repE0EEENS1_30default_config_static_selectorELNS0_4arch9wavefront6targetE0EEEvT1_.kd
    .uniform_work_group_size: 1
    .uses_dynamic_stack: false
    .vgpr_count:     0
    .vgpr_spill_count: 0
    .wavefront_size: 32
  - .args:
      - .offset:         0
        .size:           144
        .value_kind:     by_value
    .group_segment_fixed_size: 0
    .kernarg_segment_align: 8
    .kernarg_segment_size: 144
    .language:       OpenCL C
    .language_version:
      - 2
      - 0
    .max_flat_workgroup_size: 256
    .name:           _ZN7rocprim17ROCPRIM_400000_NS6detail17trampoline_kernelINS0_14default_configENS1_27scan_by_key_config_selectorIxxEEZZNS1_16scan_by_key_implILNS1_25lookback_scan_determinismE0ELb0ES3_N6thrust23THRUST_200600_302600_NS6detail15normal_iteratorINS9_10device_ptrIxEEEENS9_18transform_iteratorINS9_6negateIxEESE_NS9_11use_defaultESI_EESE_xNS9_4plusIvEENS9_8equal_toIvEExEE10hipError_tPvRmT2_T3_T4_T5_mT6_T7_P12ihipStream_tbENKUlT_T0_E_clISt17integral_constantIbLb1EES14_EEDaSZ_S10_EUlSZ_E_NS1_11comp_targetILNS1_3genE5ELNS1_11target_archE942ELNS1_3gpuE9ELNS1_3repE0EEENS1_30default_config_static_selectorELNS0_4arch9wavefront6targetE0EEEvT1_
    .private_segment_fixed_size: 0
    .sgpr_count:     0
    .sgpr_spill_count: 0
    .symbol:         _ZN7rocprim17ROCPRIM_400000_NS6detail17trampoline_kernelINS0_14default_configENS1_27scan_by_key_config_selectorIxxEEZZNS1_16scan_by_key_implILNS1_25lookback_scan_determinismE0ELb0ES3_N6thrust23THRUST_200600_302600_NS6detail15normal_iteratorINS9_10device_ptrIxEEEENS9_18transform_iteratorINS9_6negateIxEESE_NS9_11use_defaultESI_EESE_xNS9_4plusIvEENS9_8equal_toIvEExEE10hipError_tPvRmT2_T3_T4_T5_mT6_T7_P12ihipStream_tbENKUlT_T0_E_clISt17integral_constantIbLb1EES14_EEDaSZ_S10_EUlSZ_E_NS1_11comp_targetILNS1_3genE5ELNS1_11target_archE942ELNS1_3gpuE9ELNS1_3repE0EEENS1_30default_config_static_selectorELNS0_4arch9wavefront6targetE0EEEvT1_.kd
    .uniform_work_group_size: 1
    .uses_dynamic_stack: false
    .vgpr_count:     0
    .vgpr_spill_count: 0
    .wavefront_size: 32
  - .args:
      - .offset:         0
        .size:           144
        .value_kind:     by_value
    .group_segment_fixed_size: 0
    .kernarg_segment_align: 8
    .kernarg_segment_size: 144
    .language:       OpenCL C
    .language_version:
      - 2
      - 0
    .max_flat_workgroup_size: 64
    .name:           _ZN7rocprim17ROCPRIM_400000_NS6detail17trampoline_kernelINS0_14default_configENS1_27scan_by_key_config_selectorIxxEEZZNS1_16scan_by_key_implILNS1_25lookback_scan_determinismE0ELb0ES3_N6thrust23THRUST_200600_302600_NS6detail15normal_iteratorINS9_10device_ptrIxEEEENS9_18transform_iteratorINS9_6negateIxEESE_NS9_11use_defaultESI_EESE_xNS9_4plusIvEENS9_8equal_toIvEExEE10hipError_tPvRmT2_T3_T4_T5_mT6_T7_P12ihipStream_tbENKUlT_T0_E_clISt17integral_constantIbLb1EES14_EEDaSZ_S10_EUlSZ_E_NS1_11comp_targetILNS1_3genE4ELNS1_11target_archE910ELNS1_3gpuE8ELNS1_3repE0EEENS1_30default_config_static_selectorELNS0_4arch9wavefront6targetE0EEEvT1_
    .private_segment_fixed_size: 0
    .sgpr_count:     0
    .sgpr_spill_count: 0
    .symbol:         _ZN7rocprim17ROCPRIM_400000_NS6detail17trampoline_kernelINS0_14default_configENS1_27scan_by_key_config_selectorIxxEEZZNS1_16scan_by_key_implILNS1_25lookback_scan_determinismE0ELb0ES3_N6thrust23THRUST_200600_302600_NS6detail15normal_iteratorINS9_10device_ptrIxEEEENS9_18transform_iteratorINS9_6negateIxEESE_NS9_11use_defaultESI_EESE_xNS9_4plusIvEENS9_8equal_toIvEExEE10hipError_tPvRmT2_T3_T4_T5_mT6_T7_P12ihipStream_tbENKUlT_T0_E_clISt17integral_constantIbLb1EES14_EEDaSZ_S10_EUlSZ_E_NS1_11comp_targetILNS1_3genE4ELNS1_11target_archE910ELNS1_3gpuE8ELNS1_3repE0EEENS1_30default_config_static_selectorELNS0_4arch9wavefront6targetE0EEEvT1_.kd
    .uniform_work_group_size: 1
    .uses_dynamic_stack: false
    .vgpr_count:     0
    .vgpr_spill_count: 0
    .wavefront_size: 32
  - .args:
      - .offset:         0
        .size:           144
        .value_kind:     by_value
    .group_segment_fixed_size: 0
    .kernarg_segment_align: 8
    .kernarg_segment_size: 144
    .language:       OpenCL C
    .language_version:
      - 2
      - 0
    .max_flat_workgroup_size: 256
    .name:           _ZN7rocprim17ROCPRIM_400000_NS6detail17trampoline_kernelINS0_14default_configENS1_27scan_by_key_config_selectorIxxEEZZNS1_16scan_by_key_implILNS1_25lookback_scan_determinismE0ELb0ES3_N6thrust23THRUST_200600_302600_NS6detail15normal_iteratorINS9_10device_ptrIxEEEENS9_18transform_iteratorINS9_6negateIxEESE_NS9_11use_defaultESI_EESE_xNS9_4plusIvEENS9_8equal_toIvEExEE10hipError_tPvRmT2_T3_T4_T5_mT6_T7_P12ihipStream_tbENKUlT_T0_E_clISt17integral_constantIbLb1EES14_EEDaSZ_S10_EUlSZ_E_NS1_11comp_targetILNS1_3genE3ELNS1_11target_archE908ELNS1_3gpuE7ELNS1_3repE0EEENS1_30default_config_static_selectorELNS0_4arch9wavefront6targetE0EEEvT1_
    .private_segment_fixed_size: 0
    .sgpr_count:     0
    .sgpr_spill_count: 0
    .symbol:         _ZN7rocprim17ROCPRIM_400000_NS6detail17trampoline_kernelINS0_14default_configENS1_27scan_by_key_config_selectorIxxEEZZNS1_16scan_by_key_implILNS1_25lookback_scan_determinismE0ELb0ES3_N6thrust23THRUST_200600_302600_NS6detail15normal_iteratorINS9_10device_ptrIxEEEENS9_18transform_iteratorINS9_6negateIxEESE_NS9_11use_defaultESI_EESE_xNS9_4plusIvEENS9_8equal_toIvEExEE10hipError_tPvRmT2_T3_T4_T5_mT6_T7_P12ihipStream_tbENKUlT_T0_E_clISt17integral_constantIbLb1EES14_EEDaSZ_S10_EUlSZ_E_NS1_11comp_targetILNS1_3genE3ELNS1_11target_archE908ELNS1_3gpuE7ELNS1_3repE0EEENS1_30default_config_static_selectorELNS0_4arch9wavefront6targetE0EEEvT1_.kd
    .uniform_work_group_size: 1
    .uses_dynamic_stack: false
    .vgpr_count:     0
    .vgpr_spill_count: 0
    .wavefront_size: 32
  - .args:
      - .offset:         0
        .size:           144
        .value_kind:     by_value
    .group_segment_fixed_size: 0
    .kernarg_segment_align: 8
    .kernarg_segment_size: 144
    .language:       OpenCL C
    .language_version:
      - 2
      - 0
    .max_flat_workgroup_size: 256
    .name:           _ZN7rocprim17ROCPRIM_400000_NS6detail17trampoline_kernelINS0_14default_configENS1_27scan_by_key_config_selectorIxxEEZZNS1_16scan_by_key_implILNS1_25lookback_scan_determinismE0ELb0ES3_N6thrust23THRUST_200600_302600_NS6detail15normal_iteratorINS9_10device_ptrIxEEEENS9_18transform_iteratorINS9_6negateIxEESE_NS9_11use_defaultESI_EESE_xNS9_4plusIvEENS9_8equal_toIvEExEE10hipError_tPvRmT2_T3_T4_T5_mT6_T7_P12ihipStream_tbENKUlT_T0_E_clISt17integral_constantIbLb1EES14_EEDaSZ_S10_EUlSZ_E_NS1_11comp_targetILNS1_3genE2ELNS1_11target_archE906ELNS1_3gpuE6ELNS1_3repE0EEENS1_30default_config_static_selectorELNS0_4arch9wavefront6targetE0EEEvT1_
    .private_segment_fixed_size: 0
    .sgpr_count:     0
    .sgpr_spill_count: 0
    .symbol:         _ZN7rocprim17ROCPRIM_400000_NS6detail17trampoline_kernelINS0_14default_configENS1_27scan_by_key_config_selectorIxxEEZZNS1_16scan_by_key_implILNS1_25lookback_scan_determinismE0ELb0ES3_N6thrust23THRUST_200600_302600_NS6detail15normal_iteratorINS9_10device_ptrIxEEEENS9_18transform_iteratorINS9_6negateIxEESE_NS9_11use_defaultESI_EESE_xNS9_4plusIvEENS9_8equal_toIvEExEE10hipError_tPvRmT2_T3_T4_T5_mT6_T7_P12ihipStream_tbENKUlT_T0_E_clISt17integral_constantIbLb1EES14_EEDaSZ_S10_EUlSZ_E_NS1_11comp_targetILNS1_3genE2ELNS1_11target_archE906ELNS1_3gpuE6ELNS1_3repE0EEENS1_30default_config_static_selectorELNS0_4arch9wavefront6targetE0EEEvT1_.kd
    .uniform_work_group_size: 1
    .uses_dynamic_stack: false
    .vgpr_count:     0
    .vgpr_spill_count: 0
    .wavefront_size: 32
  - .args:
      - .offset:         0
        .size:           144
        .value_kind:     by_value
    .group_segment_fixed_size: 0
    .kernarg_segment_align: 8
    .kernarg_segment_size: 144
    .language:       OpenCL C
    .language_version:
      - 2
      - 0
    .max_flat_workgroup_size: 256
    .name:           _ZN7rocprim17ROCPRIM_400000_NS6detail17trampoline_kernelINS0_14default_configENS1_27scan_by_key_config_selectorIxxEEZZNS1_16scan_by_key_implILNS1_25lookback_scan_determinismE0ELb0ES3_N6thrust23THRUST_200600_302600_NS6detail15normal_iteratorINS9_10device_ptrIxEEEENS9_18transform_iteratorINS9_6negateIxEESE_NS9_11use_defaultESI_EESE_xNS9_4plusIvEENS9_8equal_toIvEExEE10hipError_tPvRmT2_T3_T4_T5_mT6_T7_P12ihipStream_tbENKUlT_T0_E_clISt17integral_constantIbLb1EES14_EEDaSZ_S10_EUlSZ_E_NS1_11comp_targetILNS1_3genE10ELNS1_11target_archE1200ELNS1_3gpuE4ELNS1_3repE0EEENS1_30default_config_static_selectorELNS0_4arch9wavefront6targetE0EEEvT1_
    .private_segment_fixed_size: 0
    .sgpr_count:     0
    .sgpr_spill_count: 0
    .symbol:         _ZN7rocprim17ROCPRIM_400000_NS6detail17trampoline_kernelINS0_14default_configENS1_27scan_by_key_config_selectorIxxEEZZNS1_16scan_by_key_implILNS1_25lookback_scan_determinismE0ELb0ES3_N6thrust23THRUST_200600_302600_NS6detail15normal_iteratorINS9_10device_ptrIxEEEENS9_18transform_iteratorINS9_6negateIxEESE_NS9_11use_defaultESI_EESE_xNS9_4plusIvEENS9_8equal_toIvEExEE10hipError_tPvRmT2_T3_T4_T5_mT6_T7_P12ihipStream_tbENKUlT_T0_E_clISt17integral_constantIbLb1EES14_EEDaSZ_S10_EUlSZ_E_NS1_11comp_targetILNS1_3genE10ELNS1_11target_archE1200ELNS1_3gpuE4ELNS1_3repE0EEENS1_30default_config_static_selectorELNS0_4arch9wavefront6targetE0EEEvT1_.kd
    .uniform_work_group_size: 1
    .uses_dynamic_stack: false
    .vgpr_count:     0
    .vgpr_spill_count: 0
    .wavefront_size: 32
  - .args:
      - .offset:         0
        .size:           144
        .value_kind:     by_value
    .group_segment_fixed_size: 0
    .kernarg_segment_align: 8
    .kernarg_segment_size: 144
    .language:       OpenCL C
    .language_version:
      - 2
      - 0
    .max_flat_workgroup_size: 256
    .name:           _ZN7rocprim17ROCPRIM_400000_NS6detail17trampoline_kernelINS0_14default_configENS1_27scan_by_key_config_selectorIxxEEZZNS1_16scan_by_key_implILNS1_25lookback_scan_determinismE0ELb0ES3_N6thrust23THRUST_200600_302600_NS6detail15normal_iteratorINS9_10device_ptrIxEEEENS9_18transform_iteratorINS9_6negateIxEESE_NS9_11use_defaultESI_EESE_xNS9_4plusIvEENS9_8equal_toIvEExEE10hipError_tPvRmT2_T3_T4_T5_mT6_T7_P12ihipStream_tbENKUlT_T0_E_clISt17integral_constantIbLb1EES14_EEDaSZ_S10_EUlSZ_E_NS1_11comp_targetILNS1_3genE9ELNS1_11target_archE1100ELNS1_3gpuE3ELNS1_3repE0EEENS1_30default_config_static_selectorELNS0_4arch9wavefront6targetE0EEEvT1_
    .private_segment_fixed_size: 0
    .sgpr_count:     0
    .sgpr_spill_count: 0
    .symbol:         _ZN7rocprim17ROCPRIM_400000_NS6detail17trampoline_kernelINS0_14default_configENS1_27scan_by_key_config_selectorIxxEEZZNS1_16scan_by_key_implILNS1_25lookback_scan_determinismE0ELb0ES3_N6thrust23THRUST_200600_302600_NS6detail15normal_iteratorINS9_10device_ptrIxEEEENS9_18transform_iteratorINS9_6negateIxEESE_NS9_11use_defaultESI_EESE_xNS9_4plusIvEENS9_8equal_toIvEExEE10hipError_tPvRmT2_T3_T4_T5_mT6_T7_P12ihipStream_tbENKUlT_T0_E_clISt17integral_constantIbLb1EES14_EEDaSZ_S10_EUlSZ_E_NS1_11comp_targetILNS1_3genE9ELNS1_11target_archE1100ELNS1_3gpuE3ELNS1_3repE0EEENS1_30default_config_static_selectorELNS0_4arch9wavefront6targetE0EEEvT1_.kd
    .uniform_work_group_size: 1
    .uses_dynamic_stack: false
    .vgpr_count:     0
    .vgpr_spill_count: 0
    .wavefront_size: 32
  - .args:
      - .offset:         0
        .size:           144
        .value_kind:     by_value
    .group_segment_fixed_size: 0
    .kernarg_segment_align: 8
    .kernarg_segment_size: 144
    .language:       OpenCL C
    .language_version:
      - 2
      - 0
    .max_flat_workgroup_size: 256
    .name:           _ZN7rocprim17ROCPRIM_400000_NS6detail17trampoline_kernelINS0_14default_configENS1_27scan_by_key_config_selectorIxxEEZZNS1_16scan_by_key_implILNS1_25lookback_scan_determinismE0ELb0ES3_N6thrust23THRUST_200600_302600_NS6detail15normal_iteratorINS9_10device_ptrIxEEEENS9_18transform_iteratorINS9_6negateIxEESE_NS9_11use_defaultESI_EESE_xNS9_4plusIvEENS9_8equal_toIvEExEE10hipError_tPvRmT2_T3_T4_T5_mT6_T7_P12ihipStream_tbENKUlT_T0_E_clISt17integral_constantIbLb1EES14_EEDaSZ_S10_EUlSZ_E_NS1_11comp_targetILNS1_3genE8ELNS1_11target_archE1030ELNS1_3gpuE2ELNS1_3repE0EEENS1_30default_config_static_selectorELNS0_4arch9wavefront6targetE0EEEvT1_
    .private_segment_fixed_size: 0
    .sgpr_count:     0
    .sgpr_spill_count: 0
    .symbol:         _ZN7rocprim17ROCPRIM_400000_NS6detail17trampoline_kernelINS0_14default_configENS1_27scan_by_key_config_selectorIxxEEZZNS1_16scan_by_key_implILNS1_25lookback_scan_determinismE0ELb0ES3_N6thrust23THRUST_200600_302600_NS6detail15normal_iteratorINS9_10device_ptrIxEEEENS9_18transform_iteratorINS9_6negateIxEESE_NS9_11use_defaultESI_EESE_xNS9_4plusIvEENS9_8equal_toIvEExEE10hipError_tPvRmT2_T3_T4_T5_mT6_T7_P12ihipStream_tbENKUlT_T0_E_clISt17integral_constantIbLb1EES14_EEDaSZ_S10_EUlSZ_E_NS1_11comp_targetILNS1_3genE8ELNS1_11target_archE1030ELNS1_3gpuE2ELNS1_3repE0EEENS1_30default_config_static_selectorELNS0_4arch9wavefront6targetE0EEEvT1_.kd
    .uniform_work_group_size: 1
    .uses_dynamic_stack: false
    .vgpr_count:     0
    .vgpr_spill_count: 0
    .wavefront_size: 32
  - .args:
      - .offset:         0
        .size:           144
        .value_kind:     by_value
    .group_segment_fixed_size: 0
    .kernarg_segment_align: 8
    .kernarg_segment_size: 144
    .language:       OpenCL C
    .language_version:
      - 2
      - 0
    .max_flat_workgroup_size: 256
    .name:           _ZN7rocprim17ROCPRIM_400000_NS6detail17trampoline_kernelINS0_14default_configENS1_27scan_by_key_config_selectorIxxEEZZNS1_16scan_by_key_implILNS1_25lookback_scan_determinismE0ELb0ES3_N6thrust23THRUST_200600_302600_NS6detail15normal_iteratorINS9_10device_ptrIxEEEENS9_18transform_iteratorINS9_6negateIxEESE_NS9_11use_defaultESI_EESE_xNS9_4plusIvEENS9_8equal_toIvEExEE10hipError_tPvRmT2_T3_T4_T5_mT6_T7_P12ihipStream_tbENKUlT_T0_E_clISt17integral_constantIbLb1EES13_IbLb0EEEEDaSZ_S10_EUlSZ_E_NS1_11comp_targetILNS1_3genE0ELNS1_11target_archE4294967295ELNS1_3gpuE0ELNS1_3repE0EEENS1_30default_config_static_selectorELNS0_4arch9wavefront6targetE0EEEvT1_
    .private_segment_fixed_size: 0
    .sgpr_count:     0
    .sgpr_spill_count: 0
    .symbol:         _ZN7rocprim17ROCPRIM_400000_NS6detail17trampoline_kernelINS0_14default_configENS1_27scan_by_key_config_selectorIxxEEZZNS1_16scan_by_key_implILNS1_25lookback_scan_determinismE0ELb0ES3_N6thrust23THRUST_200600_302600_NS6detail15normal_iteratorINS9_10device_ptrIxEEEENS9_18transform_iteratorINS9_6negateIxEESE_NS9_11use_defaultESI_EESE_xNS9_4plusIvEENS9_8equal_toIvEExEE10hipError_tPvRmT2_T3_T4_T5_mT6_T7_P12ihipStream_tbENKUlT_T0_E_clISt17integral_constantIbLb1EES13_IbLb0EEEEDaSZ_S10_EUlSZ_E_NS1_11comp_targetILNS1_3genE0ELNS1_11target_archE4294967295ELNS1_3gpuE0ELNS1_3repE0EEENS1_30default_config_static_selectorELNS0_4arch9wavefront6targetE0EEEvT1_.kd
    .uniform_work_group_size: 1
    .uses_dynamic_stack: false
    .vgpr_count:     0
    .vgpr_spill_count: 0
    .wavefront_size: 32
  - .args:
      - .offset:         0
        .size:           144
        .value_kind:     by_value
    .group_segment_fixed_size: 0
    .kernarg_segment_align: 8
    .kernarg_segment_size: 144
    .language:       OpenCL C
    .language_version:
      - 2
      - 0
    .max_flat_workgroup_size: 256
    .name:           _ZN7rocprim17ROCPRIM_400000_NS6detail17trampoline_kernelINS0_14default_configENS1_27scan_by_key_config_selectorIxxEEZZNS1_16scan_by_key_implILNS1_25lookback_scan_determinismE0ELb0ES3_N6thrust23THRUST_200600_302600_NS6detail15normal_iteratorINS9_10device_ptrIxEEEENS9_18transform_iteratorINS9_6negateIxEESE_NS9_11use_defaultESI_EESE_xNS9_4plusIvEENS9_8equal_toIvEExEE10hipError_tPvRmT2_T3_T4_T5_mT6_T7_P12ihipStream_tbENKUlT_T0_E_clISt17integral_constantIbLb1EES13_IbLb0EEEEDaSZ_S10_EUlSZ_E_NS1_11comp_targetILNS1_3genE10ELNS1_11target_archE1201ELNS1_3gpuE5ELNS1_3repE0EEENS1_30default_config_static_selectorELNS0_4arch9wavefront6targetE0EEEvT1_
    .private_segment_fixed_size: 0
    .sgpr_count:     0
    .sgpr_spill_count: 0
    .symbol:         _ZN7rocprim17ROCPRIM_400000_NS6detail17trampoline_kernelINS0_14default_configENS1_27scan_by_key_config_selectorIxxEEZZNS1_16scan_by_key_implILNS1_25lookback_scan_determinismE0ELb0ES3_N6thrust23THRUST_200600_302600_NS6detail15normal_iteratorINS9_10device_ptrIxEEEENS9_18transform_iteratorINS9_6negateIxEESE_NS9_11use_defaultESI_EESE_xNS9_4plusIvEENS9_8equal_toIvEExEE10hipError_tPvRmT2_T3_T4_T5_mT6_T7_P12ihipStream_tbENKUlT_T0_E_clISt17integral_constantIbLb1EES13_IbLb0EEEEDaSZ_S10_EUlSZ_E_NS1_11comp_targetILNS1_3genE10ELNS1_11target_archE1201ELNS1_3gpuE5ELNS1_3repE0EEENS1_30default_config_static_selectorELNS0_4arch9wavefront6targetE0EEEvT1_.kd
    .uniform_work_group_size: 1
    .uses_dynamic_stack: false
    .vgpr_count:     0
    .vgpr_spill_count: 0
    .wavefront_size: 32
  - .args:
      - .offset:         0
        .size:           144
        .value_kind:     by_value
    .group_segment_fixed_size: 0
    .kernarg_segment_align: 8
    .kernarg_segment_size: 144
    .language:       OpenCL C
    .language_version:
      - 2
      - 0
    .max_flat_workgroup_size: 256
    .name:           _ZN7rocprim17ROCPRIM_400000_NS6detail17trampoline_kernelINS0_14default_configENS1_27scan_by_key_config_selectorIxxEEZZNS1_16scan_by_key_implILNS1_25lookback_scan_determinismE0ELb0ES3_N6thrust23THRUST_200600_302600_NS6detail15normal_iteratorINS9_10device_ptrIxEEEENS9_18transform_iteratorINS9_6negateIxEESE_NS9_11use_defaultESI_EESE_xNS9_4plusIvEENS9_8equal_toIvEExEE10hipError_tPvRmT2_T3_T4_T5_mT6_T7_P12ihipStream_tbENKUlT_T0_E_clISt17integral_constantIbLb1EES13_IbLb0EEEEDaSZ_S10_EUlSZ_E_NS1_11comp_targetILNS1_3genE5ELNS1_11target_archE942ELNS1_3gpuE9ELNS1_3repE0EEENS1_30default_config_static_selectorELNS0_4arch9wavefront6targetE0EEEvT1_
    .private_segment_fixed_size: 0
    .sgpr_count:     0
    .sgpr_spill_count: 0
    .symbol:         _ZN7rocprim17ROCPRIM_400000_NS6detail17trampoline_kernelINS0_14default_configENS1_27scan_by_key_config_selectorIxxEEZZNS1_16scan_by_key_implILNS1_25lookback_scan_determinismE0ELb0ES3_N6thrust23THRUST_200600_302600_NS6detail15normal_iteratorINS9_10device_ptrIxEEEENS9_18transform_iteratorINS9_6negateIxEESE_NS9_11use_defaultESI_EESE_xNS9_4plusIvEENS9_8equal_toIvEExEE10hipError_tPvRmT2_T3_T4_T5_mT6_T7_P12ihipStream_tbENKUlT_T0_E_clISt17integral_constantIbLb1EES13_IbLb0EEEEDaSZ_S10_EUlSZ_E_NS1_11comp_targetILNS1_3genE5ELNS1_11target_archE942ELNS1_3gpuE9ELNS1_3repE0EEENS1_30default_config_static_selectorELNS0_4arch9wavefront6targetE0EEEvT1_.kd
    .uniform_work_group_size: 1
    .uses_dynamic_stack: false
    .vgpr_count:     0
    .vgpr_spill_count: 0
    .wavefront_size: 32
  - .args:
      - .offset:         0
        .size:           144
        .value_kind:     by_value
    .group_segment_fixed_size: 0
    .kernarg_segment_align: 8
    .kernarg_segment_size: 144
    .language:       OpenCL C
    .language_version:
      - 2
      - 0
    .max_flat_workgroup_size: 64
    .name:           _ZN7rocprim17ROCPRIM_400000_NS6detail17trampoline_kernelINS0_14default_configENS1_27scan_by_key_config_selectorIxxEEZZNS1_16scan_by_key_implILNS1_25lookback_scan_determinismE0ELb0ES3_N6thrust23THRUST_200600_302600_NS6detail15normal_iteratorINS9_10device_ptrIxEEEENS9_18transform_iteratorINS9_6negateIxEESE_NS9_11use_defaultESI_EESE_xNS9_4plusIvEENS9_8equal_toIvEExEE10hipError_tPvRmT2_T3_T4_T5_mT6_T7_P12ihipStream_tbENKUlT_T0_E_clISt17integral_constantIbLb1EES13_IbLb0EEEEDaSZ_S10_EUlSZ_E_NS1_11comp_targetILNS1_3genE4ELNS1_11target_archE910ELNS1_3gpuE8ELNS1_3repE0EEENS1_30default_config_static_selectorELNS0_4arch9wavefront6targetE0EEEvT1_
    .private_segment_fixed_size: 0
    .sgpr_count:     0
    .sgpr_spill_count: 0
    .symbol:         _ZN7rocprim17ROCPRIM_400000_NS6detail17trampoline_kernelINS0_14default_configENS1_27scan_by_key_config_selectorIxxEEZZNS1_16scan_by_key_implILNS1_25lookback_scan_determinismE0ELb0ES3_N6thrust23THRUST_200600_302600_NS6detail15normal_iteratorINS9_10device_ptrIxEEEENS9_18transform_iteratorINS9_6negateIxEESE_NS9_11use_defaultESI_EESE_xNS9_4plusIvEENS9_8equal_toIvEExEE10hipError_tPvRmT2_T3_T4_T5_mT6_T7_P12ihipStream_tbENKUlT_T0_E_clISt17integral_constantIbLb1EES13_IbLb0EEEEDaSZ_S10_EUlSZ_E_NS1_11comp_targetILNS1_3genE4ELNS1_11target_archE910ELNS1_3gpuE8ELNS1_3repE0EEENS1_30default_config_static_selectorELNS0_4arch9wavefront6targetE0EEEvT1_.kd
    .uniform_work_group_size: 1
    .uses_dynamic_stack: false
    .vgpr_count:     0
    .vgpr_spill_count: 0
    .wavefront_size: 32
  - .args:
      - .offset:         0
        .size:           144
        .value_kind:     by_value
    .group_segment_fixed_size: 0
    .kernarg_segment_align: 8
    .kernarg_segment_size: 144
    .language:       OpenCL C
    .language_version:
      - 2
      - 0
    .max_flat_workgroup_size: 256
    .name:           _ZN7rocprim17ROCPRIM_400000_NS6detail17trampoline_kernelINS0_14default_configENS1_27scan_by_key_config_selectorIxxEEZZNS1_16scan_by_key_implILNS1_25lookback_scan_determinismE0ELb0ES3_N6thrust23THRUST_200600_302600_NS6detail15normal_iteratorINS9_10device_ptrIxEEEENS9_18transform_iteratorINS9_6negateIxEESE_NS9_11use_defaultESI_EESE_xNS9_4plusIvEENS9_8equal_toIvEExEE10hipError_tPvRmT2_T3_T4_T5_mT6_T7_P12ihipStream_tbENKUlT_T0_E_clISt17integral_constantIbLb1EES13_IbLb0EEEEDaSZ_S10_EUlSZ_E_NS1_11comp_targetILNS1_3genE3ELNS1_11target_archE908ELNS1_3gpuE7ELNS1_3repE0EEENS1_30default_config_static_selectorELNS0_4arch9wavefront6targetE0EEEvT1_
    .private_segment_fixed_size: 0
    .sgpr_count:     0
    .sgpr_spill_count: 0
    .symbol:         _ZN7rocprim17ROCPRIM_400000_NS6detail17trampoline_kernelINS0_14default_configENS1_27scan_by_key_config_selectorIxxEEZZNS1_16scan_by_key_implILNS1_25lookback_scan_determinismE0ELb0ES3_N6thrust23THRUST_200600_302600_NS6detail15normal_iteratorINS9_10device_ptrIxEEEENS9_18transform_iteratorINS9_6negateIxEESE_NS9_11use_defaultESI_EESE_xNS9_4plusIvEENS9_8equal_toIvEExEE10hipError_tPvRmT2_T3_T4_T5_mT6_T7_P12ihipStream_tbENKUlT_T0_E_clISt17integral_constantIbLb1EES13_IbLb0EEEEDaSZ_S10_EUlSZ_E_NS1_11comp_targetILNS1_3genE3ELNS1_11target_archE908ELNS1_3gpuE7ELNS1_3repE0EEENS1_30default_config_static_selectorELNS0_4arch9wavefront6targetE0EEEvT1_.kd
    .uniform_work_group_size: 1
    .uses_dynamic_stack: false
    .vgpr_count:     0
    .vgpr_spill_count: 0
    .wavefront_size: 32
  - .args:
      - .offset:         0
        .size:           144
        .value_kind:     by_value
    .group_segment_fixed_size: 0
    .kernarg_segment_align: 8
    .kernarg_segment_size: 144
    .language:       OpenCL C
    .language_version:
      - 2
      - 0
    .max_flat_workgroup_size: 256
    .name:           _ZN7rocprim17ROCPRIM_400000_NS6detail17trampoline_kernelINS0_14default_configENS1_27scan_by_key_config_selectorIxxEEZZNS1_16scan_by_key_implILNS1_25lookback_scan_determinismE0ELb0ES3_N6thrust23THRUST_200600_302600_NS6detail15normal_iteratorINS9_10device_ptrIxEEEENS9_18transform_iteratorINS9_6negateIxEESE_NS9_11use_defaultESI_EESE_xNS9_4plusIvEENS9_8equal_toIvEExEE10hipError_tPvRmT2_T3_T4_T5_mT6_T7_P12ihipStream_tbENKUlT_T0_E_clISt17integral_constantIbLb1EES13_IbLb0EEEEDaSZ_S10_EUlSZ_E_NS1_11comp_targetILNS1_3genE2ELNS1_11target_archE906ELNS1_3gpuE6ELNS1_3repE0EEENS1_30default_config_static_selectorELNS0_4arch9wavefront6targetE0EEEvT1_
    .private_segment_fixed_size: 0
    .sgpr_count:     0
    .sgpr_spill_count: 0
    .symbol:         _ZN7rocprim17ROCPRIM_400000_NS6detail17trampoline_kernelINS0_14default_configENS1_27scan_by_key_config_selectorIxxEEZZNS1_16scan_by_key_implILNS1_25lookback_scan_determinismE0ELb0ES3_N6thrust23THRUST_200600_302600_NS6detail15normal_iteratorINS9_10device_ptrIxEEEENS9_18transform_iteratorINS9_6negateIxEESE_NS9_11use_defaultESI_EESE_xNS9_4plusIvEENS9_8equal_toIvEExEE10hipError_tPvRmT2_T3_T4_T5_mT6_T7_P12ihipStream_tbENKUlT_T0_E_clISt17integral_constantIbLb1EES13_IbLb0EEEEDaSZ_S10_EUlSZ_E_NS1_11comp_targetILNS1_3genE2ELNS1_11target_archE906ELNS1_3gpuE6ELNS1_3repE0EEENS1_30default_config_static_selectorELNS0_4arch9wavefront6targetE0EEEvT1_.kd
    .uniform_work_group_size: 1
    .uses_dynamic_stack: false
    .vgpr_count:     0
    .vgpr_spill_count: 0
    .wavefront_size: 32
  - .args:
      - .offset:         0
        .size:           144
        .value_kind:     by_value
    .group_segment_fixed_size: 0
    .kernarg_segment_align: 8
    .kernarg_segment_size: 144
    .language:       OpenCL C
    .language_version:
      - 2
      - 0
    .max_flat_workgroup_size: 256
    .name:           _ZN7rocprim17ROCPRIM_400000_NS6detail17trampoline_kernelINS0_14default_configENS1_27scan_by_key_config_selectorIxxEEZZNS1_16scan_by_key_implILNS1_25lookback_scan_determinismE0ELb0ES3_N6thrust23THRUST_200600_302600_NS6detail15normal_iteratorINS9_10device_ptrIxEEEENS9_18transform_iteratorINS9_6negateIxEESE_NS9_11use_defaultESI_EESE_xNS9_4plusIvEENS9_8equal_toIvEExEE10hipError_tPvRmT2_T3_T4_T5_mT6_T7_P12ihipStream_tbENKUlT_T0_E_clISt17integral_constantIbLb1EES13_IbLb0EEEEDaSZ_S10_EUlSZ_E_NS1_11comp_targetILNS1_3genE10ELNS1_11target_archE1200ELNS1_3gpuE4ELNS1_3repE0EEENS1_30default_config_static_selectorELNS0_4arch9wavefront6targetE0EEEvT1_
    .private_segment_fixed_size: 0
    .sgpr_count:     0
    .sgpr_spill_count: 0
    .symbol:         _ZN7rocprim17ROCPRIM_400000_NS6detail17trampoline_kernelINS0_14default_configENS1_27scan_by_key_config_selectorIxxEEZZNS1_16scan_by_key_implILNS1_25lookback_scan_determinismE0ELb0ES3_N6thrust23THRUST_200600_302600_NS6detail15normal_iteratorINS9_10device_ptrIxEEEENS9_18transform_iteratorINS9_6negateIxEESE_NS9_11use_defaultESI_EESE_xNS9_4plusIvEENS9_8equal_toIvEExEE10hipError_tPvRmT2_T3_T4_T5_mT6_T7_P12ihipStream_tbENKUlT_T0_E_clISt17integral_constantIbLb1EES13_IbLb0EEEEDaSZ_S10_EUlSZ_E_NS1_11comp_targetILNS1_3genE10ELNS1_11target_archE1200ELNS1_3gpuE4ELNS1_3repE0EEENS1_30default_config_static_selectorELNS0_4arch9wavefront6targetE0EEEvT1_.kd
    .uniform_work_group_size: 1
    .uses_dynamic_stack: false
    .vgpr_count:     0
    .vgpr_spill_count: 0
    .wavefront_size: 32
  - .args:
      - .offset:         0
        .size:           144
        .value_kind:     by_value
    .group_segment_fixed_size: 0
    .kernarg_segment_align: 8
    .kernarg_segment_size: 144
    .language:       OpenCL C
    .language_version:
      - 2
      - 0
    .max_flat_workgroup_size: 256
    .name:           _ZN7rocprim17ROCPRIM_400000_NS6detail17trampoline_kernelINS0_14default_configENS1_27scan_by_key_config_selectorIxxEEZZNS1_16scan_by_key_implILNS1_25lookback_scan_determinismE0ELb0ES3_N6thrust23THRUST_200600_302600_NS6detail15normal_iteratorINS9_10device_ptrIxEEEENS9_18transform_iteratorINS9_6negateIxEESE_NS9_11use_defaultESI_EESE_xNS9_4plusIvEENS9_8equal_toIvEExEE10hipError_tPvRmT2_T3_T4_T5_mT6_T7_P12ihipStream_tbENKUlT_T0_E_clISt17integral_constantIbLb1EES13_IbLb0EEEEDaSZ_S10_EUlSZ_E_NS1_11comp_targetILNS1_3genE9ELNS1_11target_archE1100ELNS1_3gpuE3ELNS1_3repE0EEENS1_30default_config_static_selectorELNS0_4arch9wavefront6targetE0EEEvT1_
    .private_segment_fixed_size: 0
    .sgpr_count:     0
    .sgpr_spill_count: 0
    .symbol:         _ZN7rocprim17ROCPRIM_400000_NS6detail17trampoline_kernelINS0_14default_configENS1_27scan_by_key_config_selectorIxxEEZZNS1_16scan_by_key_implILNS1_25lookback_scan_determinismE0ELb0ES3_N6thrust23THRUST_200600_302600_NS6detail15normal_iteratorINS9_10device_ptrIxEEEENS9_18transform_iteratorINS9_6negateIxEESE_NS9_11use_defaultESI_EESE_xNS9_4plusIvEENS9_8equal_toIvEExEE10hipError_tPvRmT2_T3_T4_T5_mT6_T7_P12ihipStream_tbENKUlT_T0_E_clISt17integral_constantIbLb1EES13_IbLb0EEEEDaSZ_S10_EUlSZ_E_NS1_11comp_targetILNS1_3genE9ELNS1_11target_archE1100ELNS1_3gpuE3ELNS1_3repE0EEENS1_30default_config_static_selectorELNS0_4arch9wavefront6targetE0EEEvT1_.kd
    .uniform_work_group_size: 1
    .uses_dynamic_stack: false
    .vgpr_count:     0
    .vgpr_spill_count: 0
    .wavefront_size: 32
  - .args:
      - .offset:         0
        .size:           144
        .value_kind:     by_value
    .group_segment_fixed_size: 0
    .kernarg_segment_align: 8
    .kernarg_segment_size: 144
    .language:       OpenCL C
    .language_version:
      - 2
      - 0
    .max_flat_workgroup_size: 256
    .name:           _ZN7rocprim17ROCPRIM_400000_NS6detail17trampoline_kernelINS0_14default_configENS1_27scan_by_key_config_selectorIxxEEZZNS1_16scan_by_key_implILNS1_25lookback_scan_determinismE0ELb0ES3_N6thrust23THRUST_200600_302600_NS6detail15normal_iteratorINS9_10device_ptrIxEEEENS9_18transform_iteratorINS9_6negateIxEESE_NS9_11use_defaultESI_EESE_xNS9_4plusIvEENS9_8equal_toIvEExEE10hipError_tPvRmT2_T3_T4_T5_mT6_T7_P12ihipStream_tbENKUlT_T0_E_clISt17integral_constantIbLb1EES13_IbLb0EEEEDaSZ_S10_EUlSZ_E_NS1_11comp_targetILNS1_3genE8ELNS1_11target_archE1030ELNS1_3gpuE2ELNS1_3repE0EEENS1_30default_config_static_selectorELNS0_4arch9wavefront6targetE0EEEvT1_
    .private_segment_fixed_size: 0
    .sgpr_count:     0
    .sgpr_spill_count: 0
    .symbol:         _ZN7rocprim17ROCPRIM_400000_NS6detail17trampoline_kernelINS0_14default_configENS1_27scan_by_key_config_selectorIxxEEZZNS1_16scan_by_key_implILNS1_25lookback_scan_determinismE0ELb0ES3_N6thrust23THRUST_200600_302600_NS6detail15normal_iteratorINS9_10device_ptrIxEEEENS9_18transform_iteratorINS9_6negateIxEESE_NS9_11use_defaultESI_EESE_xNS9_4plusIvEENS9_8equal_toIvEExEE10hipError_tPvRmT2_T3_T4_T5_mT6_T7_P12ihipStream_tbENKUlT_T0_E_clISt17integral_constantIbLb1EES13_IbLb0EEEEDaSZ_S10_EUlSZ_E_NS1_11comp_targetILNS1_3genE8ELNS1_11target_archE1030ELNS1_3gpuE2ELNS1_3repE0EEENS1_30default_config_static_selectorELNS0_4arch9wavefront6targetE0EEEvT1_.kd
    .uniform_work_group_size: 1
    .uses_dynamic_stack: false
    .vgpr_count:     0
    .vgpr_spill_count: 0
    .wavefront_size: 32
  - .args:
      - .offset:         0
        .size:           144
        .value_kind:     by_value
    .group_segment_fixed_size: 32768
    .kernarg_segment_align: 8
    .kernarg_segment_size: 144
    .language:       OpenCL C
    .language_version:
      - 2
      - 0
    .max_flat_workgroup_size: 256
    .name:           _ZN7rocprim17ROCPRIM_400000_NS6detail17trampoline_kernelINS0_14default_configENS1_27scan_by_key_config_selectorIxxEEZZNS1_16scan_by_key_implILNS1_25lookback_scan_determinismE0ELb0ES3_N6thrust23THRUST_200600_302600_NS6detail15normal_iteratorINS9_10device_ptrIxEEEENS9_18transform_iteratorINS9_6negateIxEESE_NS9_11use_defaultESI_EESE_xNS9_4plusIvEENS9_8equal_toIvEExEE10hipError_tPvRmT2_T3_T4_T5_mT6_T7_P12ihipStream_tbENKUlT_T0_E_clISt17integral_constantIbLb0EES13_IbLb1EEEEDaSZ_S10_EUlSZ_E_NS1_11comp_targetILNS1_3genE0ELNS1_11target_archE4294967295ELNS1_3gpuE0ELNS1_3repE0EEENS1_30default_config_static_selectorELNS0_4arch9wavefront6targetE0EEEvT1_
    .private_segment_fixed_size: 0
    .sgpr_count:     52
    .sgpr_spill_count: 0
    .symbol:         _ZN7rocprim17ROCPRIM_400000_NS6detail17trampoline_kernelINS0_14default_configENS1_27scan_by_key_config_selectorIxxEEZZNS1_16scan_by_key_implILNS1_25lookback_scan_determinismE0ELb0ES3_N6thrust23THRUST_200600_302600_NS6detail15normal_iteratorINS9_10device_ptrIxEEEENS9_18transform_iteratorINS9_6negateIxEESE_NS9_11use_defaultESI_EESE_xNS9_4plusIvEENS9_8equal_toIvEExEE10hipError_tPvRmT2_T3_T4_T5_mT6_T7_P12ihipStream_tbENKUlT_T0_E_clISt17integral_constantIbLb0EES13_IbLb1EEEEDaSZ_S10_EUlSZ_E_NS1_11comp_targetILNS1_3genE0ELNS1_11target_archE4294967295ELNS1_3gpuE0ELNS1_3repE0EEENS1_30default_config_static_selectorELNS0_4arch9wavefront6targetE0EEEvT1_.kd
    .uniform_work_group_size: 1
    .uses_dynamic_stack: false
    .vgpr_count:     111
    .vgpr_spill_count: 0
    .wavefront_size: 32
  - .args:
      - .offset:         0
        .size:           144
        .value_kind:     by_value
    .group_segment_fixed_size: 0
    .kernarg_segment_align: 8
    .kernarg_segment_size: 144
    .language:       OpenCL C
    .language_version:
      - 2
      - 0
    .max_flat_workgroup_size: 256
    .name:           _ZN7rocprim17ROCPRIM_400000_NS6detail17trampoline_kernelINS0_14default_configENS1_27scan_by_key_config_selectorIxxEEZZNS1_16scan_by_key_implILNS1_25lookback_scan_determinismE0ELb0ES3_N6thrust23THRUST_200600_302600_NS6detail15normal_iteratorINS9_10device_ptrIxEEEENS9_18transform_iteratorINS9_6negateIxEESE_NS9_11use_defaultESI_EESE_xNS9_4plusIvEENS9_8equal_toIvEExEE10hipError_tPvRmT2_T3_T4_T5_mT6_T7_P12ihipStream_tbENKUlT_T0_E_clISt17integral_constantIbLb0EES13_IbLb1EEEEDaSZ_S10_EUlSZ_E_NS1_11comp_targetILNS1_3genE10ELNS1_11target_archE1201ELNS1_3gpuE5ELNS1_3repE0EEENS1_30default_config_static_selectorELNS0_4arch9wavefront6targetE0EEEvT1_
    .private_segment_fixed_size: 0
    .sgpr_count:     0
    .sgpr_spill_count: 0
    .symbol:         _ZN7rocprim17ROCPRIM_400000_NS6detail17trampoline_kernelINS0_14default_configENS1_27scan_by_key_config_selectorIxxEEZZNS1_16scan_by_key_implILNS1_25lookback_scan_determinismE0ELb0ES3_N6thrust23THRUST_200600_302600_NS6detail15normal_iteratorINS9_10device_ptrIxEEEENS9_18transform_iteratorINS9_6negateIxEESE_NS9_11use_defaultESI_EESE_xNS9_4plusIvEENS9_8equal_toIvEExEE10hipError_tPvRmT2_T3_T4_T5_mT6_T7_P12ihipStream_tbENKUlT_T0_E_clISt17integral_constantIbLb0EES13_IbLb1EEEEDaSZ_S10_EUlSZ_E_NS1_11comp_targetILNS1_3genE10ELNS1_11target_archE1201ELNS1_3gpuE5ELNS1_3repE0EEENS1_30default_config_static_selectorELNS0_4arch9wavefront6targetE0EEEvT1_.kd
    .uniform_work_group_size: 1
    .uses_dynamic_stack: false
    .vgpr_count:     0
    .vgpr_spill_count: 0
    .wavefront_size: 32
  - .args:
      - .offset:         0
        .size:           144
        .value_kind:     by_value
    .group_segment_fixed_size: 0
    .kernarg_segment_align: 8
    .kernarg_segment_size: 144
    .language:       OpenCL C
    .language_version:
      - 2
      - 0
    .max_flat_workgroup_size: 256
    .name:           _ZN7rocprim17ROCPRIM_400000_NS6detail17trampoline_kernelINS0_14default_configENS1_27scan_by_key_config_selectorIxxEEZZNS1_16scan_by_key_implILNS1_25lookback_scan_determinismE0ELb0ES3_N6thrust23THRUST_200600_302600_NS6detail15normal_iteratorINS9_10device_ptrIxEEEENS9_18transform_iteratorINS9_6negateIxEESE_NS9_11use_defaultESI_EESE_xNS9_4plusIvEENS9_8equal_toIvEExEE10hipError_tPvRmT2_T3_T4_T5_mT6_T7_P12ihipStream_tbENKUlT_T0_E_clISt17integral_constantIbLb0EES13_IbLb1EEEEDaSZ_S10_EUlSZ_E_NS1_11comp_targetILNS1_3genE5ELNS1_11target_archE942ELNS1_3gpuE9ELNS1_3repE0EEENS1_30default_config_static_selectorELNS0_4arch9wavefront6targetE0EEEvT1_
    .private_segment_fixed_size: 0
    .sgpr_count:     0
    .sgpr_spill_count: 0
    .symbol:         _ZN7rocprim17ROCPRIM_400000_NS6detail17trampoline_kernelINS0_14default_configENS1_27scan_by_key_config_selectorIxxEEZZNS1_16scan_by_key_implILNS1_25lookback_scan_determinismE0ELb0ES3_N6thrust23THRUST_200600_302600_NS6detail15normal_iteratorINS9_10device_ptrIxEEEENS9_18transform_iteratorINS9_6negateIxEESE_NS9_11use_defaultESI_EESE_xNS9_4plusIvEENS9_8equal_toIvEExEE10hipError_tPvRmT2_T3_T4_T5_mT6_T7_P12ihipStream_tbENKUlT_T0_E_clISt17integral_constantIbLb0EES13_IbLb1EEEEDaSZ_S10_EUlSZ_E_NS1_11comp_targetILNS1_3genE5ELNS1_11target_archE942ELNS1_3gpuE9ELNS1_3repE0EEENS1_30default_config_static_selectorELNS0_4arch9wavefront6targetE0EEEvT1_.kd
    .uniform_work_group_size: 1
    .uses_dynamic_stack: false
    .vgpr_count:     0
    .vgpr_spill_count: 0
    .wavefront_size: 32
  - .args:
      - .offset:         0
        .size:           144
        .value_kind:     by_value
    .group_segment_fixed_size: 0
    .kernarg_segment_align: 8
    .kernarg_segment_size: 144
    .language:       OpenCL C
    .language_version:
      - 2
      - 0
    .max_flat_workgroup_size: 64
    .name:           _ZN7rocprim17ROCPRIM_400000_NS6detail17trampoline_kernelINS0_14default_configENS1_27scan_by_key_config_selectorIxxEEZZNS1_16scan_by_key_implILNS1_25lookback_scan_determinismE0ELb0ES3_N6thrust23THRUST_200600_302600_NS6detail15normal_iteratorINS9_10device_ptrIxEEEENS9_18transform_iteratorINS9_6negateIxEESE_NS9_11use_defaultESI_EESE_xNS9_4plusIvEENS9_8equal_toIvEExEE10hipError_tPvRmT2_T3_T4_T5_mT6_T7_P12ihipStream_tbENKUlT_T0_E_clISt17integral_constantIbLb0EES13_IbLb1EEEEDaSZ_S10_EUlSZ_E_NS1_11comp_targetILNS1_3genE4ELNS1_11target_archE910ELNS1_3gpuE8ELNS1_3repE0EEENS1_30default_config_static_selectorELNS0_4arch9wavefront6targetE0EEEvT1_
    .private_segment_fixed_size: 0
    .sgpr_count:     0
    .sgpr_spill_count: 0
    .symbol:         _ZN7rocprim17ROCPRIM_400000_NS6detail17trampoline_kernelINS0_14default_configENS1_27scan_by_key_config_selectorIxxEEZZNS1_16scan_by_key_implILNS1_25lookback_scan_determinismE0ELb0ES3_N6thrust23THRUST_200600_302600_NS6detail15normal_iteratorINS9_10device_ptrIxEEEENS9_18transform_iteratorINS9_6negateIxEESE_NS9_11use_defaultESI_EESE_xNS9_4plusIvEENS9_8equal_toIvEExEE10hipError_tPvRmT2_T3_T4_T5_mT6_T7_P12ihipStream_tbENKUlT_T0_E_clISt17integral_constantIbLb0EES13_IbLb1EEEEDaSZ_S10_EUlSZ_E_NS1_11comp_targetILNS1_3genE4ELNS1_11target_archE910ELNS1_3gpuE8ELNS1_3repE0EEENS1_30default_config_static_selectorELNS0_4arch9wavefront6targetE0EEEvT1_.kd
    .uniform_work_group_size: 1
    .uses_dynamic_stack: false
    .vgpr_count:     0
    .vgpr_spill_count: 0
    .wavefront_size: 32
  - .args:
      - .offset:         0
        .size:           144
        .value_kind:     by_value
    .group_segment_fixed_size: 0
    .kernarg_segment_align: 8
    .kernarg_segment_size: 144
    .language:       OpenCL C
    .language_version:
      - 2
      - 0
    .max_flat_workgroup_size: 256
    .name:           _ZN7rocprim17ROCPRIM_400000_NS6detail17trampoline_kernelINS0_14default_configENS1_27scan_by_key_config_selectorIxxEEZZNS1_16scan_by_key_implILNS1_25lookback_scan_determinismE0ELb0ES3_N6thrust23THRUST_200600_302600_NS6detail15normal_iteratorINS9_10device_ptrIxEEEENS9_18transform_iteratorINS9_6negateIxEESE_NS9_11use_defaultESI_EESE_xNS9_4plusIvEENS9_8equal_toIvEExEE10hipError_tPvRmT2_T3_T4_T5_mT6_T7_P12ihipStream_tbENKUlT_T0_E_clISt17integral_constantIbLb0EES13_IbLb1EEEEDaSZ_S10_EUlSZ_E_NS1_11comp_targetILNS1_3genE3ELNS1_11target_archE908ELNS1_3gpuE7ELNS1_3repE0EEENS1_30default_config_static_selectorELNS0_4arch9wavefront6targetE0EEEvT1_
    .private_segment_fixed_size: 0
    .sgpr_count:     0
    .sgpr_spill_count: 0
    .symbol:         _ZN7rocprim17ROCPRIM_400000_NS6detail17trampoline_kernelINS0_14default_configENS1_27scan_by_key_config_selectorIxxEEZZNS1_16scan_by_key_implILNS1_25lookback_scan_determinismE0ELb0ES3_N6thrust23THRUST_200600_302600_NS6detail15normal_iteratorINS9_10device_ptrIxEEEENS9_18transform_iteratorINS9_6negateIxEESE_NS9_11use_defaultESI_EESE_xNS9_4plusIvEENS9_8equal_toIvEExEE10hipError_tPvRmT2_T3_T4_T5_mT6_T7_P12ihipStream_tbENKUlT_T0_E_clISt17integral_constantIbLb0EES13_IbLb1EEEEDaSZ_S10_EUlSZ_E_NS1_11comp_targetILNS1_3genE3ELNS1_11target_archE908ELNS1_3gpuE7ELNS1_3repE0EEENS1_30default_config_static_selectorELNS0_4arch9wavefront6targetE0EEEvT1_.kd
    .uniform_work_group_size: 1
    .uses_dynamic_stack: false
    .vgpr_count:     0
    .vgpr_spill_count: 0
    .wavefront_size: 32
  - .args:
      - .offset:         0
        .size:           144
        .value_kind:     by_value
    .group_segment_fixed_size: 0
    .kernarg_segment_align: 8
    .kernarg_segment_size: 144
    .language:       OpenCL C
    .language_version:
      - 2
      - 0
    .max_flat_workgroup_size: 256
    .name:           _ZN7rocprim17ROCPRIM_400000_NS6detail17trampoline_kernelINS0_14default_configENS1_27scan_by_key_config_selectorIxxEEZZNS1_16scan_by_key_implILNS1_25lookback_scan_determinismE0ELb0ES3_N6thrust23THRUST_200600_302600_NS6detail15normal_iteratorINS9_10device_ptrIxEEEENS9_18transform_iteratorINS9_6negateIxEESE_NS9_11use_defaultESI_EESE_xNS9_4plusIvEENS9_8equal_toIvEExEE10hipError_tPvRmT2_T3_T4_T5_mT6_T7_P12ihipStream_tbENKUlT_T0_E_clISt17integral_constantIbLb0EES13_IbLb1EEEEDaSZ_S10_EUlSZ_E_NS1_11comp_targetILNS1_3genE2ELNS1_11target_archE906ELNS1_3gpuE6ELNS1_3repE0EEENS1_30default_config_static_selectorELNS0_4arch9wavefront6targetE0EEEvT1_
    .private_segment_fixed_size: 0
    .sgpr_count:     0
    .sgpr_spill_count: 0
    .symbol:         _ZN7rocprim17ROCPRIM_400000_NS6detail17trampoline_kernelINS0_14default_configENS1_27scan_by_key_config_selectorIxxEEZZNS1_16scan_by_key_implILNS1_25lookback_scan_determinismE0ELb0ES3_N6thrust23THRUST_200600_302600_NS6detail15normal_iteratorINS9_10device_ptrIxEEEENS9_18transform_iteratorINS9_6negateIxEESE_NS9_11use_defaultESI_EESE_xNS9_4plusIvEENS9_8equal_toIvEExEE10hipError_tPvRmT2_T3_T4_T5_mT6_T7_P12ihipStream_tbENKUlT_T0_E_clISt17integral_constantIbLb0EES13_IbLb1EEEEDaSZ_S10_EUlSZ_E_NS1_11comp_targetILNS1_3genE2ELNS1_11target_archE906ELNS1_3gpuE6ELNS1_3repE0EEENS1_30default_config_static_selectorELNS0_4arch9wavefront6targetE0EEEvT1_.kd
    .uniform_work_group_size: 1
    .uses_dynamic_stack: false
    .vgpr_count:     0
    .vgpr_spill_count: 0
    .wavefront_size: 32
  - .args:
      - .offset:         0
        .size:           144
        .value_kind:     by_value
    .group_segment_fixed_size: 0
    .kernarg_segment_align: 8
    .kernarg_segment_size: 144
    .language:       OpenCL C
    .language_version:
      - 2
      - 0
    .max_flat_workgroup_size: 256
    .name:           _ZN7rocprim17ROCPRIM_400000_NS6detail17trampoline_kernelINS0_14default_configENS1_27scan_by_key_config_selectorIxxEEZZNS1_16scan_by_key_implILNS1_25lookback_scan_determinismE0ELb0ES3_N6thrust23THRUST_200600_302600_NS6detail15normal_iteratorINS9_10device_ptrIxEEEENS9_18transform_iteratorINS9_6negateIxEESE_NS9_11use_defaultESI_EESE_xNS9_4plusIvEENS9_8equal_toIvEExEE10hipError_tPvRmT2_T3_T4_T5_mT6_T7_P12ihipStream_tbENKUlT_T0_E_clISt17integral_constantIbLb0EES13_IbLb1EEEEDaSZ_S10_EUlSZ_E_NS1_11comp_targetILNS1_3genE10ELNS1_11target_archE1200ELNS1_3gpuE4ELNS1_3repE0EEENS1_30default_config_static_selectorELNS0_4arch9wavefront6targetE0EEEvT1_
    .private_segment_fixed_size: 0
    .sgpr_count:     0
    .sgpr_spill_count: 0
    .symbol:         _ZN7rocprim17ROCPRIM_400000_NS6detail17trampoline_kernelINS0_14default_configENS1_27scan_by_key_config_selectorIxxEEZZNS1_16scan_by_key_implILNS1_25lookback_scan_determinismE0ELb0ES3_N6thrust23THRUST_200600_302600_NS6detail15normal_iteratorINS9_10device_ptrIxEEEENS9_18transform_iteratorINS9_6negateIxEESE_NS9_11use_defaultESI_EESE_xNS9_4plusIvEENS9_8equal_toIvEExEE10hipError_tPvRmT2_T3_T4_T5_mT6_T7_P12ihipStream_tbENKUlT_T0_E_clISt17integral_constantIbLb0EES13_IbLb1EEEEDaSZ_S10_EUlSZ_E_NS1_11comp_targetILNS1_3genE10ELNS1_11target_archE1200ELNS1_3gpuE4ELNS1_3repE0EEENS1_30default_config_static_selectorELNS0_4arch9wavefront6targetE0EEEvT1_.kd
    .uniform_work_group_size: 1
    .uses_dynamic_stack: false
    .vgpr_count:     0
    .vgpr_spill_count: 0
    .wavefront_size: 32
  - .args:
      - .offset:         0
        .size:           144
        .value_kind:     by_value
    .group_segment_fixed_size: 0
    .kernarg_segment_align: 8
    .kernarg_segment_size: 144
    .language:       OpenCL C
    .language_version:
      - 2
      - 0
    .max_flat_workgroup_size: 256
    .name:           _ZN7rocprim17ROCPRIM_400000_NS6detail17trampoline_kernelINS0_14default_configENS1_27scan_by_key_config_selectorIxxEEZZNS1_16scan_by_key_implILNS1_25lookback_scan_determinismE0ELb0ES3_N6thrust23THRUST_200600_302600_NS6detail15normal_iteratorINS9_10device_ptrIxEEEENS9_18transform_iteratorINS9_6negateIxEESE_NS9_11use_defaultESI_EESE_xNS9_4plusIvEENS9_8equal_toIvEExEE10hipError_tPvRmT2_T3_T4_T5_mT6_T7_P12ihipStream_tbENKUlT_T0_E_clISt17integral_constantIbLb0EES13_IbLb1EEEEDaSZ_S10_EUlSZ_E_NS1_11comp_targetILNS1_3genE9ELNS1_11target_archE1100ELNS1_3gpuE3ELNS1_3repE0EEENS1_30default_config_static_selectorELNS0_4arch9wavefront6targetE0EEEvT1_
    .private_segment_fixed_size: 0
    .sgpr_count:     0
    .sgpr_spill_count: 0
    .symbol:         _ZN7rocprim17ROCPRIM_400000_NS6detail17trampoline_kernelINS0_14default_configENS1_27scan_by_key_config_selectorIxxEEZZNS1_16scan_by_key_implILNS1_25lookback_scan_determinismE0ELb0ES3_N6thrust23THRUST_200600_302600_NS6detail15normal_iteratorINS9_10device_ptrIxEEEENS9_18transform_iteratorINS9_6negateIxEESE_NS9_11use_defaultESI_EESE_xNS9_4plusIvEENS9_8equal_toIvEExEE10hipError_tPvRmT2_T3_T4_T5_mT6_T7_P12ihipStream_tbENKUlT_T0_E_clISt17integral_constantIbLb0EES13_IbLb1EEEEDaSZ_S10_EUlSZ_E_NS1_11comp_targetILNS1_3genE9ELNS1_11target_archE1100ELNS1_3gpuE3ELNS1_3repE0EEENS1_30default_config_static_selectorELNS0_4arch9wavefront6targetE0EEEvT1_.kd
    .uniform_work_group_size: 1
    .uses_dynamic_stack: false
    .vgpr_count:     0
    .vgpr_spill_count: 0
    .wavefront_size: 32
  - .args:
      - .offset:         0
        .size:           144
        .value_kind:     by_value
    .group_segment_fixed_size: 0
    .kernarg_segment_align: 8
    .kernarg_segment_size: 144
    .language:       OpenCL C
    .language_version:
      - 2
      - 0
    .max_flat_workgroup_size: 256
    .name:           _ZN7rocprim17ROCPRIM_400000_NS6detail17trampoline_kernelINS0_14default_configENS1_27scan_by_key_config_selectorIxxEEZZNS1_16scan_by_key_implILNS1_25lookback_scan_determinismE0ELb0ES3_N6thrust23THRUST_200600_302600_NS6detail15normal_iteratorINS9_10device_ptrIxEEEENS9_18transform_iteratorINS9_6negateIxEESE_NS9_11use_defaultESI_EESE_xNS9_4plusIvEENS9_8equal_toIvEExEE10hipError_tPvRmT2_T3_T4_T5_mT6_T7_P12ihipStream_tbENKUlT_T0_E_clISt17integral_constantIbLb0EES13_IbLb1EEEEDaSZ_S10_EUlSZ_E_NS1_11comp_targetILNS1_3genE8ELNS1_11target_archE1030ELNS1_3gpuE2ELNS1_3repE0EEENS1_30default_config_static_selectorELNS0_4arch9wavefront6targetE0EEEvT1_
    .private_segment_fixed_size: 0
    .sgpr_count:     0
    .sgpr_spill_count: 0
    .symbol:         _ZN7rocprim17ROCPRIM_400000_NS6detail17trampoline_kernelINS0_14default_configENS1_27scan_by_key_config_selectorIxxEEZZNS1_16scan_by_key_implILNS1_25lookback_scan_determinismE0ELb0ES3_N6thrust23THRUST_200600_302600_NS6detail15normal_iteratorINS9_10device_ptrIxEEEENS9_18transform_iteratorINS9_6negateIxEESE_NS9_11use_defaultESI_EESE_xNS9_4plusIvEENS9_8equal_toIvEExEE10hipError_tPvRmT2_T3_T4_T5_mT6_T7_P12ihipStream_tbENKUlT_T0_E_clISt17integral_constantIbLb0EES13_IbLb1EEEEDaSZ_S10_EUlSZ_E_NS1_11comp_targetILNS1_3genE8ELNS1_11target_archE1030ELNS1_3gpuE2ELNS1_3repE0EEENS1_30default_config_static_selectorELNS0_4arch9wavefront6targetE0EEEvT1_.kd
    .uniform_work_group_size: 1
    .uses_dynamic_stack: false
    .vgpr_count:     0
    .vgpr_spill_count: 0
    .wavefront_size: 32
  - .args:
      - .offset:         0
        .size:           120
        .value_kind:     by_value
    .group_segment_fixed_size: 14336
    .kernarg_segment_align: 8
    .kernarg_segment_size: 120
    .language:       OpenCL C
    .language_version:
      - 2
      - 0
    .max_flat_workgroup_size: 256
    .name:           _ZN7rocprim17ROCPRIM_400000_NS6detail17trampoline_kernelINS0_14default_configENS1_27scan_by_key_config_selectorIiiEEZZNS1_16scan_by_key_implILNS1_25lookback_scan_determinismE0ELb0ES3_N6thrust23THRUST_200600_302600_NS6detail15normal_iteratorINS9_10device_ptrIiEEEENS9_18transform_iteratorINS9_6negateIiEESE_NS9_11use_defaultESI_EESE_iNS9_4plusIvEENS9_8equal_toIvEEiEE10hipError_tPvRmT2_T3_T4_T5_mT6_T7_P12ihipStream_tbENKUlT_T0_E_clISt17integral_constantIbLb0EES14_EEDaSZ_S10_EUlSZ_E_NS1_11comp_targetILNS1_3genE0ELNS1_11target_archE4294967295ELNS1_3gpuE0ELNS1_3repE0EEENS1_30default_config_static_selectorELNS0_4arch9wavefront6targetE0EEEvT1_
    .private_segment_fixed_size: 0
    .sgpr_count:     44
    .sgpr_spill_count: 0
    .symbol:         _ZN7rocprim17ROCPRIM_400000_NS6detail17trampoline_kernelINS0_14default_configENS1_27scan_by_key_config_selectorIiiEEZZNS1_16scan_by_key_implILNS1_25lookback_scan_determinismE0ELb0ES3_N6thrust23THRUST_200600_302600_NS6detail15normal_iteratorINS9_10device_ptrIiEEEENS9_18transform_iteratorINS9_6negateIiEESE_NS9_11use_defaultESI_EESE_iNS9_4plusIvEENS9_8equal_toIvEEiEE10hipError_tPvRmT2_T3_T4_T5_mT6_T7_P12ihipStream_tbENKUlT_T0_E_clISt17integral_constantIbLb0EES14_EEDaSZ_S10_EUlSZ_E_NS1_11comp_targetILNS1_3genE0ELNS1_11target_archE4294967295ELNS1_3gpuE0ELNS1_3repE0EEENS1_30default_config_static_selectorELNS0_4arch9wavefront6targetE0EEEvT1_.kd
    .uniform_work_group_size: 1
    .uses_dynamic_stack: false
    .vgpr_count:     60
    .vgpr_spill_count: 0
    .wavefront_size: 32
  - .args:
      - .offset:         0
        .size:           120
        .value_kind:     by_value
    .group_segment_fixed_size: 0
    .kernarg_segment_align: 8
    .kernarg_segment_size: 120
    .language:       OpenCL C
    .language_version:
      - 2
      - 0
    .max_flat_workgroup_size: 256
    .name:           _ZN7rocprim17ROCPRIM_400000_NS6detail17trampoline_kernelINS0_14default_configENS1_27scan_by_key_config_selectorIiiEEZZNS1_16scan_by_key_implILNS1_25lookback_scan_determinismE0ELb0ES3_N6thrust23THRUST_200600_302600_NS6detail15normal_iteratorINS9_10device_ptrIiEEEENS9_18transform_iteratorINS9_6negateIiEESE_NS9_11use_defaultESI_EESE_iNS9_4plusIvEENS9_8equal_toIvEEiEE10hipError_tPvRmT2_T3_T4_T5_mT6_T7_P12ihipStream_tbENKUlT_T0_E_clISt17integral_constantIbLb0EES14_EEDaSZ_S10_EUlSZ_E_NS1_11comp_targetILNS1_3genE10ELNS1_11target_archE1201ELNS1_3gpuE5ELNS1_3repE0EEENS1_30default_config_static_selectorELNS0_4arch9wavefront6targetE0EEEvT1_
    .private_segment_fixed_size: 0
    .sgpr_count:     0
    .sgpr_spill_count: 0
    .symbol:         _ZN7rocprim17ROCPRIM_400000_NS6detail17trampoline_kernelINS0_14default_configENS1_27scan_by_key_config_selectorIiiEEZZNS1_16scan_by_key_implILNS1_25lookback_scan_determinismE0ELb0ES3_N6thrust23THRUST_200600_302600_NS6detail15normal_iteratorINS9_10device_ptrIiEEEENS9_18transform_iteratorINS9_6negateIiEESE_NS9_11use_defaultESI_EESE_iNS9_4plusIvEENS9_8equal_toIvEEiEE10hipError_tPvRmT2_T3_T4_T5_mT6_T7_P12ihipStream_tbENKUlT_T0_E_clISt17integral_constantIbLb0EES14_EEDaSZ_S10_EUlSZ_E_NS1_11comp_targetILNS1_3genE10ELNS1_11target_archE1201ELNS1_3gpuE5ELNS1_3repE0EEENS1_30default_config_static_selectorELNS0_4arch9wavefront6targetE0EEEvT1_.kd
    .uniform_work_group_size: 1
    .uses_dynamic_stack: false
    .vgpr_count:     0
    .vgpr_spill_count: 0
    .wavefront_size: 32
  - .args:
      - .offset:         0
        .size:           120
        .value_kind:     by_value
    .group_segment_fixed_size: 0
    .kernarg_segment_align: 8
    .kernarg_segment_size: 120
    .language:       OpenCL C
    .language_version:
      - 2
      - 0
    .max_flat_workgroup_size: 256
    .name:           _ZN7rocprim17ROCPRIM_400000_NS6detail17trampoline_kernelINS0_14default_configENS1_27scan_by_key_config_selectorIiiEEZZNS1_16scan_by_key_implILNS1_25lookback_scan_determinismE0ELb0ES3_N6thrust23THRUST_200600_302600_NS6detail15normal_iteratorINS9_10device_ptrIiEEEENS9_18transform_iteratorINS9_6negateIiEESE_NS9_11use_defaultESI_EESE_iNS9_4plusIvEENS9_8equal_toIvEEiEE10hipError_tPvRmT2_T3_T4_T5_mT6_T7_P12ihipStream_tbENKUlT_T0_E_clISt17integral_constantIbLb0EES14_EEDaSZ_S10_EUlSZ_E_NS1_11comp_targetILNS1_3genE5ELNS1_11target_archE942ELNS1_3gpuE9ELNS1_3repE0EEENS1_30default_config_static_selectorELNS0_4arch9wavefront6targetE0EEEvT1_
    .private_segment_fixed_size: 0
    .sgpr_count:     0
    .sgpr_spill_count: 0
    .symbol:         _ZN7rocprim17ROCPRIM_400000_NS6detail17trampoline_kernelINS0_14default_configENS1_27scan_by_key_config_selectorIiiEEZZNS1_16scan_by_key_implILNS1_25lookback_scan_determinismE0ELb0ES3_N6thrust23THRUST_200600_302600_NS6detail15normal_iteratorINS9_10device_ptrIiEEEENS9_18transform_iteratorINS9_6negateIiEESE_NS9_11use_defaultESI_EESE_iNS9_4plusIvEENS9_8equal_toIvEEiEE10hipError_tPvRmT2_T3_T4_T5_mT6_T7_P12ihipStream_tbENKUlT_T0_E_clISt17integral_constantIbLb0EES14_EEDaSZ_S10_EUlSZ_E_NS1_11comp_targetILNS1_3genE5ELNS1_11target_archE942ELNS1_3gpuE9ELNS1_3repE0EEENS1_30default_config_static_selectorELNS0_4arch9wavefront6targetE0EEEvT1_.kd
    .uniform_work_group_size: 1
    .uses_dynamic_stack: false
    .vgpr_count:     0
    .vgpr_spill_count: 0
    .wavefront_size: 32
  - .args:
      - .offset:         0
        .size:           120
        .value_kind:     by_value
    .group_segment_fixed_size: 0
    .kernarg_segment_align: 8
    .kernarg_segment_size: 120
    .language:       OpenCL C
    .language_version:
      - 2
      - 0
    .max_flat_workgroup_size: 256
    .name:           _ZN7rocprim17ROCPRIM_400000_NS6detail17trampoline_kernelINS0_14default_configENS1_27scan_by_key_config_selectorIiiEEZZNS1_16scan_by_key_implILNS1_25lookback_scan_determinismE0ELb0ES3_N6thrust23THRUST_200600_302600_NS6detail15normal_iteratorINS9_10device_ptrIiEEEENS9_18transform_iteratorINS9_6negateIiEESE_NS9_11use_defaultESI_EESE_iNS9_4plusIvEENS9_8equal_toIvEEiEE10hipError_tPvRmT2_T3_T4_T5_mT6_T7_P12ihipStream_tbENKUlT_T0_E_clISt17integral_constantIbLb0EES14_EEDaSZ_S10_EUlSZ_E_NS1_11comp_targetILNS1_3genE4ELNS1_11target_archE910ELNS1_3gpuE8ELNS1_3repE0EEENS1_30default_config_static_selectorELNS0_4arch9wavefront6targetE0EEEvT1_
    .private_segment_fixed_size: 0
    .sgpr_count:     0
    .sgpr_spill_count: 0
    .symbol:         _ZN7rocprim17ROCPRIM_400000_NS6detail17trampoline_kernelINS0_14default_configENS1_27scan_by_key_config_selectorIiiEEZZNS1_16scan_by_key_implILNS1_25lookback_scan_determinismE0ELb0ES3_N6thrust23THRUST_200600_302600_NS6detail15normal_iteratorINS9_10device_ptrIiEEEENS9_18transform_iteratorINS9_6negateIiEESE_NS9_11use_defaultESI_EESE_iNS9_4plusIvEENS9_8equal_toIvEEiEE10hipError_tPvRmT2_T3_T4_T5_mT6_T7_P12ihipStream_tbENKUlT_T0_E_clISt17integral_constantIbLb0EES14_EEDaSZ_S10_EUlSZ_E_NS1_11comp_targetILNS1_3genE4ELNS1_11target_archE910ELNS1_3gpuE8ELNS1_3repE0EEENS1_30default_config_static_selectorELNS0_4arch9wavefront6targetE0EEEvT1_.kd
    .uniform_work_group_size: 1
    .uses_dynamic_stack: false
    .vgpr_count:     0
    .vgpr_spill_count: 0
    .wavefront_size: 32
  - .args:
      - .offset:         0
        .size:           120
        .value_kind:     by_value
    .group_segment_fixed_size: 0
    .kernarg_segment_align: 8
    .kernarg_segment_size: 120
    .language:       OpenCL C
    .language_version:
      - 2
      - 0
    .max_flat_workgroup_size: 256
    .name:           _ZN7rocprim17ROCPRIM_400000_NS6detail17trampoline_kernelINS0_14default_configENS1_27scan_by_key_config_selectorIiiEEZZNS1_16scan_by_key_implILNS1_25lookback_scan_determinismE0ELb0ES3_N6thrust23THRUST_200600_302600_NS6detail15normal_iteratorINS9_10device_ptrIiEEEENS9_18transform_iteratorINS9_6negateIiEESE_NS9_11use_defaultESI_EESE_iNS9_4plusIvEENS9_8equal_toIvEEiEE10hipError_tPvRmT2_T3_T4_T5_mT6_T7_P12ihipStream_tbENKUlT_T0_E_clISt17integral_constantIbLb0EES14_EEDaSZ_S10_EUlSZ_E_NS1_11comp_targetILNS1_3genE3ELNS1_11target_archE908ELNS1_3gpuE7ELNS1_3repE0EEENS1_30default_config_static_selectorELNS0_4arch9wavefront6targetE0EEEvT1_
    .private_segment_fixed_size: 0
    .sgpr_count:     0
    .sgpr_spill_count: 0
    .symbol:         _ZN7rocprim17ROCPRIM_400000_NS6detail17trampoline_kernelINS0_14default_configENS1_27scan_by_key_config_selectorIiiEEZZNS1_16scan_by_key_implILNS1_25lookback_scan_determinismE0ELb0ES3_N6thrust23THRUST_200600_302600_NS6detail15normal_iteratorINS9_10device_ptrIiEEEENS9_18transform_iteratorINS9_6negateIiEESE_NS9_11use_defaultESI_EESE_iNS9_4plusIvEENS9_8equal_toIvEEiEE10hipError_tPvRmT2_T3_T4_T5_mT6_T7_P12ihipStream_tbENKUlT_T0_E_clISt17integral_constantIbLb0EES14_EEDaSZ_S10_EUlSZ_E_NS1_11comp_targetILNS1_3genE3ELNS1_11target_archE908ELNS1_3gpuE7ELNS1_3repE0EEENS1_30default_config_static_selectorELNS0_4arch9wavefront6targetE0EEEvT1_.kd
    .uniform_work_group_size: 1
    .uses_dynamic_stack: false
    .vgpr_count:     0
    .vgpr_spill_count: 0
    .wavefront_size: 32
  - .args:
      - .offset:         0
        .size:           120
        .value_kind:     by_value
    .group_segment_fixed_size: 0
    .kernarg_segment_align: 8
    .kernarg_segment_size: 120
    .language:       OpenCL C
    .language_version:
      - 2
      - 0
    .max_flat_workgroup_size: 256
    .name:           _ZN7rocprim17ROCPRIM_400000_NS6detail17trampoline_kernelINS0_14default_configENS1_27scan_by_key_config_selectorIiiEEZZNS1_16scan_by_key_implILNS1_25lookback_scan_determinismE0ELb0ES3_N6thrust23THRUST_200600_302600_NS6detail15normal_iteratorINS9_10device_ptrIiEEEENS9_18transform_iteratorINS9_6negateIiEESE_NS9_11use_defaultESI_EESE_iNS9_4plusIvEENS9_8equal_toIvEEiEE10hipError_tPvRmT2_T3_T4_T5_mT6_T7_P12ihipStream_tbENKUlT_T0_E_clISt17integral_constantIbLb0EES14_EEDaSZ_S10_EUlSZ_E_NS1_11comp_targetILNS1_3genE2ELNS1_11target_archE906ELNS1_3gpuE6ELNS1_3repE0EEENS1_30default_config_static_selectorELNS0_4arch9wavefront6targetE0EEEvT1_
    .private_segment_fixed_size: 0
    .sgpr_count:     0
    .sgpr_spill_count: 0
    .symbol:         _ZN7rocprim17ROCPRIM_400000_NS6detail17trampoline_kernelINS0_14default_configENS1_27scan_by_key_config_selectorIiiEEZZNS1_16scan_by_key_implILNS1_25lookback_scan_determinismE0ELb0ES3_N6thrust23THRUST_200600_302600_NS6detail15normal_iteratorINS9_10device_ptrIiEEEENS9_18transform_iteratorINS9_6negateIiEESE_NS9_11use_defaultESI_EESE_iNS9_4plusIvEENS9_8equal_toIvEEiEE10hipError_tPvRmT2_T3_T4_T5_mT6_T7_P12ihipStream_tbENKUlT_T0_E_clISt17integral_constantIbLb0EES14_EEDaSZ_S10_EUlSZ_E_NS1_11comp_targetILNS1_3genE2ELNS1_11target_archE906ELNS1_3gpuE6ELNS1_3repE0EEENS1_30default_config_static_selectorELNS0_4arch9wavefront6targetE0EEEvT1_.kd
    .uniform_work_group_size: 1
    .uses_dynamic_stack: false
    .vgpr_count:     0
    .vgpr_spill_count: 0
    .wavefront_size: 32
  - .args:
      - .offset:         0
        .size:           120
        .value_kind:     by_value
    .group_segment_fixed_size: 0
    .kernarg_segment_align: 8
    .kernarg_segment_size: 120
    .language:       OpenCL C
    .language_version:
      - 2
      - 0
    .max_flat_workgroup_size: 256
    .name:           _ZN7rocprim17ROCPRIM_400000_NS6detail17trampoline_kernelINS0_14default_configENS1_27scan_by_key_config_selectorIiiEEZZNS1_16scan_by_key_implILNS1_25lookback_scan_determinismE0ELb0ES3_N6thrust23THRUST_200600_302600_NS6detail15normal_iteratorINS9_10device_ptrIiEEEENS9_18transform_iteratorINS9_6negateIiEESE_NS9_11use_defaultESI_EESE_iNS9_4plusIvEENS9_8equal_toIvEEiEE10hipError_tPvRmT2_T3_T4_T5_mT6_T7_P12ihipStream_tbENKUlT_T0_E_clISt17integral_constantIbLb0EES14_EEDaSZ_S10_EUlSZ_E_NS1_11comp_targetILNS1_3genE10ELNS1_11target_archE1200ELNS1_3gpuE4ELNS1_3repE0EEENS1_30default_config_static_selectorELNS0_4arch9wavefront6targetE0EEEvT1_
    .private_segment_fixed_size: 0
    .sgpr_count:     0
    .sgpr_spill_count: 0
    .symbol:         _ZN7rocprim17ROCPRIM_400000_NS6detail17trampoline_kernelINS0_14default_configENS1_27scan_by_key_config_selectorIiiEEZZNS1_16scan_by_key_implILNS1_25lookback_scan_determinismE0ELb0ES3_N6thrust23THRUST_200600_302600_NS6detail15normal_iteratorINS9_10device_ptrIiEEEENS9_18transform_iteratorINS9_6negateIiEESE_NS9_11use_defaultESI_EESE_iNS9_4plusIvEENS9_8equal_toIvEEiEE10hipError_tPvRmT2_T3_T4_T5_mT6_T7_P12ihipStream_tbENKUlT_T0_E_clISt17integral_constantIbLb0EES14_EEDaSZ_S10_EUlSZ_E_NS1_11comp_targetILNS1_3genE10ELNS1_11target_archE1200ELNS1_3gpuE4ELNS1_3repE0EEENS1_30default_config_static_selectorELNS0_4arch9wavefront6targetE0EEEvT1_.kd
    .uniform_work_group_size: 1
    .uses_dynamic_stack: false
    .vgpr_count:     0
    .vgpr_spill_count: 0
    .wavefront_size: 32
  - .args:
      - .offset:         0
        .size:           120
        .value_kind:     by_value
    .group_segment_fixed_size: 0
    .kernarg_segment_align: 8
    .kernarg_segment_size: 120
    .language:       OpenCL C
    .language_version:
      - 2
      - 0
    .max_flat_workgroup_size: 256
    .name:           _ZN7rocprim17ROCPRIM_400000_NS6detail17trampoline_kernelINS0_14default_configENS1_27scan_by_key_config_selectorIiiEEZZNS1_16scan_by_key_implILNS1_25lookback_scan_determinismE0ELb0ES3_N6thrust23THRUST_200600_302600_NS6detail15normal_iteratorINS9_10device_ptrIiEEEENS9_18transform_iteratorINS9_6negateIiEESE_NS9_11use_defaultESI_EESE_iNS9_4plusIvEENS9_8equal_toIvEEiEE10hipError_tPvRmT2_T3_T4_T5_mT6_T7_P12ihipStream_tbENKUlT_T0_E_clISt17integral_constantIbLb0EES14_EEDaSZ_S10_EUlSZ_E_NS1_11comp_targetILNS1_3genE9ELNS1_11target_archE1100ELNS1_3gpuE3ELNS1_3repE0EEENS1_30default_config_static_selectorELNS0_4arch9wavefront6targetE0EEEvT1_
    .private_segment_fixed_size: 0
    .sgpr_count:     0
    .sgpr_spill_count: 0
    .symbol:         _ZN7rocprim17ROCPRIM_400000_NS6detail17trampoline_kernelINS0_14default_configENS1_27scan_by_key_config_selectorIiiEEZZNS1_16scan_by_key_implILNS1_25lookback_scan_determinismE0ELb0ES3_N6thrust23THRUST_200600_302600_NS6detail15normal_iteratorINS9_10device_ptrIiEEEENS9_18transform_iteratorINS9_6negateIiEESE_NS9_11use_defaultESI_EESE_iNS9_4plusIvEENS9_8equal_toIvEEiEE10hipError_tPvRmT2_T3_T4_T5_mT6_T7_P12ihipStream_tbENKUlT_T0_E_clISt17integral_constantIbLb0EES14_EEDaSZ_S10_EUlSZ_E_NS1_11comp_targetILNS1_3genE9ELNS1_11target_archE1100ELNS1_3gpuE3ELNS1_3repE0EEENS1_30default_config_static_selectorELNS0_4arch9wavefront6targetE0EEEvT1_.kd
    .uniform_work_group_size: 1
    .uses_dynamic_stack: false
    .vgpr_count:     0
    .vgpr_spill_count: 0
    .wavefront_size: 32
  - .args:
      - .offset:         0
        .size:           120
        .value_kind:     by_value
    .group_segment_fixed_size: 0
    .kernarg_segment_align: 8
    .kernarg_segment_size: 120
    .language:       OpenCL C
    .language_version:
      - 2
      - 0
    .max_flat_workgroup_size: 256
    .name:           _ZN7rocprim17ROCPRIM_400000_NS6detail17trampoline_kernelINS0_14default_configENS1_27scan_by_key_config_selectorIiiEEZZNS1_16scan_by_key_implILNS1_25lookback_scan_determinismE0ELb0ES3_N6thrust23THRUST_200600_302600_NS6detail15normal_iteratorINS9_10device_ptrIiEEEENS9_18transform_iteratorINS9_6negateIiEESE_NS9_11use_defaultESI_EESE_iNS9_4plusIvEENS9_8equal_toIvEEiEE10hipError_tPvRmT2_T3_T4_T5_mT6_T7_P12ihipStream_tbENKUlT_T0_E_clISt17integral_constantIbLb0EES14_EEDaSZ_S10_EUlSZ_E_NS1_11comp_targetILNS1_3genE8ELNS1_11target_archE1030ELNS1_3gpuE2ELNS1_3repE0EEENS1_30default_config_static_selectorELNS0_4arch9wavefront6targetE0EEEvT1_
    .private_segment_fixed_size: 0
    .sgpr_count:     0
    .sgpr_spill_count: 0
    .symbol:         _ZN7rocprim17ROCPRIM_400000_NS6detail17trampoline_kernelINS0_14default_configENS1_27scan_by_key_config_selectorIiiEEZZNS1_16scan_by_key_implILNS1_25lookback_scan_determinismE0ELb0ES3_N6thrust23THRUST_200600_302600_NS6detail15normal_iteratorINS9_10device_ptrIiEEEENS9_18transform_iteratorINS9_6negateIiEESE_NS9_11use_defaultESI_EESE_iNS9_4plusIvEENS9_8equal_toIvEEiEE10hipError_tPvRmT2_T3_T4_T5_mT6_T7_P12ihipStream_tbENKUlT_T0_E_clISt17integral_constantIbLb0EES14_EEDaSZ_S10_EUlSZ_E_NS1_11comp_targetILNS1_3genE8ELNS1_11target_archE1030ELNS1_3gpuE2ELNS1_3repE0EEENS1_30default_config_static_selectorELNS0_4arch9wavefront6targetE0EEEvT1_.kd
    .uniform_work_group_size: 1
    .uses_dynamic_stack: false
    .vgpr_count:     0
    .vgpr_spill_count: 0
    .wavefront_size: 32
  - .args:
      - .offset:         0
        .size:           120
        .value_kind:     by_value
    .group_segment_fixed_size: 0
    .kernarg_segment_align: 8
    .kernarg_segment_size: 120
    .language:       OpenCL C
    .language_version:
      - 2
      - 0
    .max_flat_workgroup_size: 256
    .name:           _ZN7rocprim17ROCPRIM_400000_NS6detail17trampoline_kernelINS0_14default_configENS1_27scan_by_key_config_selectorIiiEEZZNS1_16scan_by_key_implILNS1_25lookback_scan_determinismE0ELb0ES3_N6thrust23THRUST_200600_302600_NS6detail15normal_iteratorINS9_10device_ptrIiEEEENS9_18transform_iteratorINS9_6negateIiEESE_NS9_11use_defaultESI_EESE_iNS9_4plusIvEENS9_8equal_toIvEEiEE10hipError_tPvRmT2_T3_T4_T5_mT6_T7_P12ihipStream_tbENKUlT_T0_E_clISt17integral_constantIbLb1EES14_EEDaSZ_S10_EUlSZ_E_NS1_11comp_targetILNS1_3genE0ELNS1_11target_archE4294967295ELNS1_3gpuE0ELNS1_3repE0EEENS1_30default_config_static_selectorELNS0_4arch9wavefront6targetE0EEEvT1_
    .private_segment_fixed_size: 0
    .sgpr_count:     0
    .sgpr_spill_count: 0
    .symbol:         _ZN7rocprim17ROCPRIM_400000_NS6detail17trampoline_kernelINS0_14default_configENS1_27scan_by_key_config_selectorIiiEEZZNS1_16scan_by_key_implILNS1_25lookback_scan_determinismE0ELb0ES3_N6thrust23THRUST_200600_302600_NS6detail15normal_iteratorINS9_10device_ptrIiEEEENS9_18transform_iteratorINS9_6negateIiEESE_NS9_11use_defaultESI_EESE_iNS9_4plusIvEENS9_8equal_toIvEEiEE10hipError_tPvRmT2_T3_T4_T5_mT6_T7_P12ihipStream_tbENKUlT_T0_E_clISt17integral_constantIbLb1EES14_EEDaSZ_S10_EUlSZ_E_NS1_11comp_targetILNS1_3genE0ELNS1_11target_archE4294967295ELNS1_3gpuE0ELNS1_3repE0EEENS1_30default_config_static_selectorELNS0_4arch9wavefront6targetE0EEEvT1_.kd
    .uniform_work_group_size: 1
    .uses_dynamic_stack: false
    .vgpr_count:     0
    .vgpr_spill_count: 0
    .wavefront_size: 32
  - .args:
      - .offset:         0
        .size:           120
        .value_kind:     by_value
    .group_segment_fixed_size: 0
    .kernarg_segment_align: 8
    .kernarg_segment_size: 120
    .language:       OpenCL C
    .language_version:
      - 2
      - 0
    .max_flat_workgroup_size: 256
    .name:           _ZN7rocprim17ROCPRIM_400000_NS6detail17trampoline_kernelINS0_14default_configENS1_27scan_by_key_config_selectorIiiEEZZNS1_16scan_by_key_implILNS1_25lookback_scan_determinismE0ELb0ES3_N6thrust23THRUST_200600_302600_NS6detail15normal_iteratorINS9_10device_ptrIiEEEENS9_18transform_iteratorINS9_6negateIiEESE_NS9_11use_defaultESI_EESE_iNS9_4plusIvEENS9_8equal_toIvEEiEE10hipError_tPvRmT2_T3_T4_T5_mT6_T7_P12ihipStream_tbENKUlT_T0_E_clISt17integral_constantIbLb1EES14_EEDaSZ_S10_EUlSZ_E_NS1_11comp_targetILNS1_3genE10ELNS1_11target_archE1201ELNS1_3gpuE5ELNS1_3repE0EEENS1_30default_config_static_selectorELNS0_4arch9wavefront6targetE0EEEvT1_
    .private_segment_fixed_size: 0
    .sgpr_count:     0
    .sgpr_spill_count: 0
    .symbol:         _ZN7rocprim17ROCPRIM_400000_NS6detail17trampoline_kernelINS0_14default_configENS1_27scan_by_key_config_selectorIiiEEZZNS1_16scan_by_key_implILNS1_25lookback_scan_determinismE0ELb0ES3_N6thrust23THRUST_200600_302600_NS6detail15normal_iteratorINS9_10device_ptrIiEEEENS9_18transform_iteratorINS9_6negateIiEESE_NS9_11use_defaultESI_EESE_iNS9_4plusIvEENS9_8equal_toIvEEiEE10hipError_tPvRmT2_T3_T4_T5_mT6_T7_P12ihipStream_tbENKUlT_T0_E_clISt17integral_constantIbLb1EES14_EEDaSZ_S10_EUlSZ_E_NS1_11comp_targetILNS1_3genE10ELNS1_11target_archE1201ELNS1_3gpuE5ELNS1_3repE0EEENS1_30default_config_static_selectorELNS0_4arch9wavefront6targetE0EEEvT1_.kd
    .uniform_work_group_size: 1
    .uses_dynamic_stack: false
    .vgpr_count:     0
    .vgpr_spill_count: 0
    .wavefront_size: 32
  - .args:
      - .offset:         0
        .size:           120
        .value_kind:     by_value
    .group_segment_fixed_size: 0
    .kernarg_segment_align: 8
    .kernarg_segment_size: 120
    .language:       OpenCL C
    .language_version:
      - 2
      - 0
    .max_flat_workgroup_size: 256
    .name:           _ZN7rocprim17ROCPRIM_400000_NS6detail17trampoline_kernelINS0_14default_configENS1_27scan_by_key_config_selectorIiiEEZZNS1_16scan_by_key_implILNS1_25lookback_scan_determinismE0ELb0ES3_N6thrust23THRUST_200600_302600_NS6detail15normal_iteratorINS9_10device_ptrIiEEEENS9_18transform_iteratorINS9_6negateIiEESE_NS9_11use_defaultESI_EESE_iNS9_4plusIvEENS9_8equal_toIvEEiEE10hipError_tPvRmT2_T3_T4_T5_mT6_T7_P12ihipStream_tbENKUlT_T0_E_clISt17integral_constantIbLb1EES14_EEDaSZ_S10_EUlSZ_E_NS1_11comp_targetILNS1_3genE5ELNS1_11target_archE942ELNS1_3gpuE9ELNS1_3repE0EEENS1_30default_config_static_selectorELNS0_4arch9wavefront6targetE0EEEvT1_
    .private_segment_fixed_size: 0
    .sgpr_count:     0
    .sgpr_spill_count: 0
    .symbol:         _ZN7rocprim17ROCPRIM_400000_NS6detail17trampoline_kernelINS0_14default_configENS1_27scan_by_key_config_selectorIiiEEZZNS1_16scan_by_key_implILNS1_25lookback_scan_determinismE0ELb0ES3_N6thrust23THRUST_200600_302600_NS6detail15normal_iteratorINS9_10device_ptrIiEEEENS9_18transform_iteratorINS9_6negateIiEESE_NS9_11use_defaultESI_EESE_iNS9_4plusIvEENS9_8equal_toIvEEiEE10hipError_tPvRmT2_T3_T4_T5_mT6_T7_P12ihipStream_tbENKUlT_T0_E_clISt17integral_constantIbLb1EES14_EEDaSZ_S10_EUlSZ_E_NS1_11comp_targetILNS1_3genE5ELNS1_11target_archE942ELNS1_3gpuE9ELNS1_3repE0EEENS1_30default_config_static_selectorELNS0_4arch9wavefront6targetE0EEEvT1_.kd
    .uniform_work_group_size: 1
    .uses_dynamic_stack: false
    .vgpr_count:     0
    .vgpr_spill_count: 0
    .wavefront_size: 32
  - .args:
      - .offset:         0
        .size:           120
        .value_kind:     by_value
    .group_segment_fixed_size: 0
    .kernarg_segment_align: 8
    .kernarg_segment_size: 120
    .language:       OpenCL C
    .language_version:
      - 2
      - 0
    .max_flat_workgroup_size: 256
    .name:           _ZN7rocprim17ROCPRIM_400000_NS6detail17trampoline_kernelINS0_14default_configENS1_27scan_by_key_config_selectorIiiEEZZNS1_16scan_by_key_implILNS1_25lookback_scan_determinismE0ELb0ES3_N6thrust23THRUST_200600_302600_NS6detail15normal_iteratorINS9_10device_ptrIiEEEENS9_18transform_iteratorINS9_6negateIiEESE_NS9_11use_defaultESI_EESE_iNS9_4plusIvEENS9_8equal_toIvEEiEE10hipError_tPvRmT2_T3_T4_T5_mT6_T7_P12ihipStream_tbENKUlT_T0_E_clISt17integral_constantIbLb1EES14_EEDaSZ_S10_EUlSZ_E_NS1_11comp_targetILNS1_3genE4ELNS1_11target_archE910ELNS1_3gpuE8ELNS1_3repE0EEENS1_30default_config_static_selectorELNS0_4arch9wavefront6targetE0EEEvT1_
    .private_segment_fixed_size: 0
    .sgpr_count:     0
    .sgpr_spill_count: 0
    .symbol:         _ZN7rocprim17ROCPRIM_400000_NS6detail17trampoline_kernelINS0_14default_configENS1_27scan_by_key_config_selectorIiiEEZZNS1_16scan_by_key_implILNS1_25lookback_scan_determinismE0ELb0ES3_N6thrust23THRUST_200600_302600_NS6detail15normal_iteratorINS9_10device_ptrIiEEEENS9_18transform_iteratorINS9_6negateIiEESE_NS9_11use_defaultESI_EESE_iNS9_4plusIvEENS9_8equal_toIvEEiEE10hipError_tPvRmT2_T3_T4_T5_mT6_T7_P12ihipStream_tbENKUlT_T0_E_clISt17integral_constantIbLb1EES14_EEDaSZ_S10_EUlSZ_E_NS1_11comp_targetILNS1_3genE4ELNS1_11target_archE910ELNS1_3gpuE8ELNS1_3repE0EEENS1_30default_config_static_selectorELNS0_4arch9wavefront6targetE0EEEvT1_.kd
    .uniform_work_group_size: 1
    .uses_dynamic_stack: false
    .vgpr_count:     0
    .vgpr_spill_count: 0
    .wavefront_size: 32
  - .args:
      - .offset:         0
        .size:           120
        .value_kind:     by_value
    .group_segment_fixed_size: 0
    .kernarg_segment_align: 8
    .kernarg_segment_size: 120
    .language:       OpenCL C
    .language_version:
      - 2
      - 0
    .max_flat_workgroup_size: 256
    .name:           _ZN7rocprim17ROCPRIM_400000_NS6detail17trampoline_kernelINS0_14default_configENS1_27scan_by_key_config_selectorIiiEEZZNS1_16scan_by_key_implILNS1_25lookback_scan_determinismE0ELb0ES3_N6thrust23THRUST_200600_302600_NS6detail15normal_iteratorINS9_10device_ptrIiEEEENS9_18transform_iteratorINS9_6negateIiEESE_NS9_11use_defaultESI_EESE_iNS9_4plusIvEENS9_8equal_toIvEEiEE10hipError_tPvRmT2_T3_T4_T5_mT6_T7_P12ihipStream_tbENKUlT_T0_E_clISt17integral_constantIbLb1EES14_EEDaSZ_S10_EUlSZ_E_NS1_11comp_targetILNS1_3genE3ELNS1_11target_archE908ELNS1_3gpuE7ELNS1_3repE0EEENS1_30default_config_static_selectorELNS0_4arch9wavefront6targetE0EEEvT1_
    .private_segment_fixed_size: 0
    .sgpr_count:     0
    .sgpr_spill_count: 0
    .symbol:         _ZN7rocprim17ROCPRIM_400000_NS6detail17trampoline_kernelINS0_14default_configENS1_27scan_by_key_config_selectorIiiEEZZNS1_16scan_by_key_implILNS1_25lookback_scan_determinismE0ELb0ES3_N6thrust23THRUST_200600_302600_NS6detail15normal_iteratorINS9_10device_ptrIiEEEENS9_18transform_iteratorINS9_6negateIiEESE_NS9_11use_defaultESI_EESE_iNS9_4plusIvEENS9_8equal_toIvEEiEE10hipError_tPvRmT2_T3_T4_T5_mT6_T7_P12ihipStream_tbENKUlT_T0_E_clISt17integral_constantIbLb1EES14_EEDaSZ_S10_EUlSZ_E_NS1_11comp_targetILNS1_3genE3ELNS1_11target_archE908ELNS1_3gpuE7ELNS1_3repE0EEENS1_30default_config_static_selectorELNS0_4arch9wavefront6targetE0EEEvT1_.kd
    .uniform_work_group_size: 1
    .uses_dynamic_stack: false
    .vgpr_count:     0
    .vgpr_spill_count: 0
    .wavefront_size: 32
  - .args:
      - .offset:         0
        .size:           120
        .value_kind:     by_value
    .group_segment_fixed_size: 0
    .kernarg_segment_align: 8
    .kernarg_segment_size: 120
    .language:       OpenCL C
    .language_version:
      - 2
      - 0
    .max_flat_workgroup_size: 256
    .name:           _ZN7rocprim17ROCPRIM_400000_NS6detail17trampoline_kernelINS0_14default_configENS1_27scan_by_key_config_selectorIiiEEZZNS1_16scan_by_key_implILNS1_25lookback_scan_determinismE0ELb0ES3_N6thrust23THRUST_200600_302600_NS6detail15normal_iteratorINS9_10device_ptrIiEEEENS9_18transform_iteratorINS9_6negateIiEESE_NS9_11use_defaultESI_EESE_iNS9_4plusIvEENS9_8equal_toIvEEiEE10hipError_tPvRmT2_T3_T4_T5_mT6_T7_P12ihipStream_tbENKUlT_T0_E_clISt17integral_constantIbLb1EES14_EEDaSZ_S10_EUlSZ_E_NS1_11comp_targetILNS1_3genE2ELNS1_11target_archE906ELNS1_3gpuE6ELNS1_3repE0EEENS1_30default_config_static_selectorELNS0_4arch9wavefront6targetE0EEEvT1_
    .private_segment_fixed_size: 0
    .sgpr_count:     0
    .sgpr_spill_count: 0
    .symbol:         _ZN7rocprim17ROCPRIM_400000_NS6detail17trampoline_kernelINS0_14default_configENS1_27scan_by_key_config_selectorIiiEEZZNS1_16scan_by_key_implILNS1_25lookback_scan_determinismE0ELb0ES3_N6thrust23THRUST_200600_302600_NS6detail15normal_iteratorINS9_10device_ptrIiEEEENS9_18transform_iteratorINS9_6negateIiEESE_NS9_11use_defaultESI_EESE_iNS9_4plusIvEENS9_8equal_toIvEEiEE10hipError_tPvRmT2_T3_T4_T5_mT6_T7_P12ihipStream_tbENKUlT_T0_E_clISt17integral_constantIbLb1EES14_EEDaSZ_S10_EUlSZ_E_NS1_11comp_targetILNS1_3genE2ELNS1_11target_archE906ELNS1_3gpuE6ELNS1_3repE0EEENS1_30default_config_static_selectorELNS0_4arch9wavefront6targetE0EEEvT1_.kd
    .uniform_work_group_size: 1
    .uses_dynamic_stack: false
    .vgpr_count:     0
    .vgpr_spill_count: 0
    .wavefront_size: 32
  - .args:
      - .offset:         0
        .size:           120
        .value_kind:     by_value
    .group_segment_fixed_size: 0
    .kernarg_segment_align: 8
    .kernarg_segment_size: 120
    .language:       OpenCL C
    .language_version:
      - 2
      - 0
    .max_flat_workgroup_size: 256
    .name:           _ZN7rocprim17ROCPRIM_400000_NS6detail17trampoline_kernelINS0_14default_configENS1_27scan_by_key_config_selectorIiiEEZZNS1_16scan_by_key_implILNS1_25lookback_scan_determinismE0ELb0ES3_N6thrust23THRUST_200600_302600_NS6detail15normal_iteratorINS9_10device_ptrIiEEEENS9_18transform_iteratorINS9_6negateIiEESE_NS9_11use_defaultESI_EESE_iNS9_4plusIvEENS9_8equal_toIvEEiEE10hipError_tPvRmT2_T3_T4_T5_mT6_T7_P12ihipStream_tbENKUlT_T0_E_clISt17integral_constantIbLb1EES14_EEDaSZ_S10_EUlSZ_E_NS1_11comp_targetILNS1_3genE10ELNS1_11target_archE1200ELNS1_3gpuE4ELNS1_3repE0EEENS1_30default_config_static_selectorELNS0_4arch9wavefront6targetE0EEEvT1_
    .private_segment_fixed_size: 0
    .sgpr_count:     0
    .sgpr_spill_count: 0
    .symbol:         _ZN7rocprim17ROCPRIM_400000_NS6detail17trampoline_kernelINS0_14default_configENS1_27scan_by_key_config_selectorIiiEEZZNS1_16scan_by_key_implILNS1_25lookback_scan_determinismE0ELb0ES3_N6thrust23THRUST_200600_302600_NS6detail15normal_iteratorINS9_10device_ptrIiEEEENS9_18transform_iteratorINS9_6negateIiEESE_NS9_11use_defaultESI_EESE_iNS9_4plusIvEENS9_8equal_toIvEEiEE10hipError_tPvRmT2_T3_T4_T5_mT6_T7_P12ihipStream_tbENKUlT_T0_E_clISt17integral_constantIbLb1EES14_EEDaSZ_S10_EUlSZ_E_NS1_11comp_targetILNS1_3genE10ELNS1_11target_archE1200ELNS1_3gpuE4ELNS1_3repE0EEENS1_30default_config_static_selectorELNS0_4arch9wavefront6targetE0EEEvT1_.kd
    .uniform_work_group_size: 1
    .uses_dynamic_stack: false
    .vgpr_count:     0
    .vgpr_spill_count: 0
    .wavefront_size: 32
  - .args:
      - .offset:         0
        .size:           120
        .value_kind:     by_value
    .group_segment_fixed_size: 0
    .kernarg_segment_align: 8
    .kernarg_segment_size: 120
    .language:       OpenCL C
    .language_version:
      - 2
      - 0
    .max_flat_workgroup_size: 256
    .name:           _ZN7rocprim17ROCPRIM_400000_NS6detail17trampoline_kernelINS0_14default_configENS1_27scan_by_key_config_selectorIiiEEZZNS1_16scan_by_key_implILNS1_25lookback_scan_determinismE0ELb0ES3_N6thrust23THRUST_200600_302600_NS6detail15normal_iteratorINS9_10device_ptrIiEEEENS9_18transform_iteratorINS9_6negateIiEESE_NS9_11use_defaultESI_EESE_iNS9_4plusIvEENS9_8equal_toIvEEiEE10hipError_tPvRmT2_T3_T4_T5_mT6_T7_P12ihipStream_tbENKUlT_T0_E_clISt17integral_constantIbLb1EES14_EEDaSZ_S10_EUlSZ_E_NS1_11comp_targetILNS1_3genE9ELNS1_11target_archE1100ELNS1_3gpuE3ELNS1_3repE0EEENS1_30default_config_static_selectorELNS0_4arch9wavefront6targetE0EEEvT1_
    .private_segment_fixed_size: 0
    .sgpr_count:     0
    .sgpr_spill_count: 0
    .symbol:         _ZN7rocprim17ROCPRIM_400000_NS6detail17trampoline_kernelINS0_14default_configENS1_27scan_by_key_config_selectorIiiEEZZNS1_16scan_by_key_implILNS1_25lookback_scan_determinismE0ELb0ES3_N6thrust23THRUST_200600_302600_NS6detail15normal_iteratorINS9_10device_ptrIiEEEENS9_18transform_iteratorINS9_6negateIiEESE_NS9_11use_defaultESI_EESE_iNS9_4plusIvEENS9_8equal_toIvEEiEE10hipError_tPvRmT2_T3_T4_T5_mT6_T7_P12ihipStream_tbENKUlT_T0_E_clISt17integral_constantIbLb1EES14_EEDaSZ_S10_EUlSZ_E_NS1_11comp_targetILNS1_3genE9ELNS1_11target_archE1100ELNS1_3gpuE3ELNS1_3repE0EEENS1_30default_config_static_selectorELNS0_4arch9wavefront6targetE0EEEvT1_.kd
    .uniform_work_group_size: 1
    .uses_dynamic_stack: false
    .vgpr_count:     0
    .vgpr_spill_count: 0
    .wavefront_size: 32
  - .args:
      - .offset:         0
        .size:           120
        .value_kind:     by_value
    .group_segment_fixed_size: 0
    .kernarg_segment_align: 8
    .kernarg_segment_size: 120
    .language:       OpenCL C
    .language_version:
      - 2
      - 0
    .max_flat_workgroup_size: 256
    .name:           _ZN7rocprim17ROCPRIM_400000_NS6detail17trampoline_kernelINS0_14default_configENS1_27scan_by_key_config_selectorIiiEEZZNS1_16scan_by_key_implILNS1_25lookback_scan_determinismE0ELb0ES3_N6thrust23THRUST_200600_302600_NS6detail15normal_iteratorINS9_10device_ptrIiEEEENS9_18transform_iteratorINS9_6negateIiEESE_NS9_11use_defaultESI_EESE_iNS9_4plusIvEENS9_8equal_toIvEEiEE10hipError_tPvRmT2_T3_T4_T5_mT6_T7_P12ihipStream_tbENKUlT_T0_E_clISt17integral_constantIbLb1EES14_EEDaSZ_S10_EUlSZ_E_NS1_11comp_targetILNS1_3genE8ELNS1_11target_archE1030ELNS1_3gpuE2ELNS1_3repE0EEENS1_30default_config_static_selectorELNS0_4arch9wavefront6targetE0EEEvT1_
    .private_segment_fixed_size: 0
    .sgpr_count:     0
    .sgpr_spill_count: 0
    .symbol:         _ZN7rocprim17ROCPRIM_400000_NS6detail17trampoline_kernelINS0_14default_configENS1_27scan_by_key_config_selectorIiiEEZZNS1_16scan_by_key_implILNS1_25lookback_scan_determinismE0ELb0ES3_N6thrust23THRUST_200600_302600_NS6detail15normal_iteratorINS9_10device_ptrIiEEEENS9_18transform_iteratorINS9_6negateIiEESE_NS9_11use_defaultESI_EESE_iNS9_4plusIvEENS9_8equal_toIvEEiEE10hipError_tPvRmT2_T3_T4_T5_mT6_T7_P12ihipStream_tbENKUlT_T0_E_clISt17integral_constantIbLb1EES14_EEDaSZ_S10_EUlSZ_E_NS1_11comp_targetILNS1_3genE8ELNS1_11target_archE1030ELNS1_3gpuE2ELNS1_3repE0EEENS1_30default_config_static_selectorELNS0_4arch9wavefront6targetE0EEEvT1_.kd
    .uniform_work_group_size: 1
    .uses_dynamic_stack: false
    .vgpr_count:     0
    .vgpr_spill_count: 0
    .wavefront_size: 32
  - .args:
      - .offset:         0
        .size:           120
        .value_kind:     by_value
    .group_segment_fixed_size: 0
    .kernarg_segment_align: 8
    .kernarg_segment_size: 120
    .language:       OpenCL C
    .language_version:
      - 2
      - 0
    .max_flat_workgroup_size: 256
    .name:           _ZN7rocprim17ROCPRIM_400000_NS6detail17trampoline_kernelINS0_14default_configENS1_27scan_by_key_config_selectorIiiEEZZNS1_16scan_by_key_implILNS1_25lookback_scan_determinismE0ELb0ES3_N6thrust23THRUST_200600_302600_NS6detail15normal_iteratorINS9_10device_ptrIiEEEENS9_18transform_iteratorINS9_6negateIiEESE_NS9_11use_defaultESI_EESE_iNS9_4plusIvEENS9_8equal_toIvEEiEE10hipError_tPvRmT2_T3_T4_T5_mT6_T7_P12ihipStream_tbENKUlT_T0_E_clISt17integral_constantIbLb1EES13_IbLb0EEEEDaSZ_S10_EUlSZ_E_NS1_11comp_targetILNS1_3genE0ELNS1_11target_archE4294967295ELNS1_3gpuE0ELNS1_3repE0EEENS1_30default_config_static_selectorELNS0_4arch9wavefront6targetE0EEEvT1_
    .private_segment_fixed_size: 0
    .sgpr_count:     0
    .sgpr_spill_count: 0
    .symbol:         _ZN7rocprim17ROCPRIM_400000_NS6detail17trampoline_kernelINS0_14default_configENS1_27scan_by_key_config_selectorIiiEEZZNS1_16scan_by_key_implILNS1_25lookback_scan_determinismE0ELb0ES3_N6thrust23THRUST_200600_302600_NS6detail15normal_iteratorINS9_10device_ptrIiEEEENS9_18transform_iteratorINS9_6negateIiEESE_NS9_11use_defaultESI_EESE_iNS9_4plusIvEENS9_8equal_toIvEEiEE10hipError_tPvRmT2_T3_T4_T5_mT6_T7_P12ihipStream_tbENKUlT_T0_E_clISt17integral_constantIbLb1EES13_IbLb0EEEEDaSZ_S10_EUlSZ_E_NS1_11comp_targetILNS1_3genE0ELNS1_11target_archE4294967295ELNS1_3gpuE0ELNS1_3repE0EEENS1_30default_config_static_selectorELNS0_4arch9wavefront6targetE0EEEvT1_.kd
    .uniform_work_group_size: 1
    .uses_dynamic_stack: false
    .vgpr_count:     0
    .vgpr_spill_count: 0
    .wavefront_size: 32
  - .args:
      - .offset:         0
        .size:           120
        .value_kind:     by_value
    .group_segment_fixed_size: 0
    .kernarg_segment_align: 8
    .kernarg_segment_size: 120
    .language:       OpenCL C
    .language_version:
      - 2
      - 0
    .max_flat_workgroup_size: 256
    .name:           _ZN7rocprim17ROCPRIM_400000_NS6detail17trampoline_kernelINS0_14default_configENS1_27scan_by_key_config_selectorIiiEEZZNS1_16scan_by_key_implILNS1_25lookback_scan_determinismE0ELb0ES3_N6thrust23THRUST_200600_302600_NS6detail15normal_iteratorINS9_10device_ptrIiEEEENS9_18transform_iteratorINS9_6negateIiEESE_NS9_11use_defaultESI_EESE_iNS9_4plusIvEENS9_8equal_toIvEEiEE10hipError_tPvRmT2_T3_T4_T5_mT6_T7_P12ihipStream_tbENKUlT_T0_E_clISt17integral_constantIbLb1EES13_IbLb0EEEEDaSZ_S10_EUlSZ_E_NS1_11comp_targetILNS1_3genE10ELNS1_11target_archE1201ELNS1_3gpuE5ELNS1_3repE0EEENS1_30default_config_static_selectorELNS0_4arch9wavefront6targetE0EEEvT1_
    .private_segment_fixed_size: 0
    .sgpr_count:     0
    .sgpr_spill_count: 0
    .symbol:         _ZN7rocprim17ROCPRIM_400000_NS6detail17trampoline_kernelINS0_14default_configENS1_27scan_by_key_config_selectorIiiEEZZNS1_16scan_by_key_implILNS1_25lookback_scan_determinismE0ELb0ES3_N6thrust23THRUST_200600_302600_NS6detail15normal_iteratorINS9_10device_ptrIiEEEENS9_18transform_iteratorINS9_6negateIiEESE_NS9_11use_defaultESI_EESE_iNS9_4plusIvEENS9_8equal_toIvEEiEE10hipError_tPvRmT2_T3_T4_T5_mT6_T7_P12ihipStream_tbENKUlT_T0_E_clISt17integral_constantIbLb1EES13_IbLb0EEEEDaSZ_S10_EUlSZ_E_NS1_11comp_targetILNS1_3genE10ELNS1_11target_archE1201ELNS1_3gpuE5ELNS1_3repE0EEENS1_30default_config_static_selectorELNS0_4arch9wavefront6targetE0EEEvT1_.kd
    .uniform_work_group_size: 1
    .uses_dynamic_stack: false
    .vgpr_count:     0
    .vgpr_spill_count: 0
    .wavefront_size: 32
  - .args:
      - .offset:         0
        .size:           120
        .value_kind:     by_value
    .group_segment_fixed_size: 0
    .kernarg_segment_align: 8
    .kernarg_segment_size: 120
    .language:       OpenCL C
    .language_version:
      - 2
      - 0
    .max_flat_workgroup_size: 256
    .name:           _ZN7rocprim17ROCPRIM_400000_NS6detail17trampoline_kernelINS0_14default_configENS1_27scan_by_key_config_selectorIiiEEZZNS1_16scan_by_key_implILNS1_25lookback_scan_determinismE0ELb0ES3_N6thrust23THRUST_200600_302600_NS6detail15normal_iteratorINS9_10device_ptrIiEEEENS9_18transform_iteratorINS9_6negateIiEESE_NS9_11use_defaultESI_EESE_iNS9_4plusIvEENS9_8equal_toIvEEiEE10hipError_tPvRmT2_T3_T4_T5_mT6_T7_P12ihipStream_tbENKUlT_T0_E_clISt17integral_constantIbLb1EES13_IbLb0EEEEDaSZ_S10_EUlSZ_E_NS1_11comp_targetILNS1_3genE5ELNS1_11target_archE942ELNS1_3gpuE9ELNS1_3repE0EEENS1_30default_config_static_selectorELNS0_4arch9wavefront6targetE0EEEvT1_
    .private_segment_fixed_size: 0
    .sgpr_count:     0
    .sgpr_spill_count: 0
    .symbol:         _ZN7rocprim17ROCPRIM_400000_NS6detail17trampoline_kernelINS0_14default_configENS1_27scan_by_key_config_selectorIiiEEZZNS1_16scan_by_key_implILNS1_25lookback_scan_determinismE0ELb0ES3_N6thrust23THRUST_200600_302600_NS6detail15normal_iteratorINS9_10device_ptrIiEEEENS9_18transform_iteratorINS9_6negateIiEESE_NS9_11use_defaultESI_EESE_iNS9_4plusIvEENS9_8equal_toIvEEiEE10hipError_tPvRmT2_T3_T4_T5_mT6_T7_P12ihipStream_tbENKUlT_T0_E_clISt17integral_constantIbLb1EES13_IbLb0EEEEDaSZ_S10_EUlSZ_E_NS1_11comp_targetILNS1_3genE5ELNS1_11target_archE942ELNS1_3gpuE9ELNS1_3repE0EEENS1_30default_config_static_selectorELNS0_4arch9wavefront6targetE0EEEvT1_.kd
    .uniform_work_group_size: 1
    .uses_dynamic_stack: false
    .vgpr_count:     0
    .vgpr_spill_count: 0
    .wavefront_size: 32
  - .args:
      - .offset:         0
        .size:           120
        .value_kind:     by_value
    .group_segment_fixed_size: 0
    .kernarg_segment_align: 8
    .kernarg_segment_size: 120
    .language:       OpenCL C
    .language_version:
      - 2
      - 0
    .max_flat_workgroup_size: 256
    .name:           _ZN7rocprim17ROCPRIM_400000_NS6detail17trampoline_kernelINS0_14default_configENS1_27scan_by_key_config_selectorIiiEEZZNS1_16scan_by_key_implILNS1_25lookback_scan_determinismE0ELb0ES3_N6thrust23THRUST_200600_302600_NS6detail15normal_iteratorINS9_10device_ptrIiEEEENS9_18transform_iteratorINS9_6negateIiEESE_NS9_11use_defaultESI_EESE_iNS9_4plusIvEENS9_8equal_toIvEEiEE10hipError_tPvRmT2_T3_T4_T5_mT6_T7_P12ihipStream_tbENKUlT_T0_E_clISt17integral_constantIbLb1EES13_IbLb0EEEEDaSZ_S10_EUlSZ_E_NS1_11comp_targetILNS1_3genE4ELNS1_11target_archE910ELNS1_3gpuE8ELNS1_3repE0EEENS1_30default_config_static_selectorELNS0_4arch9wavefront6targetE0EEEvT1_
    .private_segment_fixed_size: 0
    .sgpr_count:     0
    .sgpr_spill_count: 0
    .symbol:         _ZN7rocprim17ROCPRIM_400000_NS6detail17trampoline_kernelINS0_14default_configENS1_27scan_by_key_config_selectorIiiEEZZNS1_16scan_by_key_implILNS1_25lookback_scan_determinismE0ELb0ES3_N6thrust23THRUST_200600_302600_NS6detail15normal_iteratorINS9_10device_ptrIiEEEENS9_18transform_iteratorINS9_6negateIiEESE_NS9_11use_defaultESI_EESE_iNS9_4plusIvEENS9_8equal_toIvEEiEE10hipError_tPvRmT2_T3_T4_T5_mT6_T7_P12ihipStream_tbENKUlT_T0_E_clISt17integral_constantIbLb1EES13_IbLb0EEEEDaSZ_S10_EUlSZ_E_NS1_11comp_targetILNS1_3genE4ELNS1_11target_archE910ELNS1_3gpuE8ELNS1_3repE0EEENS1_30default_config_static_selectorELNS0_4arch9wavefront6targetE0EEEvT1_.kd
    .uniform_work_group_size: 1
    .uses_dynamic_stack: false
    .vgpr_count:     0
    .vgpr_spill_count: 0
    .wavefront_size: 32
  - .args:
      - .offset:         0
        .size:           120
        .value_kind:     by_value
    .group_segment_fixed_size: 0
    .kernarg_segment_align: 8
    .kernarg_segment_size: 120
    .language:       OpenCL C
    .language_version:
      - 2
      - 0
    .max_flat_workgroup_size: 256
    .name:           _ZN7rocprim17ROCPRIM_400000_NS6detail17trampoline_kernelINS0_14default_configENS1_27scan_by_key_config_selectorIiiEEZZNS1_16scan_by_key_implILNS1_25lookback_scan_determinismE0ELb0ES3_N6thrust23THRUST_200600_302600_NS6detail15normal_iteratorINS9_10device_ptrIiEEEENS9_18transform_iteratorINS9_6negateIiEESE_NS9_11use_defaultESI_EESE_iNS9_4plusIvEENS9_8equal_toIvEEiEE10hipError_tPvRmT2_T3_T4_T5_mT6_T7_P12ihipStream_tbENKUlT_T0_E_clISt17integral_constantIbLb1EES13_IbLb0EEEEDaSZ_S10_EUlSZ_E_NS1_11comp_targetILNS1_3genE3ELNS1_11target_archE908ELNS1_3gpuE7ELNS1_3repE0EEENS1_30default_config_static_selectorELNS0_4arch9wavefront6targetE0EEEvT1_
    .private_segment_fixed_size: 0
    .sgpr_count:     0
    .sgpr_spill_count: 0
    .symbol:         _ZN7rocprim17ROCPRIM_400000_NS6detail17trampoline_kernelINS0_14default_configENS1_27scan_by_key_config_selectorIiiEEZZNS1_16scan_by_key_implILNS1_25lookback_scan_determinismE0ELb0ES3_N6thrust23THRUST_200600_302600_NS6detail15normal_iteratorINS9_10device_ptrIiEEEENS9_18transform_iteratorINS9_6negateIiEESE_NS9_11use_defaultESI_EESE_iNS9_4plusIvEENS9_8equal_toIvEEiEE10hipError_tPvRmT2_T3_T4_T5_mT6_T7_P12ihipStream_tbENKUlT_T0_E_clISt17integral_constantIbLb1EES13_IbLb0EEEEDaSZ_S10_EUlSZ_E_NS1_11comp_targetILNS1_3genE3ELNS1_11target_archE908ELNS1_3gpuE7ELNS1_3repE0EEENS1_30default_config_static_selectorELNS0_4arch9wavefront6targetE0EEEvT1_.kd
    .uniform_work_group_size: 1
    .uses_dynamic_stack: false
    .vgpr_count:     0
    .vgpr_spill_count: 0
    .wavefront_size: 32
  - .args:
      - .offset:         0
        .size:           120
        .value_kind:     by_value
    .group_segment_fixed_size: 0
    .kernarg_segment_align: 8
    .kernarg_segment_size: 120
    .language:       OpenCL C
    .language_version:
      - 2
      - 0
    .max_flat_workgroup_size: 256
    .name:           _ZN7rocprim17ROCPRIM_400000_NS6detail17trampoline_kernelINS0_14default_configENS1_27scan_by_key_config_selectorIiiEEZZNS1_16scan_by_key_implILNS1_25lookback_scan_determinismE0ELb0ES3_N6thrust23THRUST_200600_302600_NS6detail15normal_iteratorINS9_10device_ptrIiEEEENS9_18transform_iteratorINS9_6negateIiEESE_NS9_11use_defaultESI_EESE_iNS9_4plusIvEENS9_8equal_toIvEEiEE10hipError_tPvRmT2_T3_T4_T5_mT6_T7_P12ihipStream_tbENKUlT_T0_E_clISt17integral_constantIbLb1EES13_IbLb0EEEEDaSZ_S10_EUlSZ_E_NS1_11comp_targetILNS1_3genE2ELNS1_11target_archE906ELNS1_3gpuE6ELNS1_3repE0EEENS1_30default_config_static_selectorELNS0_4arch9wavefront6targetE0EEEvT1_
    .private_segment_fixed_size: 0
    .sgpr_count:     0
    .sgpr_spill_count: 0
    .symbol:         _ZN7rocprim17ROCPRIM_400000_NS6detail17trampoline_kernelINS0_14default_configENS1_27scan_by_key_config_selectorIiiEEZZNS1_16scan_by_key_implILNS1_25lookback_scan_determinismE0ELb0ES3_N6thrust23THRUST_200600_302600_NS6detail15normal_iteratorINS9_10device_ptrIiEEEENS9_18transform_iteratorINS9_6negateIiEESE_NS9_11use_defaultESI_EESE_iNS9_4plusIvEENS9_8equal_toIvEEiEE10hipError_tPvRmT2_T3_T4_T5_mT6_T7_P12ihipStream_tbENKUlT_T0_E_clISt17integral_constantIbLb1EES13_IbLb0EEEEDaSZ_S10_EUlSZ_E_NS1_11comp_targetILNS1_3genE2ELNS1_11target_archE906ELNS1_3gpuE6ELNS1_3repE0EEENS1_30default_config_static_selectorELNS0_4arch9wavefront6targetE0EEEvT1_.kd
    .uniform_work_group_size: 1
    .uses_dynamic_stack: false
    .vgpr_count:     0
    .vgpr_spill_count: 0
    .wavefront_size: 32
  - .args:
      - .offset:         0
        .size:           120
        .value_kind:     by_value
    .group_segment_fixed_size: 0
    .kernarg_segment_align: 8
    .kernarg_segment_size: 120
    .language:       OpenCL C
    .language_version:
      - 2
      - 0
    .max_flat_workgroup_size: 256
    .name:           _ZN7rocprim17ROCPRIM_400000_NS6detail17trampoline_kernelINS0_14default_configENS1_27scan_by_key_config_selectorIiiEEZZNS1_16scan_by_key_implILNS1_25lookback_scan_determinismE0ELb0ES3_N6thrust23THRUST_200600_302600_NS6detail15normal_iteratorINS9_10device_ptrIiEEEENS9_18transform_iteratorINS9_6negateIiEESE_NS9_11use_defaultESI_EESE_iNS9_4plusIvEENS9_8equal_toIvEEiEE10hipError_tPvRmT2_T3_T4_T5_mT6_T7_P12ihipStream_tbENKUlT_T0_E_clISt17integral_constantIbLb1EES13_IbLb0EEEEDaSZ_S10_EUlSZ_E_NS1_11comp_targetILNS1_3genE10ELNS1_11target_archE1200ELNS1_3gpuE4ELNS1_3repE0EEENS1_30default_config_static_selectorELNS0_4arch9wavefront6targetE0EEEvT1_
    .private_segment_fixed_size: 0
    .sgpr_count:     0
    .sgpr_spill_count: 0
    .symbol:         _ZN7rocprim17ROCPRIM_400000_NS6detail17trampoline_kernelINS0_14default_configENS1_27scan_by_key_config_selectorIiiEEZZNS1_16scan_by_key_implILNS1_25lookback_scan_determinismE0ELb0ES3_N6thrust23THRUST_200600_302600_NS6detail15normal_iteratorINS9_10device_ptrIiEEEENS9_18transform_iteratorINS9_6negateIiEESE_NS9_11use_defaultESI_EESE_iNS9_4plusIvEENS9_8equal_toIvEEiEE10hipError_tPvRmT2_T3_T4_T5_mT6_T7_P12ihipStream_tbENKUlT_T0_E_clISt17integral_constantIbLb1EES13_IbLb0EEEEDaSZ_S10_EUlSZ_E_NS1_11comp_targetILNS1_3genE10ELNS1_11target_archE1200ELNS1_3gpuE4ELNS1_3repE0EEENS1_30default_config_static_selectorELNS0_4arch9wavefront6targetE0EEEvT1_.kd
    .uniform_work_group_size: 1
    .uses_dynamic_stack: false
    .vgpr_count:     0
    .vgpr_spill_count: 0
    .wavefront_size: 32
  - .args:
      - .offset:         0
        .size:           120
        .value_kind:     by_value
    .group_segment_fixed_size: 0
    .kernarg_segment_align: 8
    .kernarg_segment_size: 120
    .language:       OpenCL C
    .language_version:
      - 2
      - 0
    .max_flat_workgroup_size: 256
    .name:           _ZN7rocprim17ROCPRIM_400000_NS6detail17trampoline_kernelINS0_14default_configENS1_27scan_by_key_config_selectorIiiEEZZNS1_16scan_by_key_implILNS1_25lookback_scan_determinismE0ELb0ES3_N6thrust23THRUST_200600_302600_NS6detail15normal_iteratorINS9_10device_ptrIiEEEENS9_18transform_iteratorINS9_6negateIiEESE_NS9_11use_defaultESI_EESE_iNS9_4plusIvEENS9_8equal_toIvEEiEE10hipError_tPvRmT2_T3_T4_T5_mT6_T7_P12ihipStream_tbENKUlT_T0_E_clISt17integral_constantIbLb1EES13_IbLb0EEEEDaSZ_S10_EUlSZ_E_NS1_11comp_targetILNS1_3genE9ELNS1_11target_archE1100ELNS1_3gpuE3ELNS1_3repE0EEENS1_30default_config_static_selectorELNS0_4arch9wavefront6targetE0EEEvT1_
    .private_segment_fixed_size: 0
    .sgpr_count:     0
    .sgpr_spill_count: 0
    .symbol:         _ZN7rocprim17ROCPRIM_400000_NS6detail17trampoline_kernelINS0_14default_configENS1_27scan_by_key_config_selectorIiiEEZZNS1_16scan_by_key_implILNS1_25lookback_scan_determinismE0ELb0ES3_N6thrust23THRUST_200600_302600_NS6detail15normal_iteratorINS9_10device_ptrIiEEEENS9_18transform_iteratorINS9_6negateIiEESE_NS9_11use_defaultESI_EESE_iNS9_4plusIvEENS9_8equal_toIvEEiEE10hipError_tPvRmT2_T3_T4_T5_mT6_T7_P12ihipStream_tbENKUlT_T0_E_clISt17integral_constantIbLb1EES13_IbLb0EEEEDaSZ_S10_EUlSZ_E_NS1_11comp_targetILNS1_3genE9ELNS1_11target_archE1100ELNS1_3gpuE3ELNS1_3repE0EEENS1_30default_config_static_selectorELNS0_4arch9wavefront6targetE0EEEvT1_.kd
    .uniform_work_group_size: 1
    .uses_dynamic_stack: false
    .vgpr_count:     0
    .vgpr_spill_count: 0
    .wavefront_size: 32
  - .args:
      - .offset:         0
        .size:           120
        .value_kind:     by_value
    .group_segment_fixed_size: 0
    .kernarg_segment_align: 8
    .kernarg_segment_size: 120
    .language:       OpenCL C
    .language_version:
      - 2
      - 0
    .max_flat_workgroup_size: 256
    .name:           _ZN7rocprim17ROCPRIM_400000_NS6detail17trampoline_kernelINS0_14default_configENS1_27scan_by_key_config_selectorIiiEEZZNS1_16scan_by_key_implILNS1_25lookback_scan_determinismE0ELb0ES3_N6thrust23THRUST_200600_302600_NS6detail15normal_iteratorINS9_10device_ptrIiEEEENS9_18transform_iteratorINS9_6negateIiEESE_NS9_11use_defaultESI_EESE_iNS9_4plusIvEENS9_8equal_toIvEEiEE10hipError_tPvRmT2_T3_T4_T5_mT6_T7_P12ihipStream_tbENKUlT_T0_E_clISt17integral_constantIbLb1EES13_IbLb0EEEEDaSZ_S10_EUlSZ_E_NS1_11comp_targetILNS1_3genE8ELNS1_11target_archE1030ELNS1_3gpuE2ELNS1_3repE0EEENS1_30default_config_static_selectorELNS0_4arch9wavefront6targetE0EEEvT1_
    .private_segment_fixed_size: 0
    .sgpr_count:     0
    .sgpr_spill_count: 0
    .symbol:         _ZN7rocprim17ROCPRIM_400000_NS6detail17trampoline_kernelINS0_14default_configENS1_27scan_by_key_config_selectorIiiEEZZNS1_16scan_by_key_implILNS1_25lookback_scan_determinismE0ELb0ES3_N6thrust23THRUST_200600_302600_NS6detail15normal_iteratorINS9_10device_ptrIiEEEENS9_18transform_iteratorINS9_6negateIiEESE_NS9_11use_defaultESI_EESE_iNS9_4plusIvEENS9_8equal_toIvEEiEE10hipError_tPvRmT2_T3_T4_T5_mT6_T7_P12ihipStream_tbENKUlT_T0_E_clISt17integral_constantIbLb1EES13_IbLb0EEEEDaSZ_S10_EUlSZ_E_NS1_11comp_targetILNS1_3genE8ELNS1_11target_archE1030ELNS1_3gpuE2ELNS1_3repE0EEENS1_30default_config_static_selectorELNS0_4arch9wavefront6targetE0EEEvT1_.kd
    .uniform_work_group_size: 1
    .uses_dynamic_stack: false
    .vgpr_count:     0
    .vgpr_spill_count: 0
    .wavefront_size: 32
  - .args:
      - .offset:         0
        .size:           120
        .value_kind:     by_value
    .group_segment_fixed_size: 14336
    .kernarg_segment_align: 8
    .kernarg_segment_size: 120
    .language:       OpenCL C
    .language_version:
      - 2
      - 0
    .max_flat_workgroup_size: 256
    .name:           _ZN7rocprim17ROCPRIM_400000_NS6detail17trampoline_kernelINS0_14default_configENS1_27scan_by_key_config_selectorIiiEEZZNS1_16scan_by_key_implILNS1_25lookback_scan_determinismE0ELb0ES3_N6thrust23THRUST_200600_302600_NS6detail15normal_iteratorINS9_10device_ptrIiEEEENS9_18transform_iteratorINS9_6negateIiEESE_NS9_11use_defaultESI_EESE_iNS9_4plusIvEENS9_8equal_toIvEEiEE10hipError_tPvRmT2_T3_T4_T5_mT6_T7_P12ihipStream_tbENKUlT_T0_E_clISt17integral_constantIbLb0EES13_IbLb1EEEEDaSZ_S10_EUlSZ_E_NS1_11comp_targetILNS1_3genE0ELNS1_11target_archE4294967295ELNS1_3gpuE0ELNS1_3repE0EEENS1_30default_config_static_selectorELNS0_4arch9wavefront6targetE0EEEvT1_
    .private_segment_fixed_size: 0
    .sgpr_count:     46
    .sgpr_spill_count: 0
    .symbol:         _ZN7rocprim17ROCPRIM_400000_NS6detail17trampoline_kernelINS0_14default_configENS1_27scan_by_key_config_selectorIiiEEZZNS1_16scan_by_key_implILNS1_25lookback_scan_determinismE0ELb0ES3_N6thrust23THRUST_200600_302600_NS6detail15normal_iteratorINS9_10device_ptrIiEEEENS9_18transform_iteratorINS9_6negateIiEESE_NS9_11use_defaultESI_EESE_iNS9_4plusIvEENS9_8equal_toIvEEiEE10hipError_tPvRmT2_T3_T4_T5_mT6_T7_P12ihipStream_tbENKUlT_T0_E_clISt17integral_constantIbLb0EES13_IbLb1EEEEDaSZ_S10_EUlSZ_E_NS1_11comp_targetILNS1_3genE0ELNS1_11target_archE4294967295ELNS1_3gpuE0ELNS1_3repE0EEENS1_30default_config_static_selectorELNS0_4arch9wavefront6targetE0EEEvT1_.kd
    .uniform_work_group_size: 1
    .uses_dynamic_stack: false
    .vgpr_count:     60
    .vgpr_spill_count: 0
    .wavefront_size: 32
  - .args:
      - .offset:         0
        .size:           120
        .value_kind:     by_value
    .group_segment_fixed_size: 0
    .kernarg_segment_align: 8
    .kernarg_segment_size: 120
    .language:       OpenCL C
    .language_version:
      - 2
      - 0
    .max_flat_workgroup_size: 256
    .name:           _ZN7rocprim17ROCPRIM_400000_NS6detail17trampoline_kernelINS0_14default_configENS1_27scan_by_key_config_selectorIiiEEZZNS1_16scan_by_key_implILNS1_25lookback_scan_determinismE0ELb0ES3_N6thrust23THRUST_200600_302600_NS6detail15normal_iteratorINS9_10device_ptrIiEEEENS9_18transform_iteratorINS9_6negateIiEESE_NS9_11use_defaultESI_EESE_iNS9_4plusIvEENS9_8equal_toIvEEiEE10hipError_tPvRmT2_T3_T4_T5_mT6_T7_P12ihipStream_tbENKUlT_T0_E_clISt17integral_constantIbLb0EES13_IbLb1EEEEDaSZ_S10_EUlSZ_E_NS1_11comp_targetILNS1_3genE10ELNS1_11target_archE1201ELNS1_3gpuE5ELNS1_3repE0EEENS1_30default_config_static_selectorELNS0_4arch9wavefront6targetE0EEEvT1_
    .private_segment_fixed_size: 0
    .sgpr_count:     0
    .sgpr_spill_count: 0
    .symbol:         _ZN7rocprim17ROCPRIM_400000_NS6detail17trampoline_kernelINS0_14default_configENS1_27scan_by_key_config_selectorIiiEEZZNS1_16scan_by_key_implILNS1_25lookback_scan_determinismE0ELb0ES3_N6thrust23THRUST_200600_302600_NS6detail15normal_iteratorINS9_10device_ptrIiEEEENS9_18transform_iteratorINS9_6negateIiEESE_NS9_11use_defaultESI_EESE_iNS9_4plusIvEENS9_8equal_toIvEEiEE10hipError_tPvRmT2_T3_T4_T5_mT6_T7_P12ihipStream_tbENKUlT_T0_E_clISt17integral_constantIbLb0EES13_IbLb1EEEEDaSZ_S10_EUlSZ_E_NS1_11comp_targetILNS1_3genE10ELNS1_11target_archE1201ELNS1_3gpuE5ELNS1_3repE0EEENS1_30default_config_static_selectorELNS0_4arch9wavefront6targetE0EEEvT1_.kd
    .uniform_work_group_size: 1
    .uses_dynamic_stack: false
    .vgpr_count:     0
    .vgpr_spill_count: 0
    .wavefront_size: 32
  - .args:
      - .offset:         0
        .size:           120
        .value_kind:     by_value
    .group_segment_fixed_size: 0
    .kernarg_segment_align: 8
    .kernarg_segment_size: 120
    .language:       OpenCL C
    .language_version:
      - 2
      - 0
    .max_flat_workgroup_size: 256
    .name:           _ZN7rocprim17ROCPRIM_400000_NS6detail17trampoline_kernelINS0_14default_configENS1_27scan_by_key_config_selectorIiiEEZZNS1_16scan_by_key_implILNS1_25lookback_scan_determinismE0ELb0ES3_N6thrust23THRUST_200600_302600_NS6detail15normal_iteratorINS9_10device_ptrIiEEEENS9_18transform_iteratorINS9_6negateIiEESE_NS9_11use_defaultESI_EESE_iNS9_4plusIvEENS9_8equal_toIvEEiEE10hipError_tPvRmT2_T3_T4_T5_mT6_T7_P12ihipStream_tbENKUlT_T0_E_clISt17integral_constantIbLb0EES13_IbLb1EEEEDaSZ_S10_EUlSZ_E_NS1_11comp_targetILNS1_3genE5ELNS1_11target_archE942ELNS1_3gpuE9ELNS1_3repE0EEENS1_30default_config_static_selectorELNS0_4arch9wavefront6targetE0EEEvT1_
    .private_segment_fixed_size: 0
    .sgpr_count:     0
    .sgpr_spill_count: 0
    .symbol:         _ZN7rocprim17ROCPRIM_400000_NS6detail17trampoline_kernelINS0_14default_configENS1_27scan_by_key_config_selectorIiiEEZZNS1_16scan_by_key_implILNS1_25lookback_scan_determinismE0ELb0ES3_N6thrust23THRUST_200600_302600_NS6detail15normal_iteratorINS9_10device_ptrIiEEEENS9_18transform_iteratorINS9_6negateIiEESE_NS9_11use_defaultESI_EESE_iNS9_4plusIvEENS9_8equal_toIvEEiEE10hipError_tPvRmT2_T3_T4_T5_mT6_T7_P12ihipStream_tbENKUlT_T0_E_clISt17integral_constantIbLb0EES13_IbLb1EEEEDaSZ_S10_EUlSZ_E_NS1_11comp_targetILNS1_3genE5ELNS1_11target_archE942ELNS1_3gpuE9ELNS1_3repE0EEENS1_30default_config_static_selectorELNS0_4arch9wavefront6targetE0EEEvT1_.kd
    .uniform_work_group_size: 1
    .uses_dynamic_stack: false
    .vgpr_count:     0
    .vgpr_spill_count: 0
    .wavefront_size: 32
  - .args:
      - .offset:         0
        .size:           120
        .value_kind:     by_value
    .group_segment_fixed_size: 0
    .kernarg_segment_align: 8
    .kernarg_segment_size: 120
    .language:       OpenCL C
    .language_version:
      - 2
      - 0
    .max_flat_workgroup_size: 256
    .name:           _ZN7rocprim17ROCPRIM_400000_NS6detail17trampoline_kernelINS0_14default_configENS1_27scan_by_key_config_selectorIiiEEZZNS1_16scan_by_key_implILNS1_25lookback_scan_determinismE0ELb0ES3_N6thrust23THRUST_200600_302600_NS6detail15normal_iteratorINS9_10device_ptrIiEEEENS9_18transform_iteratorINS9_6negateIiEESE_NS9_11use_defaultESI_EESE_iNS9_4plusIvEENS9_8equal_toIvEEiEE10hipError_tPvRmT2_T3_T4_T5_mT6_T7_P12ihipStream_tbENKUlT_T0_E_clISt17integral_constantIbLb0EES13_IbLb1EEEEDaSZ_S10_EUlSZ_E_NS1_11comp_targetILNS1_3genE4ELNS1_11target_archE910ELNS1_3gpuE8ELNS1_3repE0EEENS1_30default_config_static_selectorELNS0_4arch9wavefront6targetE0EEEvT1_
    .private_segment_fixed_size: 0
    .sgpr_count:     0
    .sgpr_spill_count: 0
    .symbol:         _ZN7rocprim17ROCPRIM_400000_NS6detail17trampoline_kernelINS0_14default_configENS1_27scan_by_key_config_selectorIiiEEZZNS1_16scan_by_key_implILNS1_25lookback_scan_determinismE0ELb0ES3_N6thrust23THRUST_200600_302600_NS6detail15normal_iteratorINS9_10device_ptrIiEEEENS9_18transform_iteratorINS9_6negateIiEESE_NS9_11use_defaultESI_EESE_iNS9_4plusIvEENS9_8equal_toIvEEiEE10hipError_tPvRmT2_T3_T4_T5_mT6_T7_P12ihipStream_tbENKUlT_T0_E_clISt17integral_constantIbLb0EES13_IbLb1EEEEDaSZ_S10_EUlSZ_E_NS1_11comp_targetILNS1_3genE4ELNS1_11target_archE910ELNS1_3gpuE8ELNS1_3repE0EEENS1_30default_config_static_selectorELNS0_4arch9wavefront6targetE0EEEvT1_.kd
    .uniform_work_group_size: 1
    .uses_dynamic_stack: false
    .vgpr_count:     0
    .vgpr_spill_count: 0
    .wavefront_size: 32
  - .args:
      - .offset:         0
        .size:           120
        .value_kind:     by_value
    .group_segment_fixed_size: 0
    .kernarg_segment_align: 8
    .kernarg_segment_size: 120
    .language:       OpenCL C
    .language_version:
      - 2
      - 0
    .max_flat_workgroup_size: 256
    .name:           _ZN7rocprim17ROCPRIM_400000_NS6detail17trampoline_kernelINS0_14default_configENS1_27scan_by_key_config_selectorIiiEEZZNS1_16scan_by_key_implILNS1_25lookback_scan_determinismE0ELb0ES3_N6thrust23THRUST_200600_302600_NS6detail15normal_iteratorINS9_10device_ptrIiEEEENS9_18transform_iteratorINS9_6negateIiEESE_NS9_11use_defaultESI_EESE_iNS9_4plusIvEENS9_8equal_toIvEEiEE10hipError_tPvRmT2_T3_T4_T5_mT6_T7_P12ihipStream_tbENKUlT_T0_E_clISt17integral_constantIbLb0EES13_IbLb1EEEEDaSZ_S10_EUlSZ_E_NS1_11comp_targetILNS1_3genE3ELNS1_11target_archE908ELNS1_3gpuE7ELNS1_3repE0EEENS1_30default_config_static_selectorELNS0_4arch9wavefront6targetE0EEEvT1_
    .private_segment_fixed_size: 0
    .sgpr_count:     0
    .sgpr_spill_count: 0
    .symbol:         _ZN7rocprim17ROCPRIM_400000_NS6detail17trampoline_kernelINS0_14default_configENS1_27scan_by_key_config_selectorIiiEEZZNS1_16scan_by_key_implILNS1_25lookback_scan_determinismE0ELb0ES3_N6thrust23THRUST_200600_302600_NS6detail15normal_iteratorINS9_10device_ptrIiEEEENS9_18transform_iteratorINS9_6negateIiEESE_NS9_11use_defaultESI_EESE_iNS9_4plusIvEENS9_8equal_toIvEEiEE10hipError_tPvRmT2_T3_T4_T5_mT6_T7_P12ihipStream_tbENKUlT_T0_E_clISt17integral_constantIbLb0EES13_IbLb1EEEEDaSZ_S10_EUlSZ_E_NS1_11comp_targetILNS1_3genE3ELNS1_11target_archE908ELNS1_3gpuE7ELNS1_3repE0EEENS1_30default_config_static_selectorELNS0_4arch9wavefront6targetE0EEEvT1_.kd
    .uniform_work_group_size: 1
    .uses_dynamic_stack: false
    .vgpr_count:     0
    .vgpr_spill_count: 0
    .wavefront_size: 32
  - .args:
      - .offset:         0
        .size:           120
        .value_kind:     by_value
    .group_segment_fixed_size: 0
    .kernarg_segment_align: 8
    .kernarg_segment_size: 120
    .language:       OpenCL C
    .language_version:
      - 2
      - 0
    .max_flat_workgroup_size: 256
    .name:           _ZN7rocprim17ROCPRIM_400000_NS6detail17trampoline_kernelINS0_14default_configENS1_27scan_by_key_config_selectorIiiEEZZNS1_16scan_by_key_implILNS1_25lookback_scan_determinismE0ELb0ES3_N6thrust23THRUST_200600_302600_NS6detail15normal_iteratorINS9_10device_ptrIiEEEENS9_18transform_iteratorINS9_6negateIiEESE_NS9_11use_defaultESI_EESE_iNS9_4plusIvEENS9_8equal_toIvEEiEE10hipError_tPvRmT2_T3_T4_T5_mT6_T7_P12ihipStream_tbENKUlT_T0_E_clISt17integral_constantIbLb0EES13_IbLb1EEEEDaSZ_S10_EUlSZ_E_NS1_11comp_targetILNS1_3genE2ELNS1_11target_archE906ELNS1_3gpuE6ELNS1_3repE0EEENS1_30default_config_static_selectorELNS0_4arch9wavefront6targetE0EEEvT1_
    .private_segment_fixed_size: 0
    .sgpr_count:     0
    .sgpr_spill_count: 0
    .symbol:         _ZN7rocprim17ROCPRIM_400000_NS6detail17trampoline_kernelINS0_14default_configENS1_27scan_by_key_config_selectorIiiEEZZNS1_16scan_by_key_implILNS1_25lookback_scan_determinismE0ELb0ES3_N6thrust23THRUST_200600_302600_NS6detail15normal_iteratorINS9_10device_ptrIiEEEENS9_18transform_iteratorINS9_6negateIiEESE_NS9_11use_defaultESI_EESE_iNS9_4plusIvEENS9_8equal_toIvEEiEE10hipError_tPvRmT2_T3_T4_T5_mT6_T7_P12ihipStream_tbENKUlT_T0_E_clISt17integral_constantIbLb0EES13_IbLb1EEEEDaSZ_S10_EUlSZ_E_NS1_11comp_targetILNS1_3genE2ELNS1_11target_archE906ELNS1_3gpuE6ELNS1_3repE0EEENS1_30default_config_static_selectorELNS0_4arch9wavefront6targetE0EEEvT1_.kd
    .uniform_work_group_size: 1
    .uses_dynamic_stack: false
    .vgpr_count:     0
    .vgpr_spill_count: 0
    .wavefront_size: 32
  - .args:
      - .offset:         0
        .size:           120
        .value_kind:     by_value
    .group_segment_fixed_size: 0
    .kernarg_segment_align: 8
    .kernarg_segment_size: 120
    .language:       OpenCL C
    .language_version:
      - 2
      - 0
    .max_flat_workgroup_size: 256
    .name:           _ZN7rocprim17ROCPRIM_400000_NS6detail17trampoline_kernelINS0_14default_configENS1_27scan_by_key_config_selectorIiiEEZZNS1_16scan_by_key_implILNS1_25lookback_scan_determinismE0ELb0ES3_N6thrust23THRUST_200600_302600_NS6detail15normal_iteratorINS9_10device_ptrIiEEEENS9_18transform_iteratorINS9_6negateIiEESE_NS9_11use_defaultESI_EESE_iNS9_4plusIvEENS9_8equal_toIvEEiEE10hipError_tPvRmT2_T3_T4_T5_mT6_T7_P12ihipStream_tbENKUlT_T0_E_clISt17integral_constantIbLb0EES13_IbLb1EEEEDaSZ_S10_EUlSZ_E_NS1_11comp_targetILNS1_3genE10ELNS1_11target_archE1200ELNS1_3gpuE4ELNS1_3repE0EEENS1_30default_config_static_selectorELNS0_4arch9wavefront6targetE0EEEvT1_
    .private_segment_fixed_size: 0
    .sgpr_count:     0
    .sgpr_spill_count: 0
    .symbol:         _ZN7rocprim17ROCPRIM_400000_NS6detail17trampoline_kernelINS0_14default_configENS1_27scan_by_key_config_selectorIiiEEZZNS1_16scan_by_key_implILNS1_25lookback_scan_determinismE0ELb0ES3_N6thrust23THRUST_200600_302600_NS6detail15normal_iteratorINS9_10device_ptrIiEEEENS9_18transform_iteratorINS9_6negateIiEESE_NS9_11use_defaultESI_EESE_iNS9_4plusIvEENS9_8equal_toIvEEiEE10hipError_tPvRmT2_T3_T4_T5_mT6_T7_P12ihipStream_tbENKUlT_T0_E_clISt17integral_constantIbLb0EES13_IbLb1EEEEDaSZ_S10_EUlSZ_E_NS1_11comp_targetILNS1_3genE10ELNS1_11target_archE1200ELNS1_3gpuE4ELNS1_3repE0EEENS1_30default_config_static_selectorELNS0_4arch9wavefront6targetE0EEEvT1_.kd
    .uniform_work_group_size: 1
    .uses_dynamic_stack: false
    .vgpr_count:     0
    .vgpr_spill_count: 0
    .wavefront_size: 32
  - .args:
      - .offset:         0
        .size:           120
        .value_kind:     by_value
    .group_segment_fixed_size: 0
    .kernarg_segment_align: 8
    .kernarg_segment_size: 120
    .language:       OpenCL C
    .language_version:
      - 2
      - 0
    .max_flat_workgroup_size: 256
    .name:           _ZN7rocprim17ROCPRIM_400000_NS6detail17trampoline_kernelINS0_14default_configENS1_27scan_by_key_config_selectorIiiEEZZNS1_16scan_by_key_implILNS1_25lookback_scan_determinismE0ELb0ES3_N6thrust23THRUST_200600_302600_NS6detail15normal_iteratorINS9_10device_ptrIiEEEENS9_18transform_iteratorINS9_6negateIiEESE_NS9_11use_defaultESI_EESE_iNS9_4plusIvEENS9_8equal_toIvEEiEE10hipError_tPvRmT2_T3_T4_T5_mT6_T7_P12ihipStream_tbENKUlT_T0_E_clISt17integral_constantIbLb0EES13_IbLb1EEEEDaSZ_S10_EUlSZ_E_NS1_11comp_targetILNS1_3genE9ELNS1_11target_archE1100ELNS1_3gpuE3ELNS1_3repE0EEENS1_30default_config_static_selectorELNS0_4arch9wavefront6targetE0EEEvT1_
    .private_segment_fixed_size: 0
    .sgpr_count:     0
    .sgpr_spill_count: 0
    .symbol:         _ZN7rocprim17ROCPRIM_400000_NS6detail17trampoline_kernelINS0_14default_configENS1_27scan_by_key_config_selectorIiiEEZZNS1_16scan_by_key_implILNS1_25lookback_scan_determinismE0ELb0ES3_N6thrust23THRUST_200600_302600_NS6detail15normal_iteratorINS9_10device_ptrIiEEEENS9_18transform_iteratorINS9_6negateIiEESE_NS9_11use_defaultESI_EESE_iNS9_4plusIvEENS9_8equal_toIvEEiEE10hipError_tPvRmT2_T3_T4_T5_mT6_T7_P12ihipStream_tbENKUlT_T0_E_clISt17integral_constantIbLb0EES13_IbLb1EEEEDaSZ_S10_EUlSZ_E_NS1_11comp_targetILNS1_3genE9ELNS1_11target_archE1100ELNS1_3gpuE3ELNS1_3repE0EEENS1_30default_config_static_selectorELNS0_4arch9wavefront6targetE0EEEvT1_.kd
    .uniform_work_group_size: 1
    .uses_dynamic_stack: false
    .vgpr_count:     0
    .vgpr_spill_count: 0
    .wavefront_size: 32
  - .args:
      - .offset:         0
        .size:           120
        .value_kind:     by_value
    .group_segment_fixed_size: 0
    .kernarg_segment_align: 8
    .kernarg_segment_size: 120
    .language:       OpenCL C
    .language_version:
      - 2
      - 0
    .max_flat_workgroup_size: 256
    .name:           _ZN7rocprim17ROCPRIM_400000_NS6detail17trampoline_kernelINS0_14default_configENS1_27scan_by_key_config_selectorIiiEEZZNS1_16scan_by_key_implILNS1_25lookback_scan_determinismE0ELb0ES3_N6thrust23THRUST_200600_302600_NS6detail15normal_iteratorINS9_10device_ptrIiEEEENS9_18transform_iteratorINS9_6negateIiEESE_NS9_11use_defaultESI_EESE_iNS9_4plusIvEENS9_8equal_toIvEEiEE10hipError_tPvRmT2_T3_T4_T5_mT6_T7_P12ihipStream_tbENKUlT_T0_E_clISt17integral_constantIbLb0EES13_IbLb1EEEEDaSZ_S10_EUlSZ_E_NS1_11comp_targetILNS1_3genE8ELNS1_11target_archE1030ELNS1_3gpuE2ELNS1_3repE0EEENS1_30default_config_static_selectorELNS0_4arch9wavefront6targetE0EEEvT1_
    .private_segment_fixed_size: 0
    .sgpr_count:     0
    .sgpr_spill_count: 0
    .symbol:         _ZN7rocprim17ROCPRIM_400000_NS6detail17trampoline_kernelINS0_14default_configENS1_27scan_by_key_config_selectorIiiEEZZNS1_16scan_by_key_implILNS1_25lookback_scan_determinismE0ELb0ES3_N6thrust23THRUST_200600_302600_NS6detail15normal_iteratorINS9_10device_ptrIiEEEENS9_18transform_iteratorINS9_6negateIiEESE_NS9_11use_defaultESI_EESE_iNS9_4plusIvEENS9_8equal_toIvEEiEE10hipError_tPvRmT2_T3_T4_T5_mT6_T7_P12ihipStream_tbENKUlT_T0_E_clISt17integral_constantIbLb0EES13_IbLb1EEEEDaSZ_S10_EUlSZ_E_NS1_11comp_targetILNS1_3genE8ELNS1_11target_archE1030ELNS1_3gpuE2ELNS1_3repE0EEENS1_30default_config_static_selectorELNS0_4arch9wavefront6targetE0EEEvT1_.kd
    .uniform_work_group_size: 1
    .uses_dynamic_stack: false
    .vgpr_count:     0
    .vgpr_spill_count: 0
    .wavefront_size: 32
  - .args:
      - .offset:         0
        .size:           120
        .value_kind:     by_value
    .group_segment_fixed_size: 11264
    .kernarg_segment_align: 8
    .kernarg_segment_size: 120
    .language:       OpenCL C
    .language_version:
      - 2
      - 0
    .max_flat_workgroup_size: 256
    .name:           _ZN7rocprim17ROCPRIM_400000_NS6detail17trampoline_kernelINS0_14default_configENS1_27scan_by_key_config_selectorIssEEZZNS1_16scan_by_key_implILNS1_25lookback_scan_determinismE0ELb0ES3_N6thrust23THRUST_200600_302600_NS6detail15normal_iteratorINS9_10device_ptrIsEEEENS9_18transform_iteratorINS9_6negateIsEESE_NS9_11use_defaultESI_EESE_sNS9_4plusIvEENS9_8equal_toIvEEsEE10hipError_tPvRmT2_T3_T4_T5_mT6_T7_P12ihipStream_tbENKUlT_T0_E_clISt17integral_constantIbLb0EES14_EEDaSZ_S10_EUlSZ_E_NS1_11comp_targetILNS1_3genE0ELNS1_11target_archE4294967295ELNS1_3gpuE0ELNS1_3repE0EEENS1_30default_config_static_selectorELNS0_4arch9wavefront6targetE0EEEvT1_
    .private_segment_fixed_size: 0
    .sgpr_count:     52
    .sgpr_spill_count: 0
    .symbol:         _ZN7rocprim17ROCPRIM_400000_NS6detail17trampoline_kernelINS0_14default_configENS1_27scan_by_key_config_selectorIssEEZZNS1_16scan_by_key_implILNS1_25lookback_scan_determinismE0ELb0ES3_N6thrust23THRUST_200600_302600_NS6detail15normal_iteratorINS9_10device_ptrIsEEEENS9_18transform_iteratorINS9_6negateIsEESE_NS9_11use_defaultESI_EESE_sNS9_4plusIvEENS9_8equal_toIvEEsEE10hipError_tPvRmT2_T3_T4_T5_mT6_T7_P12ihipStream_tbENKUlT_T0_E_clISt17integral_constantIbLb0EES14_EEDaSZ_S10_EUlSZ_E_NS1_11comp_targetILNS1_3genE0ELNS1_11target_archE4294967295ELNS1_3gpuE0ELNS1_3repE0EEENS1_30default_config_static_selectorELNS0_4arch9wavefront6targetE0EEEvT1_.kd
    .uniform_work_group_size: 1
    .uses_dynamic_stack: false
    .vgpr_count:     58
    .vgpr_spill_count: 0
    .wavefront_size: 32
  - .args:
      - .offset:         0
        .size:           120
        .value_kind:     by_value
    .group_segment_fixed_size: 0
    .kernarg_segment_align: 8
    .kernarg_segment_size: 120
    .language:       OpenCL C
    .language_version:
      - 2
      - 0
    .max_flat_workgroup_size: 128
    .name:           _ZN7rocprim17ROCPRIM_400000_NS6detail17trampoline_kernelINS0_14default_configENS1_27scan_by_key_config_selectorIssEEZZNS1_16scan_by_key_implILNS1_25lookback_scan_determinismE0ELb0ES3_N6thrust23THRUST_200600_302600_NS6detail15normal_iteratorINS9_10device_ptrIsEEEENS9_18transform_iteratorINS9_6negateIsEESE_NS9_11use_defaultESI_EESE_sNS9_4plusIvEENS9_8equal_toIvEEsEE10hipError_tPvRmT2_T3_T4_T5_mT6_T7_P12ihipStream_tbENKUlT_T0_E_clISt17integral_constantIbLb0EES14_EEDaSZ_S10_EUlSZ_E_NS1_11comp_targetILNS1_3genE10ELNS1_11target_archE1201ELNS1_3gpuE5ELNS1_3repE0EEENS1_30default_config_static_selectorELNS0_4arch9wavefront6targetE0EEEvT1_
    .private_segment_fixed_size: 0
    .sgpr_count:     0
    .sgpr_spill_count: 0
    .symbol:         _ZN7rocprim17ROCPRIM_400000_NS6detail17trampoline_kernelINS0_14default_configENS1_27scan_by_key_config_selectorIssEEZZNS1_16scan_by_key_implILNS1_25lookback_scan_determinismE0ELb0ES3_N6thrust23THRUST_200600_302600_NS6detail15normal_iteratorINS9_10device_ptrIsEEEENS9_18transform_iteratorINS9_6negateIsEESE_NS9_11use_defaultESI_EESE_sNS9_4plusIvEENS9_8equal_toIvEEsEE10hipError_tPvRmT2_T3_T4_T5_mT6_T7_P12ihipStream_tbENKUlT_T0_E_clISt17integral_constantIbLb0EES14_EEDaSZ_S10_EUlSZ_E_NS1_11comp_targetILNS1_3genE10ELNS1_11target_archE1201ELNS1_3gpuE5ELNS1_3repE0EEENS1_30default_config_static_selectorELNS0_4arch9wavefront6targetE0EEEvT1_.kd
    .uniform_work_group_size: 1
    .uses_dynamic_stack: false
    .vgpr_count:     0
    .vgpr_spill_count: 0
    .wavefront_size: 32
  - .args:
      - .offset:         0
        .size:           120
        .value_kind:     by_value
    .group_segment_fixed_size: 0
    .kernarg_segment_align: 8
    .kernarg_segment_size: 120
    .language:       OpenCL C
    .language_version:
      - 2
      - 0
    .max_flat_workgroup_size: 256
    .name:           _ZN7rocprim17ROCPRIM_400000_NS6detail17trampoline_kernelINS0_14default_configENS1_27scan_by_key_config_selectorIssEEZZNS1_16scan_by_key_implILNS1_25lookback_scan_determinismE0ELb0ES3_N6thrust23THRUST_200600_302600_NS6detail15normal_iteratorINS9_10device_ptrIsEEEENS9_18transform_iteratorINS9_6negateIsEESE_NS9_11use_defaultESI_EESE_sNS9_4plusIvEENS9_8equal_toIvEEsEE10hipError_tPvRmT2_T3_T4_T5_mT6_T7_P12ihipStream_tbENKUlT_T0_E_clISt17integral_constantIbLb0EES14_EEDaSZ_S10_EUlSZ_E_NS1_11comp_targetILNS1_3genE5ELNS1_11target_archE942ELNS1_3gpuE9ELNS1_3repE0EEENS1_30default_config_static_selectorELNS0_4arch9wavefront6targetE0EEEvT1_
    .private_segment_fixed_size: 0
    .sgpr_count:     0
    .sgpr_spill_count: 0
    .symbol:         _ZN7rocprim17ROCPRIM_400000_NS6detail17trampoline_kernelINS0_14default_configENS1_27scan_by_key_config_selectorIssEEZZNS1_16scan_by_key_implILNS1_25lookback_scan_determinismE0ELb0ES3_N6thrust23THRUST_200600_302600_NS6detail15normal_iteratorINS9_10device_ptrIsEEEENS9_18transform_iteratorINS9_6negateIsEESE_NS9_11use_defaultESI_EESE_sNS9_4plusIvEENS9_8equal_toIvEEsEE10hipError_tPvRmT2_T3_T4_T5_mT6_T7_P12ihipStream_tbENKUlT_T0_E_clISt17integral_constantIbLb0EES14_EEDaSZ_S10_EUlSZ_E_NS1_11comp_targetILNS1_3genE5ELNS1_11target_archE942ELNS1_3gpuE9ELNS1_3repE0EEENS1_30default_config_static_selectorELNS0_4arch9wavefront6targetE0EEEvT1_.kd
    .uniform_work_group_size: 1
    .uses_dynamic_stack: false
    .vgpr_count:     0
    .vgpr_spill_count: 0
    .wavefront_size: 32
  - .args:
      - .offset:         0
        .size:           120
        .value_kind:     by_value
    .group_segment_fixed_size: 0
    .kernarg_segment_align: 8
    .kernarg_segment_size: 120
    .language:       OpenCL C
    .language_version:
      - 2
      - 0
    .max_flat_workgroup_size: 256
    .name:           _ZN7rocprim17ROCPRIM_400000_NS6detail17trampoline_kernelINS0_14default_configENS1_27scan_by_key_config_selectorIssEEZZNS1_16scan_by_key_implILNS1_25lookback_scan_determinismE0ELb0ES3_N6thrust23THRUST_200600_302600_NS6detail15normal_iteratorINS9_10device_ptrIsEEEENS9_18transform_iteratorINS9_6negateIsEESE_NS9_11use_defaultESI_EESE_sNS9_4plusIvEENS9_8equal_toIvEEsEE10hipError_tPvRmT2_T3_T4_T5_mT6_T7_P12ihipStream_tbENKUlT_T0_E_clISt17integral_constantIbLb0EES14_EEDaSZ_S10_EUlSZ_E_NS1_11comp_targetILNS1_3genE4ELNS1_11target_archE910ELNS1_3gpuE8ELNS1_3repE0EEENS1_30default_config_static_selectorELNS0_4arch9wavefront6targetE0EEEvT1_
    .private_segment_fixed_size: 0
    .sgpr_count:     0
    .sgpr_spill_count: 0
    .symbol:         _ZN7rocprim17ROCPRIM_400000_NS6detail17trampoline_kernelINS0_14default_configENS1_27scan_by_key_config_selectorIssEEZZNS1_16scan_by_key_implILNS1_25lookback_scan_determinismE0ELb0ES3_N6thrust23THRUST_200600_302600_NS6detail15normal_iteratorINS9_10device_ptrIsEEEENS9_18transform_iteratorINS9_6negateIsEESE_NS9_11use_defaultESI_EESE_sNS9_4plusIvEENS9_8equal_toIvEEsEE10hipError_tPvRmT2_T3_T4_T5_mT6_T7_P12ihipStream_tbENKUlT_T0_E_clISt17integral_constantIbLb0EES14_EEDaSZ_S10_EUlSZ_E_NS1_11comp_targetILNS1_3genE4ELNS1_11target_archE910ELNS1_3gpuE8ELNS1_3repE0EEENS1_30default_config_static_selectorELNS0_4arch9wavefront6targetE0EEEvT1_.kd
    .uniform_work_group_size: 1
    .uses_dynamic_stack: false
    .vgpr_count:     0
    .vgpr_spill_count: 0
    .wavefront_size: 32
  - .args:
      - .offset:         0
        .size:           120
        .value_kind:     by_value
    .group_segment_fixed_size: 0
    .kernarg_segment_align: 8
    .kernarg_segment_size: 120
    .language:       OpenCL C
    .language_version:
      - 2
      - 0
    .max_flat_workgroup_size: 256
    .name:           _ZN7rocprim17ROCPRIM_400000_NS6detail17trampoline_kernelINS0_14default_configENS1_27scan_by_key_config_selectorIssEEZZNS1_16scan_by_key_implILNS1_25lookback_scan_determinismE0ELb0ES3_N6thrust23THRUST_200600_302600_NS6detail15normal_iteratorINS9_10device_ptrIsEEEENS9_18transform_iteratorINS9_6negateIsEESE_NS9_11use_defaultESI_EESE_sNS9_4plusIvEENS9_8equal_toIvEEsEE10hipError_tPvRmT2_T3_T4_T5_mT6_T7_P12ihipStream_tbENKUlT_T0_E_clISt17integral_constantIbLb0EES14_EEDaSZ_S10_EUlSZ_E_NS1_11comp_targetILNS1_3genE3ELNS1_11target_archE908ELNS1_3gpuE7ELNS1_3repE0EEENS1_30default_config_static_selectorELNS0_4arch9wavefront6targetE0EEEvT1_
    .private_segment_fixed_size: 0
    .sgpr_count:     0
    .sgpr_spill_count: 0
    .symbol:         _ZN7rocprim17ROCPRIM_400000_NS6detail17trampoline_kernelINS0_14default_configENS1_27scan_by_key_config_selectorIssEEZZNS1_16scan_by_key_implILNS1_25lookback_scan_determinismE0ELb0ES3_N6thrust23THRUST_200600_302600_NS6detail15normal_iteratorINS9_10device_ptrIsEEEENS9_18transform_iteratorINS9_6negateIsEESE_NS9_11use_defaultESI_EESE_sNS9_4plusIvEENS9_8equal_toIvEEsEE10hipError_tPvRmT2_T3_T4_T5_mT6_T7_P12ihipStream_tbENKUlT_T0_E_clISt17integral_constantIbLb0EES14_EEDaSZ_S10_EUlSZ_E_NS1_11comp_targetILNS1_3genE3ELNS1_11target_archE908ELNS1_3gpuE7ELNS1_3repE0EEENS1_30default_config_static_selectorELNS0_4arch9wavefront6targetE0EEEvT1_.kd
    .uniform_work_group_size: 1
    .uses_dynamic_stack: false
    .vgpr_count:     0
    .vgpr_spill_count: 0
    .wavefront_size: 32
  - .args:
      - .offset:         0
        .size:           120
        .value_kind:     by_value
    .group_segment_fixed_size: 0
    .kernarg_segment_align: 8
    .kernarg_segment_size: 120
    .language:       OpenCL C
    .language_version:
      - 2
      - 0
    .max_flat_workgroup_size: 64
    .name:           _ZN7rocprim17ROCPRIM_400000_NS6detail17trampoline_kernelINS0_14default_configENS1_27scan_by_key_config_selectorIssEEZZNS1_16scan_by_key_implILNS1_25lookback_scan_determinismE0ELb0ES3_N6thrust23THRUST_200600_302600_NS6detail15normal_iteratorINS9_10device_ptrIsEEEENS9_18transform_iteratorINS9_6negateIsEESE_NS9_11use_defaultESI_EESE_sNS9_4plusIvEENS9_8equal_toIvEEsEE10hipError_tPvRmT2_T3_T4_T5_mT6_T7_P12ihipStream_tbENKUlT_T0_E_clISt17integral_constantIbLb0EES14_EEDaSZ_S10_EUlSZ_E_NS1_11comp_targetILNS1_3genE2ELNS1_11target_archE906ELNS1_3gpuE6ELNS1_3repE0EEENS1_30default_config_static_selectorELNS0_4arch9wavefront6targetE0EEEvT1_
    .private_segment_fixed_size: 0
    .sgpr_count:     0
    .sgpr_spill_count: 0
    .symbol:         _ZN7rocprim17ROCPRIM_400000_NS6detail17trampoline_kernelINS0_14default_configENS1_27scan_by_key_config_selectorIssEEZZNS1_16scan_by_key_implILNS1_25lookback_scan_determinismE0ELb0ES3_N6thrust23THRUST_200600_302600_NS6detail15normal_iteratorINS9_10device_ptrIsEEEENS9_18transform_iteratorINS9_6negateIsEESE_NS9_11use_defaultESI_EESE_sNS9_4plusIvEENS9_8equal_toIvEEsEE10hipError_tPvRmT2_T3_T4_T5_mT6_T7_P12ihipStream_tbENKUlT_T0_E_clISt17integral_constantIbLb0EES14_EEDaSZ_S10_EUlSZ_E_NS1_11comp_targetILNS1_3genE2ELNS1_11target_archE906ELNS1_3gpuE6ELNS1_3repE0EEENS1_30default_config_static_selectorELNS0_4arch9wavefront6targetE0EEEvT1_.kd
    .uniform_work_group_size: 1
    .uses_dynamic_stack: false
    .vgpr_count:     0
    .vgpr_spill_count: 0
    .wavefront_size: 32
  - .args:
      - .offset:         0
        .size:           120
        .value_kind:     by_value
    .group_segment_fixed_size: 0
    .kernarg_segment_align: 8
    .kernarg_segment_size: 120
    .language:       OpenCL C
    .language_version:
      - 2
      - 0
    .max_flat_workgroup_size: 256
    .name:           _ZN7rocprim17ROCPRIM_400000_NS6detail17trampoline_kernelINS0_14default_configENS1_27scan_by_key_config_selectorIssEEZZNS1_16scan_by_key_implILNS1_25lookback_scan_determinismE0ELb0ES3_N6thrust23THRUST_200600_302600_NS6detail15normal_iteratorINS9_10device_ptrIsEEEENS9_18transform_iteratorINS9_6negateIsEESE_NS9_11use_defaultESI_EESE_sNS9_4plusIvEENS9_8equal_toIvEEsEE10hipError_tPvRmT2_T3_T4_T5_mT6_T7_P12ihipStream_tbENKUlT_T0_E_clISt17integral_constantIbLb0EES14_EEDaSZ_S10_EUlSZ_E_NS1_11comp_targetILNS1_3genE10ELNS1_11target_archE1200ELNS1_3gpuE4ELNS1_3repE0EEENS1_30default_config_static_selectorELNS0_4arch9wavefront6targetE0EEEvT1_
    .private_segment_fixed_size: 0
    .sgpr_count:     0
    .sgpr_spill_count: 0
    .symbol:         _ZN7rocprim17ROCPRIM_400000_NS6detail17trampoline_kernelINS0_14default_configENS1_27scan_by_key_config_selectorIssEEZZNS1_16scan_by_key_implILNS1_25lookback_scan_determinismE0ELb0ES3_N6thrust23THRUST_200600_302600_NS6detail15normal_iteratorINS9_10device_ptrIsEEEENS9_18transform_iteratorINS9_6negateIsEESE_NS9_11use_defaultESI_EESE_sNS9_4plusIvEENS9_8equal_toIvEEsEE10hipError_tPvRmT2_T3_T4_T5_mT6_T7_P12ihipStream_tbENKUlT_T0_E_clISt17integral_constantIbLb0EES14_EEDaSZ_S10_EUlSZ_E_NS1_11comp_targetILNS1_3genE10ELNS1_11target_archE1200ELNS1_3gpuE4ELNS1_3repE0EEENS1_30default_config_static_selectorELNS0_4arch9wavefront6targetE0EEEvT1_.kd
    .uniform_work_group_size: 1
    .uses_dynamic_stack: false
    .vgpr_count:     0
    .vgpr_spill_count: 0
    .wavefront_size: 32
  - .args:
      - .offset:         0
        .size:           120
        .value_kind:     by_value
    .group_segment_fixed_size: 0
    .kernarg_segment_align: 8
    .kernarg_segment_size: 120
    .language:       OpenCL C
    .language_version:
      - 2
      - 0
    .max_flat_workgroup_size: 256
    .name:           _ZN7rocprim17ROCPRIM_400000_NS6detail17trampoline_kernelINS0_14default_configENS1_27scan_by_key_config_selectorIssEEZZNS1_16scan_by_key_implILNS1_25lookback_scan_determinismE0ELb0ES3_N6thrust23THRUST_200600_302600_NS6detail15normal_iteratorINS9_10device_ptrIsEEEENS9_18transform_iteratorINS9_6negateIsEESE_NS9_11use_defaultESI_EESE_sNS9_4plusIvEENS9_8equal_toIvEEsEE10hipError_tPvRmT2_T3_T4_T5_mT6_T7_P12ihipStream_tbENKUlT_T0_E_clISt17integral_constantIbLb0EES14_EEDaSZ_S10_EUlSZ_E_NS1_11comp_targetILNS1_3genE9ELNS1_11target_archE1100ELNS1_3gpuE3ELNS1_3repE0EEENS1_30default_config_static_selectorELNS0_4arch9wavefront6targetE0EEEvT1_
    .private_segment_fixed_size: 0
    .sgpr_count:     0
    .sgpr_spill_count: 0
    .symbol:         _ZN7rocprim17ROCPRIM_400000_NS6detail17trampoline_kernelINS0_14default_configENS1_27scan_by_key_config_selectorIssEEZZNS1_16scan_by_key_implILNS1_25lookback_scan_determinismE0ELb0ES3_N6thrust23THRUST_200600_302600_NS6detail15normal_iteratorINS9_10device_ptrIsEEEENS9_18transform_iteratorINS9_6negateIsEESE_NS9_11use_defaultESI_EESE_sNS9_4plusIvEENS9_8equal_toIvEEsEE10hipError_tPvRmT2_T3_T4_T5_mT6_T7_P12ihipStream_tbENKUlT_T0_E_clISt17integral_constantIbLb0EES14_EEDaSZ_S10_EUlSZ_E_NS1_11comp_targetILNS1_3genE9ELNS1_11target_archE1100ELNS1_3gpuE3ELNS1_3repE0EEENS1_30default_config_static_selectorELNS0_4arch9wavefront6targetE0EEEvT1_.kd
    .uniform_work_group_size: 1
    .uses_dynamic_stack: false
    .vgpr_count:     0
    .vgpr_spill_count: 0
    .wavefront_size: 32
  - .args:
      - .offset:         0
        .size:           120
        .value_kind:     by_value
    .group_segment_fixed_size: 0
    .kernarg_segment_align: 8
    .kernarg_segment_size: 120
    .language:       OpenCL C
    .language_version:
      - 2
      - 0
    .max_flat_workgroup_size: 64
    .name:           _ZN7rocprim17ROCPRIM_400000_NS6detail17trampoline_kernelINS0_14default_configENS1_27scan_by_key_config_selectorIssEEZZNS1_16scan_by_key_implILNS1_25lookback_scan_determinismE0ELb0ES3_N6thrust23THRUST_200600_302600_NS6detail15normal_iteratorINS9_10device_ptrIsEEEENS9_18transform_iteratorINS9_6negateIsEESE_NS9_11use_defaultESI_EESE_sNS9_4plusIvEENS9_8equal_toIvEEsEE10hipError_tPvRmT2_T3_T4_T5_mT6_T7_P12ihipStream_tbENKUlT_T0_E_clISt17integral_constantIbLb0EES14_EEDaSZ_S10_EUlSZ_E_NS1_11comp_targetILNS1_3genE8ELNS1_11target_archE1030ELNS1_3gpuE2ELNS1_3repE0EEENS1_30default_config_static_selectorELNS0_4arch9wavefront6targetE0EEEvT1_
    .private_segment_fixed_size: 0
    .sgpr_count:     0
    .sgpr_spill_count: 0
    .symbol:         _ZN7rocprim17ROCPRIM_400000_NS6detail17trampoline_kernelINS0_14default_configENS1_27scan_by_key_config_selectorIssEEZZNS1_16scan_by_key_implILNS1_25lookback_scan_determinismE0ELb0ES3_N6thrust23THRUST_200600_302600_NS6detail15normal_iteratorINS9_10device_ptrIsEEEENS9_18transform_iteratorINS9_6negateIsEESE_NS9_11use_defaultESI_EESE_sNS9_4plusIvEENS9_8equal_toIvEEsEE10hipError_tPvRmT2_T3_T4_T5_mT6_T7_P12ihipStream_tbENKUlT_T0_E_clISt17integral_constantIbLb0EES14_EEDaSZ_S10_EUlSZ_E_NS1_11comp_targetILNS1_3genE8ELNS1_11target_archE1030ELNS1_3gpuE2ELNS1_3repE0EEENS1_30default_config_static_selectorELNS0_4arch9wavefront6targetE0EEEvT1_.kd
    .uniform_work_group_size: 1
    .uses_dynamic_stack: false
    .vgpr_count:     0
    .vgpr_spill_count: 0
    .wavefront_size: 32
  - .args:
      - .offset:         0
        .size:           120
        .value_kind:     by_value
    .group_segment_fixed_size: 0
    .kernarg_segment_align: 8
    .kernarg_segment_size: 120
    .language:       OpenCL C
    .language_version:
      - 2
      - 0
    .max_flat_workgroup_size: 256
    .name:           _ZN7rocprim17ROCPRIM_400000_NS6detail17trampoline_kernelINS0_14default_configENS1_27scan_by_key_config_selectorIssEEZZNS1_16scan_by_key_implILNS1_25lookback_scan_determinismE0ELb0ES3_N6thrust23THRUST_200600_302600_NS6detail15normal_iteratorINS9_10device_ptrIsEEEENS9_18transform_iteratorINS9_6negateIsEESE_NS9_11use_defaultESI_EESE_sNS9_4plusIvEENS9_8equal_toIvEEsEE10hipError_tPvRmT2_T3_T4_T5_mT6_T7_P12ihipStream_tbENKUlT_T0_E_clISt17integral_constantIbLb1EES14_EEDaSZ_S10_EUlSZ_E_NS1_11comp_targetILNS1_3genE0ELNS1_11target_archE4294967295ELNS1_3gpuE0ELNS1_3repE0EEENS1_30default_config_static_selectorELNS0_4arch9wavefront6targetE0EEEvT1_
    .private_segment_fixed_size: 0
    .sgpr_count:     0
    .sgpr_spill_count: 0
    .symbol:         _ZN7rocprim17ROCPRIM_400000_NS6detail17trampoline_kernelINS0_14default_configENS1_27scan_by_key_config_selectorIssEEZZNS1_16scan_by_key_implILNS1_25lookback_scan_determinismE0ELb0ES3_N6thrust23THRUST_200600_302600_NS6detail15normal_iteratorINS9_10device_ptrIsEEEENS9_18transform_iteratorINS9_6negateIsEESE_NS9_11use_defaultESI_EESE_sNS9_4plusIvEENS9_8equal_toIvEEsEE10hipError_tPvRmT2_T3_T4_T5_mT6_T7_P12ihipStream_tbENKUlT_T0_E_clISt17integral_constantIbLb1EES14_EEDaSZ_S10_EUlSZ_E_NS1_11comp_targetILNS1_3genE0ELNS1_11target_archE4294967295ELNS1_3gpuE0ELNS1_3repE0EEENS1_30default_config_static_selectorELNS0_4arch9wavefront6targetE0EEEvT1_.kd
    .uniform_work_group_size: 1
    .uses_dynamic_stack: false
    .vgpr_count:     0
    .vgpr_spill_count: 0
    .wavefront_size: 32
  - .args:
      - .offset:         0
        .size:           120
        .value_kind:     by_value
    .group_segment_fixed_size: 0
    .kernarg_segment_align: 8
    .kernarg_segment_size: 120
    .language:       OpenCL C
    .language_version:
      - 2
      - 0
    .max_flat_workgroup_size: 128
    .name:           _ZN7rocprim17ROCPRIM_400000_NS6detail17trampoline_kernelINS0_14default_configENS1_27scan_by_key_config_selectorIssEEZZNS1_16scan_by_key_implILNS1_25lookback_scan_determinismE0ELb0ES3_N6thrust23THRUST_200600_302600_NS6detail15normal_iteratorINS9_10device_ptrIsEEEENS9_18transform_iteratorINS9_6negateIsEESE_NS9_11use_defaultESI_EESE_sNS9_4plusIvEENS9_8equal_toIvEEsEE10hipError_tPvRmT2_T3_T4_T5_mT6_T7_P12ihipStream_tbENKUlT_T0_E_clISt17integral_constantIbLb1EES14_EEDaSZ_S10_EUlSZ_E_NS1_11comp_targetILNS1_3genE10ELNS1_11target_archE1201ELNS1_3gpuE5ELNS1_3repE0EEENS1_30default_config_static_selectorELNS0_4arch9wavefront6targetE0EEEvT1_
    .private_segment_fixed_size: 0
    .sgpr_count:     0
    .sgpr_spill_count: 0
    .symbol:         _ZN7rocprim17ROCPRIM_400000_NS6detail17trampoline_kernelINS0_14default_configENS1_27scan_by_key_config_selectorIssEEZZNS1_16scan_by_key_implILNS1_25lookback_scan_determinismE0ELb0ES3_N6thrust23THRUST_200600_302600_NS6detail15normal_iteratorINS9_10device_ptrIsEEEENS9_18transform_iteratorINS9_6negateIsEESE_NS9_11use_defaultESI_EESE_sNS9_4plusIvEENS9_8equal_toIvEEsEE10hipError_tPvRmT2_T3_T4_T5_mT6_T7_P12ihipStream_tbENKUlT_T0_E_clISt17integral_constantIbLb1EES14_EEDaSZ_S10_EUlSZ_E_NS1_11comp_targetILNS1_3genE10ELNS1_11target_archE1201ELNS1_3gpuE5ELNS1_3repE0EEENS1_30default_config_static_selectorELNS0_4arch9wavefront6targetE0EEEvT1_.kd
    .uniform_work_group_size: 1
    .uses_dynamic_stack: false
    .vgpr_count:     0
    .vgpr_spill_count: 0
    .wavefront_size: 32
  - .args:
      - .offset:         0
        .size:           120
        .value_kind:     by_value
    .group_segment_fixed_size: 0
    .kernarg_segment_align: 8
    .kernarg_segment_size: 120
    .language:       OpenCL C
    .language_version:
      - 2
      - 0
    .max_flat_workgroup_size: 256
    .name:           _ZN7rocprim17ROCPRIM_400000_NS6detail17trampoline_kernelINS0_14default_configENS1_27scan_by_key_config_selectorIssEEZZNS1_16scan_by_key_implILNS1_25lookback_scan_determinismE0ELb0ES3_N6thrust23THRUST_200600_302600_NS6detail15normal_iteratorINS9_10device_ptrIsEEEENS9_18transform_iteratorINS9_6negateIsEESE_NS9_11use_defaultESI_EESE_sNS9_4plusIvEENS9_8equal_toIvEEsEE10hipError_tPvRmT2_T3_T4_T5_mT6_T7_P12ihipStream_tbENKUlT_T0_E_clISt17integral_constantIbLb1EES14_EEDaSZ_S10_EUlSZ_E_NS1_11comp_targetILNS1_3genE5ELNS1_11target_archE942ELNS1_3gpuE9ELNS1_3repE0EEENS1_30default_config_static_selectorELNS0_4arch9wavefront6targetE0EEEvT1_
    .private_segment_fixed_size: 0
    .sgpr_count:     0
    .sgpr_spill_count: 0
    .symbol:         _ZN7rocprim17ROCPRIM_400000_NS6detail17trampoline_kernelINS0_14default_configENS1_27scan_by_key_config_selectorIssEEZZNS1_16scan_by_key_implILNS1_25lookback_scan_determinismE0ELb0ES3_N6thrust23THRUST_200600_302600_NS6detail15normal_iteratorINS9_10device_ptrIsEEEENS9_18transform_iteratorINS9_6negateIsEESE_NS9_11use_defaultESI_EESE_sNS9_4plusIvEENS9_8equal_toIvEEsEE10hipError_tPvRmT2_T3_T4_T5_mT6_T7_P12ihipStream_tbENKUlT_T0_E_clISt17integral_constantIbLb1EES14_EEDaSZ_S10_EUlSZ_E_NS1_11comp_targetILNS1_3genE5ELNS1_11target_archE942ELNS1_3gpuE9ELNS1_3repE0EEENS1_30default_config_static_selectorELNS0_4arch9wavefront6targetE0EEEvT1_.kd
    .uniform_work_group_size: 1
    .uses_dynamic_stack: false
    .vgpr_count:     0
    .vgpr_spill_count: 0
    .wavefront_size: 32
  - .args:
      - .offset:         0
        .size:           120
        .value_kind:     by_value
    .group_segment_fixed_size: 0
    .kernarg_segment_align: 8
    .kernarg_segment_size: 120
    .language:       OpenCL C
    .language_version:
      - 2
      - 0
    .max_flat_workgroup_size: 256
    .name:           _ZN7rocprim17ROCPRIM_400000_NS6detail17trampoline_kernelINS0_14default_configENS1_27scan_by_key_config_selectorIssEEZZNS1_16scan_by_key_implILNS1_25lookback_scan_determinismE0ELb0ES3_N6thrust23THRUST_200600_302600_NS6detail15normal_iteratorINS9_10device_ptrIsEEEENS9_18transform_iteratorINS9_6negateIsEESE_NS9_11use_defaultESI_EESE_sNS9_4plusIvEENS9_8equal_toIvEEsEE10hipError_tPvRmT2_T3_T4_T5_mT6_T7_P12ihipStream_tbENKUlT_T0_E_clISt17integral_constantIbLb1EES14_EEDaSZ_S10_EUlSZ_E_NS1_11comp_targetILNS1_3genE4ELNS1_11target_archE910ELNS1_3gpuE8ELNS1_3repE0EEENS1_30default_config_static_selectorELNS0_4arch9wavefront6targetE0EEEvT1_
    .private_segment_fixed_size: 0
    .sgpr_count:     0
    .sgpr_spill_count: 0
    .symbol:         _ZN7rocprim17ROCPRIM_400000_NS6detail17trampoline_kernelINS0_14default_configENS1_27scan_by_key_config_selectorIssEEZZNS1_16scan_by_key_implILNS1_25lookback_scan_determinismE0ELb0ES3_N6thrust23THRUST_200600_302600_NS6detail15normal_iteratorINS9_10device_ptrIsEEEENS9_18transform_iteratorINS9_6negateIsEESE_NS9_11use_defaultESI_EESE_sNS9_4plusIvEENS9_8equal_toIvEEsEE10hipError_tPvRmT2_T3_T4_T5_mT6_T7_P12ihipStream_tbENKUlT_T0_E_clISt17integral_constantIbLb1EES14_EEDaSZ_S10_EUlSZ_E_NS1_11comp_targetILNS1_3genE4ELNS1_11target_archE910ELNS1_3gpuE8ELNS1_3repE0EEENS1_30default_config_static_selectorELNS0_4arch9wavefront6targetE0EEEvT1_.kd
    .uniform_work_group_size: 1
    .uses_dynamic_stack: false
    .vgpr_count:     0
    .vgpr_spill_count: 0
    .wavefront_size: 32
  - .args:
      - .offset:         0
        .size:           120
        .value_kind:     by_value
    .group_segment_fixed_size: 0
    .kernarg_segment_align: 8
    .kernarg_segment_size: 120
    .language:       OpenCL C
    .language_version:
      - 2
      - 0
    .max_flat_workgroup_size: 256
    .name:           _ZN7rocprim17ROCPRIM_400000_NS6detail17trampoline_kernelINS0_14default_configENS1_27scan_by_key_config_selectorIssEEZZNS1_16scan_by_key_implILNS1_25lookback_scan_determinismE0ELb0ES3_N6thrust23THRUST_200600_302600_NS6detail15normal_iteratorINS9_10device_ptrIsEEEENS9_18transform_iteratorINS9_6negateIsEESE_NS9_11use_defaultESI_EESE_sNS9_4plusIvEENS9_8equal_toIvEEsEE10hipError_tPvRmT2_T3_T4_T5_mT6_T7_P12ihipStream_tbENKUlT_T0_E_clISt17integral_constantIbLb1EES14_EEDaSZ_S10_EUlSZ_E_NS1_11comp_targetILNS1_3genE3ELNS1_11target_archE908ELNS1_3gpuE7ELNS1_3repE0EEENS1_30default_config_static_selectorELNS0_4arch9wavefront6targetE0EEEvT1_
    .private_segment_fixed_size: 0
    .sgpr_count:     0
    .sgpr_spill_count: 0
    .symbol:         _ZN7rocprim17ROCPRIM_400000_NS6detail17trampoline_kernelINS0_14default_configENS1_27scan_by_key_config_selectorIssEEZZNS1_16scan_by_key_implILNS1_25lookback_scan_determinismE0ELb0ES3_N6thrust23THRUST_200600_302600_NS6detail15normal_iteratorINS9_10device_ptrIsEEEENS9_18transform_iteratorINS9_6negateIsEESE_NS9_11use_defaultESI_EESE_sNS9_4plusIvEENS9_8equal_toIvEEsEE10hipError_tPvRmT2_T3_T4_T5_mT6_T7_P12ihipStream_tbENKUlT_T0_E_clISt17integral_constantIbLb1EES14_EEDaSZ_S10_EUlSZ_E_NS1_11comp_targetILNS1_3genE3ELNS1_11target_archE908ELNS1_3gpuE7ELNS1_3repE0EEENS1_30default_config_static_selectorELNS0_4arch9wavefront6targetE0EEEvT1_.kd
    .uniform_work_group_size: 1
    .uses_dynamic_stack: false
    .vgpr_count:     0
    .vgpr_spill_count: 0
    .wavefront_size: 32
  - .args:
      - .offset:         0
        .size:           120
        .value_kind:     by_value
    .group_segment_fixed_size: 0
    .kernarg_segment_align: 8
    .kernarg_segment_size: 120
    .language:       OpenCL C
    .language_version:
      - 2
      - 0
    .max_flat_workgroup_size: 64
    .name:           _ZN7rocprim17ROCPRIM_400000_NS6detail17trampoline_kernelINS0_14default_configENS1_27scan_by_key_config_selectorIssEEZZNS1_16scan_by_key_implILNS1_25lookback_scan_determinismE0ELb0ES3_N6thrust23THRUST_200600_302600_NS6detail15normal_iteratorINS9_10device_ptrIsEEEENS9_18transform_iteratorINS9_6negateIsEESE_NS9_11use_defaultESI_EESE_sNS9_4plusIvEENS9_8equal_toIvEEsEE10hipError_tPvRmT2_T3_T4_T5_mT6_T7_P12ihipStream_tbENKUlT_T0_E_clISt17integral_constantIbLb1EES14_EEDaSZ_S10_EUlSZ_E_NS1_11comp_targetILNS1_3genE2ELNS1_11target_archE906ELNS1_3gpuE6ELNS1_3repE0EEENS1_30default_config_static_selectorELNS0_4arch9wavefront6targetE0EEEvT1_
    .private_segment_fixed_size: 0
    .sgpr_count:     0
    .sgpr_spill_count: 0
    .symbol:         _ZN7rocprim17ROCPRIM_400000_NS6detail17trampoline_kernelINS0_14default_configENS1_27scan_by_key_config_selectorIssEEZZNS1_16scan_by_key_implILNS1_25lookback_scan_determinismE0ELb0ES3_N6thrust23THRUST_200600_302600_NS6detail15normal_iteratorINS9_10device_ptrIsEEEENS9_18transform_iteratorINS9_6negateIsEESE_NS9_11use_defaultESI_EESE_sNS9_4plusIvEENS9_8equal_toIvEEsEE10hipError_tPvRmT2_T3_T4_T5_mT6_T7_P12ihipStream_tbENKUlT_T0_E_clISt17integral_constantIbLb1EES14_EEDaSZ_S10_EUlSZ_E_NS1_11comp_targetILNS1_3genE2ELNS1_11target_archE906ELNS1_3gpuE6ELNS1_3repE0EEENS1_30default_config_static_selectorELNS0_4arch9wavefront6targetE0EEEvT1_.kd
    .uniform_work_group_size: 1
    .uses_dynamic_stack: false
    .vgpr_count:     0
    .vgpr_spill_count: 0
    .wavefront_size: 32
  - .args:
      - .offset:         0
        .size:           120
        .value_kind:     by_value
    .group_segment_fixed_size: 0
    .kernarg_segment_align: 8
    .kernarg_segment_size: 120
    .language:       OpenCL C
    .language_version:
      - 2
      - 0
    .max_flat_workgroup_size: 256
    .name:           _ZN7rocprim17ROCPRIM_400000_NS6detail17trampoline_kernelINS0_14default_configENS1_27scan_by_key_config_selectorIssEEZZNS1_16scan_by_key_implILNS1_25lookback_scan_determinismE0ELb0ES3_N6thrust23THRUST_200600_302600_NS6detail15normal_iteratorINS9_10device_ptrIsEEEENS9_18transform_iteratorINS9_6negateIsEESE_NS9_11use_defaultESI_EESE_sNS9_4plusIvEENS9_8equal_toIvEEsEE10hipError_tPvRmT2_T3_T4_T5_mT6_T7_P12ihipStream_tbENKUlT_T0_E_clISt17integral_constantIbLb1EES14_EEDaSZ_S10_EUlSZ_E_NS1_11comp_targetILNS1_3genE10ELNS1_11target_archE1200ELNS1_3gpuE4ELNS1_3repE0EEENS1_30default_config_static_selectorELNS0_4arch9wavefront6targetE0EEEvT1_
    .private_segment_fixed_size: 0
    .sgpr_count:     0
    .sgpr_spill_count: 0
    .symbol:         _ZN7rocprim17ROCPRIM_400000_NS6detail17trampoline_kernelINS0_14default_configENS1_27scan_by_key_config_selectorIssEEZZNS1_16scan_by_key_implILNS1_25lookback_scan_determinismE0ELb0ES3_N6thrust23THRUST_200600_302600_NS6detail15normal_iteratorINS9_10device_ptrIsEEEENS9_18transform_iteratorINS9_6negateIsEESE_NS9_11use_defaultESI_EESE_sNS9_4plusIvEENS9_8equal_toIvEEsEE10hipError_tPvRmT2_T3_T4_T5_mT6_T7_P12ihipStream_tbENKUlT_T0_E_clISt17integral_constantIbLb1EES14_EEDaSZ_S10_EUlSZ_E_NS1_11comp_targetILNS1_3genE10ELNS1_11target_archE1200ELNS1_3gpuE4ELNS1_3repE0EEENS1_30default_config_static_selectorELNS0_4arch9wavefront6targetE0EEEvT1_.kd
    .uniform_work_group_size: 1
    .uses_dynamic_stack: false
    .vgpr_count:     0
    .vgpr_spill_count: 0
    .wavefront_size: 32
  - .args:
      - .offset:         0
        .size:           120
        .value_kind:     by_value
    .group_segment_fixed_size: 0
    .kernarg_segment_align: 8
    .kernarg_segment_size: 120
    .language:       OpenCL C
    .language_version:
      - 2
      - 0
    .max_flat_workgroup_size: 256
    .name:           _ZN7rocprim17ROCPRIM_400000_NS6detail17trampoline_kernelINS0_14default_configENS1_27scan_by_key_config_selectorIssEEZZNS1_16scan_by_key_implILNS1_25lookback_scan_determinismE0ELb0ES3_N6thrust23THRUST_200600_302600_NS6detail15normal_iteratorINS9_10device_ptrIsEEEENS9_18transform_iteratorINS9_6negateIsEESE_NS9_11use_defaultESI_EESE_sNS9_4plusIvEENS9_8equal_toIvEEsEE10hipError_tPvRmT2_T3_T4_T5_mT6_T7_P12ihipStream_tbENKUlT_T0_E_clISt17integral_constantIbLb1EES14_EEDaSZ_S10_EUlSZ_E_NS1_11comp_targetILNS1_3genE9ELNS1_11target_archE1100ELNS1_3gpuE3ELNS1_3repE0EEENS1_30default_config_static_selectorELNS0_4arch9wavefront6targetE0EEEvT1_
    .private_segment_fixed_size: 0
    .sgpr_count:     0
    .sgpr_spill_count: 0
    .symbol:         _ZN7rocprim17ROCPRIM_400000_NS6detail17trampoline_kernelINS0_14default_configENS1_27scan_by_key_config_selectorIssEEZZNS1_16scan_by_key_implILNS1_25lookback_scan_determinismE0ELb0ES3_N6thrust23THRUST_200600_302600_NS6detail15normal_iteratorINS9_10device_ptrIsEEEENS9_18transform_iteratorINS9_6negateIsEESE_NS9_11use_defaultESI_EESE_sNS9_4plusIvEENS9_8equal_toIvEEsEE10hipError_tPvRmT2_T3_T4_T5_mT6_T7_P12ihipStream_tbENKUlT_T0_E_clISt17integral_constantIbLb1EES14_EEDaSZ_S10_EUlSZ_E_NS1_11comp_targetILNS1_3genE9ELNS1_11target_archE1100ELNS1_3gpuE3ELNS1_3repE0EEENS1_30default_config_static_selectorELNS0_4arch9wavefront6targetE0EEEvT1_.kd
    .uniform_work_group_size: 1
    .uses_dynamic_stack: false
    .vgpr_count:     0
    .vgpr_spill_count: 0
    .wavefront_size: 32
  - .args:
      - .offset:         0
        .size:           120
        .value_kind:     by_value
    .group_segment_fixed_size: 0
    .kernarg_segment_align: 8
    .kernarg_segment_size: 120
    .language:       OpenCL C
    .language_version:
      - 2
      - 0
    .max_flat_workgroup_size: 64
    .name:           _ZN7rocprim17ROCPRIM_400000_NS6detail17trampoline_kernelINS0_14default_configENS1_27scan_by_key_config_selectorIssEEZZNS1_16scan_by_key_implILNS1_25lookback_scan_determinismE0ELb0ES3_N6thrust23THRUST_200600_302600_NS6detail15normal_iteratorINS9_10device_ptrIsEEEENS9_18transform_iteratorINS9_6negateIsEESE_NS9_11use_defaultESI_EESE_sNS9_4plusIvEENS9_8equal_toIvEEsEE10hipError_tPvRmT2_T3_T4_T5_mT6_T7_P12ihipStream_tbENKUlT_T0_E_clISt17integral_constantIbLb1EES14_EEDaSZ_S10_EUlSZ_E_NS1_11comp_targetILNS1_3genE8ELNS1_11target_archE1030ELNS1_3gpuE2ELNS1_3repE0EEENS1_30default_config_static_selectorELNS0_4arch9wavefront6targetE0EEEvT1_
    .private_segment_fixed_size: 0
    .sgpr_count:     0
    .sgpr_spill_count: 0
    .symbol:         _ZN7rocprim17ROCPRIM_400000_NS6detail17trampoline_kernelINS0_14default_configENS1_27scan_by_key_config_selectorIssEEZZNS1_16scan_by_key_implILNS1_25lookback_scan_determinismE0ELb0ES3_N6thrust23THRUST_200600_302600_NS6detail15normal_iteratorINS9_10device_ptrIsEEEENS9_18transform_iteratorINS9_6negateIsEESE_NS9_11use_defaultESI_EESE_sNS9_4plusIvEENS9_8equal_toIvEEsEE10hipError_tPvRmT2_T3_T4_T5_mT6_T7_P12ihipStream_tbENKUlT_T0_E_clISt17integral_constantIbLb1EES14_EEDaSZ_S10_EUlSZ_E_NS1_11comp_targetILNS1_3genE8ELNS1_11target_archE1030ELNS1_3gpuE2ELNS1_3repE0EEENS1_30default_config_static_selectorELNS0_4arch9wavefront6targetE0EEEvT1_.kd
    .uniform_work_group_size: 1
    .uses_dynamic_stack: false
    .vgpr_count:     0
    .vgpr_spill_count: 0
    .wavefront_size: 32
  - .args:
      - .offset:         0
        .size:           120
        .value_kind:     by_value
    .group_segment_fixed_size: 0
    .kernarg_segment_align: 8
    .kernarg_segment_size: 120
    .language:       OpenCL C
    .language_version:
      - 2
      - 0
    .max_flat_workgroup_size: 256
    .name:           _ZN7rocprim17ROCPRIM_400000_NS6detail17trampoline_kernelINS0_14default_configENS1_27scan_by_key_config_selectorIssEEZZNS1_16scan_by_key_implILNS1_25lookback_scan_determinismE0ELb0ES3_N6thrust23THRUST_200600_302600_NS6detail15normal_iteratorINS9_10device_ptrIsEEEENS9_18transform_iteratorINS9_6negateIsEESE_NS9_11use_defaultESI_EESE_sNS9_4plusIvEENS9_8equal_toIvEEsEE10hipError_tPvRmT2_T3_T4_T5_mT6_T7_P12ihipStream_tbENKUlT_T0_E_clISt17integral_constantIbLb1EES13_IbLb0EEEEDaSZ_S10_EUlSZ_E_NS1_11comp_targetILNS1_3genE0ELNS1_11target_archE4294967295ELNS1_3gpuE0ELNS1_3repE0EEENS1_30default_config_static_selectorELNS0_4arch9wavefront6targetE0EEEvT1_
    .private_segment_fixed_size: 0
    .sgpr_count:     0
    .sgpr_spill_count: 0
    .symbol:         _ZN7rocprim17ROCPRIM_400000_NS6detail17trampoline_kernelINS0_14default_configENS1_27scan_by_key_config_selectorIssEEZZNS1_16scan_by_key_implILNS1_25lookback_scan_determinismE0ELb0ES3_N6thrust23THRUST_200600_302600_NS6detail15normal_iteratorINS9_10device_ptrIsEEEENS9_18transform_iteratorINS9_6negateIsEESE_NS9_11use_defaultESI_EESE_sNS9_4plusIvEENS9_8equal_toIvEEsEE10hipError_tPvRmT2_T3_T4_T5_mT6_T7_P12ihipStream_tbENKUlT_T0_E_clISt17integral_constantIbLb1EES13_IbLb0EEEEDaSZ_S10_EUlSZ_E_NS1_11comp_targetILNS1_3genE0ELNS1_11target_archE4294967295ELNS1_3gpuE0ELNS1_3repE0EEENS1_30default_config_static_selectorELNS0_4arch9wavefront6targetE0EEEvT1_.kd
    .uniform_work_group_size: 1
    .uses_dynamic_stack: false
    .vgpr_count:     0
    .vgpr_spill_count: 0
    .wavefront_size: 32
  - .args:
      - .offset:         0
        .size:           120
        .value_kind:     by_value
    .group_segment_fixed_size: 0
    .kernarg_segment_align: 8
    .kernarg_segment_size: 120
    .language:       OpenCL C
    .language_version:
      - 2
      - 0
    .max_flat_workgroup_size: 128
    .name:           _ZN7rocprim17ROCPRIM_400000_NS6detail17trampoline_kernelINS0_14default_configENS1_27scan_by_key_config_selectorIssEEZZNS1_16scan_by_key_implILNS1_25lookback_scan_determinismE0ELb0ES3_N6thrust23THRUST_200600_302600_NS6detail15normal_iteratorINS9_10device_ptrIsEEEENS9_18transform_iteratorINS9_6negateIsEESE_NS9_11use_defaultESI_EESE_sNS9_4plusIvEENS9_8equal_toIvEEsEE10hipError_tPvRmT2_T3_T4_T5_mT6_T7_P12ihipStream_tbENKUlT_T0_E_clISt17integral_constantIbLb1EES13_IbLb0EEEEDaSZ_S10_EUlSZ_E_NS1_11comp_targetILNS1_3genE10ELNS1_11target_archE1201ELNS1_3gpuE5ELNS1_3repE0EEENS1_30default_config_static_selectorELNS0_4arch9wavefront6targetE0EEEvT1_
    .private_segment_fixed_size: 0
    .sgpr_count:     0
    .sgpr_spill_count: 0
    .symbol:         _ZN7rocprim17ROCPRIM_400000_NS6detail17trampoline_kernelINS0_14default_configENS1_27scan_by_key_config_selectorIssEEZZNS1_16scan_by_key_implILNS1_25lookback_scan_determinismE0ELb0ES3_N6thrust23THRUST_200600_302600_NS6detail15normal_iteratorINS9_10device_ptrIsEEEENS9_18transform_iteratorINS9_6negateIsEESE_NS9_11use_defaultESI_EESE_sNS9_4plusIvEENS9_8equal_toIvEEsEE10hipError_tPvRmT2_T3_T4_T5_mT6_T7_P12ihipStream_tbENKUlT_T0_E_clISt17integral_constantIbLb1EES13_IbLb0EEEEDaSZ_S10_EUlSZ_E_NS1_11comp_targetILNS1_3genE10ELNS1_11target_archE1201ELNS1_3gpuE5ELNS1_3repE0EEENS1_30default_config_static_selectorELNS0_4arch9wavefront6targetE0EEEvT1_.kd
    .uniform_work_group_size: 1
    .uses_dynamic_stack: false
    .vgpr_count:     0
    .vgpr_spill_count: 0
    .wavefront_size: 32
  - .args:
      - .offset:         0
        .size:           120
        .value_kind:     by_value
    .group_segment_fixed_size: 0
    .kernarg_segment_align: 8
    .kernarg_segment_size: 120
    .language:       OpenCL C
    .language_version:
      - 2
      - 0
    .max_flat_workgroup_size: 256
    .name:           _ZN7rocprim17ROCPRIM_400000_NS6detail17trampoline_kernelINS0_14default_configENS1_27scan_by_key_config_selectorIssEEZZNS1_16scan_by_key_implILNS1_25lookback_scan_determinismE0ELb0ES3_N6thrust23THRUST_200600_302600_NS6detail15normal_iteratorINS9_10device_ptrIsEEEENS9_18transform_iteratorINS9_6negateIsEESE_NS9_11use_defaultESI_EESE_sNS9_4plusIvEENS9_8equal_toIvEEsEE10hipError_tPvRmT2_T3_T4_T5_mT6_T7_P12ihipStream_tbENKUlT_T0_E_clISt17integral_constantIbLb1EES13_IbLb0EEEEDaSZ_S10_EUlSZ_E_NS1_11comp_targetILNS1_3genE5ELNS1_11target_archE942ELNS1_3gpuE9ELNS1_3repE0EEENS1_30default_config_static_selectorELNS0_4arch9wavefront6targetE0EEEvT1_
    .private_segment_fixed_size: 0
    .sgpr_count:     0
    .sgpr_spill_count: 0
    .symbol:         _ZN7rocprim17ROCPRIM_400000_NS6detail17trampoline_kernelINS0_14default_configENS1_27scan_by_key_config_selectorIssEEZZNS1_16scan_by_key_implILNS1_25lookback_scan_determinismE0ELb0ES3_N6thrust23THRUST_200600_302600_NS6detail15normal_iteratorINS9_10device_ptrIsEEEENS9_18transform_iteratorINS9_6negateIsEESE_NS9_11use_defaultESI_EESE_sNS9_4plusIvEENS9_8equal_toIvEEsEE10hipError_tPvRmT2_T3_T4_T5_mT6_T7_P12ihipStream_tbENKUlT_T0_E_clISt17integral_constantIbLb1EES13_IbLb0EEEEDaSZ_S10_EUlSZ_E_NS1_11comp_targetILNS1_3genE5ELNS1_11target_archE942ELNS1_3gpuE9ELNS1_3repE0EEENS1_30default_config_static_selectorELNS0_4arch9wavefront6targetE0EEEvT1_.kd
    .uniform_work_group_size: 1
    .uses_dynamic_stack: false
    .vgpr_count:     0
    .vgpr_spill_count: 0
    .wavefront_size: 32
  - .args:
      - .offset:         0
        .size:           120
        .value_kind:     by_value
    .group_segment_fixed_size: 0
    .kernarg_segment_align: 8
    .kernarg_segment_size: 120
    .language:       OpenCL C
    .language_version:
      - 2
      - 0
    .max_flat_workgroup_size: 256
    .name:           _ZN7rocprim17ROCPRIM_400000_NS6detail17trampoline_kernelINS0_14default_configENS1_27scan_by_key_config_selectorIssEEZZNS1_16scan_by_key_implILNS1_25lookback_scan_determinismE0ELb0ES3_N6thrust23THRUST_200600_302600_NS6detail15normal_iteratorINS9_10device_ptrIsEEEENS9_18transform_iteratorINS9_6negateIsEESE_NS9_11use_defaultESI_EESE_sNS9_4plusIvEENS9_8equal_toIvEEsEE10hipError_tPvRmT2_T3_T4_T5_mT6_T7_P12ihipStream_tbENKUlT_T0_E_clISt17integral_constantIbLb1EES13_IbLb0EEEEDaSZ_S10_EUlSZ_E_NS1_11comp_targetILNS1_3genE4ELNS1_11target_archE910ELNS1_3gpuE8ELNS1_3repE0EEENS1_30default_config_static_selectorELNS0_4arch9wavefront6targetE0EEEvT1_
    .private_segment_fixed_size: 0
    .sgpr_count:     0
    .sgpr_spill_count: 0
    .symbol:         _ZN7rocprim17ROCPRIM_400000_NS6detail17trampoline_kernelINS0_14default_configENS1_27scan_by_key_config_selectorIssEEZZNS1_16scan_by_key_implILNS1_25lookback_scan_determinismE0ELb0ES3_N6thrust23THRUST_200600_302600_NS6detail15normal_iteratorINS9_10device_ptrIsEEEENS9_18transform_iteratorINS9_6negateIsEESE_NS9_11use_defaultESI_EESE_sNS9_4plusIvEENS9_8equal_toIvEEsEE10hipError_tPvRmT2_T3_T4_T5_mT6_T7_P12ihipStream_tbENKUlT_T0_E_clISt17integral_constantIbLb1EES13_IbLb0EEEEDaSZ_S10_EUlSZ_E_NS1_11comp_targetILNS1_3genE4ELNS1_11target_archE910ELNS1_3gpuE8ELNS1_3repE0EEENS1_30default_config_static_selectorELNS0_4arch9wavefront6targetE0EEEvT1_.kd
    .uniform_work_group_size: 1
    .uses_dynamic_stack: false
    .vgpr_count:     0
    .vgpr_spill_count: 0
    .wavefront_size: 32
  - .args:
      - .offset:         0
        .size:           120
        .value_kind:     by_value
    .group_segment_fixed_size: 0
    .kernarg_segment_align: 8
    .kernarg_segment_size: 120
    .language:       OpenCL C
    .language_version:
      - 2
      - 0
    .max_flat_workgroup_size: 256
    .name:           _ZN7rocprim17ROCPRIM_400000_NS6detail17trampoline_kernelINS0_14default_configENS1_27scan_by_key_config_selectorIssEEZZNS1_16scan_by_key_implILNS1_25lookback_scan_determinismE0ELb0ES3_N6thrust23THRUST_200600_302600_NS6detail15normal_iteratorINS9_10device_ptrIsEEEENS9_18transform_iteratorINS9_6negateIsEESE_NS9_11use_defaultESI_EESE_sNS9_4plusIvEENS9_8equal_toIvEEsEE10hipError_tPvRmT2_T3_T4_T5_mT6_T7_P12ihipStream_tbENKUlT_T0_E_clISt17integral_constantIbLb1EES13_IbLb0EEEEDaSZ_S10_EUlSZ_E_NS1_11comp_targetILNS1_3genE3ELNS1_11target_archE908ELNS1_3gpuE7ELNS1_3repE0EEENS1_30default_config_static_selectorELNS0_4arch9wavefront6targetE0EEEvT1_
    .private_segment_fixed_size: 0
    .sgpr_count:     0
    .sgpr_spill_count: 0
    .symbol:         _ZN7rocprim17ROCPRIM_400000_NS6detail17trampoline_kernelINS0_14default_configENS1_27scan_by_key_config_selectorIssEEZZNS1_16scan_by_key_implILNS1_25lookback_scan_determinismE0ELb0ES3_N6thrust23THRUST_200600_302600_NS6detail15normal_iteratorINS9_10device_ptrIsEEEENS9_18transform_iteratorINS9_6negateIsEESE_NS9_11use_defaultESI_EESE_sNS9_4plusIvEENS9_8equal_toIvEEsEE10hipError_tPvRmT2_T3_T4_T5_mT6_T7_P12ihipStream_tbENKUlT_T0_E_clISt17integral_constantIbLb1EES13_IbLb0EEEEDaSZ_S10_EUlSZ_E_NS1_11comp_targetILNS1_3genE3ELNS1_11target_archE908ELNS1_3gpuE7ELNS1_3repE0EEENS1_30default_config_static_selectorELNS0_4arch9wavefront6targetE0EEEvT1_.kd
    .uniform_work_group_size: 1
    .uses_dynamic_stack: false
    .vgpr_count:     0
    .vgpr_spill_count: 0
    .wavefront_size: 32
  - .args:
      - .offset:         0
        .size:           120
        .value_kind:     by_value
    .group_segment_fixed_size: 0
    .kernarg_segment_align: 8
    .kernarg_segment_size: 120
    .language:       OpenCL C
    .language_version:
      - 2
      - 0
    .max_flat_workgroup_size: 64
    .name:           _ZN7rocprim17ROCPRIM_400000_NS6detail17trampoline_kernelINS0_14default_configENS1_27scan_by_key_config_selectorIssEEZZNS1_16scan_by_key_implILNS1_25lookback_scan_determinismE0ELb0ES3_N6thrust23THRUST_200600_302600_NS6detail15normal_iteratorINS9_10device_ptrIsEEEENS9_18transform_iteratorINS9_6negateIsEESE_NS9_11use_defaultESI_EESE_sNS9_4plusIvEENS9_8equal_toIvEEsEE10hipError_tPvRmT2_T3_T4_T5_mT6_T7_P12ihipStream_tbENKUlT_T0_E_clISt17integral_constantIbLb1EES13_IbLb0EEEEDaSZ_S10_EUlSZ_E_NS1_11comp_targetILNS1_3genE2ELNS1_11target_archE906ELNS1_3gpuE6ELNS1_3repE0EEENS1_30default_config_static_selectorELNS0_4arch9wavefront6targetE0EEEvT1_
    .private_segment_fixed_size: 0
    .sgpr_count:     0
    .sgpr_spill_count: 0
    .symbol:         _ZN7rocprim17ROCPRIM_400000_NS6detail17trampoline_kernelINS0_14default_configENS1_27scan_by_key_config_selectorIssEEZZNS1_16scan_by_key_implILNS1_25lookback_scan_determinismE0ELb0ES3_N6thrust23THRUST_200600_302600_NS6detail15normal_iteratorINS9_10device_ptrIsEEEENS9_18transform_iteratorINS9_6negateIsEESE_NS9_11use_defaultESI_EESE_sNS9_4plusIvEENS9_8equal_toIvEEsEE10hipError_tPvRmT2_T3_T4_T5_mT6_T7_P12ihipStream_tbENKUlT_T0_E_clISt17integral_constantIbLb1EES13_IbLb0EEEEDaSZ_S10_EUlSZ_E_NS1_11comp_targetILNS1_3genE2ELNS1_11target_archE906ELNS1_3gpuE6ELNS1_3repE0EEENS1_30default_config_static_selectorELNS0_4arch9wavefront6targetE0EEEvT1_.kd
    .uniform_work_group_size: 1
    .uses_dynamic_stack: false
    .vgpr_count:     0
    .vgpr_spill_count: 0
    .wavefront_size: 32
  - .args:
      - .offset:         0
        .size:           120
        .value_kind:     by_value
    .group_segment_fixed_size: 0
    .kernarg_segment_align: 8
    .kernarg_segment_size: 120
    .language:       OpenCL C
    .language_version:
      - 2
      - 0
    .max_flat_workgroup_size: 256
    .name:           _ZN7rocprim17ROCPRIM_400000_NS6detail17trampoline_kernelINS0_14default_configENS1_27scan_by_key_config_selectorIssEEZZNS1_16scan_by_key_implILNS1_25lookback_scan_determinismE0ELb0ES3_N6thrust23THRUST_200600_302600_NS6detail15normal_iteratorINS9_10device_ptrIsEEEENS9_18transform_iteratorINS9_6negateIsEESE_NS9_11use_defaultESI_EESE_sNS9_4plusIvEENS9_8equal_toIvEEsEE10hipError_tPvRmT2_T3_T4_T5_mT6_T7_P12ihipStream_tbENKUlT_T0_E_clISt17integral_constantIbLb1EES13_IbLb0EEEEDaSZ_S10_EUlSZ_E_NS1_11comp_targetILNS1_3genE10ELNS1_11target_archE1200ELNS1_3gpuE4ELNS1_3repE0EEENS1_30default_config_static_selectorELNS0_4arch9wavefront6targetE0EEEvT1_
    .private_segment_fixed_size: 0
    .sgpr_count:     0
    .sgpr_spill_count: 0
    .symbol:         _ZN7rocprim17ROCPRIM_400000_NS6detail17trampoline_kernelINS0_14default_configENS1_27scan_by_key_config_selectorIssEEZZNS1_16scan_by_key_implILNS1_25lookback_scan_determinismE0ELb0ES3_N6thrust23THRUST_200600_302600_NS6detail15normal_iteratorINS9_10device_ptrIsEEEENS9_18transform_iteratorINS9_6negateIsEESE_NS9_11use_defaultESI_EESE_sNS9_4plusIvEENS9_8equal_toIvEEsEE10hipError_tPvRmT2_T3_T4_T5_mT6_T7_P12ihipStream_tbENKUlT_T0_E_clISt17integral_constantIbLb1EES13_IbLb0EEEEDaSZ_S10_EUlSZ_E_NS1_11comp_targetILNS1_3genE10ELNS1_11target_archE1200ELNS1_3gpuE4ELNS1_3repE0EEENS1_30default_config_static_selectorELNS0_4arch9wavefront6targetE0EEEvT1_.kd
    .uniform_work_group_size: 1
    .uses_dynamic_stack: false
    .vgpr_count:     0
    .vgpr_spill_count: 0
    .wavefront_size: 32
  - .args:
      - .offset:         0
        .size:           120
        .value_kind:     by_value
    .group_segment_fixed_size: 0
    .kernarg_segment_align: 8
    .kernarg_segment_size: 120
    .language:       OpenCL C
    .language_version:
      - 2
      - 0
    .max_flat_workgroup_size: 256
    .name:           _ZN7rocprim17ROCPRIM_400000_NS6detail17trampoline_kernelINS0_14default_configENS1_27scan_by_key_config_selectorIssEEZZNS1_16scan_by_key_implILNS1_25lookback_scan_determinismE0ELb0ES3_N6thrust23THRUST_200600_302600_NS6detail15normal_iteratorINS9_10device_ptrIsEEEENS9_18transform_iteratorINS9_6negateIsEESE_NS9_11use_defaultESI_EESE_sNS9_4plusIvEENS9_8equal_toIvEEsEE10hipError_tPvRmT2_T3_T4_T5_mT6_T7_P12ihipStream_tbENKUlT_T0_E_clISt17integral_constantIbLb1EES13_IbLb0EEEEDaSZ_S10_EUlSZ_E_NS1_11comp_targetILNS1_3genE9ELNS1_11target_archE1100ELNS1_3gpuE3ELNS1_3repE0EEENS1_30default_config_static_selectorELNS0_4arch9wavefront6targetE0EEEvT1_
    .private_segment_fixed_size: 0
    .sgpr_count:     0
    .sgpr_spill_count: 0
    .symbol:         _ZN7rocprim17ROCPRIM_400000_NS6detail17trampoline_kernelINS0_14default_configENS1_27scan_by_key_config_selectorIssEEZZNS1_16scan_by_key_implILNS1_25lookback_scan_determinismE0ELb0ES3_N6thrust23THRUST_200600_302600_NS6detail15normal_iteratorINS9_10device_ptrIsEEEENS9_18transform_iteratorINS9_6negateIsEESE_NS9_11use_defaultESI_EESE_sNS9_4plusIvEENS9_8equal_toIvEEsEE10hipError_tPvRmT2_T3_T4_T5_mT6_T7_P12ihipStream_tbENKUlT_T0_E_clISt17integral_constantIbLb1EES13_IbLb0EEEEDaSZ_S10_EUlSZ_E_NS1_11comp_targetILNS1_3genE9ELNS1_11target_archE1100ELNS1_3gpuE3ELNS1_3repE0EEENS1_30default_config_static_selectorELNS0_4arch9wavefront6targetE0EEEvT1_.kd
    .uniform_work_group_size: 1
    .uses_dynamic_stack: false
    .vgpr_count:     0
    .vgpr_spill_count: 0
    .wavefront_size: 32
  - .args:
      - .offset:         0
        .size:           120
        .value_kind:     by_value
    .group_segment_fixed_size: 0
    .kernarg_segment_align: 8
    .kernarg_segment_size: 120
    .language:       OpenCL C
    .language_version:
      - 2
      - 0
    .max_flat_workgroup_size: 64
    .name:           _ZN7rocprim17ROCPRIM_400000_NS6detail17trampoline_kernelINS0_14default_configENS1_27scan_by_key_config_selectorIssEEZZNS1_16scan_by_key_implILNS1_25lookback_scan_determinismE0ELb0ES3_N6thrust23THRUST_200600_302600_NS6detail15normal_iteratorINS9_10device_ptrIsEEEENS9_18transform_iteratorINS9_6negateIsEESE_NS9_11use_defaultESI_EESE_sNS9_4plusIvEENS9_8equal_toIvEEsEE10hipError_tPvRmT2_T3_T4_T5_mT6_T7_P12ihipStream_tbENKUlT_T0_E_clISt17integral_constantIbLb1EES13_IbLb0EEEEDaSZ_S10_EUlSZ_E_NS1_11comp_targetILNS1_3genE8ELNS1_11target_archE1030ELNS1_3gpuE2ELNS1_3repE0EEENS1_30default_config_static_selectorELNS0_4arch9wavefront6targetE0EEEvT1_
    .private_segment_fixed_size: 0
    .sgpr_count:     0
    .sgpr_spill_count: 0
    .symbol:         _ZN7rocprim17ROCPRIM_400000_NS6detail17trampoline_kernelINS0_14default_configENS1_27scan_by_key_config_selectorIssEEZZNS1_16scan_by_key_implILNS1_25lookback_scan_determinismE0ELb0ES3_N6thrust23THRUST_200600_302600_NS6detail15normal_iteratorINS9_10device_ptrIsEEEENS9_18transform_iteratorINS9_6negateIsEESE_NS9_11use_defaultESI_EESE_sNS9_4plusIvEENS9_8equal_toIvEEsEE10hipError_tPvRmT2_T3_T4_T5_mT6_T7_P12ihipStream_tbENKUlT_T0_E_clISt17integral_constantIbLb1EES13_IbLb0EEEEDaSZ_S10_EUlSZ_E_NS1_11comp_targetILNS1_3genE8ELNS1_11target_archE1030ELNS1_3gpuE2ELNS1_3repE0EEENS1_30default_config_static_selectorELNS0_4arch9wavefront6targetE0EEEvT1_.kd
    .uniform_work_group_size: 1
    .uses_dynamic_stack: false
    .vgpr_count:     0
    .vgpr_spill_count: 0
    .wavefront_size: 32
  - .args:
      - .offset:         0
        .size:           120
        .value_kind:     by_value
    .group_segment_fixed_size: 11264
    .kernarg_segment_align: 8
    .kernarg_segment_size: 120
    .language:       OpenCL C
    .language_version:
      - 2
      - 0
    .max_flat_workgroup_size: 256
    .name:           _ZN7rocprim17ROCPRIM_400000_NS6detail17trampoline_kernelINS0_14default_configENS1_27scan_by_key_config_selectorIssEEZZNS1_16scan_by_key_implILNS1_25lookback_scan_determinismE0ELb0ES3_N6thrust23THRUST_200600_302600_NS6detail15normal_iteratorINS9_10device_ptrIsEEEENS9_18transform_iteratorINS9_6negateIsEESE_NS9_11use_defaultESI_EESE_sNS9_4plusIvEENS9_8equal_toIvEEsEE10hipError_tPvRmT2_T3_T4_T5_mT6_T7_P12ihipStream_tbENKUlT_T0_E_clISt17integral_constantIbLb0EES13_IbLb1EEEEDaSZ_S10_EUlSZ_E_NS1_11comp_targetILNS1_3genE0ELNS1_11target_archE4294967295ELNS1_3gpuE0ELNS1_3repE0EEENS1_30default_config_static_selectorELNS0_4arch9wavefront6targetE0EEEvT1_
    .private_segment_fixed_size: 0
    .sgpr_count:     53
    .sgpr_spill_count: 0
    .symbol:         _ZN7rocprim17ROCPRIM_400000_NS6detail17trampoline_kernelINS0_14default_configENS1_27scan_by_key_config_selectorIssEEZZNS1_16scan_by_key_implILNS1_25lookback_scan_determinismE0ELb0ES3_N6thrust23THRUST_200600_302600_NS6detail15normal_iteratorINS9_10device_ptrIsEEEENS9_18transform_iteratorINS9_6negateIsEESE_NS9_11use_defaultESI_EESE_sNS9_4plusIvEENS9_8equal_toIvEEsEE10hipError_tPvRmT2_T3_T4_T5_mT6_T7_P12ihipStream_tbENKUlT_T0_E_clISt17integral_constantIbLb0EES13_IbLb1EEEEDaSZ_S10_EUlSZ_E_NS1_11comp_targetILNS1_3genE0ELNS1_11target_archE4294967295ELNS1_3gpuE0ELNS1_3repE0EEENS1_30default_config_static_selectorELNS0_4arch9wavefront6targetE0EEEvT1_.kd
    .uniform_work_group_size: 1
    .uses_dynamic_stack: false
    .vgpr_count:     58
    .vgpr_spill_count: 0
    .wavefront_size: 32
  - .args:
      - .offset:         0
        .size:           120
        .value_kind:     by_value
    .group_segment_fixed_size: 0
    .kernarg_segment_align: 8
    .kernarg_segment_size: 120
    .language:       OpenCL C
    .language_version:
      - 2
      - 0
    .max_flat_workgroup_size: 128
    .name:           _ZN7rocprim17ROCPRIM_400000_NS6detail17trampoline_kernelINS0_14default_configENS1_27scan_by_key_config_selectorIssEEZZNS1_16scan_by_key_implILNS1_25lookback_scan_determinismE0ELb0ES3_N6thrust23THRUST_200600_302600_NS6detail15normal_iteratorINS9_10device_ptrIsEEEENS9_18transform_iteratorINS9_6negateIsEESE_NS9_11use_defaultESI_EESE_sNS9_4plusIvEENS9_8equal_toIvEEsEE10hipError_tPvRmT2_T3_T4_T5_mT6_T7_P12ihipStream_tbENKUlT_T0_E_clISt17integral_constantIbLb0EES13_IbLb1EEEEDaSZ_S10_EUlSZ_E_NS1_11comp_targetILNS1_3genE10ELNS1_11target_archE1201ELNS1_3gpuE5ELNS1_3repE0EEENS1_30default_config_static_selectorELNS0_4arch9wavefront6targetE0EEEvT1_
    .private_segment_fixed_size: 0
    .sgpr_count:     0
    .sgpr_spill_count: 0
    .symbol:         _ZN7rocprim17ROCPRIM_400000_NS6detail17trampoline_kernelINS0_14default_configENS1_27scan_by_key_config_selectorIssEEZZNS1_16scan_by_key_implILNS1_25lookback_scan_determinismE0ELb0ES3_N6thrust23THRUST_200600_302600_NS6detail15normal_iteratorINS9_10device_ptrIsEEEENS9_18transform_iteratorINS9_6negateIsEESE_NS9_11use_defaultESI_EESE_sNS9_4plusIvEENS9_8equal_toIvEEsEE10hipError_tPvRmT2_T3_T4_T5_mT6_T7_P12ihipStream_tbENKUlT_T0_E_clISt17integral_constantIbLb0EES13_IbLb1EEEEDaSZ_S10_EUlSZ_E_NS1_11comp_targetILNS1_3genE10ELNS1_11target_archE1201ELNS1_3gpuE5ELNS1_3repE0EEENS1_30default_config_static_selectorELNS0_4arch9wavefront6targetE0EEEvT1_.kd
    .uniform_work_group_size: 1
    .uses_dynamic_stack: false
    .vgpr_count:     0
    .vgpr_spill_count: 0
    .wavefront_size: 32
  - .args:
      - .offset:         0
        .size:           120
        .value_kind:     by_value
    .group_segment_fixed_size: 0
    .kernarg_segment_align: 8
    .kernarg_segment_size: 120
    .language:       OpenCL C
    .language_version:
      - 2
      - 0
    .max_flat_workgroup_size: 256
    .name:           _ZN7rocprim17ROCPRIM_400000_NS6detail17trampoline_kernelINS0_14default_configENS1_27scan_by_key_config_selectorIssEEZZNS1_16scan_by_key_implILNS1_25lookback_scan_determinismE0ELb0ES3_N6thrust23THRUST_200600_302600_NS6detail15normal_iteratorINS9_10device_ptrIsEEEENS9_18transform_iteratorINS9_6negateIsEESE_NS9_11use_defaultESI_EESE_sNS9_4plusIvEENS9_8equal_toIvEEsEE10hipError_tPvRmT2_T3_T4_T5_mT6_T7_P12ihipStream_tbENKUlT_T0_E_clISt17integral_constantIbLb0EES13_IbLb1EEEEDaSZ_S10_EUlSZ_E_NS1_11comp_targetILNS1_3genE5ELNS1_11target_archE942ELNS1_3gpuE9ELNS1_3repE0EEENS1_30default_config_static_selectorELNS0_4arch9wavefront6targetE0EEEvT1_
    .private_segment_fixed_size: 0
    .sgpr_count:     0
    .sgpr_spill_count: 0
    .symbol:         _ZN7rocprim17ROCPRIM_400000_NS6detail17trampoline_kernelINS0_14default_configENS1_27scan_by_key_config_selectorIssEEZZNS1_16scan_by_key_implILNS1_25lookback_scan_determinismE0ELb0ES3_N6thrust23THRUST_200600_302600_NS6detail15normal_iteratorINS9_10device_ptrIsEEEENS9_18transform_iteratorINS9_6negateIsEESE_NS9_11use_defaultESI_EESE_sNS9_4plusIvEENS9_8equal_toIvEEsEE10hipError_tPvRmT2_T3_T4_T5_mT6_T7_P12ihipStream_tbENKUlT_T0_E_clISt17integral_constantIbLb0EES13_IbLb1EEEEDaSZ_S10_EUlSZ_E_NS1_11comp_targetILNS1_3genE5ELNS1_11target_archE942ELNS1_3gpuE9ELNS1_3repE0EEENS1_30default_config_static_selectorELNS0_4arch9wavefront6targetE0EEEvT1_.kd
    .uniform_work_group_size: 1
    .uses_dynamic_stack: false
    .vgpr_count:     0
    .vgpr_spill_count: 0
    .wavefront_size: 32
  - .args:
      - .offset:         0
        .size:           120
        .value_kind:     by_value
    .group_segment_fixed_size: 0
    .kernarg_segment_align: 8
    .kernarg_segment_size: 120
    .language:       OpenCL C
    .language_version:
      - 2
      - 0
    .max_flat_workgroup_size: 256
    .name:           _ZN7rocprim17ROCPRIM_400000_NS6detail17trampoline_kernelINS0_14default_configENS1_27scan_by_key_config_selectorIssEEZZNS1_16scan_by_key_implILNS1_25lookback_scan_determinismE0ELb0ES3_N6thrust23THRUST_200600_302600_NS6detail15normal_iteratorINS9_10device_ptrIsEEEENS9_18transform_iteratorINS9_6negateIsEESE_NS9_11use_defaultESI_EESE_sNS9_4plusIvEENS9_8equal_toIvEEsEE10hipError_tPvRmT2_T3_T4_T5_mT6_T7_P12ihipStream_tbENKUlT_T0_E_clISt17integral_constantIbLb0EES13_IbLb1EEEEDaSZ_S10_EUlSZ_E_NS1_11comp_targetILNS1_3genE4ELNS1_11target_archE910ELNS1_3gpuE8ELNS1_3repE0EEENS1_30default_config_static_selectorELNS0_4arch9wavefront6targetE0EEEvT1_
    .private_segment_fixed_size: 0
    .sgpr_count:     0
    .sgpr_spill_count: 0
    .symbol:         _ZN7rocprim17ROCPRIM_400000_NS6detail17trampoline_kernelINS0_14default_configENS1_27scan_by_key_config_selectorIssEEZZNS1_16scan_by_key_implILNS1_25lookback_scan_determinismE0ELb0ES3_N6thrust23THRUST_200600_302600_NS6detail15normal_iteratorINS9_10device_ptrIsEEEENS9_18transform_iteratorINS9_6negateIsEESE_NS9_11use_defaultESI_EESE_sNS9_4plusIvEENS9_8equal_toIvEEsEE10hipError_tPvRmT2_T3_T4_T5_mT6_T7_P12ihipStream_tbENKUlT_T0_E_clISt17integral_constantIbLb0EES13_IbLb1EEEEDaSZ_S10_EUlSZ_E_NS1_11comp_targetILNS1_3genE4ELNS1_11target_archE910ELNS1_3gpuE8ELNS1_3repE0EEENS1_30default_config_static_selectorELNS0_4arch9wavefront6targetE0EEEvT1_.kd
    .uniform_work_group_size: 1
    .uses_dynamic_stack: false
    .vgpr_count:     0
    .vgpr_spill_count: 0
    .wavefront_size: 32
  - .args:
      - .offset:         0
        .size:           120
        .value_kind:     by_value
    .group_segment_fixed_size: 0
    .kernarg_segment_align: 8
    .kernarg_segment_size: 120
    .language:       OpenCL C
    .language_version:
      - 2
      - 0
    .max_flat_workgroup_size: 256
    .name:           _ZN7rocprim17ROCPRIM_400000_NS6detail17trampoline_kernelINS0_14default_configENS1_27scan_by_key_config_selectorIssEEZZNS1_16scan_by_key_implILNS1_25lookback_scan_determinismE0ELb0ES3_N6thrust23THRUST_200600_302600_NS6detail15normal_iteratorINS9_10device_ptrIsEEEENS9_18transform_iteratorINS9_6negateIsEESE_NS9_11use_defaultESI_EESE_sNS9_4plusIvEENS9_8equal_toIvEEsEE10hipError_tPvRmT2_T3_T4_T5_mT6_T7_P12ihipStream_tbENKUlT_T0_E_clISt17integral_constantIbLb0EES13_IbLb1EEEEDaSZ_S10_EUlSZ_E_NS1_11comp_targetILNS1_3genE3ELNS1_11target_archE908ELNS1_3gpuE7ELNS1_3repE0EEENS1_30default_config_static_selectorELNS0_4arch9wavefront6targetE0EEEvT1_
    .private_segment_fixed_size: 0
    .sgpr_count:     0
    .sgpr_spill_count: 0
    .symbol:         _ZN7rocprim17ROCPRIM_400000_NS6detail17trampoline_kernelINS0_14default_configENS1_27scan_by_key_config_selectorIssEEZZNS1_16scan_by_key_implILNS1_25lookback_scan_determinismE0ELb0ES3_N6thrust23THRUST_200600_302600_NS6detail15normal_iteratorINS9_10device_ptrIsEEEENS9_18transform_iteratorINS9_6negateIsEESE_NS9_11use_defaultESI_EESE_sNS9_4plusIvEENS9_8equal_toIvEEsEE10hipError_tPvRmT2_T3_T4_T5_mT6_T7_P12ihipStream_tbENKUlT_T0_E_clISt17integral_constantIbLb0EES13_IbLb1EEEEDaSZ_S10_EUlSZ_E_NS1_11comp_targetILNS1_3genE3ELNS1_11target_archE908ELNS1_3gpuE7ELNS1_3repE0EEENS1_30default_config_static_selectorELNS0_4arch9wavefront6targetE0EEEvT1_.kd
    .uniform_work_group_size: 1
    .uses_dynamic_stack: false
    .vgpr_count:     0
    .vgpr_spill_count: 0
    .wavefront_size: 32
  - .args:
      - .offset:         0
        .size:           120
        .value_kind:     by_value
    .group_segment_fixed_size: 0
    .kernarg_segment_align: 8
    .kernarg_segment_size: 120
    .language:       OpenCL C
    .language_version:
      - 2
      - 0
    .max_flat_workgroup_size: 64
    .name:           _ZN7rocprim17ROCPRIM_400000_NS6detail17trampoline_kernelINS0_14default_configENS1_27scan_by_key_config_selectorIssEEZZNS1_16scan_by_key_implILNS1_25lookback_scan_determinismE0ELb0ES3_N6thrust23THRUST_200600_302600_NS6detail15normal_iteratorINS9_10device_ptrIsEEEENS9_18transform_iteratorINS9_6negateIsEESE_NS9_11use_defaultESI_EESE_sNS9_4plusIvEENS9_8equal_toIvEEsEE10hipError_tPvRmT2_T3_T4_T5_mT6_T7_P12ihipStream_tbENKUlT_T0_E_clISt17integral_constantIbLb0EES13_IbLb1EEEEDaSZ_S10_EUlSZ_E_NS1_11comp_targetILNS1_3genE2ELNS1_11target_archE906ELNS1_3gpuE6ELNS1_3repE0EEENS1_30default_config_static_selectorELNS0_4arch9wavefront6targetE0EEEvT1_
    .private_segment_fixed_size: 0
    .sgpr_count:     0
    .sgpr_spill_count: 0
    .symbol:         _ZN7rocprim17ROCPRIM_400000_NS6detail17trampoline_kernelINS0_14default_configENS1_27scan_by_key_config_selectorIssEEZZNS1_16scan_by_key_implILNS1_25lookback_scan_determinismE0ELb0ES3_N6thrust23THRUST_200600_302600_NS6detail15normal_iteratorINS9_10device_ptrIsEEEENS9_18transform_iteratorINS9_6negateIsEESE_NS9_11use_defaultESI_EESE_sNS9_4plusIvEENS9_8equal_toIvEEsEE10hipError_tPvRmT2_T3_T4_T5_mT6_T7_P12ihipStream_tbENKUlT_T0_E_clISt17integral_constantIbLb0EES13_IbLb1EEEEDaSZ_S10_EUlSZ_E_NS1_11comp_targetILNS1_3genE2ELNS1_11target_archE906ELNS1_3gpuE6ELNS1_3repE0EEENS1_30default_config_static_selectorELNS0_4arch9wavefront6targetE0EEEvT1_.kd
    .uniform_work_group_size: 1
    .uses_dynamic_stack: false
    .vgpr_count:     0
    .vgpr_spill_count: 0
    .wavefront_size: 32
  - .args:
      - .offset:         0
        .size:           120
        .value_kind:     by_value
    .group_segment_fixed_size: 0
    .kernarg_segment_align: 8
    .kernarg_segment_size: 120
    .language:       OpenCL C
    .language_version:
      - 2
      - 0
    .max_flat_workgroup_size: 256
    .name:           _ZN7rocprim17ROCPRIM_400000_NS6detail17trampoline_kernelINS0_14default_configENS1_27scan_by_key_config_selectorIssEEZZNS1_16scan_by_key_implILNS1_25lookback_scan_determinismE0ELb0ES3_N6thrust23THRUST_200600_302600_NS6detail15normal_iteratorINS9_10device_ptrIsEEEENS9_18transform_iteratorINS9_6negateIsEESE_NS9_11use_defaultESI_EESE_sNS9_4plusIvEENS9_8equal_toIvEEsEE10hipError_tPvRmT2_T3_T4_T5_mT6_T7_P12ihipStream_tbENKUlT_T0_E_clISt17integral_constantIbLb0EES13_IbLb1EEEEDaSZ_S10_EUlSZ_E_NS1_11comp_targetILNS1_3genE10ELNS1_11target_archE1200ELNS1_3gpuE4ELNS1_3repE0EEENS1_30default_config_static_selectorELNS0_4arch9wavefront6targetE0EEEvT1_
    .private_segment_fixed_size: 0
    .sgpr_count:     0
    .sgpr_spill_count: 0
    .symbol:         _ZN7rocprim17ROCPRIM_400000_NS6detail17trampoline_kernelINS0_14default_configENS1_27scan_by_key_config_selectorIssEEZZNS1_16scan_by_key_implILNS1_25lookback_scan_determinismE0ELb0ES3_N6thrust23THRUST_200600_302600_NS6detail15normal_iteratorINS9_10device_ptrIsEEEENS9_18transform_iteratorINS9_6negateIsEESE_NS9_11use_defaultESI_EESE_sNS9_4plusIvEENS9_8equal_toIvEEsEE10hipError_tPvRmT2_T3_T4_T5_mT6_T7_P12ihipStream_tbENKUlT_T0_E_clISt17integral_constantIbLb0EES13_IbLb1EEEEDaSZ_S10_EUlSZ_E_NS1_11comp_targetILNS1_3genE10ELNS1_11target_archE1200ELNS1_3gpuE4ELNS1_3repE0EEENS1_30default_config_static_selectorELNS0_4arch9wavefront6targetE0EEEvT1_.kd
    .uniform_work_group_size: 1
    .uses_dynamic_stack: false
    .vgpr_count:     0
    .vgpr_spill_count: 0
    .wavefront_size: 32
  - .args:
      - .offset:         0
        .size:           120
        .value_kind:     by_value
    .group_segment_fixed_size: 0
    .kernarg_segment_align: 8
    .kernarg_segment_size: 120
    .language:       OpenCL C
    .language_version:
      - 2
      - 0
    .max_flat_workgroup_size: 256
    .name:           _ZN7rocprim17ROCPRIM_400000_NS6detail17trampoline_kernelINS0_14default_configENS1_27scan_by_key_config_selectorIssEEZZNS1_16scan_by_key_implILNS1_25lookback_scan_determinismE0ELb0ES3_N6thrust23THRUST_200600_302600_NS6detail15normal_iteratorINS9_10device_ptrIsEEEENS9_18transform_iteratorINS9_6negateIsEESE_NS9_11use_defaultESI_EESE_sNS9_4plusIvEENS9_8equal_toIvEEsEE10hipError_tPvRmT2_T3_T4_T5_mT6_T7_P12ihipStream_tbENKUlT_T0_E_clISt17integral_constantIbLb0EES13_IbLb1EEEEDaSZ_S10_EUlSZ_E_NS1_11comp_targetILNS1_3genE9ELNS1_11target_archE1100ELNS1_3gpuE3ELNS1_3repE0EEENS1_30default_config_static_selectorELNS0_4arch9wavefront6targetE0EEEvT1_
    .private_segment_fixed_size: 0
    .sgpr_count:     0
    .sgpr_spill_count: 0
    .symbol:         _ZN7rocprim17ROCPRIM_400000_NS6detail17trampoline_kernelINS0_14default_configENS1_27scan_by_key_config_selectorIssEEZZNS1_16scan_by_key_implILNS1_25lookback_scan_determinismE0ELb0ES3_N6thrust23THRUST_200600_302600_NS6detail15normal_iteratorINS9_10device_ptrIsEEEENS9_18transform_iteratorINS9_6negateIsEESE_NS9_11use_defaultESI_EESE_sNS9_4plusIvEENS9_8equal_toIvEEsEE10hipError_tPvRmT2_T3_T4_T5_mT6_T7_P12ihipStream_tbENKUlT_T0_E_clISt17integral_constantIbLb0EES13_IbLb1EEEEDaSZ_S10_EUlSZ_E_NS1_11comp_targetILNS1_3genE9ELNS1_11target_archE1100ELNS1_3gpuE3ELNS1_3repE0EEENS1_30default_config_static_selectorELNS0_4arch9wavefront6targetE0EEEvT1_.kd
    .uniform_work_group_size: 1
    .uses_dynamic_stack: false
    .vgpr_count:     0
    .vgpr_spill_count: 0
    .wavefront_size: 32
  - .args:
      - .offset:         0
        .size:           120
        .value_kind:     by_value
    .group_segment_fixed_size: 0
    .kernarg_segment_align: 8
    .kernarg_segment_size: 120
    .language:       OpenCL C
    .language_version:
      - 2
      - 0
    .max_flat_workgroup_size: 64
    .name:           _ZN7rocprim17ROCPRIM_400000_NS6detail17trampoline_kernelINS0_14default_configENS1_27scan_by_key_config_selectorIssEEZZNS1_16scan_by_key_implILNS1_25lookback_scan_determinismE0ELb0ES3_N6thrust23THRUST_200600_302600_NS6detail15normal_iteratorINS9_10device_ptrIsEEEENS9_18transform_iteratorINS9_6negateIsEESE_NS9_11use_defaultESI_EESE_sNS9_4plusIvEENS9_8equal_toIvEEsEE10hipError_tPvRmT2_T3_T4_T5_mT6_T7_P12ihipStream_tbENKUlT_T0_E_clISt17integral_constantIbLb0EES13_IbLb1EEEEDaSZ_S10_EUlSZ_E_NS1_11comp_targetILNS1_3genE8ELNS1_11target_archE1030ELNS1_3gpuE2ELNS1_3repE0EEENS1_30default_config_static_selectorELNS0_4arch9wavefront6targetE0EEEvT1_
    .private_segment_fixed_size: 0
    .sgpr_count:     0
    .sgpr_spill_count: 0
    .symbol:         _ZN7rocprim17ROCPRIM_400000_NS6detail17trampoline_kernelINS0_14default_configENS1_27scan_by_key_config_selectorIssEEZZNS1_16scan_by_key_implILNS1_25lookback_scan_determinismE0ELb0ES3_N6thrust23THRUST_200600_302600_NS6detail15normal_iteratorINS9_10device_ptrIsEEEENS9_18transform_iteratorINS9_6negateIsEESE_NS9_11use_defaultESI_EESE_sNS9_4plusIvEENS9_8equal_toIvEEsEE10hipError_tPvRmT2_T3_T4_T5_mT6_T7_P12ihipStream_tbENKUlT_T0_E_clISt17integral_constantIbLb0EES13_IbLb1EEEEDaSZ_S10_EUlSZ_E_NS1_11comp_targetILNS1_3genE8ELNS1_11target_archE1030ELNS1_3gpuE2ELNS1_3repE0EEENS1_30default_config_static_selectorELNS0_4arch9wavefront6targetE0EEEvT1_.kd
    .uniform_work_group_size: 1
    .uses_dynamic_stack: false
    .vgpr_count:     0
    .vgpr_spill_count: 0
    .wavefront_size: 32
  - .args:
      - .address_space:  global
        .offset:         0
        .size:           8
        .value_kind:     global_buffer
      - .offset:         8
        .size:           4
        .value_kind:     by_value
      - .offset:         12
        .size:           4
        .value_kind:     by_value
      - .address_space:  global
        .offset:         16
        .size:           8
        .value_kind:     global_buffer
      - .address_space:  global
        .offset:         24
        .size:           8
        .value_kind:     global_buffer
      - .actual_access:  write_only
        .address_space:  global
        .offset:         32
        .size:           8
        .value_kind:     global_buffer
      - .offset:         40
        .size:           8
        .value_kind:     by_value
      - .offset:         48
        .size:           4
        .value_kind:     by_value
      - .offset:         52
        .size:           1
        .value_kind:     by_value
      - .offset:         56
        .size:           4
        .value_kind:     hidden_block_count_x
      - .offset:         60
        .size:           4
        .value_kind:     hidden_block_count_y
      - .offset:         64
        .size:           4
        .value_kind:     hidden_block_count_z
      - .offset:         68
        .size:           2
        .value_kind:     hidden_group_size_x
      - .offset:         70
        .size:           2
        .value_kind:     hidden_group_size_y
      - .offset:         72
        .size:           2
        .value_kind:     hidden_group_size_z
      - .offset:         74
        .size:           2
        .value_kind:     hidden_remainder_x
      - .offset:         76
        .size:           2
        .value_kind:     hidden_remainder_y
      - .offset:         78
        .size:           2
        .value_kind:     hidden_remainder_z
      - .offset:         96
        .size:           8
        .value_kind:     hidden_global_offset_x
      - .offset:         104
        .size:           8
        .value_kind:     hidden_global_offset_y
      - .offset:         112
        .size:           8
        .value_kind:     hidden_global_offset_z
      - .offset:         120
        .size:           2
        .value_kind:     hidden_grid_dims
    .group_segment_fixed_size: 0
    .kernarg_segment_align: 8
    .kernarg_segment_size: 312
    .language:       OpenCL C
    .language_version:
      - 2
      - 0
    .max_flat_workgroup_size: 256
    .name:           _ZN7rocprim17ROCPRIM_400000_NS6detail30init_device_scan_by_key_kernelINS1_19lookback_scan_stateINS0_5tupleIJibEEELb0ELb1EEEN6thrust23THRUST_200600_302600_NS6detail15normal_iteratorINS8_10device_ptrIxEEEEjNS1_16block_id_wrapperIjLb0EEEEEvT_jjPNSG_10value_typeET0_PNSt15iterator_traitsISJ_E10value_typeEmT1_T2_
    .private_segment_fixed_size: 0
    .sgpr_count:     19
    .sgpr_spill_count: 0
    .symbol:         _ZN7rocprim17ROCPRIM_400000_NS6detail30init_device_scan_by_key_kernelINS1_19lookback_scan_stateINS0_5tupleIJibEEELb0ELb1EEEN6thrust23THRUST_200600_302600_NS6detail15normal_iteratorINS8_10device_ptrIxEEEEjNS1_16block_id_wrapperIjLb0EEEEEvT_jjPNSG_10value_typeET0_PNSt15iterator_traitsISJ_E10value_typeEmT1_T2_.kd
    .uniform_work_group_size: 1
    .uses_dynamic_stack: false
    .vgpr_count:     10
    .vgpr_spill_count: 0
    .wavefront_size: 32
  - .args:
      - .offset:         0
        .size:           112
        .value_kind:     by_value
    .group_segment_fixed_size: 32768
    .kernarg_segment_align: 8
    .kernarg_segment_size: 112
    .language:       OpenCL C
    .language_version:
      - 2
      - 0
    .max_flat_workgroup_size: 256
    .name:           _ZN7rocprim17ROCPRIM_400000_NS6detail17trampoline_kernelINS0_14default_configENS1_27scan_by_key_config_selectorIxiEEZZNS1_16scan_by_key_implILNS1_25lookback_scan_determinismE0ELb1ES3_N6thrust23THRUST_200600_302600_NS6detail15normal_iteratorINS9_10device_ptrIxEEEESE_SE_iNS9_4plusIvEENS9_8equal_toIvEEiEE10hipError_tPvRmT2_T3_T4_T5_mT6_T7_P12ihipStream_tbENKUlT_T0_E_clISt17integral_constantIbLb0EESZ_EEDaSU_SV_EUlSU_E_NS1_11comp_targetILNS1_3genE0ELNS1_11target_archE4294967295ELNS1_3gpuE0ELNS1_3repE0EEENS1_30default_config_static_selectorELNS0_4arch9wavefront6targetE0EEEvT1_
    .private_segment_fixed_size: 0
    .sgpr_count:     41
    .sgpr_spill_count: 0
    .symbol:         _ZN7rocprim17ROCPRIM_400000_NS6detail17trampoline_kernelINS0_14default_configENS1_27scan_by_key_config_selectorIxiEEZZNS1_16scan_by_key_implILNS1_25lookback_scan_determinismE0ELb1ES3_N6thrust23THRUST_200600_302600_NS6detail15normal_iteratorINS9_10device_ptrIxEEEESE_SE_iNS9_4plusIvEENS9_8equal_toIvEEiEE10hipError_tPvRmT2_T3_T4_T5_mT6_T7_P12ihipStream_tbENKUlT_T0_E_clISt17integral_constantIbLb0EESZ_EEDaSU_SV_EUlSU_E_NS1_11comp_targetILNS1_3genE0ELNS1_11target_archE4294967295ELNS1_3gpuE0ELNS1_3repE0EEENS1_30default_config_static_selectorELNS0_4arch9wavefront6targetE0EEEvT1_.kd
    .uniform_work_group_size: 1
    .uses_dynamic_stack: false
    .vgpr_count:     84
    .vgpr_spill_count: 0
    .wavefront_size: 32
  - .args:
      - .offset:         0
        .size:           112
        .value_kind:     by_value
    .group_segment_fixed_size: 0
    .kernarg_segment_align: 8
    .kernarg_segment_size: 112
    .language:       OpenCL C
    .language_version:
      - 2
      - 0
    .max_flat_workgroup_size: 256
    .name:           _ZN7rocprim17ROCPRIM_400000_NS6detail17trampoline_kernelINS0_14default_configENS1_27scan_by_key_config_selectorIxiEEZZNS1_16scan_by_key_implILNS1_25lookback_scan_determinismE0ELb1ES3_N6thrust23THRUST_200600_302600_NS6detail15normal_iteratorINS9_10device_ptrIxEEEESE_SE_iNS9_4plusIvEENS9_8equal_toIvEEiEE10hipError_tPvRmT2_T3_T4_T5_mT6_T7_P12ihipStream_tbENKUlT_T0_E_clISt17integral_constantIbLb0EESZ_EEDaSU_SV_EUlSU_E_NS1_11comp_targetILNS1_3genE10ELNS1_11target_archE1201ELNS1_3gpuE5ELNS1_3repE0EEENS1_30default_config_static_selectorELNS0_4arch9wavefront6targetE0EEEvT1_
    .private_segment_fixed_size: 0
    .sgpr_count:     0
    .sgpr_spill_count: 0
    .symbol:         _ZN7rocprim17ROCPRIM_400000_NS6detail17trampoline_kernelINS0_14default_configENS1_27scan_by_key_config_selectorIxiEEZZNS1_16scan_by_key_implILNS1_25lookback_scan_determinismE0ELb1ES3_N6thrust23THRUST_200600_302600_NS6detail15normal_iteratorINS9_10device_ptrIxEEEESE_SE_iNS9_4plusIvEENS9_8equal_toIvEEiEE10hipError_tPvRmT2_T3_T4_T5_mT6_T7_P12ihipStream_tbENKUlT_T0_E_clISt17integral_constantIbLb0EESZ_EEDaSU_SV_EUlSU_E_NS1_11comp_targetILNS1_3genE10ELNS1_11target_archE1201ELNS1_3gpuE5ELNS1_3repE0EEENS1_30default_config_static_selectorELNS0_4arch9wavefront6targetE0EEEvT1_.kd
    .uniform_work_group_size: 1
    .uses_dynamic_stack: false
    .vgpr_count:     0
    .vgpr_spill_count: 0
    .wavefront_size: 32
  - .args:
      - .offset:         0
        .size:           112
        .value_kind:     by_value
    .group_segment_fixed_size: 0
    .kernarg_segment_align: 8
    .kernarg_segment_size: 112
    .language:       OpenCL C
    .language_version:
      - 2
      - 0
    .max_flat_workgroup_size: 256
    .name:           _ZN7rocprim17ROCPRIM_400000_NS6detail17trampoline_kernelINS0_14default_configENS1_27scan_by_key_config_selectorIxiEEZZNS1_16scan_by_key_implILNS1_25lookback_scan_determinismE0ELb1ES3_N6thrust23THRUST_200600_302600_NS6detail15normal_iteratorINS9_10device_ptrIxEEEESE_SE_iNS9_4plusIvEENS9_8equal_toIvEEiEE10hipError_tPvRmT2_T3_T4_T5_mT6_T7_P12ihipStream_tbENKUlT_T0_E_clISt17integral_constantIbLb0EESZ_EEDaSU_SV_EUlSU_E_NS1_11comp_targetILNS1_3genE5ELNS1_11target_archE942ELNS1_3gpuE9ELNS1_3repE0EEENS1_30default_config_static_selectorELNS0_4arch9wavefront6targetE0EEEvT1_
    .private_segment_fixed_size: 0
    .sgpr_count:     0
    .sgpr_spill_count: 0
    .symbol:         _ZN7rocprim17ROCPRIM_400000_NS6detail17trampoline_kernelINS0_14default_configENS1_27scan_by_key_config_selectorIxiEEZZNS1_16scan_by_key_implILNS1_25lookback_scan_determinismE0ELb1ES3_N6thrust23THRUST_200600_302600_NS6detail15normal_iteratorINS9_10device_ptrIxEEEESE_SE_iNS9_4plusIvEENS9_8equal_toIvEEiEE10hipError_tPvRmT2_T3_T4_T5_mT6_T7_P12ihipStream_tbENKUlT_T0_E_clISt17integral_constantIbLb0EESZ_EEDaSU_SV_EUlSU_E_NS1_11comp_targetILNS1_3genE5ELNS1_11target_archE942ELNS1_3gpuE9ELNS1_3repE0EEENS1_30default_config_static_selectorELNS0_4arch9wavefront6targetE0EEEvT1_.kd
    .uniform_work_group_size: 1
    .uses_dynamic_stack: false
    .vgpr_count:     0
    .vgpr_spill_count: 0
    .wavefront_size: 32
  - .args:
      - .offset:         0
        .size:           112
        .value_kind:     by_value
    .group_segment_fixed_size: 0
    .kernarg_segment_align: 8
    .kernarg_segment_size: 112
    .language:       OpenCL C
    .language_version:
      - 2
      - 0
    .max_flat_workgroup_size: 256
    .name:           _ZN7rocprim17ROCPRIM_400000_NS6detail17trampoline_kernelINS0_14default_configENS1_27scan_by_key_config_selectorIxiEEZZNS1_16scan_by_key_implILNS1_25lookback_scan_determinismE0ELb1ES3_N6thrust23THRUST_200600_302600_NS6detail15normal_iteratorINS9_10device_ptrIxEEEESE_SE_iNS9_4plusIvEENS9_8equal_toIvEEiEE10hipError_tPvRmT2_T3_T4_T5_mT6_T7_P12ihipStream_tbENKUlT_T0_E_clISt17integral_constantIbLb0EESZ_EEDaSU_SV_EUlSU_E_NS1_11comp_targetILNS1_3genE4ELNS1_11target_archE910ELNS1_3gpuE8ELNS1_3repE0EEENS1_30default_config_static_selectorELNS0_4arch9wavefront6targetE0EEEvT1_
    .private_segment_fixed_size: 0
    .sgpr_count:     0
    .sgpr_spill_count: 0
    .symbol:         _ZN7rocprim17ROCPRIM_400000_NS6detail17trampoline_kernelINS0_14default_configENS1_27scan_by_key_config_selectorIxiEEZZNS1_16scan_by_key_implILNS1_25lookback_scan_determinismE0ELb1ES3_N6thrust23THRUST_200600_302600_NS6detail15normal_iteratorINS9_10device_ptrIxEEEESE_SE_iNS9_4plusIvEENS9_8equal_toIvEEiEE10hipError_tPvRmT2_T3_T4_T5_mT6_T7_P12ihipStream_tbENKUlT_T0_E_clISt17integral_constantIbLb0EESZ_EEDaSU_SV_EUlSU_E_NS1_11comp_targetILNS1_3genE4ELNS1_11target_archE910ELNS1_3gpuE8ELNS1_3repE0EEENS1_30default_config_static_selectorELNS0_4arch9wavefront6targetE0EEEvT1_.kd
    .uniform_work_group_size: 1
    .uses_dynamic_stack: false
    .vgpr_count:     0
    .vgpr_spill_count: 0
    .wavefront_size: 32
  - .args:
      - .offset:         0
        .size:           112
        .value_kind:     by_value
    .group_segment_fixed_size: 0
    .kernarg_segment_align: 8
    .kernarg_segment_size: 112
    .language:       OpenCL C
    .language_version:
      - 2
      - 0
    .max_flat_workgroup_size: 256
    .name:           _ZN7rocprim17ROCPRIM_400000_NS6detail17trampoline_kernelINS0_14default_configENS1_27scan_by_key_config_selectorIxiEEZZNS1_16scan_by_key_implILNS1_25lookback_scan_determinismE0ELb1ES3_N6thrust23THRUST_200600_302600_NS6detail15normal_iteratorINS9_10device_ptrIxEEEESE_SE_iNS9_4plusIvEENS9_8equal_toIvEEiEE10hipError_tPvRmT2_T3_T4_T5_mT6_T7_P12ihipStream_tbENKUlT_T0_E_clISt17integral_constantIbLb0EESZ_EEDaSU_SV_EUlSU_E_NS1_11comp_targetILNS1_3genE3ELNS1_11target_archE908ELNS1_3gpuE7ELNS1_3repE0EEENS1_30default_config_static_selectorELNS0_4arch9wavefront6targetE0EEEvT1_
    .private_segment_fixed_size: 0
    .sgpr_count:     0
    .sgpr_spill_count: 0
    .symbol:         _ZN7rocprim17ROCPRIM_400000_NS6detail17trampoline_kernelINS0_14default_configENS1_27scan_by_key_config_selectorIxiEEZZNS1_16scan_by_key_implILNS1_25lookback_scan_determinismE0ELb1ES3_N6thrust23THRUST_200600_302600_NS6detail15normal_iteratorINS9_10device_ptrIxEEEESE_SE_iNS9_4plusIvEENS9_8equal_toIvEEiEE10hipError_tPvRmT2_T3_T4_T5_mT6_T7_P12ihipStream_tbENKUlT_T0_E_clISt17integral_constantIbLb0EESZ_EEDaSU_SV_EUlSU_E_NS1_11comp_targetILNS1_3genE3ELNS1_11target_archE908ELNS1_3gpuE7ELNS1_3repE0EEENS1_30default_config_static_selectorELNS0_4arch9wavefront6targetE0EEEvT1_.kd
    .uniform_work_group_size: 1
    .uses_dynamic_stack: false
    .vgpr_count:     0
    .vgpr_spill_count: 0
    .wavefront_size: 32
  - .args:
      - .offset:         0
        .size:           112
        .value_kind:     by_value
    .group_segment_fixed_size: 0
    .kernarg_segment_align: 8
    .kernarg_segment_size: 112
    .language:       OpenCL C
    .language_version:
      - 2
      - 0
    .max_flat_workgroup_size: 256
    .name:           _ZN7rocprim17ROCPRIM_400000_NS6detail17trampoline_kernelINS0_14default_configENS1_27scan_by_key_config_selectorIxiEEZZNS1_16scan_by_key_implILNS1_25lookback_scan_determinismE0ELb1ES3_N6thrust23THRUST_200600_302600_NS6detail15normal_iteratorINS9_10device_ptrIxEEEESE_SE_iNS9_4plusIvEENS9_8equal_toIvEEiEE10hipError_tPvRmT2_T3_T4_T5_mT6_T7_P12ihipStream_tbENKUlT_T0_E_clISt17integral_constantIbLb0EESZ_EEDaSU_SV_EUlSU_E_NS1_11comp_targetILNS1_3genE2ELNS1_11target_archE906ELNS1_3gpuE6ELNS1_3repE0EEENS1_30default_config_static_selectorELNS0_4arch9wavefront6targetE0EEEvT1_
    .private_segment_fixed_size: 0
    .sgpr_count:     0
    .sgpr_spill_count: 0
    .symbol:         _ZN7rocprim17ROCPRIM_400000_NS6detail17trampoline_kernelINS0_14default_configENS1_27scan_by_key_config_selectorIxiEEZZNS1_16scan_by_key_implILNS1_25lookback_scan_determinismE0ELb1ES3_N6thrust23THRUST_200600_302600_NS6detail15normal_iteratorINS9_10device_ptrIxEEEESE_SE_iNS9_4plusIvEENS9_8equal_toIvEEiEE10hipError_tPvRmT2_T3_T4_T5_mT6_T7_P12ihipStream_tbENKUlT_T0_E_clISt17integral_constantIbLb0EESZ_EEDaSU_SV_EUlSU_E_NS1_11comp_targetILNS1_3genE2ELNS1_11target_archE906ELNS1_3gpuE6ELNS1_3repE0EEENS1_30default_config_static_selectorELNS0_4arch9wavefront6targetE0EEEvT1_.kd
    .uniform_work_group_size: 1
    .uses_dynamic_stack: false
    .vgpr_count:     0
    .vgpr_spill_count: 0
    .wavefront_size: 32
  - .args:
      - .offset:         0
        .size:           112
        .value_kind:     by_value
    .group_segment_fixed_size: 0
    .kernarg_segment_align: 8
    .kernarg_segment_size: 112
    .language:       OpenCL C
    .language_version:
      - 2
      - 0
    .max_flat_workgroup_size: 256
    .name:           _ZN7rocprim17ROCPRIM_400000_NS6detail17trampoline_kernelINS0_14default_configENS1_27scan_by_key_config_selectorIxiEEZZNS1_16scan_by_key_implILNS1_25lookback_scan_determinismE0ELb1ES3_N6thrust23THRUST_200600_302600_NS6detail15normal_iteratorINS9_10device_ptrIxEEEESE_SE_iNS9_4plusIvEENS9_8equal_toIvEEiEE10hipError_tPvRmT2_T3_T4_T5_mT6_T7_P12ihipStream_tbENKUlT_T0_E_clISt17integral_constantIbLb0EESZ_EEDaSU_SV_EUlSU_E_NS1_11comp_targetILNS1_3genE10ELNS1_11target_archE1200ELNS1_3gpuE4ELNS1_3repE0EEENS1_30default_config_static_selectorELNS0_4arch9wavefront6targetE0EEEvT1_
    .private_segment_fixed_size: 0
    .sgpr_count:     0
    .sgpr_spill_count: 0
    .symbol:         _ZN7rocprim17ROCPRIM_400000_NS6detail17trampoline_kernelINS0_14default_configENS1_27scan_by_key_config_selectorIxiEEZZNS1_16scan_by_key_implILNS1_25lookback_scan_determinismE0ELb1ES3_N6thrust23THRUST_200600_302600_NS6detail15normal_iteratorINS9_10device_ptrIxEEEESE_SE_iNS9_4plusIvEENS9_8equal_toIvEEiEE10hipError_tPvRmT2_T3_T4_T5_mT6_T7_P12ihipStream_tbENKUlT_T0_E_clISt17integral_constantIbLb0EESZ_EEDaSU_SV_EUlSU_E_NS1_11comp_targetILNS1_3genE10ELNS1_11target_archE1200ELNS1_3gpuE4ELNS1_3repE0EEENS1_30default_config_static_selectorELNS0_4arch9wavefront6targetE0EEEvT1_.kd
    .uniform_work_group_size: 1
    .uses_dynamic_stack: false
    .vgpr_count:     0
    .vgpr_spill_count: 0
    .wavefront_size: 32
  - .args:
      - .offset:         0
        .size:           112
        .value_kind:     by_value
    .group_segment_fixed_size: 0
    .kernarg_segment_align: 8
    .kernarg_segment_size: 112
    .language:       OpenCL C
    .language_version:
      - 2
      - 0
    .max_flat_workgroup_size: 256
    .name:           _ZN7rocprim17ROCPRIM_400000_NS6detail17trampoline_kernelINS0_14default_configENS1_27scan_by_key_config_selectorIxiEEZZNS1_16scan_by_key_implILNS1_25lookback_scan_determinismE0ELb1ES3_N6thrust23THRUST_200600_302600_NS6detail15normal_iteratorINS9_10device_ptrIxEEEESE_SE_iNS9_4plusIvEENS9_8equal_toIvEEiEE10hipError_tPvRmT2_T3_T4_T5_mT6_T7_P12ihipStream_tbENKUlT_T0_E_clISt17integral_constantIbLb0EESZ_EEDaSU_SV_EUlSU_E_NS1_11comp_targetILNS1_3genE9ELNS1_11target_archE1100ELNS1_3gpuE3ELNS1_3repE0EEENS1_30default_config_static_selectorELNS0_4arch9wavefront6targetE0EEEvT1_
    .private_segment_fixed_size: 0
    .sgpr_count:     0
    .sgpr_spill_count: 0
    .symbol:         _ZN7rocprim17ROCPRIM_400000_NS6detail17trampoline_kernelINS0_14default_configENS1_27scan_by_key_config_selectorIxiEEZZNS1_16scan_by_key_implILNS1_25lookback_scan_determinismE0ELb1ES3_N6thrust23THRUST_200600_302600_NS6detail15normal_iteratorINS9_10device_ptrIxEEEESE_SE_iNS9_4plusIvEENS9_8equal_toIvEEiEE10hipError_tPvRmT2_T3_T4_T5_mT6_T7_P12ihipStream_tbENKUlT_T0_E_clISt17integral_constantIbLb0EESZ_EEDaSU_SV_EUlSU_E_NS1_11comp_targetILNS1_3genE9ELNS1_11target_archE1100ELNS1_3gpuE3ELNS1_3repE0EEENS1_30default_config_static_selectorELNS0_4arch9wavefront6targetE0EEEvT1_.kd
    .uniform_work_group_size: 1
    .uses_dynamic_stack: false
    .vgpr_count:     0
    .vgpr_spill_count: 0
    .wavefront_size: 32
  - .args:
      - .offset:         0
        .size:           112
        .value_kind:     by_value
    .group_segment_fixed_size: 0
    .kernarg_segment_align: 8
    .kernarg_segment_size: 112
    .language:       OpenCL C
    .language_version:
      - 2
      - 0
    .max_flat_workgroup_size: 256
    .name:           _ZN7rocprim17ROCPRIM_400000_NS6detail17trampoline_kernelINS0_14default_configENS1_27scan_by_key_config_selectorIxiEEZZNS1_16scan_by_key_implILNS1_25lookback_scan_determinismE0ELb1ES3_N6thrust23THRUST_200600_302600_NS6detail15normal_iteratorINS9_10device_ptrIxEEEESE_SE_iNS9_4plusIvEENS9_8equal_toIvEEiEE10hipError_tPvRmT2_T3_T4_T5_mT6_T7_P12ihipStream_tbENKUlT_T0_E_clISt17integral_constantIbLb0EESZ_EEDaSU_SV_EUlSU_E_NS1_11comp_targetILNS1_3genE8ELNS1_11target_archE1030ELNS1_3gpuE2ELNS1_3repE0EEENS1_30default_config_static_selectorELNS0_4arch9wavefront6targetE0EEEvT1_
    .private_segment_fixed_size: 0
    .sgpr_count:     0
    .sgpr_spill_count: 0
    .symbol:         _ZN7rocprim17ROCPRIM_400000_NS6detail17trampoline_kernelINS0_14default_configENS1_27scan_by_key_config_selectorIxiEEZZNS1_16scan_by_key_implILNS1_25lookback_scan_determinismE0ELb1ES3_N6thrust23THRUST_200600_302600_NS6detail15normal_iteratorINS9_10device_ptrIxEEEESE_SE_iNS9_4plusIvEENS9_8equal_toIvEEiEE10hipError_tPvRmT2_T3_T4_T5_mT6_T7_P12ihipStream_tbENKUlT_T0_E_clISt17integral_constantIbLb0EESZ_EEDaSU_SV_EUlSU_E_NS1_11comp_targetILNS1_3genE8ELNS1_11target_archE1030ELNS1_3gpuE2ELNS1_3repE0EEENS1_30default_config_static_selectorELNS0_4arch9wavefront6targetE0EEEvT1_.kd
    .uniform_work_group_size: 1
    .uses_dynamic_stack: false
    .vgpr_count:     0
    .vgpr_spill_count: 0
    .wavefront_size: 32
  - .args:
      - .address_space:  global
        .offset:         0
        .size:           8
        .value_kind:     global_buffer
      - .offset:         8
        .size:           4
        .value_kind:     by_value
      - .offset:         12
        .size:           4
        .value_kind:     by_value
      - .address_space:  global
        .offset:         16
        .size:           8
        .value_kind:     global_buffer
      - .address_space:  global
        .offset:         24
        .size:           8
        .value_kind:     global_buffer
      - .actual_access:  write_only
        .address_space:  global
        .offset:         32
        .size:           8
        .value_kind:     global_buffer
      - .offset:         40
        .size:           8
        .value_kind:     by_value
      - .offset:         48
        .size:           4
        .value_kind:     by_value
      - .address_space:  global
        .offset:         56
        .size:           8
        .value_kind:     global_buffer
      - .offset:         64
        .size:           4
        .value_kind:     hidden_block_count_x
      - .offset:         68
        .size:           4
        .value_kind:     hidden_block_count_y
      - .offset:         72
        .size:           4
        .value_kind:     hidden_block_count_z
      - .offset:         76
        .size:           2
        .value_kind:     hidden_group_size_x
      - .offset:         78
        .size:           2
        .value_kind:     hidden_group_size_y
      - .offset:         80
        .size:           2
        .value_kind:     hidden_group_size_z
      - .offset:         82
        .size:           2
        .value_kind:     hidden_remainder_x
      - .offset:         84
        .size:           2
        .value_kind:     hidden_remainder_y
      - .offset:         86
        .size:           2
        .value_kind:     hidden_remainder_z
      - .offset:         104
        .size:           8
        .value_kind:     hidden_global_offset_x
      - .offset:         112
        .size:           8
        .value_kind:     hidden_global_offset_y
      - .offset:         120
        .size:           8
        .value_kind:     hidden_global_offset_z
      - .offset:         128
        .size:           2
        .value_kind:     hidden_grid_dims
    .group_segment_fixed_size: 0
    .kernarg_segment_align: 8
    .kernarg_segment_size: 320
    .language:       OpenCL C
    .language_version:
      - 2
      - 0
    .max_flat_workgroup_size: 256
    .name:           _ZN7rocprim17ROCPRIM_400000_NS6detail30init_device_scan_by_key_kernelINS1_19lookback_scan_stateINS0_5tupleIJibEEELb1ELb1EEEN6thrust23THRUST_200600_302600_NS6detail15normal_iteratorINS8_10device_ptrIxEEEEjNS1_16block_id_wrapperIjLb1EEEEEvT_jjPNSG_10value_typeET0_PNSt15iterator_traitsISJ_E10value_typeEmT1_T2_
    .private_segment_fixed_size: 0
    .sgpr_count:     19
    .sgpr_spill_count: 0
    .symbol:         _ZN7rocprim17ROCPRIM_400000_NS6detail30init_device_scan_by_key_kernelINS1_19lookback_scan_stateINS0_5tupleIJibEEELb1ELb1EEEN6thrust23THRUST_200600_302600_NS6detail15normal_iteratorINS8_10device_ptrIxEEEEjNS1_16block_id_wrapperIjLb1EEEEEvT_jjPNSG_10value_typeET0_PNSt15iterator_traitsISJ_E10value_typeEmT1_T2_.kd
    .uniform_work_group_size: 1
    .uses_dynamic_stack: false
    .vgpr_count:     10
    .vgpr_spill_count: 0
    .wavefront_size: 32
  - .args:
      - .offset:         0
        .size:           112
        .value_kind:     by_value
    .group_segment_fixed_size: 0
    .kernarg_segment_align: 8
    .kernarg_segment_size: 112
    .language:       OpenCL C
    .language_version:
      - 2
      - 0
    .max_flat_workgroup_size: 256
    .name:           _ZN7rocprim17ROCPRIM_400000_NS6detail17trampoline_kernelINS0_14default_configENS1_27scan_by_key_config_selectorIxiEEZZNS1_16scan_by_key_implILNS1_25lookback_scan_determinismE0ELb1ES3_N6thrust23THRUST_200600_302600_NS6detail15normal_iteratorINS9_10device_ptrIxEEEESE_SE_iNS9_4plusIvEENS9_8equal_toIvEEiEE10hipError_tPvRmT2_T3_T4_T5_mT6_T7_P12ihipStream_tbENKUlT_T0_E_clISt17integral_constantIbLb1EESZ_EEDaSU_SV_EUlSU_E_NS1_11comp_targetILNS1_3genE0ELNS1_11target_archE4294967295ELNS1_3gpuE0ELNS1_3repE0EEENS1_30default_config_static_selectorELNS0_4arch9wavefront6targetE0EEEvT1_
    .private_segment_fixed_size: 0
    .sgpr_count:     0
    .sgpr_spill_count: 0
    .symbol:         _ZN7rocprim17ROCPRIM_400000_NS6detail17trampoline_kernelINS0_14default_configENS1_27scan_by_key_config_selectorIxiEEZZNS1_16scan_by_key_implILNS1_25lookback_scan_determinismE0ELb1ES3_N6thrust23THRUST_200600_302600_NS6detail15normal_iteratorINS9_10device_ptrIxEEEESE_SE_iNS9_4plusIvEENS9_8equal_toIvEEiEE10hipError_tPvRmT2_T3_T4_T5_mT6_T7_P12ihipStream_tbENKUlT_T0_E_clISt17integral_constantIbLb1EESZ_EEDaSU_SV_EUlSU_E_NS1_11comp_targetILNS1_3genE0ELNS1_11target_archE4294967295ELNS1_3gpuE0ELNS1_3repE0EEENS1_30default_config_static_selectorELNS0_4arch9wavefront6targetE0EEEvT1_.kd
    .uniform_work_group_size: 1
    .uses_dynamic_stack: false
    .vgpr_count:     0
    .vgpr_spill_count: 0
    .wavefront_size: 32
  - .args:
      - .offset:         0
        .size:           112
        .value_kind:     by_value
    .group_segment_fixed_size: 0
    .kernarg_segment_align: 8
    .kernarg_segment_size: 112
    .language:       OpenCL C
    .language_version:
      - 2
      - 0
    .max_flat_workgroup_size: 256
    .name:           _ZN7rocprim17ROCPRIM_400000_NS6detail17trampoline_kernelINS0_14default_configENS1_27scan_by_key_config_selectorIxiEEZZNS1_16scan_by_key_implILNS1_25lookback_scan_determinismE0ELb1ES3_N6thrust23THRUST_200600_302600_NS6detail15normal_iteratorINS9_10device_ptrIxEEEESE_SE_iNS9_4plusIvEENS9_8equal_toIvEEiEE10hipError_tPvRmT2_T3_T4_T5_mT6_T7_P12ihipStream_tbENKUlT_T0_E_clISt17integral_constantIbLb1EESZ_EEDaSU_SV_EUlSU_E_NS1_11comp_targetILNS1_3genE10ELNS1_11target_archE1201ELNS1_3gpuE5ELNS1_3repE0EEENS1_30default_config_static_selectorELNS0_4arch9wavefront6targetE0EEEvT1_
    .private_segment_fixed_size: 0
    .sgpr_count:     0
    .sgpr_spill_count: 0
    .symbol:         _ZN7rocprim17ROCPRIM_400000_NS6detail17trampoline_kernelINS0_14default_configENS1_27scan_by_key_config_selectorIxiEEZZNS1_16scan_by_key_implILNS1_25lookback_scan_determinismE0ELb1ES3_N6thrust23THRUST_200600_302600_NS6detail15normal_iteratorINS9_10device_ptrIxEEEESE_SE_iNS9_4plusIvEENS9_8equal_toIvEEiEE10hipError_tPvRmT2_T3_T4_T5_mT6_T7_P12ihipStream_tbENKUlT_T0_E_clISt17integral_constantIbLb1EESZ_EEDaSU_SV_EUlSU_E_NS1_11comp_targetILNS1_3genE10ELNS1_11target_archE1201ELNS1_3gpuE5ELNS1_3repE0EEENS1_30default_config_static_selectorELNS0_4arch9wavefront6targetE0EEEvT1_.kd
    .uniform_work_group_size: 1
    .uses_dynamic_stack: false
    .vgpr_count:     0
    .vgpr_spill_count: 0
    .wavefront_size: 32
  - .args:
      - .offset:         0
        .size:           112
        .value_kind:     by_value
    .group_segment_fixed_size: 0
    .kernarg_segment_align: 8
    .kernarg_segment_size: 112
    .language:       OpenCL C
    .language_version:
      - 2
      - 0
    .max_flat_workgroup_size: 256
    .name:           _ZN7rocprim17ROCPRIM_400000_NS6detail17trampoline_kernelINS0_14default_configENS1_27scan_by_key_config_selectorIxiEEZZNS1_16scan_by_key_implILNS1_25lookback_scan_determinismE0ELb1ES3_N6thrust23THRUST_200600_302600_NS6detail15normal_iteratorINS9_10device_ptrIxEEEESE_SE_iNS9_4plusIvEENS9_8equal_toIvEEiEE10hipError_tPvRmT2_T3_T4_T5_mT6_T7_P12ihipStream_tbENKUlT_T0_E_clISt17integral_constantIbLb1EESZ_EEDaSU_SV_EUlSU_E_NS1_11comp_targetILNS1_3genE5ELNS1_11target_archE942ELNS1_3gpuE9ELNS1_3repE0EEENS1_30default_config_static_selectorELNS0_4arch9wavefront6targetE0EEEvT1_
    .private_segment_fixed_size: 0
    .sgpr_count:     0
    .sgpr_spill_count: 0
    .symbol:         _ZN7rocprim17ROCPRIM_400000_NS6detail17trampoline_kernelINS0_14default_configENS1_27scan_by_key_config_selectorIxiEEZZNS1_16scan_by_key_implILNS1_25lookback_scan_determinismE0ELb1ES3_N6thrust23THRUST_200600_302600_NS6detail15normal_iteratorINS9_10device_ptrIxEEEESE_SE_iNS9_4plusIvEENS9_8equal_toIvEEiEE10hipError_tPvRmT2_T3_T4_T5_mT6_T7_P12ihipStream_tbENKUlT_T0_E_clISt17integral_constantIbLb1EESZ_EEDaSU_SV_EUlSU_E_NS1_11comp_targetILNS1_3genE5ELNS1_11target_archE942ELNS1_3gpuE9ELNS1_3repE0EEENS1_30default_config_static_selectorELNS0_4arch9wavefront6targetE0EEEvT1_.kd
    .uniform_work_group_size: 1
    .uses_dynamic_stack: false
    .vgpr_count:     0
    .vgpr_spill_count: 0
    .wavefront_size: 32
  - .args:
      - .offset:         0
        .size:           112
        .value_kind:     by_value
    .group_segment_fixed_size: 0
    .kernarg_segment_align: 8
    .kernarg_segment_size: 112
    .language:       OpenCL C
    .language_version:
      - 2
      - 0
    .max_flat_workgroup_size: 256
    .name:           _ZN7rocprim17ROCPRIM_400000_NS6detail17trampoline_kernelINS0_14default_configENS1_27scan_by_key_config_selectorIxiEEZZNS1_16scan_by_key_implILNS1_25lookback_scan_determinismE0ELb1ES3_N6thrust23THRUST_200600_302600_NS6detail15normal_iteratorINS9_10device_ptrIxEEEESE_SE_iNS9_4plusIvEENS9_8equal_toIvEEiEE10hipError_tPvRmT2_T3_T4_T5_mT6_T7_P12ihipStream_tbENKUlT_T0_E_clISt17integral_constantIbLb1EESZ_EEDaSU_SV_EUlSU_E_NS1_11comp_targetILNS1_3genE4ELNS1_11target_archE910ELNS1_3gpuE8ELNS1_3repE0EEENS1_30default_config_static_selectorELNS0_4arch9wavefront6targetE0EEEvT1_
    .private_segment_fixed_size: 0
    .sgpr_count:     0
    .sgpr_spill_count: 0
    .symbol:         _ZN7rocprim17ROCPRIM_400000_NS6detail17trampoline_kernelINS0_14default_configENS1_27scan_by_key_config_selectorIxiEEZZNS1_16scan_by_key_implILNS1_25lookback_scan_determinismE0ELb1ES3_N6thrust23THRUST_200600_302600_NS6detail15normal_iteratorINS9_10device_ptrIxEEEESE_SE_iNS9_4plusIvEENS9_8equal_toIvEEiEE10hipError_tPvRmT2_T3_T4_T5_mT6_T7_P12ihipStream_tbENKUlT_T0_E_clISt17integral_constantIbLb1EESZ_EEDaSU_SV_EUlSU_E_NS1_11comp_targetILNS1_3genE4ELNS1_11target_archE910ELNS1_3gpuE8ELNS1_3repE0EEENS1_30default_config_static_selectorELNS0_4arch9wavefront6targetE0EEEvT1_.kd
    .uniform_work_group_size: 1
    .uses_dynamic_stack: false
    .vgpr_count:     0
    .vgpr_spill_count: 0
    .wavefront_size: 32
  - .args:
      - .offset:         0
        .size:           112
        .value_kind:     by_value
    .group_segment_fixed_size: 0
    .kernarg_segment_align: 8
    .kernarg_segment_size: 112
    .language:       OpenCL C
    .language_version:
      - 2
      - 0
    .max_flat_workgroup_size: 256
    .name:           _ZN7rocprim17ROCPRIM_400000_NS6detail17trampoline_kernelINS0_14default_configENS1_27scan_by_key_config_selectorIxiEEZZNS1_16scan_by_key_implILNS1_25lookback_scan_determinismE0ELb1ES3_N6thrust23THRUST_200600_302600_NS6detail15normal_iteratorINS9_10device_ptrIxEEEESE_SE_iNS9_4plusIvEENS9_8equal_toIvEEiEE10hipError_tPvRmT2_T3_T4_T5_mT6_T7_P12ihipStream_tbENKUlT_T0_E_clISt17integral_constantIbLb1EESZ_EEDaSU_SV_EUlSU_E_NS1_11comp_targetILNS1_3genE3ELNS1_11target_archE908ELNS1_3gpuE7ELNS1_3repE0EEENS1_30default_config_static_selectorELNS0_4arch9wavefront6targetE0EEEvT1_
    .private_segment_fixed_size: 0
    .sgpr_count:     0
    .sgpr_spill_count: 0
    .symbol:         _ZN7rocprim17ROCPRIM_400000_NS6detail17trampoline_kernelINS0_14default_configENS1_27scan_by_key_config_selectorIxiEEZZNS1_16scan_by_key_implILNS1_25lookback_scan_determinismE0ELb1ES3_N6thrust23THRUST_200600_302600_NS6detail15normal_iteratorINS9_10device_ptrIxEEEESE_SE_iNS9_4plusIvEENS9_8equal_toIvEEiEE10hipError_tPvRmT2_T3_T4_T5_mT6_T7_P12ihipStream_tbENKUlT_T0_E_clISt17integral_constantIbLb1EESZ_EEDaSU_SV_EUlSU_E_NS1_11comp_targetILNS1_3genE3ELNS1_11target_archE908ELNS1_3gpuE7ELNS1_3repE0EEENS1_30default_config_static_selectorELNS0_4arch9wavefront6targetE0EEEvT1_.kd
    .uniform_work_group_size: 1
    .uses_dynamic_stack: false
    .vgpr_count:     0
    .vgpr_spill_count: 0
    .wavefront_size: 32
  - .args:
      - .offset:         0
        .size:           112
        .value_kind:     by_value
    .group_segment_fixed_size: 0
    .kernarg_segment_align: 8
    .kernarg_segment_size: 112
    .language:       OpenCL C
    .language_version:
      - 2
      - 0
    .max_flat_workgroup_size: 256
    .name:           _ZN7rocprim17ROCPRIM_400000_NS6detail17trampoline_kernelINS0_14default_configENS1_27scan_by_key_config_selectorIxiEEZZNS1_16scan_by_key_implILNS1_25lookback_scan_determinismE0ELb1ES3_N6thrust23THRUST_200600_302600_NS6detail15normal_iteratorINS9_10device_ptrIxEEEESE_SE_iNS9_4plusIvEENS9_8equal_toIvEEiEE10hipError_tPvRmT2_T3_T4_T5_mT6_T7_P12ihipStream_tbENKUlT_T0_E_clISt17integral_constantIbLb1EESZ_EEDaSU_SV_EUlSU_E_NS1_11comp_targetILNS1_3genE2ELNS1_11target_archE906ELNS1_3gpuE6ELNS1_3repE0EEENS1_30default_config_static_selectorELNS0_4arch9wavefront6targetE0EEEvT1_
    .private_segment_fixed_size: 0
    .sgpr_count:     0
    .sgpr_spill_count: 0
    .symbol:         _ZN7rocprim17ROCPRIM_400000_NS6detail17trampoline_kernelINS0_14default_configENS1_27scan_by_key_config_selectorIxiEEZZNS1_16scan_by_key_implILNS1_25lookback_scan_determinismE0ELb1ES3_N6thrust23THRUST_200600_302600_NS6detail15normal_iteratorINS9_10device_ptrIxEEEESE_SE_iNS9_4plusIvEENS9_8equal_toIvEEiEE10hipError_tPvRmT2_T3_T4_T5_mT6_T7_P12ihipStream_tbENKUlT_T0_E_clISt17integral_constantIbLb1EESZ_EEDaSU_SV_EUlSU_E_NS1_11comp_targetILNS1_3genE2ELNS1_11target_archE906ELNS1_3gpuE6ELNS1_3repE0EEENS1_30default_config_static_selectorELNS0_4arch9wavefront6targetE0EEEvT1_.kd
    .uniform_work_group_size: 1
    .uses_dynamic_stack: false
    .vgpr_count:     0
    .vgpr_spill_count: 0
    .wavefront_size: 32
  - .args:
      - .offset:         0
        .size:           112
        .value_kind:     by_value
    .group_segment_fixed_size: 0
    .kernarg_segment_align: 8
    .kernarg_segment_size: 112
    .language:       OpenCL C
    .language_version:
      - 2
      - 0
    .max_flat_workgroup_size: 256
    .name:           _ZN7rocprim17ROCPRIM_400000_NS6detail17trampoline_kernelINS0_14default_configENS1_27scan_by_key_config_selectorIxiEEZZNS1_16scan_by_key_implILNS1_25lookback_scan_determinismE0ELb1ES3_N6thrust23THRUST_200600_302600_NS6detail15normal_iteratorINS9_10device_ptrIxEEEESE_SE_iNS9_4plusIvEENS9_8equal_toIvEEiEE10hipError_tPvRmT2_T3_T4_T5_mT6_T7_P12ihipStream_tbENKUlT_T0_E_clISt17integral_constantIbLb1EESZ_EEDaSU_SV_EUlSU_E_NS1_11comp_targetILNS1_3genE10ELNS1_11target_archE1200ELNS1_3gpuE4ELNS1_3repE0EEENS1_30default_config_static_selectorELNS0_4arch9wavefront6targetE0EEEvT1_
    .private_segment_fixed_size: 0
    .sgpr_count:     0
    .sgpr_spill_count: 0
    .symbol:         _ZN7rocprim17ROCPRIM_400000_NS6detail17trampoline_kernelINS0_14default_configENS1_27scan_by_key_config_selectorIxiEEZZNS1_16scan_by_key_implILNS1_25lookback_scan_determinismE0ELb1ES3_N6thrust23THRUST_200600_302600_NS6detail15normal_iteratorINS9_10device_ptrIxEEEESE_SE_iNS9_4plusIvEENS9_8equal_toIvEEiEE10hipError_tPvRmT2_T3_T4_T5_mT6_T7_P12ihipStream_tbENKUlT_T0_E_clISt17integral_constantIbLb1EESZ_EEDaSU_SV_EUlSU_E_NS1_11comp_targetILNS1_3genE10ELNS1_11target_archE1200ELNS1_3gpuE4ELNS1_3repE0EEENS1_30default_config_static_selectorELNS0_4arch9wavefront6targetE0EEEvT1_.kd
    .uniform_work_group_size: 1
    .uses_dynamic_stack: false
    .vgpr_count:     0
    .vgpr_spill_count: 0
    .wavefront_size: 32
  - .args:
      - .offset:         0
        .size:           112
        .value_kind:     by_value
    .group_segment_fixed_size: 0
    .kernarg_segment_align: 8
    .kernarg_segment_size: 112
    .language:       OpenCL C
    .language_version:
      - 2
      - 0
    .max_flat_workgroup_size: 256
    .name:           _ZN7rocprim17ROCPRIM_400000_NS6detail17trampoline_kernelINS0_14default_configENS1_27scan_by_key_config_selectorIxiEEZZNS1_16scan_by_key_implILNS1_25lookback_scan_determinismE0ELb1ES3_N6thrust23THRUST_200600_302600_NS6detail15normal_iteratorINS9_10device_ptrIxEEEESE_SE_iNS9_4plusIvEENS9_8equal_toIvEEiEE10hipError_tPvRmT2_T3_T4_T5_mT6_T7_P12ihipStream_tbENKUlT_T0_E_clISt17integral_constantIbLb1EESZ_EEDaSU_SV_EUlSU_E_NS1_11comp_targetILNS1_3genE9ELNS1_11target_archE1100ELNS1_3gpuE3ELNS1_3repE0EEENS1_30default_config_static_selectorELNS0_4arch9wavefront6targetE0EEEvT1_
    .private_segment_fixed_size: 0
    .sgpr_count:     0
    .sgpr_spill_count: 0
    .symbol:         _ZN7rocprim17ROCPRIM_400000_NS6detail17trampoline_kernelINS0_14default_configENS1_27scan_by_key_config_selectorIxiEEZZNS1_16scan_by_key_implILNS1_25lookback_scan_determinismE0ELb1ES3_N6thrust23THRUST_200600_302600_NS6detail15normal_iteratorINS9_10device_ptrIxEEEESE_SE_iNS9_4plusIvEENS9_8equal_toIvEEiEE10hipError_tPvRmT2_T3_T4_T5_mT6_T7_P12ihipStream_tbENKUlT_T0_E_clISt17integral_constantIbLb1EESZ_EEDaSU_SV_EUlSU_E_NS1_11comp_targetILNS1_3genE9ELNS1_11target_archE1100ELNS1_3gpuE3ELNS1_3repE0EEENS1_30default_config_static_selectorELNS0_4arch9wavefront6targetE0EEEvT1_.kd
    .uniform_work_group_size: 1
    .uses_dynamic_stack: false
    .vgpr_count:     0
    .vgpr_spill_count: 0
    .wavefront_size: 32
  - .args:
      - .offset:         0
        .size:           112
        .value_kind:     by_value
    .group_segment_fixed_size: 0
    .kernarg_segment_align: 8
    .kernarg_segment_size: 112
    .language:       OpenCL C
    .language_version:
      - 2
      - 0
    .max_flat_workgroup_size: 256
    .name:           _ZN7rocprim17ROCPRIM_400000_NS6detail17trampoline_kernelINS0_14default_configENS1_27scan_by_key_config_selectorIxiEEZZNS1_16scan_by_key_implILNS1_25lookback_scan_determinismE0ELb1ES3_N6thrust23THRUST_200600_302600_NS6detail15normal_iteratorINS9_10device_ptrIxEEEESE_SE_iNS9_4plusIvEENS9_8equal_toIvEEiEE10hipError_tPvRmT2_T3_T4_T5_mT6_T7_P12ihipStream_tbENKUlT_T0_E_clISt17integral_constantIbLb1EESZ_EEDaSU_SV_EUlSU_E_NS1_11comp_targetILNS1_3genE8ELNS1_11target_archE1030ELNS1_3gpuE2ELNS1_3repE0EEENS1_30default_config_static_selectorELNS0_4arch9wavefront6targetE0EEEvT1_
    .private_segment_fixed_size: 0
    .sgpr_count:     0
    .sgpr_spill_count: 0
    .symbol:         _ZN7rocprim17ROCPRIM_400000_NS6detail17trampoline_kernelINS0_14default_configENS1_27scan_by_key_config_selectorIxiEEZZNS1_16scan_by_key_implILNS1_25lookback_scan_determinismE0ELb1ES3_N6thrust23THRUST_200600_302600_NS6detail15normal_iteratorINS9_10device_ptrIxEEEESE_SE_iNS9_4plusIvEENS9_8equal_toIvEEiEE10hipError_tPvRmT2_T3_T4_T5_mT6_T7_P12ihipStream_tbENKUlT_T0_E_clISt17integral_constantIbLb1EESZ_EEDaSU_SV_EUlSU_E_NS1_11comp_targetILNS1_3genE8ELNS1_11target_archE1030ELNS1_3gpuE2ELNS1_3repE0EEENS1_30default_config_static_selectorELNS0_4arch9wavefront6targetE0EEEvT1_.kd
    .uniform_work_group_size: 1
    .uses_dynamic_stack: false
    .vgpr_count:     0
    .vgpr_spill_count: 0
    .wavefront_size: 32
  - .args:
      - .address_space:  global
        .offset:         0
        .size:           8
        .value_kind:     global_buffer
      - .offset:         8
        .size:           4
        .value_kind:     by_value
      - .offset:         12
        .size:           4
        .value_kind:     by_value
      - .address_space:  global
        .offset:         16
        .size:           8
        .value_kind:     global_buffer
      - .address_space:  global
        .offset:         24
        .size:           8
        .value_kind:     global_buffer
      - .actual_access:  write_only
        .address_space:  global
        .offset:         32
        .size:           8
        .value_kind:     global_buffer
      - .offset:         40
        .size:           8
        .value_kind:     by_value
      - .offset:         48
        .size:           4
        .value_kind:     by_value
      - .offset:         52
        .size:           1
        .value_kind:     by_value
      - .offset:         56
        .size:           4
        .value_kind:     hidden_block_count_x
      - .offset:         60
        .size:           4
        .value_kind:     hidden_block_count_y
      - .offset:         64
        .size:           4
        .value_kind:     hidden_block_count_z
      - .offset:         68
        .size:           2
        .value_kind:     hidden_group_size_x
      - .offset:         70
        .size:           2
        .value_kind:     hidden_group_size_y
      - .offset:         72
        .size:           2
        .value_kind:     hidden_group_size_z
      - .offset:         74
        .size:           2
        .value_kind:     hidden_remainder_x
      - .offset:         76
        .size:           2
        .value_kind:     hidden_remainder_y
      - .offset:         78
        .size:           2
        .value_kind:     hidden_remainder_z
      - .offset:         96
        .size:           8
        .value_kind:     hidden_global_offset_x
      - .offset:         104
        .size:           8
        .value_kind:     hidden_global_offset_y
      - .offset:         112
        .size:           8
        .value_kind:     hidden_global_offset_z
      - .offset:         120
        .size:           2
        .value_kind:     hidden_grid_dims
    .group_segment_fixed_size: 0
    .kernarg_segment_align: 8
    .kernarg_segment_size: 312
    .language:       OpenCL C
    .language_version:
      - 2
      - 0
    .max_flat_workgroup_size: 256
    .name:           _ZN7rocprim17ROCPRIM_400000_NS6detail30init_device_scan_by_key_kernelINS1_19lookback_scan_stateINS0_5tupleIJibEEELb1ELb1EEEN6thrust23THRUST_200600_302600_NS6detail15normal_iteratorINS8_10device_ptrIxEEEEjNS1_16block_id_wrapperIjLb0EEEEEvT_jjPNSG_10value_typeET0_PNSt15iterator_traitsISJ_E10value_typeEmT1_T2_
    .private_segment_fixed_size: 0
    .sgpr_count:     19
    .sgpr_spill_count: 0
    .symbol:         _ZN7rocprim17ROCPRIM_400000_NS6detail30init_device_scan_by_key_kernelINS1_19lookback_scan_stateINS0_5tupleIJibEEELb1ELb1EEEN6thrust23THRUST_200600_302600_NS6detail15normal_iteratorINS8_10device_ptrIxEEEEjNS1_16block_id_wrapperIjLb0EEEEEvT_jjPNSG_10value_typeET0_PNSt15iterator_traitsISJ_E10value_typeEmT1_T2_.kd
    .uniform_work_group_size: 1
    .uses_dynamic_stack: false
    .vgpr_count:     10
    .vgpr_spill_count: 0
    .wavefront_size: 32
  - .args:
      - .offset:         0
        .size:           112
        .value_kind:     by_value
    .group_segment_fixed_size: 0
    .kernarg_segment_align: 8
    .kernarg_segment_size: 112
    .language:       OpenCL C
    .language_version:
      - 2
      - 0
    .max_flat_workgroup_size: 256
    .name:           _ZN7rocprim17ROCPRIM_400000_NS6detail17trampoline_kernelINS0_14default_configENS1_27scan_by_key_config_selectorIxiEEZZNS1_16scan_by_key_implILNS1_25lookback_scan_determinismE0ELb1ES3_N6thrust23THRUST_200600_302600_NS6detail15normal_iteratorINS9_10device_ptrIxEEEESE_SE_iNS9_4plusIvEENS9_8equal_toIvEEiEE10hipError_tPvRmT2_T3_T4_T5_mT6_T7_P12ihipStream_tbENKUlT_T0_E_clISt17integral_constantIbLb1EESY_IbLb0EEEEDaSU_SV_EUlSU_E_NS1_11comp_targetILNS1_3genE0ELNS1_11target_archE4294967295ELNS1_3gpuE0ELNS1_3repE0EEENS1_30default_config_static_selectorELNS0_4arch9wavefront6targetE0EEEvT1_
    .private_segment_fixed_size: 0
    .sgpr_count:     0
    .sgpr_spill_count: 0
    .symbol:         _ZN7rocprim17ROCPRIM_400000_NS6detail17trampoline_kernelINS0_14default_configENS1_27scan_by_key_config_selectorIxiEEZZNS1_16scan_by_key_implILNS1_25lookback_scan_determinismE0ELb1ES3_N6thrust23THRUST_200600_302600_NS6detail15normal_iteratorINS9_10device_ptrIxEEEESE_SE_iNS9_4plusIvEENS9_8equal_toIvEEiEE10hipError_tPvRmT2_T3_T4_T5_mT6_T7_P12ihipStream_tbENKUlT_T0_E_clISt17integral_constantIbLb1EESY_IbLb0EEEEDaSU_SV_EUlSU_E_NS1_11comp_targetILNS1_3genE0ELNS1_11target_archE4294967295ELNS1_3gpuE0ELNS1_3repE0EEENS1_30default_config_static_selectorELNS0_4arch9wavefront6targetE0EEEvT1_.kd
    .uniform_work_group_size: 1
    .uses_dynamic_stack: false
    .vgpr_count:     0
    .vgpr_spill_count: 0
    .wavefront_size: 32
  - .args:
      - .offset:         0
        .size:           112
        .value_kind:     by_value
    .group_segment_fixed_size: 0
    .kernarg_segment_align: 8
    .kernarg_segment_size: 112
    .language:       OpenCL C
    .language_version:
      - 2
      - 0
    .max_flat_workgroup_size: 256
    .name:           _ZN7rocprim17ROCPRIM_400000_NS6detail17trampoline_kernelINS0_14default_configENS1_27scan_by_key_config_selectorIxiEEZZNS1_16scan_by_key_implILNS1_25lookback_scan_determinismE0ELb1ES3_N6thrust23THRUST_200600_302600_NS6detail15normal_iteratorINS9_10device_ptrIxEEEESE_SE_iNS9_4plusIvEENS9_8equal_toIvEEiEE10hipError_tPvRmT2_T3_T4_T5_mT6_T7_P12ihipStream_tbENKUlT_T0_E_clISt17integral_constantIbLb1EESY_IbLb0EEEEDaSU_SV_EUlSU_E_NS1_11comp_targetILNS1_3genE10ELNS1_11target_archE1201ELNS1_3gpuE5ELNS1_3repE0EEENS1_30default_config_static_selectorELNS0_4arch9wavefront6targetE0EEEvT1_
    .private_segment_fixed_size: 0
    .sgpr_count:     0
    .sgpr_spill_count: 0
    .symbol:         _ZN7rocprim17ROCPRIM_400000_NS6detail17trampoline_kernelINS0_14default_configENS1_27scan_by_key_config_selectorIxiEEZZNS1_16scan_by_key_implILNS1_25lookback_scan_determinismE0ELb1ES3_N6thrust23THRUST_200600_302600_NS6detail15normal_iteratorINS9_10device_ptrIxEEEESE_SE_iNS9_4plusIvEENS9_8equal_toIvEEiEE10hipError_tPvRmT2_T3_T4_T5_mT6_T7_P12ihipStream_tbENKUlT_T0_E_clISt17integral_constantIbLb1EESY_IbLb0EEEEDaSU_SV_EUlSU_E_NS1_11comp_targetILNS1_3genE10ELNS1_11target_archE1201ELNS1_3gpuE5ELNS1_3repE0EEENS1_30default_config_static_selectorELNS0_4arch9wavefront6targetE0EEEvT1_.kd
    .uniform_work_group_size: 1
    .uses_dynamic_stack: false
    .vgpr_count:     0
    .vgpr_spill_count: 0
    .wavefront_size: 32
  - .args:
      - .offset:         0
        .size:           112
        .value_kind:     by_value
    .group_segment_fixed_size: 0
    .kernarg_segment_align: 8
    .kernarg_segment_size: 112
    .language:       OpenCL C
    .language_version:
      - 2
      - 0
    .max_flat_workgroup_size: 256
    .name:           _ZN7rocprim17ROCPRIM_400000_NS6detail17trampoline_kernelINS0_14default_configENS1_27scan_by_key_config_selectorIxiEEZZNS1_16scan_by_key_implILNS1_25lookback_scan_determinismE0ELb1ES3_N6thrust23THRUST_200600_302600_NS6detail15normal_iteratorINS9_10device_ptrIxEEEESE_SE_iNS9_4plusIvEENS9_8equal_toIvEEiEE10hipError_tPvRmT2_T3_T4_T5_mT6_T7_P12ihipStream_tbENKUlT_T0_E_clISt17integral_constantIbLb1EESY_IbLb0EEEEDaSU_SV_EUlSU_E_NS1_11comp_targetILNS1_3genE5ELNS1_11target_archE942ELNS1_3gpuE9ELNS1_3repE0EEENS1_30default_config_static_selectorELNS0_4arch9wavefront6targetE0EEEvT1_
    .private_segment_fixed_size: 0
    .sgpr_count:     0
    .sgpr_spill_count: 0
    .symbol:         _ZN7rocprim17ROCPRIM_400000_NS6detail17trampoline_kernelINS0_14default_configENS1_27scan_by_key_config_selectorIxiEEZZNS1_16scan_by_key_implILNS1_25lookback_scan_determinismE0ELb1ES3_N6thrust23THRUST_200600_302600_NS6detail15normal_iteratorINS9_10device_ptrIxEEEESE_SE_iNS9_4plusIvEENS9_8equal_toIvEEiEE10hipError_tPvRmT2_T3_T4_T5_mT6_T7_P12ihipStream_tbENKUlT_T0_E_clISt17integral_constantIbLb1EESY_IbLb0EEEEDaSU_SV_EUlSU_E_NS1_11comp_targetILNS1_3genE5ELNS1_11target_archE942ELNS1_3gpuE9ELNS1_3repE0EEENS1_30default_config_static_selectorELNS0_4arch9wavefront6targetE0EEEvT1_.kd
    .uniform_work_group_size: 1
    .uses_dynamic_stack: false
    .vgpr_count:     0
    .vgpr_spill_count: 0
    .wavefront_size: 32
  - .args:
      - .offset:         0
        .size:           112
        .value_kind:     by_value
    .group_segment_fixed_size: 0
    .kernarg_segment_align: 8
    .kernarg_segment_size: 112
    .language:       OpenCL C
    .language_version:
      - 2
      - 0
    .max_flat_workgroup_size: 256
    .name:           _ZN7rocprim17ROCPRIM_400000_NS6detail17trampoline_kernelINS0_14default_configENS1_27scan_by_key_config_selectorIxiEEZZNS1_16scan_by_key_implILNS1_25lookback_scan_determinismE0ELb1ES3_N6thrust23THRUST_200600_302600_NS6detail15normal_iteratorINS9_10device_ptrIxEEEESE_SE_iNS9_4plusIvEENS9_8equal_toIvEEiEE10hipError_tPvRmT2_T3_T4_T5_mT6_T7_P12ihipStream_tbENKUlT_T0_E_clISt17integral_constantIbLb1EESY_IbLb0EEEEDaSU_SV_EUlSU_E_NS1_11comp_targetILNS1_3genE4ELNS1_11target_archE910ELNS1_3gpuE8ELNS1_3repE0EEENS1_30default_config_static_selectorELNS0_4arch9wavefront6targetE0EEEvT1_
    .private_segment_fixed_size: 0
    .sgpr_count:     0
    .sgpr_spill_count: 0
    .symbol:         _ZN7rocprim17ROCPRIM_400000_NS6detail17trampoline_kernelINS0_14default_configENS1_27scan_by_key_config_selectorIxiEEZZNS1_16scan_by_key_implILNS1_25lookback_scan_determinismE0ELb1ES3_N6thrust23THRUST_200600_302600_NS6detail15normal_iteratorINS9_10device_ptrIxEEEESE_SE_iNS9_4plusIvEENS9_8equal_toIvEEiEE10hipError_tPvRmT2_T3_T4_T5_mT6_T7_P12ihipStream_tbENKUlT_T0_E_clISt17integral_constantIbLb1EESY_IbLb0EEEEDaSU_SV_EUlSU_E_NS1_11comp_targetILNS1_3genE4ELNS1_11target_archE910ELNS1_3gpuE8ELNS1_3repE0EEENS1_30default_config_static_selectorELNS0_4arch9wavefront6targetE0EEEvT1_.kd
    .uniform_work_group_size: 1
    .uses_dynamic_stack: false
    .vgpr_count:     0
    .vgpr_spill_count: 0
    .wavefront_size: 32
  - .args:
      - .offset:         0
        .size:           112
        .value_kind:     by_value
    .group_segment_fixed_size: 0
    .kernarg_segment_align: 8
    .kernarg_segment_size: 112
    .language:       OpenCL C
    .language_version:
      - 2
      - 0
    .max_flat_workgroup_size: 256
    .name:           _ZN7rocprim17ROCPRIM_400000_NS6detail17trampoline_kernelINS0_14default_configENS1_27scan_by_key_config_selectorIxiEEZZNS1_16scan_by_key_implILNS1_25lookback_scan_determinismE0ELb1ES3_N6thrust23THRUST_200600_302600_NS6detail15normal_iteratorINS9_10device_ptrIxEEEESE_SE_iNS9_4plusIvEENS9_8equal_toIvEEiEE10hipError_tPvRmT2_T3_T4_T5_mT6_T7_P12ihipStream_tbENKUlT_T0_E_clISt17integral_constantIbLb1EESY_IbLb0EEEEDaSU_SV_EUlSU_E_NS1_11comp_targetILNS1_3genE3ELNS1_11target_archE908ELNS1_3gpuE7ELNS1_3repE0EEENS1_30default_config_static_selectorELNS0_4arch9wavefront6targetE0EEEvT1_
    .private_segment_fixed_size: 0
    .sgpr_count:     0
    .sgpr_spill_count: 0
    .symbol:         _ZN7rocprim17ROCPRIM_400000_NS6detail17trampoline_kernelINS0_14default_configENS1_27scan_by_key_config_selectorIxiEEZZNS1_16scan_by_key_implILNS1_25lookback_scan_determinismE0ELb1ES3_N6thrust23THRUST_200600_302600_NS6detail15normal_iteratorINS9_10device_ptrIxEEEESE_SE_iNS9_4plusIvEENS9_8equal_toIvEEiEE10hipError_tPvRmT2_T3_T4_T5_mT6_T7_P12ihipStream_tbENKUlT_T0_E_clISt17integral_constantIbLb1EESY_IbLb0EEEEDaSU_SV_EUlSU_E_NS1_11comp_targetILNS1_3genE3ELNS1_11target_archE908ELNS1_3gpuE7ELNS1_3repE0EEENS1_30default_config_static_selectorELNS0_4arch9wavefront6targetE0EEEvT1_.kd
    .uniform_work_group_size: 1
    .uses_dynamic_stack: false
    .vgpr_count:     0
    .vgpr_spill_count: 0
    .wavefront_size: 32
  - .args:
      - .offset:         0
        .size:           112
        .value_kind:     by_value
    .group_segment_fixed_size: 0
    .kernarg_segment_align: 8
    .kernarg_segment_size: 112
    .language:       OpenCL C
    .language_version:
      - 2
      - 0
    .max_flat_workgroup_size: 256
    .name:           _ZN7rocprim17ROCPRIM_400000_NS6detail17trampoline_kernelINS0_14default_configENS1_27scan_by_key_config_selectorIxiEEZZNS1_16scan_by_key_implILNS1_25lookback_scan_determinismE0ELb1ES3_N6thrust23THRUST_200600_302600_NS6detail15normal_iteratorINS9_10device_ptrIxEEEESE_SE_iNS9_4plusIvEENS9_8equal_toIvEEiEE10hipError_tPvRmT2_T3_T4_T5_mT6_T7_P12ihipStream_tbENKUlT_T0_E_clISt17integral_constantIbLb1EESY_IbLb0EEEEDaSU_SV_EUlSU_E_NS1_11comp_targetILNS1_3genE2ELNS1_11target_archE906ELNS1_3gpuE6ELNS1_3repE0EEENS1_30default_config_static_selectorELNS0_4arch9wavefront6targetE0EEEvT1_
    .private_segment_fixed_size: 0
    .sgpr_count:     0
    .sgpr_spill_count: 0
    .symbol:         _ZN7rocprim17ROCPRIM_400000_NS6detail17trampoline_kernelINS0_14default_configENS1_27scan_by_key_config_selectorIxiEEZZNS1_16scan_by_key_implILNS1_25lookback_scan_determinismE0ELb1ES3_N6thrust23THRUST_200600_302600_NS6detail15normal_iteratorINS9_10device_ptrIxEEEESE_SE_iNS9_4plusIvEENS9_8equal_toIvEEiEE10hipError_tPvRmT2_T3_T4_T5_mT6_T7_P12ihipStream_tbENKUlT_T0_E_clISt17integral_constantIbLb1EESY_IbLb0EEEEDaSU_SV_EUlSU_E_NS1_11comp_targetILNS1_3genE2ELNS1_11target_archE906ELNS1_3gpuE6ELNS1_3repE0EEENS1_30default_config_static_selectorELNS0_4arch9wavefront6targetE0EEEvT1_.kd
    .uniform_work_group_size: 1
    .uses_dynamic_stack: false
    .vgpr_count:     0
    .vgpr_spill_count: 0
    .wavefront_size: 32
  - .args:
      - .offset:         0
        .size:           112
        .value_kind:     by_value
    .group_segment_fixed_size: 0
    .kernarg_segment_align: 8
    .kernarg_segment_size: 112
    .language:       OpenCL C
    .language_version:
      - 2
      - 0
    .max_flat_workgroup_size: 256
    .name:           _ZN7rocprim17ROCPRIM_400000_NS6detail17trampoline_kernelINS0_14default_configENS1_27scan_by_key_config_selectorIxiEEZZNS1_16scan_by_key_implILNS1_25lookback_scan_determinismE0ELb1ES3_N6thrust23THRUST_200600_302600_NS6detail15normal_iteratorINS9_10device_ptrIxEEEESE_SE_iNS9_4plusIvEENS9_8equal_toIvEEiEE10hipError_tPvRmT2_T3_T4_T5_mT6_T7_P12ihipStream_tbENKUlT_T0_E_clISt17integral_constantIbLb1EESY_IbLb0EEEEDaSU_SV_EUlSU_E_NS1_11comp_targetILNS1_3genE10ELNS1_11target_archE1200ELNS1_3gpuE4ELNS1_3repE0EEENS1_30default_config_static_selectorELNS0_4arch9wavefront6targetE0EEEvT1_
    .private_segment_fixed_size: 0
    .sgpr_count:     0
    .sgpr_spill_count: 0
    .symbol:         _ZN7rocprim17ROCPRIM_400000_NS6detail17trampoline_kernelINS0_14default_configENS1_27scan_by_key_config_selectorIxiEEZZNS1_16scan_by_key_implILNS1_25lookback_scan_determinismE0ELb1ES3_N6thrust23THRUST_200600_302600_NS6detail15normal_iteratorINS9_10device_ptrIxEEEESE_SE_iNS9_4plusIvEENS9_8equal_toIvEEiEE10hipError_tPvRmT2_T3_T4_T5_mT6_T7_P12ihipStream_tbENKUlT_T0_E_clISt17integral_constantIbLb1EESY_IbLb0EEEEDaSU_SV_EUlSU_E_NS1_11comp_targetILNS1_3genE10ELNS1_11target_archE1200ELNS1_3gpuE4ELNS1_3repE0EEENS1_30default_config_static_selectorELNS0_4arch9wavefront6targetE0EEEvT1_.kd
    .uniform_work_group_size: 1
    .uses_dynamic_stack: false
    .vgpr_count:     0
    .vgpr_spill_count: 0
    .wavefront_size: 32
  - .args:
      - .offset:         0
        .size:           112
        .value_kind:     by_value
    .group_segment_fixed_size: 0
    .kernarg_segment_align: 8
    .kernarg_segment_size: 112
    .language:       OpenCL C
    .language_version:
      - 2
      - 0
    .max_flat_workgroup_size: 256
    .name:           _ZN7rocprim17ROCPRIM_400000_NS6detail17trampoline_kernelINS0_14default_configENS1_27scan_by_key_config_selectorIxiEEZZNS1_16scan_by_key_implILNS1_25lookback_scan_determinismE0ELb1ES3_N6thrust23THRUST_200600_302600_NS6detail15normal_iteratorINS9_10device_ptrIxEEEESE_SE_iNS9_4plusIvEENS9_8equal_toIvEEiEE10hipError_tPvRmT2_T3_T4_T5_mT6_T7_P12ihipStream_tbENKUlT_T0_E_clISt17integral_constantIbLb1EESY_IbLb0EEEEDaSU_SV_EUlSU_E_NS1_11comp_targetILNS1_3genE9ELNS1_11target_archE1100ELNS1_3gpuE3ELNS1_3repE0EEENS1_30default_config_static_selectorELNS0_4arch9wavefront6targetE0EEEvT1_
    .private_segment_fixed_size: 0
    .sgpr_count:     0
    .sgpr_spill_count: 0
    .symbol:         _ZN7rocprim17ROCPRIM_400000_NS6detail17trampoline_kernelINS0_14default_configENS1_27scan_by_key_config_selectorIxiEEZZNS1_16scan_by_key_implILNS1_25lookback_scan_determinismE0ELb1ES3_N6thrust23THRUST_200600_302600_NS6detail15normal_iteratorINS9_10device_ptrIxEEEESE_SE_iNS9_4plusIvEENS9_8equal_toIvEEiEE10hipError_tPvRmT2_T3_T4_T5_mT6_T7_P12ihipStream_tbENKUlT_T0_E_clISt17integral_constantIbLb1EESY_IbLb0EEEEDaSU_SV_EUlSU_E_NS1_11comp_targetILNS1_3genE9ELNS1_11target_archE1100ELNS1_3gpuE3ELNS1_3repE0EEENS1_30default_config_static_selectorELNS0_4arch9wavefront6targetE0EEEvT1_.kd
    .uniform_work_group_size: 1
    .uses_dynamic_stack: false
    .vgpr_count:     0
    .vgpr_spill_count: 0
    .wavefront_size: 32
  - .args:
      - .offset:         0
        .size:           112
        .value_kind:     by_value
    .group_segment_fixed_size: 0
    .kernarg_segment_align: 8
    .kernarg_segment_size: 112
    .language:       OpenCL C
    .language_version:
      - 2
      - 0
    .max_flat_workgroup_size: 256
    .name:           _ZN7rocprim17ROCPRIM_400000_NS6detail17trampoline_kernelINS0_14default_configENS1_27scan_by_key_config_selectorIxiEEZZNS1_16scan_by_key_implILNS1_25lookback_scan_determinismE0ELb1ES3_N6thrust23THRUST_200600_302600_NS6detail15normal_iteratorINS9_10device_ptrIxEEEESE_SE_iNS9_4plusIvEENS9_8equal_toIvEEiEE10hipError_tPvRmT2_T3_T4_T5_mT6_T7_P12ihipStream_tbENKUlT_T0_E_clISt17integral_constantIbLb1EESY_IbLb0EEEEDaSU_SV_EUlSU_E_NS1_11comp_targetILNS1_3genE8ELNS1_11target_archE1030ELNS1_3gpuE2ELNS1_3repE0EEENS1_30default_config_static_selectorELNS0_4arch9wavefront6targetE0EEEvT1_
    .private_segment_fixed_size: 0
    .sgpr_count:     0
    .sgpr_spill_count: 0
    .symbol:         _ZN7rocprim17ROCPRIM_400000_NS6detail17trampoline_kernelINS0_14default_configENS1_27scan_by_key_config_selectorIxiEEZZNS1_16scan_by_key_implILNS1_25lookback_scan_determinismE0ELb1ES3_N6thrust23THRUST_200600_302600_NS6detail15normal_iteratorINS9_10device_ptrIxEEEESE_SE_iNS9_4plusIvEENS9_8equal_toIvEEiEE10hipError_tPvRmT2_T3_T4_T5_mT6_T7_P12ihipStream_tbENKUlT_T0_E_clISt17integral_constantIbLb1EESY_IbLb0EEEEDaSU_SV_EUlSU_E_NS1_11comp_targetILNS1_3genE8ELNS1_11target_archE1030ELNS1_3gpuE2ELNS1_3repE0EEENS1_30default_config_static_selectorELNS0_4arch9wavefront6targetE0EEEvT1_.kd
    .uniform_work_group_size: 1
    .uses_dynamic_stack: false
    .vgpr_count:     0
    .vgpr_spill_count: 0
    .wavefront_size: 32
  - .args:
      - .address_space:  global
        .offset:         0
        .size:           8
        .value_kind:     global_buffer
      - .offset:         8
        .size:           4
        .value_kind:     by_value
      - .offset:         12
        .size:           4
        .value_kind:     by_value
      - .address_space:  global
        .offset:         16
        .size:           8
        .value_kind:     global_buffer
      - .address_space:  global
        .offset:         24
        .size:           8
        .value_kind:     global_buffer
      - .actual_access:  write_only
        .address_space:  global
        .offset:         32
        .size:           8
        .value_kind:     global_buffer
      - .offset:         40
        .size:           8
        .value_kind:     by_value
      - .offset:         48
        .size:           4
        .value_kind:     by_value
      - .address_space:  global
        .offset:         56
        .size:           8
        .value_kind:     global_buffer
      - .offset:         64
        .size:           4
        .value_kind:     hidden_block_count_x
      - .offset:         68
        .size:           4
        .value_kind:     hidden_block_count_y
      - .offset:         72
        .size:           4
        .value_kind:     hidden_block_count_z
      - .offset:         76
        .size:           2
        .value_kind:     hidden_group_size_x
      - .offset:         78
        .size:           2
        .value_kind:     hidden_group_size_y
      - .offset:         80
        .size:           2
        .value_kind:     hidden_group_size_z
      - .offset:         82
        .size:           2
        .value_kind:     hidden_remainder_x
      - .offset:         84
        .size:           2
        .value_kind:     hidden_remainder_y
      - .offset:         86
        .size:           2
        .value_kind:     hidden_remainder_z
      - .offset:         104
        .size:           8
        .value_kind:     hidden_global_offset_x
      - .offset:         112
        .size:           8
        .value_kind:     hidden_global_offset_y
      - .offset:         120
        .size:           8
        .value_kind:     hidden_global_offset_z
      - .offset:         128
        .size:           2
        .value_kind:     hidden_grid_dims
    .group_segment_fixed_size: 0
    .kernarg_segment_align: 8
    .kernarg_segment_size: 320
    .language:       OpenCL C
    .language_version:
      - 2
      - 0
    .max_flat_workgroup_size: 256
    .name:           _ZN7rocprim17ROCPRIM_400000_NS6detail30init_device_scan_by_key_kernelINS1_19lookback_scan_stateINS0_5tupleIJibEEELb0ELb1EEEN6thrust23THRUST_200600_302600_NS6detail15normal_iteratorINS8_10device_ptrIxEEEEjNS1_16block_id_wrapperIjLb1EEEEEvT_jjPNSG_10value_typeET0_PNSt15iterator_traitsISJ_E10value_typeEmT1_T2_
    .private_segment_fixed_size: 0
    .sgpr_count:     19
    .sgpr_spill_count: 0
    .symbol:         _ZN7rocprim17ROCPRIM_400000_NS6detail30init_device_scan_by_key_kernelINS1_19lookback_scan_stateINS0_5tupleIJibEEELb0ELb1EEEN6thrust23THRUST_200600_302600_NS6detail15normal_iteratorINS8_10device_ptrIxEEEEjNS1_16block_id_wrapperIjLb1EEEEEvT_jjPNSG_10value_typeET0_PNSt15iterator_traitsISJ_E10value_typeEmT1_T2_.kd
    .uniform_work_group_size: 1
    .uses_dynamic_stack: false
    .vgpr_count:     10
    .vgpr_spill_count: 0
    .wavefront_size: 32
  - .args:
      - .offset:         0
        .size:           112
        .value_kind:     by_value
    .group_segment_fixed_size: 32768
    .kernarg_segment_align: 8
    .kernarg_segment_size: 112
    .language:       OpenCL C
    .language_version:
      - 2
      - 0
    .max_flat_workgroup_size: 256
    .name:           _ZN7rocprim17ROCPRIM_400000_NS6detail17trampoline_kernelINS0_14default_configENS1_27scan_by_key_config_selectorIxiEEZZNS1_16scan_by_key_implILNS1_25lookback_scan_determinismE0ELb1ES3_N6thrust23THRUST_200600_302600_NS6detail15normal_iteratorINS9_10device_ptrIxEEEESE_SE_iNS9_4plusIvEENS9_8equal_toIvEEiEE10hipError_tPvRmT2_T3_T4_T5_mT6_T7_P12ihipStream_tbENKUlT_T0_E_clISt17integral_constantIbLb0EESY_IbLb1EEEEDaSU_SV_EUlSU_E_NS1_11comp_targetILNS1_3genE0ELNS1_11target_archE4294967295ELNS1_3gpuE0ELNS1_3repE0EEENS1_30default_config_static_selectorELNS0_4arch9wavefront6targetE0EEEvT1_
    .private_segment_fixed_size: 0
    .sgpr_count:     43
    .sgpr_spill_count: 0
    .symbol:         _ZN7rocprim17ROCPRIM_400000_NS6detail17trampoline_kernelINS0_14default_configENS1_27scan_by_key_config_selectorIxiEEZZNS1_16scan_by_key_implILNS1_25lookback_scan_determinismE0ELb1ES3_N6thrust23THRUST_200600_302600_NS6detail15normal_iteratorINS9_10device_ptrIxEEEESE_SE_iNS9_4plusIvEENS9_8equal_toIvEEiEE10hipError_tPvRmT2_T3_T4_T5_mT6_T7_P12ihipStream_tbENKUlT_T0_E_clISt17integral_constantIbLb0EESY_IbLb1EEEEDaSU_SV_EUlSU_E_NS1_11comp_targetILNS1_3genE0ELNS1_11target_archE4294967295ELNS1_3gpuE0ELNS1_3repE0EEENS1_30default_config_static_selectorELNS0_4arch9wavefront6targetE0EEEvT1_.kd
    .uniform_work_group_size: 1
    .uses_dynamic_stack: false
    .vgpr_count:     84
    .vgpr_spill_count: 0
    .wavefront_size: 32
  - .args:
      - .offset:         0
        .size:           112
        .value_kind:     by_value
    .group_segment_fixed_size: 0
    .kernarg_segment_align: 8
    .kernarg_segment_size: 112
    .language:       OpenCL C
    .language_version:
      - 2
      - 0
    .max_flat_workgroup_size: 256
    .name:           _ZN7rocprim17ROCPRIM_400000_NS6detail17trampoline_kernelINS0_14default_configENS1_27scan_by_key_config_selectorIxiEEZZNS1_16scan_by_key_implILNS1_25lookback_scan_determinismE0ELb1ES3_N6thrust23THRUST_200600_302600_NS6detail15normal_iteratorINS9_10device_ptrIxEEEESE_SE_iNS9_4plusIvEENS9_8equal_toIvEEiEE10hipError_tPvRmT2_T3_T4_T5_mT6_T7_P12ihipStream_tbENKUlT_T0_E_clISt17integral_constantIbLb0EESY_IbLb1EEEEDaSU_SV_EUlSU_E_NS1_11comp_targetILNS1_3genE10ELNS1_11target_archE1201ELNS1_3gpuE5ELNS1_3repE0EEENS1_30default_config_static_selectorELNS0_4arch9wavefront6targetE0EEEvT1_
    .private_segment_fixed_size: 0
    .sgpr_count:     0
    .sgpr_spill_count: 0
    .symbol:         _ZN7rocprim17ROCPRIM_400000_NS6detail17trampoline_kernelINS0_14default_configENS1_27scan_by_key_config_selectorIxiEEZZNS1_16scan_by_key_implILNS1_25lookback_scan_determinismE0ELb1ES3_N6thrust23THRUST_200600_302600_NS6detail15normal_iteratorINS9_10device_ptrIxEEEESE_SE_iNS9_4plusIvEENS9_8equal_toIvEEiEE10hipError_tPvRmT2_T3_T4_T5_mT6_T7_P12ihipStream_tbENKUlT_T0_E_clISt17integral_constantIbLb0EESY_IbLb1EEEEDaSU_SV_EUlSU_E_NS1_11comp_targetILNS1_3genE10ELNS1_11target_archE1201ELNS1_3gpuE5ELNS1_3repE0EEENS1_30default_config_static_selectorELNS0_4arch9wavefront6targetE0EEEvT1_.kd
    .uniform_work_group_size: 1
    .uses_dynamic_stack: false
    .vgpr_count:     0
    .vgpr_spill_count: 0
    .wavefront_size: 32
  - .args:
      - .offset:         0
        .size:           112
        .value_kind:     by_value
    .group_segment_fixed_size: 0
    .kernarg_segment_align: 8
    .kernarg_segment_size: 112
    .language:       OpenCL C
    .language_version:
      - 2
      - 0
    .max_flat_workgroup_size: 256
    .name:           _ZN7rocprim17ROCPRIM_400000_NS6detail17trampoline_kernelINS0_14default_configENS1_27scan_by_key_config_selectorIxiEEZZNS1_16scan_by_key_implILNS1_25lookback_scan_determinismE0ELb1ES3_N6thrust23THRUST_200600_302600_NS6detail15normal_iteratorINS9_10device_ptrIxEEEESE_SE_iNS9_4plusIvEENS9_8equal_toIvEEiEE10hipError_tPvRmT2_T3_T4_T5_mT6_T7_P12ihipStream_tbENKUlT_T0_E_clISt17integral_constantIbLb0EESY_IbLb1EEEEDaSU_SV_EUlSU_E_NS1_11comp_targetILNS1_3genE5ELNS1_11target_archE942ELNS1_3gpuE9ELNS1_3repE0EEENS1_30default_config_static_selectorELNS0_4arch9wavefront6targetE0EEEvT1_
    .private_segment_fixed_size: 0
    .sgpr_count:     0
    .sgpr_spill_count: 0
    .symbol:         _ZN7rocprim17ROCPRIM_400000_NS6detail17trampoline_kernelINS0_14default_configENS1_27scan_by_key_config_selectorIxiEEZZNS1_16scan_by_key_implILNS1_25lookback_scan_determinismE0ELb1ES3_N6thrust23THRUST_200600_302600_NS6detail15normal_iteratorINS9_10device_ptrIxEEEESE_SE_iNS9_4plusIvEENS9_8equal_toIvEEiEE10hipError_tPvRmT2_T3_T4_T5_mT6_T7_P12ihipStream_tbENKUlT_T0_E_clISt17integral_constantIbLb0EESY_IbLb1EEEEDaSU_SV_EUlSU_E_NS1_11comp_targetILNS1_3genE5ELNS1_11target_archE942ELNS1_3gpuE9ELNS1_3repE0EEENS1_30default_config_static_selectorELNS0_4arch9wavefront6targetE0EEEvT1_.kd
    .uniform_work_group_size: 1
    .uses_dynamic_stack: false
    .vgpr_count:     0
    .vgpr_spill_count: 0
    .wavefront_size: 32
  - .args:
      - .offset:         0
        .size:           112
        .value_kind:     by_value
    .group_segment_fixed_size: 0
    .kernarg_segment_align: 8
    .kernarg_segment_size: 112
    .language:       OpenCL C
    .language_version:
      - 2
      - 0
    .max_flat_workgroup_size: 256
    .name:           _ZN7rocprim17ROCPRIM_400000_NS6detail17trampoline_kernelINS0_14default_configENS1_27scan_by_key_config_selectorIxiEEZZNS1_16scan_by_key_implILNS1_25lookback_scan_determinismE0ELb1ES3_N6thrust23THRUST_200600_302600_NS6detail15normal_iteratorINS9_10device_ptrIxEEEESE_SE_iNS9_4plusIvEENS9_8equal_toIvEEiEE10hipError_tPvRmT2_T3_T4_T5_mT6_T7_P12ihipStream_tbENKUlT_T0_E_clISt17integral_constantIbLb0EESY_IbLb1EEEEDaSU_SV_EUlSU_E_NS1_11comp_targetILNS1_3genE4ELNS1_11target_archE910ELNS1_3gpuE8ELNS1_3repE0EEENS1_30default_config_static_selectorELNS0_4arch9wavefront6targetE0EEEvT1_
    .private_segment_fixed_size: 0
    .sgpr_count:     0
    .sgpr_spill_count: 0
    .symbol:         _ZN7rocprim17ROCPRIM_400000_NS6detail17trampoline_kernelINS0_14default_configENS1_27scan_by_key_config_selectorIxiEEZZNS1_16scan_by_key_implILNS1_25lookback_scan_determinismE0ELb1ES3_N6thrust23THRUST_200600_302600_NS6detail15normal_iteratorINS9_10device_ptrIxEEEESE_SE_iNS9_4plusIvEENS9_8equal_toIvEEiEE10hipError_tPvRmT2_T3_T4_T5_mT6_T7_P12ihipStream_tbENKUlT_T0_E_clISt17integral_constantIbLb0EESY_IbLb1EEEEDaSU_SV_EUlSU_E_NS1_11comp_targetILNS1_3genE4ELNS1_11target_archE910ELNS1_3gpuE8ELNS1_3repE0EEENS1_30default_config_static_selectorELNS0_4arch9wavefront6targetE0EEEvT1_.kd
    .uniform_work_group_size: 1
    .uses_dynamic_stack: false
    .vgpr_count:     0
    .vgpr_spill_count: 0
    .wavefront_size: 32
  - .args:
      - .offset:         0
        .size:           112
        .value_kind:     by_value
    .group_segment_fixed_size: 0
    .kernarg_segment_align: 8
    .kernarg_segment_size: 112
    .language:       OpenCL C
    .language_version:
      - 2
      - 0
    .max_flat_workgroup_size: 256
    .name:           _ZN7rocprim17ROCPRIM_400000_NS6detail17trampoline_kernelINS0_14default_configENS1_27scan_by_key_config_selectorIxiEEZZNS1_16scan_by_key_implILNS1_25lookback_scan_determinismE0ELb1ES3_N6thrust23THRUST_200600_302600_NS6detail15normal_iteratorINS9_10device_ptrIxEEEESE_SE_iNS9_4plusIvEENS9_8equal_toIvEEiEE10hipError_tPvRmT2_T3_T4_T5_mT6_T7_P12ihipStream_tbENKUlT_T0_E_clISt17integral_constantIbLb0EESY_IbLb1EEEEDaSU_SV_EUlSU_E_NS1_11comp_targetILNS1_3genE3ELNS1_11target_archE908ELNS1_3gpuE7ELNS1_3repE0EEENS1_30default_config_static_selectorELNS0_4arch9wavefront6targetE0EEEvT1_
    .private_segment_fixed_size: 0
    .sgpr_count:     0
    .sgpr_spill_count: 0
    .symbol:         _ZN7rocprim17ROCPRIM_400000_NS6detail17trampoline_kernelINS0_14default_configENS1_27scan_by_key_config_selectorIxiEEZZNS1_16scan_by_key_implILNS1_25lookback_scan_determinismE0ELb1ES3_N6thrust23THRUST_200600_302600_NS6detail15normal_iteratorINS9_10device_ptrIxEEEESE_SE_iNS9_4plusIvEENS9_8equal_toIvEEiEE10hipError_tPvRmT2_T3_T4_T5_mT6_T7_P12ihipStream_tbENKUlT_T0_E_clISt17integral_constantIbLb0EESY_IbLb1EEEEDaSU_SV_EUlSU_E_NS1_11comp_targetILNS1_3genE3ELNS1_11target_archE908ELNS1_3gpuE7ELNS1_3repE0EEENS1_30default_config_static_selectorELNS0_4arch9wavefront6targetE0EEEvT1_.kd
    .uniform_work_group_size: 1
    .uses_dynamic_stack: false
    .vgpr_count:     0
    .vgpr_spill_count: 0
    .wavefront_size: 32
  - .args:
      - .offset:         0
        .size:           112
        .value_kind:     by_value
    .group_segment_fixed_size: 0
    .kernarg_segment_align: 8
    .kernarg_segment_size: 112
    .language:       OpenCL C
    .language_version:
      - 2
      - 0
    .max_flat_workgroup_size: 256
    .name:           _ZN7rocprim17ROCPRIM_400000_NS6detail17trampoline_kernelINS0_14default_configENS1_27scan_by_key_config_selectorIxiEEZZNS1_16scan_by_key_implILNS1_25lookback_scan_determinismE0ELb1ES3_N6thrust23THRUST_200600_302600_NS6detail15normal_iteratorINS9_10device_ptrIxEEEESE_SE_iNS9_4plusIvEENS9_8equal_toIvEEiEE10hipError_tPvRmT2_T3_T4_T5_mT6_T7_P12ihipStream_tbENKUlT_T0_E_clISt17integral_constantIbLb0EESY_IbLb1EEEEDaSU_SV_EUlSU_E_NS1_11comp_targetILNS1_3genE2ELNS1_11target_archE906ELNS1_3gpuE6ELNS1_3repE0EEENS1_30default_config_static_selectorELNS0_4arch9wavefront6targetE0EEEvT1_
    .private_segment_fixed_size: 0
    .sgpr_count:     0
    .sgpr_spill_count: 0
    .symbol:         _ZN7rocprim17ROCPRIM_400000_NS6detail17trampoline_kernelINS0_14default_configENS1_27scan_by_key_config_selectorIxiEEZZNS1_16scan_by_key_implILNS1_25lookback_scan_determinismE0ELb1ES3_N6thrust23THRUST_200600_302600_NS6detail15normal_iteratorINS9_10device_ptrIxEEEESE_SE_iNS9_4plusIvEENS9_8equal_toIvEEiEE10hipError_tPvRmT2_T3_T4_T5_mT6_T7_P12ihipStream_tbENKUlT_T0_E_clISt17integral_constantIbLb0EESY_IbLb1EEEEDaSU_SV_EUlSU_E_NS1_11comp_targetILNS1_3genE2ELNS1_11target_archE906ELNS1_3gpuE6ELNS1_3repE0EEENS1_30default_config_static_selectorELNS0_4arch9wavefront6targetE0EEEvT1_.kd
    .uniform_work_group_size: 1
    .uses_dynamic_stack: false
    .vgpr_count:     0
    .vgpr_spill_count: 0
    .wavefront_size: 32
  - .args:
      - .offset:         0
        .size:           112
        .value_kind:     by_value
    .group_segment_fixed_size: 0
    .kernarg_segment_align: 8
    .kernarg_segment_size: 112
    .language:       OpenCL C
    .language_version:
      - 2
      - 0
    .max_flat_workgroup_size: 256
    .name:           _ZN7rocprim17ROCPRIM_400000_NS6detail17trampoline_kernelINS0_14default_configENS1_27scan_by_key_config_selectorIxiEEZZNS1_16scan_by_key_implILNS1_25lookback_scan_determinismE0ELb1ES3_N6thrust23THRUST_200600_302600_NS6detail15normal_iteratorINS9_10device_ptrIxEEEESE_SE_iNS9_4plusIvEENS9_8equal_toIvEEiEE10hipError_tPvRmT2_T3_T4_T5_mT6_T7_P12ihipStream_tbENKUlT_T0_E_clISt17integral_constantIbLb0EESY_IbLb1EEEEDaSU_SV_EUlSU_E_NS1_11comp_targetILNS1_3genE10ELNS1_11target_archE1200ELNS1_3gpuE4ELNS1_3repE0EEENS1_30default_config_static_selectorELNS0_4arch9wavefront6targetE0EEEvT1_
    .private_segment_fixed_size: 0
    .sgpr_count:     0
    .sgpr_spill_count: 0
    .symbol:         _ZN7rocprim17ROCPRIM_400000_NS6detail17trampoline_kernelINS0_14default_configENS1_27scan_by_key_config_selectorIxiEEZZNS1_16scan_by_key_implILNS1_25lookback_scan_determinismE0ELb1ES3_N6thrust23THRUST_200600_302600_NS6detail15normal_iteratorINS9_10device_ptrIxEEEESE_SE_iNS9_4plusIvEENS9_8equal_toIvEEiEE10hipError_tPvRmT2_T3_T4_T5_mT6_T7_P12ihipStream_tbENKUlT_T0_E_clISt17integral_constantIbLb0EESY_IbLb1EEEEDaSU_SV_EUlSU_E_NS1_11comp_targetILNS1_3genE10ELNS1_11target_archE1200ELNS1_3gpuE4ELNS1_3repE0EEENS1_30default_config_static_selectorELNS0_4arch9wavefront6targetE0EEEvT1_.kd
    .uniform_work_group_size: 1
    .uses_dynamic_stack: false
    .vgpr_count:     0
    .vgpr_spill_count: 0
    .wavefront_size: 32
  - .args:
      - .offset:         0
        .size:           112
        .value_kind:     by_value
    .group_segment_fixed_size: 0
    .kernarg_segment_align: 8
    .kernarg_segment_size: 112
    .language:       OpenCL C
    .language_version:
      - 2
      - 0
    .max_flat_workgroup_size: 256
    .name:           _ZN7rocprim17ROCPRIM_400000_NS6detail17trampoline_kernelINS0_14default_configENS1_27scan_by_key_config_selectorIxiEEZZNS1_16scan_by_key_implILNS1_25lookback_scan_determinismE0ELb1ES3_N6thrust23THRUST_200600_302600_NS6detail15normal_iteratorINS9_10device_ptrIxEEEESE_SE_iNS9_4plusIvEENS9_8equal_toIvEEiEE10hipError_tPvRmT2_T3_T4_T5_mT6_T7_P12ihipStream_tbENKUlT_T0_E_clISt17integral_constantIbLb0EESY_IbLb1EEEEDaSU_SV_EUlSU_E_NS1_11comp_targetILNS1_3genE9ELNS1_11target_archE1100ELNS1_3gpuE3ELNS1_3repE0EEENS1_30default_config_static_selectorELNS0_4arch9wavefront6targetE0EEEvT1_
    .private_segment_fixed_size: 0
    .sgpr_count:     0
    .sgpr_spill_count: 0
    .symbol:         _ZN7rocprim17ROCPRIM_400000_NS6detail17trampoline_kernelINS0_14default_configENS1_27scan_by_key_config_selectorIxiEEZZNS1_16scan_by_key_implILNS1_25lookback_scan_determinismE0ELb1ES3_N6thrust23THRUST_200600_302600_NS6detail15normal_iteratorINS9_10device_ptrIxEEEESE_SE_iNS9_4plusIvEENS9_8equal_toIvEEiEE10hipError_tPvRmT2_T3_T4_T5_mT6_T7_P12ihipStream_tbENKUlT_T0_E_clISt17integral_constantIbLb0EESY_IbLb1EEEEDaSU_SV_EUlSU_E_NS1_11comp_targetILNS1_3genE9ELNS1_11target_archE1100ELNS1_3gpuE3ELNS1_3repE0EEENS1_30default_config_static_selectorELNS0_4arch9wavefront6targetE0EEEvT1_.kd
    .uniform_work_group_size: 1
    .uses_dynamic_stack: false
    .vgpr_count:     0
    .vgpr_spill_count: 0
    .wavefront_size: 32
  - .args:
      - .offset:         0
        .size:           112
        .value_kind:     by_value
    .group_segment_fixed_size: 0
    .kernarg_segment_align: 8
    .kernarg_segment_size: 112
    .language:       OpenCL C
    .language_version:
      - 2
      - 0
    .max_flat_workgroup_size: 256
    .name:           _ZN7rocprim17ROCPRIM_400000_NS6detail17trampoline_kernelINS0_14default_configENS1_27scan_by_key_config_selectorIxiEEZZNS1_16scan_by_key_implILNS1_25lookback_scan_determinismE0ELb1ES3_N6thrust23THRUST_200600_302600_NS6detail15normal_iteratorINS9_10device_ptrIxEEEESE_SE_iNS9_4plusIvEENS9_8equal_toIvEEiEE10hipError_tPvRmT2_T3_T4_T5_mT6_T7_P12ihipStream_tbENKUlT_T0_E_clISt17integral_constantIbLb0EESY_IbLb1EEEEDaSU_SV_EUlSU_E_NS1_11comp_targetILNS1_3genE8ELNS1_11target_archE1030ELNS1_3gpuE2ELNS1_3repE0EEENS1_30default_config_static_selectorELNS0_4arch9wavefront6targetE0EEEvT1_
    .private_segment_fixed_size: 0
    .sgpr_count:     0
    .sgpr_spill_count: 0
    .symbol:         _ZN7rocprim17ROCPRIM_400000_NS6detail17trampoline_kernelINS0_14default_configENS1_27scan_by_key_config_selectorIxiEEZZNS1_16scan_by_key_implILNS1_25lookback_scan_determinismE0ELb1ES3_N6thrust23THRUST_200600_302600_NS6detail15normal_iteratorINS9_10device_ptrIxEEEESE_SE_iNS9_4plusIvEENS9_8equal_toIvEEiEE10hipError_tPvRmT2_T3_T4_T5_mT6_T7_P12ihipStream_tbENKUlT_T0_E_clISt17integral_constantIbLb0EESY_IbLb1EEEEDaSU_SV_EUlSU_E_NS1_11comp_targetILNS1_3genE8ELNS1_11target_archE1030ELNS1_3gpuE2ELNS1_3repE0EEENS1_30default_config_static_selectorELNS0_4arch9wavefront6targetE0EEEvT1_.kd
    .uniform_work_group_size: 1
    .uses_dynamic_stack: false
    .vgpr_count:     0
    .vgpr_spill_count: 0
    .wavefront_size: 32
  - .args:
      - .address_space:  global
        .offset:         0
        .size:           8
        .value_kind:     global_buffer
      - .offset:         8
        .size:           4
        .value_kind:     by_value
      - .offset:         12
        .size:           4
        .value_kind:     by_value
      - .address_space:  global
        .offset:         16
        .size:           8
        .value_kind:     global_buffer
      - .address_space:  global
        .offset:         24
        .size:           8
        .value_kind:     global_buffer
      - .actual_access:  write_only
        .address_space:  global
        .offset:         32
        .size:           8
        .value_kind:     global_buffer
      - .offset:         40
        .size:           8
        .value_kind:     by_value
      - .offset:         48
        .size:           4
        .value_kind:     by_value
      - .offset:         52
        .size:           1
        .value_kind:     by_value
      - .offset:         56
        .size:           4
        .value_kind:     hidden_block_count_x
      - .offset:         60
        .size:           4
        .value_kind:     hidden_block_count_y
      - .offset:         64
        .size:           4
        .value_kind:     hidden_block_count_z
      - .offset:         68
        .size:           2
        .value_kind:     hidden_group_size_x
      - .offset:         70
        .size:           2
        .value_kind:     hidden_group_size_y
      - .offset:         72
        .size:           2
        .value_kind:     hidden_group_size_z
      - .offset:         74
        .size:           2
        .value_kind:     hidden_remainder_x
      - .offset:         76
        .size:           2
        .value_kind:     hidden_remainder_y
      - .offset:         78
        .size:           2
        .value_kind:     hidden_remainder_z
      - .offset:         96
        .size:           8
        .value_kind:     hidden_global_offset_x
      - .offset:         104
        .size:           8
        .value_kind:     hidden_global_offset_y
      - .offset:         112
        .size:           8
        .value_kind:     hidden_global_offset_z
      - .offset:         120
        .size:           2
        .value_kind:     hidden_grid_dims
    .group_segment_fixed_size: 0
    .kernarg_segment_align: 8
    .kernarg_segment_size: 312
    .language:       OpenCL C
    .language_version:
      - 2
      - 0
    .max_flat_workgroup_size: 256
    .name:           _ZN7rocprim17ROCPRIM_400000_NS6detail30init_device_scan_by_key_kernelINS1_19lookback_scan_stateINS0_5tupleIJibEEELb0ELb1EEEN6thrust23THRUST_200600_302600_NS6detail15normal_iteratorINS8_10device_ptrIsEEEEjNS1_16block_id_wrapperIjLb0EEEEEvT_jjPNSG_10value_typeET0_PNSt15iterator_traitsISJ_E10value_typeEmT1_T2_
    .private_segment_fixed_size: 0
    .sgpr_count:     19
    .sgpr_spill_count: 0
    .symbol:         _ZN7rocprim17ROCPRIM_400000_NS6detail30init_device_scan_by_key_kernelINS1_19lookback_scan_stateINS0_5tupleIJibEEELb0ELb1EEEN6thrust23THRUST_200600_302600_NS6detail15normal_iteratorINS8_10device_ptrIsEEEEjNS1_16block_id_wrapperIjLb0EEEEEvT_jjPNSG_10value_typeET0_PNSt15iterator_traitsISJ_E10value_typeEmT1_T2_.kd
    .uniform_work_group_size: 1
    .uses_dynamic_stack: false
    .vgpr_count:     10
    .vgpr_spill_count: 0
    .wavefront_size: 32
  - .args:
      - .offset:         0
        .size:           112
        .value_kind:     by_value
    .group_segment_fixed_size: 18432
    .kernarg_segment_align: 8
    .kernarg_segment_size: 112
    .language:       OpenCL C
    .language_version:
      - 2
      - 0
    .max_flat_workgroup_size: 256
    .name:           _ZN7rocprim17ROCPRIM_400000_NS6detail17trampoline_kernelINS0_14default_configENS1_27scan_by_key_config_selectorIsiEEZZNS1_16scan_by_key_implILNS1_25lookback_scan_determinismE0ELb1ES3_N6thrust23THRUST_200600_302600_NS6detail15normal_iteratorINS9_10device_ptrIsEEEESE_SE_iNS9_4plusIvEENS9_8equal_toIvEEiEE10hipError_tPvRmT2_T3_T4_T5_mT6_T7_P12ihipStream_tbENKUlT_T0_E_clISt17integral_constantIbLb0EESZ_EEDaSU_SV_EUlSU_E_NS1_11comp_targetILNS1_3genE0ELNS1_11target_archE4294967295ELNS1_3gpuE0ELNS1_3repE0EEENS1_30default_config_static_selectorELNS0_4arch9wavefront6targetE0EEEvT1_
    .private_segment_fixed_size: 0
    .sgpr_count:     45
    .sgpr_spill_count: 0
    .symbol:         _ZN7rocprim17ROCPRIM_400000_NS6detail17trampoline_kernelINS0_14default_configENS1_27scan_by_key_config_selectorIsiEEZZNS1_16scan_by_key_implILNS1_25lookback_scan_determinismE0ELb1ES3_N6thrust23THRUST_200600_302600_NS6detail15normal_iteratorINS9_10device_ptrIsEEEESE_SE_iNS9_4plusIvEENS9_8equal_toIvEEiEE10hipError_tPvRmT2_T3_T4_T5_mT6_T7_P12ihipStream_tbENKUlT_T0_E_clISt17integral_constantIbLb0EESZ_EEDaSU_SV_EUlSU_E_NS1_11comp_targetILNS1_3genE0ELNS1_11target_archE4294967295ELNS1_3gpuE0ELNS1_3repE0EEENS1_30default_config_static_selectorELNS0_4arch9wavefront6targetE0EEEvT1_.kd
    .uniform_work_group_size: 1
    .uses_dynamic_stack: false
    .vgpr_count:     80
    .vgpr_spill_count: 0
    .wavefront_size: 32
  - .args:
      - .offset:         0
        .size:           112
        .value_kind:     by_value
    .group_segment_fixed_size: 0
    .kernarg_segment_align: 8
    .kernarg_segment_size: 112
    .language:       OpenCL C
    .language_version:
      - 2
      - 0
    .max_flat_workgroup_size: 256
    .name:           _ZN7rocprim17ROCPRIM_400000_NS6detail17trampoline_kernelINS0_14default_configENS1_27scan_by_key_config_selectorIsiEEZZNS1_16scan_by_key_implILNS1_25lookback_scan_determinismE0ELb1ES3_N6thrust23THRUST_200600_302600_NS6detail15normal_iteratorINS9_10device_ptrIsEEEESE_SE_iNS9_4plusIvEENS9_8equal_toIvEEiEE10hipError_tPvRmT2_T3_T4_T5_mT6_T7_P12ihipStream_tbENKUlT_T0_E_clISt17integral_constantIbLb0EESZ_EEDaSU_SV_EUlSU_E_NS1_11comp_targetILNS1_3genE10ELNS1_11target_archE1201ELNS1_3gpuE5ELNS1_3repE0EEENS1_30default_config_static_selectorELNS0_4arch9wavefront6targetE0EEEvT1_
    .private_segment_fixed_size: 0
    .sgpr_count:     0
    .sgpr_spill_count: 0
    .symbol:         _ZN7rocprim17ROCPRIM_400000_NS6detail17trampoline_kernelINS0_14default_configENS1_27scan_by_key_config_selectorIsiEEZZNS1_16scan_by_key_implILNS1_25lookback_scan_determinismE0ELb1ES3_N6thrust23THRUST_200600_302600_NS6detail15normal_iteratorINS9_10device_ptrIsEEEESE_SE_iNS9_4plusIvEENS9_8equal_toIvEEiEE10hipError_tPvRmT2_T3_T4_T5_mT6_T7_P12ihipStream_tbENKUlT_T0_E_clISt17integral_constantIbLb0EESZ_EEDaSU_SV_EUlSU_E_NS1_11comp_targetILNS1_3genE10ELNS1_11target_archE1201ELNS1_3gpuE5ELNS1_3repE0EEENS1_30default_config_static_selectorELNS0_4arch9wavefront6targetE0EEEvT1_.kd
    .uniform_work_group_size: 1
    .uses_dynamic_stack: false
    .vgpr_count:     0
    .vgpr_spill_count: 0
    .wavefront_size: 32
  - .args:
      - .offset:         0
        .size:           112
        .value_kind:     by_value
    .group_segment_fixed_size: 0
    .kernarg_segment_align: 8
    .kernarg_segment_size: 112
    .language:       OpenCL C
    .language_version:
      - 2
      - 0
    .max_flat_workgroup_size: 256
    .name:           _ZN7rocprim17ROCPRIM_400000_NS6detail17trampoline_kernelINS0_14default_configENS1_27scan_by_key_config_selectorIsiEEZZNS1_16scan_by_key_implILNS1_25lookback_scan_determinismE0ELb1ES3_N6thrust23THRUST_200600_302600_NS6detail15normal_iteratorINS9_10device_ptrIsEEEESE_SE_iNS9_4plusIvEENS9_8equal_toIvEEiEE10hipError_tPvRmT2_T3_T4_T5_mT6_T7_P12ihipStream_tbENKUlT_T0_E_clISt17integral_constantIbLb0EESZ_EEDaSU_SV_EUlSU_E_NS1_11comp_targetILNS1_3genE5ELNS1_11target_archE942ELNS1_3gpuE9ELNS1_3repE0EEENS1_30default_config_static_selectorELNS0_4arch9wavefront6targetE0EEEvT1_
    .private_segment_fixed_size: 0
    .sgpr_count:     0
    .sgpr_spill_count: 0
    .symbol:         _ZN7rocprim17ROCPRIM_400000_NS6detail17trampoline_kernelINS0_14default_configENS1_27scan_by_key_config_selectorIsiEEZZNS1_16scan_by_key_implILNS1_25lookback_scan_determinismE0ELb1ES3_N6thrust23THRUST_200600_302600_NS6detail15normal_iteratorINS9_10device_ptrIsEEEESE_SE_iNS9_4plusIvEENS9_8equal_toIvEEiEE10hipError_tPvRmT2_T3_T4_T5_mT6_T7_P12ihipStream_tbENKUlT_T0_E_clISt17integral_constantIbLb0EESZ_EEDaSU_SV_EUlSU_E_NS1_11comp_targetILNS1_3genE5ELNS1_11target_archE942ELNS1_3gpuE9ELNS1_3repE0EEENS1_30default_config_static_selectorELNS0_4arch9wavefront6targetE0EEEvT1_.kd
    .uniform_work_group_size: 1
    .uses_dynamic_stack: false
    .vgpr_count:     0
    .vgpr_spill_count: 0
    .wavefront_size: 32
  - .args:
      - .offset:         0
        .size:           112
        .value_kind:     by_value
    .group_segment_fixed_size: 0
    .kernarg_segment_align: 8
    .kernarg_segment_size: 112
    .language:       OpenCL C
    .language_version:
      - 2
      - 0
    .max_flat_workgroup_size: 256
    .name:           _ZN7rocprim17ROCPRIM_400000_NS6detail17trampoline_kernelINS0_14default_configENS1_27scan_by_key_config_selectorIsiEEZZNS1_16scan_by_key_implILNS1_25lookback_scan_determinismE0ELb1ES3_N6thrust23THRUST_200600_302600_NS6detail15normal_iteratorINS9_10device_ptrIsEEEESE_SE_iNS9_4plusIvEENS9_8equal_toIvEEiEE10hipError_tPvRmT2_T3_T4_T5_mT6_T7_P12ihipStream_tbENKUlT_T0_E_clISt17integral_constantIbLb0EESZ_EEDaSU_SV_EUlSU_E_NS1_11comp_targetILNS1_3genE4ELNS1_11target_archE910ELNS1_3gpuE8ELNS1_3repE0EEENS1_30default_config_static_selectorELNS0_4arch9wavefront6targetE0EEEvT1_
    .private_segment_fixed_size: 0
    .sgpr_count:     0
    .sgpr_spill_count: 0
    .symbol:         _ZN7rocprim17ROCPRIM_400000_NS6detail17trampoline_kernelINS0_14default_configENS1_27scan_by_key_config_selectorIsiEEZZNS1_16scan_by_key_implILNS1_25lookback_scan_determinismE0ELb1ES3_N6thrust23THRUST_200600_302600_NS6detail15normal_iteratorINS9_10device_ptrIsEEEESE_SE_iNS9_4plusIvEENS9_8equal_toIvEEiEE10hipError_tPvRmT2_T3_T4_T5_mT6_T7_P12ihipStream_tbENKUlT_T0_E_clISt17integral_constantIbLb0EESZ_EEDaSU_SV_EUlSU_E_NS1_11comp_targetILNS1_3genE4ELNS1_11target_archE910ELNS1_3gpuE8ELNS1_3repE0EEENS1_30default_config_static_selectorELNS0_4arch9wavefront6targetE0EEEvT1_.kd
    .uniform_work_group_size: 1
    .uses_dynamic_stack: false
    .vgpr_count:     0
    .vgpr_spill_count: 0
    .wavefront_size: 32
  - .args:
      - .offset:         0
        .size:           112
        .value_kind:     by_value
    .group_segment_fixed_size: 0
    .kernarg_segment_align: 8
    .kernarg_segment_size: 112
    .language:       OpenCL C
    .language_version:
      - 2
      - 0
    .max_flat_workgroup_size: 256
    .name:           _ZN7rocprim17ROCPRIM_400000_NS6detail17trampoline_kernelINS0_14default_configENS1_27scan_by_key_config_selectorIsiEEZZNS1_16scan_by_key_implILNS1_25lookback_scan_determinismE0ELb1ES3_N6thrust23THRUST_200600_302600_NS6detail15normal_iteratorINS9_10device_ptrIsEEEESE_SE_iNS9_4plusIvEENS9_8equal_toIvEEiEE10hipError_tPvRmT2_T3_T4_T5_mT6_T7_P12ihipStream_tbENKUlT_T0_E_clISt17integral_constantIbLb0EESZ_EEDaSU_SV_EUlSU_E_NS1_11comp_targetILNS1_3genE3ELNS1_11target_archE908ELNS1_3gpuE7ELNS1_3repE0EEENS1_30default_config_static_selectorELNS0_4arch9wavefront6targetE0EEEvT1_
    .private_segment_fixed_size: 0
    .sgpr_count:     0
    .sgpr_spill_count: 0
    .symbol:         _ZN7rocprim17ROCPRIM_400000_NS6detail17trampoline_kernelINS0_14default_configENS1_27scan_by_key_config_selectorIsiEEZZNS1_16scan_by_key_implILNS1_25lookback_scan_determinismE0ELb1ES3_N6thrust23THRUST_200600_302600_NS6detail15normal_iteratorINS9_10device_ptrIsEEEESE_SE_iNS9_4plusIvEENS9_8equal_toIvEEiEE10hipError_tPvRmT2_T3_T4_T5_mT6_T7_P12ihipStream_tbENKUlT_T0_E_clISt17integral_constantIbLb0EESZ_EEDaSU_SV_EUlSU_E_NS1_11comp_targetILNS1_3genE3ELNS1_11target_archE908ELNS1_3gpuE7ELNS1_3repE0EEENS1_30default_config_static_selectorELNS0_4arch9wavefront6targetE0EEEvT1_.kd
    .uniform_work_group_size: 1
    .uses_dynamic_stack: false
    .vgpr_count:     0
    .vgpr_spill_count: 0
    .wavefront_size: 32
  - .args:
      - .offset:         0
        .size:           112
        .value_kind:     by_value
    .group_segment_fixed_size: 0
    .kernarg_segment_align: 8
    .kernarg_segment_size: 112
    .language:       OpenCL C
    .language_version:
      - 2
      - 0
    .max_flat_workgroup_size: 256
    .name:           _ZN7rocprim17ROCPRIM_400000_NS6detail17trampoline_kernelINS0_14default_configENS1_27scan_by_key_config_selectorIsiEEZZNS1_16scan_by_key_implILNS1_25lookback_scan_determinismE0ELb1ES3_N6thrust23THRUST_200600_302600_NS6detail15normal_iteratorINS9_10device_ptrIsEEEESE_SE_iNS9_4plusIvEENS9_8equal_toIvEEiEE10hipError_tPvRmT2_T3_T4_T5_mT6_T7_P12ihipStream_tbENKUlT_T0_E_clISt17integral_constantIbLb0EESZ_EEDaSU_SV_EUlSU_E_NS1_11comp_targetILNS1_3genE2ELNS1_11target_archE906ELNS1_3gpuE6ELNS1_3repE0EEENS1_30default_config_static_selectorELNS0_4arch9wavefront6targetE0EEEvT1_
    .private_segment_fixed_size: 0
    .sgpr_count:     0
    .sgpr_spill_count: 0
    .symbol:         _ZN7rocprim17ROCPRIM_400000_NS6detail17trampoline_kernelINS0_14default_configENS1_27scan_by_key_config_selectorIsiEEZZNS1_16scan_by_key_implILNS1_25lookback_scan_determinismE0ELb1ES3_N6thrust23THRUST_200600_302600_NS6detail15normal_iteratorINS9_10device_ptrIsEEEESE_SE_iNS9_4plusIvEENS9_8equal_toIvEEiEE10hipError_tPvRmT2_T3_T4_T5_mT6_T7_P12ihipStream_tbENKUlT_T0_E_clISt17integral_constantIbLb0EESZ_EEDaSU_SV_EUlSU_E_NS1_11comp_targetILNS1_3genE2ELNS1_11target_archE906ELNS1_3gpuE6ELNS1_3repE0EEENS1_30default_config_static_selectorELNS0_4arch9wavefront6targetE0EEEvT1_.kd
    .uniform_work_group_size: 1
    .uses_dynamic_stack: false
    .vgpr_count:     0
    .vgpr_spill_count: 0
    .wavefront_size: 32
  - .args:
      - .offset:         0
        .size:           112
        .value_kind:     by_value
    .group_segment_fixed_size: 0
    .kernarg_segment_align: 8
    .kernarg_segment_size: 112
    .language:       OpenCL C
    .language_version:
      - 2
      - 0
    .max_flat_workgroup_size: 256
    .name:           _ZN7rocprim17ROCPRIM_400000_NS6detail17trampoline_kernelINS0_14default_configENS1_27scan_by_key_config_selectorIsiEEZZNS1_16scan_by_key_implILNS1_25lookback_scan_determinismE0ELb1ES3_N6thrust23THRUST_200600_302600_NS6detail15normal_iteratorINS9_10device_ptrIsEEEESE_SE_iNS9_4plusIvEENS9_8equal_toIvEEiEE10hipError_tPvRmT2_T3_T4_T5_mT6_T7_P12ihipStream_tbENKUlT_T0_E_clISt17integral_constantIbLb0EESZ_EEDaSU_SV_EUlSU_E_NS1_11comp_targetILNS1_3genE10ELNS1_11target_archE1200ELNS1_3gpuE4ELNS1_3repE0EEENS1_30default_config_static_selectorELNS0_4arch9wavefront6targetE0EEEvT1_
    .private_segment_fixed_size: 0
    .sgpr_count:     0
    .sgpr_spill_count: 0
    .symbol:         _ZN7rocprim17ROCPRIM_400000_NS6detail17trampoline_kernelINS0_14default_configENS1_27scan_by_key_config_selectorIsiEEZZNS1_16scan_by_key_implILNS1_25lookback_scan_determinismE0ELb1ES3_N6thrust23THRUST_200600_302600_NS6detail15normal_iteratorINS9_10device_ptrIsEEEESE_SE_iNS9_4plusIvEENS9_8equal_toIvEEiEE10hipError_tPvRmT2_T3_T4_T5_mT6_T7_P12ihipStream_tbENKUlT_T0_E_clISt17integral_constantIbLb0EESZ_EEDaSU_SV_EUlSU_E_NS1_11comp_targetILNS1_3genE10ELNS1_11target_archE1200ELNS1_3gpuE4ELNS1_3repE0EEENS1_30default_config_static_selectorELNS0_4arch9wavefront6targetE0EEEvT1_.kd
    .uniform_work_group_size: 1
    .uses_dynamic_stack: false
    .vgpr_count:     0
    .vgpr_spill_count: 0
    .wavefront_size: 32
  - .args:
      - .offset:         0
        .size:           112
        .value_kind:     by_value
    .group_segment_fixed_size: 0
    .kernarg_segment_align: 8
    .kernarg_segment_size: 112
    .language:       OpenCL C
    .language_version:
      - 2
      - 0
    .max_flat_workgroup_size: 256
    .name:           _ZN7rocprim17ROCPRIM_400000_NS6detail17trampoline_kernelINS0_14default_configENS1_27scan_by_key_config_selectorIsiEEZZNS1_16scan_by_key_implILNS1_25lookback_scan_determinismE0ELb1ES3_N6thrust23THRUST_200600_302600_NS6detail15normal_iteratorINS9_10device_ptrIsEEEESE_SE_iNS9_4plusIvEENS9_8equal_toIvEEiEE10hipError_tPvRmT2_T3_T4_T5_mT6_T7_P12ihipStream_tbENKUlT_T0_E_clISt17integral_constantIbLb0EESZ_EEDaSU_SV_EUlSU_E_NS1_11comp_targetILNS1_3genE9ELNS1_11target_archE1100ELNS1_3gpuE3ELNS1_3repE0EEENS1_30default_config_static_selectorELNS0_4arch9wavefront6targetE0EEEvT1_
    .private_segment_fixed_size: 0
    .sgpr_count:     0
    .sgpr_spill_count: 0
    .symbol:         _ZN7rocprim17ROCPRIM_400000_NS6detail17trampoline_kernelINS0_14default_configENS1_27scan_by_key_config_selectorIsiEEZZNS1_16scan_by_key_implILNS1_25lookback_scan_determinismE0ELb1ES3_N6thrust23THRUST_200600_302600_NS6detail15normal_iteratorINS9_10device_ptrIsEEEESE_SE_iNS9_4plusIvEENS9_8equal_toIvEEiEE10hipError_tPvRmT2_T3_T4_T5_mT6_T7_P12ihipStream_tbENKUlT_T0_E_clISt17integral_constantIbLb0EESZ_EEDaSU_SV_EUlSU_E_NS1_11comp_targetILNS1_3genE9ELNS1_11target_archE1100ELNS1_3gpuE3ELNS1_3repE0EEENS1_30default_config_static_selectorELNS0_4arch9wavefront6targetE0EEEvT1_.kd
    .uniform_work_group_size: 1
    .uses_dynamic_stack: false
    .vgpr_count:     0
    .vgpr_spill_count: 0
    .wavefront_size: 32
  - .args:
      - .offset:         0
        .size:           112
        .value_kind:     by_value
    .group_segment_fixed_size: 0
    .kernarg_segment_align: 8
    .kernarg_segment_size: 112
    .language:       OpenCL C
    .language_version:
      - 2
      - 0
    .max_flat_workgroup_size: 64
    .name:           _ZN7rocprim17ROCPRIM_400000_NS6detail17trampoline_kernelINS0_14default_configENS1_27scan_by_key_config_selectorIsiEEZZNS1_16scan_by_key_implILNS1_25lookback_scan_determinismE0ELb1ES3_N6thrust23THRUST_200600_302600_NS6detail15normal_iteratorINS9_10device_ptrIsEEEESE_SE_iNS9_4plusIvEENS9_8equal_toIvEEiEE10hipError_tPvRmT2_T3_T4_T5_mT6_T7_P12ihipStream_tbENKUlT_T0_E_clISt17integral_constantIbLb0EESZ_EEDaSU_SV_EUlSU_E_NS1_11comp_targetILNS1_3genE8ELNS1_11target_archE1030ELNS1_3gpuE2ELNS1_3repE0EEENS1_30default_config_static_selectorELNS0_4arch9wavefront6targetE0EEEvT1_
    .private_segment_fixed_size: 0
    .sgpr_count:     0
    .sgpr_spill_count: 0
    .symbol:         _ZN7rocprim17ROCPRIM_400000_NS6detail17trampoline_kernelINS0_14default_configENS1_27scan_by_key_config_selectorIsiEEZZNS1_16scan_by_key_implILNS1_25lookback_scan_determinismE0ELb1ES3_N6thrust23THRUST_200600_302600_NS6detail15normal_iteratorINS9_10device_ptrIsEEEESE_SE_iNS9_4plusIvEENS9_8equal_toIvEEiEE10hipError_tPvRmT2_T3_T4_T5_mT6_T7_P12ihipStream_tbENKUlT_T0_E_clISt17integral_constantIbLb0EESZ_EEDaSU_SV_EUlSU_E_NS1_11comp_targetILNS1_3genE8ELNS1_11target_archE1030ELNS1_3gpuE2ELNS1_3repE0EEENS1_30default_config_static_selectorELNS0_4arch9wavefront6targetE0EEEvT1_.kd
    .uniform_work_group_size: 1
    .uses_dynamic_stack: false
    .vgpr_count:     0
    .vgpr_spill_count: 0
    .wavefront_size: 32
  - .args:
      - .address_space:  global
        .offset:         0
        .size:           8
        .value_kind:     global_buffer
      - .offset:         8
        .size:           4
        .value_kind:     by_value
      - .offset:         12
        .size:           4
        .value_kind:     by_value
      - .address_space:  global
        .offset:         16
        .size:           8
        .value_kind:     global_buffer
      - .address_space:  global
        .offset:         24
        .size:           8
        .value_kind:     global_buffer
      - .actual_access:  write_only
        .address_space:  global
        .offset:         32
        .size:           8
        .value_kind:     global_buffer
      - .offset:         40
        .size:           8
        .value_kind:     by_value
      - .offset:         48
        .size:           4
        .value_kind:     by_value
      - .address_space:  global
        .offset:         56
        .size:           8
        .value_kind:     global_buffer
      - .offset:         64
        .size:           4
        .value_kind:     hidden_block_count_x
      - .offset:         68
        .size:           4
        .value_kind:     hidden_block_count_y
      - .offset:         72
        .size:           4
        .value_kind:     hidden_block_count_z
      - .offset:         76
        .size:           2
        .value_kind:     hidden_group_size_x
      - .offset:         78
        .size:           2
        .value_kind:     hidden_group_size_y
      - .offset:         80
        .size:           2
        .value_kind:     hidden_group_size_z
      - .offset:         82
        .size:           2
        .value_kind:     hidden_remainder_x
      - .offset:         84
        .size:           2
        .value_kind:     hidden_remainder_y
      - .offset:         86
        .size:           2
        .value_kind:     hidden_remainder_z
      - .offset:         104
        .size:           8
        .value_kind:     hidden_global_offset_x
      - .offset:         112
        .size:           8
        .value_kind:     hidden_global_offset_y
      - .offset:         120
        .size:           8
        .value_kind:     hidden_global_offset_z
      - .offset:         128
        .size:           2
        .value_kind:     hidden_grid_dims
    .group_segment_fixed_size: 0
    .kernarg_segment_align: 8
    .kernarg_segment_size: 320
    .language:       OpenCL C
    .language_version:
      - 2
      - 0
    .max_flat_workgroup_size: 256
    .name:           _ZN7rocprim17ROCPRIM_400000_NS6detail30init_device_scan_by_key_kernelINS1_19lookback_scan_stateINS0_5tupleIJibEEELb1ELb1EEEN6thrust23THRUST_200600_302600_NS6detail15normal_iteratorINS8_10device_ptrIsEEEEjNS1_16block_id_wrapperIjLb1EEEEEvT_jjPNSG_10value_typeET0_PNSt15iterator_traitsISJ_E10value_typeEmT1_T2_
    .private_segment_fixed_size: 0
    .sgpr_count:     19
    .sgpr_spill_count: 0
    .symbol:         _ZN7rocprim17ROCPRIM_400000_NS6detail30init_device_scan_by_key_kernelINS1_19lookback_scan_stateINS0_5tupleIJibEEELb1ELb1EEEN6thrust23THRUST_200600_302600_NS6detail15normal_iteratorINS8_10device_ptrIsEEEEjNS1_16block_id_wrapperIjLb1EEEEEvT_jjPNSG_10value_typeET0_PNSt15iterator_traitsISJ_E10value_typeEmT1_T2_.kd
    .uniform_work_group_size: 1
    .uses_dynamic_stack: false
    .vgpr_count:     10
    .vgpr_spill_count: 0
    .wavefront_size: 32
  - .args:
      - .offset:         0
        .size:           112
        .value_kind:     by_value
    .group_segment_fixed_size: 0
    .kernarg_segment_align: 8
    .kernarg_segment_size: 112
    .language:       OpenCL C
    .language_version:
      - 2
      - 0
    .max_flat_workgroup_size: 256
    .name:           _ZN7rocprim17ROCPRIM_400000_NS6detail17trampoline_kernelINS0_14default_configENS1_27scan_by_key_config_selectorIsiEEZZNS1_16scan_by_key_implILNS1_25lookback_scan_determinismE0ELb1ES3_N6thrust23THRUST_200600_302600_NS6detail15normal_iteratorINS9_10device_ptrIsEEEESE_SE_iNS9_4plusIvEENS9_8equal_toIvEEiEE10hipError_tPvRmT2_T3_T4_T5_mT6_T7_P12ihipStream_tbENKUlT_T0_E_clISt17integral_constantIbLb1EESZ_EEDaSU_SV_EUlSU_E_NS1_11comp_targetILNS1_3genE0ELNS1_11target_archE4294967295ELNS1_3gpuE0ELNS1_3repE0EEENS1_30default_config_static_selectorELNS0_4arch9wavefront6targetE0EEEvT1_
    .private_segment_fixed_size: 0
    .sgpr_count:     0
    .sgpr_spill_count: 0
    .symbol:         _ZN7rocprim17ROCPRIM_400000_NS6detail17trampoline_kernelINS0_14default_configENS1_27scan_by_key_config_selectorIsiEEZZNS1_16scan_by_key_implILNS1_25lookback_scan_determinismE0ELb1ES3_N6thrust23THRUST_200600_302600_NS6detail15normal_iteratorINS9_10device_ptrIsEEEESE_SE_iNS9_4plusIvEENS9_8equal_toIvEEiEE10hipError_tPvRmT2_T3_T4_T5_mT6_T7_P12ihipStream_tbENKUlT_T0_E_clISt17integral_constantIbLb1EESZ_EEDaSU_SV_EUlSU_E_NS1_11comp_targetILNS1_3genE0ELNS1_11target_archE4294967295ELNS1_3gpuE0ELNS1_3repE0EEENS1_30default_config_static_selectorELNS0_4arch9wavefront6targetE0EEEvT1_.kd
    .uniform_work_group_size: 1
    .uses_dynamic_stack: false
    .vgpr_count:     0
    .vgpr_spill_count: 0
    .wavefront_size: 32
  - .args:
      - .offset:         0
        .size:           112
        .value_kind:     by_value
    .group_segment_fixed_size: 0
    .kernarg_segment_align: 8
    .kernarg_segment_size: 112
    .language:       OpenCL C
    .language_version:
      - 2
      - 0
    .max_flat_workgroup_size: 256
    .name:           _ZN7rocprim17ROCPRIM_400000_NS6detail17trampoline_kernelINS0_14default_configENS1_27scan_by_key_config_selectorIsiEEZZNS1_16scan_by_key_implILNS1_25lookback_scan_determinismE0ELb1ES3_N6thrust23THRUST_200600_302600_NS6detail15normal_iteratorINS9_10device_ptrIsEEEESE_SE_iNS9_4plusIvEENS9_8equal_toIvEEiEE10hipError_tPvRmT2_T3_T4_T5_mT6_T7_P12ihipStream_tbENKUlT_T0_E_clISt17integral_constantIbLb1EESZ_EEDaSU_SV_EUlSU_E_NS1_11comp_targetILNS1_3genE10ELNS1_11target_archE1201ELNS1_3gpuE5ELNS1_3repE0EEENS1_30default_config_static_selectorELNS0_4arch9wavefront6targetE0EEEvT1_
    .private_segment_fixed_size: 0
    .sgpr_count:     0
    .sgpr_spill_count: 0
    .symbol:         _ZN7rocprim17ROCPRIM_400000_NS6detail17trampoline_kernelINS0_14default_configENS1_27scan_by_key_config_selectorIsiEEZZNS1_16scan_by_key_implILNS1_25lookback_scan_determinismE0ELb1ES3_N6thrust23THRUST_200600_302600_NS6detail15normal_iteratorINS9_10device_ptrIsEEEESE_SE_iNS9_4plusIvEENS9_8equal_toIvEEiEE10hipError_tPvRmT2_T3_T4_T5_mT6_T7_P12ihipStream_tbENKUlT_T0_E_clISt17integral_constantIbLb1EESZ_EEDaSU_SV_EUlSU_E_NS1_11comp_targetILNS1_3genE10ELNS1_11target_archE1201ELNS1_3gpuE5ELNS1_3repE0EEENS1_30default_config_static_selectorELNS0_4arch9wavefront6targetE0EEEvT1_.kd
    .uniform_work_group_size: 1
    .uses_dynamic_stack: false
    .vgpr_count:     0
    .vgpr_spill_count: 0
    .wavefront_size: 32
  - .args:
      - .offset:         0
        .size:           112
        .value_kind:     by_value
    .group_segment_fixed_size: 0
    .kernarg_segment_align: 8
    .kernarg_segment_size: 112
    .language:       OpenCL C
    .language_version:
      - 2
      - 0
    .max_flat_workgroup_size: 256
    .name:           _ZN7rocprim17ROCPRIM_400000_NS6detail17trampoline_kernelINS0_14default_configENS1_27scan_by_key_config_selectorIsiEEZZNS1_16scan_by_key_implILNS1_25lookback_scan_determinismE0ELb1ES3_N6thrust23THRUST_200600_302600_NS6detail15normal_iteratorINS9_10device_ptrIsEEEESE_SE_iNS9_4plusIvEENS9_8equal_toIvEEiEE10hipError_tPvRmT2_T3_T4_T5_mT6_T7_P12ihipStream_tbENKUlT_T0_E_clISt17integral_constantIbLb1EESZ_EEDaSU_SV_EUlSU_E_NS1_11comp_targetILNS1_3genE5ELNS1_11target_archE942ELNS1_3gpuE9ELNS1_3repE0EEENS1_30default_config_static_selectorELNS0_4arch9wavefront6targetE0EEEvT1_
    .private_segment_fixed_size: 0
    .sgpr_count:     0
    .sgpr_spill_count: 0
    .symbol:         _ZN7rocprim17ROCPRIM_400000_NS6detail17trampoline_kernelINS0_14default_configENS1_27scan_by_key_config_selectorIsiEEZZNS1_16scan_by_key_implILNS1_25lookback_scan_determinismE0ELb1ES3_N6thrust23THRUST_200600_302600_NS6detail15normal_iteratorINS9_10device_ptrIsEEEESE_SE_iNS9_4plusIvEENS9_8equal_toIvEEiEE10hipError_tPvRmT2_T3_T4_T5_mT6_T7_P12ihipStream_tbENKUlT_T0_E_clISt17integral_constantIbLb1EESZ_EEDaSU_SV_EUlSU_E_NS1_11comp_targetILNS1_3genE5ELNS1_11target_archE942ELNS1_3gpuE9ELNS1_3repE0EEENS1_30default_config_static_selectorELNS0_4arch9wavefront6targetE0EEEvT1_.kd
    .uniform_work_group_size: 1
    .uses_dynamic_stack: false
    .vgpr_count:     0
    .vgpr_spill_count: 0
    .wavefront_size: 32
  - .args:
      - .offset:         0
        .size:           112
        .value_kind:     by_value
    .group_segment_fixed_size: 0
    .kernarg_segment_align: 8
    .kernarg_segment_size: 112
    .language:       OpenCL C
    .language_version:
      - 2
      - 0
    .max_flat_workgroup_size: 256
    .name:           _ZN7rocprim17ROCPRIM_400000_NS6detail17trampoline_kernelINS0_14default_configENS1_27scan_by_key_config_selectorIsiEEZZNS1_16scan_by_key_implILNS1_25lookback_scan_determinismE0ELb1ES3_N6thrust23THRUST_200600_302600_NS6detail15normal_iteratorINS9_10device_ptrIsEEEESE_SE_iNS9_4plusIvEENS9_8equal_toIvEEiEE10hipError_tPvRmT2_T3_T4_T5_mT6_T7_P12ihipStream_tbENKUlT_T0_E_clISt17integral_constantIbLb1EESZ_EEDaSU_SV_EUlSU_E_NS1_11comp_targetILNS1_3genE4ELNS1_11target_archE910ELNS1_3gpuE8ELNS1_3repE0EEENS1_30default_config_static_selectorELNS0_4arch9wavefront6targetE0EEEvT1_
    .private_segment_fixed_size: 0
    .sgpr_count:     0
    .sgpr_spill_count: 0
    .symbol:         _ZN7rocprim17ROCPRIM_400000_NS6detail17trampoline_kernelINS0_14default_configENS1_27scan_by_key_config_selectorIsiEEZZNS1_16scan_by_key_implILNS1_25lookback_scan_determinismE0ELb1ES3_N6thrust23THRUST_200600_302600_NS6detail15normal_iteratorINS9_10device_ptrIsEEEESE_SE_iNS9_4plusIvEENS9_8equal_toIvEEiEE10hipError_tPvRmT2_T3_T4_T5_mT6_T7_P12ihipStream_tbENKUlT_T0_E_clISt17integral_constantIbLb1EESZ_EEDaSU_SV_EUlSU_E_NS1_11comp_targetILNS1_3genE4ELNS1_11target_archE910ELNS1_3gpuE8ELNS1_3repE0EEENS1_30default_config_static_selectorELNS0_4arch9wavefront6targetE0EEEvT1_.kd
    .uniform_work_group_size: 1
    .uses_dynamic_stack: false
    .vgpr_count:     0
    .vgpr_spill_count: 0
    .wavefront_size: 32
  - .args:
      - .offset:         0
        .size:           112
        .value_kind:     by_value
    .group_segment_fixed_size: 0
    .kernarg_segment_align: 8
    .kernarg_segment_size: 112
    .language:       OpenCL C
    .language_version:
      - 2
      - 0
    .max_flat_workgroup_size: 256
    .name:           _ZN7rocprim17ROCPRIM_400000_NS6detail17trampoline_kernelINS0_14default_configENS1_27scan_by_key_config_selectorIsiEEZZNS1_16scan_by_key_implILNS1_25lookback_scan_determinismE0ELb1ES3_N6thrust23THRUST_200600_302600_NS6detail15normal_iteratorINS9_10device_ptrIsEEEESE_SE_iNS9_4plusIvEENS9_8equal_toIvEEiEE10hipError_tPvRmT2_T3_T4_T5_mT6_T7_P12ihipStream_tbENKUlT_T0_E_clISt17integral_constantIbLb1EESZ_EEDaSU_SV_EUlSU_E_NS1_11comp_targetILNS1_3genE3ELNS1_11target_archE908ELNS1_3gpuE7ELNS1_3repE0EEENS1_30default_config_static_selectorELNS0_4arch9wavefront6targetE0EEEvT1_
    .private_segment_fixed_size: 0
    .sgpr_count:     0
    .sgpr_spill_count: 0
    .symbol:         _ZN7rocprim17ROCPRIM_400000_NS6detail17trampoline_kernelINS0_14default_configENS1_27scan_by_key_config_selectorIsiEEZZNS1_16scan_by_key_implILNS1_25lookback_scan_determinismE0ELb1ES3_N6thrust23THRUST_200600_302600_NS6detail15normal_iteratorINS9_10device_ptrIsEEEESE_SE_iNS9_4plusIvEENS9_8equal_toIvEEiEE10hipError_tPvRmT2_T3_T4_T5_mT6_T7_P12ihipStream_tbENKUlT_T0_E_clISt17integral_constantIbLb1EESZ_EEDaSU_SV_EUlSU_E_NS1_11comp_targetILNS1_3genE3ELNS1_11target_archE908ELNS1_3gpuE7ELNS1_3repE0EEENS1_30default_config_static_selectorELNS0_4arch9wavefront6targetE0EEEvT1_.kd
    .uniform_work_group_size: 1
    .uses_dynamic_stack: false
    .vgpr_count:     0
    .vgpr_spill_count: 0
    .wavefront_size: 32
  - .args:
      - .offset:         0
        .size:           112
        .value_kind:     by_value
    .group_segment_fixed_size: 0
    .kernarg_segment_align: 8
    .kernarg_segment_size: 112
    .language:       OpenCL C
    .language_version:
      - 2
      - 0
    .max_flat_workgroup_size: 256
    .name:           _ZN7rocprim17ROCPRIM_400000_NS6detail17trampoline_kernelINS0_14default_configENS1_27scan_by_key_config_selectorIsiEEZZNS1_16scan_by_key_implILNS1_25lookback_scan_determinismE0ELb1ES3_N6thrust23THRUST_200600_302600_NS6detail15normal_iteratorINS9_10device_ptrIsEEEESE_SE_iNS9_4plusIvEENS9_8equal_toIvEEiEE10hipError_tPvRmT2_T3_T4_T5_mT6_T7_P12ihipStream_tbENKUlT_T0_E_clISt17integral_constantIbLb1EESZ_EEDaSU_SV_EUlSU_E_NS1_11comp_targetILNS1_3genE2ELNS1_11target_archE906ELNS1_3gpuE6ELNS1_3repE0EEENS1_30default_config_static_selectorELNS0_4arch9wavefront6targetE0EEEvT1_
    .private_segment_fixed_size: 0
    .sgpr_count:     0
    .sgpr_spill_count: 0
    .symbol:         _ZN7rocprim17ROCPRIM_400000_NS6detail17trampoline_kernelINS0_14default_configENS1_27scan_by_key_config_selectorIsiEEZZNS1_16scan_by_key_implILNS1_25lookback_scan_determinismE0ELb1ES3_N6thrust23THRUST_200600_302600_NS6detail15normal_iteratorINS9_10device_ptrIsEEEESE_SE_iNS9_4plusIvEENS9_8equal_toIvEEiEE10hipError_tPvRmT2_T3_T4_T5_mT6_T7_P12ihipStream_tbENKUlT_T0_E_clISt17integral_constantIbLb1EESZ_EEDaSU_SV_EUlSU_E_NS1_11comp_targetILNS1_3genE2ELNS1_11target_archE906ELNS1_3gpuE6ELNS1_3repE0EEENS1_30default_config_static_selectorELNS0_4arch9wavefront6targetE0EEEvT1_.kd
    .uniform_work_group_size: 1
    .uses_dynamic_stack: false
    .vgpr_count:     0
    .vgpr_spill_count: 0
    .wavefront_size: 32
  - .args:
      - .offset:         0
        .size:           112
        .value_kind:     by_value
    .group_segment_fixed_size: 0
    .kernarg_segment_align: 8
    .kernarg_segment_size: 112
    .language:       OpenCL C
    .language_version:
      - 2
      - 0
    .max_flat_workgroup_size: 256
    .name:           _ZN7rocprim17ROCPRIM_400000_NS6detail17trampoline_kernelINS0_14default_configENS1_27scan_by_key_config_selectorIsiEEZZNS1_16scan_by_key_implILNS1_25lookback_scan_determinismE0ELb1ES3_N6thrust23THRUST_200600_302600_NS6detail15normal_iteratorINS9_10device_ptrIsEEEESE_SE_iNS9_4plusIvEENS9_8equal_toIvEEiEE10hipError_tPvRmT2_T3_T4_T5_mT6_T7_P12ihipStream_tbENKUlT_T0_E_clISt17integral_constantIbLb1EESZ_EEDaSU_SV_EUlSU_E_NS1_11comp_targetILNS1_3genE10ELNS1_11target_archE1200ELNS1_3gpuE4ELNS1_3repE0EEENS1_30default_config_static_selectorELNS0_4arch9wavefront6targetE0EEEvT1_
    .private_segment_fixed_size: 0
    .sgpr_count:     0
    .sgpr_spill_count: 0
    .symbol:         _ZN7rocprim17ROCPRIM_400000_NS6detail17trampoline_kernelINS0_14default_configENS1_27scan_by_key_config_selectorIsiEEZZNS1_16scan_by_key_implILNS1_25lookback_scan_determinismE0ELb1ES3_N6thrust23THRUST_200600_302600_NS6detail15normal_iteratorINS9_10device_ptrIsEEEESE_SE_iNS9_4plusIvEENS9_8equal_toIvEEiEE10hipError_tPvRmT2_T3_T4_T5_mT6_T7_P12ihipStream_tbENKUlT_T0_E_clISt17integral_constantIbLb1EESZ_EEDaSU_SV_EUlSU_E_NS1_11comp_targetILNS1_3genE10ELNS1_11target_archE1200ELNS1_3gpuE4ELNS1_3repE0EEENS1_30default_config_static_selectorELNS0_4arch9wavefront6targetE0EEEvT1_.kd
    .uniform_work_group_size: 1
    .uses_dynamic_stack: false
    .vgpr_count:     0
    .vgpr_spill_count: 0
    .wavefront_size: 32
  - .args:
      - .offset:         0
        .size:           112
        .value_kind:     by_value
    .group_segment_fixed_size: 0
    .kernarg_segment_align: 8
    .kernarg_segment_size: 112
    .language:       OpenCL C
    .language_version:
      - 2
      - 0
    .max_flat_workgroup_size: 256
    .name:           _ZN7rocprim17ROCPRIM_400000_NS6detail17trampoline_kernelINS0_14default_configENS1_27scan_by_key_config_selectorIsiEEZZNS1_16scan_by_key_implILNS1_25lookback_scan_determinismE0ELb1ES3_N6thrust23THRUST_200600_302600_NS6detail15normal_iteratorINS9_10device_ptrIsEEEESE_SE_iNS9_4plusIvEENS9_8equal_toIvEEiEE10hipError_tPvRmT2_T3_T4_T5_mT6_T7_P12ihipStream_tbENKUlT_T0_E_clISt17integral_constantIbLb1EESZ_EEDaSU_SV_EUlSU_E_NS1_11comp_targetILNS1_3genE9ELNS1_11target_archE1100ELNS1_3gpuE3ELNS1_3repE0EEENS1_30default_config_static_selectorELNS0_4arch9wavefront6targetE0EEEvT1_
    .private_segment_fixed_size: 0
    .sgpr_count:     0
    .sgpr_spill_count: 0
    .symbol:         _ZN7rocprim17ROCPRIM_400000_NS6detail17trampoline_kernelINS0_14default_configENS1_27scan_by_key_config_selectorIsiEEZZNS1_16scan_by_key_implILNS1_25lookback_scan_determinismE0ELb1ES3_N6thrust23THRUST_200600_302600_NS6detail15normal_iteratorINS9_10device_ptrIsEEEESE_SE_iNS9_4plusIvEENS9_8equal_toIvEEiEE10hipError_tPvRmT2_T3_T4_T5_mT6_T7_P12ihipStream_tbENKUlT_T0_E_clISt17integral_constantIbLb1EESZ_EEDaSU_SV_EUlSU_E_NS1_11comp_targetILNS1_3genE9ELNS1_11target_archE1100ELNS1_3gpuE3ELNS1_3repE0EEENS1_30default_config_static_selectorELNS0_4arch9wavefront6targetE0EEEvT1_.kd
    .uniform_work_group_size: 1
    .uses_dynamic_stack: false
    .vgpr_count:     0
    .vgpr_spill_count: 0
    .wavefront_size: 32
  - .args:
      - .offset:         0
        .size:           112
        .value_kind:     by_value
    .group_segment_fixed_size: 0
    .kernarg_segment_align: 8
    .kernarg_segment_size: 112
    .language:       OpenCL C
    .language_version:
      - 2
      - 0
    .max_flat_workgroup_size: 64
    .name:           _ZN7rocprim17ROCPRIM_400000_NS6detail17trampoline_kernelINS0_14default_configENS1_27scan_by_key_config_selectorIsiEEZZNS1_16scan_by_key_implILNS1_25lookback_scan_determinismE0ELb1ES3_N6thrust23THRUST_200600_302600_NS6detail15normal_iteratorINS9_10device_ptrIsEEEESE_SE_iNS9_4plusIvEENS9_8equal_toIvEEiEE10hipError_tPvRmT2_T3_T4_T5_mT6_T7_P12ihipStream_tbENKUlT_T0_E_clISt17integral_constantIbLb1EESZ_EEDaSU_SV_EUlSU_E_NS1_11comp_targetILNS1_3genE8ELNS1_11target_archE1030ELNS1_3gpuE2ELNS1_3repE0EEENS1_30default_config_static_selectorELNS0_4arch9wavefront6targetE0EEEvT1_
    .private_segment_fixed_size: 0
    .sgpr_count:     0
    .sgpr_spill_count: 0
    .symbol:         _ZN7rocprim17ROCPRIM_400000_NS6detail17trampoline_kernelINS0_14default_configENS1_27scan_by_key_config_selectorIsiEEZZNS1_16scan_by_key_implILNS1_25lookback_scan_determinismE0ELb1ES3_N6thrust23THRUST_200600_302600_NS6detail15normal_iteratorINS9_10device_ptrIsEEEESE_SE_iNS9_4plusIvEENS9_8equal_toIvEEiEE10hipError_tPvRmT2_T3_T4_T5_mT6_T7_P12ihipStream_tbENKUlT_T0_E_clISt17integral_constantIbLb1EESZ_EEDaSU_SV_EUlSU_E_NS1_11comp_targetILNS1_3genE8ELNS1_11target_archE1030ELNS1_3gpuE2ELNS1_3repE0EEENS1_30default_config_static_selectorELNS0_4arch9wavefront6targetE0EEEvT1_.kd
    .uniform_work_group_size: 1
    .uses_dynamic_stack: false
    .vgpr_count:     0
    .vgpr_spill_count: 0
    .wavefront_size: 32
  - .args:
      - .address_space:  global
        .offset:         0
        .size:           8
        .value_kind:     global_buffer
      - .offset:         8
        .size:           4
        .value_kind:     by_value
      - .offset:         12
        .size:           4
        .value_kind:     by_value
      - .address_space:  global
        .offset:         16
        .size:           8
        .value_kind:     global_buffer
      - .address_space:  global
        .offset:         24
        .size:           8
        .value_kind:     global_buffer
      - .actual_access:  write_only
        .address_space:  global
        .offset:         32
        .size:           8
        .value_kind:     global_buffer
      - .offset:         40
        .size:           8
        .value_kind:     by_value
      - .offset:         48
        .size:           4
        .value_kind:     by_value
      - .offset:         52
        .size:           1
        .value_kind:     by_value
      - .offset:         56
        .size:           4
        .value_kind:     hidden_block_count_x
      - .offset:         60
        .size:           4
        .value_kind:     hidden_block_count_y
      - .offset:         64
        .size:           4
        .value_kind:     hidden_block_count_z
      - .offset:         68
        .size:           2
        .value_kind:     hidden_group_size_x
      - .offset:         70
        .size:           2
        .value_kind:     hidden_group_size_y
      - .offset:         72
        .size:           2
        .value_kind:     hidden_group_size_z
      - .offset:         74
        .size:           2
        .value_kind:     hidden_remainder_x
      - .offset:         76
        .size:           2
        .value_kind:     hidden_remainder_y
      - .offset:         78
        .size:           2
        .value_kind:     hidden_remainder_z
      - .offset:         96
        .size:           8
        .value_kind:     hidden_global_offset_x
      - .offset:         104
        .size:           8
        .value_kind:     hidden_global_offset_y
      - .offset:         112
        .size:           8
        .value_kind:     hidden_global_offset_z
      - .offset:         120
        .size:           2
        .value_kind:     hidden_grid_dims
    .group_segment_fixed_size: 0
    .kernarg_segment_align: 8
    .kernarg_segment_size: 312
    .language:       OpenCL C
    .language_version:
      - 2
      - 0
    .max_flat_workgroup_size: 256
    .name:           _ZN7rocprim17ROCPRIM_400000_NS6detail30init_device_scan_by_key_kernelINS1_19lookback_scan_stateINS0_5tupleIJibEEELb1ELb1EEEN6thrust23THRUST_200600_302600_NS6detail15normal_iteratorINS8_10device_ptrIsEEEEjNS1_16block_id_wrapperIjLb0EEEEEvT_jjPNSG_10value_typeET0_PNSt15iterator_traitsISJ_E10value_typeEmT1_T2_
    .private_segment_fixed_size: 0
    .sgpr_count:     19
    .sgpr_spill_count: 0
    .symbol:         _ZN7rocprim17ROCPRIM_400000_NS6detail30init_device_scan_by_key_kernelINS1_19lookback_scan_stateINS0_5tupleIJibEEELb1ELb1EEEN6thrust23THRUST_200600_302600_NS6detail15normal_iteratorINS8_10device_ptrIsEEEEjNS1_16block_id_wrapperIjLb0EEEEEvT_jjPNSG_10value_typeET0_PNSt15iterator_traitsISJ_E10value_typeEmT1_T2_.kd
    .uniform_work_group_size: 1
    .uses_dynamic_stack: false
    .vgpr_count:     10
    .vgpr_spill_count: 0
    .wavefront_size: 32
  - .args:
      - .offset:         0
        .size:           112
        .value_kind:     by_value
    .group_segment_fixed_size: 0
    .kernarg_segment_align: 8
    .kernarg_segment_size: 112
    .language:       OpenCL C
    .language_version:
      - 2
      - 0
    .max_flat_workgroup_size: 256
    .name:           _ZN7rocprim17ROCPRIM_400000_NS6detail17trampoline_kernelINS0_14default_configENS1_27scan_by_key_config_selectorIsiEEZZNS1_16scan_by_key_implILNS1_25lookback_scan_determinismE0ELb1ES3_N6thrust23THRUST_200600_302600_NS6detail15normal_iteratorINS9_10device_ptrIsEEEESE_SE_iNS9_4plusIvEENS9_8equal_toIvEEiEE10hipError_tPvRmT2_T3_T4_T5_mT6_T7_P12ihipStream_tbENKUlT_T0_E_clISt17integral_constantIbLb1EESY_IbLb0EEEEDaSU_SV_EUlSU_E_NS1_11comp_targetILNS1_3genE0ELNS1_11target_archE4294967295ELNS1_3gpuE0ELNS1_3repE0EEENS1_30default_config_static_selectorELNS0_4arch9wavefront6targetE0EEEvT1_
    .private_segment_fixed_size: 0
    .sgpr_count:     0
    .sgpr_spill_count: 0
    .symbol:         _ZN7rocprim17ROCPRIM_400000_NS6detail17trampoline_kernelINS0_14default_configENS1_27scan_by_key_config_selectorIsiEEZZNS1_16scan_by_key_implILNS1_25lookback_scan_determinismE0ELb1ES3_N6thrust23THRUST_200600_302600_NS6detail15normal_iteratorINS9_10device_ptrIsEEEESE_SE_iNS9_4plusIvEENS9_8equal_toIvEEiEE10hipError_tPvRmT2_T3_T4_T5_mT6_T7_P12ihipStream_tbENKUlT_T0_E_clISt17integral_constantIbLb1EESY_IbLb0EEEEDaSU_SV_EUlSU_E_NS1_11comp_targetILNS1_3genE0ELNS1_11target_archE4294967295ELNS1_3gpuE0ELNS1_3repE0EEENS1_30default_config_static_selectorELNS0_4arch9wavefront6targetE0EEEvT1_.kd
    .uniform_work_group_size: 1
    .uses_dynamic_stack: false
    .vgpr_count:     0
    .vgpr_spill_count: 0
    .wavefront_size: 32
  - .args:
      - .offset:         0
        .size:           112
        .value_kind:     by_value
    .group_segment_fixed_size: 0
    .kernarg_segment_align: 8
    .kernarg_segment_size: 112
    .language:       OpenCL C
    .language_version:
      - 2
      - 0
    .max_flat_workgroup_size: 256
    .name:           _ZN7rocprim17ROCPRIM_400000_NS6detail17trampoline_kernelINS0_14default_configENS1_27scan_by_key_config_selectorIsiEEZZNS1_16scan_by_key_implILNS1_25lookback_scan_determinismE0ELb1ES3_N6thrust23THRUST_200600_302600_NS6detail15normal_iteratorINS9_10device_ptrIsEEEESE_SE_iNS9_4plusIvEENS9_8equal_toIvEEiEE10hipError_tPvRmT2_T3_T4_T5_mT6_T7_P12ihipStream_tbENKUlT_T0_E_clISt17integral_constantIbLb1EESY_IbLb0EEEEDaSU_SV_EUlSU_E_NS1_11comp_targetILNS1_3genE10ELNS1_11target_archE1201ELNS1_3gpuE5ELNS1_3repE0EEENS1_30default_config_static_selectorELNS0_4arch9wavefront6targetE0EEEvT1_
    .private_segment_fixed_size: 0
    .sgpr_count:     0
    .sgpr_spill_count: 0
    .symbol:         _ZN7rocprim17ROCPRIM_400000_NS6detail17trampoline_kernelINS0_14default_configENS1_27scan_by_key_config_selectorIsiEEZZNS1_16scan_by_key_implILNS1_25lookback_scan_determinismE0ELb1ES3_N6thrust23THRUST_200600_302600_NS6detail15normal_iteratorINS9_10device_ptrIsEEEESE_SE_iNS9_4plusIvEENS9_8equal_toIvEEiEE10hipError_tPvRmT2_T3_T4_T5_mT6_T7_P12ihipStream_tbENKUlT_T0_E_clISt17integral_constantIbLb1EESY_IbLb0EEEEDaSU_SV_EUlSU_E_NS1_11comp_targetILNS1_3genE10ELNS1_11target_archE1201ELNS1_3gpuE5ELNS1_3repE0EEENS1_30default_config_static_selectorELNS0_4arch9wavefront6targetE0EEEvT1_.kd
    .uniform_work_group_size: 1
    .uses_dynamic_stack: false
    .vgpr_count:     0
    .vgpr_spill_count: 0
    .wavefront_size: 32
  - .args:
      - .offset:         0
        .size:           112
        .value_kind:     by_value
    .group_segment_fixed_size: 0
    .kernarg_segment_align: 8
    .kernarg_segment_size: 112
    .language:       OpenCL C
    .language_version:
      - 2
      - 0
    .max_flat_workgroup_size: 256
    .name:           _ZN7rocprim17ROCPRIM_400000_NS6detail17trampoline_kernelINS0_14default_configENS1_27scan_by_key_config_selectorIsiEEZZNS1_16scan_by_key_implILNS1_25lookback_scan_determinismE0ELb1ES3_N6thrust23THRUST_200600_302600_NS6detail15normal_iteratorINS9_10device_ptrIsEEEESE_SE_iNS9_4plusIvEENS9_8equal_toIvEEiEE10hipError_tPvRmT2_T3_T4_T5_mT6_T7_P12ihipStream_tbENKUlT_T0_E_clISt17integral_constantIbLb1EESY_IbLb0EEEEDaSU_SV_EUlSU_E_NS1_11comp_targetILNS1_3genE5ELNS1_11target_archE942ELNS1_3gpuE9ELNS1_3repE0EEENS1_30default_config_static_selectorELNS0_4arch9wavefront6targetE0EEEvT1_
    .private_segment_fixed_size: 0
    .sgpr_count:     0
    .sgpr_spill_count: 0
    .symbol:         _ZN7rocprim17ROCPRIM_400000_NS6detail17trampoline_kernelINS0_14default_configENS1_27scan_by_key_config_selectorIsiEEZZNS1_16scan_by_key_implILNS1_25lookback_scan_determinismE0ELb1ES3_N6thrust23THRUST_200600_302600_NS6detail15normal_iteratorINS9_10device_ptrIsEEEESE_SE_iNS9_4plusIvEENS9_8equal_toIvEEiEE10hipError_tPvRmT2_T3_T4_T5_mT6_T7_P12ihipStream_tbENKUlT_T0_E_clISt17integral_constantIbLb1EESY_IbLb0EEEEDaSU_SV_EUlSU_E_NS1_11comp_targetILNS1_3genE5ELNS1_11target_archE942ELNS1_3gpuE9ELNS1_3repE0EEENS1_30default_config_static_selectorELNS0_4arch9wavefront6targetE0EEEvT1_.kd
    .uniform_work_group_size: 1
    .uses_dynamic_stack: false
    .vgpr_count:     0
    .vgpr_spill_count: 0
    .wavefront_size: 32
  - .args:
      - .offset:         0
        .size:           112
        .value_kind:     by_value
    .group_segment_fixed_size: 0
    .kernarg_segment_align: 8
    .kernarg_segment_size: 112
    .language:       OpenCL C
    .language_version:
      - 2
      - 0
    .max_flat_workgroup_size: 256
    .name:           _ZN7rocprim17ROCPRIM_400000_NS6detail17trampoline_kernelINS0_14default_configENS1_27scan_by_key_config_selectorIsiEEZZNS1_16scan_by_key_implILNS1_25lookback_scan_determinismE0ELb1ES3_N6thrust23THRUST_200600_302600_NS6detail15normal_iteratorINS9_10device_ptrIsEEEESE_SE_iNS9_4plusIvEENS9_8equal_toIvEEiEE10hipError_tPvRmT2_T3_T4_T5_mT6_T7_P12ihipStream_tbENKUlT_T0_E_clISt17integral_constantIbLb1EESY_IbLb0EEEEDaSU_SV_EUlSU_E_NS1_11comp_targetILNS1_3genE4ELNS1_11target_archE910ELNS1_3gpuE8ELNS1_3repE0EEENS1_30default_config_static_selectorELNS0_4arch9wavefront6targetE0EEEvT1_
    .private_segment_fixed_size: 0
    .sgpr_count:     0
    .sgpr_spill_count: 0
    .symbol:         _ZN7rocprim17ROCPRIM_400000_NS6detail17trampoline_kernelINS0_14default_configENS1_27scan_by_key_config_selectorIsiEEZZNS1_16scan_by_key_implILNS1_25lookback_scan_determinismE0ELb1ES3_N6thrust23THRUST_200600_302600_NS6detail15normal_iteratorINS9_10device_ptrIsEEEESE_SE_iNS9_4plusIvEENS9_8equal_toIvEEiEE10hipError_tPvRmT2_T3_T4_T5_mT6_T7_P12ihipStream_tbENKUlT_T0_E_clISt17integral_constantIbLb1EESY_IbLb0EEEEDaSU_SV_EUlSU_E_NS1_11comp_targetILNS1_3genE4ELNS1_11target_archE910ELNS1_3gpuE8ELNS1_3repE0EEENS1_30default_config_static_selectorELNS0_4arch9wavefront6targetE0EEEvT1_.kd
    .uniform_work_group_size: 1
    .uses_dynamic_stack: false
    .vgpr_count:     0
    .vgpr_spill_count: 0
    .wavefront_size: 32
  - .args:
      - .offset:         0
        .size:           112
        .value_kind:     by_value
    .group_segment_fixed_size: 0
    .kernarg_segment_align: 8
    .kernarg_segment_size: 112
    .language:       OpenCL C
    .language_version:
      - 2
      - 0
    .max_flat_workgroup_size: 256
    .name:           _ZN7rocprim17ROCPRIM_400000_NS6detail17trampoline_kernelINS0_14default_configENS1_27scan_by_key_config_selectorIsiEEZZNS1_16scan_by_key_implILNS1_25lookback_scan_determinismE0ELb1ES3_N6thrust23THRUST_200600_302600_NS6detail15normal_iteratorINS9_10device_ptrIsEEEESE_SE_iNS9_4plusIvEENS9_8equal_toIvEEiEE10hipError_tPvRmT2_T3_T4_T5_mT6_T7_P12ihipStream_tbENKUlT_T0_E_clISt17integral_constantIbLb1EESY_IbLb0EEEEDaSU_SV_EUlSU_E_NS1_11comp_targetILNS1_3genE3ELNS1_11target_archE908ELNS1_3gpuE7ELNS1_3repE0EEENS1_30default_config_static_selectorELNS0_4arch9wavefront6targetE0EEEvT1_
    .private_segment_fixed_size: 0
    .sgpr_count:     0
    .sgpr_spill_count: 0
    .symbol:         _ZN7rocprim17ROCPRIM_400000_NS6detail17trampoline_kernelINS0_14default_configENS1_27scan_by_key_config_selectorIsiEEZZNS1_16scan_by_key_implILNS1_25lookback_scan_determinismE0ELb1ES3_N6thrust23THRUST_200600_302600_NS6detail15normal_iteratorINS9_10device_ptrIsEEEESE_SE_iNS9_4plusIvEENS9_8equal_toIvEEiEE10hipError_tPvRmT2_T3_T4_T5_mT6_T7_P12ihipStream_tbENKUlT_T0_E_clISt17integral_constantIbLb1EESY_IbLb0EEEEDaSU_SV_EUlSU_E_NS1_11comp_targetILNS1_3genE3ELNS1_11target_archE908ELNS1_3gpuE7ELNS1_3repE0EEENS1_30default_config_static_selectorELNS0_4arch9wavefront6targetE0EEEvT1_.kd
    .uniform_work_group_size: 1
    .uses_dynamic_stack: false
    .vgpr_count:     0
    .vgpr_spill_count: 0
    .wavefront_size: 32
  - .args:
      - .offset:         0
        .size:           112
        .value_kind:     by_value
    .group_segment_fixed_size: 0
    .kernarg_segment_align: 8
    .kernarg_segment_size: 112
    .language:       OpenCL C
    .language_version:
      - 2
      - 0
    .max_flat_workgroup_size: 256
    .name:           _ZN7rocprim17ROCPRIM_400000_NS6detail17trampoline_kernelINS0_14default_configENS1_27scan_by_key_config_selectorIsiEEZZNS1_16scan_by_key_implILNS1_25lookback_scan_determinismE0ELb1ES3_N6thrust23THRUST_200600_302600_NS6detail15normal_iteratorINS9_10device_ptrIsEEEESE_SE_iNS9_4plusIvEENS9_8equal_toIvEEiEE10hipError_tPvRmT2_T3_T4_T5_mT6_T7_P12ihipStream_tbENKUlT_T0_E_clISt17integral_constantIbLb1EESY_IbLb0EEEEDaSU_SV_EUlSU_E_NS1_11comp_targetILNS1_3genE2ELNS1_11target_archE906ELNS1_3gpuE6ELNS1_3repE0EEENS1_30default_config_static_selectorELNS0_4arch9wavefront6targetE0EEEvT1_
    .private_segment_fixed_size: 0
    .sgpr_count:     0
    .sgpr_spill_count: 0
    .symbol:         _ZN7rocprim17ROCPRIM_400000_NS6detail17trampoline_kernelINS0_14default_configENS1_27scan_by_key_config_selectorIsiEEZZNS1_16scan_by_key_implILNS1_25lookback_scan_determinismE0ELb1ES3_N6thrust23THRUST_200600_302600_NS6detail15normal_iteratorINS9_10device_ptrIsEEEESE_SE_iNS9_4plusIvEENS9_8equal_toIvEEiEE10hipError_tPvRmT2_T3_T4_T5_mT6_T7_P12ihipStream_tbENKUlT_T0_E_clISt17integral_constantIbLb1EESY_IbLb0EEEEDaSU_SV_EUlSU_E_NS1_11comp_targetILNS1_3genE2ELNS1_11target_archE906ELNS1_3gpuE6ELNS1_3repE0EEENS1_30default_config_static_selectorELNS0_4arch9wavefront6targetE0EEEvT1_.kd
    .uniform_work_group_size: 1
    .uses_dynamic_stack: false
    .vgpr_count:     0
    .vgpr_spill_count: 0
    .wavefront_size: 32
  - .args:
      - .offset:         0
        .size:           112
        .value_kind:     by_value
    .group_segment_fixed_size: 0
    .kernarg_segment_align: 8
    .kernarg_segment_size: 112
    .language:       OpenCL C
    .language_version:
      - 2
      - 0
    .max_flat_workgroup_size: 256
    .name:           _ZN7rocprim17ROCPRIM_400000_NS6detail17trampoline_kernelINS0_14default_configENS1_27scan_by_key_config_selectorIsiEEZZNS1_16scan_by_key_implILNS1_25lookback_scan_determinismE0ELb1ES3_N6thrust23THRUST_200600_302600_NS6detail15normal_iteratorINS9_10device_ptrIsEEEESE_SE_iNS9_4plusIvEENS9_8equal_toIvEEiEE10hipError_tPvRmT2_T3_T4_T5_mT6_T7_P12ihipStream_tbENKUlT_T0_E_clISt17integral_constantIbLb1EESY_IbLb0EEEEDaSU_SV_EUlSU_E_NS1_11comp_targetILNS1_3genE10ELNS1_11target_archE1200ELNS1_3gpuE4ELNS1_3repE0EEENS1_30default_config_static_selectorELNS0_4arch9wavefront6targetE0EEEvT1_
    .private_segment_fixed_size: 0
    .sgpr_count:     0
    .sgpr_spill_count: 0
    .symbol:         _ZN7rocprim17ROCPRIM_400000_NS6detail17trampoline_kernelINS0_14default_configENS1_27scan_by_key_config_selectorIsiEEZZNS1_16scan_by_key_implILNS1_25lookback_scan_determinismE0ELb1ES3_N6thrust23THRUST_200600_302600_NS6detail15normal_iteratorINS9_10device_ptrIsEEEESE_SE_iNS9_4plusIvEENS9_8equal_toIvEEiEE10hipError_tPvRmT2_T3_T4_T5_mT6_T7_P12ihipStream_tbENKUlT_T0_E_clISt17integral_constantIbLb1EESY_IbLb0EEEEDaSU_SV_EUlSU_E_NS1_11comp_targetILNS1_3genE10ELNS1_11target_archE1200ELNS1_3gpuE4ELNS1_3repE0EEENS1_30default_config_static_selectorELNS0_4arch9wavefront6targetE0EEEvT1_.kd
    .uniform_work_group_size: 1
    .uses_dynamic_stack: false
    .vgpr_count:     0
    .vgpr_spill_count: 0
    .wavefront_size: 32
  - .args:
      - .offset:         0
        .size:           112
        .value_kind:     by_value
    .group_segment_fixed_size: 0
    .kernarg_segment_align: 8
    .kernarg_segment_size: 112
    .language:       OpenCL C
    .language_version:
      - 2
      - 0
    .max_flat_workgroup_size: 256
    .name:           _ZN7rocprim17ROCPRIM_400000_NS6detail17trampoline_kernelINS0_14default_configENS1_27scan_by_key_config_selectorIsiEEZZNS1_16scan_by_key_implILNS1_25lookback_scan_determinismE0ELb1ES3_N6thrust23THRUST_200600_302600_NS6detail15normal_iteratorINS9_10device_ptrIsEEEESE_SE_iNS9_4plusIvEENS9_8equal_toIvEEiEE10hipError_tPvRmT2_T3_T4_T5_mT6_T7_P12ihipStream_tbENKUlT_T0_E_clISt17integral_constantIbLb1EESY_IbLb0EEEEDaSU_SV_EUlSU_E_NS1_11comp_targetILNS1_3genE9ELNS1_11target_archE1100ELNS1_3gpuE3ELNS1_3repE0EEENS1_30default_config_static_selectorELNS0_4arch9wavefront6targetE0EEEvT1_
    .private_segment_fixed_size: 0
    .sgpr_count:     0
    .sgpr_spill_count: 0
    .symbol:         _ZN7rocprim17ROCPRIM_400000_NS6detail17trampoline_kernelINS0_14default_configENS1_27scan_by_key_config_selectorIsiEEZZNS1_16scan_by_key_implILNS1_25lookback_scan_determinismE0ELb1ES3_N6thrust23THRUST_200600_302600_NS6detail15normal_iteratorINS9_10device_ptrIsEEEESE_SE_iNS9_4plusIvEENS9_8equal_toIvEEiEE10hipError_tPvRmT2_T3_T4_T5_mT6_T7_P12ihipStream_tbENKUlT_T0_E_clISt17integral_constantIbLb1EESY_IbLb0EEEEDaSU_SV_EUlSU_E_NS1_11comp_targetILNS1_3genE9ELNS1_11target_archE1100ELNS1_3gpuE3ELNS1_3repE0EEENS1_30default_config_static_selectorELNS0_4arch9wavefront6targetE0EEEvT1_.kd
    .uniform_work_group_size: 1
    .uses_dynamic_stack: false
    .vgpr_count:     0
    .vgpr_spill_count: 0
    .wavefront_size: 32
  - .args:
      - .offset:         0
        .size:           112
        .value_kind:     by_value
    .group_segment_fixed_size: 0
    .kernarg_segment_align: 8
    .kernarg_segment_size: 112
    .language:       OpenCL C
    .language_version:
      - 2
      - 0
    .max_flat_workgroup_size: 64
    .name:           _ZN7rocprim17ROCPRIM_400000_NS6detail17trampoline_kernelINS0_14default_configENS1_27scan_by_key_config_selectorIsiEEZZNS1_16scan_by_key_implILNS1_25lookback_scan_determinismE0ELb1ES3_N6thrust23THRUST_200600_302600_NS6detail15normal_iteratorINS9_10device_ptrIsEEEESE_SE_iNS9_4plusIvEENS9_8equal_toIvEEiEE10hipError_tPvRmT2_T3_T4_T5_mT6_T7_P12ihipStream_tbENKUlT_T0_E_clISt17integral_constantIbLb1EESY_IbLb0EEEEDaSU_SV_EUlSU_E_NS1_11comp_targetILNS1_3genE8ELNS1_11target_archE1030ELNS1_3gpuE2ELNS1_3repE0EEENS1_30default_config_static_selectorELNS0_4arch9wavefront6targetE0EEEvT1_
    .private_segment_fixed_size: 0
    .sgpr_count:     0
    .sgpr_spill_count: 0
    .symbol:         _ZN7rocprim17ROCPRIM_400000_NS6detail17trampoline_kernelINS0_14default_configENS1_27scan_by_key_config_selectorIsiEEZZNS1_16scan_by_key_implILNS1_25lookback_scan_determinismE0ELb1ES3_N6thrust23THRUST_200600_302600_NS6detail15normal_iteratorINS9_10device_ptrIsEEEESE_SE_iNS9_4plusIvEENS9_8equal_toIvEEiEE10hipError_tPvRmT2_T3_T4_T5_mT6_T7_P12ihipStream_tbENKUlT_T0_E_clISt17integral_constantIbLb1EESY_IbLb0EEEEDaSU_SV_EUlSU_E_NS1_11comp_targetILNS1_3genE8ELNS1_11target_archE1030ELNS1_3gpuE2ELNS1_3repE0EEENS1_30default_config_static_selectorELNS0_4arch9wavefront6targetE0EEEvT1_.kd
    .uniform_work_group_size: 1
    .uses_dynamic_stack: false
    .vgpr_count:     0
    .vgpr_spill_count: 0
    .wavefront_size: 32
  - .args:
      - .address_space:  global
        .offset:         0
        .size:           8
        .value_kind:     global_buffer
      - .offset:         8
        .size:           4
        .value_kind:     by_value
      - .offset:         12
        .size:           4
        .value_kind:     by_value
      - .address_space:  global
        .offset:         16
        .size:           8
        .value_kind:     global_buffer
      - .address_space:  global
        .offset:         24
        .size:           8
        .value_kind:     global_buffer
      - .actual_access:  write_only
        .address_space:  global
        .offset:         32
        .size:           8
        .value_kind:     global_buffer
      - .offset:         40
        .size:           8
        .value_kind:     by_value
      - .offset:         48
        .size:           4
        .value_kind:     by_value
      - .address_space:  global
        .offset:         56
        .size:           8
        .value_kind:     global_buffer
      - .offset:         64
        .size:           4
        .value_kind:     hidden_block_count_x
      - .offset:         68
        .size:           4
        .value_kind:     hidden_block_count_y
      - .offset:         72
        .size:           4
        .value_kind:     hidden_block_count_z
      - .offset:         76
        .size:           2
        .value_kind:     hidden_group_size_x
      - .offset:         78
        .size:           2
        .value_kind:     hidden_group_size_y
      - .offset:         80
        .size:           2
        .value_kind:     hidden_group_size_z
      - .offset:         82
        .size:           2
        .value_kind:     hidden_remainder_x
      - .offset:         84
        .size:           2
        .value_kind:     hidden_remainder_y
      - .offset:         86
        .size:           2
        .value_kind:     hidden_remainder_z
      - .offset:         104
        .size:           8
        .value_kind:     hidden_global_offset_x
      - .offset:         112
        .size:           8
        .value_kind:     hidden_global_offset_y
      - .offset:         120
        .size:           8
        .value_kind:     hidden_global_offset_z
      - .offset:         128
        .size:           2
        .value_kind:     hidden_grid_dims
    .group_segment_fixed_size: 0
    .kernarg_segment_align: 8
    .kernarg_segment_size: 320
    .language:       OpenCL C
    .language_version:
      - 2
      - 0
    .max_flat_workgroup_size: 256
    .name:           _ZN7rocprim17ROCPRIM_400000_NS6detail30init_device_scan_by_key_kernelINS1_19lookback_scan_stateINS0_5tupleIJibEEELb0ELb1EEEN6thrust23THRUST_200600_302600_NS6detail15normal_iteratorINS8_10device_ptrIsEEEEjNS1_16block_id_wrapperIjLb1EEEEEvT_jjPNSG_10value_typeET0_PNSt15iterator_traitsISJ_E10value_typeEmT1_T2_
    .private_segment_fixed_size: 0
    .sgpr_count:     19
    .sgpr_spill_count: 0
    .symbol:         _ZN7rocprim17ROCPRIM_400000_NS6detail30init_device_scan_by_key_kernelINS1_19lookback_scan_stateINS0_5tupleIJibEEELb0ELb1EEEN6thrust23THRUST_200600_302600_NS6detail15normal_iteratorINS8_10device_ptrIsEEEEjNS1_16block_id_wrapperIjLb1EEEEEvT_jjPNSG_10value_typeET0_PNSt15iterator_traitsISJ_E10value_typeEmT1_T2_.kd
    .uniform_work_group_size: 1
    .uses_dynamic_stack: false
    .vgpr_count:     10
    .vgpr_spill_count: 0
    .wavefront_size: 32
  - .args:
      - .offset:         0
        .size:           112
        .value_kind:     by_value
    .group_segment_fixed_size: 18432
    .kernarg_segment_align: 8
    .kernarg_segment_size: 112
    .language:       OpenCL C
    .language_version:
      - 2
      - 0
    .max_flat_workgroup_size: 256
    .name:           _ZN7rocprim17ROCPRIM_400000_NS6detail17trampoline_kernelINS0_14default_configENS1_27scan_by_key_config_selectorIsiEEZZNS1_16scan_by_key_implILNS1_25lookback_scan_determinismE0ELb1ES3_N6thrust23THRUST_200600_302600_NS6detail15normal_iteratorINS9_10device_ptrIsEEEESE_SE_iNS9_4plusIvEENS9_8equal_toIvEEiEE10hipError_tPvRmT2_T3_T4_T5_mT6_T7_P12ihipStream_tbENKUlT_T0_E_clISt17integral_constantIbLb0EESY_IbLb1EEEEDaSU_SV_EUlSU_E_NS1_11comp_targetILNS1_3genE0ELNS1_11target_archE4294967295ELNS1_3gpuE0ELNS1_3repE0EEENS1_30default_config_static_selectorELNS0_4arch9wavefront6targetE0EEEvT1_
    .private_segment_fixed_size: 0
    .sgpr_count:     46
    .sgpr_spill_count: 0
    .symbol:         _ZN7rocprim17ROCPRIM_400000_NS6detail17trampoline_kernelINS0_14default_configENS1_27scan_by_key_config_selectorIsiEEZZNS1_16scan_by_key_implILNS1_25lookback_scan_determinismE0ELb1ES3_N6thrust23THRUST_200600_302600_NS6detail15normal_iteratorINS9_10device_ptrIsEEEESE_SE_iNS9_4plusIvEENS9_8equal_toIvEEiEE10hipError_tPvRmT2_T3_T4_T5_mT6_T7_P12ihipStream_tbENKUlT_T0_E_clISt17integral_constantIbLb0EESY_IbLb1EEEEDaSU_SV_EUlSU_E_NS1_11comp_targetILNS1_3genE0ELNS1_11target_archE4294967295ELNS1_3gpuE0ELNS1_3repE0EEENS1_30default_config_static_selectorELNS0_4arch9wavefront6targetE0EEEvT1_.kd
    .uniform_work_group_size: 1
    .uses_dynamic_stack: false
    .vgpr_count:     80
    .vgpr_spill_count: 0
    .wavefront_size: 32
  - .args:
      - .offset:         0
        .size:           112
        .value_kind:     by_value
    .group_segment_fixed_size: 0
    .kernarg_segment_align: 8
    .kernarg_segment_size: 112
    .language:       OpenCL C
    .language_version:
      - 2
      - 0
    .max_flat_workgroup_size: 256
    .name:           _ZN7rocprim17ROCPRIM_400000_NS6detail17trampoline_kernelINS0_14default_configENS1_27scan_by_key_config_selectorIsiEEZZNS1_16scan_by_key_implILNS1_25lookback_scan_determinismE0ELb1ES3_N6thrust23THRUST_200600_302600_NS6detail15normal_iteratorINS9_10device_ptrIsEEEESE_SE_iNS9_4plusIvEENS9_8equal_toIvEEiEE10hipError_tPvRmT2_T3_T4_T5_mT6_T7_P12ihipStream_tbENKUlT_T0_E_clISt17integral_constantIbLb0EESY_IbLb1EEEEDaSU_SV_EUlSU_E_NS1_11comp_targetILNS1_3genE10ELNS1_11target_archE1201ELNS1_3gpuE5ELNS1_3repE0EEENS1_30default_config_static_selectorELNS0_4arch9wavefront6targetE0EEEvT1_
    .private_segment_fixed_size: 0
    .sgpr_count:     0
    .sgpr_spill_count: 0
    .symbol:         _ZN7rocprim17ROCPRIM_400000_NS6detail17trampoline_kernelINS0_14default_configENS1_27scan_by_key_config_selectorIsiEEZZNS1_16scan_by_key_implILNS1_25lookback_scan_determinismE0ELb1ES3_N6thrust23THRUST_200600_302600_NS6detail15normal_iteratorINS9_10device_ptrIsEEEESE_SE_iNS9_4plusIvEENS9_8equal_toIvEEiEE10hipError_tPvRmT2_T3_T4_T5_mT6_T7_P12ihipStream_tbENKUlT_T0_E_clISt17integral_constantIbLb0EESY_IbLb1EEEEDaSU_SV_EUlSU_E_NS1_11comp_targetILNS1_3genE10ELNS1_11target_archE1201ELNS1_3gpuE5ELNS1_3repE0EEENS1_30default_config_static_selectorELNS0_4arch9wavefront6targetE0EEEvT1_.kd
    .uniform_work_group_size: 1
    .uses_dynamic_stack: false
    .vgpr_count:     0
    .vgpr_spill_count: 0
    .wavefront_size: 32
  - .args:
      - .offset:         0
        .size:           112
        .value_kind:     by_value
    .group_segment_fixed_size: 0
    .kernarg_segment_align: 8
    .kernarg_segment_size: 112
    .language:       OpenCL C
    .language_version:
      - 2
      - 0
    .max_flat_workgroup_size: 256
    .name:           _ZN7rocprim17ROCPRIM_400000_NS6detail17trampoline_kernelINS0_14default_configENS1_27scan_by_key_config_selectorIsiEEZZNS1_16scan_by_key_implILNS1_25lookback_scan_determinismE0ELb1ES3_N6thrust23THRUST_200600_302600_NS6detail15normal_iteratorINS9_10device_ptrIsEEEESE_SE_iNS9_4plusIvEENS9_8equal_toIvEEiEE10hipError_tPvRmT2_T3_T4_T5_mT6_T7_P12ihipStream_tbENKUlT_T0_E_clISt17integral_constantIbLb0EESY_IbLb1EEEEDaSU_SV_EUlSU_E_NS1_11comp_targetILNS1_3genE5ELNS1_11target_archE942ELNS1_3gpuE9ELNS1_3repE0EEENS1_30default_config_static_selectorELNS0_4arch9wavefront6targetE0EEEvT1_
    .private_segment_fixed_size: 0
    .sgpr_count:     0
    .sgpr_spill_count: 0
    .symbol:         _ZN7rocprim17ROCPRIM_400000_NS6detail17trampoline_kernelINS0_14default_configENS1_27scan_by_key_config_selectorIsiEEZZNS1_16scan_by_key_implILNS1_25lookback_scan_determinismE0ELb1ES3_N6thrust23THRUST_200600_302600_NS6detail15normal_iteratorINS9_10device_ptrIsEEEESE_SE_iNS9_4plusIvEENS9_8equal_toIvEEiEE10hipError_tPvRmT2_T3_T4_T5_mT6_T7_P12ihipStream_tbENKUlT_T0_E_clISt17integral_constantIbLb0EESY_IbLb1EEEEDaSU_SV_EUlSU_E_NS1_11comp_targetILNS1_3genE5ELNS1_11target_archE942ELNS1_3gpuE9ELNS1_3repE0EEENS1_30default_config_static_selectorELNS0_4arch9wavefront6targetE0EEEvT1_.kd
    .uniform_work_group_size: 1
    .uses_dynamic_stack: false
    .vgpr_count:     0
    .vgpr_spill_count: 0
    .wavefront_size: 32
  - .args:
      - .offset:         0
        .size:           112
        .value_kind:     by_value
    .group_segment_fixed_size: 0
    .kernarg_segment_align: 8
    .kernarg_segment_size: 112
    .language:       OpenCL C
    .language_version:
      - 2
      - 0
    .max_flat_workgroup_size: 256
    .name:           _ZN7rocprim17ROCPRIM_400000_NS6detail17trampoline_kernelINS0_14default_configENS1_27scan_by_key_config_selectorIsiEEZZNS1_16scan_by_key_implILNS1_25lookback_scan_determinismE0ELb1ES3_N6thrust23THRUST_200600_302600_NS6detail15normal_iteratorINS9_10device_ptrIsEEEESE_SE_iNS9_4plusIvEENS9_8equal_toIvEEiEE10hipError_tPvRmT2_T3_T4_T5_mT6_T7_P12ihipStream_tbENKUlT_T0_E_clISt17integral_constantIbLb0EESY_IbLb1EEEEDaSU_SV_EUlSU_E_NS1_11comp_targetILNS1_3genE4ELNS1_11target_archE910ELNS1_3gpuE8ELNS1_3repE0EEENS1_30default_config_static_selectorELNS0_4arch9wavefront6targetE0EEEvT1_
    .private_segment_fixed_size: 0
    .sgpr_count:     0
    .sgpr_spill_count: 0
    .symbol:         _ZN7rocprim17ROCPRIM_400000_NS6detail17trampoline_kernelINS0_14default_configENS1_27scan_by_key_config_selectorIsiEEZZNS1_16scan_by_key_implILNS1_25lookback_scan_determinismE0ELb1ES3_N6thrust23THRUST_200600_302600_NS6detail15normal_iteratorINS9_10device_ptrIsEEEESE_SE_iNS9_4plusIvEENS9_8equal_toIvEEiEE10hipError_tPvRmT2_T3_T4_T5_mT6_T7_P12ihipStream_tbENKUlT_T0_E_clISt17integral_constantIbLb0EESY_IbLb1EEEEDaSU_SV_EUlSU_E_NS1_11comp_targetILNS1_3genE4ELNS1_11target_archE910ELNS1_3gpuE8ELNS1_3repE0EEENS1_30default_config_static_selectorELNS0_4arch9wavefront6targetE0EEEvT1_.kd
    .uniform_work_group_size: 1
    .uses_dynamic_stack: false
    .vgpr_count:     0
    .vgpr_spill_count: 0
    .wavefront_size: 32
  - .args:
      - .offset:         0
        .size:           112
        .value_kind:     by_value
    .group_segment_fixed_size: 0
    .kernarg_segment_align: 8
    .kernarg_segment_size: 112
    .language:       OpenCL C
    .language_version:
      - 2
      - 0
    .max_flat_workgroup_size: 256
    .name:           _ZN7rocprim17ROCPRIM_400000_NS6detail17trampoline_kernelINS0_14default_configENS1_27scan_by_key_config_selectorIsiEEZZNS1_16scan_by_key_implILNS1_25lookback_scan_determinismE0ELb1ES3_N6thrust23THRUST_200600_302600_NS6detail15normal_iteratorINS9_10device_ptrIsEEEESE_SE_iNS9_4plusIvEENS9_8equal_toIvEEiEE10hipError_tPvRmT2_T3_T4_T5_mT6_T7_P12ihipStream_tbENKUlT_T0_E_clISt17integral_constantIbLb0EESY_IbLb1EEEEDaSU_SV_EUlSU_E_NS1_11comp_targetILNS1_3genE3ELNS1_11target_archE908ELNS1_3gpuE7ELNS1_3repE0EEENS1_30default_config_static_selectorELNS0_4arch9wavefront6targetE0EEEvT1_
    .private_segment_fixed_size: 0
    .sgpr_count:     0
    .sgpr_spill_count: 0
    .symbol:         _ZN7rocprim17ROCPRIM_400000_NS6detail17trampoline_kernelINS0_14default_configENS1_27scan_by_key_config_selectorIsiEEZZNS1_16scan_by_key_implILNS1_25lookback_scan_determinismE0ELb1ES3_N6thrust23THRUST_200600_302600_NS6detail15normal_iteratorINS9_10device_ptrIsEEEESE_SE_iNS9_4plusIvEENS9_8equal_toIvEEiEE10hipError_tPvRmT2_T3_T4_T5_mT6_T7_P12ihipStream_tbENKUlT_T0_E_clISt17integral_constantIbLb0EESY_IbLb1EEEEDaSU_SV_EUlSU_E_NS1_11comp_targetILNS1_3genE3ELNS1_11target_archE908ELNS1_3gpuE7ELNS1_3repE0EEENS1_30default_config_static_selectorELNS0_4arch9wavefront6targetE0EEEvT1_.kd
    .uniform_work_group_size: 1
    .uses_dynamic_stack: false
    .vgpr_count:     0
    .vgpr_spill_count: 0
    .wavefront_size: 32
  - .args:
      - .offset:         0
        .size:           112
        .value_kind:     by_value
    .group_segment_fixed_size: 0
    .kernarg_segment_align: 8
    .kernarg_segment_size: 112
    .language:       OpenCL C
    .language_version:
      - 2
      - 0
    .max_flat_workgroup_size: 256
    .name:           _ZN7rocprim17ROCPRIM_400000_NS6detail17trampoline_kernelINS0_14default_configENS1_27scan_by_key_config_selectorIsiEEZZNS1_16scan_by_key_implILNS1_25lookback_scan_determinismE0ELb1ES3_N6thrust23THRUST_200600_302600_NS6detail15normal_iteratorINS9_10device_ptrIsEEEESE_SE_iNS9_4plusIvEENS9_8equal_toIvEEiEE10hipError_tPvRmT2_T3_T4_T5_mT6_T7_P12ihipStream_tbENKUlT_T0_E_clISt17integral_constantIbLb0EESY_IbLb1EEEEDaSU_SV_EUlSU_E_NS1_11comp_targetILNS1_3genE2ELNS1_11target_archE906ELNS1_3gpuE6ELNS1_3repE0EEENS1_30default_config_static_selectorELNS0_4arch9wavefront6targetE0EEEvT1_
    .private_segment_fixed_size: 0
    .sgpr_count:     0
    .sgpr_spill_count: 0
    .symbol:         _ZN7rocprim17ROCPRIM_400000_NS6detail17trampoline_kernelINS0_14default_configENS1_27scan_by_key_config_selectorIsiEEZZNS1_16scan_by_key_implILNS1_25lookback_scan_determinismE0ELb1ES3_N6thrust23THRUST_200600_302600_NS6detail15normal_iteratorINS9_10device_ptrIsEEEESE_SE_iNS9_4plusIvEENS9_8equal_toIvEEiEE10hipError_tPvRmT2_T3_T4_T5_mT6_T7_P12ihipStream_tbENKUlT_T0_E_clISt17integral_constantIbLb0EESY_IbLb1EEEEDaSU_SV_EUlSU_E_NS1_11comp_targetILNS1_3genE2ELNS1_11target_archE906ELNS1_3gpuE6ELNS1_3repE0EEENS1_30default_config_static_selectorELNS0_4arch9wavefront6targetE0EEEvT1_.kd
    .uniform_work_group_size: 1
    .uses_dynamic_stack: false
    .vgpr_count:     0
    .vgpr_spill_count: 0
    .wavefront_size: 32
  - .args:
      - .offset:         0
        .size:           112
        .value_kind:     by_value
    .group_segment_fixed_size: 0
    .kernarg_segment_align: 8
    .kernarg_segment_size: 112
    .language:       OpenCL C
    .language_version:
      - 2
      - 0
    .max_flat_workgroup_size: 256
    .name:           _ZN7rocprim17ROCPRIM_400000_NS6detail17trampoline_kernelINS0_14default_configENS1_27scan_by_key_config_selectorIsiEEZZNS1_16scan_by_key_implILNS1_25lookback_scan_determinismE0ELb1ES3_N6thrust23THRUST_200600_302600_NS6detail15normal_iteratorINS9_10device_ptrIsEEEESE_SE_iNS9_4plusIvEENS9_8equal_toIvEEiEE10hipError_tPvRmT2_T3_T4_T5_mT6_T7_P12ihipStream_tbENKUlT_T0_E_clISt17integral_constantIbLb0EESY_IbLb1EEEEDaSU_SV_EUlSU_E_NS1_11comp_targetILNS1_3genE10ELNS1_11target_archE1200ELNS1_3gpuE4ELNS1_3repE0EEENS1_30default_config_static_selectorELNS0_4arch9wavefront6targetE0EEEvT1_
    .private_segment_fixed_size: 0
    .sgpr_count:     0
    .sgpr_spill_count: 0
    .symbol:         _ZN7rocprim17ROCPRIM_400000_NS6detail17trampoline_kernelINS0_14default_configENS1_27scan_by_key_config_selectorIsiEEZZNS1_16scan_by_key_implILNS1_25lookback_scan_determinismE0ELb1ES3_N6thrust23THRUST_200600_302600_NS6detail15normal_iteratorINS9_10device_ptrIsEEEESE_SE_iNS9_4plusIvEENS9_8equal_toIvEEiEE10hipError_tPvRmT2_T3_T4_T5_mT6_T7_P12ihipStream_tbENKUlT_T0_E_clISt17integral_constantIbLb0EESY_IbLb1EEEEDaSU_SV_EUlSU_E_NS1_11comp_targetILNS1_3genE10ELNS1_11target_archE1200ELNS1_3gpuE4ELNS1_3repE0EEENS1_30default_config_static_selectorELNS0_4arch9wavefront6targetE0EEEvT1_.kd
    .uniform_work_group_size: 1
    .uses_dynamic_stack: false
    .vgpr_count:     0
    .vgpr_spill_count: 0
    .wavefront_size: 32
  - .args:
      - .offset:         0
        .size:           112
        .value_kind:     by_value
    .group_segment_fixed_size: 0
    .kernarg_segment_align: 8
    .kernarg_segment_size: 112
    .language:       OpenCL C
    .language_version:
      - 2
      - 0
    .max_flat_workgroup_size: 256
    .name:           _ZN7rocprim17ROCPRIM_400000_NS6detail17trampoline_kernelINS0_14default_configENS1_27scan_by_key_config_selectorIsiEEZZNS1_16scan_by_key_implILNS1_25lookback_scan_determinismE0ELb1ES3_N6thrust23THRUST_200600_302600_NS6detail15normal_iteratorINS9_10device_ptrIsEEEESE_SE_iNS9_4plusIvEENS9_8equal_toIvEEiEE10hipError_tPvRmT2_T3_T4_T5_mT6_T7_P12ihipStream_tbENKUlT_T0_E_clISt17integral_constantIbLb0EESY_IbLb1EEEEDaSU_SV_EUlSU_E_NS1_11comp_targetILNS1_3genE9ELNS1_11target_archE1100ELNS1_3gpuE3ELNS1_3repE0EEENS1_30default_config_static_selectorELNS0_4arch9wavefront6targetE0EEEvT1_
    .private_segment_fixed_size: 0
    .sgpr_count:     0
    .sgpr_spill_count: 0
    .symbol:         _ZN7rocprim17ROCPRIM_400000_NS6detail17trampoline_kernelINS0_14default_configENS1_27scan_by_key_config_selectorIsiEEZZNS1_16scan_by_key_implILNS1_25lookback_scan_determinismE0ELb1ES3_N6thrust23THRUST_200600_302600_NS6detail15normal_iteratorINS9_10device_ptrIsEEEESE_SE_iNS9_4plusIvEENS9_8equal_toIvEEiEE10hipError_tPvRmT2_T3_T4_T5_mT6_T7_P12ihipStream_tbENKUlT_T0_E_clISt17integral_constantIbLb0EESY_IbLb1EEEEDaSU_SV_EUlSU_E_NS1_11comp_targetILNS1_3genE9ELNS1_11target_archE1100ELNS1_3gpuE3ELNS1_3repE0EEENS1_30default_config_static_selectorELNS0_4arch9wavefront6targetE0EEEvT1_.kd
    .uniform_work_group_size: 1
    .uses_dynamic_stack: false
    .vgpr_count:     0
    .vgpr_spill_count: 0
    .wavefront_size: 32
  - .args:
      - .offset:         0
        .size:           112
        .value_kind:     by_value
    .group_segment_fixed_size: 0
    .kernarg_segment_align: 8
    .kernarg_segment_size: 112
    .language:       OpenCL C
    .language_version:
      - 2
      - 0
    .max_flat_workgroup_size: 64
    .name:           _ZN7rocprim17ROCPRIM_400000_NS6detail17trampoline_kernelINS0_14default_configENS1_27scan_by_key_config_selectorIsiEEZZNS1_16scan_by_key_implILNS1_25lookback_scan_determinismE0ELb1ES3_N6thrust23THRUST_200600_302600_NS6detail15normal_iteratorINS9_10device_ptrIsEEEESE_SE_iNS9_4plusIvEENS9_8equal_toIvEEiEE10hipError_tPvRmT2_T3_T4_T5_mT6_T7_P12ihipStream_tbENKUlT_T0_E_clISt17integral_constantIbLb0EESY_IbLb1EEEEDaSU_SV_EUlSU_E_NS1_11comp_targetILNS1_3genE8ELNS1_11target_archE1030ELNS1_3gpuE2ELNS1_3repE0EEENS1_30default_config_static_selectorELNS0_4arch9wavefront6targetE0EEEvT1_
    .private_segment_fixed_size: 0
    .sgpr_count:     0
    .sgpr_spill_count: 0
    .symbol:         _ZN7rocprim17ROCPRIM_400000_NS6detail17trampoline_kernelINS0_14default_configENS1_27scan_by_key_config_selectorIsiEEZZNS1_16scan_by_key_implILNS1_25lookback_scan_determinismE0ELb1ES3_N6thrust23THRUST_200600_302600_NS6detail15normal_iteratorINS9_10device_ptrIsEEEESE_SE_iNS9_4plusIvEENS9_8equal_toIvEEiEE10hipError_tPvRmT2_T3_T4_T5_mT6_T7_P12ihipStream_tbENKUlT_T0_E_clISt17integral_constantIbLb0EESY_IbLb1EEEEDaSU_SV_EUlSU_E_NS1_11comp_targetILNS1_3genE8ELNS1_11target_archE1030ELNS1_3gpuE2ELNS1_3repE0EEENS1_30default_config_static_selectorELNS0_4arch9wavefront6targetE0EEEvT1_.kd
    .uniform_work_group_size: 1
    .uses_dynamic_stack: false
    .vgpr_count:     0
    .vgpr_spill_count: 0
    .wavefront_size: 32
  - .args:
      - .offset:         0
        .size:           24
        .value_kind:     by_value
      - .offset:         24
        .size:           8
        .value_kind:     by_value
      - .offset:         32
        .size:           8
        .value_kind:     by_value
    .group_segment_fixed_size: 0
    .kernarg_segment_align: 8
    .kernarg_segment_size: 40
    .language:       OpenCL C
    .language_version:
      - 2
      - 0
    .max_flat_workgroup_size: 256
    .name:           _ZN6thrust23THRUST_200600_302600_NS11hip_rocprim14__parallel_for6kernelILj256ENS1_11__transform17unary_transform_fINS0_7pointerIiNS1_3tagENS0_11use_defaultES8_EENS0_10device_ptrIdEENS4_14no_stencil_tagENS0_8identityIiEENS4_21always_true_predicateEEElLj1EEEvT0_T1_SI_
    .private_segment_fixed_size: 0
    .sgpr_count:     11
    .sgpr_spill_count: 0
    .symbol:         _ZN6thrust23THRUST_200600_302600_NS11hip_rocprim14__parallel_for6kernelILj256ENS1_11__transform17unary_transform_fINS0_7pointerIiNS1_3tagENS0_11use_defaultES8_EENS0_10device_ptrIdEENS4_14no_stencil_tagENS0_8identityIiEENS4_21always_true_predicateEEElLj1EEEvT0_T1_SI_.kd
    .uniform_work_group_size: 1
    .uses_dynamic_stack: false
    .vgpr_count:     6
    .vgpr_spill_count: 0
    .wavefront_size: 32
  - .args:
      - .offset:         0
        .size:           16
        .value_kind:     by_value
      - .offset:         16
        .size:           8
        .value_kind:     by_value
      - .offset:         24
        .size:           8
        .value_kind:     by_value
    .group_segment_fixed_size: 0
    .kernarg_segment_align: 8
    .kernarg_segment_size: 32
    .language:       OpenCL C
    .language_version:
      - 2
      - 0
    .max_flat_workgroup_size: 256
    .name:           _ZN6thrust23THRUST_200600_302600_NS11hip_rocprim14__parallel_for6kernelILj256ENS1_20__uninitialized_fill7functorINS0_10device_ptrIdEEdEEmLj1EEEvT0_T1_SA_
    .private_segment_fixed_size: 0
    .sgpr_count:     14
    .sgpr_spill_count: 0
    .symbol:         _ZN6thrust23THRUST_200600_302600_NS11hip_rocprim14__parallel_for6kernelILj256ENS1_20__uninitialized_fill7functorINS0_10device_ptrIdEEdEEmLj1EEEvT0_T1_SA_.kd
    .uniform_work_group_size: 1
    .uses_dynamic_stack: false
    .vgpr_count:     4
    .vgpr_spill_count: 0
    .wavefront_size: 32
  - .args:
      - .offset:         0
        .size:           24
        .value_kind:     by_value
      - .offset:         24
        .size:           4
        .value_kind:     by_value
      - .offset:         28
        .size:           4
        .value_kind:     by_value
      - .address_space:  global
        .offset:         32
        .size:           8
        .value_kind:     global_buffer
      - .address_space:  global
        .offset:         40
        .size:           8
        .value_kind:     global_buffer
      - .actual_access:  write_only
        .address_space:  global
        .offset:         48
        .size:           8
        .value_kind:     global_buffer
      - .offset:         56
        .size:           8
        .value_kind:     by_value
      - .offset:         64
        .size:           4
        .value_kind:     by_value
      - .offset:         68
        .size:           1
        .value_kind:     by_value
      - .offset:         72
        .size:           4
        .value_kind:     hidden_block_count_x
      - .offset:         76
        .size:           4
        .value_kind:     hidden_block_count_y
      - .offset:         80
        .size:           4
        .value_kind:     hidden_block_count_z
      - .offset:         84
        .size:           2
        .value_kind:     hidden_group_size_x
      - .offset:         86
        .size:           2
        .value_kind:     hidden_group_size_y
      - .offset:         88
        .size:           2
        .value_kind:     hidden_group_size_z
      - .offset:         90
        .size:           2
        .value_kind:     hidden_remainder_x
      - .offset:         92
        .size:           2
        .value_kind:     hidden_remainder_y
      - .offset:         94
        .size:           2
        .value_kind:     hidden_remainder_z
      - .offset:         112
        .size:           8
        .value_kind:     hidden_global_offset_x
      - .offset:         120
        .size:           8
        .value_kind:     hidden_global_offset_y
      - .offset:         128
        .size:           8
        .value_kind:     hidden_global_offset_z
      - .offset:         136
        .size:           2
        .value_kind:     hidden_grid_dims
    .group_segment_fixed_size: 0
    .kernarg_segment_align: 8
    .kernarg_segment_size: 328
    .language:       OpenCL C
    .language_version:
      - 2
      - 0
    .max_flat_workgroup_size: 256
    .name:           _ZN7rocprim17ROCPRIM_400000_NS6detail30init_device_scan_by_key_kernelINS1_19lookback_scan_stateINS0_5tupleIJdbEEELb0ELb0EEEN6thrust23THRUST_200600_302600_NS6detail15normal_iteratorINS8_10device_ptrIiEEEEjNS1_16block_id_wrapperIjLb0EEEEEvT_jjPNSG_10value_typeET0_PNSt15iterator_traitsISJ_E10value_typeEmT1_T2_
    .private_segment_fixed_size: 0
    .sgpr_count:     23
    .sgpr_spill_count: 0
    .symbol:         _ZN7rocprim17ROCPRIM_400000_NS6detail30init_device_scan_by_key_kernelINS1_19lookback_scan_stateINS0_5tupleIJdbEEELb0ELb0EEEN6thrust23THRUST_200600_302600_NS6detail15normal_iteratorINS8_10device_ptrIiEEEEjNS1_16block_id_wrapperIjLb0EEEEEvT_jjPNSG_10value_typeET0_PNSt15iterator_traitsISJ_E10value_typeEmT1_T2_.kd
    .uniform_work_group_size: 1
    .uses_dynamic_stack: false
    .vgpr_count:     7
    .vgpr_spill_count: 0
    .wavefront_size: 32
  - .args:
      - .offset:         0
        .size:           24
        .value_kind:     by_value
      - .offset:         24
        .size:           4
        .value_kind:     by_value
      - .offset:         28
        .size:           4
        .value_kind:     by_value
      - .address_space:  global
        .offset:         32
        .size:           8
        .value_kind:     global_buffer
      - .offset:         40
        .size:           1
        .value_kind:     by_value
      - .offset:         48
        .size:           4
        .value_kind:     hidden_block_count_x
      - .offset:         52
        .size:           4
        .value_kind:     hidden_block_count_y
      - .offset:         56
        .size:           4
        .value_kind:     hidden_block_count_z
      - .offset:         60
        .size:           2
        .value_kind:     hidden_group_size_x
      - .offset:         62
        .size:           2
        .value_kind:     hidden_group_size_y
      - .offset:         64
        .size:           2
        .value_kind:     hidden_group_size_z
      - .offset:         66
        .size:           2
        .value_kind:     hidden_remainder_x
      - .offset:         68
        .size:           2
        .value_kind:     hidden_remainder_y
      - .offset:         70
        .size:           2
        .value_kind:     hidden_remainder_z
      - .offset:         88
        .size:           8
        .value_kind:     hidden_global_offset_x
      - .offset:         96
        .size:           8
        .value_kind:     hidden_global_offset_y
      - .offset:         104
        .size:           8
        .value_kind:     hidden_global_offset_z
      - .offset:         112
        .size:           2
        .value_kind:     hidden_grid_dims
    .group_segment_fixed_size: 0
    .kernarg_segment_align: 8
    .kernarg_segment_size: 304
    .language:       OpenCL C
    .language_version:
      - 2
      - 0
    .max_flat_workgroup_size: 256
    .name:           _ZN7rocprim17ROCPRIM_400000_NS6detail30init_device_scan_by_key_kernelINS1_19lookback_scan_stateINS0_5tupleIJdbEEELb0ELb0EEENS1_16block_id_wrapperIjLb0EEEEEvT_jjPNS9_10value_typeET0_
    .private_segment_fixed_size: 0
    .sgpr_count:     17
    .sgpr_spill_count: 0
    .symbol:         _ZN7rocprim17ROCPRIM_400000_NS6detail30init_device_scan_by_key_kernelINS1_19lookback_scan_stateINS0_5tupleIJdbEEELb0ELb0EEENS1_16block_id_wrapperIjLb0EEEEEvT_jjPNS9_10value_typeET0_.kd
    .uniform_work_group_size: 1
    .uses_dynamic_stack: false
    .vgpr_count:     5
    .vgpr_spill_count: 0
    .wavefront_size: 32
  - .args:
      - .offset:         0
        .size:           136
        .value_kind:     by_value
    .group_segment_fixed_size: 10240
    .kernarg_segment_align: 8
    .kernarg_segment_size: 136
    .language:       OpenCL C
    .language_version:
      - 2
      - 0
    .max_flat_workgroup_size: 128
    .name:           _ZN7rocprim17ROCPRIM_400000_NS6detail17trampoline_kernelINS0_14default_configENS1_27scan_by_key_config_selectorIidEEZZNS1_16scan_by_key_implILNS1_25lookback_scan_determinismE0ELb0ES3_N6thrust23THRUST_200600_302600_NS6detail15normal_iteratorINS9_10device_ptrIiEEEENSB_INSC_IdEEEESG_dNS9_4plusIvEENS9_8equal_toIvEEdEE10hipError_tPvRmT2_T3_T4_T5_mT6_T7_P12ihipStream_tbENKUlT_T0_E_clISt17integral_constantIbLb0EES11_EEDaSW_SX_EUlSW_E_NS1_11comp_targetILNS1_3genE0ELNS1_11target_archE4294967295ELNS1_3gpuE0ELNS1_3repE0EEENS1_30default_config_static_selectorELNS0_4arch9wavefront6targetE0EEEvT1_
    .private_segment_fixed_size: 0
    .sgpr_count:     46
    .sgpr_spill_count: 0
    .symbol:         _ZN7rocprim17ROCPRIM_400000_NS6detail17trampoline_kernelINS0_14default_configENS1_27scan_by_key_config_selectorIidEEZZNS1_16scan_by_key_implILNS1_25lookback_scan_determinismE0ELb0ES3_N6thrust23THRUST_200600_302600_NS6detail15normal_iteratorINS9_10device_ptrIiEEEENSB_INSC_IdEEEESG_dNS9_4plusIvEENS9_8equal_toIvEEdEE10hipError_tPvRmT2_T3_T4_T5_mT6_T7_P12ihipStream_tbENKUlT_T0_E_clISt17integral_constantIbLb0EES11_EEDaSW_SX_EUlSW_E_NS1_11comp_targetILNS1_3genE0ELNS1_11target_archE4294967295ELNS1_3gpuE0ELNS1_3repE0EEENS1_30default_config_static_selectorELNS0_4arch9wavefront6targetE0EEEvT1_.kd
    .uniform_work_group_size: 1
    .uses_dynamic_stack: false
    .vgpr_count:     73
    .vgpr_spill_count: 0
    .wavefront_size: 32
  - .args:
      - .offset:         0
        .size:           136
        .value_kind:     by_value
    .group_segment_fixed_size: 0
    .kernarg_segment_align: 8
    .kernarg_segment_size: 136
    .language:       OpenCL C
    .language_version:
      - 2
      - 0
    .max_flat_workgroup_size: 256
    .name:           _ZN7rocprim17ROCPRIM_400000_NS6detail17trampoline_kernelINS0_14default_configENS1_27scan_by_key_config_selectorIidEEZZNS1_16scan_by_key_implILNS1_25lookback_scan_determinismE0ELb0ES3_N6thrust23THRUST_200600_302600_NS6detail15normal_iteratorINS9_10device_ptrIiEEEENSB_INSC_IdEEEESG_dNS9_4plusIvEENS9_8equal_toIvEEdEE10hipError_tPvRmT2_T3_T4_T5_mT6_T7_P12ihipStream_tbENKUlT_T0_E_clISt17integral_constantIbLb0EES11_EEDaSW_SX_EUlSW_E_NS1_11comp_targetILNS1_3genE10ELNS1_11target_archE1201ELNS1_3gpuE5ELNS1_3repE0EEENS1_30default_config_static_selectorELNS0_4arch9wavefront6targetE0EEEvT1_
    .private_segment_fixed_size: 0
    .sgpr_count:     0
    .sgpr_spill_count: 0
    .symbol:         _ZN7rocprim17ROCPRIM_400000_NS6detail17trampoline_kernelINS0_14default_configENS1_27scan_by_key_config_selectorIidEEZZNS1_16scan_by_key_implILNS1_25lookback_scan_determinismE0ELb0ES3_N6thrust23THRUST_200600_302600_NS6detail15normal_iteratorINS9_10device_ptrIiEEEENSB_INSC_IdEEEESG_dNS9_4plusIvEENS9_8equal_toIvEEdEE10hipError_tPvRmT2_T3_T4_T5_mT6_T7_P12ihipStream_tbENKUlT_T0_E_clISt17integral_constantIbLb0EES11_EEDaSW_SX_EUlSW_E_NS1_11comp_targetILNS1_3genE10ELNS1_11target_archE1201ELNS1_3gpuE5ELNS1_3repE0EEENS1_30default_config_static_selectorELNS0_4arch9wavefront6targetE0EEEvT1_.kd
    .uniform_work_group_size: 1
    .uses_dynamic_stack: false
    .vgpr_count:     0
    .vgpr_spill_count: 0
    .wavefront_size: 32
  - .args:
      - .offset:         0
        .size:           136
        .value_kind:     by_value
    .group_segment_fixed_size: 0
    .kernarg_segment_align: 8
    .kernarg_segment_size: 136
    .language:       OpenCL C
    .language_version:
      - 2
      - 0
    .max_flat_workgroup_size: 256
    .name:           _ZN7rocprim17ROCPRIM_400000_NS6detail17trampoline_kernelINS0_14default_configENS1_27scan_by_key_config_selectorIidEEZZNS1_16scan_by_key_implILNS1_25lookback_scan_determinismE0ELb0ES3_N6thrust23THRUST_200600_302600_NS6detail15normal_iteratorINS9_10device_ptrIiEEEENSB_INSC_IdEEEESG_dNS9_4plusIvEENS9_8equal_toIvEEdEE10hipError_tPvRmT2_T3_T4_T5_mT6_T7_P12ihipStream_tbENKUlT_T0_E_clISt17integral_constantIbLb0EES11_EEDaSW_SX_EUlSW_E_NS1_11comp_targetILNS1_3genE5ELNS1_11target_archE942ELNS1_3gpuE9ELNS1_3repE0EEENS1_30default_config_static_selectorELNS0_4arch9wavefront6targetE0EEEvT1_
    .private_segment_fixed_size: 0
    .sgpr_count:     0
    .sgpr_spill_count: 0
    .symbol:         _ZN7rocprim17ROCPRIM_400000_NS6detail17trampoline_kernelINS0_14default_configENS1_27scan_by_key_config_selectorIidEEZZNS1_16scan_by_key_implILNS1_25lookback_scan_determinismE0ELb0ES3_N6thrust23THRUST_200600_302600_NS6detail15normal_iteratorINS9_10device_ptrIiEEEENSB_INSC_IdEEEESG_dNS9_4plusIvEENS9_8equal_toIvEEdEE10hipError_tPvRmT2_T3_T4_T5_mT6_T7_P12ihipStream_tbENKUlT_T0_E_clISt17integral_constantIbLb0EES11_EEDaSW_SX_EUlSW_E_NS1_11comp_targetILNS1_3genE5ELNS1_11target_archE942ELNS1_3gpuE9ELNS1_3repE0EEENS1_30default_config_static_selectorELNS0_4arch9wavefront6targetE0EEEvT1_.kd
    .uniform_work_group_size: 1
    .uses_dynamic_stack: false
    .vgpr_count:     0
    .vgpr_spill_count: 0
    .wavefront_size: 32
  - .args:
      - .offset:         0
        .size:           136
        .value_kind:     by_value
    .group_segment_fixed_size: 0
    .kernarg_segment_align: 8
    .kernarg_segment_size: 136
    .language:       OpenCL C
    .language_version:
      - 2
      - 0
    .max_flat_workgroup_size: 64
    .name:           _ZN7rocprim17ROCPRIM_400000_NS6detail17trampoline_kernelINS0_14default_configENS1_27scan_by_key_config_selectorIidEEZZNS1_16scan_by_key_implILNS1_25lookback_scan_determinismE0ELb0ES3_N6thrust23THRUST_200600_302600_NS6detail15normal_iteratorINS9_10device_ptrIiEEEENSB_INSC_IdEEEESG_dNS9_4plusIvEENS9_8equal_toIvEEdEE10hipError_tPvRmT2_T3_T4_T5_mT6_T7_P12ihipStream_tbENKUlT_T0_E_clISt17integral_constantIbLb0EES11_EEDaSW_SX_EUlSW_E_NS1_11comp_targetILNS1_3genE4ELNS1_11target_archE910ELNS1_3gpuE8ELNS1_3repE0EEENS1_30default_config_static_selectorELNS0_4arch9wavefront6targetE0EEEvT1_
    .private_segment_fixed_size: 0
    .sgpr_count:     0
    .sgpr_spill_count: 0
    .symbol:         _ZN7rocprim17ROCPRIM_400000_NS6detail17trampoline_kernelINS0_14default_configENS1_27scan_by_key_config_selectorIidEEZZNS1_16scan_by_key_implILNS1_25lookback_scan_determinismE0ELb0ES3_N6thrust23THRUST_200600_302600_NS6detail15normal_iteratorINS9_10device_ptrIiEEEENSB_INSC_IdEEEESG_dNS9_4plusIvEENS9_8equal_toIvEEdEE10hipError_tPvRmT2_T3_T4_T5_mT6_T7_P12ihipStream_tbENKUlT_T0_E_clISt17integral_constantIbLb0EES11_EEDaSW_SX_EUlSW_E_NS1_11comp_targetILNS1_3genE4ELNS1_11target_archE910ELNS1_3gpuE8ELNS1_3repE0EEENS1_30default_config_static_selectorELNS0_4arch9wavefront6targetE0EEEvT1_.kd
    .uniform_work_group_size: 1
    .uses_dynamic_stack: false
    .vgpr_count:     0
    .vgpr_spill_count: 0
    .wavefront_size: 32
  - .args:
      - .offset:         0
        .size:           136
        .value_kind:     by_value
    .group_segment_fixed_size: 0
    .kernarg_segment_align: 8
    .kernarg_segment_size: 136
    .language:       OpenCL C
    .language_version:
      - 2
      - 0
    .max_flat_workgroup_size: 128
    .name:           _ZN7rocprim17ROCPRIM_400000_NS6detail17trampoline_kernelINS0_14default_configENS1_27scan_by_key_config_selectorIidEEZZNS1_16scan_by_key_implILNS1_25lookback_scan_determinismE0ELb0ES3_N6thrust23THRUST_200600_302600_NS6detail15normal_iteratorINS9_10device_ptrIiEEEENSB_INSC_IdEEEESG_dNS9_4plusIvEENS9_8equal_toIvEEdEE10hipError_tPvRmT2_T3_T4_T5_mT6_T7_P12ihipStream_tbENKUlT_T0_E_clISt17integral_constantIbLb0EES11_EEDaSW_SX_EUlSW_E_NS1_11comp_targetILNS1_3genE3ELNS1_11target_archE908ELNS1_3gpuE7ELNS1_3repE0EEENS1_30default_config_static_selectorELNS0_4arch9wavefront6targetE0EEEvT1_
    .private_segment_fixed_size: 0
    .sgpr_count:     0
    .sgpr_spill_count: 0
    .symbol:         _ZN7rocprim17ROCPRIM_400000_NS6detail17trampoline_kernelINS0_14default_configENS1_27scan_by_key_config_selectorIidEEZZNS1_16scan_by_key_implILNS1_25lookback_scan_determinismE0ELb0ES3_N6thrust23THRUST_200600_302600_NS6detail15normal_iteratorINS9_10device_ptrIiEEEENSB_INSC_IdEEEESG_dNS9_4plusIvEENS9_8equal_toIvEEdEE10hipError_tPvRmT2_T3_T4_T5_mT6_T7_P12ihipStream_tbENKUlT_T0_E_clISt17integral_constantIbLb0EES11_EEDaSW_SX_EUlSW_E_NS1_11comp_targetILNS1_3genE3ELNS1_11target_archE908ELNS1_3gpuE7ELNS1_3repE0EEENS1_30default_config_static_selectorELNS0_4arch9wavefront6targetE0EEEvT1_.kd
    .uniform_work_group_size: 1
    .uses_dynamic_stack: false
    .vgpr_count:     0
    .vgpr_spill_count: 0
    .wavefront_size: 32
  - .args:
      - .offset:         0
        .size:           136
        .value_kind:     by_value
    .group_segment_fixed_size: 0
    .kernarg_segment_align: 8
    .kernarg_segment_size: 136
    .language:       OpenCL C
    .language_version:
      - 2
      - 0
    .max_flat_workgroup_size: 64
    .name:           _ZN7rocprim17ROCPRIM_400000_NS6detail17trampoline_kernelINS0_14default_configENS1_27scan_by_key_config_selectorIidEEZZNS1_16scan_by_key_implILNS1_25lookback_scan_determinismE0ELb0ES3_N6thrust23THRUST_200600_302600_NS6detail15normal_iteratorINS9_10device_ptrIiEEEENSB_INSC_IdEEEESG_dNS9_4plusIvEENS9_8equal_toIvEEdEE10hipError_tPvRmT2_T3_T4_T5_mT6_T7_P12ihipStream_tbENKUlT_T0_E_clISt17integral_constantIbLb0EES11_EEDaSW_SX_EUlSW_E_NS1_11comp_targetILNS1_3genE2ELNS1_11target_archE906ELNS1_3gpuE6ELNS1_3repE0EEENS1_30default_config_static_selectorELNS0_4arch9wavefront6targetE0EEEvT1_
    .private_segment_fixed_size: 0
    .sgpr_count:     0
    .sgpr_spill_count: 0
    .symbol:         _ZN7rocprim17ROCPRIM_400000_NS6detail17trampoline_kernelINS0_14default_configENS1_27scan_by_key_config_selectorIidEEZZNS1_16scan_by_key_implILNS1_25lookback_scan_determinismE0ELb0ES3_N6thrust23THRUST_200600_302600_NS6detail15normal_iteratorINS9_10device_ptrIiEEEENSB_INSC_IdEEEESG_dNS9_4plusIvEENS9_8equal_toIvEEdEE10hipError_tPvRmT2_T3_T4_T5_mT6_T7_P12ihipStream_tbENKUlT_T0_E_clISt17integral_constantIbLb0EES11_EEDaSW_SX_EUlSW_E_NS1_11comp_targetILNS1_3genE2ELNS1_11target_archE906ELNS1_3gpuE6ELNS1_3repE0EEENS1_30default_config_static_selectorELNS0_4arch9wavefront6targetE0EEEvT1_.kd
    .uniform_work_group_size: 1
    .uses_dynamic_stack: false
    .vgpr_count:     0
    .vgpr_spill_count: 0
    .wavefront_size: 32
  - .args:
      - .offset:         0
        .size:           136
        .value_kind:     by_value
    .group_segment_fixed_size: 0
    .kernarg_segment_align: 8
    .kernarg_segment_size: 136
    .language:       OpenCL C
    .language_version:
      - 2
      - 0
    .max_flat_workgroup_size: 256
    .name:           _ZN7rocprim17ROCPRIM_400000_NS6detail17trampoline_kernelINS0_14default_configENS1_27scan_by_key_config_selectorIidEEZZNS1_16scan_by_key_implILNS1_25lookback_scan_determinismE0ELb0ES3_N6thrust23THRUST_200600_302600_NS6detail15normal_iteratorINS9_10device_ptrIiEEEENSB_INSC_IdEEEESG_dNS9_4plusIvEENS9_8equal_toIvEEdEE10hipError_tPvRmT2_T3_T4_T5_mT6_T7_P12ihipStream_tbENKUlT_T0_E_clISt17integral_constantIbLb0EES11_EEDaSW_SX_EUlSW_E_NS1_11comp_targetILNS1_3genE10ELNS1_11target_archE1200ELNS1_3gpuE4ELNS1_3repE0EEENS1_30default_config_static_selectorELNS0_4arch9wavefront6targetE0EEEvT1_
    .private_segment_fixed_size: 0
    .sgpr_count:     0
    .sgpr_spill_count: 0
    .symbol:         _ZN7rocprim17ROCPRIM_400000_NS6detail17trampoline_kernelINS0_14default_configENS1_27scan_by_key_config_selectorIidEEZZNS1_16scan_by_key_implILNS1_25lookback_scan_determinismE0ELb0ES3_N6thrust23THRUST_200600_302600_NS6detail15normal_iteratorINS9_10device_ptrIiEEEENSB_INSC_IdEEEESG_dNS9_4plusIvEENS9_8equal_toIvEEdEE10hipError_tPvRmT2_T3_T4_T5_mT6_T7_P12ihipStream_tbENKUlT_T0_E_clISt17integral_constantIbLb0EES11_EEDaSW_SX_EUlSW_E_NS1_11comp_targetILNS1_3genE10ELNS1_11target_archE1200ELNS1_3gpuE4ELNS1_3repE0EEENS1_30default_config_static_selectorELNS0_4arch9wavefront6targetE0EEEvT1_.kd
    .uniform_work_group_size: 1
    .uses_dynamic_stack: false
    .vgpr_count:     0
    .vgpr_spill_count: 0
    .wavefront_size: 32
  - .args:
      - .offset:         0
        .size:           136
        .value_kind:     by_value
    .group_segment_fixed_size: 0
    .kernarg_segment_align: 8
    .kernarg_segment_size: 136
    .language:       OpenCL C
    .language_version:
      - 2
      - 0
    .max_flat_workgroup_size: 256
    .name:           _ZN7rocprim17ROCPRIM_400000_NS6detail17trampoline_kernelINS0_14default_configENS1_27scan_by_key_config_selectorIidEEZZNS1_16scan_by_key_implILNS1_25lookback_scan_determinismE0ELb0ES3_N6thrust23THRUST_200600_302600_NS6detail15normal_iteratorINS9_10device_ptrIiEEEENSB_INSC_IdEEEESG_dNS9_4plusIvEENS9_8equal_toIvEEdEE10hipError_tPvRmT2_T3_T4_T5_mT6_T7_P12ihipStream_tbENKUlT_T0_E_clISt17integral_constantIbLb0EES11_EEDaSW_SX_EUlSW_E_NS1_11comp_targetILNS1_3genE9ELNS1_11target_archE1100ELNS1_3gpuE3ELNS1_3repE0EEENS1_30default_config_static_selectorELNS0_4arch9wavefront6targetE0EEEvT1_
    .private_segment_fixed_size: 0
    .sgpr_count:     0
    .sgpr_spill_count: 0
    .symbol:         _ZN7rocprim17ROCPRIM_400000_NS6detail17trampoline_kernelINS0_14default_configENS1_27scan_by_key_config_selectorIidEEZZNS1_16scan_by_key_implILNS1_25lookback_scan_determinismE0ELb0ES3_N6thrust23THRUST_200600_302600_NS6detail15normal_iteratorINS9_10device_ptrIiEEEENSB_INSC_IdEEEESG_dNS9_4plusIvEENS9_8equal_toIvEEdEE10hipError_tPvRmT2_T3_T4_T5_mT6_T7_P12ihipStream_tbENKUlT_T0_E_clISt17integral_constantIbLb0EES11_EEDaSW_SX_EUlSW_E_NS1_11comp_targetILNS1_3genE9ELNS1_11target_archE1100ELNS1_3gpuE3ELNS1_3repE0EEENS1_30default_config_static_selectorELNS0_4arch9wavefront6targetE0EEEvT1_.kd
    .uniform_work_group_size: 1
    .uses_dynamic_stack: false
    .vgpr_count:     0
    .vgpr_spill_count: 0
    .wavefront_size: 32
  - .args:
      - .offset:         0
        .size:           136
        .value_kind:     by_value
    .group_segment_fixed_size: 0
    .kernarg_segment_align: 8
    .kernarg_segment_size: 136
    .language:       OpenCL C
    .language_version:
      - 2
      - 0
    .max_flat_workgroup_size: 256
    .name:           _ZN7rocprim17ROCPRIM_400000_NS6detail17trampoline_kernelINS0_14default_configENS1_27scan_by_key_config_selectorIidEEZZNS1_16scan_by_key_implILNS1_25lookback_scan_determinismE0ELb0ES3_N6thrust23THRUST_200600_302600_NS6detail15normal_iteratorINS9_10device_ptrIiEEEENSB_INSC_IdEEEESG_dNS9_4plusIvEENS9_8equal_toIvEEdEE10hipError_tPvRmT2_T3_T4_T5_mT6_T7_P12ihipStream_tbENKUlT_T0_E_clISt17integral_constantIbLb0EES11_EEDaSW_SX_EUlSW_E_NS1_11comp_targetILNS1_3genE8ELNS1_11target_archE1030ELNS1_3gpuE2ELNS1_3repE0EEENS1_30default_config_static_selectorELNS0_4arch9wavefront6targetE0EEEvT1_
    .private_segment_fixed_size: 0
    .sgpr_count:     0
    .sgpr_spill_count: 0
    .symbol:         _ZN7rocprim17ROCPRIM_400000_NS6detail17trampoline_kernelINS0_14default_configENS1_27scan_by_key_config_selectorIidEEZZNS1_16scan_by_key_implILNS1_25lookback_scan_determinismE0ELb0ES3_N6thrust23THRUST_200600_302600_NS6detail15normal_iteratorINS9_10device_ptrIiEEEENSB_INSC_IdEEEESG_dNS9_4plusIvEENS9_8equal_toIvEEdEE10hipError_tPvRmT2_T3_T4_T5_mT6_T7_P12ihipStream_tbENKUlT_T0_E_clISt17integral_constantIbLb0EES11_EEDaSW_SX_EUlSW_E_NS1_11comp_targetILNS1_3genE8ELNS1_11target_archE1030ELNS1_3gpuE2ELNS1_3repE0EEENS1_30default_config_static_selectorELNS0_4arch9wavefront6targetE0EEEvT1_.kd
    .uniform_work_group_size: 1
    .uses_dynamic_stack: false
    .vgpr_count:     0
    .vgpr_spill_count: 0
    .wavefront_size: 32
  - .args:
      - .offset:         0
        .size:           24
        .value_kind:     by_value
      - .offset:         24
        .size:           4
        .value_kind:     by_value
      - .offset:         28
        .size:           4
        .value_kind:     by_value
      - .address_space:  global
        .offset:         32
        .size:           8
        .value_kind:     global_buffer
      - .address_space:  global
        .offset:         40
        .size:           8
        .value_kind:     global_buffer
      - .actual_access:  write_only
        .address_space:  global
        .offset:         48
        .size:           8
        .value_kind:     global_buffer
      - .offset:         56
        .size:           8
        .value_kind:     by_value
      - .offset:         64
        .size:           4
        .value_kind:     by_value
      - .address_space:  global
        .offset:         72
        .size:           8
        .value_kind:     global_buffer
      - .offset:         80
        .size:           4
        .value_kind:     hidden_block_count_x
      - .offset:         84
        .size:           4
        .value_kind:     hidden_block_count_y
      - .offset:         88
        .size:           4
        .value_kind:     hidden_block_count_z
      - .offset:         92
        .size:           2
        .value_kind:     hidden_group_size_x
      - .offset:         94
        .size:           2
        .value_kind:     hidden_group_size_y
      - .offset:         96
        .size:           2
        .value_kind:     hidden_group_size_z
      - .offset:         98
        .size:           2
        .value_kind:     hidden_remainder_x
      - .offset:         100
        .size:           2
        .value_kind:     hidden_remainder_y
      - .offset:         102
        .size:           2
        .value_kind:     hidden_remainder_z
      - .offset:         120
        .size:           8
        .value_kind:     hidden_global_offset_x
      - .offset:         128
        .size:           8
        .value_kind:     hidden_global_offset_y
      - .offset:         136
        .size:           8
        .value_kind:     hidden_global_offset_z
      - .offset:         144
        .size:           2
        .value_kind:     hidden_grid_dims
    .group_segment_fixed_size: 0
    .kernarg_segment_align: 8
    .kernarg_segment_size: 336
    .language:       OpenCL C
    .language_version:
      - 2
      - 0
    .max_flat_workgroup_size: 256
    .name:           _ZN7rocprim17ROCPRIM_400000_NS6detail30init_device_scan_by_key_kernelINS1_19lookback_scan_stateINS0_5tupleIJdbEEELb1ELb0EEEN6thrust23THRUST_200600_302600_NS6detail15normal_iteratorINS8_10device_ptrIiEEEEjNS1_16block_id_wrapperIjLb1EEEEEvT_jjPNSG_10value_typeET0_PNSt15iterator_traitsISJ_E10value_typeEmT1_T2_
    .private_segment_fixed_size: 0
    .sgpr_count:     24
    .sgpr_spill_count: 0
    .symbol:         _ZN7rocprim17ROCPRIM_400000_NS6detail30init_device_scan_by_key_kernelINS1_19lookback_scan_stateINS0_5tupleIJdbEEELb1ELb0EEEN6thrust23THRUST_200600_302600_NS6detail15normal_iteratorINS8_10device_ptrIiEEEEjNS1_16block_id_wrapperIjLb1EEEEEvT_jjPNSG_10value_typeET0_PNSt15iterator_traitsISJ_E10value_typeEmT1_T2_.kd
    .uniform_work_group_size: 1
    .uses_dynamic_stack: false
    .vgpr_count:     7
    .vgpr_spill_count: 0
    .wavefront_size: 32
  - .args:
      - .offset:         0
        .size:           24
        .value_kind:     by_value
      - .offset:         24
        .size:           4
        .value_kind:     by_value
      - .offset:         28
        .size:           4
        .value_kind:     by_value
      - .address_space:  global
        .offset:         32
        .size:           8
        .value_kind:     global_buffer
      - .address_space:  global
        .offset:         40
        .size:           8
        .value_kind:     global_buffer
      - .offset:         48
        .size:           4
        .value_kind:     hidden_block_count_x
      - .offset:         52
        .size:           4
        .value_kind:     hidden_block_count_y
      - .offset:         56
        .size:           4
        .value_kind:     hidden_block_count_z
      - .offset:         60
        .size:           2
        .value_kind:     hidden_group_size_x
      - .offset:         62
        .size:           2
        .value_kind:     hidden_group_size_y
      - .offset:         64
        .size:           2
        .value_kind:     hidden_group_size_z
      - .offset:         66
        .size:           2
        .value_kind:     hidden_remainder_x
      - .offset:         68
        .size:           2
        .value_kind:     hidden_remainder_y
      - .offset:         70
        .size:           2
        .value_kind:     hidden_remainder_z
      - .offset:         88
        .size:           8
        .value_kind:     hidden_global_offset_x
      - .offset:         96
        .size:           8
        .value_kind:     hidden_global_offset_y
      - .offset:         104
        .size:           8
        .value_kind:     hidden_global_offset_z
      - .offset:         112
        .size:           2
        .value_kind:     hidden_grid_dims
    .group_segment_fixed_size: 0
    .kernarg_segment_align: 8
    .kernarg_segment_size: 304
    .language:       OpenCL C
    .language_version:
      - 2
      - 0
    .max_flat_workgroup_size: 256
    .name:           _ZN7rocprim17ROCPRIM_400000_NS6detail30init_device_scan_by_key_kernelINS1_19lookback_scan_stateINS0_5tupleIJdbEEELb1ELb0EEENS1_16block_id_wrapperIjLb1EEEEEvT_jjPNS9_10value_typeET0_
    .private_segment_fixed_size: 0
    .sgpr_count:     20
    .sgpr_spill_count: 0
    .symbol:         _ZN7rocprim17ROCPRIM_400000_NS6detail30init_device_scan_by_key_kernelINS1_19lookback_scan_stateINS0_5tupleIJdbEEELb1ELb0EEENS1_16block_id_wrapperIjLb1EEEEEvT_jjPNS9_10value_typeET0_.kd
    .uniform_work_group_size: 1
    .uses_dynamic_stack: false
    .vgpr_count:     5
    .vgpr_spill_count: 0
    .wavefront_size: 32
  - .args:
      - .offset:         0
        .size:           136
        .value_kind:     by_value
    .group_segment_fixed_size: 0
    .kernarg_segment_align: 8
    .kernarg_segment_size: 136
    .language:       OpenCL C
    .language_version:
      - 2
      - 0
    .max_flat_workgroup_size: 128
    .name:           _ZN7rocprim17ROCPRIM_400000_NS6detail17trampoline_kernelINS0_14default_configENS1_27scan_by_key_config_selectorIidEEZZNS1_16scan_by_key_implILNS1_25lookback_scan_determinismE0ELb0ES3_N6thrust23THRUST_200600_302600_NS6detail15normal_iteratorINS9_10device_ptrIiEEEENSB_INSC_IdEEEESG_dNS9_4plusIvEENS9_8equal_toIvEEdEE10hipError_tPvRmT2_T3_T4_T5_mT6_T7_P12ihipStream_tbENKUlT_T0_E_clISt17integral_constantIbLb1EES11_EEDaSW_SX_EUlSW_E_NS1_11comp_targetILNS1_3genE0ELNS1_11target_archE4294967295ELNS1_3gpuE0ELNS1_3repE0EEENS1_30default_config_static_selectorELNS0_4arch9wavefront6targetE0EEEvT1_
    .private_segment_fixed_size: 0
    .sgpr_count:     0
    .sgpr_spill_count: 0
    .symbol:         _ZN7rocprim17ROCPRIM_400000_NS6detail17trampoline_kernelINS0_14default_configENS1_27scan_by_key_config_selectorIidEEZZNS1_16scan_by_key_implILNS1_25lookback_scan_determinismE0ELb0ES3_N6thrust23THRUST_200600_302600_NS6detail15normal_iteratorINS9_10device_ptrIiEEEENSB_INSC_IdEEEESG_dNS9_4plusIvEENS9_8equal_toIvEEdEE10hipError_tPvRmT2_T3_T4_T5_mT6_T7_P12ihipStream_tbENKUlT_T0_E_clISt17integral_constantIbLb1EES11_EEDaSW_SX_EUlSW_E_NS1_11comp_targetILNS1_3genE0ELNS1_11target_archE4294967295ELNS1_3gpuE0ELNS1_3repE0EEENS1_30default_config_static_selectorELNS0_4arch9wavefront6targetE0EEEvT1_.kd
    .uniform_work_group_size: 1
    .uses_dynamic_stack: false
    .vgpr_count:     0
    .vgpr_spill_count: 0
    .wavefront_size: 32
  - .args:
      - .offset:         0
        .size:           136
        .value_kind:     by_value
    .group_segment_fixed_size: 0
    .kernarg_segment_align: 8
    .kernarg_segment_size: 136
    .language:       OpenCL C
    .language_version:
      - 2
      - 0
    .max_flat_workgroup_size: 256
    .name:           _ZN7rocprim17ROCPRIM_400000_NS6detail17trampoline_kernelINS0_14default_configENS1_27scan_by_key_config_selectorIidEEZZNS1_16scan_by_key_implILNS1_25lookback_scan_determinismE0ELb0ES3_N6thrust23THRUST_200600_302600_NS6detail15normal_iteratorINS9_10device_ptrIiEEEENSB_INSC_IdEEEESG_dNS9_4plusIvEENS9_8equal_toIvEEdEE10hipError_tPvRmT2_T3_T4_T5_mT6_T7_P12ihipStream_tbENKUlT_T0_E_clISt17integral_constantIbLb1EES11_EEDaSW_SX_EUlSW_E_NS1_11comp_targetILNS1_3genE10ELNS1_11target_archE1201ELNS1_3gpuE5ELNS1_3repE0EEENS1_30default_config_static_selectorELNS0_4arch9wavefront6targetE0EEEvT1_
    .private_segment_fixed_size: 0
    .sgpr_count:     0
    .sgpr_spill_count: 0
    .symbol:         _ZN7rocprim17ROCPRIM_400000_NS6detail17trampoline_kernelINS0_14default_configENS1_27scan_by_key_config_selectorIidEEZZNS1_16scan_by_key_implILNS1_25lookback_scan_determinismE0ELb0ES3_N6thrust23THRUST_200600_302600_NS6detail15normal_iteratorINS9_10device_ptrIiEEEENSB_INSC_IdEEEESG_dNS9_4plusIvEENS9_8equal_toIvEEdEE10hipError_tPvRmT2_T3_T4_T5_mT6_T7_P12ihipStream_tbENKUlT_T0_E_clISt17integral_constantIbLb1EES11_EEDaSW_SX_EUlSW_E_NS1_11comp_targetILNS1_3genE10ELNS1_11target_archE1201ELNS1_3gpuE5ELNS1_3repE0EEENS1_30default_config_static_selectorELNS0_4arch9wavefront6targetE0EEEvT1_.kd
    .uniform_work_group_size: 1
    .uses_dynamic_stack: false
    .vgpr_count:     0
    .vgpr_spill_count: 0
    .wavefront_size: 32
  - .args:
      - .offset:         0
        .size:           136
        .value_kind:     by_value
    .group_segment_fixed_size: 0
    .kernarg_segment_align: 8
    .kernarg_segment_size: 136
    .language:       OpenCL C
    .language_version:
      - 2
      - 0
    .max_flat_workgroup_size: 256
    .name:           _ZN7rocprim17ROCPRIM_400000_NS6detail17trampoline_kernelINS0_14default_configENS1_27scan_by_key_config_selectorIidEEZZNS1_16scan_by_key_implILNS1_25lookback_scan_determinismE0ELb0ES3_N6thrust23THRUST_200600_302600_NS6detail15normal_iteratorINS9_10device_ptrIiEEEENSB_INSC_IdEEEESG_dNS9_4plusIvEENS9_8equal_toIvEEdEE10hipError_tPvRmT2_T3_T4_T5_mT6_T7_P12ihipStream_tbENKUlT_T0_E_clISt17integral_constantIbLb1EES11_EEDaSW_SX_EUlSW_E_NS1_11comp_targetILNS1_3genE5ELNS1_11target_archE942ELNS1_3gpuE9ELNS1_3repE0EEENS1_30default_config_static_selectorELNS0_4arch9wavefront6targetE0EEEvT1_
    .private_segment_fixed_size: 0
    .sgpr_count:     0
    .sgpr_spill_count: 0
    .symbol:         _ZN7rocprim17ROCPRIM_400000_NS6detail17trampoline_kernelINS0_14default_configENS1_27scan_by_key_config_selectorIidEEZZNS1_16scan_by_key_implILNS1_25lookback_scan_determinismE0ELb0ES3_N6thrust23THRUST_200600_302600_NS6detail15normal_iteratorINS9_10device_ptrIiEEEENSB_INSC_IdEEEESG_dNS9_4plusIvEENS9_8equal_toIvEEdEE10hipError_tPvRmT2_T3_T4_T5_mT6_T7_P12ihipStream_tbENKUlT_T0_E_clISt17integral_constantIbLb1EES11_EEDaSW_SX_EUlSW_E_NS1_11comp_targetILNS1_3genE5ELNS1_11target_archE942ELNS1_3gpuE9ELNS1_3repE0EEENS1_30default_config_static_selectorELNS0_4arch9wavefront6targetE0EEEvT1_.kd
    .uniform_work_group_size: 1
    .uses_dynamic_stack: false
    .vgpr_count:     0
    .vgpr_spill_count: 0
    .wavefront_size: 32
  - .args:
      - .offset:         0
        .size:           136
        .value_kind:     by_value
    .group_segment_fixed_size: 0
    .kernarg_segment_align: 8
    .kernarg_segment_size: 136
    .language:       OpenCL C
    .language_version:
      - 2
      - 0
    .max_flat_workgroup_size: 64
    .name:           _ZN7rocprim17ROCPRIM_400000_NS6detail17trampoline_kernelINS0_14default_configENS1_27scan_by_key_config_selectorIidEEZZNS1_16scan_by_key_implILNS1_25lookback_scan_determinismE0ELb0ES3_N6thrust23THRUST_200600_302600_NS6detail15normal_iteratorINS9_10device_ptrIiEEEENSB_INSC_IdEEEESG_dNS9_4plusIvEENS9_8equal_toIvEEdEE10hipError_tPvRmT2_T3_T4_T5_mT6_T7_P12ihipStream_tbENKUlT_T0_E_clISt17integral_constantIbLb1EES11_EEDaSW_SX_EUlSW_E_NS1_11comp_targetILNS1_3genE4ELNS1_11target_archE910ELNS1_3gpuE8ELNS1_3repE0EEENS1_30default_config_static_selectorELNS0_4arch9wavefront6targetE0EEEvT1_
    .private_segment_fixed_size: 0
    .sgpr_count:     0
    .sgpr_spill_count: 0
    .symbol:         _ZN7rocprim17ROCPRIM_400000_NS6detail17trampoline_kernelINS0_14default_configENS1_27scan_by_key_config_selectorIidEEZZNS1_16scan_by_key_implILNS1_25lookback_scan_determinismE0ELb0ES3_N6thrust23THRUST_200600_302600_NS6detail15normal_iteratorINS9_10device_ptrIiEEEENSB_INSC_IdEEEESG_dNS9_4plusIvEENS9_8equal_toIvEEdEE10hipError_tPvRmT2_T3_T4_T5_mT6_T7_P12ihipStream_tbENKUlT_T0_E_clISt17integral_constantIbLb1EES11_EEDaSW_SX_EUlSW_E_NS1_11comp_targetILNS1_3genE4ELNS1_11target_archE910ELNS1_3gpuE8ELNS1_3repE0EEENS1_30default_config_static_selectorELNS0_4arch9wavefront6targetE0EEEvT1_.kd
    .uniform_work_group_size: 1
    .uses_dynamic_stack: false
    .vgpr_count:     0
    .vgpr_spill_count: 0
    .wavefront_size: 32
  - .args:
      - .offset:         0
        .size:           136
        .value_kind:     by_value
    .group_segment_fixed_size: 0
    .kernarg_segment_align: 8
    .kernarg_segment_size: 136
    .language:       OpenCL C
    .language_version:
      - 2
      - 0
    .max_flat_workgroup_size: 128
    .name:           _ZN7rocprim17ROCPRIM_400000_NS6detail17trampoline_kernelINS0_14default_configENS1_27scan_by_key_config_selectorIidEEZZNS1_16scan_by_key_implILNS1_25lookback_scan_determinismE0ELb0ES3_N6thrust23THRUST_200600_302600_NS6detail15normal_iteratorINS9_10device_ptrIiEEEENSB_INSC_IdEEEESG_dNS9_4plusIvEENS9_8equal_toIvEEdEE10hipError_tPvRmT2_T3_T4_T5_mT6_T7_P12ihipStream_tbENKUlT_T0_E_clISt17integral_constantIbLb1EES11_EEDaSW_SX_EUlSW_E_NS1_11comp_targetILNS1_3genE3ELNS1_11target_archE908ELNS1_3gpuE7ELNS1_3repE0EEENS1_30default_config_static_selectorELNS0_4arch9wavefront6targetE0EEEvT1_
    .private_segment_fixed_size: 0
    .sgpr_count:     0
    .sgpr_spill_count: 0
    .symbol:         _ZN7rocprim17ROCPRIM_400000_NS6detail17trampoline_kernelINS0_14default_configENS1_27scan_by_key_config_selectorIidEEZZNS1_16scan_by_key_implILNS1_25lookback_scan_determinismE0ELb0ES3_N6thrust23THRUST_200600_302600_NS6detail15normal_iteratorINS9_10device_ptrIiEEEENSB_INSC_IdEEEESG_dNS9_4plusIvEENS9_8equal_toIvEEdEE10hipError_tPvRmT2_T3_T4_T5_mT6_T7_P12ihipStream_tbENKUlT_T0_E_clISt17integral_constantIbLb1EES11_EEDaSW_SX_EUlSW_E_NS1_11comp_targetILNS1_3genE3ELNS1_11target_archE908ELNS1_3gpuE7ELNS1_3repE0EEENS1_30default_config_static_selectorELNS0_4arch9wavefront6targetE0EEEvT1_.kd
    .uniform_work_group_size: 1
    .uses_dynamic_stack: false
    .vgpr_count:     0
    .vgpr_spill_count: 0
    .wavefront_size: 32
  - .args:
      - .offset:         0
        .size:           136
        .value_kind:     by_value
    .group_segment_fixed_size: 0
    .kernarg_segment_align: 8
    .kernarg_segment_size: 136
    .language:       OpenCL C
    .language_version:
      - 2
      - 0
    .max_flat_workgroup_size: 64
    .name:           _ZN7rocprim17ROCPRIM_400000_NS6detail17trampoline_kernelINS0_14default_configENS1_27scan_by_key_config_selectorIidEEZZNS1_16scan_by_key_implILNS1_25lookback_scan_determinismE0ELb0ES3_N6thrust23THRUST_200600_302600_NS6detail15normal_iteratorINS9_10device_ptrIiEEEENSB_INSC_IdEEEESG_dNS9_4plusIvEENS9_8equal_toIvEEdEE10hipError_tPvRmT2_T3_T4_T5_mT6_T7_P12ihipStream_tbENKUlT_T0_E_clISt17integral_constantIbLb1EES11_EEDaSW_SX_EUlSW_E_NS1_11comp_targetILNS1_3genE2ELNS1_11target_archE906ELNS1_3gpuE6ELNS1_3repE0EEENS1_30default_config_static_selectorELNS0_4arch9wavefront6targetE0EEEvT1_
    .private_segment_fixed_size: 0
    .sgpr_count:     0
    .sgpr_spill_count: 0
    .symbol:         _ZN7rocprim17ROCPRIM_400000_NS6detail17trampoline_kernelINS0_14default_configENS1_27scan_by_key_config_selectorIidEEZZNS1_16scan_by_key_implILNS1_25lookback_scan_determinismE0ELb0ES3_N6thrust23THRUST_200600_302600_NS6detail15normal_iteratorINS9_10device_ptrIiEEEENSB_INSC_IdEEEESG_dNS9_4plusIvEENS9_8equal_toIvEEdEE10hipError_tPvRmT2_T3_T4_T5_mT6_T7_P12ihipStream_tbENKUlT_T0_E_clISt17integral_constantIbLb1EES11_EEDaSW_SX_EUlSW_E_NS1_11comp_targetILNS1_3genE2ELNS1_11target_archE906ELNS1_3gpuE6ELNS1_3repE0EEENS1_30default_config_static_selectorELNS0_4arch9wavefront6targetE0EEEvT1_.kd
    .uniform_work_group_size: 1
    .uses_dynamic_stack: false
    .vgpr_count:     0
    .vgpr_spill_count: 0
    .wavefront_size: 32
  - .args:
      - .offset:         0
        .size:           136
        .value_kind:     by_value
    .group_segment_fixed_size: 0
    .kernarg_segment_align: 8
    .kernarg_segment_size: 136
    .language:       OpenCL C
    .language_version:
      - 2
      - 0
    .max_flat_workgroup_size: 256
    .name:           _ZN7rocprim17ROCPRIM_400000_NS6detail17trampoline_kernelINS0_14default_configENS1_27scan_by_key_config_selectorIidEEZZNS1_16scan_by_key_implILNS1_25lookback_scan_determinismE0ELb0ES3_N6thrust23THRUST_200600_302600_NS6detail15normal_iteratorINS9_10device_ptrIiEEEENSB_INSC_IdEEEESG_dNS9_4plusIvEENS9_8equal_toIvEEdEE10hipError_tPvRmT2_T3_T4_T5_mT6_T7_P12ihipStream_tbENKUlT_T0_E_clISt17integral_constantIbLb1EES11_EEDaSW_SX_EUlSW_E_NS1_11comp_targetILNS1_3genE10ELNS1_11target_archE1200ELNS1_3gpuE4ELNS1_3repE0EEENS1_30default_config_static_selectorELNS0_4arch9wavefront6targetE0EEEvT1_
    .private_segment_fixed_size: 0
    .sgpr_count:     0
    .sgpr_spill_count: 0
    .symbol:         _ZN7rocprim17ROCPRIM_400000_NS6detail17trampoline_kernelINS0_14default_configENS1_27scan_by_key_config_selectorIidEEZZNS1_16scan_by_key_implILNS1_25lookback_scan_determinismE0ELb0ES3_N6thrust23THRUST_200600_302600_NS6detail15normal_iteratorINS9_10device_ptrIiEEEENSB_INSC_IdEEEESG_dNS9_4plusIvEENS9_8equal_toIvEEdEE10hipError_tPvRmT2_T3_T4_T5_mT6_T7_P12ihipStream_tbENKUlT_T0_E_clISt17integral_constantIbLb1EES11_EEDaSW_SX_EUlSW_E_NS1_11comp_targetILNS1_3genE10ELNS1_11target_archE1200ELNS1_3gpuE4ELNS1_3repE0EEENS1_30default_config_static_selectorELNS0_4arch9wavefront6targetE0EEEvT1_.kd
    .uniform_work_group_size: 1
    .uses_dynamic_stack: false
    .vgpr_count:     0
    .vgpr_spill_count: 0
    .wavefront_size: 32
  - .args:
      - .offset:         0
        .size:           136
        .value_kind:     by_value
    .group_segment_fixed_size: 0
    .kernarg_segment_align: 8
    .kernarg_segment_size: 136
    .language:       OpenCL C
    .language_version:
      - 2
      - 0
    .max_flat_workgroup_size: 256
    .name:           _ZN7rocprim17ROCPRIM_400000_NS6detail17trampoline_kernelINS0_14default_configENS1_27scan_by_key_config_selectorIidEEZZNS1_16scan_by_key_implILNS1_25lookback_scan_determinismE0ELb0ES3_N6thrust23THRUST_200600_302600_NS6detail15normal_iteratorINS9_10device_ptrIiEEEENSB_INSC_IdEEEESG_dNS9_4plusIvEENS9_8equal_toIvEEdEE10hipError_tPvRmT2_T3_T4_T5_mT6_T7_P12ihipStream_tbENKUlT_T0_E_clISt17integral_constantIbLb1EES11_EEDaSW_SX_EUlSW_E_NS1_11comp_targetILNS1_3genE9ELNS1_11target_archE1100ELNS1_3gpuE3ELNS1_3repE0EEENS1_30default_config_static_selectorELNS0_4arch9wavefront6targetE0EEEvT1_
    .private_segment_fixed_size: 0
    .sgpr_count:     0
    .sgpr_spill_count: 0
    .symbol:         _ZN7rocprim17ROCPRIM_400000_NS6detail17trampoline_kernelINS0_14default_configENS1_27scan_by_key_config_selectorIidEEZZNS1_16scan_by_key_implILNS1_25lookback_scan_determinismE0ELb0ES3_N6thrust23THRUST_200600_302600_NS6detail15normal_iteratorINS9_10device_ptrIiEEEENSB_INSC_IdEEEESG_dNS9_4plusIvEENS9_8equal_toIvEEdEE10hipError_tPvRmT2_T3_T4_T5_mT6_T7_P12ihipStream_tbENKUlT_T0_E_clISt17integral_constantIbLb1EES11_EEDaSW_SX_EUlSW_E_NS1_11comp_targetILNS1_3genE9ELNS1_11target_archE1100ELNS1_3gpuE3ELNS1_3repE0EEENS1_30default_config_static_selectorELNS0_4arch9wavefront6targetE0EEEvT1_.kd
    .uniform_work_group_size: 1
    .uses_dynamic_stack: false
    .vgpr_count:     0
    .vgpr_spill_count: 0
    .wavefront_size: 32
  - .args:
      - .offset:         0
        .size:           136
        .value_kind:     by_value
    .group_segment_fixed_size: 0
    .kernarg_segment_align: 8
    .kernarg_segment_size: 136
    .language:       OpenCL C
    .language_version:
      - 2
      - 0
    .max_flat_workgroup_size: 256
    .name:           _ZN7rocprim17ROCPRIM_400000_NS6detail17trampoline_kernelINS0_14default_configENS1_27scan_by_key_config_selectorIidEEZZNS1_16scan_by_key_implILNS1_25lookback_scan_determinismE0ELb0ES3_N6thrust23THRUST_200600_302600_NS6detail15normal_iteratorINS9_10device_ptrIiEEEENSB_INSC_IdEEEESG_dNS9_4plusIvEENS9_8equal_toIvEEdEE10hipError_tPvRmT2_T3_T4_T5_mT6_T7_P12ihipStream_tbENKUlT_T0_E_clISt17integral_constantIbLb1EES11_EEDaSW_SX_EUlSW_E_NS1_11comp_targetILNS1_3genE8ELNS1_11target_archE1030ELNS1_3gpuE2ELNS1_3repE0EEENS1_30default_config_static_selectorELNS0_4arch9wavefront6targetE0EEEvT1_
    .private_segment_fixed_size: 0
    .sgpr_count:     0
    .sgpr_spill_count: 0
    .symbol:         _ZN7rocprim17ROCPRIM_400000_NS6detail17trampoline_kernelINS0_14default_configENS1_27scan_by_key_config_selectorIidEEZZNS1_16scan_by_key_implILNS1_25lookback_scan_determinismE0ELb0ES3_N6thrust23THRUST_200600_302600_NS6detail15normal_iteratorINS9_10device_ptrIiEEEENSB_INSC_IdEEEESG_dNS9_4plusIvEENS9_8equal_toIvEEdEE10hipError_tPvRmT2_T3_T4_T5_mT6_T7_P12ihipStream_tbENKUlT_T0_E_clISt17integral_constantIbLb1EES11_EEDaSW_SX_EUlSW_E_NS1_11comp_targetILNS1_3genE8ELNS1_11target_archE1030ELNS1_3gpuE2ELNS1_3repE0EEENS1_30default_config_static_selectorELNS0_4arch9wavefront6targetE0EEEvT1_.kd
    .uniform_work_group_size: 1
    .uses_dynamic_stack: false
    .vgpr_count:     0
    .vgpr_spill_count: 0
    .wavefront_size: 32
  - .args:
      - .offset:         0
        .size:           24
        .value_kind:     by_value
      - .offset:         24
        .size:           4
        .value_kind:     by_value
      - .offset:         28
        .size:           4
        .value_kind:     by_value
      - .address_space:  global
        .offset:         32
        .size:           8
        .value_kind:     global_buffer
      - .address_space:  global
        .offset:         40
        .size:           8
        .value_kind:     global_buffer
      - .actual_access:  write_only
        .address_space:  global
        .offset:         48
        .size:           8
        .value_kind:     global_buffer
      - .offset:         56
        .size:           8
        .value_kind:     by_value
      - .offset:         64
        .size:           4
        .value_kind:     by_value
      - .offset:         68
        .size:           1
        .value_kind:     by_value
      - .offset:         72
        .size:           4
        .value_kind:     hidden_block_count_x
      - .offset:         76
        .size:           4
        .value_kind:     hidden_block_count_y
      - .offset:         80
        .size:           4
        .value_kind:     hidden_block_count_z
      - .offset:         84
        .size:           2
        .value_kind:     hidden_group_size_x
      - .offset:         86
        .size:           2
        .value_kind:     hidden_group_size_y
      - .offset:         88
        .size:           2
        .value_kind:     hidden_group_size_z
      - .offset:         90
        .size:           2
        .value_kind:     hidden_remainder_x
      - .offset:         92
        .size:           2
        .value_kind:     hidden_remainder_y
      - .offset:         94
        .size:           2
        .value_kind:     hidden_remainder_z
      - .offset:         112
        .size:           8
        .value_kind:     hidden_global_offset_x
      - .offset:         120
        .size:           8
        .value_kind:     hidden_global_offset_y
      - .offset:         128
        .size:           8
        .value_kind:     hidden_global_offset_z
      - .offset:         136
        .size:           2
        .value_kind:     hidden_grid_dims
    .group_segment_fixed_size: 0
    .kernarg_segment_align: 8
    .kernarg_segment_size: 328
    .language:       OpenCL C
    .language_version:
      - 2
      - 0
    .max_flat_workgroup_size: 256
    .name:           _ZN7rocprim17ROCPRIM_400000_NS6detail30init_device_scan_by_key_kernelINS1_19lookback_scan_stateINS0_5tupleIJdbEEELb1ELb0EEEN6thrust23THRUST_200600_302600_NS6detail15normal_iteratorINS8_10device_ptrIiEEEEjNS1_16block_id_wrapperIjLb0EEEEEvT_jjPNSG_10value_typeET0_PNSt15iterator_traitsISJ_E10value_typeEmT1_T2_
    .private_segment_fixed_size: 0
    .sgpr_count:     24
    .sgpr_spill_count: 0
    .symbol:         _ZN7rocprim17ROCPRIM_400000_NS6detail30init_device_scan_by_key_kernelINS1_19lookback_scan_stateINS0_5tupleIJdbEEELb1ELb0EEEN6thrust23THRUST_200600_302600_NS6detail15normal_iteratorINS8_10device_ptrIiEEEEjNS1_16block_id_wrapperIjLb0EEEEEvT_jjPNSG_10value_typeET0_PNSt15iterator_traitsISJ_E10value_typeEmT1_T2_.kd
    .uniform_work_group_size: 1
    .uses_dynamic_stack: false
    .vgpr_count:     7
    .vgpr_spill_count: 0
    .wavefront_size: 32
  - .args:
      - .offset:         0
        .size:           24
        .value_kind:     by_value
      - .offset:         24
        .size:           4
        .value_kind:     by_value
      - .offset:         28
        .size:           4
        .value_kind:     by_value
      - .address_space:  global
        .offset:         32
        .size:           8
        .value_kind:     global_buffer
      - .offset:         40
        .size:           1
        .value_kind:     by_value
      - .offset:         48
        .size:           4
        .value_kind:     hidden_block_count_x
      - .offset:         52
        .size:           4
        .value_kind:     hidden_block_count_y
      - .offset:         56
        .size:           4
        .value_kind:     hidden_block_count_z
      - .offset:         60
        .size:           2
        .value_kind:     hidden_group_size_x
      - .offset:         62
        .size:           2
        .value_kind:     hidden_group_size_y
      - .offset:         64
        .size:           2
        .value_kind:     hidden_group_size_z
      - .offset:         66
        .size:           2
        .value_kind:     hidden_remainder_x
      - .offset:         68
        .size:           2
        .value_kind:     hidden_remainder_y
      - .offset:         70
        .size:           2
        .value_kind:     hidden_remainder_z
      - .offset:         88
        .size:           8
        .value_kind:     hidden_global_offset_x
      - .offset:         96
        .size:           8
        .value_kind:     hidden_global_offset_y
      - .offset:         104
        .size:           8
        .value_kind:     hidden_global_offset_z
      - .offset:         112
        .size:           2
        .value_kind:     hidden_grid_dims
    .group_segment_fixed_size: 0
    .kernarg_segment_align: 8
    .kernarg_segment_size: 304
    .language:       OpenCL C
    .language_version:
      - 2
      - 0
    .max_flat_workgroup_size: 256
    .name:           _ZN7rocprim17ROCPRIM_400000_NS6detail30init_device_scan_by_key_kernelINS1_19lookback_scan_stateINS0_5tupleIJdbEEELb1ELb0EEENS1_16block_id_wrapperIjLb0EEEEEvT_jjPNS9_10value_typeET0_
    .private_segment_fixed_size: 0
    .sgpr_count:     18
    .sgpr_spill_count: 0
    .symbol:         _ZN7rocprim17ROCPRIM_400000_NS6detail30init_device_scan_by_key_kernelINS1_19lookback_scan_stateINS0_5tupleIJdbEEELb1ELb0EEENS1_16block_id_wrapperIjLb0EEEEEvT_jjPNS9_10value_typeET0_.kd
    .uniform_work_group_size: 1
    .uses_dynamic_stack: false
    .vgpr_count:     5
    .vgpr_spill_count: 0
    .wavefront_size: 32
  - .args:
      - .offset:         0
        .size:           136
        .value_kind:     by_value
    .group_segment_fixed_size: 0
    .kernarg_segment_align: 8
    .kernarg_segment_size: 136
    .language:       OpenCL C
    .language_version:
      - 2
      - 0
    .max_flat_workgroup_size: 128
    .name:           _ZN7rocprim17ROCPRIM_400000_NS6detail17trampoline_kernelINS0_14default_configENS1_27scan_by_key_config_selectorIidEEZZNS1_16scan_by_key_implILNS1_25lookback_scan_determinismE0ELb0ES3_N6thrust23THRUST_200600_302600_NS6detail15normal_iteratorINS9_10device_ptrIiEEEENSB_INSC_IdEEEESG_dNS9_4plusIvEENS9_8equal_toIvEEdEE10hipError_tPvRmT2_T3_T4_T5_mT6_T7_P12ihipStream_tbENKUlT_T0_E_clISt17integral_constantIbLb1EES10_IbLb0EEEEDaSW_SX_EUlSW_E_NS1_11comp_targetILNS1_3genE0ELNS1_11target_archE4294967295ELNS1_3gpuE0ELNS1_3repE0EEENS1_30default_config_static_selectorELNS0_4arch9wavefront6targetE0EEEvT1_
    .private_segment_fixed_size: 0
    .sgpr_count:     0
    .sgpr_spill_count: 0
    .symbol:         _ZN7rocprim17ROCPRIM_400000_NS6detail17trampoline_kernelINS0_14default_configENS1_27scan_by_key_config_selectorIidEEZZNS1_16scan_by_key_implILNS1_25lookback_scan_determinismE0ELb0ES3_N6thrust23THRUST_200600_302600_NS6detail15normal_iteratorINS9_10device_ptrIiEEEENSB_INSC_IdEEEESG_dNS9_4plusIvEENS9_8equal_toIvEEdEE10hipError_tPvRmT2_T3_T4_T5_mT6_T7_P12ihipStream_tbENKUlT_T0_E_clISt17integral_constantIbLb1EES10_IbLb0EEEEDaSW_SX_EUlSW_E_NS1_11comp_targetILNS1_3genE0ELNS1_11target_archE4294967295ELNS1_3gpuE0ELNS1_3repE0EEENS1_30default_config_static_selectorELNS0_4arch9wavefront6targetE0EEEvT1_.kd
    .uniform_work_group_size: 1
    .uses_dynamic_stack: false
    .vgpr_count:     0
    .vgpr_spill_count: 0
    .wavefront_size: 32
  - .args:
      - .offset:         0
        .size:           136
        .value_kind:     by_value
    .group_segment_fixed_size: 0
    .kernarg_segment_align: 8
    .kernarg_segment_size: 136
    .language:       OpenCL C
    .language_version:
      - 2
      - 0
    .max_flat_workgroup_size: 256
    .name:           _ZN7rocprim17ROCPRIM_400000_NS6detail17trampoline_kernelINS0_14default_configENS1_27scan_by_key_config_selectorIidEEZZNS1_16scan_by_key_implILNS1_25lookback_scan_determinismE0ELb0ES3_N6thrust23THRUST_200600_302600_NS6detail15normal_iteratorINS9_10device_ptrIiEEEENSB_INSC_IdEEEESG_dNS9_4plusIvEENS9_8equal_toIvEEdEE10hipError_tPvRmT2_T3_T4_T5_mT6_T7_P12ihipStream_tbENKUlT_T0_E_clISt17integral_constantIbLb1EES10_IbLb0EEEEDaSW_SX_EUlSW_E_NS1_11comp_targetILNS1_3genE10ELNS1_11target_archE1201ELNS1_3gpuE5ELNS1_3repE0EEENS1_30default_config_static_selectorELNS0_4arch9wavefront6targetE0EEEvT1_
    .private_segment_fixed_size: 0
    .sgpr_count:     0
    .sgpr_spill_count: 0
    .symbol:         _ZN7rocprim17ROCPRIM_400000_NS6detail17trampoline_kernelINS0_14default_configENS1_27scan_by_key_config_selectorIidEEZZNS1_16scan_by_key_implILNS1_25lookback_scan_determinismE0ELb0ES3_N6thrust23THRUST_200600_302600_NS6detail15normal_iteratorINS9_10device_ptrIiEEEENSB_INSC_IdEEEESG_dNS9_4plusIvEENS9_8equal_toIvEEdEE10hipError_tPvRmT2_T3_T4_T5_mT6_T7_P12ihipStream_tbENKUlT_T0_E_clISt17integral_constantIbLb1EES10_IbLb0EEEEDaSW_SX_EUlSW_E_NS1_11comp_targetILNS1_3genE10ELNS1_11target_archE1201ELNS1_3gpuE5ELNS1_3repE0EEENS1_30default_config_static_selectorELNS0_4arch9wavefront6targetE0EEEvT1_.kd
    .uniform_work_group_size: 1
    .uses_dynamic_stack: false
    .vgpr_count:     0
    .vgpr_spill_count: 0
    .wavefront_size: 32
  - .args:
      - .offset:         0
        .size:           136
        .value_kind:     by_value
    .group_segment_fixed_size: 0
    .kernarg_segment_align: 8
    .kernarg_segment_size: 136
    .language:       OpenCL C
    .language_version:
      - 2
      - 0
    .max_flat_workgroup_size: 256
    .name:           _ZN7rocprim17ROCPRIM_400000_NS6detail17trampoline_kernelINS0_14default_configENS1_27scan_by_key_config_selectorIidEEZZNS1_16scan_by_key_implILNS1_25lookback_scan_determinismE0ELb0ES3_N6thrust23THRUST_200600_302600_NS6detail15normal_iteratorINS9_10device_ptrIiEEEENSB_INSC_IdEEEESG_dNS9_4plusIvEENS9_8equal_toIvEEdEE10hipError_tPvRmT2_T3_T4_T5_mT6_T7_P12ihipStream_tbENKUlT_T0_E_clISt17integral_constantIbLb1EES10_IbLb0EEEEDaSW_SX_EUlSW_E_NS1_11comp_targetILNS1_3genE5ELNS1_11target_archE942ELNS1_3gpuE9ELNS1_3repE0EEENS1_30default_config_static_selectorELNS0_4arch9wavefront6targetE0EEEvT1_
    .private_segment_fixed_size: 0
    .sgpr_count:     0
    .sgpr_spill_count: 0
    .symbol:         _ZN7rocprim17ROCPRIM_400000_NS6detail17trampoline_kernelINS0_14default_configENS1_27scan_by_key_config_selectorIidEEZZNS1_16scan_by_key_implILNS1_25lookback_scan_determinismE0ELb0ES3_N6thrust23THRUST_200600_302600_NS6detail15normal_iteratorINS9_10device_ptrIiEEEENSB_INSC_IdEEEESG_dNS9_4plusIvEENS9_8equal_toIvEEdEE10hipError_tPvRmT2_T3_T4_T5_mT6_T7_P12ihipStream_tbENKUlT_T0_E_clISt17integral_constantIbLb1EES10_IbLb0EEEEDaSW_SX_EUlSW_E_NS1_11comp_targetILNS1_3genE5ELNS1_11target_archE942ELNS1_3gpuE9ELNS1_3repE0EEENS1_30default_config_static_selectorELNS0_4arch9wavefront6targetE0EEEvT1_.kd
    .uniform_work_group_size: 1
    .uses_dynamic_stack: false
    .vgpr_count:     0
    .vgpr_spill_count: 0
    .wavefront_size: 32
  - .args:
      - .offset:         0
        .size:           136
        .value_kind:     by_value
    .group_segment_fixed_size: 0
    .kernarg_segment_align: 8
    .kernarg_segment_size: 136
    .language:       OpenCL C
    .language_version:
      - 2
      - 0
    .max_flat_workgroup_size: 64
    .name:           _ZN7rocprim17ROCPRIM_400000_NS6detail17trampoline_kernelINS0_14default_configENS1_27scan_by_key_config_selectorIidEEZZNS1_16scan_by_key_implILNS1_25lookback_scan_determinismE0ELb0ES3_N6thrust23THRUST_200600_302600_NS6detail15normal_iteratorINS9_10device_ptrIiEEEENSB_INSC_IdEEEESG_dNS9_4plusIvEENS9_8equal_toIvEEdEE10hipError_tPvRmT2_T3_T4_T5_mT6_T7_P12ihipStream_tbENKUlT_T0_E_clISt17integral_constantIbLb1EES10_IbLb0EEEEDaSW_SX_EUlSW_E_NS1_11comp_targetILNS1_3genE4ELNS1_11target_archE910ELNS1_3gpuE8ELNS1_3repE0EEENS1_30default_config_static_selectorELNS0_4arch9wavefront6targetE0EEEvT1_
    .private_segment_fixed_size: 0
    .sgpr_count:     0
    .sgpr_spill_count: 0
    .symbol:         _ZN7rocprim17ROCPRIM_400000_NS6detail17trampoline_kernelINS0_14default_configENS1_27scan_by_key_config_selectorIidEEZZNS1_16scan_by_key_implILNS1_25lookback_scan_determinismE0ELb0ES3_N6thrust23THRUST_200600_302600_NS6detail15normal_iteratorINS9_10device_ptrIiEEEENSB_INSC_IdEEEESG_dNS9_4plusIvEENS9_8equal_toIvEEdEE10hipError_tPvRmT2_T3_T4_T5_mT6_T7_P12ihipStream_tbENKUlT_T0_E_clISt17integral_constantIbLb1EES10_IbLb0EEEEDaSW_SX_EUlSW_E_NS1_11comp_targetILNS1_3genE4ELNS1_11target_archE910ELNS1_3gpuE8ELNS1_3repE0EEENS1_30default_config_static_selectorELNS0_4arch9wavefront6targetE0EEEvT1_.kd
    .uniform_work_group_size: 1
    .uses_dynamic_stack: false
    .vgpr_count:     0
    .vgpr_spill_count: 0
    .wavefront_size: 32
  - .args:
      - .offset:         0
        .size:           136
        .value_kind:     by_value
    .group_segment_fixed_size: 0
    .kernarg_segment_align: 8
    .kernarg_segment_size: 136
    .language:       OpenCL C
    .language_version:
      - 2
      - 0
    .max_flat_workgroup_size: 128
    .name:           _ZN7rocprim17ROCPRIM_400000_NS6detail17trampoline_kernelINS0_14default_configENS1_27scan_by_key_config_selectorIidEEZZNS1_16scan_by_key_implILNS1_25lookback_scan_determinismE0ELb0ES3_N6thrust23THRUST_200600_302600_NS6detail15normal_iteratorINS9_10device_ptrIiEEEENSB_INSC_IdEEEESG_dNS9_4plusIvEENS9_8equal_toIvEEdEE10hipError_tPvRmT2_T3_T4_T5_mT6_T7_P12ihipStream_tbENKUlT_T0_E_clISt17integral_constantIbLb1EES10_IbLb0EEEEDaSW_SX_EUlSW_E_NS1_11comp_targetILNS1_3genE3ELNS1_11target_archE908ELNS1_3gpuE7ELNS1_3repE0EEENS1_30default_config_static_selectorELNS0_4arch9wavefront6targetE0EEEvT1_
    .private_segment_fixed_size: 0
    .sgpr_count:     0
    .sgpr_spill_count: 0
    .symbol:         _ZN7rocprim17ROCPRIM_400000_NS6detail17trampoline_kernelINS0_14default_configENS1_27scan_by_key_config_selectorIidEEZZNS1_16scan_by_key_implILNS1_25lookback_scan_determinismE0ELb0ES3_N6thrust23THRUST_200600_302600_NS6detail15normal_iteratorINS9_10device_ptrIiEEEENSB_INSC_IdEEEESG_dNS9_4plusIvEENS9_8equal_toIvEEdEE10hipError_tPvRmT2_T3_T4_T5_mT6_T7_P12ihipStream_tbENKUlT_T0_E_clISt17integral_constantIbLb1EES10_IbLb0EEEEDaSW_SX_EUlSW_E_NS1_11comp_targetILNS1_3genE3ELNS1_11target_archE908ELNS1_3gpuE7ELNS1_3repE0EEENS1_30default_config_static_selectorELNS0_4arch9wavefront6targetE0EEEvT1_.kd
    .uniform_work_group_size: 1
    .uses_dynamic_stack: false
    .vgpr_count:     0
    .vgpr_spill_count: 0
    .wavefront_size: 32
  - .args:
      - .offset:         0
        .size:           136
        .value_kind:     by_value
    .group_segment_fixed_size: 0
    .kernarg_segment_align: 8
    .kernarg_segment_size: 136
    .language:       OpenCL C
    .language_version:
      - 2
      - 0
    .max_flat_workgroup_size: 64
    .name:           _ZN7rocprim17ROCPRIM_400000_NS6detail17trampoline_kernelINS0_14default_configENS1_27scan_by_key_config_selectorIidEEZZNS1_16scan_by_key_implILNS1_25lookback_scan_determinismE0ELb0ES3_N6thrust23THRUST_200600_302600_NS6detail15normal_iteratorINS9_10device_ptrIiEEEENSB_INSC_IdEEEESG_dNS9_4plusIvEENS9_8equal_toIvEEdEE10hipError_tPvRmT2_T3_T4_T5_mT6_T7_P12ihipStream_tbENKUlT_T0_E_clISt17integral_constantIbLb1EES10_IbLb0EEEEDaSW_SX_EUlSW_E_NS1_11comp_targetILNS1_3genE2ELNS1_11target_archE906ELNS1_3gpuE6ELNS1_3repE0EEENS1_30default_config_static_selectorELNS0_4arch9wavefront6targetE0EEEvT1_
    .private_segment_fixed_size: 0
    .sgpr_count:     0
    .sgpr_spill_count: 0
    .symbol:         _ZN7rocprim17ROCPRIM_400000_NS6detail17trampoline_kernelINS0_14default_configENS1_27scan_by_key_config_selectorIidEEZZNS1_16scan_by_key_implILNS1_25lookback_scan_determinismE0ELb0ES3_N6thrust23THRUST_200600_302600_NS6detail15normal_iteratorINS9_10device_ptrIiEEEENSB_INSC_IdEEEESG_dNS9_4plusIvEENS9_8equal_toIvEEdEE10hipError_tPvRmT2_T3_T4_T5_mT6_T7_P12ihipStream_tbENKUlT_T0_E_clISt17integral_constantIbLb1EES10_IbLb0EEEEDaSW_SX_EUlSW_E_NS1_11comp_targetILNS1_3genE2ELNS1_11target_archE906ELNS1_3gpuE6ELNS1_3repE0EEENS1_30default_config_static_selectorELNS0_4arch9wavefront6targetE0EEEvT1_.kd
    .uniform_work_group_size: 1
    .uses_dynamic_stack: false
    .vgpr_count:     0
    .vgpr_spill_count: 0
    .wavefront_size: 32
  - .args:
      - .offset:         0
        .size:           136
        .value_kind:     by_value
    .group_segment_fixed_size: 0
    .kernarg_segment_align: 8
    .kernarg_segment_size: 136
    .language:       OpenCL C
    .language_version:
      - 2
      - 0
    .max_flat_workgroup_size: 256
    .name:           _ZN7rocprim17ROCPRIM_400000_NS6detail17trampoline_kernelINS0_14default_configENS1_27scan_by_key_config_selectorIidEEZZNS1_16scan_by_key_implILNS1_25lookback_scan_determinismE0ELb0ES3_N6thrust23THRUST_200600_302600_NS6detail15normal_iteratorINS9_10device_ptrIiEEEENSB_INSC_IdEEEESG_dNS9_4plusIvEENS9_8equal_toIvEEdEE10hipError_tPvRmT2_T3_T4_T5_mT6_T7_P12ihipStream_tbENKUlT_T0_E_clISt17integral_constantIbLb1EES10_IbLb0EEEEDaSW_SX_EUlSW_E_NS1_11comp_targetILNS1_3genE10ELNS1_11target_archE1200ELNS1_3gpuE4ELNS1_3repE0EEENS1_30default_config_static_selectorELNS0_4arch9wavefront6targetE0EEEvT1_
    .private_segment_fixed_size: 0
    .sgpr_count:     0
    .sgpr_spill_count: 0
    .symbol:         _ZN7rocprim17ROCPRIM_400000_NS6detail17trampoline_kernelINS0_14default_configENS1_27scan_by_key_config_selectorIidEEZZNS1_16scan_by_key_implILNS1_25lookback_scan_determinismE0ELb0ES3_N6thrust23THRUST_200600_302600_NS6detail15normal_iteratorINS9_10device_ptrIiEEEENSB_INSC_IdEEEESG_dNS9_4plusIvEENS9_8equal_toIvEEdEE10hipError_tPvRmT2_T3_T4_T5_mT6_T7_P12ihipStream_tbENKUlT_T0_E_clISt17integral_constantIbLb1EES10_IbLb0EEEEDaSW_SX_EUlSW_E_NS1_11comp_targetILNS1_3genE10ELNS1_11target_archE1200ELNS1_3gpuE4ELNS1_3repE0EEENS1_30default_config_static_selectorELNS0_4arch9wavefront6targetE0EEEvT1_.kd
    .uniform_work_group_size: 1
    .uses_dynamic_stack: false
    .vgpr_count:     0
    .vgpr_spill_count: 0
    .wavefront_size: 32
  - .args:
      - .offset:         0
        .size:           136
        .value_kind:     by_value
    .group_segment_fixed_size: 0
    .kernarg_segment_align: 8
    .kernarg_segment_size: 136
    .language:       OpenCL C
    .language_version:
      - 2
      - 0
    .max_flat_workgroup_size: 256
    .name:           _ZN7rocprim17ROCPRIM_400000_NS6detail17trampoline_kernelINS0_14default_configENS1_27scan_by_key_config_selectorIidEEZZNS1_16scan_by_key_implILNS1_25lookback_scan_determinismE0ELb0ES3_N6thrust23THRUST_200600_302600_NS6detail15normal_iteratorINS9_10device_ptrIiEEEENSB_INSC_IdEEEESG_dNS9_4plusIvEENS9_8equal_toIvEEdEE10hipError_tPvRmT2_T3_T4_T5_mT6_T7_P12ihipStream_tbENKUlT_T0_E_clISt17integral_constantIbLb1EES10_IbLb0EEEEDaSW_SX_EUlSW_E_NS1_11comp_targetILNS1_3genE9ELNS1_11target_archE1100ELNS1_3gpuE3ELNS1_3repE0EEENS1_30default_config_static_selectorELNS0_4arch9wavefront6targetE0EEEvT1_
    .private_segment_fixed_size: 0
    .sgpr_count:     0
    .sgpr_spill_count: 0
    .symbol:         _ZN7rocprim17ROCPRIM_400000_NS6detail17trampoline_kernelINS0_14default_configENS1_27scan_by_key_config_selectorIidEEZZNS1_16scan_by_key_implILNS1_25lookback_scan_determinismE0ELb0ES3_N6thrust23THRUST_200600_302600_NS6detail15normal_iteratorINS9_10device_ptrIiEEEENSB_INSC_IdEEEESG_dNS9_4plusIvEENS9_8equal_toIvEEdEE10hipError_tPvRmT2_T3_T4_T5_mT6_T7_P12ihipStream_tbENKUlT_T0_E_clISt17integral_constantIbLb1EES10_IbLb0EEEEDaSW_SX_EUlSW_E_NS1_11comp_targetILNS1_3genE9ELNS1_11target_archE1100ELNS1_3gpuE3ELNS1_3repE0EEENS1_30default_config_static_selectorELNS0_4arch9wavefront6targetE0EEEvT1_.kd
    .uniform_work_group_size: 1
    .uses_dynamic_stack: false
    .vgpr_count:     0
    .vgpr_spill_count: 0
    .wavefront_size: 32
  - .args:
      - .offset:         0
        .size:           136
        .value_kind:     by_value
    .group_segment_fixed_size: 0
    .kernarg_segment_align: 8
    .kernarg_segment_size: 136
    .language:       OpenCL C
    .language_version:
      - 2
      - 0
    .max_flat_workgroup_size: 256
    .name:           _ZN7rocprim17ROCPRIM_400000_NS6detail17trampoline_kernelINS0_14default_configENS1_27scan_by_key_config_selectorIidEEZZNS1_16scan_by_key_implILNS1_25lookback_scan_determinismE0ELb0ES3_N6thrust23THRUST_200600_302600_NS6detail15normal_iteratorINS9_10device_ptrIiEEEENSB_INSC_IdEEEESG_dNS9_4plusIvEENS9_8equal_toIvEEdEE10hipError_tPvRmT2_T3_T4_T5_mT6_T7_P12ihipStream_tbENKUlT_T0_E_clISt17integral_constantIbLb1EES10_IbLb0EEEEDaSW_SX_EUlSW_E_NS1_11comp_targetILNS1_3genE8ELNS1_11target_archE1030ELNS1_3gpuE2ELNS1_3repE0EEENS1_30default_config_static_selectorELNS0_4arch9wavefront6targetE0EEEvT1_
    .private_segment_fixed_size: 0
    .sgpr_count:     0
    .sgpr_spill_count: 0
    .symbol:         _ZN7rocprim17ROCPRIM_400000_NS6detail17trampoline_kernelINS0_14default_configENS1_27scan_by_key_config_selectorIidEEZZNS1_16scan_by_key_implILNS1_25lookback_scan_determinismE0ELb0ES3_N6thrust23THRUST_200600_302600_NS6detail15normal_iteratorINS9_10device_ptrIiEEEENSB_INSC_IdEEEESG_dNS9_4plusIvEENS9_8equal_toIvEEdEE10hipError_tPvRmT2_T3_T4_T5_mT6_T7_P12ihipStream_tbENKUlT_T0_E_clISt17integral_constantIbLb1EES10_IbLb0EEEEDaSW_SX_EUlSW_E_NS1_11comp_targetILNS1_3genE8ELNS1_11target_archE1030ELNS1_3gpuE2ELNS1_3repE0EEENS1_30default_config_static_selectorELNS0_4arch9wavefront6targetE0EEEvT1_.kd
    .uniform_work_group_size: 1
    .uses_dynamic_stack: false
    .vgpr_count:     0
    .vgpr_spill_count: 0
    .wavefront_size: 32
  - .args:
      - .offset:         0
        .size:           24
        .value_kind:     by_value
      - .offset:         24
        .size:           4
        .value_kind:     by_value
      - .offset:         28
        .size:           4
        .value_kind:     by_value
      - .address_space:  global
        .offset:         32
        .size:           8
        .value_kind:     global_buffer
      - .address_space:  global
        .offset:         40
        .size:           8
        .value_kind:     global_buffer
      - .actual_access:  write_only
        .address_space:  global
        .offset:         48
        .size:           8
        .value_kind:     global_buffer
      - .offset:         56
        .size:           8
        .value_kind:     by_value
      - .offset:         64
        .size:           4
        .value_kind:     by_value
      - .address_space:  global
        .offset:         72
        .size:           8
        .value_kind:     global_buffer
      - .offset:         80
        .size:           4
        .value_kind:     hidden_block_count_x
      - .offset:         84
        .size:           4
        .value_kind:     hidden_block_count_y
      - .offset:         88
        .size:           4
        .value_kind:     hidden_block_count_z
      - .offset:         92
        .size:           2
        .value_kind:     hidden_group_size_x
      - .offset:         94
        .size:           2
        .value_kind:     hidden_group_size_y
      - .offset:         96
        .size:           2
        .value_kind:     hidden_group_size_z
      - .offset:         98
        .size:           2
        .value_kind:     hidden_remainder_x
      - .offset:         100
        .size:           2
        .value_kind:     hidden_remainder_y
      - .offset:         102
        .size:           2
        .value_kind:     hidden_remainder_z
      - .offset:         120
        .size:           8
        .value_kind:     hidden_global_offset_x
      - .offset:         128
        .size:           8
        .value_kind:     hidden_global_offset_y
      - .offset:         136
        .size:           8
        .value_kind:     hidden_global_offset_z
      - .offset:         144
        .size:           2
        .value_kind:     hidden_grid_dims
    .group_segment_fixed_size: 0
    .kernarg_segment_align: 8
    .kernarg_segment_size: 336
    .language:       OpenCL C
    .language_version:
      - 2
      - 0
    .max_flat_workgroup_size: 256
    .name:           _ZN7rocprim17ROCPRIM_400000_NS6detail30init_device_scan_by_key_kernelINS1_19lookback_scan_stateINS0_5tupleIJdbEEELb0ELb0EEEN6thrust23THRUST_200600_302600_NS6detail15normal_iteratorINS8_10device_ptrIiEEEEjNS1_16block_id_wrapperIjLb1EEEEEvT_jjPNSG_10value_typeET0_PNSt15iterator_traitsISJ_E10value_typeEmT1_T2_
    .private_segment_fixed_size: 0
    .sgpr_count:     23
    .sgpr_spill_count: 0
    .symbol:         _ZN7rocprim17ROCPRIM_400000_NS6detail30init_device_scan_by_key_kernelINS1_19lookback_scan_stateINS0_5tupleIJdbEEELb0ELb0EEEN6thrust23THRUST_200600_302600_NS6detail15normal_iteratorINS8_10device_ptrIiEEEEjNS1_16block_id_wrapperIjLb1EEEEEvT_jjPNSG_10value_typeET0_PNSt15iterator_traitsISJ_E10value_typeEmT1_T2_.kd
    .uniform_work_group_size: 1
    .uses_dynamic_stack: false
    .vgpr_count:     7
    .vgpr_spill_count: 0
    .wavefront_size: 32
  - .args:
      - .offset:         0
        .size:           24
        .value_kind:     by_value
      - .offset:         24
        .size:           4
        .value_kind:     by_value
      - .offset:         28
        .size:           4
        .value_kind:     by_value
      - .address_space:  global
        .offset:         32
        .size:           8
        .value_kind:     global_buffer
      - .address_space:  global
        .offset:         40
        .size:           8
        .value_kind:     global_buffer
      - .offset:         48
        .size:           4
        .value_kind:     hidden_block_count_x
      - .offset:         52
        .size:           4
        .value_kind:     hidden_block_count_y
      - .offset:         56
        .size:           4
        .value_kind:     hidden_block_count_z
      - .offset:         60
        .size:           2
        .value_kind:     hidden_group_size_x
      - .offset:         62
        .size:           2
        .value_kind:     hidden_group_size_y
      - .offset:         64
        .size:           2
        .value_kind:     hidden_group_size_z
      - .offset:         66
        .size:           2
        .value_kind:     hidden_remainder_x
      - .offset:         68
        .size:           2
        .value_kind:     hidden_remainder_y
      - .offset:         70
        .size:           2
        .value_kind:     hidden_remainder_z
      - .offset:         88
        .size:           8
        .value_kind:     hidden_global_offset_x
      - .offset:         96
        .size:           8
        .value_kind:     hidden_global_offset_y
      - .offset:         104
        .size:           8
        .value_kind:     hidden_global_offset_z
      - .offset:         112
        .size:           2
        .value_kind:     hidden_grid_dims
    .group_segment_fixed_size: 0
    .kernarg_segment_align: 8
    .kernarg_segment_size: 304
    .language:       OpenCL C
    .language_version:
      - 2
      - 0
    .max_flat_workgroup_size: 256
    .name:           _ZN7rocprim17ROCPRIM_400000_NS6detail30init_device_scan_by_key_kernelINS1_19lookback_scan_stateINS0_5tupleIJdbEEELb0ELb0EEENS1_16block_id_wrapperIjLb1EEEEEvT_jjPNS9_10value_typeET0_
    .private_segment_fixed_size: 0
    .sgpr_count:     19
    .sgpr_spill_count: 0
    .symbol:         _ZN7rocprim17ROCPRIM_400000_NS6detail30init_device_scan_by_key_kernelINS1_19lookback_scan_stateINS0_5tupleIJdbEEELb0ELb0EEENS1_16block_id_wrapperIjLb1EEEEEvT_jjPNS9_10value_typeET0_.kd
    .uniform_work_group_size: 1
    .uses_dynamic_stack: false
    .vgpr_count:     5
    .vgpr_spill_count: 0
    .wavefront_size: 32
  - .args:
      - .offset:         0
        .size:           136
        .value_kind:     by_value
    .group_segment_fixed_size: 10240
    .kernarg_segment_align: 8
    .kernarg_segment_size: 136
    .language:       OpenCL C
    .language_version:
      - 2
      - 0
    .max_flat_workgroup_size: 128
    .name:           _ZN7rocprim17ROCPRIM_400000_NS6detail17trampoline_kernelINS0_14default_configENS1_27scan_by_key_config_selectorIidEEZZNS1_16scan_by_key_implILNS1_25lookback_scan_determinismE0ELb0ES3_N6thrust23THRUST_200600_302600_NS6detail15normal_iteratorINS9_10device_ptrIiEEEENSB_INSC_IdEEEESG_dNS9_4plusIvEENS9_8equal_toIvEEdEE10hipError_tPvRmT2_T3_T4_T5_mT6_T7_P12ihipStream_tbENKUlT_T0_E_clISt17integral_constantIbLb0EES10_IbLb1EEEEDaSW_SX_EUlSW_E_NS1_11comp_targetILNS1_3genE0ELNS1_11target_archE4294967295ELNS1_3gpuE0ELNS1_3repE0EEENS1_30default_config_static_selectorELNS0_4arch9wavefront6targetE0EEEvT1_
    .private_segment_fixed_size: 0
    .sgpr_count:     48
    .sgpr_spill_count: 0
    .symbol:         _ZN7rocprim17ROCPRIM_400000_NS6detail17trampoline_kernelINS0_14default_configENS1_27scan_by_key_config_selectorIidEEZZNS1_16scan_by_key_implILNS1_25lookback_scan_determinismE0ELb0ES3_N6thrust23THRUST_200600_302600_NS6detail15normal_iteratorINS9_10device_ptrIiEEEENSB_INSC_IdEEEESG_dNS9_4plusIvEENS9_8equal_toIvEEdEE10hipError_tPvRmT2_T3_T4_T5_mT6_T7_P12ihipStream_tbENKUlT_T0_E_clISt17integral_constantIbLb0EES10_IbLb1EEEEDaSW_SX_EUlSW_E_NS1_11comp_targetILNS1_3genE0ELNS1_11target_archE4294967295ELNS1_3gpuE0ELNS1_3repE0EEENS1_30default_config_static_selectorELNS0_4arch9wavefront6targetE0EEEvT1_.kd
    .uniform_work_group_size: 1
    .uses_dynamic_stack: false
    .vgpr_count:     73
    .vgpr_spill_count: 0
    .wavefront_size: 32
  - .args:
      - .offset:         0
        .size:           136
        .value_kind:     by_value
    .group_segment_fixed_size: 0
    .kernarg_segment_align: 8
    .kernarg_segment_size: 136
    .language:       OpenCL C
    .language_version:
      - 2
      - 0
    .max_flat_workgroup_size: 256
    .name:           _ZN7rocprim17ROCPRIM_400000_NS6detail17trampoline_kernelINS0_14default_configENS1_27scan_by_key_config_selectorIidEEZZNS1_16scan_by_key_implILNS1_25lookback_scan_determinismE0ELb0ES3_N6thrust23THRUST_200600_302600_NS6detail15normal_iteratorINS9_10device_ptrIiEEEENSB_INSC_IdEEEESG_dNS9_4plusIvEENS9_8equal_toIvEEdEE10hipError_tPvRmT2_T3_T4_T5_mT6_T7_P12ihipStream_tbENKUlT_T0_E_clISt17integral_constantIbLb0EES10_IbLb1EEEEDaSW_SX_EUlSW_E_NS1_11comp_targetILNS1_3genE10ELNS1_11target_archE1201ELNS1_3gpuE5ELNS1_3repE0EEENS1_30default_config_static_selectorELNS0_4arch9wavefront6targetE0EEEvT1_
    .private_segment_fixed_size: 0
    .sgpr_count:     0
    .sgpr_spill_count: 0
    .symbol:         _ZN7rocprim17ROCPRIM_400000_NS6detail17trampoline_kernelINS0_14default_configENS1_27scan_by_key_config_selectorIidEEZZNS1_16scan_by_key_implILNS1_25lookback_scan_determinismE0ELb0ES3_N6thrust23THRUST_200600_302600_NS6detail15normal_iteratorINS9_10device_ptrIiEEEENSB_INSC_IdEEEESG_dNS9_4plusIvEENS9_8equal_toIvEEdEE10hipError_tPvRmT2_T3_T4_T5_mT6_T7_P12ihipStream_tbENKUlT_T0_E_clISt17integral_constantIbLb0EES10_IbLb1EEEEDaSW_SX_EUlSW_E_NS1_11comp_targetILNS1_3genE10ELNS1_11target_archE1201ELNS1_3gpuE5ELNS1_3repE0EEENS1_30default_config_static_selectorELNS0_4arch9wavefront6targetE0EEEvT1_.kd
    .uniform_work_group_size: 1
    .uses_dynamic_stack: false
    .vgpr_count:     0
    .vgpr_spill_count: 0
    .wavefront_size: 32
  - .args:
      - .offset:         0
        .size:           136
        .value_kind:     by_value
    .group_segment_fixed_size: 0
    .kernarg_segment_align: 8
    .kernarg_segment_size: 136
    .language:       OpenCL C
    .language_version:
      - 2
      - 0
    .max_flat_workgroup_size: 256
    .name:           _ZN7rocprim17ROCPRIM_400000_NS6detail17trampoline_kernelINS0_14default_configENS1_27scan_by_key_config_selectorIidEEZZNS1_16scan_by_key_implILNS1_25lookback_scan_determinismE0ELb0ES3_N6thrust23THRUST_200600_302600_NS6detail15normal_iteratorINS9_10device_ptrIiEEEENSB_INSC_IdEEEESG_dNS9_4plusIvEENS9_8equal_toIvEEdEE10hipError_tPvRmT2_T3_T4_T5_mT6_T7_P12ihipStream_tbENKUlT_T0_E_clISt17integral_constantIbLb0EES10_IbLb1EEEEDaSW_SX_EUlSW_E_NS1_11comp_targetILNS1_3genE5ELNS1_11target_archE942ELNS1_3gpuE9ELNS1_3repE0EEENS1_30default_config_static_selectorELNS0_4arch9wavefront6targetE0EEEvT1_
    .private_segment_fixed_size: 0
    .sgpr_count:     0
    .sgpr_spill_count: 0
    .symbol:         _ZN7rocprim17ROCPRIM_400000_NS6detail17trampoline_kernelINS0_14default_configENS1_27scan_by_key_config_selectorIidEEZZNS1_16scan_by_key_implILNS1_25lookback_scan_determinismE0ELb0ES3_N6thrust23THRUST_200600_302600_NS6detail15normal_iteratorINS9_10device_ptrIiEEEENSB_INSC_IdEEEESG_dNS9_4plusIvEENS9_8equal_toIvEEdEE10hipError_tPvRmT2_T3_T4_T5_mT6_T7_P12ihipStream_tbENKUlT_T0_E_clISt17integral_constantIbLb0EES10_IbLb1EEEEDaSW_SX_EUlSW_E_NS1_11comp_targetILNS1_3genE5ELNS1_11target_archE942ELNS1_3gpuE9ELNS1_3repE0EEENS1_30default_config_static_selectorELNS0_4arch9wavefront6targetE0EEEvT1_.kd
    .uniform_work_group_size: 1
    .uses_dynamic_stack: false
    .vgpr_count:     0
    .vgpr_spill_count: 0
    .wavefront_size: 32
  - .args:
      - .offset:         0
        .size:           136
        .value_kind:     by_value
    .group_segment_fixed_size: 0
    .kernarg_segment_align: 8
    .kernarg_segment_size: 136
    .language:       OpenCL C
    .language_version:
      - 2
      - 0
    .max_flat_workgroup_size: 64
    .name:           _ZN7rocprim17ROCPRIM_400000_NS6detail17trampoline_kernelINS0_14default_configENS1_27scan_by_key_config_selectorIidEEZZNS1_16scan_by_key_implILNS1_25lookback_scan_determinismE0ELb0ES3_N6thrust23THRUST_200600_302600_NS6detail15normal_iteratorINS9_10device_ptrIiEEEENSB_INSC_IdEEEESG_dNS9_4plusIvEENS9_8equal_toIvEEdEE10hipError_tPvRmT2_T3_T4_T5_mT6_T7_P12ihipStream_tbENKUlT_T0_E_clISt17integral_constantIbLb0EES10_IbLb1EEEEDaSW_SX_EUlSW_E_NS1_11comp_targetILNS1_3genE4ELNS1_11target_archE910ELNS1_3gpuE8ELNS1_3repE0EEENS1_30default_config_static_selectorELNS0_4arch9wavefront6targetE0EEEvT1_
    .private_segment_fixed_size: 0
    .sgpr_count:     0
    .sgpr_spill_count: 0
    .symbol:         _ZN7rocprim17ROCPRIM_400000_NS6detail17trampoline_kernelINS0_14default_configENS1_27scan_by_key_config_selectorIidEEZZNS1_16scan_by_key_implILNS1_25lookback_scan_determinismE0ELb0ES3_N6thrust23THRUST_200600_302600_NS6detail15normal_iteratorINS9_10device_ptrIiEEEENSB_INSC_IdEEEESG_dNS9_4plusIvEENS9_8equal_toIvEEdEE10hipError_tPvRmT2_T3_T4_T5_mT6_T7_P12ihipStream_tbENKUlT_T0_E_clISt17integral_constantIbLb0EES10_IbLb1EEEEDaSW_SX_EUlSW_E_NS1_11comp_targetILNS1_3genE4ELNS1_11target_archE910ELNS1_3gpuE8ELNS1_3repE0EEENS1_30default_config_static_selectorELNS0_4arch9wavefront6targetE0EEEvT1_.kd
    .uniform_work_group_size: 1
    .uses_dynamic_stack: false
    .vgpr_count:     0
    .vgpr_spill_count: 0
    .wavefront_size: 32
  - .args:
      - .offset:         0
        .size:           136
        .value_kind:     by_value
    .group_segment_fixed_size: 0
    .kernarg_segment_align: 8
    .kernarg_segment_size: 136
    .language:       OpenCL C
    .language_version:
      - 2
      - 0
    .max_flat_workgroup_size: 128
    .name:           _ZN7rocprim17ROCPRIM_400000_NS6detail17trampoline_kernelINS0_14default_configENS1_27scan_by_key_config_selectorIidEEZZNS1_16scan_by_key_implILNS1_25lookback_scan_determinismE0ELb0ES3_N6thrust23THRUST_200600_302600_NS6detail15normal_iteratorINS9_10device_ptrIiEEEENSB_INSC_IdEEEESG_dNS9_4plusIvEENS9_8equal_toIvEEdEE10hipError_tPvRmT2_T3_T4_T5_mT6_T7_P12ihipStream_tbENKUlT_T0_E_clISt17integral_constantIbLb0EES10_IbLb1EEEEDaSW_SX_EUlSW_E_NS1_11comp_targetILNS1_3genE3ELNS1_11target_archE908ELNS1_3gpuE7ELNS1_3repE0EEENS1_30default_config_static_selectorELNS0_4arch9wavefront6targetE0EEEvT1_
    .private_segment_fixed_size: 0
    .sgpr_count:     0
    .sgpr_spill_count: 0
    .symbol:         _ZN7rocprim17ROCPRIM_400000_NS6detail17trampoline_kernelINS0_14default_configENS1_27scan_by_key_config_selectorIidEEZZNS1_16scan_by_key_implILNS1_25lookback_scan_determinismE0ELb0ES3_N6thrust23THRUST_200600_302600_NS6detail15normal_iteratorINS9_10device_ptrIiEEEENSB_INSC_IdEEEESG_dNS9_4plusIvEENS9_8equal_toIvEEdEE10hipError_tPvRmT2_T3_T4_T5_mT6_T7_P12ihipStream_tbENKUlT_T0_E_clISt17integral_constantIbLb0EES10_IbLb1EEEEDaSW_SX_EUlSW_E_NS1_11comp_targetILNS1_3genE3ELNS1_11target_archE908ELNS1_3gpuE7ELNS1_3repE0EEENS1_30default_config_static_selectorELNS0_4arch9wavefront6targetE0EEEvT1_.kd
    .uniform_work_group_size: 1
    .uses_dynamic_stack: false
    .vgpr_count:     0
    .vgpr_spill_count: 0
    .wavefront_size: 32
  - .args:
      - .offset:         0
        .size:           136
        .value_kind:     by_value
    .group_segment_fixed_size: 0
    .kernarg_segment_align: 8
    .kernarg_segment_size: 136
    .language:       OpenCL C
    .language_version:
      - 2
      - 0
    .max_flat_workgroup_size: 64
    .name:           _ZN7rocprim17ROCPRIM_400000_NS6detail17trampoline_kernelINS0_14default_configENS1_27scan_by_key_config_selectorIidEEZZNS1_16scan_by_key_implILNS1_25lookback_scan_determinismE0ELb0ES3_N6thrust23THRUST_200600_302600_NS6detail15normal_iteratorINS9_10device_ptrIiEEEENSB_INSC_IdEEEESG_dNS9_4plusIvEENS9_8equal_toIvEEdEE10hipError_tPvRmT2_T3_T4_T5_mT6_T7_P12ihipStream_tbENKUlT_T0_E_clISt17integral_constantIbLb0EES10_IbLb1EEEEDaSW_SX_EUlSW_E_NS1_11comp_targetILNS1_3genE2ELNS1_11target_archE906ELNS1_3gpuE6ELNS1_3repE0EEENS1_30default_config_static_selectorELNS0_4arch9wavefront6targetE0EEEvT1_
    .private_segment_fixed_size: 0
    .sgpr_count:     0
    .sgpr_spill_count: 0
    .symbol:         _ZN7rocprim17ROCPRIM_400000_NS6detail17trampoline_kernelINS0_14default_configENS1_27scan_by_key_config_selectorIidEEZZNS1_16scan_by_key_implILNS1_25lookback_scan_determinismE0ELb0ES3_N6thrust23THRUST_200600_302600_NS6detail15normal_iteratorINS9_10device_ptrIiEEEENSB_INSC_IdEEEESG_dNS9_4plusIvEENS9_8equal_toIvEEdEE10hipError_tPvRmT2_T3_T4_T5_mT6_T7_P12ihipStream_tbENKUlT_T0_E_clISt17integral_constantIbLb0EES10_IbLb1EEEEDaSW_SX_EUlSW_E_NS1_11comp_targetILNS1_3genE2ELNS1_11target_archE906ELNS1_3gpuE6ELNS1_3repE0EEENS1_30default_config_static_selectorELNS0_4arch9wavefront6targetE0EEEvT1_.kd
    .uniform_work_group_size: 1
    .uses_dynamic_stack: false
    .vgpr_count:     0
    .vgpr_spill_count: 0
    .wavefront_size: 32
  - .args:
      - .offset:         0
        .size:           136
        .value_kind:     by_value
    .group_segment_fixed_size: 0
    .kernarg_segment_align: 8
    .kernarg_segment_size: 136
    .language:       OpenCL C
    .language_version:
      - 2
      - 0
    .max_flat_workgroup_size: 256
    .name:           _ZN7rocprim17ROCPRIM_400000_NS6detail17trampoline_kernelINS0_14default_configENS1_27scan_by_key_config_selectorIidEEZZNS1_16scan_by_key_implILNS1_25lookback_scan_determinismE0ELb0ES3_N6thrust23THRUST_200600_302600_NS6detail15normal_iteratorINS9_10device_ptrIiEEEENSB_INSC_IdEEEESG_dNS9_4plusIvEENS9_8equal_toIvEEdEE10hipError_tPvRmT2_T3_T4_T5_mT6_T7_P12ihipStream_tbENKUlT_T0_E_clISt17integral_constantIbLb0EES10_IbLb1EEEEDaSW_SX_EUlSW_E_NS1_11comp_targetILNS1_3genE10ELNS1_11target_archE1200ELNS1_3gpuE4ELNS1_3repE0EEENS1_30default_config_static_selectorELNS0_4arch9wavefront6targetE0EEEvT1_
    .private_segment_fixed_size: 0
    .sgpr_count:     0
    .sgpr_spill_count: 0
    .symbol:         _ZN7rocprim17ROCPRIM_400000_NS6detail17trampoline_kernelINS0_14default_configENS1_27scan_by_key_config_selectorIidEEZZNS1_16scan_by_key_implILNS1_25lookback_scan_determinismE0ELb0ES3_N6thrust23THRUST_200600_302600_NS6detail15normal_iteratorINS9_10device_ptrIiEEEENSB_INSC_IdEEEESG_dNS9_4plusIvEENS9_8equal_toIvEEdEE10hipError_tPvRmT2_T3_T4_T5_mT6_T7_P12ihipStream_tbENKUlT_T0_E_clISt17integral_constantIbLb0EES10_IbLb1EEEEDaSW_SX_EUlSW_E_NS1_11comp_targetILNS1_3genE10ELNS1_11target_archE1200ELNS1_3gpuE4ELNS1_3repE0EEENS1_30default_config_static_selectorELNS0_4arch9wavefront6targetE0EEEvT1_.kd
    .uniform_work_group_size: 1
    .uses_dynamic_stack: false
    .vgpr_count:     0
    .vgpr_spill_count: 0
    .wavefront_size: 32
  - .args:
      - .offset:         0
        .size:           136
        .value_kind:     by_value
    .group_segment_fixed_size: 0
    .kernarg_segment_align: 8
    .kernarg_segment_size: 136
    .language:       OpenCL C
    .language_version:
      - 2
      - 0
    .max_flat_workgroup_size: 256
    .name:           _ZN7rocprim17ROCPRIM_400000_NS6detail17trampoline_kernelINS0_14default_configENS1_27scan_by_key_config_selectorIidEEZZNS1_16scan_by_key_implILNS1_25lookback_scan_determinismE0ELb0ES3_N6thrust23THRUST_200600_302600_NS6detail15normal_iteratorINS9_10device_ptrIiEEEENSB_INSC_IdEEEESG_dNS9_4plusIvEENS9_8equal_toIvEEdEE10hipError_tPvRmT2_T3_T4_T5_mT6_T7_P12ihipStream_tbENKUlT_T0_E_clISt17integral_constantIbLb0EES10_IbLb1EEEEDaSW_SX_EUlSW_E_NS1_11comp_targetILNS1_3genE9ELNS1_11target_archE1100ELNS1_3gpuE3ELNS1_3repE0EEENS1_30default_config_static_selectorELNS0_4arch9wavefront6targetE0EEEvT1_
    .private_segment_fixed_size: 0
    .sgpr_count:     0
    .sgpr_spill_count: 0
    .symbol:         _ZN7rocprim17ROCPRIM_400000_NS6detail17trampoline_kernelINS0_14default_configENS1_27scan_by_key_config_selectorIidEEZZNS1_16scan_by_key_implILNS1_25lookback_scan_determinismE0ELb0ES3_N6thrust23THRUST_200600_302600_NS6detail15normal_iteratorINS9_10device_ptrIiEEEENSB_INSC_IdEEEESG_dNS9_4plusIvEENS9_8equal_toIvEEdEE10hipError_tPvRmT2_T3_T4_T5_mT6_T7_P12ihipStream_tbENKUlT_T0_E_clISt17integral_constantIbLb0EES10_IbLb1EEEEDaSW_SX_EUlSW_E_NS1_11comp_targetILNS1_3genE9ELNS1_11target_archE1100ELNS1_3gpuE3ELNS1_3repE0EEENS1_30default_config_static_selectorELNS0_4arch9wavefront6targetE0EEEvT1_.kd
    .uniform_work_group_size: 1
    .uses_dynamic_stack: false
    .vgpr_count:     0
    .vgpr_spill_count: 0
    .wavefront_size: 32
  - .args:
      - .offset:         0
        .size:           136
        .value_kind:     by_value
    .group_segment_fixed_size: 0
    .kernarg_segment_align: 8
    .kernarg_segment_size: 136
    .language:       OpenCL C
    .language_version:
      - 2
      - 0
    .max_flat_workgroup_size: 256
    .name:           _ZN7rocprim17ROCPRIM_400000_NS6detail17trampoline_kernelINS0_14default_configENS1_27scan_by_key_config_selectorIidEEZZNS1_16scan_by_key_implILNS1_25lookback_scan_determinismE0ELb0ES3_N6thrust23THRUST_200600_302600_NS6detail15normal_iteratorINS9_10device_ptrIiEEEENSB_INSC_IdEEEESG_dNS9_4plusIvEENS9_8equal_toIvEEdEE10hipError_tPvRmT2_T3_T4_T5_mT6_T7_P12ihipStream_tbENKUlT_T0_E_clISt17integral_constantIbLb0EES10_IbLb1EEEEDaSW_SX_EUlSW_E_NS1_11comp_targetILNS1_3genE8ELNS1_11target_archE1030ELNS1_3gpuE2ELNS1_3repE0EEENS1_30default_config_static_selectorELNS0_4arch9wavefront6targetE0EEEvT1_
    .private_segment_fixed_size: 0
    .sgpr_count:     0
    .sgpr_spill_count: 0
    .symbol:         _ZN7rocprim17ROCPRIM_400000_NS6detail17trampoline_kernelINS0_14default_configENS1_27scan_by_key_config_selectorIidEEZZNS1_16scan_by_key_implILNS1_25lookback_scan_determinismE0ELb0ES3_N6thrust23THRUST_200600_302600_NS6detail15normal_iteratorINS9_10device_ptrIiEEEENSB_INSC_IdEEEESG_dNS9_4plusIvEENS9_8equal_toIvEEdEE10hipError_tPvRmT2_T3_T4_T5_mT6_T7_P12ihipStream_tbENKUlT_T0_E_clISt17integral_constantIbLb0EES10_IbLb1EEEEDaSW_SX_EUlSW_E_NS1_11comp_targetILNS1_3genE8ELNS1_11target_archE1030ELNS1_3gpuE2ELNS1_3repE0EEENS1_30default_config_static_selectorELNS0_4arch9wavefront6targetE0EEEvT1_.kd
    .uniform_work_group_size: 1
    .uses_dynamic_stack: false
    .vgpr_count:     0
    .vgpr_spill_count: 0
    .wavefront_size: 32
  - .args:
      - .offset:         0
        .size:           24
        .value_kind:     by_value
      - .offset:         24
        .size:           8
        .value_kind:     by_value
      - .offset:         32
        .size:           8
        .value_kind:     by_value
    .group_segment_fixed_size: 0
    .kernarg_segment_align: 8
    .kernarg_segment_size: 40
    .language:       OpenCL C
    .language_version:
      - 2
      - 0
    .max_flat_workgroup_size: 256
    .name:           _ZN6thrust23THRUST_200600_302600_NS11hip_rocprim14__parallel_for6kernelILj256ENS1_11__transform17unary_transform_fINS0_7pointerIiNS1_3tagENS0_11use_defaultES8_EENS0_10device_ptrIfEENS4_14no_stencil_tagENS0_8identityIiEENS4_21always_true_predicateEEElLj1EEEvT0_T1_SI_
    .private_segment_fixed_size: 0
    .sgpr_count:     11
    .sgpr_spill_count: 0
    .symbol:         _ZN6thrust23THRUST_200600_302600_NS11hip_rocprim14__parallel_for6kernelILj256ENS1_11__transform17unary_transform_fINS0_7pointerIiNS1_3tagENS0_11use_defaultES8_EENS0_10device_ptrIfEENS4_14no_stencil_tagENS0_8identityIiEENS4_21always_true_predicateEEElLj1EEEvT0_T1_SI_.kd
    .uniform_work_group_size: 1
    .uses_dynamic_stack: false
    .vgpr_count:     6
    .vgpr_spill_count: 0
    .wavefront_size: 32
  - .args:
      - .address_space:  global
        .offset:         0
        .size:           8
        .value_kind:     global_buffer
      - .offset:         8
        .size:           4
        .value_kind:     by_value
      - .offset:         12
        .size:           4
        .value_kind:     by_value
      - .address_space:  global
        .offset:         16
        .size:           8
        .value_kind:     global_buffer
      - .address_space:  global
        .offset:         24
        .size:           8
        .value_kind:     global_buffer
      - .actual_access:  write_only
        .address_space:  global
        .offset:         32
        .size:           8
        .value_kind:     global_buffer
      - .offset:         40
        .size:           8
        .value_kind:     by_value
      - .offset:         48
        .size:           4
        .value_kind:     by_value
      - .offset:         52
        .size:           1
        .value_kind:     by_value
      - .offset:         56
        .size:           4
        .value_kind:     hidden_block_count_x
      - .offset:         60
        .size:           4
        .value_kind:     hidden_block_count_y
      - .offset:         64
        .size:           4
        .value_kind:     hidden_block_count_z
      - .offset:         68
        .size:           2
        .value_kind:     hidden_group_size_x
      - .offset:         70
        .size:           2
        .value_kind:     hidden_group_size_y
      - .offset:         72
        .size:           2
        .value_kind:     hidden_group_size_z
      - .offset:         74
        .size:           2
        .value_kind:     hidden_remainder_x
      - .offset:         76
        .size:           2
        .value_kind:     hidden_remainder_y
      - .offset:         78
        .size:           2
        .value_kind:     hidden_remainder_z
      - .offset:         96
        .size:           8
        .value_kind:     hidden_global_offset_x
      - .offset:         104
        .size:           8
        .value_kind:     hidden_global_offset_y
      - .offset:         112
        .size:           8
        .value_kind:     hidden_global_offset_z
      - .offset:         120
        .size:           2
        .value_kind:     hidden_grid_dims
    .group_segment_fixed_size: 0
    .kernarg_segment_align: 8
    .kernarg_segment_size: 312
    .language:       OpenCL C
    .language_version:
      - 2
      - 0
    .max_flat_workgroup_size: 256
    .name:           _ZN7rocprim17ROCPRIM_400000_NS6detail30init_device_scan_by_key_kernelINS1_19lookback_scan_stateINS0_5tupleIJfbEEELb0ELb1EEEN6thrust23THRUST_200600_302600_NS6detail15normal_iteratorINS8_10device_ptrIiEEEEjNS1_16block_id_wrapperIjLb0EEEEEvT_jjPNSG_10value_typeET0_PNSt15iterator_traitsISJ_E10value_typeEmT1_T2_
    .private_segment_fixed_size: 0
    .sgpr_count:     19
    .sgpr_spill_count: 0
    .symbol:         _ZN7rocprim17ROCPRIM_400000_NS6detail30init_device_scan_by_key_kernelINS1_19lookback_scan_stateINS0_5tupleIJfbEEELb0ELb1EEEN6thrust23THRUST_200600_302600_NS6detail15normal_iteratorINS8_10device_ptrIiEEEEjNS1_16block_id_wrapperIjLb0EEEEEvT_jjPNSG_10value_typeET0_PNSt15iterator_traitsISJ_E10value_typeEmT1_T2_.kd
    .uniform_work_group_size: 1
    .uses_dynamic_stack: false
    .vgpr_count:     10
    .vgpr_spill_count: 0
    .wavefront_size: 32
  - .args:
      - .address_space:  global
        .offset:         0
        .size:           8
        .value_kind:     global_buffer
      - .offset:         8
        .size:           4
        .value_kind:     by_value
      - .offset:         12
        .size:           4
        .value_kind:     by_value
      - .address_space:  global
        .offset:         16
        .size:           8
        .value_kind:     global_buffer
      - .offset:         24
        .size:           1
        .value_kind:     by_value
      - .offset:         32
        .size:           4
        .value_kind:     hidden_block_count_x
      - .offset:         36
        .size:           4
        .value_kind:     hidden_block_count_y
      - .offset:         40
        .size:           4
        .value_kind:     hidden_block_count_z
      - .offset:         44
        .size:           2
        .value_kind:     hidden_group_size_x
      - .offset:         46
        .size:           2
        .value_kind:     hidden_group_size_y
      - .offset:         48
        .size:           2
        .value_kind:     hidden_group_size_z
      - .offset:         50
        .size:           2
        .value_kind:     hidden_remainder_x
      - .offset:         52
        .size:           2
        .value_kind:     hidden_remainder_y
      - .offset:         54
        .size:           2
        .value_kind:     hidden_remainder_z
      - .offset:         72
        .size:           8
        .value_kind:     hidden_global_offset_x
      - .offset:         80
        .size:           8
        .value_kind:     hidden_global_offset_y
      - .offset:         88
        .size:           8
        .value_kind:     hidden_global_offset_z
      - .offset:         96
        .size:           2
        .value_kind:     hidden_grid_dims
    .group_segment_fixed_size: 0
    .kernarg_segment_align: 8
    .kernarg_segment_size: 288
    .language:       OpenCL C
    .language_version:
      - 2
      - 0
    .max_flat_workgroup_size: 256
    .name:           _ZN7rocprim17ROCPRIM_400000_NS6detail30init_device_scan_by_key_kernelINS1_19lookback_scan_stateINS0_5tupleIJfbEEELb0ELb1EEENS1_16block_id_wrapperIjLb0EEEEEvT_jjPNS9_10value_typeET0_
    .private_segment_fixed_size: 0
    .sgpr_count:     13
    .sgpr_spill_count: 0
    .symbol:         _ZN7rocprim17ROCPRIM_400000_NS6detail30init_device_scan_by_key_kernelINS1_19lookback_scan_stateINS0_5tupleIJfbEEELb0ELb1EEENS1_16block_id_wrapperIjLb0EEEEEvT_jjPNS9_10value_typeET0_.kd
    .uniform_work_group_size: 1
    .uses_dynamic_stack: false
    .vgpr_count:     9
    .vgpr_spill_count: 0
    .wavefront_size: 32
  - .args:
      - .offset:         0
        .size:           112
        .value_kind:     by_value
    .group_segment_fixed_size: 14336
    .kernarg_segment_align: 8
    .kernarg_segment_size: 112
    .language:       OpenCL C
    .language_version:
      - 2
      - 0
    .max_flat_workgroup_size: 256
    .name:           _ZN7rocprim17ROCPRIM_400000_NS6detail17trampoline_kernelINS0_14default_configENS1_27scan_by_key_config_selectorIifEEZZNS1_16scan_by_key_implILNS1_25lookback_scan_determinismE0ELb0ES3_N6thrust23THRUST_200600_302600_NS6detail15normal_iteratorINS9_10device_ptrIiEEEENSB_INSC_IfEEEESG_fNS9_4plusIvEENS9_8equal_toIvEEfEE10hipError_tPvRmT2_T3_T4_T5_mT6_T7_P12ihipStream_tbENKUlT_T0_E_clISt17integral_constantIbLb0EES11_EEDaSW_SX_EUlSW_E_NS1_11comp_targetILNS1_3genE0ELNS1_11target_archE4294967295ELNS1_3gpuE0ELNS1_3repE0EEENS1_30default_config_static_selectorELNS0_4arch9wavefront6targetE0EEEvT1_
    .private_segment_fixed_size: 0
    .sgpr_count:     46
    .sgpr_spill_count: 0
    .symbol:         _ZN7rocprim17ROCPRIM_400000_NS6detail17trampoline_kernelINS0_14default_configENS1_27scan_by_key_config_selectorIifEEZZNS1_16scan_by_key_implILNS1_25lookback_scan_determinismE0ELb0ES3_N6thrust23THRUST_200600_302600_NS6detail15normal_iteratorINS9_10device_ptrIiEEEENSB_INSC_IfEEEESG_fNS9_4plusIvEENS9_8equal_toIvEEfEE10hipError_tPvRmT2_T3_T4_T5_mT6_T7_P12ihipStream_tbENKUlT_T0_E_clISt17integral_constantIbLb0EES11_EEDaSW_SX_EUlSW_E_NS1_11comp_targetILNS1_3genE0ELNS1_11target_archE4294967295ELNS1_3gpuE0ELNS1_3repE0EEENS1_30default_config_static_selectorELNS0_4arch9wavefront6targetE0EEEvT1_.kd
    .uniform_work_group_size: 1
    .uses_dynamic_stack: false
    .vgpr_count:     65
    .vgpr_spill_count: 0
    .wavefront_size: 32
  - .args:
      - .offset:         0
        .size:           112
        .value_kind:     by_value
    .group_segment_fixed_size: 0
    .kernarg_segment_align: 8
    .kernarg_segment_size: 112
    .language:       OpenCL C
    .language_version:
      - 2
      - 0
    .max_flat_workgroup_size: 256
    .name:           _ZN7rocprim17ROCPRIM_400000_NS6detail17trampoline_kernelINS0_14default_configENS1_27scan_by_key_config_selectorIifEEZZNS1_16scan_by_key_implILNS1_25lookback_scan_determinismE0ELb0ES3_N6thrust23THRUST_200600_302600_NS6detail15normal_iteratorINS9_10device_ptrIiEEEENSB_INSC_IfEEEESG_fNS9_4plusIvEENS9_8equal_toIvEEfEE10hipError_tPvRmT2_T3_T4_T5_mT6_T7_P12ihipStream_tbENKUlT_T0_E_clISt17integral_constantIbLb0EES11_EEDaSW_SX_EUlSW_E_NS1_11comp_targetILNS1_3genE10ELNS1_11target_archE1201ELNS1_3gpuE5ELNS1_3repE0EEENS1_30default_config_static_selectorELNS0_4arch9wavefront6targetE0EEEvT1_
    .private_segment_fixed_size: 0
    .sgpr_count:     0
    .sgpr_spill_count: 0
    .symbol:         _ZN7rocprim17ROCPRIM_400000_NS6detail17trampoline_kernelINS0_14default_configENS1_27scan_by_key_config_selectorIifEEZZNS1_16scan_by_key_implILNS1_25lookback_scan_determinismE0ELb0ES3_N6thrust23THRUST_200600_302600_NS6detail15normal_iteratorINS9_10device_ptrIiEEEENSB_INSC_IfEEEESG_fNS9_4plusIvEENS9_8equal_toIvEEfEE10hipError_tPvRmT2_T3_T4_T5_mT6_T7_P12ihipStream_tbENKUlT_T0_E_clISt17integral_constantIbLb0EES11_EEDaSW_SX_EUlSW_E_NS1_11comp_targetILNS1_3genE10ELNS1_11target_archE1201ELNS1_3gpuE5ELNS1_3repE0EEENS1_30default_config_static_selectorELNS0_4arch9wavefront6targetE0EEEvT1_.kd
    .uniform_work_group_size: 1
    .uses_dynamic_stack: false
    .vgpr_count:     0
    .vgpr_spill_count: 0
    .wavefront_size: 32
  - .args:
      - .offset:         0
        .size:           112
        .value_kind:     by_value
    .group_segment_fixed_size: 0
    .kernarg_segment_align: 8
    .kernarg_segment_size: 112
    .language:       OpenCL C
    .language_version:
      - 2
      - 0
    .max_flat_workgroup_size: 256
    .name:           _ZN7rocprim17ROCPRIM_400000_NS6detail17trampoline_kernelINS0_14default_configENS1_27scan_by_key_config_selectorIifEEZZNS1_16scan_by_key_implILNS1_25lookback_scan_determinismE0ELb0ES3_N6thrust23THRUST_200600_302600_NS6detail15normal_iteratorINS9_10device_ptrIiEEEENSB_INSC_IfEEEESG_fNS9_4plusIvEENS9_8equal_toIvEEfEE10hipError_tPvRmT2_T3_T4_T5_mT6_T7_P12ihipStream_tbENKUlT_T0_E_clISt17integral_constantIbLb0EES11_EEDaSW_SX_EUlSW_E_NS1_11comp_targetILNS1_3genE5ELNS1_11target_archE942ELNS1_3gpuE9ELNS1_3repE0EEENS1_30default_config_static_selectorELNS0_4arch9wavefront6targetE0EEEvT1_
    .private_segment_fixed_size: 0
    .sgpr_count:     0
    .sgpr_spill_count: 0
    .symbol:         _ZN7rocprim17ROCPRIM_400000_NS6detail17trampoline_kernelINS0_14default_configENS1_27scan_by_key_config_selectorIifEEZZNS1_16scan_by_key_implILNS1_25lookback_scan_determinismE0ELb0ES3_N6thrust23THRUST_200600_302600_NS6detail15normal_iteratorINS9_10device_ptrIiEEEENSB_INSC_IfEEEESG_fNS9_4plusIvEENS9_8equal_toIvEEfEE10hipError_tPvRmT2_T3_T4_T5_mT6_T7_P12ihipStream_tbENKUlT_T0_E_clISt17integral_constantIbLb0EES11_EEDaSW_SX_EUlSW_E_NS1_11comp_targetILNS1_3genE5ELNS1_11target_archE942ELNS1_3gpuE9ELNS1_3repE0EEENS1_30default_config_static_selectorELNS0_4arch9wavefront6targetE0EEEvT1_.kd
    .uniform_work_group_size: 1
    .uses_dynamic_stack: false
    .vgpr_count:     0
    .vgpr_spill_count: 0
    .wavefront_size: 32
  - .args:
      - .offset:         0
        .size:           112
        .value_kind:     by_value
    .group_segment_fixed_size: 0
    .kernarg_segment_align: 8
    .kernarg_segment_size: 112
    .language:       OpenCL C
    .language_version:
      - 2
      - 0
    .max_flat_workgroup_size: 256
    .name:           _ZN7rocprim17ROCPRIM_400000_NS6detail17trampoline_kernelINS0_14default_configENS1_27scan_by_key_config_selectorIifEEZZNS1_16scan_by_key_implILNS1_25lookback_scan_determinismE0ELb0ES3_N6thrust23THRUST_200600_302600_NS6detail15normal_iteratorINS9_10device_ptrIiEEEENSB_INSC_IfEEEESG_fNS9_4plusIvEENS9_8equal_toIvEEfEE10hipError_tPvRmT2_T3_T4_T5_mT6_T7_P12ihipStream_tbENKUlT_T0_E_clISt17integral_constantIbLb0EES11_EEDaSW_SX_EUlSW_E_NS1_11comp_targetILNS1_3genE4ELNS1_11target_archE910ELNS1_3gpuE8ELNS1_3repE0EEENS1_30default_config_static_selectorELNS0_4arch9wavefront6targetE0EEEvT1_
    .private_segment_fixed_size: 0
    .sgpr_count:     0
    .sgpr_spill_count: 0
    .symbol:         _ZN7rocprim17ROCPRIM_400000_NS6detail17trampoline_kernelINS0_14default_configENS1_27scan_by_key_config_selectorIifEEZZNS1_16scan_by_key_implILNS1_25lookback_scan_determinismE0ELb0ES3_N6thrust23THRUST_200600_302600_NS6detail15normal_iteratorINS9_10device_ptrIiEEEENSB_INSC_IfEEEESG_fNS9_4plusIvEENS9_8equal_toIvEEfEE10hipError_tPvRmT2_T3_T4_T5_mT6_T7_P12ihipStream_tbENKUlT_T0_E_clISt17integral_constantIbLb0EES11_EEDaSW_SX_EUlSW_E_NS1_11comp_targetILNS1_3genE4ELNS1_11target_archE910ELNS1_3gpuE8ELNS1_3repE0EEENS1_30default_config_static_selectorELNS0_4arch9wavefront6targetE0EEEvT1_.kd
    .uniform_work_group_size: 1
    .uses_dynamic_stack: false
    .vgpr_count:     0
    .vgpr_spill_count: 0
    .wavefront_size: 32
  - .args:
      - .offset:         0
        .size:           112
        .value_kind:     by_value
    .group_segment_fixed_size: 0
    .kernarg_segment_align: 8
    .kernarg_segment_size: 112
    .language:       OpenCL C
    .language_version:
      - 2
      - 0
    .max_flat_workgroup_size: 256
    .name:           _ZN7rocprim17ROCPRIM_400000_NS6detail17trampoline_kernelINS0_14default_configENS1_27scan_by_key_config_selectorIifEEZZNS1_16scan_by_key_implILNS1_25lookback_scan_determinismE0ELb0ES3_N6thrust23THRUST_200600_302600_NS6detail15normal_iteratorINS9_10device_ptrIiEEEENSB_INSC_IfEEEESG_fNS9_4plusIvEENS9_8equal_toIvEEfEE10hipError_tPvRmT2_T3_T4_T5_mT6_T7_P12ihipStream_tbENKUlT_T0_E_clISt17integral_constantIbLb0EES11_EEDaSW_SX_EUlSW_E_NS1_11comp_targetILNS1_3genE3ELNS1_11target_archE908ELNS1_3gpuE7ELNS1_3repE0EEENS1_30default_config_static_selectorELNS0_4arch9wavefront6targetE0EEEvT1_
    .private_segment_fixed_size: 0
    .sgpr_count:     0
    .sgpr_spill_count: 0
    .symbol:         _ZN7rocprim17ROCPRIM_400000_NS6detail17trampoline_kernelINS0_14default_configENS1_27scan_by_key_config_selectorIifEEZZNS1_16scan_by_key_implILNS1_25lookback_scan_determinismE0ELb0ES3_N6thrust23THRUST_200600_302600_NS6detail15normal_iteratorINS9_10device_ptrIiEEEENSB_INSC_IfEEEESG_fNS9_4plusIvEENS9_8equal_toIvEEfEE10hipError_tPvRmT2_T3_T4_T5_mT6_T7_P12ihipStream_tbENKUlT_T0_E_clISt17integral_constantIbLb0EES11_EEDaSW_SX_EUlSW_E_NS1_11comp_targetILNS1_3genE3ELNS1_11target_archE908ELNS1_3gpuE7ELNS1_3repE0EEENS1_30default_config_static_selectorELNS0_4arch9wavefront6targetE0EEEvT1_.kd
    .uniform_work_group_size: 1
    .uses_dynamic_stack: false
    .vgpr_count:     0
    .vgpr_spill_count: 0
    .wavefront_size: 32
  - .args:
      - .offset:         0
        .size:           112
        .value_kind:     by_value
    .group_segment_fixed_size: 0
    .kernarg_segment_align: 8
    .kernarg_segment_size: 112
    .language:       OpenCL C
    .language_version:
      - 2
      - 0
    .max_flat_workgroup_size: 256
    .name:           _ZN7rocprim17ROCPRIM_400000_NS6detail17trampoline_kernelINS0_14default_configENS1_27scan_by_key_config_selectorIifEEZZNS1_16scan_by_key_implILNS1_25lookback_scan_determinismE0ELb0ES3_N6thrust23THRUST_200600_302600_NS6detail15normal_iteratorINS9_10device_ptrIiEEEENSB_INSC_IfEEEESG_fNS9_4plusIvEENS9_8equal_toIvEEfEE10hipError_tPvRmT2_T3_T4_T5_mT6_T7_P12ihipStream_tbENKUlT_T0_E_clISt17integral_constantIbLb0EES11_EEDaSW_SX_EUlSW_E_NS1_11comp_targetILNS1_3genE2ELNS1_11target_archE906ELNS1_3gpuE6ELNS1_3repE0EEENS1_30default_config_static_selectorELNS0_4arch9wavefront6targetE0EEEvT1_
    .private_segment_fixed_size: 0
    .sgpr_count:     0
    .sgpr_spill_count: 0
    .symbol:         _ZN7rocprim17ROCPRIM_400000_NS6detail17trampoline_kernelINS0_14default_configENS1_27scan_by_key_config_selectorIifEEZZNS1_16scan_by_key_implILNS1_25lookback_scan_determinismE0ELb0ES3_N6thrust23THRUST_200600_302600_NS6detail15normal_iteratorINS9_10device_ptrIiEEEENSB_INSC_IfEEEESG_fNS9_4plusIvEENS9_8equal_toIvEEfEE10hipError_tPvRmT2_T3_T4_T5_mT6_T7_P12ihipStream_tbENKUlT_T0_E_clISt17integral_constantIbLb0EES11_EEDaSW_SX_EUlSW_E_NS1_11comp_targetILNS1_3genE2ELNS1_11target_archE906ELNS1_3gpuE6ELNS1_3repE0EEENS1_30default_config_static_selectorELNS0_4arch9wavefront6targetE0EEEvT1_.kd
    .uniform_work_group_size: 1
    .uses_dynamic_stack: false
    .vgpr_count:     0
    .vgpr_spill_count: 0
    .wavefront_size: 32
  - .args:
      - .offset:         0
        .size:           112
        .value_kind:     by_value
    .group_segment_fixed_size: 0
    .kernarg_segment_align: 8
    .kernarg_segment_size: 112
    .language:       OpenCL C
    .language_version:
      - 2
      - 0
    .max_flat_workgroup_size: 256
    .name:           _ZN7rocprim17ROCPRIM_400000_NS6detail17trampoline_kernelINS0_14default_configENS1_27scan_by_key_config_selectorIifEEZZNS1_16scan_by_key_implILNS1_25lookback_scan_determinismE0ELb0ES3_N6thrust23THRUST_200600_302600_NS6detail15normal_iteratorINS9_10device_ptrIiEEEENSB_INSC_IfEEEESG_fNS9_4plusIvEENS9_8equal_toIvEEfEE10hipError_tPvRmT2_T3_T4_T5_mT6_T7_P12ihipStream_tbENKUlT_T0_E_clISt17integral_constantIbLb0EES11_EEDaSW_SX_EUlSW_E_NS1_11comp_targetILNS1_3genE10ELNS1_11target_archE1200ELNS1_3gpuE4ELNS1_3repE0EEENS1_30default_config_static_selectorELNS0_4arch9wavefront6targetE0EEEvT1_
    .private_segment_fixed_size: 0
    .sgpr_count:     0
    .sgpr_spill_count: 0
    .symbol:         _ZN7rocprim17ROCPRIM_400000_NS6detail17trampoline_kernelINS0_14default_configENS1_27scan_by_key_config_selectorIifEEZZNS1_16scan_by_key_implILNS1_25lookback_scan_determinismE0ELb0ES3_N6thrust23THRUST_200600_302600_NS6detail15normal_iteratorINS9_10device_ptrIiEEEENSB_INSC_IfEEEESG_fNS9_4plusIvEENS9_8equal_toIvEEfEE10hipError_tPvRmT2_T3_T4_T5_mT6_T7_P12ihipStream_tbENKUlT_T0_E_clISt17integral_constantIbLb0EES11_EEDaSW_SX_EUlSW_E_NS1_11comp_targetILNS1_3genE10ELNS1_11target_archE1200ELNS1_3gpuE4ELNS1_3repE0EEENS1_30default_config_static_selectorELNS0_4arch9wavefront6targetE0EEEvT1_.kd
    .uniform_work_group_size: 1
    .uses_dynamic_stack: false
    .vgpr_count:     0
    .vgpr_spill_count: 0
    .wavefront_size: 32
  - .args:
      - .offset:         0
        .size:           112
        .value_kind:     by_value
    .group_segment_fixed_size: 0
    .kernarg_segment_align: 8
    .kernarg_segment_size: 112
    .language:       OpenCL C
    .language_version:
      - 2
      - 0
    .max_flat_workgroup_size: 256
    .name:           _ZN7rocprim17ROCPRIM_400000_NS6detail17trampoline_kernelINS0_14default_configENS1_27scan_by_key_config_selectorIifEEZZNS1_16scan_by_key_implILNS1_25lookback_scan_determinismE0ELb0ES3_N6thrust23THRUST_200600_302600_NS6detail15normal_iteratorINS9_10device_ptrIiEEEENSB_INSC_IfEEEESG_fNS9_4plusIvEENS9_8equal_toIvEEfEE10hipError_tPvRmT2_T3_T4_T5_mT6_T7_P12ihipStream_tbENKUlT_T0_E_clISt17integral_constantIbLb0EES11_EEDaSW_SX_EUlSW_E_NS1_11comp_targetILNS1_3genE9ELNS1_11target_archE1100ELNS1_3gpuE3ELNS1_3repE0EEENS1_30default_config_static_selectorELNS0_4arch9wavefront6targetE0EEEvT1_
    .private_segment_fixed_size: 0
    .sgpr_count:     0
    .sgpr_spill_count: 0
    .symbol:         _ZN7rocprim17ROCPRIM_400000_NS6detail17trampoline_kernelINS0_14default_configENS1_27scan_by_key_config_selectorIifEEZZNS1_16scan_by_key_implILNS1_25lookback_scan_determinismE0ELb0ES3_N6thrust23THRUST_200600_302600_NS6detail15normal_iteratorINS9_10device_ptrIiEEEENSB_INSC_IfEEEESG_fNS9_4plusIvEENS9_8equal_toIvEEfEE10hipError_tPvRmT2_T3_T4_T5_mT6_T7_P12ihipStream_tbENKUlT_T0_E_clISt17integral_constantIbLb0EES11_EEDaSW_SX_EUlSW_E_NS1_11comp_targetILNS1_3genE9ELNS1_11target_archE1100ELNS1_3gpuE3ELNS1_3repE0EEENS1_30default_config_static_selectorELNS0_4arch9wavefront6targetE0EEEvT1_.kd
    .uniform_work_group_size: 1
    .uses_dynamic_stack: false
    .vgpr_count:     0
    .vgpr_spill_count: 0
    .wavefront_size: 32
  - .args:
      - .offset:         0
        .size:           112
        .value_kind:     by_value
    .group_segment_fixed_size: 0
    .kernarg_segment_align: 8
    .kernarg_segment_size: 112
    .language:       OpenCL C
    .language_version:
      - 2
      - 0
    .max_flat_workgroup_size: 256
    .name:           _ZN7rocprim17ROCPRIM_400000_NS6detail17trampoline_kernelINS0_14default_configENS1_27scan_by_key_config_selectorIifEEZZNS1_16scan_by_key_implILNS1_25lookback_scan_determinismE0ELb0ES3_N6thrust23THRUST_200600_302600_NS6detail15normal_iteratorINS9_10device_ptrIiEEEENSB_INSC_IfEEEESG_fNS9_4plusIvEENS9_8equal_toIvEEfEE10hipError_tPvRmT2_T3_T4_T5_mT6_T7_P12ihipStream_tbENKUlT_T0_E_clISt17integral_constantIbLb0EES11_EEDaSW_SX_EUlSW_E_NS1_11comp_targetILNS1_3genE8ELNS1_11target_archE1030ELNS1_3gpuE2ELNS1_3repE0EEENS1_30default_config_static_selectorELNS0_4arch9wavefront6targetE0EEEvT1_
    .private_segment_fixed_size: 0
    .sgpr_count:     0
    .sgpr_spill_count: 0
    .symbol:         _ZN7rocprim17ROCPRIM_400000_NS6detail17trampoline_kernelINS0_14default_configENS1_27scan_by_key_config_selectorIifEEZZNS1_16scan_by_key_implILNS1_25lookback_scan_determinismE0ELb0ES3_N6thrust23THRUST_200600_302600_NS6detail15normal_iteratorINS9_10device_ptrIiEEEENSB_INSC_IfEEEESG_fNS9_4plusIvEENS9_8equal_toIvEEfEE10hipError_tPvRmT2_T3_T4_T5_mT6_T7_P12ihipStream_tbENKUlT_T0_E_clISt17integral_constantIbLb0EES11_EEDaSW_SX_EUlSW_E_NS1_11comp_targetILNS1_3genE8ELNS1_11target_archE1030ELNS1_3gpuE2ELNS1_3repE0EEENS1_30default_config_static_selectorELNS0_4arch9wavefront6targetE0EEEvT1_.kd
    .uniform_work_group_size: 1
    .uses_dynamic_stack: false
    .vgpr_count:     0
    .vgpr_spill_count: 0
    .wavefront_size: 32
  - .args:
      - .address_space:  global
        .offset:         0
        .size:           8
        .value_kind:     global_buffer
      - .offset:         8
        .size:           4
        .value_kind:     by_value
      - .offset:         12
        .size:           4
        .value_kind:     by_value
      - .address_space:  global
        .offset:         16
        .size:           8
        .value_kind:     global_buffer
      - .address_space:  global
        .offset:         24
        .size:           8
        .value_kind:     global_buffer
      - .actual_access:  write_only
        .address_space:  global
        .offset:         32
        .size:           8
        .value_kind:     global_buffer
      - .offset:         40
        .size:           8
        .value_kind:     by_value
      - .offset:         48
        .size:           4
        .value_kind:     by_value
      - .address_space:  global
        .offset:         56
        .size:           8
        .value_kind:     global_buffer
      - .offset:         64
        .size:           4
        .value_kind:     hidden_block_count_x
      - .offset:         68
        .size:           4
        .value_kind:     hidden_block_count_y
      - .offset:         72
        .size:           4
        .value_kind:     hidden_block_count_z
      - .offset:         76
        .size:           2
        .value_kind:     hidden_group_size_x
      - .offset:         78
        .size:           2
        .value_kind:     hidden_group_size_y
      - .offset:         80
        .size:           2
        .value_kind:     hidden_group_size_z
      - .offset:         82
        .size:           2
        .value_kind:     hidden_remainder_x
      - .offset:         84
        .size:           2
        .value_kind:     hidden_remainder_y
      - .offset:         86
        .size:           2
        .value_kind:     hidden_remainder_z
      - .offset:         104
        .size:           8
        .value_kind:     hidden_global_offset_x
      - .offset:         112
        .size:           8
        .value_kind:     hidden_global_offset_y
      - .offset:         120
        .size:           8
        .value_kind:     hidden_global_offset_z
      - .offset:         128
        .size:           2
        .value_kind:     hidden_grid_dims
    .group_segment_fixed_size: 0
    .kernarg_segment_align: 8
    .kernarg_segment_size: 320
    .language:       OpenCL C
    .language_version:
      - 2
      - 0
    .max_flat_workgroup_size: 256
    .name:           _ZN7rocprim17ROCPRIM_400000_NS6detail30init_device_scan_by_key_kernelINS1_19lookback_scan_stateINS0_5tupleIJfbEEELb1ELb1EEEN6thrust23THRUST_200600_302600_NS6detail15normal_iteratorINS8_10device_ptrIiEEEEjNS1_16block_id_wrapperIjLb1EEEEEvT_jjPNSG_10value_typeET0_PNSt15iterator_traitsISJ_E10value_typeEmT1_T2_
    .private_segment_fixed_size: 0
    .sgpr_count:     19
    .sgpr_spill_count: 0
    .symbol:         _ZN7rocprim17ROCPRIM_400000_NS6detail30init_device_scan_by_key_kernelINS1_19lookback_scan_stateINS0_5tupleIJfbEEELb1ELb1EEEN6thrust23THRUST_200600_302600_NS6detail15normal_iteratorINS8_10device_ptrIiEEEEjNS1_16block_id_wrapperIjLb1EEEEEvT_jjPNSG_10value_typeET0_PNSt15iterator_traitsISJ_E10value_typeEmT1_T2_.kd
    .uniform_work_group_size: 1
    .uses_dynamic_stack: false
    .vgpr_count:     10
    .vgpr_spill_count: 0
    .wavefront_size: 32
  - .args:
      - .address_space:  global
        .offset:         0
        .size:           8
        .value_kind:     global_buffer
      - .offset:         8
        .size:           4
        .value_kind:     by_value
      - .offset:         12
        .size:           4
        .value_kind:     by_value
      - .address_space:  global
        .offset:         16
        .size:           8
        .value_kind:     global_buffer
      - .address_space:  global
        .offset:         24
        .size:           8
        .value_kind:     global_buffer
      - .offset:         32
        .size:           4
        .value_kind:     hidden_block_count_x
      - .offset:         36
        .size:           4
        .value_kind:     hidden_block_count_y
      - .offset:         40
        .size:           4
        .value_kind:     hidden_block_count_z
      - .offset:         44
        .size:           2
        .value_kind:     hidden_group_size_x
      - .offset:         46
        .size:           2
        .value_kind:     hidden_group_size_y
      - .offset:         48
        .size:           2
        .value_kind:     hidden_group_size_z
      - .offset:         50
        .size:           2
        .value_kind:     hidden_remainder_x
      - .offset:         52
        .size:           2
        .value_kind:     hidden_remainder_y
      - .offset:         54
        .size:           2
        .value_kind:     hidden_remainder_z
      - .offset:         72
        .size:           8
        .value_kind:     hidden_global_offset_x
      - .offset:         80
        .size:           8
        .value_kind:     hidden_global_offset_y
      - .offset:         88
        .size:           8
        .value_kind:     hidden_global_offset_z
      - .offset:         96
        .size:           2
        .value_kind:     hidden_grid_dims
    .group_segment_fixed_size: 0
    .kernarg_segment_align: 8
    .kernarg_segment_size: 288
    .language:       OpenCL C
    .language_version:
      - 2
      - 0
    .max_flat_workgroup_size: 256
    .name:           _ZN7rocprim17ROCPRIM_400000_NS6detail30init_device_scan_by_key_kernelINS1_19lookback_scan_stateINS0_5tupleIJfbEEELb1ELb1EEENS1_16block_id_wrapperIjLb1EEEEEvT_jjPNS9_10value_typeET0_
    .private_segment_fixed_size: 0
    .sgpr_count:     15
    .sgpr_spill_count: 0
    .symbol:         _ZN7rocprim17ROCPRIM_400000_NS6detail30init_device_scan_by_key_kernelINS1_19lookback_scan_stateINS0_5tupleIJfbEEELb1ELb1EEENS1_16block_id_wrapperIjLb1EEEEEvT_jjPNS9_10value_typeET0_.kd
    .uniform_work_group_size: 1
    .uses_dynamic_stack: false
    .vgpr_count:     9
    .vgpr_spill_count: 0
    .wavefront_size: 32
  - .args:
      - .offset:         0
        .size:           112
        .value_kind:     by_value
    .group_segment_fixed_size: 0
    .kernarg_segment_align: 8
    .kernarg_segment_size: 112
    .language:       OpenCL C
    .language_version:
      - 2
      - 0
    .max_flat_workgroup_size: 256
    .name:           _ZN7rocprim17ROCPRIM_400000_NS6detail17trampoline_kernelINS0_14default_configENS1_27scan_by_key_config_selectorIifEEZZNS1_16scan_by_key_implILNS1_25lookback_scan_determinismE0ELb0ES3_N6thrust23THRUST_200600_302600_NS6detail15normal_iteratorINS9_10device_ptrIiEEEENSB_INSC_IfEEEESG_fNS9_4plusIvEENS9_8equal_toIvEEfEE10hipError_tPvRmT2_T3_T4_T5_mT6_T7_P12ihipStream_tbENKUlT_T0_E_clISt17integral_constantIbLb1EES11_EEDaSW_SX_EUlSW_E_NS1_11comp_targetILNS1_3genE0ELNS1_11target_archE4294967295ELNS1_3gpuE0ELNS1_3repE0EEENS1_30default_config_static_selectorELNS0_4arch9wavefront6targetE0EEEvT1_
    .private_segment_fixed_size: 0
    .sgpr_count:     0
    .sgpr_spill_count: 0
    .symbol:         _ZN7rocprim17ROCPRIM_400000_NS6detail17trampoline_kernelINS0_14default_configENS1_27scan_by_key_config_selectorIifEEZZNS1_16scan_by_key_implILNS1_25lookback_scan_determinismE0ELb0ES3_N6thrust23THRUST_200600_302600_NS6detail15normal_iteratorINS9_10device_ptrIiEEEENSB_INSC_IfEEEESG_fNS9_4plusIvEENS9_8equal_toIvEEfEE10hipError_tPvRmT2_T3_T4_T5_mT6_T7_P12ihipStream_tbENKUlT_T0_E_clISt17integral_constantIbLb1EES11_EEDaSW_SX_EUlSW_E_NS1_11comp_targetILNS1_3genE0ELNS1_11target_archE4294967295ELNS1_3gpuE0ELNS1_3repE0EEENS1_30default_config_static_selectorELNS0_4arch9wavefront6targetE0EEEvT1_.kd
    .uniform_work_group_size: 1
    .uses_dynamic_stack: false
    .vgpr_count:     0
    .vgpr_spill_count: 0
    .wavefront_size: 32
  - .args:
      - .offset:         0
        .size:           112
        .value_kind:     by_value
    .group_segment_fixed_size: 0
    .kernarg_segment_align: 8
    .kernarg_segment_size: 112
    .language:       OpenCL C
    .language_version:
      - 2
      - 0
    .max_flat_workgroup_size: 256
    .name:           _ZN7rocprim17ROCPRIM_400000_NS6detail17trampoline_kernelINS0_14default_configENS1_27scan_by_key_config_selectorIifEEZZNS1_16scan_by_key_implILNS1_25lookback_scan_determinismE0ELb0ES3_N6thrust23THRUST_200600_302600_NS6detail15normal_iteratorINS9_10device_ptrIiEEEENSB_INSC_IfEEEESG_fNS9_4plusIvEENS9_8equal_toIvEEfEE10hipError_tPvRmT2_T3_T4_T5_mT6_T7_P12ihipStream_tbENKUlT_T0_E_clISt17integral_constantIbLb1EES11_EEDaSW_SX_EUlSW_E_NS1_11comp_targetILNS1_3genE10ELNS1_11target_archE1201ELNS1_3gpuE5ELNS1_3repE0EEENS1_30default_config_static_selectorELNS0_4arch9wavefront6targetE0EEEvT1_
    .private_segment_fixed_size: 0
    .sgpr_count:     0
    .sgpr_spill_count: 0
    .symbol:         _ZN7rocprim17ROCPRIM_400000_NS6detail17trampoline_kernelINS0_14default_configENS1_27scan_by_key_config_selectorIifEEZZNS1_16scan_by_key_implILNS1_25lookback_scan_determinismE0ELb0ES3_N6thrust23THRUST_200600_302600_NS6detail15normal_iteratorINS9_10device_ptrIiEEEENSB_INSC_IfEEEESG_fNS9_4plusIvEENS9_8equal_toIvEEfEE10hipError_tPvRmT2_T3_T4_T5_mT6_T7_P12ihipStream_tbENKUlT_T0_E_clISt17integral_constantIbLb1EES11_EEDaSW_SX_EUlSW_E_NS1_11comp_targetILNS1_3genE10ELNS1_11target_archE1201ELNS1_3gpuE5ELNS1_3repE0EEENS1_30default_config_static_selectorELNS0_4arch9wavefront6targetE0EEEvT1_.kd
    .uniform_work_group_size: 1
    .uses_dynamic_stack: false
    .vgpr_count:     0
    .vgpr_spill_count: 0
    .wavefront_size: 32
  - .args:
      - .offset:         0
        .size:           112
        .value_kind:     by_value
    .group_segment_fixed_size: 0
    .kernarg_segment_align: 8
    .kernarg_segment_size: 112
    .language:       OpenCL C
    .language_version:
      - 2
      - 0
    .max_flat_workgroup_size: 256
    .name:           _ZN7rocprim17ROCPRIM_400000_NS6detail17trampoline_kernelINS0_14default_configENS1_27scan_by_key_config_selectorIifEEZZNS1_16scan_by_key_implILNS1_25lookback_scan_determinismE0ELb0ES3_N6thrust23THRUST_200600_302600_NS6detail15normal_iteratorINS9_10device_ptrIiEEEENSB_INSC_IfEEEESG_fNS9_4plusIvEENS9_8equal_toIvEEfEE10hipError_tPvRmT2_T3_T4_T5_mT6_T7_P12ihipStream_tbENKUlT_T0_E_clISt17integral_constantIbLb1EES11_EEDaSW_SX_EUlSW_E_NS1_11comp_targetILNS1_3genE5ELNS1_11target_archE942ELNS1_3gpuE9ELNS1_3repE0EEENS1_30default_config_static_selectorELNS0_4arch9wavefront6targetE0EEEvT1_
    .private_segment_fixed_size: 0
    .sgpr_count:     0
    .sgpr_spill_count: 0
    .symbol:         _ZN7rocprim17ROCPRIM_400000_NS6detail17trampoline_kernelINS0_14default_configENS1_27scan_by_key_config_selectorIifEEZZNS1_16scan_by_key_implILNS1_25lookback_scan_determinismE0ELb0ES3_N6thrust23THRUST_200600_302600_NS6detail15normal_iteratorINS9_10device_ptrIiEEEENSB_INSC_IfEEEESG_fNS9_4plusIvEENS9_8equal_toIvEEfEE10hipError_tPvRmT2_T3_T4_T5_mT6_T7_P12ihipStream_tbENKUlT_T0_E_clISt17integral_constantIbLb1EES11_EEDaSW_SX_EUlSW_E_NS1_11comp_targetILNS1_3genE5ELNS1_11target_archE942ELNS1_3gpuE9ELNS1_3repE0EEENS1_30default_config_static_selectorELNS0_4arch9wavefront6targetE0EEEvT1_.kd
    .uniform_work_group_size: 1
    .uses_dynamic_stack: false
    .vgpr_count:     0
    .vgpr_spill_count: 0
    .wavefront_size: 32
  - .args:
      - .offset:         0
        .size:           112
        .value_kind:     by_value
    .group_segment_fixed_size: 0
    .kernarg_segment_align: 8
    .kernarg_segment_size: 112
    .language:       OpenCL C
    .language_version:
      - 2
      - 0
    .max_flat_workgroup_size: 256
    .name:           _ZN7rocprim17ROCPRIM_400000_NS6detail17trampoline_kernelINS0_14default_configENS1_27scan_by_key_config_selectorIifEEZZNS1_16scan_by_key_implILNS1_25lookback_scan_determinismE0ELb0ES3_N6thrust23THRUST_200600_302600_NS6detail15normal_iteratorINS9_10device_ptrIiEEEENSB_INSC_IfEEEESG_fNS9_4plusIvEENS9_8equal_toIvEEfEE10hipError_tPvRmT2_T3_T4_T5_mT6_T7_P12ihipStream_tbENKUlT_T0_E_clISt17integral_constantIbLb1EES11_EEDaSW_SX_EUlSW_E_NS1_11comp_targetILNS1_3genE4ELNS1_11target_archE910ELNS1_3gpuE8ELNS1_3repE0EEENS1_30default_config_static_selectorELNS0_4arch9wavefront6targetE0EEEvT1_
    .private_segment_fixed_size: 0
    .sgpr_count:     0
    .sgpr_spill_count: 0
    .symbol:         _ZN7rocprim17ROCPRIM_400000_NS6detail17trampoline_kernelINS0_14default_configENS1_27scan_by_key_config_selectorIifEEZZNS1_16scan_by_key_implILNS1_25lookback_scan_determinismE0ELb0ES3_N6thrust23THRUST_200600_302600_NS6detail15normal_iteratorINS9_10device_ptrIiEEEENSB_INSC_IfEEEESG_fNS9_4plusIvEENS9_8equal_toIvEEfEE10hipError_tPvRmT2_T3_T4_T5_mT6_T7_P12ihipStream_tbENKUlT_T0_E_clISt17integral_constantIbLb1EES11_EEDaSW_SX_EUlSW_E_NS1_11comp_targetILNS1_3genE4ELNS1_11target_archE910ELNS1_3gpuE8ELNS1_3repE0EEENS1_30default_config_static_selectorELNS0_4arch9wavefront6targetE0EEEvT1_.kd
    .uniform_work_group_size: 1
    .uses_dynamic_stack: false
    .vgpr_count:     0
    .vgpr_spill_count: 0
    .wavefront_size: 32
  - .args:
      - .offset:         0
        .size:           112
        .value_kind:     by_value
    .group_segment_fixed_size: 0
    .kernarg_segment_align: 8
    .kernarg_segment_size: 112
    .language:       OpenCL C
    .language_version:
      - 2
      - 0
    .max_flat_workgroup_size: 256
    .name:           _ZN7rocprim17ROCPRIM_400000_NS6detail17trampoline_kernelINS0_14default_configENS1_27scan_by_key_config_selectorIifEEZZNS1_16scan_by_key_implILNS1_25lookback_scan_determinismE0ELb0ES3_N6thrust23THRUST_200600_302600_NS6detail15normal_iteratorINS9_10device_ptrIiEEEENSB_INSC_IfEEEESG_fNS9_4plusIvEENS9_8equal_toIvEEfEE10hipError_tPvRmT2_T3_T4_T5_mT6_T7_P12ihipStream_tbENKUlT_T0_E_clISt17integral_constantIbLb1EES11_EEDaSW_SX_EUlSW_E_NS1_11comp_targetILNS1_3genE3ELNS1_11target_archE908ELNS1_3gpuE7ELNS1_3repE0EEENS1_30default_config_static_selectorELNS0_4arch9wavefront6targetE0EEEvT1_
    .private_segment_fixed_size: 0
    .sgpr_count:     0
    .sgpr_spill_count: 0
    .symbol:         _ZN7rocprim17ROCPRIM_400000_NS6detail17trampoline_kernelINS0_14default_configENS1_27scan_by_key_config_selectorIifEEZZNS1_16scan_by_key_implILNS1_25lookback_scan_determinismE0ELb0ES3_N6thrust23THRUST_200600_302600_NS6detail15normal_iteratorINS9_10device_ptrIiEEEENSB_INSC_IfEEEESG_fNS9_4plusIvEENS9_8equal_toIvEEfEE10hipError_tPvRmT2_T3_T4_T5_mT6_T7_P12ihipStream_tbENKUlT_T0_E_clISt17integral_constantIbLb1EES11_EEDaSW_SX_EUlSW_E_NS1_11comp_targetILNS1_3genE3ELNS1_11target_archE908ELNS1_3gpuE7ELNS1_3repE0EEENS1_30default_config_static_selectorELNS0_4arch9wavefront6targetE0EEEvT1_.kd
    .uniform_work_group_size: 1
    .uses_dynamic_stack: false
    .vgpr_count:     0
    .vgpr_spill_count: 0
    .wavefront_size: 32
  - .args:
      - .offset:         0
        .size:           112
        .value_kind:     by_value
    .group_segment_fixed_size: 0
    .kernarg_segment_align: 8
    .kernarg_segment_size: 112
    .language:       OpenCL C
    .language_version:
      - 2
      - 0
    .max_flat_workgroup_size: 256
    .name:           _ZN7rocprim17ROCPRIM_400000_NS6detail17trampoline_kernelINS0_14default_configENS1_27scan_by_key_config_selectorIifEEZZNS1_16scan_by_key_implILNS1_25lookback_scan_determinismE0ELb0ES3_N6thrust23THRUST_200600_302600_NS6detail15normal_iteratorINS9_10device_ptrIiEEEENSB_INSC_IfEEEESG_fNS9_4plusIvEENS9_8equal_toIvEEfEE10hipError_tPvRmT2_T3_T4_T5_mT6_T7_P12ihipStream_tbENKUlT_T0_E_clISt17integral_constantIbLb1EES11_EEDaSW_SX_EUlSW_E_NS1_11comp_targetILNS1_3genE2ELNS1_11target_archE906ELNS1_3gpuE6ELNS1_3repE0EEENS1_30default_config_static_selectorELNS0_4arch9wavefront6targetE0EEEvT1_
    .private_segment_fixed_size: 0
    .sgpr_count:     0
    .sgpr_spill_count: 0
    .symbol:         _ZN7rocprim17ROCPRIM_400000_NS6detail17trampoline_kernelINS0_14default_configENS1_27scan_by_key_config_selectorIifEEZZNS1_16scan_by_key_implILNS1_25lookback_scan_determinismE0ELb0ES3_N6thrust23THRUST_200600_302600_NS6detail15normal_iteratorINS9_10device_ptrIiEEEENSB_INSC_IfEEEESG_fNS9_4plusIvEENS9_8equal_toIvEEfEE10hipError_tPvRmT2_T3_T4_T5_mT6_T7_P12ihipStream_tbENKUlT_T0_E_clISt17integral_constantIbLb1EES11_EEDaSW_SX_EUlSW_E_NS1_11comp_targetILNS1_3genE2ELNS1_11target_archE906ELNS1_3gpuE6ELNS1_3repE0EEENS1_30default_config_static_selectorELNS0_4arch9wavefront6targetE0EEEvT1_.kd
    .uniform_work_group_size: 1
    .uses_dynamic_stack: false
    .vgpr_count:     0
    .vgpr_spill_count: 0
    .wavefront_size: 32
  - .args:
      - .offset:         0
        .size:           112
        .value_kind:     by_value
    .group_segment_fixed_size: 0
    .kernarg_segment_align: 8
    .kernarg_segment_size: 112
    .language:       OpenCL C
    .language_version:
      - 2
      - 0
    .max_flat_workgroup_size: 256
    .name:           _ZN7rocprim17ROCPRIM_400000_NS6detail17trampoline_kernelINS0_14default_configENS1_27scan_by_key_config_selectorIifEEZZNS1_16scan_by_key_implILNS1_25lookback_scan_determinismE0ELb0ES3_N6thrust23THRUST_200600_302600_NS6detail15normal_iteratorINS9_10device_ptrIiEEEENSB_INSC_IfEEEESG_fNS9_4plusIvEENS9_8equal_toIvEEfEE10hipError_tPvRmT2_T3_T4_T5_mT6_T7_P12ihipStream_tbENKUlT_T0_E_clISt17integral_constantIbLb1EES11_EEDaSW_SX_EUlSW_E_NS1_11comp_targetILNS1_3genE10ELNS1_11target_archE1200ELNS1_3gpuE4ELNS1_3repE0EEENS1_30default_config_static_selectorELNS0_4arch9wavefront6targetE0EEEvT1_
    .private_segment_fixed_size: 0
    .sgpr_count:     0
    .sgpr_spill_count: 0
    .symbol:         _ZN7rocprim17ROCPRIM_400000_NS6detail17trampoline_kernelINS0_14default_configENS1_27scan_by_key_config_selectorIifEEZZNS1_16scan_by_key_implILNS1_25lookback_scan_determinismE0ELb0ES3_N6thrust23THRUST_200600_302600_NS6detail15normal_iteratorINS9_10device_ptrIiEEEENSB_INSC_IfEEEESG_fNS9_4plusIvEENS9_8equal_toIvEEfEE10hipError_tPvRmT2_T3_T4_T5_mT6_T7_P12ihipStream_tbENKUlT_T0_E_clISt17integral_constantIbLb1EES11_EEDaSW_SX_EUlSW_E_NS1_11comp_targetILNS1_3genE10ELNS1_11target_archE1200ELNS1_3gpuE4ELNS1_3repE0EEENS1_30default_config_static_selectorELNS0_4arch9wavefront6targetE0EEEvT1_.kd
    .uniform_work_group_size: 1
    .uses_dynamic_stack: false
    .vgpr_count:     0
    .vgpr_spill_count: 0
    .wavefront_size: 32
  - .args:
      - .offset:         0
        .size:           112
        .value_kind:     by_value
    .group_segment_fixed_size: 0
    .kernarg_segment_align: 8
    .kernarg_segment_size: 112
    .language:       OpenCL C
    .language_version:
      - 2
      - 0
    .max_flat_workgroup_size: 256
    .name:           _ZN7rocprim17ROCPRIM_400000_NS6detail17trampoline_kernelINS0_14default_configENS1_27scan_by_key_config_selectorIifEEZZNS1_16scan_by_key_implILNS1_25lookback_scan_determinismE0ELb0ES3_N6thrust23THRUST_200600_302600_NS6detail15normal_iteratorINS9_10device_ptrIiEEEENSB_INSC_IfEEEESG_fNS9_4plusIvEENS9_8equal_toIvEEfEE10hipError_tPvRmT2_T3_T4_T5_mT6_T7_P12ihipStream_tbENKUlT_T0_E_clISt17integral_constantIbLb1EES11_EEDaSW_SX_EUlSW_E_NS1_11comp_targetILNS1_3genE9ELNS1_11target_archE1100ELNS1_3gpuE3ELNS1_3repE0EEENS1_30default_config_static_selectorELNS0_4arch9wavefront6targetE0EEEvT1_
    .private_segment_fixed_size: 0
    .sgpr_count:     0
    .sgpr_spill_count: 0
    .symbol:         _ZN7rocprim17ROCPRIM_400000_NS6detail17trampoline_kernelINS0_14default_configENS1_27scan_by_key_config_selectorIifEEZZNS1_16scan_by_key_implILNS1_25lookback_scan_determinismE0ELb0ES3_N6thrust23THRUST_200600_302600_NS6detail15normal_iteratorINS9_10device_ptrIiEEEENSB_INSC_IfEEEESG_fNS9_4plusIvEENS9_8equal_toIvEEfEE10hipError_tPvRmT2_T3_T4_T5_mT6_T7_P12ihipStream_tbENKUlT_T0_E_clISt17integral_constantIbLb1EES11_EEDaSW_SX_EUlSW_E_NS1_11comp_targetILNS1_3genE9ELNS1_11target_archE1100ELNS1_3gpuE3ELNS1_3repE0EEENS1_30default_config_static_selectorELNS0_4arch9wavefront6targetE0EEEvT1_.kd
    .uniform_work_group_size: 1
    .uses_dynamic_stack: false
    .vgpr_count:     0
    .vgpr_spill_count: 0
    .wavefront_size: 32
  - .args:
      - .offset:         0
        .size:           112
        .value_kind:     by_value
    .group_segment_fixed_size: 0
    .kernarg_segment_align: 8
    .kernarg_segment_size: 112
    .language:       OpenCL C
    .language_version:
      - 2
      - 0
    .max_flat_workgroup_size: 256
    .name:           _ZN7rocprim17ROCPRIM_400000_NS6detail17trampoline_kernelINS0_14default_configENS1_27scan_by_key_config_selectorIifEEZZNS1_16scan_by_key_implILNS1_25lookback_scan_determinismE0ELb0ES3_N6thrust23THRUST_200600_302600_NS6detail15normal_iteratorINS9_10device_ptrIiEEEENSB_INSC_IfEEEESG_fNS9_4plusIvEENS9_8equal_toIvEEfEE10hipError_tPvRmT2_T3_T4_T5_mT6_T7_P12ihipStream_tbENKUlT_T0_E_clISt17integral_constantIbLb1EES11_EEDaSW_SX_EUlSW_E_NS1_11comp_targetILNS1_3genE8ELNS1_11target_archE1030ELNS1_3gpuE2ELNS1_3repE0EEENS1_30default_config_static_selectorELNS0_4arch9wavefront6targetE0EEEvT1_
    .private_segment_fixed_size: 0
    .sgpr_count:     0
    .sgpr_spill_count: 0
    .symbol:         _ZN7rocprim17ROCPRIM_400000_NS6detail17trampoline_kernelINS0_14default_configENS1_27scan_by_key_config_selectorIifEEZZNS1_16scan_by_key_implILNS1_25lookback_scan_determinismE0ELb0ES3_N6thrust23THRUST_200600_302600_NS6detail15normal_iteratorINS9_10device_ptrIiEEEENSB_INSC_IfEEEESG_fNS9_4plusIvEENS9_8equal_toIvEEfEE10hipError_tPvRmT2_T3_T4_T5_mT6_T7_P12ihipStream_tbENKUlT_T0_E_clISt17integral_constantIbLb1EES11_EEDaSW_SX_EUlSW_E_NS1_11comp_targetILNS1_3genE8ELNS1_11target_archE1030ELNS1_3gpuE2ELNS1_3repE0EEENS1_30default_config_static_selectorELNS0_4arch9wavefront6targetE0EEEvT1_.kd
    .uniform_work_group_size: 1
    .uses_dynamic_stack: false
    .vgpr_count:     0
    .vgpr_spill_count: 0
    .wavefront_size: 32
  - .args:
      - .address_space:  global
        .offset:         0
        .size:           8
        .value_kind:     global_buffer
      - .offset:         8
        .size:           4
        .value_kind:     by_value
      - .offset:         12
        .size:           4
        .value_kind:     by_value
      - .address_space:  global
        .offset:         16
        .size:           8
        .value_kind:     global_buffer
      - .address_space:  global
        .offset:         24
        .size:           8
        .value_kind:     global_buffer
      - .actual_access:  write_only
        .address_space:  global
        .offset:         32
        .size:           8
        .value_kind:     global_buffer
      - .offset:         40
        .size:           8
        .value_kind:     by_value
      - .offset:         48
        .size:           4
        .value_kind:     by_value
      - .offset:         52
        .size:           1
        .value_kind:     by_value
      - .offset:         56
        .size:           4
        .value_kind:     hidden_block_count_x
      - .offset:         60
        .size:           4
        .value_kind:     hidden_block_count_y
      - .offset:         64
        .size:           4
        .value_kind:     hidden_block_count_z
      - .offset:         68
        .size:           2
        .value_kind:     hidden_group_size_x
      - .offset:         70
        .size:           2
        .value_kind:     hidden_group_size_y
      - .offset:         72
        .size:           2
        .value_kind:     hidden_group_size_z
      - .offset:         74
        .size:           2
        .value_kind:     hidden_remainder_x
      - .offset:         76
        .size:           2
        .value_kind:     hidden_remainder_y
      - .offset:         78
        .size:           2
        .value_kind:     hidden_remainder_z
      - .offset:         96
        .size:           8
        .value_kind:     hidden_global_offset_x
      - .offset:         104
        .size:           8
        .value_kind:     hidden_global_offset_y
      - .offset:         112
        .size:           8
        .value_kind:     hidden_global_offset_z
      - .offset:         120
        .size:           2
        .value_kind:     hidden_grid_dims
    .group_segment_fixed_size: 0
    .kernarg_segment_align: 8
    .kernarg_segment_size: 312
    .language:       OpenCL C
    .language_version:
      - 2
      - 0
    .max_flat_workgroup_size: 256
    .name:           _ZN7rocprim17ROCPRIM_400000_NS6detail30init_device_scan_by_key_kernelINS1_19lookback_scan_stateINS0_5tupleIJfbEEELb1ELb1EEEN6thrust23THRUST_200600_302600_NS6detail15normal_iteratorINS8_10device_ptrIiEEEEjNS1_16block_id_wrapperIjLb0EEEEEvT_jjPNSG_10value_typeET0_PNSt15iterator_traitsISJ_E10value_typeEmT1_T2_
    .private_segment_fixed_size: 0
    .sgpr_count:     19
    .sgpr_spill_count: 0
    .symbol:         _ZN7rocprim17ROCPRIM_400000_NS6detail30init_device_scan_by_key_kernelINS1_19lookback_scan_stateINS0_5tupleIJfbEEELb1ELb1EEEN6thrust23THRUST_200600_302600_NS6detail15normal_iteratorINS8_10device_ptrIiEEEEjNS1_16block_id_wrapperIjLb0EEEEEvT_jjPNSG_10value_typeET0_PNSt15iterator_traitsISJ_E10value_typeEmT1_T2_.kd
    .uniform_work_group_size: 1
    .uses_dynamic_stack: false
    .vgpr_count:     10
    .vgpr_spill_count: 0
    .wavefront_size: 32
  - .args:
      - .address_space:  global
        .offset:         0
        .size:           8
        .value_kind:     global_buffer
      - .offset:         8
        .size:           4
        .value_kind:     by_value
      - .offset:         12
        .size:           4
        .value_kind:     by_value
      - .address_space:  global
        .offset:         16
        .size:           8
        .value_kind:     global_buffer
      - .offset:         24
        .size:           1
        .value_kind:     by_value
      - .offset:         32
        .size:           4
        .value_kind:     hidden_block_count_x
      - .offset:         36
        .size:           4
        .value_kind:     hidden_block_count_y
      - .offset:         40
        .size:           4
        .value_kind:     hidden_block_count_z
      - .offset:         44
        .size:           2
        .value_kind:     hidden_group_size_x
      - .offset:         46
        .size:           2
        .value_kind:     hidden_group_size_y
      - .offset:         48
        .size:           2
        .value_kind:     hidden_group_size_z
      - .offset:         50
        .size:           2
        .value_kind:     hidden_remainder_x
      - .offset:         52
        .size:           2
        .value_kind:     hidden_remainder_y
      - .offset:         54
        .size:           2
        .value_kind:     hidden_remainder_z
      - .offset:         72
        .size:           8
        .value_kind:     hidden_global_offset_x
      - .offset:         80
        .size:           8
        .value_kind:     hidden_global_offset_y
      - .offset:         88
        .size:           8
        .value_kind:     hidden_global_offset_z
      - .offset:         96
        .size:           2
        .value_kind:     hidden_grid_dims
    .group_segment_fixed_size: 0
    .kernarg_segment_align: 8
    .kernarg_segment_size: 288
    .language:       OpenCL C
    .language_version:
      - 2
      - 0
    .max_flat_workgroup_size: 256
    .name:           _ZN7rocprim17ROCPRIM_400000_NS6detail30init_device_scan_by_key_kernelINS1_19lookback_scan_stateINS0_5tupleIJfbEEELb1ELb1EEENS1_16block_id_wrapperIjLb0EEEEEvT_jjPNS9_10value_typeET0_
    .private_segment_fixed_size: 0
    .sgpr_count:     13
    .sgpr_spill_count: 0
    .symbol:         _ZN7rocprim17ROCPRIM_400000_NS6detail30init_device_scan_by_key_kernelINS1_19lookback_scan_stateINS0_5tupleIJfbEEELb1ELb1EEENS1_16block_id_wrapperIjLb0EEEEEvT_jjPNS9_10value_typeET0_.kd
    .uniform_work_group_size: 1
    .uses_dynamic_stack: false
    .vgpr_count:     9
    .vgpr_spill_count: 0
    .wavefront_size: 32
  - .args:
      - .offset:         0
        .size:           112
        .value_kind:     by_value
    .group_segment_fixed_size: 0
    .kernarg_segment_align: 8
    .kernarg_segment_size: 112
    .language:       OpenCL C
    .language_version:
      - 2
      - 0
    .max_flat_workgroup_size: 256
    .name:           _ZN7rocprim17ROCPRIM_400000_NS6detail17trampoline_kernelINS0_14default_configENS1_27scan_by_key_config_selectorIifEEZZNS1_16scan_by_key_implILNS1_25lookback_scan_determinismE0ELb0ES3_N6thrust23THRUST_200600_302600_NS6detail15normal_iteratorINS9_10device_ptrIiEEEENSB_INSC_IfEEEESG_fNS9_4plusIvEENS9_8equal_toIvEEfEE10hipError_tPvRmT2_T3_T4_T5_mT6_T7_P12ihipStream_tbENKUlT_T0_E_clISt17integral_constantIbLb1EES10_IbLb0EEEEDaSW_SX_EUlSW_E_NS1_11comp_targetILNS1_3genE0ELNS1_11target_archE4294967295ELNS1_3gpuE0ELNS1_3repE0EEENS1_30default_config_static_selectorELNS0_4arch9wavefront6targetE0EEEvT1_
    .private_segment_fixed_size: 0
    .sgpr_count:     0
    .sgpr_spill_count: 0
    .symbol:         _ZN7rocprim17ROCPRIM_400000_NS6detail17trampoline_kernelINS0_14default_configENS1_27scan_by_key_config_selectorIifEEZZNS1_16scan_by_key_implILNS1_25lookback_scan_determinismE0ELb0ES3_N6thrust23THRUST_200600_302600_NS6detail15normal_iteratorINS9_10device_ptrIiEEEENSB_INSC_IfEEEESG_fNS9_4plusIvEENS9_8equal_toIvEEfEE10hipError_tPvRmT2_T3_T4_T5_mT6_T7_P12ihipStream_tbENKUlT_T0_E_clISt17integral_constantIbLb1EES10_IbLb0EEEEDaSW_SX_EUlSW_E_NS1_11comp_targetILNS1_3genE0ELNS1_11target_archE4294967295ELNS1_3gpuE0ELNS1_3repE0EEENS1_30default_config_static_selectorELNS0_4arch9wavefront6targetE0EEEvT1_.kd
    .uniform_work_group_size: 1
    .uses_dynamic_stack: false
    .vgpr_count:     0
    .vgpr_spill_count: 0
    .wavefront_size: 32
  - .args:
      - .offset:         0
        .size:           112
        .value_kind:     by_value
    .group_segment_fixed_size: 0
    .kernarg_segment_align: 8
    .kernarg_segment_size: 112
    .language:       OpenCL C
    .language_version:
      - 2
      - 0
    .max_flat_workgroup_size: 256
    .name:           _ZN7rocprim17ROCPRIM_400000_NS6detail17trampoline_kernelINS0_14default_configENS1_27scan_by_key_config_selectorIifEEZZNS1_16scan_by_key_implILNS1_25lookback_scan_determinismE0ELb0ES3_N6thrust23THRUST_200600_302600_NS6detail15normal_iteratorINS9_10device_ptrIiEEEENSB_INSC_IfEEEESG_fNS9_4plusIvEENS9_8equal_toIvEEfEE10hipError_tPvRmT2_T3_T4_T5_mT6_T7_P12ihipStream_tbENKUlT_T0_E_clISt17integral_constantIbLb1EES10_IbLb0EEEEDaSW_SX_EUlSW_E_NS1_11comp_targetILNS1_3genE10ELNS1_11target_archE1201ELNS1_3gpuE5ELNS1_3repE0EEENS1_30default_config_static_selectorELNS0_4arch9wavefront6targetE0EEEvT1_
    .private_segment_fixed_size: 0
    .sgpr_count:     0
    .sgpr_spill_count: 0
    .symbol:         _ZN7rocprim17ROCPRIM_400000_NS6detail17trampoline_kernelINS0_14default_configENS1_27scan_by_key_config_selectorIifEEZZNS1_16scan_by_key_implILNS1_25lookback_scan_determinismE0ELb0ES3_N6thrust23THRUST_200600_302600_NS6detail15normal_iteratorINS9_10device_ptrIiEEEENSB_INSC_IfEEEESG_fNS9_4plusIvEENS9_8equal_toIvEEfEE10hipError_tPvRmT2_T3_T4_T5_mT6_T7_P12ihipStream_tbENKUlT_T0_E_clISt17integral_constantIbLb1EES10_IbLb0EEEEDaSW_SX_EUlSW_E_NS1_11comp_targetILNS1_3genE10ELNS1_11target_archE1201ELNS1_3gpuE5ELNS1_3repE0EEENS1_30default_config_static_selectorELNS0_4arch9wavefront6targetE0EEEvT1_.kd
    .uniform_work_group_size: 1
    .uses_dynamic_stack: false
    .vgpr_count:     0
    .vgpr_spill_count: 0
    .wavefront_size: 32
  - .args:
      - .offset:         0
        .size:           112
        .value_kind:     by_value
    .group_segment_fixed_size: 0
    .kernarg_segment_align: 8
    .kernarg_segment_size: 112
    .language:       OpenCL C
    .language_version:
      - 2
      - 0
    .max_flat_workgroup_size: 256
    .name:           _ZN7rocprim17ROCPRIM_400000_NS6detail17trampoline_kernelINS0_14default_configENS1_27scan_by_key_config_selectorIifEEZZNS1_16scan_by_key_implILNS1_25lookback_scan_determinismE0ELb0ES3_N6thrust23THRUST_200600_302600_NS6detail15normal_iteratorINS9_10device_ptrIiEEEENSB_INSC_IfEEEESG_fNS9_4plusIvEENS9_8equal_toIvEEfEE10hipError_tPvRmT2_T3_T4_T5_mT6_T7_P12ihipStream_tbENKUlT_T0_E_clISt17integral_constantIbLb1EES10_IbLb0EEEEDaSW_SX_EUlSW_E_NS1_11comp_targetILNS1_3genE5ELNS1_11target_archE942ELNS1_3gpuE9ELNS1_3repE0EEENS1_30default_config_static_selectorELNS0_4arch9wavefront6targetE0EEEvT1_
    .private_segment_fixed_size: 0
    .sgpr_count:     0
    .sgpr_spill_count: 0
    .symbol:         _ZN7rocprim17ROCPRIM_400000_NS6detail17trampoline_kernelINS0_14default_configENS1_27scan_by_key_config_selectorIifEEZZNS1_16scan_by_key_implILNS1_25lookback_scan_determinismE0ELb0ES3_N6thrust23THRUST_200600_302600_NS6detail15normal_iteratorINS9_10device_ptrIiEEEENSB_INSC_IfEEEESG_fNS9_4plusIvEENS9_8equal_toIvEEfEE10hipError_tPvRmT2_T3_T4_T5_mT6_T7_P12ihipStream_tbENKUlT_T0_E_clISt17integral_constantIbLb1EES10_IbLb0EEEEDaSW_SX_EUlSW_E_NS1_11comp_targetILNS1_3genE5ELNS1_11target_archE942ELNS1_3gpuE9ELNS1_3repE0EEENS1_30default_config_static_selectorELNS0_4arch9wavefront6targetE0EEEvT1_.kd
    .uniform_work_group_size: 1
    .uses_dynamic_stack: false
    .vgpr_count:     0
    .vgpr_spill_count: 0
    .wavefront_size: 32
  - .args:
      - .offset:         0
        .size:           112
        .value_kind:     by_value
    .group_segment_fixed_size: 0
    .kernarg_segment_align: 8
    .kernarg_segment_size: 112
    .language:       OpenCL C
    .language_version:
      - 2
      - 0
    .max_flat_workgroup_size: 256
    .name:           _ZN7rocprim17ROCPRIM_400000_NS6detail17trampoline_kernelINS0_14default_configENS1_27scan_by_key_config_selectorIifEEZZNS1_16scan_by_key_implILNS1_25lookback_scan_determinismE0ELb0ES3_N6thrust23THRUST_200600_302600_NS6detail15normal_iteratorINS9_10device_ptrIiEEEENSB_INSC_IfEEEESG_fNS9_4plusIvEENS9_8equal_toIvEEfEE10hipError_tPvRmT2_T3_T4_T5_mT6_T7_P12ihipStream_tbENKUlT_T0_E_clISt17integral_constantIbLb1EES10_IbLb0EEEEDaSW_SX_EUlSW_E_NS1_11comp_targetILNS1_3genE4ELNS1_11target_archE910ELNS1_3gpuE8ELNS1_3repE0EEENS1_30default_config_static_selectorELNS0_4arch9wavefront6targetE0EEEvT1_
    .private_segment_fixed_size: 0
    .sgpr_count:     0
    .sgpr_spill_count: 0
    .symbol:         _ZN7rocprim17ROCPRIM_400000_NS6detail17trampoline_kernelINS0_14default_configENS1_27scan_by_key_config_selectorIifEEZZNS1_16scan_by_key_implILNS1_25lookback_scan_determinismE0ELb0ES3_N6thrust23THRUST_200600_302600_NS6detail15normal_iteratorINS9_10device_ptrIiEEEENSB_INSC_IfEEEESG_fNS9_4plusIvEENS9_8equal_toIvEEfEE10hipError_tPvRmT2_T3_T4_T5_mT6_T7_P12ihipStream_tbENKUlT_T0_E_clISt17integral_constantIbLb1EES10_IbLb0EEEEDaSW_SX_EUlSW_E_NS1_11comp_targetILNS1_3genE4ELNS1_11target_archE910ELNS1_3gpuE8ELNS1_3repE0EEENS1_30default_config_static_selectorELNS0_4arch9wavefront6targetE0EEEvT1_.kd
    .uniform_work_group_size: 1
    .uses_dynamic_stack: false
    .vgpr_count:     0
    .vgpr_spill_count: 0
    .wavefront_size: 32
  - .args:
      - .offset:         0
        .size:           112
        .value_kind:     by_value
    .group_segment_fixed_size: 0
    .kernarg_segment_align: 8
    .kernarg_segment_size: 112
    .language:       OpenCL C
    .language_version:
      - 2
      - 0
    .max_flat_workgroup_size: 256
    .name:           _ZN7rocprim17ROCPRIM_400000_NS6detail17trampoline_kernelINS0_14default_configENS1_27scan_by_key_config_selectorIifEEZZNS1_16scan_by_key_implILNS1_25lookback_scan_determinismE0ELb0ES3_N6thrust23THRUST_200600_302600_NS6detail15normal_iteratorINS9_10device_ptrIiEEEENSB_INSC_IfEEEESG_fNS9_4plusIvEENS9_8equal_toIvEEfEE10hipError_tPvRmT2_T3_T4_T5_mT6_T7_P12ihipStream_tbENKUlT_T0_E_clISt17integral_constantIbLb1EES10_IbLb0EEEEDaSW_SX_EUlSW_E_NS1_11comp_targetILNS1_3genE3ELNS1_11target_archE908ELNS1_3gpuE7ELNS1_3repE0EEENS1_30default_config_static_selectorELNS0_4arch9wavefront6targetE0EEEvT1_
    .private_segment_fixed_size: 0
    .sgpr_count:     0
    .sgpr_spill_count: 0
    .symbol:         _ZN7rocprim17ROCPRIM_400000_NS6detail17trampoline_kernelINS0_14default_configENS1_27scan_by_key_config_selectorIifEEZZNS1_16scan_by_key_implILNS1_25lookback_scan_determinismE0ELb0ES3_N6thrust23THRUST_200600_302600_NS6detail15normal_iteratorINS9_10device_ptrIiEEEENSB_INSC_IfEEEESG_fNS9_4plusIvEENS9_8equal_toIvEEfEE10hipError_tPvRmT2_T3_T4_T5_mT6_T7_P12ihipStream_tbENKUlT_T0_E_clISt17integral_constantIbLb1EES10_IbLb0EEEEDaSW_SX_EUlSW_E_NS1_11comp_targetILNS1_3genE3ELNS1_11target_archE908ELNS1_3gpuE7ELNS1_3repE0EEENS1_30default_config_static_selectorELNS0_4arch9wavefront6targetE0EEEvT1_.kd
    .uniform_work_group_size: 1
    .uses_dynamic_stack: false
    .vgpr_count:     0
    .vgpr_spill_count: 0
    .wavefront_size: 32
  - .args:
      - .offset:         0
        .size:           112
        .value_kind:     by_value
    .group_segment_fixed_size: 0
    .kernarg_segment_align: 8
    .kernarg_segment_size: 112
    .language:       OpenCL C
    .language_version:
      - 2
      - 0
    .max_flat_workgroup_size: 256
    .name:           _ZN7rocprim17ROCPRIM_400000_NS6detail17trampoline_kernelINS0_14default_configENS1_27scan_by_key_config_selectorIifEEZZNS1_16scan_by_key_implILNS1_25lookback_scan_determinismE0ELb0ES3_N6thrust23THRUST_200600_302600_NS6detail15normal_iteratorINS9_10device_ptrIiEEEENSB_INSC_IfEEEESG_fNS9_4plusIvEENS9_8equal_toIvEEfEE10hipError_tPvRmT2_T3_T4_T5_mT6_T7_P12ihipStream_tbENKUlT_T0_E_clISt17integral_constantIbLb1EES10_IbLb0EEEEDaSW_SX_EUlSW_E_NS1_11comp_targetILNS1_3genE2ELNS1_11target_archE906ELNS1_3gpuE6ELNS1_3repE0EEENS1_30default_config_static_selectorELNS0_4arch9wavefront6targetE0EEEvT1_
    .private_segment_fixed_size: 0
    .sgpr_count:     0
    .sgpr_spill_count: 0
    .symbol:         _ZN7rocprim17ROCPRIM_400000_NS6detail17trampoline_kernelINS0_14default_configENS1_27scan_by_key_config_selectorIifEEZZNS1_16scan_by_key_implILNS1_25lookback_scan_determinismE0ELb0ES3_N6thrust23THRUST_200600_302600_NS6detail15normal_iteratorINS9_10device_ptrIiEEEENSB_INSC_IfEEEESG_fNS9_4plusIvEENS9_8equal_toIvEEfEE10hipError_tPvRmT2_T3_T4_T5_mT6_T7_P12ihipStream_tbENKUlT_T0_E_clISt17integral_constantIbLb1EES10_IbLb0EEEEDaSW_SX_EUlSW_E_NS1_11comp_targetILNS1_3genE2ELNS1_11target_archE906ELNS1_3gpuE6ELNS1_3repE0EEENS1_30default_config_static_selectorELNS0_4arch9wavefront6targetE0EEEvT1_.kd
    .uniform_work_group_size: 1
    .uses_dynamic_stack: false
    .vgpr_count:     0
    .vgpr_spill_count: 0
    .wavefront_size: 32
  - .args:
      - .offset:         0
        .size:           112
        .value_kind:     by_value
    .group_segment_fixed_size: 0
    .kernarg_segment_align: 8
    .kernarg_segment_size: 112
    .language:       OpenCL C
    .language_version:
      - 2
      - 0
    .max_flat_workgroup_size: 256
    .name:           _ZN7rocprim17ROCPRIM_400000_NS6detail17trampoline_kernelINS0_14default_configENS1_27scan_by_key_config_selectorIifEEZZNS1_16scan_by_key_implILNS1_25lookback_scan_determinismE0ELb0ES3_N6thrust23THRUST_200600_302600_NS6detail15normal_iteratorINS9_10device_ptrIiEEEENSB_INSC_IfEEEESG_fNS9_4plusIvEENS9_8equal_toIvEEfEE10hipError_tPvRmT2_T3_T4_T5_mT6_T7_P12ihipStream_tbENKUlT_T0_E_clISt17integral_constantIbLb1EES10_IbLb0EEEEDaSW_SX_EUlSW_E_NS1_11comp_targetILNS1_3genE10ELNS1_11target_archE1200ELNS1_3gpuE4ELNS1_3repE0EEENS1_30default_config_static_selectorELNS0_4arch9wavefront6targetE0EEEvT1_
    .private_segment_fixed_size: 0
    .sgpr_count:     0
    .sgpr_spill_count: 0
    .symbol:         _ZN7rocprim17ROCPRIM_400000_NS6detail17trampoline_kernelINS0_14default_configENS1_27scan_by_key_config_selectorIifEEZZNS1_16scan_by_key_implILNS1_25lookback_scan_determinismE0ELb0ES3_N6thrust23THRUST_200600_302600_NS6detail15normal_iteratorINS9_10device_ptrIiEEEENSB_INSC_IfEEEESG_fNS9_4plusIvEENS9_8equal_toIvEEfEE10hipError_tPvRmT2_T3_T4_T5_mT6_T7_P12ihipStream_tbENKUlT_T0_E_clISt17integral_constantIbLb1EES10_IbLb0EEEEDaSW_SX_EUlSW_E_NS1_11comp_targetILNS1_3genE10ELNS1_11target_archE1200ELNS1_3gpuE4ELNS1_3repE0EEENS1_30default_config_static_selectorELNS0_4arch9wavefront6targetE0EEEvT1_.kd
    .uniform_work_group_size: 1
    .uses_dynamic_stack: false
    .vgpr_count:     0
    .vgpr_spill_count: 0
    .wavefront_size: 32
  - .args:
      - .offset:         0
        .size:           112
        .value_kind:     by_value
    .group_segment_fixed_size: 0
    .kernarg_segment_align: 8
    .kernarg_segment_size: 112
    .language:       OpenCL C
    .language_version:
      - 2
      - 0
    .max_flat_workgroup_size: 256
    .name:           _ZN7rocprim17ROCPRIM_400000_NS6detail17trampoline_kernelINS0_14default_configENS1_27scan_by_key_config_selectorIifEEZZNS1_16scan_by_key_implILNS1_25lookback_scan_determinismE0ELb0ES3_N6thrust23THRUST_200600_302600_NS6detail15normal_iteratorINS9_10device_ptrIiEEEENSB_INSC_IfEEEESG_fNS9_4plusIvEENS9_8equal_toIvEEfEE10hipError_tPvRmT2_T3_T4_T5_mT6_T7_P12ihipStream_tbENKUlT_T0_E_clISt17integral_constantIbLb1EES10_IbLb0EEEEDaSW_SX_EUlSW_E_NS1_11comp_targetILNS1_3genE9ELNS1_11target_archE1100ELNS1_3gpuE3ELNS1_3repE0EEENS1_30default_config_static_selectorELNS0_4arch9wavefront6targetE0EEEvT1_
    .private_segment_fixed_size: 0
    .sgpr_count:     0
    .sgpr_spill_count: 0
    .symbol:         _ZN7rocprim17ROCPRIM_400000_NS6detail17trampoline_kernelINS0_14default_configENS1_27scan_by_key_config_selectorIifEEZZNS1_16scan_by_key_implILNS1_25lookback_scan_determinismE0ELb0ES3_N6thrust23THRUST_200600_302600_NS6detail15normal_iteratorINS9_10device_ptrIiEEEENSB_INSC_IfEEEESG_fNS9_4plusIvEENS9_8equal_toIvEEfEE10hipError_tPvRmT2_T3_T4_T5_mT6_T7_P12ihipStream_tbENKUlT_T0_E_clISt17integral_constantIbLb1EES10_IbLb0EEEEDaSW_SX_EUlSW_E_NS1_11comp_targetILNS1_3genE9ELNS1_11target_archE1100ELNS1_3gpuE3ELNS1_3repE0EEENS1_30default_config_static_selectorELNS0_4arch9wavefront6targetE0EEEvT1_.kd
    .uniform_work_group_size: 1
    .uses_dynamic_stack: false
    .vgpr_count:     0
    .vgpr_spill_count: 0
    .wavefront_size: 32
  - .args:
      - .offset:         0
        .size:           112
        .value_kind:     by_value
    .group_segment_fixed_size: 0
    .kernarg_segment_align: 8
    .kernarg_segment_size: 112
    .language:       OpenCL C
    .language_version:
      - 2
      - 0
    .max_flat_workgroup_size: 256
    .name:           _ZN7rocprim17ROCPRIM_400000_NS6detail17trampoline_kernelINS0_14default_configENS1_27scan_by_key_config_selectorIifEEZZNS1_16scan_by_key_implILNS1_25lookback_scan_determinismE0ELb0ES3_N6thrust23THRUST_200600_302600_NS6detail15normal_iteratorINS9_10device_ptrIiEEEENSB_INSC_IfEEEESG_fNS9_4plusIvEENS9_8equal_toIvEEfEE10hipError_tPvRmT2_T3_T4_T5_mT6_T7_P12ihipStream_tbENKUlT_T0_E_clISt17integral_constantIbLb1EES10_IbLb0EEEEDaSW_SX_EUlSW_E_NS1_11comp_targetILNS1_3genE8ELNS1_11target_archE1030ELNS1_3gpuE2ELNS1_3repE0EEENS1_30default_config_static_selectorELNS0_4arch9wavefront6targetE0EEEvT1_
    .private_segment_fixed_size: 0
    .sgpr_count:     0
    .sgpr_spill_count: 0
    .symbol:         _ZN7rocprim17ROCPRIM_400000_NS6detail17trampoline_kernelINS0_14default_configENS1_27scan_by_key_config_selectorIifEEZZNS1_16scan_by_key_implILNS1_25lookback_scan_determinismE0ELb0ES3_N6thrust23THRUST_200600_302600_NS6detail15normal_iteratorINS9_10device_ptrIiEEEENSB_INSC_IfEEEESG_fNS9_4plusIvEENS9_8equal_toIvEEfEE10hipError_tPvRmT2_T3_T4_T5_mT6_T7_P12ihipStream_tbENKUlT_T0_E_clISt17integral_constantIbLb1EES10_IbLb0EEEEDaSW_SX_EUlSW_E_NS1_11comp_targetILNS1_3genE8ELNS1_11target_archE1030ELNS1_3gpuE2ELNS1_3repE0EEENS1_30default_config_static_selectorELNS0_4arch9wavefront6targetE0EEEvT1_.kd
    .uniform_work_group_size: 1
    .uses_dynamic_stack: false
    .vgpr_count:     0
    .vgpr_spill_count: 0
    .wavefront_size: 32
  - .args:
      - .address_space:  global
        .offset:         0
        .size:           8
        .value_kind:     global_buffer
      - .offset:         8
        .size:           4
        .value_kind:     by_value
      - .offset:         12
        .size:           4
        .value_kind:     by_value
      - .address_space:  global
        .offset:         16
        .size:           8
        .value_kind:     global_buffer
      - .address_space:  global
        .offset:         24
        .size:           8
        .value_kind:     global_buffer
      - .actual_access:  write_only
        .address_space:  global
        .offset:         32
        .size:           8
        .value_kind:     global_buffer
      - .offset:         40
        .size:           8
        .value_kind:     by_value
      - .offset:         48
        .size:           4
        .value_kind:     by_value
      - .address_space:  global
        .offset:         56
        .size:           8
        .value_kind:     global_buffer
      - .offset:         64
        .size:           4
        .value_kind:     hidden_block_count_x
      - .offset:         68
        .size:           4
        .value_kind:     hidden_block_count_y
      - .offset:         72
        .size:           4
        .value_kind:     hidden_block_count_z
      - .offset:         76
        .size:           2
        .value_kind:     hidden_group_size_x
      - .offset:         78
        .size:           2
        .value_kind:     hidden_group_size_y
      - .offset:         80
        .size:           2
        .value_kind:     hidden_group_size_z
      - .offset:         82
        .size:           2
        .value_kind:     hidden_remainder_x
      - .offset:         84
        .size:           2
        .value_kind:     hidden_remainder_y
      - .offset:         86
        .size:           2
        .value_kind:     hidden_remainder_z
      - .offset:         104
        .size:           8
        .value_kind:     hidden_global_offset_x
      - .offset:         112
        .size:           8
        .value_kind:     hidden_global_offset_y
      - .offset:         120
        .size:           8
        .value_kind:     hidden_global_offset_z
      - .offset:         128
        .size:           2
        .value_kind:     hidden_grid_dims
    .group_segment_fixed_size: 0
    .kernarg_segment_align: 8
    .kernarg_segment_size: 320
    .language:       OpenCL C
    .language_version:
      - 2
      - 0
    .max_flat_workgroup_size: 256
    .name:           _ZN7rocprim17ROCPRIM_400000_NS6detail30init_device_scan_by_key_kernelINS1_19lookback_scan_stateINS0_5tupleIJfbEEELb0ELb1EEEN6thrust23THRUST_200600_302600_NS6detail15normal_iteratorINS8_10device_ptrIiEEEEjNS1_16block_id_wrapperIjLb1EEEEEvT_jjPNSG_10value_typeET0_PNSt15iterator_traitsISJ_E10value_typeEmT1_T2_
    .private_segment_fixed_size: 0
    .sgpr_count:     19
    .sgpr_spill_count: 0
    .symbol:         _ZN7rocprim17ROCPRIM_400000_NS6detail30init_device_scan_by_key_kernelINS1_19lookback_scan_stateINS0_5tupleIJfbEEELb0ELb1EEEN6thrust23THRUST_200600_302600_NS6detail15normal_iteratorINS8_10device_ptrIiEEEEjNS1_16block_id_wrapperIjLb1EEEEEvT_jjPNSG_10value_typeET0_PNSt15iterator_traitsISJ_E10value_typeEmT1_T2_.kd
    .uniform_work_group_size: 1
    .uses_dynamic_stack: false
    .vgpr_count:     10
    .vgpr_spill_count: 0
    .wavefront_size: 32
  - .args:
      - .address_space:  global
        .offset:         0
        .size:           8
        .value_kind:     global_buffer
      - .offset:         8
        .size:           4
        .value_kind:     by_value
      - .offset:         12
        .size:           4
        .value_kind:     by_value
      - .address_space:  global
        .offset:         16
        .size:           8
        .value_kind:     global_buffer
      - .address_space:  global
        .offset:         24
        .size:           8
        .value_kind:     global_buffer
      - .offset:         32
        .size:           4
        .value_kind:     hidden_block_count_x
      - .offset:         36
        .size:           4
        .value_kind:     hidden_block_count_y
      - .offset:         40
        .size:           4
        .value_kind:     hidden_block_count_z
      - .offset:         44
        .size:           2
        .value_kind:     hidden_group_size_x
      - .offset:         46
        .size:           2
        .value_kind:     hidden_group_size_y
      - .offset:         48
        .size:           2
        .value_kind:     hidden_group_size_z
      - .offset:         50
        .size:           2
        .value_kind:     hidden_remainder_x
      - .offset:         52
        .size:           2
        .value_kind:     hidden_remainder_y
      - .offset:         54
        .size:           2
        .value_kind:     hidden_remainder_z
      - .offset:         72
        .size:           8
        .value_kind:     hidden_global_offset_x
      - .offset:         80
        .size:           8
        .value_kind:     hidden_global_offset_y
      - .offset:         88
        .size:           8
        .value_kind:     hidden_global_offset_z
      - .offset:         96
        .size:           2
        .value_kind:     hidden_grid_dims
    .group_segment_fixed_size: 0
    .kernarg_segment_align: 8
    .kernarg_segment_size: 288
    .language:       OpenCL C
    .language_version:
      - 2
      - 0
    .max_flat_workgroup_size: 256
    .name:           _ZN7rocprim17ROCPRIM_400000_NS6detail30init_device_scan_by_key_kernelINS1_19lookback_scan_stateINS0_5tupleIJfbEEELb0ELb1EEENS1_16block_id_wrapperIjLb1EEEEEvT_jjPNS9_10value_typeET0_
    .private_segment_fixed_size: 0
    .sgpr_count:     15
    .sgpr_spill_count: 0
    .symbol:         _ZN7rocprim17ROCPRIM_400000_NS6detail30init_device_scan_by_key_kernelINS1_19lookback_scan_stateINS0_5tupleIJfbEEELb0ELb1EEENS1_16block_id_wrapperIjLb1EEEEEvT_jjPNS9_10value_typeET0_.kd
    .uniform_work_group_size: 1
    .uses_dynamic_stack: false
    .vgpr_count:     9
    .vgpr_spill_count: 0
    .wavefront_size: 32
  - .args:
      - .offset:         0
        .size:           112
        .value_kind:     by_value
    .group_segment_fixed_size: 14336
    .kernarg_segment_align: 8
    .kernarg_segment_size: 112
    .language:       OpenCL C
    .language_version:
      - 2
      - 0
    .max_flat_workgroup_size: 256
    .name:           _ZN7rocprim17ROCPRIM_400000_NS6detail17trampoline_kernelINS0_14default_configENS1_27scan_by_key_config_selectorIifEEZZNS1_16scan_by_key_implILNS1_25lookback_scan_determinismE0ELb0ES3_N6thrust23THRUST_200600_302600_NS6detail15normal_iteratorINS9_10device_ptrIiEEEENSB_INSC_IfEEEESG_fNS9_4plusIvEENS9_8equal_toIvEEfEE10hipError_tPvRmT2_T3_T4_T5_mT6_T7_P12ihipStream_tbENKUlT_T0_E_clISt17integral_constantIbLb0EES10_IbLb1EEEEDaSW_SX_EUlSW_E_NS1_11comp_targetILNS1_3genE0ELNS1_11target_archE4294967295ELNS1_3gpuE0ELNS1_3repE0EEENS1_30default_config_static_selectorELNS0_4arch9wavefront6targetE0EEEvT1_
    .private_segment_fixed_size: 0
    .sgpr_count:     48
    .sgpr_spill_count: 0
    .symbol:         _ZN7rocprim17ROCPRIM_400000_NS6detail17trampoline_kernelINS0_14default_configENS1_27scan_by_key_config_selectorIifEEZZNS1_16scan_by_key_implILNS1_25lookback_scan_determinismE0ELb0ES3_N6thrust23THRUST_200600_302600_NS6detail15normal_iteratorINS9_10device_ptrIiEEEENSB_INSC_IfEEEESG_fNS9_4plusIvEENS9_8equal_toIvEEfEE10hipError_tPvRmT2_T3_T4_T5_mT6_T7_P12ihipStream_tbENKUlT_T0_E_clISt17integral_constantIbLb0EES10_IbLb1EEEEDaSW_SX_EUlSW_E_NS1_11comp_targetILNS1_3genE0ELNS1_11target_archE4294967295ELNS1_3gpuE0ELNS1_3repE0EEENS1_30default_config_static_selectorELNS0_4arch9wavefront6targetE0EEEvT1_.kd
    .uniform_work_group_size: 1
    .uses_dynamic_stack: false
    .vgpr_count:     65
    .vgpr_spill_count: 0
    .wavefront_size: 32
  - .args:
      - .offset:         0
        .size:           112
        .value_kind:     by_value
    .group_segment_fixed_size: 0
    .kernarg_segment_align: 8
    .kernarg_segment_size: 112
    .language:       OpenCL C
    .language_version:
      - 2
      - 0
    .max_flat_workgroup_size: 256
    .name:           _ZN7rocprim17ROCPRIM_400000_NS6detail17trampoline_kernelINS0_14default_configENS1_27scan_by_key_config_selectorIifEEZZNS1_16scan_by_key_implILNS1_25lookback_scan_determinismE0ELb0ES3_N6thrust23THRUST_200600_302600_NS6detail15normal_iteratorINS9_10device_ptrIiEEEENSB_INSC_IfEEEESG_fNS9_4plusIvEENS9_8equal_toIvEEfEE10hipError_tPvRmT2_T3_T4_T5_mT6_T7_P12ihipStream_tbENKUlT_T0_E_clISt17integral_constantIbLb0EES10_IbLb1EEEEDaSW_SX_EUlSW_E_NS1_11comp_targetILNS1_3genE10ELNS1_11target_archE1201ELNS1_3gpuE5ELNS1_3repE0EEENS1_30default_config_static_selectorELNS0_4arch9wavefront6targetE0EEEvT1_
    .private_segment_fixed_size: 0
    .sgpr_count:     0
    .sgpr_spill_count: 0
    .symbol:         _ZN7rocprim17ROCPRIM_400000_NS6detail17trampoline_kernelINS0_14default_configENS1_27scan_by_key_config_selectorIifEEZZNS1_16scan_by_key_implILNS1_25lookback_scan_determinismE0ELb0ES3_N6thrust23THRUST_200600_302600_NS6detail15normal_iteratorINS9_10device_ptrIiEEEENSB_INSC_IfEEEESG_fNS9_4plusIvEENS9_8equal_toIvEEfEE10hipError_tPvRmT2_T3_T4_T5_mT6_T7_P12ihipStream_tbENKUlT_T0_E_clISt17integral_constantIbLb0EES10_IbLb1EEEEDaSW_SX_EUlSW_E_NS1_11comp_targetILNS1_3genE10ELNS1_11target_archE1201ELNS1_3gpuE5ELNS1_3repE0EEENS1_30default_config_static_selectorELNS0_4arch9wavefront6targetE0EEEvT1_.kd
    .uniform_work_group_size: 1
    .uses_dynamic_stack: false
    .vgpr_count:     0
    .vgpr_spill_count: 0
    .wavefront_size: 32
  - .args:
      - .offset:         0
        .size:           112
        .value_kind:     by_value
    .group_segment_fixed_size: 0
    .kernarg_segment_align: 8
    .kernarg_segment_size: 112
    .language:       OpenCL C
    .language_version:
      - 2
      - 0
    .max_flat_workgroup_size: 256
    .name:           _ZN7rocprim17ROCPRIM_400000_NS6detail17trampoline_kernelINS0_14default_configENS1_27scan_by_key_config_selectorIifEEZZNS1_16scan_by_key_implILNS1_25lookback_scan_determinismE0ELb0ES3_N6thrust23THRUST_200600_302600_NS6detail15normal_iteratorINS9_10device_ptrIiEEEENSB_INSC_IfEEEESG_fNS9_4plusIvEENS9_8equal_toIvEEfEE10hipError_tPvRmT2_T3_T4_T5_mT6_T7_P12ihipStream_tbENKUlT_T0_E_clISt17integral_constantIbLb0EES10_IbLb1EEEEDaSW_SX_EUlSW_E_NS1_11comp_targetILNS1_3genE5ELNS1_11target_archE942ELNS1_3gpuE9ELNS1_3repE0EEENS1_30default_config_static_selectorELNS0_4arch9wavefront6targetE0EEEvT1_
    .private_segment_fixed_size: 0
    .sgpr_count:     0
    .sgpr_spill_count: 0
    .symbol:         _ZN7rocprim17ROCPRIM_400000_NS6detail17trampoline_kernelINS0_14default_configENS1_27scan_by_key_config_selectorIifEEZZNS1_16scan_by_key_implILNS1_25lookback_scan_determinismE0ELb0ES3_N6thrust23THRUST_200600_302600_NS6detail15normal_iteratorINS9_10device_ptrIiEEEENSB_INSC_IfEEEESG_fNS9_4plusIvEENS9_8equal_toIvEEfEE10hipError_tPvRmT2_T3_T4_T5_mT6_T7_P12ihipStream_tbENKUlT_T0_E_clISt17integral_constantIbLb0EES10_IbLb1EEEEDaSW_SX_EUlSW_E_NS1_11comp_targetILNS1_3genE5ELNS1_11target_archE942ELNS1_3gpuE9ELNS1_3repE0EEENS1_30default_config_static_selectorELNS0_4arch9wavefront6targetE0EEEvT1_.kd
    .uniform_work_group_size: 1
    .uses_dynamic_stack: false
    .vgpr_count:     0
    .vgpr_spill_count: 0
    .wavefront_size: 32
  - .args:
      - .offset:         0
        .size:           112
        .value_kind:     by_value
    .group_segment_fixed_size: 0
    .kernarg_segment_align: 8
    .kernarg_segment_size: 112
    .language:       OpenCL C
    .language_version:
      - 2
      - 0
    .max_flat_workgroup_size: 256
    .name:           _ZN7rocprim17ROCPRIM_400000_NS6detail17trampoline_kernelINS0_14default_configENS1_27scan_by_key_config_selectorIifEEZZNS1_16scan_by_key_implILNS1_25lookback_scan_determinismE0ELb0ES3_N6thrust23THRUST_200600_302600_NS6detail15normal_iteratorINS9_10device_ptrIiEEEENSB_INSC_IfEEEESG_fNS9_4plusIvEENS9_8equal_toIvEEfEE10hipError_tPvRmT2_T3_T4_T5_mT6_T7_P12ihipStream_tbENKUlT_T0_E_clISt17integral_constantIbLb0EES10_IbLb1EEEEDaSW_SX_EUlSW_E_NS1_11comp_targetILNS1_3genE4ELNS1_11target_archE910ELNS1_3gpuE8ELNS1_3repE0EEENS1_30default_config_static_selectorELNS0_4arch9wavefront6targetE0EEEvT1_
    .private_segment_fixed_size: 0
    .sgpr_count:     0
    .sgpr_spill_count: 0
    .symbol:         _ZN7rocprim17ROCPRIM_400000_NS6detail17trampoline_kernelINS0_14default_configENS1_27scan_by_key_config_selectorIifEEZZNS1_16scan_by_key_implILNS1_25lookback_scan_determinismE0ELb0ES3_N6thrust23THRUST_200600_302600_NS6detail15normal_iteratorINS9_10device_ptrIiEEEENSB_INSC_IfEEEESG_fNS9_4plusIvEENS9_8equal_toIvEEfEE10hipError_tPvRmT2_T3_T4_T5_mT6_T7_P12ihipStream_tbENKUlT_T0_E_clISt17integral_constantIbLb0EES10_IbLb1EEEEDaSW_SX_EUlSW_E_NS1_11comp_targetILNS1_3genE4ELNS1_11target_archE910ELNS1_3gpuE8ELNS1_3repE0EEENS1_30default_config_static_selectorELNS0_4arch9wavefront6targetE0EEEvT1_.kd
    .uniform_work_group_size: 1
    .uses_dynamic_stack: false
    .vgpr_count:     0
    .vgpr_spill_count: 0
    .wavefront_size: 32
  - .args:
      - .offset:         0
        .size:           112
        .value_kind:     by_value
    .group_segment_fixed_size: 0
    .kernarg_segment_align: 8
    .kernarg_segment_size: 112
    .language:       OpenCL C
    .language_version:
      - 2
      - 0
    .max_flat_workgroup_size: 256
    .name:           _ZN7rocprim17ROCPRIM_400000_NS6detail17trampoline_kernelINS0_14default_configENS1_27scan_by_key_config_selectorIifEEZZNS1_16scan_by_key_implILNS1_25lookback_scan_determinismE0ELb0ES3_N6thrust23THRUST_200600_302600_NS6detail15normal_iteratorINS9_10device_ptrIiEEEENSB_INSC_IfEEEESG_fNS9_4plusIvEENS9_8equal_toIvEEfEE10hipError_tPvRmT2_T3_T4_T5_mT6_T7_P12ihipStream_tbENKUlT_T0_E_clISt17integral_constantIbLb0EES10_IbLb1EEEEDaSW_SX_EUlSW_E_NS1_11comp_targetILNS1_3genE3ELNS1_11target_archE908ELNS1_3gpuE7ELNS1_3repE0EEENS1_30default_config_static_selectorELNS0_4arch9wavefront6targetE0EEEvT1_
    .private_segment_fixed_size: 0
    .sgpr_count:     0
    .sgpr_spill_count: 0
    .symbol:         _ZN7rocprim17ROCPRIM_400000_NS6detail17trampoline_kernelINS0_14default_configENS1_27scan_by_key_config_selectorIifEEZZNS1_16scan_by_key_implILNS1_25lookback_scan_determinismE0ELb0ES3_N6thrust23THRUST_200600_302600_NS6detail15normal_iteratorINS9_10device_ptrIiEEEENSB_INSC_IfEEEESG_fNS9_4plusIvEENS9_8equal_toIvEEfEE10hipError_tPvRmT2_T3_T4_T5_mT6_T7_P12ihipStream_tbENKUlT_T0_E_clISt17integral_constantIbLb0EES10_IbLb1EEEEDaSW_SX_EUlSW_E_NS1_11comp_targetILNS1_3genE3ELNS1_11target_archE908ELNS1_3gpuE7ELNS1_3repE0EEENS1_30default_config_static_selectorELNS0_4arch9wavefront6targetE0EEEvT1_.kd
    .uniform_work_group_size: 1
    .uses_dynamic_stack: false
    .vgpr_count:     0
    .vgpr_spill_count: 0
    .wavefront_size: 32
  - .args:
      - .offset:         0
        .size:           112
        .value_kind:     by_value
    .group_segment_fixed_size: 0
    .kernarg_segment_align: 8
    .kernarg_segment_size: 112
    .language:       OpenCL C
    .language_version:
      - 2
      - 0
    .max_flat_workgroup_size: 256
    .name:           _ZN7rocprim17ROCPRIM_400000_NS6detail17trampoline_kernelINS0_14default_configENS1_27scan_by_key_config_selectorIifEEZZNS1_16scan_by_key_implILNS1_25lookback_scan_determinismE0ELb0ES3_N6thrust23THRUST_200600_302600_NS6detail15normal_iteratorINS9_10device_ptrIiEEEENSB_INSC_IfEEEESG_fNS9_4plusIvEENS9_8equal_toIvEEfEE10hipError_tPvRmT2_T3_T4_T5_mT6_T7_P12ihipStream_tbENKUlT_T0_E_clISt17integral_constantIbLb0EES10_IbLb1EEEEDaSW_SX_EUlSW_E_NS1_11comp_targetILNS1_3genE2ELNS1_11target_archE906ELNS1_3gpuE6ELNS1_3repE0EEENS1_30default_config_static_selectorELNS0_4arch9wavefront6targetE0EEEvT1_
    .private_segment_fixed_size: 0
    .sgpr_count:     0
    .sgpr_spill_count: 0
    .symbol:         _ZN7rocprim17ROCPRIM_400000_NS6detail17trampoline_kernelINS0_14default_configENS1_27scan_by_key_config_selectorIifEEZZNS1_16scan_by_key_implILNS1_25lookback_scan_determinismE0ELb0ES3_N6thrust23THRUST_200600_302600_NS6detail15normal_iteratorINS9_10device_ptrIiEEEENSB_INSC_IfEEEESG_fNS9_4plusIvEENS9_8equal_toIvEEfEE10hipError_tPvRmT2_T3_T4_T5_mT6_T7_P12ihipStream_tbENKUlT_T0_E_clISt17integral_constantIbLb0EES10_IbLb1EEEEDaSW_SX_EUlSW_E_NS1_11comp_targetILNS1_3genE2ELNS1_11target_archE906ELNS1_3gpuE6ELNS1_3repE0EEENS1_30default_config_static_selectorELNS0_4arch9wavefront6targetE0EEEvT1_.kd
    .uniform_work_group_size: 1
    .uses_dynamic_stack: false
    .vgpr_count:     0
    .vgpr_spill_count: 0
    .wavefront_size: 32
  - .args:
      - .offset:         0
        .size:           112
        .value_kind:     by_value
    .group_segment_fixed_size: 0
    .kernarg_segment_align: 8
    .kernarg_segment_size: 112
    .language:       OpenCL C
    .language_version:
      - 2
      - 0
    .max_flat_workgroup_size: 256
    .name:           _ZN7rocprim17ROCPRIM_400000_NS6detail17trampoline_kernelINS0_14default_configENS1_27scan_by_key_config_selectorIifEEZZNS1_16scan_by_key_implILNS1_25lookback_scan_determinismE0ELb0ES3_N6thrust23THRUST_200600_302600_NS6detail15normal_iteratorINS9_10device_ptrIiEEEENSB_INSC_IfEEEESG_fNS9_4plusIvEENS9_8equal_toIvEEfEE10hipError_tPvRmT2_T3_T4_T5_mT6_T7_P12ihipStream_tbENKUlT_T0_E_clISt17integral_constantIbLb0EES10_IbLb1EEEEDaSW_SX_EUlSW_E_NS1_11comp_targetILNS1_3genE10ELNS1_11target_archE1200ELNS1_3gpuE4ELNS1_3repE0EEENS1_30default_config_static_selectorELNS0_4arch9wavefront6targetE0EEEvT1_
    .private_segment_fixed_size: 0
    .sgpr_count:     0
    .sgpr_spill_count: 0
    .symbol:         _ZN7rocprim17ROCPRIM_400000_NS6detail17trampoline_kernelINS0_14default_configENS1_27scan_by_key_config_selectorIifEEZZNS1_16scan_by_key_implILNS1_25lookback_scan_determinismE0ELb0ES3_N6thrust23THRUST_200600_302600_NS6detail15normal_iteratorINS9_10device_ptrIiEEEENSB_INSC_IfEEEESG_fNS9_4plusIvEENS9_8equal_toIvEEfEE10hipError_tPvRmT2_T3_T4_T5_mT6_T7_P12ihipStream_tbENKUlT_T0_E_clISt17integral_constantIbLb0EES10_IbLb1EEEEDaSW_SX_EUlSW_E_NS1_11comp_targetILNS1_3genE10ELNS1_11target_archE1200ELNS1_3gpuE4ELNS1_3repE0EEENS1_30default_config_static_selectorELNS0_4arch9wavefront6targetE0EEEvT1_.kd
    .uniform_work_group_size: 1
    .uses_dynamic_stack: false
    .vgpr_count:     0
    .vgpr_spill_count: 0
    .wavefront_size: 32
  - .args:
      - .offset:         0
        .size:           112
        .value_kind:     by_value
    .group_segment_fixed_size: 0
    .kernarg_segment_align: 8
    .kernarg_segment_size: 112
    .language:       OpenCL C
    .language_version:
      - 2
      - 0
    .max_flat_workgroup_size: 256
    .name:           _ZN7rocprim17ROCPRIM_400000_NS6detail17trampoline_kernelINS0_14default_configENS1_27scan_by_key_config_selectorIifEEZZNS1_16scan_by_key_implILNS1_25lookback_scan_determinismE0ELb0ES3_N6thrust23THRUST_200600_302600_NS6detail15normal_iteratorINS9_10device_ptrIiEEEENSB_INSC_IfEEEESG_fNS9_4plusIvEENS9_8equal_toIvEEfEE10hipError_tPvRmT2_T3_T4_T5_mT6_T7_P12ihipStream_tbENKUlT_T0_E_clISt17integral_constantIbLb0EES10_IbLb1EEEEDaSW_SX_EUlSW_E_NS1_11comp_targetILNS1_3genE9ELNS1_11target_archE1100ELNS1_3gpuE3ELNS1_3repE0EEENS1_30default_config_static_selectorELNS0_4arch9wavefront6targetE0EEEvT1_
    .private_segment_fixed_size: 0
    .sgpr_count:     0
    .sgpr_spill_count: 0
    .symbol:         _ZN7rocprim17ROCPRIM_400000_NS6detail17trampoline_kernelINS0_14default_configENS1_27scan_by_key_config_selectorIifEEZZNS1_16scan_by_key_implILNS1_25lookback_scan_determinismE0ELb0ES3_N6thrust23THRUST_200600_302600_NS6detail15normal_iteratorINS9_10device_ptrIiEEEENSB_INSC_IfEEEESG_fNS9_4plusIvEENS9_8equal_toIvEEfEE10hipError_tPvRmT2_T3_T4_T5_mT6_T7_P12ihipStream_tbENKUlT_T0_E_clISt17integral_constantIbLb0EES10_IbLb1EEEEDaSW_SX_EUlSW_E_NS1_11comp_targetILNS1_3genE9ELNS1_11target_archE1100ELNS1_3gpuE3ELNS1_3repE0EEENS1_30default_config_static_selectorELNS0_4arch9wavefront6targetE0EEEvT1_.kd
    .uniform_work_group_size: 1
    .uses_dynamic_stack: false
    .vgpr_count:     0
    .vgpr_spill_count: 0
    .wavefront_size: 32
  - .args:
      - .offset:         0
        .size:           112
        .value_kind:     by_value
    .group_segment_fixed_size: 0
    .kernarg_segment_align: 8
    .kernarg_segment_size: 112
    .language:       OpenCL C
    .language_version:
      - 2
      - 0
    .max_flat_workgroup_size: 256
    .name:           _ZN7rocprim17ROCPRIM_400000_NS6detail17trampoline_kernelINS0_14default_configENS1_27scan_by_key_config_selectorIifEEZZNS1_16scan_by_key_implILNS1_25lookback_scan_determinismE0ELb0ES3_N6thrust23THRUST_200600_302600_NS6detail15normal_iteratorINS9_10device_ptrIiEEEENSB_INSC_IfEEEESG_fNS9_4plusIvEENS9_8equal_toIvEEfEE10hipError_tPvRmT2_T3_T4_T5_mT6_T7_P12ihipStream_tbENKUlT_T0_E_clISt17integral_constantIbLb0EES10_IbLb1EEEEDaSW_SX_EUlSW_E_NS1_11comp_targetILNS1_3genE8ELNS1_11target_archE1030ELNS1_3gpuE2ELNS1_3repE0EEENS1_30default_config_static_selectorELNS0_4arch9wavefront6targetE0EEEvT1_
    .private_segment_fixed_size: 0
    .sgpr_count:     0
    .sgpr_spill_count: 0
    .symbol:         _ZN7rocprim17ROCPRIM_400000_NS6detail17trampoline_kernelINS0_14default_configENS1_27scan_by_key_config_selectorIifEEZZNS1_16scan_by_key_implILNS1_25lookback_scan_determinismE0ELb0ES3_N6thrust23THRUST_200600_302600_NS6detail15normal_iteratorINS9_10device_ptrIiEEEENSB_INSC_IfEEEESG_fNS9_4plusIvEENS9_8equal_toIvEEfEE10hipError_tPvRmT2_T3_T4_T5_mT6_T7_P12ihipStream_tbENKUlT_T0_E_clISt17integral_constantIbLb0EES10_IbLb1EEEEDaSW_SX_EUlSW_E_NS1_11comp_targetILNS1_3genE8ELNS1_11target_archE1030ELNS1_3gpuE2ELNS1_3repE0EEENS1_30default_config_static_selectorELNS0_4arch9wavefront6targetE0EEEvT1_.kd
    .uniform_work_group_size: 1
    .uses_dynamic_stack: false
    .vgpr_count:     0
    .vgpr_spill_count: 0
    .wavefront_size: 32
  - .args:
      - .offset:         0
        .size:           24
        .value_kind:     by_value
      - .offset:         24
        .size:           8
        .value_kind:     by_value
      - .offset:         32
        .size:           8
        .value_kind:     by_value
    .group_segment_fixed_size: 0
    .kernarg_segment_align: 8
    .kernarg_segment_size: 40
    .language:       OpenCL C
    .language_version:
      - 2
      - 0
    .max_flat_workgroup_size: 256
    .name:           _ZN6thrust23THRUST_200600_302600_NS11hip_rocprim14__parallel_for6kernelILj256ENS1_11__transform17unary_transform_fINS0_7pointerIiNS1_3tagENS0_11use_defaultES8_EENS0_10device_ptrIyEENS4_14no_stencil_tagENS0_8identityIiEENS4_21always_true_predicateEEElLj1EEEvT0_T1_SI_
    .private_segment_fixed_size: 0
    .sgpr_count:     11
    .sgpr_spill_count: 0
    .symbol:         _ZN6thrust23THRUST_200600_302600_NS11hip_rocprim14__parallel_for6kernelILj256ENS1_11__transform17unary_transform_fINS0_7pointerIiNS1_3tagENS0_11use_defaultES8_EENS0_10device_ptrIyEENS4_14no_stencil_tagENS0_8identityIiEENS4_21always_true_predicateEEElLj1EEEvT0_T1_SI_.kd
    .uniform_work_group_size: 1
    .uses_dynamic_stack: false
    .vgpr_count:     6
    .vgpr_spill_count: 0
    .wavefront_size: 32
  - .args:
      - .offset:         0
        .size:           16
        .value_kind:     by_value
      - .offset:         16
        .size:           8
        .value_kind:     by_value
      - .offset:         24
        .size:           8
        .value_kind:     by_value
    .group_segment_fixed_size: 0
    .kernarg_segment_align: 8
    .kernarg_segment_size: 32
    .language:       OpenCL C
    .language_version:
      - 2
      - 0
    .max_flat_workgroup_size: 256
    .name:           _ZN6thrust23THRUST_200600_302600_NS11hip_rocprim14__parallel_for6kernelILj256ENS1_20__uninitialized_fill7functorINS0_10device_ptrIyEEyEEmLj1EEEvT0_T1_SA_
    .private_segment_fixed_size: 0
    .sgpr_count:     14
    .sgpr_spill_count: 0
    .symbol:         _ZN6thrust23THRUST_200600_302600_NS11hip_rocprim14__parallel_for6kernelILj256ENS1_20__uninitialized_fill7functorINS0_10device_ptrIyEEyEEmLj1EEEvT0_T1_SA_.kd
    .uniform_work_group_size: 1
    .uses_dynamic_stack: false
    .vgpr_count:     4
    .vgpr_spill_count: 0
    .wavefront_size: 32
  - .args:
      - .offset:         0
        .size:           24
        .value_kind:     by_value
      - .offset:         24
        .size:           4
        .value_kind:     by_value
      - .offset:         28
        .size:           4
        .value_kind:     by_value
      - .address_space:  global
        .offset:         32
        .size:           8
        .value_kind:     global_buffer
      - .address_space:  global
        .offset:         40
        .size:           8
        .value_kind:     global_buffer
      - .actual_access:  write_only
        .address_space:  global
        .offset:         48
        .size:           8
        .value_kind:     global_buffer
      - .offset:         56
        .size:           8
        .value_kind:     by_value
      - .offset:         64
        .size:           4
        .value_kind:     by_value
      - .offset:         68
        .size:           1
        .value_kind:     by_value
      - .offset:         72
        .size:           4
        .value_kind:     hidden_block_count_x
      - .offset:         76
        .size:           4
        .value_kind:     hidden_block_count_y
      - .offset:         80
        .size:           4
        .value_kind:     hidden_block_count_z
      - .offset:         84
        .size:           2
        .value_kind:     hidden_group_size_x
      - .offset:         86
        .size:           2
        .value_kind:     hidden_group_size_y
      - .offset:         88
        .size:           2
        .value_kind:     hidden_group_size_z
      - .offset:         90
        .size:           2
        .value_kind:     hidden_remainder_x
      - .offset:         92
        .size:           2
        .value_kind:     hidden_remainder_y
      - .offset:         94
        .size:           2
        .value_kind:     hidden_remainder_z
      - .offset:         112
        .size:           8
        .value_kind:     hidden_global_offset_x
      - .offset:         120
        .size:           8
        .value_kind:     hidden_global_offset_y
      - .offset:         128
        .size:           8
        .value_kind:     hidden_global_offset_z
      - .offset:         136
        .size:           2
        .value_kind:     hidden_grid_dims
    .group_segment_fixed_size: 0
    .kernarg_segment_align: 8
    .kernarg_segment_size: 328
    .language:       OpenCL C
    .language_version:
      - 2
      - 0
    .max_flat_workgroup_size: 256
    .name:           _ZN7rocprim17ROCPRIM_400000_NS6detail30init_device_scan_by_key_kernelINS1_19lookback_scan_stateINS0_5tupleIJybEEELb0ELb0EEEN6thrust23THRUST_200600_302600_NS6detail15normal_iteratorINS8_10device_ptrIiEEEEjNS1_16block_id_wrapperIjLb0EEEEEvT_jjPNSG_10value_typeET0_PNSt15iterator_traitsISJ_E10value_typeEmT1_T2_
    .private_segment_fixed_size: 0
    .sgpr_count:     23
    .sgpr_spill_count: 0
    .symbol:         _ZN7rocprim17ROCPRIM_400000_NS6detail30init_device_scan_by_key_kernelINS1_19lookback_scan_stateINS0_5tupleIJybEEELb0ELb0EEEN6thrust23THRUST_200600_302600_NS6detail15normal_iteratorINS8_10device_ptrIiEEEEjNS1_16block_id_wrapperIjLb0EEEEEvT_jjPNSG_10value_typeET0_PNSt15iterator_traitsISJ_E10value_typeEmT1_T2_.kd
    .uniform_work_group_size: 1
    .uses_dynamic_stack: false
    .vgpr_count:     7
    .vgpr_spill_count: 0
    .wavefront_size: 32
  - .args:
      - .offset:         0
        .size:           24
        .value_kind:     by_value
      - .offset:         24
        .size:           4
        .value_kind:     by_value
      - .offset:         28
        .size:           4
        .value_kind:     by_value
      - .address_space:  global
        .offset:         32
        .size:           8
        .value_kind:     global_buffer
      - .offset:         40
        .size:           1
        .value_kind:     by_value
      - .offset:         48
        .size:           4
        .value_kind:     hidden_block_count_x
      - .offset:         52
        .size:           4
        .value_kind:     hidden_block_count_y
      - .offset:         56
        .size:           4
        .value_kind:     hidden_block_count_z
      - .offset:         60
        .size:           2
        .value_kind:     hidden_group_size_x
      - .offset:         62
        .size:           2
        .value_kind:     hidden_group_size_y
      - .offset:         64
        .size:           2
        .value_kind:     hidden_group_size_z
      - .offset:         66
        .size:           2
        .value_kind:     hidden_remainder_x
      - .offset:         68
        .size:           2
        .value_kind:     hidden_remainder_y
      - .offset:         70
        .size:           2
        .value_kind:     hidden_remainder_z
      - .offset:         88
        .size:           8
        .value_kind:     hidden_global_offset_x
      - .offset:         96
        .size:           8
        .value_kind:     hidden_global_offset_y
      - .offset:         104
        .size:           8
        .value_kind:     hidden_global_offset_z
      - .offset:         112
        .size:           2
        .value_kind:     hidden_grid_dims
    .group_segment_fixed_size: 0
    .kernarg_segment_align: 8
    .kernarg_segment_size: 304
    .language:       OpenCL C
    .language_version:
      - 2
      - 0
    .max_flat_workgroup_size: 256
    .name:           _ZN7rocprim17ROCPRIM_400000_NS6detail30init_device_scan_by_key_kernelINS1_19lookback_scan_stateINS0_5tupleIJybEEELb0ELb0EEENS1_16block_id_wrapperIjLb0EEEEEvT_jjPNS9_10value_typeET0_
    .private_segment_fixed_size: 0
    .sgpr_count:     17
    .sgpr_spill_count: 0
    .symbol:         _ZN7rocprim17ROCPRIM_400000_NS6detail30init_device_scan_by_key_kernelINS1_19lookback_scan_stateINS0_5tupleIJybEEELb0ELb0EEENS1_16block_id_wrapperIjLb0EEEEEvT_jjPNS9_10value_typeET0_.kd
    .uniform_work_group_size: 1
    .uses_dynamic_stack: false
    .vgpr_count:     5
    .vgpr_spill_count: 0
    .wavefront_size: 32
  - .args:
      - .offset:         0
        .size:           136
        .value_kind:     by_value
    .group_segment_fixed_size: 10240
    .kernarg_segment_align: 8
    .kernarg_segment_size: 136
    .language:       OpenCL C
    .language_version:
      - 2
      - 0
    .max_flat_workgroup_size: 128
    .name:           _ZN7rocprim17ROCPRIM_400000_NS6detail17trampoline_kernelINS0_14default_configENS1_27scan_by_key_config_selectorIiyEEZZNS1_16scan_by_key_implILNS1_25lookback_scan_determinismE0ELb0ES3_N6thrust23THRUST_200600_302600_NS6detail15normal_iteratorINS9_10device_ptrIiEEEENSB_INSC_IyEEEESG_yNS9_4plusIvEENS9_8equal_toIvEEyEE10hipError_tPvRmT2_T3_T4_T5_mT6_T7_P12ihipStream_tbENKUlT_T0_E_clISt17integral_constantIbLb0EES11_EEDaSW_SX_EUlSW_E_NS1_11comp_targetILNS1_3genE0ELNS1_11target_archE4294967295ELNS1_3gpuE0ELNS1_3repE0EEENS1_30default_config_static_selectorELNS0_4arch9wavefront6targetE0EEEvT1_
    .private_segment_fixed_size: 0
    .sgpr_count:     47
    .sgpr_spill_count: 0
    .symbol:         _ZN7rocprim17ROCPRIM_400000_NS6detail17trampoline_kernelINS0_14default_configENS1_27scan_by_key_config_selectorIiyEEZZNS1_16scan_by_key_implILNS1_25lookback_scan_determinismE0ELb0ES3_N6thrust23THRUST_200600_302600_NS6detail15normal_iteratorINS9_10device_ptrIiEEEENSB_INSC_IyEEEESG_yNS9_4plusIvEENS9_8equal_toIvEEyEE10hipError_tPvRmT2_T3_T4_T5_mT6_T7_P12ihipStream_tbENKUlT_T0_E_clISt17integral_constantIbLb0EES11_EEDaSW_SX_EUlSW_E_NS1_11comp_targetILNS1_3genE0ELNS1_11target_archE4294967295ELNS1_3gpuE0ELNS1_3repE0EEENS1_30default_config_static_selectorELNS0_4arch9wavefront6targetE0EEEvT1_.kd
    .uniform_work_group_size: 1
    .uses_dynamic_stack: false
    .vgpr_count:     73
    .vgpr_spill_count: 0
    .wavefront_size: 32
  - .args:
      - .offset:         0
        .size:           136
        .value_kind:     by_value
    .group_segment_fixed_size: 0
    .kernarg_segment_align: 8
    .kernarg_segment_size: 136
    .language:       OpenCL C
    .language_version:
      - 2
      - 0
    .max_flat_workgroup_size: 256
    .name:           _ZN7rocprim17ROCPRIM_400000_NS6detail17trampoline_kernelINS0_14default_configENS1_27scan_by_key_config_selectorIiyEEZZNS1_16scan_by_key_implILNS1_25lookback_scan_determinismE0ELb0ES3_N6thrust23THRUST_200600_302600_NS6detail15normal_iteratorINS9_10device_ptrIiEEEENSB_INSC_IyEEEESG_yNS9_4plusIvEENS9_8equal_toIvEEyEE10hipError_tPvRmT2_T3_T4_T5_mT6_T7_P12ihipStream_tbENKUlT_T0_E_clISt17integral_constantIbLb0EES11_EEDaSW_SX_EUlSW_E_NS1_11comp_targetILNS1_3genE10ELNS1_11target_archE1201ELNS1_3gpuE5ELNS1_3repE0EEENS1_30default_config_static_selectorELNS0_4arch9wavefront6targetE0EEEvT1_
    .private_segment_fixed_size: 0
    .sgpr_count:     0
    .sgpr_spill_count: 0
    .symbol:         _ZN7rocprim17ROCPRIM_400000_NS6detail17trampoline_kernelINS0_14default_configENS1_27scan_by_key_config_selectorIiyEEZZNS1_16scan_by_key_implILNS1_25lookback_scan_determinismE0ELb0ES3_N6thrust23THRUST_200600_302600_NS6detail15normal_iteratorINS9_10device_ptrIiEEEENSB_INSC_IyEEEESG_yNS9_4plusIvEENS9_8equal_toIvEEyEE10hipError_tPvRmT2_T3_T4_T5_mT6_T7_P12ihipStream_tbENKUlT_T0_E_clISt17integral_constantIbLb0EES11_EEDaSW_SX_EUlSW_E_NS1_11comp_targetILNS1_3genE10ELNS1_11target_archE1201ELNS1_3gpuE5ELNS1_3repE0EEENS1_30default_config_static_selectorELNS0_4arch9wavefront6targetE0EEEvT1_.kd
    .uniform_work_group_size: 1
    .uses_dynamic_stack: false
    .vgpr_count:     0
    .vgpr_spill_count: 0
    .wavefront_size: 32
  - .args:
      - .offset:         0
        .size:           136
        .value_kind:     by_value
    .group_segment_fixed_size: 0
    .kernarg_segment_align: 8
    .kernarg_segment_size: 136
    .language:       OpenCL C
    .language_version:
      - 2
      - 0
    .max_flat_workgroup_size: 256
    .name:           _ZN7rocprim17ROCPRIM_400000_NS6detail17trampoline_kernelINS0_14default_configENS1_27scan_by_key_config_selectorIiyEEZZNS1_16scan_by_key_implILNS1_25lookback_scan_determinismE0ELb0ES3_N6thrust23THRUST_200600_302600_NS6detail15normal_iteratorINS9_10device_ptrIiEEEENSB_INSC_IyEEEESG_yNS9_4plusIvEENS9_8equal_toIvEEyEE10hipError_tPvRmT2_T3_T4_T5_mT6_T7_P12ihipStream_tbENKUlT_T0_E_clISt17integral_constantIbLb0EES11_EEDaSW_SX_EUlSW_E_NS1_11comp_targetILNS1_3genE5ELNS1_11target_archE942ELNS1_3gpuE9ELNS1_3repE0EEENS1_30default_config_static_selectorELNS0_4arch9wavefront6targetE0EEEvT1_
    .private_segment_fixed_size: 0
    .sgpr_count:     0
    .sgpr_spill_count: 0
    .symbol:         _ZN7rocprim17ROCPRIM_400000_NS6detail17trampoline_kernelINS0_14default_configENS1_27scan_by_key_config_selectorIiyEEZZNS1_16scan_by_key_implILNS1_25lookback_scan_determinismE0ELb0ES3_N6thrust23THRUST_200600_302600_NS6detail15normal_iteratorINS9_10device_ptrIiEEEENSB_INSC_IyEEEESG_yNS9_4plusIvEENS9_8equal_toIvEEyEE10hipError_tPvRmT2_T3_T4_T5_mT6_T7_P12ihipStream_tbENKUlT_T0_E_clISt17integral_constantIbLb0EES11_EEDaSW_SX_EUlSW_E_NS1_11comp_targetILNS1_3genE5ELNS1_11target_archE942ELNS1_3gpuE9ELNS1_3repE0EEENS1_30default_config_static_selectorELNS0_4arch9wavefront6targetE0EEEvT1_.kd
    .uniform_work_group_size: 1
    .uses_dynamic_stack: false
    .vgpr_count:     0
    .vgpr_spill_count: 0
    .wavefront_size: 32
  - .args:
      - .offset:         0
        .size:           136
        .value_kind:     by_value
    .group_segment_fixed_size: 0
    .kernarg_segment_align: 8
    .kernarg_segment_size: 136
    .language:       OpenCL C
    .language_version:
      - 2
      - 0
    .max_flat_workgroup_size: 64
    .name:           _ZN7rocprim17ROCPRIM_400000_NS6detail17trampoline_kernelINS0_14default_configENS1_27scan_by_key_config_selectorIiyEEZZNS1_16scan_by_key_implILNS1_25lookback_scan_determinismE0ELb0ES3_N6thrust23THRUST_200600_302600_NS6detail15normal_iteratorINS9_10device_ptrIiEEEENSB_INSC_IyEEEESG_yNS9_4plusIvEENS9_8equal_toIvEEyEE10hipError_tPvRmT2_T3_T4_T5_mT6_T7_P12ihipStream_tbENKUlT_T0_E_clISt17integral_constantIbLb0EES11_EEDaSW_SX_EUlSW_E_NS1_11comp_targetILNS1_3genE4ELNS1_11target_archE910ELNS1_3gpuE8ELNS1_3repE0EEENS1_30default_config_static_selectorELNS0_4arch9wavefront6targetE0EEEvT1_
    .private_segment_fixed_size: 0
    .sgpr_count:     0
    .sgpr_spill_count: 0
    .symbol:         _ZN7rocprim17ROCPRIM_400000_NS6detail17trampoline_kernelINS0_14default_configENS1_27scan_by_key_config_selectorIiyEEZZNS1_16scan_by_key_implILNS1_25lookback_scan_determinismE0ELb0ES3_N6thrust23THRUST_200600_302600_NS6detail15normal_iteratorINS9_10device_ptrIiEEEENSB_INSC_IyEEEESG_yNS9_4plusIvEENS9_8equal_toIvEEyEE10hipError_tPvRmT2_T3_T4_T5_mT6_T7_P12ihipStream_tbENKUlT_T0_E_clISt17integral_constantIbLb0EES11_EEDaSW_SX_EUlSW_E_NS1_11comp_targetILNS1_3genE4ELNS1_11target_archE910ELNS1_3gpuE8ELNS1_3repE0EEENS1_30default_config_static_selectorELNS0_4arch9wavefront6targetE0EEEvT1_.kd
    .uniform_work_group_size: 1
    .uses_dynamic_stack: false
    .vgpr_count:     0
    .vgpr_spill_count: 0
    .wavefront_size: 32
  - .args:
      - .offset:         0
        .size:           136
        .value_kind:     by_value
    .group_segment_fixed_size: 0
    .kernarg_segment_align: 8
    .kernarg_segment_size: 136
    .language:       OpenCL C
    .language_version:
      - 2
      - 0
    .max_flat_workgroup_size: 128
    .name:           _ZN7rocprim17ROCPRIM_400000_NS6detail17trampoline_kernelINS0_14default_configENS1_27scan_by_key_config_selectorIiyEEZZNS1_16scan_by_key_implILNS1_25lookback_scan_determinismE0ELb0ES3_N6thrust23THRUST_200600_302600_NS6detail15normal_iteratorINS9_10device_ptrIiEEEENSB_INSC_IyEEEESG_yNS9_4plusIvEENS9_8equal_toIvEEyEE10hipError_tPvRmT2_T3_T4_T5_mT6_T7_P12ihipStream_tbENKUlT_T0_E_clISt17integral_constantIbLb0EES11_EEDaSW_SX_EUlSW_E_NS1_11comp_targetILNS1_3genE3ELNS1_11target_archE908ELNS1_3gpuE7ELNS1_3repE0EEENS1_30default_config_static_selectorELNS0_4arch9wavefront6targetE0EEEvT1_
    .private_segment_fixed_size: 0
    .sgpr_count:     0
    .sgpr_spill_count: 0
    .symbol:         _ZN7rocprim17ROCPRIM_400000_NS6detail17trampoline_kernelINS0_14default_configENS1_27scan_by_key_config_selectorIiyEEZZNS1_16scan_by_key_implILNS1_25lookback_scan_determinismE0ELb0ES3_N6thrust23THRUST_200600_302600_NS6detail15normal_iteratorINS9_10device_ptrIiEEEENSB_INSC_IyEEEESG_yNS9_4plusIvEENS9_8equal_toIvEEyEE10hipError_tPvRmT2_T3_T4_T5_mT6_T7_P12ihipStream_tbENKUlT_T0_E_clISt17integral_constantIbLb0EES11_EEDaSW_SX_EUlSW_E_NS1_11comp_targetILNS1_3genE3ELNS1_11target_archE908ELNS1_3gpuE7ELNS1_3repE0EEENS1_30default_config_static_selectorELNS0_4arch9wavefront6targetE0EEEvT1_.kd
    .uniform_work_group_size: 1
    .uses_dynamic_stack: false
    .vgpr_count:     0
    .vgpr_spill_count: 0
    .wavefront_size: 32
  - .args:
      - .offset:         0
        .size:           136
        .value_kind:     by_value
    .group_segment_fixed_size: 0
    .kernarg_segment_align: 8
    .kernarg_segment_size: 136
    .language:       OpenCL C
    .language_version:
      - 2
      - 0
    .max_flat_workgroup_size: 64
    .name:           _ZN7rocprim17ROCPRIM_400000_NS6detail17trampoline_kernelINS0_14default_configENS1_27scan_by_key_config_selectorIiyEEZZNS1_16scan_by_key_implILNS1_25lookback_scan_determinismE0ELb0ES3_N6thrust23THRUST_200600_302600_NS6detail15normal_iteratorINS9_10device_ptrIiEEEENSB_INSC_IyEEEESG_yNS9_4plusIvEENS9_8equal_toIvEEyEE10hipError_tPvRmT2_T3_T4_T5_mT6_T7_P12ihipStream_tbENKUlT_T0_E_clISt17integral_constantIbLb0EES11_EEDaSW_SX_EUlSW_E_NS1_11comp_targetILNS1_3genE2ELNS1_11target_archE906ELNS1_3gpuE6ELNS1_3repE0EEENS1_30default_config_static_selectorELNS0_4arch9wavefront6targetE0EEEvT1_
    .private_segment_fixed_size: 0
    .sgpr_count:     0
    .sgpr_spill_count: 0
    .symbol:         _ZN7rocprim17ROCPRIM_400000_NS6detail17trampoline_kernelINS0_14default_configENS1_27scan_by_key_config_selectorIiyEEZZNS1_16scan_by_key_implILNS1_25lookback_scan_determinismE0ELb0ES3_N6thrust23THRUST_200600_302600_NS6detail15normal_iteratorINS9_10device_ptrIiEEEENSB_INSC_IyEEEESG_yNS9_4plusIvEENS9_8equal_toIvEEyEE10hipError_tPvRmT2_T3_T4_T5_mT6_T7_P12ihipStream_tbENKUlT_T0_E_clISt17integral_constantIbLb0EES11_EEDaSW_SX_EUlSW_E_NS1_11comp_targetILNS1_3genE2ELNS1_11target_archE906ELNS1_3gpuE6ELNS1_3repE0EEENS1_30default_config_static_selectorELNS0_4arch9wavefront6targetE0EEEvT1_.kd
    .uniform_work_group_size: 1
    .uses_dynamic_stack: false
    .vgpr_count:     0
    .vgpr_spill_count: 0
    .wavefront_size: 32
  - .args:
      - .offset:         0
        .size:           136
        .value_kind:     by_value
    .group_segment_fixed_size: 0
    .kernarg_segment_align: 8
    .kernarg_segment_size: 136
    .language:       OpenCL C
    .language_version:
      - 2
      - 0
    .max_flat_workgroup_size: 256
    .name:           _ZN7rocprim17ROCPRIM_400000_NS6detail17trampoline_kernelINS0_14default_configENS1_27scan_by_key_config_selectorIiyEEZZNS1_16scan_by_key_implILNS1_25lookback_scan_determinismE0ELb0ES3_N6thrust23THRUST_200600_302600_NS6detail15normal_iteratorINS9_10device_ptrIiEEEENSB_INSC_IyEEEESG_yNS9_4plusIvEENS9_8equal_toIvEEyEE10hipError_tPvRmT2_T3_T4_T5_mT6_T7_P12ihipStream_tbENKUlT_T0_E_clISt17integral_constantIbLb0EES11_EEDaSW_SX_EUlSW_E_NS1_11comp_targetILNS1_3genE10ELNS1_11target_archE1200ELNS1_3gpuE4ELNS1_3repE0EEENS1_30default_config_static_selectorELNS0_4arch9wavefront6targetE0EEEvT1_
    .private_segment_fixed_size: 0
    .sgpr_count:     0
    .sgpr_spill_count: 0
    .symbol:         _ZN7rocprim17ROCPRIM_400000_NS6detail17trampoline_kernelINS0_14default_configENS1_27scan_by_key_config_selectorIiyEEZZNS1_16scan_by_key_implILNS1_25lookback_scan_determinismE0ELb0ES3_N6thrust23THRUST_200600_302600_NS6detail15normal_iteratorINS9_10device_ptrIiEEEENSB_INSC_IyEEEESG_yNS9_4plusIvEENS9_8equal_toIvEEyEE10hipError_tPvRmT2_T3_T4_T5_mT6_T7_P12ihipStream_tbENKUlT_T0_E_clISt17integral_constantIbLb0EES11_EEDaSW_SX_EUlSW_E_NS1_11comp_targetILNS1_3genE10ELNS1_11target_archE1200ELNS1_3gpuE4ELNS1_3repE0EEENS1_30default_config_static_selectorELNS0_4arch9wavefront6targetE0EEEvT1_.kd
    .uniform_work_group_size: 1
    .uses_dynamic_stack: false
    .vgpr_count:     0
    .vgpr_spill_count: 0
    .wavefront_size: 32
  - .args:
      - .offset:         0
        .size:           136
        .value_kind:     by_value
    .group_segment_fixed_size: 0
    .kernarg_segment_align: 8
    .kernarg_segment_size: 136
    .language:       OpenCL C
    .language_version:
      - 2
      - 0
    .max_flat_workgroup_size: 256
    .name:           _ZN7rocprim17ROCPRIM_400000_NS6detail17trampoline_kernelINS0_14default_configENS1_27scan_by_key_config_selectorIiyEEZZNS1_16scan_by_key_implILNS1_25lookback_scan_determinismE0ELb0ES3_N6thrust23THRUST_200600_302600_NS6detail15normal_iteratorINS9_10device_ptrIiEEEENSB_INSC_IyEEEESG_yNS9_4plusIvEENS9_8equal_toIvEEyEE10hipError_tPvRmT2_T3_T4_T5_mT6_T7_P12ihipStream_tbENKUlT_T0_E_clISt17integral_constantIbLb0EES11_EEDaSW_SX_EUlSW_E_NS1_11comp_targetILNS1_3genE9ELNS1_11target_archE1100ELNS1_3gpuE3ELNS1_3repE0EEENS1_30default_config_static_selectorELNS0_4arch9wavefront6targetE0EEEvT1_
    .private_segment_fixed_size: 0
    .sgpr_count:     0
    .sgpr_spill_count: 0
    .symbol:         _ZN7rocprim17ROCPRIM_400000_NS6detail17trampoline_kernelINS0_14default_configENS1_27scan_by_key_config_selectorIiyEEZZNS1_16scan_by_key_implILNS1_25lookback_scan_determinismE0ELb0ES3_N6thrust23THRUST_200600_302600_NS6detail15normal_iteratorINS9_10device_ptrIiEEEENSB_INSC_IyEEEESG_yNS9_4plusIvEENS9_8equal_toIvEEyEE10hipError_tPvRmT2_T3_T4_T5_mT6_T7_P12ihipStream_tbENKUlT_T0_E_clISt17integral_constantIbLb0EES11_EEDaSW_SX_EUlSW_E_NS1_11comp_targetILNS1_3genE9ELNS1_11target_archE1100ELNS1_3gpuE3ELNS1_3repE0EEENS1_30default_config_static_selectorELNS0_4arch9wavefront6targetE0EEEvT1_.kd
    .uniform_work_group_size: 1
    .uses_dynamic_stack: false
    .vgpr_count:     0
    .vgpr_spill_count: 0
    .wavefront_size: 32
  - .args:
      - .offset:         0
        .size:           136
        .value_kind:     by_value
    .group_segment_fixed_size: 0
    .kernarg_segment_align: 8
    .kernarg_segment_size: 136
    .language:       OpenCL C
    .language_version:
      - 2
      - 0
    .max_flat_workgroup_size: 256
    .name:           _ZN7rocprim17ROCPRIM_400000_NS6detail17trampoline_kernelINS0_14default_configENS1_27scan_by_key_config_selectorIiyEEZZNS1_16scan_by_key_implILNS1_25lookback_scan_determinismE0ELb0ES3_N6thrust23THRUST_200600_302600_NS6detail15normal_iteratorINS9_10device_ptrIiEEEENSB_INSC_IyEEEESG_yNS9_4plusIvEENS9_8equal_toIvEEyEE10hipError_tPvRmT2_T3_T4_T5_mT6_T7_P12ihipStream_tbENKUlT_T0_E_clISt17integral_constantIbLb0EES11_EEDaSW_SX_EUlSW_E_NS1_11comp_targetILNS1_3genE8ELNS1_11target_archE1030ELNS1_3gpuE2ELNS1_3repE0EEENS1_30default_config_static_selectorELNS0_4arch9wavefront6targetE0EEEvT1_
    .private_segment_fixed_size: 0
    .sgpr_count:     0
    .sgpr_spill_count: 0
    .symbol:         _ZN7rocprim17ROCPRIM_400000_NS6detail17trampoline_kernelINS0_14default_configENS1_27scan_by_key_config_selectorIiyEEZZNS1_16scan_by_key_implILNS1_25lookback_scan_determinismE0ELb0ES3_N6thrust23THRUST_200600_302600_NS6detail15normal_iteratorINS9_10device_ptrIiEEEENSB_INSC_IyEEEESG_yNS9_4plusIvEENS9_8equal_toIvEEyEE10hipError_tPvRmT2_T3_T4_T5_mT6_T7_P12ihipStream_tbENKUlT_T0_E_clISt17integral_constantIbLb0EES11_EEDaSW_SX_EUlSW_E_NS1_11comp_targetILNS1_3genE8ELNS1_11target_archE1030ELNS1_3gpuE2ELNS1_3repE0EEENS1_30default_config_static_selectorELNS0_4arch9wavefront6targetE0EEEvT1_.kd
    .uniform_work_group_size: 1
    .uses_dynamic_stack: false
    .vgpr_count:     0
    .vgpr_spill_count: 0
    .wavefront_size: 32
  - .args:
      - .offset:         0
        .size:           24
        .value_kind:     by_value
      - .offset:         24
        .size:           4
        .value_kind:     by_value
      - .offset:         28
        .size:           4
        .value_kind:     by_value
      - .address_space:  global
        .offset:         32
        .size:           8
        .value_kind:     global_buffer
      - .address_space:  global
        .offset:         40
        .size:           8
        .value_kind:     global_buffer
      - .actual_access:  write_only
        .address_space:  global
        .offset:         48
        .size:           8
        .value_kind:     global_buffer
      - .offset:         56
        .size:           8
        .value_kind:     by_value
      - .offset:         64
        .size:           4
        .value_kind:     by_value
      - .address_space:  global
        .offset:         72
        .size:           8
        .value_kind:     global_buffer
      - .offset:         80
        .size:           4
        .value_kind:     hidden_block_count_x
      - .offset:         84
        .size:           4
        .value_kind:     hidden_block_count_y
      - .offset:         88
        .size:           4
        .value_kind:     hidden_block_count_z
      - .offset:         92
        .size:           2
        .value_kind:     hidden_group_size_x
      - .offset:         94
        .size:           2
        .value_kind:     hidden_group_size_y
      - .offset:         96
        .size:           2
        .value_kind:     hidden_group_size_z
      - .offset:         98
        .size:           2
        .value_kind:     hidden_remainder_x
      - .offset:         100
        .size:           2
        .value_kind:     hidden_remainder_y
      - .offset:         102
        .size:           2
        .value_kind:     hidden_remainder_z
      - .offset:         120
        .size:           8
        .value_kind:     hidden_global_offset_x
      - .offset:         128
        .size:           8
        .value_kind:     hidden_global_offset_y
      - .offset:         136
        .size:           8
        .value_kind:     hidden_global_offset_z
      - .offset:         144
        .size:           2
        .value_kind:     hidden_grid_dims
    .group_segment_fixed_size: 0
    .kernarg_segment_align: 8
    .kernarg_segment_size: 336
    .language:       OpenCL C
    .language_version:
      - 2
      - 0
    .max_flat_workgroup_size: 256
    .name:           _ZN7rocprim17ROCPRIM_400000_NS6detail30init_device_scan_by_key_kernelINS1_19lookback_scan_stateINS0_5tupleIJybEEELb1ELb0EEEN6thrust23THRUST_200600_302600_NS6detail15normal_iteratorINS8_10device_ptrIiEEEEjNS1_16block_id_wrapperIjLb1EEEEEvT_jjPNSG_10value_typeET0_PNSt15iterator_traitsISJ_E10value_typeEmT1_T2_
    .private_segment_fixed_size: 0
    .sgpr_count:     24
    .sgpr_spill_count: 0
    .symbol:         _ZN7rocprim17ROCPRIM_400000_NS6detail30init_device_scan_by_key_kernelINS1_19lookback_scan_stateINS0_5tupleIJybEEELb1ELb0EEEN6thrust23THRUST_200600_302600_NS6detail15normal_iteratorINS8_10device_ptrIiEEEEjNS1_16block_id_wrapperIjLb1EEEEEvT_jjPNSG_10value_typeET0_PNSt15iterator_traitsISJ_E10value_typeEmT1_T2_.kd
    .uniform_work_group_size: 1
    .uses_dynamic_stack: false
    .vgpr_count:     7
    .vgpr_spill_count: 0
    .wavefront_size: 32
  - .args:
      - .offset:         0
        .size:           24
        .value_kind:     by_value
      - .offset:         24
        .size:           4
        .value_kind:     by_value
      - .offset:         28
        .size:           4
        .value_kind:     by_value
      - .address_space:  global
        .offset:         32
        .size:           8
        .value_kind:     global_buffer
      - .address_space:  global
        .offset:         40
        .size:           8
        .value_kind:     global_buffer
      - .offset:         48
        .size:           4
        .value_kind:     hidden_block_count_x
      - .offset:         52
        .size:           4
        .value_kind:     hidden_block_count_y
      - .offset:         56
        .size:           4
        .value_kind:     hidden_block_count_z
      - .offset:         60
        .size:           2
        .value_kind:     hidden_group_size_x
      - .offset:         62
        .size:           2
        .value_kind:     hidden_group_size_y
      - .offset:         64
        .size:           2
        .value_kind:     hidden_group_size_z
      - .offset:         66
        .size:           2
        .value_kind:     hidden_remainder_x
      - .offset:         68
        .size:           2
        .value_kind:     hidden_remainder_y
      - .offset:         70
        .size:           2
        .value_kind:     hidden_remainder_z
      - .offset:         88
        .size:           8
        .value_kind:     hidden_global_offset_x
      - .offset:         96
        .size:           8
        .value_kind:     hidden_global_offset_y
      - .offset:         104
        .size:           8
        .value_kind:     hidden_global_offset_z
      - .offset:         112
        .size:           2
        .value_kind:     hidden_grid_dims
    .group_segment_fixed_size: 0
    .kernarg_segment_align: 8
    .kernarg_segment_size: 304
    .language:       OpenCL C
    .language_version:
      - 2
      - 0
    .max_flat_workgroup_size: 256
    .name:           _ZN7rocprim17ROCPRIM_400000_NS6detail30init_device_scan_by_key_kernelINS1_19lookback_scan_stateINS0_5tupleIJybEEELb1ELb0EEENS1_16block_id_wrapperIjLb1EEEEEvT_jjPNS9_10value_typeET0_
    .private_segment_fixed_size: 0
    .sgpr_count:     20
    .sgpr_spill_count: 0
    .symbol:         _ZN7rocprim17ROCPRIM_400000_NS6detail30init_device_scan_by_key_kernelINS1_19lookback_scan_stateINS0_5tupleIJybEEELb1ELb0EEENS1_16block_id_wrapperIjLb1EEEEEvT_jjPNS9_10value_typeET0_.kd
    .uniform_work_group_size: 1
    .uses_dynamic_stack: false
    .vgpr_count:     5
    .vgpr_spill_count: 0
    .wavefront_size: 32
  - .args:
      - .offset:         0
        .size:           136
        .value_kind:     by_value
    .group_segment_fixed_size: 0
    .kernarg_segment_align: 8
    .kernarg_segment_size: 136
    .language:       OpenCL C
    .language_version:
      - 2
      - 0
    .max_flat_workgroup_size: 128
    .name:           _ZN7rocprim17ROCPRIM_400000_NS6detail17trampoline_kernelINS0_14default_configENS1_27scan_by_key_config_selectorIiyEEZZNS1_16scan_by_key_implILNS1_25lookback_scan_determinismE0ELb0ES3_N6thrust23THRUST_200600_302600_NS6detail15normal_iteratorINS9_10device_ptrIiEEEENSB_INSC_IyEEEESG_yNS9_4plusIvEENS9_8equal_toIvEEyEE10hipError_tPvRmT2_T3_T4_T5_mT6_T7_P12ihipStream_tbENKUlT_T0_E_clISt17integral_constantIbLb1EES11_EEDaSW_SX_EUlSW_E_NS1_11comp_targetILNS1_3genE0ELNS1_11target_archE4294967295ELNS1_3gpuE0ELNS1_3repE0EEENS1_30default_config_static_selectorELNS0_4arch9wavefront6targetE0EEEvT1_
    .private_segment_fixed_size: 0
    .sgpr_count:     0
    .sgpr_spill_count: 0
    .symbol:         _ZN7rocprim17ROCPRIM_400000_NS6detail17trampoline_kernelINS0_14default_configENS1_27scan_by_key_config_selectorIiyEEZZNS1_16scan_by_key_implILNS1_25lookback_scan_determinismE0ELb0ES3_N6thrust23THRUST_200600_302600_NS6detail15normal_iteratorINS9_10device_ptrIiEEEENSB_INSC_IyEEEESG_yNS9_4plusIvEENS9_8equal_toIvEEyEE10hipError_tPvRmT2_T3_T4_T5_mT6_T7_P12ihipStream_tbENKUlT_T0_E_clISt17integral_constantIbLb1EES11_EEDaSW_SX_EUlSW_E_NS1_11comp_targetILNS1_3genE0ELNS1_11target_archE4294967295ELNS1_3gpuE0ELNS1_3repE0EEENS1_30default_config_static_selectorELNS0_4arch9wavefront6targetE0EEEvT1_.kd
    .uniform_work_group_size: 1
    .uses_dynamic_stack: false
    .vgpr_count:     0
    .vgpr_spill_count: 0
    .wavefront_size: 32
  - .args:
      - .offset:         0
        .size:           136
        .value_kind:     by_value
    .group_segment_fixed_size: 0
    .kernarg_segment_align: 8
    .kernarg_segment_size: 136
    .language:       OpenCL C
    .language_version:
      - 2
      - 0
    .max_flat_workgroup_size: 256
    .name:           _ZN7rocprim17ROCPRIM_400000_NS6detail17trampoline_kernelINS0_14default_configENS1_27scan_by_key_config_selectorIiyEEZZNS1_16scan_by_key_implILNS1_25lookback_scan_determinismE0ELb0ES3_N6thrust23THRUST_200600_302600_NS6detail15normal_iteratorINS9_10device_ptrIiEEEENSB_INSC_IyEEEESG_yNS9_4plusIvEENS9_8equal_toIvEEyEE10hipError_tPvRmT2_T3_T4_T5_mT6_T7_P12ihipStream_tbENKUlT_T0_E_clISt17integral_constantIbLb1EES11_EEDaSW_SX_EUlSW_E_NS1_11comp_targetILNS1_3genE10ELNS1_11target_archE1201ELNS1_3gpuE5ELNS1_3repE0EEENS1_30default_config_static_selectorELNS0_4arch9wavefront6targetE0EEEvT1_
    .private_segment_fixed_size: 0
    .sgpr_count:     0
    .sgpr_spill_count: 0
    .symbol:         _ZN7rocprim17ROCPRIM_400000_NS6detail17trampoline_kernelINS0_14default_configENS1_27scan_by_key_config_selectorIiyEEZZNS1_16scan_by_key_implILNS1_25lookback_scan_determinismE0ELb0ES3_N6thrust23THRUST_200600_302600_NS6detail15normal_iteratorINS9_10device_ptrIiEEEENSB_INSC_IyEEEESG_yNS9_4plusIvEENS9_8equal_toIvEEyEE10hipError_tPvRmT2_T3_T4_T5_mT6_T7_P12ihipStream_tbENKUlT_T0_E_clISt17integral_constantIbLb1EES11_EEDaSW_SX_EUlSW_E_NS1_11comp_targetILNS1_3genE10ELNS1_11target_archE1201ELNS1_3gpuE5ELNS1_3repE0EEENS1_30default_config_static_selectorELNS0_4arch9wavefront6targetE0EEEvT1_.kd
    .uniform_work_group_size: 1
    .uses_dynamic_stack: false
    .vgpr_count:     0
    .vgpr_spill_count: 0
    .wavefront_size: 32
  - .args:
      - .offset:         0
        .size:           136
        .value_kind:     by_value
    .group_segment_fixed_size: 0
    .kernarg_segment_align: 8
    .kernarg_segment_size: 136
    .language:       OpenCL C
    .language_version:
      - 2
      - 0
    .max_flat_workgroup_size: 256
    .name:           _ZN7rocprim17ROCPRIM_400000_NS6detail17trampoline_kernelINS0_14default_configENS1_27scan_by_key_config_selectorIiyEEZZNS1_16scan_by_key_implILNS1_25lookback_scan_determinismE0ELb0ES3_N6thrust23THRUST_200600_302600_NS6detail15normal_iteratorINS9_10device_ptrIiEEEENSB_INSC_IyEEEESG_yNS9_4plusIvEENS9_8equal_toIvEEyEE10hipError_tPvRmT2_T3_T4_T5_mT6_T7_P12ihipStream_tbENKUlT_T0_E_clISt17integral_constantIbLb1EES11_EEDaSW_SX_EUlSW_E_NS1_11comp_targetILNS1_3genE5ELNS1_11target_archE942ELNS1_3gpuE9ELNS1_3repE0EEENS1_30default_config_static_selectorELNS0_4arch9wavefront6targetE0EEEvT1_
    .private_segment_fixed_size: 0
    .sgpr_count:     0
    .sgpr_spill_count: 0
    .symbol:         _ZN7rocprim17ROCPRIM_400000_NS6detail17trampoline_kernelINS0_14default_configENS1_27scan_by_key_config_selectorIiyEEZZNS1_16scan_by_key_implILNS1_25lookback_scan_determinismE0ELb0ES3_N6thrust23THRUST_200600_302600_NS6detail15normal_iteratorINS9_10device_ptrIiEEEENSB_INSC_IyEEEESG_yNS9_4plusIvEENS9_8equal_toIvEEyEE10hipError_tPvRmT2_T3_T4_T5_mT6_T7_P12ihipStream_tbENKUlT_T0_E_clISt17integral_constantIbLb1EES11_EEDaSW_SX_EUlSW_E_NS1_11comp_targetILNS1_3genE5ELNS1_11target_archE942ELNS1_3gpuE9ELNS1_3repE0EEENS1_30default_config_static_selectorELNS0_4arch9wavefront6targetE0EEEvT1_.kd
    .uniform_work_group_size: 1
    .uses_dynamic_stack: false
    .vgpr_count:     0
    .vgpr_spill_count: 0
    .wavefront_size: 32
  - .args:
      - .offset:         0
        .size:           136
        .value_kind:     by_value
    .group_segment_fixed_size: 0
    .kernarg_segment_align: 8
    .kernarg_segment_size: 136
    .language:       OpenCL C
    .language_version:
      - 2
      - 0
    .max_flat_workgroup_size: 64
    .name:           _ZN7rocprim17ROCPRIM_400000_NS6detail17trampoline_kernelINS0_14default_configENS1_27scan_by_key_config_selectorIiyEEZZNS1_16scan_by_key_implILNS1_25lookback_scan_determinismE0ELb0ES3_N6thrust23THRUST_200600_302600_NS6detail15normal_iteratorINS9_10device_ptrIiEEEENSB_INSC_IyEEEESG_yNS9_4plusIvEENS9_8equal_toIvEEyEE10hipError_tPvRmT2_T3_T4_T5_mT6_T7_P12ihipStream_tbENKUlT_T0_E_clISt17integral_constantIbLb1EES11_EEDaSW_SX_EUlSW_E_NS1_11comp_targetILNS1_3genE4ELNS1_11target_archE910ELNS1_3gpuE8ELNS1_3repE0EEENS1_30default_config_static_selectorELNS0_4arch9wavefront6targetE0EEEvT1_
    .private_segment_fixed_size: 0
    .sgpr_count:     0
    .sgpr_spill_count: 0
    .symbol:         _ZN7rocprim17ROCPRIM_400000_NS6detail17trampoline_kernelINS0_14default_configENS1_27scan_by_key_config_selectorIiyEEZZNS1_16scan_by_key_implILNS1_25lookback_scan_determinismE0ELb0ES3_N6thrust23THRUST_200600_302600_NS6detail15normal_iteratorINS9_10device_ptrIiEEEENSB_INSC_IyEEEESG_yNS9_4plusIvEENS9_8equal_toIvEEyEE10hipError_tPvRmT2_T3_T4_T5_mT6_T7_P12ihipStream_tbENKUlT_T0_E_clISt17integral_constantIbLb1EES11_EEDaSW_SX_EUlSW_E_NS1_11comp_targetILNS1_3genE4ELNS1_11target_archE910ELNS1_3gpuE8ELNS1_3repE0EEENS1_30default_config_static_selectorELNS0_4arch9wavefront6targetE0EEEvT1_.kd
    .uniform_work_group_size: 1
    .uses_dynamic_stack: false
    .vgpr_count:     0
    .vgpr_spill_count: 0
    .wavefront_size: 32
  - .args:
      - .offset:         0
        .size:           136
        .value_kind:     by_value
    .group_segment_fixed_size: 0
    .kernarg_segment_align: 8
    .kernarg_segment_size: 136
    .language:       OpenCL C
    .language_version:
      - 2
      - 0
    .max_flat_workgroup_size: 128
    .name:           _ZN7rocprim17ROCPRIM_400000_NS6detail17trampoline_kernelINS0_14default_configENS1_27scan_by_key_config_selectorIiyEEZZNS1_16scan_by_key_implILNS1_25lookback_scan_determinismE0ELb0ES3_N6thrust23THRUST_200600_302600_NS6detail15normal_iteratorINS9_10device_ptrIiEEEENSB_INSC_IyEEEESG_yNS9_4plusIvEENS9_8equal_toIvEEyEE10hipError_tPvRmT2_T3_T4_T5_mT6_T7_P12ihipStream_tbENKUlT_T0_E_clISt17integral_constantIbLb1EES11_EEDaSW_SX_EUlSW_E_NS1_11comp_targetILNS1_3genE3ELNS1_11target_archE908ELNS1_3gpuE7ELNS1_3repE0EEENS1_30default_config_static_selectorELNS0_4arch9wavefront6targetE0EEEvT1_
    .private_segment_fixed_size: 0
    .sgpr_count:     0
    .sgpr_spill_count: 0
    .symbol:         _ZN7rocprim17ROCPRIM_400000_NS6detail17trampoline_kernelINS0_14default_configENS1_27scan_by_key_config_selectorIiyEEZZNS1_16scan_by_key_implILNS1_25lookback_scan_determinismE0ELb0ES3_N6thrust23THRUST_200600_302600_NS6detail15normal_iteratorINS9_10device_ptrIiEEEENSB_INSC_IyEEEESG_yNS9_4plusIvEENS9_8equal_toIvEEyEE10hipError_tPvRmT2_T3_T4_T5_mT6_T7_P12ihipStream_tbENKUlT_T0_E_clISt17integral_constantIbLb1EES11_EEDaSW_SX_EUlSW_E_NS1_11comp_targetILNS1_3genE3ELNS1_11target_archE908ELNS1_3gpuE7ELNS1_3repE0EEENS1_30default_config_static_selectorELNS0_4arch9wavefront6targetE0EEEvT1_.kd
    .uniform_work_group_size: 1
    .uses_dynamic_stack: false
    .vgpr_count:     0
    .vgpr_spill_count: 0
    .wavefront_size: 32
  - .args:
      - .offset:         0
        .size:           136
        .value_kind:     by_value
    .group_segment_fixed_size: 0
    .kernarg_segment_align: 8
    .kernarg_segment_size: 136
    .language:       OpenCL C
    .language_version:
      - 2
      - 0
    .max_flat_workgroup_size: 64
    .name:           _ZN7rocprim17ROCPRIM_400000_NS6detail17trampoline_kernelINS0_14default_configENS1_27scan_by_key_config_selectorIiyEEZZNS1_16scan_by_key_implILNS1_25lookback_scan_determinismE0ELb0ES3_N6thrust23THRUST_200600_302600_NS6detail15normal_iteratorINS9_10device_ptrIiEEEENSB_INSC_IyEEEESG_yNS9_4plusIvEENS9_8equal_toIvEEyEE10hipError_tPvRmT2_T3_T4_T5_mT6_T7_P12ihipStream_tbENKUlT_T0_E_clISt17integral_constantIbLb1EES11_EEDaSW_SX_EUlSW_E_NS1_11comp_targetILNS1_3genE2ELNS1_11target_archE906ELNS1_3gpuE6ELNS1_3repE0EEENS1_30default_config_static_selectorELNS0_4arch9wavefront6targetE0EEEvT1_
    .private_segment_fixed_size: 0
    .sgpr_count:     0
    .sgpr_spill_count: 0
    .symbol:         _ZN7rocprim17ROCPRIM_400000_NS6detail17trampoline_kernelINS0_14default_configENS1_27scan_by_key_config_selectorIiyEEZZNS1_16scan_by_key_implILNS1_25lookback_scan_determinismE0ELb0ES3_N6thrust23THRUST_200600_302600_NS6detail15normal_iteratorINS9_10device_ptrIiEEEENSB_INSC_IyEEEESG_yNS9_4plusIvEENS9_8equal_toIvEEyEE10hipError_tPvRmT2_T3_T4_T5_mT6_T7_P12ihipStream_tbENKUlT_T0_E_clISt17integral_constantIbLb1EES11_EEDaSW_SX_EUlSW_E_NS1_11comp_targetILNS1_3genE2ELNS1_11target_archE906ELNS1_3gpuE6ELNS1_3repE0EEENS1_30default_config_static_selectorELNS0_4arch9wavefront6targetE0EEEvT1_.kd
    .uniform_work_group_size: 1
    .uses_dynamic_stack: false
    .vgpr_count:     0
    .vgpr_spill_count: 0
    .wavefront_size: 32
  - .args:
      - .offset:         0
        .size:           136
        .value_kind:     by_value
    .group_segment_fixed_size: 0
    .kernarg_segment_align: 8
    .kernarg_segment_size: 136
    .language:       OpenCL C
    .language_version:
      - 2
      - 0
    .max_flat_workgroup_size: 256
    .name:           _ZN7rocprim17ROCPRIM_400000_NS6detail17trampoline_kernelINS0_14default_configENS1_27scan_by_key_config_selectorIiyEEZZNS1_16scan_by_key_implILNS1_25lookback_scan_determinismE0ELb0ES3_N6thrust23THRUST_200600_302600_NS6detail15normal_iteratorINS9_10device_ptrIiEEEENSB_INSC_IyEEEESG_yNS9_4plusIvEENS9_8equal_toIvEEyEE10hipError_tPvRmT2_T3_T4_T5_mT6_T7_P12ihipStream_tbENKUlT_T0_E_clISt17integral_constantIbLb1EES11_EEDaSW_SX_EUlSW_E_NS1_11comp_targetILNS1_3genE10ELNS1_11target_archE1200ELNS1_3gpuE4ELNS1_3repE0EEENS1_30default_config_static_selectorELNS0_4arch9wavefront6targetE0EEEvT1_
    .private_segment_fixed_size: 0
    .sgpr_count:     0
    .sgpr_spill_count: 0
    .symbol:         _ZN7rocprim17ROCPRIM_400000_NS6detail17trampoline_kernelINS0_14default_configENS1_27scan_by_key_config_selectorIiyEEZZNS1_16scan_by_key_implILNS1_25lookback_scan_determinismE0ELb0ES3_N6thrust23THRUST_200600_302600_NS6detail15normal_iteratorINS9_10device_ptrIiEEEENSB_INSC_IyEEEESG_yNS9_4plusIvEENS9_8equal_toIvEEyEE10hipError_tPvRmT2_T3_T4_T5_mT6_T7_P12ihipStream_tbENKUlT_T0_E_clISt17integral_constantIbLb1EES11_EEDaSW_SX_EUlSW_E_NS1_11comp_targetILNS1_3genE10ELNS1_11target_archE1200ELNS1_3gpuE4ELNS1_3repE0EEENS1_30default_config_static_selectorELNS0_4arch9wavefront6targetE0EEEvT1_.kd
    .uniform_work_group_size: 1
    .uses_dynamic_stack: false
    .vgpr_count:     0
    .vgpr_spill_count: 0
    .wavefront_size: 32
  - .args:
      - .offset:         0
        .size:           136
        .value_kind:     by_value
    .group_segment_fixed_size: 0
    .kernarg_segment_align: 8
    .kernarg_segment_size: 136
    .language:       OpenCL C
    .language_version:
      - 2
      - 0
    .max_flat_workgroup_size: 256
    .name:           _ZN7rocprim17ROCPRIM_400000_NS6detail17trampoline_kernelINS0_14default_configENS1_27scan_by_key_config_selectorIiyEEZZNS1_16scan_by_key_implILNS1_25lookback_scan_determinismE0ELb0ES3_N6thrust23THRUST_200600_302600_NS6detail15normal_iteratorINS9_10device_ptrIiEEEENSB_INSC_IyEEEESG_yNS9_4plusIvEENS9_8equal_toIvEEyEE10hipError_tPvRmT2_T3_T4_T5_mT6_T7_P12ihipStream_tbENKUlT_T0_E_clISt17integral_constantIbLb1EES11_EEDaSW_SX_EUlSW_E_NS1_11comp_targetILNS1_3genE9ELNS1_11target_archE1100ELNS1_3gpuE3ELNS1_3repE0EEENS1_30default_config_static_selectorELNS0_4arch9wavefront6targetE0EEEvT1_
    .private_segment_fixed_size: 0
    .sgpr_count:     0
    .sgpr_spill_count: 0
    .symbol:         _ZN7rocprim17ROCPRIM_400000_NS6detail17trampoline_kernelINS0_14default_configENS1_27scan_by_key_config_selectorIiyEEZZNS1_16scan_by_key_implILNS1_25lookback_scan_determinismE0ELb0ES3_N6thrust23THRUST_200600_302600_NS6detail15normal_iteratorINS9_10device_ptrIiEEEENSB_INSC_IyEEEESG_yNS9_4plusIvEENS9_8equal_toIvEEyEE10hipError_tPvRmT2_T3_T4_T5_mT6_T7_P12ihipStream_tbENKUlT_T0_E_clISt17integral_constantIbLb1EES11_EEDaSW_SX_EUlSW_E_NS1_11comp_targetILNS1_3genE9ELNS1_11target_archE1100ELNS1_3gpuE3ELNS1_3repE0EEENS1_30default_config_static_selectorELNS0_4arch9wavefront6targetE0EEEvT1_.kd
    .uniform_work_group_size: 1
    .uses_dynamic_stack: false
    .vgpr_count:     0
    .vgpr_spill_count: 0
    .wavefront_size: 32
  - .args:
      - .offset:         0
        .size:           136
        .value_kind:     by_value
    .group_segment_fixed_size: 0
    .kernarg_segment_align: 8
    .kernarg_segment_size: 136
    .language:       OpenCL C
    .language_version:
      - 2
      - 0
    .max_flat_workgroup_size: 256
    .name:           _ZN7rocprim17ROCPRIM_400000_NS6detail17trampoline_kernelINS0_14default_configENS1_27scan_by_key_config_selectorIiyEEZZNS1_16scan_by_key_implILNS1_25lookback_scan_determinismE0ELb0ES3_N6thrust23THRUST_200600_302600_NS6detail15normal_iteratorINS9_10device_ptrIiEEEENSB_INSC_IyEEEESG_yNS9_4plusIvEENS9_8equal_toIvEEyEE10hipError_tPvRmT2_T3_T4_T5_mT6_T7_P12ihipStream_tbENKUlT_T0_E_clISt17integral_constantIbLb1EES11_EEDaSW_SX_EUlSW_E_NS1_11comp_targetILNS1_3genE8ELNS1_11target_archE1030ELNS1_3gpuE2ELNS1_3repE0EEENS1_30default_config_static_selectorELNS0_4arch9wavefront6targetE0EEEvT1_
    .private_segment_fixed_size: 0
    .sgpr_count:     0
    .sgpr_spill_count: 0
    .symbol:         _ZN7rocprim17ROCPRIM_400000_NS6detail17trampoline_kernelINS0_14default_configENS1_27scan_by_key_config_selectorIiyEEZZNS1_16scan_by_key_implILNS1_25lookback_scan_determinismE0ELb0ES3_N6thrust23THRUST_200600_302600_NS6detail15normal_iteratorINS9_10device_ptrIiEEEENSB_INSC_IyEEEESG_yNS9_4plusIvEENS9_8equal_toIvEEyEE10hipError_tPvRmT2_T3_T4_T5_mT6_T7_P12ihipStream_tbENKUlT_T0_E_clISt17integral_constantIbLb1EES11_EEDaSW_SX_EUlSW_E_NS1_11comp_targetILNS1_3genE8ELNS1_11target_archE1030ELNS1_3gpuE2ELNS1_3repE0EEENS1_30default_config_static_selectorELNS0_4arch9wavefront6targetE0EEEvT1_.kd
    .uniform_work_group_size: 1
    .uses_dynamic_stack: false
    .vgpr_count:     0
    .vgpr_spill_count: 0
    .wavefront_size: 32
  - .args:
      - .offset:         0
        .size:           24
        .value_kind:     by_value
      - .offset:         24
        .size:           4
        .value_kind:     by_value
      - .offset:         28
        .size:           4
        .value_kind:     by_value
      - .address_space:  global
        .offset:         32
        .size:           8
        .value_kind:     global_buffer
      - .address_space:  global
        .offset:         40
        .size:           8
        .value_kind:     global_buffer
      - .actual_access:  write_only
        .address_space:  global
        .offset:         48
        .size:           8
        .value_kind:     global_buffer
      - .offset:         56
        .size:           8
        .value_kind:     by_value
      - .offset:         64
        .size:           4
        .value_kind:     by_value
      - .offset:         68
        .size:           1
        .value_kind:     by_value
      - .offset:         72
        .size:           4
        .value_kind:     hidden_block_count_x
      - .offset:         76
        .size:           4
        .value_kind:     hidden_block_count_y
      - .offset:         80
        .size:           4
        .value_kind:     hidden_block_count_z
      - .offset:         84
        .size:           2
        .value_kind:     hidden_group_size_x
      - .offset:         86
        .size:           2
        .value_kind:     hidden_group_size_y
      - .offset:         88
        .size:           2
        .value_kind:     hidden_group_size_z
      - .offset:         90
        .size:           2
        .value_kind:     hidden_remainder_x
      - .offset:         92
        .size:           2
        .value_kind:     hidden_remainder_y
      - .offset:         94
        .size:           2
        .value_kind:     hidden_remainder_z
      - .offset:         112
        .size:           8
        .value_kind:     hidden_global_offset_x
      - .offset:         120
        .size:           8
        .value_kind:     hidden_global_offset_y
      - .offset:         128
        .size:           8
        .value_kind:     hidden_global_offset_z
      - .offset:         136
        .size:           2
        .value_kind:     hidden_grid_dims
    .group_segment_fixed_size: 0
    .kernarg_segment_align: 8
    .kernarg_segment_size: 328
    .language:       OpenCL C
    .language_version:
      - 2
      - 0
    .max_flat_workgroup_size: 256
    .name:           _ZN7rocprim17ROCPRIM_400000_NS6detail30init_device_scan_by_key_kernelINS1_19lookback_scan_stateINS0_5tupleIJybEEELb1ELb0EEEN6thrust23THRUST_200600_302600_NS6detail15normal_iteratorINS8_10device_ptrIiEEEEjNS1_16block_id_wrapperIjLb0EEEEEvT_jjPNSG_10value_typeET0_PNSt15iterator_traitsISJ_E10value_typeEmT1_T2_
    .private_segment_fixed_size: 0
    .sgpr_count:     24
    .sgpr_spill_count: 0
    .symbol:         _ZN7rocprim17ROCPRIM_400000_NS6detail30init_device_scan_by_key_kernelINS1_19lookback_scan_stateINS0_5tupleIJybEEELb1ELb0EEEN6thrust23THRUST_200600_302600_NS6detail15normal_iteratorINS8_10device_ptrIiEEEEjNS1_16block_id_wrapperIjLb0EEEEEvT_jjPNSG_10value_typeET0_PNSt15iterator_traitsISJ_E10value_typeEmT1_T2_.kd
    .uniform_work_group_size: 1
    .uses_dynamic_stack: false
    .vgpr_count:     7
    .vgpr_spill_count: 0
    .wavefront_size: 32
  - .args:
      - .offset:         0
        .size:           24
        .value_kind:     by_value
      - .offset:         24
        .size:           4
        .value_kind:     by_value
      - .offset:         28
        .size:           4
        .value_kind:     by_value
      - .address_space:  global
        .offset:         32
        .size:           8
        .value_kind:     global_buffer
      - .offset:         40
        .size:           1
        .value_kind:     by_value
      - .offset:         48
        .size:           4
        .value_kind:     hidden_block_count_x
      - .offset:         52
        .size:           4
        .value_kind:     hidden_block_count_y
      - .offset:         56
        .size:           4
        .value_kind:     hidden_block_count_z
      - .offset:         60
        .size:           2
        .value_kind:     hidden_group_size_x
      - .offset:         62
        .size:           2
        .value_kind:     hidden_group_size_y
      - .offset:         64
        .size:           2
        .value_kind:     hidden_group_size_z
      - .offset:         66
        .size:           2
        .value_kind:     hidden_remainder_x
      - .offset:         68
        .size:           2
        .value_kind:     hidden_remainder_y
      - .offset:         70
        .size:           2
        .value_kind:     hidden_remainder_z
      - .offset:         88
        .size:           8
        .value_kind:     hidden_global_offset_x
      - .offset:         96
        .size:           8
        .value_kind:     hidden_global_offset_y
      - .offset:         104
        .size:           8
        .value_kind:     hidden_global_offset_z
      - .offset:         112
        .size:           2
        .value_kind:     hidden_grid_dims
    .group_segment_fixed_size: 0
    .kernarg_segment_align: 8
    .kernarg_segment_size: 304
    .language:       OpenCL C
    .language_version:
      - 2
      - 0
    .max_flat_workgroup_size: 256
    .name:           _ZN7rocprim17ROCPRIM_400000_NS6detail30init_device_scan_by_key_kernelINS1_19lookback_scan_stateINS0_5tupleIJybEEELb1ELb0EEENS1_16block_id_wrapperIjLb0EEEEEvT_jjPNS9_10value_typeET0_
    .private_segment_fixed_size: 0
    .sgpr_count:     18
    .sgpr_spill_count: 0
    .symbol:         _ZN7rocprim17ROCPRIM_400000_NS6detail30init_device_scan_by_key_kernelINS1_19lookback_scan_stateINS0_5tupleIJybEEELb1ELb0EEENS1_16block_id_wrapperIjLb0EEEEEvT_jjPNS9_10value_typeET0_.kd
    .uniform_work_group_size: 1
    .uses_dynamic_stack: false
    .vgpr_count:     5
    .vgpr_spill_count: 0
    .wavefront_size: 32
  - .args:
      - .offset:         0
        .size:           136
        .value_kind:     by_value
    .group_segment_fixed_size: 0
    .kernarg_segment_align: 8
    .kernarg_segment_size: 136
    .language:       OpenCL C
    .language_version:
      - 2
      - 0
    .max_flat_workgroup_size: 128
    .name:           _ZN7rocprim17ROCPRIM_400000_NS6detail17trampoline_kernelINS0_14default_configENS1_27scan_by_key_config_selectorIiyEEZZNS1_16scan_by_key_implILNS1_25lookback_scan_determinismE0ELb0ES3_N6thrust23THRUST_200600_302600_NS6detail15normal_iteratorINS9_10device_ptrIiEEEENSB_INSC_IyEEEESG_yNS9_4plusIvEENS9_8equal_toIvEEyEE10hipError_tPvRmT2_T3_T4_T5_mT6_T7_P12ihipStream_tbENKUlT_T0_E_clISt17integral_constantIbLb1EES10_IbLb0EEEEDaSW_SX_EUlSW_E_NS1_11comp_targetILNS1_3genE0ELNS1_11target_archE4294967295ELNS1_3gpuE0ELNS1_3repE0EEENS1_30default_config_static_selectorELNS0_4arch9wavefront6targetE0EEEvT1_
    .private_segment_fixed_size: 0
    .sgpr_count:     0
    .sgpr_spill_count: 0
    .symbol:         _ZN7rocprim17ROCPRIM_400000_NS6detail17trampoline_kernelINS0_14default_configENS1_27scan_by_key_config_selectorIiyEEZZNS1_16scan_by_key_implILNS1_25lookback_scan_determinismE0ELb0ES3_N6thrust23THRUST_200600_302600_NS6detail15normal_iteratorINS9_10device_ptrIiEEEENSB_INSC_IyEEEESG_yNS9_4plusIvEENS9_8equal_toIvEEyEE10hipError_tPvRmT2_T3_T4_T5_mT6_T7_P12ihipStream_tbENKUlT_T0_E_clISt17integral_constantIbLb1EES10_IbLb0EEEEDaSW_SX_EUlSW_E_NS1_11comp_targetILNS1_3genE0ELNS1_11target_archE4294967295ELNS1_3gpuE0ELNS1_3repE0EEENS1_30default_config_static_selectorELNS0_4arch9wavefront6targetE0EEEvT1_.kd
    .uniform_work_group_size: 1
    .uses_dynamic_stack: false
    .vgpr_count:     0
    .vgpr_spill_count: 0
    .wavefront_size: 32
  - .args:
      - .offset:         0
        .size:           136
        .value_kind:     by_value
    .group_segment_fixed_size: 0
    .kernarg_segment_align: 8
    .kernarg_segment_size: 136
    .language:       OpenCL C
    .language_version:
      - 2
      - 0
    .max_flat_workgroup_size: 256
    .name:           _ZN7rocprim17ROCPRIM_400000_NS6detail17trampoline_kernelINS0_14default_configENS1_27scan_by_key_config_selectorIiyEEZZNS1_16scan_by_key_implILNS1_25lookback_scan_determinismE0ELb0ES3_N6thrust23THRUST_200600_302600_NS6detail15normal_iteratorINS9_10device_ptrIiEEEENSB_INSC_IyEEEESG_yNS9_4plusIvEENS9_8equal_toIvEEyEE10hipError_tPvRmT2_T3_T4_T5_mT6_T7_P12ihipStream_tbENKUlT_T0_E_clISt17integral_constantIbLb1EES10_IbLb0EEEEDaSW_SX_EUlSW_E_NS1_11comp_targetILNS1_3genE10ELNS1_11target_archE1201ELNS1_3gpuE5ELNS1_3repE0EEENS1_30default_config_static_selectorELNS0_4arch9wavefront6targetE0EEEvT1_
    .private_segment_fixed_size: 0
    .sgpr_count:     0
    .sgpr_spill_count: 0
    .symbol:         _ZN7rocprim17ROCPRIM_400000_NS6detail17trampoline_kernelINS0_14default_configENS1_27scan_by_key_config_selectorIiyEEZZNS1_16scan_by_key_implILNS1_25lookback_scan_determinismE0ELb0ES3_N6thrust23THRUST_200600_302600_NS6detail15normal_iteratorINS9_10device_ptrIiEEEENSB_INSC_IyEEEESG_yNS9_4plusIvEENS9_8equal_toIvEEyEE10hipError_tPvRmT2_T3_T4_T5_mT6_T7_P12ihipStream_tbENKUlT_T0_E_clISt17integral_constantIbLb1EES10_IbLb0EEEEDaSW_SX_EUlSW_E_NS1_11comp_targetILNS1_3genE10ELNS1_11target_archE1201ELNS1_3gpuE5ELNS1_3repE0EEENS1_30default_config_static_selectorELNS0_4arch9wavefront6targetE0EEEvT1_.kd
    .uniform_work_group_size: 1
    .uses_dynamic_stack: false
    .vgpr_count:     0
    .vgpr_spill_count: 0
    .wavefront_size: 32
  - .args:
      - .offset:         0
        .size:           136
        .value_kind:     by_value
    .group_segment_fixed_size: 0
    .kernarg_segment_align: 8
    .kernarg_segment_size: 136
    .language:       OpenCL C
    .language_version:
      - 2
      - 0
    .max_flat_workgroup_size: 256
    .name:           _ZN7rocprim17ROCPRIM_400000_NS6detail17trampoline_kernelINS0_14default_configENS1_27scan_by_key_config_selectorIiyEEZZNS1_16scan_by_key_implILNS1_25lookback_scan_determinismE0ELb0ES3_N6thrust23THRUST_200600_302600_NS6detail15normal_iteratorINS9_10device_ptrIiEEEENSB_INSC_IyEEEESG_yNS9_4plusIvEENS9_8equal_toIvEEyEE10hipError_tPvRmT2_T3_T4_T5_mT6_T7_P12ihipStream_tbENKUlT_T0_E_clISt17integral_constantIbLb1EES10_IbLb0EEEEDaSW_SX_EUlSW_E_NS1_11comp_targetILNS1_3genE5ELNS1_11target_archE942ELNS1_3gpuE9ELNS1_3repE0EEENS1_30default_config_static_selectorELNS0_4arch9wavefront6targetE0EEEvT1_
    .private_segment_fixed_size: 0
    .sgpr_count:     0
    .sgpr_spill_count: 0
    .symbol:         _ZN7rocprim17ROCPRIM_400000_NS6detail17trampoline_kernelINS0_14default_configENS1_27scan_by_key_config_selectorIiyEEZZNS1_16scan_by_key_implILNS1_25lookback_scan_determinismE0ELb0ES3_N6thrust23THRUST_200600_302600_NS6detail15normal_iteratorINS9_10device_ptrIiEEEENSB_INSC_IyEEEESG_yNS9_4plusIvEENS9_8equal_toIvEEyEE10hipError_tPvRmT2_T3_T4_T5_mT6_T7_P12ihipStream_tbENKUlT_T0_E_clISt17integral_constantIbLb1EES10_IbLb0EEEEDaSW_SX_EUlSW_E_NS1_11comp_targetILNS1_3genE5ELNS1_11target_archE942ELNS1_3gpuE9ELNS1_3repE0EEENS1_30default_config_static_selectorELNS0_4arch9wavefront6targetE0EEEvT1_.kd
    .uniform_work_group_size: 1
    .uses_dynamic_stack: false
    .vgpr_count:     0
    .vgpr_spill_count: 0
    .wavefront_size: 32
  - .args:
      - .offset:         0
        .size:           136
        .value_kind:     by_value
    .group_segment_fixed_size: 0
    .kernarg_segment_align: 8
    .kernarg_segment_size: 136
    .language:       OpenCL C
    .language_version:
      - 2
      - 0
    .max_flat_workgroup_size: 64
    .name:           _ZN7rocprim17ROCPRIM_400000_NS6detail17trampoline_kernelINS0_14default_configENS1_27scan_by_key_config_selectorIiyEEZZNS1_16scan_by_key_implILNS1_25lookback_scan_determinismE0ELb0ES3_N6thrust23THRUST_200600_302600_NS6detail15normal_iteratorINS9_10device_ptrIiEEEENSB_INSC_IyEEEESG_yNS9_4plusIvEENS9_8equal_toIvEEyEE10hipError_tPvRmT2_T3_T4_T5_mT6_T7_P12ihipStream_tbENKUlT_T0_E_clISt17integral_constantIbLb1EES10_IbLb0EEEEDaSW_SX_EUlSW_E_NS1_11comp_targetILNS1_3genE4ELNS1_11target_archE910ELNS1_3gpuE8ELNS1_3repE0EEENS1_30default_config_static_selectorELNS0_4arch9wavefront6targetE0EEEvT1_
    .private_segment_fixed_size: 0
    .sgpr_count:     0
    .sgpr_spill_count: 0
    .symbol:         _ZN7rocprim17ROCPRIM_400000_NS6detail17trampoline_kernelINS0_14default_configENS1_27scan_by_key_config_selectorIiyEEZZNS1_16scan_by_key_implILNS1_25lookback_scan_determinismE0ELb0ES3_N6thrust23THRUST_200600_302600_NS6detail15normal_iteratorINS9_10device_ptrIiEEEENSB_INSC_IyEEEESG_yNS9_4plusIvEENS9_8equal_toIvEEyEE10hipError_tPvRmT2_T3_T4_T5_mT6_T7_P12ihipStream_tbENKUlT_T0_E_clISt17integral_constantIbLb1EES10_IbLb0EEEEDaSW_SX_EUlSW_E_NS1_11comp_targetILNS1_3genE4ELNS1_11target_archE910ELNS1_3gpuE8ELNS1_3repE0EEENS1_30default_config_static_selectorELNS0_4arch9wavefront6targetE0EEEvT1_.kd
    .uniform_work_group_size: 1
    .uses_dynamic_stack: false
    .vgpr_count:     0
    .vgpr_spill_count: 0
    .wavefront_size: 32
  - .args:
      - .offset:         0
        .size:           136
        .value_kind:     by_value
    .group_segment_fixed_size: 0
    .kernarg_segment_align: 8
    .kernarg_segment_size: 136
    .language:       OpenCL C
    .language_version:
      - 2
      - 0
    .max_flat_workgroup_size: 128
    .name:           _ZN7rocprim17ROCPRIM_400000_NS6detail17trampoline_kernelINS0_14default_configENS1_27scan_by_key_config_selectorIiyEEZZNS1_16scan_by_key_implILNS1_25lookback_scan_determinismE0ELb0ES3_N6thrust23THRUST_200600_302600_NS6detail15normal_iteratorINS9_10device_ptrIiEEEENSB_INSC_IyEEEESG_yNS9_4plusIvEENS9_8equal_toIvEEyEE10hipError_tPvRmT2_T3_T4_T5_mT6_T7_P12ihipStream_tbENKUlT_T0_E_clISt17integral_constantIbLb1EES10_IbLb0EEEEDaSW_SX_EUlSW_E_NS1_11comp_targetILNS1_3genE3ELNS1_11target_archE908ELNS1_3gpuE7ELNS1_3repE0EEENS1_30default_config_static_selectorELNS0_4arch9wavefront6targetE0EEEvT1_
    .private_segment_fixed_size: 0
    .sgpr_count:     0
    .sgpr_spill_count: 0
    .symbol:         _ZN7rocprim17ROCPRIM_400000_NS6detail17trampoline_kernelINS0_14default_configENS1_27scan_by_key_config_selectorIiyEEZZNS1_16scan_by_key_implILNS1_25lookback_scan_determinismE0ELb0ES3_N6thrust23THRUST_200600_302600_NS6detail15normal_iteratorINS9_10device_ptrIiEEEENSB_INSC_IyEEEESG_yNS9_4plusIvEENS9_8equal_toIvEEyEE10hipError_tPvRmT2_T3_T4_T5_mT6_T7_P12ihipStream_tbENKUlT_T0_E_clISt17integral_constantIbLb1EES10_IbLb0EEEEDaSW_SX_EUlSW_E_NS1_11comp_targetILNS1_3genE3ELNS1_11target_archE908ELNS1_3gpuE7ELNS1_3repE0EEENS1_30default_config_static_selectorELNS0_4arch9wavefront6targetE0EEEvT1_.kd
    .uniform_work_group_size: 1
    .uses_dynamic_stack: false
    .vgpr_count:     0
    .vgpr_spill_count: 0
    .wavefront_size: 32
  - .args:
      - .offset:         0
        .size:           136
        .value_kind:     by_value
    .group_segment_fixed_size: 0
    .kernarg_segment_align: 8
    .kernarg_segment_size: 136
    .language:       OpenCL C
    .language_version:
      - 2
      - 0
    .max_flat_workgroup_size: 64
    .name:           _ZN7rocprim17ROCPRIM_400000_NS6detail17trampoline_kernelINS0_14default_configENS1_27scan_by_key_config_selectorIiyEEZZNS1_16scan_by_key_implILNS1_25lookback_scan_determinismE0ELb0ES3_N6thrust23THRUST_200600_302600_NS6detail15normal_iteratorINS9_10device_ptrIiEEEENSB_INSC_IyEEEESG_yNS9_4plusIvEENS9_8equal_toIvEEyEE10hipError_tPvRmT2_T3_T4_T5_mT6_T7_P12ihipStream_tbENKUlT_T0_E_clISt17integral_constantIbLb1EES10_IbLb0EEEEDaSW_SX_EUlSW_E_NS1_11comp_targetILNS1_3genE2ELNS1_11target_archE906ELNS1_3gpuE6ELNS1_3repE0EEENS1_30default_config_static_selectorELNS0_4arch9wavefront6targetE0EEEvT1_
    .private_segment_fixed_size: 0
    .sgpr_count:     0
    .sgpr_spill_count: 0
    .symbol:         _ZN7rocprim17ROCPRIM_400000_NS6detail17trampoline_kernelINS0_14default_configENS1_27scan_by_key_config_selectorIiyEEZZNS1_16scan_by_key_implILNS1_25lookback_scan_determinismE0ELb0ES3_N6thrust23THRUST_200600_302600_NS6detail15normal_iteratorINS9_10device_ptrIiEEEENSB_INSC_IyEEEESG_yNS9_4plusIvEENS9_8equal_toIvEEyEE10hipError_tPvRmT2_T3_T4_T5_mT6_T7_P12ihipStream_tbENKUlT_T0_E_clISt17integral_constantIbLb1EES10_IbLb0EEEEDaSW_SX_EUlSW_E_NS1_11comp_targetILNS1_3genE2ELNS1_11target_archE906ELNS1_3gpuE6ELNS1_3repE0EEENS1_30default_config_static_selectorELNS0_4arch9wavefront6targetE0EEEvT1_.kd
    .uniform_work_group_size: 1
    .uses_dynamic_stack: false
    .vgpr_count:     0
    .vgpr_spill_count: 0
    .wavefront_size: 32
  - .args:
      - .offset:         0
        .size:           136
        .value_kind:     by_value
    .group_segment_fixed_size: 0
    .kernarg_segment_align: 8
    .kernarg_segment_size: 136
    .language:       OpenCL C
    .language_version:
      - 2
      - 0
    .max_flat_workgroup_size: 256
    .name:           _ZN7rocprim17ROCPRIM_400000_NS6detail17trampoline_kernelINS0_14default_configENS1_27scan_by_key_config_selectorIiyEEZZNS1_16scan_by_key_implILNS1_25lookback_scan_determinismE0ELb0ES3_N6thrust23THRUST_200600_302600_NS6detail15normal_iteratorINS9_10device_ptrIiEEEENSB_INSC_IyEEEESG_yNS9_4plusIvEENS9_8equal_toIvEEyEE10hipError_tPvRmT2_T3_T4_T5_mT6_T7_P12ihipStream_tbENKUlT_T0_E_clISt17integral_constantIbLb1EES10_IbLb0EEEEDaSW_SX_EUlSW_E_NS1_11comp_targetILNS1_3genE10ELNS1_11target_archE1200ELNS1_3gpuE4ELNS1_3repE0EEENS1_30default_config_static_selectorELNS0_4arch9wavefront6targetE0EEEvT1_
    .private_segment_fixed_size: 0
    .sgpr_count:     0
    .sgpr_spill_count: 0
    .symbol:         _ZN7rocprim17ROCPRIM_400000_NS6detail17trampoline_kernelINS0_14default_configENS1_27scan_by_key_config_selectorIiyEEZZNS1_16scan_by_key_implILNS1_25lookback_scan_determinismE0ELb0ES3_N6thrust23THRUST_200600_302600_NS6detail15normal_iteratorINS9_10device_ptrIiEEEENSB_INSC_IyEEEESG_yNS9_4plusIvEENS9_8equal_toIvEEyEE10hipError_tPvRmT2_T3_T4_T5_mT6_T7_P12ihipStream_tbENKUlT_T0_E_clISt17integral_constantIbLb1EES10_IbLb0EEEEDaSW_SX_EUlSW_E_NS1_11comp_targetILNS1_3genE10ELNS1_11target_archE1200ELNS1_3gpuE4ELNS1_3repE0EEENS1_30default_config_static_selectorELNS0_4arch9wavefront6targetE0EEEvT1_.kd
    .uniform_work_group_size: 1
    .uses_dynamic_stack: false
    .vgpr_count:     0
    .vgpr_spill_count: 0
    .wavefront_size: 32
  - .args:
      - .offset:         0
        .size:           136
        .value_kind:     by_value
    .group_segment_fixed_size: 0
    .kernarg_segment_align: 8
    .kernarg_segment_size: 136
    .language:       OpenCL C
    .language_version:
      - 2
      - 0
    .max_flat_workgroup_size: 256
    .name:           _ZN7rocprim17ROCPRIM_400000_NS6detail17trampoline_kernelINS0_14default_configENS1_27scan_by_key_config_selectorIiyEEZZNS1_16scan_by_key_implILNS1_25lookback_scan_determinismE0ELb0ES3_N6thrust23THRUST_200600_302600_NS6detail15normal_iteratorINS9_10device_ptrIiEEEENSB_INSC_IyEEEESG_yNS9_4plusIvEENS9_8equal_toIvEEyEE10hipError_tPvRmT2_T3_T4_T5_mT6_T7_P12ihipStream_tbENKUlT_T0_E_clISt17integral_constantIbLb1EES10_IbLb0EEEEDaSW_SX_EUlSW_E_NS1_11comp_targetILNS1_3genE9ELNS1_11target_archE1100ELNS1_3gpuE3ELNS1_3repE0EEENS1_30default_config_static_selectorELNS0_4arch9wavefront6targetE0EEEvT1_
    .private_segment_fixed_size: 0
    .sgpr_count:     0
    .sgpr_spill_count: 0
    .symbol:         _ZN7rocprim17ROCPRIM_400000_NS6detail17trampoline_kernelINS0_14default_configENS1_27scan_by_key_config_selectorIiyEEZZNS1_16scan_by_key_implILNS1_25lookback_scan_determinismE0ELb0ES3_N6thrust23THRUST_200600_302600_NS6detail15normal_iteratorINS9_10device_ptrIiEEEENSB_INSC_IyEEEESG_yNS9_4plusIvEENS9_8equal_toIvEEyEE10hipError_tPvRmT2_T3_T4_T5_mT6_T7_P12ihipStream_tbENKUlT_T0_E_clISt17integral_constantIbLb1EES10_IbLb0EEEEDaSW_SX_EUlSW_E_NS1_11comp_targetILNS1_3genE9ELNS1_11target_archE1100ELNS1_3gpuE3ELNS1_3repE0EEENS1_30default_config_static_selectorELNS0_4arch9wavefront6targetE0EEEvT1_.kd
    .uniform_work_group_size: 1
    .uses_dynamic_stack: false
    .vgpr_count:     0
    .vgpr_spill_count: 0
    .wavefront_size: 32
  - .args:
      - .offset:         0
        .size:           136
        .value_kind:     by_value
    .group_segment_fixed_size: 0
    .kernarg_segment_align: 8
    .kernarg_segment_size: 136
    .language:       OpenCL C
    .language_version:
      - 2
      - 0
    .max_flat_workgroup_size: 256
    .name:           _ZN7rocprim17ROCPRIM_400000_NS6detail17trampoline_kernelINS0_14default_configENS1_27scan_by_key_config_selectorIiyEEZZNS1_16scan_by_key_implILNS1_25lookback_scan_determinismE0ELb0ES3_N6thrust23THRUST_200600_302600_NS6detail15normal_iteratorINS9_10device_ptrIiEEEENSB_INSC_IyEEEESG_yNS9_4plusIvEENS9_8equal_toIvEEyEE10hipError_tPvRmT2_T3_T4_T5_mT6_T7_P12ihipStream_tbENKUlT_T0_E_clISt17integral_constantIbLb1EES10_IbLb0EEEEDaSW_SX_EUlSW_E_NS1_11comp_targetILNS1_3genE8ELNS1_11target_archE1030ELNS1_3gpuE2ELNS1_3repE0EEENS1_30default_config_static_selectorELNS0_4arch9wavefront6targetE0EEEvT1_
    .private_segment_fixed_size: 0
    .sgpr_count:     0
    .sgpr_spill_count: 0
    .symbol:         _ZN7rocprim17ROCPRIM_400000_NS6detail17trampoline_kernelINS0_14default_configENS1_27scan_by_key_config_selectorIiyEEZZNS1_16scan_by_key_implILNS1_25lookback_scan_determinismE0ELb0ES3_N6thrust23THRUST_200600_302600_NS6detail15normal_iteratorINS9_10device_ptrIiEEEENSB_INSC_IyEEEESG_yNS9_4plusIvEENS9_8equal_toIvEEyEE10hipError_tPvRmT2_T3_T4_T5_mT6_T7_P12ihipStream_tbENKUlT_T0_E_clISt17integral_constantIbLb1EES10_IbLb0EEEEDaSW_SX_EUlSW_E_NS1_11comp_targetILNS1_3genE8ELNS1_11target_archE1030ELNS1_3gpuE2ELNS1_3repE0EEENS1_30default_config_static_selectorELNS0_4arch9wavefront6targetE0EEEvT1_.kd
    .uniform_work_group_size: 1
    .uses_dynamic_stack: false
    .vgpr_count:     0
    .vgpr_spill_count: 0
    .wavefront_size: 32
  - .args:
      - .offset:         0
        .size:           24
        .value_kind:     by_value
      - .offset:         24
        .size:           4
        .value_kind:     by_value
      - .offset:         28
        .size:           4
        .value_kind:     by_value
      - .address_space:  global
        .offset:         32
        .size:           8
        .value_kind:     global_buffer
      - .address_space:  global
        .offset:         40
        .size:           8
        .value_kind:     global_buffer
      - .actual_access:  write_only
        .address_space:  global
        .offset:         48
        .size:           8
        .value_kind:     global_buffer
      - .offset:         56
        .size:           8
        .value_kind:     by_value
      - .offset:         64
        .size:           4
        .value_kind:     by_value
      - .address_space:  global
        .offset:         72
        .size:           8
        .value_kind:     global_buffer
      - .offset:         80
        .size:           4
        .value_kind:     hidden_block_count_x
      - .offset:         84
        .size:           4
        .value_kind:     hidden_block_count_y
      - .offset:         88
        .size:           4
        .value_kind:     hidden_block_count_z
      - .offset:         92
        .size:           2
        .value_kind:     hidden_group_size_x
      - .offset:         94
        .size:           2
        .value_kind:     hidden_group_size_y
      - .offset:         96
        .size:           2
        .value_kind:     hidden_group_size_z
      - .offset:         98
        .size:           2
        .value_kind:     hidden_remainder_x
      - .offset:         100
        .size:           2
        .value_kind:     hidden_remainder_y
      - .offset:         102
        .size:           2
        .value_kind:     hidden_remainder_z
      - .offset:         120
        .size:           8
        .value_kind:     hidden_global_offset_x
      - .offset:         128
        .size:           8
        .value_kind:     hidden_global_offset_y
      - .offset:         136
        .size:           8
        .value_kind:     hidden_global_offset_z
      - .offset:         144
        .size:           2
        .value_kind:     hidden_grid_dims
    .group_segment_fixed_size: 0
    .kernarg_segment_align: 8
    .kernarg_segment_size: 336
    .language:       OpenCL C
    .language_version:
      - 2
      - 0
    .max_flat_workgroup_size: 256
    .name:           _ZN7rocprim17ROCPRIM_400000_NS6detail30init_device_scan_by_key_kernelINS1_19lookback_scan_stateINS0_5tupleIJybEEELb0ELb0EEEN6thrust23THRUST_200600_302600_NS6detail15normal_iteratorINS8_10device_ptrIiEEEEjNS1_16block_id_wrapperIjLb1EEEEEvT_jjPNSG_10value_typeET0_PNSt15iterator_traitsISJ_E10value_typeEmT1_T2_
    .private_segment_fixed_size: 0
    .sgpr_count:     23
    .sgpr_spill_count: 0
    .symbol:         _ZN7rocprim17ROCPRIM_400000_NS6detail30init_device_scan_by_key_kernelINS1_19lookback_scan_stateINS0_5tupleIJybEEELb0ELb0EEEN6thrust23THRUST_200600_302600_NS6detail15normal_iteratorINS8_10device_ptrIiEEEEjNS1_16block_id_wrapperIjLb1EEEEEvT_jjPNSG_10value_typeET0_PNSt15iterator_traitsISJ_E10value_typeEmT1_T2_.kd
    .uniform_work_group_size: 1
    .uses_dynamic_stack: false
    .vgpr_count:     7
    .vgpr_spill_count: 0
    .wavefront_size: 32
  - .args:
      - .offset:         0
        .size:           24
        .value_kind:     by_value
      - .offset:         24
        .size:           4
        .value_kind:     by_value
      - .offset:         28
        .size:           4
        .value_kind:     by_value
      - .address_space:  global
        .offset:         32
        .size:           8
        .value_kind:     global_buffer
      - .address_space:  global
        .offset:         40
        .size:           8
        .value_kind:     global_buffer
      - .offset:         48
        .size:           4
        .value_kind:     hidden_block_count_x
      - .offset:         52
        .size:           4
        .value_kind:     hidden_block_count_y
      - .offset:         56
        .size:           4
        .value_kind:     hidden_block_count_z
      - .offset:         60
        .size:           2
        .value_kind:     hidden_group_size_x
      - .offset:         62
        .size:           2
        .value_kind:     hidden_group_size_y
      - .offset:         64
        .size:           2
        .value_kind:     hidden_group_size_z
      - .offset:         66
        .size:           2
        .value_kind:     hidden_remainder_x
      - .offset:         68
        .size:           2
        .value_kind:     hidden_remainder_y
      - .offset:         70
        .size:           2
        .value_kind:     hidden_remainder_z
      - .offset:         88
        .size:           8
        .value_kind:     hidden_global_offset_x
      - .offset:         96
        .size:           8
        .value_kind:     hidden_global_offset_y
      - .offset:         104
        .size:           8
        .value_kind:     hidden_global_offset_z
      - .offset:         112
        .size:           2
        .value_kind:     hidden_grid_dims
    .group_segment_fixed_size: 0
    .kernarg_segment_align: 8
    .kernarg_segment_size: 304
    .language:       OpenCL C
    .language_version:
      - 2
      - 0
    .max_flat_workgroup_size: 256
    .name:           _ZN7rocprim17ROCPRIM_400000_NS6detail30init_device_scan_by_key_kernelINS1_19lookback_scan_stateINS0_5tupleIJybEEELb0ELb0EEENS1_16block_id_wrapperIjLb1EEEEEvT_jjPNS9_10value_typeET0_
    .private_segment_fixed_size: 0
    .sgpr_count:     19
    .sgpr_spill_count: 0
    .symbol:         _ZN7rocprim17ROCPRIM_400000_NS6detail30init_device_scan_by_key_kernelINS1_19lookback_scan_stateINS0_5tupleIJybEEELb0ELb0EEENS1_16block_id_wrapperIjLb1EEEEEvT_jjPNS9_10value_typeET0_.kd
    .uniform_work_group_size: 1
    .uses_dynamic_stack: false
    .vgpr_count:     5
    .vgpr_spill_count: 0
    .wavefront_size: 32
  - .args:
      - .offset:         0
        .size:           136
        .value_kind:     by_value
    .group_segment_fixed_size: 10240
    .kernarg_segment_align: 8
    .kernarg_segment_size: 136
    .language:       OpenCL C
    .language_version:
      - 2
      - 0
    .max_flat_workgroup_size: 128
    .name:           _ZN7rocprim17ROCPRIM_400000_NS6detail17trampoline_kernelINS0_14default_configENS1_27scan_by_key_config_selectorIiyEEZZNS1_16scan_by_key_implILNS1_25lookback_scan_determinismE0ELb0ES3_N6thrust23THRUST_200600_302600_NS6detail15normal_iteratorINS9_10device_ptrIiEEEENSB_INSC_IyEEEESG_yNS9_4plusIvEENS9_8equal_toIvEEyEE10hipError_tPvRmT2_T3_T4_T5_mT6_T7_P12ihipStream_tbENKUlT_T0_E_clISt17integral_constantIbLb0EES10_IbLb1EEEEDaSW_SX_EUlSW_E_NS1_11comp_targetILNS1_3genE0ELNS1_11target_archE4294967295ELNS1_3gpuE0ELNS1_3repE0EEENS1_30default_config_static_selectorELNS0_4arch9wavefront6targetE0EEEvT1_
    .private_segment_fixed_size: 0
    .sgpr_count:     48
    .sgpr_spill_count: 0
    .symbol:         _ZN7rocprim17ROCPRIM_400000_NS6detail17trampoline_kernelINS0_14default_configENS1_27scan_by_key_config_selectorIiyEEZZNS1_16scan_by_key_implILNS1_25lookback_scan_determinismE0ELb0ES3_N6thrust23THRUST_200600_302600_NS6detail15normal_iteratorINS9_10device_ptrIiEEEENSB_INSC_IyEEEESG_yNS9_4plusIvEENS9_8equal_toIvEEyEE10hipError_tPvRmT2_T3_T4_T5_mT6_T7_P12ihipStream_tbENKUlT_T0_E_clISt17integral_constantIbLb0EES10_IbLb1EEEEDaSW_SX_EUlSW_E_NS1_11comp_targetILNS1_3genE0ELNS1_11target_archE4294967295ELNS1_3gpuE0ELNS1_3repE0EEENS1_30default_config_static_selectorELNS0_4arch9wavefront6targetE0EEEvT1_.kd
    .uniform_work_group_size: 1
    .uses_dynamic_stack: false
    .vgpr_count:     73
    .vgpr_spill_count: 0
    .wavefront_size: 32
  - .args:
      - .offset:         0
        .size:           136
        .value_kind:     by_value
    .group_segment_fixed_size: 0
    .kernarg_segment_align: 8
    .kernarg_segment_size: 136
    .language:       OpenCL C
    .language_version:
      - 2
      - 0
    .max_flat_workgroup_size: 256
    .name:           _ZN7rocprim17ROCPRIM_400000_NS6detail17trampoline_kernelINS0_14default_configENS1_27scan_by_key_config_selectorIiyEEZZNS1_16scan_by_key_implILNS1_25lookback_scan_determinismE0ELb0ES3_N6thrust23THRUST_200600_302600_NS6detail15normal_iteratorINS9_10device_ptrIiEEEENSB_INSC_IyEEEESG_yNS9_4plusIvEENS9_8equal_toIvEEyEE10hipError_tPvRmT2_T3_T4_T5_mT6_T7_P12ihipStream_tbENKUlT_T0_E_clISt17integral_constantIbLb0EES10_IbLb1EEEEDaSW_SX_EUlSW_E_NS1_11comp_targetILNS1_3genE10ELNS1_11target_archE1201ELNS1_3gpuE5ELNS1_3repE0EEENS1_30default_config_static_selectorELNS0_4arch9wavefront6targetE0EEEvT1_
    .private_segment_fixed_size: 0
    .sgpr_count:     0
    .sgpr_spill_count: 0
    .symbol:         _ZN7rocprim17ROCPRIM_400000_NS6detail17trampoline_kernelINS0_14default_configENS1_27scan_by_key_config_selectorIiyEEZZNS1_16scan_by_key_implILNS1_25lookback_scan_determinismE0ELb0ES3_N6thrust23THRUST_200600_302600_NS6detail15normal_iteratorINS9_10device_ptrIiEEEENSB_INSC_IyEEEESG_yNS9_4plusIvEENS9_8equal_toIvEEyEE10hipError_tPvRmT2_T3_T4_T5_mT6_T7_P12ihipStream_tbENKUlT_T0_E_clISt17integral_constantIbLb0EES10_IbLb1EEEEDaSW_SX_EUlSW_E_NS1_11comp_targetILNS1_3genE10ELNS1_11target_archE1201ELNS1_3gpuE5ELNS1_3repE0EEENS1_30default_config_static_selectorELNS0_4arch9wavefront6targetE0EEEvT1_.kd
    .uniform_work_group_size: 1
    .uses_dynamic_stack: false
    .vgpr_count:     0
    .vgpr_spill_count: 0
    .wavefront_size: 32
  - .args:
      - .offset:         0
        .size:           136
        .value_kind:     by_value
    .group_segment_fixed_size: 0
    .kernarg_segment_align: 8
    .kernarg_segment_size: 136
    .language:       OpenCL C
    .language_version:
      - 2
      - 0
    .max_flat_workgroup_size: 256
    .name:           _ZN7rocprim17ROCPRIM_400000_NS6detail17trampoline_kernelINS0_14default_configENS1_27scan_by_key_config_selectorIiyEEZZNS1_16scan_by_key_implILNS1_25lookback_scan_determinismE0ELb0ES3_N6thrust23THRUST_200600_302600_NS6detail15normal_iteratorINS9_10device_ptrIiEEEENSB_INSC_IyEEEESG_yNS9_4plusIvEENS9_8equal_toIvEEyEE10hipError_tPvRmT2_T3_T4_T5_mT6_T7_P12ihipStream_tbENKUlT_T0_E_clISt17integral_constantIbLb0EES10_IbLb1EEEEDaSW_SX_EUlSW_E_NS1_11comp_targetILNS1_3genE5ELNS1_11target_archE942ELNS1_3gpuE9ELNS1_3repE0EEENS1_30default_config_static_selectorELNS0_4arch9wavefront6targetE0EEEvT1_
    .private_segment_fixed_size: 0
    .sgpr_count:     0
    .sgpr_spill_count: 0
    .symbol:         _ZN7rocprim17ROCPRIM_400000_NS6detail17trampoline_kernelINS0_14default_configENS1_27scan_by_key_config_selectorIiyEEZZNS1_16scan_by_key_implILNS1_25lookback_scan_determinismE0ELb0ES3_N6thrust23THRUST_200600_302600_NS6detail15normal_iteratorINS9_10device_ptrIiEEEENSB_INSC_IyEEEESG_yNS9_4plusIvEENS9_8equal_toIvEEyEE10hipError_tPvRmT2_T3_T4_T5_mT6_T7_P12ihipStream_tbENKUlT_T0_E_clISt17integral_constantIbLb0EES10_IbLb1EEEEDaSW_SX_EUlSW_E_NS1_11comp_targetILNS1_3genE5ELNS1_11target_archE942ELNS1_3gpuE9ELNS1_3repE0EEENS1_30default_config_static_selectorELNS0_4arch9wavefront6targetE0EEEvT1_.kd
    .uniform_work_group_size: 1
    .uses_dynamic_stack: false
    .vgpr_count:     0
    .vgpr_spill_count: 0
    .wavefront_size: 32
  - .args:
      - .offset:         0
        .size:           136
        .value_kind:     by_value
    .group_segment_fixed_size: 0
    .kernarg_segment_align: 8
    .kernarg_segment_size: 136
    .language:       OpenCL C
    .language_version:
      - 2
      - 0
    .max_flat_workgroup_size: 64
    .name:           _ZN7rocprim17ROCPRIM_400000_NS6detail17trampoline_kernelINS0_14default_configENS1_27scan_by_key_config_selectorIiyEEZZNS1_16scan_by_key_implILNS1_25lookback_scan_determinismE0ELb0ES3_N6thrust23THRUST_200600_302600_NS6detail15normal_iteratorINS9_10device_ptrIiEEEENSB_INSC_IyEEEESG_yNS9_4plusIvEENS9_8equal_toIvEEyEE10hipError_tPvRmT2_T3_T4_T5_mT6_T7_P12ihipStream_tbENKUlT_T0_E_clISt17integral_constantIbLb0EES10_IbLb1EEEEDaSW_SX_EUlSW_E_NS1_11comp_targetILNS1_3genE4ELNS1_11target_archE910ELNS1_3gpuE8ELNS1_3repE0EEENS1_30default_config_static_selectorELNS0_4arch9wavefront6targetE0EEEvT1_
    .private_segment_fixed_size: 0
    .sgpr_count:     0
    .sgpr_spill_count: 0
    .symbol:         _ZN7rocprim17ROCPRIM_400000_NS6detail17trampoline_kernelINS0_14default_configENS1_27scan_by_key_config_selectorIiyEEZZNS1_16scan_by_key_implILNS1_25lookback_scan_determinismE0ELb0ES3_N6thrust23THRUST_200600_302600_NS6detail15normal_iteratorINS9_10device_ptrIiEEEENSB_INSC_IyEEEESG_yNS9_4plusIvEENS9_8equal_toIvEEyEE10hipError_tPvRmT2_T3_T4_T5_mT6_T7_P12ihipStream_tbENKUlT_T0_E_clISt17integral_constantIbLb0EES10_IbLb1EEEEDaSW_SX_EUlSW_E_NS1_11comp_targetILNS1_3genE4ELNS1_11target_archE910ELNS1_3gpuE8ELNS1_3repE0EEENS1_30default_config_static_selectorELNS0_4arch9wavefront6targetE0EEEvT1_.kd
    .uniform_work_group_size: 1
    .uses_dynamic_stack: false
    .vgpr_count:     0
    .vgpr_spill_count: 0
    .wavefront_size: 32
  - .args:
      - .offset:         0
        .size:           136
        .value_kind:     by_value
    .group_segment_fixed_size: 0
    .kernarg_segment_align: 8
    .kernarg_segment_size: 136
    .language:       OpenCL C
    .language_version:
      - 2
      - 0
    .max_flat_workgroup_size: 128
    .name:           _ZN7rocprim17ROCPRIM_400000_NS6detail17trampoline_kernelINS0_14default_configENS1_27scan_by_key_config_selectorIiyEEZZNS1_16scan_by_key_implILNS1_25lookback_scan_determinismE0ELb0ES3_N6thrust23THRUST_200600_302600_NS6detail15normal_iteratorINS9_10device_ptrIiEEEENSB_INSC_IyEEEESG_yNS9_4plusIvEENS9_8equal_toIvEEyEE10hipError_tPvRmT2_T3_T4_T5_mT6_T7_P12ihipStream_tbENKUlT_T0_E_clISt17integral_constantIbLb0EES10_IbLb1EEEEDaSW_SX_EUlSW_E_NS1_11comp_targetILNS1_3genE3ELNS1_11target_archE908ELNS1_3gpuE7ELNS1_3repE0EEENS1_30default_config_static_selectorELNS0_4arch9wavefront6targetE0EEEvT1_
    .private_segment_fixed_size: 0
    .sgpr_count:     0
    .sgpr_spill_count: 0
    .symbol:         _ZN7rocprim17ROCPRIM_400000_NS6detail17trampoline_kernelINS0_14default_configENS1_27scan_by_key_config_selectorIiyEEZZNS1_16scan_by_key_implILNS1_25lookback_scan_determinismE0ELb0ES3_N6thrust23THRUST_200600_302600_NS6detail15normal_iteratorINS9_10device_ptrIiEEEENSB_INSC_IyEEEESG_yNS9_4plusIvEENS9_8equal_toIvEEyEE10hipError_tPvRmT2_T3_T4_T5_mT6_T7_P12ihipStream_tbENKUlT_T0_E_clISt17integral_constantIbLb0EES10_IbLb1EEEEDaSW_SX_EUlSW_E_NS1_11comp_targetILNS1_3genE3ELNS1_11target_archE908ELNS1_3gpuE7ELNS1_3repE0EEENS1_30default_config_static_selectorELNS0_4arch9wavefront6targetE0EEEvT1_.kd
    .uniform_work_group_size: 1
    .uses_dynamic_stack: false
    .vgpr_count:     0
    .vgpr_spill_count: 0
    .wavefront_size: 32
  - .args:
      - .offset:         0
        .size:           136
        .value_kind:     by_value
    .group_segment_fixed_size: 0
    .kernarg_segment_align: 8
    .kernarg_segment_size: 136
    .language:       OpenCL C
    .language_version:
      - 2
      - 0
    .max_flat_workgroup_size: 64
    .name:           _ZN7rocprim17ROCPRIM_400000_NS6detail17trampoline_kernelINS0_14default_configENS1_27scan_by_key_config_selectorIiyEEZZNS1_16scan_by_key_implILNS1_25lookback_scan_determinismE0ELb0ES3_N6thrust23THRUST_200600_302600_NS6detail15normal_iteratorINS9_10device_ptrIiEEEENSB_INSC_IyEEEESG_yNS9_4plusIvEENS9_8equal_toIvEEyEE10hipError_tPvRmT2_T3_T4_T5_mT6_T7_P12ihipStream_tbENKUlT_T0_E_clISt17integral_constantIbLb0EES10_IbLb1EEEEDaSW_SX_EUlSW_E_NS1_11comp_targetILNS1_3genE2ELNS1_11target_archE906ELNS1_3gpuE6ELNS1_3repE0EEENS1_30default_config_static_selectorELNS0_4arch9wavefront6targetE0EEEvT1_
    .private_segment_fixed_size: 0
    .sgpr_count:     0
    .sgpr_spill_count: 0
    .symbol:         _ZN7rocprim17ROCPRIM_400000_NS6detail17trampoline_kernelINS0_14default_configENS1_27scan_by_key_config_selectorIiyEEZZNS1_16scan_by_key_implILNS1_25lookback_scan_determinismE0ELb0ES3_N6thrust23THRUST_200600_302600_NS6detail15normal_iteratorINS9_10device_ptrIiEEEENSB_INSC_IyEEEESG_yNS9_4plusIvEENS9_8equal_toIvEEyEE10hipError_tPvRmT2_T3_T4_T5_mT6_T7_P12ihipStream_tbENKUlT_T0_E_clISt17integral_constantIbLb0EES10_IbLb1EEEEDaSW_SX_EUlSW_E_NS1_11comp_targetILNS1_3genE2ELNS1_11target_archE906ELNS1_3gpuE6ELNS1_3repE0EEENS1_30default_config_static_selectorELNS0_4arch9wavefront6targetE0EEEvT1_.kd
    .uniform_work_group_size: 1
    .uses_dynamic_stack: false
    .vgpr_count:     0
    .vgpr_spill_count: 0
    .wavefront_size: 32
  - .args:
      - .offset:         0
        .size:           136
        .value_kind:     by_value
    .group_segment_fixed_size: 0
    .kernarg_segment_align: 8
    .kernarg_segment_size: 136
    .language:       OpenCL C
    .language_version:
      - 2
      - 0
    .max_flat_workgroup_size: 256
    .name:           _ZN7rocprim17ROCPRIM_400000_NS6detail17trampoline_kernelINS0_14default_configENS1_27scan_by_key_config_selectorIiyEEZZNS1_16scan_by_key_implILNS1_25lookback_scan_determinismE0ELb0ES3_N6thrust23THRUST_200600_302600_NS6detail15normal_iteratorINS9_10device_ptrIiEEEENSB_INSC_IyEEEESG_yNS9_4plusIvEENS9_8equal_toIvEEyEE10hipError_tPvRmT2_T3_T4_T5_mT6_T7_P12ihipStream_tbENKUlT_T0_E_clISt17integral_constantIbLb0EES10_IbLb1EEEEDaSW_SX_EUlSW_E_NS1_11comp_targetILNS1_3genE10ELNS1_11target_archE1200ELNS1_3gpuE4ELNS1_3repE0EEENS1_30default_config_static_selectorELNS0_4arch9wavefront6targetE0EEEvT1_
    .private_segment_fixed_size: 0
    .sgpr_count:     0
    .sgpr_spill_count: 0
    .symbol:         _ZN7rocprim17ROCPRIM_400000_NS6detail17trampoline_kernelINS0_14default_configENS1_27scan_by_key_config_selectorIiyEEZZNS1_16scan_by_key_implILNS1_25lookback_scan_determinismE0ELb0ES3_N6thrust23THRUST_200600_302600_NS6detail15normal_iteratorINS9_10device_ptrIiEEEENSB_INSC_IyEEEESG_yNS9_4plusIvEENS9_8equal_toIvEEyEE10hipError_tPvRmT2_T3_T4_T5_mT6_T7_P12ihipStream_tbENKUlT_T0_E_clISt17integral_constantIbLb0EES10_IbLb1EEEEDaSW_SX_EUlSW_E_NS1_11comp_targetILNS1_3genE10ELNS1_11target_archE1200ELNS1_3gpuE4ELNS1_3repE0EEENS1_30default_config_static_selectorELNS0_4arch9wavefront6targetE0EEEvT1_.kd
    .uniform_work_group_size: 1
    .uses_dynamic_stack: false
    .vgpr_count:     0
    .vgpr_spill_count: 0
    .wavefront_size: 32
  - .args:
      - .offset:         0
        .size:           136
        .value_kind:     by_value
    .group_segment_fixed_size: 0
    .kernarg_segment_align: 8
    .kernarg_segment_size: 136
    .language:       OpenCL C
    .language_version:
      - 2
      - 0
    .max_flat_workgroup_size: 256
    .name:           _ZN7rocprim17ROCPRIM_400000_NS6detail17trampoline_kernelINS0_14default_configENS1_27scan_by_key_config_selectorIiyEEZZNS1_16scan_by_key_implILNS1_25lookback_scan_determinismE0ELb0ES3_N6thrust23THRUST_200600_302600_NS6detail15normal_iteratorINS9_10device_ptrIiEEEENSB_INSC_IyEEEESG_yNS9_4plusIvEENS9_8equal_toIvEEyEE10hipError_tPvRmT2_T3_T4_T5_mT6_T7_P12ihipStream_tbENKUlT_T0_E_clISt17integral_constantIbLb0EES10_IbLb1EEEEDaSW_SX_EUlSW_E_NS1_11comp_targetILNS1_3genE9ELNS1_11target_archE1100ELNS1_3gpuE3ELNS1_3repE0EEENS1_30default_config_static_selectorELNS0_4arch9wavefront6targetE0EEEvT1_
    .private_segment_fixed_size: 0
    .sgpr_count:     0
    .sgpr_spill_count: 0
    .symbol:         _ZN7rocprim17ROCPRIM_400000_NS6detail17trampoline_kernelINS0_14default_configENS1_27scan_by_key_config_selectorIiyEEZZNS1_16scan_by_key_implILNS1_25lookback_scan_determinismE0ELb0ES3_N6thrust23THRUST_200600_302600_NS6detail15normal_iteratorINS9_10device_ptrIiEEEENSB_INSC_IyEEEESG_yNS9_4plusIvEENS9_8equal_toIvEEyEE10hipError_tPvRmT2_T3_T4_T5_mT6_T7_P12ihipStream_tbENKUlT_T0_E_clISt17integral_constantIbLb0EES10_IbLb1EEEEDaSW_SX_EUlSW_E_NS1_11comp_targetILNS1_3genE9ELNS1_11target_archE1100ELNS1_3gpuE3ELNS1_3repE0EEENS1_30default_config_static_selectorELNS0_4arch9wavefront6targetE0EEEvT1_.kd
    .uniform_work_group_size: 1
    .uses_dynamic_stack: false
    .vgpr_count:     0
    .vgpr_spill_count: 0
    .wavefront_size: 32
  - .args:
      - .offset:         0
        .size:           136
        .value_kind:     by_value
    .group_segment_fixed_size: 0
    .kernarg_segment_align: 8
    .kernarg_segment_size: 136
    .language:       OpenCL C
    .language_version:
      - 2
      - 0
    .max_flat_workgroup_size: 256
    .name:           _ZN7rocprim17ROCPRIM_400000_NS6detail17trampoline_kernelINS0_14default_configENS1_27scan_by_key_config_selectorIiyEEZZNS1_16scan_by_key_implILNS1_25lookback_scan_determinismE0ELb0ES3_N6thrust23THRUST_200600_302600_NS6detail15normal_iteratorINS9_10device_ptrIiEEEENSB_INSC_IyEEEESG_yNS9_4plusIvEENS9_8equal_toIvEEyEE10hipError_tPvRmT2_T3_T4_T5_mT6_T7_P12ihipStream_tbENKUlT_T0_E_clISt17integral_constantIbLb0EES10_IbLb1EEEEDaSW_SX_EUlSW_E_NS1_11comp_targetILNS1_3genE8ELNS1_11target_archE1030ELNS1_3gpuE2ELNS1_3repE0EEENS1_30default_config_static_selectorELNS0_4arch9wavefront6targetE0EEEvT1_
    .private_segment_fixed_size: 0
    .sgpr_count:     0
    .sgpr_spill_count: 0
    .symbol:         _ZN7rocprim17ROCPRIM_400000_NS6detail17trampoline_kernelINS0_14default_configENS1_27scan_by_key_config_selectorIiyEEZZNS1_16scan_by_key_implILNS1_25lookback_scan_determinismE0ELb0ES3_N6thrust23THRUST_200600_302600_NS6detail15normal_iteratorINS9_10device_ptrIiEEEENSB_INSC_IyEEEESG_yNS9_4plusIvEENS9_8equal_toIvEEyEE10hipError_tPvRmT2_T3_T4_T5_mT6_T7_P12ihipStream_tbENKUlT_T0_E_clISt17integral_constantIbLb0EES10_IbLb1EEEEDaSW_SX_EUlSW_E_NS1_11comp_targetILNS1_3genE8ELNS1_11target_archE1030ELNS1_3gpuE2ELNS1_3repE0EEENS1_30default_config_static_selectorELNS0_4arch9wavefront6targetE0EEEvT1_.kd
    .uniform_work_group_size: 1
    .uses_dynamic_stack: false
    .vgpr_count:     0
    .vgpr_spill_count: 0
    .wavefront_size: 32
  - .args:
      - .offset:         0
        .size:           16
        .value_kind:     by_value
      - .offset:         16
        .size:           8
        .value_kind:     by_value
      - .offset:         24
        .size:           8
        .value_kind:     by_value
    .group_segment_fixed_size: 0
    .kernarg_segment_align: 8
    .kernarg_segment_size: 32
    .language:       OpenCL C
    .language_version:
      - 2
      - 0
    .max_flat_workgroup_size: 256
    .name:           _ZN6thrust23THRUST_200600_302600_NS11hip_rocprim14__parallel_for6kernelILj256ENS1_20__uninitialized_fill7functorINS0_10device_ptrIjEEjEEmLj1EEEvT0_T1_SA_
    .private_segment_fixed_size: 0
    .sgpr_count:     14
    .sgpr_spill_count: 0
    .symbol:         _ZN6thrust23THRUST_200600_302600_NS11hip_rocprim14__parallel_for6kernelILj256ENS1_20__uninitialized_fill7functorINS0_10device_ptrIjEEjEEmLj1EEEvT0_T1_SA_.kd
    .uniform_work_group_size: 1
    .uses_dynamic_stack: false
    .vgpr_count:     2
    .vgpr_spill_count: 0
    .wavefront_size: 32
  - .args:
      - .address_space:  global
        .offset:         0
        .size:           8
        .value_kind:     global_buffer
      - .offset:         8
        .size:           4
        .value_kind:     by_value
      - .offset:         12
        .size:           4
        .value_kind:     by_value
      - .address_space:  global
        .offset:         16
        .size:           8
        .value_kind:     global_buffer
      - .address_space:  global
        .offset:         24
        .size:           8
        .value_kind:     global_buffer
      - .actual_access:  write_only
        .address_space:  global
        .offset:         32
        .size:           8
        .value_kind:     global_buffer
      - .offset:         40
        .size:           8
        .value_kind:     by_value
      - .offset:         48
        .size:           4
        .value_kind:     by_value
      - .offset:         52
        .size:           1
        .value_kind:     by_value
      - .offset:         56
        .size:           4
        .value_kind:     hidden_block_count_x
      - .offset:         60
        .size:           4
        .value_kind:     hidden_block_count_y
      - .offset:         64
        .size:           4
        .value_kind:     hidden_block_count_z
      - .offset:         68
        .size:           2
        .value_kind:     hidden_group_size_x
      - .offset:         70
        .size:           2
        .value_kind:     hidden_group_size_y
      - .offset:         72
        .size:           2
        .value_kind:     hidden_group_size_z
      - .offset:         74
        .size:           2
        .value_kind:     hidden_remainder_x
      - .offset:         76
        .size:           2
        .value_kind:     hidden_remainder_y
      - .offset:         78
        .size:           2
        .value_kind:     hidden_remainder_z
      - .offset:         96
        .size:           8
        .value_kind:     hidden_global_offset_x
      - .offset:         104
        .size:           8
        .value_kind:     hidden_global_offset_y
      - .offset:         112
        .size:           8
        .value_kind:     hidden_global_offset_z
      - .offset:         120
        .size:           2
        .value_kind:     hidden_grid_dims
    .group_segment_fixed_size: 0
    .kernarg_segment_align: 8
    .kernarg_segment_size: 312
    .language:       OpenCL C
    .language_version:
      - 2
      - 0
    .max_flat_workgroup_size: 256
    .name:           _ZN7rocprim17ROCPRIM_400000_NS6detail30init_device_scan_by_key_kernelINS1_19lookback_scan_stateINS0_5tupleIJjbEEELb0ELb1EEEN6thrust23THRUST_200600_302600_NS6detail15normal_iteratorINS8_10device_ptrIiEEEEjNS1_16block_id_wrapperIjLb0EEEEEvT_jjPNSG_10value_typeET0_PNSt15iterator_traitsISJ_E10value_typeEmT1_T2_
    .private_segment_fixed_size: 0
    .sgpr_count:     19
    .sgpr_spill_count: 0
    .symbol:         _ZN7rocprim17ROCPRIM_400000_NS6detail30init_device_scan_by_key_kernelINS1_19lookback_scan_stateINS0_5tupleIJjbEEELb0ELb1EEEN6thrust23THRUST_200600_302600_NS6detail15normal_iteratorINS8_10device_ptrIiEEEEjNS1_16block_id_wrapperIjLb0EEEEEvT_jjPNSG_10value_typeET0_PNSt15iterator_traitsISJ_E10value_typeEmT1_T2_.kd
    .uniform_work_group_size: 1
    .uses_dynamic_stack: false
    .vgpr_count:     10
    .vgpr_spill_count: 0
    .wavefront_size: 32
  - .args:
      - .address_space:  global
        .offset:         0
        .size:           8
        .value_kind:     global_buffer
      - .offset:         8
        .size:           4
        .value_kind:     by_value
      - .offset:         12
        .size:           4
        .value_kind:     by_value
      - .address_space:  global
        .offset:         16
        .size:           8
        .value_kind:     global_buffer
      - .offset:         24
        .size:           1
        .value_kind:     by_value
      - .offset:         32
        .size:           4
        .value_kind:     hidden_block_count_x
      - .offset:         36
        .size:           4
        .value_kind:     hidden_block_count_y
      - .offset:         40
        .size:           4
        .value_kind:     hidden_block_count_z
      - .offset:         44
        .size:           2
        .value_kind:     hidden_group_size_x
      - .offset:         46
        .size:           2
        .value_kind:     hidden_group_size_y
      - .offset:         48
        .size:           2
        .value_kind:     hidden_group_size_z
      - .offset:         50
        .size:           2
        .value_kind:     hidden_remainder_x
      - .offset:         52
        .size:           2
        .value_kind:     hidden_remainder_y
      - .offset:         54
        .size:           2
        .value_kind:     hidden_remainder_z
      - .offset:         72
        .size:           8
        .value_kind:     hidden_global_offset_x
      - .offset:         80
        .size:           8
        .value_kind:     hidden_global_offset_y
      - .offset:         88
        .size:           8
        .value_kind:     hidden_global_offset_z
      - .offset:         96
        .size:           2
        .value_kind:     hidden_grid_dims
    .group_segment_fixed_size: 0
    .kernarg_segment_align: 8
    .kernarg_segment_size: 288
    .language:       OpenCL C
    .language_version:
      - 2
      - 0
    .max_flat_workgroup_size: 256
    .name:           _ZN7rocprim17ROCPRIM_400000_NS6detail30init_device_scan_by_key_kernelINS1_19lookback_scan_stateINS0_5tupleIJjbEEELb0ELb1EEENS1_16block_id_wrapperIjLb0EEEEEvT_jjPNS9_10value_typeET0_
    .private_segment_fixed_size: 0
    .sgpr_count:     13
    .sgpr_spill_count: 0
    .symbol:         _ZN7rocprim17ROCPRIM_400000_NS6detail30init_device_scan_by_key_kernelINS1_19lookback_scan_stateINS0_5tupleIJjbEEELb0ELb1EEENS1_16block_id_wrapperIjLb0EEEEEvT_jjPNS9_10value_typeET0_.kd
    .uniform_work_group_size: 1
    .uses_dynamic_stack: false
    .vgpr_count:     9
    .vgpr_spill_count: 0
    .wavefront_size: 32
  - .args:
      - .offset:         0
        .size:           112
        .value_kind:     by_value
    .group_segment_fixed_size: 14336
    .kernarg_segment_align: 8
    .kernarg_segment_size: 112
    .language:       OpenCL C
    .language_version:
      - 2
      - 0
    .max_flat_workgroup_size: 256
    .name:           _ZN7rocprim17ROCPRIM_400000_NS6detail17trampoline_kernelINS0_14default_configENS1_27scan_by_key_config_selectorIijEEZZNS1_16scan_by_key_implILNS1_25lookback_scan_determinismE0ELb0ES3_N6thrust23THRUST_200600_302600_NS6detail15normal_iteratorINS9_10device_ptrIiEEEENSB_INSC_IjEEEESG_jNS9_4plusIvEENS9_8equal_toIvEEjEE10hipError_tPvRmT2_T3_T4_T5_mT6_T7_P12ihipStream_tbENKUlT_T0_E_clISt17integral_constantIbLb0EES11_EEDaSW_SX_EUlSW_E_NS1_11comp_targetILNS1_3genE0ELNS1_11target_archE4294967295ELNS1_3gpuE0ELNS1_3repE0EEENS1_30default_config_static_selectorELNS0_4arch9wavefront6targetE0EEEvT1_
    .private_segment_fixed_size: 0
    .sgpr_count:     44
    .sgpr_spill_count: 0
    .symbol:         _ZN7rocprim17ROCPRIM_400000_NS6detail17trampoline_kernelINS0_14default_configENS1_27scan_by_key_config_selectorIijEEZZNS1_16scan_by_key_implILNS1_25lookback_scan_determinismE0ELb0ES3_N6thrust23THRUST_200600_302600_NS6detail15normal_iteratorINS9_10device_ptrIiEEEENSB_INSC_IjEEEESG_jNS9_4plusIvEENS9_8equal_toIvEEjEE10hipError_tPvRmT2_T3_T4_T5_mT6_T7_P12ihipStream_tbENKUlT_T0_E_clISt17integral_constantIbLb0EES11_EEDaSW_SX_EUlSW_E_NS1_11comp_targetILNS1_3genE0ELNS1_11target_archE4294967295ELNS1_3gpuE0ELNS1_3repE0EEENS1_30default_config_static_selectorELNS0_4arch9wavefront6targetE0EEEvT1_.kd
    .uniform_work_group_size: 1
    .uses_dynamic_stack: false
    .vgpr_count:     60
    .vgpr_spill_count: 0
    .wavefront_size: 32
  - .args:
      - .offset:         0
        .size:           112
        .value_kind:     by_value
    .group_segment_fixed_size: 0
    .kernarg_segment_align: 8
    .kernarg_segment_size: 112
    .language:       OpenCL C
    .language_version:
      - 2
      - 0
    .max_flat_workgroup_size: 256
    .name:           _ZN7rocprim17ROCPRIM_400000_NS6detail17trampoline_kernelINS0_14default_configENS1_27scan_by_key_config_selectorIijEEZZNS1_16scan_by_key_implILNS1_25lookback_scan_determinismE0ELb0ES3_N6thrust23THRUST_200600_302600_NS6detail15normal_iteratorINS9_10device_ptrIiEEEENSB_INSC_IjEEEESG_jNS9_4plusIvEENS9_8equal_toIvEEjEE10hipError_tPvRmT2_T3_T4_T5_mT6_T7_P12ihipStream_tbENKUlT_T0_E_clISt17integral_constantIbLb0EES11_EEDaSW_SX_EUlSW_E_NS1_11comp_targetILNS1_3genE10ELNS1_11target_archE1201ELNS1_3gpuE5ELNS1_3repE0EEENS1_30default_config_static_selectorELNS0_4arch9wavefront6targetE0EEEvT1_
    .private_segment_fixed_size: 0
    .sgpr_count:     0
    .sgpr_spill_count: 0
    .symbol:         _ZN7rocprim17ROCPRIM_400000_NS6detail17trampoline_kernelINS0_14default_configENS1_27scan_by_key_config_selectorIijEEZZNS1_16scan_by_key_implILNS1_25lookback_scan_determinismE0ELb0ES3_N6thrust23THRUST_200600_302600_NS6detail15normal_iteratorINS9_10device_ptrIiEEEENSB_INSC_IjEEEESG_jNS9_4plusIvEENS9_8equal_toIvEEjEE10hipError_tPvRmT2_T3_T4_T5_mT6_T7_P12ihipStream_tbENKUlT_T0_E_clISt17integral_constantIbLb0EES11_EEDaSW_SX_EUlSW_E_NS1_11comp_targetILNS1_3genE10ELNS1_11target_archE1201ELNS1_3gpuE5ELNS1_3repE0EEENS1_30default_config_static_selectorELNS0_4arch9wavefront6targetE0EEEvT1_.kd
    .uniform_work_group_size: 1
    .uses_dynamic_stack: false
    .vgpr_count:     0
    .vgpr_spill_count: 0
    .wavefront_size: 32
  - .args:
      - .offset:         0
        .size:           112
        .value_kind:     by_value
    .group_segment_fixed_size: 0
    .kernarg_segment_align: 8
    .kernarg_segment_size: 112
    .language:       OpenCL C
    .language_version:
      - 2
      - 0
    .max_flat_workgroup_size: 256
    .name:           _ZN7rocprim17ROCPRIM_400000_NS6detail17trampoline_kernelINS0_14default_configENS1_27scan_by_key_config_selectorIijEEZZNS1_16scan_by_key_implILNS1_25lookback_scan_determinismE0ELb0ES3_N6thrust23THRUST_200600_302600_NS6detail15normal_iteratorINS9_10device_ptrIiEEEENSB_INSC_IjEEEESG_jNS9_4plusIvEENS9_8equal_toIvEEjEE10hipError_tPvRmT2_T3_T4_T5_mT6_T7_P12ihipStream_tbENKUlT_T0_E_clISt17integral_constantIbLb0EES11_EEDaSW_SX_EUlSW_E_NS1_11comp_targetILNS1_3genE5ELNS1_11target_archE942ELNS1_3gpuE9ELNS1_3repE0EEENS1_30default_config_static_selectorELNS0_4arch9wavefront6targetE0EEEvT1_
    .private_segment_fixed_size: 0
    .sgpr_count:     0
    .sgpr_spill_count: 0
    .symbol:         _ZN7rocprim17ROCPRIM_400000_NS6detail17trampoline_kernelINS0_14default_configENS1_27scan_by_key_config_selectorIijEEZZNS1_16scan_by_key_implILNS1_25lookback_scan_determinismE0ELb0ES3_N6thrust23THRUST_200600_302600_NS6detail15normal_iteratorINS9_10device_ptrIiEEEENSB_INSC_IjEEEESG_jNS9_4plusIvEENS9_8equal_toIvEEjEE10hipError_tPvRmT2_T3_T4_T5_mT6_T7_P12ihipStream_tbENKUlT_T0_E_clISt17integral_constantIbLb0EES11_EEDaSW_SX_EUlSW_E_NS1_11comp_targetILNS1_3genE5ELNS1_11target_archE942ELNS1_3gpuE9ELNS1_3repE0EEENS1_30default_config_static_selectorELNS0_4arch9wavefront6targetE0EEEvT1_.kd
    .uniform_work_group_size: 1
    .uses_dynamic_stack: false
    .vgpr_count:     0
    .vgpr_spill_count: 0
    .wavefront_size: 32
  - .args:
      - .offset:         0
        .size:           112
        .value_kind:     by_value
    .group_segment_fixed_size: 0
    .kernarg_segment_align: 8
    .kernarg_segment_size: 112
    .language:       OpenCL C
    .language_version:
      - 2
      - 0
    .max_flat_workgroup_size: 256
    .name:           _ZN7rocprim17ROCPRIM_400000_NS6detail17trampoline_kernelINS0_14default_configENS1_27scan_by_key_config_selectorIijEEZZNS1_16scan_by_key_implILNS1_25lookback_scan_determinismE0ELb0ES3_N6thrust23THRUST_200600_302600_NS6detail15normal_iteratorINS9_10device_ptrIiEEEENSB_INSC_IjEEEESG_jNS9_4plusIvEENS9_8equal_toIvEEjEE10hipError_tPvRmT2_T3_T4_T5_mT6_T7_P12ihipStream_tbENKUlT_T0_E_clISt17integral_constantIbLb0EES11_EEDaSW_SX_EUlSW_E_NS1_11comp_targetILNS1_3genE4ELNS1_11target_archE910ELNS1_3gpuE8ELNS1_3repE0EEENS1_30default_config_static_selectorELNS0_4arch9wavefront6targetE0EEEvT1_
    .private_segment_fixed_size: 0
    .sgpr_count:     0
    .sgpr_spill_count: 0
    .symbol:         _ZN7rocprim17ROCPRIM_400000_NS6detail17trampoline_kernelINS0_14default_configENS1_27scan_by_key_config_selectorIijEEZZNS1_16scan_by_key_implILNS1_25lookback_scan_determinismE0ELb0ES3_N6thrust23THRUST_200600_302600_NS6detail15normal_iteratorINS9_10device_ptrIiEEEENSB_INSC_IjEEEESG_jNS9_4plusIvEENS9_8equal_toIvEEjEE10hipError_tPvRmT2_T3_T4_T5_mT6_T7_P12ihipStream_tbENKUlT_T0_E_clISt17integral_constantIbLb0EES11_EEDaSW_SX_EUlSW_E_NS1_11comp_targetILNS1_3genE4ELNS1_11target_archE910ELNS1_3gpuE8ELNS1_3repE0EEENS1_30default_config_static_selectorELNS0_4arch9wavefront6targetE0EEEvT1_.kd
    .uniform_work_group_size: 1
    .uses_dynamic_stack: false
    .vgpr_count:     0
    .vgpr_spill_count: 0
    .wavefront_size: 32
  - .args:
      - .offset:         0
        .size:           112
        .value_kind:     by_value
    .group_segment_fixed_size: 0
    .kernarg_segment_align: 8
    .kernarg_segment_size: 112
    .language:       OpenCL C
    .language_version:
      - 2
      - 0
    .max_flat_workgroup_size: 256
    .name:           _ZN7rocprim17ROCPRIM_400000_NS6detail17trampoline_kernelINS0_14default_configENS1_27scan_by_key_config_selectorIijEEZZNS1_16scan_by_key_implILNS1_25lookback_scan_determinismE0ELb0ES3_N6thrust23THRUST_200600_302600_NS6detail15normal_iteratorINS9_10device_ptrIiEEEENSB_INSC_IjEEEESG_jNS9_4plusIvEENS9_8equal_toIvEEjEE10hipError_tPvRmT2_T3_T4_T5_mT6_T7_P12ihipStream_tbENKUlT_T0_E_clISt17integral_constantIbLb0EES11_EEDaSW_SX_EUlSW_E_NS1_11comp_targetILNS1_3genE3ELNS1_11target_archE908ELNS1_3gpuE7ELNS1_3repE0EEENS1_30default_config_static_selectorELNS0_4arch9wavefront6targetE0EEEvT1_
    .private_segment_fixed_size: 0
    .sgpr_count:     0
    .sgpr_spill_count: 0
    .symbol:         _ZN7rocprim17ROCPRIM_400000_NS6detail17trampoline_kernelINS0_14default_configENS1_27scan_by_key_config_selectorIijEEZZNS1_16scan_by_key_implILNS1_25lookback_scan_determinismE0ELb0ES3_N6thrust23THRUST_200600_302600_NS6detail15normal_iteratorINS9_10device_ptrIiEEEENSB_INSC_IjEEEESG_jNS9_4plusIvEENS9_8equal_toIvEEjEE10hipError_tPvRmT2_T3_T4_T5_mT6_T7_P12ihipStream_tbENKUlT_T0_E_clISt17integral_constantIbLb0EES11_EEDaSW_SX_EUlSW_E_NS1_11comp_targetILNS1_3genE3ELNS1_11target_archE908ELNS1_3gpuE7ELNS1_3repE0EEENS1_30default_config_static_selectorELNS0_4arch9wavefront6targetE0EEEvT1_.kd
    .uniform_work_group_size: 1
    .uses_dynamic_stack: false
    .vgpr_count:     0
    .vgpr_spill_count: 0
    .wavefront_size: 32
  - .args:
      - .offset:         0
        .size:           112
        .value_kind:     by_value
    .group_segment_fixed_size: 0
    .kernarg_segment_align: 8
    .kernarg_segment_size: 112
    .language:       OpenCL C
    .language_version:
      - 2
      - 0
    .max_flat_workgroup_size: 256
    .name:           _ZN7rocprim17ROCPRIM_400000_NS6detail17trampoline_kernelINS0_14default_configENS1_27scan_by_key_config_selectorIijEEZZNS1_16scan_by_key_implILNS1_25lookback_scan_determinismE0ELb0ES3_N6thrust23THRUST_200600_302600_NS6detail15normal_iteratorINS9_10device_ptrIiEEEENSB_INSC_IjEEEESG_jNS9_4plusIvEENS9_8equal_toIvEEjEE10hipError_tPvRmT2_T3_T4_T5_mT6_T7_P12ihipStream_tbENKUlT_T0_E_clISt17integral_constantIbLb0EES11_EEDaSW_SX_EUlSW_E_NS1_11comp_targetILNS1_3genE2ELNS1_11target_archE906ELNS1_3gpuE6ELNS1_3repE0EEENS1_30default_config_static_selectorELNS0_4arch9wavefront6targetE0EEEvT1_
    .private_segment_fixed_size: 0
    .sgpr_count:     0
    .sgpr_spill_count: 0
    .symbol:         _ZN7rocprim17ROCPRIM_400000_NS6detail17trampoline_kernelINS0_14default_configENS1_27scan_by_key_config_selectorIijEEZZNS1_16scan_by_key_implILNS1_25lookback_scan_determinismE0ELb0ES3_N6thrust23THRUST_200600_302600_NS6detail15normal_iteratorINS9_10device_ptrIiEEEENSB_INSC_IjEEEESG_jNS9_4plusIvEENS9_8equal_toIvEEjEE10hipError_tPvRmT2_T3_T4_T5_mT6_T7_P12ihipStream_tbENKUlT_T0_E_clISt17integral_constantIbLb0EES11_EEDaSW_SX_EUlSW_E_NS1_11comp_targetILNS1_3genE2ELNS1_11target_archE906ELNS1_3gpuE6ELNS1_3repE0EEENS1_30default_config_static_selectorELNS0_4arch9wavefront6targetE0EEEvT1_.kd
    .uniform_work_group_size: 1
    .uses_dynamic_stack: false
    .vgpr_count:     0
    .vgpr_spill_count: 0
    .wavefront_size: 32
  - .args:
      - .offset:         0
        .size:           112
        .value_kind:     by_value
    .group_segment_fixed_size: 0
    .kernarg_segment_align: 8
    .kernarg_segment_size: 112
    .language:       OpenCL C
    .language_version:
      - 2
      - 0
    .max_flat_workgroup_size: 256
    .name:           _ZN7rocprim17ROCPRIM_400000_NS6detail17trampoline_kernelINS0_14default_configENS1_27scan_by_key_config_selectorIijEEZZNS1_16scan_by_key_implILNS1_25lookback_scan_determinismE0ELb0ES3_N6thrust23THRUST_200600_302600_NS6detail15normal_iteratorINS9_10device_ptrIiEEEENSB_INSC_IjEEEESG_jNS9_4plusIvEENS9_8equal_toIvEEjEE10hipError_tPvRmT2_T3_T4_T5_mT6_T7_P12ihipStream_tbENKUlT_T0_E_clISt17integral_constantIbLb0EES11_EEDaSW_SX_EUlSW_E_NS1_11comp_targetILNS1_3genE10ELNS1_11target_archE1200ELNS1_3gpuE4ELNS1_3repE0EEENS1_30default_config_static_selectorELNS0_4arch9wavefront6targetE0EEEvT1_
    .private_segment_fixed_size: 0
    .sgpr_count:     0
    .sgpr_spill_count: 0
    .symbol:         _ZN7rocprim17ROCPRIM_400000_NS6detail17trampoline_kernelINS0_14default_configENS1_27scan_by_key_config_selectorIijEEZZNS1_16scan_by_key_implILNS1_25lookback_scan_determinismE0ELb0ES3_N6thrust23THRUST_200600_302600_NS6detail15normal_iteratorINS9_10device_ptrIiEEEENSB_INSC_IjEEEESG_jNS9_4plusIvEENS9_8equal_toIvEEjEE10hipError_tPvRmT2_T3_T4_T5_mT6_T7_P12ihipStream_tbENKUlT_T0_E_clISt17integral_constantIbLb0EES11_EEDaSW_SX_EUlSW_E_NS1_11comp_targetILNS1_3genE10ELNS1_11target_archE1200ELNS1_3gpuE4ELNS1_3repE0EEENS1_30default_config_static_selectorELNS0_4arch9wavefront6targetE0EEEvT1_.kd
    .uniform_work_group_size: 1
    .uses_dynamic_stack: false
    .vgpr_count:     0
    .vgpr_spill_count: 0
    .wavefront_size: 32
  - .args:
      - .offset:         0
        .size:           112
        .value_kind:     by_value
    .group_segment_fixed_size: 0
    .kernarg_segment_align: 8
    .kernarg_segment_size: 112
    .language:       OpenCL C
    .language_version:
      - 2
      - 0
    .max_flat_workgroup_size: 256
    .name:           _ZN7rocprim17ROCPRIM_400000_NS6detail17trampoline_kernelINS0_14default_configENS1_27scan_by_key_config_selectorIijEEZZNS1_16scan_by_key_implILNS1_25lookback_scan_determinismE0ELb0ES3_N6thrust23THRUST_200600_302600_NS6detail15normal_iteratorINS9_10device_ptrIiEEEENSB_INSC_IjEEEESG_jNS9_4plusIvEENS9_8equal_toIvEEjEE10hipError_tPvRmT2_T3_T4_T5_mT6_T7_P12ihipStream_tbENKUlT_T0_E_clISt17integral_constantIbLb0EES11_EEDaSW_SX_EUlSW_E_NS1_11comp_targetILNS1_3genE9ELNS1_11target_archE1100ELNS1_3gpuE3ELNS1_3repE0EEENS1_30default_config_static_selectorELNS0_4arch9wavefront6targetE0EEEvT1_
    .private_segment_fixed_size: 0
    .sgpr_count:     0
    .sgpr_spill_count: 0
    .symbol:         _ZN7rocprim17ROCPRIM_400000_NS6detail17trampoline_kernelINS0_14default_configENS1_27scan_by_key_config_selectorIijEEZZNS1_16scan_by_key_implILNS1_25lookback_scan_determinismE0ELb0ES3_N6thrust23THRUST_200600_302600_NS6detail15normal_iteratorINS9_10device_ptrIiEEEENSB_INSC_IjEEEESG_jNS9_4plusIvEENS9_8equal_toIvEEjEE10hipError_tPvRmT2_T3_T4_T5_mT6_T7_P12ihipStream_tbENKUlT_T0_E_clISt17integral_constantIbLb0EES11_EEDaSW_SX_EUlSW_E_NS1_11comp_targetILNS1_3genE9ELNS1_11target_archE1100ELNS1_3gpuE3ELNS1_3repE0EEENS1_30default_config_static_selectorELNS0_4arch9wavefront6targetE0EEEvT1_.kd
    .uniform_work_group_size: 1
    .uses_dynamic_stack: false
    .vgpr_count:     0
    .vgpr_spill_count: 0
    .wavefront_size: 32
  - .args:
      - .offset:         0
        .size:           112
        .value_kind:     by_value
    .group_segment_fixed_size: 0
    .kernarg_segment_align: 8
    .kernarg_segment_size: 112
    .language:       OpenCL C
    .language_version:
      - 2
      - 0
    .max_flat_workgroup_size: 256
    .name:           _ZN7rocprim17ROCPRIM_400000_NS6detail17trampoline_kernelINS0_14default_configENS1_27scan_by_key_config_selectorIijEEZZNS1_16scan_by_key_implILNS1_25lookback_scan_determinismE0ELb0ES3_N6thrust23THRUST_200600_302600_NS6detail15normal_iteratorINS9_10device_ptrIiEEEENSB_INSC_IjEEEESG_jNS9_4plusIvEENS9_8equal_toIvEEjEE10hipError_tPvRmT2_T3_T4_T5_mT6_T7_P12ihipStream_tbENKUlT_T0_E_clISt17integral_constantIbLb0EES11_EEDaSW_SX_EUlSW_E_NS1_11comp_targetILNS1_3genE8ELNS1_11target_archE1030ELNS1_3gpuE2ELNS1_3repE0EEENS1_30default_config_static_selectorELNS0_4arch9wavefront6targetE0EEEvT1_
    .private_segment_fixed_size: 0
    .sgpr_count:     0
    .sgpr_spill_count: 0
    .symbol:         _ZN7rocprim17ROCPRIM_400000_NS6detail17trampoline_kernelINS0_14default_configENS1_27scan_by_key_config_selectorIijEEZZNS1_16scan_by_key_implILNS1_25lookback_scan_determinismE0ELb0ES3_N6thrust23THRUST_200600_302600_NS6detail15normal_iteratorINS9_10device_ptrIiEEEENSB_INSC_IjEEEESG_jNS9_4plusIvEENS9_8equal_toIvEEjEE10hipError_tPvRmT2_T3_T4_T5_mT6_T7_P12ihipStream_tbENKUlT_T0_E_clISt17integral_constantIbLb0EES11_EEDaSW_SX_EUlSW_E_NS1_11comp_targetILNS1_3genE8ELNS1_11target_archE1030ELNS1_3gpuE2ELNS1_3repE0EEENS1_30default_config_static_selectorELNS0_4arch9wavefront6targetE0EEEvT1_.kd
    .uniform_work_group_size: 1
    .uses_dynamic_stack: false
    .vgpr_count:     0
    .vgpr_spill_count: 0
    .wavefront_size: 32
  - .args:
      - .address_space:  global
        .offset:         0
        .size:           8
        .value_kind:     global_buffer
      - .offset:         8
        .size:           4
        .value_kind:     by_value
      - .offset:         12
        .size:           4
        .value_kind:     by_value
      - .address_space:  global
        .offset:         16
        .size:           8
        .value_kind:     global_buffer
      - .address_space:  global
        .offset:         24
        .size:           8
        .value_kind:     global_buffer
      - .actual_access:  write_only
        .address_space:  global
        .offset:         32
        .size:           8
        .value_kind:     global_buffer
      - .offset:         40
        .size:           8
        .value_kind:     by_value
      - .offset:         48
        .size:           4
        .value_kind:     by_value
      - .address_space:  global
        .offset:         56
        .size:           8
        .value_kind:     global_buffer
      - .offset:         64
        .size:           4
        .value_kind:     hidden_block_count_x
      - .offset:         68
        .size:           4
        .value_kind:     hidden_block_count_y
      - .offset:         72
        .size:           4
        .value_kind:     hidden_block_count_z
      - .offset:         76
        .size:           2
        .value_kind:     hidden_group_size_x
      - .offset:         78
        .size:           2
        .value_kind:     hidden_group_size_y
      - .offset:         80
        .size:           2
        .value_kind:     hidden_group_size_z
      - .offset:         82
        .size:           2
        .value_kind:     hidden_remainder_x
      - .offset:         84
        .size:           2
        .value_kind:     hidden_remainder_y
      - .offset:         86
        .size:           2
        .value_kind:     hidden_remainder_z
      - .offset:         104
        .size:           8
        .value_kind:     hidden_global_offset_x
      - .offset:         112
        .size:           8
        .value_kind:     hidden_global_offset_y
      - .offset:         120
        .size:           8
        .value_kind:     hidden_global_offset_z
      - .offset:         128
        .size:           2
        .value_kind:     hidden_grid_dims
    .group_segment_fixed_size: 0
    .kernarg_segment_align: 8
    .kernarg_segment_size: 320
    .language:       OpenCL C
    .language_version:
      - 2
      - 0
    .max_flat_workgroup_size: 256
    .name:           _ZN7rocprim17ROCPRIM_400000_NS6detail30init_device_scan_by_key_kernelINS1_19lookback_scan_stateINS0_5tupleIJjbEEELb1ELb1EEEN6thrust23THRUST_200600_302600_NS6detail15normal_iteratorINS8_10device_ptrIiEEEEjNS1_16block_id_wrapperIjLb1EEEEEvT_jjPNSG_10value_typeET0_PNSt15iterator_traitsISJ_E10value_typeEmT1_T2_
    .private_segment_fixed_size: 0
    .sgpr_count:     19
    .sgpr_spill_count: 0
    .symbol:         _ZN7rocprim17ROCPRIM_400000_NS6detail30init_device_scan_by_key_kernelINS1_19lookback_scan_stateINS0_5tupleIJjbEEELb1ELb1EEEN6thrust23THRUST_200600_302600_NS6detail15normal_iteratorINS8_10device_ptrIiEEEEjNS1_16block_id_wrapperIjLb1EEEEEvT_jjPNSG_10value_typeET0_PNSt15iterator_traitsISJ_E10value_typeEmT1_T2_.kd
    .uniform_work_group_size: 1
    .uses_dynamic_stack: false
    .vgpr_count:     10
    .vgpr_spill_count: 0
    .wavefront_size: 32
  - .args:
      - .address_space:  global
        .offset:         0
        .size:           8
        .value_kind:     global_buffer
      - .offset:         8
        .size:           4
        .value_kind:     by_value
      - .offset:         12
        .size:           4
        .value_kind:     by_value
      - .address_space:  global
        .offset:         16
        .size:           8
        .value_kind:     global_buffer
      - .address_space:  global
        .offset:         24
        .size:           8
        .value_kind:     global_buffer
      - .offset:         32
        .size:           4
        .value_kind:     hidden_block_count_x
      - .offset:         36
        .size:           4
        .value_kind:     hidden_block_count_y
      - .offset:         40
        .size:           4
        .value_kind:     hidden_block_count_z
      - .offset:         44
        .size:           2
        .value_kind:     hidden_group_size_x
      - .offset:         46
        .size:           2
        .value_kind:     hidden_group_size_y
      - .offset:         48
        .size:           2
        .value_kind:     hidden_group_size_z
      - .offset:         50
        .size:           2
        .value_kind:     hidden_remainder_x
      - .offset:         52
        .size:           2
        .value_kind:     hidden_remainder_y
      - .offset:         54
        .size:           2
        .value_kind:     hidden_remainder_z
      - .offset:         72
        .size:           8
        .value_kind:     hidden_global_offset_x
      - .offset:         80
        .size:           8
        .value_kind:     hidden_global_offset_y
      - .offset:         88
        .size:           8
        .value_kind:     hidden_global_offset_z
      - .offset:         96
        .size:           2
        .value_kind:     hidden_grid_dims
    .group_segment_fixed_size: 0
    .kernarg_segment_align: 8
    .kernarg_segment_size: 288
    .language:       OpenCL C
    .language_version:
      - 2
      - 0
    .max_flat_workgroup_size: 256
    .name:           _ZN7rocprim17ROCPRIM_400000_NS6detail30init_device_scan_by_key_kernelINS1_19lookback_scan_stateINS0_5tupleIJjbEEELb1ELb1EEENS1_16block_id_wrapperIjLb1EEEEEvT_jjPNS9_10value_typeET0_
    .private_segment_fixed_size: 0
    .sgpr_count:     15
    .sgpr_spill_count: 0
    .symbol:         _ZN7rocprim17ROCPRIM_400000_NS6detail30init_device_scan_by_key_kernelINS1_19lookback_scan_stateINS0_5tupleIJjbEEELb1ELb1EEENS1_16block_id_wrapperIjLb1EEEEEvT_jjPNS9_10value_typeET0_.kd
    .uniform_work_group_size: 1
    .uses_dynamic_stack: false
    .vgpr_count:     9
    .vgpr_spill_count: 0
    .wavefront_size: 32
  - .args:
      - .offset:         0
        .size:           112
        .value_kind:     by_value
    .group_segment_fixed_size: 0
    .kernarg_segment_align: 8
    .kernarg_segment_size: 112
    .language:       OpenCL C
    .language_version:
      - 2
      - 0
    .max_flat_workgroup_size: 256
    .name:           _ZN7rocprim17ROCPRIM_400000_NS6detail17trampoline_kernelINS0_14default_configENS1_27scan_by_key_config_selectorIijEEZZNS1_16scan_by_key_implILNS1_25lookback_scan_determinismE0ELb0ES3_N6thrust23THRUST_200600_302600_NS6detail15normal_iteratorINS9_10device_ptrIiEEEENSB_INSC_IjEEEESG_jNS9_4plusIvEENS9_8equal_toIvEEjEE10hipError_tPvRmT2_T3_T4_T5_mT6_T7_P12ihipStream_tbENKUlT_T0_E_clISt17integral_constantIbLb1EES11_EEDaSW_SX_EUlSW_E_NS1_11comp_targetILNS1_3genE0ELNS1_11target_archE4294967295ELNS1_3gpuE0ELNS1_3repE0EEENS1_30default_config_static_selectorELNS0_4arch9wavefront6targetE0EEEvT1_
    .private_segment_fixed_size: 0
    .sgpr_count:     0
    .sgpr_spill_count: 0
    .symbol:         _ZN7rocprim17ROCPRIM_400000_NS6detail17trampoline_kernelINS0_14default_configENS1_27scan_by_key_config_selectorIijEEZZNS1_16scan_by_key_implILNS1_25lookback_scan_determinismE0ELb0ES3_N6thrust23THRUST_200600_302600_NS6detail15normal_iteratorINS9_10device_ptrIiEEEENSB_INSC_IjEEEESG_jNS9_4plusIvEENS9_8equal_toIvEEjEE10hipError_tPvRmT2_T3_T4_T5_mT6_T7_P12ihipStream_tbENKUlT_T0_E_clISt17integral_constantIbLb1EES11_EEDaSW_SX_EUlSW_E_NS1_11comp_targetILNS1_3genE0ELNS1_11target_archE4294967295ELNS1_3gpuE0ELNS1_3repE0EEENS1_30default_config_static_selectorELNS0_4arch9wavefront6targetE0EEEvT1_.kd
    .uniform_work_group_size: 1
    .uses_dynamic_stack: false
    .vgpr_count:     0
    .vgpr_spill_count: 0
    .wavefront_size: 32
  - .args:
      - .offset:         0
        .size:           112
        .value_kind:     by_value
    .group_segment_fixed_size: 0
    .kernarg_segment_align: 8
    .kernarg_segment_size: 112
    .language:       OpenCL C
    .language_version:
      - 2
      - 0
    .max_flat_workgroup_size: 256
    .name:           _ZN7rocprim17ROCPRIM_400000_NS6detail17trampoline_kernelINS0_14default_configENS1_27scan_by_key_config_selectorIijEEZZNS1_16scan_by_key_implILNS1_25lookback_scan_determinismE0ELb0ES3_N6thrust23THRUST_200600_302600_NS6detail15normal_iteratorINS9_10device_ptrIiEEEENSB_INSC_IjEEEESG_jNS9_4plusIvEENS9_8equal_toIvEEjEE10hipError_tPvRmT2_T3_T4_T5_mT6_T7_P12ihipStream_tbENKUlT_T0_E_clISt17integral_constantIbLb1EES11_EEDaSW_SX_EUlSW_E_NS1_11comp_targetILNS1_3genE10ELNS1_11target_archE1201ELNS1_3gpuE5ELNS1_3repE0EEENS1_30default_config_static_selectorELNS0_4arch9wavefront6targetE0EEEvT1_
    .private_segment_fixed_size: 0
    .sgpr_count:     0
    .sgpr_spill_count: 0
    .symbol:         _ZN7rocprim17ROCPRIM_400000_NS6detail17trampoline_kernelINS0_14default_configENS1_27scan_by_key_config_selectorIijEEZZNS1_16scan_by_key_implILNS1_25lookback_scan_determinismE0ELb0ES3_N6thrust23THRUST_200600_302600_NS6detail15normal_iteratorINS9_10device_ptrIiEEEENSB_INSC_IjEEEESG_jNS9_4plusIvEENS9_8equal_toIvEEjEE10hipError_tPvRmT2_T3_T4_T5_mT6_T7_P12ihipStream_tbENKUlT_T0_E_clISt17integral_constantIbLb1EES11_EEDaSW_SX_EUlSW_E_NS1_11comp_targetILNS1_3genE10ELNS1_11target_archE1201ELNS1_3gpuE5ELNS1_3repE0EEENS1_30default_config_static_selectorELNS0_4arch9wavefront6targetE0EEEvT1_.kd
    .uniform_work_group_size: 1
    .uses_dynamic_stack: false
    .vgpr_count:     0
    .vgpr_spill_count: 0
    .wavefront_size: 32
  - .args:
      - .offset:         0
        .size:           112
        .value_kind:     by_value
    .group_segment_fixed_size: 0
    .kernarg_segment_align: 8
    .kernarg_segment_size: 112
    .language:       OpenCL C
    .language_version:
      - 2
      - 0
    .max_flat_workgroup_size: 256
    .name:           _ZN7rocprim17ROCPRIM_400000_NS6detail17trampoline_kernelINS0_14default_configENS1_27scan_by_key_config_selectorIijEEZZNS1_16scan_by_key_implILNS1_25lookback_scan_determinismE0ELb0ES3_N6thrust23THRUST_200600_302600_NS6detail15normal_iteratorINS9_10device_ptrIiEEEENSB_INSC_IjEEEESG_jNS9_4plusIvEENS9_8equal_toIvEEjEE10hipError_tPvRmT2_T3_T4_T5_mT6_T7_P12ihipStream_tbENKUlT_T0_E_clISt17integral_constantIbLb1EES11_EEDaSW_SX_EUlSW_E_NS1_11comp_targetILNS1_3genE5ELNS1_11target_archE942ELNS1_3gpuE9ELNS1_3repE0EEENS1_30default_config_static_selectorELNS0_4arch9wavefront6targetE0EEEvT1_
    .private_segment_fixed_size: 0
    .sgpr_count:     0
    .sgpr_spill_count: 0
    .symbol:         _ZN7rocprim17ROCPRIM_400000_NS6detail17trampoline_kernelINS0_14default_configENS1_27scan_by_key_config_selectorIijEEZZNS1_16scan_by_key_implILNS1_25lookback_scan_determinismE0ELb0ES3_N6thrust23THRUST_200600_302600_NS6detail15normal_iteratorINS9_10device_ptrIiEEEENSB_INSC_IjEEEESG_jNS9_4plusIvEENS9_8equal_toIvEEjEE10hipError_tPvRmT2_T3_T4_T5_mT6_T7_P12ihipStream_tbENKUlT_T0_E_clISt17integral_constantIbLb1EES11_EEDaSW_SX_EUlSW_E_NS1_11comp_targetILNS1_3genE5ELNS1_11target_archE942ELNS1_3gpuE9ELNS1_3repE0EEENS1_30default_config_static_selectorELNS0_4arch9wavefront6targetE0EEEvT1_.kd
    .uniform_work_group_size: 1
    .uses_dynamic_stack: false
    .vgpr_count:     0
    .vgpr_spill_count: 0
    .wavefront_size: 32
  - .args:
      - .offset:         0
        .size:           112
        .value_kind:     by_value
    .group_segment_fixed_size: 0
    .kernarg_segment_align: 8
    .kernarg_segment_size: 112
    .language:       OpenCL C
    .language_version:
      - 2
      - 0
    .max_flat_workgroup_size: 256
    .name:           _ZN7rocprim17ROCPRIM_400000_NS6detail17trampoline_kernelINS0_14default_configENS1_27scan_by_key_config_selectorIijEEZZNS1_16scan_by_key_implILNS1_25lookback_scan_determinismE0ELb0ES3_N6thrust23THRUST_200600_302600_NS6detail15normal_iteratorINS9_10device_ptrIiEEEENSB_INSC_IjEEEESG_jNS9_4plusIvEENS9_8equal_toIvEEjEE10hipError_tPvRmT2_T3_T4_T5_mT6_T7_P12ihipStream_tbENKUlT_T0_E_clISt17integral_constantIbLb1EES11_EEDaSW_SX_EUlSW_E_NS1_11comp_targetILNS1_3genE4ELNS1_11target_archE910ELNS1_3gpuE8ELNS1_3repE0EEENS1_30default_config_static_selectorELNS0_4arch9wavefront6targetE0EEEvT1_
    .private_segment_fixed_size: 0
    .sgpr_count:     0
    .sgpr_spill_count: 0
    .symbol:         _ZN7rocprim17ROCPRIM_400000_NS6detail17trampoline_kernelINS0_14default_configENS1_27scan_by_key_config_selectorIijEEZZNS1_16scan_by_key_implILNS1_25lookback_scan_determinismE0ELb0ES3_N6thrust23THRUST_200600_302600_NS6detail15normal_iteratorINS9_10device_ptrIiEEEENSB_INSC_IjEEEESG_jNS9_4plusIvEENS9_8equal_toIvEEjEE10hipError_tPvRmT2_T3_T4_T5_mT6_T7_P12ihipStream_tbENKUlT_T0_E_clISt17integral_constantIbLb1EES11_EEDaSW_SX_EUlSW_E_NS1_11comp_targetILNS1_3genE4ELNS1_11target_archE910ELNS1_3gpuE8ELNS1_3repE0EEENS1_30default_config_static_selectorELNS0_4arch9wavefront6targetE0EEEvT1_.kd
    .uniform_work_group_size: 1
    .uses_dynamic_stack: false
    .vgpr_count:     0
    .vgpr_spill_count: 0
    .wavefront_size: 32
  - .args:
      - .offset:         0
        .size:           112
        .value_kind:     by_value
    .group_segment_fixed_size: 0
    .kernarg_segment_align: 8
    .kernarg_segment_size: 112
    .language:       OpenCL C
    .language_version:
      - 2
      - 0
    .max_flat_workgroup_size: 256
    .name:           _ZN7rocprim17ROCPRIM_400000_NS6detail17trampoline_kernelINS0_14default_configENS1_27scan_by_key_config_selectorIijEEZZNS1_16scan_by_key_implILNS1_25lookback_scan_determinismE0ELb0ES3_N6thrust23THRUST_200600_302600_NS6detail15normal_iteratorINS9_10device_ptrIiEEEENSB_INSC_IjEEEESG_jNS9_4plusIvEENS9_8equal_toIvEEjEE10hipError_tPvRmT2_T3_T4_T5_mT6_T7_P12ihipStream_tbENKUlT_T0_E_clISt17integral_constantIbLb1EES11_EEDaSW_SX_EUlSW_E_NS1_11comp_targetILNS1_3genE3ELNS1_11target_archE908ELNS1_3gpuE7ELNS1_3repE0EEENS1_30default_config_static_selectorELNS0_4arch9wavefront6targetE0EEEvT1_
    .private_segment_fixed_size: 0
    .sgpr_count:     0
    .sgpr_spill_count: 0
    .symbol:         _ZN7rocprim17ROCPRIM_400000_NS6detail17trampoline_kernelINS0_14default_configENS1_27scan_by_key_config_selectorIijEEZZNS1_16scan_by_key_implILNS1_25lookback_scan_determinismE0ELb0ES3_N6thrust23THRUST_200600_302600_NS6detail15normal_iteratorINS9_10device_ptrIiEEEENSB_INSC_IjEEEESG_jNS9_4plusIvEENS9_8equal_toIvEEjEE10hipError_tPvRmT2_T3_T4_T5_mT6_T7_P12ihipStream_tbENKUlT_T0_E_clISt17integral_constantIbLb1EES11_EEDaSW_SX_EUlSW_E_NS1_11comp_targetILNS1_3genE3ELNS1_11target_archE908ELNS1_3gpuE7ELNS1_3repE0EEENS1_30default_config_static_selectorELNS0_4arch9wavefront6targetE0EEEvT1_.kd
    .uniform_work_group_size: 1
    .uses_dynamic_stack: false
    .vgpr_count:     0
    .vgpr_spill_count: 0
    .wavefront_size: 32
  - .args:
      - .offset:         0
        .size:           112
        .value_kind:     by_value
    .group_segment_fixed_size: 0
    .kernarg_segment_align: 8
    .kernarg_segment_size: 112
    .language:       OpenCL C
    .language_version:
      - 2
      - 0
    .max_flat_workgroup_size: 256
    .name:           _ZN7rocprim17ROCPRIM_400000_NS6detail17trampoline_kernelINS0_14default_configENS1_27scan_by_key_config_selectorIijEEZZNS1_16scan_by_key_implILNS1_25lookback_scan_determinismE0ELb0ES3_N6thrust23THRUST_200600_302600_NS6detail15normal_iteratorINS9_10device_ptrIiEEEENSB_INSC_IjEEEESG_jNS9_4plusIvEENS9_8equal_toIvEEjEE10hipError_tPvRmT2_T3_T4_T5_mT6_T7_P12ihipStream_tbENKUlT_T0_E_clISt17integral_constantIbLb1EES11_EEDaSW_SX_EUlSW_E_NS1_11comp_targetILNS1_3genE2ELNS1_11target_archE906ELNS1_3gpuE6ELNS1_3repE0EEENS1_30default_config_static_selectorELNS0_4arch9wavefront6targetE0EEEvT1_
    .private_segment_fixed_size: 0
    .sgpr_count:     0
    .sgpr_spill_count: 0
    .symbol:         _ZN7rocprim17ROCPRIM_400000_NS6detail17trampoline_kernelINS0_14default_configENS1_27scan_by_key_config_selectorIijEEZZNS1_16scan_by_key_implILNS1_25lookback_scan_determinismE0ELb0ES3_N6thrust23THRUST_200600_302600_NS6detail15normal_iteratorINS9_10device_ptrIiEEEENSB_INSC_IjEEEESG_jNS9_4plusIvEENS9_8equal_toIvEEjEE10hipError_tPvRmT2_T3_T4_T5_mT6_T7_P12ihipStream_tbENKUlT_T0_E_clISt17integral_constantIbLb1EES11_EEDaSW_SX_EUlSW_E_NS1_11comp_targetILNS1_3genE2ELNS1_11target_archE906ELNS1_3gpuE6ELNS1_3repE0EEENS1_30default_config_static_selectorELNS0_4arch9wavefront6targetE0EEEvT1_.kd
    .uniform_work_group_size: 1
    .uses_dynamic_stack: false
    .vgpr_count:     0
    .vgpr_spill_count: 0
    .wavefront_size: 32
  - .args:
      - .offset:         0
        .size:           112
        .value_kind:     by_value
    .group_segment_fixed_size: 0
    .kernarg_segment_align: 8
    .kernarg_segment_size: 112
    .language:       OpenCL C
    .language_version:
      - 2
      - 0
    .max_flat_workgroup_size: 256
    .name:           _ZN7rocprim17ROCPRIM_400000_NS6detail17trampoline_kernelINS0_14default_configENS1_27scan_by_key_config_selectorIijEEZZNS1_16scan_by_key_implILNS1_25lookback_scan_determinismE0ELb0ES3_N6thrust23THRUST_200600_302600_NS6detail15normal_iteratorINS9_10device_ptrIiEEEENSB_INSC_IjEEEESG_jNS9_4plusIvEENS9_8equal_toIvEEjEE10hipError_tPvRmT2_T3_T4_T5_mT6_T7_P12ihipStream_tbENKUlT_T0_E_clISt17integral_constantIbLb1EES11_EEDaSW_SX_EUlSW_E_NS1_11comp_targetILNS1_3genE10ELNS1_11target_archE1200ELNS1_3gpuE4ELNS1_3repE0EEENS1_30default_config_static_selectorELNS0_4arch9wavefront6targetE0EEEvT1_
    .private_segment_fixed_size: 0
    .sgpr_count:     0
    .sgpr_spill_count: 0
    .symbol:         _ZN7rocprim17ROCPRIM_400000_NS6detail17trampoline_kernelINS0_14default_configENS1_27scan_by_key_config_selectorIijEEZZNS1_16scan_by_key_implILNS1_25lookback_scan_determinismE0ELb0ES3_N6thrust23THRUST_200600_302600_NS6detail15normal_iteratorINS9_10device_ptrIiEEEENSB_INSC_IjEEEESG_jNS9_4plusIvEENS9_8equal_toIvEEjEE10hipError_tPvRmT2_T3_T4_T5_mT6_T7_P12ihipStream_tbENKUlT_T0_E_clISt17integral_constantIbLb1EES11_EEDaSW_SX_EUlSW_E_NS1_11comp_targetILNS1_3genE10ELNS1_11target_archE1200ELNS1_3gpuE4ELNS1_3repE0EEENS1_30default_config_static_selectorELNS0_4arch9wavefront6targetE0EEEvT1_.kd
    .uniform_work_group_size: 1
    .uses_dynamic_stack: false
    .vgpr_count:     0
    .vgpr_spill_count: 0
    .wavefront_size: 32
  - .args:
      - .offset:         0
        .size:           112
        .value_kind:     by_value
    .group_segment_fixed_size: 0
    .kernarg_segment_align: 8
    .kernarg_segment_size: 112
    .language:       OpenCL C
    .language_version:
      - 2
      - 0
    .max_flat_workgroup_size: 256
    .name:           _ZN7rocprim17ROCPRIM_400000_NS6detail17trampoline_kernelINS0_14default_configENS1_27scan_by_key_config_selectorIijEEZZNS1_16scan_by_key_implILNS1_25lookback_scan_determinismE0ELb0ES3_N6thrust23THRUST_200600_302600_NS6detail15normal_iteratorINS9_10device_ptrIiEEEENSB_INSC_IjEEEESG_jNS9_4plusIvEENS9_8equal_toIvEEjEE10hipError_tPvRmT2_T3_T4_T5_mT6_T7_P12ihipStream_tbENKUlT_T0_E_clISt17integral_constantIbLb1EES11_EEDaSW_SX_EUlSW_E_NS1_11comp_targetILNS1_3genE9ELNS1_11target_archE1100ELNS1_3gpuE3ELNS1_3repE0EEENS1_30default_config_static_selectorELNS0_4arch9wavefront6targetE0EEEvT1_
    .private_segment_fixed_size: 0
    .sgpr_count:     0
    .sgpr_spill_count: 0
    .symbol:         _ZN7rocprim17ROCPRIM_400000_NS6detail17trampoline_kernelINS0_14default_configENS1_27scan_by_key_config_selectorIijEEZZNS1_16scan_by_key_implILNS1_25lookback_scan_determinismE0ELb0ES3_N6thrust23THRUST_200600_302600_NS6detail15normal_iteratorINS9_10device_ptrIiEEEENSB_INSC_IjEEEESG_jNS9_4plusIvEENS9_8equal_toIvEEjEE10hipError_tPvRmT2_T3_T4_T5_mT6_T7_P12ihipStream_tbENKUlT_T0_E_clISt17integral_constantIbLb1EES11_EEDaSW_SX_EUlSW_E_NS1_11comp_targetILNS1_3genE9ELNS1_11target_archE1100ELNS1_3gpuE3ELNS1_3repE0EEENS1_30default_config_static_selectorELNS0_4arch9wavefront6targetE0EEEvT1_.kd
    .uniform_work_group_size: 1
    .uses_dynamic_stack: false
    .vgpr_count:     0
    .vgpr_spill_count: 0
    .wavefront_size: 32
  - .args:
      - .offset:         0
        .size:           112
        .value_kind:     by_value
    .group_segment_fixed_size: 0
    .kernarg_segment_align: 8
    .kernarg_segment_size: 112
    .language:       OpenCL C
    .language_version:
      - 2
      - 0
    .max_flat_workgroup_size: 256
    .name:           _ZN7rocprim17ROCPRIM_400000_NS6detail17trampoline_kernelINS0_14default_configENS1_27scan_by_key_config_selectorIijEEZZNS1_16scan_by_key_implILNS1_25lookback_scan_determinismE0ELb0ES3_N6thrust23THRUST_200600_302600_NS6detail15normal_iteratorINS9_10device_ptrIiEEEENSB_INSC_IjEEEESG_jNS9_4plusIvEENS9_8equal_toIvEEjEE10hipError_tPvRmT2_T3_T4_T5_mT6_T7_P12ihipStream_tbENKUlT_T0_E_clISt17integral_constantIbLb1EES11_EEDaSW_SX_EUlSW_E_NS1_11comp_targetILNS1_3genE8ELNS1_11target_archE1030ELNS1_3gpuE2ELNS1_3repE0EEENS1_30default_config_static_selectorELNS0_4arch9wavefront6targetE0EEEvT1_
    .private_segment_fixed_size: 0
    .sgpr_count:     0
    .sgpr_spill_count: 0
    .symbol:         _ZN7rocprim17ROCPRIM_400000_NS6detail17trampoline_kernelINS0_14default_configENS1_27scan_by_key_config_selectorIijEEZZNS1_16scan_by_key_implILNS1_25lookback_scan_determinismE0ELb0ES3_N6thrust23THRUST_200600_302600_NS6detail15normal_iteratorINS9_10device_ptrIiEEEENSB_INSC_IjEEEESG_jNS9_4plusIvEENS9_8equal_toIvEEjEE10hipError_tPvRmT2_T3_T4_T5_mT6_T7_P12ihipStream_tbENKUlT_T0_E_clISt17integral_constantIbLb1EES11_EEDaSW_SX_EUlSW_E_NS1_11comp_targetILNS1_3genE8ELNS1_11target_archE1030ELNS1_3gpuE2ELNS1_3repE0EEENS1_30default_config_static_selectorELNS0_4arch9wavefront6targetE0EEEvT1_.kd
    .uniform_work_group_size: 1
    .uses_dynamic_stack: false
    .vgpr_count:     0
    .vgpr_spill_count: 0
    .wavefront_size: 32
  - .args:
      - .address_space:  global
        .offset:         0
        .size:           8
        .value_kind:     global_buffer
      - .offset:         8
        .size:           4
        .value_kind:     by_value
      - .offset:         12
        .size:           4
        .value_kind:     by_value
      - .address_space:  global
        .offset:         16
        .size:           8
        .value_kind:     global_buffer
      - .address_space:  global
        .offset:         24
        .size:           8
        .value_kind:     global_buffer
      - .actual_access:  write_only
        .address_space:  global
        .offset:         32
        .size:           8
        .value_kind:     global_buffer
      - .offset:         40
        .size:           8
        .value_kind:     by_value
      - .offset:         48
        .size:           4
        .value_kind:     by_value
      - .offset:         52
        .size:           1
        .value_kind:     by_value
      - .offset:         56
        .size:           4
        .value_kind:     hidden_block_count_x
      - .offset:         60
        .size:           4
        .value_kind:     hidden_block_count_y
      - .offset:         64
        .size:           4
        .value_kind:     hidden_block_count_z
      - .offset:         68
        .size:           2
        .value_kind:     hidden_group_size_x
      - .offset:         70
        .size:           2
        .value_kind:     hidden_group_size_y
      - .offset:         72
        .size:           2
        .value_kind:     hidden_group_size_z
      - .offset:         74
        .size:           2
        .value_kind:     hidden_remainder_x
      - .offset:         76
        .size:           2
        .value_kind:     hidden_remainder_y
      - .offset:         78
        .size:           2
        .value_kind:     hidden_remainder_z
      - .offset:         96
        .size:           8
        .value_kind:     hidden_global_offset_x
      - .offset:         104
        .size:           8
        .value_kind:     hidden_global_offset_y
      - .offset:         112
        .size:           8
        .value_kind:     hidden_global_offset_z
      - .offset:         120
        .size:           2
        .value_kind:     hidden_grid_dims
    .group_segment_fixed_size: 0
    .kernarg_segment_align: 8
    .kernarg_segment_size: 312
    .language:       OpenCL C
    .language_version:
      - 2
      - 0
    .max_flat_workgroup_size: 256
    .name:           _ZN7rocprim17ROCPRIM_400000_NS6detail30init_device_scan_by_key_kernelINS1_19lookback_scan_stateINS0_5tupleIJjbEEELb1ELb1EEEN6thrust23THRUST_200600_302600_NS6detail15normal_iteratorINS8_10device_ptrIiEEEEjNS1_16block_id_wrapperIjLb0EEEEEvT_jjPNSG_10value_typeET0_PNSt15iterator_traitsISJ_E10value_typeEmT1_T2_
    .private_segment_fixed_size: 0
    .sgpr_count:     19
    .sgpr_spill_count: 0
    .symbol:         _ZN7rocprim17ROCPRIM_400000_NS6detail30init_device_scan_by_key_kernelINS1_19lookback_scan_stateINS0_5tupleIJjbEEELb1ELb1EEEN6thrust23THRUST_200600_302600_NS6detail15normal_iteratorINS8_10device_ptrIiEEEEjNS1_16block_id_wrapperIjLb0EEEEEvT_jjPNSG_10value_typeET0_PNSt15iterator_traitsISJ_E10value_typeEmT1_T2_.kd
    .uniform_work_group_size: 1
    .uses_dynamic_stack: false
    .vgpr_count:     10
    .vgpr_spill_count: 0
    .wavefront_size: 32
  - .args:
      - .address_space:  global
        .offset:         0
        .size:           8
        .value_kind:     global_buffer
      - .offset:         8
        .size:           4
        .value_kind:     by_value
      - .offset:         12
        .size:           4
        .value_kind:     by_value
      - .address_space:  global
        .offset:         16
        .size:           8
        .value_kind:     global_buffer
      - .offset:         24
        .size:           1
        .value_kind:     by_value
      - .offset:         32
        .size:           4
        .value_kind:     hidden_block_count_x
      - .offset:         36
        .size:           4
        .value_kind:     hidden_block_count_y
      - .offset:         40
        .size:           4
        .value_kind:     hidden_block_count_z
      - .offset:         44
        .size:           2
        .value_kind:     hidden_group_size_x
      - .offset:         46
        .size:           2
        .value_kind:     hidden_group_size_y
      - .offset:         48
        .size:           2
        .value_kind:     hidden_group_size_z
      - .offset:         50
        .size:           2
        .value_kind:     hidden_remainder_x
      - .offset:         52
        .size:           2
        .value_kind:     hidden_remainder_y
      - .offset:         54
        .size:           2
        .value_kind:     hidden_remainder_z
      - .offset:         72
        .size:           8
        .value_kind:     hidden_global_offset_x
      - .offset:         80
        .size:           8
        .value_kind:     hidden_global_offset_y
      - .offset:         88
        .size:           8
        .value_kind:     hidden_global_offset_z
      - .offset:         96
        .size:           2
        .value_kind:     hidden_grid_dims
    .group_segment_fixed_size: 0
    .kernarg_segment_align: 8
    .kernarg_segment_size: 288
    .language:       OpenCL C
    .language_version:
      - 2
      - 0
    .max_flat_workgroup_size: 256
    .name:           _ZN7rocprim17ROCPRIM_400000_NS6detail30init_device_scan_by_key_kernelINS1_19lookback_scan_stateINS0_5tupleIJjbEEELb1ELb1EEENS1_16block_id_wrapperIjLb0EEEEEvT_jjPNS9_10value_typeET0_
    .private_segment_fixed_size: 0
    .sgpr_count:     13
    .sgpr_spill_count: 0
    .symbol:         _ZN7rocprim17ROCPRIM_400000_NS6detail30init_device_scan_by_key_kernelINS1_19lookback_scan_stateINS0_5tupleIJjbEEELb1ELb1EEENS1_16block_id_wrapperIjLb0EEEEEvT_jjPNS9_10value_typeET0_.kd
    .uniform_work_group_size: 1
    .uses_dynamic_stack: false
    .vgpr_count:     9
    .vgpr_spill_count: 0
    .wavefront_size: 32
  - .args:
      - .offset:         0
        .size:           112
        .value_kind:     by_value
    .group_segment_fixed_size: 0
    .kernarg_segment_align: 8
    .kernarg_segment_size: 112
    .language:       OpenCL C
    .language_version:
      - 2
      - 0
    .max_flat_workgroup_size: 256
    .name:           _ZN7rocprim17ROCPRIM_400000_NS6detail17trampoline_kernelINS0_14default_configENS1_27scan_by_key_config_selectorIijEEZZNS1_16scan_by_key_implILNS1_25lookback_scan_determinismE0ELb0ES3_N6thrust23THRUST_200600_302600_NS6detail15normal_iteratorINS9_10device_ptrIiEEEENSB_INSC_IjEEEESG_jNS9_4plusIvEENS9_8equal_toIvEEjEE10hipError_tPvRmT2_T3_T4_T5_mT6_T7_P12ihipStream_tbENKUlT_T0_E_clISt17integral_constantIbLb1EES10_IbLb0EEEEDaSW_SX_EUlSW_E_NS1_11comp_targetILNS1_3genE0ELNS1_11target_archE4294967295ELNS1_3gpuE0ELNS1_3repE0EEENS1_30default_config_static_selectorELNS0_4arch9wavefront6targetE0EEEvT1_
    .private_segment_fixed_size: 0
    .sgpr_count:     0
    .sgpr_spill_count: 0
    .symbol:         _ZN7rocprim17ROCPRIM_400000_NS6detail17trampoline_kernelINS0_14default_configENS1_27scan_by_key_config_selectorIijEEZZNS1_16scan_by_key_implILNS1_25lookback_scan_determinismE0ELb0ES3_N6thrust23THRUST_200600_302600_NS6detail15normal_iteratorINS9_10device_ptrIiEEEENSB_INSC_IjEEEESG_jNS9_4plusIvEENS9_8equal_toIvEEjEE10hipError_tPvRmT2_T3_T4_T5_mT6_T7_P12ihipStream_tbENKUlT_T0_E_clISt17integral_constantIbLb1EES10_IbLb0EEEEDaSW_SX_EUlSW_E_NS1_11comp_targetILNS1_3genE0ELNS1_11target_archE4294967295ELNS1_3gpuE0ELNS1_3repE0EEENS1_30default_config_static_selectorELNS0_4arch9wavefront6targetE0EEEvT1_.kd
    .uniform_work_group_size: 1
    .uses_dynamic_stack: false
    .vgpr_count:     0
    .vgpr_spill_count: 0
    .wavefront_size: 32
  - .args:
      - .offset:         0
        .size:           112
        .value_kind:     by_value
    .group_segment_fixed_size: 0
    .kernarg_segment_align: 8
    .kernarg_segment_size: 112
    .language:       OpenCL C
    .language_version:
      - 2
      - 0
    .max_flat_workgroup_size: 256
    .name:           _ZN7rocprim17ROCPRIM_400000_NS6detail17trampoline_kernelINS0_14default_configENS1_27scan_by_key_config_selectorIijEEZZNS1_16scan_by_key_implILNS1_25lookback_scan_determinismE0ELb0ES3_N6thrust23THRUST_200600_302600_NS6detail15normal_iteratorINS9_10device_ptrIiEEEENSB_INSC_IjEEEESG_jNS9_4plusIvEENS9_8equal_toIvEEjEE10hipError_tPvRmT2_T3_T4_T5_mT6_T7_P12ihipStream_tbENKUlT_T0_E_clISt17integral_constantIbLb1EES10_IbLb0EEEEDaSW_SX_EUlSW_E_NS1_11comp_targetILNS1_3genE10ELNS1_11target_archE1201ELNS1_3gpuE5ELNS1_3repE0EEENS1_30default_config_static_selectorELNS0_4arch9wavefront6targetE0EEEvT1_
    .private_segment_fixed_size: 0
    .sgpr_count:     0
    .sgpr_spill_count: 0
    .symbol:         _ZN7rocprim17ROCPRIM_400000_NS6detail17trampoline_kernelINS0_14default_configENS1_27scan_by_key_config_selectorIijEEZZNS1_16scan_by_key_implILNS1_25lookback_scan_determinismE0ELb0ES3_N6thrust23THRUST_200600_302600_NS6detail15normal_iteratorINS9_10device_ptrIiEEEENSB_INSC_IjEEEESG_jNS9_4plusIvEENS9_8equal_toIvEEjEE10hipError_tPvRmT2_T3_T4_T5_mT6_T7_P12ihipStream_tbENKUlT_T0_E_clISt17integral_constantIbLb1EES10_IbLb0EEEEDaSW_SX_EUlSW_E_NS1_11comp_targetILNS1_3genE10ELNS1_11target_archE1201ELNS1_3gpuE5ELNS1_3repE0EEENS1_30default_config_static_selectorELNS0_4arch9wavefront6targetE0EEEvT1_.kd
    .uniform_work_group_size: 1
    .uses_dynamic_stack: false
    .vgpr_count:     0
    .vgpr_spill_count: 0
    .wavefront_size: 32
  - .args:
      - .offset:         0
        .size:           112
        .value_kind:     by_value
    .group_segment_fixed_size: 0
    .kernarg_segment_align: 8
    .kernarg_segment_size: 112
    .language:       OpenCL C
    .language_version:
      - 2
      - 0
    .max_flat_workgroup_size: 256
    .name:           _ZN7rocprim17ROCPRIM_400000_NS6detail17trampoline_kernelINS0_14default_configENS1_27scan_by_key_config_selectorIijEEZZNS1_16scan_by_key_implILNS1_25lookback_scan_determinismE0ELb0ES3_N6thrust23THRUST_200600_302600_NS6detail15normal_iteratorINS9_10device_ptrIiEEEENSB_INSC_IjEEEESG_jNS9_4plusIvEENS9_8equal_toIvEEjEE10hipError_tPvRmT2_T3_T4_T5_mT6_T7_P12ihipStream_tbENKUlT_T0_E_clISt17integral_constantIbLb1EES10_IbLb0EEEEDaSW_SX_EUlSW_E_NS1_11comp_targetILNS1_3genE5ELNS1_11target_archE942ELNS1_3gpuE9ELNS1_3repE0EEENS1_30default_config_static_selectorELNS0_4arch9wavefront6targetE0EEEvT1_
    .private_segment_fixed_size: 0
    .sgpr_count:     0
    .sgpr_spill_count: 0
    .symbol:         _ZN7rocprim17ROCPRIM_400000_NS6detail17trampoline_kernelINS0_14default_configENS1_27scan_by_key_config_selectorIijEEZZNS1_16scan_by_key_implILNS1_25lookback_scan_determinismE0ELb0ES3_N6thrust23THRUST_200600_302600_NS6detail15normal_iteratorINS9_10device_ptrIiEEEENSB_INSC_IjEEEESG_jNS9_4plusIvEENS9_8equal_toIvEEjEE10hipError_tPvRmT2_T3_T4_T5_mT6_T7_P12ihipStream_tbENKUlT_T0_E_clISt17integral_constantIbLb1EES10_IbLb0EEEEDaSW_SX_EUlSW_E_NS1_11comp_targetILNS1_3genE5ELNS1_11target_archE942ELNS1_3gpuE9ELNS1_3repE0EEENS1_30default_config_static_selectorELNS0_4arch9wavefront6targetE0EEEvT1_.kd
    .uniform_work_group_size: 1
    .uses_dynamic_stack: false
    .vgpr_count:     0
    .vgpr_spill_count: 0
    .wavefront_size: 32
  - .args:
      - .offset:         0
        .size:           112
        .value_kind:     by_value
    .group_segment_fixed_size: 0
    .kernarg_segment_align: 8
    .kernarg_segment_size: 112
    .language:       OpenCL C
    .language_version:
      - 2
      - 0
    .max_flat_workgroup_size: 256
    .name:           _ZN7rocprim17ROCPRIM_400000_NS6detail17trampoline_kernelINS0_14default_configENS1_27scan_by_key_config_selectorIijEEZZNS1_16scan_by_key_implILNS1_25lookback_scan_determinismE0ELb0ES3_N6thrust23THRUST_200600_302600_NS6detail15normal_iteratorINS9_10device_ptrIiEEEENSB_INSC_IjEEEESG_jNS9_4plusIvEENS9_8equal_toIvEEjEE10hipError_tPvRmT2_T3_T4_T5_mT6_T7_P12ihipStream_tbENKUlT_T0_E_clISt17integral_constantIbLb1EES10_IbLb0EEEEDaSW_SX_EUlSW_E_NS1_11comp_targetILNS1_3genE4ELNS1_11target_archE910ELNS1_3gpuE8ELNS1_3repE0EEENS1_30default_config_static_selectorELNS0_4arch9wavefront6targetE0EEEvT1_
    .private_segment_fixed_size: 0
    .sgpr_count:     0
    .sgpr_spill_count: 0
    .symbol:         _ZN7rocprim17ROCPRIM_400000_NS6detail17trampoline_kernelINS0_14default_configENS1_27scan_by_key_config_selectorIijEEZZNS1_16scan_by_key_implILNS1_25lookback_scan_determinismE0ELb0ES3_N6thrust23THRUST_200600_302600_NS6detail15normal_iteratorINS9_10device_ptrIiEEEENSB_INSC_IjEEEESG_jNS9_4plusIvEENS9_8equal_toIvEEjEE10hipError_tPvRmT2_T3_T4_T5_mT6_T7_P12ihipStream_tbENKUlT_T0_E_clISt17integral_constantIbLb1EES10_IbLb0EEEEDaSW_SX_EUlSW_E_NS1_11comp_targetILNS1_3genE4ELNS1_11target_archE910ELNS1_3gpuE8ELNS1_3repE0EEENS1_30default_config_static_selectorELNS0_4arch9wavefront6targetE0EEEvT1_.kd
    .uniform_work_group_size: 1
    .uses_dynamic_stack: false
    .vgpr_count:     0
    .vgpr_spill_count: 0
    .wavefront_size: 32
  - .args:
      - .offset:         0
        .size:           112
        .value_kind:     by_value
    .group_segment_fixed_size: 0
    .kernarg_segment_align: 8
    .kernarg_segment_size: 112
    .language:       OpenCL C
    .language_version:
      - 2
      - 0
    .max_flat_workgroup_size: 256
    .name:           _ZN7rocprim17ROCPRIM_400000_NS6detail17trampoline_kernelINS0_14default_configENS1_27scan_by_key_config_selectorIijEEZZNS1_16scan_by_key_implILNS1_25lookback_scan_determinismE0ELb0ES3_N6thrust23THRUST_200600_302600_NS6detail15normal_iteratorINS9_10device_ptrIiEEEENSB_INSC_IjEEEESG_jNS9_4plusIvEENS9_8equal_toIvEEjEE10hipError_tPvRmT2_T3_T4_T5_mT6_T7_P12ihipStream_tbENKUlT_T0_E_clISt17integral_constantIbLb1EES10_IbLb0EEEEDaSW_SX_EUlSW_E_NS1_11comp_targetILNS1_3genE3ELNS1_11target_archE908ELNS1_3gpuE7ELNS1_3repE0EEENS1_30default_config_static_selectorELNS0_4arch9wavefront6targetE0EEEvT1_
    .private_segment_fixed_size: 0
    .sgpr_count:     0
    .sgpr_spill_count: 0
    .symbol:         _ZN7rocprim17ROCPRIM_400000_NS6detail17trampoline_kernelINS0_14default_configENS1_27scan_by_key_config_selectorIijEEZZNS1_16scan_by_key_implILNS1_25lookback_scan_determinismE0ELb0ES3_N6thrust23THRUST_200600_302600_NS6detail15normal_iteratorINS9_10device_ptrIiEEEENSB_INSC_IjEEEESG_jNS9_4plusIvEENS9_8equal_toIvEEjEE10hipError_tPvRmT2_T3_T4_T5_mT6_T7_P12ihipStream_tbENKUlT_T0_E_clISt17integral_constantIbLb1EES10_IbLb0EEEEDaSW_SX_EUlSW_E_NS1_11comp_targetILNS1_3genE3ELNS1_11target_archE908ELNS1_3gpuE7ELNS1_3repE0EEENS1_30default_config_static_selectorELNS0_4arch9wavefront6targetE0EEEvT1_.kd
    .uniform_work_group_size: 1
    .uses_dynamic_stack: false
    .vgpr_count:     0
    .vgpr_spill_count: 0
    .wavefront_size: 32
  - .args:
      - .offset:         0
        .size:           112
        .value_kind:     by_value
    .group_segment_fixed_size: 0
    .kernarg_segment_align: 8
    .kernarg_segment_size: 112
    .language:       OpenCL C
    .language_version:
      - 2
      - 0
    .max_flat_workgroup_size: 256
    .name:           _ZN7rocprim17ROCPRIM_400000_NS6detail17trampoline_kernelINS0_14default_configENS1_27scan_by_key_config_selectorIijEEZZNS1_16scan_by_key_implILNS1_25lookback_scan_determinismE0ELb0ES3_N6thrust23THRUST_200600_302600_NS6detail15normal_iteratorINS9_10device_ptrIiEEEENSB_INSC_IjEEEESG_jNS9_4plusIvEENS9_8equal_toIvEEjEE10hipError_tPvRmT2_T3_T4_T5_mT6_T7_P12ihipStream_tbENKUlT_T0_E_clISt17integral_constantIbLb1EES10_IbLb0EEEEDaSW_SX_EUlSW_E_NS1_11comp_targetILNS1_3genE2ELNS1_11target_archE906ELNS1_3gpuE6ELNS1_3repE0EEENS1_30default_config_static_selectorELNS0_4arch9wavefront6targetE0EEEvT1_
    .private_segment_fixed_size: 0
    .sgpr_count:     0
    .sgpr_spill_count: 0
    .symbol:         _ZN7rocprim17ROCPRIM_400000_NS6detail17trampoline_kernelINS0_14default_configENS1_27scan_by_key_config_selectorIijEEZZNS1_16scan_by_key_implILNS1_25lookback_scan_determinismE0ELb0ES3_N6thrust23THRUST_200600_302600_NS6detail15normal_iteratorINS9_10device_ptrIiEEEENSB_INSC_IjEEEESG_jNS9_4plusIvEENS9_8equal_toIvEEjEE10hipError_tPvRmT2_T3_T4_T5_mT6_T7_P12ihipStream_tbENKUlT_T0_E_clISt17integral_constantIbLb1EES10_IbLb0EEEEDaSW_SX_EUlSW_E_NS1_11comp_targetILNS1_3genE2ELNS1_11target_archE906ELNS1_3gpuE6ELNS1_3repE0EEENS1_30default_config_static_selectorELNS0_4arch9wavefront6targetE0EEEvT1_.kd
    .uniform_work_group_size: 1
    .uses_dynamic_stack: false
    .vgpr_count:     0
    .vgpr_spill_count: 0
    .wavefront_size: 32
  - .args:
      - .offset:         0
        .size:           112
        .value_kind:     by_value
    .group_segment_fixed_size: 0
    .kernarg_segment_align: 8
    .kernarg_segment_size: 112
    .language:       OpenCL C
    .language_version:
      - 2
      - 0
    .max_flat_workgroup_size: 256
    .name:           _ZN7rocprim17ROCPRIM_400000_NS6detail17trampoline_kernelINS0_14default_configENS1_27scan_by_key_config_selectorIijEEZZNS1_16scan_by_key_implILNS1_25lookback_scan_determinismE0ELb0ES3_N6thrust23THRUST_200600_302600_NS6detail15normal_iteratorINS9_10device_ptrIiEEEENSB_INSC_IjEEEESG_jNS9_4plusIvEENS9_8equal_toIvEEjEE10hipError_tPvRmT2_T3_T4_T5_mT6_T7_P12ihipStream_tbENKUlT_T0_E_clISt17integral_constantIbLb1EES10_IbLb0EEEEDaSW_SX_EUlSW_E_NS1_11comp_targetILNS1_3genE10ELNS1_11target_archE1200ELNS1_3gpuE4ELNS1_3repE0EEENS1_30default_config_static_selectorELNS0_4arch9wavefront6targetE0EEEvT1_
    .private_segment_fixed_size: 0
    .sgpr_count:     0
    .sgpr_spill_count: 0
    .symbol:         _ZN7rocprim17ROCPRIM_400000_NS6detail17trampoline_kernelINS0_14default_configENS1_27scan_by_key_config_selectorIijEEZZNS1_16scan_by_key_implILNS1_25lookback_scan_determinismE0ELb0ES3_N6thrust23THRUST_200600_302600_NS6detail15normal_iteratorINS9_10device_ptrIiEEEENSB_INSC_IjEEEESG_jNS9_4plusIvEENS9_8equal_toIvEEjEE10hipError_tPvRmT2_T3_T4_T5_mT6_T7_P12ihipStream_tbENKUlT_T0_E_clISt17integral_constantIbLb1EES10_IbLb0EEEEDaSW_SX_EUlSW_E_NS1_11comp_targetILNS1_3genE10ELNS1_11target_archE1200ELNS1_3gpuE4ELNS1_3repE0EEENS1_30default_config_static_selectorELNS0_4arch9wavefront6targetE0EEEvT1_.kd
    .uniform_work_group_size: 1
    .uses_dynamic_stack: false
    .vgpr_count:     0
    .vgpr_spill_count: 0
    .wavefront_size: 32
  - .args:
      - .offset:         0
        .size:           112
        .value_kind:     by_value
    .group_segment_fixed_size: 0
    .kernarg_segment_align: 8
    .kernarg_segment_size: 112
    .language:       OpenCL C
    .language_version:
      - 2
      - 0
    .max_flat_workgroup_size: 256
    .name:           _ZN7rocprim17ROCPRIM_400000_NS6detail17trampoline_kernelINS0_14default_configENS1_27scan_by_key_config_selectorIijEEZZNS1_16scan_by_key_implILNS1_25lookback_scan_determinismE0ELb0ES3_N6thrust23THRUST_200600_302600_NS6detail15normal_iteratorINS9_10device_ptrIiEEEENSB_INSC_IjEEEESG_jNS9_4plusIvEENS9_8equal_toIvEEjEE10hipError_tPvRmT2_T3_T4_T5_mT6_T7_P12ihipStream_tbENKUlT_T0_E_clISt17integral_constantIbLb1EES10_IbLb0EEEEDaSW_SX_EUlSW_E_NS1_11comp_targetILNS1_3genE9ELNS1_11target_archE1100ELNS1_3gpuE3ELNS1_3repE0EEENS1_30default_config_static_selectorELNS0_4arch9wavefront6targetE0EEEvT1_
    .private_segment_fixed_size: 0
    .sgpr_count:     0
    .sgpr_spill_count: 0
    .symbol:         _ZN7rocprim17ROCPRIM_400000_NS6detail17trampoline_kernelINS0_14default_configENS1_27scan_by_key_config_selectorIijEEZZNS1_16scan_by_key_implILNS1_25lookback_scan_determinismE0ELb0ES3_N6thrust23THRUST_200600_302600_NS6detail15normal_iteratorINS9_10device_ptrIiEEEENSB_INSC_IjEEEESG_jNS9_4plusIvEENS9_8equal_toIvEEjEE10hipError_tPvRmT2_T3_T4_T5_mT6_T7_P12ihipStream_tbENKUlT_T0_E_clISt17integral_constantIbLb1EES10_IbLb0EEEEDaSW_SX_EUlSW_E_NS1_11comp_targetILNS1_3genE9ELNS1_11target_archE1100ELNS1_3gpuE3ELNS1_3repE0EEENS1_30default_config_static_selectorELNS0_4arch9wavefront6targetE0EEEvT1_.kd
    .uniform_work_group_size: 1
    .uses_dynamic_stack: false
    .vgpr_count:     0
    .vgpr_spill_count: 0
    .wavefront_size: 32
  - .args:
      - .offset:         0
        .size:           112
        .value_kind:     by_value
    .group_segment_fixed_size: 0
    .kernarg_segment_align: 8
    .kernarg_segment_size: 112
    .language:       OpenCL C
    .language_version:
      - 2
      - 0
    .max_flat_workgroup_size: 256
    .name:           _ZN7rocprim17ROCPRIM_400000_NS6detail17trampoline_kernelINS0_14default_configENS1_27scan_by_key_config_selectorIijEEZZNS1_16scan_by_key_implILNS1_25lookback_scan_determinismE0ELb0ES3_N6thrust23THRUST_200600_302600_NS6detail15normal_iteratorINS9_10device_ptrIiEEEENSB_INSC_IjEEEESG_jNS9_4plusIvEENS9_8equal_toIvEEjEE10hipError_tPvRmT2_T3_T4_T5_mT6_T7_P12ihipStream_tbENKUlT_T0_E_clISt17integral_constantIbLb1EES10_IbLb0EEEEDaSW_SX_EUlSW_E_NS1_11comp_targetILNS1_3genE8ELNS1_11target_archE1030ELNS1_3gpuE2ELNS1_3repE0EEENS1_30default_config_static_selectorELNS0_4arch9wavefront6targetE0EEEvT1_
    .private_segment_fixed_size: 0
    .sgpr_count:     0
    .sgpr_spill_count: 0
    .symbol:         _ZN7rocprim17ROCPRIM_400000_NS6detail17trampoline_kernelINS0_14default_configENS1_27scan_by_key_config_selectorIijEEZZNS1_16scan_by_key_implILNS1_25lookback_scan_determinismE0ELb0ES3_N6thrust23THRUST_200600_302600_NS6detail15normal_iteratorINS9_10device_ptrIiEEEENSB_INSC_IjEEEESG_jNS9_4plusIvEENS9_8equal_toIvEEjEE10hipError_tPvRmT2_T3_T4_T5_mT6_T7_P12ihipStream_tbENKUlT_T0_E_clISt17integral_constantIbLb1EES10_IbLb0EEEEDaSW_SX_EUlSW_E_NS1_11comp_targetILNS1_3genE8ELNS1_11target_archE1030ELNS1_3gpuE2ELNS1_3repE0EEENS1_30default_config_static_selectorELNS0_4arch9wavefront6targetE0EEEvT1_.kd
    .uniform_work_group_size: 1
    .uses_dynamic_stack: false
    .vgpr_count:     0
    .vgpr_spill_count: 0
    .wavefront_size: 32
  - .args:
      - .address_space:  global
        .offset:         0
        .size:           8
        .value_kind:     global_buffer
      - .offset:         8
        .size:           4
        .value_kind:     by_value
      - .offset:         12
        .size:           4
        .value_kind:     by_value
      - .address_space:  global
        .offset:         16
        .size:           8
        .value_kind:     global_buffer
      - .address_space:  global
        .offset:         24
        .size:           8
        .value_kind:     global_buffer
      - .actual_access:  write_only
        .address_space:  global
        .offset:         32
        .size:           8
        .value_kind:     global_buffer
      - .offset:         40
        .size:           8
        .value_kind:     by_value
      - .offset:         48
        .size:           4
        .value_kind:     by_value
      - .address_space:  global
        .offset:         56
        .size:           8
        .value_kind:     global_buffer
      - .offset:         64
        .size:           4
        .value_kind:     hidden_block_count_x
      - .offset:         68
        .size:           4
        .value_kind:     hidden_block_count_y
      - .offset:         72
        .size:           4
        .value_kind:     hidden_block_count_z
      - .offset:         76
        .size:           2
        .value_kind:     hidden_group_size_x
      - .offset:         78
        .size:           2
        .value_kind:     hidden_group_size_y
      - .offset:         80
        .size:           2
        .value_kind:     hidden_group_size_z
      - .offset:         82
        .size:           2
        .value_kind:     hidden_remainder_x
      - .offset:         84
        .size:           2
        .value_kind:     hidden_remainder_y
      - .offset:         86
        .size:           2
        .value_kind:     hidden_remainder_z
      - .offset:         104
        .size:           8
        .value_kind:     hidden_global_offset_x
      - .offset:         112
        .size:           8
        .value_kind:     hidden_global_offset_y
      - .offset:         120
        .size:           8
        .value_kind:     hidden_global_offset_z
      - .offset:         128
        .size:           2
        .value_kind:     hidden_grid_dims
    .group_segment_fixed_size: 0
    .kernarg_segment_align: 8
    .kernarg_segment_size: 320
    .language:       OpenCL C
    .language_version:
      - 2
      - 0
    .max_flat_workgroup_size: 256
    .name:           _ZN7rocprim17ROCPRIM_400000_NS6detail30init_device_scan_by_key_kernelINS1_19lookback_scan_stateINS0_5tupleIJjbEEELb0ELb1EEEN6thrust23THRUST_200600_302600_NS6detail15normal_iteratorINS8_10device_ptrIiEEEEjNS1_16block_id_wrapperIjLb1EEEEEvT_jjPNSG_10value_typeET0_PNSt15iterator_traitsISJ_E10value_typeEmT1_T2_
    .private_segment_fixed_size: 0
    .sgpr_count:     19
    .sgpr_spill_count: 0
    .symbol:         _ZN7rocprim17ROCPRIM_400000_NS6detail30init_device_scan_by_key_kernelINS1_19lookback_scan_stateINS0_5tupleIJjbEEELb0ELb1EEEN6thrust23THRUST_200600_302600_NS6detail15normal_iteratorINS8_10device_ptrIiEEEEjNS1_16block_id_wrapperIjLb1EEEEEvT_jjPNSG_10value_typeET0_PNSt15iterator_traitsISJ_E10value_typeEmT1_T2_.kd
    .uniform_work_group_size: 1
    .uses_dynamic_stack: false
    .vgpr_count:     10
    .vgpr_spill_count: 0
    .wavefront_size: 32
  - .args:
      - .address_space:  global
        .offset:         0
        .size:           8
        .value_kind:     global_buffer
      - .offset:         8
        .size:           4
        .value_kind:     by_value
      - .offset:         12
        .size:           4
        .value_kind:     by_value
      - .address_space:  global
        .offset:         16
        .size:           8
        .value_kind:     global_buffer
      - .address_space:  global
        .offset:         24
        .size:           8
        .value_kind:     global_buffer
      - .offset:         32
        .size:           4
        .value_kind:     hidden_block_count_x
      - .offset:         36
        .size:           4
        .value_kind:     hidden_block_count_y
      - .offset:         40
        .size:           4
        .value_kind:     hidden_block_count_z
      - .offset:         44
        .size:           2
        .value_kind:     hidden_group_size_x
      - .offset:         46
        .size:           2
        .value_kind:     hidden_group_size_y
      - .offset:         48
        .size:           2
        .value_kind:     hidden_group_size_z
      - .offset:         50
        .size:           2
        .value_kind:     hidden_remainder_x
      - .offset:         52
        .size:           2
        .value_kind:     hidden_remainder_y
      - .offset:         54
        .size:           2
        .value_kind:     hidden_remainder_z
      - .offset:         72
        .size:           8
        .value_kind:     hidden_global_offset_x
      - .offset:         80
        .size:           8
        .value_kind:     hidden_global_offset_y
      - .offset:         88
        .size:           8
        .value_kind:     hidden_global_offset_z
      - .offset:         96
        .size:           2
        .value_kind:     hidden_grid_dims
    .group_segment_fixed_size: 0
    .kernarg_segment_align: 8
    .kernarg_segment_size: 288
    .language:       OpenCL C
    .language_version:
      - 2
      - 0
    .max_flat_workgroup_size: 256
    .name:           _ZN7rocprim17ROCPRIM_400000_NS6detail30init_device_scan_by_key_kernelINS1_19lookback_scan_stateINS0_5tupleIJjbEEELb0ELb1EEENS1_16block_id_wrapperIjLb1EEEEEvT_jjPNS9_10value_typeET0_
    .private_segment_fixed_size: 0
    .sgpr_count:     15
    .sgpr_spill_count: 0
    .symbol:         _ZN7rocprim17ROCPRIM_400000_NS6detail30init_device_scan_by_key_kernelINS1_19lookback_scan_stateINS0_5tupleIJjbEEELb0ELb1EEENS1_16block_id_wrapperIjLb1EEEEEvT_jjPNS9_10value_typeET0_.kd
    .uniform_work_group_size: 1
    .uses_dynamic_stack: false
    .vgpr_count:     9
    .vgpr_spill_count: 0
    .wavefront_size: 32
  - .args:
      - .offset:         0
        .size:           112
        .value_kind:     by_value
    .group_segment_fixed_size: 14336
    .kernarg_segment_align: 8
    .kernarg_segment_size: 112
    .language:       OpenCL C
    .language_version:
      - 2
      - 0
    .max_flat_workgroup_size: 256
    .name:           _ZN7rocprim17ROCPRIM_400000_NS6detail17trampoline_kernelINS0_14default_configENS1_27scan_by_key_config_selectorIijEEZZNS1_16scan_by_key_implILNS1_25lookback_scan_determinismE0ELb0ES3_N6thrust23THRUST_200600_302600_NS6detail15normal_iteratorINS9_10device_ptrIiEEEENSB_INSC_IjEEEESG_jNS9_4plusIvEENS9_8equal_toIvEEjEE10hipError_tPvRmT2_T3_T4_T5_mT6_T7_P12ihipStream_tbENKUlT_T0_E_clISt17integral_constantIbLb0EES10_IbLb1EEEEDaSW_SX_EUlSW_E_NS1_11comp_targetILNS1_3genE0ELNS1_11target_archE4294967295ELNS1_3gpuE0ELNS1_3repE0EEENS1_30default_config_static_selectorELNS0_4arch9wavefront6targetE0EEEvT1_
    .private_segment_fixed_size: 0
    .sgpr_count:     46
    .sgpr_spill_count: 0
    .symbol:         _ZN7rocprim17ROCPRIM_400000_NS6detail17trampoline_kernelINS0_14default_configENS1_27scan_by_key_config_selectorIijEEZZNS1_16scan_by_key_implILNS1_25lookback_scan_determinismE0ELb0ES3_N6thrust23THRUST_200600_302600_NS6detail15normal_iteratorINS9_10device_ptrIiEEEENSB_INSC_IjEEEESG_jNS9_4plusIvEENS9_8equal_toIvEEjEE10hipError_tPvRmT2_T3_T4_T5_mT6_T7_P12ihipStream_tbENKUlT_T0_E_clISt17integral_constantIbLb0EES10_IbLb1EEEEDaSW_SX_EUlSW_E_NS1_11comp_targetILNS1_3genE0ELNS1_11target_archE4294967295ELNS1_3gpuE0ELNS1_3repE0EEENS1_30default_config_static_selectorELNS0_4arch9wavefront6targetE0EEEvT1_.kd
    .uniform_work_group_size: 1
    .uses_dynamic_stack: false
    .vgpr_count:     60
    .vgpr_spill_count: 0
    .wavefront_size: 32
  - .args:
      - .offset:         0
        .size:           112
        .value_kind:     by_value
    .group_segment_fixed_size: 0
    .kernarg_segment_align: 8
    .kernarg_segment_size: 112
    .language:       OpenCL C
    .language_version:
      - 2
      - 0
    .max_flat_workgroup_size: 256
    .name:           _ZN7rocprim17ROCPRIM_400000_NS6detail17trampoline_kernelINS0_14default_configENS1_27scan_by_key_config_selectorIijEEZZNS1_16scan_by_key_implILNS1_25lookback_scan_determinismE0ELb0ES3_N6thrust23THRUST_200600_302600_NS6detail15normal_iteratorINS9_10device_ptrIiEEEENSB_INSC_IjEEEESG_jNS9_4plusIvEENS9_8equal_toIvEEjEE10hipError_tPvRmT2_T3_T4_T5_mT6_T7_P12ihipStream_tbENKUlT_T0_E_clISt17integral_constantIbLb0EES10_IbLb1EEEEDaSW_SX_EUlSW_E_NS1_11comp_targetILNS1_3genE10ELNS1_11target_archE1201ELNS1_3gpuE5ELNS1_3repE0EEENS1_30default_config_static_selectorELNS0_4arch9wavefront6targetE0EEEvT1_
    .private_segment_fixed_size: 0
    .sgpr_count:     0
    .sgpr_spill_count: 0
    .symbol:         _ZN7rocprim17ROCPRIM_400000_NS6detail17trampoline_kernelINS0_14default_configENS1_27scan_by_key_config_selectorIijEEZZNS1_16scan_by_key_implILNS1_25lookback_scan_determinismE0ELb0ES3_N6thrust23THRUST_200600_302600_NS6detail15normal_iteratorINS9_10device_ptrIiEEEENSB_INSC_IjEEEESG_jNS9_4plusIvEENS9_8equal_toIvEEjEE10hipError_tPvRmT2_T3_T4_T5_mT6_T7_P12ihipStream_tbENKUlT_T0_E_clISt17integral_constantIbLb0EES10_IbLb1EEEEDaSW_SX_EUlSW_E_NS1_11comp_targetILNS1_3genE10ELNS1_11target_archE1201ELNS1_3gpuE5ELNS1_3repE0EEENS1_30default_config_static_selectorELNS0_4arch9wavefront6targetE0EEEvT1_.kd
    .uniform_work_group_size: 1
    .uses_dynamic_stack: false
    .vgpr_count:     0
    .vgpr_spill_count: 0
    .wavefront_size: 32
  - .args:
      - .offset:         0
        .size:           112
        .value_kind:     by_value
    .group_segment_fixed_size: 0
    .kernarg_segment_align: 8
    .kernarg_segment_size: 112
    .language:       OpenCL C
    .language_version:
      - 2
      - 0
    .max_flat_workgroup_size: 256
    .name:           _ZN7rocprim17ROCPRIM_400000_NS6detail17trampoline_kernelINS0_14default_configENS1_27scan_by_key_config_selectorIijEEZZNS1_16scan_by_key_implILNS1_25lookback_scan_determinismE0ELb0ES3_N6thrust23THRUST_200600_302600_NS6detail15normal_iteratorINS9_10device_ptrIiEEEENSB_INSC_IjEEEESG_jNS9_4plusIvEENS9_8equal_toIvEEjEE10hipError_tPvRmT2_T3_T4_T5_mT6_T7_P12ihipStream_tbENKUlT_T0_E_clISt17integral_constantIbLb0EES10_IbLb1EEEEDaSW_SX_EUlSW_E_NS1_11comp_targetILNS1_3genE5ELNS1_11target_archE942ELNS1_3gpuE9ELNS1_3repE0EEENS1_30default_config_static_selectorELNS0_4arch9wavefront6targetE0EEEvT1_
    .private_segment_fixed_size: 0
    .sgpr_count:     0
    .sgpr_spill_count: 0
    .symbol:         _ZN7rocprim17ROCPRIM_400000_NS6detail17trampoline_kernelINS0_14default_configENS1_27scan_by_key_config_selectorIijEEZZNS1_16scan_by_key_implILNS1_25lookback_scan_determinismE0ELb0ES3_N6thrust23THRUST_200600_302600_NS6detail15normal_iteratorINS9_10device_ptrIiEEEENSB_INSC_IjEEEESG_jNS9_4plusIvEENS9_8equal_toIvEEjEE10hipError_tPvRmT2_T3_T4_T5_mT6_T7_P12ihipStream_tbENKUlT_T0_E_clISt17integral_constantIbLb0EES10_IbLb1EEEEDaSW_SX_EUlSW_E_NS1_11comp_targetILNS1_3genE5ELNS1_11target_archE942ELNS1_3gpuE9ELNS1_3repE0EEENS1_30default_config_static_selectorELNS0_4arch9wavefront6targetE0EEEvT1_.kd
    .uniform_work_group_size: 1
    .uses_dynamic_stack: false
    .vgpr_count:     0
    .vgpr_spill_count: 0
    .wavefront_size: 32
  - .args:
      - .offset:         0
        .size:           112
        .value_kind:     by_value
    .group_segment_fixed_size: 0
    .kernarg_segment_align: 8
    .kernarg_segment_size: 112
    .language:       OpenCL C
    .language_version:
      - 2
      - 0
    .max_flat_workgroup_size: 256
    .name:           _ZN7rocprim17ROCPRIM_400000_NS6detail17trampoline_kernelINS0_14default_configENS1_27scan_by_key_config_selectorIijEEZZNS1_16scan_by_key_implILNS1_25lookback_scan_determinismE0ELb0ES3_N6thrust23THRUST_200600_302600_NS6detail15normal_iteratorINS9_10device_ptrIiEEEENSB_INSC_IjEEEESG_jNS9_4plusIvEENS9_8equal_toIvEEjEE10hipError_tPvRmT2_T3_T4_T5_mT6_T7_P12ihipStream_tbENKUlT_T0_E_clISt17integral_constantIbLb0EES10_IbLb1EEEEDaSW_SX_EUlSW_E_NS1_11comp_targetILNS1_3genE4ELNS1_11target_archE910ELNS1_3gpuE8ELNS1_3repE0EEENS1_30default_config_static_selectorELNS0_4arch9wavefront6targetE0EEEvT1_
    .private_segment_fixed_size: 0
    .sgpr_count:     0
    .sgpr_spill_count: 0
    .symbol:         _ZN7rocprim17ROCPRIM_400000_NS6detail17trampoline_kernelINS0_14default_configENS1_27scan_by_key_config_selectorIijEEZZNS1_16scan_by_key_implILNS1_25lookback_scan_determinismE0ELb0ES3_N6thrust23THRUST_200600_302600_NS6detail15normal_iteratorINS9_10device_ptrIiEEEENSB_INSC_IjEEEESG_jNS9_4plusIvEENS9_8equal_toIvEEjEE10hipError_tPvRmT2_T3_T4_T5_mT6_T7_P12ihipStream_tbENKUlT_T0_E_clISt17integral_constantIbLb0EES10_IbLb1EEEEDaSW_SX_EUlSW_E_NS1_11comp_targetILNS1_3genE4ELNS1_11target_archE910ELNS1_3gpuE8ELNS1_3repE0EEENS1_30default_config_static_selectorELNS0_4arch9wavefront6targetE0EEEvT1_.kd
    .uniform_work_group_size: 1
    .uses_dynamic_stack: false
    .vgpr_count:     0
    .vgpr_spill_count: 0
    .wavefront_size: 32
  - .args:
      - .offset:         0
        .size:           112
        .value_kind:     by_value
    .group_segment_fixed_size: 0
    .kernarg_segment_align: 8
    .kernarg_segment_size: 112
    .language:       OpenCL C
    .language_version:
      - 2
      - 0
    .max_flat_workgroup_size: 256
    .name:           _ZN7rocprim17ROCPRIM_400000_NS6detail17trampoline_kernelINS0_14default_configENS1_27scan_by_key_config_selectorIijEEZZNS1_16scan_by_key_implILNS1_25lookback_scan_determinismE0ELb0ES3_N6thrust23THRUST_200600_302600_NS6detail15normal_iteratorINS9_10device_ptrIiEEEENSB_INSC_IjEEEESG_jNS9_4plusIvEENS9_8equal_toIvEEjEE10hipError_tPvRmT2_T3_T4_T5_mT6_T7_P12ihipStream_tbENKUlT_T0_E_clISt17integral_constantIbLb0EES10_IbLb1EEEEDaSW_SX_EUlSW_E_NS1_11comp_targetILNS1_3genE3ELNS1_11target_archE908ELNS1_3gpuE7ELNS1_3repE0EEENS1_30default_config_static_selectorELNS0_4arch9wavefront6targetE0EEEvT1_
    .private_segment_fixed_size: 0
    .sgpr_count:     0
    .sgpr_spill_count: 0
    .symbol:         _ZN7rocprim17ROCPRIM_400000_NS6detail17trampoline_kernelINS0_14default_configENS1_27scan_by_key_config_selectorIijEEZZNS1_16scan_by_key_implILNS1_25lookback_scan_determinismE0ELb0ES3_N6thrust23THRUST_200600_302600_NS6detail15normal_iteratorINS9_10device_ptrIiEEEENSB_INSC_IjEEEESG_jNS9_4plusIvEENS9_8equal_toIvEEjEE10hipError_tPvRmT2_T3_T4_T5_mT6_T7_P12ihipStream_tbENKUlT_T0_E_clISt17integral_constantIbLb0EES10_IbLb1EEEEDaSW_SX_EUlSW_E_NS1_11comp_targetILNS1_3genE3ELNS1_11target_archE908ELNS1_3gpuE7ELNS1_3repE0EEENS1_30default_config_static_selectorELNS0_4arch9wavefront6targetE0EEEvT1_.kd
    .uniform_work_group_size: 1
    .uses_dynamic_stack: false
    .vgpr_count:     0
    .vgpr_spill_count: 0
    .wavefront_size: 32
  - .args:
      - .offset:         0
        .size:           112
        .value_kind:     by_value
    .group_segment_fixed_size: 0
    .kernarg_segment_align: 8
    .kernarg_segment_size: 112
    .language:       OpenCL C
    .language_version:
      - 2
      - 0
    .max_flat_workgroup_size: 256
    .name:           _ZN7rocprim17ROCPRIM_400000_NS6detail17trampoline_kernelINS0_14default_configENS1_27scan_by_key_config_selectorIijEEZZNS1_16scan_by_key_implILNS1_25lookback_scan_determinismE0ELb0ES3_N6thrust23THRUST_200600_302600_NS6detail15normal_iteratorINS9_10device_ptrIiEEEENSB_INSC_IjEEEESG_jNS9_4plusIvEENS9_8equal_toIvEEjEE10hipError_tPvRmT2_T3_T4_T5_mT6_T7_P12ihipStream_tbENKUlT_T0_E_clISt17integral_constantIbLb0EES10_IbLb1EEEEDaSW_SX_EUlSW_E_NS1_11comp_targetILNS1_3genE2ELNS1_11target_archE906ELNS1_3gpuE6ELNS1_3repE0EEENS1_30default_config_static_selectorELNS0_4arch9wavefront6targetE0EEEvT1_
    .private_segment_fixed_size: 0
    .sgpr_count:     0
    .sgpr_spill_count: 0
    .symbol:         _ZN7rocprim17ROCPRIM_400000_NS6detail17trampoline_kernelINS0_14default_configENS1_27scan_by_key_config_selectorIijEEZZNS1_16scan_by_key_implILNS1_25lookback_scan_determinismE0ELb0ES3_N6thrust23THRUST_200600_302600_NS6detail15normal_iteratorINS9_10device_ptrIiEEEENSB_INSC_IjEEEESG_jNS9_4plusIvEENS9_8equal_toIvEEjEE10hipError_tPvRmT2_T3_T4_T5_mT6_T7_P12ihipStream_tbENKUlT_T0_E_clISt17integral_constantIbLb0EES10_IbLb1EEEEDaSW_SX_EUlSW_E_NS1_11comp_targetILNS1_3genE2ELNS1_11target_archE906ELNS1_3gpuE6ELNS1_3repE0EEENS1_30default_config_static_selectorELNS0_4arch9wavefront6targetE0EEEvT1_.kd
    .uniform_work_group_size: 1
    .uses_dynamic_stack: false
    .vgpr_count:     0
    .vgpr_spill_count: 0
    .wavefront_size: 32
  - .args:
      - .offset:         0
        .size:           112
        .value_kind:     by_value
    .group_segment_fixed_size: 0
    .kernarg_segment_align: 8
    .kernarg_segment_size: 112
    .language:       OpenCL C
    .language_version:
      - 2
      - 0
    .max_flat_workgroup_size: 256
    .name:           _ZN7rocprim17ROCPRIM_400000_NS6detail17trampoline_kernelINS0_14default_configENS1_27scan_by_key_config_selectorIijEEZZNS1_16scan_by_key_implILNS1_25lookback_scan_determinismE0ELb0ES3_N6thrust23THRUST_200600_302600_NS6detail15normal_iteratorINS9_10device_ptrIiEEEENSB_INSC_IjEEEESG_jNS9_4plusIvEENS9_8equal_toIvEEjEE10hipError_tPvRmT2_T3_T4_T5_mT6_T7_P12ihipStream_tbENKUlT_T0_E_clISt17integral_constantIbLb0EES10_IbLb1EEEEDaSW_SX_EUlSW_E_NS1_11comp_targetILNS1_3genE10ELNS1_11target_archE1200ELNS1_3gpuE4ELNS1_3repE0EEENS1_30default_config_static_selectorELNS0_4arch9wavefront6targetE0EEEvT1_
    .private_segment_fixed_size: 0
    .sgpr_count:     0
    .sgpr_spill_count: 0
    .symbol:         _ZN7rocprim17ROCPRIM_400000_NS6detail17trampoline_kernelINS0_14default_configENS1_27scan_by_key_config_selectorIijEEZZNS1_16scan_by_key_implILNS1_25lookback_scan_determinismE0ELb0ES3_N6thrust23THRUST_200600_302600_NS6detail15normal_iteratorINS9_10device_ptrIiEEEENSB_INSC_IjEEEESG_jNS9_4plusIvEENS9_8equal_toIvEEjEE10hipError_tPvRmT2_T3_T4_T5_mT6_T7_P12ihipStream_tbENKUlT_T0_E_clISt17integral_constantIbLb0EES10_IbLb1EEEEDaSW_SX_EUlSW_E_NS1_11comp_targetILNS1_3genE10ELNS1_11target_archE1200ELNS1_3gpuE4ELNS1_3repE0EEENS1_30default_config_static_selectorELNS0_4arch9wavefront6targetE0EEEvT1_.kd
    .uniform_work_group_size: 1
    .uses_dynamic_stack: false
    .vgpr_count:     0
    .vgpr_spill_count: 0
    .wavefront_size: 32
  - .args:
      - .offset:         0
        .size:           112
        .value_kind:     by_value
    .group_segment_fixed_size: 0
    .kernarg_segment_align: 8
    .kernarg_segment_size: 112
    .language:       OpenCL C
    .language_version:
      - 2
      - 0
    .max_flat_workgroup_size: 256
    .name:           _ZN7rocprim17ROCPRIM_400000_NS6detail17trampoline_kernelINS0_14default_configENS1_27scan_by_key_config_selectorIijEEZZNS1_16scan_by_key_implILNS1_25lookback_scan_determinismE0ELb0ES3_N6thrust23THRUST_200600_302600_NS6detail15normal_iteratorINS9_10device_ptrIiEEEENSB_INSC_IjEEEESG_jNS9_4plusIvEENS9_8equal_toIvEEjEE10hipError_tPvRmT2_T3_T4_T5_mT6_T7_P12ihipStream_tbENKUlT_T0_E_clISt17integral_constantIbLb0EES10_IbLb1EEEEDaSW_SX_EUlSW_E_NS1_11comp_targetILNS1_3genE9ELNS1_11target_archE1100ELNS1_3gpuE3ELNS1_3repE0EEENS1_30default_config_static_selectorELNS0_4arch9wavefront6targetE0EEEvT1_
    .private_segment_fixed_size: 0
    .sgpr_count:     0
    .sgpr_spill_count: 0
    .symbol:         _ZN7rocprim17ROCPRIM_400000_NS6detail17trampoline_kernelINS0_14default_configENS1_27scan_by_key_config_selectorIijEEZZNS1_16scan_by_key_implILNS1_25lookback_scan_determinismE0ELb0ES3_N6thrust23THRUST_200600_302600_NS6detail15normal_iteratorINS9_10device_ptrIiEEEENSB_INSC_IjEEEESG_jNS9_4plusIvEENS9_8equal_toIvEEjEE10hipError_tPvRmT2_T3_T4_T5_mT6_T7_P12ihipStream_tbENKUlT_T0_E_clISt17integral_constantIbLb0EES10_IbLb1EEEEDaSW_SX_EUlSW_E_NS1_11comp_targetILNS1_3genE9ELNS1_11target_archE1100ELNS1_3gpuE3ELNS1_3repE0EEENS1_30default_config_static_selectorELNS0_4arch9wavefront6targetE0EEEvT1_.kd
    .uniform_work_group_size: 1
    .uses_dynamic_stack: false
    .vgpr_count:     0
    .vgpr_spill_count: 0
    .wavefront_size: 32
  - .args:
      - .offset:         0
        .size:           112
        .value_kind:     by_value
    .group_segment_fixed_size: 0
    .kernarg_segment_align: 8
    .kernarg_segment_size: 112
    .language:       OpenCL C
    .language_version:
      - 2
      - 0
    .max_flat_workgroup_size: 256
    .name:           _ZN7rocprim17ROCPRIM_400000_NS6detail17trampoline_kernelINS0_14default_configENS1_27scan_by_key_config_selectorIijEEZZNS1_16scan_by_key_implILNS1_25lookback_scan_determinismE0ELb0ES3_N6thrust23THRUST_200600_302600_NS6detail15normal_iteratorINS9_10device_ptrIiEEEENSB_INSC_IjEEEESG_jNS9_4plusIvEENS9_8equal_toIvEEjEE10hipError_tPvRmT2_T3_T4_T5_mT6_T7_P12ihipStream_tbENKUlT_T0_E_clISt17integral_constantIbLb0EES10_IbLb1EEEEDaSW_SX_EUlSW_E_NS1_11comp_targetILNS1_3genE8ELNS1_11target_archE1030ELNS1_3gpuE2ELNS1_3repE0EEENS1_30default_config_static_selectorELNS0_4arch9wavefront6targetE0EEEvT1_
    .private_segment_fixed_size: 0
    .sgpr_count:     0
    .sgpr_spill_count: 0
    .symbol:         _ZN7rocprim17ROCPRIM_400000_NS6detail17trampoline_kernelINS0_14default_configENS1_27scan_by_key_config_selectorIijEEZZNS1_16scan_by_key_implILNS1_25lookback_scan_determinismE0ELb0ES3_N6thrust23THRUST_200600_302600_NS6detail15normal_iteratorINS9_10device_ptrIiEEEENSB_INSC_IjEEEESG_jNS9_4plusIvEENS9_8equal_toIvEEjEE10hipError_tPvRmT2_T3_T4_T5_mT6_T7_P12ihipStream_tbENKUlT_T0_E_clISt17integral_constantIbLb0EES10_IbLb1EEEEDaSW_SX_EUlSW_E_NS1_11comp_targetILNS1_3genE8ELNS1_11target_archE1030ELNS1_3gpuE2ELNS1_3repE0EEENS1_30default_config_static_selectorELNS0_4arch9wavefront6targetE0EEEvT1_.kd
    .uniform_work_group_size: 1
    .uses_dynamic_stack: false
    .vgpr_count:     0
    .vgpr_spill_count: 0
    .wavefront_size: 32
  - .args:
      - .offset:         0
        .size:           24
        .value_kind:     by_value
      - .offset:         24
        .size:           8
        .value_kind:     by_value
      - .offset:         32
        .size:           8
        .value_kind:     by_value
    .group_segment_fixed_size: 0
    .kernarg_segment_align: 8
    .kernarg_segment_size: 40
    .language:       OpenCL C
    .language_version:
      - 2
      - 0
    .max_flat_workgroup_size: 256
    .name:           _ZN6thrust23THRUST_200600_302600_NS11hip_rocprim14__parallel_for6kernelILj256ENS1_11__transform17unary_transform_fINS0_7pointerIiNS1_3tagENS0_11use_defaultES8_EENS0_10device_ptrItEENS4_14no_stencil_tagENS0_8identityIiEENS4_21always_true_predicateEEElLj1EEEvT0_T1_SI_
    .private_segment_fixed_size: 0
    .sgpr_count:     11
    .sgpr_spill_count: 0
    .symbol:         _ZN6thrust23THRUST_200600_302600_NS11hip_rocprim14__parallel_for6kernelILj256ENS1_11__transform17unary_transform_fINS0_7pointerIiNS1_3tagENS0_11use_defaultES8_EENS0_10device_ptrItEENS4_14no_stencil_tagENS0_8identityIiEENS4_21always_true_predicateEEElLj1EEEvT0_T1_SI_.kd
    .uniform_work_group_size: 1
    .uses_dynamic_stack: false
    .vgpr_count:     6
    .vgpr_spill_count: 0
    .wavefront_size: 32
  - .args:
      - .offset:         0
        .size:           16
        .value_kind:     by_value
      - .offset:         16
        .size:           8
        .value_kind:     by_value
      - .offset:         24
        .size:           8
        .value_kind:     by_value
    .group_segment_fixed_size: 0
    .kernarg_segment_align: 8
    .kernarg_segment_size: 32
    .language:       OpenCL C
    .language_version:
      - 2
      - 0
    .max_flat_workgroup_size: 256
    .name:           _ZN6thrust23THRUST_200600_302600_NS11hip_rocprim14__parallel_for6kernelILj256ENS1_20__uninitialized_fill7functorINS0_10device_ptrItEEtEEmLj1EEEvT0_T1_SA_
    .private_segment_fixed_size: 0
    .sgpr_count:     14
    .sgpr_spill_count: 0
    .symbol:         _ZN6thrust23THRUST_200600_302600_NS11hip_rocprim14__parallel_for6kernelILj256ENS1_20__uninitialized_fill7functorINS0_10device_ptrItEEtEEmLj1EEEvT0_T1_SA_.kd
    .uniform_work_group_size: 1
    .uses_dynamic_stack: false
    .vgpr_count:     2
    .vgpr_spill_count: 0
    .wavefront_size: 32
  - .args:
      - .address_space:  global
        .offset:         0
        .size:           8
        .value_kind:     global_buffer
      - .offset:         8
        .size:           4
        .value_kind:     by_value
      - .offset:         12
        .size:           4
        .value_kind:     by_value
      - .address_space:  global
        .offset:         16
        .size:           8
        .value_kind:     global_buffer
      - .address_space:  global
        .offset:         24
        .size:           8
        .value_kind:     global_buffer
      - .actual_access:  write_only
        .address_space:  global
        .offset:         32
        .size:           8
        .value_kind:     global_buffer
      - .offset:         40
        .size:           8
        .value_kind:     by_value
      - .offset:         48
        .size:           4
        .value_kind:     by_value
      - .offset:         52
        .size:           1
        .value_kind:     by_value
      - .offset:         56
        .size:           4
        .value_kind:     hidden_block_count_x
      - .offset:         60
        .size:           4
        .value_kind:     hidden_block_count_y
      - .offset:         64
        .size:           4
        .value_kind:     hidden_block_count_z
      - .offset:         68
        .size:           2
        .value_kind:     hidden_group_size_x
      - .offset:         70
        .size:           2
        .value_kind:     hidden_group_size_y
      - .offset:         72
        .size:           2
        .value_kind:     hidden_group_size_z
      - .offset:         74
        .size:           2
        .value_kind:     hidden_remainder_x
      - .offset:         76
        .size:           2
        .value_kind:     hidden_remainder_y
      - .offset:         78
        .size:           2
        .value_kind:     hidden_remainder_z
      - .offset:         96
        .size:           8
        .value_kind:     hidden_global_offset_x
      - .offset:         104
        .size:           8
        .value_kind:     hidden_global_offset_y
      - .offset:         112
        .size:           8
        .value_kind:     hidden_global_offset_z
      - .offset:         120
        .size:           2
        .value_kind:     hidden_grid_dims
    .group_segment_fixed_size: 0
    .kernarg_segment_align: 8
    .kernarg_segment_size: 312
    .language:       OpenCL C
    .language_version:
      - 2
      - 0
    .max_flat_workgroup_size: 256
    .name:           _ZN7rocprim17ROCPRIM_400000_NS6detail30init_device_scan_by_key_kernelINS1_19lookback_scan_stateINS0_5tupleIJtbEEELb0ELb1EEEN6thrust23THRUST_200600_302600_NS6detail15normal_iteratorINS8_10device_ptrIiEEEEjNS1_16block_id_wrapperIjLb0EEEEEvT_jjPNSG_10value_typeET0_PNSt15iterator_traitsISJ_E10value_typeEmT1_T2_
    .private_segment_fixed_size: 0
    .sgpr_count:     18
    .sgpr_spill_count: 0
    .symbol:         _ZN7rocprim17ROCPRIM_400000_NS6detail30init_device_scan_by_key_kernelINS1_19lookback_scan_stateINS0_5tupleIJtbEEELb0ELb1EEEN6thrust23THRUST_200600_302600_NS6detail15normal_iteratorINS8_10device_ptrIiEEEEjNS1_16block_id_wrapperIjLb0EEEEEvT_jjPNSG_10value_typeET0_PNSt15iterator_traitsISJ_E10value_typeEmT1_T2_.kd
    .uniform_work_group_size: 1
    .uses_dynamic_stack: false
    .vgpr_count:     7
    .vgpr_spill_count: 0
    .wavefront_size: 32
  - .args:
      - .address_space:  global
        .offset:         0
        .size:           8
        .value_kind:     global_buffer
      - .offset:         8
        .size:           4
        .value_kind:     by_value
      - .offset:         12
        .size:           4
        .value_kind:     by_value
      - .address_space:  global
        .offset:         16
        .size:           8
        .value_kind:     global_buffer
      - .offset:         24
        .size:           1
        .value_kind:     by_value
      - .offset:         32
        .size:           4
        .value_kind:     hidden_block_count_x
      - .offset:         36
        .size:           4
        .value_kind:     hidden_block_count_y
      - .offset:         40
        .size:           4
        .value_kind:     hidden_block_count_z
      - .offset:         44
        .size:           2
        .value_kind:     hidden_group_size_x
      - .offset:         46
        .size:           2
        .value_kind:     hidden_group_size_y
      - .offset:         48
        .size:           2
        .value_kind:     hidden_group_size_z
      - .offset:         50
        .size:           2
        .value_kind:     hidden_remainder_x
      - .offset:         52
        .size:           2
        .value_kind:     hidden_remainder_y
      - .offset:         54
        .size:           2
        .value_kind:     hidden_remainder_z
      - .offset:         72
        .size:           8
        .value_kind:     hidden_global_offset_x
      - .offset:         80
        .size:           8
        .value_kind:     hidden_global_offset_y
      - .offset:         88
        .size:           8
        .value_kind:     hidden_global_offset_z
      - .offset:         96
        .size:           2
        .value_kind:     hidden_grid_dims
    .group_segment_fixed_size: 0
    .kernarg_segment_align: 8
    .kernarg_segment_size: 288
    .language:       OpenCL C
    .language_version:
      - 2
      - 0
    .max_flat_workgroup_size: 256
    .name:           _ZN7rocprim17ROCPRIM_400000_NS6detail30init_device_scan_by_key_kernelINS1_19lookback_scan_stateINS0_5tupleIJtbEEELb0ELb1EEENS1_16block_id_wrapperIjLb0EEEEEvT_jjPNS9_10value_typeET0_
    .private_segment_fixed_size: 0
    .sgpr_count:     12
    .sgpr_spill_count: 0
    .symbol:         _ZN7rocprim17ROCPRIM_400000_NS6detail30init_device_scan_by_key_kernelINS1_19lookback_scan_stateINS0_5tupleIJtbEEELb0ELb1EEENS1_16block_id_wrapperIjLb0EEEEEvT_jjPNS9_10value_typeET0_.kd
    .uniform_work_group_size: 1
    .uses_dynamic_stack: false
    .vgpr_count:     5
    .vgpr_spill_count: 0
    .wavefront_size: 32
  - .args:
      - .offset:         0
        .size:           112
        .value_kind:     by_value
    .group_segment_fixed_size: 16384
    .kernarg_segment_align: 8
    .kernarg_segment_size: 112
    .language:       OpenCL C
    .language_version:
      - 2
      - 0
    .max_flat_workgroup_size: 256
    .name:           _ZN7rocprim17ROCPRIM_400000_NS6detail17trampoline_kernelINS0_14default_configENS1_27scan_by_key_config_selectorIitEEZZNS1_16scan_by_key_implILNS1_25lookback_scan_determinismE0ELb0ES3_N6thrust23THRUST_200600_302600_NS6detail15normal_iteratorINS9_10device_ptrIiEEEENSB_INSC_ItEEEESG_tNS9_4plusIvEENS9_8equal_toIvEEtEE10hipError_tPvRmT2_T3_T4_T5_mT6_T7_P12ihipStream_tbENKUlT_T0_E_clISt17integral_constantIbLb0EES11_EEDaSW_SX_EUlSW_E_NS1_11comp_targetILNS1_3genE0ELNS1_11target_archE4294967295ELNS1_3gpuE0ELNS1_3repE0EEENS1_30default_config_static_selectorELNS0_4arch9wavefront6targetE0EEEvT1_
    .private_segment_fixed_size: 0
    .sgpr_count:     46
    .sgpr_spill_count: 0
    .symbol:         _ZN7rocprim17ROCPRIM_400000_NS6detail17trampoline_kernelINS0_14default_configENS1_27scan_by_key_config_selectorIitEEZZNS1_16scan_by_key_implILNS1_25lookback_scan_determinismE0ELb0ES3_N6thrust23THRUST_200600_302600_NS6detail15normal_iteratorINS9_10device_ptrIiEEEENSB_INSC_ItEEEESG_tNS9_4plusIvEENS9_8equal_toIvEEtEE10hipError_tPvRmT2_T3_T4_T5_mT6_T7_P12ihipStream_tbENKUlT_T0_E_clISt17integral_constantIbLb0EES11_EEDaSW_SX_EUlSW_E_NS1_11comp_targetILNS1_3genE0ELNS1_11target_archE4294967295ELNS1_3gpuE0ELNS1_3repE0EEENS1_30default_config_static_selectorELNS0_4arch9wavefront6targetE0EEEvT1_.kd
    .uniform_work_group_size: 1
    .uses_dynamic_stack: false
    .vgpr_count:     45
    .vgpr_spill_count: 0
    .wavefront_size: 32
  - .args:
      - .offset:         0
        .size:           112
        .value_kind:     by_value
    .group_segment_fixed_size: 0
    .kernarg_segment_align: 8
    .kernarg_segment_size: 112
    .language:       OpenCL C
    .language_version:
      - 2
      - 0
    .max_flat_workgroup_size: 256
    .name:           _ZN7rocprim17ROCPRIM_400000_NS6detail17trampoline_kernelINS0_14default_configENS1_27scan_by_key_config_selectorIitEEZZNS1_16scan_by_key_implILNS1_25lookback_scan_determinismE0ELb0ES3_N6thrust23THRUST_200600_302600_NS6detail15normal_iteratorINS9_10device_ptrIiEEEENSB_INSC_ItEEEESG_tNS9_4plusIvEENS9_8equal_toIvEEtEE10hipError_tPvRmT2_T3_T4_T5_mT6_T7_P12ihipStream_tbENKUlT_T0_E_clISt17integral_constantIbLb0EES11_EEDaSW_SX_EUlSW_E_NS1_11comp_targetILNS1_3genE10ELNS1_11target_archE1201ELNS1_3gpuE5ELNS1_3repE0EEENS1_30default_config_static_selectorELNS0_4arch9wavefront6targetE0EEEvT1_
    .private_segment_fixed_size: 0
    .sgpr_count:     0
    .sgpr_spill_count: 0
    .symbol:         _ZN7rocprim17ROCPRIM_400000_NS6detail17trampoline_kernelINS0_14default_configENS1_27scan_by_key_config_selectorIitEEZZNS1_16scan_by_key_implILNS1_25lookback_scan_determinismE0ELb0ES3_N6thrust23THRUST_200600_302600_NS6detail15normal_iteratorINS9_10device_ptrIiEEEENSB_INSC_ItEEEESG_tNS9_4plusIvEENS9_8equal_toIvEEtEE10hipError_tPvRmT2_T3_T4_T5_mT6_T7_P12ihipStream_tbENKUlT_T0_E_clISt17integral_constantIbLb0EES11_EEDaSW_SX_EUlSW_E_NS1_11comp_targetILNS1_3genE10ELNS1_11target_archE1201ELNS1_3gpuE5ELNS1_3repE0EEENS1_30default_config_static_selectorELNS0_4arch9wavefront6targetE0EEEvT1_.kd
    .uniform_work_group_size: 1
    .uses_dynamic_stack: false
    .vgpr_count:     0
    .vgpr_spill_count: 0
    .wavefront_size: 32
  - .args:
      - .offset:         0
        .size:           112
        .value_kind:     by_value
    .group_segment_fixed_size: 0
    .kernarg_segment_align: 8
    .kernarg_segment_size: 112
    .language:       OpenCL C
    .language_version:
      - 2
      - 0
    .max_flat_workgroup_size: 256
    .name:           _ZN7rocprim17ROCPRIM_400000_NS6detail17trampoline_kernelINS0_14default_configENS1_27scan_by_key_config_selectorIitEEZZNS1_16scan_by_key_implILNS1_25lookback_scan_determinismE0ELb0ES3_N6thrust23THRUST_200600_302600_NS6detail15normal_iteratorINS9_10device_ptrIiEEEENSB_INSC_ItEEEESG_tNS9_4plusIvEENS9_8equal_toIvEEtEE10hipError_tPvRmT2_T3_T4_T5_mT6_T7_P12ihipStream_tbENKUlT_T0_E_clISt17integral_constantIbLb0EES11_EEDaSW_SX_EUlSW_E_NS1_11comp_targetILNS1_3genE5ELNS1_11target_archE942ELNS1_3gpuE9ELNS1_3repE0EEENS1_30default_config_static_selectorELNS0_4arch9wavefront6targetE0EEEvT1_
    .private_segment_fixed_size: 0
    .sgpr_count:     0
    .sgpr_spill_count: 0
    .symbol:         _ZN7rocprim17ROCPRIM_400000_NS6detail17trampoline_kernelINS0_14default_configENS1_27scan_by_key_config_selectorIitEEZZNS1_16scan_by_key_implILNS1_25lookback_scan_determinismE0ELb0ES3_N6thrust23THRUST_200600_302600_NS6detail15normal_iteratorINS9_10device_ptrIiEEEENSB_INSC_ItEEEESG_tNS9_4plusIvEENS9_8equal_toIvEEtEE10hipError_tPvRmT2_T3_T4_T5_mT6_T7_P12ihipStream_tbENKUlT_T0_E_clISt17integral_constantIbLb0EES11_EEDaSW_SX_EUlSW_E_NS1_11comp_targetILNS1_3genE5ELNS1_11target_archE942ELNS1_3gpuE9ELNS1_3repE0EEENS1_30default_config_static_selectorELNS0_4arch9wavefront6targetE0EEEvT1_.kd
    .uniform_work_group_size: 1
    .uses_dynamic_stack: false
    .vgpr_count:     0
    .vgpr_spill_count: 0
    .wavefront_size: 32
  - .args:
      - .offset:         0
        .size:           112
        .value_kind:     by_value
    .group_segment_fixed_size: 0
    .kernarg_segment_align: 8
    .kernarg_segment_size: 112
    .language:       OpenCL C
    .language_version:
      - 2
      - 0
    .max_flat_workgroup_size: 64
    .name:           _ZN7rocprim17ROCPRIM_400000_NS6detail17trampoline_kernelINS0_14default_configENS1_27scan_by_key_config_selectorIitEEZZNS1_16scan_by_key_implILNS1_25lookback_scan_determinismE0ELb0ES3_N6thrust23THRUST_200600_302600_NS6detail15normal_iteratorINS9_10device_ptrIiEEEENSB_INSC_ItEEEESG_tNS9_4plusIvEENS9_8equal_toIvEEtEE10hipError_tPvRmT2_T3_T4_T5_mT6_T7_P12ihipStream_tbENKUlT_T0_E_clISt17integral_constantIbLb0EES11_EEDaSW_SX_EUlSW_E_NS1_11comp_targetILNS1_3genE4ELNS1_11target_archE910ELNS1_3gpuE8ELNS1_3repE0EEENS1_30default_config_static_selectorELNS0_4arch9wavefront6targetE0EEEvT1_
    .private_segment_fixed_size: 0
    .sgpr_count:     0
    .sgpr_spill_count: 0
    .symbol:         _ZN7rocprim17ROCPRIM_400000_NS6detail17trampoline_kernelINS0_14default_configENS1_27scan_by_key_config_selectorIitEEZZNS1_16scan_by_key_implILNS1_25lookback_scan_determinismE0ELb0ES3_N6thrust23THRUST_200600_302600_NS6detail15normal_iteratorINS9_10device_ptrIiEEEENSB_INSC_ItEEEESG_tNS9_4plusIvEENS9_8equal_toIvEEtEE10hipError_tPvRmT2_T3_T4_T5_mT6_T7_P12ihipStream_tbENKUlT_T0_E_clISt17integral_constantIbLb0EES11_EEDaSW_SX_EUlSW_E_NS1_11comp_targetILNS1_3genE4ELNS1_11target_archE910ELNS1_3gpuE8ELNS1_3repE0EEENS1_30default_config_static_selectorELNS0_4arch9wavefront6targetE0EEEvT1_.kd
    .uniform_work_group_size: 1
    .uses_dynamic_stack: false
    .vgpr_count:     0
    .vgpr_spill_count: 0
    .wavefront_size: 32
  - .args:
      - .offset:         0
        .size:           112
        .value_kind:     by_value
    .group_segment_fixed_size: 0
    .kernarg_segment_align: 8
    .kernarg_segment_size: 112
    .language:       OpenCL C
    .language_version:
      - 2
      - 0
    .max_flat_workgroup_size: 256
    .name:           _ZN7rocprim17ROCPRIM_400000_NS6detail17trampoline_kernelINS0_14default_configENS1_27scan_by_key_config_selectorIitEEZZNS1_16scan_by_key_implILNS1_25lookback_scan_determinismE0ELb0ES3_N6thrust23THRUST_200600_302600_NS6detail15normal_iteratorINS9_10device_ptrIiEEEENSB_INSC_ItEEEESG_tNS9_4plusIvEENS9_8equal_toIvEEtEE10hipError_tPvRmT2_T3_T4_T5_mT6_T7_P12ihipStream_tbENKUlT_T0_E_clISt17integral_constantIbLb0EES11_EEDaSW_SX_EUlSW_E_NS1_11comp_targetILNS1_3genE3ELNS1_11target_archE908ELNS1_3gpuE7ELNS1_3repE0EEENS1_30default_config_static_selectorELNS0_4arch9wavefront6targetE0EEEvT1_
    .private_segment_fixed_size: 0
    .sgpr_count:     0
    .sgpr_spill_count: 0
    .symbol:         _ZN7rocprim17ROCPRIM_400000_NS6detail17trampoline_kernelINS0_14default_configENS1_27scan_by_key_config_selectorIitEEZZNS1_16scan_by_key_implILNS1_25lookback_scan_determinismE0ELb0ES3_N6thrust23THRUST_200600_302600_NS6detail15normal_iteratorINS9_10device_ptrIiEEEENSB_INSC_ItEEEESG_tNS9_4plusIvEENS9_8equal_toIvEEtEE10hipError_tPvRmT2_T3_T4_T5_mT6_T7_P12ihipStream_tbENKUlT_T0_E_clISt17integral_constantIbLb0EES11_EEDaSW_SX_EUlSW_E_NS1_11comp_targetILNS1_3genE3ELNS1_11target_archE908ELNS1_3gpuE7ELNS1_3repE0EEENS1_30default_config_static_selectorELNS0_4arch9wavefront6targetE0EEEvT1_.kd
    .uniform_work_group_size: 1
    .uses_dynamic_stack: false
    .vgpr_count:     0
    .vgpr_spill_count: 0
    .wavefront_size: 32
  - .args:
      - .offset:         0
        .size:           112
        .value_kind:     by_value
    .group_segment_fixed_size: 0
    .kernarg_segment_align: 8
    .kernarg_segment_size: 112
    .language:       OpenCL C
    .language_version:
      - 2
      - 0
    .max_flat_workgroup_size: 64
    .name:           _ZN7rocprim17ROCPRIM_400000_NS6detail17trampoline_kernelINS0_14default_configENS1_27scan_by_key_config_selectorIitEEZZNS1_16scan_by_key_implILNS1_25lookback_scan_determinismE0ELb0ES3_N6thrust23THRUST_200600_302600_NS6detail15normal_iteratorINS9_10device_ptrIiEEEENSB_INSC_ItEEEESG_tNS9_4plusIvEENS9_8equal_toIvEEtEE10hipError_tPvRmT2_T3_T4_T5_mT6_T7_P12ihipStream_tbENKUlT_T0_E_clISt17integral_constantIbLb0EES11_EEDaSW_SX_EUlSW_E_NS1_11comp_targetILNS1_3genE2ELNS1_11target_archE906ELNS1_3gpuE6ELNS1_3repE0EEENS1_30default_config_static_selectorELNS0_4arch9wavefront6targetE0EEEvT1_
    .private_segment_fixed_size: 0
    .sgpr_count:     0
    .sgpr_spill_count: 0
    .symbol:         _ZN7rocprim17ROCPRIM_400000_NS6detail17trampoline_kernelINS0_14default_configENS1_27scan_by_key_config_selectorIitEEZZNS1_16scan_by_key_implILNS1_25lookback_scan_determinismE0ELb0ES3_N6thrust23THRUST_200600_302600_NS6detail15normal_iteratorINS9_10device_ptrIiEEEENSB_INSC_ItEEEESG_tNS9_4plusIvEENS9_8equal_toIvEEtEE10hipError_tPvRmT2_T3_T4_T5_mT6_T7_P12ihipStream_tbENKUlT_T0_E_clISt17integral_constantIbLb0EES11_EEDaSW_SX_EUlSW_E_NS1_11comp_targetILNS1_3genE2ELNS1_11target_archE906ELNS1_3gpuE6ELNS1_3repE0EEENS1_30default_config_static_selectorELNS0_4arch9wavefront6targetE0EEEvT1_.kd
    .uniform_work_group_size: 1
    .uses_dynamic_stack: false
    .vgpr_count:     0
    .vgpr_spill_count: 0
    .wavefront_size: 32
  - .args:
      - .offset:         0
        .size:           112
        .value_kind:     by_value
    .group_segment_fixed_size: 0
    .kernarg_segment_align: 8
    .kernarg_segment_size: 112
    .language:       OpenCL C
    .language_version:
      - 2
      - 0
    .max_flat_workgroup_size: 256
    .name:           _ZN7rocprim17ROCPRIM_400000_NS6detail17trampoline_kernelINS0_14default_configENS1_27scan_by_key_config_selectorIitEEZZNS1_16scan_by_key_implILNS1_25lookback_scan_determinismE0ELb0ES3_N6thrust23THRUST_200600_302600_NS6detail15normal_iteratorINS9_10device_ptrIiEEEENSB_INSC_ItEEEESG_tNS9_4plusIvEENS9_8equal_toIvEEtEE10hipError_tPvRmT2_T3_T4_T5_mT6_T7_P12ihipStream_tbENKUlT_T0_E_clISt17integral_constantIbLb0EES11_EEDaSW_SX_EUlSW_E_NS1_11comp_targetILNS1_3genE10ELNS1_11target_archE1200ELNS1_3gpuE4ELNS1_3repE0EEENS1_30default_config_static_selectorELNS0_4arch9wavefront6targetE0EEEvT1_
    .private_segment_fixed_size: 0
    .sgpr_count:     0
    .sgpr_spill_count: 0
    .symbol:         _ZN7rocprim17ROCPRIM_400000_NS6detail17trampoline_kernelINS0_14default_configENS1_27scan_by_key_config_selectorIitEEZZNS1_16scan_by_key_implILNS1_25lookback_scan_determinismE0ELb0ES3_N6thrust23THRUST_200600_302600_NS6detail15normal_iteratorINS9_10device_ptrIiEEEENSB_INSC_ItEEEESG_tNS9_4plusIvEENS9_8equal_toIvEEtEE10hipError_tPvRmT2_T3_T4_T5_mT6_T7_P12ihipStream_tbENKUlT_T0_E_clISt17integral_constantIbLb0EES11_EEDaSW_SX_EUlSW_E_NS1_11comp_targetILNS1_3genE10ELNS1_11target_archE1200ELNS1_3gpuE4ELNS1_3repE0EEENS1_30default_config_static_selectorELNS0_4arch9wavefront6targetE0EEEvT1_.kd
    .uniform_work_group_size: 1
    .uses_dynamic_stack: false
    .vgpr_count:     0
    .vgpr_spill_count: 0
    .wavefront_size: 32
  - .args:
      - .offset:         0
        .size:           112
        .value_kind:     by_value
    .group_segment_fixed_size: 0
    .kernarg_segment_align: 8
    .kernarg_segment_size: 112
    .language:       OpenCL C
    .language_version:
      - 2
      - 0
    .max_flat_workgroup_size: 64
    .name:           _ZN7rocprim17ROCPRIM_400000_NS6detail17trampoline_kernelINS0_14default_configENS1_27scan_by_key_config_selectorIitEEZZNS1_16scan_by_key_implILNS1_25lookback_scan_determinismE0ELb0ES3_N6thrust23THRUST_200600_302600_NS6detail15normal_iteratorINS9_10device_ptrIiEEEENSB_INSC_ItEEEESG_tNS9_4plusIvEENS9_8equal_toIvEEtEE10hipError_tPvRmT2_T3_T4_T5_mT6_T7_P12ihipStream_tbENKUlT_T0_E_clISt17integral_constantIbLb0EES11_EEDaSW_SX_EUlSW_E_NS1_11comp_targetILNS1_3genE9ELNS1_11target_archE1100ELNS1_3gpuE3ELNS1_3repE0EEENS1_30default_config_static_selectorELNS0_4arch9wavefront6targetE0EEEvT1_
    .private_segment_fixed_size: 0
    .sgpr_count:     0
    .sgpr_spill_count: 0
    .symbol:         _ZN7rocprim17ROCPRIM_400000_NS6detail17trampoline_kernelINS0_14default_configENS1_27scan_by_key_config_selectorIitEEZZNS1_16scan_by_key_implILNS1_25lookback_scan_determinismE0ELb0ES3_N6thrust23THRUST_200600_302600_NS6detail15normal_iteratorINS9_10device_ptrIiEEEENSB_INSC_ItEEEESG_tNS9_4plusIvEENS9_8equal_toIvEEtEE10hipError_tPvRmT2_T3_T4_T5_mT6_T7_P12ihipStream_tbENKUlT_T0_E_clISt17integral_constantIbLb0EES11_EEDaSW_SX_EUlSW_E_NS1_11comp_targetILNS1_3genE9ELNS1_11target_archE1100ELNS1_3gpuE3ELNS1_3repE0EEENS1_30default_config_static_selectorELNS0_4arch9wavefront6targetE0EEEvT1_.kd
    .uniform_work_group_size: 1
    .uses_dynamic_stack: false
    .vgpr_count:     0
    .vgpr_spill_count: 0
    .wavefront_size: 32
  - .args:
      - .offset:         0
        .size:           112
        .value_kind:     by_value
    .group_segment_fixed_size: 0
    .kernarg_segment_align: 8
    .kernarg_segment_size: 112
    .language:       OpenCL C
    .language_version:
      - 2
      - 0
    .max_flat_workgroup_size: 64
    .name:           _ZN7rocprim17ROCPRIM_400000_NS6detail17trampoline_kernelINS0_14default_configENS1_27scan_by_key_config_selectorIitEEZZNS1_16scan_by_key_implILNS1_25lookback_scan_determinismE0ELb0ES3_N6thrust23THRUST_200600_302600_NS6detail15normal_iteratorINS9_10device_ptrIiEEEENSB_INSC_ItEEEESG_tNS9_4plusIvEENS9_8equal_toIvEEtEE10hipError_tPvRmT2_T3_T4_T5_mT6_T7_P12ihipStream_tbENKUlT_T0_E_clISt17integral_constantIbLb0EES11_EEDaSW_SX_EUlSW_E_NS1_11comp_targetILNS1_3genE8ELNS1_11target_archE1030ELNS1_3gpuE2ELNS1_3repE0EEENS1_30default_config_static_selectorELNS0_4arch9wavefront6targetE0EEEvT1_
    .private_segment_fixed_size: 0
    .sgpr_count:     0
    .sgpr_spill_count: 0
    .symbol:         _ZN7rocprim17ROCPRIM_400000_NS6detail17trampoline_kernelINS0_14default_configENS1_27scan_by_key_config_selectorIitEEZZNS1_16scan_by_key_implILNS1_25lookback_scan_determinismE0ELb0ES3_N6thrust23THRUST_200600_302600_NS6detail15normal_iteratorINS9_10device_ptrIiEEEENSB_INSC_ItEEEESG_tNS9_4plusIvEENS9_8equal_toIvEEtEE10hipError_tPvRmT2_T3_T4_T5_mT6_T7_P12ihipStream_tbENKUlT_T0_E_clISt17integral_constantIbLb0EES11_EEDaSW_SX_EUlSW_E_NS1_11comp_targetILNS1_3genE8ELNS1_11target_archE1030ELNS1_3gpuE2ELNS1_3repE0EEENS1_30default_config_static_selectorELNS0_4arch9wavefront6targetE0EEEvT1_.kd
    .uniform_work_group_size: 1
    .uses_dynamic_stack: false
    .vgpr_count:     0
    .vgpr_spill_count: 0
    .wavefront_size: 32
  - .args:
      - .address_space:  global
        .offset:         0
        .size:           8
        .value_kind:     global_buffer
      - .offset:         8
        .size:           4
        .value_kind:     by_value
      - .offset:         12
        .size:           4
        .value_kind:     by_value
      - .address_space:  global
        .offset:         16
        .size:           8
        .value_kind:     global_buffer
      - .address_space:  global
        .offset:         24
        .size:           8
        .value_kind:     global_buffer
      - .actual_access:  write_only
        .address_space:  global
        .offset:         32
        .size:           8
        .value_kind:     global_buffer
      - .offset:         40
        .size:           8
        .value_kind:     by_value
      - .offset:         48
        .size:           4
        .value_kind:     by_value
      - .address_space:  global
        .offset:         56
        .size:           8
        .value_kind:     global_buffer
      - .offset:         64
        .size:           4
        .value_kind:     hidden_block_count_x
      - .offset:         68
        .size:           4
        .value_kind:     hidden_block_count_y
      - .offset:         72
        .size:           4
        .value_kind:     hidden_block_count_z
      - .offset:         76
        .size:           2
        .value_kind:     hidden_group_size_x
      - .offset:         78
        .size:           2
        .value_kind:     hidden_group_size_y
      - .offset:         80
        .size:           2
        .value_kind:     hidden_group_size_z
      - .offset:         82
        .size:           2
        .value_kind:     hidden_remainder_x
      - .offset:         84
        .size:           2
        .value_kind:     hidden_remainder_y
      - .offset:         86
        .size:           2
        .value_kind:     hidden_remainder_z
      - .offset:         104
        .size:           8
        .value_kind:     hidden_global_offset_x
      - .offset:         112
        .size:           8
        .value_kind:     hidden_global_offset_y
      - .offset:         120
        .size:           8
        .value_kind:     hidden_global_offset_z
      - .offset:         128
        .size:           2
        .value_kind:     hidden_grid_dims
    .group_segment_fixed_size: 0
    .kernarg_segment_align: 8
    .kernarg_segment_size: 320
    .language:       OpenCL C
    .language_version:
      - 2
      - 0
    .max_flat_workgroup_size: 256
    .name:           _ZN7rocprim17ROCPRIM_400000_NS6detail30init_device_scan_by_key_kernelINS1_19lookback_scan_stateINS0_5tupleIJtbEEELb1ELb1EEEN6thrust23THRUST_200600_302600_NS6detail15normal_iteratorINS8_10device_ptrIiEEEEjNS1_16block_id_wrapperIjLb1EEEEEvT_jjPNSG_10value_typeET0_PNSt15iterator_traitsISJ_E10value_typeEmT1_T2_
    .private_segment_fixed_size: 0
    .sgpr_count:     18
    .sgpr_spill_count: 0
    .symbol:         _ZN7rocprim17ROCPRIM_400000_NS6detail30init_device_scan_by_key_kernelINS1_19lookback_scan_stateINS0_5tupleIJtbEEELb1ELb1EEEN6thrust23THRUST_200600_302600_NS6detail15normal_iteratorINS8_10device_ptrIiEEEEjNS1_16block_id_wrapperIjLb1EEEEEvT_jjPNSG_10value_typeET0_PNSt15iterator_traitsISJ_E10value_typeEmT1_T2_.kd
    .uniform_work_group_size: 1
    .uses_dynamic_stack: false
    .vgpr_count:     7
    .vgpr_spill_count: 0
    .wavefront_size: 32
  - .args:
      - .address_space:  global
        .offset:         0
        .size:           8
        .value_kind:     global_buffer
      - .offset:         8
        .size:           4
        .value_kind:     by_value
      - .offset:         12
        .size:           4
        .value_kind:     by_value
      - .address_space:  global
        .offset:         16
        .size:           8
        .value_kind:     global_buffer
      - .address_space:  global
        .offset:         24
        .size:           8
        .value_kind:     global_buffer
      - .offset:         32
        .size:           4
        .value_kind:     hidden_block_count_x
      - .offset:         36
        .size:           4
        .value_kind:     hidden_block_count_y
      - .offset:         40
        .size:           4
        .value_kind:     hidden_block_count_z
      - .offset:         44
        .size:           2
        .value_kind:     hidden_group_size_x
      - .offset:         46
        .size:           2
        .value_kind:     hidden_group_size_y
      - .offset:         48
        .size:           2
        .value_kind:     hidden_group_size_z
      - .offset:         50
        .size:           2
        .value_kind:     hidden_remainder_x
      - .offset:         52
        .size:           2
        .value_kind:     hidden_remainder_y
      - .offset:         54
        .size:           2
        .value_kind:     hidden_remainder_z
      - .offset:         72
        .size:           8
        .value_kind:     hidden_global_offset_x
      - .offset:         80
        .size:           8
        .value_kind:     hidden_global_offset_y
      - .offset:         88
        .size:           8
        .value_kind:     hidden_global_offset_z
      - .offset:         96
        .size:           2
        .value_kind:     hidden_grid_dims
    .group_segment_fixed_size: 0
    .kernarg_segment_align: 8
    .kernarg_segment_size: 288
    .language:       OpenCL C
    .language_version:
      - 2
      - 0
    .max_flat_workgroup_size: 256
    .name:           _ZN7rocprim17ROCPRIM_400000_NS6detail30init_device_scan_by_key_kernelINS1_19lookback_scan_stateINS0_5tupleIJtbEEELb1ELb1EEENS1_16block_id_wrapperIjLb1EEEEEvT_jjPNS9_10value_typeET0_
    .private_segment_fixed_size: 0
    .sgpr_count:     14
    .sgpr_spill_count: 0
    .symbol:         _ZN7rocprim17ROCPRIM_400000_NS6detail30init_device_scan_by_key_kernelINS1_19lookback_scan_stateINS0_5tupleIJtbEEELb1ELb1EEENS1_16block_id_wrapperIjLb1EEEEEvT_jjPNS9_10value_typeET0_.kd
    .uniform_work_group_size: 1
    .uses_dynamic_stack: false
    .vgpr_count:     5
    .vgpr_spill_count: 0
    .wavefront_size: 32
  - .args:
      - .offset:         0
        .size:           112
        .value_kind:     by_value
    .group_segment_fixed_size: 0
    .kernarg_segment_align: 8
    .kernarg_segment_size: 112
    .language:       OpenCL C
    .language_version:
      - 2
      - 0
    .max_flat_workgroup_size: 256
    .name:           _ZN7rocprim17ROCPRIM_400000_NS6detail17trampoline_kernelINS0_14default_configENS1_27scan_by_key_config_selectorIitEEZZNS1_16scan_by_key_implILNS1_25lookback_scan_determinismE0ELb0ES3_N6thrust23THRUST_200600_302600_NS6detail15normal_iteratorINS9_10device_ptrIiEEEENSB_INSC_ItEEEESG_tNS9_4plusIvEENS9_8equal_toIvEEtEE10hipError_tPvRmT2_T3_T4_T5_mT6_T7_P12ihipStream_tbENKUlT_T0_E_clISt17integral_constantIbLb1EES11_EEDaSW_SX_EUlSW_E_NS1_11comp_targetILNS1_3genE0ELNS1_11target_archE4294967295ELNS1_3gpuE0ELNS1_3repE0EEENS1_30default_config_static_selectorELNS0_4arch9wavefront6targetE0EEEvT1_
    .private_segment_fixed_size: 0
    .sgpr_count:     0
    .sgpr_spill_count: 0
    .symbol:         _ZN7rocprim17ROCPRIM_400000_NS6detail17trampoline_kernelINS0_14default_configENS1_27scan_by_key_config_selectorIitEEZZNS1_16scan_by_key_implILNS1_25lookback_scan_determinismE0ELb0ES3_N6thrust23THRUST_200600_302600_NS6detail15normal_iteratorINS9_10device_ptrIiEEEENSB_INSC_ItEEEESG_tNS9_4plusIvEENS9_8equal_toIvEEtEE10hipError_tPvRmT2_T3_T4_T5_mT6_T7_P12ihipStream_tbENKUlT_T0_E_clISt17integral_constantIbLb1EES11_EEDaSW_SX_EUlSW_E_NS1_11comp_targetILNS1_3genE0ELNS1_11target_archE4294967295ELNS1_3gpuE0ELNS1_3repE0EEENS1_30default_config_static_selectorELNS0_4arch9wavefront6targetE0EEEvT1_.kd
    .uniform_work_group_size: 1
    .uses_dynamic_stack: false
    .vgpr_count:     0
    .vgpr_spill_count: 0
    .wavefront_size: 32
  - .args:
      - .offset:         0
        .size:           112
        .value_kind:     by_value
    .group_segment_fixed_size: 0
    .kernarg_segment_align: 8
    .kernarg_segment_size: 112
    .language:       OpenCL C
    .language_version:
      - 2
      - 0
    .max_flat_workgroup_size: 256
    .name:           _ZN7rocprim17ROCPRIM_400000_NS6detail17trampoline_kernelINS0_14default_configENS1_27scan_by_key_config_selectorIitEEZZNS1_16scan_by_key_implILNS1_25lookback_scan_determinismE0ELb0ES3_N6thrust23THRUST_200600_302600_NS6detail15normal_iteratorINS9_10device_ptrIiEEEENSB_INSC_ItEEEESG_tNS9_4plusIvEENS9_8equal_toIvEEtEE10hipError_tPvRmT2_T3_T4_T5_mT6_T7_P12ihipStream_tbENKUlT_T0_E_clISt17integral_constantIbLb1EES11_EEDaSW_SX_EUlSW_E_NS1_11comp_targetILNS1_3genE10ELNS1_11target_archE1201ELNS1_3gpuE5ELNS1_3repE0EEENS1_30default_config_static_selectorELNS0_4arch9wavefront6targetE0EEEvT1_
    .private_segment_fixed_size: 0
    .sgpr_count:     0
    .sgpr_spill_count: 0
    .symbol:         _ZN7rocprim17ROCPRIM_400000_NS6detail17trampoline_kernelINS0_14default_configENS1_27scan_by_key_config_selectorIitEEZZNS1_16scan_by_key_implILNS1_25lookback_scan_determinismE0ELb0ES3_N6thrust23THRUST_200600_302600_NS6detail15normal_iteratorINS9_10device_ptrIiEEEENSB_INSC_ItEEEESG_tNS9_4plusIvEENS9_8equal_toIvEEtEE10hipError_tPvRmT2_T3_T4_T5_mT6_T7_P12ihipStream_tbENKUlT_T0_E_clISt17integral_constantIbLb1EES11_EEDaSW_SX_EUlSW_E_NS1_11comp_targetILNS1_3genE10ELNS1_11target_archE1201ELNS1_3gpuE5ELNS1_3repE0EEENS1_30default_config_static_selectorELNS0_4arch9wavefront6targetE0EEEvT1_.kd
    .uniform_work_group_size: 1
    .uses_dynamic_stack: false
    .vgpr_count:     0
    .vgpr_spill_count: 0
    .wavefront_size: 32
  - .args:
      - .offset:         0
        .size:           112
        .value_kind:     by_value
    .group_segment_fixed_size: 0
    .kernarg_segment_align: 8
    .kernarg_segment_size: 112
    .language:       OpenCL C
    .language_version:
      - 2
      - 0
    .max_flat_workgroup_size: 256
    .name:           _ZN7rocprim17ROCPRIM_400000_NS6detail17trampoline_kernelINS0_14default_configENS1_27scan_by_key_config_selectorIitEEZZNS1_16scan_by_key_implILNS1_25lookback_scan_determinismE0ELb0ES3_N6thrust23THRUST_200600_302600_NS6detail15normal_iteratorINS9_10device_ptrIiEEEENSB_INSC_ItEEEESG_tNS9_4plusIvEENS9_8equal_toIvEEtEE10hipError_tPvRmT2_T3_T4_T5_mT6_T7_P12ihipStream_tbENKUlT_T0_E_clISt17integral_constantIbLb1EES11_EEDaSW_SX_EUlSW_E_NS1_11comp_targetILNS1_3genE5ELNS1_11target_archE942ELNS1_3gpuE9ELNS1_3repE0EEENS1_30default_config_static_selectorELNS0_4arch9wavefront6targetE0EEEvT1_
    .private_segment_fixed_size: 0
    .sgpr_count:     0
    .sgpr_spill_count: 0
    .symbol:         _ZN7rocprim17ROCPRIM_400000_NS6detail17trampoline_kernelINS0_14default_configENS1_27scan_by_key_config_selectorIitEEZZNS1_16scan_by_key_implILNS1_25lookback_scan_determinismE0ELb0ES3_N6thrust23THRUST_200600_302600_NS6detail15normal_iteratorINS9_10device_ptrIiEEEENSB_INSC_ItEEEESG_tNS9_4plusIvEENS9_8equal_toIvEEtEE10hipError_tPvRmT2_T3_T4_T5_mT6_T7_P12ihipStream_tbENKUlT_T0_E_clISt17integral_constantIbLb1EES11_EEDaSW_SX_EUlSW_E_NS1_11comp_targetILNS1_3genE5ELNS1_11target_archE942ELNS1_3gpuE9ELNS1_3repE0EEENS1_30default_config_static_selectorELNS0_4arch9wavefront6targetE0EEEvT1_.kd
    .uniform_work_group_size: 1
    .uses_dynamic_stack: false
    .vgpr_count:     0
    .vgpr_spill_count: 0
    .wavefront_size: 32
  - .args:
      - .offset:         0
        .size:           112
        .value_kind:     by_value
    .group_segment_fixed_size: 0
    .kernarg_segment_align: 8
    .kernarg_segment_size: 112
    .language:       OpenCL C
    .language_version:
      - 2
      - 0
    .max_flat_workgroup_size: 64
    .name:           _ZN7rocprim17ROCPRIM_400000_NS6detail17trampoline_kernelINS0_14default_configENS1_27scan_by_key_config_selectorIitEEZZNS1_16scan_by_key_implILNS1_25lookback_scan_determinismE0ELb0ES3_N6thrust23THRUST_200600_302600_NS6detail15normal_iteratorINS9_10device_ptrIiEEEENSB_INSC_ItEEEESG_tNS9_4plusIvEENS9_8equal_toIvEEtEE10hipError_tPvRmT2_T3_T4_T5_mT6_T7_P12ihipStream_tbENKUlT_T0_E_clISt17integral_constantIbLb1EES11_EEDaSW_SX_EUlSW_E_NS1_11comp_targetILNS1_3genE4ELNS1_11target_archE910ELNS1_3gpuE8ELNS1_3repE0EEENS1_30default_config_static_selectorELNS0_4arch9wavefront6targetE0EEEvT1_
    .private_segment_fixed_size: 0
    .sgpr_count:     0
    .sgpr_spill_count: 0
    .symbol:         _ZN7rocprim17ROCPRIM_400000_NS6detail17trampoline_kernelINS0_14default_configENS1_27scan_by_key_config_selectorIitEEZZNS1_16scan_by_key_implILNS1_25lookback_scan_determinismE0ELb0ES3_N6thrust23THRUST_200600_302600_NS6detail15normal_iteratorINS9_10device_ptrIiEEEENSB_INSC_ItEEEESG_tNS9_4plusIvEENS9_8equal_toIvEEtEE10hipError_tPvRmT2_T3_T4_T5_mT6_T7_P12ihipStream_tbENKUlT_T0_E_clISt17integral_constantIbLb1EES11_EEDaSW_SX_EUlSW_E_NS1_11comp_targetILNS1_3genE4ELNS1_11target_archE910ELNS1_3gpuE8ELNS1_3repE0EEENS1_30default_config_static_selectorELNS0_4arch9wavefront6targetE0EEEvT1_.kd
    .uniform_work_group_size: 1
    .uses_dynamic_stack: false
    .vgpr_count:     0
    .vgpr_spill_count: 0
    .wavefront_size: 32
  - .args:
      - .offset:         0
        .size:           112
        .value_kind:     by_value
    .group_segment_fixed_size: 0
    .kernarg_segment_align: 8
    .kernarg_segment_size: 112
    .language:       OpenCL C
    .language_version:
      - 2
      - 0
    .max_flat_workgroup_size: 256
    .name:           _ZN7rocprim17ROCPRIM_400000_NS6detail17trampoline_kernelINS0_14default_configENS1_27scan_by_key_config_selectorIitEEZZNS1_16scan_by_key_implILNS1_25lookback_scan_determinismE0ELb0ES3_N6thrust23THRUST_200600_302600_NS6detail15normal_iteratorINS9_10device_ptrIiEEEENSB_INSC_ItEEEESG_tNS9_4plusIvEENS9_8equal_toIvEEtEE10hipError_tPvRmT2_T3_T4_T5_mT6_T7_P12ihipStream_tbENKUlT_T0_E_clISt17integral_constantIbLb1EES11_EEDaSW_SX_EUlSW_E_NS1_11comp_targetILNS1_3genE3ELNS1_11target_archE908ELNS1_3gpuE7ELNS1_3repE0EEENS1_30default_config_static_selectorELNS0_4arch9wavefront6targetE0EEEvT1_
    .private_segment_fixed_size: 0
    .sgpr_count:     0
    .sgpr_spill_count: 0
    .symbol:         _ZN7rocprim17ROCPRIM_400000_NS6detail17trampoline_kernelINS0_14default_configENS1_27scan_by_key_config_selectorIitEEZZNS1_16scan_by_key_implILNS1_25lookback_scan_determinismE0ELb0ES3_N6thrust23THRUST_200600_302600_NS6detail15normal_iteratorINS9_10device_ptrIiEEEENSB_INSC_ItEEEESG_tNS9_4plusIvEENS9_8equal_toIvEEtEE10hipError_tPvRmT2_T3_T4_T5_mT6_T7_P12ihipStream_tbENKUlT_T0_E_clISt17integral_constantIbLb1EES11_EEDaSW_SX_EUlSW_E_NS1_11comp_targetILNS1_3genE3ELNS1_11target_archE908ELNS1_3gpuE7ELNS1_3repE0EEENS1_30default_config_static_selectorELNS0_4arch9wavefront6targetE0EEEvT1_.kd
    .uniform_work_group_size: 1
    .uses_dynamic_stack: false
    .vgpr_count:     0
    .vgpr_spill_count: 0
    .wavefront_size: 32
  - .args:
      - .offset:         0
        .size:           112
        .value_kind:     by_value
    .group_segment_fixed_size: 0
    .kernarg_segment_align: 8
    .kernarg_segment_size: 112
    .language:       OpenCL C
    .language_version:
      - 2
      - 0
    .max_flat_workgroup_size: 64
    .name:           _ZN7rocprim17ROCPRIM_400000_NS6detail17trampoline_kernelINS0_14default_configENS1_27scan_by_key_config_selectorIitEEZZNS1_16scan_by_key_implILNS1_25lookback_scan_determinismE0ELb0ES3_N6thrust23THRUST_200600_302600_NS6detail15normal_iteratorINS9_10device_ptrIiEEEENSB_INSC_ItEEEESG_tNS9_4plusIvEENS9_8equal_toIvEEtEE10hipError_tPvRmT2_T3_T4_T5_mT6_T7_P12ihipStream_tbENKUlT_T0_E_clISt17integral_constantIbLb1EES11_EEDaSW_SX_EUlSW_E_NS1_11comp_targetILNS1_3genE2ELNS1_11target_archE906ELNS1_3gpuE6ELNS1_3repE0EEENS1_30default_config_static_selectorELNS0_4arch9wavefront6targetE0EEEvT1_
    .private_segment_fixed_size: 0
    .sgpr_count:     0
    .sgpr_spill_count: 0
    .symbol:         _ZN7rocprim17ROCPRIM_400000_NS6detail17trampoline_kernelINS0_14default_configENS1_27scan_by_key_config_selectorIitEEZZNS1_16scan_by_key_implILNS1_25lookback_scan_determinismE0ELb0ES3_N6thrust23THRUST_200600_302600_NS6detail15normal_iteratorINS9_10device_ptrIiEEEENSB_INSC_ItEEEESG_tNS9_4plusIvEENS9_8equal_toIvEEtEE10hipError_tPvRmT2_T3_T4_T5_mT6_T7_P12ihipStream_tbENKUlT_T0_E_clISt17integral_constantIbLb1EES11_EEDaSW_SX_EUlSW_E_NS1_11comp_targetILNS1_3genE2ELNS1_11target_archE906ELNS1_3gpuE6ELNS1_3repE0EEENS1_30default_config_static_selectorELNS0_4arch9wavefront6targetE0EEEvT1_.kd
    .uniform_work_group_size: 1
    .uses_dynamic_stack: false
    .vgpr_count:     0
    .vgpr_spill_count: 0
    .wavefront_size: 32
  - .args:
      - .offset:         0
        .size:           112
        .value_kind:     by_value
    .group_segment_fixed_size: 0
    .kernarg_segment_align: 8
    .kernarg_segment_size: 112
    .language:       OpenCL C
    .language_version:
      - 2
      - 0
    .max_flat_workgroup_size: 256
    .name:           _ZN7rocprim17ROCPRIM_400000_NS6detail17trampoline_kernelINS0_14default_configENS1_27scan_by_key_config_selectorIitEEZZNS1_16scan_by_key_implILNS1_25lookback_scan_determinismE0ELb0ES3_N6thrust23THRUST_200600_302600_NS6detail15normal_iteratorINS9_10device_ptrIiEEEENSB_INSC_ItEEEESG_tNS9_4plusIvEENS9_8equal_toIvEEtEE10hipError_tPvRmT2_T3_T4_T5_mT6_T7_P12ihipStream_tbENKUlT_T0_E_clISt17integral_constantIbLb1EES11_EEDaSW_SX_EUlSW_E_NS1_11comp_targetILNS1_3genE10ELNS1_11target_archE1200ELNS1_3gpuE4ELNS1_3repE0EEENS1_30default_config_static_selectorELNS0_4arch9wavefront6targetE0EEEvT1_
    .private_segment_fixed_size: 0
    .sgpr_count:     0
    .sgpr_spill_count: 0
    .symbol:         _ZN7rocprim17ROCPRIM_400000_NS6detail17trampoline_kernelINS0_14default_configENS1_27scan_by_key_config_selectorIitEEZZNS1_16scan_by_key_implILNS1_25lookback_scan_determinismE0ELb0ES3_N6thrust23THRUST_200600_302600_NS6detail15normal_iteratorINS9_10device_ptrIiEEEENSB_INSC_ItEEEESG_tNS9_4plusIvEENS9_8equal_toIvEEtEE10hipError_tPvRmT2_T3_T4_T5_mT6_T7_P12ihipStream_tbENKUlT_T0_E_clISt17integral_constantIbLb1EES11_EEDaSW_SX_EUlSW_E_NS1_11comp_targetILNS1_3genE10ELNS1_11target_archE1200ELNS1_3gpuE4ELNS1_3repE0EEENS1_30default_config_static_selectorELNS0_4arch9wavefront6targetE0EEEvT1_.kd
    .uniform_work_group_size: 1
    .uses_dynamic_stack: false
    .vgpr_count:     0
    .vgpr_spill_count: 0
    .wavefront_size: 32
  - .args:
      - .offset:         0
        .size:           112
        .value_kind:     by_value
    .group_segment_fixed_size: 0
    .kernarg_segment_align: 8
    .kernarg_segment_size: 112
    .language:       OpenCL C
    .language_version:
      - 2
      - 0
    .max_flat_workgroup_size: 64
    .name:           _ZN7rocprim17ROCPRIM_400000_NS6detail17trampoline_kernelINS0_14default_configENS1_27scan_by_key_config_selectorIitEEZZNS1_16scan_by_key_implILNS1_25lookback_scan_determinismE0ELb0ES3_N6thrust23THRUST_200600_302600_NS6detail15normal_iteratorINS9_10device_ptrIiEEEENSB_INSC_ItEEEESG_tNS9_4plusIvEENS9_8equal_toIvEEtEE10hipError_tPvRmT2_T3_T4_T5_mT6_T7_P12ihipStream_tbENKUlT_T0_E_clISt17integral_constantIbLb1EES11_EEDaSW_SX_EUlSW_E_NS1_11comp_targetILNS1_3genE9ELNS1_11target_archE1100ELNS1_3gpuE3ELNS1_3repE0EEENS1_30default_config_static_selectorELNS0_4arch9wavefront6targetE0EEEvT1_
    .private_segment_fixed_size: 0
    .sgpr_count:     0
    .sgpr_spill_count: 0
    .symbol:         _ZN7rocprim17ROCPRIM_400000_NS6detail17trampoline_kernelINS0_14default_configENS1_27scan_by_key_config_selectorIitEEZZNS1_16scan_by_key_implILNS1_25lookback_scan_determinismE0ELb0ES3_N6thrust23THRUST_200600_302600_NS6detail15normal_iteratorINS9_10device_ptrIiEEEENSB_INSC_ItEEEESG_tNS9_4plusIvEENS9_8equal_toIvEEtEE10hipError_tPvRmT2_T3_T4_T5_mT6_T7_P12ihipStream_tbENKUlT_T0_E_clISt17integral_constantIbLb1EES11_EEDaSW_SX_EUlSW_E_NS1_11comp_targetILNS1_3genE9ELNS1_11target_archE1100ELNS1_3gpuE3ELNS1_3repE0EEENS1_30default_config_static_selectorELNS0_4arch9wavefront6targetE0EEEvT1_.kd
    .uniform_work_group_size: 1
    .uses_dynamic_stack: false
    .vgpr_count:     0
    .vgpr_spill_count: 0
    .wavefront_size: 32
  - .args:
      - .offset:         0
        .size:           112
        .value_kind:     by_value
    .group_segment_fixed_size: 0
    .kernarg_segment_align: 8
    .kernarg_segment_size: 112
    .language:       OpenCL C
    .language_version:
      - 2
      - 0
    .max_flat_workgroup_size: 64
    .name:           _ZN7rocprim17ROCPRIM_400000_NS6detail17trampoline_kernelINS0_14default_configENS1_27scan_by_key_config_selectorIitEEZZNS1_16scan_by_key_implILNS1_25lookback_scan_determinismE0ELb0ES3_N6thrust23THRUST_200600_302600_NS6detail15normal_iteratorINS9_10device_ptrIiEEEENSB_INSC_ItEEEESG_tNS9_4plusIvEENS9_8equal_toIvEEtEE10hipError_tPvRmT2_T3_T4_T5_mT6_T7_P12ihipStream_tbENKUlT_T0_E_clISt17integral_constantIbLb1EES11_EEDaSW_SX_EUlSW_E_NS1_11comp_targetILNS1_3genE8ELNS1_11target_archE1030ELNS1_3gpuE2ELNS1_3repE0EEENS1_30default_config_static_selectorELNS0_4arch9wavefront6targetE0EEEvT1_
    .private_segment_fixed_size: 0
    .sgpr_count:     0
    .sgpr_spill_count: 0
    .symbol:         _ZN7rocprim17ROCPRIM_400000_NS6detail17trampoline_kernelINS0_14default_configENS1_27scan_by_key_config_selectorIitEEZZNS1_16scan_by_key_implILNS1_25lookback_scan_determinismE0ELb0ES3_N6thrust23THRUST_200600_302600_NS6detail15normal_iteratorINS9_10device_ptrIiEEEENSB_INSC_ItEEEESG_tNS9_4plusIvEENS9_8equal_toIvEEtEE10hipError_tPvRmT2_T3_T4_T5_mT6_T7_P12ihipStream_tbENKUlT_T0_E_clISt17integral_constantIbLb1EES11_EEDaSW_SX_EUlSW_E_NS1_11comp_targetILNS1_3genE8ELNS1_11target_archE1030ELNS1_3gpuE2ELNS1_3repE0EEENS1_30default_config_static_selectorELNS0_4arch9wavefront6targetE0EEEvT1_.kd
    .uniform_work_group_size: 1
    .uses_dynamic_stack: false
    .vgpr_count:     0
    .vgpr_spill_count: 0
    .wavefront_size: 32
  - .args:
      - .address_space:  global
        .offset:         0
        .size:           8
        .value_kind:     global_buffer
      - .offset:         8
        .size:           4
        .value_kind:     by_value
      - .offset:         12
        .size:           4
        .value_kind:     by_value
      - .address_space:  global
        .offset:         16
        .size:           8
        .value_kind:     global_buffer
      - .address_space:  global
        .offset:         24
        .size:           8
        .value_kind:     global_buffer
      - .actual_access:  write_only
        .address_space:  global
        .offset:         32
        .size:           8
        .value_kind:     global_buffer
      - .offset:         40
        .size:           8
        .value_kind:     by_value
      - .offset:         48
        .size:           4
        .value_kind:     by_value
      - .offset:         52
        .size:           1
        .value_kind:     by_value
      - .offset:         56
        .size:           4
        .value_kind:     hidden_block_count_x
      - .offset:         60
        .size:           4
        .value_kind:     hidden_block_count_y
      - .offset:         64
        .size:           4
        .value_kind:     hidden_block_count_z
      - .offset:         68
        .size:           2
        .value_kind:     hidden_group_size_x
      - .offset:         70
        .size:           2
        .value_kind:     hidden_group_size_y
      - .offset:         72
        .size:           2
        .value_kind:     hidden_group_size_z
      - .offset:         74
        .size:           2
        .value_kind:     hidden_remainder_x
      - .offset:         76
        .size:           2
        .value_kind:     hidden_remainder_y
      - .offset:         78
        .size:           2
        .value_kind:     hidden_remainder_z
      - .offset:         96
        .size:           8
        .value_kind:     hidden_global_offset_x
      - .offset:         104
        .size:           8
        .value_kind:     hidden_global_offset_y
      - .offset:         112
        .size:           8
        .value_kind:     hidden_global_offset_z
      - .offset:         120
        .size:           2
        .value_kind:     hidden_grid_dims
    .group_segment_fixed_size: 0
    .kernarg_segment_align: 8
    .kernarg_segment_size: 312
    .language:       OpenCL C
    .language_version:
      - 2
      - 0
    .max_flat_workgroup_size: 256
    .name:           _ZN7rocprim17ROCPRIM_400000_NS6detail30init_device_scan_by_key_kernelINS1_19lookback_scan_stateINS0_5tupleIJtbEEELb1ELb1EEEN6thrust23THRUST_200600_302600_NS6detail15normal_iteratorINS8_10device_ptrIiEEEEjNS1_16block_id_wrapperIjLb0EEEEEvT_jjPNSG_10value_typeET0_PNSt15iterator_traitsISJ_E10value_typeEmT1_T2_
    .private_segment_fixed_size: 0
    .sgpr_count:     18
    .sgpr_spill_count: 0
    .symbol:         _ZN7rocprim17ROCPRIM_400000_NS6detail30init_device_scan_by_key_kernelINS1_19lookback_scan_stateINS0_5tupleIJtbEEELb1ELb1EEEN6thrust23THRUST_200600_302600_NS6detail15normal_iteratorINS8_10device_ptrIiEEEEjNS1_16block_id_wrapperIjLb0EEEEEvT_jjPNSG_10value_typeET0_PNSt15iterator_traitsISJ_E10value_typeEmT1_T2_.kd
    .uniform_work_group_size: 1
    .uses_dynamic_stack: false
    .vgpr_count:     7
    .vgpr_spill_count: 0
    .wavefront_size: 32
  - .args:
      - .address_space:  global
        .offset:         0
        .size:           8
        .value_kind:     global_buffer
      - .offset:         8
        .size:           4
        .value_kind:     by_value
      - .offset:         12
        .size:           4
        .value_kind:     by_value
      - .address_space:  global
        .offset:         16
        .size:           8
        .value_kind:     global_buffer
      - .offset:         24
        .size:           1
        .value_kind:     by_value
      - .offset:         32
        .size:           4
        .value_kind:     hidden_block_count_x
      - .offset:         36
        .size:           4
        .value_kind:     hidden_block_count_y
      - .offset:         40
        .size:           4
        .value_kind:     hidden_block_count_z
      - .offset:         44
        .size:           2
        .value_kind:     hidden_group_size_x
      - .offset:         46
        .size:           2
        .value_kind:     hidden_group_size_y
      - .offset:         48
        .size:           2
        .value_kind:     hidden_group_size_z
      - .offset:         50
        .size:           2
        .value_kind:     hidden_remainder_x
      - .offset:         52
        .size:           2
        .value_kind:     hidden_remainder_y
      - .offset:         54
        .size:           2
        .value_kind:     hidden_remainder_z
      - .offset:         72
        .size:           8
        .value_kind:     hidden_global_offset_x
      - .offset:         80
        .size:           8
        .value_kind:     hidden_global_offset_y
      - .offset:         88
        .size:           8
        .value_kind:     hidden_global_offset_z
      - .offset:         96
        .size:           2
        .value_kind:     hidden_grid_dims
    .group_segment_fixed_size: 0
    .kernarg_segment_align: 8
    .kernarg_segment_size: 288
    .language:       OpenCL C
    .language_version:
      - 2
      - 0
    .max_flat_workgroup_size: 256
    .name:           _ZN7rocprim17ROCPRIM_400000_NS6detail30init_device_scan_by_key_kernelINS1_19lookback_scan_stateINS0_5tupleIJtbEEELb1ELb1EEENS1_16block_id_wrapperIjLb0EEEEEvT_jjPNS9_10value_typeET0_
    .private_segment_fixed_size: 0
    .sgpr_count:     12
    .sgpr_spill_count: 0
    .symbol:         _ZN7rocprim17ROCPRIM_400000_NS6detail30init_device_scan_by_key_kernelINS1_19lookback_scan_stateINS0_5tupleIJtbEEELb1ELb1EEENS1_16block_id_wrapperIjLb0EEEEEvT_jjPNS9_10value_typeET0_.kd
    .uniform_work_group_size: 1
    .uses_dynamic_stack: false
    .vgpr_count:     5
    .vgpr_spill_count: 0
    .wavefront_size: 32
  - .args:
      - .offset:         0
        .size:           112
        .value_kind:     by_value
    .group_segment_fixed_size: 0
    .kernarg_segment_align: 8
    .kernarg_segment_size: 112
    .language:       OpenCL C
    .language_version:
      - 2
      - 0
    .max_flat_workgroup_size: 256
    .name:           _ZN7rocprim17ROCPRIM_400000_NS6detail17trampoline_kernelINS0_14default_configENS1_27scan_by_key_config_selectorIitEEZZNS1_16scan_by_key_implILNS1_25lookback_scan_determinismE0ELb0ES3_N6thrust23THRUST_200600_302600_NS6detail15normal_iteratorINS9_10device_ptrIiEEEENSB_INSC_ItEEEESG_tNS9_4plusIvEENS9_8equal_toIvEEtEE10hipError_tPvRmT2_T3_T4_T5_mT6_T7_P12ihipStream_tbENKUlT_T0_E_clISt17integral_constantIbLb1EES10_IbLb0EEEEDaSW_SX_EUlSW_E_NS1_11comp_targetILNS1_3genE0ELNS1_11target_archE4294967295ELNS1_3gpuE0ELNS1_3repE0EEENS1_30default_config_static_selectorELNS0_4arch9wavefront6targetE0EEEvT1_
    .private_segment_fixed_size: 0
    .sgpr_count:     0
    .sgpr_spill_count: 0
    .symbol:         _ZN7rocprim17ROCPRIM_400000_NS6detail17trampoline_kernelINS0_14default_configENS1_27scan_by_key_config_selectorIitEEZZNS1_16scan_by_key_implILNS1_25lookback_scan_determinismE0ELb0ES3_N6thrust23THRUST_200600_302600_NS6detail15normal_iteratorINS9_10device_ptrIiEEEENSB_INSC_ItEEEESG_tNS9_4plusIvEENS9_8equal_toIvEEtEE10hipError_tPvRmT2_T3_T4_T5_mT6_T7_P12ihipStream_tbENKUlT_T0_E_clISt17integral_constantIbLb1EES10_IbLb0EEEEDaSW_SX_EUlSW_E_NS1_11comp_targetILNS1_3genE0ELNS1_11target_archE4294967295ELNS1_3gpuE0ELNS1_3repE0EEENS1_30default_config_static_selectorELNS0_4arch9wavefront6targetE0EEEvT1_.kd
    .uniform_work_group_size: 1
    .uses_dynamic_stack: false
    .vgpr_count:     0
    .vgpr_spill_count: 0
    .wavefront_size: 32
  - .args:
      - .offset:         0
        .size:           112
        .value_kind:     by_value
    .group_segment_fixed_size: 0
    .kernarg_segment_align: 8
    .kernarg_segment_size: 112
    .language:       OpenCL C
    .language_version:
      - 2
      - 0
    .max_flat_workgroup_size: 256
    .name:           _ZN7rocprim17ROCPRIM_400000_NS6detail17trampoline_kernelINS0_14default_configENS1_27scan_by_key_config_selectorIitEEZZNS1_16scan_by_key_implILNS1_25lookback_scan_determinismE0ELb0ES3_N6thrust23THRUST_200600_302600_NS6detail15normal_iteratorINS9_10device_ptrIiEEEENSB_INSC_ItEEEESG_tNS9_4plusIvEENS9_8equal_toIvEEtEE10hipError_tPvRmT2_T3_T4_T5_mT6_T7_P12ihipStream_tbENKUlT_T0_E_clISt17integral_constantIbLb1EES10_IbLb0EEEEDaSW_SX_EUlSW_E_NS1_11comp_targetILNS1_3genE10ELNS1_11target_archE1201ELNS1_3gpuE5ELNS1_3repE0EEENS1_30default_config_static_selectorELNS0_4arch9wavefront6targetE0EEEvT1_
    .private_segment_fixed_size: 0
    .sgpr_count:     0
    .sgpr_spill_count: 0
    .symbol:         _ZN7rocprim17ROCPRIM_400000_NS6detail17trampoline_kernelINS0_14default_configENS1_27scan_by_key_config_selectorIitEEZZNS1_16scan_by_key_implILNS1_25lookback_scan_determinismE0ELb0ES3_N6thrust23THRUST_200600_302600_NS6detail15normal_iteratorINS9_10device_ptrIiEEEENSB_INSC_ItEEEESG_tNS9_4plusIvEENS9_8equal_toIvEEtEE10hipError_tPvRmT2_T3_T4_T5_mT6_T7_P12ihipStream_tbENKUlT_T0_E_clISt17integral_constantIbLb1EES10_IbLb0EEEEDaSW_SX_EUlSW_E_NS1_11comp_targetILNS1_3genE10ELNS1_11target_archE1201ELNS1_3gpuE5ELNS1_3repE0EEENS1_30default_config_static_selectorELNS0_4arch9wavefront6targetE0EEEvT1_.kd
    .uniform_work_group_size: 1
    .uses_dynamic_stack: false
    .vgpr_count:     0
    .vgpr_spill_count: 0
    .wavefront_size: 32
  - .args:
      - .offset:         0
        .size:           112
        .value_kind:     by_value
    .group_segment_fixed_size: 0
    .kernarg_segment_align: 8
    .kernarg_segment_size: 112
    .language:       OpenCL C
    .language_version:
      - 2
      - 0
    .max_flat_workgroup_size: 256
    .name:           _ZN7rocprim17ROCPRIM_400000_NS6detail17trampoline_kernelINS0_14default_configENS1_27scan_by_key_config_selectorIitEEZZNS1_16scan_by_key_implILNS1_25lookback_scan_determinismE0ELb0ES3_N6thrust23THRUST_200600_302600_NS6detail15normal_iteratorINS9_10device_ptrIiEEEENSB_INSC_ItEEEESG_tNS9_4plusIvEENS9_8equal_toIvEEtEE10hipError_tPvRmT2_T3_T4_T5_mT6_T7_P12ihipStream_tbENKUlT_T0_E_clISt17integral_constantIbLb1EES10_IbLb0EEEEDaSW_SX_EUlSW_E_NS1_11comp_targetILNS1_3genE5ELNS1_11target_archE942ELNS1_3gpuE9ELNS1_3repE0EEENS1_30default_config_static_selectorELNS0_4arch9wavefront6targetE0EEEvT1_
    .private_segment_fixed_size: 0
    .sgpr_count:     0
    .sgpr_spill_count: 0
    .symbol:         _ZN7rocprim17ROCPRIM_400000_NS6detail17trampoline_kernelINS0_14default_configENS1_27scan_by_key_config_selectorIitEEZZNS1_16scan_by_key_implILNS1_25lookback_scan_determinismE0ELb0ES3_N6thrust23THRUST_200600_302600_NS6detail15normal_iteratorINS9_10device_ptrIiEEEENSB_INSC_ItEEEESG_tNS9_4plusIvEENS9_8equal_toIvEEtEE10hipError_tPvRmT2_T3_T4_T5_mT6_T7_P12ihipStream_tbENKUlT_T0_E_clISt17integral_constantIbLb1EES10_IbLb0EEEEDaSW_SX_EUlSW_E_NS1_11comp_targetILNS1_3genE5ELNS1_11target_archE942ELNS1_3gpuE9ELNS1_3repE0EEENS1_30default_config_static_selectorELNS0_4arch9wavefront6targetE0EEEvT1_.kd
    .uniform_work_group_size: 1
    .uses_dynamic_stack: false
    .vgpr_count:     0
    .vgpr_spill_count: 0
    .wavefront_size: 32
  - .args:
      - .offset:         0
        .size:           112
        .value_kind:     by_value
    .group_segment_fixed_size: 0
    .kernarg_segment_align: 8
    .kernarg_segment_size: 112
    .language:       OpenCL C
    .language_version:
      - 2
      - 0
    .max_flat_workgroup_size: 64
    .name:           _ZN7rocprim17ROCPRIM_400000_NS6detail17trampoline_kernelINS0_14default_configENS1_27scan_by_key_config_selectorIitEEZZNS1_16scan_by_key_implILNS1_25lookback_scan_determinismE0ELb0ES3_N6thrust23THRUST_200600_302600_NS6detail15normal_iteratorINS9_10device_ptrIiEEEENSB_INSC_ItEEEESG_tNS9_4plusIvEENS9_8equal_toIvEEtEE10hipError_tPvRmT2_T3_T4_T5_mT6_T7_P12ihipStream_tbENKUlT_T0_E_clISt17integral_constantIbLb1EES10_IbLb0EEEEDaSW_SX_EUlSW_E_NS1_11comp_targetILNS1_3genE4ELNS1_11target_archE910ELNS1_3gpuE8ELNS1_3repE0EEENS1_30default_config_static_selectorELNS0_4arch9wavefront6targetE0EEEvT1_
    .private_segment_fixed_size: 0
    .sgpr_count:     0
    .sgpr_spill_count: 0
    .symbol:         _ZN7rocprim17ROCPRIM_400000_NS6detail17trampoline_kernelINS0_14default_configENS1_27scan_by_key_config_selectorIitEEZZNS1_16scan_by_key_implILNS1_25lookback_scan_determinismE0ELb0ES3_N6thrust23THRUST_200600_302600_NS6detail15normal_iteratorINS9_10device_ptrIiEEEENSB_INSC_ItEEEESG_tNS9_4plusIvEENS9_8equal_toIvEEtEE10hipError_tPvRmT2_T3_T4_T5_mT6_T7_P12ihipStream_tbENKUlT_T0_E_clISt17integral_constantIbLb1EES10_IbLb0EEEEDaSW_SX_EUlSW_E_NS1_11comp_targetILNS1_3genE4ELNS1_11target_archE910ELNS1_3gpuE8ELNS1_3repE0EEENS1_30default_config_static_selectorELNS0_4arch9wavefront6targetE0EEEvT1_.kd
    .uniform_work_group_size: 1
    .uses_dynamic_stack: false
    .vgpr_count:     0
    .vgpr_spill_count: 0
    .wavefront_size: 32
  - .args:
      - .offset:         0
        .size:           112
        .value_kind:     by_value
    .group_segment_fixed_size: 0
    .kernarg_segment_align: 8
    .kernarg_segment_size: 112
    .language:       OpenCL C
    .language_version:
      - 2
      - 0
    .max_flat_workgroup_size: 256
    .name:           _ZN7rocprim17ROCPRIM_400000_NS6detail17trampoline_kernelINS0_14default_configENS1_27scan_by_key_config_selectorIitEEZZNS1_16scan_by_key_implILNS1_25lookback_scan_determinismE0ELb0ES3_N6thrust23THRUST_200600_302600_NS6detail15normal_iteratorINS9_10device_ptrIiEEEENSB_INSC_ItEEEESG_tNS9_4plusIvEENS9_8equal_toIvEEtEE10hipError_tPvRmT2_T3_T4_T5_mT6_T7_P12ihipStream_tbENKUlT_T0_E_clISt17integral_constantIbLb1EES10_IbLb0EEEEDaSW_SX_EUlSW_E_NS1_11comp_targetILNS1_3genE3ELNS1_11target_archE908ELNS1_3gpuE7ELNS1_3repE0EEENS1_30default_config_static_selectorELNS0_4arch9wavefront6targetE0EEEvT1_
    .private_segment_fixed_size: 0
    .sgpr_count:     0
    .sgpr_spill_count: 0
    .symbol:         _ZN7rocprim17ROCPRIM_400000_NS6detail17trampoline_kernelINS0_14default_configENS1_27scan_by_key_config_selectorIitEEZZNS1_16scan_by_key_implILNS1_25lookback_scan_determinismE0ELb0ES3_N6thrust23THRUST_200600_302600_NS6detail15normal_iteratorINS9_10device_ptrIiEEEENSB_INSC_ItEEEESG_tNS9_4plusIvEENS9_8equal_toIvEEtEE10hipError_tPvRmT2_T3_T4_T5_mT6_T7_P12ihipStream_tbENKUlT_T0_E_clISt17integral_constantIbLb1EES10_IbLb0EEEEDaSW_SX_EUlSW_E_NS1_11comp_targetILNS1_3genE3ELNS1_11target_archE908ELNS1_3gpuE7ELNS1_3repE0EEENS1_30default_config_static_selectorELNS0_4arch9wavefront6targetE0EEEvT1_.kd
    .uniform_work_group_size: 1
    .uses_dynamic_stack: false
    .vgpr_count:     0
    .vgpr_spill_count: 0
    .wavefront_size: 32
  - .args:
      - .offset:         0
        .size:           112
        .value_kind:     by_value
    .group_segment_fixed_size: 0
    .kernarg_segment_align: 8
    .kernarg_segment_size: 112
    .language:       OpenCL C
    .language_version:
      - 2
      - 0
    .max_flat_workgroup_size: 64
    .name:           _ZN7rocprim17ROCPRIM_400000_NS6detail17trampoline_kernelINS0_14default_configENS1_27scan_by_key_config_selectorIitEEZZNS1_16scan_by_key_implILNS1_25lookback_scan_determinismE0ELb0ES3_N6thrust23THRUST_200600_302600_NS6detail15normal_iteratorINS9_10device_ptrIiEEEENSB_INSC_ItEEEESG_tNS9_4plusIvEENS9_8equal_toIvEEtEE10hipError_tPvRmT2_T3_T4_T5_mT6_T7_P12ihipStream_tbENKUlT_T0_E_clISt17integral_constantIbLb1EES10_IbLb0EEEEDaSW_SX_EUlSW_E_NS1_11comp_targetILNS1_3genE2ELNS1_11target_archE906ELNS1_3gpuE6ELNS1_3repE0EEENS1_30default_config_static_selectorELNS0_4arch9wavefront6targetE0EEEvT1_
    .private_segment_fixed_size: 0
    .sgpr_count:     0
    .sgpr_spill_count: 0
    .symbol:         _ZN7rocprim17ROCPRIM_400000_NS6detail17trampoline_kernelINS0_14default_configENS1_27scan_by_key_config_selectorIitEEZZNS1_16scan_by_key_implILNS1_25lookback_scan_determinismE0ELb0ES3_N6thrust23THRUST_200600_302600_NS6detail15normal_iteratorINS9_10device_ptrIiEEEENSB_INSC_ItEEEESG_tNS9_4plusIvEENS9_8equal_toIvEEtEE10hipError_tPvRmT2_T3_T4_T5_mT6_T7_P12ihipStream_tbENKUlT_T0_E_clISt17integral_constantIbLb1EES10_IbLb0EEEEDaSW_SX_EUlSW_E_NS1_11comp_targetILNS1_3genE2ELNS1_11target_archE906ELNS1_3gpuE6ELNS1_3repE0EEENS1_30default_config_static_selectorELNS0_4arch9wavefront6targetE0EEEvT1_.kd
    .uniform_work_group_size: 1
    .uses_dynamic_stack: false
    .vgpr_count:     0
    .vgpr_spill_count: 0
    .wavefront_size: 32
  - .args:
      - .offset:         0
        .size:           112
        .value_kind:     by_value
    .group_segment_fixed_size: 0
    .kernarg_segment_align: 8
    .kernarg_segment_size: 112
    .language:       OpenCL C
    .language_version:
      - 2
      - 0
    .max_flat_workgroup_size: 256
    .name:           _ZN7rocprim17ROCPRIM_400000_NS6detail17trampoline_kernelINS0_14default_configENS1_27scan_by_key_config_selectorIitEEZZNS1_16scan_by_key_implILNS1_25lookback_scan_determinismE0ELb0ES3_N6thrust23THRUST_200600_302600_NS6detail15normal_iteratorINS9_10device_ptrIiEEEENSB_INSC_ItEEEESG_tNS9_4plusIvEENS9_8equal_toIvEEtEE10hipError_tPvRmT2_T3_T4_T5_mT6_T7_P12ihipStream_tbENKUlT_T0_E_clISt17integral_constantIbLb1EES10_IbLb0EEEEDaSW_SX_EUlSW_E_NS1_11comp_targetILNS1_3genE10ELNS1_11target_archE1200ELNS1_3gpuE4ELNS1_3repE0EEENS1_30default_config_static_selectorELNS0_4arch9wavefront6targetE0EEEvT1_
    .private_segment_fixed_size: 0
    .sgpr_count:     0
    .sgpr_spill_count: 0
    .symbol:         _ZN7rocprim17ROCPRIM_400000_NS6detail17trampoline_kernelINS0_14default_configENS1_27scan_by_key_config_selectorIitEEZZNS1_16scan_by_key_implILNS1_25lookback_scan_determinismE0ELb0ES3_N6thrust23THRUST_200600_302600_NS6detail15normal_iteratorINS9_10device_ptrIiEEEENSB_INSC_ItEEEESG_tNS9_4plusIvEENS9_8equal_toIvEEtEE10hipError_tPvRmT2_T3_T4_T5_mT6_T7_P12ihipStream_tbENKUlT_T0_E_clISt17integral_constantIbLb1EES10_IbLb0EEEEDaSW_SX_EUlSW_E_NS1_11comp_targetILNS1_3genE10ELNS1_11target_archE1200ELNS1_3gpuE4ELNS1_3repE0EEENS1_30default_config_static_selectorELNS0_4arch9wavefront6targetE0EEEvT1_.kd
    .uniform_work_group_size: 1
    .uses_dynamic_stack: false
    .vgpr_count:     0
    .vgpr_spill_count: 0
    .wavefront_size: 32
  - .args:
      - .offset:         0
        .size:           112
        .value_kind:     by_value
    .group_segment_fixed_size: 0
    .kernarg_segment_align: 8
    .kernarg_segment_size: 112
    .language:       OpenCL C
    .language_version:
      - 2
      - 0
    .max_flat_workgroup_size: 64
    .name:           _ZN7rocprim17ROCPRIM_400000_NS6detail17trampoline_kernelINS0_14default_configENS1_27scan_by_key_config_selectorIitEEZZNS1_16scan_by_key_implILNS1_25lookback_scan_determinismE0ELb0ES3_N6thrust23THRUST_200600_302600_NS6detail15normal_iteratorINS9_10device_ptrIiEEEENSB_INSC_ItEEEESG_tNS9_4plusIvEENS9_8equal_toIvEEtEE10hipError_tPvRmT2_T3_T4_T5_mT6_T7_P12ihipStream_tbENKUlT_T0_E_clISt17integral_constantIbLb1EES10_IbLb0EEEEDaSW_SX_EUlSW_E_NS1_11comp_targetILNS1_3genE9ELNS1_11target_archE1100ELNS1_3gpuE3ELNS1_3repE0EEENS1_30default_config_static_selectorELNS0_4arch9wavefront6targetE0EEEvT1_
    .private_segment_fixed_size: 0
    .sgpr_count:     0
    .sgpr_spill_count: 0
    .symbol:         _ZN7rocprim17ROCPRIM_400000_NS6detail17trampoline_kernelINS0_14default_configENS1_27scan_by_key_config_selectorIitEEZZNS1_16scan_by_key_implILNS1_25lookback_scan_determinismE0ELb0ES3_N6thrust23THRUST_200600_302600_NS6detail15normal_iteratorINS9_10device_ptrIiEEEENSB_INSC_ItEEEESG_tNS9_4plusIvEENS9_8equal_toIvEEtEE10hipError_tPvRmT2_T3_T4_T5_mT6_T7_P12ihipStream_tbENKUlT_T0_E_clISt17integral_constantIbLb1EES10_IbLb0EEEEDaSW_SX_EUlSW_E_NS1_11comp_targetILNS1_3genE9ELNS1_11target_archE1100ELNS1_3gpuE3ELNS1_3repE0EEENS1_30default_config_static_selectorELNS0_4arch9wavefront6targetE0EEEvT1_.kd
    .uniform_work_group_size: 1
    .uses_dynamic_stack: false
    .vgpr_count:     0
    .vgpr_spill_count: 0
    .wavefront_size: 32
  - .args:
      - .offset:         0
        .size:           112
        .value_kind:     by_value
    .group_segment_fixed_size: 0
    .kernarg_segment_align: 8
    .kernarg_segment_size: 112
    .language:       OpenCL C
    .language_version:
      - 2
      - 0
    .max_flat_workgroup_size: 64
    .name:           _ZN7rocprim17ROCPRIM_400000_NS6detail17trampoline_kernelINS0_14default_configENS1_27scan_by_key_config_selectorIitEEZZNS1_16scan_by_key_implILNS1_25lookback_scan_determinismE0ELb0ES3_N6thrust23THRUST_200600_302600_NS6detail15normal_iteratorINS9_10device_ptrIiEEEENSB_INSC_ItEEEESG_tNS9_4plusIvEENS9_8equal_toIvEEtEE10hipError_tPvRmT2_T3_T4_T5_mT6_T7_P12ihipStream_tbENKUlT_T0_E_clISt17integral_constantIbLb1EES10_IbLb0EEEEDaSW_SX_EUlSW_E_NS1_11comp_targetILNS1_3genE8ELNS1_11target_archE1030ELNS1_3gpuE2ELNS1_3repE0EEENS1_30default_config_static_selectorELNS0_4arch9wavefront6targetE0EEEvT1_
    .private_segment_fixed_size: 0
    .sgpr_count:     0
    .sgpr_spill_count: 0
    .symbol:         _ZN7rocprim17ROCPRIM_400000_NS6detail17trampoline_kernelINS0_14default_configENS1_27scan_by_key_config_selectorIitEEZZNS1_16scan_by_key_implILNS1_25lookback_scan_determinismE0ELb0ES3_N6thrust23THRUST_200600_302600_NS6detail15normal_iteratorINS9_10device_ptrIiEEEENSB_INSC_ItEEEESG_tNS9_4plusIvEENS9_8equal_toIvEEtEE10hipError_tPvRmT2_T3_T4_T5_mT6_T7_P12ihipStream_tbENKUlT_T0_E_clISt17integral_constantIbLb1EES10_IbLb0EEEEDaSW_SX_EUlSW_E_NS1_11comp_targetILNS1_3genE8ELNS1_11target_archE1030ELNS1_3gpuE2ELNS1_3repE0EEENS1_30default_config_static_selectorELNS0_4arch9wavefront6targetE0EEEvT1_.kd
    .uniform_work_group_size: 1
    .uses_dynamic_stack: false
    .vgpr_count:     0
    .vgpr_spill_count: 0
    .wavefront_size: 32
  - .args:
      - .address_space:  global
        .offset:         0
        .size:           8
        .value_kind:     global_buffer
      - .offset:         8
        .size:           4
        .value_kind:     by_value
      - .offset:         12
        .size:           4
        .value_kind:     by_value
      - .address_space:  global
        .offset:         16
        .size:           8
        .value_kind:     global_buffer
      - .address_space:  global
        .offset:         24
        .size:           8
        .value_kind:     global_buffer
      - .actual_access:  write_only
        .address_space:  global
        .offset:         32
        .size:           8
        .value_kind:     global_buffer
      - .offset:         40
        .size:           8
        .value_kind:     by_value
      - .offset:         48
        .size:           4
        .value_kind:     by_value
      - .address_space:  global
        .offset:         56
        .size:           8
        .value_kind:     global_buffer
      - .offset:         64
        .size:           4
        .value_kind:     hidden_block_count_x
      - .offset:         68
        .size:           4
        .value_kind:     hidden_block_count_y
      - .offset:         72
        .size:           4
        .value_kind:     hidden_block_count_z
      - .offset:         76
        .size:           2
        .value_kind:     hidden_group_size_x
      - .offset:         78
        .size:           2
        .value_kind:     hidden_group_size_y
      - .offset:         80
        .size:           2
        .value_kind:     hidden_group_size_z
      - .offset:         82
        .size:           2
        .value_kind:     hidden_remainder_x
      - .offset:         84
        .size:           2
        .value_kind:     hidden_remainder_y
      - .offset:         86
        .size:           2
        .value_kind:     hidden_remainder_z
      - .offset:         104
        .size:           8
        .value_kind:     hidden_global_offset_x
      - .offset:         112
        .size:           8
        .value_kind:     hidden_global_offset_y
      - .offset:         120
        .size:           8
        .value_kind:     hidden_global_offset_z
      - .offset:         128
        .size:           2
        .value_kind:     hidden_grid_dims
    .group_segment_fixed_size: 0
    .kernarg_segment_align: 8
    .kernarg_segment_size: 320
    .language:       OpenCL C
    .language_version:
      - 2
      - 0
    .max_flat_workgroup_size: 256
    .name:           _ZN7rocprim17ROCPRIM_400000_NS6detail30init_device_scan_by_key_kernelINS1_19lookback_scan_stateINS0_5tupleIJtbEEELb0ELb1EEEN6thrust23THRUST_200600_302600_NS6detail15normal_iteratorINS8_10device_ptrIiEEEEjNS1_16block_id_wrapperIjLb1EEEEEvT_jjPNSG_10value_typeET0_PNSt15iterator_traitsISJ_E10value_typeEmT1_T2_
    .private_segment_fixed_size: 0
    .sgpr_count:     18
    .sgpr_spill_count: 0
    .symbol:         _ZN7rocprim17ROCPRIM_400000_NS6detail30init_device_scan_by_key_kernelINS1_19lookback_scan_stateINS0_5tupleIJtbEEELb0ELb1EEEN6thrust23THRUST_200600_302600_NS6detail15normal_iteratorINS8_10device_ptrIiEEEEjNS1_16block_id_wrapperIjLb1EEEEEvT_jjPNSG_10value_typeET0_PNSt15iterator_traitsISJ_E10value_typeEmT1_T2_.kd
    .uniform_work_group_size: 1
    .uses_dynamic_stack: false
    .vgpr_count:     7
    .vgpr_spill_count: 0
    .wavefront_size: 32
  - .args:
      - .address_space:  global
        .offset:         0
        .size:           8
        .value_kind:     global_buffer
      - .offset:         8
        .size:           4
        .value_kind:     by_value
      - .offset:         12
        .size:           4
        .value_kind:     by_value
      - .address_space:  global
        .offset:         16
        .size:           8
        .value_kind:     global_buffer
      - .address_space:  global
        .offset:         24
        .size:           8
        .value_kind:     global_buffer
      - .offset:         32
        .size:           4
        .value_kind:     hidden_block_count_x
      - .offset:         36
        .size:           4
        .value_kind:     hidden_block_count_y
      - .offset:         40
        .size:           4
        .value_kind:     hidden_block_count_z
      - .offset:         44
        .size:           2
        .value_kind:     hidden_group_size_x
      - .offset:         46
        .size:           2
        .value_kind:     hidden_group_size_y
      - .offset:         48
        .size:           2
        .value_kind:     hidden_group_size_z
      - .offset:         50
        .size:           2
        .value_kind:     hidden_remainder_x
      - .offset:         52
        .size:           2
        .value_kind:     hidden_remainder_y
      - .offset:         54
        .size:           2
        .value_kind:     hidden_remainder_z
      - .offset:         72
        .size:           8
        .value_kind:     hidden_global_offset_x
      - .offset:         80
        .size:           8
        .value_kind:     hidden_global_offset_y
      - .offset:         88
        .size:           8
        .value_kind:     hidden_global_offset_z
      - .offset:         96
        .size:           2
        .value_kind:     hidden_grid_dims
    .group_segment_fixed_size: 0
    .kernarg_segment_align: 8
    .kernarg_segment_size: 288
    .language:       OpenCL C
    .language_version:
      - 2
      - 0
    .max_flat_workgroup_size: 256
    .name:           _ZN7rocprim17ROCPRIM_400000_NS6detail30init_device_scan_by_key_kernelINS1_19lookback_scan_stateINS0_5tupleIJtbEEELb0ELb1EEENS1_16block_id_wrapperIjLb1EEEEEvT_jjPNS9_10value_typeET0_
    .private_segment_fixed_size: 0
    .sgpr_count:     14
    .sgpr_spill_count: 0
    .symbol:         _ZN7rocprim17ROCPRIM_400000_NS6detail30init_device_scan_by_key_kernelINS1_19lookback_scan_stateINS0_5tupleIJtbEEELb0ELb1EEENS1_16block_id_wrapperIjLb1EEEEEvT_jjPNS9_10value_typeET0_.kd
    .uniform_work_group_size: 1
    .uses_dynamic_stack: false
    .vgpr_count:     5
    .vgpr_spill_count: 0
    .wavefront_size: 32
  - .args:
      - .offset:         0
        .size:           112
        .value_kind:     by_value
    .group_segment_fixed_size: 16384
    .kernarg_segment_align: 8
    .kernarg_segment_size: 112
    .language:       OpenCL C
    .language_version:
      - 2
      - 0
    .max_flat_workgroup_size: 256
    .name:           _ZN7rocprim17ROCPRIM_400000_NS6detail17trampoline_kernelINS0_14default_configENS1_27scan_by_key_config_selectorIitEEZZNS1_16scan_by_key_implILNS1_25lookback_scan_determinismE0ELb0ES3_N6thrust23THRUST_200600_302600_NS6detail15normal_iteratorINS9_10device_ptrIiEEEENSB_INSC_ItEEEESG_tNS9_4plusIvEENS9_8equal_toIvEEtEE10hipError_tPvRmT2_T3_T4_T5_mT6_T7_P12ihipStream_tbENKUlT_T0_E_clISt17integral_constantIbLb0EES10_IbLb1EEEEDaSW_SX_EUlSW_E_NS1_11comp_targetILNS1_3genE0ELNS1_11target_archE4294967295ELNS1_3gpuE0ELNS1_3repE0EEENS1_30default_config_static_selectorELNS0_4arch9wavefront6targetE0EEEvT1_
    .private_segment_fixed_size: 0
    .sgpr_count:     47
    .sgpr_spill_count: 0
    .symbol:         _ZN7rocprim17ROCPRIM_400000_NS6detail17trampoline_kernelINS0_14default_configENS1_27scan_by_key_config_selectorIitEEZZNS1_16scan_by_key_implILNS1_25lookback_scan_determinismE0ELb0ES3_N6thrust23THRUST_200600_302600_NS6detail15normal_iteratorINS9_10device_ptrIiEEEENSB_INSC_ItEEEESG_tNS9_4plusIvEENS9_8equal_toIvEEtEE10hipError_tPvRmT2_T3_T4_T5_mT6_T7_P12ihipStream_tbENKUlT_T0_E_clISt17integral_constantIbLb0EES10_IbLb1EEEEDaSW_SX_EUlSW_E_NS1_11comp_targetILNS1_3genE0ELNS1_11target_archE4294967295ELNS1_3gpuE0ELNS1_3repE0EEENS1_30default_config_static_selectorELNS0_4arch9wavefront6targetE0EEEvT1_.kd
    .uniform_work_group_size: 1
    .uses_dynamic_stack: false
    .vgpr_count:     45
    .vgpr_spill_count: 0
    .wavefront_size: 32
  - .args:
      - .offset:         0
        .size:           112
        .value_kind:     by_value
    .group_segment_fixed_size: 0
    .kernarg_segment_align: 8
    .kernarg_segment_size: 112
    .language:       OpenCL C
    .language_version:
      - 2
      - 0
    .max_flat_workgroup_size: 256
    .name:           _ZN7rocprim17ROCPRIM_400000_NS6detail17trampoline_kernelINS0_14default_configENS1_27scan_by_key_config_selectorIitEEZZNS1_16scan_by_key_implILNS1_25lookback_scan_determinismE0ELb0ES3_N6thrust23THRUST_200600_302600_NS6detail15normal_iteratorINS9_10device_ptrIiEEEENSB_INSC_ItEEEESG_tNS9_4plusIvEENS9_8equal_toIvEEtEE10hipError_tPvRmT2_T3_T4_T5_mT6_T7_P12ihipStream_tbENKUlT_T0_E_clISt17integral_constantIbLb0EES10_IbLb1EEEEDaSW_SX_EUlSW_E_NS1_11comp_targetILNS1_3genE10ELNS1_11target_archE1201ELNS1_3gpuE5ELNS1_3repE0EEENS1_30default_config_static_selectorELNS0_4arch9wavefront6targetE0EEEvT1_
    .private_segment_fixed_size: 0
    .sgpr_count:     0
    .sgpr_spill_count: 0
    .symbol:         _ZN7rocprim17ROCPRIM_400000_NS6detail17trampoline_kernelINS0_14default_configENS1_27scan_by_key_config_selectorIitEEZZNS1_16scan_by_key_implILNS1_25lookback_scan_determinismE0ELb0ES3_N6thrust23THRUST_200600_302600_NS6detail15normal_iteratorINS9_10device_ptrIiEEEENSB_INSC_ItEEEESG_tNS9_4plusIvEENS9_8equal_toIvEEtEE10hipError_tPvRmT2_T3_T4_T5_mT6_T7_P12ihipStream_tbENKUlT_T0_E_clISt17integral_constantIbLb0EES10_IbLb1EEEEDaSW_SX_EUlSW_E_NS1_11comp_targetILNS1_3genE10ELNS1_11target_archE1201ELNS1_3gpuE5ELNS1_3repE0EEENS1_30default_config_static_selectorELNS0_4arch9wavefront6targetE0EEEvT1_.kd
    .uniform_work_group_size: 1
    .uses_dynamic_stack: false
    .vgpr_count:     0
    .vgpr_spill_count: 0
    .wavefront_size: 32
  - .args:
      - .offset:         0
        .size:           112
        .value_kind:     by_value
    .group_segment_fixed_size: 0
    .kernarg_segment_align: 8
    .kernarg_segment_size: 112
    .language:       OpenCL C
    .language_version:
      - 2
      - 0
    .max_flat_workgroup_size: 256
    .name:           _ZN7rocprim17ROCPRIM_400000_NS6detail17trampoline_kernelINS0_14default_configENS1_27scan_by_key_config_selectorIitEEZZNS1_16scan_by_key_implILNS1_25lookback_scan_determinismE0ELb0ES3_N6thrust23THRUST_200600_302600_NS6detail15normal_iteratorINS9_10device_ptrIiEEEENSB_INSC_ItEEEESG_tNS9_4plusIvEENS9_8equal_toIvEEtEE10hipError_tPvRmT2_T3_T4_T5_mT6_T7_P12ihipStream_tbENKUlT_T0_E_clISt17integral_constantIbLb0EES10_IbLb1EEEEDaSW_SX_EUlSW_E_NS1_11comp_targetILNS1_3genE5ELNS1_11target_archE942ELNS1_3gpuE9ELNS1_3repE0EEENS1_30default_config_static_selectorELNS0_4arch9wavefront6targetE0EEEvT1_
    .private_segment_fixed_size: 0
    .sgpr_count:     0
    .sgpr_spill_count: 0
    .symbol:         _ZN7rocprim17ROCPRIM_400000_NS6detail17trampoline_kernelINS0_14default_configENS1_27scan_by_key_config_selectorIitEEZZNS1_16scan_by_key_implILNS1_25lookback_scan_determinismE0ELb0ES3_N6thrust23THRUST_200600_302600_NS6detail15normal_iteratorINS9_10device_ptrIiEEEENSB_INSC_ItEEEESG_tNS9_4plusIvEENS9_8equal_toIvEEtEE10hipError_tPvRmT2_T3_T4_T5_mT6_T7_P12ihipStream_tbENKUlT_T0_E_clISt17integral_constantIbLb0EES10_IbLb1EEEEDaSW_SX_EUlSW_E_NS1_11comp_targetILNS1_3genE5ELNS1_11target_archE942ELNS1_3gpuE9ELNS1_3repE0EEENS1_30default_config_static_selectorELNS0_4arch9wavefront6targetE0EEEvT1_.kd
    .uniform_work_group_size: 1
    .uses_dynamic_stack: false
    .vgpr_count:     0
    .vgpr_spill_count: 0
    .wavefront_size: 32
  - .args:
      - .offset:         0
        .size:           112
        .value_kind:     by_value
    .group_segment_fixed_size: 0
    .kernarg_segment_align: 8
    .kernarg_segment_size: 112
    .language:       OpenCL C
    .language_version:
      - 2
      - 0
    .max_flat_workgroup_size: 64
    .name:           _ZN7rocprim17ROCPRIM_400000_NS6detail17trampoline_kernelINS0_14default_configENS1_27scan_by_key_config_selectorIitEEZZNS1_16scan_by_key_implILNS1_25lookback_scan_determinismE0ELb0ES3_N6thrust23THRUST_200600_302600_NS6detail15normal_iteratorINS9_10device_ptrIiEEEENSB_INSC_ItEEEESG_tNS9_4plusIvEENS9_8equal_toIvEEtEE10hipError_tPvRmT2_T3_T4_T5_mT6_T7_P12ihipStream_tbENKUlT_T0_E_clISt17integral_constantIbLb0EES10_IbLb1EEEEDaSW_SX_EUlSW_E_NS1_11comp_targetILNS1_3genE4ELNS1_11target_archE910ELNS1_3gpuE8ELNS1_3repE0EEENS1_30default_config_static_selectorELNS0_4arch9wavefront6targetE0EEEvT1_
    .private_segment_fixed_size: 0
    .sgpr_count:     0
    .sgpr_spill_count: 0
    .symbol:         _ZN7rocprim17ROCPRIM_400000_NS6detail17trampoline_kernelINS0_14default_configENS1_27scan_by_key_config_selectorIitEEZZNS1_16scan_by_key_implILNS1_25lookback_scan_determinismE0ELb0ES3_N6thrust23THRUST_200600_302600_NS6detail15normal_iteratorINS9_10device_ptrIiEEEENSB_INSC_ItEEEESG_tNS9_4plusIvEENS9_8equal_toIvEEtEE10hipError_tPvRmT2_T3_T4_T5_mT6_T7_P12ihipStream_tbENKUlT_T0_E_clISt17integral_constantIbLb0EES10_IbLb1EEEEDaSW_SX_EUlSW_E_NS1_11comp_targetILNS1_3genE4ELNS1_11target_archE910ELNS1_3gpuE8ELNS1_3repE0EEENS1_30default_config_static_selectorELNS0_4arch9wavefront6targetE0EEEvT1_.kd
    .uniform_work_group_size: 1
    .uses_dynamic_stack: false
    .vgpr_count:     0
    .vgpr_spill_count: 0
    .wavefront_size: 32
  - .args:
      - .offset:         0
        .size:           112
        .value_kind:     by_value
    .group_segment_fixed_size: 0
    .kernarg_segment_align: 8
    .kernarg_segment_size: 112
    .language:       OpenCL C
    .language_version:
      - 2
      - 0
    .max_flat_workgroup_size: 256
    .name:           _ZN7rocprim17ROCPRIM_400000_NS6detail17trampoline_kernelINS0_14default_configENS1_27scan_by_key_config_selectorIitEEZZNS1_16scan_by_key_implILNS1_25lookback_scan_determinismE0ELb0ES3_N6thrust23THRUST_200600_302600_NS6detail15normal_iteratorINS9_10device_ptrIiEEEENSB_INSC_ItEEEESG_tNS9_4plusIvEENS9_8equal_toIvEEtEE10hipError_tPvRmT2_T3_T4_T5_mT6_T7_P12ihipStream_tbENKUlT_T0_E_clISt17integral_constantIbLb0EES10_IbLb1EEEEDaSW_SX_EUlSW_E_NS1_11comp_targetILNS1_3genE3ELNS1_11target_archE908ELNS1_3gpuE7ELNS1_3repE0EEENS1_30default_config_static_selectorELNS0_4arch9wavefront6targetE0EEEvT1_
    .private_segment_fixed_size: 0
    .sgpr_count:     0
    .sgpr_spill_count: 0
    .symbol:         _ZN7rocprim17ROCPRIM_400000_NS6detail17trampoline_kernelINS0_14default_configENS1_27scan_by_key_config_selectorIitEEZZNS1_16scan_by_key_implILNS1_25lookback_scan_determinismE0ELb0ES3_N6thrust23THRUST_200600_302600_NS6detail15normal_iteratorINS9_10device_ptrIiEEEENSB_INSC_ItEEEESG_tNS9_4plusIvEENS9_8equal_toIvEEtEE10hipError_tPvRmT2_T3_T4_T5_mT6_T7_P12ihipStream_tbENKUlT_T0_E_clISt17integral_constantIbLb0EES10_IbLb1EEEEDaSW_SX_EUlSW_E_NS1_11comp_targetILNS1_3genE3ELNS1_11target_archE908ELNS1_3gpuE7ELNS1_3repE0EEENS1_30default_config_static_selectorELNS0_4arch9wavefront6targetE0EEEvT1_.kd
    .uniform_work_group_size: 1
    .uses_dynamic_stack: false
    .vgpr_count:     0
    .vgpr_spill_count: 0
    .wavefront_size: 32
  - .args:
      - .offset:         0
        .size:           112
        .value_kind:     by_value
    .group_segment_fixed_size: 0
    .kernarg_segment_align: 8
    .kernarg_segment_size: 112
    .language:       OpenCL C
    .language_version:
      - 2
      - 0
    .max_flat_workgroup_size: 64
    .name:           _ZN7rocprim17ROCPRIM_400000_NS6detail17trampoline_kernelINS0_14default_configENS1_27scan_by_key_config_selectorIitEEZZNS1_16scan_by_key_implILNS1_25lookback_scan_determinismE0ELb0ES3_N6thrust23THRUST_200600_302600_NS6detail15normal_iteratorINS9_10device_ptrIiEEEENSB_INSC_ItEEEESG_tNS9_4plusIvEENS9_8equal_toIvEEtEE10hipError_tPvRmT2_T3_T4_T5_mT6_T7_P12ihipStream_tbENKUlT_T0_E_clISt17integral_constantIbLb0EES10_IbLb1EEEEDaSW_SX_EUlSW_E_NS1_11comp_targetILNS1_3genE2ELNS1_11target_archE906ELNS1_3gpuE6ELNS1_3repE0EEENS1_30default_config_static_selectorELNS0_4arch9wavefront6targetE0EEEvT1_
    .private_segment_fixed_size: 0
    .sgpr_count:     0
    .sgpr_spill_count: 0
    .symbol:         _ZN7rocprim17ROCPRIM_400000_NS6detail17trampoline_kernelINS0_14default_configENS1_27scan_by_key_config_selectorIitEEZZNS1_16scan_by_key_implILNS1_25lookback_scan_determinismE0ELb0ES3_N6thrust23THRUST_200600_302600_NS6detail15normal_iteratorINS9_10device_ptrIiEEEENSB_INSC_ItEEEESG_tNS9_4plusIvEENS9_8equal_toIvEEtEE10hipError_tPvRmT2_T3_T4_T5_mT6_T7_P12ihipStream_tbENKUlT_T0_E_clISt17integral_constantIbLb0EES10_IbLb1EEEEDaSW_SX_EUlSW_E_NS1_11comp_targetILNS1_3genE2ELNS1_11target_archE906ELNS1_3gpuE6ELNS1_3repE0EEENS1_30default_config_static_selectorELNS0_4arch9wavefront6targetE0EEEvT1_.kd
    .uniform_work_group_size: 1
    .uses_dynamic_stack: false
    .vgpr_count:     0
    .vgpr_spill_count: 0
    .wavefront_size: 32
  - .args:
      - .offset:         0
        .size:           112
        .value_kind:     by_value
    .group_segment_fixed_size: 0
    .kernarg_segment_align: 8
    .kernarg_segment_size: 112
    .language:       OpenCL C
    .language_version:
      - 2
      - 0
    .max_flat_workgroup_size: 256
    .name:           _ZN7rocprim17ROCPRIM_400000_NS6detail17trampoline_kernelINS0_14default_configENS1_27scan_by_key_config_selectorIitEEZZNS1_16scan_by_key_implILNS1_25lookback_scan_determinismE0ELb0ES3_N6thrust23THRUST_200600_302600_NS6detail15normal_iteratorINS9_10device_ptrIiEEEENSB_INSC_ItEEEESG_tNS9_4plusIvEENS9_8equal_toIvEEtEE10hipError_tPvRmT2_T3_T4_T5_mT6_T7_P12ihipStream_tbENKUlT_T0_E_clISt17integral_constantIbLb0EES10_IbLb1EEEEDaSW_SX_EUlSW_E_NS1_11comp_targetILNS1_3genE10ELNS1_11target_archE1200ELNS1_3gpuE4ELNS1_3repE0EEENS1_30default_config_static_selectorELNS0_4arch9wavefront6targetE0EEEvT1_
    .private_segment_fixed_size: 0
    .sgpr_count:     0
    .sgpr_spill_count: 0
    .symbol:         _ZN7rocprim17ROCPRIM_400000_NS6detail17trampoline_kernelINS0_14default_configENS1_27scan_by_key_config_selectorIitEEZZNS1_16scan_by_key_implILNS1_25lookback_scan_determinismE0ELb0ES3_N6thrust23THRUST_200600_302600_NS6detail15normal_iteratorINS9_10device_ptrIiEEEENSB_INSC_ItEEEESG_tNS9_4plusIvEENS9_8equal_toIvEEtEE10hipError_tPvRmT2_T3_T4_T5_mT6_T7_P12ihipStream_tbENKUlT_T0_E_clISt17integral_constantIbLb0EES10_IbLb1EEEEDaSW_SX_EUlSW_E_NS1_11comp_targetILNS1_3genE10ELNS1_11target_archE1200ELNS1_3gpuE4ELNS1_3repE0EEENS1_30default_config_static_selectorELNS0_4arch9wavefront6targetE0EEEvT1_.kd
    .uniform_work_group_size: 1
    .uses_dynamic_stack: false
    .vgpr_count:     0
    .vgpr_spill_count: 0
    .wavefront_size: 32
  - .args:
      - .offset:         0
        .size:           112
        .value_kind:     by_value
    .group_segment_fixed_size: 0
    .kernarg_segment_align: 8
    .kernarg_segment_size: 112
    .language:       OpenCL C
    .language_version:
      - 2
      - 0
    .max_flat_workgroup_size: 64
    .name:           _ZN7rocprim17ROCPRIM_400000_NS6detail17trampoline_kernelINS0_14default_configENS1_27scan_by_key_config_selectorIitEEZZNS1_16scan_by_key_implILNS1_25lookback_scan_determinismE0ELb0ES3_N6thrust23THRUST_200600_302600_NS6detail15normal_iteratorINS9_10device_ptrIiEEEENSB_INSC_ItEEEESG_tNS9_4plusIvEENS9_8equal_toIvEEtEE10hipError_tPvRmT2_T3_T4_T5_mT6_T7_P12ihipStream_tbENKUlT_T0_E_clISt17integral_constantIbLb0EES10_IbLb1EEEEDaSW_SX_EUlSW_E_NS1_11comp_targetILNS1_3genE9ELNS1_11target_archE1100ELNS1_3gpuE3ELNS1_3repE0EEENS1_30default_config_static_selectorELNS0_4arch9wavefront6targetE0EEEvT1_
    .private_segment_fixed_size: 0
    .sgpr_count:     0
    .sgpr_spill_count: 0
    .symbol:         _ZN7rocprim17ROCPRIM_400000_NS6detail17trampoline_kernelINS0_14default_configENS1_27scan_by_key_config_selectorIitEEZZNS1_16scan_by_key_implILNS1_25lookback_scan_determinismE0ELb0ES3_N6thrust23THRUST_200600_302600_NS6detail15normal_iteratorINS9_10device_ptrIiEEEENSB_INSC_ItEEEESG_tNS9_4plusIvEENS9_8equal_toIvEEtEE10hipError_tPvRmT2_T3_T4_T5_mT6_T7_P12ihipStream_tbENKUlT_T0_E_clISt17integral_constantIbLb0EES10_IbLb1EEEEDaSW_SX_EUlSW_E_NS1_11comp_targetILNS1_3genE9ELNS1_11target_archE1100ELNS1_3gpuE3ELNS1_3repE0EEENS1_30default_config_static_selectorELNS0_4arch9wavefront6targetE0EEEvT1_.kd
    .uniform_work_group_size: 1
    .uses_dynamic_stack: false
    .vgpr_count:     0
    .vgpr_spill_count: 0
    .wavefront_size: 32
  - .args:
      - .offset:         0
        .size:           112
        .value_kind:     by_value
    .group_segment_fixed_size: 0
    .kernarg_segment_align: 8
    .kernarg_segment_size: 112
    .language:       OpenCL C
    .language_version:
      - 2
      - 0
    .max_flat_workgroup_size: 64
    .name:           _ZN7rocprim17ROCPRIM_400000_NS6detail17trampoline_kernelINS0_14default_configENS1_27scan_by_key_config_selectorIitEEZZNS1_16scan_by_key_implILNS1_25lookback_scan_determinismE0ELb0ES3_N6thrust23THRUST_200600_302600_NS6detail15normal_iteratorINS9_10device_ptrIiEEEENSB_INSC_ItEEEESG_tNS9_4plusIvEENS9_8equal_toIvEEtEE10hipError_tPvRmT2_T3_T4_T5_mT6_T7_P12ihipStream_tbENKUlT_T0_E_clISt17integral_constantIbLb0EES10_IbLb1EEEEDaSW_SX_EUlSW_E_NS1_11comp_targetILNS1_3genE8ELNS1_11target_archE1030ELNS1_3gpuE2ELNS1_3repE0EEENS1_30default_config_static_selectorELNS0_4arch9wavefront6targetE0EEEvT1_
    .private_segment_fixed_size: 0
    .sgpr_count:     0
    .sgpr_spill_count: 0
    .symbol:         _ZN7rocprim17ROCPRIM_400000_NS6detail17trampoline_kernelINS0_14default_configENS1_27scan_by_key_config_selectorIitEEZZNS1_16scan_by_key_implILNS1_25lookback_scan_determinismE0ELb0ES3_N6thrust23THRUST_200600_302600_NS6detail15normal_iteratorINS9_10device_ptrIiEEEENSB_INSC_ItEEEESG_tNS9_4plusIvEENS9_8equal_toIvEEtEE10hipError_tPvRmT2_T3_T4_T5_mT6_T7_P12ihipStream_tbENKUlT_T0_E_clISt17integral_constantIbLb0EES10_IbLb1EEEEDaSW_SX_EUlSW_E_NS1_11comp_targetILNS1_3genE8ELNS1_11target_archE1030ELNS1_3gpuE2ELNS1_3repE0EEENS1_30default_config_static_selectorELNS0_4arch9wavefront6targetE0EEEvT1_.kd
    .uniform_work_group_size: 1
    .uses_dynamic_stack: false
    .vgpr_count:     0
    .vgpr_spill_count: 0
    .wavefront_size: 32
  - .args:
      - .offset:         0
        .size:           24
        .value_kind:     by_value
      - .offset:         24
        .size:           8
        .value_kind:     by_value
      - .offset:         32
        .size:           8
        .value_kind:     by_value
    .group_segment_fixed_size: 0
    .kernarg_segment_align: 8
    .kernarg_segment_size: 40
    .language:       OpenCL C
    .language_version:
      - 2
      - 0
    .max_flat_workgroup_size: 256
    .name:           _ZN6thrust23THRUST_200600_302600_NS11hip_rocprim14__parallel_for6kernelILj256ENS1_11__transform17unary_transform_fINS0_7pointerIiNS1_3tagENS0_11use_defaultES8_EENS0_10device_ptrIxEENS4_14no_stencil_tagENS0_8identityIiEENS4_21always_true_predicateEEElLj1EEEvT0_T1_SI_
    .private_segment_fixed_size: 0
    .sgpr_count:     11
    .sgpr_spill_count: 0
    .symbol:         _ZN6thrust23THRUST_200600_302600_NS11hip_rocprim14__parallel_for6kernelILj256ENS1_11__transform17unary_transform_fINS0_7pointerIiNS1_3tagENS0_11use_defaultES8_EENS0_10device_ptrIxEENS4_14no_stencil_tagENS0_8identityIiEENS4_21always_true_predicateEEElLj1EEEvT0_T1_SI_.kd
    .uniform_work_group_size: 1
    .uses_dynamic_stack: false
    .vgpr_count:     6
    .vgpr_spill_count: 0
    .wavefront_size: 32
  - .args:
      - .offset:         0
        .size:           24
        .value_kind:     by_value
      - .offset:         24
        .size:           4
        .value_kind:     by_value
      - .offset:         28
        .size:           4
        .value_kind:     by_value
      - .address_space:  global
        .offset:         32
        .size:           8
        .value_kind:     global_buffer
      - .address_space:  global
        .offset:         40
        .size:           8
        .value_kind:     global_buffer
      - .actual_access:  write_only
        .address_space:  global
        .offset:         48
        .size:           8
        .value_kind:     global_buffer
      - .offset:         56
        .size:           8
        .value_kind:     by_value
      - .offset:         64
        .size:           4
        .value_kind:     by_value
      - .offset:         68
        .size:           1
        .value_kind:     by_value
      - .offset:         72
        .size:           4
        .value_kind:     hidden_block_count_x
      - .offset:         76
        .size:           4
        .value_kind:     hidden_block_count_y
      - .offset:         80
        .size:           4
        .value_kind:     hidden_block_count_z
      - .offset:         84
        .size:           2
        .value_kind:     hidden_group_size_x
      - .offset:         86
        .size:           2
        .value_kind:     hidden_group_size_y
      - .offset:         88
        .size:           2
        .value_kind:     hidden_group_size_z
      - .offset:         90
        .size:           2
        .value_kind:     hidden_remainder_x
      - .offset:         92
        .size:           2
        .value_kind:     hidden_remainder_y
      - .offset:         94
        .size:           2
        .value_kind:     hidden_remainder_z
      - .offset:         112
        .size:           8
        .value_kind:     hidden_global_offset_x
      - .offset:         120
        .size:           8
        .value_kind:     hidden_global_offset_y
      - .offset:         128
        .size:           8
        .value_kind:     hidden_global_offset_z
      - .offset:         136
        .size:           2
        .value_kind:     hidden_grid_dims
    .group_segment_fixed_size: 0
    .kernarg_segment_align: 8
    .kernarg_segment_size: 328
    .language:       OpenCL C
    .language_version:
      - 2
      - 0
    .max_flat_workgroup_size: 256
    .name:           _ZN7rocprim17ROCPRIM_400000_NS6detail30init_device_scan_by_key_kernelINS1_19lookback_scan_stateINS0_5tupleIJxbEEELb0ELb0EEEN6thrust23THRUST_200600_302600_NS6detail15normal_iteratorINS8_10device_ptrIiEEEEjNS1_16block_id_wrapperIjLb0EEEEEvT_jjPNSG_10value_typeET0_PNSt15iterator_traitsISJ_E10value_typeEmT1_T2_
    .private_segment_fixed_size: 0
    .sgpr_count:     23
    .sgpr_spill_count: 0
    .symbol:         _ZN7rocprim17ROCPRIM_400000_NS6detail30init_device_scan_by_key_kernelINS1_19lookback_scan_stateINS0_5tupleIJxbEEELb0ELb0EEEN6thrust23THRUST_200600_302600_NS6detail15normal_iteratorINS8_10device_ptrIiEEEEjNS1_16block_id_wrapperIjLb0EEEEEvT_jjPNSG_10value_typeET0_PNSt15iterator_traitsISJ_E10value_typeEmT1_T2_.kd
    .uniform_work_group_size: 1
    .uses_dynamic_stack: false
    .vgpr_count:     7
    .vgpr_spill_count: 0
    .wavefront_size: 32
  - .args:
      - .offset:         0
        .size:           136
        .value_kind:     by_value
    .group_segment_fixed_size: 10240
    .kernarg_segment_align: 8
    .kernarg_segment_size: 136
    .language:       OpenCL C
    .language_version:
      - 2
      - 0
    .max_flat_workgroup_size: 128
    .name:           _ZN7rocprim17ROCPRIM_400000_NS6detail17trampoline_kernelINS0_14default_configENS1_27scan_by_key_config_selectorIixEEZZNS1_16scan_by_key_implILNS1_25lookback_scan_determinismE0ELb0ES3_N6thrust23THRUST_200600_302600_NS6detail15normal_iteratorINS9_10device_ptrIiEEEENSB_INSC_IxEEEESG_xNS9_4plusIvEENS9_8equal_toIvEExEE10hipError_tPvRmT2_T3_T4_T5_mT6_T7_P12ihipStream_tbENKUlT_T0_E_clISt17integral_constantIbLb0EES11_EEDaSW_SX_EUlSW_E_NS1_11comp_targetILNS1_3genE0ELNS1_11target_archE4294967295ELNS1_3gpuE0ELNS1_3repE0EEENS1_30default_config_static_selectorELNS0_4arch9wavefront6targetE0EEEvT1_
    .private_segment_fixed_size: 0
    .sgpr_count:     47
    .sgpr_spill_count: 0
    .symbol:         _ZN7rocprim17ROCPRIM_400000_NS6detail17trampoline_kernelINS0_14default_configENS1_27scan_by_key_config_selectorIixEEZZNS1_16scan_by_key_implILNS1_25lookback_scan_determinismE0ELb0ES3_N6thrust23THRUST_200600_302600_NS6detail15normal_iteratorINS9_10device_ptrIiEEEENSB_INSC_IxEEEESG_xNS9_4plusIvEENS9_8equal_toIvEExEE10hipError_tPvRmT2_T3_T4_T5_mT6_T7_P12ihipStream_tbENKUlT_T0_E_clISt17integral_constantIbLb0EES11_EEDaSW_SX_EUlSW_E_NS1_11comp_targetILNS1_3genE0ELNS1_11target_archE4294967295ELNS1_3gpuE0ELNS1_3repE0EEENS1_30default_config_static_selectorELNS0_4arch9wavefront6targetE0EEEvT1_.kd
    .uniform_work_group_size: 1
    .uses_dynamic_stack: false
    .vgpr_count:     73
    .vgpr_spill_count: 0
    .wavefront_size: 32
  - .args:
      - .offset:         0
        .size:           136
        .value_kind:     by_value
    .group_segment_fixed_size: 0
    .kernarg_segment_align: 8
    .kernarg_segment_size: 136
    .language:       OpenCL C
    .language_version:
      - 2
      - 0
    .max_flat_workgroup_size: 256
    .name:           _ZN7rocprim17ROCPRIM_400000_NS6detail17trampoline_kernelINS0_14default_configENS1_27scan_by_key_config_selectorIixEEZZNS1_16scan_by_key_implILNS1_25lookback_scan_determinismE0ELb0ES3_N6thrust23THRUST_200600_302600_NS6detail15normal_iteratorINS9_10device_ptrIiEEEENSB_INSC_IxEEEESG_xNS9_4plusIvEENS9_8equal_toIvEExEE10hipError_tPvRmT2_T3_T4_T5_mT6_T7_P12ihipStream_tbENKUlT_T0_E_clISt17integral_constantIbLb0EES11_EEDaSW_SX_EUlSW_E_NS1_11comp_targetILNS1_3genE10ELNS1_11target_archE1201ELNS1_3gpuE5ELNS1_3repE0EEENS1_30default_config_static_selectorELNS0_4arch9wavefront6targetE0EEEvT1_
    .private_segment_fixed_size: 0
    .sgpr_count:     0
    .sgpr_spill_count: 0
    .symbol:         _ZN7rocprim17ROCPRIM_400000_NS6detail17trampoline_kernelINS0_14default_configENS1_27scan_by_key_config_selectorIixEEZZNS1_16scan_by_key_implILNS1_25lookback_scan_determinismE0ELb0ES3_N6thrust23THRUST_200600_302600_NS6detail15normal_iteratorINS9_10device_ptrIiEEEENSB_INSC_IxEEEESG_xNS9_4plusIvEENS9_8equal_toIvEExEE10hipError_tPvRmT2_T3_T4_T5_mT6_T7_P12ihipStream_tbENKUlT_T0_E_clISt17integral_constantIbLb0EES11_EEDaSW_SX_EUlSW_E_NS1_11comp_targetILNS1_3genE10ELNS1_11target_archE1201ELNS1_3gpuE5ELNS1_3repE0EEENS1_30default_config_static_selectorELNS0_4arch9wavefront6targetE0EEEvT1_.kd
    .uniform_work_group_size: 1
    .uses_dynamic_stack: false
    .vgpr_count:     0
    .vgpr_spill_count: 0
    .wavefront_size: 32
  - .args:
      - .offset:         0
        .size:           136
        .value_kind:     by_value
    .group_segment_fixed_size: 0
    .kernarg_segment_align: 8
    .kernarg_segment_size: 136
    .language:       OpenCL C
    .language_version:
      - 2
      - 0
    .max_flat_workgroup_size: 256
    .name:           _ZN7rocprim17ROCPRIM_400000_NS6detail17trampoline_kernelINS0_14default_configENS1_27scan_by_key_config_selectorIixEEZZNS1_16scan_by_key_implILNS1_25lookback_scan_determinismE0ELb0ES3_N6thrust23THRUST_200600_302600_NS6detail15normal_iteratorINS9_10device_ptrIiEEEENSB_INSC_IxEEEESG_xNS9_4plusIvEENS9_8equal_toIvEExEE10hipError_tPvRmT2_T3_T4_T5_mT6_T7_P12ihipStream_tbENKUlT_T0_E_clISt17integral_constantIbLb0EES11_EEDaSW_SX_EUlSW_E_NS1_11comp_targetILNS1_3genE5ELNS1_11target_archE942ELNS1_3gpuE9ELNS1_3repE0EEENS1_30default_config_static_selectorELNS0_4arch9wavefront6targetE0EEEvT1_
    .private_segment_fixed_size: 0
    .sgpr_count:     0
    .sgpr_spill_count: 0
    .symbol:         _ZN7rocprim17ROCPRIM_400000_NS6detail17trampoline_kernelINS0_14default_configENS1_27scan_by_key_config_selectorIixEEZZNS1_16scan_by_key_implILNS1_25lookback_scan_determinismE0ELb0ES3_N6thrust23THRUST_200600_302600_NS6detail15normal_iteratorINS9_10device_ptrIiEEEENSB_INSC_IxEEEESG_xNS9_4plusIvEENS9_8equal_toIvEExEE10hipError_tPvRmT2_T3_T4_T5_mT6_T7_P12ihipStream_tbENKUlT_T0_E_clISt17integral_constantIbLb0EES11_EEDaSW_SX_EUlSW_E_NS1_11comp_targetILNS1_3genE5ELNS1_11target_archE942ELNS1_3gpuE9ELNS1_3repE0EEENS1_30default_config_static_selectorELNS0_4arch9wavefront6targetE0EEEvT1_.kd
    .uniform_work_group_size: 1
    .uses_dynamic_stack: false
    .vgpr_count:     0
    .vgpr_spill_count: 0
    .wavefront_size: 32
  - .args:
      - .offset:         0
        .size:           136
        .value_kind:     by_value
    .group_segment_fixed_size: 0
    .kernarg_segment_align: 8
    .kernarg_segment_size: 136
    .language:       OpenCL C
    .language_version:
      - 2
      - 0
    .max_flat_workgroup_size: 64
    .name:           _ZN7rocprim17ROCPRIM_400000_NS6detail17trampoline_kernelINS0_14default_configENS1_27scan_by_key_config_selectorIixEEZZNS1_16scan_by_key_implILNS1_25lookback_scan_determinismE0ELb0ES3_N6thrust23THRUST_200600_302600_NS6detail15normal_iteratorINS9_10device_ptrIiEEEENSB_INSC_IxEEEESG_xNS9_4plusIvEENS9_8equal_toIvEExEE10hipError_tPvRmT2_T3_T4_T5_mT6_T7_P12ihipStream_tbENKUlT_T0_E_clISt17integral_constantIbLb0EES11_EEDaSW_SX_EUlSW_E_NS1_11comp_targetILNS1_3genE4ELNS1_11target_archE910ELNS1_3gpuE8ELNS1_3repE0EEENS1_30default_config_static_selectorELNS0_4arch9wavefront6targetE0EEEvT1_
    .private_segment_fixed_size: 0
    .sgpr_count:     0
    .sgpr_spill_count: 0
    .symbol:         _ZN7rocprim17ROCPRIM_400000_NS6detail17trampoline_kernelINS0_14default_configENS1_27scan_by_key_config_selectorIixEEZZNS1_16scan_by_key_implILNS1_25lookback_scan_determinismE0ELb0ES3_N6thrust23THRUST_200600_302600_NS6detail15normal_iteratorINS9_10device_ptrIiEEEENSB_INSC_IxEEEESG_xNS9_4plusIvEENS9_8equal_toIvEExEE10hipError_tPvRmT2_T3_T4_T5_mT6_T7_P12ihipStream_tbENKUlT_T0_E_clISt17integral_constantIbLb0EES11_EEDaSW_SX_EUlSW_E_NS1_11comp_targetILNS1_3genE4ELNS1_11target_archE910ELNS1_3gpuE8ELNS1_3repE0EEENS1_30default_config_static_selectorELNS0_4arch9wavefront6targetE0EEEvT1_.kd
    .uniform_work_group_size: 1
    .uses_dynamic_stack: false
    .vgpr_count:     0
    .vgpr_spill_count: 0
    .wavefront_size: 32
  - .args:
      - .offset:         0
        .size:           136
        .value_kind:     by_value
    .group_segment_fixed_size: 0
    .kernarg_segment_align: 8
    .kernarg_segment_size: 136
    .language:       OpenCL C
    .language_version:
      - 2
      - 0
    .max_flat_workgroup_size: 128
    .name:           _ZN7rocprim17ROCPRIM_400000_NS6detail17trampoline_kernelINS0_14default_configENS1_27scan_by_key_config_selectorIixEEZZNS1_16scan_by_key_implILNS1_25lookback_scan_determinismE0ELb0ES3_N6thrust23THRUST_200600_302600_NS6detail15normal_iteratorINS9_10device_ptrIiEEEENSB_INSC_IxEEEESG_xNS9_4plusIvEENS9_8equal_toIvEExEE10hipError_tPvRmT2_T3_T4_T5_mT6_T7_P12ihipStream_tbENKUlT_T0_E_clISt17integral_constantIbLb0EES11_EEDaSW_SX_EUlSW_E_NS1_11comp_targetILNS1_3genE3ELNS1_11target_archE908ELNS1_3gpuE7ELNS1_3repE0EEENS1_30default_config_static_selectorELNS0_4arch9wavefront6targetE0EEEvT1_
    .private_segment_fixed_size: 0
    .sgpr_count:     0
    .sgpr_spill_count: 0
    .symbol:         _ZN7rocprim17ROCPRIM_400000_NS6detail17trampoline_kernelINS0_14default_configENS1_27scan_by_key_config_selectorIixEEZZNS1_16scan_by_key_implILNS1_25lookback_scan_determinismE0ELb0ES3_N6thrust23THRUST_200600_302600_NS6detail15normal_iteratorINS9_10device_ptrIiEEEENSB_INSC_IxEEEESG_xNS9_4plusIvEENS9_8equal_toIvEExEE10hipError_tPvRmT2_T3_T4_T5_mT6_T7_P12ihipStream_tbENKUlT_T0_E_clISt17integral_constantIbLb0EES11_EEDaSW_SX_EUlSW_E_NS1_11comp_targetILNS1_3genE3ELNS1_11target_archE908ELNS1_3gpuE7ELNS1_3repE0EEENS1_30default_config_static_selectorELNS0_4arch9wavefront6targetE0EEEvT1_.kd
    .uniform_work_group_size: 1
    .uses_dynamic_stack: false
    .vgpr_count:     0
    .vgpr_spill_count: 0
    .wavefront_size: 32
  - .args:
      - .offset:         0
        .size:           136
        .value_kind:     by_value
    .group_segment_fixed_size: 0
    .kernarg_segment_align: 8
    .kernarg_segment_size: 136
    .language:       OpenCL C
    .language_version:
      - 2
      - 0
    .max_flat_workgroup_size: 64
    .name:           _ZN7rocprim17ROCPRIM_400000_NS6detail17trampoline_kernelINS0_14default_configENS1_27scan_by_key_config_selectorIixEEZZNS1_16scan_by_key_implILNS1_25lookback_scan_determinismE0ELb0ES3_N6thrust23THRUST_200600_302600_NS6detail15normal_iteratorINS9_10device_ptrIiEEEENSB_INSC_IxEEEESG_xNS9_4plusIvEENS9_8equal_toIvEExEE10hipError_tPvRmT2_T3_T4_T5_mT6_T7_P12ihipStream_tbENKUlT_T0_E_clISt17integral_constantIbLb0EES11_EEDaSW_SX_EUlSW_E_NS1_11comp_targetILNS1_3genE2ELNS1_11target_archE906ELNS1_3gpuE6ELNS1_3repE0EEENS1_30default_config_static_selectorELNS0_4arch9wavefront6targetE0EEEvT1_
    .private_segment_fixed_size: 0
    .sgpr_count:     0
    .sgpr_spill_count: 0
    .symbol:         _ZN7rocprim17ROCPRIM_400000_NS6detail17trampoline_kernelINS0_14default_configENS1_27scan_by_key_config_selectorIixEEZZNS1_16scan_by_key_implILNS1_25lookback_scan_determinismE0ELb0ES3_N6thrust23THRUST_200600_302600_NS6detail15normal_iteratorINS9_10device_ptrIiEEEENSB_INSC_IxEEEESG_xNS9_4plusIvEENS9_8equal_toIvEExEE10hipError_tPvRmT2_T3_T4_T5_mT6_T7_P12ihipStream_tbENKUlT_T0_E_clISt17integral_constantIbLb0EES11_EEDaSW_SX_EUlSW_E_NS1_11comp_targetILNS1_3genE2ELNS1_11target_archE906ELNS1_3gpuE6ELNS1_3repE0EEENS1_30default_config_static_selectorELNS0_4arch9wavefront6targetE0EEEvT1_.kd
    .uniform_work_group_size: 1
    .uses_dynamic_stack: false
    .vgpr_count:     0
    .vgpr_spill_count: 0
    .wavefront_size: 32
  - .args:
      - .offset:         0
        .size:           136
        .value_kind:     by_value
    .group_segment_fixed_size: 0
    .kernarg_segment_align: 8
    .kernarg_segment_size: 136
    .language:       OpenCL C
    .language_version:
      - 2
      - 0
    .max_flat_workgroup_size: 256
    .name:           _ZN7rocprim17ROCPRIM_400000_NS6detail17trampoline_kernelINS0_14default_configENS1_27scan_by_key_config_selectorIixEEZZNS1_16scan_by_key_implILNS1_25lookback_scan_determinismE0ELb0ES3_N6thrust23THRUST_200600_302600_NS6detail15normal_iteratorINS9_10device_ptrIiEEEENSB_INSC_IxEEEESG_xNS9_4plusIvEENS9_8equal_toIvEExEE10hipError_tPvRmT2_T3_T4_T5_mT6_T7_P12ihipStream_tbENKUlT_T0_E_clISt17integral_constantIbLb0EES11_EEDaSW_SX_EUlSW_E_NS1_11comp_targetILNS1_3genE10ELNS1_11target_archE1200ELNS1_3gpuE4ELNS1_3repE0EEENS1_30default_config_static_selectorELNS0_4arch9wavefront6targetE0EEEvT1_
    .private_segment_fixed_size: 0
    .sgpr_count:     0
    .sgpr_spill_count: 0
    .symbol:         _ZN7rocprim17ROCPRIM_400000_NS6detail17trampoline_kernelINS0_14default_configENS1_27scan_by_key_config_selectorIixEEZZNS1_16scan_by_key_implILNS1_25lookback_scan_determinismE0ELb0ES3_N6thrust23THRUST_200600_302600_NS6detail15normal_iteratorINS9_10device_ptrIiEEEENSB_INSC_IxEEEESG_xNS9_4plusIvEENS9_8equal_toIvEExEE10hipError_tPvRmT2_T3_T4_T5_mT6_T7_P12ihipStream_tbENKUlT_T0_E_clISt17integral_constantIbLb0EES11_EEDaSW_SX_EUlSW_E_NS1_11comp_targetILNS1_3genE10ELNS1_11target_archE1200ELNS1_3gpuE4ELNS1_3repE0EEENS1_30default_config_static_selectorELNS0_4arch9wavefront6targetE0EEEvT1_.kd
    .uniform_work_group_size: 1
    .uses_dynamic_stack: false
    .vgpr_count:     0
    .vgpr_spill_count: 0
    .wavefront_size: 32
  - .args:
      - .offset:         0
        .size:           136
        .value_kind:     by_value
    .group_segment_fixed_size: 0
    .kernarg_segment_align: 8
    .kernarg_segment_size: 136
    .language:       OpenCL C
    .language_version:
      - 2
      - 0
    .max_flat_workgroup_size: 256
    .name:           _ZN7rocprim17ROCPRIM_400000_NS6detail17trampoline_kernelINS0_14default_configENS1_27scan_by_key_config_selectorIixEEZZNS1_16scan_by_key_implILNS1_25lookback_scan_determinismE0ELb0ES3_N6thrust23THRUST_200600_302600_NS6detail15normal_iteratorINS9_10device_ptrIiEEEENSB_INSC_IxEEEESG_xNS9_4plusIvEENS9_8equal_toIvEExEE10hipError_tPvRmT2_T3_T4_T5_mT6_T7_P12ihipStream_tbENKUlT_T0_E_clISt17integral_constantIbLb0EES11_EEDaSW_SX_EUlSW_E_NS1_11comp_targetILNS1_3genE9ELNS1_11target_archE1100ELNS1_3gpuE3ELNS1_3repE0EEENS1_30default_config_static_selectorELNS0_4arch9wavefront6targetE0EEEvT1_
    .private_segment_fixed_size: 0
    .sgpr_count:     0
    .sgpr_spill_count: 0
    .symbol:         _ZN7rocprim17ROCPRIM_400000_NS6detail17trampoline_kernelINS0_14default_configENS1_27scan_by_key_config_selectorIixEEZZNS1_16scan_by_key_implILNS1_25lookback_scan_determinismE0ELb0ES3_N6thrust23THRUST_200600_302600_NS6detail15normal_iteratorINS9_10device_ptrIiEEEENSB_INSC_IxEEEESG_xNS9_4plusIvEENS9_8equal_toIvEExEE10hipError_tPvRmT2_T3_T4_T5_mT6_T7_P12ihipStream_tbENKUlT_T0_E_clISt17integral_constantIbLb0EES11_EEDaSW_SX_EUlSW_E_NS1_11comp_targetILNS1_3genE9ELNS1_11target_archE1100ELNS1_3gpuE3ELNS1_3repE0EEENS1_30default_config_static_selectorELNS0_4arch9wavefront6targetE0EEEvT1_.kd
    .uniform_work_group_size: 1
    .uses_dynamic_stack: false
    .vgpr_count:     0
    .vgpr_spill_count: 0
    .wavefront_size: 32
  - .args:
      - .offset:         0
        .size:           136
        .value_kind:     by_value
    .group_segment_fixed_size: 0
    .kernarg_segment_align: 8
    .kernarg_segment_size: 136
    .language:       OpenCL C
    .language_version:
      - 2
      - 0
    .max_flat_workgroup_size: 256
    .name:           _ZN7rocprim17ROCPRIM_400000_NS6detail17trampoline_kernelINS0_14default_configENS1_27scan_by_key_config_selectorIixEEZZNS1_16scan_by_key_implILNS1_25lookback_scan_determinismE0ELb0ES3_N6thrust23THRUST_200600_302600_NS6detail15normal_iteratorINS9_10device_ptrIiEEEENSB_INSC_IxEEEESG_xNS9_4plusIvEENS9_8equal_toIvEExEE10hipError_tPvRmT2_T3_T4_T5_mT6_T7_P12ihipStream_tbENKUlT_T0_E_clISt17integral_constantIbLb0EES11_EEDaSW_SX_EUlSW_E_NS1_11comp_targetILNS1_3genE8ELNS1_11target_archE1030ELNS1_3gpuE2ELNS1_3repE0EEENS1_30default_config_static_selectorELNS0_4arch9wavefront6targetE0EEEvT1_
    .private_segment_fixed_size: 0
    .sgpr_count:     0
    .sgpr_spill_count: 0
    .symbol:         _ZN7rocprim17ROCPRIM_400000_NS6detail17trampoline_kernelINS0_14default_configENS1_27scan_by_key_config_selectorIixEEZZNS1_16scan_by_key_implILNS1_25lookback_scan_determinismE0ELb0ES3_N6thrust23THRUST_200600_302600_NS6detail15normal_iteratorINS9_10device_ptrIiEEEENSB_INSC_IxEEEESG_xNS9_4plusIvEENS9_8equal_toIvEExEE10hipError_tPvRmT2_T3_T4_T5_mT6_T7_P12ihipStream_tbENKUlT_T0_E_clISt17integral_constantIbLb0EES11_EEDaSW_SX_EUlSW_E_NS1_11comp_targetILNS1_3genE8ELNS1_11target_archE1030ELNS1_3gpuE2ELNS1_3repE0EEENS1_30default_config_static_selectorELNS0_4arch9wavefront6targetE0EEEvT1_.kd
    .uniform_work_group_size: 1
    .uses_dynamic_stack: false
    .vgpr_count:     0
    .vgpr_spill_count: 0
    .wavefront_size: 32
  - .args:
      - .offset:         0
        .size:           24
        .value_kind:     by_value
      - .offset:         24
        .size:           4
        .value_kind:     by_value
      - .offset:         28
        .size:           4
        .value_kind:     by_value
      - .address_space:  global
        .offset:         32
        .size:           8
        .value_kind:     global_buffer
      - .address_space:  global
        .offset:         40
        .size:           8
        .value_kind:     global_buffer
      - .actual_access:  write_only
        .address_space:  global
        .offset:         48
        .size:           8
        .value_kind:     global_buffer
      - .offset:         56
        .size:           8
        .value_kind:     by_value
      - .offset:         64
        .size:           4
        .value_kind:     by_value
      - .address_space:  global
        .offset:         72
        .size:           8
        .value_kind:     global_buffer
      - .offset:         80
        .size:           4
        .value_kind:     hidden_block_count_x
      - .offset:         84
        .size:           4
        .value_kind:     hidden_block_count_y
      - .offset:         88
        .size:           4
        .value_kind:     hidden_block_count_z
      - .offset:         92
        .size:           2
        .value_kind:     hidden_group_size_x
      - .offset:         94
        .size:           2
        .value_kind:     hidden_group_size_y
      - .offset:         96
        .size:           2
        .value_kind:     hidden_group_size_z
      - .offset:         98
        .size:           2
        .value_kind:     hidden_remainder_x
      - .offset:         100
        .size:           2
        .value_kind:     hidden_remainder_y
      - .offset:         102
        .size:           2
        .value_kind:     hidden_remainder_z
      - .offset:         120
        .size:           8
        .value_kind:     hidden_global_offset_x
      - .offset:         128
        .size:           8
        .value_kind:     hidden_global_offset_y
      - .offset:         136
        .size:           8
        .value_kind:     hidden_global_offset_z
      - .offset:         144
        .size:           2
        .value_kind:     hidden_grid_dims
    .group_segment_fixed_size: 0
    .kernarg_segment_align: 8
    .kernarg_segment_size: 336
    .language:       OpenCL C
    .language_version:
      - 2
      - 0
    .max_flat_workgroup_size: 256
    .name:           _ZN7rocprim17ROCPRIM_400000_NS6detail30init_device_scan_by_key_kernelINS1_19lookback_scan_stateINS0_5tupleIJxbEEELb1ELb0EEEN6thrust23THRUST_200600_302600_NS6detail15normal_iteratorINS8_10device_ptrIiEEEEjNS1_16block_id_wrapperIjLb1EEEEEvT_jjPNSG_10value_typeET0_PNSt15iterator_traitsISJ_E10value_typeEmT1_T2_
    .private_segment_fixed_size: 0
    .sgpr_count:     24
    .sgpr_spill_count: 0
    .symbol:         _ZN7rocprim17ROCPRIM_400000_NS6detail30init_device_scan_by_key_kernelINS1_19lookback_scan_stateINS0_5tupleIJxbEEELb1ELb0EEEN6thrust23THRUST_200600_302600_NS6detail15normal_iteratorINS8_10device_ptrIiEEEEjNS1_16block_id_wrapperIjLb1EEEEEvT_jjPNSG_10value_typeET0_PNSt15iterator_traitsISJ_E10value_typeEmT1_T2_.kd
    .uniform_work_group_size: 1
    .uses_dynamic_stack: false
    .vgpr_count:     7
    .vgpr_spill_count: 0
    .wavefront_size: 32
  - .args:
      - .offset:         0
        .size:           136
        .value_kind:     by_value
    .group_segment_fixed_size: 0
    .kernarg_segment_align: 8
    .kernarg_segment_size: 136
    .language:       OpenCL C
    .language_version:
      - 2
      - 0
    .max_flat_workgroup_size: 128
    .name:           _ZN7rocprim17ROCPRIM_400000_NS6detail17trampoline_kernelINS0_14default_configENS1_27scan_by_key_config_selectorIixEEZZNS1_16scan_by_key_implILNS1_25lookback_scan_determinismE0ELb0ES3_N6thrust23THRUST_200600_302600_NS6detail15normal_iteratorINS9_10device_ptrIiEEEENSB_INSC_IxEEEESG_xNS9_4plusIvEENS9_8equal_toIvEExEE10hipError_tPvRmT2_T3_T4_T5_mT6_T7_P12ihipStream_tbENKUlT_T0_E_clISt17integral_constantIbLb1EES11_EEDaSW_SX_EUlSW_E_NS1_11comp_targetILNS1_3genE0ELNS1_11target_archE4294967295ELNS1_3gpuE0ELNS1_3repE0EEENS1_30default_config_static_selectorELNS0_4arch9wavefront6targetE0EEEvT1_
    .private_segment_fixed_size: 0
    .sgpr_count:     0
    .sgpr_spill_count: 0
    .symbol:         _ZN7rocprim17ROCPRIM_400000_NS6detail17trampoline_kernelINS0_14default_configENS1_27scan_by_key_config_selectorIixEEZZNS1_16scan_by_key_implILNS1_25lookback_scan_determinismE0ELb0ES3_N6thrust23THRUST_200600_302600_NS6detail15normal_iteratorINS9_10device_ptrIiEEEENSB_INSC_IxEEEESG_xNS9_4plusIvEENS9_8equal_toIvEExEE10hipError_tPvRmT2_T3_T4_T5_mT6_T7_P12ihipStream_tbENKUlT_T0_E_clISt17integral_constantIbLb1EES11_EEDaSW_SX_EUlSW_E_NS1_11comp_targetILNS1_3genE0ELNS1_11target_archE4294967295ELNS1_3gpuE0ELNS1_3repE0EEENS1_30default_config_static_selectorELNS0_4arch9wavefront6targetE0EEEvT1_.kd
    .uniform_work_group_size: 1
    .uses_dynamic_stack: false
    .vgpr_count:     0
    .vgpr_spill_count: 0
    .wavefront_size: 32
  - .args:
      - .offset:         0
        .size:           136
        .value_kind:     by_value
    .group_segment_fixed_size: 0
    .kernarg_segment_align: 8
    .kernarg_segment_size: 136
    .language:       OpenCL C
    .language_version:
      - 2
      - 0
    .max_flat_workgroup_size: 256
    .name:           _ZN7rocprim17ROCPRIM_400000_NS6detail17trampoline_kernelINS0_14default_configENS1_27scan_by_key_config_selectorIixEEZZNS1_16scan_by_key_implILNS1_25lookback_scan_determinismE0ELb0ES3_N6thrust23THRUST_200600_302600_NS6detail15normal_iteratorINS9_10device_ptrIiEEEENSB_INSC_IxEEEESG_xNS9_4plusIvEENS9_8equal_toIvEExEE10hipError_tPvRmT2_T3_T4_T5_mT6_T7_P12ihipStream_tbENKUlT_T0_E_clISt17integral_constantIbLb1EES11_EEDaSW_SX_EUlSW_E_NS1_11comp_targetILNS1_3genE10ELNS1_11target_archE1201ELNS1_3gpuE5ELNS1_3repE0EEENS1_30default_config_static_selectorELNS0_4arch9wavefront6targetE0EEEvT1_
    .private_segment_fixed_size: 0
    .sgpr_count:     0
    .sgpr_spill_count: 0
    .symbol:         _ZN7rocprim17ROCPRIM_400000_NS6detail17trampoline_kernelINS0_14default_configENS1_27scan_by_key_config_selectorIixEEZZNS1_16scan_by_key_implILNS1_25lookback_scan_determinismE0ELb0ES3_N6thrust23THRUST_200600_302600_NS6detail15normal_iteratorINS9_10device_ptrIiEEEENSB_INSC_IxEEEESG_xNS9_4plusIvEENS9_8equal_toIvEExEE10hipError_tPvRmT2_T3_T4_T5_mT6_T7_P12ihipStream_tbENKUlT_T0_E_clISt17integral_constantIbLb1EES11_EEDaSW_SX_EUlSW_E_NS1_11comp_targetILNS1_3genE10ELNS1_11target_archE1201ELNS1_3gpuE5ELNS1_3repE0EEENS1_30default_config_static_selectorELNS0_4arch9wavefront6targetE0EEEvT1_.kd
    .uniform_work_group_size: 1
    .uses_dynamic_stack: false
    .vgpr_count:     0
    .vgpr_spill_count: 0
    .wavefront_size: 32
  - .args:
      - .offset:         0
        .size:           136
        .value_kind:     by_value
    .group_segment_fixed_size: 0
    .kernarg_segment_align: 8
    .kernarg_segment_size: 136
    .language:       OpenCL C
    .language_version:
      - 2
      - 0
    .max_flat_workgroup_size: 256
    .name:           _ZN7rocprim17ROCPRIM_400000_NS6detail17trampoline_kernelINS0_14default_configENS1_27scan_by_key_config_selectorIixEEZZNS1_16scan_by_key_implILNS1_25lookback_scan_determinismE0ELb0ES3_N6thrust23THRUST_200600_302600_NS6detail15normal_iteratorINS9_10device_ptrIiEEEENSB_INSC_IxEEEESG_xNS9_4plusIvEENS9_8equal_toIvEExEE10hipError_tPvRmT2_T3_T4_T5_mT6_T7_P12ihipStream_tbENKUlT_T0_E_clISt17integral_constantIbLb1EES11_EEDaSW_SX_EUlSW_E_NS1_11comp_targetILNS1_3genE5ELNS1_11target_archE942ELNS1_3gpuE9ELNS1_3repE0EEENS1_30default_config_static_selectorELNS0_4arch9wavefront6targetE0EEEvT1_
    .private_segment_fixed_size: 0
    .sgpr_count:     0
    .sgpr_spill_count: 0
    .symbol:         _ZN7rocprim17ROCPRIM_400000_NS6detail17trampoline_kernelINS0_14default_configENS1_27scan_by_key_config_selectorIixEEZZNS1_16scan_by_key_implILNS1_25lookback_scan_determinismE0ELb0ES3_N6thrust23THRUST_200600_302600_NS6detail15normal_iteratorINS9_10device_ptrIiEEEENSB_INSC_IxEEEESG_xNS9_4plusIvEENS9_8equal_toIvEExEE10hipError_tPvRmT2_T3_T4_T5_mT6_T7_P12ihipStream_tbENKUlT_T0_E_clISt17integral_constantIbLb1EES11_EEDaSW_SX_EUlSW_E_NS1_11comp_targetILNS1_3genE5ELNS1_11target_archE942ELNS1_3gpuE9ELNS1_3repE0EEENS1_30default_config_static_selectorELNS0_4arch9wavefront6targetE0EEEvT1_.kd
    .uniform_work_group_size: 1
    .uses_dynamic_stack: false
    .vgpr_count:     0
    .vgpr_spill_count: 0
    .wavefront_size: 32
  - .args:
      - .offset:         0
        .size:           136
        .value_kind:     by_value
    .group_segment_fixed_size: 0
    .kernarg_segment_align: 8
    .kernarg_segment_size: 136
    .language:       OpenCL C
    .language_version:
      - 2
      - 0
    .max_flat_workgroup_size: 64
    .name:           _ZN7rocprim17ROCPRIM_400000_NS6detail17trampoline_kernelINS0_14default_configENS1_27scan_by_key_config_selectorIixEEZZNS1_16scan_by_key_implILNS1_25lookback_scan_determinismE0ELb0ES3_N6thrust23THRUST_200600_302600_NS6detail15normal_iteratorINS9_10device_ptrIiEEEENSB_INSC_IxEEEESG_xNS9_4plusIvEENS9_8equal_toIvEExEE10hipError_tPvRmT2_T3_T4_T5_mT6_T7_P12ihipStream_tbENKUlT_T0_E_clISt17integral_constantIbLb1EES11_EEDaSW_SX_EUlSW_E_NS1_11comp_targetILNS1_3genE4ELNS1_11target_archE910ELNS1_3gpuE8ELNS1_3repE0EEENS1_30default_config_static_selectorELNS0_4arch9wavefront6targetE0EEEvT1_
    .private_segment_fixed_size: 0
    .sgpr_count:     0
    .sgpr_spill_count: 0
    .symbol:         _ZN7rocprim17ROCPRIM_400000_NS6detail17trampoline_kernelINS0_14default_configENS1_27scan_by_key_config_selectorIixEEZZNS1_16scan_by_key_implILNS1_25lookback_scan_determinismE0ELb0ES3_N6thrust23THRUST_200600_302600_NS6detail15normal_iteratorINS9_10device_ptrIiEEEENSB_INSC_IxEEEESG_xNS9_4plusIvEENS9_8equal_toIvEExEE10hipError_tPvRmT2_T3_T4_T5_mT6_T7_P12ihipStream_tbENKUlT_T0_E_clISt17integral_constantIbLb1EES11_EEDaSW_SX_EUlSW_E_NS1_11comp_targetILNS1_3genE4ELNS1_11target_archE910ELNS1_3gpuE8ELNS1_3repE0EEENS1_30default_config_static_selectorELNS0_4arch9wavefront6targetE0EEEvT1_.kd
    .uniform_work_group_size: 1
    .uses_dynamic_stack: false
    .vgpr_count:     0
    .vgpr_spill_count: 0
    .wavefront_size: 32
  - .args:
      - .offset:         0
        .size:           136
        .value_kind:     by_value
    .group_segment_fixed_size: 0
    .kernarg_segment_align: 8
    .kernarg_segment_size: 136
    .language:       OpenCL C
    .language_version:
      - 2
      - 0
    .max_flat_workgroup_size: 128
    .name:           _ZN7rocprim17ROCPRIM_400000_NS6detail17trampoline_kernelINS0_14default_configENS1_27scan_by_key_config_selectorIixEEZZNS1_16scan_by_key_implILNS1_25lookback_scan_determinismE0ELb0ES3_N6thrust23THRUST_200600_302600_NS6detail15normal_iteratorINS9_10device_ptrIiEEEENSB_INSC_IxEEEESG_xNS9_4plusIvEENS9_8equal_toIvEExEE10hipError_tPvRmT2_T3_T4_T5_mT6_T7_P12ihipStream_tbENKUlT_T0_E_clISt17integral_constantIbLb1EES11_EEDaSW_SX_EUlSW_E_NS1_11comp_targetILNS1_3genE3ELNS1_11target_archE908ELNS1_3gpuE7ELNS1_3repE0EEENS1_30default_config_static_selectorELNS0_4arch9wavefront6targetE0EEEvT1_
    .private_segment_fixed_size: 0
    .sgpr_count:     0
    .sgpr_spill_count: 0
    .symbol:         _ZN7rocprim17ROCPRIM_400000_NS6detail17trampoline_kernelINS0_14default_configENS1_27scan_by_key_config_selectorIixEEZZNS1_16scan_by_key_implILNS1_25lookback_scan_determinismE0ELb0ES3_N6thrust23THRUST_200600_302600_NS6detail15normal_iteratorINS9_10device_ptrIiEEEENSB_INSC_IxEEEESG_xNS9_4plusIvEENS9_8equal_toIvEExEE10hipError_tPvRmT2_T3_T4_T5_mT6_T7_P12ihipStream_tbENKUlT_T0_E_clISt17integral_constantIbLb1EES11_EEDaSW_SX_EUlSW_E_NS1_11comp_targetILNS1_3genE3ELNS1_11target_archE908ELNS1_3gpuE7ELNS1_3repE0EEENS1_30default_config_static_selectorELNS0_4arch9wavefront6targetE0EEEvT1_.kd
    .uniform_work_group_size: 1
    .uses_dynamic_stack: false
    .vgpr_count:     0
    .vgpr_spill_count: 0
    .wavefront_size: 32
  - .args:
      - .offset:         0
        .size:           136
        .value_kind:     by_value
    .group_segment_fixed_size: 0
    .kernarg_segment_align: 8
    .kernarg_segment_size: 136
    .language:       OpenCL C
    .language_version:
      - 2
      - 0
    .max_flat_workgroup_size: 64
    .name:           _ZN7rocprim17ROCPRIM_400000_NS6detail17trampoline_kernelINS0_14default_configENS1_27scan_by_key_config_selectorIixEEZZNS1_16scan_by_key_implILNS1_25lookback_scan_determinismE0ELb0ES3_N6thrust23THRUST_200600_302600_NS6detail15normal_iteratorINS9_10device_ptrIiEEEENSB_INSC_IxEEEESG_xNS9_4plusIvEENS9_8equal_toIvEExEE10hipError_tPvRmT2_T3_T4_T5_mT6_T7_P12ihipStream_tbENKUlT_T0_E_clISt17integral_constantIbLb1EES11_EEDaSW_SX_EUlSW_E_NS1_11comp_targetILNS1_3genE2ELNS1_11target_archE906ELNS1_3gpuE6ELNS1_3repE0EEENS1_30default_config_static_selectorELNS0_4arch9wavefront6targetE0EEEvT1_
    .private_segment_fixed_size: 0
    .sgpr_count:     0
    .sgpr_spill_count: 0
    .symbol:         _ZN7rocprim17ROCPRIM_400000_NS6detail17trampoline_kernelINS0_14default_configENS1_27scan_by_key_config_selectorIixEEZZNS1_16scan_by_key_implILNS1_25lookback_scan_determinismE0ELb0ES3_N6thrust23THRUST_200600_302600_NS6detail15normal_iteratorINS9_10device_ptrIiEEEENSB_INSC_IxEEEESG_xNS9_4plusIvEENS9_8equal_toIvEExEE10hipError_tPvRmT2_T3_T4_T5_mT6_T7_P12ihipStream_tbENKUlT_T0_E_clISt17integral_constantIbLb1EES11_EEDaSW_SX_EUlSW_E_NS1_11comp_targetILNS1_3genE2ELNS1_11target_archE906ELNS1_3gpuE6ELNS1_3repE0EEENS1_30default_config_static_selectorELNS0_4arch9wavefront6targetE0EEEvT1_.kd
    .uniform_work_group_size: 1
    .uses_dynamic_stack: false
    .vgpr_count:     0
    .vgpr_spill_count: 0
    .wavefront_size: 32
  - .args:
      - .offset:         0
        .size:           136
        .value_kind:     by_value
    .group_segment_fixed_size: 0
    .kernarg_segment_align: 8
    .kernarg_segment_size: 136
    .language:       OpenCL C
    .language_version:
      - 2
      - 0
    .max_flat_workgroup_size: 256
    .name:           _ZN7rocprim17ROCPRIM_400000_NS6detail17trampoline_kernelINS0_14default_configENS1_27scan_by_key_config_selectorIixEEZZNS1_16scan_by_key_implILNS1_25lookback_scan_determinismE0ELb0ES3_N6thrust23THRUST_200600_302600_NS6detail15normal_iteratorINS9_10device_ptrIiEEEENSB_INSC_IxEEEESG_xNS9_4plusIvEENS9_8equal_toIvEExEE10hipError_tPvRmT2_T3_T4_T5_mT6_T7_P12ihipStream_tbENKUlT_T0_E_clISt17integral_constantIbLb1EES11_EEDaSW_SX_EUlSW_E_NS1_11comp_targetILNS1_3genE10ELNS1_11target_archE1200ELNS1_3gpuE4ELNS1_3repE0EEENS1_30default_config_static_selectorELNS0_4arch9wavefront6targetE0EEEvT1_
    .private_segment_fixed_size: 0
    .sgpr_count:     0
    .sgpr_spill_count: 0
    .symbol:         _ZN7rocprim17ROCPRIM_400000_NS6detail17trampoline_kernelINS0_14default_configENS1_27scan_by_key_config_selectorIixEEZZNS1_16scan_by_key_implILNS1_25lookback_scan_determinismE0ELb0ES3_N6thrust23THRUST_200600_302600_NS6detail15normal_iteratorINS9_10device_ptrIiEEEENSB_INSC_IxEEEESG_xNS9_4plusIvEENS9_8equal_toIvEExEE10hipError_tPvRmT2_T3_T4_T5_mT6_T7_P12ihipStream_tbENKUlT_T0_E_clISt17integral_constantIbLb1EES11_EEDaSW_SX_EUlSW_E_NS1_11comp_targetILNS1_3genE10ELNS1_11target_archE1200ELNS1_3gpuE4ELNS1_3repE0EEENS1_30default_config_static_selectorELNS0_4arch9wavefront6targetE0EEEvT1_.kd
    .uniform_work_group_size: 1
    .uses_dynamic_stack: false
    .vgpr_count:     0
    .vgpr_spill_count: 0
    .wavefront_size: 32
  - .args:
      - .offset:         0
        .size:           136
        .value_kind:     by_value
    .group_segment_fixed_size: 0
    .kernarg_segment_align: 8
    .kernarg_segment_size: 136
    .language:       OpenCL C
    .language_version:
      - 2
      - 0
    .max_flat_workgroup_size: 256
    .name:           _ZN7rocprim17ROCPRIM_400000_NS6detail17trampoline_kernelINS0_14default_configENS1_27scan_by_key_config_selectorIixEEZZNS1_16scan_by_key_implILNS1_25lookback_scan_determinismE0ELb0ES3_N6thrust23THRUST_200600_302600_NS6detail15normal_iteratorINS9_10device_ptrIiEEEENSB_INSC_IxEEEESG_xNS9_4plusIvEENS9_8equal_toIvEExEE10hipError_tPvRmT2_T3_T4_T5_mT6_T7_P12ihipStream_tbENKUlT_T0_E_clISt17integral_constantIbLb1EES11_EEDaSW_SX_EUlSW_E_NS1_11comp_targetILNS1_3genE9ELNS1_11target_archE1100ELNS1_3gpuE3ELNS1_3repE0EEENS1_30default_config_static_selectorELNS0_4arch9wavefront6targetE0EEEvT1_
    .private_segment_fixed_size: 0
    .sgpr_count:     0
    .sgpr_spill_count: 0
    .symbol:         _ZN7rocprim17ROCPRIM_400000_NS6detail17trampoline_kernelINS0_14default_configENS1_27scan_by_key_config_selectorIixEEZZNS1_16scan_by_key_implILNS1_25lookback_scan_determinismE0ELb0ES3_N6thrust23THRUST_200600_302600_NS6detail15normal_iteratorINS9_10device_ptrIiEEEENSB_INSC_IxEEEESG_xNS9_4plusIvEENS9_8equal_toIvEExEE10hipError_tPvRmT2_T3_T4_T5_mT6_T7_P12ihipStream_tbENKUlT_T0_E_clISt17integral_constantIbLb1EES11_EEDaSW_SX_EUlSW_E_NS1_11comp_targetILNS1_3genE9ELNS1_11target_archE1100ELNS1_3gpuE3ELNS1_3repE0EEENS1_30default_config_static_selectorELNS0_4arch9wavefront6targetE0EEEvT1_.kd
    .uniform_work_group_size: 1
    .uses_dynamic_stack: false
    .vgpr_count:     0
    .vgpr_spill_count: 0
    .wavefront_size: 32
  - .args:
      - .offset:         0
        .size:           136
        .value_kind:     by_value
    .group_segment_fixed_size: 0
    .kernarg_segment_align: 8
    .kernarg_segment_size: 136
    .language:       OpenCL C
    .language_version:
      - 2
      - 0
    .max_flat_workgroup_size: 256
    .name:           _ZN7rocprim17ROCPRIM_400000_NS6detail17trampoline_kernelINS0_14default_configENS1_27scan_by_key_config_selectorIixEEZZNS1_16scan_by_key_implILNS1_25lookback_scan_determinismE0ELb0ES3_N6thrust23THRUST_200600_302600_NS6detail15normal_iteratorINS9_10device_ptrIiEEEENSB_INSC_IxEEEESG_xNS9_4plusIvEENS9_8equal_toIvEExEE10hipError_tPvRmT2_T3_T4_T5_mT6_T7_P12ihipStream_tbENKUlT_T0_E_clISt17integral_constantIbLb1EES11_EEDaSW_SX_EUlSW_E_NS1_11comp_targetILNS1_3genE8ELNS1_11target_archE1030ELNS1_3gpuE2ELNS1_3repE0EEENS1_30default_config_static_selectorELNS0_4arch9wavefront6targetE0EEEvT1_
    .private_segment_fixed_size: 0
    .sgpr_count:     0
    .sgpr_spill_count: 0
    .symbol:         _ZN7rocprim17ROCPRIM_400000_NS6detail17trampoline_kernelINS0_14default_configENS1_27scan_by_key_config_selectorIixEEZZNS1_16scan_by_key_implILNS1_25lookback_scan_determinismE0ELb0ES3_N6thrust23THRUST_200600_302600_NS6detail15normal_iteratorINS9_10device_ptrIiEEEENSB_INSC_IxEEEESG_xNS9_4plusIvEENS9_8equal_toIvEExEE10hipError_tPvRmT2_T3_T4_T5_mT6_T7_P12ihipStream_tbENKUlT_T0_E_clISt17integral_constantIbLb1EES11_EEDaSW_SX_EUlSW_E_NS1_11comp_targetILNS1_3genE8ELNS1_11target_archE1030ELNS1_3gpuE2ELNS1_3repE0EEENS1_30default_config_static_selectorELNS0_4arch9wavefront6targetE0EEEvT1_.kd
    .uniform_work_group_size: 1
    .uses_dynamic_stack: false
    .vgpr_count:     0
    .vgpr_spill_count: 0
    .wavefront_size: 32
  - .args:
      - .offset:         0
        .size:           24
        .value_kind:     by_value
      - .offset:         24
        .size:           4
        .value_kind:     by_value
      - .offset:         28
        .size:           4
        .value_kind:     by_value
      - .address_space:  global
        .offset:         32
        .size:           8
        .value_kind:     global_buffer
      - .address_space:  global
        .offset:         40
        .size:           8
        .value_kind:     global_buffer
      - .actual_access:  write_only
        .address_space:  global
        .offset:         48
        .size:           8
        .value_kind:     global_buffer
      - .offset:         56
        .size:           8
        .value_kind:     by_value
      - .offset:         64
        .size:           4
        .value_kind:     by_value
      - .offset:         68
        .size:           1
        .value_kind:     by_value
      - .offset:         72
        .size:           4
        .value_kind:     hidden_block_count_x
      - .offset:         76
        .size:           4
        .value_kind:     hidden_block_count_y
      - .offset:         80
        .size:           4
        .value_kind:     hidden_block_count_z
      - .offset:         84
        .size:           2
        .value_kind:     hidden_group_size_x
      - .offset:         86
        .size:           2
        .value_kind:     hidden_group_size_y
      - .offset:         88
        .size:           2
        .value_kind:     hidden_group_size_z
      - .offset:         90
        .size:           2
        .value_kind:     hidden_remainder_x
      - .offset:         92
        .size:           2
        .value_kind:     hidden_remainder_y
      - .offset:         94
        .size:           2
        .value_kind:     hidden_remainder_z
      - .offset:         112
        .size:           8
        .value_kind:     hidden_global_offset_x
      - .offset:         120
        .size:           8
        .value_kind:     hidden_global_offset_y
      - .offset:         128
        .size:           8
        .value_kind:     hidden_global_offset_z
      - .offset:         136
        .size:           2
        .value_kind:     hidden_grid_dims
    .group_segment_fixed_size: 0
    .kernarg_segment_align: 8
    .kernarg_segment_size: 328
    .language:       OpenCL C
    .language_version:
      - 2
      - 0
    .max_flat_workgroup_size: 256
    .name:           _ZN7rocprim17ROCPRIM_400000_NS6detail30init_device_scan_by_key_kernelINS1_19lookback_scan_stateINS0_5tupleIJxbEEELb1ELb0EEEN6thrust23THRUST_200600_302600_NS6detail15normal_iteratorINS8_10device_ptrIiEEEEjNS1_16block_id_wrapperIjLb0EEEEEvT_jjPNSG_10value_typeET0_PNSt15iterator_traitsISJ_E10value_typeEmT1_T2_
    .private_segment_fixed_size: 0
    .sgpr_count:     24
    .sgpr_spill_count: 0
    .symbol:         _ZN7rocprim17ROCPRIM_400000_NS6detail30init_device_scan_by_key_kernelINS1_19lookback_scan_stateINS0_5tupleIJxbEEELb1ELb0EEEN6thrust23THRUST_200600_302600_NS6detail15normal_iteratorINS8_10device_ptrIiEEEEjNS1_16block_id_wrapperIjLb0EEEEEvT_jjPNSG_10value_typeET0_PNSt15iterator_traitsISJ_E10value_typeEmT1_T2_.kd
    .uniform_work_group_size: 1
    .uses_dynamic_stack: false
    .vgpr_count:     7
    .vgpr_spill_count: 0
    .wavefront_size: 32
  - .args:
      - .offset:         0
        .size:           136
        .value_kind:     by_value
    .group_segment_fixed_size: 0
    .kernarg_segment_align: 8
    .kernarg_segment_size: 136
    .language:       OpenCL C
    .language_version:
      - 2
      - 0
    .max_flat_workgroup_size: 128
    .name:           _ZN7rocprim17ROCPRIM_400000_NS6detail17trampoline_kernelINS0_14default_configENS1_27scan_by_key_config_selectorIixEEZZNS1_16scan_by_key_implILNS1_25lookback_scan_determinismE0ELb0ES3_N6thrust23THRUST_200600_302600_NS6detail15normal_iteratorINS9_10device_ptrIiEEEENSB_INSC_IxEEEESG_xNS9_4plusIvEENS9_8equal_toIvEExEE10hipError_tPvRmT2_T3_T4_T5_mT6_T7_P12ihipStream_tbENKUlT_T0_E_clISt17integral_constantIbLb1EES10_IbLb0EEEEDaSW_SX_EUlSW_E_NS1_11comp_targetILNS1_3genE0ELNS1_11target_archE4294967295ELNS1_3gpuE0ELNS1_3repE0EEENS1_30default_config_static_selectorELNS0_4arch9wavefront6targetE0EEEvT1_
    .private_segment_fixed_size: 0
    .sgpr_count:     0
    .sgpr_spill_count: 0
    .symbol:         _ZN7rocprim17ROCPRIM_400000_NS6detail17trampoline_kernelINS0_14default_configENS1_27scan_by_key_config_selectorIixEEZZNS1_16scan_by_key_implILNS1_25lookback_scan_determinismE0ELb0ES3_N6thrust23THRUST_200600_302600_NS6detail15normal_iteratorINS9_10device_ptrIiEEEENSB_INSC_IxEEEESG_xNS9_4plusIvEENS9_8equal_toIvEExEE10hipError_tPvRmT2_T3_T4_T5_mT6_T7_P12ihipStream_tbENKUlT_T0_E_clISt17integral_constantIbLb1EES10_IbLb0EEEEDaSW_SX_EUlSW_E_NS1_11comp_targetILNS1_3genE0ELNS1_11target_archE4294967295ELNS1_3gpuE0ELNS1_3repE0EEENS1_30default_config_static_selectorELNS0_4arch9wavefront6targetE0EEEvT1_.kd
    .uniform_work_group_size: 1
    .uses_dynamic_stack: false
    .vgpr_count:     0
    .vgpr_spill_count: 0
    .wavefront_size: 32
  - .args:
      - .offset:         0
        .size:           136
        .value_kind:     by_value
    .group_segment_fixed_size: 0
    .kernarg_segment_align: 8
    .kernarg_segment_size: 136
    .language:       OpenCL C
    .language_version:
      - 2
      - 0
    .max_flat_workgroup_size: 256
    .name:           _ZN7rocprim17ROCPRIM_400000_NS6detail17trampoline_kernelINS0_14default_configENS1_27scan_by_key_config_selectorIixEEZZNS1_16scan_by_key_implILNS1_25lookback_scan_determinismE0ELb0ES3_N6thrust23THRUST_200600_302600_NS6detail15normal_iteratorINS9_10device_ptrIiEEEENSB_INSC_IxEEEESG_xNS9_4plusIvEENS9_8equal_toIvEExEE10hipError_tPvRmT2_T3_T4_T5_mT6_T7_P12ihipStream_tbENKUlT_T0_E_clISt17integral_constantIbLb1EES10_IbLb0EEEEDaSW_SX_EUlSW_E_NS1_11comp_targetILNS1_3genE10ELNS1_11target_archE1201ELNS1_3gpuE5ELNS1_3repE0EEENS1_30default_config_static_selectorELNS0_4arch9wavefront6targetE0EEEvT1_
    .private_segment_fixed_size: 0
    .sgpr_count:     0
    .sgpr_spill_count: 0
    .symbol:         _ZN7rocprim17ROCPRIM_400000_NS6detail17trampoline_kernelINS0_14default_configENS1_27scan_by_key_config_selectorIixEEZZNS1_16scan_by_key_implILNS1_25lookback_scan_determinismE0ELb0ES3_N6thrust23THRUST_200600_302600_NS6detail15normal_iteratorINS9_10device_ptrIiEEEENSB_INSC_IxEEEESG_xNS9_4plusIvEENS9_8equal_toIvEExEE10hipError_tPvRmT2_T3_T4_T5_mT6_T7_P12ihipStream_tbENKUlT_T0_E_clISt17integral_constantIbLb1EES10_IbLb0EEEEDaSW_SX_EUlSW_E_NS1_11comp_targetILNS1_3genE10ELNS1_11target_archE1201ELNS1_3gpuE5ELNS1_3repE0EEENS1_30default_config_static_selectorELNS0_4arch9wavefront6targetE0EEEvT1_.kd
    .uniform_work_group_size: 1
    .uses_dynamic_stack: false
    .vgpr_count:     0
    .vgpr_spill_count: 0
    .wavefront_size: 32
  - .args:
      - .offset:         0
        .size:           136
        .value_kind:     by_value
    .group_segment_fixed_size: 0
    .kernarg_segment_align: 8
    .kernarg_segment_size: 136
    .language:       OpenCL C
    .language_version:
      - 2
      - 0
    .max_flat_workgroup_size: 256
    .name:           _ZN7rocprim17ROCPRIM_400000_NS6detail17trampoline_kernelINS0_14default_configENS1_27scan_by_key_config_selectorIixEEZZNS1_16scan_by_key_implILNS1_25lookback_scan_determinismE0ELb0ES3_N6thrust23THRUST_200600_302600_NS6detail15normal_iteratorINS9_10device_ptrIiEEEENSB_INSC_IxEEEESG_xNS9_4plusIvEENS9_8equal_toIvEExEE10hipError_tPvRmT2_T3_T4_T5_mT6_T7_P12ihipStream_tbENKUlT_T0_E_clISt17integral_constantIbLb1EES10_IbLb0EEEEDaSW_SX_EUlSW_E_NS1_11comp_targetILNS1_3genE5ELNS1_11target_archE942ELNS1_3gpuE9ELNS1_3repE0EEENS1_30default_config_static_selectorELNS0_4arch9wavefront6targetE0EEEvT1_
    .private_segment_fixed_size: 0
    .sgpr_count:     0
    .sgpr_spill_count: 0
    .symbol:         _ZN7rocprim17ROCPRIM_400000_NS6detail17trampoline_kernelINS0_14default_configENS1_27scan_by_key_config_selectorIixEEZZNS1_16scan_by_key_implILNS1_25lookback_scan_determinismE0ELb0ES3_N6thrust23THRUST_200600_302600_NS6detail15normal_iteratorINS9_10device_ptrIiEEEENSB_INSC_IxEEEESG_xNS9_4plusIvEENS9_8equal_toIvEExEE10hipError_tPvRmT2_T3_T4_T5_mT6_T7_P12ihipStream_tbENKUlT_T0_E_clISt17integral_constantIbLb1EES10_IbLb0EEEEDaSW_SX_EUlSW_E_NS1_11comp_targetILNS1_3genE5ELNS1_11target_archE942ELNS1_3gpuE9ELNS1_3repE0EEENS1_30default_config_static_selectorELNS0_4arch9wavefront6targetE0EEEvT1_.kd
    .uniform_work_group_size: 1
    .uses_dynamic_stack: false
    .vgpr_count:     0
    .vgpr_spill_count: 0
    .wavefront_size: 32
  - .args:
      - .offset:         0
        .size:           136
        .value_kind:     by_value
    .group_segment_fixed_size: 0
    .kernarg_segment_align: 8
    .kernarg_segment_size: 136
    .language:       OpenCL C
    .language_version:
      - 2
      - 0
    .max_flat_workgroup_size: 64
    .name:           _ZN7rocprim17ROCPRIM_400000_NS6detail17trampoline_kernelINS0_14default_configENS1_27scan_by_key_config_selectorIixEEZZNS1_16scan_by_key_implILNS1_25lookback_scan_determinismE0ELb0ES3_N6thrust23THRUST_200600_302600_NS6detail15normal_iteratorINS9_10device_ptrIiEEEENSB_INSC_IxEEEESG_xNS9_4plusIvEENS9_8equal_toIvEExEE10hipError_tPvRmT2_T3_T4_T5_mT6_T7_P12ihipStream_tbENKUlT_T0_E_clISt17integral_constantIbLb1EES10_IbLb0EEEEDaSW_SX_EUlSW_E_NS1_11comp_targetILNS1_3genE4ELNS1_11target_archE910ELNS1_3gpuE8ELNS1_3repE0EEENS1_30default_config_static_selectorELNS0_4arch9wavefront6targetE0EEEvT1_
    .private_segment_fixed_size: 0
    .sgpr_count:     0
    .sgpr_spill_count: 0
    .symbol:         _ZN7rocprim17ROCPRIM_400000_NS6detail17trampoline_kernelINS0_14default_configENS1_27scan_by_key_config_selectorIixEEZZNS1_16scan_by_key_implILNS1_25lookback_scan_determinismE0ELb0ES3_N6thrust23THRUST_200600_302600_NS6detail15normal_iteratorINS9_10device_ptrIiEEEENSB_INSC_IxEEEESG_xNS9_4plusIvEENS9_8equal_toIvEExEE10hipError_tPvRmT2_T3_T4_T5_mT6_T7_P12ihipStream_tbENKUlT_T0_E_clISt17integral_constantIbLb1EES10_IbLb0EEEEDaSW_SX_EUlSW_E_NS1_11comp_targetILNS1_3genE4ELNS1_11target_archE910ELNS1_3gpuE8ELNS1_3repE0EEENS1_30default_config_static_selectorELNS0_4arch9wavefront6targetE0EEEvT1_.kd
    .uniform_work_group_size: 1
    .uses_dynamic_stack: false
    .vgpr_count:     0
    .vgpr_spill_count: 0
    .wavefront_size: 32
  - .args:
      - .offset:         0
        .size:           136
        .value_kind:     by_value
    .group_segment_fixed_size: 0
    .kernarg_segment_align: 8
    .kernarg_segment_size: 136
    .language:       OpenCL C
    .language_version:
      - 2
      - 0
    .max_flat_workgroup_size: 128
    .name:           _ZN7rocprim17ROCPRIM_400000_NS6detail17trampoline_kernelINS0_14default_configENS1_27scan_by_key_config_selectorIixEEZZNS1_16scan_by_key_implILNS1_25lookback_scan_determinismE0ELb0ES3_N6thrust23THRUST_200600_302600_NS6detail15normal_iteratorINS9_10device_ptrIiEEEENSB_INSC_IxEEEESG_xNS9_4plusIvEENS9_8equal_toIvEExEE10hipError_tPvRmT2_T3_T4_T5_mT6_T7_P12ihipStream_tbENKUlT_T0_E_clISt17integral_constantIbLb1EES10_IbLb0EEEEDaSW_SX_EUlSW_E_NS1_11comp_targetILNS1_3genE3ELNS1_11target_archE908ELNS1_3gpuE7ELNS1_3repE0EEENS1_30default_config_static_selectorELNS0_4arch9wavefront6targetE0EEEvT1_
    .private_segment_fixed_size: 0
    .sgpr_count:     0
    .sgpr_spill_count: 0
    .symbol:         _ZN7rocprim17ROCPRIM_400000_NS6detail17trampoline_kernelINS0_14default_configENS1_27scan_by_key_config_selectorIixEEZZNS1_16scan_by_key_implILNS1_25lookback_scan_determinismE0ELb0ES3_N6thrust23THRUST_200600_302600_NS6detail15normal_iteratorINS9_10device_ptrIiEEEENSB_INSC_IxEEEESG_xNS9_4plusIvEENS9_8equal_toIvEExEE10hipError_tPvRmT2_T3_T4_T5_mT6_T7_P12ihipStream_tbENKUlT_T0_E_clISt17integral_constantIbLb1EES10_IbLb0EEEEDaSW_SX_EUlSW_E_NS1_11comp_targetILNS1_3genE3ELNS1_11target_archE908ELNS1_3gpuE7ELNS1_3repE0EEENS1_30default_config_static_selectorELNS0_4arch9wavefront6targetE0EEEvT1_.kd
    .uniform_work_group_size: 1
    .uses_dynamic_stack: false
    .vgpr_count:     0
    .vgpr_spill_count: 0
    .wavefront_size: 32
  - .args:
      - .offset:         0
        .size:           136
        .value_kind:     by_value
    .group_segment_fixed_size: 0
    .kernarg_segment_align: 8
    .kernarg_segment_size: 136
    .language:       OpenCL C
    .language_version:
      - 2
      - 0
    .max_flat_workgroup_size: 64
    .name:           _ZN7rocprim17ROCPRIM_400000_NS6detail17trampoline_kernelINS0_14default_configENS1_27scan_by_key_config_selectorIixEEZZNS1_16scan_by_key_implILNS1_25lookback_scan_determinismE0ELb0ES3_N6thrust23THRUST_200600_302600_NS6detail15normal_iteratorINS9_10device_ptrIiEEEENSB_INSC_IxEEEESG_xNS9_4plusIvEENS9_8equal_toIvEExEE10hipError_tPvRmT2_T3_T4_T5_mT6_T7_P12ihipStream_tbENKUlT_T0_E_clISt17integral_constantIbLb1EES10_IbLb0EEEEDaSW_SX_EUlSW_E_NS1_11comp_targetILNS1_3genE2ELNS1_11target_archE906ELNS1_3gpuE6ELNS1_3repE0EEENS1_30default_config_static_selectorELNS0_4arch9wavefront6targetE0EEEvT1_
    .private_segment_fixed_size: 0
    .sgpr_count:     0
    .sgpr_spill_count: 0
    .symbol:         _ZN7rocprim17ROCPRIM_400000_NS6detail17trampoline_kernelINS0_14default_configENS1_27scan_by_key_config_selectorIixEEZZNS1_16scan_by_key_implILNS1_25lookback_scan_determinismE0ELb0ES3_N6thrust23THRUST_200600_302600_NS6detail15normal_iteratorINS9_10device_ptrIiEEEENSB_INSC_IxEEEESG_xNS9_4plusIvEENS9_8equal_toIvEExEE10hipError_tPvRmT2_T3_T4_T5_mT6_T7_P12ihipStream_tbENKUlT_T0_E_clISt17integral_constantIbLb1EES10_IbLb0EEEEDaSW_SX_EUlSW_E_NS1_11comp_targetILNS1_3genE2ELNS1_11target_archE906ELNS1_3gpuE6ELNS1_3repE0EEENS1_30default_config_static_selectorELNS0_4arch9wavefront6targetE0EEEvT1_.kd
    .uniform_work_group_size: 1
    .uses_dynamic_stack: false
    .vgpr_count:     0
    .vgpr_spill_count: 0
    .wavefront_size: 32
  - .args:
      - .offset:         0
        .size:           136
        .value_kind:     by_value
    .group_segment_fixed_size: 0
    .kernarg_segment_align: 8
    .kernarg_segment_size: 136
    .language:       OpenCL C
    .language_version:
      - 2
      - 0
    .max_flat_workgroup_size: 256
    .name:           _ZN7rocprim17ROCPRIM_400000_NS6detail17trampoline_kernelINS0_14default_configENS1_27scan_by_key_config_selectorIixEEZZNS1_16scan_by_key_implILNS1_25lookback_scan_determinismE0ELb0ES3_N6thrust23THRUST_200600_302600_NS6detail15normal_iteratorINS9_10device_ptrIiEEEENSB_INSC_IxEEEESG_xNS9_4plusIvEENS9_8equal_toIvEExEE10hipError_tPvRmT2_T3_T4_T5_mT6_T7_P12ihipStream_tbENKUlT_T0_E_clISt17integral_constantIbLb1EES10_IbLb0EEEEDaSW_SX_EUlSW_E_NS1_11comp_targetILNS1_3genE10ELNS1_11target_archE1200ELNS1_3gpuE4ELNS1_3repE0EEENS1_30default_config_static_selectorELNS0_4arch9wavefront6targetE0EEEvT1_
    .private_segment_fixed_size: 0
    .sgpr_count:     0
    .sgpr_spill_count: 0
    .symbol:         _ZN7rocprim17ROCPRIM_400000_NS6detail17trampoline_kernelINS0_14default_configENS1_27scan_by_key_config_selectorIixEEZZNS1_16scan_by_key_implILNS1_25lookback_scan_determinismE0ELb0ES3_N6thrust23THRUST_200600_302600_NS6detail15normal_iteratorINS9_10device_ptrIiEEEENSB_INSC_IxEEEESG_xNS9_4plusIvEENS9_8equal_toIvEExEE10hipError_tPvRmT2_T3_T4_T5_mT6_T7_P12ihipStream_tbENKUlT_T0_E_clISt17integral_constantIbLb1EES10_IbLb0EEEEDaSW_SX_EUlSW_E_NS1_11comp_targetILNS1_3genE10ELNS1_11target_archE1200ELNS1_3gpuE4ELNS1_3repE0EEENS1_30default_config_static_selectorELNS0_4arch9wavefront6targetE0EEEvT1_.kd
    .uniform_work_group_size: 1
    .uses_dynamic_stack: false
    .vgpr_count:     0
    .vgpr_spill_count: 0
    .wavefront_size: 32
  - .args:
      - .offset:         0
        .size:           136
        .value_kind:     by_value
    .group_segment_fixed_size: 0
    .kernarg_segment_align: 8
    .kernarg_segment_size: 136
    .language:       OpenCL C
    .language_version:
      - 2
      - 0
    .max_flat_workgroup_size: 256
    .name:           _ZN7rocprim17ROCPRIM_400000_NS6detail17trampoline_kernelINS0_14default_configENS1_27scan_by_key_config_selectorIixEEZZNS1_16scan_by_key_implILNS1_25lookback_scan_determinismE0ELb0ES3_N6thrust23THRUST_200600_302600_NS6detail15normal_iteratorINS9_10device_ptrIiEEEENSB_INSC_IxEEEESG_xNS9_4plusIvEENS9_8equal_toIvEExEE10hipError_tPvRmT2_T3_T4_T5_mT6_T7_P12ihipStream_tbENKUlT_T0_E_clISt17integral_constantIbLb1EES10_IbLb0EEEEDaSW_SX_EUlSW_E_NS1_11comp_targetILNS1_3genE9ELNS1_11target_archE1100ELNS1_3gpuE3ELNS1_3repE0EEENS1_30default_config_static_selectorELNS0_4arch9wavefront6targetE0EEEvT1_
    .private_segment_fixed_size: 0
    .sgpr_count:     0
    .sgpr_spill_count: 0
    .symbol:         _ZN7rocprim17ROCPRIM_400000_NS6detail17trampoline_kernelINS0_14default_configENS1_27scan_by_key_config_selectorIixEEZZNS1_16scan_by_key_implILNS1_25lookback_scan_determinismE0ELb0ES3_N6thrust23THRUST_200600_302600_NS6detail15normal_iteratorINS9_10device_ptrIiEEEENSB_INSC_IxEEEESG_xNS9_4plusIvEENS9_8equal_toIvEExEE10hipError_tPvRmT2_T3_T4_T5_mT6_T7_P12ihipStream_tbENKUlT_T0_E_clISt17integral_constantIbLb1EES10_IbLb0EEEEDaSW_SX_EUlSW_E_NS1_11comp_targetILNS1_3genE9ELNS1_11target_archE1100ELNS1_3gpuE3ELNS1_3repE0EEENS1_30default_config_static_selectorELNS0_4arch9wavefront6targetE0EEEvT1_.kd
    .uniform_work_group_size: 1
    .uses_dynamic_stack: false
    .vgpr_count:     0
    .vgpr_spill_count: 0
    .wavefront_size: 32
  - .args:
      - .offset:         0
        .size:           136
        .value_kind:     by_value
    .group_segment_fixed_size: 0
    .kernarg_segment_align: 8
    .kernarg_segment_size: 136
    .language:       OpenCL C
    .language_version:
      - 2
      - 0
    .max_flat_workgroup_size: 256
    .name:           _ZN7rocprim17ROCPRIM_400000_NS6detail17trampoline_kernelINS0_14default_configENS1_27scan_by_key_config_selectorIixEEZZNS1_16scan_by_key_implILNS1_25lookback_scan_determinismE0ELb0ES3_N6thrust23THRUST_200600_302600_NS6detail15normal_iteratorINS9_10device_ptrIiEEEENSB_INSC_IxEEEESG_xNS9_4plusIvEENS9_8equal_toIvEExEE10hipError_tPvRmT2_T3_T4_T5_mT6_T7_P12ihipStream_tbENKUlT_T0_E_clISt17integral_constantIbLb1EES10_IbLb0EEEEDaSW_SX_EUlSW_E_NS1_11comp_targetILNS1_3genE8ELNS1_11target_archE1030ELNS1_3gpuE2ELNS1_3repE0EEENS1_30default_config_static_selectorELNS0_4arch9wavefront6targetE0EEEvT1_
    .private_segment_fixed_size: 0
    .sgpr_count:     0
    .sgpr_spill_count: 0
    .symbol:         _ZN7rocprim17ROCPRIM_400000_NS6detail17trampoline_kernelINS0_14default_configENS1_27scan_by_key_config_selectorIixEEZZNS1_16scan_by_key_implILNS1_25lookback_scan_determinismE0ELb0ES3_N6thrust23THRUST_200600_302600_NS6detail15normal_iteratorINS9_10device_ptrIiEEEENSB_INSC_IxEEEESG_xNS9_4plusIvEENS9_8equal_toIvEExEE10hipError_tPvRmT2_T3_T4_T5_mT6_T7_P12ihipStream_tbENKUlT_T0_E_clISt17integral_constantIbLb1EES10_IbLb0EEEEDaSW_SX_EUlSW_E_NS1_11comp_targetILNS1_3genE8ELNS1_11target_archE1030ELNS1_3gpuE2ELNS1_3repE0EEENS1_30default_config_static_selectorELNS0_4arch9wavefront6targetE0EEEvT1_.kd
    .uniform_work_group_size: 1
    .uses_dynamic_stack: false
    .vgpr_count:     0
    .vgpr_spill_count: 0
    .wavefront_size: 32
  - .args:
      - .offset:         0
        .size:           24
        .value_kind:     by_value
      - .offset:         24
        .size:           4
        .value_kind:     by_value
      - .offset:         28
        .size:           4
        .value_kind:     by_value
      - .address_space:  global
        .offset:         32
        .size:           8
        .value_kind:     global_buffer
      - .address_space:  global
        .offset:         40
        .size:           8
        .value_kind:     global_buffer
      - .actual_access:  write_only
        .address_space:  global
        .offset:         48
        .size:           8
        .value_kind:     global_buffer
      - .offset:         56
        .size:           8
        .value_kind:     by_value
      - .offset:         64
        .size:           4
        .value_kind:     by_value
      - .address_space:  global
        .offset:         72
        .size:           8
        .value_kind:     global_buffer
      - .offset:         80
        .size:           4
        .value_kind:     hidden_block_count_x
      - .offset:         84
        .size:           4
        .value_kind:     hidden_block_count_y
      - .offset:         88
        .size:           4
        .value_kind:     hidden_block_count_z
      - .offset:         92
        .size:           2
        .value_kind:     hidden_group_size_x
      - .offset:         94
        .size:           2
        .value_kind:     hidden_group_size_y
      - .offset:         96
        .size:           2
        .value_kind:     hidden_group_size_z
      - .offset:         98
        .size:           2
        .value_kind:     hidden_remainder_x
      - .offset:         100
        .size:           2
        .value_kind:     hidden_remainder_y
      - .offset:         102
        .size:           2
        .value_kind:     hidden_remainder_z
      - .offset:         120
        .size:           8
        .value_kind:     hidden_global_offset_x
      - .offset:         128
        .size:           8
        .value_kind:     hidden_global_offset_y
      - .offset:         136
        .size:           8
        .value_kind:     hidden_global_offset_z
      - .offset:         144
        .size:           2
        .value_kind:     hidden_grid_dims
    .group_segment_fixed_size: 0
    .kernarg_segment_align: 8
    .kernarg_segment_size: 336
    .language:       OpenCL C
    .language_version:
      - 2
      - 0
    .max_flat_workgroup_size: 256
    .name:           _ZN7rocprim17ROCPRIM_400000_NS6detail30init_device_scan_by_key_kernelINS1_19lookback_scan_stateINS0_5tupleIJxbEEELb0ELb0EEEN6thrust23THRUST_200600_302600_NS6detail15normal_iteratorINS8_10device_ptrIiEEEEjNS1_16block_id_wrapperIjLb1EEEEEvT_jjPNSG_10value_typeET0_PNSt15iterator_traitsISJ_E10value_typeEmT1_T2_
    .private_segment_fixed_size: 0
    .sgpr_count:     23
    .sgpr_spill_count: 0
    .symbol:         _ZN7rocprim17ROCPRIM_400000_NS6detail30init_device_scan_by_key_kernelINS1_19lookback_scan_stateINS0_5tupleIJxbEEELb0ELb0EEEN6thrust23THRUST_200600_302600_NS6detail15normal_iteratorINS8_10device_ptrIiEEEEjNS1_16block_id_wrapperIjLb1EEEEEvT_jjPNSG_10value_typeET0_PNSt15iterator_traitsISJ_E10value_typeEmT1_T2_.kd
    .uniform_work_group_size: 1
    .uses_dynamic_stack: false
    .vgpr_count:     7
    .vgpr_spill_count: 0
    .wavefront_size: 32
  - .args:
      - .offset:         0
        .size:           136
        .value_kind:     by_value
    .group_segment_fixed_size: 10240
    .kernarg_segment_align: 8
    .kernarg_segment_size: 136
    .language:       OpenCL C
    .language_version:
      - 2
      - 0
    .max_flat_workgroup_size: 128
    .name:           _ZN7rocprim17ROCPRIM_400000_NS6detail17trampoline_kernelINS0_14default_configENS1_27scan_by_key_config_selectorIixEEZZNS1_16scan_by_key_implILNS1_25lookback_scan_determinismE0ELb0ES3_N6thrust23THRUST_200600_302600_NS6detail15normal_iteratorINS9_10device_ptrIiEEEENSB_INSC_IxEEEESG_xNS9_4plusIvEENS9_8equal_toIvEExEE10hipError_tPvRmT2_T3_T4_T5_mT6_T7_P12ihipStream_tbENKUlT_T0_E_clISt17integral_constantIbLb0EES10_IbLb1EEEEDaSW_SX_EUlSW_E_NS1_11comp_targetILNS1_3genE0ELNS1_11target_archE4294967295ELNS1_3gpuE0ELNS1_3repE0EEENS1_30default_config_static_selectorELNS0_4arch9wavefront6targetE0EEEvT1_
    .private_segment_fixed_size: 0
    .sgpr_count:     48
    .sgpr_spill_count: 0
    .symbol:         _ZN7rocprim17ROCPRIM_400000_NS6detail17trampoline_kernelINS0_14default_configENS1_27scan_by_key_config_selectorIixEEZZNS1_16scan_by_key_implILNS1_25lookback_scan_determinismE0ELb0ES3_N6thrust23THRUST_200600_302600_NS6detail15normal_iteratorINS9_10device_ptrIiEEEENSB_INSC_IxEEEESG_xNS9_4plusIvEENS9_8equal_toIvEExEE10hipError_tPvRmT2_T3_T4_T5_mT6_T7_P12ihipStream_tbENKUlT_T0_E_clISt17integral_constantIbLb0EES10_IbLb1EEEEDaSW_SX_EUlSW_E_NS1_11comp_targetILNS1_3genE0ELNS1_11target_archE4294967295ELNS1_3gpuE0ELNS1_3repE0EEENS1_30default_config_static_selectorELNS0_4arch9wavefront6targetE0EEEvT1_.kd
    .uniform_work_group_size: 1
    .uses_dynamic_stack: false
    .vgpr_count:     73
    .vgpr_spill_count: 0
    .wavefront_size: 32
  - .args:
      - .offset:         0
        .size:           136
        .value_kind:     by_value
    .group_segment_fixed_size: 0
    .kernarg_segment_align: 8
    .kernarg_segment_size: 136
    .language:       OpenCL C
    .language_version:
      - 2
      - 0
    .max_flat_workgroup_size: 256
    .name:           _ZN7rocprim17ROCPRIM_400000_NS6detail17trampoline_kernelINS0_14default_configENS1_27scan_by_key_config_selectorIixEEZZNS1_16scan_by_key_implILNS1_25lookback_scan_determinismE0ELb0ES3_N6thrust23THRUST_200600_302600_NS6detail15normal_iteratorINS9_10device_ptrIiEEEENSB_INSC_IxEEEESG_xNS9_4plusIvEENS9_8equal_toIvEExEE10hipError_tPvRmT2_T3_T4_T5_mT6_T7_P12ihipStream_tbENKUlT_T0_E_clISt17integral_constantIbLb0EES10_IbLb1EEEEDaSW_SX_EUlSW_E_NS1_11comp_targetILNS1_3genE10ELNS1_11target_archE1201ELNS1_3gpuE5ELNS1_3repE0EEENS1_30default_config_static_selectorELNS0_4arch9wavefront6targetE0EEEvT1_
    .private_segment_fixed_size: 0
    .sgpr_count:     0
    .sgpr_spill_count: 0
    .symbol:         _ZN7rocprim17ROCPRIM_400000_NS6detail17trampoline_kernelINS0_14default_configENS1_27scan_by_key_config_selectorIixEEZZNS1_16scan_by_key_implILNS1_25lookback_scan_determinismE0ELb0ES3_N6thrust23THRUST_200600_302600_NS6detail15normal_iteratorINS9_10device_ptrIiEEEENSB_INSC_IxEEEESG_xNS9_4plusIvEENS9_8equal_toIvEExEE10hipError_tPvRmT2_T3_T4_T5_mT6_T7_P12ihipStream_tbENKUlT_T0_E_clISt17integral_constantIbLb0EES10_IbLb1EEEEDaSW_SX_EUlSW_E_NS1_11comp_targetILNS1_3genE10ELNS1_11target_archE1201ELNS1_3gpuE5ELNS1_3repE0EEENS1_30default_config_static_selectorELNS0_4arch9wavefront6targetE0EEEvT1_.kd
    .uniform_work_group_size: 1
    .uses_dynamic_stack: false
    .vgpr_count:     0
    .vgpr_spill_count: 0
    .wavefront_size: 32
  - .args:
      - .offset:         0
        .size:           136
        .value_kind:     by_value
    .group_segment_fixed_size: 0
    .kernarg_segment_align: 8
    .kernarg_segment_size: 136
    .language:       OpenCL C
    .language_version:
      - 2
      - 0
    .max_flat_workgroup_size: 256
    .name:           _ZN7rocprim17ROCPRIM_400000_NS6detail17trampoline_kernelINS0_14default_configENS1_27scan_by_key_config_selectorIixEEZZNS1_16scan_by_key_implILNS1_25lookback_scan_determinismE0ELb0ES3_N6thrust23THRUST_200600_302600_NS6detail15normal_iteratorINS9_10device_ptrIiEEEENSB_INSC_IxEEEESG_xNS9_4plusIvEENS9_8equal_toIvEExEE10hipError_tPvRmT2_T3_T4_T5_mT6_T7_P12ihipStream_tbENKUlT_T0_E_clISt17integral_constantIbLb0EES10_IbLb1EEEEDaSW_SX_EUlSW_E_NS1_11comp_targetILNS1_3genE5ELNS1_11target_archE942ELNS1_3gpuE9ELNS1_3repE0EEENS1_30default_config_static_selectorELNS0_4arch9wavefront6targetE0EEEvT1_
    .private_segment_fixed_size: 0
    .sgpr_count:     0
    .sgpr_spill_count: 0
    .symbol:         _ZN7rocprim17ROCPRIM_400000_NS6detail17trampoline_kernelINS0_14default_configENS1_27scan_by_key_config_selectorIixEEZZNS1_16scan_by_key_implILNS1_25lookback_scan_determinismE0ELb0ES3_N6thrust23THRUST_200600_302600_NS6detail15normal_iteratorINS9_10device_ptrIiEEEENSB_INSC_IxEEEESG_xNS9_4plusIvEENS9_8equal_toIvEExEE10hipError_tPvRmT2_T3_T4_T5_mT6_T7_P12ihipStream_tbENKUlT_T0_E_clISt17integral_constantIbLb0EES10_IbLb1EEEEDaSW_SX_EUlSW_E_NS1_11comp_targetILNS1_3genE5ELNS1_11target_archE942ELNS1_3gpuE9ELNS1_3repE0EEENS1_30default_config_static_selectorELNS0_4arch9wavefront6targetE0EEEvT1_.kd
    .uniform_work_group_size: 1
    .uses_dynamic_stack: false
    .vgpr_count:     0
    .vgpr_spill_count: 0
    .wavefront_size: 32
  - .args:
      - .offset:         0
        .size:           136
        .value_kind:     by_value
    .group_segment_fixed_size: 0
    .kernarg_segment_align: 8
    .kernarg_segment_size: 136
    .language:       OpenCL C
    .language_version:
      - 2
      - 0
    .max_flat_workgroup_size: 64
    .name:           _ZN7rocprim17ROCPRIM_400000_NS6detail17trampoline_kernelINS0_14default_configENS1_27scan_by_key_config_selectorIixEEZZNS1_16scan_by_key_implILNS1_25lookback_scan_determinismE0ELb0ES3_N6thrust23THRUST_200600_302600_NS6detail15normal_iteratorINS9_10device_ptrIiEEEENSB_INSC_IxEEEESG_xNS9_4plusIvEENS9_8equal_toIvEExEE10hipError_tPvRmT2_T3_T4_T5_mT6_T7_P12ihipStream_tbENKUlT_T0_E_clISt17integral_constantIbLb0EES10_IbLb1EEEEDaSW_SX_EUlSW_E_NS1_11comp_targetILNS1_3genE4ELNS1_11target_archE910ELNS1_3gpuE8ELNS1_3repE0EEENS1_30default_config_static_selectorELNS0_4arch9wavefront6targetE0EEEvT1_
    .private_segment_fixed_size: 0
    .sgpr_count:     0
    .sgpr_spill_count: 0
    .symbol:         _ZN7rocprim17ROCPRIM_400000_NS6detail17trampoline_kernelINS0_14default_configENS1_27scan_by_key_config_selectorIixEEZZNS1_16scan_by_key_implILNS1_25lookback_scan_determinismE0ELb0ES3_N6thrust23THRUST_200600_302600_NS6detail15normal_iteratorINS9_10device_ptrIiEEEENSB_INSC_IxEEEESG_xNS9_4plusIvEENS9_8equal_toIvEExEE10hipError_tPvRmT2_T3_T4_T5_mT6_T7_P12ihipStream_tbENKUlT_T0_E_clISt17integral_constantIbLb0EES10_IbLb1EEEEDaSW_SX_EUlSW_E_NS1_11comp_targetILNS1_3genE4ELNS1_11target_archE910ELNS1_3gpuE8ELNS1_3repE0EEENS1_30default_config_static_selectorELNS0_4arch9wavefront6targetE0EEEvT1_.kd
    .uniform_work_group_size: 1
    .uses_dynamic_stack: false
    .vgpr_count:     0
    .vgpr_spill_count: 0
    .wavefront_size: 32
  - .args:
      - .offset:         0
        .size:           136
        .value_kind:     by_value
    .group_segment_fixed_size: 0
    .kernarg_segment_align: 8
    .kernarg_segment_size: 136
    .language:       OpenCL C
    .language_version:
      - 2
      - 0
    .max_flat_workgroup_size: 128
    .name:           _ZN7rocprim17ROCPRIM_400000_NS6detail17trampoline_kernelINS0_14default_configENS1_27scan_by_key_config_selectorIixEEZZNS1_16scan_by_key_implILNS1_25lookback_scan_determinismE0ELb0ES3_N6thrust23THRUST_200600_302600_NS6detail15normal_iteratorINS9_10device_ptrIiEEEENSB_INSC_IxEEEESG_xNS9_4plusIvEENS9_8equal_toIvEExEE10hipError_tPvRmT2_T3_T4_T5_mT6_T7_P12ihipStream_tbENKUlT_T0_E_clISt17integral_constantIbLb0EES10_IbLb1EEEEDaSW_SX_EUlSW_E_NS1_11comp_targetILNS1_3genE3ELNS1_11target_archE908ELNS1_3gpuE7ELNS1_3repE0EEENS1_30default_config_static_selectorELNS0_4arch9wavefront6targetE0EEEvT1_
    .private_segment_fixed_size: 0
    .sgpr_count:     0
    .sgpr_spill_count: 0
    .symbol:         _ZN7rocprim17ROCPRIM_400000_NS6detail17trampoline_kernelINS0_14default_configENS1_27scan_by_key_config_selectorIixEEZZNS1_16scan_by_key_implILNS1_25lookback_scan_determinismE0ELb0ES3_N6thrust23THRUST_200600_302600_NS6detail15normal_iteratorINS9_10device_ptrIiEEEENSB_INSC_IxEEEESG_xNS9_4plusIvEENS9_8equal_toIvEExEE10hipError_tPvRmT2_T3_T4_T5_mT6_T7_P12ihipStream_tbENKUlT_T0_E_clISt17integral_constantIbLb0EES10_IbLb1EEEEDaSW_SX_EUlSW_E_NS1_11comp_targetILNS1_3genE3ELNS1_11target_archE908ELNS1_3gpuE7ELNS1_3repE0EEENS1_30default_config_static_selectorELNS0_4arch9wavefront6targetE0EEEvT1_.kd
    .uniform_work_group_size: 1
    .uses_dynamic_stack: false
    .vgpr_count:     0
    .vgpr_spill_count: 0
    .wavefront_size: 32
  - .args:
      - .offset:         0
        .size:           136
        .value_kind:     by_value
    .group_segment_fixed_size: 0
    .kernarg_segment_align: 8
    .kernarg_segment_size: 136
    .language:       OpenCL C
    .language_version:
      - 2
      - 0
    .max_flat_workgroup_size: 64
    .name:           _ZN7rocprim17ROCPRIM_400000_NS6detail17trampoline_kernelINS0_14default_configENS1_27scan_by_key_config_selectorIixEEZZNS1_16scan_by_key_implILNS1_25lookback_scan_determinismE0ELb0ES3_N6thrust23THRUST_200600_302600_NS6detail15normal_iteratorINS9_10device_ptrIiEEEENSB_INSC_IxEEEESG_xNS9_4plusIvEENS9_8equal_toIvEExEE10hipError_tPvRmT2_T3_T4_T5_mT6_T7_P12ihipStream_tbENKUlT_T0_E_clISt17integral_constantIbLb0EES10_IbLb1EEEEDaSW_SX_EUlSW_E_NS1_11comp_targetILNS1_3genE2ELNS1_11target_archE906ELNS1_3gpuE6ELNS1_3repE0EEENS1_30default_config_static_selectorELNS0_4arch9wavefront6targetE0EEEvT1_
    .private_segment_fixed_size: 0
    .sgpr_count:     0
    .sgpr_spill_count: 0
    .symbol:         _ZN7rocprim17ROCPRIM_400000_NS6detail17trampoline_kernelINS0_14default_configENS1_27scan_by_key_config_selectorIixEEZZNS1_16scan_by_key_implILNS1_25lookback_scan_determinismE0ELb0ES3_N6thrust23THRUST_200600_302600_NS6detail15normal_iteratorINS9_10device_ptrIiEEEENSB_INSC_IxEEEESG_xNS9_4plusIvEENS9_8equal_toIvEExEE10hipError_tPvRmT2_T3_T4_T5_mT6_T7_P12ihipStream_tbENKUlT_T0_E_clISt17integral_constantIbLb0EES10_IbLb1EEEEDaSW_SX_EUlSW_E_NS1_11comp_targetILNS1_3genE2ELNS1_11target_archE906ELNS1_3gpuE6ELNS1_3repE0EEENS1_30default_config_static_selectorELNS0_4arch9wavefront6targetE0EEEvT1_.kd
    .uniform_work_group_size: 1
    .uses_dynamic_stack: false
    .vgpr_count:     0
    .vgpr_spill_count: 0
    .wavefront_size: 32
  - .args:
      - .offset:         0
        .size:           136
        .value_kind:     by_value
    .group_segment_fixed_size: 0
    .kernarg_segment_align: 8
    .kernarg_segment_size: 136
    .language:       OpenCL C
    .language_version:
      - 2
      - 0
    .max_flat_workgroup_size: 256
    .name:           _ZN7rocprim17ROCPRIM_400000_NS6detail17trampoline_kernelINS0_14default_configENS1_27scan_by_key_config_selectorIixEEZZNS1_16scan_by_key_implILNS1_25lookback_scan_determinismE0ELb0ES3_N6thrust23THRUST_200600_302600_NS6detail15normal_iteratorINS9_10device_ptrIiEEEENSB_INSC_IxEEEESG_xNS9_4plusIvEENS9_8equal_toIvEExEE10hipError_tPvRmT2_T3_T4_T5_mT6_T7_P12ihipStream_tbENKUlT_T0_E_clISt17integral_constantIbLb0EES10_IbLb1EEEEDaSW_SX_EUlSW_E_NS1_11comp_targetILNS1_3genE10ELNS1_11target_archE1200ELNS1_3gpuE4ELNS1_3repE0EEENS1_30default_config_static_selectorELNS0_4arch9wavefront6targetE0EEEvT1_
    .private_segment_fixed_size: 0
    .sgpr_count:     0
    .sgpr_spill_count: 0
    .symbol:         _ZN7rocprim17ROCPRIM_400000_NS6detail17trampoline_kernelINS0_14default_configENS1_27scan_by_key_config_selectorIixEEZZNS1_16scan_by_key_implILNS1_25lookback_scan_determinismE0ELb0ES3_N6thrust23THRUST_200600_302600_NS6detail15normal_iteratorINS9_10device_ptrIiEEEENSB_INSC_IxEEEESG_xNS9_4plusIvEENS9_8equal_toIvEExEE10hipError_tPvRmT2_T3_T4_T5_mT6_T7_P12ihipStream_tbENKUlT_T0_E_clISt17integral_constantIbLb0EES10_IbLb1EEEEDaSW_SX_EUlSW_E_NS1_11comp_targetILNS1_3genE10ELNS1_11target_archE1200ELNS1_3gpuE4ELNS1_3repE0EEENS1_30default_config_static_selectorELNS0_4arch9wavefront6targetE0EEEvT1_.kd
    .uniform_work_group_size: 1
    .uses_dynamic_stack: false
    .vgpr_count:     0
    .vgpr_spill_count: 0
    .wavefront_size: 32
  - .args:
      - .offset:         0
        .size:           136
        .value_kind:     by_value
    .group_segment_fixed_size: 0
    .kernarg_segment_align: 8
    .kernarg_segment_size: 136
    .language:       OpenCL C
    .language_version:
      - 2
      - 0
    .max_flat_workgroup_size: 256
    .name:           _ZN7rocprim17ROCPRIM_400000_NS6detail17trampoline_kernelINS0_14default_configENS1_27scan_by_key_config_selectorIixEEZZNS1_16scan_by_key_implILNS1_25lookback_scan_determinismE0ELb0ES3_N6thrust23THRUST_200600_302600_NS6detail15normal_iteratorINS9_10device_ptrIiEEEENSB_INSC_IxEEEESG_xNS9_4plusIvEENS9_8equal_toIvEExEE10hipError_tPvRmT2_T3_T4_T5_mT6_T7_P12ihipStream_tbENKUlT_T0_E_clISt17integral_constantIbLb0EES10_IbLb1EEEEDaSW_SX_EUlSW_E_NS1_11comp_targetILNS1_3genE9ELNS1_11target_archE1100ELNS1_3gpuE3ELNS1_3repE0EEENS1_30default_config_static_selectorELNS0_4arch9wavefront6targetE0EEEvT1_
    .private_segment_fixed_size: 0
    .sgpr_count:     0
    .sgpr_spill_count: 0
    .symbol:         _ZN7rocprim17ROCPRIM_400000_NS6detail17trampoline_kernelINS0_14default_configENS1_27scan_by_key_config_selectorIixEEZZNS1_16scan_by_key_implILNS1_25lookback_scan_determinismE0ELb0ES3_N6thrust23THRUST_200600_302600_NS6detail15normal_iteratorINS9_10device_ptrIiEEEENSB_INSC_IxEEEESG_xNS9_4plusIvEENS9_8equal_toIvEExEE10hipError_tPvRmT2_T3_T4_T5_mT6_T7_P12ihipStream_tbENKUlT_T0_E_clISt17integral_constantIbLb0EES10_IbLb1EEEEDaSW_SX_EUlSW_E_NS1_11comp_targetILNS1_3genE9ELNS1_11target_archE1100ELNS1_3gpuE3ELNS1_3repE0EEENS1_30default_config_static_selectorELNS0_4arch9wavefront6targetE0EEEvT1_.kd
    .uniform_work_group_size: 1
    .uses_dynamic_stack: false
    .vgpr_count:     0
    .vgpr_spill_count: 0
    .wavefront_size: 32
  - .args:
      - .offset:         0
        .size:           136
        .value_kind:     by_value
    .group_segment_fixed_size: 0
    .kernarg_segment_align: 8
    .kernarg_segment_size: 136
    .language:       OpenCL C
    .language_version:
      - 2
      - 0
    .max_flat_workgroup_size: 256
    .name:           _ZN7rocprim17ROCPRIM_400000_NS6detail17trampoline_kernelINS0_14default_configENS1_27scan_by_key_config_selectorIixEEZZNS1_16scan_by_key_implILNS1_25lookback_scan_determinismE0ELb0ES3_N6thrust23THRUST_200600_302600_NS6detail15normal_iteratorINS9_10device_ptrIiEEEENSB_INSC_IxEEEESG_xNS9_4plusIvEENS9_8equal_toIvEExEE10hipError_tPvRmT2_T3_T4_T5_mT6_T7_P12ihipStream_tbENKUlT_T0_E_clISt17integral_constantIbLb0EES10_IbLb1EEEEDaSW_SX_EUlSW_E_NS1_11comp_targetILNS1_3genE8ELNS1_11target_archE1030ELNS1_3gpuE2ELNS1_3repE0EEENS1_30default_config_static_selectorELNS0_4arch9wavefront6targetE0EEEvT1_
    .private_segment_fixed_size: 0
    .sgpr_count:     0
    .sgpr_spill_count: 0
    .symbol:         _ZN7rocprim17ROCPRIM_400000_NS6detail17trampoline_kernelINS0_14default_configENS1_27scan_by_key_config_selectorIixEEZZNS1_16scan_by_key_implILNS1_25lookback_scan_determinismE0ELb0ES3_N6thrust23THRUST_200600_302600_NS6detail15normal_iteratorINS9_10device_ptrIiEEEENSB_INSC_IxEEEESG_xNS9_4plusIvEENS9_8equal_toIvEExEE10hipError_tPvRmT2_T3_T4_T5_mT6_T7_P12ihipStream_tbENKUlT_T0_E_clISt17integral_constantIbLb0EES10_IbLb1EEEEDaSW_SX_EUlSW_E_NS1_11comp_targetILNS1_3genE8ELNS1_11target_archE1030ELNS1_3gpuE2ELNS1_3repE0EEENS1_30default_config_static_selectorELNS0_4arch9wavefront6targetE0EEEvT1_.kd
    .uniform_work_group_size: 1
    .uses_dynamic_stack: false
    .vgpr_count:     0
    .vgpr_spill_count: 0
    .wavefront_size: 32
  - .args:
      - .offset:         0
        .size:           24
        .value_kind:     by_value
      - .offset:         24
        .size:           8
        .value_kind:     by_value
      - .offset:         32
        .size:           8
        .value_kind:     by_value
    .group_segment_fixed_size: 0
    .kernarg_segment_align: 8
    .kernarg_segment_size: 40
    .language:       OpenCL C
    .language_version:
      - 2
      - 0
    .max_flat_workgroup_size: 256
    .name:           _ZN6thrust23THRUST_200600_302600_NS11hip_rocprim14__parallel_for6kernelILj256ENS1_11__transform17unary_transform_fINS0_7pointerIiNS1_3tagENS0_11use_defaultES8_EENS0_10device_ptrIsEENS4_14no_stencil_tagENS0_8identityIiEENS4_21always_true_predicateEEElLj1EEEvT0_T1_SI_
    .private_segment_fixed_size: 0
    .sgpr_count:     11
    .sgpr_spill_count: 0
    .symbol:         _ZN6thrust23THRUST_200600_302600_NS11hip_rocprim14__parallel_for6kernelILj256ENS1_11__transform17unary_transform_fINS0_7pointerIiNS1_3tagENS0_11use_defaultES8_EENS0_10device_ptrIsEENS4_14no_stencil_tagENS0_8identityIiEENS4_21always_true_predicateEEElLj1EEEvT0_T1_SI_.kd
    .uniform_work_group_size: 1
    .uses_dynamic_stack: false
    .vgpr_count:     6
    .vgpr_spill_count: 0
    .wavefront_size: 32
  - .args:
      - .address_space:  global
        .offset:         0
        .size:           8
        .value_kind:     global_buffer
      - .offset:         8
        .size:           4
        .value_kind:     by_value
      - .offset:         12
        .size:           4
        .value_kind:     by_value
      - .address_space:  global
        .offset:         16
        .size:           8
        .value_kind:     global_buffer
      - .address_space:  global
        .offset:         24
        .size:           8
        .value_kind:     global_buffer
      - .actual_access:  write_only
        .address_space:  global
        .offset:         32
        .size:           8
        .value_kind:     global_buffer
      - .offset:         40
        .size:           8
        .value_kind:     by_value
      - .offset:         48
        .size:           4
        .value_kind:     by_value
      - .offset:         52
        .size:           1
        .value_kind:     by_value
      - .offset:         56
        .size:           4
        .value_kind:     hidden_block_count_x
      - .offset:         60
        .size:           4
        .value_kind:     hidden_block_count_y
      - .offset:         64
        .size:           4
        .value_kind:     hidden_block_count_z
      - .offset:         68
        .size:           2
        .value_kind:     hidden_group_size_x
      - .offset:         70
        .size:           2
        .value_kind:     hidden_group_size_y
      - .offset:         72
        .size:           2
        .value_kind:     hidden_group_size_z
      - .offset:         74
        .size:           2
        .value_kind:     hidden_remainder_x
      - .offset:         76
        .size:           2
        .value_kind:     hidden_remainder_y
      - .offset:         78
        .size:           2
        .value_kind:     hidden_remainder_z
      - .offset:         96
        .size:           8
        .value_kind:     hidden_global_offset_x
      - .offset:         104
        .size:           8
        .value_kind:     hidden_global_offset_y
      - .offset:         112
        .size:           8
        .value_kind:     hidden_global_offset_z
      - .offset:         120
        .size:           2
        .value_kind:     hidden_grid_dims
    .group_segment_fixed_size: 0
    .kernarg_segment_align: 8
    .kernarg_segment_size: 312
    .language:       OpenCL C
    .language_version:
      - 2
      - 0
    .max_flat_workgroup_size: 256
    .name:           _ZN7rocprim17ROCPRIM_400000_NS6detail30init_device_scan_by_key_kernelINS1_19lookback_scan_stateINS0_5tupleIJsbEEELb0ELb1EEEN6thrust23THRUST_200600_302600_NS6detail15normal_iteratorINS8_10device_ptrIiEEEEjNS1_16block_id_wrapperIjLb0EEEEEvT_jjPNSG_10value_typeET0_PNSt15iterator_traitsISJ_E10value_typeEmT1_T2_
    .private_segment_fixed_size: 0
    .sgpr_count:     18
    .sgpr_spill_count: 0
    .symbol:         _ZN7rocprim17ROCPRIM_400000_NS6detail30init_device_scan_by_key_kernelINS1_19lookback_scan_stateINS0_5tupleIJsbEEELb0ELb1EEEN6thrust23THRUST_200600_302600_NS6detail15normal_iteratorINS8_10device_ptrIiEEEEjNS1_16block_id_wrapperIjLb0EEEEEvT_jjPNSG_10value_typeET0_PNSt15iterator_traitsISJ_E10value_typeEmT1_T2_.kd
    .uniform_work_group_size: 1
    .uses_dynamic_stack: false
    .vgpr_count:     7
    .vgpr_spill_count: 0
    .wavefront_size: 32
  - .args:
      - .offset:         0
        .size:           112
        .value_kind:     by_value
    .group_segment_fixed_size: 16384
    .kernarg_segment_align: 8
    .kernarg_segment_size: 112
    .language:       OpenCL C
    .language_version:
      - 2
      - 0
    .max_flat_workgroup_size: 256
    .name:           _ZN7rocprim17ROCPRIM_400000_NS6detail17trampoline_kernelINS0_14default_configENS1_27scan_by_key_config_selectorIisEEZZNS1_16scan_by_key_implILNS1_25lookback_scan_determinismE0ELb0ES3_N6thrust23THRUST_200600_302600_NS6detail15normal_iteratorINS9_10device_ptrIiEEEENSB_INSC_IsEEEESG_sNS9_4plusIvEENS9_8equal_toIvEEsEE10hipError_tPvRmT2_T3_T4_T5_mT6_T7_P12ihipStream_tbENKUlT_T0_E_clISt17integral_constantIbLb0EES11_EEDaSW_SX_EUlSW_E_NS1_11comp_targetILNS1_3genE0ELNS1_11target_archE4294967295ELNS1_3gpuE0ELNS1_3repE0EEENS1_30default_config_static_selectorELNS0_4arch9wavefront6targetE0EEEvT1_
    .private_segment_fixed_size: 0
    .sgpr_count:     46
    .sgpr_spill_count: 0
    .symbol:         _ZN7rocprim17ROCPRIM_400000_NS6detail17trampoline_kernelINS0_14default_configENS1_27scan_by_key_config_selectorIisEEZZNS1_16scan_by_key_implILNS1_25lookback_scan_determinismE0ELb0ES3_N6thrust23THRUST_200600_302600_NS6detail15normal_iteratorINS9_10device_ptrIiEEEENSB_INSC_IsEEEESG_sNS9_4plusIvEENS9_8equal_toIvEEsEE10hipError_tPvRmT2_T3_T4_T5_mT6_T7_P12ihipStream_tbENKUlT_T0_E_clISt17integral_constantIbLb0EES11_EEDaSW_SX_EUlSW_E_NS1_11comp_targetILNS1_3genE0ELNS1_11target_archE4294967295ELNS1_3gpuE0ELNS1_3repE0EEENS1_30default_config_static_selectorELNS0_4arch9wavefront6targetE0EEEvT1_.kd
    .uniform_work_group_size: 1
    .uses_dynamic_stack: false
    .vgpr_count:     45
    .vgpr_spill_count: 0
    .wavefront_size: 32
  - .args:
      - .offset:         0
        .size:           112
        .value_kind:     by_value
    .group_segment_fixed_size: 0
    .kernarg_segment_align: 8
    .kernarg_segment_size: 112
    .language:       OpenCL C
    .language_version:
      - 2
      - 0
    .max_flat_workgroup_size: 256
    .name:           _ZN7rocprim17ROCPRIM_400000_NS6detail17trampoline_kernelINS0_14default_configENS1_27scan_by_key_config_selectorIisEEZZNS1_16scan_by_key_implILNS1_25lookback_scan_determinismE0ELb0ES3_N6thrust23THRUST_200600_302600_NS6detail15normal_iteratorINS9_10device_ptrIiEEEENSB_INSC_IsEEEESG_sNS9_4plusIvEENS9_8equal_toIvEEsEE10hipError_tPvRmT2_T3_T4_T5_mT6_T7_P12ihipStream_tbENKUlT_T0_E_clISt17integral_constantIbLb0EES11_EEDaSW_SX_EUlSW_E_NS1_11comp_targetILNS1_3genE10ELNS1_11target_archE1201ELNS1_3gpuE5ELNS1_3repE0EEENS1_30default_config_static_selectorELNS0_4arch9wavefront6targetE0EEEvT1_
    .private_segment_fixed_size: 0
    .sgpr_count:     0
    .sgpr_spill_count: 0
    .symbol:         _ZN7rocprim17ROCPRIM_400000_NS6detail17trampoline_kernelINS0_14default_configENS1_27scan_by_key_config_selectorIisEEZZNS1_16scan_by_key_implILNS1_25lookback_scan_determinismE0ELb0ES3_N6thrust23THRUST_200600_302600_NS6detail15normal_iteratorINS9_10device_ptrIiEEEENSB_INSC_IsEEEESG_sNS9_4plusIvEENS9_8equal_toIvEEsEE10hipError_tPvRmT2_T3_T4_T5_mT6_T7_P12ihipStream_tbENKUlT_T0_E_clISt17integral_constantIbLb0EES11_EEDaSW_SX_EUlSW_E_NS1_11comp_targetILNS1_3genE10ELNS1_11target_archE1201ELNS1_3gpuE5ELNS1_3repE0EEENS1_30default_config_static_selectorELNS0_4arch9wavefront6targetE0EEEvT1_.kd
    .uniform_work_group_size: 1
    .uses_dynamic_stack: false
    .vgpr_count:     0
    .vgpr_spill_count: 0
    .wavefront_size: 32
  - .args:
      - .offset:         0
        .size:           112
        .value_kind:     by_value
    .group_segment_fixed_size: 0
    .kernarg_segment_align: 8
    .kernarg_segment_size: 112
    .language:       OpenCL C
    .language_version:
      - 2
      - 0
    .max_flat_workgroup_size: 256
    .name:           _ZN7rocprim17ROCPRIM_400000_NS6detail17trampoline_kernelINS0_14default_configENS1_27scan_by_key_config_selectorIisEEZZNS1_16scan_by_key_implILNS1_25lookback_scan_determinismE0ELb0ES3_N6thrust23THRUST_200600_302600_NS6detail15normal_iteratorINS9_10device_ptrIiEEEENSB_INSC_IsEEEESG_sNS9_4plusIvEENS9_8equal_toIvEEsEE10hipError_tPvRmT2_T3_T4_T5_mT6_T7_P12ihipStream_tbENKUlT_T0_E_clISt17integral_constantIbLb0EES11_EEDaSW_SX_EUlSW_E_NS1_11comp_targetILNS1_3genE5ELNS1_11target_archE942ELNS1_3gpuE9ELNS1_3repE0EEENS1_30default_config_static_selectorELNS0_4arch9wavefront6targetE0EEEvT1_
    .private_segment_fixed_size: 0
    .sgpr_count:     0
    .sgpr_spill_count: 0
    .symbol:         _ZN7rocprim17ROCPRIM_400000_NS6detail17trampoline_kernelINS0_14default_configENS1_27scan_by_key_config_selectorIisEEZZNS1_16scan_by_key_implILNS1_25lookback_scan_determinismE0ELb0ES3_N6thrust23THRUST_200600_302600_NS6detail15normal_iteratorINS9_10device_ptrIiEEEENSB_INSC_IsEEEESG_sNS9_4plusIvEENS9_8equal_toIvEEsEE10hipError_tPvRmT2_T3_T4_T5_mT6_T7_P12ihipStream_tbENKUlT_T0_E_clISt17integral_constantIbLb0EES11_EEDaSW_SX_EUlSW_E_NS1_11comp_targetILNS1_3genE5ELNS1_11target_archE942ELNS1_3gpuE9ELNS1_3repE0EEENS1_30default_config_static_selectorELNS0_4arch9wavefront6targetE0EEEvT1_.kd
    .uniform_work_group_size: 1
    .uses_dynamic_stack: false
    .vgpr_count:     0
    .vgpr_spill_count: 0
    .wavefront_size: 32
  - .args:
      - .offset:         0
        .size:           112
        .value_kind:     by_value
    .group_segment_fixed_size: 0
    .kernarg_segment_align: 8
    .kernarg_segment_size: 112
    .language:       OpenCL C
    .language_version:
      - 2
      - 0
    .max_flat_workgroup_size: 64
    .name:           _ZN7rocprim17ROCPRIM_400000_NS6detail17trampoline_kernelINS0_14default_configENS1_27scan_by_key_config_selectorIisEEZZNS1_16scan_by_key_implILNS1_25lookback_scan_determinismE0ELb0ES3_N6thrust23THRUST_200600_302600_NS6detail15normal_iteratorINS9_10device_ptrIiEEEENSB_INSC_IsEEEESG_sNS9_4plusIvEENS9_8equal_toIvEEsEE10hipError_tPvRmT2_T3_T4_T5_mT6_T7_P12ihipStream_tbENKUlT_T0_E_clISt17integral_constantIbLb0EES11_EEDaSW_SX_EUlSW_E_NS1_11comp_targetILNS1_3genE4ELNS1_11target_archE910ELNS1_3gpuE8ELNS1_3repE0EEENS1_30default_config_static_selectorELNS0_4arch9wavefront6targetE0EEEvT1_
    .private_segment_fixed_size: 0
    .sgpr_count:     0
    .sgpr_spill_count: 0
    .symbol:         _ZN7rocprim17ROCPRIM_400000_NS6detail17trampoline_kernelINS0_14default_configENS1_27scan_by_key_config_selectorIisEEZZNS1_16scan_by_key_implILNS1_25lookback_scan_determinismE0ELb0ES3_N6thrust23THRUST_200600_302600_NS6detail15normal_iteratorINS9_10device_ptrIiEEEENSB_INSC_IsEEEESG_sNS9_4plusIvEENS9_8equal_toIvEEsEE10hipError_tPvRmT2_T3_T4_T5_mT6_T7_P12ihipStream_tbENKUlT_T0_E_clISt17integral_constantIbLb0EES11_EEDaSW_SX_EUlSW_E_NS1_11comp_targetILNS1_3genE4ELNS1_11target_archE910ELNS1_3gpuE8ELNS1_3repE0EEENS1_30default_config_static_selectorELNS0_4arch9wavefront6targetE0EEEvT1_.kd
    .uniform_work_group_size: 1
    .uses_dynamic_stack: false
    .vgpr_count:     0
    .vgpr_spill_count: 0
    .wavefront_size: 32
  - .args:
      - .offset:         0
        .size:           112
        .value_kind:     by_value
    .group_segment_fixed_size: 0
    .kernarg_segment_align: 8
    .kernarg_segment_size: 112
    .language:       OpenCL C
    .language_version:
      - 2
      - 0
    .max_flat_workgroup_size: 256
    .name:           _ZN7rocprim17ROCPRIM_400000_NS6detail17trampoline_kernelINS0_14default_configENS1_27scan_by_key_config_selectorIisEEZZNS1_16scan_by_key_implILNS1_25lookback_scan_determinismE0ELb0ES3_N6thrust23THRUST_200600_302600_NS6detail15normal_iteratorINS9_10device_ptrIiEEEENSB_INSC_IsEEEESG_sNS9_4plusIvEENS9_8equal_toIvEEsEE10hipError_tPvRmT2_T3_T4_T5_mT6_T7_P12ihipStream_tbENKUlT_T0_E_clISt17integral_constantIbLb0EES11_EEDaSW_SX_EUlSW_E_NS1_11comp_targetILNS1_3genE3ELNS1_11target_archE908ELNS1_3gpuE7ELNS1_3repE0EEENS1_30default_config_static_selectorELNS0_4arch9wavefront6targetE0EEEvT1_
    .private_segment_fixed_size: 0
    .sgpr_count:     0
    .sgpr_spill_count: 0
    .symbol:         _ZN7rocprim17ROCPRIM_400000_NS6detail17trampoline_kernelINS0_14default_configENS1_27scan_by_key_config_selectorIisEEZZNS1_16scan_by_key_implILNS1_25lookback_scan_determinismE0ELb0ES3_N6thrust23THRUST_200600_302600_NS6detail15normal_iteratorINS9_10device_ptrIiEEEENSB_INSC_IsEEEESG_sNS9_4plusIvEENS9_8equal_toIvEEsEE10hipError_tPvRmT2_T3_T4_T5_mT6_T7_P12ihipStream_tbENKUlT_T0_E_clISt17integral_constantIbLb0EES11_EEDaSW_SX_EUlSW_E_NS1_11comp_targetILNS1_3genE3ELNS1_11target_archE908ELNS1_3gpuE7ELNS1_3repE0EEENS1_30default_config_static_selectorELNS0_4arch9wavefront6targetE0EEEvT1_.kd
    .uniform_work_group_size: 1
    .uses_dynamic_stack: false
    .vgpr_count:     0
    .vgpr_spill_count: 0
    .wavefront_size: 32
  - .args:
      - .offset:         0
        .size:           112
        .value_kind:     by_value
    .group_segment_fixed_size: 0
    .kernarg_segment_align: 8
    .kernarg_segment_size: 112
    .language:       OpenCL C
    .language_version:
      - 2
      - 0
    .max_flat_workgroup_size: 64
    .name:           _ZN7rocprim17ROCPRIM_400000_NS6detail17trampoline_kernelINS0_14default_configENS1_27scan_by_key_config_selectorIisEEZZNS1_16scan_by_key_implILNS1_25lookback_scan_determinismE0ELb0ES3_N6thrust23THRUST_200600_302600_NS6detail15normal_iteratorINS9_10device_ptrIiEEEENSB_INSC_IsEEEESG_sNS9_4plusIvEENS9_8equal_toIvEEsEE10hipError_tPvRmT2_T3_T4_T5_mT6_T7_P12ihipStream_tbENKUlT_T0_E_clISt17integral_constantIbLb0EES11_EEDaSW_SX_EUlSW_E_NS1_11comp_targetILNS1_3genE2ELNS1_11target_archE906ELNS1_3gpuE6ELNS1_3repE0EEENS1_30default_config_static_selectorELNS0_4arch9wavefront6targetE0EEEvT1_
    .private_segment_fixed_size: 0
    .sgpr_count:     0
    .sgpr_spill_count: 0
    .symbol:         _ZN7rocprim17ROCPRIM_400000_NS6detail17trampoline_kernelINS0_14default_configENS1_27scan_by_key_config_selectorIisEEZZNS1_16scan_by_key_implILNS1_25lookback_scan_determinismE0ELb0ES3_N6thrust23THRUST_200600_302600_NS6detail15normal_iteratorINS9_10device_ptrIiEEEENSB_INSC_IsEEEESG_sNS9_4plusIvEENS9_8equal_toIvEEsEE10hipError_tPvRmT2_T3_T4_T5_mT6_T7_P12ihipStream_tbENKUlT_T0_E_clISt17integral_constantIbLb0EES11_EEDaSW_SX_EUlSW_E_NS1_11comp_targetILNS1_3genE2ELNS1_11target_archE906ELNS1_3gpuE6ELNS1_3repE0EEENS1_30default_config_static_selectorELNS0_4arch9wavefront6targetE0EEEvT1_.kd
    .uniform_work_group_size: 1
    .uses_dynamic_stack: false
    .vgpr_count:     0
    .vgpr_spill_count: 0
    .wavefront_size: 32
  - .args:
      - .offset:         0
        .size:           112
        .value_kind:     by_value
    .group_segment_fixed_size: 0
    .kernarg_segment_align: 8
    .kernarg_segment_size: 112
    .language:       OpenCL C
    .language_version:
      - 2
      - 0
    .max_flat_workgroup_size: 256
    .name:           _ZN7rocprim17ROCPRIM_400000_NS6detail17trampoline_kernelINS0_14default_configENS1_27scan_by_key_config_selectorIisEEZZNS1_16scan_by_key_implILNS1_25lookback_scan_determinismE0ELb0ES3_N6thrust23THRUST_200600_302600_NS6detail15normal_iteratorINS9_10device_ptrIiEEEENSB_INSC_IsEEEESG_sNS9_4plusIvEENS9_8equal_toIvEEsEE10hipError_tPvRmT2_T3_T4_T5_mT6_T7_P12ihipStream_tbENKUlT_T0_E_clISt17integral_constantIbLb0EES11_EEDaSW_SX_EUlSW_E_NS1_11comp_targetILNS1_3genE10ELNS1_11target_archE1200ELNS1_3gpuE4ELNS1_3repE0EEENS1_30default_config_static_selectorELNS0_4arch9wavefront6targetE0EEEvT1_
    .private_segment_fixed_size: 0
    .sgpr_count:     0
    .sgpr_spill_count: 0
    .symbol:         _ZN7rocprim17ROCPRIM_400000_NS6detail17trampoline_kernelINS0_14default_configENS1_27scan_by_key_config_selectorIisEEZZNS1_16scan_by_key_implILNS1_25lookback_scan_determinismE0ELb0ES3_N6thrust23THRUST_200600_302600_NS6detail15normal_iteratorINS9_10device_ptrIiEEEENSB_INSC_IsEEEESG_sNS9_4plusIvEENS9_8equal_toIvEEsEE10hipError_tPvRmT2_T3_T4_T5_mT6_T7_P12ihipStream_tbENKUlT_T0_E_clISt17integral_constantIbLb0EES11_EEDaSW_SX_EUlSW_E_NS1_11comp_targetILNS1_3genE10ELNS1_11target_archE1200ELNS1_3gpuE4ELNS1_3repE0EEENS1_30default_config_static_selectorELNS0_4arch9wavefront6targetE0EEEvT1_.kd
    .uniform_work_group_size: 1
    .uses_dynamic_stack: false
    .vgpr_count:     0
    .vgpr_spill_count: 0
    .wavefront_size: 32
  - .args:
      - .offset:         0
        .size:           112
        .value_kind:     by_value
    .group_segment_fixed_size: 0
    .kernarg_segment_align: 8
    .kernarg_segment_size: 112
    .language:       OpenCL C
    .language_version:
      - 2
      - 0
    .max_flat_workgroup_size: 64
    .name:           _ZN7rocprim17ROCPRIM_400000_NS6detail17trampoline_kernelINS0_14default_configENS1_27scan_by_key_config_selectorIisEEZZNS1_16scan_by_key_implILNS1_25lookback_scan_determinismE0ELb0ES3_N6thrust23THRUST_200600_302600_NS6detail15normal_iteratorINS9_10device_ptrIiEEEENSB_INSC_IsEEEESG_sNS9_4plusIvEENS9_8equal_toIvEEsEE10hipError_tPvRmT2_T3_T4_T5_mT6_T7_P12ihipStream_tbENKUlT_T0_E_clISt17integral_constantIbLb0EES11_EEDaSW_SX_EUlSW_E_NS1_11comp_targetILNS1_3genE9ELNS1_11target_archE1100ELNS1_3gpuE3ELNS1_3repE0EEENS1_30default_config_static_selectorELNS0_4arch9wavefront6targetE0EEEvT1_
    .private_segment_fixed_size: 0
    .sgpr_count:     0
    .sgpr_spill_count: 0
    .symbol:         _ZN7rocprim17ROCPRIM_400000_NS6detail17trampoline_kernelINS0_14default_configENS1_27scan_by_key_config_selectorIisEEZZNS1_16scan_by_key_implILNS1_25lookback_scan_determinismE0ELb0ES3_N6thrust23THRUST_200600_302600_NS6detail15normal_iteratorINS9_10device_ptrIiEEEENSB_INSC_IsEEEESG_sNS9_4plusIvEENS9_8equal_toIvEEsEE10hipError_tPvRmT2_T3_T4_T5_mT6_T7_P12ihipStream_tbENKUlT_T0_E_clISt17integral_constantIbLb0EES11_EEDaSW_SX_EUlSW_E_NS1_11comp_targetILNS1_3genE9ELNS1_11target_archE1100ELNS1_3gpuE3ELNS1_3repE0EEENS1_30default_config_static_selectorELNS0_4arch9wavefront6targetE0EEEvT1_.kd
    .uniform_work_group_size: 1
    .uses_dynamic_stack: false
    .vgpr_count:     0
    .vgpr_spill_count: 0
    .wavefront_size: 32
  - .args:
      - .offset:         0
        .size:           112
        .value_kind:     by_value
    .group_segment_fixed_size: 0
    .kernarg_segment_align: 8
    .kernarg_segment_size: 112
    .language:       OpenCL C
    .language_version:
      - 2
      - 0
    .max_flat_workgroup_size: 64
    .name:           _ZN7rocprim17ROCPRIM_400000_NS6detail17trampoline_kernelINS0_14default_configENS1_27scan_by_key_config_selectorIisEEZZNS1_16scan_by_key_implILNS1_25lookback_scan_determinismE0ELb0ES3_N6thrust23THRUST_200600_302600_NS6detail15normal_iteratorINS9_10device_ptrIiEEEENSB_INSC_IsEEEESG_sNS9_4plusIvEENS9_8equal_toIvEEsEE10hipError_tPvRmT2_T3_T4_T5_mT6_T7_P12ihipStream_tbENKUlT_T0_E_clISt17integral_constantIbLb0EES11_EEDaSW_SX_EUlSW_E_NS1_11comp_targetILNS1_3genE8ELNS1_11target_archE1030ELNS1_3gpuE2ELNS1_3repE0EEENS1_30default_config_static_selectorELNS0_4arch9wavefront6targetE0EEEvT1_
    .private_segment_fixed_size: 0
    .sgpr_count:     0
    .sgpr_spill_count: 0
    .symbol:         _ZN7rocprim17ROCPRIM_400000_NS6detail17trampoline_kernelINS0_14default_configENS1_27scan_by_key_config_selectorIisEEZZNS1_16scan_by_key_implILNS1_25lookback_scan_determinismE0ELb0ES3_N6thrust23THRUST_200600_302600_NS6detail15normal_iteratorINS9_10device_ptrIiEEEENSB_INSC_IsEEEESG_sNS9_4plusIvEENS9_8equal_toIvEEsEE10hipError_tPvRmT2_T3_T4_T5_mT6_T7_P12ihipStream_tbENKUlT_T0_E_clISt17integral_constantIbLb0EES11_EEDaSW_SX_EUlSW_E_NS1_11comp_targetILNS1_3genE8ELNS1_11target_archE1030ELNS1_3gpuE2ELNS1_3repE0EEENS1_30default_config_static_selectorELNS0_4arch9wavefront6targetE0EEEvT1_.kd
    .uniform_work_group_size: 1
    .uses_dynamic_stack: false
    .vgpr_count:     0
    .vgpr_spill_count: 0
    .wavefront_size: 32
  - .args:
      - .address_space:  global
        .offset:         0
        .size:           8
        .value_kind:     global_buffer
      - .offset:         8
        .size:           4
        .value_kind:     by_value
      - .offset:         12
        .size:           4
        .value_kind:     by_value
      - .address_space:  global
        .offset:         16
        .size:           8
        .value_kind:     global_buffer
      - .address_space:  global
        .offset:         24
        .size:           8
        .value_kind:     global_buffer
      - .actual_access:  write_only
        .address_space:  global
        .offset:         32
        .size:           8
        .value_kind:     global_buffer
      - .offset:         40
        .size:           8
        .value_kind:     by_value
      - .offset:         48
        .size:           4
        .value_kind:     by_value
      - .address_space:  global
        .offset:         56
        .size:           8
        .value_kind:     global_buffer
      - .offset:         64
        .size:           4
        .value_kind:     hidden_block_count_x
      - .offset:         68
        .size:           4
        .value_kind:     hidden_block_count_y
      - .offset:         72
        .size:           4
        .value_kind:     hidden_block_count_z
      - .offset:         76
        .size:           2
        .value_kind:     hidden_group_size_x
      - .offset:         78
        .size:           2
        .value_kind:     hidden_group_size_y
      - .offset:         80
        .size:           2
        .value_kind:     hidden_group_size_z
      - .offset:         82
        .size:           2
        .value_kind:     hidden_remainder_x
      - .offset:         84
        .size:           2
        .value_kind:     hidden_remainder_y
      - .offset:         86
        .size:           2
        .value_kind:     hidden_remainder_z
      - .offset:         104
        .size:           8
        .value_kind:     hidden_global_offset_x
      - .offset:         112
        .size:           8
        .value_kind:     hidden_global_offset_y
      - .offset:         120
        .size:           8
        .value_kind:     hidden_global_offset_z
      - .offset:         128
        .size:           2
        .value_kind:     hidden_grid_dims
    .group_segment_fixed_size: 0
    .kernarg_segment_align: 8
    .kernarg_segment_size: 320
    .language:       OpenCL C
    .language_version:
      - 2
      - 0
    .max_flat_workgroup_size: 256
    .name:           _ZN7rocprim17ROCPRIM_400000_NS6detail30init_device_scan_by_key_kernelINS1_19lookback_scan_stateINS0_5tupleIJsbEEELb1ELb1EEEN6thrust23THRUST_200600_302600_NS6detail15normal_iteratorINS8_10device_ptrIiEEEEjNS1_16block_id_wrapperIjLb1EEEEEvT_jjPNSG_10value_typeET0_PNSt15iterator_traitsISJ_E10value_typeEmT1_T2_
    .private_segment_fixed_size: 0
    .sgpr_count:     18
    .sgpr_spill_count: 0
    .symbol:         _ZN7rocprim17ROCPRIM_400000_NS6detail30init_device_scan_by_key_kernelINS1_19lookback_scan_stateINS0_5tupleIJsbEEELb1ELb1EEEN6thrust23THRUST_200600_302600_NS6detail15normal_iteratorINS8_10device_ptrIiEEEEjNS1_16block_id_wrapperIjLb1EEEEEvT_jjPNSG_10value_typeET0_PNSt15iterator_traitsISJ_E10value_typeEmT1_T2_.kd
    .uniform_work_group_size: 1
    .uses_dynamic_stack: false
    .vgpr_count:     7
    .vgpr_spill_count: 0
    .wavefront_size: 32
  - .args:
      - .offset:         0
        .size:           112
        .value_kind:     by_value
    .group_segment_fixed_size: 0
    .kernarg_segment_align: 8
    .kernarg_segment_size: 112
    .language:       OpenCL C
    .language_version:
      - 2
      - 0
    .max_flat_workgroup_size: 256
    .name:           _ZN7rocprim17ROCPRIM_400000_NS6detail17trampoline_kernelINS0_14default_configENS1_27scan_by_key_config_selectorIisEEZZNS1_16scan_by_key_implILNS1_25lookback_scan_determinismE0ELb0ES3_N6thrust23THRUST_200600_302600_NS6detail15normal_iteratorINS9_10device_ptrIiEEEENSB_INSC_IsEEEESG_sNS9_4plusIvEENS9_8equal_toIvEEsEE10hipError_tPvRmT2_T3_T4_T5_mT6_T7_P12ihipStream_tbENKUlT_T0_E_clISt17integral_constantIbLb1EES11_EEDaSW_SX_EUlSW_E_NS1_11comp_targetILNS1_3genE0ELNS1_11target_archE4294967295ELNS1_3gpuE0ELNS1_3repE0EEENS1_30default_config_static_selectorELNS0_4arch9wavefront6targetE0EEEvT1_
    .private_segment_fixed_size: 0
    .sgpr_count:     0
    .sgpr_spill_count: 0
    .symbol:         _ZN7rocprim17ROCPRIM_400000_NS6detail17trampoline_kernelINS0_14default_configENS1_27scan_by_key_config_selectorIisEEZZNS1_16scan_by_key_implILNS1_25lookback_scan_determinismE0ELb0ES3_N6thrust23THRUST_200600_302600_NS6detail15normal_iteratorINS9_10device_ptrIiEEEENSB_INSC_IsEEEESG_sNS9_4plusIvEENS9_8equal_toIvEEsEE10hipError_tPvRmT2_T3_T4_T5_mT6_T7_P12ihipStream_tbENKUlT_T0_E_clISt17integral_constantIbLb1EES11_EEDaSW_SX_EUlSW_E_NS1_11comp_targetILNS1_3genE0ELNS1_11target_archE4294967295ELNS1_3gpuE0ELNS1_3repE0EEENS1_30default_config_static_selectorELNS0_4arch9wavefront6targetE0EEEvT1_.kd
    .uniform_work_group_size: 1
    .uses_dynamic_stack: false
    .vgpr_count:     0
    .vgpr_spill_count: 0
    .wavefront_size: 32
  - .args:
      - .offset:         0
        .size:           112
        .value_kind:     by_value
    .group_segment_fixed_size: 0
    .kernarg_segment_align: 8
    .kernarg_segment_size: 112
    .language:       OpenCL C
    .language_version:
      - 2
      - 0
    .max_flat_workgroup_size: 256
    .name:           _ZN7rocprim17ROCPRIM_400000_NS6detail17trampoline_kernelINS0_14default_configENS1_27scan_by_key_config_selectorIisEEZZNS1_16scan_by_key_implILNS1_25lookback_scan_determinismE0ELb0ES3_N6thrust23THRUST_200600_302600_NS6detail15normal_iteratorINS9_10device_ptrIiEEEENSB_INSC_IsEEEESG_sNS9_4plusIvEENS9_8equal_toIvEEsEE10hipError_tPvRmT2_T3_T4_T5_mT6_T7_P12ihipStream_tbENKUlT_T0_E_clISt17integral_constantIbLb1EES11_EEDaSW_SX_EUlSW_E_NS1_11comp_targetILNS1_3genE10ELNS1_11target_archE1201ELNS1_3gpuE5ELNS1_3repE0EEENS1_30default_config_static_selectorELNS0_4arch9wavefront6targetE0EEEvT1_
    .private_segment_fixed_size: 0
    .sgpr_count:     0
    .sgpr_spill_count: 0
    .symbol:         _ZN7rocprim17ROCPRIM_400000_NS6detail17trampoline_kernelINS0_14default_configENS1_27scan_by_key_config_selectorIisEEZZNS1_16scan_by_key_implILNS1_25lookback_scan_determinismE0ELb0ES3_N6thrust23THRUST_200600_302600_NS6detail15normal_iteratorINS9_10device_ptrIiEEEENSB_INSC_IsEEEESG_sNS9_4plusIvEENS9_8equal_toIvEEsEE10hipError_tPvRmT2_T3_T4_T5_mT6_T7_P12ihipStream_tbENKUlT_T0_E_clISt17integral_constantIbLb1EES11_EEDaSW_SX_EUlSW_E_NS1_11comp_targetILNS1_3genE10ELNS1_11target_archE1201ELNS1_3gpuE5ELNS1_3repE0EEENS1_30default_config_static_selectorELNS0_4arch9wavefront6targetE0EEEvT1_.kd
    .uniform_work_group_size: 1
    .uses_dynamic_stack: false
    .vgpr_count:     0
    .vgpr_spill_count: 0
    .wavefront_size: 32
  - .args:
      - .offset:         0
        .size:           112
        .value_kind:     by_value
    .group_segment_fixed_size: 0
    .kernarg_segment_align: 8
    .kernarg_segment_size: 112
    .language:       OpenCL C
    .language_version:
      - 2
      - 0
    .max_flat_workgroup_size: 256
    .name:           _ZN7rocprim17ROCPRIM_400000_NS6detail17trampoline_kernelINS0_14default_configENS1_27scan_by_key_config_selectorIisEEZZNS1_16scan_by_key_implILNS1_25lookback_scan_determinismE0ELb0ES3_N6thrust23THRUST_200600_302600_NS6detail15normal_iteratorINS9_10device_ptrIiEEEENSB_INSC_IsEEEESG_sNS9_4plusIvEENS9_8equal_toIvEEsEE10hipError_tPvRmT2_T3_T4_T5_mT6_T7_P12ihipStream_tbENKUlT_T0_E_clISt17integral_constantIbLb1EES11_EEDaSW_SX_EUlSW_E_NS1_11comp_targetILNS1_3genE5ELNS1_11target_archE942ELNS1_3gpuE9ELNS1_3repE0EEENS1_30default_config_static_selectorELNS0_4arch9wavefront6targetE0EEEvT1_
    .private_segment_fixed_size: 0
    .sgpr_count:     0
    .sgpr_spill_count: 0
    .symbol:         _ZN7rocprim17ROCPRIM_400000_NS6detail17trampoline_kernelINS0_14default_configENS1_27scan_by_key_config_selectorIisEEZZNS1_16scan_by_key_implILNS1_25lookback_scan_determinismE0ELb0ES3_N6thrust23THRUST_200600_302600_NS6detail15normal_iteratorINS9_10device_ptrIiEEEENSB_INSC_IsEEEESG_sNS9_4plusIvEENS9_8equal_toIvEEsEE10hipError_tPvRmT2_T3_T4_T5_mT6_T7_P12ihipStream_tbENKUlT_T0_E_clISt17integral_constantIbLb1EES11_EEDaSW_SX_EUlSW_E_NS1_11comp_targetILNS1_3genE5ELNS1_11target_archE942ELNS1_3gpuE9ELNS1_3repE0EEENS1_30default_config_static_selectorELNS0_4arch9wavefront6targetE0EEEvT1_.kd
    .uniform_work_group_size: 1
    .uses_dynamic_stack: false
    .vgpr_count:     0
    .vgpr_spill_count: 0
    .wavefront_size: 32
  - .args:
      - .offset:         0
        .size:           112
        .value_kind:     by_value
    .group_segment_fixed_size: 0
    .kernarg_segment_align: 8
    .kernarg_segment_size: 112
    .language:       OpenCL C
    .language_version:
      - 2
      - 0
    .max_flat_workgroup_size: 64
    .name:           _ZN7rocprim17ROCPRIM_400000_NS6detail17trampoline_kernelINS0_14default_configENS1_27scan_by_key_config_selectorIisEEZZNS1_16scan_by_key_implILNS1_25lookback_scan_determinismE0ELb0ES3_N6thrust23THRUST_200600_302600_NS6detail15normal_iteratorINS9_10device_ptrIiEEEENSB_INSC_IsEEEESG_sNS9_4plusIvEENS9_8equal_toIvEEsEE10hipError_tPvRmT2_T3_T4_T5_mT6_T7_P12ihipStream_tbENKUlT_T0_E_clISt17integral_constantIbLb1EES11_EEDaSW_SX_EUlSW_E_NS1_11comp_targetILNS1_3genE4ELNS1_11target_archE910ELNS1_3gpuE8ELNS1_3repE0EEENS1_30default_config_static_selectorELNS0_4arch9wavefront6targetE0EEEvT1_
    .private_segment_fixed_size: 0
    .sgpr_count:     0
    .sgpr_spill_count: 0
    .symbol:         _ZN7rocprim17ROCPRIM_400000_NS6detail17trampoline_kernelINS0_14default_configENS1_27scan_by_key_config_selectorIisEEZZNS1_16scan_by_key_implILNS1_25lookback_scan_determinismE0ELb0ES3_N6thrust23THRUST_200600_302600_NS6detail15normal_iteratorINS9_10device_ptrIiEEEENSB_INSC_IsEEEESG_sNS9_4plusIvEENS9_8equal_toIvEEsEE10hipError_tPvRmT2_T3_T4_T5_mT6_T7_P12ihipStream_tbENKUlT_T0_E_clISt17integral_constantIbLb1EES11_EEDaSW_SX_EUlSW_E_NS1_11comp_targetILNS1_3genE4ELNS1_11target_archE910ELNS1_3gpuE8ELNS1_3repE0EEENS1_30default_config_static_selectorELNS0_4arch9wavefront6targetE0EEEvT1_.kd
    .uniform_work_group_size: 1
    .uses_dynamic_stack: false
    .vgpr_count:     0
    .vgpr_spill_count: 0
    .wavefront_size: 32
  - .args:
      - .offset:         0
        .size:           112
        .value_kind:     by_value
    .group_segment_fixed_size: 0
    .kernarg_segment_align: 8
    .kernarg_segment_size: 112
    .language:       OpenCL C
    .language_version:
      - 2
      - 0
    .max_flat_workgroup_size: 256
    .name:           _ZN7rocprim17ROCPRIM_400000_NS6detail17trampoline_kernelINS0_14default_configENS1_27scan_by_key_config_selectorIisEEZZNS1_16scan_by_key_implILNS1_25lookback_scan_determinismE0ELb0ES3_N6thrust23THRUST_200600_302600_NS6detail15normal_iteratorINS9_10device_ptrIiEEEENSB_INSC_IsEEEESG_sNS9_4plusIvEENS9_8equal_toIvEEsEE10hipError_tPvRmT2_T3_T4_T5_mT6_T7_P12ihipStream_tbENKUlT_T0_E_clISt17integral_constantIbLb1EES11_EEDaSW_SX_EUlSW_E_NS1_11comp_targetILNS1_3genE3ELNS1_11target_archE908ELNS1_3gpuE7ELNS1_3repE0EEENS1_30default_config_static_selectorELNS0_4arch9wavefront6targetE0EEEvT1_
    .private_segment_fixed_size: 0
    .sgpr_count:     0
    .sgpr_spill_count: 0
    .symbol:         _ZN7rocprim17ROCPRIM_400000_NS6detail17trampoline_kernelINS0_14default_configENS1_27scan_by_key_config_selectorIisEEZZNS1_16scan_by_key_implILNS1_25lookback_scan_determinismE0ELb0ES3_N6thrust23THRUST_200600_302600_NS6detail15normal_iteratorINS9_10device_ptrIiEEEENSB_INSC_IsEEEESG_sNS9_4plusIvEENS9_8equal_toIvEEsEE10hipError_tPvRmT2_T3_T4_T5_mT6_T7_P12ihipStream_tbENKUlT_T0_E_clISt17integral_constantIbLb1EES11_EEDaSW_SX_EUlSW_E_NS1_11comp_targetILNS1_3genE3ELNS1_11target_archE908ELNS1_3gpuE7ELNS1_3repE0EEENS1_30default_config_static_selectorELNS0_4arch9wavefront6targetE0EEEvT1_.kd
    .uniform_work_group_size: 1
    .uses_dynamic_stack: false
    .vgpr_count:     0
    .vgpr_spill_count: 0
    .wavefront_size: 32
  - .args:
      - .offset:         0
        .size:           112
        .value_kind:     by_value
    .group_segment_fixed_size: 0
    .kernarg_segment_align: 8
    .kernarg_segment_size: 112
    .language:       OpenCL C
    .language_version:
      - 2
      - 0
    .max_flat_workgroup_size: 64
    .name:           _ZN7rocprim17ROCPRIM_400000_NS6detail17trampoline_kernelINS0_14default_configENS1_27scan_by_key_config_selectorIisEEZZNS1_16scan_by_key_implILNS1_25lookback_scan_determinismE0ELb0ES3_N6thrust23THRUST_200600_302600_NS6detail15normal_iteratorINS9_10device_ptrIiEEEENSB_INSC_IsEEEESG_sNS9_4plusIvEENS9_8equal_toIvEEsEE10hipError_tPvRmT2_T3_T4_T5_mT6_T7_P12ihipStream_tbENKUlT_T0_E_clISt17integral_constantIbLb1EES11_EEDaSW_SX_EUlSW_E_NS1_11comp_targetILNS1_3genE2ELNS1_11target_archE906ELNS1_3gpuE6ELNS1_3repE0EEENS1_30default_config_static_selectorELNS0_4arch9wavefront6targetE0EEEvT1_
    .private_segment_fixed_size: 0
    .sgpr_count:     0
    .sgpr_spill_count: 0
    .symbol:         _ZN7rocprim17ROCPRIM_400000_NS6detail17trampoline_kernelINS0_14default_configENS1_27scan_by_key_config_selectorIisEEZZNS1_16scan_by_key_implILNS1_25lookback_scan_determinismE0ELb0ES3_N6thrust23THRUST_200600_302600_NS6detail15normal_iteratorINS9_10device_ptrIiEEEENSB_INSC_IsEEEESG_sNS9_4plusIvEENS9_8equal_toIvEEsEE10hipError_tPvRmT2_T3_T4_T5_mT6_T7_P12ihipStream_tbENKUlT_T0_E_clISt17integral_constantIbLb1EES11_EEDaSW_SX_EUlSW_E_NS1_11comp_targetILNS1_3genE2ELNS1_11target_archE906ELNS1_3gpuE6ELNS1_3repE0EEENS1_30default_config_static_selectorELNS0_4arch9wavefront6targetE0EEEvT1_.kd
    .uniform_work_group_size: 1
    .uses_dynamic_stack: false
    .vgpr_count:     0
    .vgpr_spill_count: 0
    .wavefront_size: 32
  - .args:
      - .offset:         0
        .size:           112
        .value_kind:     by_value
    .group_segment_fixed_size: 0
    .kernarg_segment_align: 8
    .kernarg_segment_size: 112
    .language:       OpenCL C
    .language_version:
      - 2
      - 0
    .max_flat_workgroup_size: 256
    .name:           _ZN7rocprim17ROCPRIM_400000_NS6detail17trampoline_kernelINS0_14default_configENS1_27scan_by_key_config_selectorIisEEZZNS1_16scan_by_key_implILNS1_25lookback_scan_determinismE0ELb0ES3_N6thrust23THRUST_200600_302600_NS6detail15normal_iteratorINS9_10device_ptrIiEEEENSB_INSC_IsEEEESG_sNS9_4plusIvEENS9_8equal_toIvEEsEE10hipError_tPvRmT2_T3_T4_T5_mT6_T7_P12ihipStream_tbENKUlT_T0_E_clISt17integral_constantIbLb1EES11_EEDaSW_SX_EUlSW_E_NS1_11comp_targetILNS1_3genE10ELNS1_11target_archE1200ELNS1_3gpuE4ELNS1_3repE0EEENS1_30default_config_static_selectorELNS0_4arch9wavefront6targetE0EEEvT1_
    .private_segment_fixed_size: 0
    .sgpr_count:     0
    .sgpr_spill_count: 0
    .symbol:         _ZN7rocprim17ROCPRIM_400000_NS6detail17trampoline_kernelINS0_14default_configENS1_27scan_by_key_config_selectorIisEEZZNS1_16scan_by_key_implILNS1_25lookback_scan_determinismE0ELb0ES3_N6thrust23THRUST_200600_302600_NS6detail15normal_iteratorINS9_10device_ptrIiEEEENSB_INSC_IsEEEESG_sNS9_4plusIvEENS9_8equal_toIvEEsEE10hipError_tPvRmT2_T3_T4_T5_mT6_T7_P12ihipStream_tbENKUlT_T0_E_clISt17integral_constantIbLb1EES11_EEDaSW_SX_EUlSW_E_NS1_11comp_targetILNS1_3genE10ELNS1_11target_archE1200ELNS1_3gpuE4ELNS1_3repE0EEENS1_30default_config_static_selectorELNS0_4arch9wavefront6targetE0EEEvT1_.kd
    .uniform_work_group_size: 1
    .uses_dynamic_stack: false
    .vgpr_count:     0
    .vgpr_spill_count: 0
    .wavefront_size: 32
  - .args:
      - .offset:         0
        .size:           112
        .value_kind:     by_value
    .group_segment_fixed_size: 0
    .kernarg_segment_align: 8
    .kernarg_segment_size: 112
    .language:       OpenCL C
    .language_version:
      - 2
      - 0
    .max_flat_workgroup_size: 64
    .name:           _ZN7rocprim17ROCPRIM_400000_NS6detail17trampoline_kernelINS0_14default_configENS1_27scan_by_key_config_selectorIisEEZZNS1_16scan_by_key_implILNS1_25lookback_scan_determinismE0ELb0ES3_N6thrust23THRUST_200600_302600_NS6detail15normal_iteratorINS9_10device_ptrIiEEEENSB_INSC_IsEEEESG_sNS9_4plusIvEENS9_8equal_toIvEEsEE10hipError_tPvRmT2_T3_T4_T5_mT6_T7_P12ihipStream_tbENKUlT_T0_E_clISt17integral_constantIbLb1EES11_EEDaSW_SX_EUlSW_E_NS1_11comp_targetILNS1_3genE9ELNS1_11target_archE1100ELNS1_3gpuE3ELNS1_3repE0EEENS1_30default_config_static_selectorELNS0_4arch9wavefront6targetE0EEEvT1_
    .private_segment_fixed_size: 0
    .sgpr_count:     0
    .sgpr_spill_count: 0
    .symbol:         _ZN7rocprim17ROCPRIM_400000_NS6detail17trampoline_kernelINS0_14default_configENS1_27scan_by_key_config_selectorIisEEZZNS1_16scan_by_key_implILNS1_25lookback_scan_determinismE0ELb0ES3_N6thrust23THRUST_200600_302600_NS6detail15normal_iteratorINS9_10device_ptrIiEEEENSB_INSC_IsEEEESG_sNS9_4plusIvEENS9_8equal_toIvEEsEE10hipError_tPvRmT2_T3_T4_T5_mT6_T7_P12ihipStream_tbENKUlT_T0_E_clISt17integral_constantIbLb1EES11_EEDaSW_SX_EUlSW_E_NS1_11comp_targetILNS1_3genE9ELNS1_11target_archE1100ELNS1_3gpuE3ELNS1_3repE0EEENS1_30default_config_static_selectorELNS0_4arch9wavefront6targetE0EEEvT1_.kd
    .uniform_work_group_size: 1
    .uses_dynamic_stack: false
    .vgpr_count:     0
    .vgpr_spill_count: 0
    .wavefront_size: 32
  - .args:
      - .offset:         0
        .size:           112
        .value_kind:     by_value
    .group_segment_fixed_size: 0
    .kernarg_segment_align: 8
    .kernarg_segment_size: 112
    .language:       OpenCL C
    .language_version:
      - 2
      - 0
    .max_flat_workgroup_size: 64
    .name:           _ZN7rocprim17ROCPRIM_400000_NS6detail17trampoline_kernelINS0_14default_configENS1_27scan_by_key_config_selectorIisEEZZNS1_16scan_by_key_implILNS1_25lookback_scan_determinismE0ELb0ES3_N6thrust23THRUST_200600_302600_NS6detail15normal_iteratorINS9_10device_ptrIiEEEENSB_INSC_IsEEEESG_sNS9_4plusIvEENS9_8equal_toIvEEsEE10hipError_tPvRmT2_T3_T4_T5_mT6_T7_P12ihipStream_tbENKUlT_T0_E_clISt17integral_constantIbLb1EES11_EEDaSW_SX_EUlSW_E_NS1_11comp_targetILNS1_3genE8ELNS1_11target_archE1030ELNS1_3gpuE2ELNS1_3repE0EEENS1_30default_config_static_selectorELNS0_4arch9wavefront6targetE0EEEvT1_
    .private_segment_fixed_size: 0
    .sgpr_count:     0
    .sgpr_spill_count: 0
    .symbol:         _ZN7rocprim17ROCPRIM_400000_NS6detail17trampoline_kernelINS0_14default_configENS1_27scan_by_key_config_selectorIisEEZZNS1_16scan_by_key_implILNS1_25lookback_scan_determinismE0ELb0ES3_N6thrust23THRUST_200600_302600_NS6detail15normal_iteratorINS9_10device_ptrIiEEEENSB_INSC_IsEEEESG_sNS9_4plusIvEENS9_8equal_toIvEEsEE10hipError_tPvRmT2_T3_T4_T5_mT6_T7_P12ihipStream_tbENKUlT_T0_E_clISt17integral_constantIbLb1EES11_EEDaSW_SX_EUlSW_E_NS1_11comp_targetILNS1_3genE8ELNS1_11target_archE1030ELNS1_3gpuE2ELNS1_3repE0EEENS1_30default_config_static_selectorELNS0_4arch9wavefront6targetE0EEEvT1_.kd
    .uniform_work_group_size: 1
    .uses_dynamic_stack: false
    .vgpr_count:     0
    .vgpr_spill_count: 0
    .wavefront_size: 32
  - .args:
      - .address_space:  global
        .offset:         0
        .size:           8
        .value_kind:     global_buffer
      - .offset:         8
        .size:           4
        .value_kind:     by_value
      - .offset:         12
        .size:           4
        .value_kind:     by_value
      - .address_space:  global
        .offset:         16
        .size:           8
        .value_kind:     global_buffer
      - .address_space:  global
        .offset:         24
        .size:           8
        .value_kind:     global_buffer
      - .actual_access:  write_only
        .address_space:  global
        .offset:         32
        .size:           8
        .value_kind:     global_buffer
      - .offset:         40
        .size:           8
        .value_kind:     by_value
      - .offset:         48
        .size:           4
        .value_kind:     by_value
      - .offset:         52
        .size:           1
        .value_kind:     by_value
      - .offset:         56
        .size:           4
        .value_kind:     hidden_block_count_x
      - .offset:         60
        .size:           4
        .value_kind:     hidden_block_count_y
      - .offset:         64
        .size:           4
        .value_kind:     hidden_block_count_z
      - .offset:         68
        .size:           2
        .value_kind:     hidden_group_size_x
      - .offset:         70
        .size:           2
        .value_kind:     hidden_group_size_y
      - .offset:         72
        .size:           2
        .value_kind:     hidden_group_size_z
      - .offset:         74
        .size:           2
        .value_kind:     hidden_remainder_x
      - .offset:         76
        .size:           2
        .value_kind:     hidden_remainder_y
      - .offset:         78
        .size:           2
        .value_kind:     hidden_remainder_z
      - .offset:         96
        .size:           8
        .value_kind:     hidden_global_offset_x
      - .offset:         104
        .size:           8
        .value_kind:     hidden_global_offset_y
      - .offset:         112
        .size:           8
        .value_kind:     hidden_global_offset_z
      - .offset:         120
        .size:           2
        .value_kind:     hidden_grid_dims
    .group_segment_fixed_size: 0
    .kernarg_segment_align: 8
    .kernarg_segment_size: 312
    .language:       OpenCL C
    .language_version:
      - 2
      - 0
    .max_flat_workgroup_size: 256
    .name:           _ZN7rocprim17ROCPRIM_400000_NS6detail30init_device_scan_by_key_kernelINS1_19lookback_scan_stateINS0_5tupleIJsbEEELb1ELb1EEEN6thrust23THRUST_200600_302600_NS6detail15normal_iteratorINS8_10device_ptrIiEEEEjNS1_16block_id_wrapperIjLb0EEEEEvT_jjPNSG_10value_typeET0_PNSt15iterator_traitsISJ_E10value_typeEmT1_T2_
    .private_segment_fixed_size: 0
    .sgpr_count:     18
    .sgpr_spill_count: 0
    .symbol:         _ZN7rocprim17ROCPRIM_400000_NS6detail30init_device_scan_by_key_kernelINS1_19lookback_scan_stateINS0_5tupleIJsbEEELb1ELb1EEEN6thrust23THRUST_200600_302600_NS6detail15normal_iteratorINS8_10device_ptrIiEEEEjNS1_16block_id_wrapperIjLb0EEEEEvT_jjPNSG_10value_typeET0_PNSt15iterator_traitsISJ_E10value_typeEmT1_T2_.kd
    .uniform_work_group_size: 1
    .uses_dynamic_stack: false
    .vgpr_count:     7
    .vgpr_spill_count: 0
    .wavefront_size: 32
  - .args:
      - .offset:         0
        .size:           112
        .value_kind:     by_value
    .group_segment_fixed_size: 0
    .kernarg_segment_align: 8
    .kernarg_segment_size: 112
    .language:       OpenCL C
    .language_version:
      - 2
      - 0
    .max_flat_workgroup_size: 256
    .name:           _ZN7rocprim17ROCPRIM_400000_NS6detail17trampoline_kernelINS0_14default_configENS1_27scan_by_key_config_selectorIisEEZZNS1_16scan_by_key_implILNS1_25lookback_scan_determinismE0ELb0ES3_N6thrust23THRUST_200600_302600_NS6detail15normal_iteratorINS9_10device_ptrIiEEEENSB_INSC_IsEEEESG_sNS9_4plusIvEENS9_8equal_toIvEEsEE10hipError_tPvRmT2_T3_T4_T5_mT6_T7_P12ihipStream_tbENKUlT_T0_E_clISt17integral_constantIbLb1EES10_IbLb0EEEEDaSW_SX_EUlSW_E_NS1_11comp_targetILNS1_3genE0ELNS1_11target_archE4294967295ELNS1_3gpuE0ELNS1_3repE0EEENS1_30default_config_static_selectorELNS0_4arch9wavefront6targetE0EEEvT1_
    .private_segment_fixed_size: 0
    .sgpr_count:     0
    .sgpr_spill_count: 0
    .symbol:         _ZN7rocprim17ROCPRIM_400000_NS6detail17trampoline_kernelINS0_14default_configENS1_27scan_by_key_config_selectorIisEEZZNS1_16scan_by_key_implILNS1_25lookback_scan_determinismE0ELb0ES3_N6thrust23THRUST_200600_302600_NS6detail15normal_iteratorINS9_10device_ptrIiEEEENSB_INSC_IsEEEESG_sNS9_4plusIvEENS9_8equal_toIvEEsEE10hipError_tPvRmT2_T3_T4_T5_mT6_T7_P12ihipStream_tbENKUlT_T0_E_clISt17integral_constantIbLb1EES10_IbLb0EEEEDaSW_SX_EUlSW_E_NS1_11comp_targetILNS1_3genE0ELNS1_11target_archE4294967295ELNS1_3gpuE0ELNS1_3repE0EEENS1_30default_config_static_selectorELNS0_4arch9wavefront6targetE0EEEvT1_.kd
    .uniform_work_group_size: 1
    .uses_dynamic_stack: false
    .vgpr_count:     0
    .vgpr_spill_count: 0
    .wavefront_size: 32
  - .args:
      - .offset:         0
        .size:           112
        .value_kind:     by_value
    .group_segment_fixed_size: 0
    .kernarg_segment_align: 8
    .kernarg_segment_size: 112
    .language:       OpenCL C
    .language_version:
      - 2
      - 0
    .max_flat_workgroup_size: 256
    .name:           _ZN7rocprim17ROCPRIM_400000_NS6detail17trampoline_kernelINS0_14default_configENS1_27scan_by_key_config_selectorIisEEZZNS1_16scan_by_key_implILNS1_25lookback_scan_determinismE0ELb0ES3_N6thrust23THRUST_200600_302600_NS6detail15normal_iteratorINS9_10device_ptrIiEEEENSB_INSC_IsEEEESG_sNS9_4plusIvEENS9_8equal_toIvEEsEE10hipError_tPvRmT2_T3_T4_T5_mT6_T7_P12ihipStream_tbENKUlT_T0_E_clISt17integral_constantIbLb1EES10_IbLb0EEEEDaSW_SX_EUlSW_E_NS1_11comp_targetILNS1_3genE10ELNS1_11target_archE1201ELNS1_3gpuE5ELNS1_3repE0EEENS1_30default_config_static_selectorELNS0_4arch9wavefront6targetE0EEEvT1_
    .private_segment_fixed_size: 0
    .sgpr_count:     0
    .sgpr_spill_count: 0
    .symbol:         _ZN7rocprim17ROCPRIM_400000_NS6detail17trampoline_kernelINS0_14default_configENS1_27scan_by_key_config_selectorIisEEZZNS1_16scan_by_key_implILNS1_25lookback_scan_determinismE0ELb0ES3_N6thrust23THRUST_200600_302600_NS6detail15normal_iteratorINS9_10device_ptrIiEEEENSB_INSC_IsEEEESG_sNS9_4plusIvEENS9_8equal_toIvEEsEE10hipError_tPvRmT2_T3_T4_T5_mT6_T7_P12ihipStream_tbENKUlT_T0_E_clISt17integral_constantIbLb1EES10_IbLb0EEEEDaSW_SX_EUlSW_E_NS1_11comp_targetILNS1_3genE10ELNS1_11target_archE1201ELNS1_3gpuE5ELNS1_3repE0EEENS1_30default_config_static_selectorELNS0_4arch9wavefront6targetE0EEEvT1_.kd
    .uniform_work_group_size: 1
    .uses_dynamic_stack: false
    .vgpr_count:     0
    .vgpr_spill_count: 0
    .wavefront_size: 32
  - .args:
      - .offset:         0
        .size:           112
        .value_kind:     by_value
    .group_segment_fixed_size: 0
    .kernarg_segment_align: 8
    .kernarg_segment_size: 112
    .language:       OpenCL C
    .language_version:
      - 2
      - 0
    .max_flat_workgroup_size: 256
    .name:           _ZN7rocprim17ROCPRIM_400000_NS6detail17trampoline_kernelINS0_14default_configENS1_27scan_by_key_config_selectorIisEEZZNS1_16scan_by_key_implILNS1_25lookback_scan_determinismE0ELb0ES3_N6thrust23THRUST_200600_302600_NS6detail15normal_iteratorINS9_10device_ptrIiEEEENSB_INSC_IsEEEESG_sNS9_4plusIvEENS9_8equal_toIvEEsEE10hipError_tPvRmT2_T3_T4_T5_mT6_T7_P12ihipStream_tbENKUlT_T0_E_clISt17integral_constantIbLb1EES10_IbLb0EEEEDaSW_SX_EUlSW_E_NS1_11comp_targetILNS1_3genE5ELNS1_11target_archE942ELNS1_3gpuE9ELNS1_3repE0EEENS1_30default_config_static_selectorELNS0_4arch9wavefront6targetE0EEEvT1_
    .private_segment_fixed_size: 0
    .sgpr_count:     0
    .sgpr_spill_count: 0
    .symbol:         _ZN7rocprim17ROCPRIM_400000_NS6detail17trampoline_kernelINS0_14default_configENS1_27scan_by_key_config_selectorIisEEZZNS1_16scan_by_key_implILNS1_25lookback_scan_determinismE0ELb0ES3_N6thrust23THRUST_200600_302600_NS6detail15normal_iteratorINS9_10device_ptrIiEEEENSB_INSC_IsEEEESG_sNS9_4plusIvEENS9_8equal_toIvEEsEE10hipError_tPvRmT2_T3_T4_T5_mT6_T7_P12ihipStream_tbENKUlT_T0_E_clISt17integral_constantIbLb1EES10_IbLb0EEEEDaSW_SX_EUlSW_E_NS1_11comp_targetILNS1_3genE5ELNS1_11target_archE942ELNS1_3gpuE9ELNS1_3repE0EEENS1_30default_config_static_selectorELNS0_4arch9wavefront6targetE0EEEvT1_.kd
    .uniform_work_group_size: 1
    .uses_dynamic_stack: false
    .vgpr_count:     0
    .vgpr_spill_count: 0
    .wavefront_size: 32
  - .args:
      - .offset:         0
        .size:           112
        .value_kind:     by_value
    .group_segment_fixed_size: 0
    .kernarg_segment_align: 8
    .kernarg_segment_size: 112
    .language:       OpenCL C
    .language_version:
      - 2
      - 0
    .max_flat_workgroup_size: 64
    .name:           _ZN7rocprim17ROCPRIM_400000_NS6detail17trampoline_kernelINS0_14default_configENS1_27scan_by_key_config_selectorIisEEZZNS1_16scan_by_key_implILNS1_25lookback_scan_determinismE0ELb0ES3_N6thrust23THRUST_200600_302600_NS6detail15normal_iteratorINS9_10device_ptrIiEEEENSB_INSC_IsEEEESG_sNS9_4plusIvEENS9_8equal_toIvEEsEE10hipError_tPvRmT2_T3_T4_T5_mT6_T7_P12ihipStream_tbENKUlT_T0_E_clISt17integral_constantIbLb1EES10_IbLb0EEEEDaSW_SX_EUlSW_E_NS1_11comp_targetILNS1_3genE4ELNS1_11target_archE910ELNS1_3gpuE8ELNS1_3repE0EEENS1_30default_config_static_selectorELNS0_4arch9wavefront6targetE0EEEvT1_
    .private_segment_fixed_size: 0
    .sgpr_count:     0
    .sgpr_spill_count: 0
    .symbol:         _ZN7rocprim17ROCPRIM_400000_NS6detail17trampoline_kernelINS0_14default_configENS1_27scan_by_key_config_selectorIisEEZZNS1_16scan_by_key_implILNS1_25lookback_scan_determinismE0ELb0ES3_N6thrust23THRUST_200600_302600_NS6detail15normal_iteratorINS9_10device_ptrIiEEEENSB_INSC_IsEEEESG_sNS9_4plusIvEENS9_8equal_toIvEEsEE10hipError_tPvRmT2_T3_T4_T5_mT6_T7_P12ihipStream_tbENKUlT_T0_E_clISt17integral_constantIbLb1EES10_IbLb0EEEEDaSW_SX_EUlSW_E_NS1_11comp_targetILNS1_3genE4ELNS1_11target_archE910ELNS1_3gpuE8ELNS1_3repE0EEENS1_30default_config_static_selectorELNS0_4arch9wavefront6targetE0EEEvT1_.kd
    .uniform_work_group_size: 1
    .uses_dynamic_stack: false
    .vgpr_count:     0
    .vgpr_spill_count: 0
    .wavefront_size: 32
  - .args:
      - .offset:         0
        .size:           112
        .value_kind:     by_value
    .group_segment_fixed_size: 0
    .kernarg_segment_align: 8
    .kernarg_segment_size: 112
    .language:       OpenCL C
    .language_version:
      - 2
      - 0
    .max_flat_workgroup_size: 256
    .name:           _ZN7rocprim17ROCPRIM_400000_NS6detail17trampoline_kernelINS0_14default_configENS1_27scan_by_key_config_selectorIisEEZZNS1_16scan_by_key_implILNS1_25lookback_scan_determinismE0ELb0ES3_N6thrust23THRUST_200600_302600_NS6detail15normal_iteratorINS9_10device_ptrIiEEEENSB_INSC_IsEEEESG_sNS9_4plusIvEENS9_8equal_toIvEEsEE10hipError_tPvRmT2_T3_T4_T5_mT6_T7_P12ihipStream_tbENKUlT_T0_E_clISt17integral_constantIbLb1EES10_IbLb0EEEEDaSW_SX_EUlSW_E_NS1_11comp_targetILNS1_3genE3ELNS1_11target_archE908ELNS1_3gpuE7ELNS1_3repE0EEENS1_30default_config_static_selectorELNS0_4arch9wavefront6targetE0EEEvT1_
    .private_segment_fixed_size: 0
    .sgpr_count:     0
    .sgpr_spill_count: 0
    .symbol:         _ZN7rocprim17ROCPRIM_400000_NS6detail17trampoline_kernelINS0_14default_configENS1_27scan_by_key_config_selectorIisEEZZNS1_16scan_by_key_implILNS1_25lookback_scan_determinismE0ELb0ES3_N6thrust23THRUST_200600_302600_NS6detail15normal_iteratorINS9_10device_ptrIiEEEENSB_INSC_IsEEEESG_sNS9_4plusIvEENS9_8equal_toIvEEsEE10hipError_tPvRmT2_T3_T4_T5_mT6_T7_P12ihipStream_tbENKUlT_T0_E_clISt17integral_constantIbLb1EES10_IbLb0EEEEDaSW_SX_EUlSW_E_NS1_11comp_targetILNS1_3genE3ELNS1_11target_archE908ELNS1_3gpuE7ELNS1_3repE0EEENS1_30default_config_static_selectorELNS0_4arch9wavefront6targetE0EEEvT1_.kd
    .uniform_work_group_size: 1
    .uses_dynamic_stack: false
    .vgpr_count:     0
    .vgpr_spill_count: 0
    .wavefront_size: 32
  - .args:
      - .offset:         0
        .size:           112
        .value_kind:     by_value
    .group_segment_fixed_size: 0
    .kernarg_segment_align: 8
    .kernarg_segment_size: 112
    .language:       OpenCL C
    .language_version:
      - 2
      - 0
    .max_flat_workgroup_size: 64
    .name:           _ZN7rocprim17ROCPRIM_400000_NS6detail17trampoline_kernelINS0_14default_configENS1_27scan_by_key_config_selectorIisEEZZNS1_16scan_by_key_implILNS1_25lookback_scan_determinismE0ELb0ES3_N6thrust23THRUST_200600_302600_NS6detail15normal_iteratorINS9_10device_ptrIiEEEENSB_INSC_IsEEEESG_sNS9_4plusIvEENS9_8equal_toIvEEsEE10hipError_tPvRmT2_T3_T4_T5_mT6_T7_P12ihipStream_tbENKUlT_T0_E_clISt17integral_constantIbLb1EES10_IbLb0EEEEDaSW_SX_EUlSW_E_NS1_11comp_targetILNS1_3genE2ELNS1_11target_archE906ELNS1_3gpuE6ELNS1_3repE0EEENS1_30default_config_static_selectorELNS0_4arch9wavefront6targetE0EEEvT1_
    .private_segment_fixed_size: 0
    .sgpr_count:     0
    .sgpr_spill_count: 0
    .symbol:         _ZN7rocprim17ROCPRIM_400000_NS6detail17trampoline_kernelINS0_14default_configENS1_27scan_by_key_config_selectorIisEEZZNS1_16scan_by_key_implILNS1_25lookback_scan_determinismE0ELb0ES3_N6thrust23THRUST_200600_302600_NS6detail15normal_iteratorINS9_10device_ptrIiEEEENSB_INSC_IsEEEESG_sNS9_4plusIvEENS9_8equal_toIvEEsEE10hipError_tPvRmT2_T3_T4_T5_mT6_T7_P12ihipStream_tbENKUlT_T0_E_clISt17integral_constantIbLb1EES10_IbLb0EEEEDaSW_SX_EUlSW_E_NS1_11comp_targetILNS1_3genE2ELNS1_11target_archE906ELNS1_3gpuE6ELNS1_3repE0EEENS1_30default_config_static_selectorELNS0_4arch9wavefront6targetE0EEEvT1_.kd
    .uniform_work_group_size: 1
    .uses_dynamic_stack: false
    .vgpr_count:     0
    .vgpr_spill_count: 0
    .wavefront_size: 32
  - .args:
      - .offset:         0
        .size:           112
        .value_kind:     by_value
    .group_segment_fixed_size: 0
    .kernarg_segment_align: 8
    .kernarg_segment_size: 112
    .language:       OpenCL C
    .language_version:
      - 2
      - 0
    .max_flat_workgroup_size: 256
    .name:           _ZN7rocprim17ROCPRIM_400000_NS6detail17trampoline_kernelINS0_14default_configENS1_27scan_by_key_config_selectorIisEEZZNS1_16scan_by_key_implILNS1_25lookback_scan_determinismE0ELb0ES3_N6thrust23THRUST_200600_302600_NS6detail15normal_iteratorINS9_10device_ptrIiEEEENSB_INSC_IsEEEESG_sNS9_4plusIvEENS9_8equal_toIvEEsEE10hipError_tPvRmT2_T3_T4_T5_mT6_T7_P12ihipStream_tbENKUlT_T0_E_clISt17integral_constantIbLb1EES10_IbLb0EEEEDaSW_SX_EUlSW_E_NS1_11comp_targetILNS1_3genE10ELNS1_11target_archE1200ELNS1_3gpuE4ELNS1_3repE0EEENS1_30default_config_static_selectorELNS0_4arch9wavefront6targetE0EEEvT1_
    .private_segment_fixed_size: 0
    .sgpr_count:     0
    .sgpr_spill_count: 0
    .symbol:         _ZN7rocprim17ROCPRIM_400000_NS6detail17trampoline_kernelINS0_14default_configENS1_27scan_by_key_config_selectorIisEEZZNS1_16scan_by_key_implILNS1_25lookback_scan_determinismE0ELb0ES3_N6thrust23THRUST_200600_302600_NS6detail15normal_iteratorINS9_10device_ptrIiEEEENSB_INSC_IsEEEESG_sNS9_4plusIvEENS9_8equal_toIvEEsEE10hipError_tPvRmT2_T3_T4_T5_mT6_T7_P12ihipStream_tbENKUlT_T0_E_clISt17integral_constantIbLb1EES10_IbLb0EEEEDaSW_SX_EUlSW_E_NS1_11comp_targetILNS1_3genE10ELNS1_11target_archE1200ELNS1_3gpuE4ELNS1_3repE0EEENS1_30default_config_static_selectorELNS0_4arch9wavefront6targetE0EEEvT1_.kd
    .uniform_work_group_size: 1
    .uses_dynamic_stack: false
    .vgpr_count:     0
    .vgpr_spill_count: 0
    .wavefront_size: 32
  - .args:
      - .offset:         0
        .size:           112
        .value_kind:     by_value
    .group_segment_fixed_size: 0
    .kernarg_segment_align: 8
    .kernarg_segment_size: 112
    .language:       OpenCL C
    .language_version:
      - 2
      - 0
    .max_flat_workgroup_size: 64
    .name:           _ZN7rocprim17ROCPRIM_400000_NS6detail17trampoline_kernelINS0_14default_configENS1_27scan_by_key_config_selectorIisEEZZNS1_16scan_by_key_implILNS1_25lookback_scan_determinismE0ELb0ES3_N6thrust23THRUST_200600_302600_NS6detail15normal_iteratorINS9_10device_ptrIiEEEENSB_INSC_IsEEEESG_sNS9_4plusIvEENS9_8equal_toIvEEsEE10hipError_tPvRmT2_T3_T4_T5_mT6_T7_P12ihipStream_tbENKUlT_T0_E_clISt17integral_constantIbLb1EES10_IbLb0EEEEDaSW_SX_EUlSW_E_NS1_11comp_targetILNS1_3genE9ELNS1_11target_archE1100ELNS1_3gpuE3ELNS1_3repE0EEENS1_30default_config_static_selectorELNS0_4arch9wavefront6targetE0EEEvT1_
    .private_segment_fixed_size: 0
    .sgpr_count:     0
    .sgpr_spill_count: 0
    .symbol:         _ZN7rocprim17ROCPRIM_400000_NS6detail17trampoline_kernelINS0_14default_configENS1_27scan_by_key_config_selectorIisEEZZNS1_16scan_by_key_implILNS1_25lookback_scan_determinismE0ELb0ES3_N6thrust23THRUST_200600_302600_NS6detail15normal_iteratorINS9_10device_ptrIiEEEENSB_INSC_IsEEEESG_sNS9_4plusIvEENS9_8equal_toIvEEsEE10hipError_tPvRmT2_T3_T4_T5_mT6_T7_P12ihipStream_tbENKUlT_T0_E_clISt17integral_constantIbLb1EES10_IbLb0EEEEDaSW_SX_EUlSW_E_NS1_11comp_targetILNS1_3genE9ELNS1_11target_archE1100ELNS1_3gpuE3ELNS1_3repE0EEENS1_30default_config_static_selectorELNS0_4arch9wavefront6targetE0EEEvT1_.kd
    .uniform_work_group_size: 1
    .uses_dynamic_stack: false
    .vgpr_count:     0
    .vgpr_spill_count: 0
    .wavefront_size: 32
  - .args:
      - .offset:         0
        .size:           112
        .value_kind:     by_value
    .group_segment_fixed_size: 0
    .kernarg_segment_align: 8
    .kernarg_segment_size: 112
    .language:       OpenCL C
    .language_version:
      - 2
      - 0
    .max_flat_workgroup_size: 64
    .name:           _ZN7rocprim17ROCPRIM_400000_NS6detail17trampoline_kernelINS0_14default_configENS1_27scan_by_key_config_selectorIisEEZZNS1_16scan_by_key_implILNS1_25lookback_scan_determinismE0ELb0ES3_N6thrust23THRUST_200600_302600_NS6detail15normal_iteratorINS9_10device_ptrIiEEEENSB_INSC_IsEEEESG_sNS9_4plusIvEENS9_8equal_toIvEEsEE10hipError_tPvRmT2_T3_T4_T5_mT6_T7_P12ihipStream_tbENKUlT_T0_E_clISt17integral_constantIbLb1EES10_IbLb0EEEEDaSW_SX_EUlSW_E_NS1_11comp_targetILNS1_3genE8ELNS1_11target_archE1030ELNS1_3gpuE2ELNS1_3repE0EEENS1_30default_config_static_selectorELNS0_4arch9wavefront6targetE0EEEvT1_
    .private_segment_fixed_size: 0
    .sgpr_count:     0
    .sgpr_spill_count: 0
    .symbol:         _ZN7rocprim17ROCPRIM_400000_NS6detail17trampoline_kernelINS0_14default_configENS1_27scan_by_key_config_selectorIisEEZZNS1_16scan_by_key_implILNS1_25lookback_scan_determinismE0ELb0ES3_N6thrust23THRUST_200600_302600_NS6detail15normal_iteratorINS9_10device_ptrIiEEEENSB_INSC_IsEEEESG_sNS9_4plusIvEENS9_8equal_toIvEEsEE10hipError_tPvRmT2_T3_T4_T5_mT6_T7_P12ihipStream_tbENKUlT_T0_E_clISt17integral_constantIbLb1EES10_IbLb0EEEEDaSW_SX_EUlSW_E_NS1_11comp_targetILNS1_3genE8ELNS1_11target_archE1030ELNS1_3gpuE2ELNS1_3repE0EEENS1_30default_config_static_selectorELNS0_4arch9wavefront6targetE0EEEvT1_.kd
    .uniform_work_group_size: 1
    .uses_dynamic_stack: false
    .vgpr_count:     0
    .vgpr_spill_count: 0
    .wavefront_size: 32
  - .args:
      - .address_space:  global
        .offset:         0
        .size:           8
        .value_kind:     global_buffer
      - .offset:         8
        .size:           4
        .value_kind:     by_value
      - .offset:         12
        .size:           4
        .value_kind:     by_value
      - .address_space:  global
        .offset:         16
        .size:           8
        .value_kind:     global_buffer
      - .address_space:  global
        .offset:         24
        .size:           8
        .value_kind:     global_buffer
      - .actual_access:  write_only
        .address_space:  global
        .offset:         32
        .size:           8
        .value_kind:     global_buffer
      - .offset:         40
        .size:           8
        .value_kind:     by_value
      - .offset:         48
        .size:           4
        .value_kind:     by_value
      - .address_space:  global
        .offset:         56
        .size:           8
        .value_kind:     global_buffer
      - .offset:         64
        .size:           4
        .value_kind:     hidden_block_count_x
      - .offset:         68
        .size:           4
        .value_kind:     hidden_block_count_y
      - .offset:         72
        .size:           4
        .value_kind:     hidden_block_count_z
      - .offset:         76
        .size:           2
        .value_kind:     hidden_group_size_x
      - .offset:         78
        .size:           2
        .value_kind:     hidden_group_size_y
      - .offset:         80
        .size:           2
        .value_kind:     hidden_group_size_z
      - .offset:         82
        .size:           2
        .value_kind:     hidden_remainder_x
      - .offset:         84
        .size:           2
        .value_kind:     hidden_remainder_y
      - .offset:         86
        .size:           2
        .value_kind:     hidden_remainder_z
      - .offset:         104
        .size:           8
        .value_kind:     hidden_global_offset_x
      - .offset:         112
        .size:           8
        .value_kind:     hidden_global_offset_y
      - .offset:         120
        .size:           8
        .value_kind:     hidden_global_offset_z
      - .offset:         128
        .size:           2
        .value_kind:     hidden_grid_dims
    .group_segment_fixed_size: 0
    .kernarg_segment_align: 8
    .kernarg_segment_size: 320
    .language:       OpenCL C
    .language_version:
      - 2
      - 0
    .max_flat_workgroup_size: 256
    .name:           _ZN7rocprim17ROCPRIM_400000_NS6detail30init_device_scan_by_key_kernelINS1_19lookback_scan_stateINS0_5tupleIJsbEEELb0ELb1EEEN6thrust23THRUST_200600_302600_NS6detail15normal_iteratorINS8_10device_ptrIiEEEEjNS1_16block_id_wrapperIjLb1EEEEEvT_jjPNSG_10value_typeET0_PNSt15iterator_traitsISJ_E10value_typeEmT1_T2_
    .private_segment_fixed_size: 0
    .sgpr_count:     18
    .sgpr_spill_count: 0
    .symbol:         _ZN7rocprim17ROCPRIM_400000_NS6detail30init_device_scan_by_key_kernelINS1_19lookback_scan_stateINS0_5tupleIJsbEEELb0ELb1EEEN6thrust23THRUST_200600_302600_NS6detail15normal_iteratorINS8_10device_ptrIiEEEEjNS1_16block_id_wrapperIjLb1EEEEEvT_jjPNSG_10value_typeET0_PNSt15iterator_traitsISJ_E10value_typeEmT1_T2_.kd
    .uniform_work_group_size: 1
    .uses_dynamic_stack: false
    .vgpr_count:     7
    .vgpr_spill_count: 0
    .wavefront_size: 32
  - .args:
      - .offset:         0
        .size:           112
        .value_kind:     by_value
    .group_segment_fixed_size: 16384
    .kernarg_segment_align: 8
    .kernarg_segment_size: 112
    .language:       OpenCL C
    .language_version:
      - 2
      - 0
    .max_flat_workgroup_size: 256
    .name:           _ZN7rocprim17ROCPRIM_400000_NS6detail17trampoline_kernelINS0_14default_configENS1_27scan_by_key_config_selectorIisEEZZNS1_16scan_by_key_implILNS1_25lookback_scan_determinismE0ELb0ES3_N6thrust23THRUST_200600_302600_NS6detail15normal_iteratorINS9_10device_ptrIiEEEENSB_INSC_IsEEEESG_sNS9_4plusIvEENS9_8equal_toIvEEsEE10hipError_tPvRmT2_T3_T4_T5_mT6_T7_P12ihipStream_tbENKUlT_T0_E_clISt17integral_constantIbLb0EES10_IbLb1EEEEDaSW_SX_EUlSW_E_NS1_11comp_targetILNS1_3genE0ELNS1_11target_archE4294967295ELNS1_3gpuE0ELNS1_3repE0EEENS1_30default_config_static_selectorELNS0_4arch9wavefront6targetE0EEEvT1_
    .private_segment_fixed_size: 0
    .sgpr_count:     47
    .sgpr_spill_count: 0
    .symbol:         _ZN7rocprim17ROCPRIM_400000_NS6detail17trampoline_kernelINS0_14default_configENS1_27scan_by_key_config_selectorIisEEZZNS1_16scan_by_key_implILNS1_25lookback_scan_determinismE0ELb0ES3_N6thrust23THRUST_200600_302600_NS6detail15normal_iteratorINS9_10device_ptrIiEEEENSB_INSC_IsEEEESG_sNS9_4plusIvEENS9_8equal_toIvEEsEE10hipError_tPvRmT2_T3_T4_T5_mT6_T7_P12ihipStream_tbENKUlT_T0_E_clISt17integral_constantIbLb0EES10_IbLb1EEEEDaSW_SX_EUlSW_E_NS1_11comp_targetILNS1_3genE0ELNS1_11target_archE4294967295ELNS1_3gpuE0ELNS1_3repE0EEENS1_30default_config_static_selectorELNS0_4arch9wavefront6targetE0EEEvT1_.kd
    .uniform_work_group_size: 1
    .uses_dynamic_stack: false
    .vgpr_count:     45
    .vgpr_spill_count: 0
    .wavefront_size: 32
  - .args:
      - .offset:         0
        .size:           112
        .value_kind:     by_value
    .group_segment_fixed_size: 0
    .kernarg_segment_align: 8
    .kernarg_segment_size: 112
    .language:       OpenCL C
    .language_version:
      - 2
      - 0
    .max_flat_workgroup_size: 256
    .name:           _ZN7rocprim17ROCPRIM_400000_NS6detail17trampoline_kernelINS0_14default_configENS1_27scan_by_key_config_selectorIisEEZZNS1_16scan_by_key_implILNS1_25lookback_scan_determinismE0ELb0ES3_N6thrust23THRUST_200600_302600_NS6detail15normal_iteratorINS9_10device_ptrIiEEEENSB_INSC_IsEEEESG_sNS9_4plusIvEENS9_8equal_toIvEEsEE10hipError_tPvRmT2_T3_T4_T5_mT6_T7_P12ihipStream_tbENKUlT_T0_E_clISt17integral_constantIbLb0EES10_IbLb1EEEEDaSW_SX_EUlSW_E_NS1_11comp_targetILNS1_3genE10ELNS1_11target_archE1201ELNS1_3gpuE5ELNS1_3repE0EEENS1_30default_config_static_selectorELNS0_4arch9wavefront6targetE0EEEvT1_
    .private_segment_fixed_size: 0
    .sgpr_count:     0
    .sgpr_spill_count: 0
    .symbol:         _ZN7rocprim17ROCPRIM_400000_NS6detail17trampoline_kernelINS0_14default_configENS1_27scan_by_key_config_selectorIisEEZZNS1_16scan_by_key_implILNS1_25lookback_scan_determinismE0ELb0ES3_N6thrust23THRUST_200600_302600_NS6detail15normal_iteratorINS9_10device_ptrIiEEEENSB_INSC_IsEEEESG_sNS9_4plusIvEENS9_8equal_toIvEEsEE10hipError_tPvRmT2_T3_T4_T5_mT6_T7_P12ihipStream_tbENKUlT_T0_E_clISt17integral_constantIbLb0EES10_IbLb1EEEEDaSW_SX_EUlSW_E_NS1_11comp_targetILNS1_3genE10ELNS1_11target_archE1201ELNS1_3gpuE5ELNS1_3repE0EEENS1_30default_config_static_selectorELNS0_4arch9wavefront6targetE0EEEvT1_.kd
    .uniform_work_group_size: 1
    .uses_dynamic_stack: false
    .vgpr_count:     0
    .vgpr_spill_count: 0
    .wavefront_size: 32
  - .args:
      - .offset:         0
        .size:           112
        .value_kind:     by_value
    .group_segment_fixed_size: 0
    .kernarg_segment_align: 8
    .kernarg_segment_size: 112
    .language:       OpenCL C
    .language_version:
      - 2
      - 0
    .max_flat_workgroup_size: 256
    .name:           _ZN7rocprim17ROCPRIM_400000_NS6detail17trampoline_kernelINS0_14default_configENS1_27scan_by_key_config_selectorIisEEZZNS1_16scan_by_key_implILNS1_25lookback_scan_determinismE0ELb0ES3_N6thrust23THRUST_200600_302600_NS6detail15normal_iteratorINS9_10device_ptrIiEEEENSB_INSC_IsEEEESG_sNS9_4plusIvEENS9_8equal_toIvEEsEE10hipError_tPvRmT2_T3_T4_T5_mT6_T7_P12ihipStream_tbENKUlT_T0_E_clISt17integral_constantIbLb0EES10_IbLb1EEEEDaSW_SX_EUlSW_E_NS1_11comp_targetILNS1_3genE5ELNS1_11target_archE942ELNS1_3gpuE9ELNS1_3repE0EEENS1_30default_config_static_selectorELNS0_4arch9wavefront6targetE0EEEvT1_
    .private_segment_fixed_size: 0
    .sgpr_count:     0
    .sgpr_spill_count: 0
    .symbol:         _ZN7rocprim17ROCPRIM_400000_NS6detail17trampoline_kernelINS0_14default_configENS1_27scan_by_key_config_selectorIisEEZZNS1_16scan_by_key_implILNS1_25lookback_scan_determinismE0ELb0ES3_N6thrust23THRUST_200600_302600_NS6detail15normal_iteratorINS9_10device_ptrIiEEEENSB_INSC_IsEEEESG_sNS9_4plusIvEENS9_8equal_toIvEEsEE10hipError_tPvRmT2_T3_T4_T5_mT6_T7_P12ihipStream_tbENKUlT_T0_E_clISt17integral_constantIbLb0EES10_IbLb1EEEEDaSW_SX_EUlSW_E_NS1_11comp_targetILNS1_3genE5ELNS1_11target_archE942ELNS1_3gpuE9ELNS1_3repE0EEENS1_30default_config_static_selectorELNS0_4arch9wavefront6targetE0EEEvT1_.kd
    .uniform_work_group_size: 1
    .uses_dynamic_stack: false
    .vgpr_count:     0
    .vgpr_spill_count: 0
    .wavefront_size: 32
  - .args:
      - .offset:         0
        .size:           112
        .value_kind:     by_value
    .group_segment_fixed_size: 0
    .kernarg_segment_align: 8
    .kernarg_segment_size: 112
    .language:       OpenCL C
    .language_version:
      - 2
      - 0
    .max_flat_workgroup_size: 64
    .name:           _ZN7rocprim17ROCPRIM_400000_NS6detail17trampoline_kernelINS0_14default_configENS1_27scan_by_key_config_selectorIisEEZZNS1_16scan_by_key_implILNS1_25lookback_scan_determinismE0ELb0ES3_N6thrust23THRUST_200600_302600_NS6detail15normal_iteratorINS9_10device_ptrIiEEEENSB_INSC_IsEEEESG_sNS9_4plusIvEENS9_8equal_toIvEEsEE10hipError_tPvRmT2_T3_T4_T5_mT6_T7_P12ihipStream_tbENKUlT_T0_E_clISt17integral_constantIbLb0EES10_IbLb1EEEEDaSW_SX_EUlSW_E_NS1_11comp_targetILNS1_3genE4ELNS1_11target_archE910ELNS1_3gpuE8ELNS1_3repE0EEENS1_30default_config_static_selectorELNS0_4arch9wavefront6targetE0EEEvT1_
    .private_segment_fixed_size: 0
    .sgpr_count:     0
    .sgpr_spill_count: 0
    .symbol:         _ZN7rocprim17ROCPRIM_400000_NS6detail17trampoline_kernelINS0_14default_configENS1_27scan_by_key_config_selectorIisEEZZNS1_16scan_by_key_implILNS1_25lookback_scan_determinismE0ELb0ES3_N6thrust23THRUST_200600_302600_NS6detail15normal_iteratorINS9_10device_ptrIiEEEENSB_INSC_IsEEEESG_sNS9_4plusIvEENS9_8equal_toIvEEsEE10hipError_tPvRmT2_T3_T4_T5_mT6_T7_P12ihipStream_tbENKUlT_T0_E_clISt17integral_constantIbLb0EES10_IbLb1EEEEDaSW_SX_EUlSW_E_NS1_11comp_targetILNS1_3genE4ELNS1_11target_archE910ELNS1_3gpuE8ELNS1_3repE0EEENS1_30default_config_static_selectorELNS0_4arch9wavefront6targetE0EEEvT1_.kd
    .uniform_work_group_size: 1
    .uses_dynamic_stack: false
    .vgpr_count:     0
    .vgpr_spill_count: 0
    .wavefront_size: 32
  - .args:
      - .offset:         0
        .size:           112
        .value_kind:     by_value
    .group_segment_fixed_size: 0
    .kernarg_segment_align: 8
    .kernarg_segment_size: 112
    .language:       OpenCL C
    .language_version:
      - 2
      - 0
    .max_flat_workgroup_size: 256
    .name:           _ZN7rocprim17ROCPRIM_400000_NS6detail17trampoline_kernelINS0_14default_configENS1_27scan_by_key_config_selectorIisEEZZNS1_16scan_by_key_implILNS1_25lookback_scan_determinismE0ELb0ES3_N6thrust23THRUST_200600_302600_NS6detail15normal_iteratorINS9_10device_ptrIiEEEENSB_INSC_IsEEEESG_sNS9_4plusIvEENS9_8equal_toIvEEsEE10hipError_tPvRmT2_T3_T4_T5_mT6_T7_P12ihipStream_tbENKUlT_T0_E_clISt17integral_constantIbLb0EES10_IbLb1EEEEDaSW_SX_EUlSW_E_NS1_11comp_targetILNS1_3genE3ELNS1_11target_archE908ELNS1_3gpuE7ELNS1_3repE0EEENS1_30default_config_static_selectorELNS0_4arch9wavefront6targetE0EEEvT1_
    .private_segment_fixed_size: 0
    .sgpr_count:     0
    .sgpr_spill_count: 0
    .symbol:         _ZN7rocprim17ROCPRIM_400000_NS6detail17trampoline_kernelINS0_14default_configENS1_27scan_by_key_config_selectorIisEEZZNS1_16scan_by_key_implILNS1_25lookback_scan_determinismE0ELb0ES3_N6thrust23THRUST_200600_302600_NS6detail15normal_iteratorINS9_10device_ptrIiEEEENSB_INSC_IsEEEESG_sNS9_4plusIvEENS9_8equal_toIvEEsEE10hipError_tPvRmT2_T3_T4_T5_mT6_T7_P12ihipStream_tbENKUlT_T0_E_clISt17integral_constantIbLb0EES10_IbLb1EEEEDaSW_SX_EUlSW_E_NS1_11comp_targetILNS1_3genE3ELNS1_11target_archE908ELNS1_3gpuE7ELNS1_3repE0EEENS1_30default_config_static_selectorELNS0_4arch9wavefront6targetE0EEEvT1_.kd
    .uniform_work_group_size: 1
    .uses_dynamic_stack: false
    .vgpr_count:     0
    .vgpr_spill_count: 0
    .wavefront_size: 32
  - .args:
      - .offset:         0
        .size:           112
        .value_kind:     by_value
    .group_segment_fixed_size: 0
    .kernarg_segment_align: 8
    .kernarg_segment_size: 112
    .language:       OpenCL C
    .language_version:
      - 2
      - 0
    .max_flat_workgroup_size: 64
    .name:           _ZN7rocprim17ROCPRIM_400000_NS6detail17trampoline_kernelINS0_14default_configENS1_27scan_by_key_config_selectorIisEEZZNS1_16scan_by_key_implILNS1_25lookback_scan_determinismE0ELb0ES3_N6thrust23THRUST_200600_302600_NS6detail15normal_iteratorINS9_10device_ptrIiEEEENSB_INSC_IsEEEESG_sNS9_4plusIvEENS9_8equal_toIvEEsEE10hipError_tPvRmT2_T3_T4_T5_mT6_T7_P12ihipStream_tbENKUlT_T0_E_clISt17integral_constantIbLb0EES10_IbLb1EEEEDaSW_SX_EUlSW_E_NS1_11comp_targetILNS1_3genE2ELNS1_11target_archE906ELNS1_3gpuE6ELNS1_3repE0EEENS1_30default_config_static_selectorELNS0_4arch9wavefront6targetE0EEEvT1_
    .private_segment_fixed_size: 0
    .sgpr_count:     0
    .sgpr_spill_count: 0
    .symbol:         _ZN7rocprim17ROCPRIM_400000_NS6detail17trampoline_kernelINS0_14default_configENS1_27scan_by_key_config_selectorIisEEZZNS1_16scan_by_key_implILNS1_25lookback_scan_determinismE0ELb0ES3_N6thrust23THRUST_200600_302600_NS6detail15normal_iteratorINS9_10device_ptrIiEEEENSB_INSC_IsEEEESG_sNS9_4plusIvEENS9_8equal_toIvEEsEE10hipError_tPvRmT2_T3_T4_T5_mT6_T7_P12ihipStream_tbENKUlT_T0_E_clISt17integral_constantIbLb0EES10_IbLb1EEEEDaSW_SX_EUlSW_E_NS1_11comp_targetILNS1_3genE2ELNS1_11target_archE906ELNS1_3gpuE6ELNS1_3repE0EEENS1_30default_config_static_selectorELNS0_4arch9wavefront6targetE0EEEvT1_.kd
    .uniform_work_group_size: 1
    .uses_dynamic_stack: false
    .vgpr_count:     0
    .vgpr_spill_count: 0
    .wavefront_size: 32
  - .args:
      - .offset:         0
        .size:           112
        .value_kind:     by_value
    .group_segment_fixed_size: 0
    .kernarg_segment_align: 8
    .kernarg_segment_size: 112
    .language:       OpenCL C
    .language_version:
      - 2
      - 0
    .max_flat_workgroup_size: 256
    .name:           _ZN7rocprim17ROCPRIM_400000_NS6detail17trampoline_kernelINS0_14default_configENS1_27scan_by_key_config_selectorIisEEZZNS1_16scan_by_key_implILNS1_25lookback_scan_determinismE0ELb0ES3_N6thrust23THRUST_200600_302600_NS6detail15normal_iteratorINS9_10device_ptrIiEEEENSB_INSC_IsEEEESG_sNS9_4plusIvEENS9_8equal_toIvEEsEE10hipError_tPvRmT2_T3_T4_T5_mT6_T7_P12ihipStream_tbENKUlT_T0_E_clISt17integral_constantIbLb0EES10_IbLb1EEEEDaSW_SX_EUlSW_E_NS1_11comp_targetILNS1_3genE10ELNS1_11target_archE1200ELNS1_3gpuE4ELNS1_3repE0EEENS1_30default_config_static_selectorELNS0_4arch9wavefront6targetE0EEEvT1_
    .private_segment_fixed_size: 0
    .sgpr_count:     0
    .sgpr_spill_count: 0
    .symbol:         _ZN7rocprim17ROCPRIM_400000_NS6detail17trampoline_kernelINS0_14default_configENS1_27scan_by_key_config_selectorIisEEZZNS1_16scan_by_key_implILNS1_25lookback_scan_determinismE0ELb0ES3_N6thrust23THRUST_200600_302600_NS6detail15normal_iteratorINS9_10device_ptrIiEEEENSB_INSC_IsEEEESG_sNS9_4plusIvEENS9_8equal_toIvEEsEE10hipError_tPvRmT2_T3_T4_T5_mT6_T7_P12ihipStream_tbENKUlT_T0_E_clISt17integral_constantIbLb0EES10_IbLb1EEEEDaSW_SX_EUlSW_E_NS1_11comp_targetILNS1_3genE10ELNS1_11target_archE1200ELNS1_3gpuE4ELNS1_3repE0EEENS1_30default_config_static_selectorELNS0_4arch9wavefront6targetE0EEEvT1_.kd
    .uniform_work_group_size: 1
    .uses_dynamic_stack: false
    .vgpr_count:     0
    .vgpr_spill_count: 0
    .wavefront_size: 32
  - .args:
      - .offset:         0
        .size:           112
        .value_kind:     by_value
    .group_segment_fixed_size: 0
    .kernarg_segment_align: 8
    .kernarg_segment_size: 112
    .language:       OpenCL C
    .language_version:
      - 2
      - 0
    .max_flat_workgroup_size: 64
    .name:           _ZN7rocprim17ROCPRIM_400000_NS6detail17trampoline_kernelINS0_14default_configENS1_27scan_by_key_config_selectorIisEEZZNS1_16scan_by_key_implILNS1_25lookback_scan_determinismE0ELb0ES3_N6thrust23THRUST_200600_302600_NS6detail15normal_iteratorINS9_10device_ptrIiEEEENSB_INSC_IsEEEESG_sNS9_4plusIvEENS9_8equal_toIvEEsEE10hipError_tPvRmT2_T3_T4_T5_mT6_T7_P12ihipStream_tbENKUlT_T0_E_clISt17integral_constantIbLb0EES10_IbLb1EEEEDaSW_SX_EUlSW_E_NS1_11comp_targetILNS1_3genE9ELNS1_11target_archE1100ELNS1_3gpuE3ELNS1_3repE0EEENS1_30default_config_static_selectorELNS0_4arch9wavefront6targetE0EEEvT1_
    .private_segment_fixed_size: 0
    .sgpr_count:     0
    .sgpr_spill_count: 0
    .symbol:         _ZN7rocprim17ROCPRIM_400000_NS6detail17trampoline_kernelINS0_14default_configENS1_27scan_by_key_config_selectorIisEEZZNS1_16scan_by_key_implILNS1_25lookback_scan_determinismE0ELb0ES3_N6thrust23THRUST_200600_302600_NS6detail15normal_iteratorINS9_10device_ptrIiEEEENSB_INSC_IsEEEESG_sNS9_4plusIvEENS9_8equal_toIvEEsEE10hipError_tPvRmT2_T3_T4_T5_mT6_T7_P12ihipStream_tbENKUlT_T0_E_clISt17integral_constantIbLb0EES10_IbLb1EEEEDaSW_SX_EUlSW_E_NS1_11comp_targetILNS1_3genE9ELNS1_11target_archE1100ELNS1_3gpuE3ELNS1_3repE0EEENS1_30default_config_static_selectorELNS0_4arch9wavefront6targetE0EEEvT1_.kd
    .uniform_work_group_size: 1
    .uses_dynamic_stack: false
    .vgpr_count:     0
    .vgpr_spill_count: 0
    .wavefront_size: 32
  - .args:
      - .offset:         0
        .size:           112
        .value_kind:     by_value
    .group_segment_fixed_size: 0
    .kernarg_segment_align: 8
    .kernarg_segment_size: 112
    .language:       OpenCL C
    .language_version:
      - 2
      - 0
    .max_flat_workgroup_size: 64
    .name:           _ZN7rocprim17ROCPRIM_400000_NS6detail17trampoline_kernelINS0_14default_configENS1_27scan_by_key_config_selectorIisEEZZNS1_16scan_by_key_implILNS1_25lookback_scan_determinismE0ELb0ES3_N6thrust23THRUST_200600_302600_NS6detail15normal_iteratorINS9_10device_ptrIiEEEENSB_INSC_IsEEEESG_sNS9_4plusIvEENS9_8equal_toIvEEsEE10hipError_tPvRmT2_T3_T4_T5_mT6_T7_P12ihipStream_tbENKUlT_T0_E_clISt17integral_constantIbLb0EES10_IbLb1EEEEDaSW_SX_EUlSW_E_NS1_11comp_targetILNS1_3genE8ELNS1_11target_archE1030ELNS1_3gpuE2ELNS1_3repE0EEENS1_30default_config_static_selectorELNS0_4arch9wavefront6targetE0EEEvT1_
    .private_segment_fixed_size: 0
    .sgpr_count:     0
    .sgpr_spill_count: 0
    .symbol:         _ZN7rocprim17ROCPRIM_400000_NS6detail17trampoline_kernelINS0_14default_configENS1_27scan_by_key_config_selectorIisEEZZNS1_16scan_by_key_implILNS1_25lookback_scan_determinismE0ELb0ES3_N6thrust23THRUST_200600_302600_NS6detail15normal_iteratorINS9_10device_ptrIiEEEENSB_INSC_IsEEEESG_sNS9_4plusIvEENS9_8equal_toIvEEsEE10hipError_tPvRmT2_T3_T4_T5_mT6_T7_P12ihipStream_tbENKUlT_T0_E_clISt17integral_constantIbLb0EES10_IbLb1EEEEDaSW_SX_EUlSW_E_NS1_11comp_targetILNS1_3genE8ELNS1_11target_archE1030ELNS1_3gpuE2ELNS1_3repE0EEENS1_30default_config_static_selectorELNS0_4arch9wavefront6targetE0EEEvT1_.kd
    .uniform_work_group_size: 1
    .uses_dynamic_stack: false
    .vgpr_count:     0
    .vgpr_spill_count: 0
    .wavefront_size: 32
  - .args:
      - .offset:         0
        .size:           136
        .value_kind:     by_value
    .group_segment_fixed_size: 10240
    .kernarg_segment_align: 8
    .kernarg_segment_size: 136
    .language:       OpenCL C
    .language_version:
      - 2
      - 0
    .max_flat_workgroup_size: 128
    .name:           _ZN7rocprim17ROCPRIM_400000_NS6detail17trampoline_kernelINS0_14default_configENS1_27scan_by_key_config_selectorIidEEZZNS1_16scan_by_key_implILNS1_25lookback_scan_determinismE0ELb1ES3_N6thrust23THRUST_200600_302600_NS6detail15normal_iteratorINS9_10device_ptrIiEEEENSB_INSC_IdEEEESG_dNS9_4plusIvEENS9_8equal_toIvEEdEE10hipError_tPvRmT2_T3_T4_T5_mT6_T7_P12ihipStream_tbENKUlT_T0_E_clISt17integral_constantIbLb0EES11_EEDaSW_SX_EUlSW_E_NS1_11comp_targetILNS1_3genE0ELNS1_11target_archE4294967295ELNS1_3gpuE0ELNS1_3repE0EEENS1_30default_config_static_selectorELNS0_4arch9wavefront6targetE0EEEvT1_
    .private_segment_fixed_size: 0
    .sgpr_count:     51
    .sgpr_spill_count: 0
    .symbol:         _ZN7rocprim17ROCPRIM_400000_NS6detail17trampoline_kernelINS0_14default_configENS1_27scan_by_key_config_selectorIidEEZZNS1_16scan_by_key_implILNS1_25lookback_scan_determinismE0ELb1ES3_N6thrust23THRUST_200600_302600_NS6detail15normal_iteratorINS9_10device_ptrIiEEEENSB_INSC_IdEEEESG_dNS9_4plusIvEENS9_8equal_toIvEEdEE10hipError_tPvRmT2_T3_T4_T5_mT6_T7_P12ihipStream_tbENKUlT_T0_E_clISt17integral_constantIbLb0EES11_EEDaSW_SX_EUlSW_E_NS1_11comp_targetILNS1_3genE0ELNS1_11target_archE4294967295ELNS1_3gpuE0ELNS1_3repE0EEENS1_30default_config_static_selectorELNS0_4arch9wavefront6targetE0EEEvT1_.kd
    .uniform_work_group_size: 1
    .uses_dynamic_stack: false
    .vgpr_count:     75
    .vgpr_spill_count: 0
    .wavefront_size: 32
  - .args:
      - .offset:         0
        .size:           136
        .value_kind:     by_value
    .group_segment_fixed_size: 0
    .kernarg_segment_align: 8
    .kernarg_segment_size: 136
    .language:       OpenCL C
    .language_version:
      - 2
      - 0
    .max_flat_workgroup_size: 256
    .name:           _ZN7rocprim17ROCPRIM_400000_NS6detail17trampoline_kernelINS0_14default_configENS1_27scan_by_key_config_selectorIidEEZZNS1_16scan_by_key_implILNS1_25lookback_scan_determinismE0ELb1ES3_N6thrust23THRUST_200600_302600_NS6detail15normal_iteratorINS9_10device_ptrIiEEEENSB_INSC_IdEEEESG_dNS9_4plusIvEENS9_8equal_toIvEEdEE10hipError_tPvRmT2_T3_T4_T5_mT6_T7_P12ihipStream_tbENKUlT_T0_E_clISt17integral_constantIbLb0EES11_EEDaSW_SX_EUlSW_E_NS1_11comp_targetILNS1_3genE10ELNS1_11target_archE1201ELNS1_3gpuE5ELNS1_3repE0EEENS1_30default_config_static_selectorELNS0_4arch9wavefront6targetE0EEEvT1_
    .private_segment_fixed_size: 0
    .sgpr_count:     0
    .sgpr_spill_count: 0
    .symbol:         _ZN7rocprim17ROCPRIM_400000_NS6detail17trampoline_kernelINS0_14default_configENS1_27scan_by_key_config_selectorIidEEZZNS1_16scan_by_key_implILNS1_25lookback_scan_determinismE0ELb1ES3_N6thrust23THRUST_200600_302600_NS6detail15normal_iteratorINS9_10device_ptrIiEEEENSB_INSC_IdEEEESG_dNS9_4plusIvEENS9_8equal_toIvEEdEE10hipError_tPvRmT2_T3_T4_T5_mT6_T7_P12ihipStream_tbENKUlT_T0_E_clISt17integral_constantIbLb0EES11_EEDaSW_SX_EUlSW_E_NS1_11comp_targetILNS1_3genE10ELNS1_11target_archE1201ELNS1_3gpuE5ELNS1_3repE0EEENS1_30default_config_static_selectorELNS0_4arch9wavefront6targetE0EEEvT1_.kd
    .uniform_work_group_size: 1
    .uses_dynamic_stack: false
    .vgpr_count:     0
    .vgpr_spill_count: 0
    .wavefront_size: 32
  - .args:
      - .offset:         0
        .size:           136
        .value_kind:     by_value
    .group_segment_fixed_size: 0
    .kernarg_segment_align: 8
    .kernarg_segment_size: 136
    .language:       OpenCL C
    .language_version:
      - 2
      - 0
    .max_flat_workgroup_size: 256
    .name:           _ZN7rocprim17ROCPRIM_400000_NS6detail17trampoline_kernelINS0_14default_configENS1_27scan_by_key_config_selectorIidEEZZNS1_16scan_by_key_implILNS1_25lookback_scan_determinismE0ELb1ES3_N6thrust23THRUST_200600_302600_NS6detail15normal_iteratorINS9_10device_ptrIiEEEENSB_INSC_IdEEEESG_dNS9_4plusIvEENS9_8equal_toIvEEdEE10hipError_tPvRmT2_T3_T4_T5_mT6_T7_P12ihipStream_tbENKUlT_T0_E_clISt17integral_constantIbLb0EES11_EEDaSW_SX_EUlSW_E_NS1_11comp_targetILNS1_3genE5ELNS1_11target_archE942ELNS1_3gpuE9ELNS1_3repE0EEENS1_30default_config_static_selectorELNS0_4arch9wavefront6targetE0EEEvT1_
    .private_segment_fixed_size: 0
    .sgpr_count:     0
    .sgpr_spill_count: 0
    .symbol:         _ZN7rocprim17ROCPRIM_400000_NS6detail17trampoline_kernelINS0_14default_configENS1_27scan_by_key_config_selectorIidEEZZNS1_16scan_by_key_implILNS1_25lookback_scan_determinismE0ELb1ES3_N6thrust23THRUST_200600_302600_NS6detail15normal_iteratorINS9_10device_ptrIiEEEENSB_INSC_IdEEEESG_dNS9_4plusIvEENS9_8equal_toIvEEdEE10hipError_tPvRmT2_T3_T4_T5_mT6_T7_P12ihipStream_tbENKUlT_T0_E_clISt17integral_constantIbLb0EES11_EEDaSW_SX_EUlSW_E_NS1_11comp_targetILNS1_3genE5ELNS1_11target_archE942ELNS1_3gpuE9ELNS1_3repE0EEENS1_30default_config_static_selectorELNS0_4arch9wavefront6targetE0EEEvT1_.kd
    .uniform_work_group_size: 1
    .uses_dynamic_stack: false
    .vgpr_count:     0
    .vgpr_spill_count: 0
    .wavefront_size: 32
  - .args:
      - .offset:         0
        .size:           136
        .value_kind:     by_value
    .group_segment_fixed_size: 0
    .kernarg_segment_align: 8
    .kernarg_segment_size: 136
    .language:       OpenCL C
    .language_version:
      - 2
      - 0
    .max_flat_workgroup_size: 64
    .name:           _ZN7rocprim17ROCPRIM_400000_NS6detail17trampoline_kernelINS0_14default_configENS1_27scan_by_key_config_selectorIidEEZZNS1_16scan_by_key_implILNS1_25lookback_scan_determinismE0ELb1ES3_N6thrust23THRUST_200600_302600_NS6detail15normal_iteratorINS9_10device_ptrIiEEEENSB_INSC_IdEEEESG_dNS9_4plusIvEENS9_8equal_toIvEEdEE10hipError_tPvRmT2_T3_T4_T5_mT6_T7_P12ihipStream_tbENKUlT_T0_E_clISt17integral_constantIbLb0EES11_EEDaSW_SX_EUlSW_E_NS1_11comp_targetILNS1_3genE4ELNS1_11target_archE910ELNS1_3gpuE8ELNS1_3repE0EEENS1_30default_config_static_selectorELNS0_4arch9wavefront6targetE0EEEvT1_
    .private_segment_fixed_size: 0
    .sgpr_count:     0
    .sgpr_spill_count: 0
    .symbol:         _ZN7rocprim17ROCPRIM_400000_NS6detail17trampoline_kernelINS0_14default_configENS1_27scan_by_key_config_selectorIidEEZZNS1_16scan_by_key_implILNS1_25lookback_scan_determinismE0ELb1ES3_N6thrust23THRUST_200600_302600_NS6detail15normal_iteratorINS9_10device_ptrIiEEEENSB_INSC_IdEEEESG_dNS9_4plusIvEENS9_8equal_toIvEEdEE10hipError_tPvRmT2_T3_T4_T5_mT6_T7_P12ihipStream_tbENKUlT_T0_E_clISt17integral_constantIbLb0EES11_EEDaSW_SX_EUlSW_E_NS1_11comp_targetILNS1_3genE4ELNS1_11target_archE910ELNS1_3gpuE8ELNS1_3repE0EEENS1_30default_config_static_selectorELNS0_4arch9wavefront6targetE0EEEvT1_.kd
    .uniform_work_group_size: 1
    .uses_dynamic_stack: false
    .vgpr_count:     0
    .vgpr_spill_count: 0
    .wavefront_size: 32
  - .args:
      - .offset:         0
        .size:           136
        .value_kind:     by_value
    .group_segment_fixed_size: 0
    .kernarg_segment_align: 8
    .kernarg_segment_size: 136
    .language:       OpenCL C
    .language_version:
      - 2
      - 0
    .max_flat_workgroup_size: 128
    .name:           _ZN7rocprim17ROCPRIM_400000_NS6detail17trampoline_kernelINS0_14default_configENS1_27scan_by_key_config_selectorIidEEZZNS1_16scan_by_key_implILNS1_25lookback_scan_determinismE0ELb1ES3_N6thrust23THRUST_200600_302600_NS6detail15normal_iteratorINS9_10device_ptrIiEEEENSB_INSC_IdEEEESG_dNS9_4plusIvEENS9_8equal_toIvEEdEE10hipError_tPvRmT2_T3_T4_T5_mT6_T7_P12ihipStream_tbENKUlT_T0_E_clISt17integral_constantIbLb0EES11_EEDaSW_SX_EUlSW_E_NS1_11comp_targetILNS1_3genE3ELNS1_11target_archE908ELNS1_3gpuE7ELNS1_3repE0EEENS1_30default_config_static_selectorELNS0_4arch9wavefront6targetE0EEEvT1_
    .private_segment_fixed_size: 0
    .sgpr_count:     0
    .sgpr_spill_count: 0
    .symbol:         _ZN7rocprim17ROCPRIM_400000_NS6detail17trampoline_kernelINS0_14default_configENS1_27scan_by_key_config_selectorIidEEZZNS1_16scan_by_key_implILNS1_25lookback_scan_determinismE0ELb1ES3_N6thrust23THRUST_200600_302600_NS6detail15normal_iteratorINS9_10device_ptrIiEEEENSB_INSC_IdEEEESG_dNS9_4plusIvEENS9_8equal_toIvEEdEE10hipError_tPvRmT2_T3_T4_T5_mT6_T7_P12ihipStream_tbENKUlT_T0_E_clISt17integral_constantIbLb0EES11_EEDaSW_SX_EUlSW_E_NS1_11comp_targetILNS1_3genE3ELNS1_11target_archE908ELNS1_3gpuE7ELNS1_3repE0EEENS1_30default_config_static_selectorELNS0_4arch9wavefront6targetE0EEEvT1_.kd
    .uniform_work_group_size: 1
    .uses_dynamic_stack: false
    .vgpr_count:     0
    .vgpr_spill_count: 0
    .wavefront_size: 32
  - .args:
      - .offset:         0
        .size:           136
        .value_kind:     by_value
    .group_segment_fixed_size: 0
    .kernarg_segment_align: 8
    .kernarg_segment_size: 136
    .language:       OpenCL C
    .language_version:
      - 2
      - 0
    .max_flat_workgroup_size: 64
    .name:           _ZN7rocprim17ROCPRIM_400000_NS6detail17trampoline_kernelINS0_14default_configENS1_27scan_by_key_config_selectorIidEEZZNS1_16scan_by_key_implILNS1_25lookback_scan_determinismE0ELb1ES3_N6thrust23THRUST_200600_302600_NS6detail15normal_iteratorINS9_10device_ptrIiEEEENSB_INSC_IdEEEESG_dNS9_4plusIvEENS9_8equal_toIvEEdEE10hipError_tPvRmT2_T3_T4_T5_mT6_T7_P12ihipStream_tbENKUlT_T0_E_clISt17integral_constantIbLb0EES11_EEDaSW_SX_EUlSW_E_NS1_11comp_targetILNS1_3genE2ELNS1_11target_archE906ELNS1_3gpuE6ELNS1_3repE0EEENS1_30default_config_static_selectorELNS0_4arch9wavefront6targetE0EEEvT1_
    .private_segment_fixed_size: 0
    .sgpr_count:     0
    .sgpr_spill_count: 0
    .symbol:         _ZN7rocprim17ROCPRIM_400000_NS6detail17trampoline_kernelINS0_14default_configENS1_27scan_by_key_config_selectorIidEEZZNS1_16scan_by_key_implILNS1_25lookback_scan_determinismE0ELb1ES3_N6thrust23THRUST_200600_302600_NS6detail15normal_iteratorINS9_10device_ptrIiEEEENSB_INSC_IdEEEESG_dNS9_4plusIvEENS9_8equal_toIvEEdEE10hipError_tPvRmT2_T3_T4_T5_mT6_T7_P12ihipStream_tbENKUlT_T0_E_clISt17integral_constantIbLb0EES11_EEDaSW_SX_EUlSW_E_NS1_11comp_targetILNS1_3genE2ELNS1_11target_archE906ELNS1_3gpuE6ELNS1_3repE0EEENS1_30default_config_static_selectorELNS0_4arch9wavefront6targetE0EEEvT1_.kd
    .uniform_work_group_size: 1
    .uses_dynamic_stack: false
    .vgpr_count:     0
    .vgpr_spill_count: 0
    .wavefront_size: 32
  - .args:
      - .offset:         0
        .size:           136
        .value_kind:     by_value
    .group_segment_fixed_size: 0
    .kernarg_segment_align: 8
    .kernarg_segment_size: 136
    .language:       OpenCL C
    .language_version:
      - 2
      - 0
    .max_flat_workgroup_size: 256
    .name:           _ZN7rocprim17ROCPRIM_400000_NS6detail17trampoline_kernelINS0_14default_configENS1_27scan_by_key_config_selectorIidEEZZNS1_16scan_by_key_implILNS1_25lookback_scan_determinismE0ELb1ES3_N6thrust23THRUST_200600_302600_NS6detail15normal_iteratorINS9_10device_ptrIiEEEENSB_INSC_IdEEEESG_dNS9_4plusIvEENS9_8equal_toIvEEdEE10hipError_tPvRmT2_T3_T4_T5_mT6_T7_P12ihipStream_tbENKUlT_T0_E_clISt17integral_constantIbLb0EES11_EEDaSW_SX_EUlSW_E_NS1_11comp_targetILNS1_3genE10ELNS1_11target_archE1200ELNS1_3gpuE4ELNS1_3repE0EEENS1_30default_config_static_selectorELNS0_4arch9wavefront6targetE0EEEvT1_
    .private_segment_fixed_size: 0
    .sgpr_count:     0
    .sgpr_spill_count: 0
    .symbol:         _ZN7rocprim17ROCPRIM_400000_NS6detail17trampoline_kernelINS0_14default_configENS1_27scan_by_key_config_selectorIidEEZZNS1_16scan_by_key_implILNS1_25lookback_scan_determinismE0ELb1ES3_N6thrust23THRUST_200600_302600_NS6detail15normal_iteratorINS9_10device_ptrIiEEEENSB_INSC_IdEEEESG_dNS9_4plusIvEENS9_8equal_toIvEEdEE10hipError_tPvRmT2_T3_T4_T5_mT6_T7_P12ihipStream_tbENKUlT_T0_E_clISt17integral_constantIbLb0EES11_EEDaSW_SX_EUlSW_E_NS1_11comp_targetILNS1_3genE10ELNS1_11target_archE1200ELNS1_3gpuE4ELNS1_3repE0EEENS1_30default_config_static_selectorELNS0_4arch9wavefront6targetE0EEEvT1_.kd
    .uniform_work_group_size: 1
    .uses_dynamic_stack: false
    .vgpr_count:     0
    .vgpr_spill_count: 0
    .wavefront_size: 32
  - .args:
      - .offset:         0
        .size:           136
        .value_kind:     by_value
    .group_segment_fixed_size: 0
    .kernarg_segment_align: 8
    .kernarg_segment_size: 136
    .language:       OpenCL C
    .language_version:
      - 2
      - 0
    .max_flat_workgroup_size: 256
    .name:           _ZN7rocprim17ROCPRIM_400000_NS6detail17trampoline_kernelINS0_14default_configENS1_27scan_by_key_config_selectorIidEEZZNS1_16scan_by_key_implILNS1_25lookback_scan_determinismE0ELb1ES3_N6thrust23THRUST_200600_302600_NS6detail15normal_iteratorINS9_10device_ptrIiEEEENSB_INSC_IdEEEESG_dNS9_4plusIvEENS9_8equal_toIvEEdEE10hipError_tPvRmT2_T3_T4_T5_mT6_T7_P12ihipStream_tbENKUlT_T0_E_clISt17integral_constantIbLb0EES11_EEDaSW_SX_EUlSW_E_NS1_11comp_targetILNS1_3genE9ELNS1_11target_archE1100ELNS1_3gpuE3ELNS1_3repE0EEENS1_30default_config_static_selectorELNS0_4arch9wavefront6targetE0EEEvT1_
    .private_segment_fixed_size: 0
    .sgpr_count:     0
    .sgpr_spill_count: 0
    .symbol:         _ZN7rocprim17ROCPRIM_400000_NS6detail17trampoline_kernelINS0_14default_configENS1_27scan_by_key_config_selectorIidEEZZNS1_16scan_by_key_implILNS1_25lookback_scan_determinismE0ELb1ES3_N6thrust23THRUST_200600_302600_NS6detail15normal_iteratorINS9_10device_ptrIiEEEENSB_INSC_IdEEEESG_dNS9_4plusIvEENS9_8equal_toIvEEdEE10hipError_tPvRmT2_T3_T4_T5_mT6_T7_P12ihipStream_tbENKUlT_T0_E_clISt17integral_constantIbLb0EES11_EEDaSW_SX_EUlSW_E_NS1_11comp_targetILNS1_3genE9ELNS1_11target_archE1100ELNS1_3gpuE3ELNS1_3repE0EEENS1_30default_config_static_selectorELNS0_4arch9wavefront6targetE0EEEvT1_.kd
    .uniform_work_group_size: 1
    .uses_dynamic_stack: false
    .vgpr_count:     0
    .vgpr_spill_count: 0
    .wavefront_size: 32
  - .args:
      - .offset:         0
        .size:           136
        .value_kind:     by_value
    .group_segment_fixed_size: 0
    .kernarg_segment_align: 8
    .kernarg_segment_size: 136
    .language:       OpenCL C
    .language_version:
      - 2
      - 0
    .max_flat_workgroup_size: 256
    .name:           _ZN7rocprim17ROCPRIM_400000_NS6detail17trampoline_kernelINS0_14default_configENS1_27scan_by_key_config_selectorIidEEZZNS1_16scan_by_key_implILNS1_25lookback_scan_determinismE0ELb1ES3_N6thrust23THRUST_200600_302600_NS6detail15normal_iteratorINS9_10device_ptrIiEEEENSB_INSC_IdEEEESG_dNS9_4plusIvEENS9_8equal_toIvEEdEE10hipError_tPvRmT2_T3_T4_T5_mT6_T7_P12ihipStream_tbENKUlT_T0_E_clISt17integral_constantIbLb0EES11_EEDaSW_SX_EUlSW_E_NS1_11comp_targetILNS1_3genE8ELNS1_11target_archE1030ELNS1_3gpuE2ELNS1_3repE0EEENS1_30default_config_static_selectorELNS0_4arch9wavefront6targetE0EEEvT1_
    .private_segment_fixed_size: 0
    .sgpr_count:     0
    .sgpr_spill_count: 0
    .symbol:         _ZN7rocprim17ROCPRIM_400000_NS6detail17trampoline_kernelINS0_14default_configENS1_27scan_by_key_config_selectorIidEEZZNS1_16scan_by_key_implILNS1_25lookback_scan_determinismE0ELb1ES3_N6thrust23THRUST_200600_302600_NS6detail15normal_iteratorINS9_10device_ptrIiEEEENSB_INSC_IdEEEESG_dNS9_4plusIvEENS9_8equal_toIvEEdEE10hipError_tPvRmT2_T3_T4_T5_mT6_T7_P12ihipStream_tbENKUlT_T0_E_clISt17integral_constantIbLb0EES11_EEDaSW_SX_EUlSW_E_NS1_11comp_targetILNS1_3genE8ELNS1_11target_archE1030ELNS1_3gpuE2ELNS1_3repE0EEENS1_30default_config_static_selectorELNS0_4arch9wavefront6targetE0EEEvT1_.kd
    .uniform_work_group_size: 1
    .uses_dynamic_stack: false
    .vgpr_count:     0
    .vgpr_spill_count: 0
    .wavefront_size: 32
  - .args:
      - .offset:         0
        .size:           136
        .value_kind:     by_value
    .group_segment_fixed_size: 0
    .kernarg_segment_align: 8
    .kernarg_segment_size: 136
    .language:       OpenCL C
    .language_version:
      - 2
      - 0
    .max_flat_workgroup_size: 128
    .name:           _ZN7rocprim17ROCPRIM_400000_NS6detail17trampoline_kernelINS0_14default_configENS1_27scan_by_key_config_selectorIidEEZZNS1_16scan_by_key_implILNS1_25lookback_scan_determinismE0ELb1ES3_N6thrust23THRUST_200600_302600_NS6detail15normal_iteratorINS9_10device_ptrIiEEEENSB_INSC_IdEEEESG_dNS9_4plusIvEENS9_8equal_toIvEEdEE10hipError_tPvRmT2_T3_T4_T5_mT6_T7_P12ihipStream_tbENKUlT_T0_E_clISt17integral_constantIbLb1EES11_EEDaSW_SX_EUlSW_E_NS1_11comp_targetILNS1_3genE0ELNS1_11target_archE4294967295ELNS1_3gpuE0ELNS1_3repE0EEENS1_30default_config_static_selectorELNS0_4arch9wavefront6targetE0EEEvT1_
    .private_segment_fixed_size: 0
    .sgpr_count:     0
    .sgpr_spill_count: 0
    .symbol:         _ZN7rocprim17ROCPRIM_400000_NS6detail17trampoline_kernelINS0_14default_configENS1_27scan_by_key_config_selectorIidEEZZNS1_16scan_by_key_implILNS1_25lookback_scan_determinismE0ELb1ES3_N6thrust23THRUST_200600_302600_NS6detail15normal_iteratorINS9_10device_ptrIiEEEENSB_INSC_IdEEEESG_dNS9_4plusIvEENS9_8equal_toIvEEdEE10hipError_tPvRmT2_T3_T4_T5_mT6_T7_P12ihipStream_tbENKUlT_T0_E_clISt17integral_constantIbLb1EES11_EEDaSW_SX_EUlSW_E_NS1_11comp_targetILNS1_3genE0ELNS1_11target_archE4294967295ELNS1_3gpuE0ELNS1_3repE0EEENS1_30default_config_static_selectorELNS0_4arch9wavefront6targetE0EEEvT1_.kd
    .uniform_work_group_size: 1
    .uses_dynamic_stack: false
    .vgpr_count:     0
    .vgpr_spill_count: 0
    .wavefront_size: 32
  - .args:
      - .offset:         0
        .size:           136
        .value_kind:     by_value
    .group_segment_fixed_size: 0
    .kernarg_segment_align: 8
    .kernarg_segment_size: 136
    .language:       OpenCL C
    .language_version:
      - 2
      - 0
    .max_flat_workgroup_size: 256
    .name:           _ZN7rocprim17ROCPRIM_400000_NS6detail17trampoline_kernelINS0_14default_configENS1_27scan_by_key_config_selectorIidEEZZNS1_16scan_by_key_implILNS1_25lookback_scan_determinismE0ELb1ES3_N6thrust23THRUST_200600_302600_NS6detail15normal_iteratorINS9_10device_ptrIiEEEENSB_INSC_IdEEEESG_dNS9_4plusIvEENS9_8equal_toIvEEdEE10hipError_tPvRmT2_T3_T4_T5_mT6_T7_P12ihipStream_tbENKUlT_T0_E_clISt17integral_constantIbLb1EES11_EEDaSW_SX_EUlSW_E_NS1_11comp_targetILNS1_3genE10ELNS1_11target_archE1201ELNS1_3gpuE5ELNS1_3repE0EEENS1_30default_config_static_selectorELNS0_4arch9wavefront6targetE0EEEvT1_
    .private_segment_fixed_size: 0
    .sgpr_count:     0
    .sgpr_spill_count: 0
    .symbol:         _ZN7rocprim17ROCPRIM_400000_NS6detail17trampoline_kernelINS0_14default_configENS1_27scan_by_key_config_selectorIidEEZZNS1_16scan_by_key_implILNS1_25lookback_scan_determinismE0ELb1ES3_N6thrust23THRUST_200600_302600_NS6detail15normal_iteratorINS9_10device_ptrIiEEEENSB_INSC_IdEEEESG_dNS9_4plusIvEENS9_8equal_toIvEEdEE10hipError_tPvRmT2_T3_T4_T5_mT6_T7_P12ihipStream_tbENKUlT_T0_E_clISt17integral_constantIbLb1EES11_EEDaSW_SX_EUlSW_E_NS1_11comp_targetILNS1_3genE10ELNS1_11target_archE1201ELNS1_3gpuE5ELNS1_3repE0EEENS1_30default_config_static_selectorELNS0_4arch9wavefront6targetE0EEEvT1_.kd
    .uniform_work_group_size: 1
    .uses_dynamic_stack: false
    .vgpr_count:     0
    .vgpr_spill_count: 0
    .wavefront_size: 32
  - .args:
      - .offset:         0
        .size:           136
        .value_kind:     by_value
    .group_segment_fixed_size: 0
    .kernarg_segment_align: 8
    .kernarg_segment_size: 136
    .language:       OpenCL C
    .language_version:
      - 2
      - 0
    .max_flat_workgroup_size: 256
    .name:           _ZN7rocprim17ROCPRIM_400000_NS6detail17trampoline_kernelINS0_14default_configENS1_27scan_by_key_config_selectorIidEEZZNS1_16scan_by_key_implILNS1_25lookback_scan_determinismE0ELb1ES3_N6thrust23THRUST_200600_302600_NS6detail15normal_iteratorINS9_10device_ptrIiEEEENSB_INSC_IdEEEESG_dNS9_4plusIvEENS9_8equal_toIvEEdEE10hipError_tPvRmT2_T3_T4_T5_mT6_T7_P12ihipStream_tbENKUlT_T0_E_clISt17integral_constantIbLb1EES11_EEDaSW_SX_EUlSW_E_NS1_11comp_targetILNS1_3genE5ELNS1_11target_archE942ELNS1_3gpuE9ELNS1_3repE0EEENS1_30default_config_static_selectorELNS0_4arch9wavefront6targetE0EEEvT1_
    .private_segment_fixed_size: 0
    .sgpr_count:     0
    .sgpr_spill_count: 0
    .symbol:         _ZN7rocprim17ROCPRIM_400000_NS6detail17trampoline_kernelINS0_14default_configENS1_27scan_by_key_config_selectorIidEEZZNS1_16scan_by_key_implILNS1_25lookback_scan_determinismE0ELb1ES3_N6thrust23THRUST_200600_302600_NS6detail15normal_iteratorINS9_10device_ptrIiEEEENSB_INSC_IdEEEESG_dNS9_4plusIvEENS9_8equal_toIvEEdEE10hipError_tPvRmT2_T3_T4_T5_mT6_T7_P12ihipStream_tbENKUlT_T0_E_clISt17integral_constantIbLb1EES11_EEDaSW_SX_EUlSW_E_NS1_11comp_targetILNS1_3genE5ELNS1_11target_archE942ELNS1_3gpuE9ELNS1_3repE0EEENS1_30default_config_static_selectorELNS0_4arch9wavefront6targetE0EEEvT1_.kd
    .uniform_work_group_size: 1
    .uses_dynamic_stack: false
    .vgpr_count:     0
    .vgpr_spill_count: 0
    .wavefront_size: 32
  - .args:
      - .offset:         0
        .size:           136
        .value_kind:     by_value
    .group_segment_fixed_size: 0
    .kernarg_segment_align: 8
    .kernarg_segment_size: 136
    .language:       OpenCL C
    .language_version:
      - 2
      - 0
    .max_flat_workgroup_size: 64
    .name:           _ZN7rocprim17ROCPRIM_400000_NS6detail17trampoline_kernelINS0_14default_configENS1_27scan_by_key_config_selectorIidEEZZNS1_16scan_by_key_implILNS1_25lookback_scan_determinismE0ELb1ES3_N6thrust23THRUST_200600_302600_NS6detail15normal_iteratorINS9_10device_ptrIiEEEENSB_INSC_IdEEEESG_dNS9_4plusIvEENS9_8equal_toIvEEdEE10hipError_tPvRmT2_T3_T4_T5_mT6_T7_P12ihipStream_tbENKUlT_T0_E_clISt17integral_constantIbLb1EES11_EEDaSW_SX_EUlSW_E_NS1_11comp_targetILNS1_3genE4ELNS1_11target_archE910ELNS1_3gpuE8ELNS1_3repE0EEENS1_30default_config_static_selectorELNS0_4arch9wavefront6targetE0EEEvT1_
    .private_segment_fixed_size: 0
    .sgpr_count:     0
    .sgpr_spill_count: 0
    .symbol:         _ZN7rocprim17ROCPRIM_400000_NS6detail17trampoline_kernelINS0_14default_configENS1_27scan_by_key_config_selectorIidEEZZNS1_16scan_by_key_implILNS1_25lookback_scan_determinismE0ELb1ES3_N6thrust23THRUST_200600_302600_NS6detail15normal_iteratorINS9_10device_ptrIiEEEENSB_INSC_IdEEEESG_dNS9_4plusIvEENS9_8equal_toIvEEdEE10hipError_tPvRmT2_T3_T4_T5_mT6_T7_P12ihipStream_tbENKUlT_T0_E_clISt17integral_constantIbLb1EES11_EEDaSW_SX_EUlSW_E_NS1_11comp_targetILNS1_3genE4ELNS1_11target_archE910ELNS1_3gpuE8ELNS1_3repE0EEENS1_30default_config_static_selectorELNS0_4arch9wavefront6targetE0EEEvT1_.kd
    .uniform_work_group_size: 1
    .uses_dynamic_stack: false
    .vgpr_count:     0
    .vgpr_spill_count: 0
    .wavefront_size: 32
  - .args:
      - .offset:         0
        .size:           136
        .value_kind:     by_value
    .group_segment_fixed_size: 0
    .kernarg_segment_align: 8
    .kernarg_segment_size: 136
    .language:       OpenCL C
    .language_version:
      - 2
      - 0
    .max_flat_workgroup_size: 128
    .name:           _ZN7rocprim17ROCPRIM_400000_NS6detail17trampoline_kernelINS0_14default_configENS1_27scan_by_key_config_selectorIidEEZZNS1_16scan_by_key_implILNS1_25lookback_scan_determinismE0ELb1ES3_N6thrust23THRUST_200600_302600_NS6detail15normal_iteratorINS9_10device_ptrIiEEEENSB_INSC_IdEEEESG_dNS9_4plusIvEENS9_8equal_toIvEEdEE10hipError_tPvRmT2_T3_T4_T5_mT6_T7_P12ihipStream_tbENKUlT_T0_E_clISt17integral_constantIbLb1EES11_EEDaSW_SX_EUlSW_E_NS1_11comp_targetILNS1_3genE3ELNS1_11target_archE908ELNS1_3gpuE7ELNS1_3repE0EEENS1_30default_config_static_selectorELNS0_4arch9wavefront6targetE0EEEvT1_
    .private_segment_fixed_size: 0
    .sgpr_count:     0
    .sgpr_spill_count: 0
    .symbol:         _ZN7rocprim17ROCPRIM_400000_NS6detail17trampoline_kernelINS0_14default_configENS1_27scan_by_key_config_selectorIidEEZZNS1_16scan_by_key_implILNS1_25lookback_scan_determinismE0ELb1ES3_N6thrust23THRUST_200600_302600_NS6detail15normal_iteratorINS9_10device_ptrIiEEEENSB_INSC_IdEEEESG_dNS9_4plusIvEENS9_8equal_toIvEEdEE10hipError_tPvRmT2_T3_T4_T5_mT6_T7_P12ihipStream_tbENKUlT_T0_E_clISt17integral_constantIbLb1EES11_EEDaSW_SX_EUlSW_E_NS1_11comp_targetILNS1_3genE3ELNS1_11target_archE908ELNS1_3gpuE7ELNS1_3repE0EEENS1_30default_config_static_selectorELNS0_4arch9wavefront6targetE0EEEvT1_.kd
    .uniform_work_group_size: 1
    .uses_dynamic_stack: false
    .vgpr_count:     0
    .vgpr_spill_count: 0
    .wavefront_size: 32
  - .args:
      - .offset:         0
        .size:           136
        .value_kind:     by_value
    .group_segment_fixed_size: 0
    .kernarg_segment_align: 8
    .kernarg_segment_size: 136
    .language:       OpenCL C
    .language_version:
      - 2
      - 0
    .max_flat_workgroup_size: 64
    .name:           _ZN7rocprim17ROCPRIM_400000_NS6detail17trampoline_kernelINS0_14default_configENS1_27scan_by_key_config_selectorIidEEZZNS1_16scan_by_key_implILNS1_25lookback_scan_determinismE0ELb1ES3_N6thrust23THRUST_200600_302600_NS6detail15normal_iteratorINS9_10device_ptrIiEEEENSB_INSC_IdEEEESG_dNS9_4plusIvEENS9_8equal_toIvEEdEE10hipError_tPvRmT2_T3_T4_T5_mT6_T7_P12ihipStream_tbENKUlT_T0_E_clISt17integral_constantIbLb1EES11_EEDaSW_SX_EUlSW_E_NS1_11comp_targetILNS1_3genE2ELNS1_11target_archE906ELNS1_3gpuE6ELNS1_3repE0EEENS1_30default_config_static_selectorELNS0_4arch9wavefront6targetE0EEEvT1_
    .private_segment_fixed_size: 0
    .sgpr_count:     0
    .sgpr_spill_count: 0
    .symbol:         _ZN7rocprim17ROCPRIM_400000_NS6detail17trampoline_kernelINS0_14default_configENS1_27scan_by_key_config_selectorIidEEZZNS1_16scan_by_key_implILNS1_25lookback_scan_determinismE0ELb1ES3_N6thrust23THRUST_200600_302600_NS6detail15normal_iteratorINS9_10device_ptrIiEEEENSB_INSC_IdEEEESG_dNS9_4plusIvEENS9_8equal_toIvEEdEE10hipError_tPvRmT2_T3_T4_T5_mT6_T7_P12ihipStream_tbENKUlT_T0_E_clISt17integral_constantIbLb1EES11_EEDaSW_SX_EUlSW_E_NS1_11comp_targetILNS1_3genE2ELNS1_11target_archE906ELNS1_3gpuE6ELNS1_3repE0EEENS1_30default_config_static_selectorELNS0_4arch9wavefront6targetE0EEEvT1_.kd
    .uniform_work_group_size: 1
    .uses_dynamic_stack: false
    .vgpr_count:     0
    .vgpr_spill_count: 0
    .wavefront_size: 32
  - .args:
      - .offset:         0
        .size:           136
        .value_kind:     by_value
    .group_segment_fixed_size: 0
    .kernarg_segment_align: 8
    .kernarg_segment_size: 136
    .language:       OpenCL C
    .language_version:
      - 2
      - 0
    .max_flat_workgroup_size: 256
    .name:           _ZN7rocprim17ROCPRIM_400000_NS6detail17trampoline_kernelINS0_14default_configENS1_27scan_by_key_config_selectorIidEEZZNS1_16scan_by_key_implILNS1_25lookback_scan_determinismE0ELb1ES3_N6thrust23THRUST_200600_302600_NS6detail15normal_iteratorINS9_10device_ptrIiEEEENSB_INSC_IdEEEESG_dNS9_4plusIvEENS9_8equal_toIvEEdEE10hipError_tPvRmT2_T3_T4_T5_mT6_T7_P12ihipStream_tbENKUlT_T0_E_clISt17integral_constantIbLb1EES11_EEDaSW_SX_EUlSW_E_NS1_11comp_targetILNS1_3genE10ELNS1_11target_archE1200ELNS1_3gpuE4ELNS1_3repE0EEENS1_30default_config_static_selectorELNS0_4arch9wavefront6targetE0EEEvT1_
    .private_segment_fixed_size: 0
    .sgpr_count:     0
    .sgpr_spill_count: 0
    .symbol:         _ZN7rocprim17ROCPRIM_400000_NS6detail17trampoline_kernelINS0_14default_configENS1_27scan_by_key_config_selectorIidEEZZNS1_16scan_by_key_implILNS1_25lookback_scan_determinismE0ELb1ES3_N6thrust23THRUST_200600_302600_NS6detail15normal_iteratorINS9_10device_ptrIiEEEENSB_INSC_IdEEEESG_dNS9_4plusIvEENS9_8equal_toIvEEdEE10hipError_tPvRmT2_T3_T4_T5_mT6_T7_P12ihipStream_tbENKUlT_T0_E_clISt17integral_constantIbLb1EES11_EEDaSW_SX_EUlSW_E_NS1_11comp_targetILNS1_3genE10ELNS1_11target_archE1200ELNS1_3gpuE4ELNS1_3repE0EEENS1_30default_config_static_selectorELNS0_4arch9wavefront6targetE0EEEvT1_.kd
    .uniform_work_group_size: 1
    .uses_dynamic_stack: false
    .vgpr_count:     0
    .vgpr_spill_count: 0
    .wavefront_size: 32
  - .args:
      - .offset:         0
        .size:           136
        .value_kind:     by_value
    .group_segment_fixed_size: 0
    .kernarg_segment_align: 8
    .kernarg_segment_size: 136
    .language:       OpenCL C
    .language_version:
      - 2
      - 0
    .max_flat_workgroup_size: 256
    .name:           _ZN7rocprim17ROCPRIM_400000_NS6detail17trampoline_kernelINS0_14default_configENS1_27scan_by_key_config_selectorIidEEZZNS1_16scan_by_key_implILNS1_25lookback_scan_determinismE0ELb1ES3_N6thrust23THRUST_200600_302600_NS6detail15normal_iteratorINS9_10device_ptrIiEEEENSB_INSC_IdEEEESG_dNS9_4plusIvEENS9_8equal_toIvEEdEE10hipError_tPvRmT2_T3_T4_T5_mT6_T7_P12ihipStream_tbENKUlT_T0_E_clISt17integral_constantIbLb1EES11_EEDaSW_SX_EUlSW_E_NS1_11comp_targetILNS1_3genE9ELNS1_11target_archE1100ELNS1_3gpuE3ELNS1_3repE0EEENS1_30default_config_static_selectorELNS0_4arch9wavefront6targetE0EEEvT1_
    .private_segment_fixed_size: 0
    .sgpr_count:     0
    .sgpr_spill_count: 0
    .symbol:         _ZN7rocprim17ROCPRIM_400000_NS6detail17trampoline_kernelINS0_14default_configENS1_27scan_by_key_config_selectorIidEEZZNS1_16scan_by_key_implILNS1_25lookback_scan_determinismE0ELb1ES3_N6thrust23THRUST_200600_302600_NS6detail15normal_iteratorINS9_10device_ptrIiEEEENSB_INSC_IdEEEESG_dNS9_4plusIvEENS9_8equal_toIvEEdEE10hipError_tPvRmT2_T3_T4_T5_mT6_T7_P12ihipStream_tbENKUlT_T0_E_clISt17integral_constantIbLb1EES11_EEDaSW_SX_EUlSW_E_NS1_11comp_targetILNS1_3genE9ELNS1_11target_archE1100ELNS1_3gpuE3ELNS1_3repE0EEENS1_30default_config_static_selectorELNS0_4arch9wavefront6targetE0EEEvT1_.kd
    .uniform_work_group_size: 1
    .uses_dynamic_stack: false
    .vgpr_count:     0
    .vgpr_spill_count: 0
    .wavefront_size: 32
  - .args:
      - .offset:         0
        .size:           136
        .value_kind:     by_value
    .group_segment_fixed_size: 0
    .kernarg_segment_align: 8
    .kernarg_segment_size: 136
    .language:       OpenCL C
    .language_version:
      - 2
      - 0
    .max_flat_workgroup_size: 256
    .name:           _ZN7rocprim17ROCPRIM_400000_NS6detail17trampoline_kernelINS0_14default_configENS1_27scan_by_key_config_selectorIidEEZZNS1_16scan_by_key_implILNS1_25lookback_scan_determinismE0ELb1ES3_N6thrust23THRUST_200600_302600_NS6detail15normal_iteratorINS9_10device_ptrIiEEEENSB_INSC_IdEEEESG_dNS9_4plusIvEENS9_8equal_toIvEEdEE10hipError_tPvRmT2_T3_T4_T5_mT6_T7_P12ihipStream_tbENKUlT_T0_E_clISt17integral_constantIbLb1EES11_EEDaSW_SX_EUlSW_E_NS1_11comp_targetILNS1_3genE8ELNS1_11target_archE1030ELNS1_3gpuE2ELNS1_3repE0EEENS1_30default_config_static_selectorELNS0_4arch9wavefront6targetE0EEEvT1_
    .private_segment_fixed_size: 0
    .sgpr_count:     0
    .sgpr_spill_count: 0
    .symbol:         _ZN7rocprim17ROCPRIM_400000_NS6detail17trampoline_kernelINS0_14default_configENS1_27scan_by_key_config_selectorIidEEZZNS1_16scan_by_key_implILNS1_25lookback_scan_determinismE0ELb1ES3_N6thrust23THRUST_200600_302600_NS6detail15normal_iteratorINS9_10device_ptrIiEEEENSB_INSC_IdEEEESG_dNS9_4plusIvEENS9_8equal_toIvEEdEE10hipError_tPvRmT2_T3_T4_T5_mT6_T7_P12ihipStream_tbENKUlT_T0_E_clISt17integral_constantIbLb1EES11_EEDaSW_SX_EUlSW_E_NS1_11comp_targetILNS1_3genE8ELNS1_11target_archE1030ELNS1_3gpuE2ELNS1_3repE0EEENS1_30default_config_static_selectorELNS0_4arch9wavefront6targetE0EEEvT1_.kd
    .uniform_work_group_size: 1
    .uses_dynamic_stack: false
    .vgpr_count:     0
    .vgpr_spill_count: 0
    .wavefront_size: 32
  - .args:
      - .offset:         0
        .size:           136
        .value_kind:     by_value
    .group_segment_fixed_size: 0
    .kernarg_segment_align: 8
    .kernarg_segment_size: 136
    .language:       OpenCL C
    .language_version:
      - 2
      - 0
    .max_flat_workgroup_size: 128
    .name:           _ZN7rocprim17ROCPRIM_400000_NS6detail17trampoline_kernelINS0_14default_configENS1_27scan_by_key_config_selectorIidEEZZNS1_16scan_by_key_implILNS1_25lookback_scan_determinismE0ELb1ES3_N6thrust23THRUST_200600_302600_NS6detail15normal_iteratorINS9_10device_ptrIiEEEENSB_INSC_IdEEEESG_dNS9_4plusIvEENS9_8equal_toIvEEdEE10hipError_tPvRmT2_T3_T4_T5_mT6_T7_P12ihipStream_tbENKUlT_T0_E_clISt17integral_constantIbLb1EES10_IbLb0EEEEDaSW_SX_EUlSW_E_NS1_11comp_targetILNS1_3genE0ELNS1_11target_archE4294967295ELNS1_3gpuE0ELNS1_3repE0EEENS1_30default_config_static_selectorELNS0_4arch9wavefront6targetE0EEEvT1_
    .private_segment_fixed_size: 0
    .sgpr_count:     0
    .sgpr_spill_count: 0
    .symbol:         _ZN7rocprim17ROCPRIM_400000_NS6detail17trampoline_kernelINS0_14default_configENS1_27scan_by_key_config_selectorIidEEZZNS1_16scan_by_key_implILNS1_25lookback_scan_determinismE0ELb1ES3_N6thrust23THRUST_200600_302600_NS6detail15normal_iteratorINS9_10device_ptrIiEEEENSB_INSC_IdEEEESG_dNS9_4plusIvEENS9_8equal_toIvEEdEE10hipError_tPvRmT2_T3_T4_T5_mT6_T7_P12ihipStream_tbENKUlT_T0_E_clISt17integral_constantIbLb1EES10_IbLb0EEEEDaSW_SX_EUlSW_E_NS1_11comp_targetILNS1_3genE0ELNS1_11target_archE4294967295ELNS1_3gpuE0ELNS1_3repE0EEENS1_30default_config_static_selectorELNS0_4arch9wavefront6targetE0EEEvT1_.kd
    .uniform_work_group_size: 1
    .uses_dynamic_stack: false
    .vgpr_count:     0
    .vgpr_spill_count: 0
    .wavefront_size: 32
  - .args:
      - .offset:         0
        .size:           136
        .value_kind:     by_value
    .group_segment_fixed_size: 0
    .kernarg_segment_align: 8
    .kernarg_segment_size: 136
    .language:       OpenCL C
    .language_version:
      - 2
      - 0
    .max_flat_workgroup_size: 256
    .name:           _ZN7rocprim17ROCPRIM_400000_NS6detail17trampoline_kernelINS0_14default_configENS1_27scan_by_key_config_selectorIidEEZZNS1_16scan_by_key_implILNS1_25lookback_scan_determinismE0ELb1ES3_N6thrust23THRUST_200600_302600_NS6detail15normal_iteratorINS9_10device_ptrIiEEEENSB_INSC_IdEEEESG_dNS9_4plusIvEENS9_8equal_toIvEEdEE10hipError_tPvRmT2_T3_T4_T5_mT6_T7_P12ihipStream_tbENKUlT_T0_E_clISt17integral_constantIbLb1EES10_IbLb0EEEEDaSW_SX_EUlSW_E_NS1_11comp_targetILNS1_3genE10ELNS1_11target_archE1201ELNS1_3gpuE5ELNS1_3repE0EEENS1_30default_config_static_selectorELNS0_4arch9wavefront6targetE0EEEvT1_
    .private_segment_fixed_size: 0
    .sgpr_count:     0
    .sgpr_spill_count: 0
    .symbol:         _ZN7rocprim17ROCPRIM_400000_NS6detail17trampoline_kernelINS0_14default_configENS1_27scan_by_key_config_selectorIidEEZZNS1_16scan_by_key_implILNS1_25lookback_scan_determinismE0ELb1ES3_N6thrust23THRUST_200600_302600_NS6detail15normal_iteratorINS9_10device_ptrIiEEEENSB_INSC_IdEEEESG_dNS9_4plusIvEENS9_8equal_toIvEEdEE10hipError_tPvRmT2_T3_T4_T5_mT6_T7_P12ihipStream_tbENKUlT_T0_E_clISt17integral_constantIbLb1EES10_IbLb0EEEEDaSW_SX_EUlSW_E_NS1_11comp_targetILNS1_3genE10ELNS1_11target_archE1201ELNS1_3gpuE5ELNS1_3repE0EEENS1_30default_config_static_selectorELNS0_4arch9wavefront6targetE0EEEvT1_.kd
    .uniform_work_group_size: 1
    .uses_dynamic_stack: false
    .vgpr_count:     0
    .vgpr_spill_count: 0
    .wavefront_size: 32
  - .args:
      - .offset:         0
        .size:           136
        .value_kind:     by_value
    .group_segment_fixed_size: 0
    .kernarg_segment_align: 8
    .kernarg_segment_size: 136
    .language:       OpenCL C
    .language_version:
      - 2
      - 0
    .max_flat_workgroup_size: 256
    .name:           _ZN7rocprim17ROCPRIM_400000_NS6detail17trampoline_kernelINS0_14default_configENS1_27scan_by_key_config_selectorIidEEZZNS1_16scan_by_key_implILNS1_25lookback_scan_determinismE0ELb1ES3_N6thrust23THRUST_200600_302600_NS6detail15normal_iteratorINS9_10device_ptrIiEEEENSB_INSC_IdEEEESG_dNS9_4plusIvEENS9_8equal_toIvEEdEE10hipError_tPvRmT2_T3_T4_T5_mT6_T7_P12ihipStream_tbENKUlT_T0_E_clISt17integral_constantIbLb1EES10_IbLb0EEEEDaSW_SX_EUlSW_E_NS1_11comp_targetILNS1_3genE5ELNS1_11target_archE942ELNS1_3gpuE9ELNS1_3repE0EEENS1_30default_config_static_selectorELNS0_4arch9wavefront6targetE0EEEvT1_
    .private_segment_fixed_size: 0
    .sgpr_count:     0
    .sgpr_spill_count: 0
    .symbol:         _ZN7rocprim17ROCPRIM_400000_NS6detail17trampoline_kernelINS0_14default_configENS1_27scan_by_key_config_selectorIidEEZZNS1_16scan_by_key_implILNS1_25lookback_scan_determinismE0ELb1ES3_N6thrust23THRUST_200600_302600_NS6detail15normal_iteratorINS9_10device_ptrIiEEEENSB_INSC_IdEEEESG_dNS9_4plusIvEENS9_8equal_toIvEEdEE10hipError_tPvRmT2_T3_T4_T5_mT6_T7_P12ihipStream_tbENKUlT_T0_E_clISt17integral_constantIbLb1EES10_IbLb0EEEEDaSW_SX_EUlSW_E_NS1_11comp_targetILNS1_3genE5ELNS1_11target_archE942ELNS1_3gpuE9ELNS1_3repE0EEENS1_30default_config_static_selectorELNS0_4arch9wavefront6targetE0EEEvT1_.kd
    .uniform_work_group_size: 1
    .uses_dynamic_stack: false
    .vgpr_count:     0
    .vgpr_spill_count: 0
    .wavefront_size: 32
  - .args:
      - .offset:         0
        .size:           136
        .value_kind:     by_value
    .group_segment_fixed_size: 0
    .kernarg_segment_align: 8
    .kernarg_segment_size: 136
    .language:       OpenCL C
    .language_version:
      - 2
      - 0
    .max_flat_workgroup_size: 64
    .name:           _ZN7rocprim17ROCPRIM_400000_NS6detail17trampoline_kernelINS0_14default_configENS1_27scan_by_key_config_selectorIidEEZZNS1_16scan_by_key_implILNS1_25lookback_scan_determinismE0ELb1ES3_N6thrust23THRUST_200600_302600_NS6detail15normal_iteratorINS9_10device_ptrIiEEEENSB_INSC_IdEEEESG_dNS9_4plusIvEENS9_8equal_toIvEEdEE10hipError_tPvRmT2_T3_T4_T5_mT6_T7_P12ihipStream_tbENKUlT_T0_E_clISt17integral_constantIbLb1EES10_IbLb0EEEEDaSW_SX_EUlSW_E_NS1_11comp_targetILNS1_3genE4ELNS1_11target_archE910ELNS1_3gpuE8ELNS1_3repE0EEENS1_30default_config_static_selectorELNS0_4arch9wavefront6targetE0EEEvT1_
    .private_segment_fixed_size: 0
    .sgpr_count:     0
    .sgpr_spill_count: 0
    .symbol:         _ZN7rocprim17ROCPRIM_400000_NS6detail17trampoline_kernelINS0_14default_configENS1_27scan_by_key_config_selectorIidEEZZNS1_16scan_by_key_implILNS1_25lookback_scan_determinismE0ELb1ES3_N6thrust23THRUST_200600_302600_NS6detail15normal_iteratorINS9_10device_ptrIiEEEENSB_INSC_IdEEEESG_dNS9_4plusIvEENS9_8equal_toIvEEdEE10hipError_tPvRmT2_T3_T4_T5_mT6_T7_P12ihipStream_tbENKUlT_T0_E_clISt17integral_constantIbLb1EES10_IbLb0EEEEDaSW_SX_EUlSW_E_NS1_11comp_targetILNS1_3genE4ELNS1_11target_archE910ELNS1_3gpuE8ELNS1_3repE0EEENS1_30default_config_static_selectorELNS0_4arch9wavefront6targetE0EEEvT1_.kd
    .uniform_work_group_size: 1
    .uses_dynamic_stack: false
    .vgpr_count:     0
    .vgpr_spill_count: 0
    .wavefront_size: 32
  - .args:
      - .offset:         0
        .size:           136
        .value_kind:     by_value
    .group_segment_fixed_size: 0
    .kernarg_segment_align: 8
    .kernarg_segment_size: 136
    .language:       OpenCL C
    .language_version:
      - 2
      - 0
    .max_flat_workgroup_size: 128
    .name:           _ZN7rocprim17ROCPRIM_400000_NS6detail17trampoline_kernelINS0_14default_configENS1_27scan_by_key_config_selectorIidEEZZNS1_16scan_by_key_implILNS1_25lookback_scan_determinismE0ELb1ES3_N6thrust23THRUST_200600_302600_NS6detail15normal_iteratorINS9_10device_ptrIiEEEENSB_INSC_IdEEEESG_dNS9_4plusIvEENS9_8equal_toIvEEdEE10hipError_tPvRmT2_T3_T4_T5_mT6_T7_P12ihipStream_tbENKUlT_T0_E_clISt17integral_constantIbLb1EES10_IbLb0EEEEDaSW_SX_EUlSW_E_NS1_11comp_targetILNS1_3genE3ELNS1_11target_archE908ELNS1_3gpuE7ELNS1_3repE0EEENS1_30default_config_static_selectorELNS0_4arch9wavefront6targetE0EEEvT1_
    .private_segment_fixed_size: 0
    .sgpr_count:     0
    .sgpr_spill_count: 0
    .symbol:         _ZN7rocprim17ROCPRIM_400000_NS6detail17trampoline_kernelINS0_14default_configENS1_27scan_by_key_config_selectorIidEEZZNS1_16scan_by_key_implILNS1_25lookback_scan_determinismE0ELb1ES3_N6thrust23THRUST_200600_302600_NS6detail15normal_iteratorINS9_10device_ptrIiEEEENSB_INSC_IdEEEESG_dNS9_4plusIvEENS9_8equal_toIvEEdEE10hipError_tPvRmT2_T3_T4_T5_mT6_T7_P12ihipStream_tbENKUlT_T0_E_clISt17integral_constantIbLb1EES10_IbLb0EEEEDaSW_SX_EUlSW_E_NS1_11comp_targetILNS1_3genE3ELNS1_11target_archE908ELNS1_3gpuE7ELNS1_3repE0EEENS1_30default_config_static_selectorELNS0_4arch9wavefront6targetE0EEEvT1_.kd
    .uniform_work_group_size: 1
    .uses_dynamic_stack: false
    .vgpr_count:     0
    .vgpr_spill_count: 0
    .wavefront_size: 32
  - .args:
      - .offset:         0
        .size:           136
        .value_kind:     by_value
    .group_segment_fixed_size: 0
    .kernarg_segment_align: 8
    .kernarg_segment_size: 136
    .language:       OpenCL C
    .language_version:
      - 2
      - 0
    .max_flat_workgroup_size: 64
    .name:           _ZN7rocprim17ROCPRIM_400000_NS6detail17trampoline_kernelINS0_14default_configENS1_27scan_by_key_config_selectorIidEEZZNS1_16scan_by_key_implILNS1_25lookback_scan_determinismE0ELb1ES3_N6thrust23THRUST_200600_302600_NS6detail15normal_iteratorINS9_10device_ptrIiEEEENSB_INSC_IdEEEESG_dNS9_4plusIvEENS9_8equal_toIvEEdEE10hipError_tPvRmT2_T3_T4_T5_mT6_T7_P12ihipStream_tbENKUlT_T0_E_clISt17integral_constantIbLb1EES10_IbLb0EEEEDaSW_SX_EUlSW_E_NS1_11comp_targetILNS1_3genE2ELNS1_11target_archE906ELNS1_3gpuE6ELNS1_3repE0EEENS1_30default_config_static_selectorELNS0_4arch9wavefront6targetE0EEEvT1_
    .private_segment_fixed_size: 0
    .sgpr_count:     0
    .sgpr_spill_count: 0
    .symbol:         _ZN7rocprim17ROCPRIM_400000_NS6detail17trampoline_kernelINS0_14default_configENS1_27scan_by_key_config_selectorIidEEZZNS1_16scan_by_key_implILNS1_25lookback_scan_determinismE0ELb1ES3_N6thrust23THRUST_200600_302600_NS6detail15normal_iteratorINS9_10device_ptrIiEEEENSB_INSC_IdEEEESG_dNS9_4plusIvEENS9_8equal_toIvEEdEE10hipError_tPvRmT2_T3_T4_T5_mT6_T7_P12ihipStream_tbENKUlT_T0_E_clISt17integral_constantIbLb1EES10_IbLb0EEEEDaSW_SX_EUlSW_E_NS1_11comp_targetILNS1_3genE2ELNS1_11target_archE906ELNS1_3gpuE6ELNS1_3repE0EEENS1_30default_config_static_selectorELNS0_4arch9wavefront6targetE0EEEvT1_.kd
    .uniform_work_group_size: 1
    .uses_dynamic_stack: false
    .vgpr_count:     0
    .vgpr_spill_count: 0
    .wavefront_size: 32
  - .args:
      - .offset:         0
        .size:           136
        .value_kind:     by_value
    .group_segment_fixed_size: 0
    .kernarg_segment_align: 8
    .kernarg_segment_size: 136
    .language:       OpenCL C
    .language_version:
      - 2
      - 0
    .max_flat_workgroup_size: 256
    .name:           _ZN7rocprim17ROCPRIM_400000_NS6detail17trampoline_kernelINS0_14default_configENS1_27scan_by_key_config_selectorIidEEZZNS1_16scan_by_key_implILNS1_25lookback_scan_determinismE0ELb1ES3_N6thrust23THRUST_200600_302600_NS6detail15normal_iteratorINS9_10device_ptrIiEEEENSB_INSC_IdEEEESG_dNS9_4plusIvEENS9_8equal_toIvEEdEE10hipError_tPvRmT2_T3_T4_T5_mT6_T7_P12ihipStream_tbENKUlT_T0_E_clISt17integral_constantIbLb1EES10_IbLb0EEEEDaSW_SX_EUlSW_E_NS1_11comp_targetILNS1_3genE10ELNS1_11target_archE1200ELNS1_3gpuE4ELNS1_3repE0EEENS1_30default_config_static_selectorELNS0_4arch9wavefront6targetE0EEEvT1_
    .private_segment_fixed_size: 0
    .sgpr_count:     0
    .sgpr_spill_count: 0
    .symbol:         _ZN7rocprim17ROCPRIM_400000_NS6detail17trampoline_kernelINS0_14default_configENS1_27scan_by_key_config_selectorIidEEZZNS1_16scan_by_key_implILNS1_25lookback_scan_determinismE0ELb1ES3_N6thrust23THRUST_200600_302600_NS6detail15normal_iteratorINS9_10device_ptrIiEEEENSB_INSC_IdEEEESG_dNS9_4plusIvEENS9_8equal_toIvEEdEE10hipError_tPvRmT2_T3_T4_T5_mT6_T7_P12ihipStream_tbENKUlT_T0_E_clISt17integral_constantIbLb1EES10_IbLb0EEEEDaSW_SX_EUlSW_E_NS1_11comp_targetILNS1_3genE10ELNS1_11target_archE1200ELNS1_3gpuE4ELNS1_3repE0EEENS1_30default_config_static_selectorELNS0_4arch9wavefront6targetE0EEEvT1_.kd
    .uniform_work_group_size: 1
    .uses_dynamic_stack: false
    .vgpr_count:     0
    .vgpr_spill_count: 0
    .wavefront_size: 32
  - .args:
      - .offset:         0
        .size:           136
        .value_kind:     by_value
    .group_segment_fixed_size: 0
    .kernarg_segment_align: 8
    .kernarg_segment_size: 136
    .language:       OpenCL C
    .language_version:
      - 2
      - 0
    .max_flat_workgroup_size: 256
    .name:           _ZN7rocprim17ROCPRIM_400000_NS6detail17trampoline_kernelINS0_14default_configENS1_27scan_by_key_config_selectorIidEEZZNS1_16scan_by_key_implILNS1_25lookback_scan_determinismE0ELb1ES3_N6thrust23THRUST_200600_302600_NS6detail15normal_iteratorINS9_10device_ptrIiEEEENSB_INSC_IdEEEESG_dNS9_4plusIvEENS9_8equal_toIvEEdEE10hipError_tPvRmT2_T3_T4_T5_mT6_T7_P12ihipStream_tbENKUlT_T0_E_clISt17integral_constantIbLb1EES10_IbLb0EEEEDaSW_SX_EUlSW_E_NS1_11comp_targetILNS1_3genE9ELNS1_11target_archE1100ELNS1_3gpuE3ELNS1_3repE0EEENS1_30default_config_static_selectorELNS0_4arch9wavefront6targetE0EEEvT1_
    .private_segment_fixed_size: 0
    .sgpr_count:     0
    .sgpr_spill_count: 0
    .symbol:         _ZN7rocprim17ROCPRIM_400000_NS6detail17trampoline_kernelINS0_14default_configENS1_27scan_by_key_config_selectorIidEEZZNS1_16scan_by_key_implILNS1_25lookback_scan_determinismE0ELb1ES3_N6thrust23THRUST_200600_302600_NS6detail15normal_iteratorINS9_10device_ptrIiEEEENSB_INSC_IdEEEESG_dNS9_4plusIvEENS9_8equal_toIvEEdEE10hipError_tPvRmT2_T3_T4_T5_mT6_T7_P12ihipStream_tbENKUlT_T0_E_clISt17integral_constantIbLb1EES10_IbLb0EEEEDaSW_SX_EUlSW_E_NS1_11comp_targetILNS1_3genE9ELNS1_11target_archE1100ELNS1_3gpuE3ELNS1_3repE0EEENS1_30default_config_static_selectorELNS0_4arch9wavefront6targetE0EEEvT1_.kd
    .uniform_work_group_size: 1
    .uses_dynamic_stack: false
    .vgpr_count:     0
    .vgpr_spill_count: 0
    .wavefront_size: 32
  - .args:
      - .offset:         0
        .size:           136
        .value_kind:     by_value
    .group_segment_fixed_size: 0
    .kernarg_segment_align: 8
    .kernarg_segment_size: 136
    .language:       OpenCL C
    .language_version:
      - 2
      - 0
    .max_flat_workgroup_size: 256
    .name:           _ZN7rocprim17ROCPRIM_400000_NS6detail17trampoline_kernelINS0_14default_configENS1_27scan_by_key_config_selectorIidEEZZNS1_16scan_by_key_implILNS1_25lookback_scan_determinismE0ELb1ES3_N6thrust23THRUST_200600_302600_NS6detail15normal_iteratorINS9_10device_ptrIiEEEENSB_INSC_IdEEEESG_dNS9_4plusIvEENS9_8equal_toIvEEdEE10hipError_tPvRmT2_T3_T4_T5_mT6_T7_P12ihipStream_tbENKUlT_T0_E_clISt17integral_constantIbLb1EES10_IbLb0EEEEDaSW_SX_EUlSW_E_NS1_11comp_targetILNS1_3genE8ELNS1_11target_archE1030ELNS1_3gpuE2ELNS1_3repE0EEENS1_30default_config_static_selectorELNS0_4arch9wavefront6targetE0EEEvT1_
    .private_segment_fixed_size: 0
    .sgpr_count:     0
    .sgpr_spill_count: 0
    .symbol:         _ZN7rocprim17ROCPRIM_400000_NS6detail17trampoline_kernelINS0_14default_configENS1_27scan_by_key_config_selectorIidEEZZNS1_16scan_by_key_implILNS1_25lookback_scan_determinismE0ELb1ES3_N6thrust23THRUST_200600_302600_NS6detail15normal_iteratorINS9_10device_ptrIiEEEENSB_INSC_IdEEEESG_dNS9_4plusIvEENS9_8equal_toIvEEdEE10hipError_tPvRmT2_T3_T4_T5_mT6_T7_P12ihipStream_tbENKUlT_T0_E_clISt17integral_constantIbLb1EES10_IbLb0EEEEDaSW_SX_EUlSW_E_NS1_11comp_targetILNS1_3genE8ELNS1_11target_archE1030ELNS1_3gpuE2ELNS1_3repE0EEENS1_30default_config_static_selectorELNS0_4arch9wavefront6targetE0EEEvT1_.kd
    .uniform_work_group_size: 1
    .uses_dynamic_stack: false
    .vgpr_count:     0
    .vgpr_spill_count: 0
    .wavefront_size: 32
  - .args:
      - .offset:         0
        .size:           136
        .value_kind:     by_value
    .group_segment_fixed_size: 10240
    .kernarg_segment_align: 8
    .kernarg_segment_size: 136
    .language:       OpenCL C
    .language_version:
      - 2
      - 0
    .max_flat_workgroup_size: 128
    .name:           _ZN7rocprim17ROCPRIM_400000_NS6detail17trampoline_kernelINS0_14default_configENS1_27scan_by_key_config_selectorIidEEZZNS1_16scan_by_key_implILNS1_25lookback_scan_determinismE0ELb1ES3_N6thrust23THRUST_200600_302600_NS6detail15normal_iteratorINS9_10device_ptrIiEEEENSB_INSC_IdEEEESG_dNS9_4plusIvEENS9_8equal_toIvEEdEE10hipError_tPvRmT2_T3_T4_T5_mT6_T7_P12ihipStream_tbENKUlT_T0_E_clISt17integral_constantIbLb0EES10_IbLb1EEEEDaSW_SX_EUlSW_E_NS1_11comp_targetILNS1_3genE0ELNS1_11target_archE4294967295ELNS1_3gpuE0ELNS1_3repE0EEENS1_30default_config_static_selectorELNS0_4arch9wavefront6targetE0EEEvT1_
    .private_segment_fixed_size: 0
    .sgpr_count:     52
    .sgpr_spill_count: 0
    .symbol:         _ZN7rocprim17ROCPRIM_400000_NS6detail17trampoline_kernelINS0_14default_configENS1_27scan_by_key_config_selectorIidEEZZNS1_16scan_by_key_implILNS1_25lookback_scan_determinismE0ELb1ES3_N6thrust23THRUST_200600_302600_NS6detail15normal_iteratorINS9_10device_ptrIiEEEENSB_INSC_IdEEEESG_dNS9_4plusIvEENS9_8equal_toIvEEdEE10hipError_tPvRmT2_T3_T4_T5_mT6_T7_P12ihipStream_tbENKUlT_T0_E_clISt17integral_constantIbLb0EES10_IbLb1EEEEDaSW_SX_EUlSW_E_NS1_11comp_targetILNS1_3genE0ELNS1_11target_archE4294967295ELNS1_3gpuE0ELNS1_3repE0EEENS1_30default_config_static_selectorELNS0_4arch9wavefront6targetE0EEEvT1_.kd
    .uniform_work_group_size: 1
    .uses_dynamic_stack: false
    .vgpr_count:     75
    .vgpr_spill_count: 0
    .wavefront_size: 32
  - .args:
      - .offset:         0
        .size:           136
        .value_kind:     by_value
    .group_segment_fixed_size: 0
    .kernarg_segment_align: 8
    .kernarg_segment_size: 136
    .language:       OpenCL C
    .language_version:
      - 2
      - 0
    .max_flat_workgroup_size: 256
    .name:           _ZN7rocprim17ROCPRIM_400000_NS6detail17trampoline_kernelINS0_14default_configENS1_27scan_by_key_config_selectorIidEEZZNS1_16scan_by_key_implILNS1_25lookback_scan_determinismE0ELb1ES3_N6thrust23THRUST_200600_302600_NS6detail15normal_iteratorINS9_10device_ptrIiEEEENSB_INSC_IdEEEESG_dNS9_4plusIvEENS9_8equal_toIvEEdEE10hipError_tPvRmT2_T3_T4_T5_mT6_T7_P12ihipStream_tbENKUlT_T0_E_clISt17integral_constantIbLb0EES10_IbLb1EEEEDaSW_SX_EUlSW_E_NS1_11comp_targetILNS1_3genE10ELNS1_11target_archE1201ELNS1_3gpuE5ELNS1_3repE0EEENS1_30default_config_static_selectorELNS0_4arch9wavefront6targetE0EEEvT1_
    .private_segment_fixed_size: 0
    .sgpr_count:     0
    .sgpr_spill_count: 0
    .symbol:         _ZN7rocprim17ROCPRIM_400000_NS6detail17trampoline_kernelINS0_14default_configENS1_27scan_by_key_config_selectorIidEEZZNS1_16scan_by_key_implILNS1_25lookback_scan_determinismE0ELb1ES3_N6thrust23THRUST_200600_302600_NS6detail15normal_iteratorINS9_10device_ptrIiEEEENSB_INSC_IdEEEESG_dNS9_4plusIvEENS9_8equal_toIvEEdEE10hipError_tPvRmT2_T3_T4_T5_mT6_T7_P12ihipStream_tbENKUlT_T0_E_clISt17integral_constantIbLb0EES10_IbLb1EEEEDaSW_SX_EUlSW_E_NS1_11comp_targetILNS1_3genE10ELNS1_11target_archE1201ELNS1_3gpuE5ELNS1_3repE0EEENS1_30default_config_static_selectorELNS0_4arch9wavefront6targetE0EEEvT1_.kd
    .uniform_work_group_size: 1
    .uses_dynamic_stack: false
    .vgpr_count:     0
    .vgpr_spill_count: 0
    .wavefront_size: 32
  - .args:
      - .offset:         0
        .size:           136
        .value_kind:     by_value
    .group_segment_fixed_size: 0
    .kernarg_segment_align: 8
    .kernarg_segment_size: 136
    .language:       OpenCL C
    .language_version:
      - 2
      - 0
    .max_flat_workgroup_size: 256
    .name:           _ZN7rocprim17ROCPRIM_400000_NS6detail17trampoline_kernelINS0_14default_configENS1_27scan_by_key_config_selectorIidEEZZNS1_16scan_by_key_implILNS1_25lookback_scan_determinismE0ELb1ES3_N6thrust23THRUST_200600_302600_NS6detail15normal_iteratorINS9_10device_ptrIiEEEENSB_INSC_IdEEEESG_dNS9_4plusIvEENS9_8equal_toIvEEdEE10hipError_tPvRmT2_T3_T4_T5_mT6_T7_P12ihipStream_tbENKUlT_T0_E_clISt17integral_constantIbLb0EES10_IbLb1EEEEDaSW_SX_EUlSW_E_NS1_11comp_targetILNS1_3genE5ELNS1_11target_archE942ELNS1_3gpuE9ELNS1_3repE0EEENS1_30default_config_static_selectorELNS0_4arch9wavefront6targetE0EEEvT1_
    .private_segment_fixed_size: 0
    .sgpr_count:     0
    .sgpr_spill_count: 0
    .symbol:         _ZN7rocprim17ROCPRIM_400000_NS6detail17trampoline_kernelINS0_14default_configENS1_27scan_by_key_config_selectorIidEEZZNS1_16scan_by_key_implILNS1_25lookback_scan_determinismE0ELb1ES3_N6thrust23THRUST_200600_302600_NS6detail15normal_iteratorINS9_10device_ptrIiEEEENSB_INSC_IdEEEESG_dNS9_4plusIvEENS9_8equal_toIvEEdEE10hipError_tPvRmT2_T3_T4_T5_mT6_T7_P12ihipStream_tbENKUlT_T0_E_clISt17integral_constantIbLb0EES10_IbLb1EEEEDaSW_SX_EUlSW_E_NS1_11comp_targetILNS1_3genE5ELNS1_11target_archE942ELNS1_3gpuE9ELNS1_3repE0EEENS1_30default_config_static_selectorELNS0_4arch9wavefront6targetE0EEEvT1_.kd
    .uniform_work_group_size: 1
    .uses_dynamic_stack: false
    .vgpr_count:     0
    .vgpr_spill_count: 0
    .wavefront_size: 32
  - .args:
      - .offset:         0
        .size:           136
        .value_kind:     by_value
    .group_segment_fixed_size: 0
    .kernarg_segment_align: 8
    .kernarg_segment_size: 136
    .language:       OpenCL C
    .language_version:
      - 2
      - 0
    .max_flat_workgroup_size: 64
    .name:           _ZN7rocprim17ROCPRIM_400000_NS6detail17trampoline_kernelINS0_14default_configENS1_27scan_by_key_config_selectorIidEEZZNS1_16scan_by_key_implILNS1_25lookback_scan_determinismE0ELb1ES3_N6thrust23THRUST_200600_302600_NS6detail15normal_iteratorINS9_10device_ptrIiEEEENSB_INSC_IdEEEESG_dNS9_4plusIvEENS9_8equal_toIvEEdEE10hipError_tPvRmT2_T3_T4_T5_mT6_T7_P12ihipStream_tbENKUlT_T0_E_clISt17integral_constantIbLb0EES10_IbLb1EEEEDaSW_SX_EUlSW_E_NS1_11comp_targetILNS1_3genE4ELNS1_11target_archE910ELNS1_3gpuE8ELNS1_3repE0EEENS1_30default_config_static_selectorELNS0_4arch9wavefront6targetE0EEEvT1_
    .private_segment_fixed_size: 0
    .sgpr_count:     0
    .sgpr_spill_count: 0
    .symbol:         _ZN7rocprim17ROCPRIM_400000_NS6detail17trampoline_kernelINS0_14default_configENS1_27scan_by_key_config_selectorIidEEZZNS1_16scan_by_key_implILNS1_25lookback_scan_determinismE0ELb1ES3_N6thrust23THRUST_200600_302600_NS6detail15normal_iteratorINS9_10device_ptrIiEEEENSB_INSC_IdEEEESG_dNS9_4plusIvEENS9_8equal_toIvEEdEE10hipError_tPvRmT2_T3_T4_T5_mT6_T7_P12ihipStream_tbENKUlT_T0_E_clISt17integral_constantIbLb0EES10_IbLb1EEEEDaSW_SX_EUlSW_E_NS1_11comp_targetILNS1_3genE4ELNS1_11target_archE910ELNS1_3gpuE8ELNS1_3repE0EEENS1_30default_config_static_selectorELNS0_4arch9wavefront6targetE0EEEvT1_.kd
    .uniform_work_group_size: 1
    .uses_dynamic_stack: false
    .vgpr_count:     0
    .vgpr_spill_count: 0
    .wavefront_size: 32
  - .args:
      - .offset:         0
        .size:           136
        .value_kind:     by_value
    .group_segment_fixed_size: 0
    .kernarg_segment_align: 8
    .kernarg_segment_size: 136
    .language:       OpenCL C
    .language_version:
      - 2
      - 0
    .max_flat_workgroup_size: 128
    .name:           _ZN7rocprim17ROCPRIM_400000_NS6detail17trampoline_kernelINS0_14default_configENS1_27scan_by_key_config_selectorIidEEZZNS1_16scan_by_key_implILNS1_25lookback_scan_determinismE0ELb1ES3_N6thrust23THRUST_200600_302600_NS6detail15normal_iteratorINS9_10device_ptrIiEEEENSB_INSC_IdEEEESG_dNS9_4plusIvEENS9_8equal_toIvEEdEE10hipError_tPvRmT2_T3_T4_T5_mT6_T7_P12ihipStream_tbENKUlT_T0_E_clISt17integral_constantIbLb0EES10_IbLb1EEEEDaSW_SX_EUlSW_E_NS1_11comp_targetILNS1_3genE3ELNS1_11target_archE908ELNS1_3gpuE7ELNS1_3repE0EEENS1_30default_config_static_selectorELNS0_4arch9wavefront6targetE0EEEvT1_
    .private_segment_fixed_size: 0
    .sgpr_count:     0
    .sgpr_spill_count: 0
    .symbol:         _ZN7rocprim17ROCPRIM_400000_NS6detail17trampoline_kernelINS0_14default_configENS1_27scan_by_key_config_selectorIidEEZZNS1_16scan_by_key_implILNS1_25lookback_scan_determinismE0ELb1ES3_N6thrust23THRUST_200600_302600_NS6detail15normal_iteratorINS9_10device_ptrIiEEEENSB_INSC_IdEEEESG_dNS9_4plusIvEENS9_8equal_toIvEEdEE10hipError_tPvRmT2_T3_T4_T5_mT6_T7_P12ihipStream_tbENKUlT_T0_E_clISt17integral_constantIbLb0EES10_IbLb1EEEEDaSW_SX_EUlSW_E_NS1_11comp_targetILNS1_3genE3ELNS1_11target_archE908ELNS1_3gpuE7ELNS1_3repE0EEENS1_30default_config_static_selectorELNS0_4arch9wavefront6targetE0EEEvT1_.kd
    .uniform_work_group_size: 1
    .uses_dynamic_stack: false
    .vgpr_count:     0
    .vgpr_spill_count: 0
    .wavefront_size: 32
  - .args:
      - .offset:         0
        .size:           136
        .value_kind:     by_value
    .group_segment_fixed_size: 0
    .kernarg_segment_align: 8
    .kernarg_segment_size: 136
    .language:       OpenCL C
    .language_version:
      - 2
      - 0
    .max_flat_workgroup_size: 64
    .name:           _ZN7rocprim17ROCPRIM_400000_NS6detail17trampoline_kernelINS0_14default_configENS1_27scan_by_key_config_selectorIidEEZZNS1_16scan_by_key_implILNS1_25lookback_scan_determinismE0ELb1ES3_N6thrust23THRUST_200600_302600_NS6detail15normal_iteratorINS9_10device_ptrIiEEEENSB_INSC_IdEEEESG_dNS9_4plusIvEENS9_8equal_toIvEEdEE10hipError_tPvRmT2_T3_T4_T5_mT6_T7_P12ihipStream_tbENKUlT_T0_E_clISt17integral_constantIbLb0EES10_IbLb1EEEEDaSW_SX_EUlSW_E_NS1_11comp_targetILNS1_3genE2ELNS1_11target_archE906ELNS1_3gpuE6ELNS1_3repE0EEENS1_30default_config_static_selectorELNS0_4arch9wavefront6targetE0EEEvT1_
    .private_segment_fixed_size: 0
    .sgpr_count:     0
    .sgpr_spill_count: 0
    .symbol:         _ZN7rocprim17ROCPRIM_400000_NS6detail17trampoline_kernelINS0_14default_configENS1_27scan_by_key_config_selectorIidEEZZNS1_16scan_by_key_implILNS1_25lookback_scan_determinismE0ELb1ES3_N6thrust23THRUST_200600_302600_NS6detail15normal_iteratorINS9_10device_ptrIiEEEENSB_INSC_IdEEEESG_dNS9_4plusIvEENS9_8equal_toIvEEdEE10hipError_tPvRmT2_T3_T4_T5_mT6_T7_P12ihipStream_tbENKUlT_T0_E_clISt17integral_constantIbLb0EES10_IbLb1EEEEDaSW_SX_EUlSW_E_NS1_11comp_targetILNS1_3genE2ELNS1_11target_archE906ELNS1_3gpuE6ELNS1_3repE0EEENS1_30default_config_static_selectorELNS0_4arch9wavefront6targetE0EEEvT1_.kd
    .uniform_work_group_size: 1
    .uses_dynamic_stack: false
    .vgpr_count:     0
    .vgpr_spill_count: 0
    .wavefront_size: 32
  - .args:
      - .offset:         0
        .size:           136
        .value_kind:     by_value
    .group_segment_fixed_size: 0
    .kernarg_segment_align: 8
    .kernarg_segment_size: 136
    .language:       OpenCL C
    .language_version:
      - 2
      - 0
    .max_flat_workgroup_size: 256
    .name:           _ZN7rocprim17ROCPRIM_400000_NS6detail17trampoline_kernelINS0_14default_configENS1_27scan_by_key_config_selectorIidEEZZNS1_16scan_by_key_implILNS1_25lookback_scan_determinismE0ELb1ES3_N6thrust23THRUST_200600_302600_NS6detail15normal_iteratorINS9_10device_ptrIiEEEENSB_INSC_IdEEEESG_dNS9_4plusIvEENS9_8equal_toIvEEdEE10hipError_tPvRmT2_T3_T4_T5_mT6_T7_P12ihipStream_tbENKUlT_T0_E_clISt17integral_constantIbLb0EES10_IbLb1EEEEDaSW_SX_EUlSW_E_NS1_11comp_targetILNS1_3genE10ELNS1_11target_archE1200ELNS1_3gpuE4ELNS1_3repE0EEENS1_30default_config_static_selectorELNS0_4arch9wavefront6targetE0EEEvT1_
    .private_segment_fixed_size: 0
    .sgpr_count:     0
    .sgpr_spill_count: 0
    .symbol:         _ZN7rocprim17ROCPRIM_400000_NS6detail17trampoline_kernelINS0_14default_configENS1_27scan_by_key_config_selectorIidEEZZNS1_16scan_by_key_implILNS1_25lookback_scan_determinismE0ELb1ES3_N6thrust23THRUST_200600_302600_NS6detail15normal_iteratorINS9_10device_ptrIiEEEENSB_INSC_IdEEEESG_dNS9_4plusIvEENS9_8equal_toIvEEdEE10hipError_tPvRmT2_T3_T4_T5_mT6_T7_P12ihipStream_tbENKUlT_T0_E_clISt17integral_constantIbLb0EES10_IbLb1EEEEDaSW_SX_EUlSW_E_NS1_11comp_targetILNS1_3genE10ELNS1_11target_archE1200ELNS1_3gpuE4ELNS1_3repE0EEENS1_30default_config_static_selectorELNS0_4arch9wavefront6targetE0EEEvT1_.kd
    .uniform_work_group_size: 1
    .uses_dynamic_stack: false
    .vgpr_count:     0
    .vgpr_spill_count: 0
    .wavefront_size: 32
  - .args:
      - .offset:         0
        .size:           136
        .value_kind:     by_value
    .group_segment_fixed_size: 0
    .kernarg_segment_align: 8
    .kernarg_segment_size: 136
    .language:       OpenCL C
    .language_version:
      - 2
      - 0
    .max_flat_workgroup_size: 256
    .name:           _ZN7rocprim17ROCPRIM_400000_NS6detail17trampoline_kernelINS0_14default_configENS1_27scan_by_key_config_selectorIidEEZZNS1_16scan_by_key_implILNS1_25lookback_scan_determinismE0ELb1ES3_N6thrust23THRUST_200600_302600_NS6detail15normal_iteratorINS9_10device_ptrIiEEEENSB_INSC_IdEEEESG_dNS9_4plusIvEENS9_8equal_toIvEEdEE10hipError_tPvRmT2_T3_T4_T5_mT6_T7_P12ihipStream_tbENKUlT_T0_E_clISt17integral_constantIbLb0EES10_IbLb1EEEEDaSW_SX_EUlSW_E_NS1_11comp_targetILNS1_3genE9ELNS1_11target_archE1100ELNS1_3gpuE3ELNS1_3repE0EEENS1_30default_config_static_selectorELNS0_4arch9wavefront6targetE0EEEvT1_
    .private_segment_fixed_size: 0
    .sgpr_count:     0
    .sgpr_spill_count: 0
    .symbol:         _ZN7rocprim17ROCPRIM_400000_NS6detail17trampoline_kernelINS0_14default_configENS1_27scan_by_key_config_selectorIidEEZZNS1_16scan_by_key_implILNS1_25lookback_scan_determinismE0ELb1ES3_N6thrust23THRUST_200600_302600_NS6detail15normal_iteratorINS9_10device_ptrIiEEEENSB_INSC_IdEEEESG_dNS9_4plusIvEENS9_8equal_toIvEEdEE10hipError_tPvRmT2_T3_T4_T5_mT6_T7_P12ihipStream_tbENKUlT_T0_E_clISt17integral_constantIbLb0EES10_IbLb1EEEEDaSW_SX_EUlSW_E_NS1_11comp_targetILNS1_3genE9ELNS1_11target_archE1100ELNS1_3gpuE3ELNS1_3repE0EEENS1_30default_config_static_selectorELNS0_4arch9wavefront6targetE0EEEvT1_.kd
    .uniform_work_group_size: 1
    .uses_dynamic_stack: false
    .vgpr_count:     0
    .vgpr_spill_count: 0
    .wavefront_size: 32
  - .args:
      - .offset:         0
        .size:           136
        .value_kind:     by_value
    .group_segment_fixed_size: 0
    .kernarg_segment_align: 8
    .kernarg_segment_size: 136
    .language:       OpenCL C
    .language_version:
      - 2
      - 0
    .max_flat_workgroup_size: 256
    .name:           _ZN7rocprim17ROCPRIM_400000_NS6detail17trampoline_kernelINS0_14default_configENS1_27scan_by_key_config_selectorIidEEZZNS1_16scan_by_key_implILNS1_25lookback_scan_determinismE0ELb1ES3_N6thrust23THRUST_200600_302600_NS6detail15normal_iteratorINS9_10device_ptrIiEEEENSB_INSC_IdEEEESG_dNS9_4plusIvEENS9_8equal_toIvEEdEE10hipError_tPvRmT2_T3_T4_T5_mT6_T7_P12ihipStream_tbENKUlT_T0_E_clISt17integral_constantIbLb0EES10_IbLb1EEEEDaSW_SX_EUlSW_E_NS1_11comp_targetILNS1_3genE8ELNS1_11target_archE1030ELNS1_3gpuE2ELNS1_3repE0EEENS1_30default_config_static_selectorELNS0_4arch9wavefront6targetE0EEEvT1_
    .private_segment_fixed_size: 0
    .sgpr_count:     0
    .sgpr_spill_count: 0
    .symbol:         _ZN7rocprim17ROCPRIM_400000_NS6detail17trampoline_kernelINS0_14default_configENS1_27scan_by_key_config_selectorIidEEZZNS1_16scan_by_key_implILNS1_25lookback_scan_determinismE0ELb1ES3_N6thrust23THRUST_200600_302600_NS6detail15normal_iteratorINS9_10device_ptrIiEEEENSB_INSC_IdEEEESG_dNS9_4plusIvEENS9_8equal_toIvEEdEE10hipError_tPvRmT2_T3_T4_T5_mT6_T7_P12ihipStream_tbENKUlT_T0_E_clISt17integral_constantIbLb0EES10_IbLb1EEEEDaSW_SX_EUlSW_E_NS1_11comp_targetILNS1_3genE8ELNS1_11target_archE1030ELNS1_3gpuE2ELNS1_3repE0EEENS1_30default_config_static_selectorELNS0_4arch9wavefront6targetE0EEEvT1_.kd
    .uniform_work_group_size: 1
    .uses_dynamic_stack: false
    .vgpr_count:     0
    .vgpr_spill_count: 0
    .wavefront_size: 32
  - .args:
      - .offset:         0
        .size:           112
        .value_kind:     by_value
    .group_segment_fixed_size: 14336
    .kernarg_segment_align: 8
    .kernarg_segment_size: 112
    .language:       OpenCL C
    .language_version:
      - 2
      - 0
    .max_flat_workgroup_size: 256
    .name:           _ZN7rocprim17ROCPRIM_400000_NS6detail17trampoline_kernelINS0_14default_configENS1_27scan_by_key_config_selectorIifEEZZNS1_16scan_by_key_implILNS1_25lookback_scan_determinismE0ELb1ES3_N6thrust23THRUST_200600_302600_NS6detail15normal_iteratorINS9_10device_ptrIiEEEENSB_INSC_IfEEEESG_fNS9_4plusIvEENS9_8equal_toIvEEfEE10hipError_tPvRmT2_T3_T4_T5_mT6_T7_P12ihipStream_tbENKUlT_T0_E_clISt17integral_constantIbLb0EES11_EEDaSW_SX_EUlSW_E_NS1_11comp_targetILNS1_3genE0ELNS1_11target_archE4294967295ELNS1_3gpuE0ELNS1_3repE0EEENS1_30default_config_static_selectorELNS0_4arch9wavefront6targetE0EEEvT1_
    .private_segment_fixed_size: 0
    .sgpr_count:     50
    .sgpr_spill_count: 0
    .symbol:         _ZN7rocprim17ROCPRIM_400000_NS6detail17trampoline_kernelINS0_14default_configENS1_27scan_by_key_config_selectorIifEEZZNS1_16scan_by_key_implILNS1_25lookback_scan_determinismE0ELb1ES3_N6thrust23THRUST_200600_302600_NS6detail15normal_iteratorINS9_10device_ptrIiEEEENSB_INSC_IfEEEESG_fNS9_4plusIvEENS9_8equal_toIvEEfEE10hipError_tPvRmT2_T3_T4_T5_mT6_T7_P12ihipStream_tbENKUlT_T0_E_clISt17integral_constantIbLb0EES11_EEDaSW_SX_EUlSW_E_NS1_11comp_targetILNS1_3genE0ELNS1_11target_archE4294967295ELNS1_3gpuE0ELNS1_3repE0EEENS1_30default_config_static_selectorELNS0_4arch9wavefront6targetE0EEEvT1_.kd
    .uniform_work_group_size: 1
    .uses_dynamic_stack: false
    .vgpr_count:     62
    .vgpr_spill_count: 0
    .wavefront_size: 32
  - .args:
      - .offset:         0
        .size:           112
        .value_kind:     by_value
    .group_segment_fixed_size: 0
    .kernarg_segment_align: 8
    .kernarg_segment_size: 112
    .language:       OpenCL C
    .language_version:
      - 2
      - 0
    .max_flat_workgroup_size: 256
    .name:           _ZN7rocprim17ROCPRIM_400000_NS6detail17trampoline_kernelINS0_14default_configENS1_27scan_by_key_config_selectorIifEEZZNS1_16scan_by_key_implILNS1_25lookback_scan_determinismE0ELb1ES3_N6thrust23THRUST_200600_302600_NS6detail15normal_iteratorINS9_10device_ptrIiEEEENSB_INSC_IfEEEESG_fNS9_4plusIvEENS9_8equal_toIvEEfEE10hipError_tPvRmT2_T3_T4_T5_mT6_T7_P12ihipStream_tbENKUlT_T0_E_clISt17integral_constantIbLb0EES11_EEDaSW_SX_EUlSW_E_NS1_11comp_targetILNS1_3genE10ELNS1_11target_archE1201ELNS1_3gpuE5ELNS1_3repE0EEENS1_30default_config_static_selectorELNS0_4arch9wavefront6targetE0EEEvT1_
    .private_segment_fixed_size: 0
    .sgpr_count:     0
    .sgpr_spill_count: 0
    .symbol:         _ZN7rocprim17ROCPRIM_400000_NS6detail17trampoline_kernelINS0_14default_configENS1_27scan_by_key_config_selectorIifEEZZNS1_16scan_by_key_implILNS1_25lookback_scan_determinismE0ELb1ES3_N6thrust23THRUST_200600_302600_NS6detail15normal_iteratorINS9_10device_ptrIiEEEENSB_INSC_IfEEEESG_fNS9_4plusIvEENS9_8equal_toIvEEfEE10hipError_tPvRmT2_T3_T4_T5_mT6_T7_P12ihipStream_tbENKUlT_T0_E_clISt17integral_constantIbLb0EES11_EEDaSW_SX_EUlSW_E_NS1_11comp_targetILNS1_3genE10ELNS1_11target_archE1201ELNS1_3gpuE5ELNS1_3repE0EEENS1_30default_config_static_selectorELNS0_4arch9wavefront6targetE0EEEvT1_.kd
    .uniform_work_group_size: 1
    .uses_dynamic_stack: false
    .vgpr_count:     0
    .vgpr_spill_count: 0
    .wavefront_size: 32
  - .args:
      - .offset:         0
        .size:           112
        .value_kind:     by_value
    .group_segment_fixed_size: 0
    .kernarg_segment_align: 8
    .kernarg_segment_size: 112
    .language:       OpenCL C
    .language_version:
      - 2
      - 0
    .max_flat_workgroup_size: 256
    .name:           _ZN7rocprim17ROCPRIM_400000_NS6detail17trampoline_kernelINS0_14default_configENS1_27scan_by_key_config_selectorIifEEZZNS1_16scan_by_key_implILNS1_25lookback_scan_determinismE0ELb1ES3_N6thrust23THRUST_200600_302600_NS6detail15normal_iteratorINS9_10device_ptrIiEEEENSB_INSC_IfEEEESG_fNS9_4plusIvEENS9_8equal_toIvEEfEE10hipError_tPvRmT2_T3_T4_T5_mT6_T7_P12ihipStream_tbENKUlT_T0_E_clISt17integral_constantIbLb0EES11_EEDaSW_SX_EUlSW_E_NS1_11comp_targetILNS1_3genE5ELNS1_11target_archE942ELNS1_3gpuE9ELNS1_3repE0EEENS1_30default_config_static_selectorELNS0_4arch9wavefront6targetE0EEEvT1_
    .private_segment_fixed_size: 0
    .sgpr_count:     0
    .sgpr_spill_count: 0
    .symbol:         _ZN7rocprim17ROCPRIM_400000_NS6detail17trampoline_kernelINS0_14default_configENS1_27scan_by_key_config_selectorIifEEZZNS1_16scan_by_key_implILNS1_25lookback_scan_determinismE0ELb1ES3_N6thrust23THRUST_200600_302600_NS6detail15normal_iteratorINS9_10device_ptrIiEEEENSB_INSC_IfEEEESG_fNS9_4plusIvEENS9_8equal_toIvEEfEE10hipError_tPvRmT2_T3_T4_T5_mT6_T7_P12ihipStream_tbENKUlT_T0_E_clISt17integral_constantIbLb0EES11_EEDaSW_SX_EUlSW_E_NS1_11comp_targetILNS1_3genE5ELNS1_11target_archE942ELNS1_3gpuE9ELNS1_3repE0EEENS1_30default_config_static_selectorELNS0_4arch9wavefront6targetE0EEEvT1_.kd
    .uniform_work_group_size: 1
    .uses_dynamic_stack: false
    .vgpr_count:     0
    .vgpr_spill_count: 0
    .wavefront_size: 32
  - .args:
      - .offset:         0
        .size:           112
        .value_kind:     by_value
    .group_segment_fixed_size: 0
    .kernarg_segment_align: 8
    .kernarg_segment_size: 112
    .language:       OpenCL C
    .language_version:
      - 2
      - 0
    .max_flat_workgroup_size: 256
    .name:           _ZN7rocprim17ROCPRIM_400000_NS6detail17trampoline_kernelINS0_14default_configENS1_27scan_by_key_config_selectorIifEEZZNS1_16scan_by_key_implILNS1_25lookback_scan_determinismE0ELb1ES3_N6thrust23THRUST_200600_302600_NS6detail15normal_iteratorINS9_10device_ptrIiEEEENSB_INSC_IfEEEESG_fNS9_4plusIvEENS9_8equal_toIvEEfEE10hipError_tPvRmT2_T3_T4_T5_mT6_T7_P12ihipStream_tbENKUlT_T0_E_clISt17integral_constantIbLb0EES11_EEDaSW_SX_EUlSW_E_NS1_11comp_targetILNS1_3genE4ELNS1_11target_archE910ELNS1_3gpuE8ELNS1_3repE0EEENS1_30default_config_static_selectorELNS0_4arch9wavefront6targetE0EEEvT1_
    .private_segment_fixed_size: 0
    .sgpr_count:     0
    .sgpr_spill_count: 0
    .symbol:         _ZN7rocprim17ROCPRIM_400000_NS6detail17trampoline_kernelINS0_14default_configENS1_27scan_by_key_config_selectorIifEEZZNS1_16scan_by_key_implILNS1_25lookback_scan_determinismE0ELb1ES3_N6thrust23THRUST_200600_302600_NS6detail15normal_iteratorINS9_10device_ptrIiEEEENSB_INSC_IfEEEESG_fNS9_4plusIvEENS9_8equal_toIvEEfEE10hipError_tPvRmT2_T3_T4_T5_mT6_T7_P12ihipStream_tbENKUlT_T0_E_clISt17integral_constantIbLb0EES11_EEDaSW_SX_EUlSW_E_NS1_11comp_targetILNS1_3genE4ELNS1_11target_archE910ELNS1_3gpuE8ELNS1_3repE0EEENS1_30default_config_static_selectorELNS0_4arch9wavefront6targetE0EEEvT1_.kd
    .uniform_work_group_size: 1
    .uses_dynamic_stack: false
    .vgpr_count:     0
    .vgpr_spill_count: 0
    .wavefront_size: 32
  - .args:
      - .offset:         0
        .size:           112
        .value_kind:     by_value
    .group_segment_fixed_size: 0
    .kernarg_segment_align: 8
    .kernarg_segment_size: 112
    .language:       OpenCL C
    .language_version:
      - 2
      - 0
    .max_flat_workgroup_size: 256
    .name:           _ZN7rocprim17ROCPRIM_400000_NS6detail17trampoline_kernelINS0_14default_configENS1_27scan_by_key_config_selectorIifEEZZNS1_16scan_by_key_implILNS1_25lookback_scan_determinismE0ELb1ES3_N6thrust23THRUST_200600_302600_NS6detail15normal_iteratorINS9_10device_ptrIiEEEENSB_INSC_IfEEEESG_fNS9_4plusIvEENS9_8equal_toIvEEfEE10hipError_tPvRmT2_T3_T4_T5_mT6_T7_P12ihipStream_tbENKUlT_T0_E_clISt17integral_constantIbLb0EES11_EEDaSW_SX_EUlSW_E_NS1_11comp_targetILNS1_3genE3ELNS1_11target_archE908ELNS1_3gpuE7ELNS1_3repE0EEENS1_30default_config_static_selectorELNS0_4arch9wavefront6targetE0EEEvT1_
    .private_segment_fixed_size: 0
    .sgpr_count:     0
    .sgpr_spill_count: 0
    .symbol:         _ZN7rocprim17ROCPRIM_400000_NS6detail17trampoline_kernelINS0_14default_configENS1_27scan_by_key_config_selectorIifEEZZNS1_16scan_by_key_implILNS1_25lookback_scan_determinismE0ELb1ES3_N6thrust23THRUST_200600_302600_NS6detail15normal_iteratorINS9_10device_ptrIiEEEENSB_INSC_IfEEEESG_fNS9_4plusIvEENS9_8equal_toIvEEfEE10hipError_tPvRmT2_T3_T4_T5_mT6_T7_P12ihipStream_tbENKUlT_T0_E_clISt17integral_constantIbLb0EES11_EEDaSW_SX_EUlSW_E_NS1_11comp_targetILNS1_3genE3ELNS1_11target_archE908ELNS1_3gpuE7ELNS1_3repE0EEENS1_30default_config_static_selectorELNS0_4arch9wavefront6targetE0EEEvT1_.kd
    .uniform_work_group_size: 1
    .uses_dynamic_stack: false
    .vgpr_count:     0
    .vgpr_spill_count: 0
    .wavefront_size: 32
  - .args:
      - .offset:         0
        .size:           112
        .value_kind:     by_value
    .group_segment_fixed_size: 0
    .kernarg_segment_align: 8
    .kernarg_segment_size: 112
    .language:       OpenCL C
    .language_version:
      - 2
      - 0
    .max_flat_workgroup_size: 256
    .name:           _ZN7rocprim17ROCPRIM_400000_NS6detail17trampoline_kernelINS0_14default_configENS1_27scan_by_key_config_selectorIifEEZZNS1_16scan_by_key_implILNS1_25lookback_scan_determinismE0ELb1ES3_N6thrust23THRUST_200600_302600_NS6detail15normal_iteratorINS9_10device_ptrIiEEEENSB_INSC_IfEEEESG_fNS9_4plusIvEENS9_8equal_toIvEEfEE10hipError_tPvRmT2_T3_T4_T5_mT6_T7_P12ihipStream_tbENKUlT_T0_E_clISt17integral_constantIbLb0EES11_EEDaSW_SX_EUlSW_E_NS1_11comp_targetILNS1_3genE2ELNS1_11target_archE906ELNS1_3gpuE6ELNS1_3repE0EEENS1_30default_config_static_selectorELNS0_4arch9wavefront6targetE0EEEvT1_
    .private_segment_fixed_size: 0
    .sgpr_count:     0
    .sgpr_spill_count: 0
    .symbol:         _ZN7rocprim17ROCPRIM_400000_NS6detail17trampoline_kernelINS0_14default_configENS1_27scan_by_key_config_selectorIifEEZZNS1_16scan_by_key_implILNS1_25lookback_scan_determinismE0ELb1ES3_N6thrust23THRUST_200600_302600_NS6detail15normal_iteratorINS9_10device_ptrIiEEEENSB_INSC_IfEEEESG_fNS9_4plusIvEENS9_8equal_toIvEEfEE10hipError_tPvRmT2_T3_T4_T5_mT6_T7_P12ihipStream_tbENKUlT_T0_E_clISt17integral_constantIbLb0EES11_EEDaSW_SX_EUlSW_E_NS1_11comp_targetILNS1_3genE2ELNS1_11target_archE906ELNS1_3gpuE6ELNS1_3repE0EEENS1_30default_config_static_selectorELNS0_4arch9wavefront6targetE0EEEvT1_.kd
    .uniform_work_group_size: 1
    .uses_dynamic_stack: false
    .vgpr_count:     0
    .vgpr_spill_count: 0
    .wavefront_size: 32
  - .args:
      - .offset:         0
        .size:           112
        .value_kind:     by_value
    .group_segment_fixed_size: 0
    .kernarg_segment_align: 8
    .kernarg_segment_size: 112
    .language:       OpenCL C
    .language_version:
      - 2
      - 0
    .max_flat_workgroup_size: 256
    .name:           _ZN7rocprim17ROCPRIM_400000_NS6detail17trampoline_kernelINS0_14default_configENS1_27scan_by_key_config_selectorIifEEZZNS1_16scan_by_key_implILNS1_25lookback_scan_determinismE0ELb1ES3_N6thrust23THRUST_200600_302600_NS6detail15normal_iteratorINS9_10device_ptrIiEEEENSB_INSC_IfEEEESG_fNS9_4plusIvEENS9_8equal_toIvEEfEE10hipError_tPvRmT2_T3_T4_T5_mT6_T7_P12ihipStream_tbENKUlT_T0_E_clISt17integral_constantIbLb0EES11_EEDaSW_SX_EUlSW_E_NS1_11comp_targetILNS1_3genE10ELNS1_11target_archE1200ELNS1_3gpuE4ELNS1_3repE0EEENS1_30default_config_static_selectorELNS0_4arch9wavefront6targetE0EEEvT1_
    .private_segment_fixed_size: 0
    .sgpr_count:     0
    .sgpr_spill_count: 0
    .symbol:         _ZN7rocprim17ROCPRIM_400000_NS6detail17trampoline_kernelINS0_14default_configENS1_27scan_by_key_config_selectorIifEEZZNS1_16scan_by_key_implILNS1_25lookback_scan_determinismE0ELb1ES3_N6thrust23THRUST_200600_302600_NS6detail15normal_iteratorINS9_10device_ptrIiEEEENSB_INSC_IfEEEESG_fNS9_4plusIvEENS9_8equal_toIvEEfEE10hipError_tPvRmT2_T3_T4_T5_mT6_T7_P12ihipStream_tbENKUlT_T0_E_clISt17integral_constantIbLb0EES11_EEDaSW_SX_EUlSW_E_NS1_11comp_targetILNS1_3genE10ELNS1_11target_archE1200ELNS1_3gpuE4ELNS1_3repE0EEENS1_30default_config_static_selectorELNS0_4arch9wavefront6targetE0EEEvT1_.kd
    .uniform_work_group_size: 1
    .uses_dynamic_stack: false
    .vgpr_count:     0
    .vgpr_spill_count: 0
    .wavefront_size: 32
  - .args:
      - .offset:         0
        .size:           112
        .value_kind:     by_value
    .group_segment_fixed_size: 0
    .kernarg_segment_align: 8
    .kernarg_segment_size: 112
    .language:       OpenCL C
    .language_version:
      - 2
      - 0
    .max_flat_workgroup_size: 256
    .name:           _ZN7rocprim17ROCPRIM_400000_NS6detail17trampoline_kernelINS0_14default_configENS1_27scan_by_key_config_selectorIifEEZZNS1_16scan_by_key_implILNS1_25lookback_scan_determinismE0ELb1ES3_N6thrust23THRUST_200600_302600_NS6detail15normal_iteratorINS9_10device_ptrIiEEEENSB_INSC_IfEEEESG_fNS9_4plusIvEENS9_8equal_toIvEEfEE10hipError_tPvRmT2_T3_T4_T5_mT6_T7_P12ihipStream_tbENKUlT_T0_E_clISt17integral_constantIbLb0EES11_EEDaSW_SX_EUlSW_E_NS1_11comp_targetILNS1_3genE9ELNS1_11target_archE1100ELNS1_3gpuE3ELNS1_3repE0EEENS1_30default_config_static_selectorELNS0_4arch9wavefront6targetE0EEEvT1_
    .private_segment_fixed_size: 0
    .sgpr_count:     0
    .sgpr_spill_count: 0
    .symbol:         _ZN7rocprim17ROCPRIM_400000_NS6detail17trampoline_kernelINS0_14default_configENS1_27scan_by_key_config_selectorIifEEZZNS1_16scan_by_key_implILNS1_25lookback_scan_determinismE0ELb1ES3_N6thrust23THRUST_200600_302600_NS6detail15normal_iteratorINS9_10device_ptrIiEEEENSB_INSC_IfEEEESG_fNS9_4plusIvEENS9_8equal_toIvEEfEE10hipError_tPvRmT2_T3_T4_T5_mT6_T7_P12ihipStream_tbENKUlT_T0_E_clISt17integral_constantIbLb0EES11_EEDaSW_SX_EUlSW_E_NS1_11comp_targetILNS1_3genE9ELNS1_11target_archE1100ELNS1_3gpuE3ELNS1_3repE0EEENS1_30default_config_static_selectorELNS0_4arch9wavefront6targetE0EEEvT1_.kd
    .uniform_work_group_size: 1
    .uses_dynamic_stack: false
    .vgpr_count:     0
    .vgpr_spill_count: 0
    .wavefront_size: 32
  - .args:
      - .offset:         0
        .size:           112
        .value_kind:     by_value
    .group_segment_fixed_size: 0
    .kernarg_segment_align: 8
    .kernarg_segment_size: 112
    .language:       OpenCL C
    .language_version:
      - 2
      - 0
    .max_flat_workgroup_size: 256
    .name:           _ZN7rocprim17ROCPRIM_400000_NS6detail17trampoline_kernelINS0_14default_configENS1_27scan_by_key_config_selectorIifEEZZNS1_16scan_by_key_implILNS1_25lookback_scan_determinismE0ELb1ES3_N6thrust23THRUST_200600_302600_NS6detail15normal_iteratorINS9_10device_ptrIiEEEENSB_INSC_IfEEEESG_fNS9_4plusIvEENS9_8equal_toIvEEfEE10hipError_tPvRmT2_T3_T4_T5_mT6_T7_P12ihipStream_tbENKUlT_T0_E_clISt17integral_constantIbLb0EES11_EEDaSW_SX_EUlSW_E_NS1_11comp_targetILNS1_3genE8ELNS1_11target_archE1030ELNS1_3gpuE2ELNS1_3repE0EEENS1_30default_config_static_selectorELNS0_4arch9wavefront6targetE0EEEvT1_
    .private_segment_fixed_size: 0
    .sgpr_count:     0
    .sgpr_spill_count: 0
    .symbol:         _ZN7rocprim17ROCPRIM_400000_NS6detail17trampoline_kernelINS0_14default_configENS1_27scan_by_key_config_selectorIifEEZZNS1_16scan_by_key_implILNS1_25lookback_scan_determinismE0ELb1ES3_N6thrust23THRUST_200600_302600_NS6detail15normal_iteratorINS9_10device_ptrIiEEEENSB_INSC_IfEEEESG_fNS9_4plusIvEENS9_8equal_toIvEEfEE10hipError_tPvRmT2_T3_T4_T5_mT6_T7_P12ihipStream_tbENKUlT_T0_E_clISt17integral_constantIbLb0EES11_EEDaSW_SX_EUlSW_E_NS1_11comp_targetILNS1_3genE8ELNS1_11target_archE1030ELNS1_3gpuE2ELNS1_3repE0EEENS1_30default_config_static_selectorELNS0_4arch9wavefront6targetE0EEEvT1_.kd
    .uniform_work_group_size: 1
    .uses_dynamic_stack: false
    .vgpr_count:     0
    .vgpr_spill_count: 0
    .wavefront_size: 32
  - .args:
      - .offset:         0
        .size:           112
        .value_kind:     by_value
    .group_segment_fixed_size: 0
    .kernarg_segment_align: 8
    .kernarg_segment_size: 112
    .language:       OpenCL C
    .language_version:
      - 2
      - 0
    .max_flat_workgroup_size: 256
    .name:           _ZN7rocprim17ROCPRIM_400000_NS6detail17trampoline_kernelINS0_14default_configENS1_27scan_by_key_config_selectorIifEEZZNS1_16scan_by_key_implILNS1_25lookback_scan_determinismE0ELb1ES3_N6thrust23THRUST_200600_302600_NS6detail15normal_iteratorINS9_10device_ptrIiEEEENSB_INSC_IfEEEESG_fNS9_4plusIvEENS9_8equal_toIvEEfEE10hipError_tPvRmT2_T3_T4_T5_mT6_T7_P12ihipStream_tbENKUlT_T0_E_clISt17integral_constantIbLb1EES11_EEDaSW_SX_EUlSW_E_NS1_11comp_targetILNS1_3genE0ELNS1_11target_archE4294967295ELNS1_3gpuE0ELNS1_3repE0EEENS1_30default_config_static_selectorELNS0_4arch9wavefront6targetE0EEEvT1_
    .private_segment_fixed_size: 0
    .sgpr_count:     0
    .sgpr_spill_count: 0
    .symbol:         _ZN7rocprim17ROCPRIM_400000_NS6detail17trampoline_kernelINS0_14default_configENS1_27scan_by_key_config_selectorIifEEZZNS1_16scan_by_key_implILNS1_25lookback_scan_determinismE0ELb1ES3_N6thrust23THRUST_200600_302600_NS6detail15normal_iteratorINS9_10device_ptrIiEEEENSB_INSC_IfEEEESG_fNS9_4plusIvEENS9_8equal_toIvEEfEE10hipError_tPvRmT2_T3_T4_T5_mT6_T7_P12ihipStream_tbENKUlT_T0_E_clISt17integral_constantIbLb1EES11_EEDaSW_SX_EUlSW_E_NS1_11comp_targetILNS1_3genE0ELNS1_11target_archE4294967295ELNS1_3gpuE0ELNS1_3repE0EEENS1_30default_config_static_selectorELNS0_4arch9wavefront6targetE0EEEvT1_.kd
    .uniform_work_group_size: 1
    .uses_dynamic_stack: false
    .vgpr_count:     0
    .vgpr_spill_count: 0
    .wavefront_size: 32
  - .args:
      - .offset:         0
        .size:           112
        .value_kind:     by_value
    .group_segment_fixed_size: 0
    .kernarg_segment_align: 8
    .kernarg_segment_size: 112
    .language:       OpenCL C
    .language_version:
      - 2
      - 0
    .max_flat_workgroup_size: 256
    .name:           _ZN7rocprim17ROCPRIM_400000_NS6detail17trampoline_kernelINS0_14default_configENS1_27scan_by_key_config_selectorIifEEZZNS1_16scan_by_key_implILNS1_25lookback_scan_determinismE0ELb1ES3_N6thrust23THRUST_200600_302600_NS6detail15normal_iteratorINS9_10device_ptrIiEEEENSB_INSC_IfEEEESG_fNS9_4plusIvEENS9_8equal_toIvEEfEE10hipError_tPvRmT2_T3_T4_T5_mT6_T7_P12ihipStream_tbENKUlT_T0_E_clISt17integral_constantIbLb1EES11_EEDaSW_SX_EUlSW_E_NS1_11comp_targetILNS1_3genE10ELNS1_11target_archE1201ELNS1_3gpuE5ELNS1_3repE0EEENS1_30default_config_static_selectorELNS0_4arch9wavefront6targetE0EEEvT1_
    .private_segment_fixed_size: 0
    .sgpr_count:     0
    .sgpr_spill_count: 0
    .symbol:         _ZN7rocprim17ROCPRIM_400000_NS6detail17trampoline_kernelINS0_14default_configENS1_27scan_by_key_config_selectorIifEEZZNS1_16scan_by_key_implILNS1_25lookback_scan_determinismE0ELb1ES3_N6thrust23THRUST_200600_302600_NS6detail15normal_iteratorINS9_10device_ptrIiEEEENSB_INSC_IfEEEESG_fNS9_4plusIvEENS9_8equal_toIvEEfEE10hipError_tPvRmT2_T3_T4_T5_mT6_T7_P12ihipStream_tbENKUlT_T0_E_clISt17integral_constantIbLb1EES11_EEDaSW_SX_EUlSW_E_NS1_11comp_targetILNS1_3genE10ELNS1_11target_archE1201ELNS1_3gpuE5ELNS1_3repE0EEENS1_30default_config_static_selectorELNS0_4arch9wavefront6targetE0EEEvT1_.kd
    .uniform_work_group_size: 1
    .uses_dynamic_stack: false
    .vgpr_count:     0
    .vgpr_spill_count: 0
    .wavefront_size: 32
  - .args:
      - .offset:         0
        .size:           112
        .value_kind:     by_value
    .group_segment_fixed_size: 0
    .kernarg_segment_align: 8
    .kernarg_segment_size: 112
    .language:       OpenCL C
    .language_version:
      - 2
      - 0
    .max_flat_workgroup_size: 256
    .name:           _ZN7rocprim17ROCPRIM_400000_NS6detail17trampoline_kernelINS0_14default_configENS1_27scan_by_key_config_selectorIifEEZZNS1_16scan_by_key_implILNS1_25lookback_scan_determinismE0ELb1ES3_N6thrust23THRUST_200600_302600_NS6detail15normal_iteratorINS9_10device_ptrIiEEEENSB_INSC_IfEEEESG_fNS9_4plusIvEENS9_8equal_toIvEEfEE10hipError_tPvRmT2_T3_T4_T5_mT6_T7_P12ihipStream_tbENKUlT_T0_E_clISt17integral_constantIbLb1EES11_EEDaSW_SX_EUlSW_E_NS1_11comp_targetILNS1_3genE5ELNS1_11target_archE942ELNS1_3gpuE9ELNS1_3repE0EEENS1_30default_config_static_selectorELNS0_4arch9wavefront6targetE0EEEvT1_
    .private_segment_fixed_size: 0
    .sgpr_count:     0
    .sgpr_spill_count: 0
    .symbol:         _ZN7rocprim17ROCPRIM_400000_NS6detail17trampoline_kernelINS0_14default_configENS1_27scan_by_key_config_selectorIifEEZZNS1_16scan_by_key_implILNS1_25lookback_scan_determinismE0ELb1ES3_N6thrust23THRUST_200600_302600_NS6detail15normal_iteratorINS9_10device_ptrIiEEEENSB_INSC_IfEEEESG_fNS9_4plusIvEENS9_8equal_toIvEEfEE10hipError_tPvRmT2_T3_T4_T5_mT6_T7_P12ihipStream_tbENKUlT_T0_E_clISt17integral_constantIbLb1EES11_EEDaSW_SX_EUlSW_E_NS1_11comp_targetILNS1_3genE5ELNS1_11target_archE942ELNS1_3gpuE9ELNS1_3repE0EEENS1_30default_config_static_selectorELNS0_4arch9wavefront6targetE0EEEvT1_.kd
    .uniform_work_group_size: 1
    .uses_dynamic_stack: false
    .vgpr_count:     0
    .vgpr_spill_count: 0
    .wavefront_size: 32
  - .args:
      - .offset:         0
        .size:           112
        .value_kind:     by_value
    .group_segment_fixed_size: 0
    .kernarg_segment_align: 8
    .kernarg_segment_size: 112
    .language:       OpenCL C
    .language_version:
      - 2
      - 0
    .max_flat_workgroup_size: 256
    .name:           _ZN7rocprim17ROCPRIM_400000_NS6detail17trampoline_kernelINS0_14default_configENS1_27scan_by_key_config_selectorIifEEZZNS1_16scan_by_key_implILNS1_25lookback_scan_determinismE0ELb1ES3_N6thrust23THRUST_200600_302600_NS6detail15normal_iteratorINS9_10device_ptrIiEEEENSB_INSC_IfEEEESG_fNS9_4plusIvEENS9_8equal_toIvEEfEE10hipError_tPvRmT2_T3_T4_T5_mT6_T7_P12ihipStream_tbENKUlT_T0_E_clISt17integral_constantIbLb1EES11_EEDaSW_SX_EUlSW_E_NS1_11comp_targetILNS1_3genE4ELNS1_11target_archE910ELNS1_3gpuE8ELNS1_3repE0EEENS1_30default_config_static_selectorELNS0_4arch9wavefront6targetE0EEEvT1_
    .private_segment_fixed_size: 0
    .sgpr_count:     0
    .sgpr_spill_count: 0
    .symbol:         _ZN7rocprim17ROCPRIM_400000_NS6detail17trampoline_kernelINS0_14default_configENS1_27scan_by_key_config_selectorIifEEZZNS1_16scan_by_key_implILNS1_25lookback_scan_determinismE0ELb1ES3_N6thrust23THRUST_200600_302600_NS6detail15normal_iteratorINS9_10device_ptrIiEEEENSB_INSC_IfEEEESG_fNS9_4plusIvEENS9_8equal_toIvEEfEE10hipError_tPvRmT2_T3_T4_T5_mT6_T7_P12ihipStream_tbENKUlT_T0_E_clISt17integral_constantIbLb1EES11_EEDaSW_SX_EUlSW_E_NS1_11comp_targetILNS1_3genE4ELNS1_11target_archE910ELNS1_3gpuE8ELNS1_3repE0EEENS1_30default_config_static_selectorELNS0_4arch9wavefront6targetE0EEEvT1_.kd
    .uniform_work_group_size: 1
    .uses_dynamic_stack: false
    .vgpr_count:     0
    .vgpr_spill_count: 0
    .wavefront_size: 32
  - .args:
      - .offset:         0
        .size:           112
        .value_kind:     by_value
    .group_segment_fixed_size: 0
    .kernarg_segment_align: 8
    .kernarg_segment_size: 112
    .language:       OpenCL C
    .language_version:
      - 2
      - 0
    .max_flat_workgroup_size: 256
    .name:           _ZN7rocprim17ROCPRIM_400000_NS6detail17trampoline_kernelINS0_14default_configENS1_27scan_by_key_config_selectorIifEEZZNS1_16scan_by_key_implILNS1_25lookback_scan_determinismE0ELb1ES3_N6thrust23THRUST_200600_302600_NS6detail15normal_iteratorINS9_10device_ptrIiEEEENSB_INSC_IfEEEESG_fNS9_4plusIvEENS9_8equal_toIvEEfEE10hipError_tPvRmT2_T3_T4_T5_mT6_T7_P12ihipStream_tbENKUlT_T0_E_clISt17integral_constantIbLb1EES11_EEDaSW_SX_EUlSW_E_NS1_11comp_targetILNS1_3genE3ELNS1_11target_archE908ELNS1_3gpuE7ELNS1_3repE0EEENS1_30default_config_static_selectorELNS0_4arch9wavefront6targetE0EEEvT1_
    .private_segment_fixed_size: 0
    .sgpr_count:     0
    .sgpr_spill_count: 0
    .symbol:         _ZN7rocprim17ROCPRIM_400000_NS6detail17trampoline_kernelINS0_14default_configENS1_27scan_by_key_config_selectorIifEEZZNS1_16scan_by_key_implILNS1_25lookback_scan_determinismE0ELb1ES3_N6thrust23THRUST_200600_302600_NS6detail15normal_iteratorINS9_10device_ptrIiEEEENSB_INSC_IfEEEESG_fNS9_4plusIvEENS9_8equal_toIvEEfEE10hipError_tPvRmT2_T3_T4_T5_mT6_T7_P12ihipStream_tbENKUlT_T0_E_clISt17integral_constantIbLb1EES11_EEDaSW_SX_EUlSW_E_NS1_11comp_targetILNS1_3genE3ELNS1_11target_archE908ELNS1_3gpuE7ELNS1_3repE0EEENS1_30default_config_static_selectorELNS0_4arch9wavefront6targetE0EEEvT1_.kd
    .uniform_work_group_size: 1
    .uses_dynamic_stack: false
    .vgpr_count:     0
    .vgpr_spill_count: 0
    .wavefront_size: 32
  - .args:
      - .offset:         0
        .size:           112
        .value_kind:     by_value
    .group_segment_fixed_size: 0
    .kernarg_segment_align: 8
    .kernarg_segment_size: 112
    .language:       OpenCL C
    .language_version:
      - 2
      - 0
    .max_flat_workgroup_size: 256
    .name:           _ZN7rocprim17ROCPRIM_400000_NS6detail17trampoline_kernelINS0_14default_configENS1_27scan_by_key_config_selectorIifEEZZNS1_16scan_by_key_implILNS1_25lookback_scan_determinismE0ELb1ES3_N6thrust23THRUST_200600_302600_NS6detail15normal_iteratorINS9_10device_ptrIiEEEENSB_INSC_IfEEEESG_fNS9_4plusIvEENS9_8equal_toIvEEfEE10hipError_tPvRmT2_T3_T4_T5_mT6_T7_P12ihipStream_tbENKUlT_T0_E_clISt17integral_constantIbLb1EES11_EEDaSW_SX_EUlSW_E_NS1_11comp_targetILNS1_3genE2ELNS1_11target_archE906ELNS1_3gpuE6ELNS1_3repE0EEENS1_30default_config_static_selectorELNS0_4arch9wavefront6targetE0EEEvT1_
    .private_segment_fixed_size: 0
    .sgpr_count:     0
    .sgpr_spill_count: 0
    .symbol:         _ZN7rocprim17ROCPRIM_400000_NS6detail17trampoline_kernelINS0_14default_configENS1_27scan_by_key_config_selectorIifEEZZNS1_16scan_by_key_implILNS1_25lookback_scan_determinismE0ELb1ES3_N6thrust23THRUST_200600_302600_NS6detail15normal_iteratorINS9_10device_ptrIiEEEENSB_INSC_IfEEEESG_fNS9_4plusIvEENS9_8equal_toIvEEfEE10hipError_tPvRmT2_T3_T4_T5_mT6_T7_P12ihipStream_tbENKUlT_T0_E_clISt17integral_constantIbLb1EES11_EEDaSW_SX_EUlSW_E_NS1_11comp_targetILNS1_3genE2ELNS1_11target_archE906ELNS1_3gpuE6ELNS1_3repE0EEENS1_30default_config_static_selectorELNS0_4arch9wavefront6targetE0EEEvT1_.kd
    .uniform_work_group_size: 1
    .uses_dynamic_stack: false
    .vgpr_count:     0
    .vgpr_spill_count: 0
    .wavefront_size: 32
  - .args:
      - .offset:         0
        .size:           112
        .value_kind:     by_value
    .group_segment_fixed_size: 0
    .kernarg_segment_align: 8
    .kernarg_segment_size: 112
    .language:       OpenCL C
    .language_version:
      - 2
      - 0
    .max_flat_workgroup_size: 256
    .name:           _ZN7rocprim17ROCPRIM_400000_NS6detail17trampoline_kernelINS0_14default_configENS1_27scan_by_key_config_selectorIifEEZZNS1_16scan_by_key_implILNS1_25lookback_scan_determinismE0ELb1ES3_N6thrust23THRUST_200600_302600_NS6detail15normal_iteratorINS9_10device_ptrIiEEEENSB_INSC_IfEEEESG_fNS9_4plusIvEENS9_8equal_toIvEEfEE10hipError_tPvRmT2_T3_T4_T5_mT6_T7_P12ihipStream_tbENKUlT_T0_E_clISt17integral_constantIbLb1EES11_EEDaSW_SX_EUlSW_E_NS1_11comp_targetILNS1_3genE10ELNS1_11target_archE1200ELNS1_3gpuE4ELNS1_3repE0EEENS1_30default_config_static_selectorELNS0_4arch9wavefront6targetE0EEEvT1_
    .private_segment_fixed_size: 0
    .sgpr_count:     0
    .sgpr_spill_count: 0
    .symbol:         _ZN7rocprim17ROCPRIM_400000_NS6detail17trampoline_kernelINS0_14default_configENS1_27scan_by_key_config_selectorIifEEZZNS1_16scan_by_key_implILNS1_25lookback_scan_determinismE0ELb1ES3_N6thrust23THRUST_200600_302600_NS6detail15normal_iteratorINS9_10device_ptrIiEEEENSB_INSC_IfEEEESG_fNS9_4plusIvEENS9_8equal_toIvEEfEE10hipError_tPvRmT2_T3_T4_T5_mT6_T7_P12ihipStream_tbENKUlT_T0_E_clISt17integral_constantIbLb1EES11_EEDaSW_SX_EUlSW_E_NS1_11comp_targetILNS1_3genE10ELNS1_11target_archE1200ELNS1_3gpuE4ELNS1_3repE0EEENS1_30default_config_static_selectorELNS0_4arch9wavefront6targetE0EEEvT1_.kd
    .uniform_work_group_size: 1
    .uses_dynamic_stack: false
    .vgpr_count:     0
    .vgpr_spill_count: 0
    .wavefront_size: 32
  - .args:
      - .offset:         0
        .size:           112
        .value_kind:     by_value
    .group_segment_fixed_size: 0
    .kernarg_segment_align: 8
    .kernarg_segment_size: 112
    .language:       OpenCL C
    .language_version:
      - 2
      - 0
    .max_flat_workgroup_size: 256
    .name:           _ZN7rocprim17ROCPRIM_400000_NS6detail17trampoline_kernelINS0_14default_configENS1_27scan_by_key_config_selectorIifEEZZNS1_16scan_by_key_implILNS1_25lookback_scan_determinismE0ELb1ES3_N6thrust23THRUST_200600_302600_NS6detail15normal_iteratorINS9_10device_ptrIiEEEENSB_INSC_IfEEEESG_fNS9_4plusIvEENS9_8equal_toIvEEfEE10hipError_tPvRmT2_T3_T4_T5_mT6_T7_P12ihipStream_tbENKUlT_T0_E_clISt17integral_constantIbLb1EES11_EEDaSW_SX_EUlSW_E_NS1_11comp_targetILNS1_3genE9ELNS1_11target_archE1100ELNS1_3gpuE3ELNS1_3repE0EEENS1_30default_config_static_selectorELNS0_4arch9wavefront6targetE0EEEvT1_
    .private_segment_fixed_size: 0
    .sgpr_count:     0
    .sgpr_spill_count: 0
    .symbol:         _ZN7rocprim17ROCPRIM_400000_NS6detail17trampoline_kernelINS0_14default_configENS1_27scan_by_key_config_selectorIifEEZZNS1_16scan_by_key_implILNS1_25lookback_scan_determinismE0ELb1ES3_N6thrust23THRUST_200600_302600_NS6detail15normal_iteratorINS9_10device_ptrIiEEEENSB_INSC_IfEEEESG_fNS9_4plusIvEENS9_8equal_toIvEEfEE10hipError_tPvRmT2_T3_T4_T5_mT6_T7_P12ihipStream_tbENKUlT_T0_E_clISt17integral_constantIbLb1EES11_EEDaSW_SX_EUlSW_E_NS1_11comp_targetILNS1_3genE9ELNS1_11target_archE1100ELNS1_3gpuE3ELNS1_3repE0EEENS1_30default_config_static_selectorELNS0_4arch9wavefront6targetE0EEEvT1_.kd
    .uniform_work_group_size: 1
    .uses_dynamic_stack: false
    .vgpr_count:     0
    .vgpr_spill_count: 0
    .wavefront_size: 32
  - .args:
      - .offset:         0
        .size:           112
        .value_kind:     by_value
    .group_segment_fixed_size: 0
    .kernarg_segment_align: 8
    .kernarg_segment_size: 112
    .language:       OpenCL C
    .language_version:
      - 2
      - 0
    .max_flat_workgroup_size: 256
    .name:           _ZN7rocprim17ROCPRIM_400000_NS6detail17trampoline_kernelINS0_14default_configENS1_27scan_by_key_config_selectorIifEEZZNS1_16scan_by_key_implILNS1_25lookback_scan_determinismE0ELb1ES3_N6thrust23THRUST_200600_302600_NS6detail15normal_iteratorINS9_10device_ptrIiEEEENSB_INSC_IfEEEESG_fNS9_4plusIvEENS9_8equal_toIvEEfEE10hipError_tPvRmT2_T3_T4_T5_mT6_T7_P12ihipStream_tbENKUlT_T0_E_clISt17integral_constantIbLb1EES11_EEDaSW_SX_EUlSW_E_NS1_11comp_targetILNS1_3genE8ELNS1_11target_archE1030ELNS1_3gpuE2ELNS1_3repE0EEENS1_30default_config_static_selectorELNS0_4arch9wavefront6targetE0EEEvT1_
    .private_segment_fixed_size: 0
    .sgpr_count:     0
    .sgpr_spill_count: 0
    .symbol:         _ZN7rocprim17ROCPRIM_400000_NS6detail17trampoline_kernelINS0_14default_configENS1_27scan_by_key_config_selectorIifEEZZNS1_16scan_by_key_implILNS1_25lookback_scan_determinismE0ELb1ES3_N6thrust23THRUST_200600_302600_NS6detail15normal_iteratorINS9_10device_ptrIiEEEENSB_INSC_IfEEEESG_fNS9_4plusIvEENS9_8equal_toIvEEfEE10hipError_tPvRmT2_T3_T4_T5_mT6_T7_P12ihipStream_tbENKUlT_T0_E_clISt17integral_constantIbLb1EES11_EEDaSW_SX_EUlSW_E_NS1_11comp_targetILNS1_3genE8ELNS1_11target_archE1030ELNS1_3gpuE2ELNS1_3repE0EEENS1_30default_config_static_selectorELNS0_4arch9wavefront6targetE0EEEvT1_.kd
    .uniform_work_group_size: 1
    .uses_dynamic_stack: false
    .vgpr_count:     0
    .vgpr_spill_count: 0
    .wavefront_size: 32
  - .args:
      - .offset:         0
        .size:           112
        .value_kind:     by_value
    .group_segment_fixed_size: 0
    .kernarg_segment_align: 8
    .kernarg_segment_size: 112
    .language:       OpenCL C
    .language_version:
      - 2
      - 0
    .max_flat_workgroup_size: 256
    .name:           _ZN7rocprim17ROCPRIM_400000_NS6detail17trampoline_kernelINS0_14default_configENS1_27scan_by_key_config_selectorIifEEZZNS1_16scan_by_key_implILNS1_25lookback_scan_determinismE0ELb1ES3_N6thrust23THRUST_200600_302600_NS6detail15normal_iteratorINS9_10device_ptrIiEEEENSB_INSC_IfEEEESG_fNS9_4plusIvEENS9_8equal_toIvEEfEE10hipError_tPvRmT2_T3_T4_T5_mT6_T7_P12ihipStream_tbENKUlT_T0_E_clISt17integral_constantIbLb1EES10_IbLb0EEEEDaSW_SX_EUlSW_E_NS1_11comp_targetILNS1_3genE0ELNS1_11target_archE4294967295ELNS1_3gpuE0ELNS1_3repE0EEENS1_30default_config_static_selectorELNS0_4arch9wavefront6targetE0EEEvT1_
    .private_segment_fixed_size: 0
    .sgpr_count:     0
    .sgpr_spill_count: 0
    .symbol:         _ZN7rocprim17ROCPRIM_400000_NS6detail17trampoline_kernelINS0_14default_configENS1_27scan_by_key_config_selectorIifEEZZNS1_16scan_by_key_implILNS1_25lookback_scan_determinismE0ELb1ES3_N6thrust23THRUST_200600_302600_NS6detail15normal_iteratorINS9_10device_ptrIiEEEENSB_INSC_IfEEEESG_fNS9_4plusIvEENS9_8equal_toIvEEfEE10hipError_tPvRmT2_T3_T4_T5_mT6_T7_P12ihipStream_tbENKUlT_T0_E_clISt17integral_constantIbLb1EES10_IbLb0EEEEDaSW_SX_EUlSW_E_NS1_11comp_targetILNS1_3genE0ELNS1_11target_archE4294967295ELNS1_3gpuE0ELNS1_3repE0EEENS1_30default_config_static_selectorELNS0_4arch9wavefront6targetE0EEEvT1_.kd
    .uniform_work_group_size: 1
    .uses_dynamic_stack: false
    .vgpr_count:     0
    .vgpr_spill_count: 0
    .wavefront_size: 32
  - .args:
      - .offset:         0
        .size:           112
        .value_kind:     by_value
    .group_segment_fixed_size: 0
    .kernarg_segment_align: 8
    .kernarg_segment_size: 112
    .language:       OpenCL C
    .language_version:
      - 2
      - 0
    .max_flat_workgroup_size: 256
    .name:           _ZN7rocprim17ROCPRIM_400000_NS6detail17trampoline_kernelINS0_14default_configENS1_27scan_by_key_config_selectorIifEEZZNS1_16scan_by_key_implILNS1_25lookback_scan_determinismE0ELb1ES3_N6thrust23THRUST_200600_302600_NS6detail15normal_iteratorINS9_10device_ptrIiEEEENSB_INSC_IfEEEESG_fNS9_4plusIvEENS9_8equal_toIvEEfEE10hipError_tPvRmT2_T3_T4_T5_mT6_T7_P12ihipStream_tbENKUlT_T0_E_clISt17integral_constantIbLb1EES10_IbLb0EEEEDaSW_SX_EUlSW_E_NS1_11comp_targetILNS1_3genE10ELNS1_11target_archE1201ELNS1_3gpuE5ELNS1_3repE0EEENS1_30default_config_static_selectorELNS0_4arch9wavefront6targetE0EEEvT1_
    .private_segment_fixed_size: 0
    .sgpr_count:     0
    .sgpr_spill_count: 0
    .symbol:         _ZN7rocprim17ROCPRIM_400000_NS6detail17trampoline_kernelINS0_14default_configENS1_27scan_by_key_config_selectorIifEEZZNS1_16scan_by_key_implILNS1_25lookback_scan_determinismE0ELb1ES3_N6thrust23THRUST_200600_302600_NS6detail15normal_iteratorINS9_10device_ptrIiEEEENSB_INSC_IfEEEESG_fNS9_4plusIvEENS9_8equal_toIvEEfEE10hipError_tPvRmT2_T3_T4_T5_mT6_T7_P12ihipStream_tbENKUlT_T0_E_clISt17integral_constantIbLb1EES10_IbLb0EEEEDaSW_SX_EUlSW_E_NS1_11comp_targetILNS1_3genE10ELNS1_11target_archE1201ELNS1_3gpuE5ELNS1_3repE0EEENS1_30default_config_static_selectorELNS0_4arch9wavefront6targetE0EEEvT1_.kd
    .uniform_work_group_size: 1
    .uses_dynamic_stack: false
    .vgpr_count:     0
    .vgpr_spill_count: 0
    .wavefront_size: 32
  - .args:
      - .offset:         0
        .size:           112
        .value_kind:     by_value
    .group_segment_fixed_size: 0
    .kernarg_segment_align: 8
    .kernarg_segment_size: 112
    .language:       OpenCL C
    .language_version:
      - 2
      - 0
    .max_flat_workgroup_size: 256
    .name:           _ZN7rocprim17ROCPRIM_400000_NS6detail17trampoline_kernelINS0_14default_configENS1_27scan_by_key_config_selectorIifEEZZNS1_16scan_by_key_implILNS1_25lookback_scan_determinismE0ELb1ES3_N6thrust23THRUST_200600_302600_NS6detail15normal_iteratorINS9_10device_ptrIiEEEENSB_INSC_IfEEEESG_fNS9_4plusIvEENS9_8equal_toIvEEfEE10hipError_tPvRmT2_T3_T4_T5_mT6_T7_P12ihipStream_tbENKUlT_T0_E_clISt17integral_constantIbLb1EES10_IbLb0EEEEDaSW_SX_EUlSW_E_NS1_11comp_targetILNS1_3genE5ELNS1_11target_archE942ELNS1_3gpuE9ELNS1_3repE0EEENS1_30default_config_static_selectorELNS0_4arch9wavefront6targetE0EEEvT1_
    .private_segment_fixed_size: 0
    .sgpr_count:     0
    .sgpr_spill_count: 0
    .symbol:         _ZN7rocprim17ROCPRIM_400000_NS6detail17trampoline_kernelINS0_14default_configENS1_27scan_by_key_config_selectorIifEEZZNS1_16scan_by_key_implILNS1_25lookback_scan_determinismE0ELb1ES3_N6thrust23THRUST_200600_302600_NS6detail15normal_iteratorINS9_10device_ptrIiEEEENSB_INSC_IfEEEESG_fNS9_4plusIvEENS9_8equal_toIvEEfEE10hipError_tPvRmT2_T3_T4_T5_mT6_T7_P12ihipStream_tbENKUlT_T0_E_clISt17integral_constantIbLb1EES10_IbLb0EEEEDaSW_SX_EUlSW_E_NS1_11comp_targetILNS1_3genE5ELNS1_11target_archE942ELNS1_3gpuE9ELNS1_3repE0EEENS1_30default_config_static_selectorELNS0_4arch9wavefront6targetE0EEEvT1_.kd
    .uniform_work_group_size: 1
    .uses_dynamic_stack: false
    .vgpr_count:     0
    .vgpr_spill_count: 0
    .wavefront_size: 32
  - .args:
      - .offset:         0
        .size:           112
        .value_kind:     by_value
    .group_segment_fixed_size: 0
    .kernarg_segment_align: 8
    .kernarg_segment_size: 112
    .language:       OpenCL C
    .language_version:
      - 2
      - 0
    .max_flat_workgroup_size: 256
    .name:           _ZN7rocprim17ROCPRIM_400000_NS6detail17trampoline_kernelINS0_14default_configENS1_27scan_by_key_config_selectorIifEEZZNS1_16scan_by_key_implILNS1_25lookback_scan_determinismE0ELb1ES3_N6thrust23THRUST_200600_302600_NS6detail15normal_iteratorINS9_10device_ptrIiEEEENSB_INSC_IfEEEESG_fNS9_4plusIvEENS9_8equal_toIvEEfEE10hipError_tPvRmT2_T3_T4_T5_mT6_T7_P12ihipStream_tbENKUlT_T0_E_clISt17integral_constantIbLb1EES10_IbLb0EEEEDaSW_SX_EUlSW_E_NS1_11comp_targetILNS1_3genE4ELNS1_11target_archE910ELNS1_3gpuE8ELNS1_3repE0EEENS1_30default_config_static_selectorELNS0_4arch9wavefront6targetE0EEEvT1_
    .private_segment_fixed_size: 0
    .sgpr_count:     0
    .sgpr_spill_count: 0
    .symbol:         _ZN7rocprim17ROCPRIM_400000_NS6detail17trampoline_kernelINS0_14default_configENS1_27scan_by_key_config_selectorIifEEZZNS1_16scan_by_key_implILNS1_25lookback_scan_determinismE0ELb1ES3_N6thrust23THRUST_200600_302600_NS6detail15normal_iteratorINS9_10device_ptrIiEEEENSB_INSC_IfEEEESG_fNS9_4plusIvEENS9_8equal_toIvEEfEE10hipError_tPvRmT2_T3_T4_T5_mT6_T7_P12ihipStream_tbENKUlT_T0_E_clISt17integral_constantIbLb1EES10_IbLb0EEEEDaSW_SX_EUlSW_E_NS1_11comp_targetILNS1_3genE4ELNS1_11target_archE910ELNS1_3gpuE8ELNS1_3repE0EEENS1_30default_config_static_selectorELNS0_4arch9wavefront6targetE0EEEvT1_.kd
    .uniform_work_group_size: 1
    .uses_dynamic_stack: false
    .vgpr_count:     0
    .vgpr_spill_count: 0
    .wavefront_size: 32
  - .args:
      - .offset:         0
        .size:           112
        .value_kind:     by_value
    .group_segment_fixed_size: 0
    .kernarg_segment_align: 8
    .kernarg_segment_size: 112
    .language:       OpenCL C
    .language_version:
      - 2
      - 0
    .max_flat_workgroup_size: 256
    .name:           _ZN7rocprim17ROCPRIM_400000_NS6detail17trampoline_kernelINS0_14default_configENS1_27scan_by_key_config_selectorIifEEZZNS1_16scan_by_key_implILNS1_25lookback_scan_determinismE0ELb1ES3_N6thrust23THRUST_200600_302600_NS6detail15normal_iteratorINS9_10device_ptrIiEEEENSB_INSC_IfEEEESG_fNS9_4plusIvEENS9_8equal_toIvEEfEE10hipError_tPvRmT2_T3_T4_T5_mT6_T7_P12ihipStream_tbENKUlT_T0_E_clISt17integral_constantIbLb1EES10_IbLb0EEEEDaSW_SX_EUlSW_E_NS1_11comp_targetILNS1_3genE3ELNS1_11target_archE908ELNS1_3gpuE7ELNS1_3repE0EEENS1_30default_config_static_selectorELNS0_4arch9wavefront6targetE0EEEvT1_
    .private_segment_fixed_size: 0
    .sgpr_count:     0
    .sgpr_spill_count: 0
    .symbol:         _ZN7rocprim17ROCPRIM_400000_NS6detail17trampoline_kernelINS0_14default_configENS1_27scan_by_key_config_selectorIifEEZZNS1_16scan_by_key_implILNS1_25lookback_scan_determinismE0ELb1ES3_N6thrust23THRUST_200600_302600_NS6detail15normal_iteratorINS9_10device_ptrIiEEEENSB_INSC_IfEEEESG_fNS9_4plusIvEENS9_8equal_toIvEEfEE10hipError_tPvRmT2_T3_T4_T5_mT6_T7_P12ihipStream_tbENKUlT_T0_E_clISt17integral_constantIbLb1EES10_IbLb0EEEEDaSW_SX_EUlSW_E_NS1_11comp_targetILNS1_3genE3ELNS1_11target_archE908ELNS1_3gpuE7ELNS1_3repE0EEENS1_30default_config_static_selectorELNS0_4arch9wavefront6targetE0EEEvT1_.kd
    .uniform_work_group_size: 1
    .uses_dynamic_stack: false
    .vgpr_count:     0
    .vgpr_spill_count: 0
    .wavefront_size: 32
  - .args:
      - .offset:         0
        .size:           112
        .value_kind:     by_value
    .group_segment_fixed_size: 0
    .kernarg_segment_align: 8
    .kernarg_segment_size: 112
    .language:       OpenCL C
    .language_version:
      - 2
      - 0
    .max_flat_workgroup_size: 256
    .name:           _ZN7rocprim17ROCPRIM_400000_NS6detail17trampoline_kernelINS0_14default_configENS1_27scan_by_key_config_selectorIifEEZZNS1_16scan_by_key_implILNS1_25lookback_scan_determinismE0ELb1ES3_N6thrust23THRUST_200600_302600_NS6detail15normal_iteratorINS9_10device_ptrIiEEEENSB_INSC_IfEEEESG_fNS9_4plusIvEENS9_8equal_toIvEEfEE10hipError_tPvRmT2_T3_T4_T5_mT6_T7_P12ihipStream_tbENKUlT_T0_E_clISt17integral_constantIbLb1EES10_IbLb0EEEEDaSW_SX_EUlSW_E_NS1_11comp_targetILNS1_3genE2ELNS1_11target_archE906ELNS1_3gpuE6ELNS1_3repE0EEENS1_30default_config_static_selectorELNS0_4arch9wavefront6targetE0EEEvT1_
    .private_segment_fixed_size: 0
    .sgpr_count:     0
    .sgpr_spill_count: 0
    .symbol:         _ZN7rocprim17ROCPRIM_400000_NS6detail17trampoline_kernelINS0_14default_configENS1_27scan_by_key_config_selectorIifEEZZNS1_16scan_by_key_implILNS1_25lookback_scan_determinismE0ELb1ES3_N6thrust23THRUST_200600_302600_NS6detail15normal_iteratorINS9_10device_ptrIiEEEENSB_INSC_IfEEEESG_fNS9_4plusIvEENS9_8equal_toIvEEfEE10hipError_tPvRmT2_T3_T4_T5_mT6_T7_P12ihipStream_tbENKUlT_T0_E_clISt17integral_constantIbLb1EES10_IbLb0EEEEDaSW_SX_EUlSW_E_NS1_11comp_targetILNS1_3genE2ELNS1_11target_archE906ELNS1_3gpuE6ELNS1_3repE0EEENS1_30default_config_static_selectorELNS0_4arch9wavefront6targetE0EEEvT1_.kd
    .uniform_work_group_size: 1
    .uses_dynamic_stack: false
    .vgpr_count:     0
    .vgpr_spill_count: 0
    .wavefront_size: 32
  - .args:
      - .offset:         0
        .size:           112
        .value_kind:     by_value
    .group_segment_fixed_size: 0
    .kernarg_segment_align: 8
    .kernarg_segment_size: 112
    .language:       OpenCL C
    .language_version:
      - 2
      - 0
    .max_flat_workgroup_size: 256
    .name:           _ZN7rocprim17ROCPRIM_400000_NS6detail17trampoline_kernelINS0_14default_configENS1_27scan_by_key_config_selectorIifEEZZNS1_16scan_by_key_implILNS1_25lookback_scan_determinismE0ELb1ES3_N6thrust23THRUST_200600_302600_NS6detail15normal_iteratorINS9_10device_ptrIiEEEENSB_INSC_IfEEEESG_fNS9_4plusIvEENS9_8equal_toIvEEfEE10hipError_tPvRmT2_T3_T4_T5_mT6_T7_P12ihipStream_tbENKUlT_T0_E_clISt17integral_constantIbLb1EES10_IbLb0EEEEDaSW_SX_EUlSW_E_NS1_11comp_targetILNS1_3genE10ELNS1_11target_archE1200ELNS1_3gpuE4ELNS1_3repE0EEENS1_30default_config_static_selectorELNS0_4arch9wavefront6targetE0EEEvT1_
    .private_segment_fixed_size: 0
    .sgpr_count:     0
    .sgpr_spill_count: 0
    .symbol:         _ZN7rocprim17ROCPRIM_400000_NS6detail17trampoline_kernelINS0_14default_configENS1_27scan_by_key_config_selectorIifEEZZNS1_16scan_by_key_implILNS1_25lookback_scan_determinismE0ELb1ES3_N6thrust23THRUST_200600_302600_NS6detail15normal_iteratorINS9_10device_ptrIiEEEENSB_INSC_IfEEEESG_fNS9_4plusIvEENS9_8equal_toIvEEfEE10hipError_tPvRmT2_T3_T4_T5_mT6_T7_P12ihipStream_tbENKUlT_T0_E_clISt17integral_constantIbLb1EES10_IbLb0EEEEDaSW_SX_EUlSW_E_NS1_11comp_targetILNS1_3genE10ELNS1_11target_archE1200ELNS1_3gpuE4ELNS1_3repE0EEENS1_30default_config_static_selectorELNS0_4arch9wavefront6targetE0EEEvT1_.kd
    .uniform_work_group_size: 1
    .uses_dynamic_stack: false
    .vgpr_count:     0
    .vgpr_spill_count: 0
    .wavefront_size: 32
  - .args:
      - .offset:         0
        .size:           112
        .value_kind:     by_value
    .group_segment_fixed_size: 0
    .kernarg_segment_align: 8
    .kernarg_segment_size: 112
    .language:       OpenCL C
    .language_version:
      - 2
      - 0
    .max_flat_workgroup_size: 256
    .name:           _ZN7rocprim17ROCPRIM_400000_NS6detail17trampoline_kernelINS0_14default_configENS1_27scan_by_key_config_selectorIifEEZZNS1_16scan_by_key_implILNS1_25lookback_scan_determinismE0ELb1ES3_N6thrust23THRUST_200600_302600_NS6detail15normal_iteratorINS9_10device_ptrIiEEEENSB_INSC_IfEEEESG_fNS9_4plusIvEENS9_8equal_toIvEEfEE10hipError_tPvRmT2_T3_T4_T5_mT6_T7_P12ihipStream_tbENKUlT_T0_E_clISt17integral_constantIbLb1EES10_IbLb0EEEEDaSW_SX_EUlSW_E_NS1_11comp_targetILNS1_3genE9ELNS1_11target_archE1100ELNS1_3gpuE3ELNS1_3repE0EEENS1_30default_config_static_selectorELNS0_4arch9wavefront6targetE0EEEvT1_
    .private_segment_fixed_size: 0
    .sgpr_count:     0
    .sgpr_spill_count: 0
    .symbol:         _ZN7rocprim17ROCPRIM_400000_NS6detail17trampoline_kernelINS0_14default_configENS1_27scan_by_key_config_selectorIifEEZZNS1_16scan_by_key_implILNS1_25lookback_scan_determinismE0ELb1ES3_N6thrust23THRUST_200600_302600_NS6detail15normal_iteratorINS9_10device_ptrIiEEEENSB_INSC_IfEEEESG_fNS9_4plusIvEENS9_8equal_toIvEEfEE10hipError_tPvRmT2_T3_T4_T5_mT6_T7_P12ihipStream_tbENKUlT_T0_E_clISt17integral_constantIbLb1EES10_IbLb0EEEEDaSW_SX_EUlSW_E_NS1_11comp_targetILNS1_3genE9ELNS1_11target_archE1100ELNS1_3gpuE3ELNS1_3repE0EEENS1_30default_config_static_selectorELNS0_4arch9wavefront6targetE0EEEvT1_.kd
    .uniform_work_group_size: 1
    .uses_dynamic_stack: false
    .vgpr_count:     0
    .vgpr_spill_count: 0
    .wavefront_size: 32
  - .args:
      - .offset:         0
        .size:           112
        .value_kind:     by_value
    .group_segment_fixed_size: 0
    .kernarg_segment_align: 8
    .kernarg_segment_size: 112
    .language:       OpenCL C
    .language_version:
      - 2
      - 0
    .max_flat_workgroup_size: 256
    .name:           _ZN7rocprim17ROCPRIM_400000_NS6detail17trampoline_kernelINS0_14default_configENS1_27scan_by_key_config_selectorIifEEZZNS1_16scan_by_key_implILNS1_25lookback_scan_determinismE0ELb1ES3_N6thrust23THRUST_200600_302600_NS6detail15normal_iteratorINS9_10device_ptrIiEEEENSB_INSC_IfEEEESG_fNS9_4plusIvEENS9_8equal_toIvEEfEE10hipError_tPvRmT2_T3_T4_T5_mT6_T7_P12ihipStream_tbENKUlT_T0_E_clISt17integral_constantIbLb1EES10_IbLb0EEEEDaSW_SX_EUlSW_E_NS1_11comp_targetILNS1_3genE8ELNS1_11target_archE1030ELNS1_3gpuE2ELNS1_3repE0EEENS1_30default_config_static_selectorELNS0_4arch9wavefront6targetE0EEEvT1_
    .private_segment_fixed_size: 0
    .sgpr_count:     0
    .sgpr_spill_count: 0
    .symbol:         _ZN7rocprim17ROCPRIM_400000_NS6detail17trampoline_kernelINS0_14default_configENS1_27scan_by_key_config_selectorIifEEZZNS1_16scan_by_key_implILNS1_25lookback_scan_determinismE0ELb1ES3_N6thrust23THRUST_200600_302600_NS6detail15normal_iteratorINS9_10device_ptrIiEEEENSB_INSC_IfEEEESG_fNS9_4plusIvEENS9_8equal_toIvEEfEE10hipError_tPvRmT2_T3_T4_T5_mT6_T7_P12ihipStream_tbENKUlT_T0_E_clISt17integral_constantIbLb1EES10_IbLb0EEEEDaSW_SX_EUlSW_E_NS1_11comp_targetILNS1_3genE8ELNS1_11target_archE1030ELNS1_3gpuE2ELNS1_3repE0EEENS1_30default_config_static_selectorELNS0_4arch9wavefront6targetE0EEEvT1_.kd
    .uniform_work_group_size: 1
    .uses_dynamic_stack: false
    .vgpr_count:     0
    .vgpr_spill_count: 0
    .wavefront_size: 32
  - .args:
      - .offset:         0
        .size:           112
        .value_kind:     by_value
    .group_segment_fixed_size: 14336
    .kernarg_segment_align: 8
    .kernarg_segment_size: 112
    .language:       OpenCL C
    .language_version:
      - 2
      - 0
    .max_flat_workgroup_size: 256
    .name:           _ZN7rocprim17ROCPRIM_400000_NS6detail17trampoline_kernelINS0_14default_configENS1_27scan_by_key_config_selectorIifEEZZNS1_16scan_by_key_implILNS1_25lookback_scan_determinismE0ELb1ES3_N6thrust23THRUST_200600_302600_NS6detail15normal_iteratorINS9_10device_ptrIiEEEENSB_INSC_IfEEEESG_fNS9_4plusIvEENS9_8equal_toIvEEfEE10hipError_tPvRmT2_T3_T4_T5_mT6_T7_P12ihipStream_tbENKUlT_T0_E_clISt17integral_constantIbLb0EES10_IbLb1EEEEDaSW_SX_EUlSW_E_NS1_11comp_targetILNS1_3genE0ELNS1_11target_archE4294967295ELNS1_3gpuE0ELNS1_3repE0EEENS1_30default_config_static_selectorELNS0_4arch9wavefront6targetE0EEEvT1_
    .private_segment_fixed_size: 0
    .sgpr_count:     52
    .sgpr_spill_count: 0
    .symbol:         _ZN7rocprim17ROCPRIM_400000_NS6detail17trampoline_kernelINS0_14default_configENS1_27scan_by_key_config_selectorIifEEZZNS1_16scan_by_key_implILNS1_25lookback_scan_determinismE0ELb1ES3_N6thrust23THRUST_200600_302600_NS6detail15normal_iteratorINS9_10device_ptrIiEEEENSB_INSC_IfEEEESG_fNS9_4plusIvEENS9_8equal_toIvEEfEE10hipError_tPvRmT2_T3_T4_T5_mT6_T7_P12ihipStream_tbENKUlT_T0_E_clISt17integral_constantIbLb0EES10_IbLb1EEEEDaSW_SX_EUlSW_E_NS1_11comp_targetILNS1_3genE0ELNS1_11target_archE4294967295ELNS1_3gpuE0ELNS1_3repE0EEENS1_30default_config_static_selectorELNS0_4arch9wavefront6targetE0EEEvT1_.kd
    .uniform_work_group_size: 1
    .uses_dynamic_stack: false
    .vgpr_count:     62
    .vgpr_spill_count: 0
    .wavefront_size: 32
  - .args:
      - .offset:         0
        .size:           112
        .value_kind:     by_value
    .group_segment_fixed_size: 0
    .kernarg_segment_align: 8
    .kernarg_segment_size: 112
    .language:       OpenCL C
    .language_version:
      - 2
      - 0
    .max_flat_workgroup_size: 256
    .name:           _ZN7rocprim17ROCPRIM_400000_NS6detail17trampoline_kernelINS0_14default_configENS1_27scan_by_key_config_selectorIifEEZZNS1_16scan_by_key_implILNS1_25lookback_scan_determinismE0ELb1ES3_N6thrust23THRUST_200600_302600_NS6detail15normal_iteratorINS9_10device_ptrIiEEEENSB_INSC_IfEEEESG_fNS9_4plusIvEENS9_8equal_toIvEEfEE10hipError_tPvRmT2_T3_T4_T5_mT6_T7_P12ihipStream_tbENKUlT_T0_E_clISt17integral_constantIbLb0EES10_IbLb1EEEEDaSW_SX_EUlSW_E_NS1_11comp_targetILNS1_3genE10ELNS1_11target_archE1201ELNS1_3gpuE5ELNS1_3repE0EEENS1_30default_config_static_selectorELNS0_4arch9wavefront6targetE0EEEvT1_
    .private_segment_fixed_size: 0
    .sgpr_count:     0
    .sgpr_spill_count: 0
    .symbol:         _ZN7rocprim17ROCPRIM_400000_NS6detail17trampoline_kernelINS0_14default_configENS1_27scan_by_key_config_selectorIifEEZZNS1_16scan_by_key_implILNS1_25lookback_scan_determinismE0ELb1ES3_N6thrust23THRUST_200600_302600_NS6detail15normal_iteratorINS9_10device_ptrIiEEEENSB_INSC_IfEEEESG_fNS9_4plusIvEENS9_8equal_toIvEEfEE10hipError_tPvRmT2_T3_T4_T5_mT6_T7_P12ihipStream_tbENKUlT_T0_E_clISt17integral_constantIbLb0EES10_IbLb1EEEEDaSW_SX_EUlSW_E_NS1_11comp_targetILNS1_3genE10ELNS1_11target_archE1201ELNS1_3gpuE5ELNS1_3repE0EEENS1_30default_config_static_selectorELNS0_4arch9wavefront6targetE0EEEvT1_.kd
    .uniform_work_group_size: 1
    .uses_dynamic_stack: false
    .vgpr_count:     0
    .vgpr_spill_count: 0
    .wavefront_size: 32
  - .args:
      - .offset:         0
        .size:           112
        .value_kind:     by_value
    .group_segment_fixed_size: 0
    .kernarg_segment_align: 8
    .kernarg_segment_size: 112
    .language:       OpenCL C
    .language_version:
      - 2
      - 0
    .max_flat_workgroup_size: 256
    .name:           _ZN7rocprim17ROCPRIM_400000_NS6detail17trampoline_kernelINS0_14default_configENS1_27scan_by_key_config_selectorIifEEZZNS1_16scan_by_key_implILNS1_25lookback_scan_determinismE0ELb1ES3_N6thrust23THRUST_200600_302600_NS6detail15normal_iteratorINS9_10device_ptrIiEEEENSB_INSC_IfEEEESG_fNS9_4plusIvEENS9_8equal_toIvEEfEE10hipError_tPvRmT2_T3_T4_T5_mT6_T7_P12ihipStream_tbENKUlT_T0_E_clISt17integral_constantIbLb0EES10_IbLb1EEEEDaSW_SX_EUlSW_E_NS1_11comp_targetILNS1_3genE5ELNS1_11target_archE942ELNS1_3gpuE9ELNS1_3repE0EEENS1_30default_config_static_selectorELNS0_4arch9wavefront6targetE0EEEvT1_
    .private_segment_fixed_size: 0
    .sgpr_count:     0
    .sgpr_spill_count: 0
    .symbol:         _ZN7rocprim17ROCPRIM_400000_NS6detail17trampoline_kernelINS0_14default_configENS1_27scan_by_key_config_selectorIifEEZZNS1_16scan_by_key_implILNS1_25lookback_scan_determinismE0ELb1ES3_N6thrust23THRUST_200600_302600_NS6detail15normal_iteratorINS9_10device_ptrIiEEEENSB_INSC_IfEEEESG_fNS9_4plusIvEENS9_8equal_toIvEEfEE10hipError_tPvRmT2_T3_T4_T5_mT6_T7_P12ihipStream_tbENKUlT_T0_E_clISt17integral_constantIbLb0EES10_IbLb1EEEEDaSW_SX_EUlSW_E_NS1_11comp_targetILNS1_3genE5ELNS1_11target_archE942ELNS1_3gpuE9ELNS1_3repE0EEENS1_30default_config_static_selectorELNS0_4arch9wavefront6targetE0EEEvT1_.kd
    .uniform_work_group_size: 1
    .uses_dynamic_stack: false
    .vgpr_count:     0
    .vgpr_spill_count: 0
    .wavefront_size: 32
  - .args:
      - .offset:         0
        .size:           112
        .value_kind:     by_value
    .group_segment_fixed_size: 0
    .kernarg_segment_align: 8
    .kernarg_segment_size: 112
    .language:       OpenCL C
    .language_version:
      - 2
      - 0
    .max_flat_workgroup_size: 256
    .name:           _ZN7rocprim17ROCPRIM_400000_NS6detail17trampoline_kernelINS0_14default_configENS1_27scan_by_key_config_selectorIifEEZZNS1_16scan_by_key_implILNS1_25lookback_scan_determinismE0ELb1ES3_N6thrust23THRUST_200600_302600_NS6detail15normal_iteratorINS9_10device_ptrIiEEEENSB_INSC_IfEEEESG_fNS9_4plusIvEENS9_8equal_toIvEEfEE10hipError_tPvRmT2_T3_T4_T5_mT6_T7_P12ihipStream_tbENKUlT_T0_E_clISt17integral_constantIbLb0EES10_IbLb1EEEEDaSW_SX_EUlSW_E_NS1_11comp_targetILNS1_3genE4ELNS1_11target_archE910ELNS1_3gpuE8ELNS1_3repE0EEENS1_30default_config_static_selectorELNS0_4arch9wavefront6targetE0EEEvT1_
    .private_segment_fixed_size: 0
    .sgpr_count:     0
    .sgpr_spill_count: 0
    .symbol:         _ZN7rocprim17ROCPRIM_400000_NS6detail17trampoline_kernelINS0_14default_configENS1_27scan_by_key_config_selectorIifEEZZNS1_16scan_by_key_implILNS1_25lookback_scan_determinismE0ELb1ES3_N6thrust23THRUST_200600_302600_NS6detail15normal_iteratorINS9_10device_ptrIiEEEENSB_INSC_IfEEEESG_fNS9_4plusIvEENS9_8equal_toIvEEfEE10hipError_tPvRmT2_T3_T4_T5_mT6_T7_P12ihipStream_tbENKUlT_T0_E_clISt17integral_constantIbLb0EES10_IbLb1EEEEDaSW_SX_EUlSW_E_NS1_11comp_targetILNS1_3genE4ELNS1_11target_archE910ELNS1_3gpuE8ELNS1_3repE0EEENS1_30default_config_static_selectorELNS0_4arch9wavefront6targetE0EEEvT1_.kd
    .uniform_work_group_size: 1
    .uses_dynamic_stack: false
    .vgpr_count:     0
    .vgpr_spill_count: 0
    .wavefront_size: 32
  - .args:
      - .offset:         0
        .size:           112
        .value_kind:     by_value
    .group_segment_fixed_size: 0
    .kernarg_segment_align: 8
    .kernarg_segment_size: 112
    .language:       OpenCL C
    .language_version:
      - 2
      - 0
    .max_flat_workgroup_size: 256
    .name:           _ZN7rocprim17ROCPRIM_400000_NS6detail17trampoline_kernelINS0_14default_configENS1_27scan_by_key_config_selectorIifEEZZNS1_16scan_by_key_implILNS1_25lookback_scan_determinismE0ELb1ES3_N6thrust23THRUST_200600_302600_NS6detail15normal_iteratorINS9_10device_ptrIiEEEENSB_INSC_IfEEEESG_fNS9_4plusIvEENS9_8equal_toIvEEfEE10hipError_tPvRmT2_T3_T4_T5_mT6_T7_P12ihipStream_tbENKUlT_T0_E_clISt17integral_constantIbLb0EES10_IbLb1EEEEDaSW_SX_EUlSW_E_NS1_11comp_targetILNS1_3genE3ELNS1_11target_archE908ELNS1_3gpuE7ELNS1_3repE0EEENS1_30default_config_static_selectorELNS0_4arch9wavefront6targetE0EEEvT1_
    .private_segment_fixed_size: 0
    .sgpr_count:     0
    .sgpr_spill_count: 0
    .symbol:         _ZN7rocprim17ROCPRIM_400000_NS6detail17trampoline_kernelINS0_14default_configENS1_27scan_by_key_config_selectorIifEEZZNS1_16scan_by_key_implILNS1_25lookback_scan_determinismE0ELb1ES3_N6thrust23THRUST_200600_302600_NS6detail15normal_iteratorINS9_10device_ptrIiEEEENSB_INSC_IfEEEESG_fNS9_4plusIvEENS9_8equal_toIvEEfEE10hipError_tPvRmT2_T3_T4_T5_mT6_T7_P12ihipStream_tbENKUlT_T0_E_clISt17integral_constantIbLb0EES10_IbLb1EEEEDaSW_SX_EUlSW_E_NS1_11comp_targetILNS1_3genE3ELNS1_11target_archE908ELNS1_3gpuE7ELNS1_3repE0EEENS1_30default_config_static_selectorELNS0_4arch9wavefront6targetE0EEEvT1_.kd
    .uniform_work_group_size: 1
    .uses_dynamic_stack: false
    .vgpr_count:     0
    .vgpr_spill_count: 0
    .wavefront_size: 32
  - .args:
      - .offset:         0
        .size:           112
        .value_kind:     by_value
    .group_segment_fixed_size: 0
    .kernarg_segment_align: 8
    .kernarg_segment_size: 112
    .language:       OpenCL C
    .language_version:
      - 2
      - 0
    .max_flat_workgroup_size: 256
    .name:           _ZN7rocprim17ROCPRIM_400000_NS6detail17trampoline_kernelINS0_14default_configENS1_27scan_by_key_config_selectorIifEEZZNS1_16scan_by_key_implILNS1_25lookback_scan_determinismE0ELb1ES3_N6thrust23THRUST_200600_302600_NS6detail15normal_iteratorINS9_10device_ptrIiEEEENSB_INSC_IfEEEESG_fNS9_4plusIvEENS9_8equal_toIvEEfEE10hipError_tPvRmT2_T3_T4_T5_mT6_T7_P12ihipStream_tbENKUlT_T0_E_clISt17integral_constantIbLb0EES10_IbLb1EEEEDaSW_SX_EUlSW_E_NS1_11comp_targetILNS1_3genE2ELNS1_11target_archE906ELNS1_3gpuE6ELNS1_3repE0EEENS1_30default_config_static_selectorELNS0_4arch9wavefront6targetE0EEEvT1_
    .private_segment_fixed_size: 0
    .sgpr_count:     0
    .sgpr_spill_count: 0
    .symbol:         _ZN7rocprim17ROCPRIM_400000_NS6detail17trampoline_kernelINS0_14default_configENS1_27scan_by_key_config_selectorIifEEZZNS1_16scan_by_key_implILNS1_25lookback_scan_determinismE0ELb1ES3_N6thrust23THRUST_200600_302600_NS6detail15normal_iteratorINS9_10device_ptrIiEEEENSB_INSC_IfEEEESG_fNS9_4plusIvEENS9_8equal_toIvEEfEE10hipError_tPvRmT2_T3_T4_T5_mT6_T7_P12ihipStream_tbENKUlT_T0_E_clISt17integral_constantIbLb0EES10_IbLb1EEEEDaSW_SX_EUlSW_E_NS1_11comp_targetILNS1_3genE2ELNS1_11target_archE906ELNS1_3gpuE6ELNS1_3repE0EEENS1_30default_config_static_selectorELNS0_4arch9wavefront6targetE0EEEvT1_.kd
    .uniform_work_group_size: 1
    .uses_dynamic_stack: false
    .vgpr_count:     0
    .vgpr_spill_count: 0
    .wavefront_size: 32
  - .args:
      - .offset:         0
        .size:           112
        .value_kind:     by_value
    .group_segment_fixed_size: 0
    .kernarg_segment_align: 8
    .kernarg_segment_size: 112
    .language:       OpenCL C
    .language_version:
      - 2
      - 0
    .max_flat_workgroup_size: 256
    .name:           _ZN7rocprim17ROCPRIM_400000_NS6detail17trampoline_kernelINS0_14default_configENS1_27scan_by_key_config_selectorIifEEZZNS1_16scan_by_key_implILNS1_25lookback_scan_determinismE0ELb1ES3_N6thrust23THRUST_200600_302600_NS6detail15normal_iteratorINS9_10device_ptrIiEEEENSB_INSC_IfEEEESG_fNS9_4plusIvEENS9_8equal_toIvEEfEE10hipError_tPvRmT2_T3_T4_T5_mT6_T7_P12ihipStream_tbENKUlT_T0_E_clISt17integral_constantIbLb0EES10_IbLb1EEEEDaSW_SX_EUlSW_E_NS1_11comp_targetILNS1_3genE10ELNS1_11target_archE1200ELNS1_3gpuE4ELNS1_3repE0EEENS1_30default_config_static_selectorELNS0_4arch9wavefront6targetE0EEEvT1_
    .private_segment_fixed_size: 0
    .sgpr_count:     0
    .sgpr_spill_count: 0
    .symbol:         _ZN7rocprim17ROCPRIM_400000_NS6detail17trampoline_kernelINS0_14default_configENS1_27scan_by_key_config_selectorIifEEZZNS1_16scan_by_key_implILNS1_25lookback_scan_determinismE0ELb1ES3_N6thrust23THRUST_200600_302600_NS6detail15normal_iteratorINS9_10device_ptrIiEEEENSB_INSC_IfEEEESG_fNS9_4plusIvEENS9_8equal_toIvEEfEE10hipError_tPvRmT2_T3_T4_T5_mT6_T7_P12ihipStream_tbENKUlT_T0_E_clISt17integral_constantIbLb0EES10_IbLb1EEEEDaSW_SX_EUlSW_E_NS1_11comp_targetILNS1_3genE10ELNS1_11target_archE1200ELNS1_3gpuE4ELNS1_3repE0EEENS1_30default_config_static_selectorELNS0_4arch9wavefront6targetE0EEEvT1_.kd
    .uniform_work_group_size: 1
    .uses_dynamic_stack: false
    .vgpr_count:     0
    .vgpr_spill_count: 0
    .wavefront_size: 32
  - .args:
      - .offset:         0
        .size:           112
        .value_kind:     by_value
    .group_segment_fixed_size: 0
    .kernarg_segment_align: 8
    .kernarg_segment_size: 112
    .language:       OpenCL C
    .language_version:
      - 2
      - 0
    .max_flat_workgroup_size: 256
    .name:           _ZN7rocprim17ROCPRIM_400000_NS6detail17trampoline_kernelINS0_14default_configENS1_27scan_by_key_config_selectorIifEEZZNS1_16scan_by_key_implILNS1_25lookback_scan_determinismE0ELb1ES3_N6thrust23THRUST_200600_302600_NS6detail15normal_iteratorINS9_10device_ptrIiEEEENSB_INSC_IfEEEESG_fNS9_4plusIvEENS9_8equal_toIvEEfEE10hipError_tPvRmT2_T3_T4_T5_mT6_T7_P12ihipStream_tbENKUlT_T0_E_clISt17integral_constantIbLb0EES10_IbLb1EEEEDaSW_SX_EUlSW_E_NS1_11comp_targetILNS1_3genE9ELNS1_11target_archE1100ELNS1_3gpuE3ELNS1_3repE0EEENS1_30default_config_static_selectorELNS0_4arch9wavefront6targetE0EEEvT1_
    .private_segment_fixed_size: 0
    .sgpr_count:     0
    .sgpr_spill_count: 0
    .symbol:         _ZN7rocprim17ROCPRIM_400000_NS6detail17trampoline_kernelINS0_14default_configENS1_27scan_by_key_config_selectorIifEEZZNS1_16scan_by_key_implILNS1_25lookback_scan_determinismE0ELb1ES3_N6thrust23THRUST_200600_302600_NS6detail15normal_iteratorINS9_10device_ptrIiEEEENSB_INSC_IfEEEESG_fNS9_4plusIvEENS9_8equal_toIvEEfEE10hipError_tPvRmT2_T3_T4_T5_mT6_T7_P12ihipStream_tbENKUlT_T0_E_clISt17integral_constantIbLb0EES10_IbLb1EEEEDaSW_SX_EUlSW_E_NS1_11comp_targetILNS1_3genE9ELNS1_11target_archE1100ELNS1_3gpuE3ELNS1_3repE0EEENS1_30default_config_static_selectorELNS0_4arch9wavefront6targetE0EEEvT1_.kd
    .uniform_work_group_size: 1
    .uses_dynamic_stack: false
    .vgpr_count:     0
    .vgpr_spill_count: 0
    .wavefront_size: 32
  - .args:
      - .offset:         0
        .size:           112
        .value_kind:     by_value
    .group_segment_fixed_size: 0
    .kernarg_segment_align: 8
    .kernarg_segment_size: 112
    .language:       OpenCL C
    .language_version:
      - 2
      - 0
    .max_flat_workgroup_size: 256
    .name:           _ZN7rocprim17ROCPRIM_400000_NS6detail17trampoline_kernelINS0_14default_configENS1_27scan_by_key_config_selectorIifEEZZNS1_16scan_by_key_implILNS1_25lookback_scan_determinismE0ELb1ES3_N6thrust23THRUST_200600_302600_NS6detail15normal_iteratorINS9_10device_ptrIiEEEENSB_INSC_IfEEEESG_fNS9_4plusIvEENS9_8equal_toIvEEfEE10hipError_tPvRmT2_T3_T4_T5_mT6_T7_P12ihipStream_tbENKUlT_T0_E_clISt17integral_constantIbLb0EES10_IbLb1EEEEDaSW_SX_EUlSW_E_NS1_11comp_targetILNS1_3genE8ELNS1_11target_archE1030ELNS1_3gpuE2ELNS1_3repE0EEENS1_30default_config_static_selectorELNS0_4arch9wavefront6targetE0EEEvT1_
    .private_segment_fixed_size: 0
    .sgpr_count:     0
    .sgpr_spill_count: 0
    .symbol:         _ZN7rocprim17ROCPRIM_400000_NS6detail17trampoline_kernelINS0_14default_configENS1_27scan_by_key_config_selectorIifEEZZNS1_16scan_by_key_implILNS1_25lookback_scan_determinismE0ELb1ES3_N6thrust23THRUST_200600_302600_NS6detail15normal_iteratorINS9_10device_ptrIiEEEENSB_INSC_IfEEEESG_fNS9_4plusIvEENS9_8equal_toIvEEfEE10hipError_tPvRmT2_T3_T4_T5_mT6_T7_P12ihipStream_tbENKUlT_T0_E_clISt17integral_constantIbLb0EES10_IbLb1EEEEDaSW_SX_EUlSW_E_NS1_11comp_targetILNS1_3genE8ELNS1_11target_archE1030ELNS1_3gpuE2ELNS1_3repE0EEENS1_30default_config_static_selectorELNS0_4arch9wavefront6targetE0EEEvT1_.kd
    .uniform_work_group_size: 1
    .uses_dynamic_stack: false
    .vgpr_count:     0
    .vgpr_spill_count: 0
    .wavefront_size: 32
  - .args:
      - .offset:         0
        .size:           136
        .value_kind:     by_value
    .group_segment_fixed_size: 10240
    .kernarg_segment_align: 8
    .kernarg_segment_size: 136
    .language:       OpenCL C
    .language_version:
      - 2
      - 0
    .max_flat_workgroup_size: 128
    .name:           _ZN7rocprim17ROCPRIM_400000_NS6detail17trampoline_kernelINS0_14default_configENS1_27scan_by_key_config_selectorIiyEEZZNS1_16scan_by_key_implILNS1_25lookback_scan_determinismE0ELb1ES3_N6thrust23THRUST_200600_302600_NS6detail15normal_iteratorINS9_10device_ptrIiEEEENSB_INSC_IyEEEESG_yNS9_4plusIvEENS9_8equal_toIvEEyEE10hipError_tPvRmT2_T3_T4_T5_mT6_T7_P12ihipStream_tbENKUlT_T0_E_clISt17integral_constantIbLb0EES11_EEDaSW_SX_EUlSW_E_NS1_11comp_targetILNS1_3genE0ELNS1_11target_archE4294967295ELNS1_3gpuE0ELNS1_3repE0EEENS1_30default_config_static_selectorELNS0_4arch9wavefront6targetE0EEEvT1_
    .private_segment_fixed_size: 0
    .sgpr_count:     51
    .sgpr_spill_count: 0
    .symbol:         _ZN7rocprim17ROCPRIM_400000_NS6detail17trampoline_kernelINS0_14default_configENS1_27scan_by_key_config_selectorIiyEEZZNS1_16scan_by_key_implILNS1_25lookback_scan_determinismE0ELb1ES3_N6thrust23THRUST_200600_302600_NS6detail15normal_iteratorINS9_10device_ptrIiEEEENSB_INSC_IyEEEESG_yNS9_4plusIvEENS9_8equal_toIvEEyEE10hipError_tPvRmT2_T3_T4_T5_mT6_T7_P12ihipStream_tbENKUlT_T0_E_clISt17integral_constantIbLb0EES11_EEDaSW_SX_EUlSW_E_NS1_11comp_targetILNS1_3genE0ELNS1_11target_archE4294967295ELNS1_3gpuE0ELNS1_3repE0EEENS1_30default_config_static_selectorELNS0_4arch9wavefront6targetE0EEEvT1_.kd
    .uniform_work_group_size: 1
    .uses_dynamic_stack: false
    .vgpr_count:     73
    .vgpr_spill_count: 0
    .wavefront_size: 32
  - .args:
      - .offset:         0
        .size:           136
        .value_kind:     by_value
    .group_segment_fixed_size: 0
    .kernarg_segment_align: 8
    .kernarg_segment_size: 136
    .language:       OpenCL C
    .language_version:
      - 2
      - 0
    .max_flat_workgroup_size: 256
    .name:           _ZN7rocprim17ROCPRIM_400000_NS6detail17trampoline_kernelINS0_14default_configENS1_27scan_by_key_config_selectorIiyEEZZNS1_16scan_by_key_implILNS1_25lookback_scan_determinismE0ELb1ES3_N6thrust23THRUST_200600_302600_NS6detail15normal_iteratorINS9_10device_ptrIiEEEENSB_INSC_IyEEEESG_yNS9_4plusIvEENS9_8equal_toIvEEyEE10hipError_tPvRmT2_T3_T4_T5_mT6_T7_P12ihipStream_tbENKUlT_T0_E_clISt17integral_constantIbLb0EES11_EEDaSW_SX_EUlSW_E_NS1_11comp_targetILNS1_3genE10ELNS1_11target_archE1201ELNS1_3gpuE5ELNS1_3repE0EEENS1_30default_config_static_selectorELNS0_4arch9wavefront6targetE0EEEvT1_
    .private_segment_fixed_size: 0
    .sgpr_count:     0
    .sgpr_spill_count: 0
    .symbol:         _ZN7rocprim17ROCPRIM_400000_NS6detail17trampoline_kernelINS0_14default_configENS1_27scan_by_key_config_selectorIiyEEZZNS1_16scan_by_key_implILNS1_25lookback_scan_determinismE0ELb1ES3_N6thrust23THRUST_200600_302600_NS6detail15normal_iteratorINS9_10device_ptrIiEEEENSB_INSC_IyEEEESG_yNS9_4plusIvEENS9_8equal_toIvEEyEE10hipError_tPvRmT2_T3_T4_T5_mT6_T7_P12ihipStream_tbENKUlT_T0_E_clISt17integral_constantIbLb0EES11_EEDaSW_SX_EUlSW_E_NS1_11comp_targetILNS1_3genE10ELNS1_11target_archE1201ELNS1_3gpuE5ELNS1_3repE0EEENS1_30default_config_static_selectorELNS0_4arch9wavefront6targetE0EEEvT1_.kd
    .uniform_work_group_size: 1
    .uses_dynamic_stack: false
    .vgpr_count:     0
    .vgpr_spill_count: 0
    .wavefront_size: 32
  - .args:
      - .offset:         0
        .size:           136
        .value_kind:     by_value
    .group_segment_fixed_size: 0
    .kernarg_segment_align: 8
    .kernarg_segment_size: 136
    .language:       OpenCL C
    .language_version:
      - 2
      - 0
    .max_flat_workgroup_size: 256
    .name:           _ZN7rocprim17ROCPRIM_400000_NS6detail17trampoline_kernelINS0_14default_configENS1_27scan_by_key_config_selectorIiyEEZZNS1_16scan_by_key_implILNS1_25lookback_scan_determinismE0ELb1ES3_N6thrust23THRUST_200600_302600_NS6detail15normal_iteratorINS9_10device_ptrIiEEEENSB_INSC_IyEEEESG_yNS9_4plusIvEENS9_8equal_toIvEEyEE10hipError_tPvRmT2_T3_T4_T5_mT6_T7_P12ihipStream_tbENKUlT_T0_E_clISt17integral_constantIbLb0EES11_EEDaSW_SX_EUlSW_E_NS1_11comp_targetILNS1_3genE5ELNS1_11target_archE942ELNS1_3gpuE9ELNS1_3repE0EEENS1_30default_config_static_selectorELNS0_4arch9wavefront6targetE0EEEvT1_
    .private_segment_fixed_size: 0
    .sgpr_count:     0
    .sgpr_spill_count: 0
    .symbol:         _ZN7rocprim17ROCPRIM_400000_NS6detail17trampoline_kernelINS0_14default_configENS1_27scan_by_key_config_selectorIiyEEZZNS1_16scan_by_key_implILNS1_25lookback_scan_determinismE0ELb1ES3_N6thrust23THRUST_200600_302600_NS6detail15normal_iteratorINS9_10device_ptrIiEEEENSB_INSC_IyEEEESG_yNS9_4plusIvEENS9_8equal_toIvEEyEE10hipError_tPvRmT2_T3_T4_T5_mT6_T7_P12ihipStream_tbENKUlT_T0_E_clISt17integral_constantIbLb0EES11_EEDaSW_SX_EUlSW_E_NS1_11comp_targetILNS1_3genE5ELNS1_11target_archE942ELNS1_3gpuE9ELNS1_3repE0EEENS1_30default_config_static_selectorELNS0_4arch9wavefront6targetE0EEEvT1_.kd
    .uniform_work_group_size: 1
    .uses_dynamic_stack: false
    .vgpr_count:     0
    .vgpr_spill_count: 0
    .wavefront_size: 32
  - .args:
      - .offset:         0
        .size:           136
        .value_kind:     by_value
    .group_segment_fixed_size: 0
    .kernarg_segment_align: 8
    .kernarg_segment_size: 136
    .language:       OpenCL C
    .language_version:
      - 2
      - 0
    .max_flat_workgroup_size: 64
    .name:           _ZN7rocprim17ROCPRIM_400000_NS6detail17trampoline_kernelINS0_14default_configENS1_27scan_by_key_config_selectorIiyEEZZNS1_16scan_by_key_implILNS1_25lookback_scan_determinismE0ELb1ES3_N6thrust23THRUST_200600_302600_NS6detail15normal_iteratorINS9_10device_ptrIiEEEENSB_INSC_IyEEEESG_yNS9_4plusIvEENS9_8equal_toIvEEyEE10hipError_tPvRmT2_T3_T4_T5_mT6_T7_P12ihipStream_tbENKUlT_T0_E_clISt17integral_constantIbLb0EES11_EEDaSW_SX_EUlSW_E_NS1_11comp_targetILNS1_3genE4ELNS1_11target_archE910ELNS1_3gpuE8ELNS1_3repE0EEENS1_30default_config_static_selectorELNS0_4arch9wavefront6targetE0EEEvT1_
    .private_segment_fixed_size: 0
    .sgpr_count:     0
    .sgpr_spill_count: 0
    .symbol:         _ZN7rocprim17ROCPRIM_400000_NS6detail17trampoline_kernelINS0_14default_configENS1_27scan_by_key_config_selectorIiyEEZZNS1_16scan_by_key_implILNS1_25lookback_scan_determinismE0ELb1ES3_N6thrust23THRUST_200600_302600_NS6detail15normal_iteratorINS9_10device_ptrIiEEEENSB_INSC_IyEEEESG_yNS9_4plusIvEENS9_8equal_toIvEEyEE10hipError_tPvRmT2_T3_T4_T5_mT6_T7_P12ihipStream_tbENKUlT_T0_E_clISt17integral_constantIbLb0EES11_EEDaSW_SX_EUlSW_E_NS1_11comp_targetILNS1_3genE4ELNS1_11target_archE910ELNS1_3gpuE8ELNS1_3repE0EEENS1_30default_config_static_selectorELNS0_4arch9wavefront6targetE0EEEvT1_.kd
    .uniform_work_group_size: 1
    .uses_dynamic_stack: false
    .vgpr_count:     0
    .vgpr_spill_count: 0
    .wavefront_size: 32
  - .args:
      - .offset:         0
        .size:           136
        .value_kind:     by_value
    .group_segment_fixed_size: 0
    .kernarg_segment_align: 8
    .kernarg_segment_size: 136
    .language:       OpenCL C
    .language_version:
      - 2
      - 0
    .max_flat_workgroup_size: 128
    .name:           _ZN7rocprim17ROCPRIM_400000_NS6detail17trampoline_kernelINS0_14default_configENS1_27scan_by_key_config_selectorIiyEEZZNS1_16scan_by_key_implILNS1_25lookback_scan_determinismE0ELb1ES3_N6thrust23THRUST_200600_302600_NS6detail15normal_iteratorINS9_10device_ptrIiEEEENSB_INSC_IyEEEESG_yNS9_4plusIvEENS9_8equal_toIvEEyEE10hipError_tPvRmT2_T3_T4_T5_mT6_T7_P12ihipStream_tbENKUlT_T0_E_clISt17integral_constantIbLb0EES11_EEDaSW_SX_EUlSW_E_NS1_11comp_targetILNS1_3genE3ELNS1_11target_archE908ELNS1_3gpuE7ELNS1_3repE0EEENS1_30default_config_static_selectorELNS0_4arch9wavefront6targetE0EEEvT1_
    .private_segment_fixed_size: 0
    .sgpr_count:     0
    .sgpr_spill_count: 0
    .symbol:         _ZN7rocprim17ROCPRIM_400000_NS6detail17trampoline_kernelINS0_14default_configENS1_27scan_by_key_config_selectorIiyEEZZNS1_16scan_by_key_implILNS1_25lookback_scan_determinismE0ELb1ES3_N6thrust23THRUST_200600_302600_NS6detail15normal_iteratorINS9_10device_ptrIiEEEENSB_INSC_IyEEEESG_yNS9_4plusIvEENS9_8equal_toIvEEyEE10hipError_tPvRmT2_T3_T4_T5_mT6_T7_P12ihipStream_tbENKUlT_T0_E_clISt17integral_constantIbLb0EES11_EEDaSW_SX_EUlSW_E_NS1_11comp_targetILNS1_3genE3ELNS1_11target_archE908ELNS1_3gpuE7ELNS1_3repE0EEENS1_30default_config_static_selectorELNS0_4arch9wavefront6targetE0EEEvT1_.kd
    .uniform_work_group_size: 1
    .uses_dynamic_stack: false
    .vgpr_count:     0
    .vgpr_spill_count: 0
    .wavefront_size: 32
  - .args:
      - .offset:         0
        .size:           136
        .value_kind:     by_value
    .group_segment_fixed_size: 0
    .kernarg_segment_align: 8
    .kernarg_segment_size: 136
    .language:       OpenCL C
    .language_version:
      - 2
      - 0
    .max_flat_workgroup_size: 64
    .name:           _ZN7rocprim17ROCPRIM_400000_NS6detail17trampoline_kernelINS0_14default_configENS1_27scan_by_key_config_selectorIiyEEZZNS1_16scan_by_key_implILNS1_25lookback_scan_determinismE0ELb1ES3_N6thrust23THRUST_200600_302600_NS6detail15normal_iteratorINS9_10device_ptrIiEEEENSB_INSC_IyEEEESG_yNS9_4plusIvEENS9_8equal_toIvEEyEE10hipError_tPvRmT2_T3_T4_T5_mT6_T7_P12ihipStream_tbENKUlT_T0_E_clISt17integral_constantIbLb0EES11_EEDaSW_SX_EUlSW_E_NS1_11comp_targetILNS1_3genE2ELNS1_11target_archE906ELNS1_3gpuE6ELNS1_3repE0EEENS1_30default_config_static_selectorELNS0_4arch9wavefront6targetE0EEEvT1_
    .private_segment_fixed_size: 0
    .sgpr_count:     0
    .sgpr_spill_count: 0
    .symbol:         _ZN7rocprim17ROCPRIM_400000_NS6detail17trampoline_kernelINS0_14default_configENS1_27scan_by_key_config_selectorIiyEEZZNS1_16scan_by_key_implILNS1_25lookback_scan_determinismE0ELb1ES3_N6thrust23THRUST_200600_302600_NS6detail15normal_iteratorINS9_10device_ptrIiEEEENSB_INSC_IyEEEESG_yNS9_4plusIvEENS9_8equal_toIvEEyEE10hipError_tPvRmT2_T3_T4_T5_mT6_T7_P12ihipStream_tbENKUlT_T0_E_clISt17integral_constantIbLb0EES11_EEDaSW_SX_EUlSW_E_NS1_11comp_targetILNS1_3genE2ELNS1_11target_archE906ELNS1_3gpuE6ELNS1_3repE0EEENS1_30default_config_static_selectorELNS0_4arch9wavefront6targetE0EEEvT1_.kd
    .uniform_work_group_size: 1
    .uses_dynamic_stack: false
    .vgpr_count:     0
    .vgpr_spill_count: 0
    .wavefront_size: 32
  - .args:
      - .offset:         0
        .size:           136
        .value_kind:     by_value
    .group_segment_fixed_size: 0
    .kernarg_segment_align: 8
    .kernarg_segment_size: 136
    .language:       OpenCL C
    .language_version:
      - 2
      - 0
    .max_flat_workgroup_size: 256
    .name:           _ZN7rocprim17ROCPRIM_400000_NS6detail17trampoline_kernelINS0_14default_configENS1_27scan_by_key_config_selectorIiyEEZZNS1_16scan_by_key_implILNS1_25lookback_scan_determinismE0ELb1ES3_N6thrust23THRUST_200600_302600_NS6detail15normal_iteratorINS9_10device_ptrIiEEEENSB_INSC_IyEEEESG_yNS9_4plusIvEENS9_8equal_toIvEEyEE10hipError_tPvRmT2_T3_T4_T5_mT6_T7_P12ihipStream_tbENKUlT_T0_E_clISt17integral_constantIbLb0EES11_EEDaSW_SX_EUlSW_E_NS1_11comp_targetILNS1_3genE10ELNS1_11target_archE1200ELNS1_3gpuE4ELNS1_3repE0EEENS1_30default_config_static_selectorELNS0_4arch9wavefront6targetE0EEEvT1_
    .private_segment_fixed_size: 0
    .sgpr_count:     0
    .sgpr_spill_count: 0
    .symbol:         _ZN7rocprim17ROCPRIM_400000_NS6detail17trampoline_kernelINS0_14default_configENS1_27scan_by_key_config_selectorIiyEEZZNS1_16scan_by_key_implILNS1_25lookback_scan_determinismE0ELb1ES3_N6thrust23THRUST_200600_302600_NS6detail15normal_iteratorINS9_10device_ptrIiEEEENSB_INSC_IyEEEESG_yNS9_4plusIvEENS9_8equal_toIvEEyEE10hipError_tPvRmT2_T3_T4_T5_mT6_T7_P12ihipStream_tbENKUlT_T0_E_clISt17integral_constantIbLb0EES11_EEDaSW_SX_EUlSW_E_NS1_11comp_targetILNS1_3genE10ELNS1_11target_archE1200ELNS1_3gpuE4ELNS1_3repE0EEENS1_30default_config_static_selectorELNS0_4arch9wavefront6targetE0EEEvT1_.kd
    .uniform_work_group_size: 1
    .uses_dynamic_stack: false
    .vgpr_count:     0
    .vgpr_spill_count: 0
    .wavefront_size: 32
  - .args:
      - .offset:         0
        .size:           136
        .value_kind:     by_value
    .group_segment_fixed_size: 0
    .kernarg_segment_align: 8
    .kernarg_segment_size: 136
    .language:       OpenCL C
    .language_version:
      - 2
      - 0
    .max_flat_workgroup_size: 256
    .name:           _ZN7rocprim17ROCPRIM_400000_NS6detail17trampoline_kernelINS0_14default_configENS1_27scan_by_key_config_selectorIiyEEZZNS1_16scan_by_key_implILNS1_25lookback_scan_determinismE0ELb1ES3_N6thrust23THRUST_200600_302600_NS6detail15normal_iteratorINS9_10device_ptrIiEEEENSB_INSC_IyEEEESG_yNS9_4plusIvEENS9_8equal_toIvEEyEE10hipError_tPvRmT2_T3_T4_T5_mT6_T7_P12ihipStream_tbENKUlT_T0_E_clISt17integral_constantIbLb0EES11_EEDaSW_SX_EUlSW_E_NS1_11comp_targetILNS1_3genE9ELNS1_11target_archE1100ELNS1_3gpuE3ELNS1_3repE0EEENS1_30default_config_static_selectorELNS0_4arch9wavefront6targetE0EEEvT1_
    .private_segment_fixed_size: 0
    .sgpr_count:     0
    .sgpr_spill_count: 0
    .symbol:         _ZN7rocprim17ROCPRIM_400000_NS6detail17trampoline_kernelINS0_14default_configENS1_27scan_by_key_config_selectorIiyEEZZNS1_16scan_by_key_implILNS1_25lookback_scan_determinismE0ELb1ES3_N6thrust23THRUST_200600_302600_NS6detail15normal_iteratorINS9_10device_ptrIiEEEENSB_INSC_IyEEEESG_yNS9_4plusIvEENS9_8equal_toIvEEyEE10hipError_tPvRmT2_T3_T4_T5_mT6_T7_P12ihipStream_tbENKUlT_T0_E_clISt17integral_constantIbLb0EES11_EEDaSW_SX_EUlSW_E_NS1_11comp_targetILNS1_3genE9ELNS1_11target_archE1100ELNS1_3gpuE3ELNS1_3repE0EEENS1_30default_config_static_selectorELNS0_4arch9wavefront6targetE0EEEvT1_.kd
    .uniform_work_group_size: 1
    .uses_dynamic_stack: false
    .vgpr_count:     0
    .vgpr_spill_count: 0
    .wavefront_size: 32
  - .args:
      - .offset:         0
        .size:           136
        .value_kind:     by_value
    .group_segment_fixed_size: 0
    .kernarg_segment_align: 8
    .kernarg_segment_size: 136
    .language:       OpenCL C
    .language_version:
      - 2
      - 0
    .max_flat_workgroup_size: 256
    .name:           _ZN7rocprim17ROCPRIM_400000_NS6detail17trampoline_kernelINS0_14default_configENS1_27scan_by_key_config_selectorIiyEEZZNS1_16scan_by_key_implILNS1_25lookback_scan_determinismE0ELb1ES3_N6thrust23THRUST_200600_302600_NS6detail15normal_iteratorINS9_10device_ptrIiEEEENSB_INSC_IyEEEESG_yNS9_4plusIvEENS9_8equal_toIvEEyEE10hipError_tPvRmT2_T3_T4_T5_mT6_T7_P12ihipStream_tbENKUlT_T0_E_clISt17integral_constantIbLb0EES11_EEDaSW_SX_EUlSW_E_NS1_11comp_targetILNS1_3genE8ELNS1_11target_archE1030ELNS1_3gpuE2ELNS1_3repE0EEENS1_30default_config_static_selectorELNS0_4arch9wavefront6targetE0EEEvT1_
    .private_segment_fixed_size: 0
    .sgpr_count:     0
    .sgpr_spill_count: 0
    .symbol:         _ZN7rocprim17ROCPRIM_400000_NS6detail17trampoline_kernelINS0_14default_configENS1_27scan_by_key_config_selectorIiyEEZZNS1_16scan_by_key_implILNS1_25lookback_scan_determinismE0ELb1ES3_N6thrust23THRUST_200600_302600_NS6detail15normal_iteratorINS9_10device_ptrIiEEEENSB_INSC_IyEEEESG_yNS9_4plusIvEENS9_8equal_toIvEEyEE10hipError_tPvRmT2_T3_T4_T5_mT6_T7_P12ihipStream_tbENKUlT_T0_E_clISt17integral_constantIbLb0EES11_EEDaSW_SX_EUlSW_E_NS1_11comp_targetILNS1_3genE8ELNS1_11target_archE1030ELNS1_3gpuE2ELNS1_3repE0EEENS1_30default_config_static_selectorELNS0_4arch9wavefront6targetE0EEEvT1_.kd
    .uniform_work_group_size: 1
    .uses_dynamic_stack: false
    .vgpr_count:     0
    .vgpr_spill_count: 0
    .wavefront_size: 32
  - .args:
      - .offset:         0
        .size:           136
        .value_kind:     by_value
    .group_segment_fixed_size: 0
    .kernarg_segment_align: 8
    .kernarg_segment_size: 136
    .language:       OpenCL C
    .language_version:
      - 2
      - 0
    .max_flat_workgroup_size: 128
    .name:           _ZN7rocprim17ROCPRIM_400000_NS6detail17trampoline_kernelINS0_14default_configENS1_27scan_by_key_config_selectorIiyEEZZNS1_16scan_by_key_implILNS1_25lookback_scan_determinismE0ELb1ES3_N6thrust23THRUST_200600_302600_NS6detail15normal_iteratorINS9_10device_ptrIiEEEENSB_INSC_IyEEEESG_yNS9_4plusIvEENS9_8equal_toIvEEyEE10hipError_tPvRmT2_T3_T4_T5_mT6_T7_P12ihipStream_tbENKUlT_T0_E_clISt17integral_constantIbLb1EES11_EEDaSW_SX_EUlSW_E_NS1_11comp_targetILNS1_3genE0ELNS1_11target_archE4294967295ELNS1_3gpuE0ELNS1_3repE0EEENS1_30default_config_static_selectorELNS0_4arch9wavefront6targetE0EEEvT1_
    .private_segment_fixed_size: 0
    .sgpr_count:     0
    .sgpr_spill_count: 0
    .symbol:         _ZN7rocprim17ROCPRIM_400000_NS6detail17trampoline_kernelINS0_14default_configENS1_27scan_by_key_config_selectorIiyEEZZNS1_16scan_by_key_implILNS1_25lookback_scan_determinismE0ELb1ES3_N6thrust23THRUST_200600_302600_NS6detail15normal_iteratorINS9_10device_ptrIiEEEENSB_INSC_IyEEEESG_yNS9_4plusIvEENS9_8equal_toIvEEyEE10hipError_tPvRmT2_T3_T4_T5_mT6_T7_P12ihipStream_tbENKUlT_T0_E_clISt17integral_constantIbLb1EES11_EEDaSW_SX_EUlSW_E_NS1_11comp_targetILNS1_3genE0ELNS1_11target_archE4294967295ELNS1_3gpuE0ELNS1_3repE0EEENS1_30default_config_static_selectorELNS0_4arch9wavefront6targetE0EEEvT1_.kd
    .uniform_work_group_size: 1
    .uses_dynamic_stack: false
    .vgpr_count:     0
    .vgpr_spill_count: 0
    .wavefront_size: 32
  - .args:
      - .offset:         0
        .size:           136
        .value_kind:     by_value
    .group_segment_fixed_size: 0
    .kernarg_segment_align: 8
    .kernarg_segment_size: 136
    .language:       OpenCL C
    .language_version:
      - 2
      - 0
    .max_flat_workgroup_size: 256
    .name:           _ZN7rocprim17ROCPRIM_400000_NS6detail17trampoline_kernelINS0_14default_configENS1_27scan_by_key_config_selectorIiyEEZZNS1_16scan_by_key_implILNS1_25lookback_scan_determinismE0ELb1ES3_N6thrust23THRUST_200600_302600_NS6detail15normal_iteratorINS9_10device_ptrIiEEEENSB_INSC_IyEEEESG_yNS9_4plusIvEENS9_8equal_toIvEEyEE10hipError_tPvRmT2_T3_T4_T5_mT6_T7_P12ihipStream_tbENKUlT_T0_E_clISt17integral_constantIbLb1EES11_EEDaSW_SX_EUlSW_E_NS1_11comp_targetILNS1_3genE10ELNS1_11target_archE1201ELNS1_3gpuE5ELNS1_3repE0EEENS1_30default_config_static_selectorELNS0_4arch9wavefront6targetE0EEEvT1_
    .private_segment_fixed_size: 0
    .sgpr_count:     0
    .sgpr_spill_count: 0
    .symbol:         _ZN7rocprim17ROCPRIM_400000_NS6detail17trampoline_kernelINS0_14default_configENS1_27scan_by_key_config_selectorIiyEEZZNS1_16scan_by_key_implILNS1_25lookback_scan_determinismE0ELb1ES3_N6thrust23THRUST_200600_302600_NS6detail15normal_iteratorINS9_10device_ptrIiEEEENSB_INSC_IyEEEESG_yNS9_4plusIvEENS9_8equal_toIvEEyEE10hipError_tPvRmT2_T3_T4_T5_mT6_T7_P12ihipStream_tbENKUlT_T0_E_clISt17integral_constantIbLb1EES11_EEDaSW_SX_EUlSW_E_NS1_11comp_targetILNS1_3genE10ELNS1_11target_archE1201ELNS1_3gpuE5ELNS1_3repE0EEENS1_30default_config_static_selectorELNS0_4arch9wavefront6targetE0EEEvT1_.kd
    .uniform_work_group_size: 1
    .uses_dynamic_stack: false
    .vgpr_count:     0
    .vgpr_spill_count: 0
    .wavefront_size: 32
  - .args:
      - .offset:         0
        .size:           136
        .value_kind:     by_value
    .group_segment_fixed_size: 0
    .kernarg_segment_align: 8
    .kernarg_segment_size: 136
    .language:       OpenCL C
    .language_version:
      - 2
      - 0
    .max_flat_workgroup_size: 256
    .name:           _ZN7rocprim17ROCPRIM_400000_NS6detail17trampoline_kernelINS0_14default_configENS1_27scan_by_key_config_selectorIiyEEZZNS1_16scan_by_key_implILNS1_25lookback_scan_determinismE0ELb1ES3_N6thrust23THRUST_200600_302600_NS6detail15normal_iteratorINS9_10device_ptrIiEEEENSB_INSC_IyEEEESG_yNS9_4plusIvEENS9_8equal_toIvEEyEE10hipError_tPvRmT2_T3_T4_T5_mT6_T7_P12ihipStream_tbENKUlT_T0_E_clISt17integral_constantIbLb1EES11_EEDaSW_SX_EUlSW_E_NS1_11comp_targetILNS1_3genE5ELNS1_11target_archE942ELNS1_3gpuE9ELNS1_3repE0EEENS1_30default_config_static_selectorELNS0_4arch9wavefront6targetE0EEEvT1_
    .private_segment_fixed_size: 0
    .sgpr_count:     0
    .sgpr_spill_count: 0
    .symbol:         _ZN7rocprim17ROCPRIM_400000_NS6detail17trampoline_kernelINS0_14default_configENS1_27scan_by_key_config_selectorIiyEEZZNS1_16scan_by_key_implILNS1_25lookback_scan_determinismE0ELb1ES3_N6thrust23THRUST_200600_302600_NS6detail15normal_iteratorINS9_10device_ptrIiEEEENSB_INSC_IyEEEESG_yNS9_4plusIvEENS9_8equal_toIvEEyEE10hipError_tPvRmT2_T3_T4_T5_mT6_T7_P12ihipStream_tbENKUlT_T0_E_clISt17integral_constantIbLb1EES11_EEDaSW_SX_EUlSW_E_NS1_11comp_targetILNS1_3genE5ELNS1_11target_archE942ELNS1_3gpuE9ELNS1_3repE0EEENS1_30default_config_static_selectorELNS0_4arch9wavefront6targetE0EEEvT1_.kd
    .uniform_work_group_size: 1
    .uses_dynamic_stack: false
    .vgpr_count:     0
    .vgpr_spill_count: 0
    .wavefront_size: 32
  - .args:
      - .offset:         0
        .size:           136
        .value_kind:     by_value
    .group_segment_fixed_size: 0
    .kernarg_segment_align: 8
    .kernarg_segment_size: 136
    .language:       OpenCL C
    .language_version:
      - 2
      - 0
    .max_flat_workgroup_size: 64
    .name:           _ZN7rocprim17ROCPRIM_400000_NS6detail17trampoline_kernelINS0_14default_configENS1_27scan_by_key_config_selectorIiyEEZZNS1_16scan_by_key_implILNS1_25lookback_scan_determinismE0ELb1ES3_N6thrust23THRUST_200600_302600_NS6detail15normal_iteratorINS9_10device_ptrIiEEEENSB_INSC_IyEEEESG_yNS9_4plusIvEENS9_8equal_toIvEEyEE10hipError_tPvRmT2_T3_T4_T5_mT6_T7_P12ihipStream_tbENKUlT_T0_E_clISt17integral_constantIbLb1EES11_EEDaSW_SX_EUlSW_E_NS1_11comp_targetILNS1_3genE4ELNS1_11target_archE910ELNS1_3gpuE8ELNS1_3repE0EEENS1_30default_config_static_selectorELNS0_4arch9wavefront6targetE0EEEvT1_
    .private_segment_fixed_size: 0
    .sgpr_count:     0
    .sgpr_spill_count: 0
    .symbol:         _ZN7rocprim17ROCPRIM_400000_NS6detail17trampoline_kernelINS0_14default_configENS1_27scan_by_key_config_selectorIiyEEZZNS1_16scan_by_key_implILNS1_25lookback_scan_determinismE0ELb1ES3_N6thrust23THRUST_200600_302600_NS6detail15normal_iteratorINS9_10device_ptrIiEEEENSB_INSC_IyEEEESG_yNS9_4plusIvEENS9_8equal_toIvEEyEE10hipError_tPvRmT2_T3_T4_T5_mT6_T7_P12ihipStream_tbENKUlT_T0_E_clISt17integral_constantIbLb1EES11_EEDaSW_SX_EUlSW_E_NS1_11comp_targetILNS1_3genE4ELNS1_11target_archE910ELNS1_3gpuE8ELNS1_3repE0EEENS1_30default_config_static_selectorELNS0_4arch9wavefront6targetE0EEEvT1_.kd
    .uniform_work_group_size: 1
    .uses_dynamic_stack: false
    .vgpr_count:     0
    .vgpr_spill_count: 0
    .wavefront_size: 32
  - .args:
      - .offset:         0
        .size:           136
        .value_kind:     by_value
    .group_segment_fixed_size: 0
    .kernarg_segment_align: 8
    .kernarg_segment_size: 136
    .language:       OpenCL C
    .language_version:
      - 2
      - 0
    .max_flat_workgroup_size: 128
    .name:           _ZN7rocprim17ROCPRIM_400000_NS6detail17trampoline_kernelINS0_14default_configENS1_27scan_by_key_config_selectorIiyEEZZNS1_16scan_by_key_implILNS1_25lookback_scan_determinismE0ELb1ES3_N6thrust23THRUST_200600_302600_NS6detail15normal_iteratorINS9_10device_ptrIiEEEENSB_INSC_IyEEEESG_yNS9_4plusIvEENS9_8equal_toIvEEyEE10hipError_tPvRmT2_T3_T4_T5_mT6_T7_P12ihipStream_tbENKUlT_T0_E_clISt17integral_constantIbLb1EES11_EEDaSW_SX_EUlSW_E_NS1_11comp_targetILNS1_3genE3ELNS1_11target_archE908ELNS1_3gpuE7ELNS1_3repE0EEENS1_30default_config_static_selectorELNS0_4arch9wavefront6targetE0EEEvT1_
    .private_segment_fixed_size: 0
    .sgpr_count:     0
    .sgpr_spill_count: 0
    .symbol:         _ZN7rocprim17ROCPRIM_400000_NS6detail17trampoline_kernelINS0_14default_configENS1_27scan_by_key_config_selectorIiyEEZZNS1_16scan_by_key_implILNS1_25lookback_scan_determinismE0ELb1ES3_N6thrust23THRUST_200600_302600_NS6detail15normal_iteratorINS9_10device_ptrIiEEEENSB_INSC_IyEEEESG_yNS9_4plusIvEENS9_8equal_toIvEEyEE10hipError_tPvRmT2_T3_T4_T5_mT6_T7_P12ihipStream_tbENKUlT_T0_E_clISt17integral_constantIbLb1EES11_EEDaSW_SX_EUlSW_E_NS1_11comp_targetILNS1_3genE3ELNS1_11target_archE908ELNS1_3gpuE7ELNS1_3repE0EEENS1_30default_config_static_selectorELNS0_4arch9wavefront6targetE0EEEvT1_.kd
    .uniform_work_group_size: 1
    .uses_dynamic_stack: false
    .vgpr_count:     0
    .vgpr_spill_count: 0
    .wavefront_size: 32
  - .args:
      - .offset:         0
        .size:           136
        .value_kind:     by_value
    .group_segment_fixed_size: 0
    .kernarg_segment_align: 8
    .kernarg_segment_size: 136
    .language:       OpenCL C
    .language_version:
      - 2
      - 0
    .max_flat_workgroup_size: 64
    .name:           _ZN7rocprim17ROCPRIM_400000_NS6detail17trampoline_kernelINS0_14default_configENS1_27scan_by_key_config_selectorIiyEEZZNS1_16scan_by_key_implILNS1_25lookback_scan_determinismE0ELb1ES3_N6thrust23THRUST_200600_302600_NS6detail15normal_iteratorINS9_10device_ptrIiEEEENSB_INSC_IyEEEESG_yNS9_4plusIvEENS9_8equal_toIvEEyEE10hipError_tPvRmT2_T3_T4_T5_mT6_T7_P12ihipStream_tbENKUlT_T0_E_clISt17integral_constantIbLb1EES11_EEDaSW_SX_EUlSW_E_NS1_11comp_targetILNS1_3genE2ELNS1_11target_archE906ELNS1_3gpuE6ELNS1_3repE0EEENS1_30default_config_static_selectorELNS0_4arch9wavefront6targetE0EEEvT1_
    .private_segment_fixed_size: 0
    .sgpr_count:     0
    .sgpr_spill_count: 0
    .symbol:         _ZN7rocprim17ROCPRIM_400000_NS6detail17trampoline_kernelINS0_14default_configENS1_27scan_by_key_config_selectorIiyEEZZNS1_16scan_by_key_implILNS1_25lookback_scan_determinismE0ELb1ES3_N6thrust23THRUST_200600_302600_NS6detail15normal_iteratorINS9_10device_ptrIiEEEENSB_INSC_IyEEEESG_yNS9_4plusIvEENS9_8equal_toIvEEyEE10hipError_tPvRmT2_T3_T4_T5_mT6_T7_P12ihipStream_tbENKUlT_T0_E_clISt17integral_constantIbLb1EES11_EEDaSW_SX_EUlSW_E_NS1_11comp_targetILNS1_3genE2ELNS1_11target_archE906ELNS1_3gpuE6ELNS1_3repE0EEENS1_30default_config_static_selectorELNS0_4arch9wavefront6targetE0EEEvT1_.kd
    .uniform_work_group_size: 1
    .uses_dynamic_stack: false
    .vgpr_count:     0
    .vgpr_spill_count: 0
    .wavefront_size: 32
  - .args:
      - .offset:         0
        .size:           136
        .value_kind:     by_value
    .group_segment_fixed_size: 0
    .kernarg_segment_align: 8
    .kernarg_segment_size: 136
    .language:       OpenCL C
    .language_version:
      - 2
      - 0
    .max_flat_workgroup_size: 256
    .name:           _ZN7rocprim17ROCPRIM_400000_NS6detail17trampoline_kernelINS0_14default_configENS1_27scan_by_key_config_selectorIiyEEZZNS1_16scan_by_key_implILNS1_25lookback_scan_determinismE0ELb1ES3_N6thrust23THRUST_200600_302600_NS6detail15normal_iteratorINS9_10device_ptrIiEEEENSB_INSC_IyEEEESG_yNS9_4plusIvEENS9_8equal_toIvEEyEE10hipError_tPvRmT2_T3_T4_T5_mT6_T7_P12ihipStream_tbENKUlT_T0_E_clISt17integral_constantIbLb1EES11_EEDaSW_SX_EUlSW_E_NS1_11comp_targetILNS1_3genE10ELNS1_11target_archE1200ELNS1_3gpuE4ELNS1_3repE0EEENS1_30default_config_static_selectorELNS0_4arch9wavefront6targetE0EEEvT1_
    .private_segment_fixed_size: 0
    .sgpr_count:     0
    .sgpr_spill_count: 0
    .symbol:         _ZN7rocprim17ROCPRIM_400000_NS6detail17trampoline_kernelINS0_14default_configENS1_27scan_by_key_config_selectorIiyEEZZNS1_16scan_by_key_implILNS1_25lookback_scan_determinismE0ELb1ES3_N6thrust23THRUST_200600_302600_NS6detail15normal_iteratorINS9_10device_ptrIiEEEENSB_INSC_IyEEEESG_yNS9_4plusIvEENS9_8equal_toIvEEyEE10hipError_tPvRmT2_T3_T4_T5_mT6_T7_P12ihipStream_tbENKUlT_T0_E_clISt17integral_constantIbLb1EES11_EEDaSW_SX_EUlSW_E_NS1_11comp_targetILNS1_3genE10ELNS1_11target_archE1200ELNS1_3gpuE4ELNS1_3repE0EEENS1_30default_config_static_selectorELNS0_4arch9wavefront6targetE0EEEvT1_.kd
    .uniform_work_group_size: 1
    .uses_dynamic_stack: false
    .vgpr_count:     0
    .vgpr_spill_count: 0
    .wavefront_size: 32
  - .args:
      - .offset:         0
        .size:           136
        .value_kind:     by_value
    .group_segment_fixed_size: 0
    .kernarg_segment_align: 8
    .kernarg_segment_size: 136
    .language:       OpenCL C
    .language_version:
      - 2
      - 0
    .max_flat_workgroup_size: 256
    .name:           _ZN7rocprim17ROCPRIM_400000_NS6detail17trampoline_kernelINS0_14default_configENS1_27scan_by_key_config_selectorIiyEEZZNS1_16scan_by_key_implILNS1_25lookback_scan_determinismE0ELb1ES3_N6thrust23THRUST_200600_302600_NS6detail15normal_iteratorINS9_10device_ptrIiEEEENSB_INSC_IyEEEESG_yNS9_4plusIvEENS9_8equal_toIvEEyEE10hipError_tPvRmT2_T3_T4_T5_mT6_T7_P12ihipStream_tbENKUlT_T0_E_clISt17integral_constantIbLb1EES11_EEDaSW_SX_EUlSW_E_NS1_11comp_targetILNS1_3genE9ELNS1_11target_archE1100ELNS1_3gpuE3ELNS1_3repE0EEENS1_30default_config_static_selectorELNS0_4arch9wavefront6targetE0EEEvT1_
    .private_segment_fixed_size: 0
    .sgpr_count:     0
    .sgpr_spill_count: 0
    .symbol:         _ZN7rocprim17ROCPRIM_400000_NS6detail17trampoline_kernelINS0_14default_configENS1_27scan_by_key_config_selectorIiyEEZZNS1_16scan_by_key_implILNS1_25lookback_scan_determinismE0ELb1ES3_N6thrust23THRUST_200600_302600_NS6detail15normal_iteratorINS9_10device_ptrIiEEEENSB_INSC_IyEEEESG_yNS9_4plusIvEENS9_8equal_toIvEEyEE10hipError_tPvRmT2_T3_T4_T5_mT6_T7_P12ihipStream_tbENKUlT_T0_E_clISt17integral_constantIbLb1EES11_EEDaSW_SX_EUlSW_E_NS1_11comp_targetILNS1_3genE9ELNS1_11target_archE1100ELNS1_3gpuE3ELNS1_3repE0EEENS1_30default_config_static_selectorELNS0_4arch9wavefront6targetE0EEEvT1_.kd
    .uniform_work_group_size: 1
    .uses_dynamic_stack: false
    .vgpr_count:     0
    .vgpr_spill_count: 0
    .wavefront_size: 32
  - .args:
      - .offset:         0
        .size:           136
        .value_kind:     by_value
    .group_segment_fixed_size: 0
    .kernarg_segment_align: 8
    .kernarg_segment_size: 136
    .language:       OpenCL C
    .language_version:
      - 2
      - 0
    .max_flat_workgroup_size: 256
    .name:           _ZN7rocprim17ROCPRIM_400000_NS6detail17trampoline_kernelINS0_14default_configENS1_27scan_by_key_config_selectorIiyEEZZNS1_16scan_by_key_implILNS1_25lookback_scan_determinismE0ELb1ES3_N6thrust23THRUST_200600_302600_NS6detail15normal_iteratorINS9_10device_ptrIiEEEENSB_INSC_IyEEEESG_yNS9_4plusIvEENS9_8equal_toIvEEyEE10hipError_tPvRmT2_T3_T4_T5_mT6_T7_P12ihipStream_tbENKUlT_T0_E_clISt17integral_constantIbLb1EES11_EEDaSW_SX_EUlSW_E_NS1_11comp_targetILNS1_3genE8ELNS1_11target_archE1030ELNS1_3gpuE2ELNS1_3repE0EEENS1_30default_config_static_selectorELNS0_4arch9wavefront6targetE0EEEvT1_
    .private_segment_fixed_size: 0
    .sgpr_count:     0
    .sgpr_spill_count: 0
    .symbol:         _ZN7rocprim17ROCPRIM_400000_NS6detail17trampoline_kernelINS0_14default_configENS1_27scan_by_key_config_selectorIiyEEZZNS1_16scan_by_key_implILNS1_25lookback_scan_determinismE0ELb1ES3_N6thrust23THRUST_200600_302600_NS6detail15normal_iteratorINS9_10device_ptrIiEEEENSB_INSC_IyEEEESG_yNS9_4plusIvEENS9_8equal_toIvEEyEE10hipError_tPvRmT2_T3_T4_T5_mT6_T7_P12ihipStream_tbENKUlT_T0_E_clISt17integral_constantIbLb1EES11_EEDaSW_SX_EUlSW_E_NS1_11comp_targetILNS1_3genE8ELNS1_11target_archE1030ELNS1_3gpuE2ELNS1_3repE0EEENS1_30default_config_static_selectorELNS0_4arch9wavefront6targetE0EEEvT1_.kd
    .uniform_work_group_size: 1
    .uses_dynamic_stack: false
    .vgpr_count:     0
    .vgpr_spill_count: 0
    .wavefront_size: 32
  - .args:
      - .offset:         0
        .size:           136
        .value_kind:     by_value
    .group_segment_fixed_size: 0
    .kernarg_segment_align: 8
    .kernarg_segment_size: 136
    .language:       OpenCL C
    .language_version:
      - 2
      - 0
    .max_flat_workgroup_size: 128
    .name:           _ZN7rocprim17ROCPRIM_400000_NS6detail17trampoline_kernelINS0_14default_configENS1_27scan_by_key_config_selectorIiyEEZZNS1_16scan_by_key_implILNS1_25lookback_scan_determinismE0ELb1ES3_N6thrust23THRUST_200600_302600_NS6detail15normal_iteratorINS9_10device_ptrIiEEEENSB_INSC_IyEEEESG_yNS9_4plusIvEENS9_8equal_toIvEEyEE10hipError_tPvRmT2_T3_T4_T5_mT6_T7_P12ihipStream_tbENKUlT_T0_E_clISt17integral_constantIbLb1EES10_IbLb0EEEEDaSW_SX_EUlSW_E_NS1_11comp_targetILNS1_3genE0ELNS1_11target_archE4294967295ELNS1_3gpuE0ELNS1_3repE0EEENS1_30default_config_static_selectorELNS0_4arch9wavefront6targetE0EEEvT1_
    .private_segment_fixed_size: 0
    .sgpr_count:     0
    .sgpr_spill_count: 0
    .symbol:         _ZN7rocprim17ROCPRIM_400000_NS6detail17trampoline_kernelINS0_14default_configENS1_27scan_by_key_config_selectorIiyEEZZNS1_16scan_by_key_implILNS1_25lookback_scan_determinismE0ELb1ES3_N6thrust23THRUST_200600_302600_NS6detail15normal_iteratorINS9_10device_ptrIiEEEENSB_INSC_IyEEEESG_yNS9_4plusIvEENS9_8equal_toIvEEyEE10hipError_tPvRmT2_T3_T4_T5_mT6_T7_P12ihipStream_tbENKUlT_T0_E_clISt17integral_constantIbLb1EES10_IbLb0EEEEDaSW_SX_EUlSW_E_NS1_11comp_targetILNS1_3genE0ELNS1_11target_archE4294967295ELNS1_3gpuE0ELNS1_3repE0EEENS1_30default_config_static_selectorELNS0_4arch9wavefront6targetE0EEEvT1_.kd
    .uniform_work_group_size: 1
    .uses_dynamic_stack: false
    .vgpr_count:     0
    .vgpr_spill_count: 0
    .wavefront_size: 32
  - .args:
      - .offset:         0
        .size:           136
        .value_kind:     by_value
    .group_segment_fixed_size: 0
    .kernarg_segment_align: 8
    .kernarg_segment_size: 136
    .language:       OpenCL C
    .language_version:
      - 2
      - 0
    .max_flat_workgroup_size: 256
    .name:           _ZN7rocprim17ROCPRIM_400000_NS6detail17trampoline_kernelINS0_14default_configENS1_27scan_by_key_config_selectorIiyEEZZNS1_16scan_by_key_implILNS1_25lookback_scan_determinismE0ELb1ES3_N6thrust23THRUST_200600_302600_NS6detail15normal_iteratorINS9_10device_ptrIiEEEENSB_INSC_IyEEEESG_yNS9_4plusIvEENS9_8equal_toIvEEyEE10hipError_tPvRmT2_T3_T4_T5_mT6_T7_P12ihipStream_tbENKUlT_T0_E_clISt17integral_constantIbLb1EES10_IbLb0EEEEDaSW_SX_EUlSW_E_NS1_11comp_targetILNS1_3genE10ELNS1_11target_archE1201ELNS1_3gpuE5ELNS1_3repE0EEENS1_30default_config_static_selectorELNS0_4arch9wavefront6targetE0EEEvT1_
    .private_segment_fixed_size: 0
    .sgpr_count:     0
    .sgpr_spill_count: 0
    .symbol:         _ZN7rocprim17ROCPRIM_400000_NS6detail17trampoline_kernelINS0_14default_configENS1_27scan_by_key_config_selectorIiyEEZZNS1_16scan_by_key_implILNS1_25lookback_scan_determinismE0ELb1ES3_N6thrust23THRUST_200600_302600_NS6detail15normal_iteratorINS9_10device_ptrIiEEEENSB_INSC_IyEEEESG_yNS9_4plusIvEENS9_8equal_toIvEEyEE10hipError_tPvRmT2_T3_T4_T5_mT6_T7_P12ihipStream_tbENKUlT_T0_E_clISt17integral_constantIbLb1EES10_IbLb0EEEEDaSW_SX_EUlSW_E_NS1_11comp_targetILNS1_3genE10ELNS1_11target_archE1201ELNS1_3gpuE5ELNS1_3repE0EEENS1_30default_config_static_selectorELNS0_4arch9wavefront6targetE0EEEvT1_.kd
    .uniform_work_group_size: 1
    .uses_dynamic_stack: false
    .vgpr_count:     0
    .vgpr_spill_count: 0
    .wavefront_size: 32
  - .args:
      - .offset:         0
        .size:           136
        .value_kind:     by_value
    .group_segment_fixed_size: 0
    .kernarg_segment_align: 8
    .kernarg_segment_size: 136
    .language:       OpenCL C
    .language_version:
      - 2
      - 0
    .max_flat_workgroup_size: 256
    .name:           _ZN7rocprim17ROCPRIM_400000_NS6detail17trampoline_kernelINS0_14default_configENS1_27scan_by_key_config_selectorIiyEEZZNS1_16scan_by_key_implILNS1_25lookback_scan_determinismE0ELb1ES3_N6thrust23THRUST_200600_302600_NS6detail15normal_iteratorINS9_10device_ptrIiEEEENSB_INSC_IyEEEESG_yNS9_4plusIvEENS9_8equal_toIvEEyEE10hipError_tPvRmT2_T3_T4_T5_mT6_T7_P12ihipStream_tbENKUlT_T0_E_clISt17integral_constantIbLb1EES10_IbLb0EEEEDaSW_SX_EUlSW_E_NS1_11comp_targetILNS1_3genE5ELNS1_11target_archE942ELNS1_3gpuE9ELNS1_3repE0EEENS1_30default_config_static_selectorELNS0_4arch9wavefront6targetE0EEEvT1_
    .private_segment_fixed_size: 0
    .sgpr_count:     0
    .sgpr_spill_count: 0
    .symbol:         _ZN7rocprim17ROCPRIM_400000_NS6detail17trampoline_kernelINS0_14default_configENS1_27scan_by_key_config_selectorIiyEEZZNS1_16scan_by_key_implILNS1_25lookback_scan_determinismE0ELb1ES3_N6thrust23THRUST_200600_302600_NS6detail15normal_iteratorINS9_10device_ptrIiEEEENSB_INSC_IyEEEESG_yNS9_4plusIvEENS9_8equal_toIvEEyEE10hipError_tPvRmT2_T3_T4_T5_mT6_T7_P12ihipStream_tbENKUlT_T0_E_clISt17integral_constantIbLb1EES10_IbLb0EEEEDaSW_SX_EUlSW_E_NS1_11comp_targetILNS1_3genE5ELNS1_11target_archE942ELNS1_3gpuE9ELNS1_3repE0EEENS1_30default_config_static_selectorELNS0_4arch9wavefront6targetE0EEEvT1_.kd
    .uniform_work_group_size: 1
    .uses_dynamic_stack: false
    .vgpr_count:     0
    .vgpr_spill_count: 0
    .wavefront_size: 32
  - .args:
      - .offset:         0
        .size:           136
        .value_kind:     by_value
    .group_segment_fixed_size: 0
    .kernarg_segment_align: 8
    .kernarg_segment_size: 136
    .language:       OpenCL C
    .language_version:
      - 2
      - 0
    .max_flat_workgroup_size: 64
    .name:           _ZN7rocprim17ROCPRIM_400000_NS6detail17trampoline_kernelINS0_14default_configENS1_27scan_by_key_config_selectorIiyEEZZNS1_16scan_by_key_implILNS1_25lookback_scan_determinismE0ELb1ES3_N6thrust23THRUST_200600_302600_NS6detail15normal_iteratorINS9_10device_ptrIiEEEENSB_INSC_IyEEEESG_yNS9_4plusIvEENS9_8equal_toIvEEyEE10hipError_tPvRmT2_T3_T4_T5_mT6_T7_P12ihipStream_tbENKUlT_T0_E_clISt17integral_constantIbLb1EES10_IbLb0EEEEDaSW_SX_EUlSW_E_NS1_11comp_targetILNS1_3genE4ELNS1_11target_archE910ELNS1_3gpuE8ELNS1_3repE0EEENS1_30default_config_static_selectorELNS0_4arch9wavefront6targetE0EEEvT1_
    .private_segment_fixed_size: 0
    .sgpr_count:     0
    .sgpr_spill_count: 0
    .symbol:         _ZN7rocprim17ROCPRIM_400000_NS6detail17trampoline_kernelINS0_14default_configENS1_27scan_by_key_config_selectorIiyEEZZNS1_16scan_by_key_implILNS1_25lookback_scan_determinismE0ELb1ES3_N6thrust23THRUST_200600_302600_NS6detail15normal_iteratorINS9_10device_ptrIiEEEENSB_INSC_IyEEEESG_yNS9_4plusIvEENS9_8equal_toIvEEyEE10hipError_tPvRmT2_T3_T4_T5_mT6_T7_P12ihipStream_tbENKUlT_T0_E_clISt17integral_constantIbLb1EES10_IbLb0EEEEDaSW_SX_EUlSW_E_NS1_11comp_targetILNS1_3genE4ELNS1_11target_archE910ELNS1_3gpuE8ELNS1_3repE0EEENS1_30default_config_static_selectorELNS0_4arch9wavefront6targetE0EEEvT1_.kd
    .uniform_work_group_size: 1
    .uses_dynamic_stack: false
    .vgpr_count:     0
    .vgpr_spill_count: 0
    .wavefront_size: 32
  - .args:
      - .offset:         0
        .size:           136
        .value_kind:     by_value
    .group_segment_fixed_size: 0
    .kernarg_segment_align: 8
    .kernarg_segment_size: 136
    .language:       OpenCL C
    .language_version:
      - 2
      - 0
    .max_flat_workgroup_size: 128
    .name:           _ZN7rocprim17ROCPRIM_400000_NS6detail17trampoline_kernelINS0_14default_configENS1_27scan_by_key_config_selectorIiyEEZZNS1_16scan_by_key_implILNS1_25lookback_scan_determinismE0ELb1ES3_N6thrust23THRUST_200600_302600_NS6detail15normal_iteratorINS9_10device_ptrIiEEEENSB_INSC_IyEEEESG_yNS9_4plusIvEENS9_8equal_toIvEEyEE10hipError_tPvRmT2_T3_T4_T5_mT6_T7_P12ihipStream_tbENKUlT_T0_E_clISt17integral_constantIbLb1EES10_IbLb0EEEEDaSW_SX_EUlSW_E_NS1_11comp_targetILNS1_3genE3ELNS1_11target_archE908ELNS1_3gpuE7ELNS1_3repE0EEENS1_30default_config_static_selectorELNS0_4arch9wavefront6targetE0EEEvT1_
    .private_segment_fixed_size: 0
    .sgpr_count:     0
    .sgpr_spill_count: 0
    .symbol:         _ZN7rocprim17ROCPRIM_400000_NS6detail17trampoline_kernelINS0_14default_configENS1_27scan_by_key_config_selectorIiyEEZZNS1_16scan_by_key_implILNS1_25lookback_scan_determinismE0ELb1ES3_N6thrust23THRUST_200600_302600_NS6detail15normal_iteratorINS9_10device_ptrIiEEEENSB_INSC_IyEEEESG_yNS9_4plusIvEENS9_8equal_toIvEEyEE10hipError_tPvRmT2_T3_T4_T5_mT6_T7_P12ihipStream_tbENKUlT_T0_E_clISt17integral_constantIbLb1EES10_IbLb0EEEEDaSW_SX_EUlSW_E_NS1_11comp_targetILNS1_3genE3ELNS1_11target_archE908ELNS1_3gpuE7ELNS1_3repE0EEENS1_30default_config_static_selectorELNS0_4arch9wavefront6targetE0EEEvT1_.kd
    .uniform_work_group_size: 1
    .uses_dynamic_stack: false
    .vgpr_count:     0
    .vgpr_spill_count: 0
    .wavefront_size: 32
  - .args:
      - .offset:         0
        .size:           136
        .value_kind:     by_value
    .group_segment_fixed_size: 0
    .kernarg_segment_align: 8
    .kernarg_segment_size: 136
    .language:       OpenCL C
    .language_version:
      - 2
      - 0
    .max_flat_workgroup_size: 64
    .name:           _ZN7rocprim17ROCPRIM_400000_NS6detail17trampoline_kernelINS0_14default_configENS1_27scan_by_key_config_selectorIiyEEZZNS1_16scan_by_key_implILNS1_25lookback_scan_determinismE0ELb1ES3_N6thrust23THRUST_200600_302600_NS6detail15normal_iteratorINS9_10device_ptrIiEEEENSB_INSC_IyEEEESG_yNS9_4plusIvEENS9_8equal_toIvEEyEE10hipError_tPvRmT2_T3_T4_T5_mT6_T7_P12ihipStream_tbENKUlT_T0_E_clISt17integral_constantIbLb1EES10_IbLb0EEEEDaSW_SX_EUlSW_E_NS1_11comp_targetILNS1_3genE2ELNS1_11target_archE906ELNS1_3gpuE6ELNS1_3repE0EEENS1_30default_config_static_selectorELNS0_4arch9wavefront6targetE0EEEvT1_
    .private_segment_fixed_size: 0
    .sgpr_count:     0
    .sgpr_spill_count: 0
    .symbol:         _ZN7rocprim17ROCPRIM_400000_NS6detail17trampoline_kernelINS0_14default_configENS1_27scan_by_key_config_selectorIiyEEZZNS1_16scan_by_key_implILNS1_25lookback_scan_determinismE0ELb1ES3_N6thrust23THRUST_200600_302600_NS6detail15normal_iteratorINS9_10device_ptrIiEEEENSB_INSC_IyEEEESG_yNS9_4plusIvEENS9_8equal_toIvEEyEE10hipError_tPvRmT2_T3_T4_T5_mT6_T7_P12ihipStream_tbENKUlT_T0_E_clISt17integral_constantIbLb1EES10_IbLb0EEEEDaSW_SX_EUlSW_E_NS1_11comp_targetILNS1_3genE2ELNS1_11target_archE906ELNS1_3gpuE6ELNS1_3repE0EEENS1_30default_config_static_selectorELNS0_4arch9wavefront6targetE0EEEvT1_.kd
    .uniform_work_group_size: 1
    .uses_dynamic_stack: false
    .vgpr_count:     0
    .vgpr_spill_count: 0
    .wavefront_size: 32
  - .args:
      - .offset:         0
        .size:           136
        .value_kind:     by_value
    .group_segment_fixed_size: 0
    .kernarg_segment_align: 8
    .kernarg_segment_size: 136
    .language:       OpenCL C
    .language_version:
      - 2
      - 0
    .max_flat_workgroup_size: 256
    .name:           _ZN7rocprim17ROCPRIM_400000_NS6detail17trampoline_kernelINS0_14default_configENS1_27scan_by_key_config_selectorIiyEEZZNS1_16scan_by_key_implILNS1_25lookback_scan_determinismE0ELb1ES3_N6thrust23THRUST_200600_302600_NS6detail15normal_iteratorINS9_10device_ptrIiEEEENSB_INSC_IyEEEESG_yNS9_4plusIvEENS9_8equal_toIvEEyEE10hipError_tPvRmT2_T3_T4_T5_mT6_T7_P12ihipStream_tbENKUlT_T0_E_clISt17integral_constantIbLb1EES10_IbLb0EEEEDaSW_SX_EUlSW_E_NS1_11comp_targetILNS1_3genE10ELNS1_11target_archE1200ELNS1_3gpuE4ELNS1_3repE0EEENS1_30default_config_static_selectorELNS0_4arch9wavefront6targetE0EEEvT1_
    .private_segment_fixed_size: 0
    .sgpr_count:     0
    .sgpr_spill_count: 0
    .symbol:         _ZN7rocprim17ROCPRIM_400000_NS6detail17trampoline_kernelINS0_14default_configENS1_27scan_by_key_config_selectorIiyEEZZNS1_16scan_by_key_implILNS1_25lookback_scan_determinismE0ELb1ES3_N6thrust23THRUST_200600_302600_NS6detail15normal_iteratorINS9_10device_ptrIiEEEENSB_INSC_IyEEEESG_yNS9_4plusIvEENS9_8equal_toIvEEyEE10hipError_tPvRmT2_T3_T4_T5_mT6_T7_P12ihipStream_tbENKUlT_T0_E_clISt17integral_constantIbLb1EES10_IbLb0EEEEDaSW_SX_EUlSW_E_NS1_11comp_targetILNS1_3genE10ELNS1_11target_archE1200ELNS1_3gpuE4ELNS1_3repE0EEENS1_30default_config_static_selectorELNS0_4arch9wavefront6targetE0EEEvT1_.kd
    .uniform_work_group_size: 1
    .uses_dynamic_stack: false
    .vgpr_count:     0
    .vgpr_spill_count: 0
    .wavefront_size: 32
  - .args:
      - .offset:         0
        .size:           136
        .value_kind:     by_value
    .group_segment_fixed_size: 0
    .kernarg_segment_align: 8
    .kernarg_segment_size: 136
    .language:       OpenCL C
    .language_version:
      - 2
      - 0
    .max_flat_workgroup_size: 256
    .name:           _ZN7rocprim17ROCPRIM_400000_NS6detail17trampoline_kernelINS0_14default_configENS1_27scan_by_key_config_selectorIiyEEZZNS1_16scan_by_key_implILNS1_25lookback_scan_determinismE0ELb1ES3_N6thrust23THRUST_200600_302600_NS6detail15normal_iteratorINS9_10device_ptrIiEEEENSB_INSC_IyEEEESG_yNS9_4plusIvEENS9_8equal_toIvEEyEE10hipError_tPvRmT2_T3_T4_T5_mT6_T7_P12ihipStream_tbENKUlT_T0_E_clISt17integral_constantIbLb1EES10_IbLb0EEEEDaSW_SX_EUlSW_E_NS1_11comp_targetILNS1_3genE9ELNS1_11target_archE1100ELNS1_3gpuE3ELNS1_3repE0EEENS1_30default_config_static_selectorELNS0_4arch9wavefront6targetE0EEEvT1_
    .private_segment_fixed_size: 0
    .sgpr_count:     0
    .sgpr_spill_count: 0
    .symbol:         _ZN7rocprim17ROCPRIM_400000_NS6detail17trampoline_kernelINS0_14default_configENS1_27scan_by_key_config_selectorIiyEEZZNS1_16scan_by_key_implILNS1_25lookback_scan_determinismE0ELb1ES3_N6thrust23THRUST_200600_302600_NS6detail15normal_iteratorINS9_10device_ptrIiEEEENSB_INSC_IyEEEESG_yNS9_4plusIvEENS9_8equal_toIvEEyEE10hipError_tPvRmT2_T3_T4_T5_mT6_T7_P12ihipStream_tbENKUlT_T0_E_clISt17integral_constantIbLb1EES10_IbLb0EEEEDaSW_SX_EUlSW_E_NS1_11comp_targetILNS1_3genE9ELNS1_11target_archE1100ELNS1_3gpuE3ELNS1_3repE0EEENS1_30default_config_static_selectorELNS0_4arch9wavefront6targetE0EEEvT1_.kd
    .uniform_work_group_size: 1
    .uses_dynamic_stack: false
    .vgpr_count:     0
    .vgpr_spill_count: 0
    .wavefront_size: 32
  - .args:
      - .offset:         0
        .size:           136
        .value_kind:     by_value
    .group_segment_fixed_size: 0
    .kernarg_segment_align: 8
    .kernarg_segment_size: 136
    .language:       OpenCL C
    .language_version:
      - 2
      - 0
    .max_flat_workgroup_size: 256
    .name:           _ZN7rocprim17ROCPRIM_400000_NS6detail17trampoline_kernelINS0_14default_configENS1_27scan_by_key_config_selectorIiyEEZZNS1_16scan_by_key_implILNS1_25lookback_scan_determinismE0ELb1ES3_N6thrust23THRUST_200600_302600_NS6detail15normal_iteratorINS9_10device_ptrIiEEEENSB_INSC_IyEEEESG_yNS9_4plusIvEENS9_8equal_toIvEEyEE10hipError_tPvRmT2_T3_T4_T5_mT6_T7_P12ihipStream_tbENKUlT_T0_E_clISt17integral_constantIbLb1EES10_IbLb0EEEEDaSW_SX_EUlSW_E_NS1_11comp_targetILNS1_3genE8ELNS1_11target_archE1030ELNS1_3gpuE2ELNS1_3repE0EEENS1_30default_config_static_selectorELNS0_4arch9wavefront6targetE0EEEvT1_
    .private_segment_fixed_size: 0
    .sgpr_count:     0
    .sgpr_spill_count: 0
    .symbol:         _ZN7rocprim17ROCPRIM_400000_NS6detail17trampoline_kernelINS0_14default_configENS1_27scan_by_key_config_selectorIiyEEZZNS1_16scan_by_key_implILNS1_25lookback_scan_determinismE0ELb1ES3_N6thrust23THRUST_200600_302600_NS6detail15normal_iteratorINS9_10device_ptrIiEEEENSB_INSC_IyEEEESG_yNS9_4plusIvEENS9_8equal_toIvEEyEE10hipError_tPvRmT2_T3_T4_T5_mT6_T7_P12ihipStream_tbENKUlT_T0_E_clISt17integral_constantIbLb1EES10_IbLb0EEEEDaSW_SX_EUlSW_E_NS1_11comp_targetILNS1_3genE8ELNS1_11target_archE1030ELNS1_3gpuE2ELNS1_3repE0EEENS1_30default_config_static_selectorELNS0_4arch9wavefront6targetE0EEEvT1_.kd
    .uniform_work_group_size: 1
    .uses_dynamic_stack: false
    .vgpr_count:     0
    .vgpr_spill_count: 0
    .wavefront_size: 32
  - .args:
      - .offset:         0
        .size:           136
        .value_kind:     by_value
    .group_segment_fixed_size: 10240
    .kernarg_segment_align: 8
    .kernarg_segment_size: 136
    .language:       OpenCL C
    .language_version:
      - 2
      - 0
    .max_flat_workgroup_size: 128
    .name:           _ZN7rocprim17ROCPRIM_400000_NS6detail17trampoline_kernelINS0_14default_configENS1_27scan_by_key_config_selectorIiyEEZZNS1_16scan_by_key_implILNS1_25lookback_scan_determinismE0ELb1ES3_N6thrust23THRUST_200600_302600_NS6detail15normal_iteratorINS9_10device_ptrIiEEEENSB_INSC_IyEEEESG_yNS9_4plusIvEENS9_8equal_toIvEEyEE10hipError_tPvRmT2_T3_T4_T5_mT6_T7_P12ihipStream_tbENKUlT_T0_E_clISt17integral_constantIbLb0EES10_IbLb1EEEEDaSW_SX_EUlSW_E_NS1_11comp_targetILNS1_3genE0ELNS1_11target_archE4294967295ELNS1_3gpuE0ELNS1_3repE0EEENS1_30default_config_static_selectorELNS0_4arch9wavefront6targetE0EEEvT1_
    .private_segment_fixed_size: 0
    .sgpr_count:     53
    .sgpr_spill_count: 0
    .symbol:         _ZN7rocprim17ROCPRIM_400000_NS6detail17trampoline_kernelINS0_14default_configENS1_27scan_by_key_config_selectorIiyEEZZNS1_16scan_by_key_implILNS1_25lookback_scan_determinismE0ELb1ES3_N6thrust23THRUST_200600_302600_NS6detail15normal_iteratorINS9_10device_ptrIiEEEENSB_INSC_IyEEEESG_yNS9_4plusIvEENS9_8equal_toIvEEyEE10hipError_tPvRmT2_T3_T4_T5_mT6_T7_P12ihipStream_tbENKUlT_T0_E_clISt17integral_constantIbLb0EES10_IbLb1EEEEDaSW_SX_EUlSW_E_NS1_11comp_targetILNS1_3genE0ELNS1_11target_archE4294967295ELNS1_3gpuE0ELNS1_3repE0EEENS1_30default_config_static_selectorELNS0_4arch9wavefront6targetE0EEEvT1_.kd
    .uniform_work_group_size: 1
    .uses_dynamic_stack: false
    .vgpr_count:     73
    .vgpr_spill_count: 0
    .wavefront_size: 32
  - .args:
      - .offset:         0
        .size:           136
        .value_kind:     by_value
    .group_segment_fixed_size: 0
    .kernarg_segment_align: 8
    .kernarg_segment_size: 136
    .language:       OpenCL C
    .language_version:
      - 2
      - 0
    .max_flat_workgroup_size: 256
    .name:           _ZN7rocprim17ROCPRIM_400000_NS6detail17trampoline_kernelINS0_14default_configENS1_27scan_by_key_config_selectorIiyEEZZNS1_16scan_by_key_implILNS1_25lookback_scan_determinismE0ELb1ES3_N6thrust23THRUST_200600_302600_NS6detail15normal_iteratorINS9_10device_ptrIiEEEENSB_INSC_IyEEEESG_yNS9_4plusIvEENS9_8equal_toIvEEyEE10hipError_tPvRmT2_T3_T4_T5_mT6_T7_P12ihipStream_tbENKUlT_T0_E_clISt17integral_constantIbLb0EES10_IbLb1EEEEDaSW_SX_EUlSW_E_NS1_11comp_targetILNS1_3genE10ELNS1_11target_archE1201ELNS1_3gpuE5ELNS1_3repE0EEENS1_30default_config_static_selectorELNS0_4arch9wavefront6targetE0EEEvT1_
    .private_segment_fixed_size: 0
    .sgpr_count:     0
    .sgpr_spill_count: 0
    .symbol:         _ZN7rocprim17ROCPRIM_400000_NS6detail17trampoline_kernelINS0_14default_configENS1_27scan_by_key_config_selectorIiyEEZZNS1_16scan_by_key_implILNS1_25lookback_scan_determinismE0ELb1ES3_N6thrust23THRUST_200600_302600_NS6detail15normal_iteratorINS9_10device_ptrIiEEEENSB_INSC_IyEEEESG_yNS9_4plusIvEENS9_8equal_toIvEEyEE10hipError_tPvRmT2_T3_T4_T5_mT6_T7_P12ihipStream_tbENKUlT_T0_E_clISt17integral_constantIbLb0EES10_IbLb1EEEEDaSW_SX_EUlSW_E_NS1_11comp_targetILNS1_3genE10ELNS1_11target_archE1201ELNS1_3gpuE5ELNS1_3repE0EEENS1_30default_config_static_selectorELNS0_4arch9wavefront6targetE0EEEvT1_.kd
    .uniform_work_group_size: 1
    .uses_dynamic_stack: false
    .vgpr_count:     0
    .vgpr_spill_count: 0
    .wavefront_size: 32
  - .args:
      - .offset:         0
        .size:           136
        .value_kind:     by_value
    .group_segment_fixed_size: 0
    .kernarg_segment_align: 8
    .kernarg_segment_size: 136
    .language:       OpenCL C
    .language_version:
      - 2
      - 0
    .max_flat_workgroup_size: 256
    .name:           _ZN7rocprim17ROCPRIM_400000_NS6detail17trampoline_kernelINS0_14default_configENS1_27scan_by_key_config_selectorIiyEEZZNS1_16scan_by_key_implILNS1_25lookback_scan_determinismE0ELb1ES3_N6thrust23THRUST_200600_302600_NS6detail15normal_iteratorINS9_10device_ptrIiEEEENSB_INSC_IyEEEESG_yNS9_4plusIvEENS9_8equal_toIvEEyEE10hipError_tPvRmT2_T3_T4_T5_mT6_T7_P12ihipStream_tbENKUlT_T0_E_clISt17integral_constantIbLb0EES10_IbLb1EEEEDaSW_SX_EUlSW_E_NS1_11comp_targetILNS1_3genE5ELNS1_11target_archE942ELNS1_3gpuE9ELNS1_3repE0EEENS1_30default_config_static_selectorELNS0_4arch9wavefront6targetE0EEEvT1_
    .private_segment_fixed_size: 0
    .sgpr_count:     0
    .sgpr_spill_count: 0
    .symbol:         _ZN7rocprim17ROCPRIM_400000_NS6detail17trampoline_kernelINS0_14default_configENS1_27scan_by_key_config_selectorIiyEEZZNS1_16scan_by_key_implILNS1_25lookback_scan_determinismE0ELb1ES3_N6thrust23THRUST_200600_302600_NS6detail15normal_iteratorINS9_10device_ptrIiEEEENSB_INSC_IyEEEESG_yNS9_4plusIvEENS9_8equal_toIvEEyEE10hipError_tPvRmT2_T3_T4_T5_mT6_T7_P12ihipStream_tbENKUlT_T0_E_clISt17integral_constantIbLb0EES10_IbLb1EEEEDaSW_SX_EUlSW_E_NS1_11comp_targetILNS1_3genE5ELNS1_11target_archE942ELNS1_3gpuE9ELNS1_3repE0EEENS1_30default_config_static_selectorELNS0_4arch9wavefront6targetE0EEEvT1_.kd
    .uniform_work_group_size: 1
    .uses_dynamic_stack: false
    .vgpr_count:     0
    .vgpr_spill_count: 0
    .wavefront_size: 32
  - .args:
      - .offset:         0
        .size:           136
        .value_kind:     by_value
    .group_segment_fixed_size: 0
    .kernarg_segment_align: 8
    .kernarg_segment_size: 136
    .language:       OpenCL C
    .language_version:
      - 2
      - 0
    .max_flat_workgroup_size: 64
    .name:           _ZN7rocprim17ROCPRIM_400000_NS6detail17trampoline_kernelINS0_14default_configENS1_27scan_by_key_config_selectorIiyEEZZNS1_16scan_by_key_implILNS1_25lookback_scan_determinismE0ELb1ES3_N6thrust23THRUST_200600_302600_NS6detail15normal_iteratorINS9_10device_ptrIiEEEENSB_INSC_IyEEEESG_yNS9_4plusIvEENS9_8equal_toIvEEyEE10hipError_tPvRmT2_T3_T4_T5_mT6_T7_P12ihipStream_tbENKUlT_T0_E_clISt17integral_constantIbLb0EES10_IbLb1EEEEDaSW_SX_EUlSW_E_NS1_11comp_targetILNS1_3genE4ELNS1_11target_archE910ELNS1_3gpuE8ELNS1_3repE0EEENS1_30default_config_static_selectorELNS0_4arch9wavefront6targetE0EEEvT1_
    .private_segment_fixed_size: 0
    .sgpr_count:     0
    .sgpr_spill_count: 0
    .symbol:         _ZN7rocprim17ROCPRIM_400000_NS6detail17trampoline_kernelINS0_14default_configENS1_27scan_by_key_config_selectorIiyEEZZNS1_16scan_by_key_implILNS1_25lookback_scan_determinismE0ELb1ES3_N6thrust23THRUST_200600_302600_NS6detail15normal_iteratorINS9_10device_ptrIiEEEENSB_INSC_IyEEEESG_yNS9_4plusIvEENS9_8equal_toIvEEyEE10hipError_tPvRmT2_T3_T4_T5_mT6_T7_P12ihipStream_tbENKUlT_T0_E_clISt17integral_constantIbLb0EES10_IbLb1EEEEDaSW_SX_EUlSW_E_NS1_11comp_targetILNS1_3genE4ELNS1_11target_archE910ELNS1_3gpuE8ELNS1_3repE0EEENS1_30default_config_static_selectorELNS0_4arch9wavefront6targetE0EEEvT1_.kd
    .uniform_work_group_size: 1
    .uses_dynamic_stack: false
    .vgpr_count:     0
    .vgpr_spill_count: 0
    .wavefront_size: 32
  - .args:
      - .offset:         0
        .size:           136
        .value_kind:     by_value
    .group_segment_fixed_size: 0
    .kernarg_segment_align: 8
    .kernarg_segment_size: 136
    .language:       OpenCL C
    .language_version:
      - 2
      - 0
    .max_flat_workgroup_size: 128
    .name:           _ZN7rocprim17ROCPRIM_400000_NS6detail17trampoline_kernelINS0_14default_configENS1_27scan_by_key_config_selectorIiyEEZZNS1_16scan_by_key_implILNS1_25lookback_scan_determinismE0ELb1ES3_N6thrust23THRUST_200600_302600_NS6detail15normal_iteratorINS9_10device_ptrIiEEEENSB_INSC_IyEEEESG_yNS9_4plusIvEENS9_8equal_toIvEEyEE10hipError_tPvRmT2_T3_T4_T5_mT6_T7_P12ihipStream_tbENKUlT_T0_E_clISt17integral_constantIbLb0EES10_IbLb1EEEEDaSW_SX_EUlSW_E_NS1_11comp_targetILNS1_3genE3ELNS1_11target_archE908ELNS1_3gpuE7ELNS1_3repE0EEENS1_30default_config_static_selectorELNS0_4arch9wavefront6targetE0EEEvT1_
    .private_segment_fixed_size: 0
    .sgpr_count:     0
    .sgpr_spill_count: 0
    .symbol:         _ZN7rocprim17ROCPRIM_400000_NS6detail17trampoline_kernelINS0_14default_configENS1_27scan_by_key_config_selectorIiyEEZZNS1_16scan_by_key_implILNS1_25lookback_scan_determinismE0ELb1ES3_N6thrust23THRUST_200600_302600_NS6detail15normal_iteratorINS9_10device_ptrIiEEEENSB_INSC_IyEEEESG_yNS9_4plusIvEENS9_8equal_toIvEEyEE10hipError_tPvRmT2_T3_T4_T5_mT6_T7_P12ihipStream_tbENKUlT_T0_E_clISt17integral_constantIbLb0EES10_IbLb1EEEEDaSW_SX_EUlSW_E_NS1_11comp_targetILNS1_3genE3ELNS1_11target_archE908ELNS1_3gpuE7ELNS1_3repE0EEENS1_30default_config_static_selectorELNS0_4arch9wavefront6targetE0EEEvT1_.kd
    .uniform_work_group_size: 1
    .uses_dynamic_stack: false
    .vgpr_count:     0
    .vgpr_spill_count: 0
    .wavefront_size: 32
  - .args:
      - .offset:         0
        .size:           136
        .value_kind:     by_value
    .group_segment_fixed_size: 0
    .kernarg_segment_align: 8
    .kernarg_segment_size: 136
    .language:       OpenCL C
    .language_version:
      - 2
      - 0
    .max_flat_workgroup_size: 64
    .name:           _ZN7rocprim17ROCPRIM_400000_NS6detail17trampoline_kernelINS0_14default_configENS1_27scan_by_key_config_selectorIiyEEZZNS1_16scan_by_key_implILNS1_25lookback_scan_determinismE0ELb1ES3_N6thrust23THRUST_200600_302600_NS6detail15normal_iteratorINS9_10device_ptrIiEEEENSB_INSC_IyEEEESG_yNS9_4plusIvEENS9_8equal_toIvEEyEE10hipError_tPvRmT2_T3_T4_T5_mT6_T7_P12ihipStream_tbENKUlT_T0_E_clISt17integral_constantIbLb0EES10_IbLb1EEEEDaSW_SX_EUlSW_E_NS1_11comp_targetILNS1_3genE2ELNS1_11target_archE906ELNS1_3gpuE6ELNS1_3repE0EEENS1_30default_config_static_selectorELNS0_4arch9wavefront6targetE0EEEvT1_
    .private_segment_fixed_size: 0
    .sgpr_count:     0
    .sgpr_spill_count: 0
    .symbol:         _ZN7rocprim17ROCPRIM_400000_NS6detail17trampoline_kernelINS0_14default_configENS1_27scan_by_key_config_selectorIiyEEZZNS1_16scan_by_key_implILNS1_25lookback_scan_determinismE0ELb1ES3_N6thrust23THRUST_200600_302600_NS6detail15normal_iteratorINS9_10device_ptrIiEEEENSB_INSC_IyEEEESG_yNS9_4plusIvEENS9_8equal_toIvEEyEE10hipError_tPvRmT2_T3_T4_T5_mT6_T7_P12ihipStream_tbENKUlT_T0_E_clISt17integral_constantIbLb0EES10_IbLb1EEEEDaSW_SX_EUlSW_E_NS1_11comp_targetILNS1_3genE2ELNS1_11target_archE906ELNS1_3gpuE6ELNS1_3repE0EEENS1_30default_config_static_selectorELNS0_4arch9wavefront6targetE0EEEvT1_.kd
    .uniform_work_group_size: 1
    .uses_dynamic_stack: false
    .vgpr_count:     0
    .vgpr_spill_count: 0
    .wavefront_size: 32
  - .args:
      - .offset:         0
        .size:           136
        .value_kind:     by_value
    .group_segment_fixed_size: 0
    .kernarg_segment_align: 8
    .kernarg_segment_size: 136
    .language:       OpenCL C
    .language_version:
      - 2
      - 0
    .max_flat_workgroup_size: 256
    .name:           _ZN7rocprim17ROCPRIM_400000_NS6detail17trampoline_kernelINS0_14default_configENS1_27scan_by_key_config_selectorIiyEEZZNS1_16scan_by_key_implILNS1_25lookback_scan_determinismE0ELb1ES3_N6thrust23THRUST_200600_302600_NS6detail15normal_iteratorINS9_10device_ptrIiEEEENSB_INSC_IyEEEESG_yNS9_4plusIvEENS9_8equal_toIvEEyEE10hipError_tPvRmT2_T3_T4_T5_mT6_T7_P12ihipStream_tbENKUlT_T0_E_clISt17integral_constantIbLb0EES10_IbLb1EEEEDaSW_SX_EUlSW_E_NS1_11comp_targetILNS1_3genE10ELNS1_11target_archE1200ELNS1_3gpuE4ELNS1_3repE0EEENS1_30default_config_static_selectorELNS0_4arch9wavefront6targetE0EEEvT1_
    .private_segment_fixed_size: 0
    .sgpr_count:     0
    .sgpr_spill_count: 0
    .symbol:         _ZN7rocprim17ROCPRIM_400000_NS6detail17trampoline_kernelINS0_14default_configENS1_27scan_by_key_config_selectorIiyEEZZNS1_16scan_by_key_implILNS1_25lookback_scan_determinismE0ELb1ES3_N6thrust23THRUST_200600_302600_NS6detail15normal_iteratorINS9_10device_ptrIiEEEENSB_INSC_IyEEEESG_yNS9_4plusIvEENS9_8equal_toIvEEyEE10hipError_tPvRmT2_T3_T4_T5_mT6_T7_P12ihipStream_tbENKUlT_T0_E_clISt17integral_constantIbLb0EES10_IbLb1EEEEDaSW_SX_EUlSW_E_NS1_11comp_targetILNS1_3genE10ELNS1_11target_archE1200ELNS1_3gpuE4ELNS1_3repE0EEENS1_30default_config_static_selectorELNS0_4arch9wavefront6targetE0EEEvT1_.kd
    .uniform_work_group_size: 1
    .uses_dynamic_stack: false
    .vgpr_count:     0
    .vgpr_spill_count: 0
    .wavefront_size: 32
  - .args:
      - .offset:         0
        .size:           136
        .value_kind:     by_value
    .group_segment_fixed_size: 0
    .kernarg_segment_align: 8
    .kernarg_segment_size: 136
    .language:       OpenCL C
    .language_version:
      - 2
      - 0
    .max_flat_workgroup_size: 256
    .name:           _ZN7rocprim17ROCPRIM_400000_NS6detail17trampoline_kernelINS0_14default_configENS1_27scan_by_key_config_selectorIiyEEZZNS1_16scan_by_key_implILNS1_25lookback_scan_determinismE0ELb1ES3_N6thrust23THRUST_200600_302600_NS6detail15normal_iteratorINS9_10device_ptrIiEEEENSB_INSC_IyEEEESG_yNS9_4plusIvEENS9_8equal_toIvEEyEE10hipError_tPvRmT2_T3_T4_T5_mT6_T7_P12ihipStream_tbENKUlT_T0_E_clISt17integral_constantIbLb0EES10_IbLb1EEEEDaSW_SX_EUlSW_E_NS1_11comp_targetILNS1_3genE9ELNS1_11target_archE1100ELNS1_3gpuE3ELNS1_3repE0EEENS1_30default_config_static_selectorELNS0_4arch9wavefront6targetE0EEEvT1_
    .private_segment_fixed_size: 0
    .sgpr_count:     0
    .sgpr_spill_count: 0
    .symbol:         _ZN7rocprim17ROCPRIM_400000_NS6detail17trampoline_kernelINS0_14default_configENS1_27scan_by_key_config_selectorIiyEEZZNS1_16scan_by_key_implILNS1_25lookback_scan_determinismE0ELb1ES3_N6thrust23THRUST_200600_302600_NS6detail15normal_iteratorINS9_10device_ptrIiEEEENSB_INSC_IyEEEESG_yNS9_4plusIvEENS9_8equal_toIvEEyEE10hipError_tPvRmT2_T3_T4_T5_mT6_T7_P12ihipStream_tbENKUlT_T0_E_clISt17integral_constantIbLb0EES10_IbLb1EEEEDaSW_SX_EUlSW_E_NS1_11comp_targetILNS1_3genE9ELNS1_11target_archE1100ELNS1_3gpuE3ELNS1_3repE0EEENS1_30default_config_static_selectorELNS0_4arch9wavefront6targetE0EEEvT1_.kd
    .uniform_work_group_size: 1
    .uses_dynamic_stack: false
    .vgpr_count:     0
    .vgpr_spill_count: 0
    .wavefront_size: 32
  - .args:
      - .offset:         0
        .size:           136
        .value_kind:     by_value
    .group_segment_fixed_size: 0
    .kernarg_segment_align: 8
    .kernarg_segment_size: 136
    .language:       OpenCL C
    .language_version:
      - 2
      - 0
    .max_flat_workgroup_size: 256
    .name:           _ZN7rocprim17ROCPRIM_400000_NS6detail17trampoline_kernelINS0_14default_configENS1_27scan_by_key_config_selectorIiyEEZZNS1_16scan_by_key_implILNS1_25lookback_scan_determinismE0ELb1ES3_N6thrust23THRUST_200600_302600_NS6detail15normal_iteratorINS9_10device_ptrIiEEEENSB_INSC_IyEEEESG_yNS9_4plusIvEENS9_8equal_toIvEEyEE10hipError_tPvRmT2_T3_T4_T5_mT6_T7_P12ihipStream_tbENKUlT_T0_E_clISt17integral_constantIbLb0EES10_IbLb1EEEEDaSW_SX_EUlSW_E_NS1_11comp_targetILNS1_3genE8ELNS1_11target_archE1030ELNS1_3gpuE2ELNS1_3repE0EEENS1_30default_config_static_selectorELNS0_4arch9wavefront6targetE0EEEvT1_
    .private_segment_fixed_size: 0
    .sgpr_count:     0
    .sgpr_spill_count: 0
    .symbol:         _ZN7rocprim17ROCPRIM_400000_NS6detail17trampoline_kernelINS0_14default_configENS1_27scan_by_key_config_selectorIiyEEZZNS1_16scan_by_key_implILNS1_25lookback_scan_determinismE0ELb1ES3_N6thrust23THRUST_200600_302600_NS6detail15normal_iteratorINS9_10device_ptrIiEEEENSB_INSC_IyEEEESG_yNS9_4plusIvEENS9_8equal_toIvEEyEE10hipError_tPvRmT2_T3_T4_T5_mT6_T7_P12ihipStream_tbENKUlT_T0_E_clISt17integral_constantIbLb0EES10_IbLb1EEEEDaSW_SX_EUlSW_E_NS1_11comp_targetILNS1_3genE8ELNS1_11target_archE1030ELNS1_3gpuE2ELNS1_3repE0EEENS1_30default_config_static_selectorELNS0_4arch9wavefront6targetE0EEEvT1_.kd
    .uniform_work_group_size: 1
    .uses_dynamic_stack: false
    .vgpr_count:     0
    .vgpr_spill_count: 0
    .wavefront_size: 32
  - .args:
      - .offset:         0
        .size:           112
        .value_kind:     by_value
    .group_segment_fixed_size: 14336
    .kernarg_segment_align: 8
    .kernarg_segment_size: 112
    .language:       OpenCL C
    .language_version:
      - 2
      - 0
    .max_flat_workgroup_size: 256
    .name:           _ZN7rocprim17ROCPRIM_400000_NS6detail17trampoline_kernelINS0_14default_configENS1_27scan_by_key_config_selectorIijEEZZNS1_16scan_by_key_implILNS1_25lookback_scan_determinismE0ELb1ES3_N6thrust23THRUST_200600_302600_NS6detail15normal_iteratorINS9_10device_ptrIiEEEENSB_INSC_IjEEEESG_jNS9_4plusIvEENS9_8equal_toIvEEjEE10hipError_tPvRmT2_T3_T4_T5_mT6_T7_P12ihipStream_tbENKUlT_T0_E_clISt17integral_constantIbLb0EES11_EEDaSW_SX_EUlSW_E_NS1_11comp_targetILNS1_3genE0ELNS1_11target_archE4294967295ELNS1_3gpuE0ELNS1_3repE0EEENS1_30default_config_static_selectorELNS0_4arch9wavefront6targetE0EEEvT1_
    .private_segment_fixed_size: 0
    .sgpr_count:     39
    .sgpr_spill_count: 0
    .symbol:         _ZN7rocprim17ROCPRIM_400000_NS6detail17trampoline_kernelINS0_14default_configENS1_27scan_by_key_config_selectorIijEEZZNS1_16scan_by_key_implILNS1_25lookback_scan_determinismE0ELb1ES3_N6thrust23THRUST_200600_302600_NS6detail15normal_iteratorINS9_10device_ptrIiEEEENSB_INSC_IjEEEESG_jNS9_4plusIvEENS9_8equal_toIvEEjEE10hipError_tPvRmT2_T3_T4_T5_mT6_T7_P12ihipStream_tbENKUlT_T0_E_clISt17integral_constantIbLb0EES11_EEDaSW_SX_EUlSW_E_NS1_11comp_targetILNS1_3genE0ELNS1_11target_archE4294967295ELNS1_3gpuE0ELNS1_3repE0EEENS1_30default_config_static_selectorELNS0_4arch9wavefront6targetE0EEEvT1_.kd
    .uniform_work_group_size: 1
    .uses_dynamic_stack: false
    .vgpr_count:     62
    .vgpr_spill_count: 0
    .wavefront_size: 32
  - .args:
      - .offset:         0
        .size:           112
        .value_kind:     by_value
    .group_segment_fixed_size: 0
    .kernarg_segment_align: 8
    .kernarg_segment_size: 112
    .language:       OpenCL C
    .language_version:
      - 2
      - 0
    .max_flat_workgroup_size: 256
    .name:           _ZN7rocprim17ROCPRIM_400000_NS6detail17trampoline_kernelINS0_14default_configENS1_27scan_by_key_config_selectorIijEEZZNS1_16scan_by_key_implILNS1_25lookback_scan_determinismE0ELb1ES3_N6thrust23THRUST_200600_302600_NS6detail15normal_iteratorINS9_10device_ptrIiEEEENSB_INSC_IjEEEESG_jNS9_4plusIvEENS9_8equal_toIvEEjEE10hipError_tPvRmT2_T3_T4_T5_mT6_T7_P12ihipStream_tbENKUlT_T0_E_clISt17integral_constantIbLb0EES11_EEDaSW_SX_EUlSW_E_NS1_11comp_targetILNS1_3genE10ELNS1_11target_archE1201ELNS1_3gpuE5ELNS1_3repE0EEENS1_30default_config_static_selectorELNS0_4arch9wavefront6targetE0EEEvT1_
    .private_segment_fixed_size: 0
    .sgpr_count:     0
    .sgpr_spill_count: 0
    .symbol:         _ZN7rocprim17ROCPRIM_400000_NS6detail17trampoline_kernelINS0_14default_configENS1_27scan_by_key_config_selectorIijEEZZNS1_16scan_by_key_implILNS1_25lookback_scan_determinismE0ELb1ES3_N6thrust23THRUST_200600_302600_NS6detail15normal_iteratorINS9_10device_ptrIiEEEENSB_INSC_IjEEEESG_jNS9_4plusIvEENS9_8equal_toIvEEjEE10hipError_tPvRmT2_T3_T4_T5_mT6_T7_P12ihipStream_tbENKUlT_T0_E_clISt17integral_constantIbLb0EES11_EEDaSW_SX_EUlSW_E_NS1_11comp_targetILNS1_3genE10ELNS1_11target_archE1201ELNS1_3gpuE5ELNS1_3repE0EEENS1_30default_config_static_selectorELNS0_4arch9wavefront6targetE0EEEvT1_.kd
    .uniform_work_group_size: 1
    .uses_dynamic_stack: false
    .vgpr_count:     0
    .vgpr_spill_count: 0
    .wavefront_size: 32
  - .args:
      - .offset:         0
        .size:           112
        .value_kind:     by_value
    .group_segment_fixed_size: 0
    .kernarg_segment_align: 8
    .kernarg_segment_size: 112
    .language:       OpenCL C
    .language_version:
      - 2
      - 0
    .max_flat_workgroup_size: 256
    .name:           _ZN7rocprim17ROCPRIM_400000_NS6detail17trampoline_kernelINS0_14default_configENS1_27scan_by_key_config_selectorIijEEZZNS1_16scan_by_key_implILNS1_25lookback_scan_determinismE0ELb1ES3_N6thrust23THRUST_200600_302600_NS6detail15normal_iteratorINS9_10device_ptrIiEEEENSB_INSC_IjEEEESG_jNS9_4plusIvEENS9_8equal_toIvEEjEE10hipError_tPvRmT2_T3_T4_T5_mT6_T7_P12ihipStream_tbENKUlT_T0_E_clISt17integral_constantIbLb0EES11_EEDaSW_SX_EUlSW_E_NS1_11comp_targetILNS1_3genE5ELNS1_11target_archE942ELNS1_3gpuE9ELNS1_3repE0EEENS1_30default_config_static_selectorELNS0_4arch9wavefront6targetE0EEEvT1_
    .private_segment_fixed_size: 0
    .sgpr_count:     0
    .sgpr_spill_count: 0
    .symbol:         _ZN7rocprim17ROCPRIM_400000_NS6detail17trampoline_kernelINS0_14default_configENS1_27scan_by_key_config_selectorIijEEZZNS1_16scan_by_key_implILNS1_25lookback_scan_determinismE0ELb1ES3_N6thrust23THRUST_200600_302600_NS6detail15normal_iteratorINS9_10device_ptrIiEEEENSB_INSC_IjEEEESG_jNS9_4plusIvEENS9_8equal_toIvEEjEE10hipError_tPvRmT2_T3_T4_T5_mT6_T7_P12ihipStream_tbENKUlT_T0_E_clISt17integral_constantIbLb0EES11_EEDaSW_SX_EUlSW_E_NS1_11comp_targetILNS1_3genE5ELNS1_11target_archE942ELNS1_3gpuE9ELNS1_3repE0EEENS1_30default_config_static_selectorELNS0_4arch9wavefront6targetE0EEEvT1_.kd
    .uniform_work_group_size: 1
    .uses_dynamic_stack: false
    .vgpr_count:     0
    .vgpr_spill_count: 0
    .wavefront_size: 32
  - .args:
      - .offset:         0
        .size:           112
        .value_kind:     by_value
    .group_segment_fixed_size: 0
    .kernarg_segment_align: 8
    .kernarg_segment_size: 112
    .language:       OpenCL C
    .language_version:
      - 2
      - 0
    .max_flat_workgroup_size: 256
    .name:           _ZN7rocprim17ROCPRIM_400000_NS6detail17trampoline_kernelINS0_14default_configENS1_27scan_by_key_config_selectorIijEEZZNS1_16scan_by_key_implILNS1_25lookback_scan_determinismE0ELb1ES3_N6thrust23THRUST_200600_302600_NS6detail15normal_iteratorINS9_10device_ptrIiEEEENSB_INSC_IjEEEESG_jNS9_4plusIvEENS9_8equal_toIvEEjEE10hipError_tPvRmT2_T3_T4_T5_mT6_T7_P12ihipStream_tbENKUlT_T0_E_clISt17integral_constantIbLb0EES11_EEDaSW_SX_EUlSW_E_NS1_11comp_targetILNS1_3genE4ELNS1_11target_archE910ELNS1_3gpuE8ELNS1_3repE0EEENS1_30default_config_static_selectorELNS0_4arch9wavefront6targetE0EEEvT1_
    .private_segment_fixed_size: 0
    .sgpr_count:     0
    .sgpr_spill_count: 0
    .symbol:         _ZN7rocprim17ROCPRIM_400000_NS6detail17trampoline_kernelINS0_14default_configENS1_27scan_by_key_config_selectorIijEEZZNS1_16scan_by_key_implILNS1_25lookback_scan_determinismE0ELb1ES3_N6thrust23THRUST_200600_302600_NS6detail15normal_iteratorINS9_10device_ptrIiEEEENSB_INSC_IjEEEESG_jNS9_4plusIvEENS9_8equal_toIvEEjEE10hipError_tPvRmT2_T3_T4_T5_mT6_T7_P12ihipStream_tbENKUlT_T0_E_clISt17integral_constantIbLb0EES11_EEDaSW_SX_EUlSW_E_NS1_11comp_targetILNS1_3genE4ELNS1_11target_archE910ELNS1_3gpuE8ELNS1_3repE0EEENS1_30default_config_static_selectorELNS0_4arch9wavefront6targetE0EEEvT1_.kd
    .uniform_work_group_size: 1
    .uses_dynamic_stack: false
    .vgpr_count:     0
    .vgpr_spill_count: 0
    .wavefront_size: 32
  - .args:
      - .offset:         0
        .size:           112
        .value_kind:     by_value
    .group_segment_fixed_size: 0
    .kernarg_segment_align: 8
    .kernarg_segment_size: 112
    .language:       OpenCL C
    .language_version:
      - 2
      - 0
    .max_flat_workgroup_size: 256
    .name:           _ZN7rocprim17ROCPRIM_400000_NS6detail17trampoline_kernelINS0_14default_configENS1_27scan_by_key_config_selectorIijEEZZNS1_16scan_by_key_implILNS1_25lookback_scan_determinismE0ELb1ES3_N6thrust23THRUST_200600_302600_NS6detail15normal_iteratorINS9_10device_ptrIiEEEENSB_INSC_IjEEEESG_jNS9_4plusIvEENS9_8equal_toIvEEjEE10hipError_tPvRmT2_T3_T4_T5_mT6_T7_P12ihipStream_tbENKUlT_T0_E_clISt17integral_constantIbLb0EES11_EEDaSW_SX_EUlSW_E_NS1_11comp_targetILNS1_3genE3ELNS1_11target_archE908ELNS1_3gpuE7ELNS1_3repE0EEENS1_30default_config_static_selectorELNS0_4arch9wavefront6targetE0EEEvT1_
    .private_segment_fixed_size: 0
    .sgpr_count:     0
    .sgpr_spill_count: 0
    .symbol:         _ZN7rocprim17ROCPRIM_400000_NS6detail17trampoline_kernelINS0_14default_configENS1_27scan_by_key_config_selectorIijEEZZNS1_16scan_by_key_implILNS1_25lookback_scan_determinismE0ELb1ES3_N6thrust23THRUST_200600_302600_NS6detail15normal_iteratorINS9_10device_ptrIiEEEENSB_INSC_IjEEEESG_jNS9_4plusIvEENS9_8equal_toIvEEjEE10hipError_tPvRmT2_T3_T4_T5_mT6_T7_P12ihipStream_tbENKUlT_T0_E_clISt17integral_constantIbLb0EES11_EEDaSW_SX_EUlSW_E_NS1_11comp_targetILNS1_3genE3ELNS1_11target_archE908ELNS1_3gpuE7ELNS1_3repE0EEENS1_30default_config_static_selectorELNS0_4arch9wavefront6targetE0EEEvT1_.kd
    .uniform_work_group_size: 1
    .uses_dynamic_stack: false
    .vgpr_count:     0
    .vgpr_spill_count: 0
    .wavefront_size: 32
  - .args:
      - .offset:         0
        .size:           112
        .value_kind:     by_value
    .group_segment_fixed_size: 0
    .kernarg_segment_align: 8
    .kernarg_segment_size: 112
    .language:       OpenCL C
    .language_version:
      - 2
      - 0
    .max_flat_workgroup_size: 256
    .name:           _ZN7rocprim17ROCPRIM_400000_NS6detail17trampoline_kernelINS0_14default_configENS1_27scan_by_key_config_selectorIijEEZZNS1_16scan_by_key_implILNS1_25lookback_scan_determinismE0ELb1ES3_N6thrust23THRUST_200600_302600_NS6detail15normal_iteratorINS9_10device_ptrIiEEEENSB_INSC_IjEEEESG_jNS9_4plusIvEENS9_8equal_toIvEEjEE10hipError_tPvRmT2_T3_T4_T5_mT6_T7_P12ihipStream_tbENKUlT_T0_E_clISt17integral_constantIbLb0EES11_EEDaSW_SX_EUlSW_E_NS1_11comp_targetILNS1_3genE2ELNS1_11target_archE906ELNS1_3gpuE6ELNS1_3repE0EEENS1_30default_config_static_selectorELNS0_4arch9wavefront6targetE0EEEvT1_
    .private_segment_fixed_size: 0
    .sgpr_count:     0
    .sgpr_spill_count: 0
    .symbol:         _ZN7rocprim17ROCPRIM_400000_NS6detail17trampoline_kernelINS0_14default_configENS1_27scan_by_key_config_selectorIijEEZZNS1_16scan_by_key_implILNS1_25lookback_scan_determinismE0ELb1ES3_N6thrust23THRUST_200600_302600_NS6detail15normal_iteratorINS9_10device_ptrIiEEEENSB_INSC_IjEEEESG_jNS9_4plusIvEENS9_8equal_toIvEEjEE10hipError_tPvRmT2_T3_T4_T5_mT6_T7_P12ihipStream_tbENKUlT_T0_E_clISt17integral_constantIbLb0EES11_EEDaSW_SX_EUlSW_E_NS1_11comp_targetILNS1_3genE2ELNS1_11target_archE906ELNS1_3gpuE6ELNS1_3repE0EEENS1_30default_config_static_selectorELNS0_4arch9wavefront6targetE0EEEvT1_.kd
    .uniform_work_group_size: 1
    .uses_dynamic_stack: false
    .vgpr_count:     0
    .vgpr_spill_count: 0
    .wavefront_size: 32
  - .args:
      - .offset:         0
        .size:           112
        .value_kind:     by_value
    .group_segment_fixed_size: 0
    .kernarg_segment_align: 8
    .kernarg_segment_size: 112
    .language:       OpenCL C
    .language_version:
      - 2
      - 0
    .max_flat_workgroup_size: 256
    .name:           _ZN7rocprim17ROCPRIM_400000_NS6detail17trampoline_kernelINS0_14default_configENS1_27scan_by_key_config_selectorIijEEZZNS1_16scan_by_key_implILNS1_25lookback_scan_determinismE0ELb1ES3_N6thrust23THRUST_200600_302600_NS6detail15normal_iteratorINS9_10device_ptrIiEEEENSB_INSC_IjEEEESG_jNS9_4plusIvEENS9_8equal_toIvEEjEE10hipError_tPvRmT2_T3_T4_T5_mT6_T7_P12ihipStream_tbENKUlT_T0_E_clISt17integral_constantIbLb0EES11_EEDaSW_SX_EUlSW_E_NS1_11comp_targetILNS1_3genE10ELNS1_11target_archE1200ELNS1_3gpuE4ELNS1_3repE0EEENS1_30default_config_static_selectorELNS0_4arch9wavefront6targetE0EEEvT1_
    .private_segment_fixed_size: 0
    .sgpr_count:     0
    .sgpr_spill_count: 0
    .symbol:         _ZN7rocprim17ROCPRIM_400000_NS6detail17trampoline_kernelINS0_14default_configENS1_27scan_by_key_config_selectorIijEEZZNS1_16scan_by_key_implILNS1_25lookback_scan_determinismE0ELb1ES3_N6thrust23THRUST_200600_302600_NS6detail15normal_iteratorINS9_10device_ptrIiEEEENSB_INSC_IjEEEESG_jNS9_4plusIvEENS9_8equal_toIvEEjEE10hipError_tPvRmT2_T3_T4_T5_mT6_T7_P12ihipStream_tbENKUlT_T0_E_clISt17integral_constantIbLb0EES11_EEDaSW_SX_EUlSW_E_NS1_11comp_targetILNS1_3genE10ELNS1_11target_archE1200ELNS1_3gpuE4ELNS1_3repE0EEENS1_30default_config_static_selectorELNS0_4arch9wavefront6targetE0EEEvT1_.kd
    .uniform_work_group_size: 1
    .uses_dynamic_stack: false
    .vgpr_count:     0
    .vgpr_spill_count: 0
    .wavefront_size: 32
  - .args:
      - .offset:         0
        .size:           112
        .value_kind:     by_value
    .group_segment_fixed_size: 0
    .kernarg_segment_align: 8
    .kernarg_segment_size: 112
    .language:       OpenCL C
    .language_version:
      - 2
      - 0
    .max_flat_workgroup_size: 256
    .name:           _ZN7rocprim17ROCPRIM_400000_NS6detail17trampoline_kernelINS0_14default_configENS1_27scan_by_key_config_selectorIijEEZZNS1_16scan_by_key_implILNS1_25lookback_scan_determinismE0ELb1ES3_N6thrust23THRUST_200600_302600_NS6detail15normal_iteratorINS9_10device_ptrIiEEEENSB_INSC_IjEEEESG_jNS9_4plusIvEENS9_8equal_toIvEEjEE10hipError_tPvRmT2_T3_T4_T5_mT6_T7_P12ihipStream_tbENKUlT_T0_E_clISt17integral_constantIbLb0EES11_EEDaSW_SX_EUlSW_E_NS1_11comp_targetILNS1_3genE9ELNS1_11target_archE1100ELNS1_3gpuE3ELNS1_3repE0EEENS1_30default_config_static_selectorELNS0_4arch9wavefront6targetE0EEEvT1_
    .private_segment_fixed_size: 0
    .sgpr_count:     0
    .sgpr_spill_count: 0
    .symbol:         _ZN7rocprim17ROCPRIM_400000_NS6detail17trampoline_kernelINS0_14default_configENS1_27scan_by_key_config_selectorIijEEZZNS1_16scan_by_key_implILNS1_25lookback_scan_determinismE0ELb1ES3_N6thrust23THRUST_200600_302600_NS6detail15normal_iteratorINS9_10device_ptrIiEEEENSB_INSC_IjEEEESG_jNS9_4plusIvEENS9_8equal_toIvEEjEE10hipError_tPvRmT2_T3_T4_T5_mT6_T7_P12ihipStream_tbENKUlT_T0_E_clISt17integral_constantIbLb0EES11_EEDaSW_SX_EUlSW_E_NS1_11comp_targetILNS1_3genE9ELNS1_11target_archE1100ELNS1_3gpuE3ELNS1_3repE0EEENS1_30default_config_static_selectorELNS0_4arch9wavefront6targetE0EEEvT1_.kd
    .uniform_work_group_size: 1
    .uses_dynamic_stack: false
    .vgpr_count:     0
    .vgpr_spill_count: 0
    .wavefront_size: 32
  - .args:
      - .offset:         0
        .size:           112
        .value_kind:     by_value
    .group_segment_fixed_size: 0
    .kernarg_segment_align: 8
    .kernarg_segment_size: 112
    .language:       OpenCL C
    .language_version:
      - 2
      - 0
    .max_flat_workgroup_size: 256
    .name:           _ZN7rocprim17ROCPRIM_400000_NS6detail17trampoline_kernelINS0_14default_configENS1_27scan_by_key_config_selectorIijEEZZNS1_16scan_by_key_implILNS1_25lookback_scan_determinismE0ELb1ES3_N6thrust23THRUST_200600_302600_NS6detail15normal_iteratorINS9_10device_ptrIiEEEENSB_INSC_IjEEEESG_jNS9_4plusIvEENS9_8equal_toIvEEjEE10hipError_tPvRmT2_T3_T4_T5_mT6_T7_P12ihipStream_tbENKUlT_T0_E_clISt17integral_constantIbLb0EES11_EEDaSW_SX_EUlSW_E_NS1_11comp_targetILNS1_3genE8ELNS1_11target_archE1030ELNS1_3gpuE2ELNS1_3repE0EEENS1_30default_config_static_selectorELNS0_4arch9wavefront6targetE0EEEvT1_
    .private_segment_fixed_size: 0
    .sgpr_count:     0
    .sgpr_spill_count: 0
    .symbol:         _ZN7rocprim17ROCPRIM_400000_NS6detail17trampoline_kernelINS0_14default_configENS1_27scan_by_key_config_selectorIijEEZZNS1_16scan_by_key_implILNS1_25lookback_scan_determinismE0ELb1ES3_N6thrust23THRUST_200600_302600_NS6detail15normal_iteratorINS9_10device_ptrIiEEEENSB_INSC_IjEEEESG_jNS9_4plusIvEENS9_8equal_toIvEEjEE10hipError_tPvRmT2_T3_T4_T5_mT6_T7_P12ihipStream_tbENKUlT_T0_E_clISt17integral_constantIbLb0EES11_EEDaSW_SX_EUlSW_E_NS1_11comp_targetILNS1_3genE8ELNS1_11target_archE1030ELNS1_3gpuE2ELNS1_3repE0EEENS1_30default_config_static_selectorELNS0_4arch9wavefront6targetE0EEEvT1_.kd
    .uniform_work_group_size: 1
    .uses_dynamic_stack: false
    .vgpr_count:     0
    .vgpr_spill_count: 0
    .wavefront_size: 32
  - .args:
      - .offset:         0
        .size:           112
        .value_kind:     by_value
    .group_segment_fixed_size: 0
    .kernarg_segment_align: 8
    .kernarg_segment_size: 112
    .language:       OpenCL C
    .language_version:
      - 2
      - 0
    .max_flat_workgroup_size: 256
    .name:           _ZN7rocprim17ROCPRIM_400000_NS6detail17trampoline_kernelINS0_14default_configENS1_27scan_by_key_config_selectorIijEEZZNS1_16scan_by_key_implILNS1_25lookback_scan_determinismE0ELb1ES3_N6thrust23THRUST_200600_302600_NS6detail15normal_iteratorINS9_10device_ptrIiEEEENSB_INSC_IjEEEESG_jNS9_4plusIvEENS9_8equal_toIvEEjEE10hipError_tPvRmT2_T3_T4_T5_mT6_T7_P12ihipStream_tbENKUlT_T0_E_clISt17integral_constantIbLb1EES11_EEDaSW_SX_EUlSW_E_NS1_11comp_targetILNS1_3genE0ELNS1_11target_archE4294967295ELNS1_3gpuE0ELNS1_3repE0EEENS1_30default_config_static_selectorELNS0_4arch9wavefront6targetE0EEEvT1_
    .private_segment_fixed_size: 0
    .sgpr_count:     0
    .sgpr_spill_count: 0
    .symbol:         _ZN7rocprim17ROCPRIM_400000_NS6detail17trampoline_kernelINS0_14default_configENS1_27scan_by_key_config_selectorIijEEZZNS1_16scan_by_key_implILNS1_25lookback_scan_determinismE0ELb1ES3_N6thrust23THRUST_200600_302600_NS6detail15normal_iteratorINS9_10device_ptrIiEEEENSB_INSC_IjEEEESG_jNS9_4plusIvEENS9_8equal_toIvEEjEE10hipError_tPvRmT2_T3_T4_T5_mT6_T7_P12ihipStream_tbENKUlT_T0_E_clISt17integral_constantIbLb1EES11_EEDaSW_SX_EUlSW_E_NS1_11comp_targetILNS1_3genE0ELNS1_11target_archE4294967295ELNS1_3gpuE0ELNS1_3repE0EEENS1_30default_config_static_selectorELNS0_4arch9wavefront6targetE0EEEvT1_.kd
    .uniform_work_group_size: 1
    .uses_dynamic_stack: false
    .vgpr_count:     0
    .vgpr_spill_count: 0
    .wavefront_size: 32
  - .args:
      - .offset:         0
        .size:           112
        .value_kind:     by_value
    .group_segment_fixed_size: 0
    .kernarg_segment_align: 8
    .kernarg_segment_size: 112
    .language:       OpenCL C
    .language_version:
      - 2
      - 0
    .max_flat_workgroup_size: 256
    .name:           _ZN7rocprim17ROCPRIM_400000_NS6detail17trampoline_kernelINS0_14default_configENS1_27scan_by_key_config_selectorIijEEZZNS1_16scan_by_key_implILNS1_25lookback_scan_determinismE0ELb1ES3_N6thrust23THRUST_200600_302600_NS6detail15normal_iteratorINS9_10device_ptrIiEEEENSB_INSC_IjEEEESG_jNS9_4plusIvEENS9_8equal_toIvEEjEE10hipError_tPvRmT2_T3_T4_T5_mT6_T7_P12ihipStream_tbENKUlT_T0_E_clISt17integral_constantIbLb1EES11_EEDaSW_SX_EUlSW_E_NS1_11comp_targetILNS1_3genE10ELNS1_11target_archE1201ELNS1_3gpuE5ELNS1_3repE0EEENS1_30default_config_static_selectorELNS0_4arch9wavefront6targetE0EEEvT1_
    .private_segment_fixed_size: 0
    .sgpr_count:     0
    .sgpr_spill_count: 0
    .symbol:         _ZN7rocprim17ROCPRIM_400000_NS6detail17trampoline_kernelINS0_14default_configENS1_27scan_by_key_config_selectorIijEEZZNS1_16scan_by_key_implILNS1_25lookback_scan_determinismE0ELb1ES3_N6thrust23THRUST_200600_302600_NS6detail15normal_iteratorINS9_10device_ptrIiEEEENSB_INSC_IjEEEESG_jNS9_4plusIvEENS9_8equal_toIvEEjEE10hipError_tPvRmT2_T3_T4_T5_mT6_T7_P12ihipStream_tbENKUlT_T0_E_clISt17integral_constantIbLb1EES11_EEDaSW_SX_EUlSW_E_NS1_11comp_targetILNS1_3genE10ELNS1_11target_archE1201ELNS1_3gpuE5ELNS1_3repE0EEENS1_30default_config_static_selectorELNS0_4arch9wavefront6targetE0EEEvT1_.kd
    .uniform_work_group_size: 1
    .uses_dynamic_stack: false
    .vgpr_count:     0
    .vgpr_spill_count: 0
    .wavefront_size: 32
  - .args:
      - .offset:         0
        .size:           112
        .value_kind:     by_value
    .group_segment_fixed_size: 0
    .kernarg_segment_align: 8
    .kernarg_segment_size: 112
    .language:       OpenCL C
    .language_version:
      - 2
      - 0
    .max_flat_workgroup_size: 256
    .name:           _ZN7rocprim17ROCPRIM_400000_NS6detail17trampoline_kernelINS0_14default_configENS1_27scan_by_key_config_selectorIijEEZZNS1_16scan_by_key_implILNS1_25lookback_scan_determinismE0ELb1ES3_N6thrust23THRUST_200600_302600_NS6detail15normal_iteratorINS9_10device_ptrIiEEEENSB_INSC_IjEEEESG_jNS9_4plusIvEENS9_8equal_toIvEEjEE10hipError_tPvRmT2_T3_T4_T5_mT6_T7_P12ihipStream_tbENKUlT_T0_E_clISt17integral_constantIbLb1EES11_EEDaSW_SX_EUlSW_E_NS1_11comp_targetILNS1_3genE5ELNS1_11target_archE942ELNS1_3gpuE9ELNS1_3repE0EEENS1_30default_config_static_selectorELNS0_4arch9wavefront6targetE0EEEvT1_
    .private_segment_fixed_size: 0
    .sgpr_count:     0
    .sgpr_spill_count: 0
    .symbol:         _ZN7rocprim17ROCPRIM_400000_NS6detail17trampoline_kernelINS0_14default_configENS1_27scan_by_key_config_selectorIijEEZZNS1_16scan_by_key_implILNS1_25lookback_scan_determinismE0ELb1ES3_N6thrust23THRUST_200600_302600_NS6detail15normal_iteratorINS9_10device_ptrIiEEEENSB_INSC_IjEEEESG_jNS9_4plusIvEENS9_8equal_toIvEEjEE10hipError_tPvRmT2_T3_T4_T5_mT6_T7_P12ihipStream_tbENKUlT_T0_E_clISt17integral_constantIbLb1EES11_EEDaSW_SX_EUlSW_E_NS1_11comp_targetILNS1_3genE5ELNS1_11target_archE942ELNS1_3gpuE9ELNS1_3repE0EEENS1_30default_config_static_selectorELNS0_4arch9wavefront6targetE0EEEvT1_.kd
    .uniform_work_group_size: 1
    .uses_dynamic_stack: false
    .vgpr_count:     0
    .vgpr_spill_count: 0
    .wavefront_size: 32
  - .args:
      - .offset:         0
        .size:           112
        .value_kind:     by_value
    .group_segment_fixed_size: 0
    .kernarg_segment_align: 8
    .kernarg_segment_size: 112
    .language:       OpenCL C
    .language_version:
      - 2
      - 0
    .max_flat_workgroup_size: 256
    .name:           _ZN7rocprim17ROCPRIM_400000_NS6detail17trampoline_kernelINS0_14default_configENS1_27scan_by_key_config_selectorIijEEZZNS1_16scan_by_key_implILNS1_25lookback_scan_determinismE0ELb1ES3_N6thrust23THRUST_200600_302600_NS6detail15normal_iteratorINS9_10device_ptrIiEEEENSB_INSC_IjEEEESG_jNS9_4plusIvEENS9_8equal_toIvEEjEE10hipError_tPvRmT2_T3_T4_T5_mT6_T7_P12ihipStream_tbENKUlT_T0_E_clISt17integral_constantIbLb1EES11_EEDaSW_SX_EUlSW_E_NS1_11comp_targetILNS1_3genE4ELNS1_11target_archE910ELNS1_3gpuE8ELNS1_3repE0EEENS1_30default_config_static_selectorELNS0_4arch9wavefront6targetE0EEEvT1_
    .private_segment_fixed_size: 0
    .sgpr_count:     0
    .sgpr_spill_count: 0
    .symbol:         _ZN7rocprim17ROCPRIM_400000_NS6detail17trampoline_kernelINS0_14default_configENS1_27scan_by_key_config_selectorIijEEZZNS1_16scan_by_key_implILNS1_25lookback_scan_determinismE0ELb1ES3_N6thrust23THRUST_200600_302600_NS6detail15normal_iteratorINS9_10device_ptrIiEEEENSB_INSC_IjEEEESG_jNS9_4plusIvEENS9_8equal_toIvEEjEE10hipError_tPvRmT2_T3_T4_T5_mT6_T7_P12ihipStream_tbENKUlT_T0_E_clISt17integral_constantIbLb1EES11_EEDaSW_SX_EUlSW_E_NS1_11comp_targetILNS1_3genE4ELNS1_11target_archE910ELNS1_3gpuE8ELNS1_3repE0EEENS1_30default_config_static_selectorELNS0_4arch9wavefront6targetE0EEEvT1_.kd
    .uniform_work_group_size: 1
    .uses_dynamic_stack: false
    .vgpr_count:     0
    .vgpr_spill_count: 0
    .wavefront_size: 32
  - .args:
      - .offset:         0
        .size:           112
        .value_kind:     by_value
    .group_segment_fixed_size: 0
    .kernarg_segment_align: 8
    .kernarg_segment_size: 112
    .language:       OpenCL C
    .language_version:
      - 2
      - 0
    .max_flat_workgroup_size: 256
    .name:           _ZN7rocprim17ROCPRIM_400000_NS6detail17trampoline_kernelINS0_14default_configENS1_27scan_by_key_config_selectorIijEEZZNS1_16scan_by_key_implILNS1_25lookback_scan_determinismE0ELb1ES3_N6thrust23THRUST_200600_302600_NS6detail15normal_iteratorINS9_10device_ptrIiEEEENSB_INSC_IjEEEESG_jNS9_4plusIvEENS9_8equal_toIvEEjEE10hipError_tPvRmT2_T3_T4_T5_mT6_T7_P12ihipStream_tbENKUlT_T0_E_clISt17integral_constantIbLb1EES11_EEDaSW_SX_EUlSW_E_NS1_11comp_targetILNS1_3genE3ELNS1_11target_archE908ELNS1_3gpuE7ELNS1_3repE0EEENS1_30default_config_static_selectorELNS0_4arch9wavefront6targetE0EEEvT1_
    .private_segment_fixed_size: 0
    .sgpr_count:     0
    .sgpr_spill_count: 0
    .symbol:         _ZN7rocprim17ROCPRIM_400000_NS6detail17trampoline_kernelINS0_14default_configENS1_27scan_by_key_config_selectorIijEEZZNS1_16scan_by_key_implILNS1_25lookback_scan_determinismE0ELb1ES3_N6thrust23THRUST_200600_302600_NS6detail15normal_iteratorINS9_10device_ptrIiEEEENSB_INSC_IjEEEESG_jNS9_4plusIvEENS9_8equal_toIvEEjEE10hipError_tPvRmT2_T3_T4_T5_mT6_T7_P12ihipStream_tbENKUlT_T0_E_clISt17integral_constantIbLb1EES11_EEDaSW_SX_EUlSW_E_NS1_11comp_targetILNS1_3genE3ELNS1_11target_archE908ELNS1_3gpuE7ELNS1_3repE0EEENS1_30default_config_static_selectorELNS0_4arch9wavefront6targetE0EEEvT1_.kd
    .uniform_work_group_size: 1
    .uses_dynamic_stack: false
    .vgpr_count:     0
    .vgpr_spill_count: 0
    .wavefront_size: 32
  - .args:
      - .offset:         0
        .size:           112
        .value_kind:     by_value
    .group_segment_fixed_size: 0
    .kernarg_segment_align: 8
    .kernarg_segment_size: 112
    .language:       OpenCL C
    .language_version:
      - 2
      - 0
    .max_flat_workgroup_size: 256
    .name:           _ZN7rocprim17ROCPRIM_400000_NS6detail17trampoline_kernelINS0_14default_configENS1_27scan_by_key_config_selectorIijEEZZNS1_16scan_by_key_implILNS1_25lookback_scan_determinismE0ELb1ES3_N6thrust23THRUST_200600_302600_NS6detail15normal_iteratorINS9_10device_ptrIiEEEENSB_INSC_IjEEEESG_jNS9_4plusIvEENS9_8equal_toIvEEjEE10hipError_tPvRmT2_T3_T4_T5_mT6_T7_P12ihipStream_tbENKUlT_T0_E_clISt17integral_constantIbLb1EES11_EEDaSW_SX_EUlSW_E_NS1_11comp_targetILNS1_3genE2ELNS1_11target_archE906ELNS1_3gpuE6ELNS1_3repE0EEENS1_30default_config_static_selectorELNS0_4arch9wavefront6targetE0EEEvT1_
    .private_segment_fixed_size: 0
    .sgpr_count:     0
    .sgpr_spill_count: 0
    .symbol:         _ZN7rocprim17ROCPRIM_400000_NS6detail17trampoline_kernelINS0_14default_configENS1_27scan_by_key_config_selectorIijEEZZNS1_16scan_by_key_implILNS1_25lookback_scan_determinismE0ELb1ES3_N6thrust23THRUST_200600_302600_NS6detail15normal_iteratorINS9_10device_ptrIiEEEENSB_INSC_IjEEEESG_jNS9_4plusIvEENS9_8equal_toIvEEjEE10hipError_tPvRmT2_T3_T4_T5_mT6_T7_P12ihipStream_tbENKUlT_T0_E_clISt17integral_constantIbLb1EES11_EEDaSW_SX_EUlSW_E_NS1_11comp_targetILNS1_3genE2ELNS1_11target_archE906ELNS1_3gpuE6ELNS1_3repE0EEENS1_30default_config_static_selectorELNS0_4arch9wavefront6targetE0EEEvT1_.kd
    .uniform_work_group_size: 1
    .uses_dynamic_stack: false
    .vgpr_count:     0
    .vgpr_spill_count: 0
    .wavefront_size: 32
  - .args:
      - .offset:         0
        .size:           112
        .value_kind:     by_value
    .group_segment_fixed_size: 0
    .kernarg_segment_align: 8
    .kernarg_segment_size: 112
    .language:       OpenCL C
    .language_version:
      - 2
      - 0
    .max_flat_workgroup_size: 256
    .name:           _ZN7rocprim17ROCPRIM_400000_NS6detail17trampoline_kernelINS0_14default_configENS1_27scan_by_key_config_selectorIijEEZZNS1_16scan_by_key_implILNS1_25lookback_scan_determinismE0ELb1ES3_N6thrust23THRUST_200600_302600_NS6detail15normal_iteratorINS9_10device_ptrIiEEEENSB_INSC_IjEEEESG_jNS9_4plusIvEENS9_8equal_toIvEEjEE10hipError_tPvRmT2_T3_T4_T5_mT6_T7_P12ihipStream_tbENKUlT_T0_E_clISt17integral_constantIbLb1EES11_EEDaSW_SX_EUlSW_E_NS1_11comp_targetILNS1_3genE10ELNS1_11target_archE1200ELNS1_3gpuE4ELNS1_3repE0EEENS1_30default_config_static_selectorELNS0_4arch9wavefront6targetE0EEEvT1_
    .private_segment_fixed_size: 0
    .sgpr_count:     0
    .sgpr_spill_count: 0
    .symbol:         _ZN7rocprim17ROCPRIM_400000_NS6detail17trampoline_kernelINS0_14default_configENS1_27scan_by_key_config_selectorIijEEZZNS1_16scan_by_key_implILNS1_25lookback_scan_determinismE0ELb1ES3_N6thrust23THRUST_200600_302600_NS6detail15normal_iteratorINS9_10device_ptrIiEEEENSB_INSC_IjEEEESG_jNS9_4plusIvEENS9_8equal_toIvEEjEE10hipError_tPvRmT2_T3_T4_T5_mT6_T7_P12ihipStream_tbENKUlT_T0_E_clISt17integral_constantIbLb1EES11_EEDaSW_SX_EUlSW_E_NS1_11comp_targetILNS1_3genE10ELNS1_11target_archE1200ELNS1_3gpuE4ELNS1_3repE0EEENS1_30default_config_static_selectorELNS0_4arch9wavefront6targetE0EEEvT1_.kd
    .uniform_work_group_size: 1
    .uses_dynamic_stack: false
    .vgpr_count:     0
    .vgpr_spill_count: 0
    .wavefront_size: 32
  - .args:
      - .offset:         0
        .size:           112
        .value_kind:     by_value
    .group_segment_fixed_size: 0
    .kernarg_segment_align: 8
    .kernarg_segment_size: 112
    .language:       OpenCL C
    .language_version:
      - 2
      - 0
    .max_flat_workgroup_size: 256
    .name:           _ZN7rocprim17ROCPRIM_400000_NS6detail17trampoline_kernelINS0_14default_configENS1_27scan_by_key_config_selectorIijEEZZNS1_16scan_by_key_implILNS1_25lookback_scan_determinismE0ELb1ES3_N6thrust23THRUST_200600_302600_NS6detail15normal_iteratorINS9_10device_ptrIiEEEENSB_INSC_IjEEEESG_jNS9_4plusIvEENS9_8equal_toIvEEjEE10hipError_tPvRmT2_T3_T4_T5_mT6_T7_P12ihipStream_tbENKUlT_T0_E_clISt17integral_constantIbLb1EES11_EEDaSW_SX_EUlSW_E_NS1_11comp_targetILNS1_3genE9ELNS1_11target_archE1100ELNS1_3gpuE3ELNS1_3repE0EEENS1_30default_config_static_selectorELNS0_4arch9wavefront6targetE0EEEvT1_
    .private_segment_fixed_size: 0
    .sgpr_count:     0
    .sgpr_spill_count: 0
    .symbol:         _ZN7rocprim17ROCPRIM_400000_NS6detail17trampoline_kernelINS0_14default_configENS1_27scan_by_key_config_selectorIijEEZZNS1_16scan_by_key_implILNS1_25lookback_scan_determinismE0ELb1ES3_N6thrust23THRUST_200600_302600_NS6detail15normal_iteratorINS9_10device_ptrIiEEEENSB_INSC_IjEEEESG_jNS9_4plusIvEENS9_8equal_toIvEEjEE10hipError_tPvRmT2_T3_T4_T5_mT6_T7_P12ihipStream_tbENKUlT_T0_E_clISt17integral_constantIbLb1EES11_EEDaSW_SX_EUlSW_E_NS1_11comp_targetILNS1_3genE9ELNS1_11target_archE1100ELNS1_3gpuE3ELNS1_3repE0EEENS1_30default_config_static_selectorELNS0_4arch9wavefront6targetE0EEEvT1_.kd
    .uniform_work_group_size: 1
    .uses_dynamic_stack: false
    .vgpr_count:     0
    .vgpr_spill_count: 0
    .wavefront_size: 32
  - .args:
      - .offset:         0
        .size:           112
        .value_kind:     by_value
    .group_segment_fixed_size: 0
    .kernarg_segment_align: 8
    .kernarg_segment_size: 112
    .language:       OpenCL C
    .language_version:
      - 2
      - 0
    .max_flat_workgroup_size: 256
    .name:           _ZN7rocprim17ROCPRIM_400000_NS6detail17trampoline_kernelINS0_14default_configENS1_27scan_by_key_config_selectorIijEEZZNS1_16scan_by_key_implILNS1_25lookback_scan_determinismE0ELb1ES3_N6thrust23THRUST_200600_302600_NS6detail15normal_iteratorINS9_10device_ptrIiEEEENSB_INSC_IjEEEESG_jNS9_4plusIvEENS9_8equal_toIvEEjEE10hipError_tPvRmT2_T3_T4_T5_mT6_T7_P12ihipStream_tbENKUlT_T0_E_clISt17integral_constantIbLb1EES11_EEDaSW_SX_EUlSW_E_NS1_11comp_targetILNS1_3genE8ELNS1_11target_archE1030ELNS1_3gpuE2ELNS1_3repE0EEENS1_30default_config_static_selectorELNS0_4arch9wavefront6targetE0EEEvT1_
    .private_segment_fixed_size: 0
    .sgpr_count:     0
    .sgpr_spill_count: 0
    .symbol:         _ZN7rocprim17ROCPRIM_400000_NS6detail17trampoline_kernelINS0_14default_configENS1_27scan_by_key_config_selectorIijEEZZNS1_16scan_by_key_implILNS1_25lookback_scan_determinismE0ELb1ES3_N6thrust23THRUST_200600_302600_NS6detail15normal_iteratorINS9_10device_ptrIiEEEENSB_INSC_IjEEEESG_jNS9_4plusIvEENS9_8equal_toIvEEjEE10hipError_tPvRmT2_T3_T4_T5_mT6_T7_P12ihipStream_tbENKUlT_T0_E_clISt17integral_constantIbLb1EES11_EEDaSW_SX_EUlSW_E_NS1_11comp_targetILNS1_3genE8ELNS1_11target_archE1030ELNS1_3gpuE2ELNS1_3repE0EEENS1_30default_config_static_selectorELNS0_4arch9wavefront6targetE0EEEvT1_.kd
    .uniform_work_group_size: 1
    .uses_dynamic_stack: false
    .vgpr_count:     0
    .vgpr_spill_count: 0
    .wavefront_size: 32
  - .args:
      - .offset:         0
        .size:           112
        .value_kind:     by_value
    .group_segment_fixed_size: 0
    .kernarg_segment_align: 8
    .kernarg_segment_size: 112
    .language:       OpenCL C
    .language_version:
      - 2
      - 0
    .max_flat_workgroup_size: 256
    .name:           _ZN7rocprim17ROCPRIM_400000_NS6detail17trampoline_kernelINS0_14default_configENS1_27scan_by_key_config_selectorIijEEZZNS1_16scan_by_key_implILNS1_25lookback_scan_determinismE0ELb1ES3_N6thrust23THRUST_200600_302600_NS6detail15normal_iteratorINS9_10device_ptrIiEEEENSB_INSC_IjEEEESG_jNS9_4plusIvEENS9_8equal_toIvEEjEE10hipError_tPvRmT2_T3_T4_T5_mT6_T7_P12ihipStream_tbENKUlT_T0_E_clISt17integral_constantIbLb1EES10_IbLb0EEEEDaSW_SX_EUlSW_E_NS1_11comp_targetILNS1_3genE0ELNS1_11target_archE4294967295ELNS1_3gpuE0ELNS1_3repE0EEENS1_30default_config_static_selectorELNS0_4arch9wavefront6targetE0EEEvT1_
    .private_segment_fixed_size: 0
    .sgpr_count:     0
    .sgpr_spill_count: 0
    .symbol:         _ZN7rocprim17ROCPRIM_400000_NS6detail17trampoline_kernelINS0_14default_configENS1_27scan_by_key_config_selectorIijEEZZNS1_16scan_by_key_implILNS1_25lookback_scan_determinismE0ELb1ES3_N6thrust23THRUST_200600_302600_NS6detail15normal_iteratorINS9_10device_ptrIiEEEENSB_INSC_IjEEEESG_jNS9_4plusIvEENS9_8equal_toIvEEjEE10hipError_tPvRmT2_T3_T4_T5_mT6_T7_P12ihipStream_tbENKUlT_T0_E_clISt17integral_constantIbLb1EES10_IbLb0EEEEDaSW_SX_EUlSW_E_NS1_11comp_targetILNS1_3genE0ELNS1_11target_archE4294967295ELNS1_3gpuE0ELNS1_3repE0EEENS1_30default_config_static_selectorELNS0_4arch9wavefront6targetE0EEEvT1_.kd
    .uniform_work_group_size: 1
    .uses_dynamic_stack: false
    .vgpr_count:     0
    .vgpr_spill_count: 0
    .wavefront_size: 32
  - .args:
      - .offset:         0
        .size:           112
        .value_kind:     by_value
    .group_segment_fixed_size: 0
    .kernarg_segment_align: 8
    .kernarg_segment_size: 112
    .language:       OpenCL C
    .language_version:
      - 2
      - 0
    .max_flat_workgroup_size: 256
    .name:           _ZN7rocprim17ROCPRIM_400000_NS6detail17trampoline_kernelINS0_14default_configENS1_27scan_by_key_config_selectorIijEEZZNS1_16scan_by_key_implILNS1_25lookback_scan_determinismE0ELb1ES3_N6thrust23THRUST_200600_302600_NS6detail15normal_iteratorINS9_10device_ptrIiEEEENSB_INSC_IjEEEESG_jNS9_4plusIvEENS9_8equal_toIvEEjEE10hipError_tPvRmT2_T3_T4_T5_mT6_T7_P12ihipStream_tbENKUlT_T0_E_clISt17integral_constantIbLb1EES10_IbLb0EEEEDaSW_SX_EUlSW_E_NS1_11comp_targetILNS1_3genE10ELNS1_11target_archE1201ELNS1_3gpuE5ELNS1_3repE0EEENS1_30default_config_static_selectorELNS0_4arch9wavefront6targetE0EEEvT1_
    .private_segment_fixed_size: 0
    .sgpr_count:     0
    .sgpr_spill_count: 0
    .symbol:         _ZN7rocprim17ROCPRIM_400000_NS6detail17trampoline_kernelINS0_14default_configENS1_27scan_by_key_config_selectorIijEEZZNS1_16scan_by_key_implILNS1_25lookback_scan_determinismE0ELb1ES3_N6thrust23THRUST_200600_302600_NS6detail15normal_iteratorINS9_10device_ptrIiEEEENSB_INSC_IjEEEESG_jNS9_4plusIvEENS9_8equal_toIvEEjEE10hipError_tPvRmT2_T3_T4_T5_mT6_T7_P12ihipStream_tbENKUlT_T0_E_clISt17integral_constantIbLb1EES10_IbLb0EEEEDaSW_SX_EUlSW_E_NS1_11comp_targetILNS1_3genE10ELNS1_11target_archE1201ELNS1_3gpuE5ELNS1_3repE0EEENS1_30default_config_static_selectorELNS0_4arch9wavefront6targetE0EEEvT1_.kd
    .uniform_work_group_size: 1
    .uses_dynamic_stack: false
    .vgpr_count:     0
    .vgpr_spill_count: 0
    .wavefront_size: 32
  - .args:
      - .offset:         0
        .size:           112
        .value_kind:     by_value
    .group_segment_fixed_size: 0
    .kernarg_segment_align: 8
    .kernarg_segment_size: 112
    .language:       OpenCL C
    .language_version:
      - 2
      - 0
    .max_flat_workgroup_size: 256
    .name:           _ZN7rocprim17ROCPRIM_400000_NS6detail17trampoline_kernelINS0_14default_configENS1_27scan_by_key_config_selectorIijEEZZNS1_16scan_by_key_implILNS1_25lookback_scan_determinismE0ELb1ES3_N6thrust23THRUST_200600_302600_NS6detail15normal_iteratorINS9_10device_ptrIiEEEENSB_INSC_IjEEEESG_jNS9_4plusIvEENS9_8equal_toIvEEjEE10hipError_tPvRmT2_T3_T4_T5_mT6_T7_P12ihipStream_tbENKUlT_T0_E_clISt17integral_constantIbLb1EES10_IbLb0EEEEDaSW_SX_EUlSW_E_NS1_11comp_targetILNS1_3genE5ELNS1_11target_archE942ELNS1_3gpuE9ELNS1_3repE0EEENS1_30default_config_static_selectorELNS0_4arch9wavefront6targetE0EEEvT1_
    .private_segment_fixed_size: 0
    .sgpr_count:     0
    .sgpr_spill_count: 0
    .symbol:         _ZN7rocprim17ROCPRIM_400000_NS6detail17trampoline_kernelINS0_14default_configENS1_27scan_by_key_config_selectorIijEEZZNS1_16scan_by_key_implILNS1_25lookback_scan_determinismE0ELb1ES3_N6thrust23THRUST_200600_302600_NS6detail15normal_iteratorINS9_10device_ptrIiEEEENSB_INSC_IjEEEESG_jNS9_4plusIvEENS9_8equal_toIvEEjEE10hipError_tPvRmT2_T3_T4_T5_mT6_T7_P12ihipStream_tbENKUlT_T0_E_clISt17integral_constantIbLb1EES10_IbLb0EEEEDaSW_SX_EUlSW_E_NS1_11comp_targetILNS1_3genE5ELNS1_11target_archE942ELNS1_3gpuE9ELNS1_3repE0EEENS1_30default_config_static_selectorELNS0_4arch9wavefront6targetE0EEEvT1_.kd
    .uniform_work_group_size: 1
    .uses_dynamic_stack: false
    .vgpr_count:     0
    .vgpr_spill_count: 0
    .wavefront_size: 32
  - .args:
      - .offset:         0
        .size:           112
        .value_kind:     by_value
    .group_segment_fixed_size: 0
    .kernarg_segment_align: 8
    .kernarg_segment_size: 112
    .language:       OpenCL C
    .language_version:
      - 2
      - 0
    .max_flat_workgroup_size: 256
    .name:           _ZN7rocprim17ROCPRIM_400000_NS6detail17trampoline_kernelINS0_14default_configENS1_27scan_by_key_config_selectorIijEEZZNS1_16scan_by_key_implILNS1_25lookback_scan_determinismE0ELb1ES3_N6thrust23THRUST_200600_302600_NS6detail15normal_iteratorINS9_10device_ptrIiEEEENSB_INSC_IjEEEESG_jNS9_4plusIvEENS9_8equal_toIvEEjEE10hipError_tPvRmT2_T3_T4_T5_mT6_T7_P12ihipStream_tbENKUlT_T0_E_clISt17integral_constantIbLb1EES10_IbLb0EEEEDaSW_SX_EUlSW_E_NS1_11comp_targetILNS1_3genE4ELNS1_11target_archE910ELNS1_3gpuE8ELNS1_3repE0EEENS1_30default_config_static_selectorELNS0_4arch9wavefront6targetE0EEEvT1_
    .private_segment_fixed_size: 0
    .sgpr_count:     0
    .sgpr_spill_count: 0
    .symbol:         _ZN7rocprim17ROCPRIM_400000_NS6detail17trampoline_kernelINS0_14default_configENS1_27scan_by_key_config_selectorIijEEZZNS1_16scan_by_key_implILNS1_25lookback_scan_determinismE0ELb1ES3_N6thrust23THRUST_200600_302600_NS6detail15normal_iteratorINS9_10device_ptrIiEEEENSB_INSC_IjEEEESG_jNS9_4plusIvEENS9_8equal_toIvEEjEE10hipError_tPvRmT2_T3_T4_T5_mT6_T7_P12ihipStream_tbENKUlT_T0_E_clISt17integral_constantIbLb1EES10_IbLb0EEEEDaSW_SX_EUlSW_E_NS1_11comp_targetILNS1_3genE4ELNS1_11target_archE910ELNS1_3gpuE8ELNS1_3repE0EEENS1_30default_config_static_selectorELNS0_4arch9wavefront6targetE0EEEvT1_.kd
    .uniform_work_group_size: 1
    .uses_dynamic_stack: false
    .vgpr_count:     0
    .vgpr_spill_count: 0
    .wavefront_size: 32
  - .args:
      - .offset:         0
        .size:           112
        .value_kind:     by_value
    .group_segment_fixed_size: 0
    .kernarg_segment_align: 8
    .kernarg_segment_size: 112
    .language:       OpenCL C
    .language_version:
      - 2
      - 0
    .max_flat_workgroup_size: 256
    .name:           _ZN7rocprim17ROCPRIM_400000_NS6detail17trampoline_kernelINS0_14default_configENS1_27scan_by_key_config_selectorIijEEZZNS1_16scan_by_key_implILNS1_25lookback_scan_determinismE0ELb1ES3_N6thrust23THRUST_200600_302600_NS6detail15normal_iteratorINS9_10device_ptrIiEEEENSB_INSC_IjEEEESG_jNS9_4plusIvEENS9_8equal_toIvEEjEE10hipError_tPvRmT2_T3_T4_T5_mT6_T7_P12ihipStream_tbENKUlT_T0_E_clISt17integral_constantIbLb1EES10_IbLb0EEEEDaSW_SX_EUlSW_E_NS1_11comp_targetILNS1_3genE3ELNS1_11target_archE908ELNS1_3gpuE7ELNS1_3repE0EEENS1_30default_config_static_selectorELNS0_4arch9wavefront6targetE0EEEvT1_
    .private_segment_fixed_size: 0
    .sgpr_count:     0
    .sgpr_spill_count: 0
    .symbol:         _ZN7rocprim17ROCPRIM_400000_NS6detail17trampoline_kernelINS0_14default_configENS1_27scan_by_key_config_selectorIijEEZZNS1_16scan_by_key_implILNS1_25lookback_scan_determinismE0ELb1ES3_N6thrust23THRUST_200600_302600_NS6detail15normal_iteratorINS9_10device_ptrIiEEEENSB_INSC_IjEEEESG_jNS9_4plusIvEENS9_8equal_toIvEEjEE10hipError_tPvRmT2_T3_T4_T5_mT6_T7_P12ihipStream_tbENKUlT_T0_E_clISt17integral_constantIbLb1EES10_IbLb0EEEEDaSW_SX_EUlSW_E_NS1_11comp_targetILNS1_3genE3ELNS1_11target_archE908ELNS1_3gpuE7ELNS1_3repE0EEENS1_30default_config_static_selectorELNS0_4arch9wavefront6targetE0EEEvT1_.kd
    .uniform_work_group_size: 1
    .uses_dynamic_stack: false
    .vgpr_count:     0
    .vgpr_spill_count: 0
    .wavefront_size: 32
  - .args:
      - .offset:         0
        .size:           112
        .value_kind:     by_value
    .group_segment_fixed_size: 0
    .kernarg_segment_align: 8
    .kernarg_segment_size: 112
    .language:       OpenCL C
    .language_version:
      - 2
      - 0
    .max_flat_workgroup_size: 256
    .name:           _ZN7rocprim17ROCPRIM_400000_NS6detail17trampoline_kernelINS0_14default_configENS1_27scan_by_key_config_selectorIijEEZZNS1_16scan_by_key_implILNS1_25lookback_scan_determinismE0ELb1ES3_N6thrust23THRUST_200600_302600_NS6detail15normal_iteratorINS9_10device_ptrIiEEEENSB_INSC_IjEEEESG_jNS9_4plusIvEENS9_8equal_toIvEEjEE10hipError_tPvRmT2_T3_T4_T5_mT6_T7_P12ihipStream_tbENKUlT_T0_E_clISt17integral_constantIbLb1EES10_IbLb0EEEEDaSW_SX_EUlSW_E_NS1_11comp_targetILNS1_3genE2ELNS1_11target_archE906ELNS1_3gpuE6ELNS1_3repE0EEENS1_30default_config_static_selectorELNS0_4arch9wavefront6targetE0EEEvT1_
    .private_segment_fixed_size: 0
    .sgpr_count:     0
    .sgpr_spill_count: 0
    .symbol:         _ZN7rocprim17ROCPRIM_400000_NS6detail17trampoline_kernelINS0_14default_configENS1_27scan_by_key_config_selectorIijEEZZNS1_16scan_by_key_implILNS1_25lookback_scan_determinismE0ELb1ES3_N6thrust23THRUST_200600_302600_NS6detail15normal_iteratorINS9_10device_ptrIiEEEENSB_INSC_IjEEEESG_jNS9_4plusIvEENS9_8equal_toIvEEjEE10hipError_tPvRmT2_T3_T4_T5_mT6_T7_P12ihipStream_tbENKUlT_T0_E_clISt17integral_constantIbLb1EES10_IbLb0EEEEDaSW_SX_EUlSW_E_NS1_11comp_targetILNS1_3genE2ELNS1_11target_archE906ELNS1_3gpuE6ELNS1_3repE0EEENS1_30default_config_static_selectorELNS0_4arch9wavefront6targetE0EEEvT1_.kd
    .uniform_work_group_size: 1
    .uses_dynamic_stack: false
    .vgpr_count:     0
    .vgpr_spill_count: 0
    .wavefront_size: 32
  - .args:
      - .offset:         0
        .size:           112
        .value_kind:     by_value
    .group_segment_fixed_size: 0
    .kernarg_segment_align: 8
    .kernarg_segment_size: 112
    .language:       OpenCL C
    .language_version:
      - 2
      - 0
    .max_flat_workgroup_size: 256
    .name:           _ZN7rocprim17ROCPRIM_400000_NS6detail17trampoline_kernelINS0_14default_configENS1_27scan_by_key_config_selectorIijEEZZNS1_16scan_by_key_implILNS1_25lookback_scan_determinismE0ELb1ES3_N6thrust23THRUST_200600_302600_NS6detail15normal_iteratorINS9_10device_ptrIiEEEENSB_INSC_IjEEEESG_jNS9_4plusIvEENS9_8equal_toIvEEjEE10hipError_tPvRmT2_T3_T4_T5_mT6_T7_P12ihipStream_tbENKUlT_T0_E_clISt17integral_constantIbLb1EES10_IbLb0EEEEDaSW_SX_EUlSW_E_NS1_11comp_targetILNS1_3genE10ELNS1_11target_archE1200ELNS1_3gpuE4ELNS1_3repE0EEENS1_30default_config_static_selectorELNS0_4arch9wavefront6targetE0EEEvT1_
    .private_segment_fixed_size: 0
    .sgpr_count:     0
    .sgpr_spill_count: 0
    .symbol:         _ZN7rocprim17ROCPRIM_400000_NS6detail17trampoline_kernelINS0_14default_configENS1_27scan_by_key_config_selectorIijEEZZNS1_16scan_by_key_implILNS1_25lookback_scan_determinismE0ELb1ES3_N6thrust23THRUST_200600_302600_NS6detail15normal_iteratorINS9_10device_ptrIiEEEENSB_INSC_IjEEEESG_jNS9_4plusIvEENS9_8equal_toIvEEjEE10hipError_tPvRmT2_T3_T4_T5_mT6_T7_P12ihipStream_tbENKUlT_T0_E_clISt17integral_constantIbLb1EES10_IbLb0EEEEDaSW_SX_EUlSW_E_NS1_11comp_targetILNS1_3genE10ELNS1_11target_archE1200ELNS1_3gpuE4ELNS1_3repE0EEENS1_30default_config_static_selectorELNS0_4arch9wavefront6targetE0EEEvT1_.kd
    .uniform_work_group_size: 1
    .uses_dynamic_stack: false
    .vgpr_count:     0
    .vgpr_spill_count: 0
    .wavefront_size: 32
  - .args:
      - .offset:         0
        .size:           112
        .value_kind:     by_value
    .group_segment_fixed_size: 0
    .kernarg_segment_align: 8
    .kernarg_segment_size: 112
    .language:       OpenCL C
    .language_version:
      - 2
      - 0
    .max_flat_workgroup_size: 256
    .name:           _ZN7rocprim17ROCPRIM_400000_NS6detail17trampoline_kernelINS0_14default_configENS1_27scan_by_key_config_selectorIijEEZZNS1_16scan_by_key_implILNS1_25lookback_scan_determinismE0ELb1ES3_N6thrust23THRUST_200600_302600_NS6detail15normal_iteratorINS9_10device_ptrIiEEEENSB_INSC_IjEEEESG_jNS9_4plusIvEENS9_8equal_toIvEEjEE10hipError_tPvRmT2_T3_T4_T5_mT6_T7_P12ihipStream_tbENKUlT_T0_E_clISt17integral_constantIbLb1EES10_IbLb0EEEEDaSW_SX_EUlSW_E_NS1_11comp_targetILNS1_3genE9ELNS1_11target_archE1100ELNS1_3gpuE3ELNS1_3repE0EEENS1_30default_config_static_selectorELNS0_4arch9wavefront6targetE0EEEvT1_
    .private_segment_fixed_size: 0
    .sgpr_count:     0
    .sgpr_spill_count: 0
    .symbol:         _ZN7rocprim17ROCPRIM_400000_NS6detail17trampoline_kernelINS0_14default_configENS1_27scan_by_key_config_selectorIijEEZZNS1_16scan_by_key_implILNS1_25lookback_scan_determinismE0ELb1ES3_N6thrust23THRUST_200600_302600_NS6detail15normal_iteratorINS9_10device_ptrIiEEEENSB_INSC_IjEEEESG_jNS9_4plusIvEENS9_8equal_toIvEEjEE10hipError_tPvRmT2_T3_T4_T5_mT6_T7_P12ihipStream_tbENKUlT_T0_E_clISt17integral_constantIbLb1EES10_IbLb0EEEEDaSW_SX_EUlSW_E_NS1_11comp_targetILNS1_3genE9ELNS1_11target_archE1100ELNS1_3gpuE3ELNS1_3repE0EEENS1_30default_config_static_selectorELNS0_4arch9wavefront6targetE0EEEvT1_.kd
    .uniform_work_group_size: 1
    .uses_dynamic_stack: false
    .vgpr_count:     0
    .vgpr_spill_count: 0
    .wavefront_size: 32
  - .args:
      - .offset:         0
        .size:           112
        .value_kind:     by_value
    .group_segment_fixed_size: 0
    .kernarg_segment_align: 8
    .kernarg_segment_size: 112
    .language:       OpenCL C
    .language_version:
      - 2
      - 0
    .max_flat_workgroup_size: 256
    .name:           _ZN7rocprim17ROCPRIM_400000_NS6detail17trampoline_kernelINS0_14default_configENS1_27scan_by_key_config_selectorIijEEZZNS1_16scan_by_key_implILNS1_25lookback_scan_determinismE0ELb1ES3_N6thrust23THRUST_200600_302600_NS6detail15normal_iteratorINS9_10device_ptrIiEEEENSB_INSC_IjEEEESG_jNS9_4plusIvEENS9_8equal_toIvEEjEE10hipError_tPvRmT2_T3_T4_T5_mT6_T7_P12ihipStream_tbENKUlT_T0_E_clISt17integral_constantIbLb1EES10_IbLb0EEEEDaSW_SX_EUlSW_E_NS1_11comp_targetILNS1_3genE8ELNS1_11target_archE1030ELNS1_3gpuE2ELNS1_3repE0EEENS1_30default_config_static_selectorELNS0_4arch9wavefront6targetE0EEEvT1_
    .private_segment_fixed_size: 0
    .sgpr_count:     0
    .sgpr_spill_count: 0
    .symbol:         _ZN7rocprim17ROCPRIM_400000_NS6detail17trampoline_kernelINS0_14default_configENS1_27scan_by_key_config_selectorIijEEZZNS1_16scan_by_key_implILNS1_25lookback_scan_determinismE0ELb1ES3_N6thrust23THRUST_200600_302600_NS6detail15normal_iteratorINS9_10device_ptrIiEEEENSB_INSC_IjEEEESG_jNS9_4plusIvEENS9_8equal_toIvEEjEE10hipError_tPvRmT2_T3_T4_T5_mT6_T7_P12ihipStream_tbENKUlT_T0_E_clISt17integral_constantIbLb1EES10_IbLb0EEEEDaSW_SX_EUlSW_E_NS1_11comp_targetILNS1_3genE8ELNS1_11target_archE1030ELNS1_3gpuE2ELNS1_3repE0EEENS1_30default_config_static_selectorELNS0_4arch9wavefront6targetE0EEEvT1_.kd
    .uniform_work_group_size: 1
    .uses_dynamic_stack: false
    .vgpr_count:     0
    .vgpr_spill_count: 0
    .wavefront_size: 32
  - .args:
      - .offset:         0
        .size:           112
        .value_kind:     by_value
    .group_segment_fixed_size: 14336
    .kernarg_segment_align: 8
    .kernarg_segment_size: 112
    .language:       OpenCL C
    .language_version:
      - 2
      - 0
    .max_flat_workgroup_size: 256
    .name:           _ZN7rocprim17ROCPRIM_400000_NS6detail17trampoline_kernelINS0_14default_configENS1_27scan_by_key_config_selectorIijEEZZNS1_16scan_by_key_implILNS1_25lookback_scan_determinismE0ELb1ES3_N6thrust23THRUST_200600_302600_NS6detail15normal_iteratorINS9_10device_ptrIiEEEENSB_INSC_IjEEEESG_jNS9_4plusIvEENS9_8equal_toIvEEjEE10hipError_tPvRmT2_T3_T4_T5_mT6_T7_P12ihipStream_tbENKUlT_T0_E_clISt17integral_constantIbLb0EES10_IbLb1EEEEDaSW_SX_EUlSW_E_NS1_11comp_targetILNS1_3genE0ELNS1_11target_archE4294967295ELNS1_3gpuE0ELNS1_3repE0EEENS1_30default_config_static_selectorELNS0_4arch9wavefront6targetE0EEEvT1_
    .private_segment_fixed_size: 0
    .sgpr_count:     41
    .sgpr_spill_count: 0
    .symbol:         _ZN7rocprim17ROCPRIM_400000_NS6detail17trampoline_kernelINS0_14default_configENS1_27scan_by_key_config_selectorIijEEZZNS1_16scan_by_key_implILNS1_25lookback_scan_determinismE0ELb1ES3_N6thrust23THRUST_200600_302600_NS6detail15normal_iteratorINS9_10device_ptrIiEEEENSB_INSC_IjEEEESG_jNS9_4plusIvEENS9_8equal_toIvEEjEE10hipError_tPvRmT2_T3_T4_T5_mT6_T7_P12ihipStream_tbENKUlT_T0_E_clISt17integral_constantIbLb0EES10_IbLb1EEEEDaSW_SX_EUlSW_E_NS1_11comp_targetILNS1_3genE0ELNS1_11target_archE4294967295ELNS1_3gpuE0ELNS1_3repE0EEENS1_30default_config_static_selectorELNS0_4arch9wavefront6targetE0EEEvT1_.kd
    .uniform_work_group_size: 1
    .uses_dynamic_stack: false
    .vgpr_count:     62
    .vgpr_spill_count: 0
    .wavefront_size: 32
  - .args:
      - .offset:         0
        .size:           112
        .value_kind:     by_value
    .group_segment_fixed_size: 0
    .kernarg_segment_align: 8
    .kernarg_segment_size: 112
    .language:       OpenCL C
    .language_version:
      - 2
      - 0
    .max_flat_workgroup_size: 256
    .name:           _ZN7rocprim17ROCPRIM_400000_NS6detail17trampoline_kernelINS0_14default_configENS1_27scan_by_key_config_selectorIijEEZZNS1_16scan_by_key_implILNS1_25lookback_scan_determinismE0ELb1ES3_N6thrust23THRUST_200600_302600_NS6detail15normal_iteratorINS9_10device_ptrIiEEEENSB_INSC_IjEEEESG_jNS9_4plusIvEENS9_8equal_toIvEEjEE10hipError_tPvRmT2_T3_T4_T5_mT6_T7_P12ihipStream_tbENKUlT_T0_E_clISt17integral_constantIbLb0EES10_IbLb1EEEEDaSW_SX_EUlSW_E_NS1_11comp_targetILNS1_3genE10ELNS1_11target_archE1201ELNS1_3gpuE5ELNS1_3repE0EEENS1_30default_config_static_selectorELNS0_4arch9wavefront6targetE0EEEvT1_
    .private_segment_fixed_size: 0
    .sgpr_count:     0
    .sgpr_spill_count: 0
    .symbol:         _ZN7rocprim17ROCPRIM_400000_NS6detail17trampoline_kernelINS0_14default_configENS1_27scan_by_key_config_selectorIijEEZZNS1_16scan_by_key_implILNS1_25lookback_scan_determinismE0ELb1ES3_N6thrust23THRUST_200600_302600_NS6detail15normal_iteratorINS9_10device_ptrIiEEEENSB_INSC_IjEEEESG_jNS9_4plusIvEENS9_8equal_toIvEEjEE10hipError_tPvRmT2_T3_T4_T5_mT6_T7_P12ihipStream_tbENKUlT_T0_E_clISt17integral_constantIbLb0EES10_IbLb1EEEEDaSW_SX_EUlSW_E_NS1_11comp_targetILNS1_3genE10ELNS1_11target_archE1201ELNS1_3gpuE5ELNS1_3repE0EEENS1_30default_config_static_selectorELNS0_4arch9wavefront6targetE0EEEvT1_.kd
    .uniform_work_group_size: 1
    .uses_dynamic_stack: false
    .vgpr_count:     0
    .vgpr_spill_count: 0
    .wavefront_size: 32
  - .args:
      - .offset:         0
        .size:           112
        .value_kind:     by_value
    .group_segment_fixed_size: 0
    .kernarg_segment_align: 8
    .kernarg_segment_size: 112
    .language:       OpenCL C
    .language_version:
      - 2
      - 0
    .max_flat_workgroup_size: 256
    .name:           _ZN7rocprim17ROCPRIM_400000_NS6detail17trampoline_kernelINS0_14default_configENS1_27scan_by_key_config_selectorIijEEZZNS1_16scan_by_key_implILNS1_25lookback_scan_determinismE0ELb1ES3_N6thrust23THRUST_200600_302600_NS6detail15normal_iteratorINS9_10device_ptrIiEEEENSB_INSC_IjEEEESG_jNS9_4plusIvEENS9_8equal_toIvEEjEE10hipError_tPvRmT2_T3_T4_T5_mT6_T7_P12ihipStream_tbENKUlT_T0_E_clISt17integral_constantIbLb0EES10_IbLb1EEEEDaSW_SX_EUlSW_E_NS1_11comp_targetILNS1_3genE5ELNS1_11target_archE942ELNS1_3gpuE9ELNS1_3repE0EEENS1_30default_config_static_selectorELNS0_4arch9wavefront6targetE0EEEvT1_
    .private_segment_fixed_size: 0
    .sgpr_count:     0
    .sgpr_spill_count: 0
    .symbol:         _ZN7rocprim17ROCPRIM_400000_NS6detail17trampoline_kernelINS0_14default_configENS1_27scan_by_key_config_selectorIijEEZZNS1_16scan_by_key_implILNS1_25lookback_scan_determinismE0ELb1ES3_N6thrust23THRUST_200600_302600_NS6detail15normal_iteratorINS9_10device_ptrIiEEEENSB_INSC_IjEEEESG_jNS9_4plusIvEENS9_8equal_toIvEEjEE10hipError_tPvRmT2_T3_T4_T5_mT6_T7_P12ihipStream_tbENKUlT_T0_E_clISt17integral_constantIbLb0EES10_IbLb1EEEEDaSW_SX_EUlSW_E_NS1_11comp_targetILNS1_3genE5ELNS1_11target_archE942ELNS1_3gpuE9ELNS1_3repE0EEENS1_30default_config_static_selectorELNS0_4arch9wavefront6targetE0EEEvT1_.kd
    .uniform_work_group_size: 1
    .uses_dynamic_stack: false
    .vgpr_count:     0
    .vgpr_spill_count: 0
    .wavefront_size: 32
  - .args:
      - .offset:         0
        .size:           112
        .value_kind:     by_value
    .group_segment_fixed_size: 0
    .kernarg_segment_align: 8
    .kernarg_segment_size: 112
    .language:       OpenCL C
    .language_version:
      - 2
      - 0
    .max_flat_workgroup_size: 256
    .name:           _ZN7rocprim17ROCPRIM_400000_NS6detail17trampoline_kernelINS0_14default_configENS1_27scan_by_key_config_selectorIijEEZZNS1_16scan_by_key_implILNS1_25lookback_scan_determinismE0ELb1ES3_N6thrust23THRUST_200600_302600_NS6detail15normal_iteratorINS9_10device_ptrIiEEEENSB_INSC_IjEEEESG_jNS9_4plusIvEENS9_8equal_toIvEEjEE10hipError_tPvRmT2_T3_T4_T5_mT6_T7_P12ihipStream_tbENKUlT_T0_E_clISt17integral_constantIbLb0EES10_IbLb1EEEEDaSW_SX_EUlSW_E_NS1_11comp_targetILNS1_3genE4ELNS1_11target_archE910ELNS1_3gpuE8ELNS1_3repE0EEENS1_30default_config_static_selectorELNS0_4arch9wavefront6targetE0EEEvT1_
    .private_segment_fixed_size: 0
    .sgpr_count:     0
    .sgpr_spill_count: 0
    .symbol:         _ZN7rocprim17ROCPRIM_400000_NS6detail17trampoline_kernelINS0_14default_configENS1_27scan_by_key_config_selectorIijEEZZNS1_16scan_by_key_implILNS1_25lookback_scan_determinismE0ELb1ES3_N6thrust23THRUST_200600_302600_NS6detail15normal_iteratorINS9_10device_ptrIiEEEENSB_INSC_IjEEEESG_jNS9_4plusIvEENS9_8equal_toIvEEjEE10hipError_tPvRmT2_T3_T4_T5_mT6_T7_P12ihipStream_tbENKUlT_T0_E_clISt17integral_constantIbLb0EES10_IbLb1EEEEDaSW_SX_EUlSW_E_NS1_11comp_targetILNS1_3genE4ELNS1_11target_archE910ELNS1_3gpuE8ELNS1_3repE0EEENS1_30default_config_static_selectorELNS0_4arch9wavefront6targetE0EEEvT1_.kd
    .uniform_work_group_size: 1
    .uses_dynamic_stack: false
    .vgpr_count:     0
    .vgpr_spill_count: 0
    .wavefront_size: 32
  - .args:
      - .offset:         0
        .size:           112
        .value_kind:     by_value
    .group_segment_fixed_size: 0
    .kernarg_segment_align: 8
    .kernarg_segment_size: 112
    .language:       OpenCL C
    .language_version:
      - 2
      - 0
    .max_flat_workgroup_size: 256
    .name:           _ZN7rocprim17ROCPRIM_400000_NS6detail17trampoline_kernelINS0_14default_configENS1_27scan_by_key_config_selectorIijEEZZNS1_16scan_by_key_implILNS1_25lookback_scan_determinismE0ELb1ES3_N6thrust23THRUST_200600_302600_NS6detail15normal_iteratorINS9_10device_ptrIiEEEENSB_INSC_IjEEEESG_jNS9_4plusIvEENS9_8equal_toIvEEjEE10hipError_tPvRmT2_T3_T4_T5_mT6_T7_P12ihipStream_tbENKUlT_T0_E_clISt17integral_constantIbLb0EES10_IbLb1EEEEDaSW_SX_EUlSW_E_NS1_11comp_targetILNS1_3genE3ELNS1_11target_archE908ELNS1_3gpuE7ELNS1_3repE0EEENS1_30default_config_static_selectorELNS0_4arch9wavefront6targetE0EEEvT1_
    .private_segment_fixed_size: 0
    .sgpr_count:     0
    .sgpr_spill_count: 0
    .symbol:         _ZN7rocprim17ROCPRIM_400000_NS6detail17trampoline_kernelINS0_14default_configENS1_27scan_by_key_config_selectorIijEEZZNS1_16scan_by_key_implILNS1_25lookback_scan_determinismE0ELb1ES3_N6thrust23THRUST_200600_302600_NS6detail15normal_iteratorINS9_10device_ptrIiEEEENSB_INSC_IjEEEESG_jNS9_4plusIvEENS9_8equal_toIvEEjEE10hipError_tPvRmT2_T3_T4_T5_mT6_T7_P12ihipStream_tbENKUlT_T0_E_clISt17integral_constantIbLb0EES10_IbLb1EEEEDaSW_SX_EUlSW_E_NS1_11comp_targetILNS1_3genE3ELNS1_11target_archE908ELNS1_3gpuE7ELNS1_3repE0EEENS1_30default_config_static_selectorELNS0_4arch9wavefront6targetE0EEEvT1_.kd
    .uniform_work_group_size: 1
    .uses_dynamic_stack: false
    .vgpr_count:     0
    .vgpr_spill_count: 0
    .wavefront_size: 32
  - .args:
      - .offset:         0
        .size:           112
        .value_kind:     by_value
    .group_segment_fixed_size: 0
    .kernarg_segment_align: 8
    .kernarg_segment_size: 112
    .language:       OpenCL C
    .language_version:
      - 2
      - 0
    .max_flat_workgroup_size: 256
    .name:           _ZN7rocprim17ROCPRIM_400000_NS6detail17trampoline_kernelINS0_14default_configENS1_27scan_by_key_config_selectorIijEEZZNS1_16scan_by_key_implILNS1_25lookback_scan_determinismE0ELb1ES3_N6thrust23THRUST_200600_302600_NS6detail15normal_iteratorINS9_10device_ptrIiEEEENSB_INSC_IjEEEESG_jNS9_4plusIvEENS9_8equal_toIvEEjEE10hipError_tPvRmT2_T3_T4_T5_mT6_T7_P12ihipStream_tbENKUlT_T0_E_clISt17integral_constantIbLb0EES10_IbLb1EEEEDaSW_SX_EUlSW_E_NS1_11comp_targetILNS1_3genE2ELNS1_11target_archE906ELNS1_3gpuE6ELNS1_3repE0EEENS1_30default_config_static_selectorELNS0_4arch9wavefront6targetE0EEEvT1_
    .private_segment_fixed_size: 0
    .sgpr_count:     0
    .sgpr_spill_count: 0
    .symbol:         _ZN7rocprim17ROCPRIM_400000_NS6detail17trampoline_kernelINS0_14default_configENS1_27scan_by_key_config_selectorIijEEZZNS1_16scan_by_key_implILNS1_25lookback_scan_determinismE0ELb1ES3_N6thrust23THRUST_200600_302600_NS6detail15normal_iteratorINS9_10device_ptrIiEEEENSB_INSC_IjEEEESG_jNS9_4plusIvEENS9_8equal_toIvEEjEE10hipError_tPvRmT2_T3_T4_T5_mT6_T7_P12ihipStream_tbENKUlT_T0_E_clISt17integral_constantIbLb0EES10_IbLb1EEEEDaSW_SX_EUlSW_E_NS1_11comp_targetILNS1_3genE2ELNS1_11target_archE906ELNS1_3gpuE6ELNS1_3repE0EEENS1_30default_config_static_selectorELNS0_4arch9wavefront6targetE0EEEvT1_.kd
    .uniform_work_group_size: 1
    .uses_dynamic_stack: false
    .vgpr_count:     0
    .vgpr_spill_count: 0
    .wavefront_size: 32
  - .args:
      - .offset:         0
        .size:           112
        .value_kind:     by_value
    .group_segment_fixed_size: 0
    .kernarg_segment_align: 8
    .kernarg_segment_size: 112
    .language:       OpenCL C
    .language_version:
      - 2
      - 0
    .max_flat_workgroup_size: 256
    .name:           _ZN7rocprim17ROCPRIM_400000_NS6detail17trampoline_kernelINS0_14default_configENS1_27scan_by_key_config_selectorIijEEZZNS1_16scan_by_key_implILNS1_25lookback_scan_determinismE0ELb1ES3_N6thrust23THRUST_200600_302600_NS6detail15normal_iteratorINS9_10device_ptrIiEEEENSB_INSC_IjEEEESG_jNS9_4plusIvEENS9_8equal_toIvEEjEE10hipError_tPvRmT2_T3_T4_T5_mT6_T7_P12ihipStream_tbENKUlT_T0_E_clISt17integral_constantIbLb0EES10_IbLb1EEEEDaSW_SX_EUlSW_E_NS1_11comp_targetILNS1_3genE10ELNS1_11target_archE1200ELNS1_3gpuE4ELNS1_3repE0EEENS1_30default_config_static_selectorELNS0_4arch9wavefront6targetE0EEEvT1_
    .private_segment_fixed_size: 0
    .sgpr_count:     0
    .sgpr_spill_count: 0
    .symbol:         _ZN7rocprim17ROCPRIM_400000_NS6detail17trampoline_kernelINS0_14default_configENS1_27scan_by_key_config_selectorIijEEZZNS1_16scan_by_key_implILNS1_25lookback_scan_determinismE0ELb1ES3_N6thrust23THRUST_200600_302600_NS6detail15normal_iteratorINS9_10device_ptrIiEEEENSB_INSC_IjEEEESG_jNS9_4plusIvEENS9_8equal_toIvEEjEE10hipError_tPvRmT2_T3_T4_T5_mT6_T7_P12ihipStream_tbENKUlT_T0_E_clISt17integral_constantIbLb0EES10_IbLb1EEEEDaSW_SX_EUlSW_E_NS1_11comp_targetILNS1_3genE10ELNS1_11target_archE1200ELNS1_3gpuE4ELNS1_3repE0EEENS1_30default_config_static_selectorELNS0_4arch9wavefront6targetE0EEEvT1_.kd
    .uniform_work_group_size: 1
    .uses_dynamic_stack: false
    .vgpr_count:     0
    .vgpr_spill_count: 0
    .wavefront_size: 32
  - .args:
      - .offset:         0
        .size:           112
        .value_kind:     by_value
    .group_segment_fixed_size: 0
    .kernarg_segment_align: 8
    .kernarg_segment_size: 112
    .language:       OpenCL C
    .language_version:
      - 2
      - 0
    .max_flat_workgroup_size: 256
    .name:           _ZN7rocprim17ROCPRIM_400000_NS6detail17trampoline_kernelINS0_14default_configENS1_27scan_by_key_config_selectorIijEEZZNS1_16scan_by_key_implILNS1_25lookback_scan_determinismE0ELb1ES3_N6thrust23THRUST_200600_302600_NS6detail15normal_iteratorINS9_10device_ptrIiEEEENSB_INSC_IjEEEESG_jNS9_4plusIvEENS9_8equal_toIvEEjEE10hipError_tPvRmT2_T3_T4_T5_mT6_T7_P12ihipStream_tbENKUlT_T0_E_clISt17integral_constantIbLb0EES10_IbLb1EEEEDaSW_SX_EUlSW_E_NS1_11comp_targetILNS1_3genE9ELNS1_11target_archE1100ELNS1_3gpuE3ELNS1_3repE0EEENS1_30default_config_static_selectorELNS0_4arch9wavefront6targetE0EEEvT1_
    .private_segment_fixed_size: 0
    .sgpr_count:     0
    .sgpr_spill_count: 0
    .symbol:         _ZN7rocprim17ROCPRIM_400000_NS6detail17trampoline_kernelINS0_14default_configENS1_27scan_by_key_config_selectorIijEEZZNS1_16scan_by_key_implILNS1_25lookback_scan_determinismE0ELb1ES3_N6thrust23THRUST_200600_302600_NS6detail15normal_iteratorINS9_10device_ptrIiEEEENSB_INSC_IjEEEESG_jNS9_4plusIvEENS9_8equal_toIvEEjEE10hipError_tPvRmT2_T3_T4_T5_mT6_T7_P12ihipStream_tbENKUlT_T0_E_clISt17integral_constantIbLb0EES10_IbLb1EEEEDaSW_SX_EUlSW_E_NS1_11comp_targetILNS1_3genE9ELNS1_11target_archE1100ELNS1_3gpuE3ELNS1_3repE0EEENS1_30default_config_static_selectorELNS0_4arch9wavefront6targetE0EEEvT1_.kd
    .uniform_work_group_size: 1
    .uses_dynamic_stack: false
    .vgpr_count:     0
    .vgpr_spill_count: 0
    .wavefront_size: 32
  - .args:
      - .offset:         0
        .size:           112
        .value_kind:     by_value
    .group_segment_fixed_size: 0
    .kernarg_segment_align: 8
    .kernarg_segment_size: 112
    .language:       OpenCL C
    .language_version:
      - 2
      - 0
    .max_flat_workgroup_size: 256
    .name:           _ZN7rocprim17ROCPRIM_400000_NS6detail17trampoline_kernelINS0_14default_configENS1_27scan_by_key_config_selectorIijEEZZNS1_16scan_by_key_implILNS1_25lookback_scan_determinismE0ELb1ES3_N6thrust23THRUST_200600_302600_NS6detail15normal_iteratorINS9_10device_ptrIiEEEENSB_INSC_IjEEEESG_jNS9_4plusIvEENS9_8equal_toIvEEjEE10hipError_tPvRmT2_T3_T4_T5_mT6_T7_P12ihipStream_tbENKUlT_T0_E_clISt17integral_constantIbLb0EES10_IbLb1EEEEDaSW_SX_EUlSW_E_NS1_11comp_targetILNS1_3genE8ELNS1_11target_archE1030ELNS1_3gpuE2ELNS1_3repE0EEENS1_30default_config_static_selectorELNS0_4arch9wavefront6targetE0EEEvT1_
    .private_segment_fixed_size: 0
    .sgpr_count:     0
    .sgpr_spill_count: 0
    .symbol:         _ZN7rocprim17ROCPRIM_400000_NS6detail17trampoline_kernelINS0_14default_configENS1_27scan_by_key_config_selectorIijEEZZNS1_16scan_by_key_implILNS1_25lookback_scan_determinismE0ELb1ES3_N6thrust23THRUST_200600_302600_NS6detail15normal_iteratorINS9_10device_ptrIiEEEENSB_INSC_IjEEEESG_jNS9_4plusIvEENS9_8equal_toIvEEjEE10hipError_tPvRmT2_T3_T4_T5_mT6_T7_P12ihipStream_tbENKUlT_T0_E_clISt17integral_constantIbLb0EES10_IbLb1EEEEDaSW_SX_EUlSW_E_NS1_11comp_targetILNS1_3genE8ELNS1_11target_archE1030ELNS1_3gpuE2ELNS1_3repE0EEENS1_30default_config_static_selectorELNS0_4arch9wavefront6targetE0EEEvT1_.kd
    .uniform_work_group_size: 1
    .uses_dynamic_stack: false
    .vgpr_count:     0
    .vgpr_spill_count: 0
    .wavefront_size: 32
  - .args:
      - .offset:         0
        .size:           112
        .value_kind:     by_value
    .group_segment_fixed_size: 16384
    .kernarg_segment_align: 8
    .kernarg_segment_size: 112
    .language:       OpenCL C
    .language_version:
      - 2
      - 0
    .max_flat_workgroup_size: 256
    .name:           _ZN7rocprim17ROCPRIM_400000_NS6detail17trampoline_kernelINS0_14default_configENS1_27scan_by_key_config_selectorIitEEZZNS1_16scan_by_key_implILNS1_25lookback_scan_determinismE0ELb1ES3_N6thrust23THRUST_200600_302600_NS6detail15normal_iteratorINS9_10device_ptrIiEEEENSB_INSC_ItEEEESG_tNS9_4plusIvEENS9_8equal_toIvEEtEE10hipError_tPvRmT2_T3_T4_T5_mT6_T7_P12ihipStream_tbENKUlT_T0_E_clISt17integral_constantIbLb0EES11_EEDaSW_SX_EUlSW_E_NS1_11comp_targetILNS1_3genE0ELNS1_11target_archE4294967295ELNS1_3gpuE0ELNS1_3repE0EEENS1_30default_config_static_selectorELNS0_4arch9wavefront6targetE0EEEvT1_
    .private_segment_fixed_size: 0
    .sgpr_count:     41
    .sgpr_spill_count: 0
    .symbol:         _ZN7rocprim17ROCPRIM_400000_NS6detail17trampoline_kernelINS0_14default_configENS1_27scan_by_key_config_selectorIitEEZZNS1_16scan_by_key_implILNS1_25lookback_scan_determinismE0ELb1ES3_N6thrust23THRUST_200600_302600_NS6detail15normal_iteratorINS9_10device_ptrIiEEEENSB_INSC_ItEEEESG_tNS9_4plusIvEENS9_8equal_toIvEEtEE10hipError_tPvRmT2_T3_T4_T5_mT6_T7_P12ihipStream_tbENKUlT_T0_E_clISt17integral_constantIbLb0EES11_EEDaSW_SX_EUlSW_E_NS1_11comp_targetILNS1_3genE0ELNS1_11target_archE4294967295ELNS1_3gpuE0ELNS1_3repE0EEENS1_30default_config_static_selectorELNS0_4arch9wavefront6targetE0EEEvT1_.kd
    .uniform_work_group_size: 1
    .uses_dynamic_stack: false
    .vgpr_count:     46
    .vgpr_spill_count: 0
    .wavefront_size: 32
  - .args:
      - .offset:         0
        .size:           112
        .value_kind:     by_value
    .group_segment_fixed_size: 0
    .kernarg_segment_align: 8
    .kernarg_segment_size: 112
    .language:       OpenCL C
    .language_version:
      - 2
      - 0
    .max_flat_workgroup_size: 256
    .name:           _ZN7rocprim17ROCPRIM_400000_NS6detail17trampoline_kernelINS0_14default_configENS1_27scan_by_key_config_selectorIitEEZZNS1_16scan_by_key_implILNS1_25lookback_scan_determinismE0ELb1ES3_N6thrust23THRUST_200600_302600_NS6detail15normal_iteratorINS9_10device_ptrIiEEEENSB_INSC_ItEEEESG_tNS9_4plusIvEENS9_8equal_toIvEEtEE10hipError_tPvRmT2_T3_T4_T5_mT6_T7_P12ihipStream_tbENKUlT_T0_E_clISt17integral_constantIbLb0EES11_EEDaSW_SX_EUlSW_E_NS1_11comp_targetILNS1_3genE10ELNS1_11target_archE1201ELNS1_3gpuE5ELNS1_3repE0EEENS1_30default_config_static_selectorELNS0_4arch9wavefront6targetE0EEEvT1_
    .private_segment_fixed_size: 0
    .sgpr_count:     0
    .sgpr_spill_count: 0
    .symbol:         _ZN7rocprim17ROCPRIM_400000_NS6detail17trampoline_kernelINS0_14default_configENS1_27scan_by_key_config_selectorIitEEZZNS1_16scan_by_key_implILNS1_25lookback_scan_determinismE0ELb1ES3_N6thrust23THRUST_200600_302600_NS6detail15normal_iteratorINS9_10device_ptrIiEEEENSB_INSC_ItEEEESG_tNS9_4plusIvEENS9_8equal_toIvEEtEE10hipError_tPvRmT2_T3_T4_T5_mT6_T7_P12ihipStream_tbENKUlT_T0_E_clISt17integral_constantIbLb0EES11_EEDaSW_SX_EUlSW_E_NS1_11comp_targetILNS1_3genE10ELNS1_11target_archE1201ELNS1_3gpuE5ELNS1_3repE0EEENS1_30default_config_static_selectorELNS0_4arch9wavefront6targetE0EEEvT1_.kd
    .uniform_work_group_size: 1
    .uses_dynamic_stack: false
    .vgpr_count:     0
    .vgpr_spill_count: 0
    .wavefront_size: 32
  - .args:
      - .offset:         0
        .size:           112
        .value_kind:     by_value
    .group_segment_fixed_size: 0
    .kernarg_segment_align: 8
    .kernarg_segment_size: 112
    .language:       OpenCL C
    .language_version:
      - 2
      - 0
    .max_flat_workgroup_size: 256
    .name:           _ZN7rocprim17ROCPRIM_400000_NS6detail17trampoline_kernelINS0_14default_configENS1_27scan_by_key_config_selectorIitEEZZNS1_16scan_by_key_implILNS1_25lookback_scan_determinismE0ELb1ES3_N6thrust23THRUST_200600_302600_NS6detail15normal_iteratorINS9_10device_ptrIiEEEENSB_INSC_ItEEEESG_tNS9_4plusIvEENS9_8equal_toIvEEtEE10hipError_tPvRmT2_T3_T4_T5_mT6_T7_P12ihipStream_tbENKUlT_T0_E_clISt17integral_constantIbLb0EES11_EEDaSW_SX_EUlSW_E_NS1_11comp_targetILNS1_3genE5ELNS1_11target_archE942ELNS1_3gpuE9ELNS1_3repE0EEENS1_30default_config_static_selectorELNS0_4arch9wavefront6targetE0EEEvT1_
    .private_segment_fixed_size: 0
    .sgpr_count:     0
    .sgpr_spill_count: 0
    .symbol:         _ZN7rocprim17ROCPRIM_400000_NS6detail17trampoline_kernelINS0_14default_configENS1_27scan_by_key_config_selectorIitEEZZNS1_16scan_by_key_implILNS1_25lookback_scan_determinismE0ELb1ES3_N6thrust23THRUST_200600_302600_NS6detail15normal_iteratorINS9_10device_ptrIiEEEENSB_INSC_ItEEEESG_tNS9_4plusIvEENS9_8equal_toIvEEtEE10hipError_tPvRmT2_T3_T4_T5_mT6_T7_P12ihipStream_tbENKUlT_T0_E_clISt17integral_constantIbLb0EES11_EEDaSW_SX_EUlSW_E_NS1_11comp_targetILNS1_3genE5ELNS1_11target_archE942ELNS1_3gpuE9ELNS1_3repE0EEENS1_30default_config_static_selectorELNS0_4arch9wavefront6targetE0EEEvT1_.kd
    .uniform_work_group_size: 1
    .uses_dynamic_stack: false
    .vgpr_count:     0
    .vgpr_spill_count: 0
    .wavefront_size: 32
  - .args:
      - .offset:         0
        .size:           112
        .value_kind:     by_value
    .group_segment_fixed_size: 0
    .kernarg_segment_align: 8
    .kernarg_segment_size: 112
    .language:       OpenCL C
    .language_version:
      - 2
      - 0
    .max_flat_workgroup_size: 64
    .name:           _ZN7rocprim17ROCPRIM_400000_NS6detail17trampoline_kernelINS0_14default_configENS1_27scan_by_key_config_selectorIitEEZZNS1_16scan_by_key_implILNS1_25lookback_scan_determinismE0ELb1ES3_N6thrust23THRUST_200600_302600_NS6detail15normal_iteratorINS9_10device_ptrIiEEEENSB_INSC_ItEEEESG_tNS9_4plusIvEENS9_8equal_toIvEEtEE10hipError_tPvRmT2_T3_T4_T5_mT6_T7_P12ihipStream_tbENKUlT_T0_E_clISt17integral_constantIbLb0EES11_EEDaSW_SX_EUlSW_E_NS1_11comp_targetILNS1_3genE4ELNS1_11target_archE910ELNS1_3gpuE8ELNS1_3repE0EEENS1_30default_config_static_selectorELNS0_4arch9wavefront6targetE0EEEvT1_
    .private_segment_fixed_size: 0
    .sgpr_count:     0
    .sgpr_spill_count: 0
    .symbol:         _ZN7rocprim17ROCPRIM_400000_NS6detail17trampoline_kernelINS0_14default_configENS1_27scan_by_key_config_selectorIitEEZZNS1_16scan_by_key_implILNS1_25lookback_scan_determinismE0ELb1ES3_N6thrust23THRUST_200600_302600_NS6detail15normal_iteratorINS9_10device_ptrIiEEEENSB_INSC_ItEEEESG_tNS9_4plusIvEENS9_8equal_toIvEEtEE10hipError_tPvRmT2_T3_T4_T5_mT6_T7_P12ihipStream_tbENKUlT_T0_E_clISt17integral_constantIbLb0EES11_EEDaSW_SX_EUlSW_E_NS1_11comp_targetILNS1_3genE4ELNS1_11target_archE910ELNS1_3gpuE8ELNS1_3repE0EEENS1_30default_config_static_selectorELNS0_4arch9wavefront6targetE0EEEvT1_.kd
    .uniform_work_group_size: 1
    .uses_dynamic_stack: false
    .vgpr_count:     0
    .vgpr_spill_count: 0
    .wavefront_size: 32
  - .args:
      - .offset:         0
        .size:           112
        .value_kind:     by_value
    .group_segment_fixed_size: 0
    .kernarg_segment_align: 8
    .kernarg_segment_size: 112
    .language:       OpenCL C
    .language_version:
      - 2
      - 0
    .max_flat_workgroup_size: 256
    .name:           _ZN7rocprim17ROCPRIM_400000_NS6detail17trampoline_kernelINS0_14default_configENS1_27scan_by_key_config_selectorIitEEZZNS1_16scan_by_key_implILNS1_25lookback_scan_determinismE0ELb1ES3_N6thrust23THRUST_200600_302600_NS6detail15normal_iteratorINS9_10device_ptrIiEEEENSB_INSC_ItEEEESG_tNS9_4plusIvEENS9_8equal_toIvEEtEE10hipError_tPvRmT2_T3_T4_T5_mT6_T7_P12ihipStream_tbENKUlT_T0_E_clISt17integral_constantIbLb0EES11_EEDaSW_SX_EUlSW_E_NS1_11comp_targetILNS1_3genE3ELNS1_11target_archE908ELNS1_3gpuE7ELNS1_3repE0EEENS1_30default_config_static_selectorELNS0_4arch9wavefront6targetE0EEEvT1_
    .private_segment_fixed_size: 0
    .sgpr_count:     0
    .sgpr_spill_count: 0
    .symbol:         _ZN7rocprim17ROCPRIM_400000_NS6detail17trampoline_kernelINS0_14default_configENS1_27scan_by_key_config_selectorIitEEZZNS1_16scan_by_key_implILNS1_25lookback_scan_determinismE0ELb1ES3_N6thrust23THRUST_200600_302600_NS6detail15normal_iteratorINS9_10device_ptrIiEEEENSB_INSC_ItEEEESG_tNS9_4plusIvEENS9_8equal_toIvEEtEE10hipError_tPvRmT2_T3_T4_T5_mT6_T7_P12ihipStream_tbENKUlT_T0_E_clISt17integral_constantIbLb0EES11_EEDaSW_SX_EUlSW_E_NS1_11comp_targetILNS1_3genE3ELNS1_11target_archE908ELNS1_3gpuE7ELNS1_3repE0EEENS1_30default_config_static_selectorELNS0_4arch9wavefront6targetE0EEEvT1_.kd
    .uniform_work_group_size: 1
    .uses_dynamic_stack: false
    .vgpr_count:     0
    .vgpr_spill_count: 0
    .wavefront_size: 32
  - .args:
      - .offset:         0
        .size:           112
        .value_kind:     by_value
    .group_segment_fixed_size: 0
    .kernarg_segment_align: 8
    .kernarg_segment_size: 112
    .language:       OpenCL C
    .language_version:
      - 2
      - 0
    .max_flat_workgroup_size: 64
    .name:           _ZN7rocprim17ROCPRIM_400000_NS6detail17trampoline_kernelINS0_14default_configENS1_27scan_by_key_config_selectorIitEEZZNS1_16scan_by_key_implILNS1_25lookback_scan_determinismE0ELb1ES3_N6thrust23THRUST_200600_302600_NS6detail15normal_iteratorINS9_10device_ptrIiEEEENSB_INSC_ItEEEESG_tNS9_4plusIvEENS9_8equal_toIvEEtEE10hipError_tPvRmT2_T3_T4_T5_mT6_T7_P12ihipStream_tbENKUlT_T0_E_clISt17integral_constantIbLb0EES11_EEDaSW_SX_EUlSW_E_NS1_11comp_targetILNS1_3genE2ELNS1_11target_archE906ELNS1_3gpuE6ELNS1_3repE0EEENS1_30default_config_static_selectorELNS0_4arch9wavefront6targetE0EEEvT1_
    .private_segment_fixed_size: 0
    .sgpr_count:     0
    .sgpr_spill_count: 0
    .symbol:         _ZN7rocprim17ROCPRIM_400000_NS6detail17trampoline_kernelINS0_14default_configENS1_27scan_by_key_config_selectorIitEEZZNS1_16scan_by_key_implILNS1_25lookback_scan_determinismE0ELb1ES3_N6thrust23THRUST_200600_302600_NS6detail15normal_iteratorINS9_10device_ptrIiEEEENSB_INSC_ItEEEESG_tNS9_4plusIvEENS9_8equal_toIvEEtEE10hipError_tPvRmT2_T3_T4_T5_mT6_T7_P12ihipStream_tbENKUlT_T0_E_clISt17integral_constantIbLb0EES11_EEDaSW_SX_EUlSW_E_NS1_11comp_targetILNS1_3genE2ELNS1_11target_archE906ELNS1_3gpuE6ELNS1_3repE0EEENS1_30default_config_static_selectorELNS0_4arch9wavefront6targetE0EEEvT1_.kd
    .uniform_work_group_size: 1
    .uses_dynamic_stack: false
    .vgpr_count:     0
    .vgpr_spill_count: 0
    .wavefront_size: 32
  - .args:
      - .offset:         0
        .size:           112
        .value_kind:     by_value
    .group_segment_fixed_size: 0
    .kernarg_segment_align: 8
    .kernarg_segment_size: 112
    .language:       OpenCL C
    .language_version:
      - 2
      - 0
    .max_flat_workgroup_size: 256
    .name:           _ZN7rocprim17ROCPRIM_400000_NS6detail17trampoline_kernelINS0_14default_configENS1_27scan_by_key_config_selectorIitEEZZNS1_16scan_by_key_implILNS1_25lookback_scan_determinismE0ELb1ES3_N6thrust23THRUST_200600_302600_NS6detail15normal_iteratorINS9_10device_ptrIiEEEENSB_INSC_ItEEEESG_tNS9_4plusIvEENS9_8equal_toIvEEtEE10hipError_tPvRmT2_T3_T4_T5_mT6_T7_P12ihipStream_tbENKUlT_T0_E_clISt17integral_constantIbLb0EES11_EEDaSW_SX_EUlSW_E_NS1_11comp_targetILNS1_3genE10ELNS1_11target_archE1200ELNS1_3gpuE4ELNS1_3repE0EEENS1_30default_config_static_selectorELNS0_4arch9wavefront6targetE0EEEvT1_
    .private_segment_fixed_size: 0
    .sgpr_count:     0
    .sgpr_spill_count: 0
    .symbol:         _ZN7rocprim17ROCPRIM_400000_NS6detail17trampoline_kernelINS0_14default_configENS1_27scan_by_key_config_selectorIitEEZZNS1_16scan_by_key_implILNS1_25lookback_scan_determinismE0ELb1ES3_N6thrust23THRUST_200600_302600_NS6detail15normal_iteratorINS9_10device_ptrIiEEEENSB_INSC_ItEEEESG_tNS9_4plusIvEENS9_8equal_toIvEEtEE10hipError_tPvRmT2_T3_T4_T5_mT6_T7_P12ihipStream_tbENKUlT_T0_E_clISt17integral_constantIbLb0EES11_EEDaSW_SX_EUlSW_E_NS1_11comp_targetILNS1_3genE10ELNS1_11target_archE1200ELNS1_3gpuE4ELNS1_3repE0EEENS1_30default_config_static_selectorELNS0_4arch9wavefront6targetE0EEEvT1_.kd
    .uniform_work_group_size: 1
    .uses_dynamic_stack: false
    .vgpr_count:     0
    .vgpr_spill_count: 0
    .wavefront_size: 32
  - .args:
      - .offset:         0
        .size:           112
        .value_kind:     by_value
    .group_segment_fixed_size: 0
    .kernarg_segment_align: 8
    .kernarg_segment_size: 112
    .language:       OpenCL C
    .language_version:
      - 2
      - 0
    .max_flat_workgroup_size: 64
    .name:           _ZN7rocprim17ROCPRIM_400000_NS6detail17trampoline_kernelINS0_14default_configENS1_27scan_by_key_config_selectorIitEEZZNS1_16scan_by_key_implILNS1_25lookback_scan_determinismE0ELb1ES3_N6thrust23THRUST_200600_302600_NS6detail15normal_iteratorINS9_10device_ptrIiEEEENSB_INSC_ItEEEESG_tNS9_4plusIvEENS9_8equal_toIvEEtEE10hipError_tPvRmT2_T3_T4_T5_mT6_T7_P12ihipStream_tbENKUlT_T0_E_clISt17integral_constantIbLb0EES11_EEDaSW_SX_EUlSW_E_NS1_11comp_targetILNS1_3genE9ELNS1_11target_archE1100ELNS1_3gpuE3ELNS1_3repE0EEENS1_30default_config_static_selectorELNS0_4arch9wavefront6targetE0EEEvT1_
    .private_segment_fixed_size: 0
    .sgpr_count:     0
    .sgpr_spill_count: 0
    .symbol:         _ZN7rocprim17ROCPRIM_400000_NS6detail17trampoline_kernelINS0_14default_configENS1_27scan_by_key_config_selectorIitEEZZNS1_16scan_by_key_implILNS1_25lookback_scan_determinismE0ELb1ES3_N6thrust23THRUST_200600_302600_NS6detail15normal_iteratorINS9_10device_ptrIiEEEENSB_INSC_ItEEEESG_tNS9_4plusIvEENS9_8equal_toIvEEtEE10hipError_tPvRmT2_T3_T4_T5_mT6_T7_P12ihipStream_tbENKUlT_T0_E_clISt17integral_constantIbLb0EES11_EEDaSW_SX_EUlSW_E_NS1_11comp_targetILNS1_3genE9ELNS1_11target_archE1100ELNS1_3gpuE3ELNS1_3repE0EEENS1_30default_config_static_selectorELNS0_4arch9wavefront6targetE0EEEvT1_.kd
    .uniform_work_group_size: 1
    .uses_dynamic_stack: false
    .vgpr_count:     0
    .vgpr_spill_count: 0
    .wavefront_size: 32
  - .args:
      - .offset:         0
        .size:           112
        .value_kind:     by_value
    .group_segment_fixed_size: 0
    .kernarg_segment_align: 8
    .kernarg_segment_size: 112
    .language:       OpenCL C
    .language_version:
      - 2
      - 0
    .max_flat_workgroup_size: 64
    .name:           _ZN7rocprim17ROCPRIM_400000_NS6detail17trampoline_kernelINS0_14default_configENS1_27scan_by_key_config_selectorIitEEZZNS1_16scan_by_key_implILNS1_25lookback_scan_determinismE0ELb1ES3_N6thrust23THRUST_200600_302600_NS6detail15normal_iteratorINS9_10device_ptrIiEEEENSB_INSC_ItEEEESG_tNS9_4plusIvEENS9_8equal_toIvEEtEE10hipError_tPvRmT2_T3_T4_T5_mT6_T7_P12ihipStream_tbENKUlT_T0_E_clISt17integral_constantIbLb0EES11_EEDaSW_SX_EUlSW_E_NS1_11comp_targetILNS1_3genE8ELNS1_11target_archE1030ELNS1_3gpuE2ELNS1_3repE0EEENS1_30default_config_static_selectorELNS0_4arch9wavefront6targetE0EEEvT1_
    .private_segment_fixed_size: 0
    .sgpr_count:     0
    .sgpr_spill_count: 0
    .symbol:         _ZN7rocprim17ROCPRIM_400000_NS6detail17trampoline_kernelINS0_14default_configENS1_27scan_by_key_config_selectorIitEEZZNS1_16scan_by_key_implILNS1_25lookback_scan_determinismE0ELb1ES3_N6thrust23THRUST_200600_302600_NS6detail15normal_iteratorINS9_10device_ptrIiEEEENSB_INSC_ItEEEESG_tNS9_4plusIvEENS9_8equal_toIvEEtEE10hipError_tPvRmT2_T3_T4_T5_mT6_T7_P12ihipStream_tbENKUlT_T0_E_clISt17integral_constantIbLb0EES11_EEDaSW_SX_EUlSW_E_NS1_11comp_targetILNS1_3genE8ELNS1_11target_archE1030ELNS1_3gpuE2ELNS1_3repE0EEENS1_30default_config_static_selectorELNS0_4arch9wavefront6targetE0EEEvT1_.kd
    .uniform_work_group_size: 1
    .uses_dynamic_stack: false
    .vgpr_count:     0
    .vgpr_spill_count: 0
    .wavefront_size: 32
  - .args:
      - .offset:         0
        .size:           112
        .value_kind:     by_value
    .group_segment_fixed_size: 0
    .kernarg_segment_align: 8
    .kernarg_segment_size: 112
    .language:       OpenCL C
    .language_version:
      - 2
      - 0
    .max_flat_workgroup_size: 256
    .name:           _ZN7rocprim17ROCPRIM_400000_NS6detail17trampoline_kernelINS0_14default_configENS1_27scan_by_key_config_selectorIitEEZZNS1_16scan_by_key_implILNS1_25lookback_scan_determinismE0ELb1ES3_N6thrust23THRUST_200600_302600_NS6detail15normal_iteratorINS9_10device_ptrIiEEEENSB_INSC_ItEEEESG_tNS9_4plusIvEENS9_8equal_toIvEEtEE10hipError_tPvRmT2_T3_T4_T5_mT6_T7_P12ihipStream_tbENKUlT_T0_E_clISt17integral_constantIbLb1EES11_EEDaSW_SX_EUlSW_E_NS1_11comp_targetILNS1_3genE0ELNS1_11target_archE4294967295ELNS1_3gpuE0ELNS1_3repE0EEENS1_30default_config_static_selectorELNS0_4arch9wavefront6targetE0EEEvT1_
    .private_segment_fixed_size: 0
    .sgpr_count:     0
    .sgpr_spill_count: 0
    .symbol:         _ZN7rocprim17ROCPRIM_400000_NS6detail17trampoline_kernelINS0_14default_configENS1_27scan_by_key_config_selectorIitEEZZNS1_16scan_by_key_implILNS1_25lookback_scan_determinismE0ELb1ES3_N6thrust23THRUST_200600_302600_NS6detail15normal_iteratorINS9_10device_ptrIiEEEENSB_INSC_ItEEEESG_tNS9_4plusIvEENS9_8equal_toIvEEtEE10hipError_tPvRmT2_T3_T4_T5_mT6_T7_P12ihipStream_tbENKUlT_T0_E_clISt17integral_constantIbLb1EES11_EEDaSW_SX_EUlSW_E_NS1_11comp_targetILNS1_3genE0ELNS1_11target_archE4294967295ELNS1_3gpuE0ELNS1_3repE0EEENS1_30default_config_static_selectorELNS0_4arch9wavefront6targetE0EEEvT1_.kd
    .uniform_work_group_size: 1
    .uses_dynamic_stack: false
    .vgpr_count:     0
    .vgpr_spill_count: 0
    .wavefront_size: 32
  - .args:
      - .offset:         0
        .size:           112
        .value_kind:     by_value
    .group_segment_fixed_size: 0
    .kernarg_segment_align: 8
    .kernarg_segment_size: 112
    .language:       OpenCL C
    .language_version:
      - 2
      - 0
    .max_flat_workgroup_size: 256
    .name:           _ZN7rocprim17ROCPRIM_400000_NS6detail17trampoline_kernelINS0_14default_configENS1_27scan_by_key_config_selectorIitEEZZNS1_16scan_by_key_implILNS1_25lookback_scan_determinismE0ELb1ES3_N6thrust23THRUST_200600_302600_NS6detail15normal_iteratorINS9_10device_ptrIiEEEENSB_INSC_ItEEEESG_tNS9_4plusIvEENS9_8equal_toIvEEtEE10hipError_tPvRmT2_T3_T4_T5_mT6_T7_P12ihipStream_tbENKUlT_T0_E_clISt17integral_constantIbLb1EES11_EEDaSW_SX_EUlSW_E_NS1_11comp_targetILNS1_3genE10ELNS1_11target_archE1201ELNS1_3gpuE5ELNS1_3repE0EEENS1_30default_config_static_selectorELNS0_4arch9wavefront6targetE0EEEvT1_
    .private_segment_fixed_size: 0
    .sgpr_count:     0
    .sgpr_spill_count: 0
    .symbol:         _ZN7rocprim17ROCPRIM_400000_NS6detail17trampoline_kernelINS0_14default_configENS1_27scan_by_key_config_selectorIitEEZZNS1_16scan_by_key_implILNS1_25lookback_scan_determinismE0ELb1ES3_N6thrust23THRUST_200600_302600_NS6detail15normal_iteratorINS9_10device_ptrIiEEEENSB_INSC_ItEEEESG_tNS9_4plusIvEENS9_8equal_toIvEEtEE10hipError_tPvRmT2_T3_T4_T5_mT6_T7_P12ihipStream_tbENKUlT_T0_E_clISt17integral_constantIbLb1EES11_EEDaSW_SX_EUlSW_E_NS1_11comp_targetILNS1_3genE10ELNS1_11target_archE1201ELNS1_3gpuE5ELNS1_3repE0EEENS1_30default_config_static_selectorELNS0_4arch9wavefront6targetE0EEEvT1_.kd
    .uniform_work_group_size: 1
    .uses_dynamic_stack: false
    .vgpr_count:     0
    .vgpr_spill_count: 0
    .wavefront_size: 32
  - .args:
      - .offset:         0
        .size:           112
        .value_kind:     by_value
    .group_segment_fixed_size: 0
    .kernarg_segment_align: 8
    .kernarg_segment_size: 112
    .language:       OpenCL C
    .language_version:
      - 2
      - 0
    .max_flat_workgroup_size: 256
    .name:           _ZN7rocprim17ROCPRIM_400000_NS6detail17trampoline_kernelINS0_14default_configENS1_27scan_by_key_config_selectorIitEEZZNS1_16scan_by_key_implILNS1_25lookback_scan_determinismE0ELb1ES3_N6thrust23THRUST_200600_302600_NS6detail15normal_iteratorINS9_10device_ptrIiEEEENSB_INSC_ItEEEESG_tNS9_4plusIvEENS9_8equal_toIvEEtEE10hipError_tPvRmT2_T3_T4_T5_mT6_T7_P12ihipStream_tbENKUlT_T0_E_clISt17integral_constantIbLb1EES11_EEDaSW_SX_EUlSW_E_NS1_11comp_targetILNS1_3genE5ELNS1_11target_archE942ELNS1_3gpuE9ELNS1_3repE0EEENS1_30default_config_static_selectorELNS0_4arch9wavefront6targetE0EEEvT1_
    .private_segment_fixed_size: 0
    .sgpr_count:     0
    .sgpr_spill_count: 0
    .symbol:         _ZN7rocprim17ROCPRIM_400000_NS6detail17trampoline_kernelINS0_14default_configENS1_27scan_by_key_config_selectorIitEEZZNS1_16scan_by_key_implILNS1_25lookback_scan_determinismE0ELb1ES3_N6thrust23THRUST_200600_302600_NS6detail15normal_iteratorINS9_10device_ptrIiEEEENSB_INSC_ItEEEESG_tNS9_4plusIvEENS9_8equal_toIvEEtEE10hipError_tPvRmT2_T3_T4_T5_mT6_T7_P12ihipStream_tbENKUlT_T0_E_clISt17integral_constantIbLb1EES11_EEDaSW_SX_EUlSW_E_NS1_11comp_targetILNS1_3genE5ELNS1_11target_archE942ELNS1_3gpuE9ELNS1_3repE0EEENS1_30default_config_static_selectorELNS0_4arch9wavefront6targetE0EEEvT1_.kd
    .uniform_work_group_size: 1
    .uses_dynamic_stack: false
    .vgpr_count:     0
    .vgpr_spill_count: 0
    .wavefront_size: 32
  - .args:
      - .offset:         0
        .size:           112
        .value_kind:     by_value
    .group_segment_fixed_size: 0
    .kernarg_segment_align: 8
    .kernarg_segment_size: 112
    .language:       OpenCL C
    .language_version:
      - 2
      - 0
    .max_flat_workgroup_size: 64
    .name:           _ZN7rocprim17ROCPRIM_400000_NS6detail17trampoline_kernelINS0_14default_configENS1_27scan_by_key_config_selectorIitEEZZNS1_16scan_by_key_implILNS1_25lookback_scan_determinismE0ELb1ES3_N6thrust23THRUST_200600_302600_NS6detail15normal_iteratorINS9_10device_ptrIiEEEENSB_INSC_ItEEEESG_tNS9_4plusIvEENS9_8equal_toIvEEtEE10hipError_tPvRmT2_T3_T4_T5_mT6_T7_P12ihipStream_tbENKUlT_T0_E_clISt17integral_constantIbLb1EES11_EEDaSW_SX_EUlSW_E_NS1_11comp_targetILNS1_3genE4ELNS1_11target_archE910ELNS1_3gpuE8ELNS1_3repE0EEENS1_30default_config_static_selectorELNS0_4arch9wavefront6targetE0EEEvT1_
    .private_segment_fixed_size: 0
    .sgpr_count:     0
    .sgpr_spill_count: 0
    .symbol:         _ZN7rocprim17ROCPRIM_400000_NS6detail17trampoline_kernelINS0_14default_configENS1_27scan_by_key_config_selectorIitEEZZNS1_16scan_by_key_implILNS1_25lookback_scan_determinismE0ELb1ES3_N6thrust23THRUST_200600_302600_NS6detail15normal_iteratorINS9_10device_ptrIiEEEENSB_INSC_ItEEEESG_tNS9_4plusIvEENS9_8equal_toIvEEtEE10hipError_tPvRmT2_T3_T4_T5_mT6_T7_P12ihipStream_tbENKUlT_T0_E_clISt17integral_constantIbLb1EES11_EEDaSW_SX_EUlSW_E_NS1_11comp_targetILNS1_3genE4ELNS1_11target_archE910ELNS1_3gpuE8ELNS1_3repE0EEENS1_30default_config_static_selectorELNS0_4arch9wavefront6targetE0EEEvT1_.kd
    .uniform_work_group_size: 1
    .uses_dynamic_stack: false
    .vgpr_count:     0
    .vgpr_spill_count: 0
    .wavefront_size: 32
  - .args:
      - .offset:         0
        .size:           112
        .value_kind:     by_value
    .group_segment_fixed_size: 0
    .kernarg_segment_align: 8
    .kernarg_segment_size: 112
    .language:       OpenCL C
    .language_version:
      - 2
      - 0
    .max_flat_workgroup_size: 256
    .name:           _ZN7rocprim17ROCPRIM_400000_NS6detail17trampoline_kernelINS0_14default_configENS1_27scan_by_key_config_selectorIitEEZZNS1_16scan_by_key_implILNS1_25lookback_scan_determinismE0ELb1ES3_N6thrust23THRUST_200600_302600_NS6detail15normal_iteratorINS9_10device_ptrIiEEEENSB_INSC_ItEEEESG_tNS9_4plusIvEENS9_8equal_toIvEEtEE10hipError_tPvRmT2_T3_T4_T5_mT6_T7_P12ihipStream_tbENKUlT_T0_E_clISt17integral_constantIbLb1EES11_EEDaSW_SX_EUlSW_E_NS1_11comp_targetILNS1_3genE3ELNS1_11target_archE908ELNS1_3gpuE7ELNS1_3repE0EEENS1_30default_config_static_selectorELNS0_4arch9wavefront6targetE0EEEvT1_
    .private_segment_fixed_size: 0
    .sgpr_count:     0
    .sgpr_spill_count: 0
    .symbol:         _ZN7rocprim17ROCPRIM_400000_NS6detail17trampoline_kernelINS0_14default_configENS1_27scan_by_key_config_selectorIitEEZZNS1_16scan_by_key_implILNS1_25lookback_scan_determinismE0ELb1ES3_N6thrust23THRUST_200600_302600_NS6detail15normal_iteratorINS9_10device_ptrIiEEEENSB_INSC_ItEEEESG_tNS9_4plusIvEENS9_8equal_toIvEEtEE10hipError_tPvRmT2_T3_T4_T5_mT6_T7_P12ihipStream_tbENKUlT_T0_E_clISt17integral_constantIbLb1EES11_EEDaSW_SX_EUlSW_E_NS1_11comp_targetILNS1_3genE3ELNS1_11target_archE908ELNS1_3gpuE7ELNS1_3repE0EEENS1_30default_config_static_selectorELNS0_4arch9wavefront6targetE0EEEvT1_.kd
    .uniform_work_group_size: 1
    .uses_dynamic_stack: false
    .vgpr_count:     0
    .vgpr_spill_count: 0
    .wavefront_size: 32
  - .args:
      - .offset:         0
        .size:           112
        .value_kind:     by_value
    .group_segment_fixed_size: 0
    .kernarg_segment_align: 8
    .kernarg_segment_size: 112
    .language:       OpenCL C
    .language_version:
      - 2
      - 0
    .max_flat_workgroup_size: 64
    .name:           _ZN7rocprim17ROCPRIM_400000_NS6detail17trampoline_kernelINS0_14default_configENS1_27scan_by_key_config_selectorIitEEZZNS1_16scan_by_key_implILNS1_25lookback_scan_determinismE0ELb1ES3_N6thrust23THRUST_200600_302600_NS6detail15normal_iteratorINS9_10device_ptrIiEEEENSB_INSC_ItEEEESG_tNS9_4plusIvEENS9_8equal_toIvEEtEE10hipError_tPvRmT2_T3_T4_T5_mT6_T7_P12ihipStream_tbENKUlT_T0_E_clISt17integral_constantIbLb1EES11_EEDaSW_SX_EUlSW_E_NS1_11comp_targetILNS1_3genE2ELNS1_11target_archE906ELNS1_3gpuE6ELNS1_3repE0EEENS1_30default_config_static_selectorELNS0_4arch9wavefront6targetE0EEEvT1_
    .private_segment_fixed_size: 0
    .sgpr_count:     0
    .sgpr_spill_count: 0
    .symbol:         _ZN7rocprim17ROCPRIM_400000_NS6detail17trampoline_kernelINS0_14default_configENS1_27scan_by_key_config_selectorIitEEZZNS1_16scan_by_key_implILNS1_25lookback_scan_determinismE0ELb1ES3_N6thrust23THRUST_200600_302600_NS6detail15normal_iteratorINS9_10device_ptrIiEEEENSB_INSC_ItEEEESG_tNS9_4plusIvEENS9_8equal_toIvEEtEE10hipError_tPvRmT2_T3_T4_T5_mT6_T7_P12ihipStream_tbENKUlT_T0_E_clISt17integral_constantIbLb1EES11_EEDaSW_SX_EUlSW_E_NS1_11comp_targetILNS1_3genE2ELNS1_11target_archE906ELNS1_3gpuE6ELNS1_3repE0EEENS1_30default_config_static_selectorELNS0_4arch9wavefront6targetE0EEEvT1_.kd
    .uniform_work_group_size: 1
    .uses_dynamic_stack: false
    .vgpr_count:     0
    .vgpr_spill_count: 0
    .wavefront_size: 32
  - .args:
      - .offset:         0
        .size:           112
        .value_kind:     by_value
    .group_segment_fixed_size: 0
    .kernarg_segment_align: 8
    .kernarg_segment_size: 112
    .language:       OpenCL C
    .language_version:
      - 2
      - 0
    .max_flat_workgroup_size: 256
    .name:           _ZN7rocprim17ROCPRIM_400000_NS6detail17trampoline_kernelINS0_14default_configENS1_27scan_by_key_config_selectorIitEEZZNS1_16scan_by_key_implILNS1_25lookback_scan_determinismE0ELb1ES3_N6thrust23THRUST_200600_302600_NS6detail15normal_iteratorINS9_10device_ptrIiEEEENSB_INSC_ItEEEESG_tNS9_4plusIvEENS9_8equal_toIvEEtEE10hipError_tPvRmT2_T3_T4_T5_mT6_T7_P12ihipStream_tbENKUlT_T0_E_clISt17integral_constantIbLb1EES11_EEDaSW_SX_EUlSW_E_NS1_11comp_targetILNS1_3genE10ELNS1_11target_archE1200ELNS1_3gpuE4ELNS1_3repE0EEENS1_30default_config_static_selectorELNS0_4arch9wavefront6targetE0EEEvT1_
    .private_segment_fixed_size: 0
    .sgpr_count:     0
    .sgpr_spill_count: 0
    .symbol:         _ZN7rocprim17ROCPRIM_400000_NS6detail17trampoline_kernelINS0_14default_configENS1_27scan_by_key_config_selectorIitEEZZNS1_16scan_by_key_implILNS1_25lookback_scan_determinismE0ELb1ES3_N6thrust23THRUST_200600_302600_NS6detail15normal_iteratorINS9_10device_ptrIiEEEENSB_INSC_ItEEEESG_tNS9_4plusIvEENS9_8equal_toIvEEtEE10hipError_tPvRmT2_T3_T4_T5_mT6_T7_P12ihipStream_tbENKUlT_T0_E_clISt17integral_constantIbLb1EES11_EEDaSW_SX_EUlSW_E_NS1_11comp_targetILNS1_3genE10ELNS1_11target_archE1200ELNS1_3gpuE4ELNS1_3repE0EEENS1_30default_config_static_selectorELNS0_4arch9wavefront6targetE0EEEvT1_.kd
    .uniform_work_group_size: 1
    .uses_dynamic_stack: false
    .vgpr_count:     0
    .vgpr_spill_count: 0
    .wavefront_size: 32
  - .args:
      - .offset:         0
        .size:           112
        .value_kind:     by_value
    .group_segment_fixed_size: 0
    .kernarg_segment_align: 8
    .kernarg_segment_size: 112
    .language:       OpenCL C
    .language_version:
      - 2
      - 0
    .max_flat_workgroup_size: 64
    .name:           _ZN7rocprim17ROCPRIM_400000_NS6detail17trampoline_kernelINS0_14default_configENS1_27scan_by_key_config_selectorIitEEZZNS1_16scan_by_key_implILNS1_25lookback_scan_determinismE0ELb1ES3_N6thrust23THRUST_200600_302600_NS6detail15normal_iteratorINS9_10device_ptrIiEEEENSB_INSC_ItEEEESG_tNS9_4plusIvEENS9_8equal_toIvEEtEE10hipError_tPvRmT2_T3_T4_T5_mT6_T7_P12ihipStream_tbENKUlT_T0_E_clISt17integral_constantIbLb1EES11_EEDaSW_SX_EUlSW_E_NS1_11comp_targetILNS1_3genE9ELNS1_11target_archE1100ELNS1_3gpuE3ELNS1_3repE0EEENS1_30default_config_static_selectorELNS0_4arch9wavefront6targetE0EEEvT1_
    .private_segment_fixed_size: 0
    .sgpr_count:     0
    .sgpr_spill_count: 0
    .symbol:         _ZN7rocprim17ROCPRIM_400000_NS6detail17trampoline_kernelINS0_14default_configENS1_27scan_by_key_config_selectorIitEEZZNS1_16scan_by_key_implILNS1_25lookback_scan_determinismE0ELb1ES3_N6thrust23THRUST_200600_302600_NS6detail15normal_iteratorINS9_10device_ptrIiEEEENSB_INSC_ItEEEESG_tNS9_4plusIvEENS9_8equal_toIvEEtEE10hipError_tPvRmT2_T3_T4_T5_mT6_T7_P12ihipStream_tbENKUlT_T0_E_clISt17integral_constantIbLb1EES11_EEDaSW_SX_EUlSW_E_NS1_11comp_targetILNS1_3genE9ELNS1_11target_archE1100ELNS1_3gpuE3ELNS1_3repE0EEENS1_30default_config_static_selectorELNS0_4arch9wavefront6targetE0EEEvT1_.kd
    .uniform_work_group_size: 1
    .uses_dynamic_stack: false
    .vgpr_count:     0
    .vgpr_spill_count: 0
    .wavefront_size: 32
  - .args:
      - .offset:         0
        .size:           112
        .value_kind:     by_value
    .group_segment_fixed_size: 0
    .kernarg_segment_align: 8
    .kernarg_segment_size: 112
    .language:       OpenCL C
    .language_version:
      - 2
      - 0
    .max_flat_workgroup_size: 64
    .name:           _ZN7rocprim17ROCPRIM_400000_NS6detail17trampoline_kernelINS0_14default_configENS1_27scan_by_key_config_selectorIitEEZZNS1_16scan_by_key_implILNS1_25lookback_scan_determinismE0ELb1ES3_N6thrust23THRUST_200600_302600_NS6detail15normal_iteratorINS9_10device_ptrIiEEEENSB_INSC_ItEEEESG_tNS9_4plusIvEENS9_8equal_toIvEEtEE10hipError_tPvRmT2_T3_T4_T5_mT6_T7_P12ihipStream_tbENKUlT_T0_E_clISt17integral_constantIbLb1EES11_EEDaSW_SX_EUlSW_E_NS1_11comp_targetILNS1_3genE8ELNS1_11target_archE1030ELNS1_3gpuE2ELNS1_3repE0EEENS1_30default_config_static_selectorELNS0_4arch9wavefront6targetE0EEEvT1_
    .private_segment_fixed_size: 0
    .sgpr_count:     0
    .sgpr_spill_count: 0
    .symbol:         _ZN7rocprim17ROCPRIM_400000_NS6detail17trampoline_kernelINS0_14default_configENS1_27scan_by_key_config_selectorIitEEZZNS1_16scan_by_key_implILNS1_25lookback_scan_determinismE0ELb1ES3_N6thrust23THRUST_200600_302600_NS6detail15normal_iteratorINS9_10device_ptrIiEEEENSB_INSC_ItEEEESG_tNS9_4plusIvEENS9_8equal_toIvEEtEE10hipError_tPvRmT2_T3_T4_T5_mT6_T7_P12ihipStream_tbENKUlT_T0_E_clISt17integral_constantIbLb1EES11_EEDaSW_SX_EUlSW_E_NS1_11comp_targetILNS1_3genE8ELNS1_11target_archE1030ELNS1_3gpuE2ELNS1_3repE0EEENS1_30default_config_static_selectorELNS0_4arch9wavefront6targetE0EEEvT1_.kd
    .uniform_work_group_size: 1
    .uses_dynamic_stack: false
    .vgpr_count:     0
    .vgpr_spill_count: 0
    .wavefront_size: 32
  - .args:
      - .offset:         0
        .size:           112
        .value_kind:     by_value
    .group_segment_fixed_size: 0
    .kernarg_segment_align: 8
    .kernarg_segment_size: 112
    .language:       OpenCL C
    .language_version:
      - 2
      - 0
    .max_flat_workgroup_size: 256
    .name:           _ZN7rocprim17ROCPRIM_400000_NS6detail17trampoline_kernelINS0_14default_configENS1_27scan_by_key_config_selectorIitEEZZNS1_16scan_by_key_implILNS1_25lookback_scan_determinismE0ELb1ES3_N6thrust23THRUST_200600_302600_NS6detail15normal_iteratorINS9_10device_ptrIiEEEENSB_INSC_ItEEEESG_tNS9_4plusIvEENS9_8equal_toIvEEtEE10hipError_tPvRmT2_T3_T4_T5_mT6_T7_P12ihipStream_tbENKUlT_T0_E_clISt17integral_constantIbLb1EES10_IbLb0EEEEDaSW_SX_EUlSW_E_NS1_11comp_targetILNS1_3genE0ELNS1_11target_archE4294967295ELNS1_3gpuE0ELNS1_3repE0EEENS1_30default_config_static_selectorELNS0_4arch9wavefront6targetE0EEEvT1_
    .private_segment_fixed_size: 0
    .sgpr_count:     0
    .sgpr_spill_count: 0
    .symbol:         _ZN7rocprim17ROCPRIM_400000_NS6detail17trampoline_kernelINS0_14default_configENS1_27scan_by_key_config_selectorIitEEZZNS1_16scan_by_key_implILNS1_25lookback_scan_determinismE0ELb1ES3_N6thrust23THRUST_200600_302600_NS6detail15normal_iteratorINS9_10device_ptrIiEEEENSB_INSC_ItEEEESG_tNS9_4plusIvEENS9_8equal_toIvEEtEE10hipError_tPvRmT2_T3_T4_T5_mT6_T7_P12ihipStream_tbENKUlT_T0_E_clISt17integral_constantIbLb1EES10_IbLb0EEEEDaSW_SX_EUlSW_E_NS1_11comp_targetILNS1_3genE0ELNS1_11target_archE4294967295ELNS1_3gpuE0ELNS1_3repE0EEENS1_30default_config_static_selectorELNS0_4arch9wavefront6targetE0EEEvT1_.kd
    .uniform_work_group_size: 1
    .uses_dynamic_stack: false
    .vgpr_count:     0
    .vgpr_spill_count: 0
    .wavefront_size: 32
  - .args:
      - .offset:         0
        .size:           112
        .value_kind:     by_value
    .group_segment_fixed_size: 0
    .kernarg_segment_align: 8
    .kernarg_segment_size: 112
    .language:       OpenCL C
    .language_version:
      - 2
      - 0
    .max_flat_workgroup_size: 256
    .name:           _ZN7rocprim17ROCPRIM_400000_NS6detail17trampoline_kernelINS0_14default_configENS1_27scan_by_key_config_selectorIitEEZZNS1_16scan_by_key_implILNS1_25lookback_scan_determinismE0ELb1ES3_N6thrust23THRUST_200600_302600_NS6detail15normal_iteratorINS9_10device_ptrIiEEEENSB_INSC_ItEEEESG_tNS9_4plusIvEENS9_8equal_toIvEEtEE10hipError_tPvRmT2_T3_T4_T5_mT6_T7_P12ihipStream_tbENKUlT_T0_E_clISt17integral_constantIbLb1EES10_IbLb0EEEEDaSW_SX_EUlSW_E_NS1_11comp_targetILNS1_3genE10ELNS1_11target_archE1201ELNS1_3gpuE5ELNS1_3repE0EEENS1_30default_config_static_selectorELNS0_4arch9wavefront6targetE0EEEvT1_
    .private_segment_fixed_size: 0
    .sgpr_count:     0
    .sgpr_spill_count: 0
    .symbol:         _ZN7rocprim17ROCPRIM_400000_NS6detail17trampoline_kernelINS0_14default_configENS1_27scan_by_key_config_selectorIitEEZZNS1_16scan_by_key_implILNS1_25lookback_scan_determinismE0ELb1ES3_N6thrust23THRUST_200600_302600_NS6detail15normal_iteratorINS9_10device_ptrIiEEEENSB_INSC_ItEEEESG_tNS9_4plusIvEENS9_8equal_toIvEEtEE10hipError_tPvRmT2_T3_T4_T5_mT6_T7_P12ihipStream_tbENKUlT_T0_E_clISt17integral_constantIbLb1EES10_IbLb0EEEEDaSW_SX_EUlSW_E_NS1_11comp_targetILNS1_3genE10ELNS1_11target_archE1201ELNS1_3gpuE5ELNS1_3repE0EEENS1_30default_config_static_selectorELNS0_4arch9wavefront6targetE0EEEvT1_.kd
    .uniform_work_group_size: 1
    .uses_dynamic_stack: false
    .vgpr_count:     0
    .vgpr_spill_count: 0
    .wavefront_size: 32
  - .args:
      - .offset:         0
        .size:           112
        .value_kind:     by_value
    .group_segment_fixed_size: 0
    .kernarg_segment_align: 8
    .kernarg_segment_size: 112
    .language:       OpenCL C
    .language_version:
      - 2
      - 0
    .max_flat_workgroup_size: 256
    .name:           _ZN7rocprim17ROCPRIM_400000_NS6detail17trampoline_kernelINS0_14default_configENS1_27scan_by_key_config_selectorIitEEZZNS1_16scan_by_key_implILNS1_25lookback_scan_determinismE0ELb1ES3_N6thrust23THRUST_200600_302600_NS6detail15normal_iteratorINS9_10device_ptrIiEEEENSB_INSC_ItEEEESG_tNS9_4plusIvEENS9_8equal_toIvEEtEE10hipError_tPvRmT2_T3_T4_T5_mT6_T7_P12ihipStream_tbENKUlT_T0_E_clISt17integral_constantIbLb1EES10_IbLb0EEEEDaSW_SX_EUlSW_E_NS1_11comp_targetILNS1_3genE5ELNS1_11target_archE942ELNS1_3gpuE9ELNS1_3repE0EEENS1_30default_config_static_selectorELNS0_4arch9wavefront6targetE0EEEvT1_
    .private_segment_fixed_size: 0
    .sgpr_count:     0
    .sgpr_spill_count: 0
    .symbol:         _ZN7rocprim17ROCPRIM_400000_NS6detail17trampoline_kernelINS0_14default_configENS1_27scan_by_key_config_selectorIitEEZZNS1_16scan_by_key_implILNS1_25lookback_scan_determinismE0ELb1ES3_N6thrust23THRUST_200600_302600_NS6detail15normal_iteratorINS9_10device_ptrIiEEEENSB_INSC_ItEEEESG_tNS9_4plusIvEENS9_8equal_toIvEEtEE10hipError_tPvRmT2_T3_T4_T5_mT6_T7_P12ihipStream_tbENKUlT_T0_E_clISt17integral_constantIbLb1EES10_IbLb0EEEEDaSW_SX_EUlSW_E_NS1_11comp_targetILNS1_3genE5ELNS1_11target_archE942ELNS1_3gpuE9ELNS1_3repE0EEENS1_30default_config_static_selectorELNS0_4arch9wavefront6targetE0EEEvT1_.kd
    .uniform_work_group_size: 1
    .uses_dynamic_stack: false
    .vgpr_count:     0
    .vgpr_spill_count: 0
    .wavefront_size: 32
  - .args:
      - .offset:         0
        .size:           112
        .value_kind:     by_value
    .group_segment_fixed_size: 0
    .kernarg_segment_align: 8
    .kernarg_segment_size: 112
    .language:       OpenCL C
    .language_version:
      - 2
      - 0
    .max_flat_workgroup_size: 64
    .name:           _ZN7rocprim17ROCPRIM_400000_NS6detail17trampoline_kernelINS0_14default_configENS1_27scan_by_key_config_selectorIitEEZZNS1_16scan_by_key_implILNS1_25lookback_scan_determinismE0ELb1ES3_N6thrust23THRUST_200600_302600_NS6detail15normal_iteratorINS9_10device_ptrIiEEEENSB_INSC_ItEEEESG_tNS9_4plusIvEENS9_8equal_toIvEEtEE10hipError_tPvRmT2_T3_T4_T5_mT6_T7_P12ihipStream_tbENKUlT_T0_E_clISt17integral_constantIbLb1EES10_IbLb0EEEEDaSW_SX_EUlSW_E_NS1_11comp_targetILNS1_3genE4ELNS1_11target_archE910ELNS1_3gpuE8ELNS1_3repE0EEENS1_30default_config_static_selectorELNS0_4arch9wavefront6targetE0EEEvT1_
    .private_segment_fixed_size: 0
    .sgpr_count:     0
    .sgpr_spill_count: 0
    .symbol:         _ZN7rocprim17ROCPRIM_400000_NS6detail17trampoline_kernelINS0_14default_configENS1_27scan_by_key_config_selectorIitEEZZNS1_16scan_by_key_implILNS1_25lookback_scan_determinismE0ELb1ES3_N6thrust23THRUST_200600_302600_NS6detail15normal_iteratorINS9_10device_ptrIiEEEENSB_INSC_ItEEEESG_tNS9_4plusIvEENS9_8equal_toIvEEtEE10hipError_tPvRmT2_T3_T4_T5_mT6_T7_P12ihipStream_tbENKUlT_T0_E_clISt17integral_constantIbLb1EES10_IbLb0EEEEDaSW_SX_EUlSW_E_NS1_11comp_targetILNS1_3genE4ELNS1_11target_archE910ELNS1_3gpuE8ELNS1_3repE0EEENS1_30default_config_static_selectorELNS0_4arch9wavefront6targetE0EEEvT1_.kd
    .uniform_work_group_size: 1
    .uses_dynamic_stack: false
    .vgpr_count:     0
    .vgpr_spill_count: 0
    .wavefront_size: 32
  - .args:
      - .offset:         0
        .size:           112
        .value_kind:     by_value
    .group_segment_fixed_size: 0
    .kernarg_segment_align: 8
    .kernarg_segment_size: 112
    .language:       OpenCL C
    .language_version:
      - 2
      - 0
    .max_flat_workgroup_size: 256
    .name:           _ZN7rocprim17ROCPRIM_400000_NS6detail17trampoline_kernelINS0_14default_configENS1_27scan_by_key_config_selectorIitEEZZNS1_16scan_by_key_implILNS1_25lookback_scan_determinismE0ELb1ES3_N6thrust23THRUST_200600_302600_NS6detail15normal_iteratorINS9_10device_ptrIiEEEENSB_INSC_ItEEEESG_tNS9_4plusIvEENS9_8equal_toIvEEtEE10hipError_tPvRmT2_T3_T4_T5_mT6_T7_P12ihipStream_tbENKUlT_T0_E_clISt17integral_constantIbLb1EES10_IbLb0EEEEDaSW_SX_EUlSW_E_NS1_11comp_targetILNS1_3genE3ELNS1_11target_archE908ELNS1_3gpuE7ELNS1_3repE0EEENS1_30default_config_static_selectorELNS0_4arch9wavefront6targetE0EEEvT1_
    .private_segment_fixed_size: 0
    .sgpr_count:     0
    .sgpr_spill_count: 0
    .symbol:         _ZN7rocprim17ROCPRIM_400000_NS6detail17trampoline_kernelINS0_14default_configENS1_27scan_by_key_config_selectorIitEEZZNS1_16scan_by_key_implILNS1_25lookback_scan_determinismE0ELb1ES3_N6thrust23THRUST_200600_302600_NS6detail15normal_iteratorINS9_10device_ptrIiEEEENSB_INSC_ItEEEESG_tNS9_4plusIvEENS9_8equal_toIvEEtEE10hipError_tPvRmT2_T3_T4_T5_mT6_T7_P12ihipStream_tbENKUlT_T0_E_clISt17integral_constantIbLb1EES10_IbLb0EEEEDaSW_SX_EUlSW_E_NS1_11comp_targetILNS1_3genE3ELNS1_11target_archE908ELNS1_3gpuE7ELNS1_3repE0EEENS1_30default_config_static_selectorELNS0_4arch9wavefront6targetE0EEEvT1_.kd
    .uniform_work_group_size: 1
    .uses_dynamic_stack: false
    .vgpr_count:     0
    .vgpr_spill_count: 0
    .wavefront_size: 32
  - .args:
      - .offset:         0
        .size:           112
        .value_kind:     by_value
    .group_segment_fixed_size: 0
    .kernarg_segment_align: 8
    .kernarg_segment_size: 112
    .language:       OpenCL C
    .language_version:
      - 2
      - 0
    .max_flat_workgroup_size: 64
    .name:           _ZN7rocprim17ROCPRIM_400000_NS6detail17trampoline_kernelINS0_14default_configENS1_27scan_by_key_config_selectorIitEEZZNS1_16scan_by_key_implILNS1_25lookback_scan_determinismE0ELb1ES3_N6thrust23THRUST_200600_302600_NS6detail15normal_iteratorINS9_10device_ptrIiEEEENSB_INSC_ItEEEESG_tNS9_4plusIvEENS9_8equal_toIvEEtEE10hipError_tPvRmT2_T3_T4_T5_mT6_T7_P12ihipStream_tbENKUlT_T0_E_clISt17integral_constantIbLb1EES10_IbLb0EEEEDaSW_SX_EUlSW_E_NS1_11comp_targetILNS1_3genE2ELNS1_11target_archE906ELNS1_3gpuE6ELNS1_3repE0EEENS1_30default_config_static_selectorELNS0_4arch9wavefront6targetE0EEEvT1_
    .private_segment_fixed_size: 0
    .sgpr_count:     0
    .sgpr_spill_count: 0
    .symbol:         _ZN7rocprim17ROCPRIM_400000_NS6detail17trampoline_kernelINS0_14default_configENS1_27scan_by_key_config_selectorIitEEZZNS1_16scan_by_key_implILNS1_25lookback_scan_determinismE0ELb1ES3_N6thrust23THRUST_200600_302600_NS6detail15normal_iteratorINS9_10device_ptrIiEEEENSB_INSC_ItEEEESG_tNS9_4plusIvEENS9_8equal_toIvEEtEE10hipError_tPvRmT2_T3_T4_T5_mT6_T7_P12ihipStream_tbENKUlT_T0_E_clISt17integral_constantIbLb1EES10_IbLb0EEEEDaSW_SX_EUlSW_E_NS1_11comp_targetILNS1_3genE2ELNS1_11target_archE906ELNS1_3gpuE6ELNS1_3repE0EEENS1_30default_config_static_selectorELNS0_4arch9wavefront6targetE0EEEvT1_.kd
    .uniform_work_group_size: 1
    .uses_dynamic_stack: false
    .vgpr_count:     0
    .vgpr_spill_count: 0
    .wavefront_size: 32
  - .args:
      - .offset:         0
        .size:           112
        .value_kind:     by_value
    .group_segment_fixed_size: 0
    .kernarg_segment_align: 8
    .kernarg_segment_size: 112
    .language:       OpenCL C
    .language_version:
      - 2
      - 0
    .max_flat_workgroup_size: 256
    .name:           _ZN7rocprim17ROCPRIM_400000_NS6detail17trampoline_kernelINS0_14default_configENS1_27scan_by_key_config_selectorIitEEZZNS1_16scan_by_key_implILNS1_25lookback_scan_determinismE0ELb1ES3_N6thrust23THRUST_200600_302600_NS6detail15normal_iteratorINS9_10device_ptrIiEEEENSB_INSC_ItEEEESG_tNS9_4plusIvEENS9_8equal_toIvEEtEE10hipError_tPvRmT2_T3_T4_T5_mT6_T7_P12ihipStream_tbENKUlT_T0_E_clISt17integral_constantIbLb1EES10_IbLb0EEEEDaSW_SX_EUlSW_E_NS1_11comp_targetILNS1_3genE10ELNS1_11target_archE1200ELNS1_3gpuE4ELNS1_3repE0EEENS1_30default_config_static_selectorELNS0_4arch9wavefront6targetE0EEEvT1_
    .private_segment_fixed_size: 0
    .sgpr_count:     0
    .sgpr_spill_count: 0
    .symbol:         _ZN7rocprim17ROCPRIM_400000_NS6detail17trampoline_kernelINS0_14default_configENS1_27scan_by_key_config_selectorIitEEZZNS1_16scan_by_key_implILNS1_25lookback_scan_determinismE0ELb1ES3_N6thrust23THRUST_200600_302600_NS6detail15normal_iteratorINS9_10device_ptrIiEEEENSB_INSC_ItEEEESG_tNS9_4plusIvEENS9_8equal_toIvEEtEE10hipError_tPvRmT2_T3_T4_T5_mT6_T7_P12ihipStream_tbENKUlT_T0_E_clISt17integral_constantIbLb1EES10_IbLb0EEEEDaSW_SX_EUlSW_E_NS1_11comp_targetILNS1_3genE10ELNS1_11target_archE1200ELNS1_3gpuE4ELNS1_3repE0EEENS1_30default_config_static_selectorELNS0_4arch9wavefront6targetE0EEEvT1_.kd
    .uniform_work_group_size: 1
    .uses_dynamic_stack: false
    .vgpr_count:     0
    .vgpr_spill_count: 0
    .wavefront_size: 32
  - .args:
      - .offset:         0
        .size:           112
        .value_kind:     by_value
    .group_segment_fixed_size: 0
    .kernarg_segment_align: 8
    .kernarg_segment_size: 112
    .language:       OpenCL C
    .language_version:
      - 2
      - 0
    .max_flat_workgroup_size: 64
    .name:           _ZN7rocprim17ROCPRIM_400000_NS6detail17trampoline_kernelINS0_14default_configENS1_27scan_by_key_config_selectorIitEEZZNS1_16scan_by_key_implILNS1_25lookback_scan_determinismE0ELb1ES3_N6thrust23THRUST_200600_302600_NS6detail15normal_iteratorINS9_10device_ptrIiEEEENSB_INSC_ItEEEESG_tNS9_4plusIvEENS9_8equal_toIvEEtEE10hipError_tPvRmT2_T3_T4_T5_mT6_T7_P12ihipStream_tbENKUlT_T0_E_clISt17integral_constantIbLb1EES10_IbLb0EEEEDaSW_SX_EUlSW_E_NS1_11comp_targetILNS1_3genE9ELNS1_11target_archE1100ELNS1_3gpuE3ELNS1_3repE0EEENS1_30default_config_static_selectorELNS0_4arch9wavefront6targetE0EEEvT1_
    .private_segment_fixed_size: 0
    .sgpr_count:     0
    .sgpr_spill_count: 0
    .symbol:         _ZN7rocprim17ROCPRIM_400000_NS6detail17trampoline_kernelINS0_14default_configENS1_27scan_by_key_config_selectorIitEEZZNS1_16scan_by_key_implILNS1_25lookback_scan_determinismE0ELb1ES3_N6thrust23THRUST_200600_302600_NS6detail15normal_iteratorINS9_10device_ptrIiEEEENSB_INSC_ItEEEESG_tNS9_4plusIvEENS9_8equal_toIvEEtEE10hipError_tPvRmT2_T3_T4_T5_mT6_T7_P12ihipStream_tbENKUlT_T0_E_clISt17integral_constantIbLb1EES10_IbLb0EEEEDaSW_SX_EUlSW_E_NS1_11comp_targetILNS1_3genE9ELNS1_11target_archE1100ELNS1_3gpuE3ELNS1_3repE0EEENS1_30default_config_static_selectorELNS0_4arch9wavefront6targetE0EEEvT1_.kd
    .uniform_work_group_size: 1
    .uses_dynamic_stack: false
    .vgpr_count:     0
    .vgpr_spill_count: 0
    .wavefront_size: 32
  - .args:
      - .offset:         0
        .size:           112
        .value_kind:     by_value
    .group_segment_fixed_size: 0
    .kernarg_segment_align: 8
    .kernarg_segment_size: 112
    .language:       OpenCL C
    .language_version:
      - 2
      - 0
    .max_flat_workgroup_size: 64
    .name:           _ZN7rocprim17ROCPRIM_400000_NS6detail17trampoline_kernelINS0_14default_configENS1_27scan_by_key_config_selectorIitEEZZNS1_16scan_by_key_implILNS1_25lookback_scan_determinismE0ELb1ES3_N6thrust23THRUST_200600_302600_NS6detail15normal_iteratorINS9_10device_ptrIiEEEENSB_INSC_ItEEEESG_tNS9_4plusIvEENS9_8equal_toIvEEtEE10hipError_tPvRmT2_T3_T4_T5_mT6_T7_P12ihipStream_tbENKUlT_T0_E_clISt17integral_constantIbLb1EES10_IbLb0EEEEDaSW_SX_EUlSW_E_NS1_11comp_targetILNS1_3genE8ELNS1_11target_archE1030ELNS1_3gpuE2ELNS1_3repE0EEENS1_30default_config_static_selectorELNS0_4arch9wavefront6targetE0EEEvT1_
    .private_segment_fixed_size: 0
    .sgpr_count:     0
    .sgpr_spill_count: 0
    .symbol:         _ZN7rocprim17ROCPRIM_400000_NS6detail17trampoline_kernelINS0_14default_configENS1_27scan_by_key_config_selectorIitEEZZNS1_16scan_by_key_implILNS1_25lookback_scan_determinismE0ELb1ES3_N6thrust23THRUST_200600_302600_NS6detail15normal_iteratorINS9_10device_ptrIiEEEENSB_INSC_ItEEEESG_tNS9_4plusIvEENS9_8equal_toIvEEtEE10hipError_tPvRmT2_T3_T4_T5_mT6_T7_P12ihipStream_tbENKUlT_T0_E_clISt17integral_constantIbLb1EES10_IbLb0EEEEDaSW_SX_EUlSW_E_NS1_11comp_targetILNS1_3genE8ELNS1_11target_archE1030ELNS1_3gpuE2ELNS1_3repE0EEENS1_30default_config_static_selectorELNS0_4arch9wavefront6targetE0EEEvT1_.kd
    .uniform_work_group_size: 1
    .uses_dynamic_stack: false
    .vgpr_count:     0
    .vgpr_spill_count: 0
    .wavefront_size: 32
  - .args:
      - .offset:         0
        .size:           112
        .value_kind:     by_value
    .group_segment_fixed_size: 16384
    .kernarg_segment_align: 8
    .kernarg_segment_size: 112
    .language:       OpenCL C
    .language_version:
      - 2
      - 0
    .max_flat_workgroup_size: 256
    .name:           _ZN7rocprim17ROCPRIM_400000_NS6detail17trampoline_kernelINS0_14default_configENS1_27scan_by_key_config_selectorIitEEZZNS1_16scan_by_key_implILNS1_25lookback_scan_determinismE0ELb1ES3_N6thrust23THRUST_200600_302600_NS6detail15normal_iteratorINS9_10device_ptrIiEEEENSB_INSC_ItEEEESG_tNS9_4plusIvEENS9_8equal_toIvEEtEE10hipError_tPvRmT2_T3_T4_T5_mT6_T7_P12ihipStream_tbENKUlT_T0_E_clISt17integral_constantIbLb0EES10_IbLb1EEEEDaSW_SX_EUlSW_E_NS1_11comp_targetILNS1_3genE0ELNS1_11target_archE4294967295ELNS1_3gpuE0ELNS1_3repE0EEENS1_30default_config_static_selectorELNS0_4arch9wavefront6targetE0EEEvT1_
    .private_segment_fixed_size: 0
    .sgpr_count:     42
    .sgpr_spill_count: 0
    .symbol:         _ZN7rocprim17ROCPRIM_400000_NS6detail17trampoline_kernelINS0_14default_configENS1_27scan_by_key_config_selectorIitEEZZNS1_16scan_by_key_implILNS1_25lookback_scan_determinismE0ELb1ES3_N6thrust23THRUST_200600_302600_NS6detail15normal_iteratorINS9_10device_ptrIiEEEENSB_INSC_ItEEEESG_tNS9_4plusIvEENS9_8equal_toIvEEtEE10hipError_tPvRmT2_T3_T4_T5_mT6_T7_P12ihipStream_tbENKUlT_T0_E_clISt17integral_constantIbLb0EES10_IbLb1EEEEDaSW_SX_EUlSW_E_NS1_11comp_targetILNS1_3genE0ELNS1_11target_archE4294967295ELNS1_3gpuE0ELNS1_3repE0EEENS1_30default_config_static_selectorELNS0_4arch9wavefront6targetE0EEEvT1_.kd
    .uniform_work_group_size: 1
    .uses_dynamic_stack: false
    .vgpr_count:     47
    .vgpr_spill_count: 0
    .wavefront_size: 32
  - .args:
      - .offset:         0
        .size:           112
        .value_kind:     by_value
    .group_segment_fixed_size: 0
    .kernarg_segment_align: 8
    .kernarg_segment_size: 112
    .language:       OpenCL C
    .language_version:
      - 2
      - 0
    .max_flat_workgroup_size: 256
    .name:           _ZN7rocprim17ROCPRIM_400000_NS6detail17trampoline_kernelINS0_14default_configENS1_27scan_by_key_config_selectorIitEEZZNS1_16scan_by_key_implILNS1_25lookback_scan_determinismE0ELb1ES3_N6thrust23THRUST_200600_302600_NS6detail15normal_iteratorINS9_10device_ptrIiEEEENSB_INSC_ItEEEESG_tNS9_4plusIvEENS9_8equal_toIvEEtEE10hipError_tPvRmT2_T3_T4_T5_mT6_T7_P12ihipStream_tbENKUlT_T0_E_clISt17integral_constantIbLb0EES10_IbLb1EEEEDaSW_SX_EUlSW_E_NS1_11comp_targetILNS1_3genE10ELNS1_11target_archE1201ELNS1_3gpuE5ELNS1_3repE0EEENS1_30default_config_static_selectorELNS0_4arch9wavefront6targetE0EEEvT1_
    .private_segment_fixed_size: 0
    .sgpr_count:     0
    .sgpr_spill_count: 0
    .symbol:         _ZN7rocprim17ROCPRIM_400000_NS6detail17trampoline_kernelINS0_14default_configENS1_27scan_by_key_config_selectorIitEEZZNS1_16scan_by_key_implILNS1_25lookback_scan_determinismE0ELb1ES3_N6thrust23THRUST_200600_302600_NS6detail15normal_iteratorINS9_10device_ptrIiEEEENSB_INSC_ItEEEESG_tNS9_4plusIvEENS9_8equal_toIvEEtEE10hipError_tPvRmT2_T3_T4_T5_mT6_T7_P12ihipStream_tbENKUlT_T0_E_clISt17integral_constantIbLb0EES10_IbLb1EEEEDaSW_SX_EUlSW_E_NS1_11comp_targetILNS1_3genE10ELNS1_11target_archE1201ELNS1_3gpuE5ELNS1_3repE0EEENS1_30default_config_static_selectorELNS0_4arch9wavefront6targetE0EEEvT1_.kd
    .uniform_work_group_size: 1
    .uses_dynamic_stack: false
    .vgpr_count:     0
    .vgpr_spill_count: 0
    .wavefront_size: 32
  - .args:
      - .offset:         0
        .size:           112
        .value_kind:     by_value
    .group_segment_fixed_size: 0
    .kernarg_segment_align: 8
    .kernarg_segment_size: 112
    .language:       OpenCL C
    .language_version:
      - 2
      - 0
    .max_flat_workgroup_size: 256
    .name:           _ZN7rocprim17ROCPRIM_400000_NS6detail17trampoline_kernelINS0_14default_configENS1_27scan_by_key_config_selectorIitEEZZNS1_16scan_by_key_implILNS1_25lookback_scan_determinismE0ELb1ES3_N6thrust23THRUST_200600_302600_NS6detail15normal_iteratorINS9_10device_ptrIiEEEENSB_INSC_ItEEEESG_tNS9_4plusIvEENS9_8equal_toIvEEtEE10hipError_tPvRmT2_T3_T4_T5_mT6_T7_P12ihipStream_tbENKUlT_T0_E_clISt17integral_constantIbLb0EES10_IbLb1EEEEDaSW_SX_EUlSW_E_NS1_11comp_targetILNS1_3genE5ELNS1_11target_archE942ELNS1_3gpuE9ELNS1_3repE0EEENS1_30default_config_static_selectorELNS0_4arch9wavefront6targetE0EEEvT1_
    .private_segment_fixed_size: 0
    .sgpr_count:     0
    .sgpr_spill_count: 0
    .symbol:         _ZN7rocprim17ROCPRIM_400000_NS6detail17trampoline_kernelINS0_14default_configENS1_27scan_by_key_config_selectorIitEEZZNS1_16scan_by_key_implILNS1_25lookback_scan_determinismE0ELb1ES3_N6thrust23THRUST_200600_302600_NS6detail15normal_iteratorINS9_10device_ptrIiEEEENSB_INSC_ItEEEESG_tNS9_4plusIvEENS9_8equal_toIvEEtEE10hipError_tPvRmT2_T3_T4_T5_mT6_T7_P12ihipStream_tbENKUlT_T0_E_clISt17integral_constantIbLb0EES10_IbLb1EEEEDaSW_SX_EUlSW_E_NS1_11comp_targetILNS1_3genE5ELNS1_11target_archE942ELNS1_3gpuE9ELNS1_3repE0EEENS1_30default_config_static_selectorELNS0_4arch9wavefront6targetE0EEEvT1_.kd
    .uniform_work_group_size: 1
    .uses_dynamic_stack: false
    .vgpr_count:     0
    .vgpr_spill_count: 0
    .wavefront_size: 32
  - .args:
      - .offset:         0
        .size:           112
        .value_kind:     by_value
    .group_segment_fixed_size: 0
    .kernarg_segment_align: 8
    .kernarg_segment_size: 112
    .language:       OpenCL C
    .language_version:
      - 2
      - 0
    .max_flat_workgroup_size: 64
    .name:           _ZN7rocprim17ROCPRIM_400000_NS6detail17trampoline_kernelINS0_14default_configENS1_27scan_by_key_config_selectorIitEEZZNS1_16scan_by_key_implILNS1_25lookback_scan_determinismE0ELb1ES3_N6thrust23THRUST_200600_302600_NS6detail15normal_iteratorINS9_10device_ptrIiEEEENSB_INSC_ItEEEESG_tNS9_4plusIvEENS9_8equal_toIvEEtEE10hipError_tPvRmT2_T3_T4_T5_mT6_T7_P12ihipStream_tbENKUlT_T0_E_clISt17integral_constantIbLb0EES10_IbLb1EEEEDaSW_SX_EUlSW_E_NS1_11comp_targetILNS1_3genE4ELNS1_11target_archE910ELNS1_3gpuE8ELNS1_3repE0EEENS1_30default_config_static_selectorELNS0_4arch9wavefront6targetE0EEEvT1_
    .private_segment_fixed_size: 0
    .sgpr_count:     0
    .sgpr_spill_count: 0
    .symbol:         _ZN7rocprim17ROCPRIM_400000_NS6detail17trampoline_kernelINS0_14default_configENS1_27scan_by_key_config_selectorIitEEZZNS1_16scan_by_key_implILNS1_25lookback_scan_determinismE0ELb1ES3_N6thrust23THRUST_200600_302600_NS6detail15normal_iteratorINS9_10device_ptrIiEEEENSB_INSC_ItEEEESG_tNS9_4plusIvEENS9_8equal_toIvEEtEE10hipError_tPvRmT2_T3_T4_T5_mT6_T7_P12ihipStream_tbENKUlT_T0_E_clISt17integral_constantIbLb0EES10_IbLb1EEEEDaSW_SX_EUlSW_E_NS1_11comp_targetILNS1_3genE4ELNS1_11target_archE910ELNS1_3gpuE8ELNS1_3repE0EEENS1_30default_config_static_selectorELNS0_4arch9wavefront6targetE0EEEvT1_.kd
    .uniform_work_group_size: 1
    .uses_dynamic_stack: false
    .vgpr_count:     0
    .vgpr_spill_count: 0
    .wavefront_size: 32
  - .args:
      - .offset:         0
        .size:           112
        .value_kind:     by_value
    .group_segment_fixed_size: 0
    .kernarg_segment_align: 8
    .kernarg_segment_size: 112
    .language:       OpenCL C
    .language_version:
      - 2
      - 0
    .max_flat_workgroup_size: 256
    .name:           _ZN7rocprim17ROCPRIM_400000_NS6detail17trampoline_kernelINS0_14default_configENS1_27scan_by_key_config_selectorIitEEZZNS1_16scan_by_key_implILNS1_25lookback_scan_determinismE0ELb1ES3_N6thrust23THRUST_200600_302600_NS6detail15normal_iteratorINS9_10device_ptrIiEEEENSB_INSC_ItEEEESG_tNS9_4plusIvEENS9_8equal_toIvEEtEE10hipError_tPvRmT2_T3_T4_T5_mT6_T7_P12ihipStream_tbENKUlT_T0_E_clISt17integral_constantIbLb0EES10_IbLb1EEEEDaSW_SX_EUlSW_E_NS1_11comp_targetILNS1_3genE3ELNS1_11target_archE908ELNS1_3gpuE7ELNS1_3repE0EEENS1_30default_config_static_selectorELNS0_4arch9wavefront6targetE0EEEvT1_
    .private_segment_fixed_size: 0
    .sgpr_count:     0
    .sgpr_spill_count: 0
    .symbol:         _ZN7rocprim17ROCPRIM_400000_NS6detail17trampoline_kernelINS0_14default_configENS1_27scan_by_key_config_selectorIitEEZZNS1_16scan_by_key_implILNS1_25lookback_scan_determinismE0ELb1ES3_N6thrust23THRUST_200600_302600_NS6detail15normal_iteratorINS9_10device_ptrIiEEEENSB_INSC_ItEEEESG_tNS9_4plusIvEENS9_8equal_toIvEEtEE10hipError_tPvRmT2_T3_T4_T5_mT6_T7_P12ihipStream_tbENKUlT_T0_E_clISt17integral_constantIbLb0EES10_IbLb1EEEEDaSW_SX_EUlSW_E_NS1_11comp_targetILNS1_3genE3ELNS1_11target_archE908ELNS1_3gpuE7ELNS1_3repE0EEENS1_30default_config_static_selectorELNS0_4arch9wavefront6targetE0EEEvT1_.kd
    .uniform_work_group_size: 1
    .uses_dynamic_stack: false
    .vgpr_count:     0
    .vgpr_spill_count: 0
    .wavefront_size: 32
  - .args:
      - .offset:         0
        .size:           112
        .value_kind:     by_value
    .group_segment_fixed_size: 0
    .kernarg_segment_align: 8
    .kernarg_segment_size: 112
    .language:       OpenCL C
    .language_version:
      - 2
      - 0
    .max_flat_workgroup_size: 64
    .name:           _ZN7rocprim17ROCPRIM_400000_NS6detail17trampoline_kernelINS0_14default_configENS1_27scan_by_key_config_selectorIitEEZZNS1_16scan_by_key_implILNS1_25lookback_scan_determinismE0ELb1ES3_N6thrust23THRUST_200600_302600_NS6detail15normal_iteratorINS9_10device_ptrIiEEEENSB_INSC_ItEEEESG_tNS9_4plusIvEENS9_8equal_toIvEEtEE10hipError_tPvRmT2_T3_T4_T5_mT6_T7_P12ihipStream_tbENKUlT_T0_E_clISt17integral_constantIbLb0EES10_IbLb1EEEEDaSW_SX_EUlSW_E_NS1_11comp_targetILNS1_3genE2ELNS1_11target_archE906ELNS1_3gpuE6ELNS1_3repE0EEENS1_30default_config_static_selectorELNS0_4arch9wavefront6targetE0EEEvT1_
    .private_segment_fixed_size: 0
    .sgpr_count:     0
    .sgpr_spill_count: 0
    .symbol:         _ZN7rocprim17ROCPRIM_400000_NS6detail17trampoline_kernelINS0_14default_configENS1_27scan_by_key_config_selectorIitEEZZNS1_16scan_by_key_implILNS1_25lookback_scan_determinismE0ELb1ES3_N6thrust23THRUST_200600_302600_NS6detail15normal_iteratorINS9_10device_ptrIiEEEENSB_INSC_ItEEEESG_tNS9_4plusIvEENS9_8equal_toIvEEtEE10hipError_tPvRmT2_T3_T4_T5_mT6_T7_P12ihipStream_tbENKUlT_T0_E_clISt17integral_constantIbLb0EES10_IbLb1EEEEDaSW_SX_EUlSW_E_NS1_11comp_targetILNS1_3genE2ELNS1_11target_archE906ELNS1_3gpuE6ELNS1_3repE0EEENS1_30default_config_static_selectorELNS0_4arch9wavefront6targetE0EEEvT1_.kd
    .uniform_work_group_size: 1
    .uses_dynamic_stack: false
    .vgpr_count:     0
    .vgpr_spill_count: 0
    .wavefront_size: 32
  - .args:
      - .offset:         0
        .size:           112
        .value_kind:     by_value
    .group_segment_fixed_size: 0
    .kernarg_segment_align: 8
    .kernarg_segment_size: 112
    .language:       OpenCL C
    .language_version:
      - 2
      - 0
    .max_flat_workgroup_size: 256
    .name:           _ZN7rocprim17ROCPRIM_400000_NS6detail17trampoline_kernelINS0_14default_configENS1_27scan_by_key_config_selectorIitEEZZNS1_16scan_by_key_implILNS1_25lookback_scan_determinismE0ELb1ES3_N6thrust23THRUST_200600_302600_NS6detail15normal_iteratorINS9_10device_ptrIiEEEENSB_INSC_ItEEEESG_tNS9_4plusIvEENS9_8equal_toIvEEtEE10hipError_tPvRmT2_T3_T4_T5_mT6_T7_P12ihipStream_tbENKUlT_T0_E_clISt17integral_constantIbLb0EES10_IbLb1EEEEDaSW_SX_EUlSW_E_NS1_11comp_targetILNS1_3genE10ELNS1_11target_archE1200ELNS1_3gpuE4ELNS1_3repE0EEENS1_30default_config_static_selectorELNS0_4arch9wavefront6targetE0EEEvT1_
    .private_segment_fixed_size: 0
    .sgpr_count:     0
    .sgpr_spill_count: 0
    .symbol:         _ZN7rocprim17ROCPRIM_400000_NS6detail17trampoline_kernelINS0_14default_configENS1_27scan_by_key_config_selectorIitEEZZNS1_16scan_by_key_implILNS1_25lookback_scan_determinismE0ELb1ES3_N6thrust23THRUST_200600_302600_NS6detail15normal_iteratorINS9_10device_ptrIiEEEENSB_INSC_ItEEEESG_tNS9_4plusIvEENS9_8equal_toIvEEtEE10hipError_tPvRmT2_T3_T4_T5_mT6_T7_P12ihipStream_tbENKUlT_T0_E_clISt17integral_constantIbLb0EES10_IbLb1EEEEDaSW_SX_EUlSW_E_NS1_11comp_targetILNS1_3genE10ELNS1_11target_archE1200ELNS1_3gpuE4ELNS1_3repE0EEENS1_30default_config_static_selectorELNS0_4arch9wavefront6targetE0EEEvT1_.kd
    .uniform_work_group_size: 1
    .uses_dynamic_stack: false
    .vgpr_count:     0
    .vgpr_spill_count: 0
    .wavefront_size: 32
  - .args:
      - .offset:         0
        .size:           112
        .value_kind:     by_value
    .group_segment_fixed_size: 0
    .kernarg_segment_align: 8
    .kernarg_segment_size: 112
    .language:       OpenCL C
    .language_version:
      - 2
      - 0
    .max_flat_workgroup_size: 64
    .name:           _ZN7rocprim17ROCPRIM_400000_NS6detail17trampoline_kernelINS0_14default_configENS1_27scan_by_key_config_selectorIitEEZZNS1_16scan_by_key_implILNS1_25lookback_scan_determinismE0ELb1ES3_N6thrust23THRUST_200600_302600_NS6detail15normal_iteratorINS9_10device_ptrIiEEEENSB_INSC_ItEEEESG_tNS9_4plusIvEENS9_8equal_toIvEEtEE10hipError_tPvRmT2_T3_T4_T5_mT6_T7_P12ihipStream_tbENKUlT_T0_E_clISt17integral_constantIbLb0EES10_IbLb1EEEEDaSW_SX_EUlSW_E_NS1_11comp_targetILNS1_3genE9ELNS1_11target_archE1100ELNS1_3gpuE3ELNS1_3repE0EEENS1_30default_config_static_selectorELNS0_4arch9wavefront6targetE0EEEvT1_
    .private_segment_fixed_size: 0
    .sgpr_count:     0
    .sgpr_spill_count: 0
    .symbol:         _ZN7rocprim17ROCPRIM_400000_NS6detail17trampoline_kernelINS0_14default_configENS1_27scan_by_key_config_selectorIitEEZZNS1_16scan_by_key_implILNS1_25lookback_scan_determinismE0ELb1ES3_N6thrust23THRUST_200600_302600_NS6detail15normal_iteratorINS9_10device_ptrIiEEEENSB_INSC_ItEEEESG_tNS9_4plusIvEENS9_8equal_toIvEEtEE10hipError_tPvRmT2_T3_T4_T5_mT6_T7_P12ihipStream_tbENKUlT_T0_E_clISt17integral_constantIbLb0EES10_IbLb1EEEEDaSW_SX_EUlSW_E_NS1_11comp_targetILNS1_3genE9ELNS1_11target_archE1100ELNS1_3gpuE3ELNS1_3repE0EEENS1_30default_config_static_selectorELNS0_4arch9wavefront6targetE0EEEvT1_.kd
    .uniform_work_group_size: 1
    .uses_dynamic_stack: false
    .vgpr_count:     0
    .vgpr_spill_count: 0
    .wavefront_size: 32
  - .args:
      - .offset:         0
        .size:           112
        .value_kind:     by_value
    .group_segment_fixed_size: 0
    .kernarg_segment_align: 8
    .kernarg_segment_size: 112
    .language:       OpenCL C
    .language_version:
      - 2
      - 0
    .max_flat_workgroup_size: 64
    .name:           _ZN7rocprim17ROCPRIM_400000_NS6detail17trampoline_kernelINS0_14default_configENS1_27scan_by_key_config_selectorIitEEZZNS1_16scan_by_key_implILNS1_25lookback_scan_determinismE0ELb1ES3_N6thrust23THRUST_200600_302600_NS6detail15normal_iteratorINS9_10device_ptrIiEEEENSB_INSC_ItEEEESG_tNS9_4plusIvEENS9_8equal_toIvEEtEE10hipError_tPvRmT2_T3_T4_T5_mT6_T7_P12ihipStream_tbENKUlT_T0_E_clISt17integral_constantIbLb0EES10_IbLb1EEEEDaSW_SX_EUlSW_E_NS1_11comp_targetILNS1_3genE8ELNS1_11target_archE1030ELNS1_3gpuE2ELNS1_3repE0EEENS1_30default_config_static_selectorELNS0_4arch9wavefront6targetE0EEEvT1_
    .private_segment_fixed_size: 0
    .sgpr_count:     0
    .sgpr_spill_count: 0
    .symbol:         _ZN7rocprim17ROCPRIM_400000_NS6detail17trampoline_kernelINS0_14default_configENS1_27scan_by_key_config_selectorIitEEZZNS1_16scan_by_key_implILNS1_25lookback_scan_determinismE0ELb1ES3_N6thrust23THRUST_200600_302600_NS6detail15normal_iteratorINS9_10device_ptrIiEEEENSB_INSC_ItEEEESG_tNS9_4plusIvEENS9_8equal_toIvEEtEE10hipError_tPvRmT2_T3_T4_T5_mT6_T7_P12ihipStream_tbENKUlT_T0_E_clISt17integral_constantIbLb0EES10_IbLb1EEEEDaSW_SX_EUlSW_E_NS1_11comp_targetILNS1_3genE8ELNS1_11target_archE1030ELNS1_3gpuE2ELNS1_3repE0EEENS1_30default_config_static_selectorELNS0_4arch9wavefront6targetE0EEEvT1_.kd
    .uniform_work_group_size: 1
    .uses_dynamic_stack: false
    .vgpr_count:     0
    .vgpr_spill_count: 0
    .wavefront_size: 32
  - .args:
      - .offset:         0
        .size:           136
        .value_kind:     by_value
    .group_segment_fixed_size: 10240
    .kernarg_segment_align: 8
    .kernarg_segment_size: 136
    .language:       OpenCL C
    .language_version:
      - 2
      - 0
    .max_flat_workgroup_size: 128
    .name:           _ZN7rocprim17ROCPRIM_400000_NS6detail17trampoline_kernelINS0_14default_configENS1_27scan_by_key_config_selectorIixEEZZNS1_16scan_by_key_implILNS1_25lookback_scan_determinismE0ELb1ES3_N6thrust23THRUST_200600_302600_NS6detail15normal_iteratorINS9_10device_ptrIiEEEENSB_INSC_IxEEEESG_xNS9_4plusIvEENS9_8equal_toIvEExEE10hipError_tPvRmT2_T3_T4_T5_mT6_T7_P12ihipStream_tbENKUlT_T0_E_clISt17integral_constantIbLb0EES11_EEDaSW_SX_EUlSW_E_NS1_11comp_targetILNS1_3genE0ELNS1_11target_archE4294967295ELNS1_3gpuE0ELNS1_3repE0EEENS1_30default_config_static_selectorELNS0_4arch9wavefront6targetE0EEEvT1_
    .private_segment_fixed_size: 0
    .sgpr_count:     51
    .sgpr_spill_count: 0
    .symbol:         _ZN7rocprim17ROCPRIM_400000_NS6detail17trampoline_kernelINS0_14default_configENS1_27scan_by_key_config_selectorIixEEZZNS1_16scan_by_key_implILNS1_25lookback_scan_determinismE0ELb1ES3_N6thrust23THRUST_200600_302600_NS6detail15normal_iteratorINS9_10device_ptrIiEEEENSB_INSC_IxEEEESG_xNS9_4plusIvEENS9_8equal_toIvEExEE10hipError_tPvRmT2_T3_T4_T5_mT6_T7_P12ihipStream_tbENKUlT_T0_E_clISt17integral_constantIbLb0EES11_EEDaSW_SX_EUlSW_E_NS1_11comp_targetILNS1_3genE0ELNS1_11target_archE4294967295ELNS1_3gpuE0ELNS1_3repE0EEENS1_30default_config_static_selectorELNS0_4arch9wavefront6targetE0EEEvT1_.kd
    .uniform_work_group_size: 1
    .uses_dynamic_stack: false
    .vgpr_count:     73
    .vgpr_spill_count: 0
    .wavefront_size: 32
  - .args:
      - .offset:         0
        .size:           136
        .value_kind:     by_value
    .group_segment_fixed_size: 0
    .kernarg_segment_align: 8
    .kernarg_segment_size: 136
    .language:       OpenCL C
    .language_version:
      - 2
      - 0
    .max_flat_workgroup_size: 256
    .name:           _ZN7rocprim17ROCPRIM_400000_NS6detail17trampoline_kernelINS0_14default_configENS1_27scan_by_key_config_selectorIixEEZZNS1_16scan_by_key_implILNS1_25lookback_scan_determinismE0ELb1ES3_N6thrust23THRUST_200600_302600_NS6detail15normal_iteratorINS9_10device_ptrIiEEEENSB_INSC_IxEEEESG_xNS9_4plusIvEENS9_8equal_toIvEExEE10hipError_tPvRmT2_T3_T4_T5_mT6_T7_P12ihipStream_tbENKUlT_T0_E_clISt17integral_constantIbLb0EES11_EEDaSW_SX_EUlSW_E_NS1_11comp_targetILNS1_3genE10ELNS1_11target_archE1201ELNS1_3gpuE5ELNS1_3repE0EEENS1_30default_config_static_selectorELNS0_4arch9wavefront6targetE0EEEvT1_
    .private_segment_fixed_size: 0
    .sgpr_count:     0
    .sgpr_spill_count: 0
    .symbol:         _ZN7rocprim17ROCPRIM_400000_NS6detail17trampoline_kernelINS0_14default_configENS1_27scan_by_key_config_selectorIixEEZZNS1_16scan_by_key_implILNS1_25lookback_scan_determinismE0ELb1ES3_N6thrust23THRUST_200600_302600_NS6detail15normal_iteratorINS9_10device_ptrIiEEEENSB_INSC_IxEEEESG_xNS9_4plusIvEENS9_8equal_toIvEExEE10hipError_tPvRmT2_T3_T4_T5_mT6_T7_P12ihipStream_tbENKUlT_T0_E_clISt17integral_constantIbLb0EES11_EEDaSW_SX_EUlSW_E_NS1_11comp_targetILNS1_3genE10ELNS1_11target_archE1201ELNS1_3gpuE5ELNS1_3repE0EEENS1_30default_config_static_selectorELNS0_4arch9wavefront6targetE0EEEvT1_.kd
    .uniform_work_group_size: 1
    .uses_dynamic_stack: false
    .vgpr_count:     0
    .vgpr_spill_count: 0
    .wavefront_size: 32
  - .args:
      - .offset:         0
        .size:           136
        .value_kind:     by_value
    .group_segment_fixed_size: 0
    .kernarg_segment_align: 8
    .kernarg_segment_size: 136
    .language:       OpenCL C
    .language_version:
      - 2
      - 0
    .max_flat_workgroup_size: 256
    .name:           _ZN7rocprim17ROCPRIM_400000_NS6detail17trampoline_kernelINS0_14default_configENS1_27scan_by_key_config_selectorIixEEZZNS1_16scan_by_key_implILNS1_25lookback_scan_determinismE0ELb1ES3_N6thrust23THRUST_200600_302600_NS6detail15normal_iteratorINS9_10device_ptrIiEEEENSB_INSC_IxEEEESG_xNS9_4plusIvEENS9_8equal_toIvEExEE10hipError_tPvRmT2_T3_T4_T5_mT6_T7_P12ihipStream_tbENKUlT_T0_E_clISt17integral_constantIbLb0EES11_EEDaSW_SX_EUlSW_E_NS1_11comp_targetILNS1_3genE5ELNS1_11target_archE942ELNS1_3gpuE9ELNS1_3repE0EEENS1_30default_config_static_selectorELNS0_4arch9wavefront6targetE0EEEvT1_
    .private_segment_fixed_size: 0
    .sgpr_count:     0
    .sgpr_spill_count: 0
    .symbol:         _ZN7rocprim17ROCPRIM_400000_NS6detail17trampoline_kernelINS0_14default_configENS1_27scan_by_key_config_selectorIixEEZZNS1_16scan_by_key_implILNS1_25lookback_scan_determinismE0ELb1ES3_N6thrust23THRUST_200600_302600_NS6detail15normal_iteratorINS9_10device_ptrIiEEEENSB_INSC_IxEEEESG_xNS9_4plusIvEENS9_8equal_toIvEExEE10hipError_tPvRmT2_T3_T4_T5_mT6_T7_P12ihipStream_tbENKUlT_T0_E_clISt17integral_constantIbLb0EES11_EEDaSW_SX_EUlSW_E_NS1_11comp_targetILNS1_3genE5ELNS1_11target_archE942ELNS1_3gpuE9ELNS1_3repE0EEENS1_30default_config_static_selectorELNS0_4arch9wavefront6targetE0EEEvT1_.kd
    .uniform_work_group_size: 1
    .uses_dynamic_stack: false
    .vgpr_count:     0
    .vgpr_spill_count: 0
    .wavefront_size: 32
  - .args:
      - .offset:         0
        .size:           136
        .value_kind:     by_value
    .group_segment_fixed_size: 0
    .kernarg_segment_align: 8
    .kernarg_segment_size: 136
    .language:       OpenCL C
    .language_version:
      - 2
      - 0
    .max_flat_workgroup_size: 64
    .name:           _ZN7rocprim17ROCPRIM_400000_NS6detail17trampoline_kernelINS0_14default_configENS1_27scan_by_key_config_selectorIixEEZZNS1_16scan_by_key_implILNS1_25lookback_scan_determinismE0ELb1ES3_N6thrust23THRUST_200600_302600_NS6detail15normal_iteratorINS9_10device_ptrIiEEEENSB_INSC_IxEEEESG_xNS9_4plusIvEENS9_8equal_toIvEExEE10hipError_tPvRmT2_T3_T4_T5_mT6_T7_P12ihipStream_tbENKUlT_T0_E_clISt17integral_constantIbLb0EES11_EEDaSW_SX_EUlSW_E_NS1_11comp_targetILNS1_3genE4ELNS1_11target_archE910ELNS1_3gpuE8ELNS1_3repE0EEENS1_30default_config_static_selectorELNS0_4arch9wavefront6targetE0EEEvT1_
    .private_segment_fixed_size: 0
    .sgpr_count:     0
    .sgpr_spill_count: 0
    .symbol:         _ZN7rocprim17ROCPRIM_400000_NS6detail17trampoline_kernelINS0_14default_configENS1_27scan_by_key_config_selectorIixEEZZNS1_16scan_by_key_implILNS1_25lookback_scan_determinismE0ELb1ES3_N6thrust23THRUST_200600_302600_NS6detail15normal_iteratorINS9_10device_ptrIiEEEENSB_INSC_IxEEEESG_xNS9_4plusIvEENS9_8equal_toIvEExEE10hipError_tPvRmT2_T3_T4_T5_mT6_T7_P12ihipStream_tbENKUlT_T0_E_clISt17integral_constantIbLb0EES11_EEDaSW_SX_EUlSW_E_NS1_11comp_targetILNS1_3genE4ELNS1_11target_archE910ELNS1_3gpuE8ELNS1_3repE0EEENS1_30default_config_static_selectorELNS0_4arch9wavefront6targetE0EEEvT1_.kd
    .uniform_work_group_size: 1
    .uses_dynamic_stack: false
    .vgpr_count:     0
    .vgpr_spill_count: 0
    .wavefront_size: 32
  - .args:
      - .offset:         0
        .size:           136
        .value_kind:     by_value
    .group_segment_fixed_size: 0
    .kernarg_segment_align: 8
    .kernarg_segment_size: 136
    .language:       OpenCL C
    .language_version:
      - 2
      - 0
    .max_flat_workgroup_size: 128
    .name:           _ZN7rocprim17ROCPRIM_400000_NS6detail17trampoline_kernelINS0_14default_configENS1_27scan_by_key_config_selectorIixEEZZNS1_16scan_by_key_implILNS1_25lookback_scan_determinismE0ELb1ES3_N6thrust23THRUST_200600_302600_NS6detail15normal_iteratorINS9_10device_ptrIiEEEENSB_INSC_IxEEEESG_xNS9_4plusIvEENS9_8equal_toIvEExEE10hipError_tPvRmT2_T3_T4_T5_mT6_T7_P12ihipStream_tbENKUlT_T0_E_clISt17integral_constantIbLb0EES11_EEDaSW_SX_EUlSW_E_NS1_11comp_targetILNS1_3genE3ELNS1_11target_archE908ELNS1_3gpuE7ELNS1_3repE0EEENS1_30default_config_static_selectorELNS0_4arch9wavefront6targetE0EEEvT1_
    .private_segment_fixed_size: 0
    .sgpr_count:     0
    .sgpr_spill_count: 0
    .symbol:         _ZN7rocprim17ROCPRIM_400000_NS6detail17trampoline_kernelINS0_14default_configENS1_27scan_by_key_config_selectorIixEEZZNS1_16scan_by_key_implILNS1_25lookback_scan_determinismE0ELb1ES3_N6thrust23THRUST_200600_302600_NS6detail15normal_iteratorINS9_10device_ptrIiEEEENSB_INSC_IxEEEESG_xNS9_4plusIvEENS9_8equal_toIvEExEE10hipError_tPvRmT2_T3_T4_T5_mT6_T7_P12ihipStream_tbENKUlT_T0_E_clISt17integral_constantIbLb0EES11_EEDaSW_SX_EUlSW_E_NS1_11comp_targetILNS1_3genE3ELNS1_11target_archE908ELNS1_3gpuE7ELNS1_3repE0EEENS1_30default_config_static_selectorELNS0_4arch9wavefront6targetE0EEEvT1_.kd
    .uniform_work_group_size: 1
    .uses_dynamic_stack: false
    .vgpr_count:     0
    .vgpr_spill_count: 0
    .wavefront_size: 32
  - .args:
      - .offset:         0
        .size:           136
        .value_kind:     by_value
    .group_segment_fixed_size: 0
    .kernarg_segment_align: 8
    .kernarg_segment_size: 136
    .language:       OpenCL C
    .language_version:
      - 2
      - 0
    .max_flat_workgroup_size: 64
    .name:           _ZN7rocprim17ROCPRIM_400000_NS6detail17trampoline_kernelINS0_14default_configENS1_27scan_by_key_config_selectorIixEEZZNS1_16scan_by_key_implILNS1_25lookback_scan_determinismE0ELb1ES3_N6thrust23THRUST_200600_302600_NS6detail15normal_iteratorINS9_10device_ptrIiEEEENSB_INSC_IxEEEESG_xNS9_4plusIvEENS9_8equal_toIvEExEE10hipError_tPvRmT2_T3_T4_T5_mT6_T7_P12ihipStream_tbENKUlT_T0_E_clISt17integral_constantIbLb0EES11_EEDaSW_SX_EUlSW_E_NS1_11comp_targetILNS1_3genE2ELNS1_11target_archE906ELNS1_3gpuE6ELNS1_3repE0EEENS1_30default_config_static_selectorELNS0_4arch9wavefront6targetE0EEEvT1_
    .private_segment_fixed_size: 0
    .sgpr_count:     0
    .sgpr_spill_count: 0
    .symbol:         _ZN7rocprim17ROCPRIM_400000_NS6detail17trampoline_kernelINS0_14default_configENS1_27scan_by_key_config_selectorIixEEZZNS1_16scan_by_key_implILNS1_25lookback_scan_determinismE0ELb1ES3_N6thrust23THRUST_200600_302600_NS6detail15normal_iteratorINS9_10device_ptrIiEEEENSB_INSC_IxEEEESG_xNS9_4plusIvEENS9_8equal_toIvEExEE10hipError_tPvRmT2_T3_T4_T5_mT6_T7_P12ihipStream_tbENKUlT_T0_E_clISt17integral_constantIbLb0EES11_EEDaSW_SX_EUlSW_E_NS1_11comp_targetILNS1_3genE2ELNS1_11target_archE906ELNS1_3gpuE6ELNS1_3repE0EEENS1_30default_config_static_selectorELNS0_4arch9wavefront6targetE0EEEvT1_.kd
    .uniform_work_group_size: 1
    .uses_dynamic_stack: false
    .vgpr_count:     0
    .vgpr_spill_count: 0
    .wavefront_size: 32
  - .args:
      - .offset:         0
        .size:           136
        .value_kind:     by_value
    .group_segment_fixed_size: 0
    .kernarg_segment_align: 8
    .kernarg_segment_size: 136
    .language:       OpenCL C
    .language_version:
      - 2
      - 0
    .max_flat_workgroup_size: 256
    .name:           _ZN7rocprim17ROCPRIM_400000_NS6detail17trampoline_kernelINS0_14default_configENS1_27scan_by_key_config_selectorIixEEZZNS1_16scan_by_key_implILNS1_25lookback_scan_determinismE0ELb1ES3_N6thrust23THRUST_200600_302600_NS6detail15normal_iteratorINS9_10device_ptrIiEEEENSB_INSC_IxEEEESG_xNS9_4plusIvEENS9_8equal_toIvEExEE10hipError_tPvRmT2_T3_T4_T5_mT6_T7_P12ihipStream_tbENKUlT_T0_E_clISt17integral_constantIbLb0EES11_EEDaSW_SX_EUlSW_E_NS1_11comp_targetILNS1_3genE10ELNS1_11target_archE1200ELNS1_3gpuE4ELNS1_3repE0EEENS1_30default_config_static_selectorELNS0_4arch9wavefront6targetE0EEEvT1_
    .private_segment_fixed_size: 0
    .sgpr_count:     0
    .sgpr_spill_count: 0
    .symbol:         _ZN7rocprim17ROCPRIM_400000_NS6detail17trampoline_kernelINS0_14default_configENS1_27scan_by_key_config_selectorIixEEZZNS1_16scan_by_key_implILNS1_25lookback_scan_determinismE0ELb1ES3_N6thrust23THRUST_200600_302600_NS6detail15normal_iteratorINS9_10device_ptrIiEEEENSB_INSC_IxEEEESG_xNS9_4plusIvEENS9_8equal_toIvEExEE10hipError_tPvRmT2_T3_T4_T5_mT6_T7_P12ihipStream_tbENKUlT_T0_E_clISt17integral_constantIbLb0EES11_EEDaSW_SX_EUlSW_E_NS1_11comp_targetILNS1_3genE10ELNS1_11target_archE1200ELNS1_3gpuE4ELNS1_3repE0EEENS1_30default_config_static_selectorELNS0_4arch9wavefront6targetE0EEEvT1_.kd
    .uniform_work_group_size: 1
    .uses_dynamic_stack: false
    .vgpr_count:     0
    .vgpr_spill_count: 0
    .wavefront_size: 32
  - .args:
      - .offset:         0
        .size:           136
        .value_kind:     by_value
    .group_segment_fixed_size: 0
    .kernarg_segment_align: 8
    .kernarg_segment_size: 136
    .language:       OpenCL C
    .language_version:
      - 2
      - 0
    .max_flat_workgroup_size: 256
    .name:           _ZN7rocprim17ROCPRIM_400000_NS6detail17trampoline_kernelINS0_14default_configENS1_27scan_by_key_config_selectorIixEEZZNS1_16scan_by_key_implILNS1_25lookback_scan_determinismE0ELb1ES3_N6thrust23THRUST_200600_302600_NS6detail15normal_iteratorINS9_10device_ptrIiEEEENSB_INSC_IxEEEESG_xNS9_4plusIvEENS9_8equal_toIvEExEE10hipError_tPvRmT2_T3_T4_T5_mT6_T7_P12ihipStream_tbENKUlT_T0_E_clISt17integral_constantIbLb0EES11_EEDaSW_SX_EUlSW_E_NS1_11comp_targetILNS1_3genE9ELNS1_11target_archE1100ELNS1_3gpuE3ELNS1_3repE0EEENS1_30default_config_static_selectorELNS0_4arch9wavefront6targetE0EEEvT1_
    .private_segment_fixed_size: 0
    .sgpr_count:     0
    .sgpr_spill_count: 0
    .symbol:         _ZN7rocprim17ROCPRIM_400000_NS6detail17trampoline_kernelINS0_14default_configENS1_27scan_by_key_config_selectorIixEEZZNS1_16scan_by_key_implILNS1_25lookback_scan_determinismE0ELb1ES3_N6thrust23THRUST_200600_302600_NS6detail15normal_iteratorINS9_10device_ptrIiEEEENSB_INSC_IxEEEESG_xNS9_4plusIvEENS9_8equal_toIvEExEE10hipError_tPvRmT2_T3_T4_T5_mT6_T7_P12ihipStream_tbENKUlT_T0_E_clISt17integral_constantIbLb0EES11_EEDaSW_SX_EUlSW_E_NS1_11comp_targetILNS1_3genE9ELNS1_11target_archE1100ELNS1_3gpuE3ELNS1_3repE0EEENS1_30default_config_static_selectorELNS0_4arch9wavefront6targetE0EEEvT1_.kd
    .uniform_work_group_size: 1
    .uses_dynamic_stack: false
    .vgpr_count:     0
    .vgpr_spill_count: 0
    .wavefront_size: 32
  - .args:
      - .offset:         0
        .size:           136
        .value_kind:     by_value
    .group_segment_fixed_size: 0
    .kernarg_segment_align: 8
    .kernarg_segment_size: 136
    .language:       OpenCL C
    .language_version:
      - 2
      - 0
    .max_flat_workgroup_size: 256
    .name:           _ZN7rocprim17ROCPRIM_400000_NS6detail17trampoline_kernelINS0_14default_configENS1_27scan_by_key_config_selectorIixEEZZNS1_16scan_by_key_implILNS1_25lookback_scan_determinismE0ELb1ES3_N6thrust23THRUST_200600_302600_NS6detail15normal_iteratorINS9_10device_ptrIiEEEENSB_INSC_IxEEEESG_xNS9_4plusIvEENS9_8equal_toIvEExEE10hipError_tPvRmT2_T3_T4_T5_mT6_T7_P12ihipStream_tbENKUlT_T0_E_clISt17integral_constantIbLb0EES11_EEDaSW_SX_EUlSW_E_NS1_11comp_targetILNS1_3genE8ELNS1_11target_archE1030ELNS1_3gpuE2ELNS1_3repE0EEENS1_30default_config_static_selectorELNS0_4arch9wavefront6targetE0EEEvT1_
    .private_segment_fixed_size: 0
    .sgpr_count:     0
    .sgpr_spill_count: 0
    .symbol:         _ZN7rocprim17ROCPRIM_400000_NS6detail17trampoline_kernelINS0_14default_configENS1_27scan_by_key_config_selectorIixEEZZNS1_16scan_by_key_implILNS1_25lookback_scan_determinismE0ELb1ES3_N6thrust23THRUST_200600_302600_NS6detail15normal_iteratorINS9_10device_ptrIiEEEENSB_INSC_IxEEEESG_xNS9_4plusIvEENS9_8equal_toIvEExEE10hipError_tPvRmT2_T3_T4_T5_mT6_T7_P12ihipStream_tbENKUlT_T0_E_clISt17integral_constantIbLb0EES11_EEDaSW_SX_EUlSW_E_NS1_11comp_targetILNS1_3genE8ELNS1_11target_archE1030ELNS1_3gpuE2ELNS1_3repE0EEENS1_30default_config_static_selectorELNS0_4arch9wavefront6targetE0EEEvT1_.kd
    .uniform_work_group_size: 1
    .uses_dynamic_stack: false
    .vgpr_count:     0
    .vgpr_spill_count: 0
    .wavefront_size: 32
  - .args:
      - .offset:         0
        .size:           136
        .value_kind:     by_value
    .group_segment_fixed_size: 0
    .kernarg_segment_align: 8
    .kernarg_segment_size: 136
    .language:       OpenCL C
    .language_version:
      - 2
      - 0
    .max_flat_workgroup_size: 128
    .name:           _ZN7rocprim17ROCPRIM_400000_NS6detail17trampoline_kernelINS0_14default_configENS1_27scan_by_key_config_selectorIixEEZZNS1_16scan_by_key_implILNS1_25lookback_scan_determinismE0ELb1ES3_N6thrust23THRUST_200600_302600_NS6detail15normal_iteratorINS9_10device_ptrIiEEEENSB_INSC_IxEEEESG_xNS9_4plusIvEENS9_8equal_toIvEExEE10hipError_tPvRmT2_T3_T4_T5_mT6_T7_P12ihipStream_tbENKUlT_T0_E_clISt17integral_constantIbLb1EES11_EEDaSW_SX_EUlSW_E_NS1_11comp_targetILNS1_3genE0ELNS1_11target_archE4294967295ELNS1_3gpuE0ELNS1_3repE0EEENS1_30default_config_static_selectorELNS0_4arch9wavefront6targetE0EEEvT1_
    .private_segment_fixed_size: 0
    .sgpr_count:     0
    .sgpr_spill_count: 0
    .symbol:         _ZN7rocprim17ROCPRIM_400000_NS6detail17trampoline_kernelINS0_14default_configENS1_27scan_by_key_config_selectorIixEEZZNS1_16scan_by_key_implILNS1_25lookback_scan_determinismE0ELb1ES3_N6thrust23THRUST_200600_302600_NS6detail15normal_iteratorINS9_10device_ptrIiEEEENSB_INSC_IxEEEESG_xNS9_4plusIvEENS9_8equal_toIvEExEE10hipError_tPvRmT2_T3_T4_T5_mT6_T7_P12ihipStream_tbENKUlT_T0_E_clISt17integral_constantIbLb1EES11_EEDaSW_SX_EUlSW_E_NS1_11comp_targetILNS1_3genE0ELNS1_11target_archE4294967295ELNS1_3gpuE0ELNS1_3repE0EEENS1_30default_config_static_selectorELNS0_4arch9wavefront6targetE0EEEvT1_.kd
    .uniform_work_group_size: 1
    .uses_dynamic_stack: false
    .vgpr_count:     0
    .vgpr_spill_count: 0
    .wavefront_size: 32
  - .args:
      - .offset:         0
        .size:           136
        .value_kind:     by_value
    .group_segment_fixed_size: 0
    .kernarg_segment_align: 8
    .kernarg_segment_size: 136
    .language:       OpenCL C
    .language_version:
      - 2
      - 0
    .max_flat_workgroup_size: 256
    .name:           _ZN7rocprim17ROCPRIM_400000_NS6detail17trampoline_kernelINS0_14default_configENS1_27scan_by_key_config_selectorIixEEZZNS1_16scan_by_key_implILNS1_25lookback_scan_determinismE0ELb1ES3_N6thrust23THRUST_200600_302600_NS6detail15normal_iteratorINS9_10device_ptrIiEEEENSB_INSC_IxEEEESG_xNS9_4plusIvEENS9_8equal_toIvEExEE10hipError_tPvRmT2_T3_T4_T5_mT6_T7_P12ihipStream_tbENKUlT_T0_E_clISt17integral_constantIbLb1EES11_EEDaSW_SX_EUlSW_E_NS1_11comp_targetILNS1_3genE10ELNS1_11target_archE1201ELNS1_3gpuE5ELNS1_3repE0EEENS1_30default_config_static_selectorELNS0_4arch9wavefront6targetE0EEEvT1_
    .private_segment_fixed_size: 0
    .sgpr_count:     0
    .sgpr_spill_count: 0
    .symbol:         _ZN7rocprim17ROCPRIM_400000_NS6detail17trampoline_kernelINS0_14default_configENS1_27scan_by_key_config_selectorIixEEZZNS1_16scan_by_key_implILNS1_25lookback_scan_determinismE0ELb1ES3_N6thrust23THRUST_200600_302600_NS6detail15normal_iteratorINS9_10device_ptrIiEEEENSB_INSC_IxEEEESG_xNS9_4plusIvEENS9_8equal_toIvEExEE10hipError_tPvRmT2_T3_T4_T5_mT6_T7_P12ihipStream_tbENKUlT_T0_E_clISt17integral_constantIbLb1EES11_EEDaSW_SX_EUlSW_E_NS1_11comp_targetILNS1_3genE10ELNS1_11target_archE1201ELNS1_3gpuE5ELNS1_3repE0EEENS1_30default_config_static_selectorELNS0_4arch9wavefront6targetE0EEEvT1_.kd
    .uniform_work_group_size: 1
    .uses_dynamic_stack: false
    .vgpr_count:     0
    .vgpr_spill_count: 0
    .wavefront_size: 32
  - .args:
      - .offset:         0
        .size:           136
        .value_kind:     by_value
    .group_segment_fixed_size: 0
    .kernarg_segment_align: 8
    .kernarg_segment_size: 136
    .language:       OpenCL C
    .language_version:
      - 2
      - 0
    .max_flat_workgroup_size: 256
    .name:           _ZN7rocprim17ROCPRIM_400000_NS6detail17trampoline_kernelINS0_14default_configENS1_27scan_by_key_config_selectorIixEEZZNS1_16scan_by_key_implILNS1_25lookback_scan_determinismE0ELb1ES3_N6thrust23THRUST_200600_302600_NS6detail15normal_iteratorINS9_10device_ptrIiEEEENSB_INSC_IxEEEESG_xNS9_4plusIvEENS9_8equal_toIvEExEE10hipError_tPvRmT2_T3_T4_T5_mT6_T7_P12ihipStream_tbENKUlT_T0_E_clISt17integral_constantIbLb1EES11_EEDaSW_SX_EUlSW_E_NS1_11comp_targetILNS1_3genE5ELNS1_11target_archE942ELNS1_3gpuE9ELNS1_3repE0EEENS1_30default_config_static_selectorELNS0_4arch9wavefront6targetE0EEEvT1_
    .private_segment_fixed_size: 0
    .sgpr_count:     0
    .sgpr_spill_count: 0
    .symbol:         _ZN7rocprim17ROCPRIM_400000_NS6detail17trampoline_kernelINS0_14default_configENS1_27scan_by_key_config_selectorIixEEZZNS1_16scan_by_key_implILNS1_25lookback_scan_determinismE0ELb1ES3_N6thrust23THRUST_200600_302600_NS6detail15normal_iteratorINS9_10device_ptrIiEEEENSB_INSC_IxEEEESG_xNS9_4plusIvEENS9_8equal_toIvEExEE10hipError_tPvRmT2_T3_T4_T5_mT6_T7_P12ihipStream_tbENKUlT_T0_E_clISt17integral_constantIbLb1EES11_EEDaSW_SX_EUlSW_E_NS1_11comp_targetILNS1_3genE5ELNS1_11target_archE942ELNS1_3gpuE9ELNS1_3repE0EEENS1_30default_config_static_selectorELNS0_4arch9wavefront6targetE0EEEvT1_.kd
    .uniform_work_group_size: 1
    .uses_dynamic_stack: false
    .vgpr_count:     0
    .vgpr_spill_count: 0
    .wavefront_size: 32
  - .args:
      - .offset:         0
        .size:           136
        .value_kind:     by_value
    .group_segment_fixed_size: 0
    .kernarg_segment_align: 8
    .kernarg_segment_size: 136
    .language:       OpenCL C
    .language_version:
      - 2
      - 0
    .max_flat_workgroup_size: 64
    .name:           _ZN7rocprim17ROCPRIM_400000_NS6detail17trampoline_kernelINS0_14default_configENS1_27scan_by_key_config_selectorIixEEZZNS1_16scan_by_key_implILNS1_25lookback_scan_determinismE0ELb1ES3_N6thrust23THRUST_200600_302600_NS6detail15normal_iteratorINS9_10device_ptrIiEEEENSB_INSC_IxEEEESG_xNS9_4plusIvEENS9_8equal_toIvEExEE10hipError_tPvRmT2_T3_T4_T5_mT6_T7_P12ihipStream_tbENKUlT_T0_E_clISt17integral_constantIbLb1EES11_EEDaSW_SX_EUlSW_E_NS1_11comp_targetILNS1_3genE4ELNS1_11target_archE910ELNS1_3gpuE8ELNS1_3repE0EEENS1_30default_config_static_selectorELNS0_4arch9wavefront6targetE0EEEvT1_
    .private_segment_fixed_size: 0
    .sgpr_count:     0
    .sgpr_spill_count: 0
    .symbol:         _ZN7rocprim17ROCPRIM_400000_NS6detail17trampoline_kernelINS0_14default_configENS1_27scan_by_key_config_selectorIixEEZZNS1_16scan_by_key_implILNS1_25lookback_scan_determinismE0ELb1ES3_N6thrust23THRUST_200600_302600_NS6detail15normal_iteratorINS9_10device_ptrIiEEEENSB_INSC_IxEEEESG_xNS9_4plusIvEENS9_8equal_toIvEExEE10hipError_tPvRmT2_T3_T4_T5_mT6_T7_P12ihipStream_tbENKUlT_T0_E_clISt17integral_constantIbLb1EES11_EEDaSW_SX_EUlSW_E_NS1_11comp_targetILNS1_3genE4ELNS1_11target_archE910ELNS1_3gpuE8ELNS1_3repE0EEENS1_30default_config_static_selectorELNS0_4arch9wavefront6targetE0EEEvT1_.kd
    .uniform_work_group_size: 1
    .uses_dynamic_stack: false
    .vgpr_count:     0
    .vgpr_spill_count: 0
    .wavefront_size: 32
  - .args:
      - .offset:         0
        .size:           136
        .value_kind:     by_value
    .group_segment_fixed_size: 0
    .kernarg_segment_align: 8
    .kernarg_segment_size: 136
    .language:       OpenCL C
    .language_version:
      - 2
      - 0
    .max_flat_workgroup_size: 128
    .name:           _ZN7rocprim17ROCPRIM_400000_NS6detail17trampoline_kernelINS0_14default_configENS1_27scan_by_key_config_selectorIixEEZZNS1_16scan_by_key_implILNS1_25lookback_scan_determinismE0ELb1ES3_N6thrust23THRUST_200600_302600_NS6detail15normal_iteratorINS9_10device_ptrIiEEEENSB_INSC_IxEEEESG_xNS9_4plusIvEENS9_8equal_toIvEExEE10hipError_tPvRmT2_T3_T4_T5_mT6_T7_P12ihipStream_tbENKUlT_T0_E_clISt17integral_constantIbLb1EES11_EEDaSW_SX_EUlSW_E_NS1_11comp_targetILNS1_3genE3ELNS1_11target_archE908ELNS1_3gpuE7ELNS1_3repE0EEENS1_30default_config_static_selectorELNS0_4arch9wavefront6targetE0EEEvT1_
    .private_segment_fixed_size: 0
    .sgpr_count:     0
    .sgpr_spill_count: 0
    .symbol:         _ZN7rocprim17ROCPRIM_400000_NS6detail17trampoline_kernelINS0_14default_configENS1_27scan_by_key_config_selectorIixEEZZNS1_16scan_by_key_implILNS1_25lookback_scan_determinismE0ELb1ES3_N6thrust23THRUST_200600_302600_NS6detail15normal_iteratorINS9_10device_ptrIiEEEENSB_INSC_IxEEEESG_xNS9_4plusIvEENS9_8equal_toIvEExEE10hipError_tPvRmT2_T3_T4_T5_mT6_T7_P12ihipStream_tbENKUlT_T0_E_clISt17integral_constantIbLb1EES11_EEDaSW_SX_EUlSW_E_NS1_11comp_targetILNS1_3genE3ELNS1_11target_archE908ELNS1_3gpuE7ELNS1_3repE0EEENS1_30default_config_static_selectorELNS0_4arch9wavefront6targetE0EEEvT1_.kd
    .uniform_work_group_size: 1
    .uses_dynamic_stack: false
    .vgpr_count:     0
    .vgpr_spill_count: 0
    .wavefront_size: 32
  - .args:
      - .offset:         0
        .size:           136
        .value_kind:     by_value
    .group_segment_fixed_size: 0
    .kernarg_segment_align: 8
    .kernarg_segment_size: 136
    .language:       OpenCL C
    .language_version:
      - 2
      - 0
    .max_flat_workgroup_size: 64
    .name:           _ZN7rocprim17ROCPRIM_400000_NS6detail17trampoline_kernelINS0_14default_configENS1_27scan_by_key_config_selectorIixEEZZNS1_16scan_by_key_implILNS1_25lookback_scan_determinismE0ELb1ES3_N6thrust23THRUST_200600_302600_NS6detail15normal_iteratorINS9_10device_ptrIiEEEENSB_INSC_IxEEEESG_xNS9_4plusIvEENS9_8equal_toIvEExEE10hipError_tPvRmT2_T3_T4_T5_mT6_T7_P12ihipStream_tbENKUlT_T0_E_clISt17integral_constantIbLb1EES11_EEDaSW_SX_EUlSW_E_NS1_11comp_targetILNS1_3genE2ELNS1_11target_archE906ELNS1_3gpuE6ELNS1_3repE0EEENS1_30default_config_static_selectorELNS0_4arch9wavefront6targetE0EEEvT1_
    .private_segment_fixed_size: 0
    .sgpr_count:     0
    .sgpr_spill_count: 0
    .symbol:         _ZN7rocprim17ROCPRIM_400000_NS6detail17trampoline_kernelINS0_14default_configENS1_27scan_by_key_config_selectorIixEEZZNS1_16scan_by_key_implILNS1_25lookback_scan_determinismE0ELb1ES3_N6thrust23THRUST_200600_302600_NS6detail15normal_iteratorINS9_10device_ptrIiEEEENSB_INSC_IxEEEESG_xNS9_4plusIvEENS9_8equal_toIvEExEE10hipError_tPvRmT2_T3_T4_T5_mT6_T7_P12ihipStream_tbENKUlT_T0_E_clISt17integral_constantIbLb1EES11_EEDaSW_SX_EUlSW_E_NS1_11comp_targetILNS1_3genE2ELNS1_11target_archE906ELNS1_3gpuE6ELNS1_3repE0EEENS1_30default_config_static_selectorELNS0_4arch9wavefront6targetE0EEEvT1_.kd
    .uniform_work_group_size: 1
    .uses_dynamic_stack: false
    .vgpr_count:     0
    .vgpr_spill_count: 0
    .wavefront_size: 32
  - .args:
      - .offset:         0
        .size:           136
        .value_kind:     by_value
    .group_segment_fixed_size: 0
    .kernarg_segment_align: 8
    .kernarg_segment_size: 136
    .language:       OpenCL C
    .language_version:
      - 2
      - 0
    .max_flat_workgroup_size: 256
    .name:           _ZN7rocprim17ROCPRIM_400000_NS6detail17trampoline_kernelINS0_14default_configENS1_27scan_by_key_config_selectorIixEEZZNS1_16scan_by_key_implILNS1_25lookback_scan_determinismE0ELb1ES3_N6thrust23THRUST_200600_302600_NS6detail15normal_iteratorINS9_10device_ptrIiEEEENSB_INSC_IxEEEESG_xNS9_4plusIvEENS9_8equal_toIvEExEE10hipError_tPvRmT2_T3_T4_T5_mT6_T7_P12ihipStream_tbENKUlT_T0_E_clISt17integral_constantIbLb1EES11_EEDaSW_SX_EUlSW_E_NS1_11comp_targetILNS1_3genE10ELNS1_11target_archE1200ELNS1_3gpuE4ELNS1_3repE0EEENS1_30default_config_static_selectorELNS0_4arch9wavefront6targetE0EEEvT1_
    .private_segment_fixed_size: 0
    .sgpr_count:     0
    .sgpr_spill_count: 0
    .symbol:         _ZN7rocprim17ROCPRIM_400000_NS6detail17trampoline_kernelINS0_14default_configENS1_27scan_by_key_config_selectorIixEEZZNS1_16scan_by_key_implILNS1_25lookback_scan_determinismE0ELb1ES3_N6thrust23THRUST_200600_302600_NS6detail15normal_iteratorINS9_10device_ptrIiEEEENSB_INSC_IxEEEESG_xNS9_4plusIvEENS9_8equal_toIvEExEE10hipError_tPvRmT2_T3_T4_T5_mT6_T7_P12ihipStream_tbENKUlT_T0_E_clISt17integral_constantIbLb1EES11_EEDaSW_SX_EUlSW_E_NS1_11comp_targetILNS1_3genE10ELNS1_11target_archE1200ELNS1_3gpuE4ELNS1_3repE0EEENS1_30default_config_static_selectorELNS0_4arch9wavefront6targetE0EEEvT1_.kd
    .uniform_work_group_size: 1
    .uses_dynamic_stack: false
    .vgpr_count:     0
    .vgpr_spill_count: 0
    .wavefront_size: 32
  - .args:
      - .offset:         0
        .size:           136
        .value_kind:     by_value
    .group_segment_fixed_size: 0
    .kernarg_segment_align: 8
    .kernarg_segment_size: 136
    .language:       OpenCL C
    .language_version:
      - 2
      - 0
    .max_flat_workgroup_size: 256
    .name:           _ZN7rocprim17ROCPRIM_400000_NS6detail17trampoline_kernelINS0_14default_configENS1_27scan_by_key_config_selectorIixEEZZNS1_16scan_by_key_implILNS1_25lookback_scan_determinismE0ELb1ES3_N6thrust23THRUST_200600_302600_NS6detail15normal_iteratorINS9_10device_ptrIiEEEENSB_INSC_IxEEEESG_xNS9_4plusIvEENS9_8equal_toIvEExEE10hipError_tPvRmT2_T3_T4_T5_mT6_T7_P12ihipStream_tbENKUlT_T0_E_clISt17integral_constantIbLb1EES11_EEDaSW_SX_EUlSW_E_NS1_11comp_targetILNS1_3genE9ELNS1_11target_archE1100ELNS1_3gpuE3ELNS1_3repE0EEENS1_30default_config_static_selectorELNS0_4arch9wavefront6targetE0EEEvT1_
    .private_segment_fixed_size: 0
    .sgpr_count:     0
    .sgpr_spill_count: 0
    .symbol:         _ZN7rocprim17ROCPRIM_400000_NS6detail17trampoline_kernelINS0_14default_configENS1_27scan_by_key_config_selectorIixEEZZNS1_16scan_by_key_implILNS1_25lookback_scan_determinismE0ELb1ES3_N6thrust23THRUST_200600_302600_NS6detail15normal_iteratorINS9_10device_ptrIiEEEENSB_INSC_IxEEEESG_xNS9_4plusIvEENS9_8equal_toIvEExEE10hipError_tPvRmT2_T3_T4_T5_mT6_T7_P12ihipStream_tbENKUlT_T0_E_clISt17integral_constantIbLb1EES11_EEDaSW_SX_EUlSW_E_NS1_11comp_targetILNS1_3genE9ELNS1_11target_archE1100ELNS1_3gpuE3ELNS1_3repE0EEENS1_30default_config_static_selectorELNS0_4arch9wavefront6targetE0EEEvT1_.kd
    .uniform_work_group_size: 1
    .uses_dynamic_stack: false
    .vgpr_count:     0
    .vgpr_spill_count: 0
    .wavefront_size: 32
  - .args:
      - .offset:         0
        .size:           136
        .value_kind:     by_value
    .group_segment_fixed_size: 0
    .kernarg_segment_align: 8
    .kernarg_segment_size: 136
    .language:       OpenCL C
    .language_version:
      - 2
      - 0
    .max_flat_workgroup_size: 256
    .name:           _ZN7rocprim17ROCPRIM_400000_NS6detail17trampoline_kernelINS0_14default_configENS1_27scan_by_key_config_selectorIixEEZZNS1_16scan_by_key_implILNS1_25lookback_scan_determinismE0ELb1ES3_N6thrust23THRUST_200600_302600_NS6detail15normal_iteratorINS9_10device_ptrIiEEEENSB_INSC_IxEEEESG_xNS9_4plusIvEENS9_8equal_toIvEExEE10hipError_tPvRmT2_T3_T4_T5_mT6_T7_P12ihipStream_tbENKUlT_T0_E_clISt17integral_constantIbLb1EES11_EEDaSW_SX_EUlSW_E_NS1_11comp_targetILNS1_3genE8ELNS1_11target_archE1030ELNS1_3gpuE2ELNS1_3repE0EEENS1_30default_config_static_selectorELNS0_4arch9wavefront6targetE0EEEvT1_
    .private_segment_fixed_size: 0
    .sgpr_count:     0
    .sgpr_spill_count: 0
    .symbol:         _ZN7rocprim17ROCPRIM_400000_NS6detail17trampoline_kernelINS0_14default_configENS1_27scan_by_key_config_selectorIixEEZZNS1_16scan_by_key_implILNS1_25lookback_scan_determinismE0ELb1ES3_N6thrust23THRUST_200600_302600_NS6detail15normal_iteratorINS9_10device_ptrIiEEEENSB_INSC_IxEEEESG_xNS9_4plusIvEENS9_8equal_toIvEExEE10hipError_tPvRmT2_T3_T4_T5_mT6_T7_P12ihipStream_tbENKUlT_T0_E_clISt17integral_constantIbLb1EES11_EEDaSW_SX_EUlSW_E_NS1_11comp_targetILNS1_3genE8ELNS1_11target_archE1030ELNS1_3gpuE2ELNS1_3repE0EEENS1_30default_config_static_selectorELNS0_4arch9wavefront6targetE0EEEvT1_.kd
    .uniform_work_group_size: 1
    .uses_dynamic_stack: false
    .vgpr_count:     0
    .vgpr_spill_count: 0
    .wavefront_size: 32
  - .args:
      - .offset:         0
        .size:           136
        .value_kind:     by_value
    .group_segment_fixed_size: 0
    .kernarg_segment_align: 8
    .kernarg_segment_size: 136
    .language:       OpenCL C
    .language_version:
      - 2
      - 0
    .max_flat_workgroup_size: 128
    .name:           _ZN7rocprim17ROCPRIM_400000_NS6detail17trampoline_kernelINS0_14default_configENS1_27scan_by_key_config_selectorIixEEZZNS1_16scan_by_key_implILNS1_25lookback_scan_determinismE0ELb1ES3_N6thrust23THRUST_200600_302600_NS6detail15normal_iteratorINS9_10device_ptrIiEEEENSB_INSC_IxEEEESG_xNS9_4plusIvEENS9_8equal_toIvEExEE10hipError_tPvRmT2_T3_T4_T5_mT6_T7_P12ihipStream_tbENKUlT_T0_E_clISt17integral_constantIbLb1EES10_IbLb0EEEEDaSW_SX_EUlSW_E_NS1_11comp_targetILNS1_3genE0ELNS1_11target_archE4294967295ELNS1_3gpuE0ELNS1_3repE0EEENS1_30default_config_static_selectorELNS0_4arch9wavefront6targetE0EEEvT1_
    .private_segment_fixed_size: 0
    .sgpr_count:     0
    .sgpr_spill_count: 0
    .symbol:         _ZN7rocprim17ROCPRIM_400000_NS6detail17trampoline_kernelINS0_14default_configENS1_27scan_by_key_config_selectorIixEEZZNS1_16scan_by_key_implILNS1_25lookback_scan_determinismE0ELb1ES3_N6thrust23THRUST_200600_302600_NS6detail15normal_iteratorINS9_10device_ptrIiEEEENSB_INSC_IxEEEESG_xNS9_4plusIvEENS9_8equal_toIvEExEE10hipError_tPvRmT2_T3_T4_T5_mT6_T7_P12ihipStream_tbENKUlT_T0_E_clISt17integral_constantIbLb1EES10_IbLb0EEEEDaSW_SX_EUlSW_E_NS1_11comp_targetILNS1_3genE0ELNS1_11target_archE4294967295ELNS1_3gpuE0ELNS1_3repE0EEENS1_30default_config_static_selectorELNS0_4arch9wavefront6targetE0EEEvT1_.kd
    .uniform_work_group_size: 1
    .uses_dynamic_stack: false
    .vgpr_count:     0
    .vgpr_spill_count: 0
    .wavefront_size: 32
  - .args:
      - .offset:         0
        .size:           136
        .value_kind:     by_value
    .group_segment_fixed_size: 0
    .kernarg_segment_align: 8
    .kernarg_segment_size: 136
    .language:       OpenCL C
    .language_version:
      - 2
      - 0
    .max_flat_workgroup_size: 256
    .name:           _ZN7rocprim17ROCPRIM_400000_NS6detail17trampoline_kernelINS0_14default_configENS1_27scan_by_key_config_selectorIixEEZZNS1_16scan_by_key_implILNS1_25lookback_scan_determinismE0ELb1ES3_N6thrust23THRUST_200600_302600_NS6detail15normal_iteratorINS9_10device_ptrIiEEEENSB_INSC_IxEEEESG_xNS9_4plusIvEENS9_8equal_toIvEExEE10hipError_tPvRmT2_T3_T4_T5_mT6_T7_P12ihipStream_tbENKUlT_T0_E_clISt17integral_constantIbLb1EES10_IbLb0EEEEDaSW_SX_EUlSW_E_NS1_11comp_targetILNS1_3genE10ELNS1_11target_archE1201ELNS1_3gpuE5ELNS1_3repE0EEENS1_30default_config_static_selectorELNS0_4arch9wavefront6targetE0EEEvT1_
    .private_segment_fixed_size: 0
    .sgpr_count:     0
    .sgpr_spill_count: 0
    .symbol:         _ZN7rocprim17ROCPRIM_400000_NS6detail17trampoline_kernelINS0_14default_configENS1_27scan_by_key_config_selectorIixEEZZNS1_16scan_by_key_implILNS1_25lookback_scan_determinismE0ELb1ES3_N6thrust23THRUST_200600_302600_NS6detail15normal_iteratorINS9_10device_ptrIiEEEENSB_INSC_IxEEEESG_xNS9_4plusIvEENS9_8equal_toIvEExEE10hipError_tPvRmT2_T3_T4_T5_mT6_T7_P12ihipStream_tbENKUlT_T0_E_clISt17integral_constantIbLb1EES10_IbLb0EEEEDaSW_SX_EUlSW_E_NS1_11comp_targetILNS1_3genE10ELNS1_11target_archE1201ELNS1_3gpuE5ELNS1_3repE0EEENS1_30default_config_static_selectorELNS0_4arch9wavefront6targetE0EEEvT1_.kd
    .uniform_work_group_size: 1
    .uses_dynamic_stack: false
    .vgpr_count:     0
    .vgpr_spill_count: 0
    .wavefront_size: 32
  - .args:
      - .offset:         0
        .size:           136
        .value_kind:     by_value
    .group_segment_fixed_size: 0
    .kernarg_segment_align: 8
    .kernarg_segment_size: 136
    .language:       OpenCL C
    .language_version:
      - 2
      - 0
    .max_flat_workgroup_size: 256
    .name:           _ZN7rocprim17ROCPRIM_400000_NS6detail17trampoline_kernelINS0_14default_configENS1_27scan_by_key_config_selectorIixEEZZNS1_16scan_by_key_implILNS1_25lookback_scan_determinismE0ELb1ES3_N6thrust23THRUST_200600_302600_NS6detail15normal_iteratorINS9_10device_ptrIiEEEENSB_INSC_IxEEEESG_xNS9_4plusIvEENS9_8equal_toIvEExEE10hipError_tPvRmT2_T3_T4_T5_mT6_T7_P12ihipStream_tbENKUlT_T0_E_clISt17integral_constantIbLb1EES10_IbLb0EEEEDaSW_SX_EUlSW_E_NS1_11comp_targetILNS1_3genE5ELNS1_11target_archE942ELNS1_3gpuE9ELNS1_3repE0EEENS1_30default_config_static_selectorELNS0_4arch9wavefront6targetE0EEEvT1_
    .private_segment_fixed_size: 0
    .sgpr_count:     0
    .sgpr_spill_count: 0
    .symbol:         _ZN7rocprim17ROCPRIM_400000_NS6detail17trampoline_kernelINS0_14default_configENS1_27scan_by_key_config_selectorIixEEZZNS1_16scan_by_key_implILNS1_25lookback_scan_determinismE0ELb1ES3_N6thrust23THRUST_200600_302600_NS6detail15normal_iteratorINS9_10device_ptrIiEEEENSB_INSC_IxEEEESG_xNS9_4plusIvEENS9_8equal_toIvEExEE10hipError_tPvRmT2_T3_T4_T5_mT6_T7_P12ihipStream_tbENKUlT_T0_E_clISt17integral_constantIbLb1EES10_IbLb0EEEEDaSW_SX_EUlSW_E_NS1_11comp_targetILNS1_3genE5ELNS1_11target_archE942ELNS1_3gpuE9ELNS1_3repE0EEENS1_30default_config_static_selectorELNS0_4arch9wavefront6targetE0EEEvT1_.kd
    .uniform_work_group_size: 1
    .uses_dynamic_stack: false
    .vgpr_count:     0
    .vgpr_spill_count: 0
    .wavefront_size: 32
  - .args:
      - .offset:         0
        .size:           136
        .value_kind:     by_value
    .group_segment_fixed_size: 0
    .kernarg_segment_align: 8
    .kernarg_segment_size: 136
    .language:       OpenCL C
    .language_version:
      - 2
      - 0
    .max_flat_workgroup_size: 64
    .name:           _ZN7rocprim17ROCPRIM_400000_NS6detail17trampoline_kernelINS0_14default_configENS1_27scan_by_key_config_selectorIixEEZZNS1_16scan_by_key_implILNS1_25lookback_scan_determinismE0ELb1ES3_N6thrust23THRUST_200600_302600_NS6detail15normal_iteratorINS9_10device_ptrIiEEEENSB_INSC_IxEEEESG_xNS9_4plusIvEENS9_8equal_toIvEExEE10hipError_tPvRmT2_T3_T4_T5_mT6_T7_P12ihipStream_tbENKUlT_T0_E_clISt17integral_constantIbLb1EES10_IbLb0EEEEDaSW_SX_EUlSW_E_NS1_11comp_targetILNS1_3genE4ELNS1_11target_archE910ELNS1_3gpuE8ELNS1_3repE0EEENS1_30default_config_static_selectorELNS0_4arch9wavefront6targetE0EEEvT1_
    .private_segment_fixed_size: 0
    .sgpr_count:     0
    .sgpr_spill_count: 0
    .symbol:         _ZN7rocprim17ROCPRIM_400000_NS6detail17trampoline_kernelINS0_14default_configENS1_27scan_by_key_config_selectorIixEEZZNS1_16scan_by_key_implILNS1_25lookback_scan_determinismE0ELb1ES3_N6thrust23THRUST_200600_302600_NS6detail15normal_iteratorINS9_10device_ptrIiEEEENSB_INSC_IxEEEESG_xNS9_4plusIvEENS9_8equal_toIvEExEE10hipError_tPvRmT2_T3_T4_T5_mT6_T7_P12ihipStream_tbENKUlT_T0_E_clISt17integral_constantIbLb1EES10_IbLb0EEEEDaSW_SX_EUlSW_E_NS1_11comp_targetILNS1_3genE4ELNS1_11target_archE910ELNS1_3gpuE8ELNS1_3repE0EEENS1_30default_config_static_selectorELNS0_4arch9wavefront6targetE0EEEvT1_.kd
    .uniform_work_group_size: 1
    .uses_dynamic_stack: false
    .vgpr_count:     0
    .vgpr_spill_count: 0
    .wavefront_size: 32
  - .args:
      - .offset:         0
        .size:           136
        .value_kind:     by_value
    .group_segment_fixed_size: 0
    .kernarg_segment_align: 8
    .kernarg_segment_size: 136
    .language:       OpenCL C
    .language_version:
      - 2
      - 0
    .max_flat_workgroup_size: 128
    .name:           _ZN7rocprim17ROCPRIM_400000_NS6detail17trampoline_kernelINS0_14default_configENS1_27scan_by_key_config_selectorIixEEZZNS1_16scan_by_key_implILNS1_25lookback_scan_determinismE0ELb1ES3_N6thrust23THRUST_200600_302600_NS6detail15normal_iteratorINS9_10device_ptrIiEEEENSB_INSC_IxEEEESG_xNS9_4plusIvEENS9_8equal_toIvEExEE10hipError_tPvRmT2_T3_T4_T5_mT6_T7_P12ihipStream_tbENKUlT_T0_E_clISt17integral_constantIbLb1EES10_IbLb0EEEEDaSW_SX_EUlSW_E_NS1_11comp_targetILNS1_3genE3ELNS1_11target_archE908ELNS1_3gpuE7ELNS1_3repE0EEENS1_30default_config_static_selectorELNS0_4arch9wavefront6targetE0EEEvT1_
    .private_segment_fixed_size: 0
    .sgpr_count:     0
    .sgpr_spill_count: 0
    .symbol:         _ZN7rocprim17ROCPRIM_400000_NS6detail17trampoline_kernelINS0_14default_configENS1_27scan_by_key_config_selectorIixEEZZNS1_16scan_by_key_implILNS1_25lookback_scan_determinismE0ELb1ES3_N6thrust23THRUST_200600_302600_NS6detail15normal_iteratorINS9_10device_ptrIiEEEENSB_INSC_IxEEEESG_xNS9_4plusIvEENS9_8equal_toIvEExEE10hipError_tPvRmT2_T3_T4_T5_mT6_T7_P12ihipStream_tbENKUlT_T0_E_clISt17integral_constantIbLb1EES10_IbLb0EEEEDaSW_SX_EUlSW_E_NS1_11comp_targetILNS1_3genE3ELNS1_11target_archE908ELNS1_3gpuE7ELNS1_3repE0EEENS1_30default_config_static_selectorELNS0_4arch9wavefront6targetE0EEEvT1_.kd
    .uniform_work_group_size: 1
    .uses_dynamic_stack: false
    .vgpr_count:     0
    .vgpr_spill_count: 0
    .wavefront_size: 32
  - .args:
      - .offset:         0
        .size:           136
        .value_kind:     by_value
    .group_segment_fixed_size: 0
    .kernarg_segment_align: 8
    .kernarg_segment_size: 136
    .language:       OpenCL C
    .language_version:
      - 2
      - 0
    .max_flat_workgroup_size: 64
    .name:           _ZN7rocprim17ROCPRIM_400000_NS6detail17trampoline_kernelINS0_14default_configENS1_27scan_by_key_config_selectorIixEEZZNS1_16scan_by_key_implILNS1_25lookback_scan_determinismE0ELb1ES3_N6thrust23THRUST_200600_302600_NS6detail15normal_iteratorINS9_10device_ptrIiEEEENSB_INSC_IxEEEESG_xNS9_4plusIvEENS9_8equal_toIvEExEE10hipError_tPvRmT2_T3_T4_T5_mT6_T7_P12ihipStream_tbENKUlT_T0_E_clISt17integral_constantIbLb1EES10_IbLb0EEEEDaSW_SX_EUlSW_E_NS1_11comp_targetILNS1_3genE2ELNS1_11target_archE906ELNS1_3gpuE6ELNS1_3repE0EEENS1_30default_config_static_selectorELNS0_4arch9wavefront6targetE0EEEvT1_
    .private_segment_fixed_size: 0
    .sgpr_count:     0
    .sgpr_spill_count: 0
    .symbol:         _ZN7rocprim17ROCPRIM_400000_NS6detail17trampoline_kernelINS0_14default_configENS1_27scan_by_key_config_selectorIixEEZZNS1_16scan_by_key_implILNS1_25lookback_scan_determinismE0ELb1ES3_N6thrust23THRUST_200600_302600_NS6detail15normal_iteratorINS9_10device_ptrIiEEEENSB_INSC_IxEEEESG_xNS9_4plusIvEENS9_8equal_toIvEExEE10hipError_tPvRmT2_T3_T4_T5_mT6_T7_P12ihipStream_tbENKUlT_T0_E_clISt17integral_constantIbLb1EES10_IbLb0EEEEDaSW_SX_EUlSW_E_NS1_11comp_targetILNS1_3genE2ELNS1_11target_archE906ELNS1_3gpuE6ELNS1_3repE0EEENS1_30default_config_static_selectorELNS0_4arch9wavefront6targetE0EEEvT1_.kd
    .uniform_work_group_size: 1
    .uses_dynamic_stack: false
    .vgpr_count:     0
    .vgpr_spill_count: 0
    .wavefront_size: 32
  - .args:
      - .offset:         0
        .size:           136
        .value_kind:     by_value
    .group_segment_fixed_size: 0
    .kernarg_segment_align: 8
    .kernarg_segment_size: 136
    .language:       OpenCL C
    .language_version:
      - 2
      - 0
    .max_flat_workgroup_size: 256
    .name:           _ZN7rocprim17ROCPRIM_400000_NS6detail17trampoline_kernelINS0_14default_configENS1_27scan_by_key_config_selectorIixEEZZNS1_16scan_by_key_implILNS1_25lookback_scan_determinismE0ELb1ES3_N6thrust23THRUST_200600_302600_NS6detail15normal_iteratorINS9_10device_ptrIiEEEENSB_INSC_IxEEEESG_xNS9_4plusIvEENS9_8equal_toIvEExEE10hipError_tPvRmT2_T3_T4_T5_mT6_T7_P12ihipStream_tbENKUlT_T0_E_clISt17integral_constantIbLb1EES10_IbLb0EEEEDaSW_SX_EUlSW_E_NS1_11comp_targetILNS1_3genE10ELNS1_11target_archE1200ELNS1_3gpuE4ELNS1_3repE0EEENS1_30default_config_static_selectorELNS0_4arch9wavefront6targetE0EEEvT1_
    .private_segment_fixed_size: 0
    .sgpr_count:     0
    .sgpr_spill_count: 0
    .symbol:         _ZN7rocprim17ROCPRIM_400000_NS6detail17trampoline_kernelINS0_14default_configENS1_27scan_by_key_config_selectorIixEEZZNS1_16scan_by_key_implILNS1_25lookback_scan_determinismE0ELb1ES3_N6thrust23THRUST_200600_302600_NS6detail15normal_iteratorINS9_10device_ptrIiEEEENSB_INSC_IxEEEESG_xNS9_4plusIvEENS9_8equal_toIvEExEE10hipError_tPvRmT2_T3_T4_T5_mT6_T7_P12ihipStream_tbENKUlT_T0_E_clISt17integral_constantIbLb1EES10_IbLb0EEEEDaSW_SX_EUlSW_E_NS1_11comp_targetILNS1_3genE10ELNS1_11target_archE1200ELNS1_3gpuE4ELNS1_3repE0EEENS1_30default_config_static_selectorELNS0_4arch9wavefront6targetE0EEEvT1_.kd
    .uniform_work_group_size: 1
    .uses_dynamic_stack: false
    .vgpr_count:     0
    .vgpr_spill_count: 0
    .wavefront_size: 32
  - .args:
      - .offset:         0
        .size:           136
        .value_kind:     by_value
    .group_segment_fixed_size: 0
    .kernarg_segment_align: 8
    .kernarg_segment_size: 136
    .language:       OpenCL C
    .language_version:
      - 2
      - 0
    .max_flat_workgroup_size: 256
    .name:           _ZN7rocprim17ROCPRIM_400000_NS6detail17trampoline_kernelINS0_14default_configENS1_27scan_by_key_config_selectorIixEEZZNS1_16scan_by_key_implILNS1_25lookback_scan_determinismE0ELb1ES3_N6thrust23THRUST_200600_302600_NS6detail15normal_iteratorINS9_10device_ptrIiEEEENSB_INSC_IxEEEESG_xNS9_4plusIvEENS9_8equal_toIvEExEE10hipError_tPvRmT2_T3_T4_T5_mT6_T7_P12ihipStream_tbENKUlT_T0_E_clISt17integral_constantIbLb1EES10_IbLb0EEEEDaSW_SX_EUlSW_E_NS1_11comp_targetILNS1_3genE9ELNS1_11target_archE1100ELNS1_3gpuE3ELNS1_3repE0EEENS1_30default_config_static_selectorELNS0_4arch9wavefront6targetE0EEEvT1_
    .private_segment_fixed_size: 0
    .sgpr_count:     0
    .sgpr_spill_count: 0
    .symbol:         _ZN7rocprim17ROCPRIM_400000_NS6detail17trampoline_kernelINS0_14default_configENS1_27scan_by_key_config_selectorIixEEZZNS1_16scan_by_key_implILNS1_25lookback_scan_determinismE0ELb1ES3_N6thrust23THRUST_200600_302600_NS6detail15normal_iteratorINS9_10device_ptrIiEEEENSB_INSC_IxEEEESG_xNS9_4plusIvEENS9_8equal_toIvEExEE10hipError_tPvRmT2_T3_T4_T5_mT6_T7_P12ihipStream_tbENKUlT_T0_E_clISt17integral_constantIbLb1EES10_IbLb0EEEEDaSW_SX_EUlSW_E_NS1_11comp_targetILNS1_3genE9ELNS1_11target_archE1100ELNS1_3gpuE3ELNS1_3repE0EEENS1_30default_config_static_selectorELNS0_4arch9wavefront6targetE0EEEvT1_.kd
    .uniform_work_group_size: 1
    .uses_dynamic_stack: false
    .vgpr_count:     0
    .vgpr_spill_count: 0
    .wavefront_size: 32
  - .args:
      - .offset:         0
        .size:           136
        .value_kind:     by_value
    .group_segment_fixed_size: 0
    .kernarg_segment_align: 8
    .kernarg_segment_size: 136
    .language:       OpenCL C
    .language_version:
      - 2
      - 0
    .max_flat_workgroup_size: 256
    .name:           _ZN7rocprim17ROCPRIM_400000_NS6detail17trampoline_kernelINS0_14default_configENS1_27scan_by_key_config_selectorIixEEZZNS1_16scan_by_key_implILNS1_25lookback_scan_determinismE0ELb1ES3_N6thrust23THRUST_200600_302600_NS6detail15normal_iteratorINS9_10device_ptrIiEEEENSB_INSC_IxEEEESG_xNS9_4plusIvEENS9_8equal_toIvEExEE10hipError_tPvRmT2_T3_T4_T5_mT6_T7_P12ihipStream_tbENKUlT_T0_E_clISt17integral_constantIbLb1EES10_IbLb0EEEEDaSW_SX_EUlSW_E_NS1_11comp_targetILNS1_3genE8ELNS1_11target_archE1030ELNS1_3gpuE2ELNS1_3repE0EEENS1_30default_config_static_selectorELNS0_4arch9wavefront6targetE0EEEvT1_
    .private_segment_fixed_size: 0
    .sgpr_count:     0
    .sgpr_spill_count: 0
    .symbol:         _ZN7rocprim17ROCPRIM_400000_NS6detail17trampoline_kernelINS0_14default_configENS1_27scan_by_key_config_selectorIixEEZZNS1_16scan_by_key_implILNS1_25lookback_scan_determinismE0ELb1ES3_N6thrust23THRUST_200600_302600_NS6detail15normal_iteratorINS9_10device_ptrIiEEEENSB_INSC_IxEEEESG_xNS9_4plusIvEENS9_8equal_toIvEExEE10hipError_tPvRmT2_T3_T4_T5_mT6_T7_P12ihipStream_tbENKUlT_T0_E_clISt17integral_constantIbLb1EES10_IbLb0EEEEDaSW_SX_EUlSW_E_NS1_11comp_targetILNS1_3genE8ELNS1_11target_archE1030ELNS1_3gpuE2ELNS1_3repE0EEENS1_30default_config_static_selectorELNS0_4arch9wavefront6targetE0EEEvT1_.kd
    .uniform_work_group_size: 1
    .uses_dynamic_stack: false
    .vgpr_count:     0
    .vgpr_spill_count: 0
    .wavefront_size: 32
  - .args:
      - .offset:         0
        .size:           136
        .value_kind:     by_value
    .group_segment_fixed_size: 10240
    .kernarg_segment_align: 8
    .kernarg_segment_size: 136
    .language:       OpenCL C
    .language_version:
      - 2
      - 0
    .max_flat_workgroup_size: 128
    .name:           _ZN7rocprim17ROCPRIM_400000_NS6detail17trampoline_kernelINS0_14default_configENS1_27scan_by_key_config_selectorIixEEZZNS1_16scan_by_key_implILNS1_25lookback_scan_determinismE0ELb1ES3_N6thrust23THRUST_200600_302600_NS6detail15normal_iteratorINS9_10device_ptrIiEEEENSB_INSC_IxEEEESG_xNS9_4plusIvEENS9_8equal_toIvEExEE10hipError_tPvRmT2_T3_T4_T5_mT6_T7_P12ihipStream_tbENKUlT_T0_E_clISt17integral_constantIbLb0EES10_IbLb1EEEEDaSW_SX_EUlSW_E_NS1_11comp_targetILNS1_3genE0ELNS1_11target_archE4294967295ELNS1_3gpuE0ELNS1_3repE0EEENS1_30default_config_static_selectorELNS0_4arch9wavefront6targetE0EEEvT1_
    .private_segment_fixed_size: 0
    .sgpr_count:     53
    .sgpr_spill_count: 0
    .symbol:         _ZN7rocprim17ROCPRIM_400000_NS6detail17trampoline_kernelINS0_14default_configENS1_27scan_by_key_config_selectorIixEEZZNS1_16scan_by_key_implILNS1_25lookback_scan_determinismE0ELb1ES3_N6thrust23THRUST_200600_302600_NS6detail15normal_iteratorINS9_10device_ptrIiEEEENSB_INSC_IxEEEESG_xNS9_4plusIvEENS9_8equal_toIvEExEE10hipError_tPvRmT2_T3_T4_T5_mT6_T7_P12ihipStream_tbENKUlT_T0_E_clISt17integral_constantIbLb0EES10_IbLb1EEEEDaSW_SX_EUlSW_E_NS1_11comp_targetILNS1_3genE0ELNS1_11target_archE4294967295ELNS1_3gpuE0ELNS1_3repE0EEENS1_30default_config_static_selectorELNS0_4arch9wavefront6targetE0EEEvT1_.kd
    .uniform_work_group_size: 1
    .uses_dynamic_stack: false
    .vgpr_count:     73
    .vgpr_spill_count: 0
    .wavefront_size: 32
  - .args:
      - .offset:         0
        .size:           136
        .value_kind:     by_value
    .group_segment_fixed_size: 0
    .kernarg_segment_align: 8
    .kernarg_segment_size: 136
    .language:       OpenCL C
    .language_version:
      - 2
      - 0
    .max_flat_workgroup_size: 256
    .name:           _ZN7rocprim17ROCPRIM_400000_NS6detail17trampoline_kernelINS0_14default_configENS1_27scan_by_key_config_selectorIixEEZZNS1_16scan_by_key_implILNS1_25lookback_scan_determinismE0ELb1ES3_N6thrust23THRUST_200600_302600_NS6detail15normal_iteratorINS9_10device_ptrIiEEEENSB_INSC_IxEEEESG_xNS9_4plusIvEENS9_8equal_toIvEExEE10hipError_tPvRmT2_T3_T4_T5_mT6_T7_P12ihipStream_tbENKUlT_T0_E_clISt17integral_constantIbLb0EES10_IbLb1EEEEDaSW_SX_EUlSW_E_NS1_11comp_targetILNS1_3genE10ELNS1_11target_archE1201ELNS1_3gpuE5ELNS1_3repE0EEENS1_30default_config_static_selectorELNS0_4arch9wavefront6targetE0EEEvT1_
    .private_segment_fixed_size: 0
    .sgpr_count:     0
    .sgpr_spill_count: 0
    .symbol:         _ZN7rocprim17ROCPRIM_400000_NS6detail17trampoline_kernelINS0_14default_configENS1_27scan_by_key_config_selectorIixEEZZNS1_16scan_by_key_implILNS1_25lookback_scan_determinismE0ELb1ES3_N6thrust23THRUST_200600_302600_NS6detail15normal_iteratorINS9_10device_ptrIiEEEENSB_INSC_IxEEEESG_xNS9_4plusIvEENS9_8equal_toIvEExEE10hipError_tPvRmT2_T3_T4_T5_mT6_T7_P12ihipStream_tbENKUlT_T0_E_clISt17integral_constantIbLb0EES10_IbLb1EEEEDaSW_SX_EUlSW_E_NS1_11comp_targetILNS1_3genE10ELNS1_11target_archE1201ELNS1_3gpuE5ELNS1_3repE0EEENS1_30default_config_static_selectorELNS0_4arch9wavefront6targetE0EEEvT1_.kd
    .uniform_work_group_size: 1
    .uses_dynamic_stack: false
    .vgpr_count:     0
    .vgpr_spill_count: 0
    .wavefront_size: 32
  - .args:
      - .offset:         0
        .size:           136
        .value_kind:     by_value
    .group_segment_fixed_size: 0
    .kernarg_segment_align: 8
    .kernarg_segment_size: 136
    .language:       OpenCL C
    .language_version:
      - 2
      - 0
    .max_flat_workgroup_size: 256
    .name:           _ZN7rocprim17ROCPRIM_400000_NS6detail17trampoline_kernelINS0_14default_configENS1_27scan_by_key_config_selectorIixEEZZNS1_16scan_by_key_implILNS1_25lookback_scan_determinismE0ELb1ES3_N6thrust23THRUST_200600_302600_NS6detail15normal_iteratorINS9_10device_ptrIiEEEENSB_INSC_IxEEEESG_xNS9_4plusIvEENS9_8equal_toIvEExEE10hipError_tPvRmT2_T3_T4_T5_mT6_T7_P12ihipStream_tbENKUlT_T0_E_clISt17integral_constantIbLb0EES10_IbLb1EEEEDaSW_SX_EUlSW_E_NS1_11comp_targetILNS1_3genE5ELNS1_11target_archE942ELNS1_3gpuE9ELNS1_3repE0EEENS1_30default_config_static_selectorELNS0_4arch9wavefront6targetE0EEEvT1_
    .private_segment_fixed_size: 0
    .sgpr_count:     0
    .sgpr_spill_count: 0
    .symbol:         _ZN7rocprim17ROCPRIM_400000_NS6detail17trampoline_kernelINS0_14default_configENS1_27scan_by_key_config_selectorIixEEZZNS1_16scan_by_key_implILNS1_25lookback_scan_determinismE0ELb1ES3_N6thrust23THRUST_200600_302600_NS6detail15normal_iteratorINS9_10device_ptrIiEEEENSB_INSC_IxEEEESG_xNS9_4plusIvEENS9_8equal_toIvEExEE10hipError_tPvRmT2_T3_T4_T5_mT6_T7_P12ihipStream_tbENKUlT_T0_E_clISt17integral_constantIbLb0EES10_IbLb1EEEEDaSW_SX_EUlSW_E_NS1_11comp_targetILNS1_3genE5ELNS1_11target_archE942ELNS1_3gpuE9ELNS1_3repE0EEENS1_30default_config_static_selectorELNS0_4arch9wavefront6targetE0EEEvT1_.kd
    .uniform_work_group_size: 1
    .uses_dynamic_stack: false
    .vgpr_count:     0
    .vgpr_spill_count: 0
    .wavefront_size: 32
  - .args:
      - .offset:         0
        .size:           136
        .value_kind:     by_value
    .group_segment_fixed_size: 0
    .kernarg_segment_align: 8
    .kernarg_segment_size: 136
    .language:       OpenCL C
    .language_version:
      - 2
      - 0
    .max_flat_workgroup_size: 64
    .name:           _ZN7rocprim17ROCPRIM_400000_NS6detail17trampoline_kernelINS0_14default_configENS1_27scan_by_key_config_selectorIixEEZZNS1_16scan_by_key_implILNS1_25lookback_scan_determinismE0ELb1ES3_N6thrust23THRUST_200600_302600_NS6detail15normal_iteratorINS9_10device_ptrIiEEEENSB_INSC_IxEEEESG_xNS9_4plusIvEENS9_8equal_toIvEExEE10hipError_tPvRmT2_T3_T4_T5_mT6_T7_P12ihipStream_tbENKUlT_T0_E_clISt17integral_constantIbLb0EES10_IbLb1EEEEDaSW_SX_EUlSW_E_NS1_11comp_targetILNS1_3genE4ELNS1_11target_archE910ELNS1_3gpuE8ELNS1_3repE0EEENS1_30default_config_static_selectorELNS0_4arch9wavefront6targetE0EEEvT1_
    .private_segment_fixed_size: 0
    .sgpr_count:     0
    .sgpr_spill_count: 0
    .symbol:         _ZN7rocprim17ROCPRIM_400000_NS6detail17trampoline_kernelINS0_14default_configENS1_27scan_by_key_config_selectorIixEEZZNS1_16scan_by_key_implILNS1_25lookback_scan_determinismE0ELb1ES3_N6thrust23THRUST_200600_302600_NS6detail15normal_iteratorINS9_10device_ptrIiEEEENSB_INSC_IxEEEESG_xNS9_4plusIvEENS9_8equal_toIvEExEE10hipError_tPvRmT2_T3_T4_T5_mT6_T7_P12ihipStream_tbENKUlT_T0_E_clISt17integral_constantIbLb0EES10_IbLb1EEEEDaSW_SX_EUlSW_E_NS1_11comp_targetILNS1_3genE4ELNS1_11target_archE910ELNS1_3gpuE8ELNS1_3repE0EEENS1_30default_config_static_selectorELNS0_4arch9wavefront6targetE0EEEvT1_.kd
    .uniform_work_group_size: 1
    .uses_dynamic_stack: false
    .vgpr_count:     0
    .vgpr_spill_count: 0
    .wavefront_size: 32
  - .args:
      - .offset:         0
        .size:           136
        .value_kind:     by_value
    .group_segment_fixed_size: 0
    .kernarg_segment_align: 8
    .kernarg_segment_size: 136
    .language:       OpenCL C
    .language_version:
      - 2
      - 0
    .max_flat_workgroup_size: 128
    .name:           _ZN7rocprim17ROCPRIM_400000_NS6detail17trampoline_kernelINS0_14default_configENS1_27scan_by_key_config_selectorIixEEZZNS1_16scan_by_key_implILNS1_25lookback_scan_determinismE0ELb1ES3_N6thrust23THRUST_200600_302600_NS6detail15normal_iteratorINS9_10device_ptrIiEEEENSB_INSC_IxEEEESG_xNS9_4plusIvEENS9_8equal_toIvEExEE10hipError_tPvRmT2_T3_T4_T5_mT6_T7_P12ihipStream_tbENKUlT_T0_E_clISt17integral_constantIbLb0EES10_IbLb1EEEEDaSW_SX_EUlSW_E_NS1_11comp_targetILNS1_3genE3ELNS1_11target_archE908ELNS1_3gpuE7ELNS1_3repE0EEENS1_30default_config_static_selectorELNS0_4arch9wavefront6targetE0EEEvT1_
    .private_segment_fixed_size: 0
    .sgpr_count:     0
    .sgpr_spill_count: 0
    .symbol:         _ZN7rocprim17ROCPRIM_400000_NS6detail17trampoline_kernelINS0_14default_configENS1_27scan_by_key_config_selectorIixEEZZNS1_16scan_by_key_implILNS1_25lookback_scan_determinismE0ELb1ES3_N6thrust23THRUST_200600_302600_NS6detail15normal_iteratorINS9_10device_ptrIiEEEENSB_INSC_IxEEEESG_xNS9_4plusIvEENS9_8equal_toIvEExEE10hipError_tPvRmT2_T3_T4_T5_mT6_T7_P12ihipStream_tbENKUlT_T0_E_clISt17integral_constantIbLb0EES10_IbLb1EEEEDaSW_SX_EUlSW_E_NS1_11comp_targetILNS1_3genE3ELNS1_11target_archE908ELNS1_3gpuE7ELNS1_3repE0EEENS1_30default_config_static_selectorELNS0_4arch9wavefront6targetE0EEEvT1_.kd
    .uniform_work_group_size: 1
    .uses_dynamic_stack: false
    .vgpr_count:     0
    .vgpr_spill_count: 0
    .wavefront_size: 32
  - .args:
      - .offset:         0
        .size:           136
        .value_kind:     by_value
    .group_segment_fixed_size: 0
    .kernarg_segment_align: 8
    .kernarg_segment_size: 136
    .language:       OpenCL C
    .language_version:
      - 2
      - 0
    .max_flat_workgroup_size: 64
    .name:           _ZN7rocprim17ROCPRIM_400000_NS6detail17trampoline_kernelINS0_14default_configENS1_27scan_by_key_config_selectorIixEEZZNS1_16scan_by_key_implILNS1_25lookback_scan_determinismE0ELb1ES3_N6thrust23THRUST_200600_302600_NS6detail15normal_iteratorINS9_10device_ptrIiEEEENSB_INSC_IxEEEESG_xNS9_4plusIvEENS9_8equal_toIvEExEE10hipError_tPvRmT2_T3_T4_T5_mT6_T7_P12ihipStream_tbENKUlT_T0_E_clISt17integral_constantIbLb0EES10_IbLb1EEEEDaSW_SX_EUlSW_E_NS1_11comp_targetILNS1_3genE2ELNS1_11target_archE906ELNS1_3gpuE6ELNS1_3repE0EEENS1_30default_config_static_selectorELNS0_4arch9wavefront6targetE0EEEvT1_
    .private_segment_fixed_size: 0
    .sgpr_count:     0
    .sgpr_spill_count: 0
    .symbol:         _ZN7rocprim17ROCPRIM_400000_NS6detail17trampoline_kernelINS0_14default_configENS1_27scan_by_key_config_selectorIixEEZZNS1_16scan_by_key_implILNS1_25lookback_scan_determinismE0ELb1ES3_N6thrust23THRUST_200600_302600_NS6detail15normal_iteratorINS9_10device_ptrIiEEEENSB_INSC_IxEEEESG_xNS9_4plusIvEENS9_8equal_toIvEExEE10hipError_tPvRmT2_T3_T4_T5_mT6_T7_P12ihipStream_tbENKUlT_T0_E_clISt17integral_constantIbLb0EES10_IbLb1EEEEDaSW_SX_EUlSW_E_NS1_11comp_targetILNS1_3genE2ELNS1_11target_archE906ELNS1_3gpuE6ELNS1_3repE0EEENS1_30default_config_static_selectorELNS0_4arch9wavefront6targetE0EEEvT1_.kd
    .uniform_work_group_size: 1
    .uses_dynamic_stack: false
    .vgpr_count:     0
    .vgpr_spill_count: 0
    .wavefront_size: 32
  - .args:
      - .offset:         0
        .size:           136
        .value_kind:     by_value
    .group_segment_fixed_size: 0
    .kernarg_segment_align: 8
    .kernarg_segment_size: 136
    .language:       OpenCL C
    .language_version:
      - 2
      - 0
    .max_flat_workgroup_size: 256
    .name:           _ZN7rocprim17ROCPRIM_400000_NS6detail17trampoline_kernelINS0_14default_configENS1_27scan_by_key_config_selectorIixEEZZNS1_16scan_by_key_implILNS1_25lookback_scan_determinismE0ELb1ES3_N6thrust23THRUST_200600_302600_NS6detail15normal_iteratorINS9_10device_ptrIiEEEENSB_INSC_IxEEEESG_xNS9_4plusIvEENS9_8equal_toIvEExEE10hipError_tPvRmT2_T3_T4_T5_mT6_T7_P12ihipStream_tbENKUlT_T0_E_clISt17integral_constantIbLb0EES10_IbLb1EEEEDaSW_SX_EUlSW_E_NS1_11comp_targetILNS1_3genE10ELNS1_11target_archE1200ELNS1_3gpuE4ELNS1_3repE0EEENS1_30default_config_static_selectorELNS0_4arch9wavefront6targetE0EEEvT1_
    .private_segment_fixed_size: 0
    .sgpr_count:     0
    .sgpr_spill_count: 0
    .symbol:         _ZN7rocprim17ROCPRIM_400000_NS6detail17trampoline_kernelINS0_14default_configENS1_27scan_by_key_config_selectorIixEEZZNS1_16scan_by_key_implILNS1_25lookback_scan_determinismE0ELb1ES3_N6thrust23THRUST_200600_302600_NS6detail15normal_iteratorINS9_10device_ptrIiEEEENSB_INSC_IxEEEESG_xNS9_4plusIvEENS9_8equal_toIvEExEE10hipError_tPvRmT2_T3_T4_T5_mT6_T7_P12ihipStream_tbENKUlT_T0_E_clISt17integral_constantIbLb0EES10_IbLb1EEEEDaSW_SX_EUlSW_E_NS1_11comp_targetILNS1_3genE10ELNS1_11target_archE1200ELNS1_3gpuE4ELNS1_3repE0EEENS1_30default_config_static_selectorELNS0_4arch9wavefront6targetE0EEEvT1_.kd
    .uniform_work_group_size: 1
    .uses_dynamic_stack: false
    .vgpr_count:     0
    .vgpr_spill_count: 0
    .wavefront_size: 32
  - .args:
      - .offset:         0
        .size:           136
        .value_kind:     by_value
    .group_segment_fixed_size: 0
    .kernarg_segment_align: 8
    .kernarg_segment_size: 136
    .language:       OpenCL C
    .language_version:
      - 2
      - 0
    .max_flat_workgroup_size: 256
    .name:           _ZN7rocprim17ROCPRIM_400000_NS6detail17trampoline_kernelINS0_14default_configENS1_27scan_by_key_config_selectorIixEEZZNS1_16scan_by_key_implILNS1_25lookback_scan_determinismE0ELb1ES3_N6thrust23THRUST_200600_302600_NS6detail15normal_iteratorINS9_10device_ptrIiEEEENSB_INSC_IxEEEESG_xNS9_4plusIvEENS9_8equal_toIvEExEE10hipError_tPvRmT2_T3_T4_T5_mT6_T7_P12ihipStream_tbENKUlT_T0_E_clISt17integral_constantIbLb0EES10_IbLb1EEEEDaSW_SX_EUlSW_E_NS1_11comp_targetILNS1_3genE9ELNS1_11target_archE1100ELNS1_3gpuE3ELNS1_3repE0EEENS1_30default_config_static_selectorELNS0_4arch9wavefront6targetE0EEEvT1_
    .private_segment_fixed_size: 0
    .sgpr_count:     0
    .sgpr_spill_count: 0
    .symbol:         _ZN7rocprim17ROCPRIM_400000_NS6detail17trampoline_kernelINS0_14default_configENS1_27scan_by_key_config_selectorIixEEZZNS1_16scan_by_key_implILNS1_25lookback_scan_determinismE0ELb1ES3_N6thrust23THRUST_200600_302600_NS6detail15normal_iteratorINS9_10device_ptrIiEEEENSB_INSC_IxEEEESG_xNS9_4plusIvEENS9_8equal_toIvEExEE10hipError_tPvRmT2_T3_T4_T5_mT6_T7_P12ihipStream_tbENKUlT_T0_E_clISt17integral_constantIbLb0EES10_IbLb1EEEEDaSW_SX_EUlSW_E_NS1_11comp_targetILNS1_3genE9ELNS1_11target_archE1100ELNS1_3gpuE3ELNS1_3repE0EEENS1_30default_config_static_selectorELNS0_4arch9wavefront6targetE0EEEvT1_.kd
    .uniform_work_group_size: 1
    .uses_dynamic_stack: false
    .vgpr_count:     0
    .vgpr_spill_count: 0
    .wavefront_size: 32
  - .args:
      - .offset:         0
        .size:           136
        .value_kind:     by_value
    .group_segment_fixed_size: 0
    .kernarg_segment_align: 8
    .kernarg_segment_size: 136
    .language:       OpenCL C
    .language_version:
      - 2
      - 0
    .max_flat_workgroup_size: 256
    .name:           _ZN7rocprim17ROCPRIM_400000_NS6detail17trampoline_kernelINS0_14default_configENS1_27scan_by_key_config_selectorIixEEZZNS1_16scan_by_key_implILNS1_25lookback_scan_determinismE0ELb1ES3_N6thrust23THRUST_200600_302600_NS6detail15normal_iteratorINS9_10device_ptrIiEEEENSB_INSC_IxEEEESG_xNS9_4plusIvEENS9_8equal_toIvEExEE10hipError_tPvRmT2_T3_T4_T5_mT6_T7_P12ihipStream_tbENKUlT_T0_E_clISt17integral_constantIbLb0EES10_IbLb1EEEEDaSW_SX_EUlSW_E_NS1_11comp_targetILNS1_3genE8ELNS1_11target_archE1030ELNS1_3gpuE2ELNS1_3repE0EEENS1_30default_config_static_selectorELNS0_4arch9wavefront6targetE0EEEvT1_
    .private_segment_fixed_size: 0
    .sgpr_count:     0
    .sgpr_spill_count: 0
    .symbol:         _ZN7rocprim17ROCPRIM_400000_NS6detail17trampoline_kernelINS0_14default_configENS1_27scan_by_key_config_selectorIixEEZZNS1_16scan_by_key_implILNS1_25lookback_scan_determinismE0ELb1ES3_N6thrust23THRUST_200600_302600_NS6detail15normal_iteratorINS9_10device_ptrIiEEEENSB_INSC_IxEEEESG_xNS9_4plusIvEENS9_8equal_toIvEExEE10hipError_tPvRmT2_T3_T4_T5_mT6_T7_P12ihipStream_tbENKUlT_T0_E_clISt17integral_constantIbLb0EES10_IbLb1EEEEDaSW_SX_EUlSW_E_NS1_11comp_targetILNS1_3genE8ELNS1_11target_archE1030ELNS1_3gpuE2ELNS1_3repE0EEENS1_30default_config_static_selectorELNS0_4arch9wavefront6targetE0EEEvT1_.kd
    .uniform_work_group_size: 1
    .uses_dynamic_stack: false
    .vgpr_count:     0
    .vgpr_spill_count: 0
    .wavefront_size: 32
  - .args:
      - .offset:         0
        .size:           112
        .value_kind:     by_value
    .group_segment_fixed_size: 16384
    .kernarg_segment_align: 8
    .kernarg_segment_size: 112
    .language:       OpenCL C
    .language_version:
      - 2
      - 0
    .max_flat_workgroup_size: 256
    .name:           _ZN7rocprim17ROCPRIM_400000_NS6detail17trampoline_kernelINS0_14default_configENS1_27scan_by_key_config_selectorIisEEZZNS1_16scan_by_key_implILNS1_25lookback_scan_determinismE0ELb1ES3_N6thrust23THRUST_200600_302600_NS6detail15normal_iteratorINS9_10device_ptrIiEEEENSB_INSC_IsEEEESG_sNS9_4plusIvEENS9_8equal_toIvEEsEE10hipError_tPvRmT2_T3_T4_T5_mT6_T7_P12ihipStream_tbENKUlT_T0_E_clISt17integral_constantIbLb0EES11_EEDaSW_SX_EUlSW_E_NS1_11comp_targetILNS1_3genE0ELNS1_11target_archE4294967295ELNS1_3gpuE0ELNS1_3repE0EEENS1_30default_config_static_selectorELNS0_4arch9wavefront6targetE0EEEvT1_
    .private_segment_fixed_size: 0
    .sgpr_count:     41
    .sgpr_spill_count: 0
    .symbol:         _ZN7rocprim17ROCPRIM_400000_NS6detail17trampoline_kernelINS0_14default_configENS1_27scan_by_key_config_selectorIisEEZZNS1_16scan_by_key_implILNS1_25lookback_scan_determinismE0ELb1ES3_N6thrust23THRUST_200600_302600_NS6detail15normal_iteratorINS9_10device_ptrIiEEEENSB_INSC_IsEEEESG_sNS9_4plusIvEENS9_8equal_toIvEEsEE10hipError_tPvRmT2_T3_T4_T5_mT6_T7_P12ihipStream_tbENKUlT_T0_E_clISt17integral_constantIbLb0EES11_EEDaSW_SX_EUlSW_E_NS1_11comp_targetILNS1_3genE0ELNS1_11target_archE4294967295ELNS1_3gpuE0ELNS1_3repE0EEENS1_30default_config_static_selectorELNS0_4arch9wavefront6targetE0EEEvT1_.kd
    .uniform_work_group_size: 1
    .uses_dynamic_stack: false
    .vgpr_count:     46
    .vgpr_spill_count: 0
    .wavefront_size: 32
  - .args:
      - .offset:         0
        .size:           112
        .value_kind:     by_value
    .group_segment_fixed_size: 0
    .kernarg_segment_align: 8
    .kernarg_segment_size: 112
    .language:       OpenCL C
    .language_version:
      - 2
      - 0
    .max_flat_workgroup_size: 256
    .name:           _ZN7rocprim17ROCPRIM_400000_NS6detail17trampoline_kernelINS0_14default_configENS1_27scan_by_key_config_selectorIisEEZZNS1_16scan_by_key_implILNS1_25lookback_scan_determinismE0ELb1ES3_N6thrust23THRUST_200600_302600_NS6detail15normal_iteratorINS9_10device_ptrIiEEEENSB_INSC_IsEEEESG_sNS9_4plusIvEENS9_8equal_toIvEEsEE10hipError_tPvRmT2_T3_T4_T5_mT6_T7_P12ihipStream_tbENKUlT_T0_E_clISt17integral_constantIbLb0EES11_EEDaSW_SX_EUlSW_E_NS1_11comp_targetILNS1_3genE10ELNS1_11target_archE1201ELNS1_3gpuE5ELNS1_3repE0EEENS1_30default_config_static_selectorELNS0_4arch9wavefront6targetE0EEEvT1_
    .private_segment_fixed_size: 0
    .sgpr_count:     0
    .sgpr_spill_count: 0
    .symbol:         _ZN7rocprim17ROCPRIM_400000_NS6detail17trampoline_kernelINS0_14default_configENS1_27scan_by_key_config_selectorIisEEZZNS1_16scan_by_key_implILNS1_25lookback_scan_determinismE0ELb1ES3_N6thrust23THRUST_200600_302600_NS6detail15normal_iteratorINS9_10device_ptrIiEEEENSB_INSC_IsEEEESG_sNS9_4plusIvEENS9_8equal_toIvEEsEE10hipError_tPvRmT2_T3_T4_T5_mT6_T7_P12ihipStream_tbENKUlT_T0_E_clISt17integral_constantIbLb0EES11_EEDaSW_SX_EUlSW_E_NS1_11comp_targetILNS1_3genE10ELNS1_11target_archE1201ELNS1_3gpuE5ELNS1_3repE0EEENS1_30default_config_static_selectorELNS0_4arch9wavefront6targetE0EEEvT1_.kd
    .uniform_work_group_size: 1
    .uses_dynamic_stack: false
    .vgpr_count:     0
    .vgpr_spill_count: 0
    .wavefront_size: 32
  - .args:
      - .offset:         0
        .size:           112
        .value_kind:     by_value
    .group_segment_fixed_size: 0
    .kernarg_segment_align: 8
    .kernarg_segment_size: 112
    .language:       OpenCL C
    .language_version:
      - 2
      - 0
    .max_flat_workgroup_size: 256
    .name:           _ZN7rocprim17ROCPRIM_400000_NS6detail17trampoline_kernelINS0_14default_configENS1_27scan_by_key_config_selectorIisEEZZNS1_16scan_by_key_implILNS1_25lookback_scan_determinismE0ELb1ES3_N6thrust23THRUST_200600_302600_NS6detail15normal_iteratorINS9_10device_ptrIiEEEENSB_INSC_IsEEEESG_sNS9_4plusIvEENS9_8equal_toIvEEsEE10hipError_tPvRmT2_T3_T4_T5_mT6_T7_P12ihipStream_tbENKUlT_T0_E_clISt17integral_constantIbLb0EES11_EEDaSW_SX_EUlSW_E_NS1_11comp_targetILNS1_3genE5ELNS1_11target_archE942ELNS1_3gpuE9ELNS1_3repE0EEENS1_30default_config_static_selectorELNS0_4arch9wavefront6targetE0EEEvT1_
    .private_segment_fixed_size: 0
    .sgpr_count:     0
    .sgpr_spill_count: 0
    .symbol:         _ZN7rocprim17ROCPRIM_400000_NS6detail17trampoline_kernelINS0_14default_configENS1_27scan_by_key_config_selectorIisEEZZNS1_16scan_by_key_implILNS1_25lookback_scan_determinismE0ELb1ES3_N6thrust23THRUST_200600_302600_NS6detail15normal_iteratorINS9_10device_ptrIiEEEENSB_INSC_IsEEEESG_sNS9_4plusIvEENS9_8equal_toIvEEsEE10hipError_tPvRmT2_T3_T4_T5_mT6_T7_P12ihipStream_tbENKUlT_T0_E_clISt17integral_constantIbLb0EES11_EEDaSW_SX_EUlSW_E_NS1_11comp_targetILNS1_3genE5ELNS1_11target_archE942ELNS1_3gpuE9ELNS1_3repE0EEENS1_30default_config_static_selectorELNS0_4arch9wavefront6targetE0EEEvT1_.kd
    .uniform_work_group_size: 1
    .uses_dynamic_stack: false
    .vgpr_count:     0
    .vgpr_spill_count: 0
    .wavefront_size: 32
  - .args:
      - .offset:         0
        .size:           112
        .value_kind:     by_value
    .group_segment_fixed_size: 0
    .kernarg_segment_align: 8
    .kernarg_segment_size: 112
    .language:       OpenCL C
    .language_version:
      - 2
      - 0
    .max_flat_workgroup_size: 64
    .name:           _ZN7rocprim17ROCPRIM_400000_NS6detail17trampoline_kernelINS0_14default_configENS1_27scan_by_key_config_selectorIisEEZZNS1_16scan_by_key_implILNS1_25lookback_scan_determinismE0ELb1ES3_N6thrust23THRUST_200600_302600_NS6detail15normal_iteratorINS9_10device_ptrIiEEEENSB_INSC_IsEEEESG_sNS9_4plusIvEENS9_8equal_toIvEEsEE10hipError_tPvRmT2_T3_T4_T5_mT6_T7_P12ihipStream_tbENKUlT_T0_E_clISt17integral_constantIbLb0EES11_EEDaSW_SX_EUlSW_E_NS1_11comp_targetILNS1_3genE4ELNS1_11target_archE910ELNS1_3gpuE8ELNS1_3repE0EEENS1_30default_config_static_selectorELNS0_4arch9wavefront6targetE0EEEvT1_
    .private_segment_fixed_size: 0
    .sgpr_count:     0
    .sgpr_spill_count: 0
    .symbol:         _ZN7rocprim17ROCPRIM_400000_NS6detail17trampoline_kernelINS0_14default_configENS1_27scan_by_key_config_selectorIisEEZZNS1_16scan_by_key_implILNS1_25lookback_scan_determinismE0ELb1ES3_N6thrust23THRUST_200600_302600_NS6detail15normal_iteratorINS9_10device_ptrIiEEEENSB_INSC_IsEEEESG_sNS9_4plusIvEENS9_8equal_toIvEEsEE10hipError_tPvRmT2_T3_T4_T5_mT6_T7_P12ihipStream_tbENKUlT_T0_E_clISt17integral_constantIbLb0EES11_EEDaSW_SX_EUlSW_E_NS1_11comp_targetILNS1_3genE4ELNS1_11target_archE910ELNS1_3gpuE8ELNS1_3repE0EEENS1_30default_config_static_selectorELNS0_4arch9wavefront6targetE0EEEvT1_.kd
    .uniform_work_group_size: 1
    .uses_dynamic_stack: false
    .vgpr_count:     0
    .vgpr_spill_count: 0
    .wavefront_size: 32
  - .args:
      - .offset:         0
        .size:           112
        .value_kind:     by_value
    .group_segment_fixed_size: 0
    .kernarg_segment_align: 8
    .kernarg_segment_size: 112
    .language:       OpenCL C
    .language_version:
      - 2
      - 0
    .max_flat_workgroup_size: 256
    .name:           _ZN7rocprim17ROCPRIM_400000_NS6detail17trampoline_kernelINS0_14default_configENS1_27scan_by_key_config_selectorIisEEZZNS1_16scan_by_key_implILNS1_25lookback_scan_determinismE0ELb1ES3_N6thrust23THRUST_200600_302600_NS6detail15normal_iteratorINS9_10device_ptrIiEEEENSB_INSC_IsEEEESG_sNS9_4plusIvEENS9_8equal_toIvEEsEE10hipError_tPvRmT2_T3_T4_T5_mT6_T7_P12ihipStream_tbENKUlT_T0_E_clISt17integral_constantIbLb0EES11_EEDaSW_SX_EUlSW_E_NS1_11comp_targetILNS1_3genE3ELNS1_11target_archE908ELNS1_3gpuE7ELNS1_3repE0EEENS1_30default_config_static_selectorELNS0_4arch9wavefront6targetE0EEEvT1_
    .private_segment_fixed_size: 0
    .sgpr_count:     0
    .sgpr_spill_count: 0
    .symbol:         _ZN7rocprim17ROCPRIM_400000_NS6detail17trampoline_kernelINS0_14default_configENS1_27scan_by_key_config_selectorIisEEZZNS1_16scan_by_key_implILNS1_25lookback_scan_determinismE0ELb1ES3_N6thrust23THRUST_200600_302600_NS6detail15normal_iteratorINS9_10device_ptrIiEEEENSB_INSC_IsEEEESG_sNS9_4plusIvEENS9_8equal_toIvEEsEE10hipError_tPvRmT2_T3_T4_T5_mT6_T7_P12ihipStream_tbENKUlT_T0_E_clISt17integral_constantIbLb0EES11_EEDaSW_SX_EUlSW_E_NS1_11comp_targetILNS1_3genE3ELNS1_11target_archE908ELNS1_3gpuE7ELNS1_3repE0EEENS1_30default_config_static_selectorELNS0_4arch9wavefront6targetE0EEEvT1_.kd
    .uniform_work_group_size: 1
    .uses_dynamic_stack: false
    .vgpr_count:     0
    .vgpr_spill_count: 0
    .wavefront_size: 32
  - .args:
      - .offset:         0
        .size:           112
        .value_kind:     by_value
    .group_segment_fixed_size: 0
    .kernarg_segment_align: 8
    .kernarg_segment_size: 112
    .language:       OpenCL C
    .language_version:
      - 2
      - 0
    .max_flat_workgroup_size: 64
    .name:           _ZN7rocprim17ROCPRIM_400000_NS6detail17trampoline_kernelINS0_14default_configENS1_27scan_by_key_config_selectorIisEEZZNS1_16scan_by_key_implILNS1_25lookback_scan_determinismE0ELb1ES3_N6thrust23THRUST_200600_302600_NS6detail15normal_iteratorINS9_10device_ptrIiEEEENSB_INSC_IsEEEESG_sNS9_4plusIvEENS9_8equal_toIvEEsEE10hipError_tPvRmT2_T3_T4_T5_mT6_T7_P12ihipStream_tbENKUlT_T0_E_clISt17integral_constantIbLb0EES11_EEDaSW_SX_EUlSW_E_NS1_11comp_targetILNS1_3genE2ELNS1_11target_archE906ELNS1_3gpuE6ELNS1_3repE0EEENS1_30default_config_static_selectorELNS0_4arch9wavefront6targetE0EEEvT1_
    .private_segment_fixed_size: 0
    .sgpr_count:     0
    .sgpr_spill_count: 0
    .symbol:         _ZN7rocprim17ROCPRIM_400000_NS6detail17trampoline_kernelINS0_14default_configENS1_27scan_by_key_config_selectorIisEEZZNS1_16scan_by_key_implILNS1_25lookback_scan_determinismE0ELb1ES3_N6thrust23THRUST_200600_302600_NS6detail15normal_iteratorINS9_10device_ptrIiEEEENSB_INSC_IsEEEESG_sNS9_4plusIvEENS9_8equal_toIvEEsEE10hipError_tPvRmT2_T3_T4_T5_mT6_T7_P12ihipStream_tbENKUlT_T0_E_clISt17integral_constantIbLb0EES11_EEDaSW_SX_EUlSW_E_NS1_11comp_targetILNS1_3genE2ELNS1_11target_archE906ELNS1_3gpuE6ELNS1_3repE0EEENS1_30default_config_static_selectorELNS0_4arch9wavefront6targetE0EEEvT1_.kd
    .uniform_work_group_size: 1
    .uses_dynamic_stack: false
    .vgpr_count:     0
    .vgpr_spill_count: 0
    .wavefront_size: 32
  - .args:
      - .offset:         0
        .size:           112
        .value_kind:     by_value
    .group_segment_fixed_size: 0
    .kernarg_segment_align: 8
    .kernarg_segment_size: 112
    .language:       OpenCL C
    .language_version:
      - 2
      - 0
    .max_flat_workgroup_size: 256
    .name:           _ZN7rocprim17ROCPRIM_400000_NS6detail17trampoline_kernelINS0_14default_configENS1_27scan_by_key_config_selectorIisEEZZNS1_16scan_by_key_implILNS1_25lookback_scan_determinismE0ELb1ES3_N6thrust23THRUST_200600_302600_NS6detail15normal_iteratorINS9_10device_ptrIiEEEENSB_INSC_IsEEEESG_sNS9_4plusIvEENS9_8equal_toIvEEsEE10hipError_tPvRmT2_T3_T4_T5_mT6_T7_P12ihipStream_tbENKUlT_T0_E_clISt17integral_constantIbLb0EES11_EEDaSW_SX_EUlSW_E_NS1_11comp_targetILNS1_3genE10ELNS1_11target_archE1200ELNS1_3gpuE4ELNS1_3repE0EEENS1_30default_config_static_selectorELNS0_4arch9wavefront6targetE0EEEvT1_
    .private_segment_fixed_size: 0
    .sgpr_count:     0
    .sgpr_spill_count: 0
    .symbol:         _ZN7rocprim17ROCPRIM_400000_NS6detail17trampoline_kernelINS0_14default_configENS1_27scan_by_key_config_selectorIisEEZZNS1_16scan_by_key_implILNS1_25lookback_scan_determinismE0ELb1ES3_N6thrust23THRUST_200600_302600_NS6detail15normal_iteratorINS9_10device_ptrIiEEEENSB_INSC_IsEEEESG_sNS9_4plusIvEENS9_8equal_toIvEEsEE10hipError_tPvRmT2_T3_T4_T5_mT6_T7_P12ihipStream_tbENKUlT_T0_E_clISt17integral_constantIbLb0EES11_EEDaSW_SX_EUlSW_E_NS1_11comp_targetILNS1_3genE10ELNS1_11target_archE1200ELNS1_3gpuE4ELNS1_3repE0EEENS1_30default_config_static_selectorELNS0_4arch9wavefront6targetE0EEEvT1_.kd
    .uniform_work_group_size: 1
    .uses_dynamic_stack: false
    .vgpr_count:     0
    .vgpr_spill_count: 0
    .wavefront_size: 32
  - .args:
      - .offset:         0
        .size:           112
        .value_kind:     by_value
    .group_segment_fixed_size: 0
    .kernarg_segment_align: 8
    .kernarg_segment_size: 112
    .language:       OpenCL C
    .language_version:
      - 2
      - 0
    .max_flat_workgroup_size: 64
    .name:           _ZN7rocprim17ROCPRIM_400000_NS6detail17trampoline_kernelINS0_14default_configENS1_27scan_by_key_config_selectorIisEEZZNS1_16scan_by_key_implILNS1_25lookback_scan_determinismE0ELb1ES3_N6thrust23THRUST_200600_302600_NS6detail15normal_iteratorINS9_10device_ptrIiEEEENSB_INSC_IsEEEESG_sNS9_4plusIvEENS9_8equal_toIvEEsEE10hipError_tPvRmT2_T3_T4_T5_mT6_T7_P12ihipStream_tbENKUlT_T0_E_clISt17integral_constantIbLb0EES11_EEDaSW_SX_EUlSW_E_NS1_11comp_targetILNS1_3genE9ELNS1_11target_archE1100ELNS1_3gpuE3ELNS1_3repE0EEENS1_30default_config_static_selectorELNS0_4arch9wavefront6targetE0EEEvT1_
    .private_segment_fixed_size: 0
    .sgpr_count:     0
    .sgpr_spill_count: 0
    .symbol:         _ZN7rocprim17ROCPRIM_400000_NS6detail17trampoline_kernelINS0_14default_configENS1_27scan_by_key_config_selectorIisEEZZNS1_16scan_by_key_implILNS1_25lookback_scan_determinismE0ELb1ES3_N6thrust23THRUST_200600_302600_NS6detail15normal_iteratorINS9_10device_ptrIiEEEENSB_INSC_IsEEEESG_sNS9_4plusIvEENS9_8equal_toIvEEsEE10hipError_tPvRmT2_T3_T4_T5_mT6_T7_P12ihipStream_tbENKUlT_T0_E_clISt17integral_constantIbLb0EES11_EEDaSW_SX_EUlSW_E_NS1_11comp_targetILNS1_3genE9ELNS1_11target_archE1100ELNS1_3gpuE3ELNS1_3repE0EEENS1_30default_config_static_selectorELNS0_4arch9wavefront6targetE0EEEvT1_.kd
    .uniform_work_group_size: 1
    .uses_dynamic_stack: false
    .vgpr_count:     0
    .vgpr_spill_count: 0
    .wavefront_size: 32
  - .args:
      - .offset:         0
        .size:           112
        .value_kind:     by_value
    .group_segment_fixed_size: 0
    .kernarg_segment_align: 8
    .kernarg_segment_size: 112
    .language:       OpenCL C
    .language_version:
      - 2
      - 0
    .max_flat_workgroup_size: 64
    .name:           _ZN7rocprim17ROCPRIM_400000_NS6detail17trampoline_kernelINS0_14default_configENS1_27scan_by_key_config_selectorIisEEZZNS1_16scan_by_key_implILNS1_25lookback_scan_determinismE0ELb1ES3_N6thrust23THRUST_200600_302600_NS6detail15normal_iteratorINS9_10device_ptrIiEEEENSB_INSC_IsEEEESG_sNS9_4plusIvEENS9_8equal_toIvEEsEE10hipError_tPvRmT2_T3_T4_T5_mT6_T7_P12ihipStream_tbENKUlT_T0_E_clISt17integral_constantIbLb0EES11_EEDaSW_SX_EUlSW_E_NS1_11comp_targetILNS1_3genE8ELNS1_11target_archE1030ELNS1_3gpuE2ELNS1_3repE0EEENS1_30default_config_static_selectorELNS0_4arch9wavefront6targetE0EEEvT1_
    .private_segment_fixed_size: 0
    .sgpr_count:     0
    .sgpr_spill_count: 0
    .symbol:         _ZN7rocprim17ROCPRIM_400000_NS6detail17trampoline_kernelINS0_14default_configENS1_27scan_by_key_config_selectorIisEEZZNS1_16scan_by_key_implILNS1_25lookback_scan_determinismE0ELb1ES3_N6thrust23THRUST_200600_302600_NS6detail15normal_iteratorINS9_10device_ptrIiEEEENSB_INSC_IsEEEESG_sNS9_4plusIvEENS9_8equal_toIvEEsEE10hipError_tPvRmT2_T3_T4_T5_mT6_T7_P12ihipStream_tbENKUlT_T0_E_clISt17integral_constantIbLb0EES11_EEDaSW_SX_EUlSW_E_NS1_11comp_targetILNS1_3genE8ELNS1_11target_archE1030ELNS1_3gpuE2ELNS1_3repE0EEENS1_30default_config_static_selectorELNS0_4arch9wavefront6targetE0EEEvT1_.kd
    .uniform_work_group_size: 1
    .uses_dynamic_stack: false
    .vgpr_count:     0
    .vgpr_spill_count: 0
    .wavefront_size: 32
  - .args:
      - .offset:         0
        .size:           112
        .value_kind:     by_value
    .group_segment_fixed_size: 0
    .kernarg_segment_align: 8
    .kernarg_segment_size: 112
    .language:       OpenCL C
    .language_version:
      - 2
      - 0
    .max_flat_workgroup_size: 256
    .name:           _ZN7rocprim17ROCPRIM_400000_NS6detail17trampoline_kernelINS0_14default_configENS1_27scan_by_key_config_selectorIisEEZZNS1_16scan_by_key_implILNS1_25lookback_scan_determinismE0ELb1ES3_N6thrust23THRUST_200600_302600_NS6detail15normal_iteratorINS9_10device_ptrIiEEEENSB_INSC_IsEEEESG_sNS9_4plusIvEENS9_8equal_toIvEEsEE10hipError_tPvRmT2_T3_T4_T5_mT6_T7_P12ihipStream_tbENKUlT_T0_E_clISt17integral_constantIbLb1EES11_EEDaSW_SX_EUlSW_E_NS1_11comp_targetILNS1_3genE0ELNS1_11target_archE4294967295ELNS1_3gpuE0ELNS1_3repE0EEENS1_30default_config_static_selectorELNS0_4arch9wavefront6targetE0EEEvT1_
    .private_segment_fixed_size: 0
    .sgpr_count:     0
    .sgpr_spill_count: 0
    .symbol:         _ZN7rocprim17ROCPRIM_400000_NS6detail17trampoline_kernelINS0_14default_configENS1_27scan_by_key_config_selectorIisEEZZNS1_16scan_by_key_implILNS1_25lookback_scan_determinismE0ELb1ES3_N6thrust23THRUST_200600_302600_NS6detail15normal_iteratorINS9_10device_ptrIiEEEENSB_INSC_IsEEEESG_sNS9_4plusIvEENS9_8equal_toIvEEsEE10hipError_tPvRmT2_T3_T4_T5_mT6_T7_P12ihipStream_tbENKUlT_T0_E_clISt17integral_constantIbLb1EES11_EEDaSW_SX_EUlSW_E_NS1_11comp_targetILNS1_3genE0ELNS1_11target_archE4294967295ELNS1_3gpuE0ELNS1_3repE0EEENS1_30default_config_static_selectorELNS0_4arch9wavefront6targetE0EEEvT1_.kd
    .uniform_work_group_size: 1
    .uses_dynamic_stack: false
    .vgpr_count:     0
    .vgpr_spill_count: 0
    .wavefront_size: 32
  - .args:
      - .offset:         0
        .size:           112
        .value_kind:     by_value
    .group_segment_fixed_size: 0
    .kernarg_segment_align: 8
    .kernarg_segment_size: 112
    .language:       OpenCL C
    .language_version:
      - 2
      - 0
    .max_flat_workgroup_size: 256
    .name:           _ZN7rocprim17ROCPRIM_400000_NS6detail17trampoline_kernelINS0_14default_configENS1_27scan_by_key_config_selectorIisEEZZNS1_16scan_by_key_implILNS1_25lookback_scan_determinismE0ELb1ES3_N6thrust23THRUST_200600_302600_NS6detail15normal_iteratorINS9_10device_ptrIiEEEENSB_INSC_IsEEEESG_sNS9_4plusIvEENS9_8equal_toIvEEsEE10hipError_tPvRmT2_T3_T4_T5_mT6_T7_P12ihipStream_tbENKUlT_T0_E_clISt17integral_constantIbLb1EES11_EEDaSW_SX_EUlSW_E_NS1_11comp_targetILNS1_3genE10ELNS1_11target_archE1201ELNS1_3gpuE5ELNS1_3repE0EEENS1_30default_config_static_selectorELNS0_4arch9wavefront6targetE0EEEvT1_
    .private_segment_fixed_size: 0
    .sgpr_count:     0
    .sgpr_spill_count: 0
    .symbol:         _ZN7rocprim17ROCPRIM_400000_NS6detail17trampoline_kernelINS0_14default_configENS1_27scan_by_key_config_selectorIisEEZZNS1_16scan_by_key_implILNS1_25lookback_scan_determinismE0ELb1ES3_N6thrust23THRUST_200600_302600_NS6detail15normal_iteratorINS9_10device_ptrIiEEEENSB_INSC_IsEEEESG_sNS9_4plusIvEENS9_8equal_toIvEEsEE10hipError_tPvRmT2_T3_T4_T5_mT6_T7_P12ihipStream_tbENKUlT_T0_E_clISt17integral_constantIbLb1EES11_EEDaSW_SX_EUlSW_E_NS1_11comp_targetILNS1_3genE10ELNS1_11target_archE1201ELNS1_3gpuE5ELNS1_3repE0EEENS1_30default_config_static_selectorELNS0_4arch9wavefront6targetE0EEEvT1_.kd
    .uniform_work_group_size: 1
    .uses_dynamic_stack: false
    .vgpr_count:     0
    .vgpr_spill_count: 0
    .wavefront_size: 32
  - .args:
      - .offset:         0
        .size:           112
        .value_kind:     by_value
    .group_segment_fixed_size: 0
    .kernarg_segment_align: 8
    .kernarg_segment_size: 112
    .language:       OpenCL C
    .language_version:
      - 2
      - 0
    .max_flat_workgroup_size: 256
    .name:           _ZN7rocprim17ROCPRIM_400000_NS6detail17trampoline_kernelINS0_14default_configENS1_27scan_by_key_config_selectorIisEEZZNS1_16scan_by_key_implILNS1_25lookback_scan_determinismE0ELb1ES3_N6thrust23THRUST_200600_302600_NS6detail15normal_iteratorINS9_10device_ptrIiEEEENSB_INSC_IsEEEESG_sNS9_4plusIvEENS9_8equal_toIvEEsEE10hipError_tPvRmT2_T3_T4_T5_mT6_T7_P12ihipStream_tbENKUlT_T0_E_clISt17integral_constantIbLb1EES11_EEDaSW_SX_EUlSW_E_NS1_11comp_targetILNS1_3genE5ELNS1_11target_archE942ELNS1_3gpuE9ELNS1_3repE0EEENS1_30default_config_static_selectorELNS0_4arch9wavefront6targetE0EEEvT1_
    .private_segment_fixed_size: 0
    .sgpr_count:     0
    .sgpr_spill_count: 0
    .symbol:         _ZN7rocprim17ROCPRIM_400000_NS6detail17trampoline_kernelINS0_14default_configENS1_27scan_by_key_config_selectorIisEEZZNS1_16scan_by_key_implILNS1_25lookback_scan_determinismE0ELb1ES3_N6thrust23THRUST_200600_302600_NS6detail15normal_iteratorINS9_10device_ptrIiEEEENSB_INSC_IsEEEESG_sNS9_4plusIvEENS9_8equal_toIvEEsEE10hipError_tPvRmT2_T3_T4_T5_mT6_T7_P12ihipStream_tbENKUlT_T0_E_clISt17integral_constantIbLb1EES11_EEDaSW_SX_EUlSW_E_NS1_11comp_targetILNS1_3genE5ELNS1_11target_archE942ELNS1_3gpuE9ELNS1_3repE0EEENS1_30default_config_static_selectorELNS0_4arch9wavefront6targetE0EEEvT1_.kd
    .uniform_work_group_size: 1
    .uses_dynamic_stack: false
    .vgpr_count:     0
    .vgpr_spill_count: 0
    .wavefront_size: 32
  - .args:
      - .offset:         0
        .size:           112
        .value_kind:     by_value
    .group_segment_fixed_size: 0
    .kernarg_segment_align: 8
    .kernarg_segment_size: 112
    .language:       OpenCL C
    .language_version:
      - 2
      - 0
    .max_flat_workgroup_size: 64
    .name:           _ZN7rocprim17ROCPRIM_400000_NS6detail17trampoline_kernelINS0_14default_configENS1_27scan_by_key_config_selectorIisEEZZNS1_16scan_by_key_implILNS1_25lookback_scan_determinismE0ELb1ES3_N6thrust23THRUST_200600_302600_NS6detail15normal_iteratorINS9_10device_ptrIiEEEENSB_INSC_IsEEEESG_sNS9_4plusIvEENS9_8equal_toIvEEsEE10hipError_tPvRmT2_T3_T4_T5_mT6_T7_P12ihipStream_tbENKUlT_T0_E_clISt17integral_constantIbLb1EES11_EEDaSW_SX_EUlSW_E_NS1_11comp_targetILNS1_3genE4ELNS1_11target_archE910ELNS1_3gpuE8ELNS1_3repE0EEENS1_30default_config_static_selectorELNS0_4arch9wavefront6targetE0EEEvT1_
    .private_segment_fixed_size: 0
    .sgpr_count:     0
    .sgpr_spill_count: 0
    .symbol:         _ZN7rocprim17ROCPRIM_400000_NS6detail17trampoline_kernelINS0_14default_configENS1_27scan_by_key_config_selectorIisEEZZNS1_16scan_by_key_implILNS1_25lookback_scan_determinismE0ELb1ES3_N6thrust23THRUST_200600_302600_NS6detail15normal_iteratorINS9_10device_ptrIiEEEENSB_INSC_IsEEEESG_sNS9_4plusIvEENS9_8equal_toIvEEsEE10hipError_tPvRmT2_T3_T4_T5_mT6_T7_P12ihipStream_tbENKUlT_T0_E_clISt17integral_constantIbLb1EES11_EEDaSW_SX_EUlSW_E_NS1_11comp_targetILNS1_3genE4ELNS1_11target_archE910ELNS1_3gpuE8ELNS1_3repE0EEENS1_30default_config_static_selectorELNS0_4arch9wavefront6targetE0EEEvT1_.kd
    .uniform_work_group_size: 1
    .uses_dynamic_stack: false
    .vgpr_count:     0
    .vgpr_spill_count: 0
    .wavefront_size: 32
  - .args:
      - .offset:         0
        .size:           112
        .value_kind:     by_value
    .group_segment_fixed_size: 0
    .kernarg_segment_align: 8
    .kernarg_segment_size: 112
    .language:       OpenCL C
    .language_version:
      - 2
      - 0
    .max_flat_workgroup_size: 256
    .name:           _ZN7rocprim17ROCPRIM_400000_NS6detail17trampoline_kernelINS0_14default_configENS1_27scan_by_key_config_selectorIisEEZZNS1_16scan_by_key_implILNS1_25lookback_scan_determinismE0ELb1ES3_N6thrust23THRUST_200600_302600_NS6detail15normal_iteratorINS9_10device_ptrIiEEEENSB_INSC_IsEEEESG_sNS9_4plusIvEENS9_8equal_toIvEEsEE10hipError_tPvRmT2_T3_T4_T5_mT6_T7_P12ihipStream_tbENKUlT_T0_E_clISt17integral_constantIbLb1EES11_EEDaSW_SX_EUlSW_E_NS1_11comp_targetILNS1_3genE3ELNS1_11target_archE908ELNS1_3gpuE7ELNS1_3repE0EEENS1_30default_config_static_selectorELNS0_4arch9wavefront6targetE0EEEvT1_
    .private_segment_fixed_size: 0
    .sgpr_count:     0
    .sgpr_spill_count: 0
    .symbol:         _ZN7rocprim17ROCPRIM_400000_NS6detail17trampoline_kernelINS0_14default_configENS1_27scan_by_key_config_selectorIisEEZZNS1_16scan_by_key_implILNS1_25lookback_scan_determinismE0ELb1ES3_N6thrust23THRUST_200600_302600_NS6detail15normal_iteratorINS9_10device_ptrIiEEEENSB_INSC_IsEEEESG_sNS9_4plusIvEENS9_8equal_toIvEEsEE10hipError_tPvRmT2_T3_T4_T5_mT6_T7_P12ihipStream_tbENKUlT_T0_E_clISt17integral_constantIbLb1EES11_EEDaSW_SX_EUlSW_E_NS1_11comp_targetILNS1_3genE3ELNS1_11target_archE908ELNS1_3gpuE7ELNS1_3repE0EEENS1_30default_config_static_selectorELNS0_4arch9wavefront6targetE0EEEvT1_.kd
    .uniform_work_group_size: 1
    .uses_dynamic_stack: false
    .vgpr_count:     0
    .vgpr_spill_count: 0
    .wavefront_size: 32
  - .args:
      - .offset:         0
        .size:           112
        .value_kind:     by_value
    .group_segment_fixed_size: 0
    .kernarg_segment_align: 8
    .kernarg_segment_size: 112
    .language:       OpenCL C
    .language_version:
      - 2
      - 0
    .max_flat_workgroup_size: 64
    .name:           _ZN7rocprim17ROCPRIM_400000_NS6detail17trampoline_kernelINS0_14default_configENS1_27scan_by_key_config_selectorIisEEZZNS1_16scan_by_key_implILNS1_25lookback_scan_determinismE0ELb1ES3_N6thrust23THRUST_200600_302600_NS6detail15normal_iteratorINS9_10device_ptrIiEEEENSB_INSC_IsEEEESG_sNS9_4plusIvEENS9_8equal_toIvEEsEE10hipError_tPvRmT2_T3_T4_T5_mT6_T7_P12ihipStream_tbENKUlT_T0_E_clISt17integral_constantIbLb1EES11_EEDaSW_SX_EUlSW_E_NS1_11comp_targetILNS1_3genE2ELNS1_11target_archE906ELNS1_3gpuE6ELNS1_3repE0EEENS1_30default_config_static_selectorELNS0_4arch9wavefront6targetE0EEEvT1_
    .private_segment_fixed_size: 0
    .sgpr_count:     0
    .sgpr_spill_count: 0
    .symbol:         _ZN7rocprim17ROCPRIM_400000_NS6detail17trampoline_kernelINS0_14default_configENS1_27scan_by_key_config_selectorIisEEZZNS1_16scan_by_key_implILNS1_25lookback_scan_determinismE0ELb1ES3_N6thrust23THRUST_200600_302600_NS6detail15normal_iteratorINS9_10device_ptrIiEEEENSB_INSC_IsEEEESG_sNS9_4plusIvEENS9_8equal_toIvEEsEE10hipError_tPvRmT2_T3_T4_T5_mT6_T7_P12ihipStream_tbENKUlT_T0_E_clISt17integral_constantIbLb1EES11_EEDaSW_SX_EUlSW_E_NS1_11comp_targetILNS1_3genE2ELNS1_11target_archE906ELNS1_3gpuE6ELNS1_3repE0EEENS1_30default_config_static_selectorELNS0_4arch9wavefront6targetE0EEEvT1_.kd
    .uniform_work_group_size: 1
    .uses_dynamic_stack: false
    .vgpr_count:     0
    .vgpr_spill_count: 0
    .wavefront_size: 32
  - .args:
      - .offset:         0
        .size:           112
        .value_kind:     by_value
    .group_segment_fixed_size: 0
    .kernarg_segment_align: 8
    .kernarg_segment_size: 112
    .language:       OpenCL C
    .language_version:
      - 2
      - 0
    .max_flat_workgroup_size: 256
    .name:           _ZN7rocprim17ROCPRIM_400000_NS6detail17trampoline_kernelINS0_14default_configENS1_27scan_by_key_config_selectorIisEEZZNS1_16scan_by_key_implILNS1_25lookback_scan_determinismE0ELb1ES3_N6thrust23THRUST_200600_302600_NS6detail15normal_iteratorINS9_10device_ptrIiEEEENSB_INSC_IsEEEESG_sNS9_4plusIvEENS9_8equal_toIvEEsEE10hipError_tPvRmT2_T3_T4_T5_mT6_T7_P12ihipStream_tbENKUlT_T0_E_clISt17integral_constantIbLb1EES11_EEDaSW_SX_EUlSW_E_NS1_11comp_targetILNS1_3genE10ELNS1_11target_archE1200ELNS1_3gpuE4ELNS1_3repE0EEENS1_30default_config_static_selectorELNS0_4arch9wavefront6targetE0EEEvT1_
    .private_segment_fixed_size: 0
    .sgpr_count:     0
    .sgpr_spill_count: 0
    .symbol:         _ZN7rocprim17ROCPRIM_400000_NS6detail17trampoline_kernelINS0_14default_configENS1_27scan_by_key_config_selectorIisEEZZNS1_16scan_by_key_implILNS1_25lookback_scan_determinismE0ELb1ES3_N6thrust23THRUST_200600_302600_NS6detail15normal_iteratorINS9_10device_ptrIiEEEENSB_INSC_IsEEEESG_sNS9_4plusIvEENS9_8equal_toIvEEsEE10hipError_tPvRmT2_T3_T4_T5_mT6_T7_P12ihipStream_tbENKUlT_T0_E_clISt17integral_constantIbLb1EES11_EEDaSW_SX_EUlSW_E_NS1_11comp_targetILNS1_3genE10ELNS1_11target_archE1200ELNS1_3gpuE4ELNS1_3repE0EEENS1_30default_config_static_selectorELNS0_4arch9wavefront6targetE0EEEvT1_.kd
    .uniform_work_group_size: 1
    .uses_dynamic_stack: false
    .vgpr_count:     0
    .vgpr_spill_count: 0
    .wavefront_size: 32
  - .args:
      - .offset:         0
        .size:           112
        .value_kind:     by_value
    .group_segment_fixed_size: 0
    .kernarg_segment_align: 8
    .kernarg_segment_size: 112
    .language:       OpenCL C
    .language_version:
      - 2
      - 0
    .max_flat_workgroup_size: 64
    .name:           _ZN7rocprim17ROCPRIM_400000_NS6detail17trampoline_kernelINS0_14default_configENS1_27scan_by_key_config_selectorIisEEZZNS1_16scan_by_key_implILNS1_25lookback_scan_determinismE0ELb1ES3_N6thrust23THRUST_200600_302600_NS6detail15normal_iteratorINS9_10device_ptrIiEEEENSB_INSC_IsEEEESG_sNS9_4plusIvEENS9_8equal_toIvEEsEE10hipError_tPvRmT2_T3_T4_T5_mT6_T7_P12ihipStream_tbENKUlT_T0_E_clISt17integral_constantIbLb1EES11_EEDaSW_SX_EUlSW_E_NS1_11comp_targetILNS1_3genE9ELNS1_11target_archE1100ELNS1_3gpuE3ELNS1_3repE0EEENS1_30default_config_static_selectorELNS0_4arch9wavefront6targetE0EEEvT1_
    .private_segment_fixed_size: 0
    .sgpr_count:     0
    .sgpr_spill_count: 0
    .symbol:         _ZN7rocprim17ROCPRIM_400000_NS6detail17trampoline_kernelINS0_14default_configENS1_27scan_by_key_config_selectorIisEEZZNS1_16scan_by_key_implILNS1_25lookback_scan_determinismE0ELb1ES3_N6thrust23THRUST_200600_302600_NS6detail15normal_iteratorINS9_10device_ptrIiEEEENSB_INSC_IsEEEESG_sNS9_4plusIvEENS9_8equal_toIvEEsEE10hipError_tPvRmT2_T3_T4_T5_mT6_T7_P12ihipStream_tbENKUlT_T0_E_clISt17integral_constantIbLb1EES11_EEDaSW_SX_EUlSW_E_NS1_11comp_targetILNS1_3genE9ELNS1_11target_archE1100ELNS1_3gpuE3ELNS1_3repE0EEENS1_30default_config_static_selectorELNS0_4arch9wavefront6targetE0EEEvT1_.kd
    .uniform_work_group_size: 1
    .uses_dynamic_stack: false
    .vgpr_count:     0
    .vgpr_spill_count: 0
    .wavefront_size: 32
  - .args:
      - .offset:         0
        .size:           112
        .value_kind:     by_value
    .group_segment_fixed_size: 0
    .kernarg_segment_align: 8
    .kernarg_segment_size: 112
    .language:       OpenCL C
    .language_version:
      - 2
      - 0
    .max_flat_workgroup_size: 64
    .name:           _ZN7rocprim17ROCPRIM_400000_NS6detail17trampoline_kernelINS0_14default_configENS1_27scan_by_key_config_selectorIisEEZZNS1_16scan_by_key_implILNS1_25lookback_scan_determinismE0ELb1ES3_N6thrust23THRUST_200600_302600_NS6detail15normal_iteratorINS9_10device_ptrIiEEEENSB_INSC_IsEEEESG_sNS9_4plusIvEENS9_8equal_toIvEEsEE10hipError_tPvRmT2_T3_T4_T5_mT6_T7_P12ihipStream_tbENKUlT_T0_E_clISt17integral_constantIbLb1EES11_EEDaSW_SX_EUlSW_E_NS1_11comp_targetILNS1_3genE8ELNS1_11target_archE1030ELNS1_3gpuE2ELNS1_3repE0EEENS1_30default_config_static_selectorELNS0_4arch9wavefront6targetE0EEEvT1_
    .private_segment_fixed_size: 0
    .sgpr_count:     0
    .sgpr_spill_count: 0
    .symbol:         _ZN7rocprim17ROCPRIM_400000_NS6detail17trampoline_kernelINS0_14default_configENS1_27scan_by_key_config_selectorIisEEZZNS1_16scan_by_key_implILNS1_25lookback_scan_determinismE0ELb1ES3_N6thrust23THRUST_200600_302600_NS6detail15normal_iteratorINS9_10device_ptrIiEEEENSB_INSC_IsEEEESG_sNS9_4plusIvEENS9_8equal_toIvEEsEE10hipError_tPvRmT2_T3_T4_T5_mT6_T7_P12ihipStream_tbENKUlT_T0_E_clISt17integral_constantIbLb1EES11_EEDaSW_SX_EUlSW_E_NS1_11comp_targetILNS1_3genE8ELNS1_11target_archE1030ELNS1_3gpuE2ELNS1_3repE0EEENS1_30default_config_static_selectorELNS0_4arch9wavefront6targetE0EEEvT1_.kd
    .uniform_work_group_size: 1
    .uses_dynamic_stack: false
    .vgpr_count:     0
    .vgpr_spill_count: 0
    .wavefront_size: 32
  - .args:
      - .offset:         0
        .size:           112
        .value_kind:     by_value
    .group_segment_fixed_size: 0
    .kernarg_segment_align: 8
    .kernarg_segment_size: 112
    .language:       OpenCL C
    .language_version:
      - 2
      - 0
    .max_flat_workgroup_size: 256
    .name:           _ZN7rocprim17ROCPRIM_400000_NS6detail17trampoline_kernelINS0_14default_configENS1_27scan_by_key_config_selectorIisEEZZNS1_16scan_by_key_implILNS1_25lookback_scan_determinismE0ELb1ES3_N6thrust23THRUST_200600_302600_NS6detail15normal_iteratorINS9_10device_ptrIiEEEENSB_INSC_IsEEEESG_sNS9_4plusIvEENS9_8equal_toIvEEsEE10hipError_tPvRmT2_T3_T4_T5_mT6_T7_P12ihipStream_tbENKUlT_T0_E_clISt17integral_constantIbLb1EES10_IbLb0EEEEDaSW_SX_EUlSW_E_NS1_11comp_targetILNS1_3genE0ELNS1_11target_archE4294967295ELNS1_3gpuE0ELNS1_3repE0EEENS1_30default_config_static_selectorELNS0_4arch9wavefront6targetE0EEEvT1_
    .private_segment_fixed_size: 0
    .sgpr_count:     0
    .sgpr_spill_count: 0
    .symbol:         _ZN7rocprim17ROCPRIM_400000_NS6detail17trampoline_kernelINS0_14default_configENS1_27scan_by_key_config_selectorIisEEZZNS1_16scan_by_key_implILNS1_25lookback_scan_determinismE0ELb1ES3_N6thrust23THRUST_200600_302600_NS6detail15normal_iteratorINS9_10device_ptrIiEEEENSB_INSC_IsEEEESG_sNS9_4plusIvEENS9_8equal_toIvEEsEE10hipError_tPvRmT2_T3_T4_T5_mT6_T7_P12ihipStream_tbENKUlT_T0_E_clISt17integral_constantIbLb1EES10_IbLb0EEEEDaSW_SX_EUlSW_E_NS1_11comp_targetILNS1_3genE0ELNS1_11target_archE4294967295ELNS1_3gpuE0ELNS1_3repE0EEENS1_30default_config_static_selectorELNS0_4arch9wavefront6targetE0EEEvT1_.kd
    .uniform_work_group_size: 1
    .uses_dynamic_stack: false
    .vgpr_count:     0
    .vgpr_spill_count: 0
    .wavefront_size: 32
  - .args:
      - .offset:         0
        .size:           112
        .value_kind:     by_value
    .group_segment_fixed_size: 0
    .kernarg_segment_align: 8
    .kernarg_segment_size: 112
    .language:       OpenCL C
    .language_version:
      - 2
      - 0
    .max_flat_workgroup_size: 256
    .name:           _ZN7rocprim17ROCPRIM_400000_NS6detail17trampoline_kernelINS0_14default_configENS1_27scan_by_key_config_selectorIisEEZZNS1_16scan_by_key_implILNS1_25lookback_scan_determinismE0ELb1ES3_N6thrust23THRUST_200600_302600_NS6detail15normal_iteratorINS9_10device_ptrIiEEEENSB_INSC_IsEEEESG_sNS9_4plusIvEENS9_8equal_toIvEEsEE10hipError_tPvRmT2_T3_T4_T5_mT6_T7_P12ihipStream_tbENKUlT_T0_E_clISt17integral_constantIbLb1EES10_IbLb0EEEEDaSW_SX_EUlSW_E_NS1_11comp_targetILNS1_3genE10ELNS1_11target_archE1201ELNS1_3gpuE5ELNS1_3repE0EEENS1_30default_config_static_selectorELNS0_4arch9wavefront6targetE0EEEvT1_
    .private_segment_fixed_size: 0
    .sgpr_count:     0
    .sgpr_spill_count: 0
    .symbol:         _ZN7rocprim17ROCPRIM_400000_NS6detail17trampoline_kernelINS0_14default_configENS1_27scan_by_key_config_selectorIisEEZZNS1_16scan_by_key_implILNS1_25lookback_scan_determinismE0ELb1ES3_N6thrust23THRUST_200600_302600_NS6detail15normal_iteratorINS9_10device_ptrIiEEEENSB_INSC_IsEEEESG_sNS9_4plusIvEENS9_8equal_toIvEEsEE10hipError_tPvRmT2_T3_T4_T5_mT6_T7_P12ihipStream_tbENKUlT_T0_E_clISt17integral_constantIbLb1EES10_IbLb0EEEEDaSW_SX_EUlSW_E_NS1_11comp_targetILNS1_3genE10ELNS1_11target_archE1201ELNS1_3gpuE5ELNS1_3repE0EEENS1_30default_config_static_selectorELNS0_4arch9wavefront6targetE0EEEvT1_.kd
    .uniform_work_group_size: 1
    .uses_dynamic_stack: false
    .vgpr_count:     0
    .vgpr_spill_count: 0
    .wavefront_size: 32
  - .args:
      - .offset:         0
        .size:           112
        .value_kind:     by_value
    .group_segment_fixed_size: 0
    .kernarg_segment_align: 8
    .kernarg_segment_size: 112
    .language:       OpenCL C
    .language_version:
      - 2
      - 0
    .max_flat_workgroup_size: 256
    .name:           _ZN7rocprim17ROCPRIM_400000_NS6detail17trampoline_kernelINS0_14default_configENS1_27scan_by_key_config_selectorIisEEZZNS1_16scan_by_key_implILNS1_25lookback_scan_determinismE0ELb1ES3_N6thrust23THRUST_200600_302600_NS6detail15normal_iteratorINS9_10device_ptrIiEEEENSB_INSC_IsEEEESG_sNS9_4plusIvEENS9_8equal_toIvEEsEE10hipError_tPvRmT2_T3_T4_T5_mT6_T7_P12ihipStream_tbENKUlT_T0_E_clISt17integral_constantIbLb1EES10_IbLb0EEEEDaSW_SX_EUlSW_E_NS1_11comp_targetILNS1_3genE5ELNS1_11target_archE942ELNS1_3gpuE9ELNS1_3repE0EEENS1_30default_config_static_selectorELNS0_4arch9wavefront6targetE0EEEvT1_
    .private_segment_fixed_size: 0
    .sgpr_count:     0
    .sgpr_spill_count: 0
    .symbol:         _ZN7rocprim17ROCPRIM_400000_NS6detail17trampoline_kernelINS0_14default_configENS1_27scan_by_key_config_selectorIisEEZZNS1_16scan_by_key_implILNS1_25lookback_scan_determinismE0ELb1ES3_N6thrust23THRUST_200600_302600_NS6detail15normal_iteratorINS9_10device_ptrIiEEEENSB_INSC_IsEEEESG_sNS9_4plusIvEENS9_8equal_toIvEEsEE10hipError_tPvRmT2_T3_T4_T5_mT6_T7_P12ihipStream_tbENKUlT_T0_E_clISt17integral_constantIbLb1EES10_IbLb0EEEEDaSW_SX_EUlSW_E_NS1_11comp_targetILNS1_3genE5ELNS1_11target_archE942ELNS1_3gpuE9ELNS1_3repE0EEENS1_30default_config_static_selectorELNS0_4arch9wavefront6targetE0EEEvT1_.kd
    .uniform_work_group_size: 1
    .uses_dynamic_stack: false
    .vgpr_count:     0
    .vgpr_spill_count: 0
    .wavefront_size: 32
  - .args:
      - .offset:         0
        .size:           112
        .value_kind:     by_value
    .group_segment_fixed_size: 0
    .kernarg_segment_align: 8
    .kernarg_segment_size: 112
    .language:       OpenCL C
    .language_version:
      - 2
      - 0
    .max_flat_workgroup_size: 64
    .name:           _ZN7rocprim17ROCPRIM_400000_NS6detail17trampoline_kernelINS0_14default_configENS1_27scan_by_key_config_selectorIisEEZZNS1_16scan_by_key_implILNS1_25lookback_scan_determinismE0ELb1ES3_N6thrust23THRUST_200600_302600_NS6detail15normal_iteratorINS9_10device_ptrIiEEEENSB_INSC_IsEEEESG_sNS9_4plusIvEENS9_8equal_toIvEEsEE10hipError_tPvRmT2_T3_T4_T5_mT6_T7_P12ihipStream_tbENKUlT_T0_E_clISt17integral_constantIbLb1EES10_IbLb0EEEEDaSW_SX_EUlSW_E_NS1_11comp_targetILNS1_3genE4ELNS1_11target_archE910ELNS1_3gpuE8ELNS1_3repE0EEENS1_30default_config_static_selectorELNS0_4arch9wavefront6targetE0EEEvT1_
    .private_segment_fixed_size: 0
    .sgpr_count:     0
    .sgpr_spill_count: 0
    .symbol:         _ZN7rocprim17ROCPRIM_400000_NS6detail17trampoline_kernelINS0_14default_configENS1_27scan_by_key_config_selectorIisEEZZNS1_16scan_by_key_implILNS1_25lookback_scan_determinismE0ELb1ES3_N6thrust23THRUST_200600_302600_NS6detail15normal_iteratorINS9_10device_ptrIiEEEENSB_INSC_IsEEEESG_sNS9_4plusIvEENS9_8equal_toIvEEsEE10hipError_tPvRmT2_T3_T4_T5_mT6_T7_P12ihipStream_tbENKUlT_T0_E_clISt17integral_constantIbLb1EES10_IbLb0EEEEDaSW_SX_EUlSW_E_NS1_11comp_targetILNS1_3genE4ELNS1_11target_archE910ELNS1_3gpuE8ELNS1_3repE0EEENS1_30default_config_static_selectorELNS0_4arch9wavefront6targetE0EEEvT1_.kd
    .uniform_work_group_size: 1
    .uses_dynamic_stack: false
    .vgpr_count:     0
    .vgpr_spill_count: 0
    .wavefront_size: 32
  - .args:
      - .offset:         0
        .size:           112
        .value_kind:     by_value
    .group_segment_fixed_size: 0
    .kernarg_segment_align: 8
    .kernarg_segment_size: 112
    .language:       OpenCL C
    .language_version:
      - 2
      - 0
    .max_flat_workgroup_size: 256
    .name:           _ZN7rocprim17ROCPRIM_400000_NS6detail17trampoline_kernelINS0_14default_configENS1_27scan_by_key_config_selectorIisEEZZNS1_16scan_by_key_implILNS1_25lookback_scan_determinismE0ELb1ES3_N6thrust23THRUST_200600_302600_NS6detail15normal_iteratorINS9_10device_ptrIiEEEENSB_INSC_IsEEEESG_sNS9_4plusIvEENS9_8equal_toIvEEsEE10hipError_tPvRmT2_T3_T4_T5_mT6_T7_P12ihipStream_tbENKUlT_T0_E_clISt17integral_constantIbLb1EES10_IbLb0EEEEDaSW_SX_EUlSW_E_NS1_11comp_targetILNS1_3genE3ELNS1_11target_archE908ELNS1_3gpuE7ELNS1_3repE0EEENS1_30default_config_static_selectorELNS0_4arch9wavefront6targetE0EEEvT1_
    .private_segment_fixed_size: 0
    .sgpr_count:     0
    .sgpr_spill_count: 0
    .symbol:         _ZN7rocprim17ROCPRIM_400000_NS6detail17trampoline_kernelINS0_14default_configENS1_27scan_by_key_config_selectorIisEEZZNS1_16scan_by_key_implILNS1_25lookback_scan_determinismE0ELb1ES3_N6thrust23THRUST_200600_302600_NS6detail15normal_iteratorINS9_10device_ptrIiEEEENSB_INSC_IsEEEESG_sNS9_4plusIvEENS9_8equal_toIvEEsEE10hipError_tPvRmT2_T3_T4_T5_mT6_T7_P12ihipStream_tbENKUlT_T0_E_clISt17integral_constantIbLb1EES10_IbLb0EEEEDaSW_SX_EUlSW_E_NS1_11comp_targetILNS1_3genE3ELNS1_11target_archE908ELNS1_3gpuE7ELNS1_3repE0EEENS1_30default_config_static_selectorELNS0_4arch9wavefront6targetE0EEEvT1_.kd
    .uniform_work_group_size: 1
    .uses_dynamic_stack: false
    .vgpr_count:     0
    .vgpr_spill_count: 0
    .wavefront_size: 32
  - .args:
      - .offset:         0
        .size:           112
        .value_kind:     by_value
    .group_segment_fixed_size: 0
    .kernarg_segment_align: 8
    .kernarg_segment_size: 112
    .language:       OpenCL C
    .language_version:
      - 2
      - 0
    .max_flat_workgroup_size: 64
    .name:           _ZN7rocprim17ROCPRIM_400000_NS6detail17trampoline_kernelINS0_14default_configENS1_27scan_by_key_config_selectorIisEEZZNS1_16scan_by_key_implILNS1_25lookback_scan_determinismE0ELb1ES3_N6thrust23THRUST_200600_302600_NS6detail15normal_iteratorINS9_10device_ptrIiEEEENSB_INSC_IsEEEESG_sNS9_4plusIvEENS9_8equal_toIvEEsEE10hipError_tPvRmT2_T3_T4_T5_mT6_T7_P12ihipStream_tbENKUlT_T0_E_clISt17integral_constantIbLb1EES10_IbLb0EEEEDaSW_SX_EUlSW_E_NS1_11comp_targetILNS1_3genE2ELNS1_11target_archE906ELNS1_3gpuE6ELNS1_3repE0EEENS1_30default_config_static_selectorELNS0_4arch9wavefront6targetE0EEEvT1_
    .private_segment_fixed_size: 0
    .sgpr_count:     0
    .sgpr_spill_count: 0
    .symbol:         _ZN7rocprim17ROCPRIM_400000_NS6detail17trampoline_kernelINS0_14default_configENS1_27scan_by_key_config_selectorIisEEZZNS1_16scan_by_key_implILNS1_25lookback_scan_determinismE0ELb1ES3_N6thrust23THRUST_200600_302600_NS6detail15normal_iteratorINS9_10device_ptrIiEEEENSB_INSC_IsEEEESG_sNS9_4plusIvEENS9_8equal_toIvEEsEE10hipError_tPvRmT2_T3_T4_T5_mT6_T7_P12ihipStream_tbENKUlT_T0_E_clISt17integral_constantIbLb1EES10_IbLb0EEEEDaSW_SX_EUlSW_E_NS1_11comp_targetILNS1_3genE2ELNS1_11target_archE906ELNS1_3gpuE6ELNS1_3repE0EEENS1_30default_config_static_selectorELNS0_4arch9wavefront6targetE0EEEvT1_.kd
    .uniform_work_group_size: 1
    .uses_dynamic_stack: false
    .vgpr_count:     0
    .vgpr_spill_count: 0
    .wavefront_size: 32
  - .args:
      - .offset:         0
        .size:           112
        .value_kind:     by_value
    .group_segment_fixed_size: 0
    .kernarg_segment_align: 8
    .kernarg_segment_size: 112
    .language:       OpenCL C
    .language_version:
      - 2
      - 0
    .max_flat_workgroup_size: 256
    .name:           _ZN7rocprim17ROCPRIM_400000_NS6detail17trampoline_kernelINS0_14default_configENS1_27scan_by_key_config_selectorIisEEZZNS1_16scan_by_key_implILNS1_25lookback_scan_determinismE0ELb1ES3_N6thrust23THRUST_200600_302600_NS6detail15normal_iteratorINS9_10device_ptrIiEEEENSB_INSC_IsEEEESG_sNS9_4plusIvEENS9_8equal_toIvEEsEE10hipError_tPvRmT2_T3_T4_T5_mT6_T7_P12ihipStream_tbENKUlT_T0_E_clISt17integral_constantIbLb1EES10_IbLb0EEEEDaSW_SX_EUlSW_E_NS1_11comp_targetILNS1_3genE10ELNS1_11target_archE1200ELNS1_3gpuE4ELNS1_3repE0EEENS1_30default_config_static_selectorELNS0_4arch9wavefront6targetE0EEEvT1_
    .private_segment_fixed_size: 0
    .sgpr_count:     0
    .sgpr_spill_count: 0
    .symbol:         _ZN7rocprim17ROCPRIM_400000_NS6detail17trampoline_kernelINS0_14default_configENS1_27scan_by_key_config_selectorIisEEZZNS1_16scan_by_key_implILNS1_25lookback_scan_determinismE0ELb1ES3_N6thrust23THRUST_200600_302600_NS6detail15normal_iteratorINS9_10device_ptrIiEEEENSB_INSC_IsEEEESG_sNS9_4plusIvEENS9_8equal_toIvEEsEE10hipError_tPvRmT2_T3_T4_T5_mT6_T7_P12ihipStream_tbENKUlT_T0_E_clISt17integral_constantIbLb1EES10_IbLb0EEEEDaSW_SX_EUlSW_E_NS1_11comp_targetILNS1_3genE10ELNS1_11target_archE1200ELNS1_3gpuE4ELNS1_3repE0EEENS1_30default_config_static_selectorELNS0_4arch9wavefront6targetE0EEEvT1_.kd
    .uniform_work_group_size: 1
    .uses_dynamic_stack: false
    .vgpr_count:     0
    .vgpr_spill_count: 0
    .wavefront_size: 32
  - .args:
      - .offset:         0
        .size:           112
        .value_kind:     by_value
    .group_segment_fixed_size: 0
    .kernarg_segment_align: 8
    .kernarg_segment_size: 112
    .language:       OpenCL C
    .language_version:
      - 2
      - 0
    .max_flat_workgroup_size: 64
    .name:           _ZN7rocprim17ROCPRIM_400000_NS6detail17trampoline_kernelINS0_14default_configENS1_27scan_by_key_config_selectorIisEEZZNS1_16scan_by_key_implILNS1_25lookback_scan_determinismE0ELb1ES3_N6thrust23THRUST_200600_302600_NS6detail15normal_iteratorINS9_10device_ptrIiEEEENSB_INSC_IsEEEESG_sNS9_4plusIvEENS9_8equal_toIvEEsEE10hipError_tPvRmT2_T3_T4_T5_mT6_T7_P12ihipStream_tbENKUlT_T0_E_clISt17integral_constantIbLb1EES10_IbLb0EEEEDaSW_SX_EUlSW_E_NS1_11comp_targetILNS1_3genE9ELNS1_11target_archE1100ELNS1_3gpuE3ELNS1_3repE0EEENS1_30default_config_static_selectorELNS0_4arch9wavefront6targetE0EEEvT1_
    .private_segment_fixed_size: 0
    .sgpr_count:     0
    .sgpr_spill_count: 0
    .symbol:         _ZN7rocprim17ROCPRIM_400000_NS6detail17trampoline_kernelINS0_14default_configENS1_27scan_by_key_config_selectorIisEEZZNS1_16scan_by_key_implILNS1_25lookback_scan_determinismE0ELb1ES3_N6thrust23THRUST_200600_302600_NS6detail15normal_iteratorINS9_10device_ptrIiEEEENSB_INSC_IsEEEESG_sNS9_4plusIvEENS9_8equal_toIvEEsEE10hipError_tPvRmT2_T3_T4_T5_mT6_T7_P12ihipStream_tbENKUlT_T0_E_clISt17integral_constantIbLb1EES10_IbLb0EEEEDaSW_SX_EUlSW_E_NS1_11comp_targetILNS1_3genE9ELNS1_11target_archE1100ELNS1_3gpuE3ELNS1_3repE0EEENS1_30default_config_static_selectorELNS0_4arch9wavefront6targetE0EEEvT1_.kd
    .uniform_work_group_size: 1
    .uses_dynamic_stack: false
    .vgpr_count:     0
    .vgpr_spill_count: 0
    .wavefront_size: 32
  - .args:
      - .offset:         0
        .size:           112
        .value_kind:     by_value
    .group_segment_fixed_size: 0
    .kernarg_segment_align: 8
    .kernarg_segment_size: 112
    .language:       OpenCL C
    .language_version:
      - 2
      - 0
    .max_flat_workgroup_size: 64
    .name:           _ZN7rocprim17ROCPRIM_400000_NS6detail17trampoline_kernelINS0_14default_configENS1_27scan_by_key_config_selectorIisEEZZNS1_16scan_by_key_implILNS1_25lookback_scan_determinismE0ELb1ES3_N6thrust23THRUST_200600_302600_NS6detail15normal_iteratorINS9_10device_ptrIiEEEENSB_INSC_IsEEEESG_sNS9_4plusIvEENS9_8equal_toIvEEsEE10hipError_tPvRmT2_T3_T4_T5_mT6_T7_P12ihipStream_tbENKUlT_T0_E_clISt17integral_constantIbLb1EES10_IbLb0EEEEDaSW_SX_EUlSW_E_NS1_11comp_targetILNS1_3genE8ELNS1_11target_archE1030ELNS1_3gpuE2ELNS1_3repE0EEENS1_30default_config_static_selectorELNS0_4arch9wavefront6targetE0EEEvT1_
    .private_segment_fixed_size: 0
    .sgpr_count:     0
    .sgpr_spill_count: 0
    .symbol:         _ZN7rocprim17ROCPRIM_400000_NS6detail17trampoline_kernelINS0_14default_configENS1_27scan_by_key_config_selectorIisEEZZNS1_16scan_by_key_implILNS1_25lookback_scan_determinismE0ELb1ES3_N6thrust23THRUST_200600_302600_NS6detail15normal_iteratorINS9_10device_ptrIiEEEENSB_INSC_IsEEEESG_sNS9_4plusIvEENS9_8equal_toIvEEsEE10hipError_tPvRmT2_T3_T4_T5_mT6_T7_P12ihipStream_tbENKUlT_T0_E_clISt17integral_constantIbLb1EES10_IbLb0EEEEDaSW_SX_EUlSW_E_NS1_11comp_targetILNS1_3genE8ELNS1_11target_archE1030ELNS1_3gpuE2ELNS1_3repE0EEENS1_30default_config_static_selectorELNS0_4arch9wavefront6targetE0EEEvT1_.kd
    .uniform_work_group_size: 1
    .uses_dynamic_stack: false
    .vgpr_count:     0
    .vgpr_spill_count: 0
    .wavefront_size: 32
  - .args:
      - .offset:         0
        .size:           112
        .value_kind:     by_value
    .group_segment_fixed_size: 16384
    .kernarg_segment_align: 8
    .kernarg_segment_size: 112
    .language:       OpenCL C
    .language_version:
      - 2
      - 0
    .max_flat_workgroup_size: 256
    .name:           _ZN7rocprim17ROCPRIM_400000_NS6detail17trampoline_kernelINS0_14default_configENS1_27scan_by_key_config_selectorIisEEZZNS1_16scan_by_key_implILNS1_25lookback_scan_determinismE0ELb1ES3_N6thrust23THRUST_200600_302600_NS6detail15normal_iteratorINS9_10device_ptrIiEEEENSB_INSC_IsEEEESG_sNS9_4plusIvEENS9_8equal_toIvEEsEE10hipError_tPvRmT2_T3_T4_T5_mT6_T7_P12ihipStream_tbENKUlT_T0_E_clISt17integral_constantIbLb0EES10_IbLb1EEEEDaSW_SX_EUlSW_E_NS1_11comp_targetILNS1_3genE0ELNS1_11target_archE4294967295ELNS1_3gpuE0ELNS1_3repE0EEENS1_30default_config_static_selectorELNS0_4arch9wavefront6targetE0EEEvT1_
    .private_segment_fixed_size: 0
    .sgpr_count:     42
    .sgpr_spill_count: 0
    .symbol:         _ZN7rocprim17ROCPRIM_400000_NS6detail17trampoline_kernelINS0_14default_configENS1_27scan_by_key_config_selectorIisEEZZNS1_16scan_by_key_implILNS1_25lookback_scan_determinismE0ELb1ES3_N6thrust23THRUST_200600_302600_NS6detail15normal_iteratorINS9_10device_ptrIiEEEENSB_INSC_IsEEEESG_sNS9_4plusIvEENS9_8equal_toIvEEsEE10hipError_tPvRmT2_T3_T4_T5_mT6_T7_P12ihipStream_tbENKUlT_T0_E_clISt17integral_constantIbLb0EES10_IbLb1EEEEDaSW_SX_EUlSW_E_NS1_11comp_targetILNS1_3genE0ELNS1_11target_archE4294967295ELNS1_3gpuE0ELNS1_3repE0EEENS1_30default_config_static_selectorELNS0_4arch9wavefront6targetE0EEEvT1_.kd
    .uniform_work_group_size: 1
    .uses_dynamic_stack: false
    .vgpr_count:     47
    .vgpr_spill_count: 0
    .wavefront_size: 32
  - .args:
      - .offset:         0
        .size:           112
        .value_kind:     by_value
    .group_segment_fixed_size: 0
    .kernarg_segment_align: 8
    .kernarg_segment_size: 112
    .language:       OpenCL C
    .language_version:
      - 2
      - 0
    .max_flat_workgroup_size: 256
    .name:           _ZN7rocprim17ROCPRIM_400000_NS6detail17trampoline_kernelINS0_14default_configENS1_27scan_by_key_config_selectorIisEEZZNS1_16scan_by_key_implILNS1_25lookback_scan_determinismE0ELb1ES3_N6thrust23THRUST_200600_302600_NS6detail15normal_iteratorINS9_10device_ptrIiEEEENSB_INSC_IsEEEESG_sNS9_4plusIvEENS9_8equal_toIvEEsEE10hipError_tPvRmT2_T3_T4_T5_mT6_T7_P12ihipStream_tbENKUlT_T0_E_clISt17integral_constantIbLb0EES10_IbLb1EEEEDaSW_SX_EUlSW_E_NS1_11comp_targetILNS1_3genE10ELNS1_11target_archE1201ELNS1_3gpuE5ELNS1_3repE0EEENS1_30default_config_static_selectorELNS0_4arch9wavefront6targetE0EEEvT1_
    .private_segment_fixed_size: 0
    .sgpr_count:     0
    .sgpr_spill_count: 0
    .symbol:         _ZN7rocprim17ROCPRIM_400000_NS6detail17trampoline_kernelINS0_14default_configENS1_27scan_by_key_config_selectorIisEEZZNS1_16scan_by_key_implILNS1_25lookback_scan_determinismE0ELb1ES3_N6thrust23THRUST_200600_302600_NS6detail15normal_iteratorINS9_10device_ptrIiEEEENSB_INSC_IsEEEESG_sNS9_4plusIvEENS9_8equal_toIvEEsEE10hipError_tPvRmT2_T3_T4_T5_mT6_T7_P12ihipStream_tbENKUlT_T0_E_clISt17integral_constantIbLb0EES10_IbLb1EEEEDaSW_SX_EUlSW_E_NS1_11comp_targetILNS1_3genE10ELNS1_11target_archE1201ELNS1_3gpuE5ELNS1_3repE0EEENS1_30default_config_static_selectorELNS0_4arch9wavefront6targetE0EEEvT1_.kd
    .uniform_work_group_size: 1
    .uses_dynamic_stack: false
    .vgpr_count:     0
    .vgpr_spill_count: 0
    .wavefront_size: 32
  - .args:
      - .offset:         0
        .size:           112
        .value_kind:     by_value
    .group_segment_fixed_size: 0
    .kernarg_segment_align: 8
    .kernarg_segment_size: 112
    .language:       OpenCL C
    .language_version:
      - 2
      - 0
    .max_flat_workgroup_size: 256
    .name:           _ZN7rocprim17ROCPRIM_400000_NS6detail17trampoline_kernelINS0_14default_configENS1_27scan_by_key_config_selectorIisEEZZNS1_16scan_by_key_implILNS1_25lookback_scan_determinismE0ELb1ES3_N6thrust23THRUST_200600_302600_NS6detail15normal_iteratorINS9_10device_ptrIiEEEENSB_INSC_IsEEEESG_sNS9_4plusIvEENS9_8equal_toIvEEsEE10hipError_tPvRmT2_T3_T4_T5_mT6_T7_P12ihipStream_tbENKUlT_T0_E_clISt17integral_constantIbLb0EES10_IbLb1EEEEDaSW_SX_EUlSW_E_NS1_11comp_targetILNS1_3genE5ELNS1_11target_archE942ELNS1_3gpuE9ELNS1_3repE0EEENS1_30default_config_static_selectorELNS0_4arch9wavefront6targetE0EEEvT1_
    .private_segment_fixed_size: 0
    .sgpr_count:     0
    .sgpr_spill_count: 0
    .symbol:         _ZN7rocprim17ROCPRIM_400000_NS6detail17trampoline_kernelINS0_14default_configENS1_27scan_by_key_config_selectorIisEEZZNS1_16scan_by_key_implILNS1_25lookback_scan_determinismE0ELb1ES3_N6thrust23THRUST_200600_302600_NS6detail15normal_iteratorINS9_10device_ptrIiEEEENSB_INSC_IsEEEESG_sNS9_4plusIvEENS9_8equal_toIvEEsEE10hipError_tPvRmT2_T3_T4_T5_mT6_T7_P12ihipStream_tbENKUlT_T0_E_clISt17integral_constantIbLb0EES10_IbLb1EEEEDaSW_SX_EUlSW_E_NS1_11comp_targetILNS1_3genE5ELNS1_11target_archE942ELNS1_3gpuE9ELNS1_3repE0EEENS1_30default_config_static_selectorELNS0_4arch9wavefront6targetE0EEEvT1_.kd
    .uniform_work_group_size: 1
    .uses_dynamic_stack: false
    .vgpr_count:     0
    .vgpr_spill_count: 0
    .wavefront_size: 32
  - .args:
      - .offset:         0
        .size:           112
        .value_kind:     by_value
    .group_segment_fixed_size: 0
    .kernarg_segment_align: 8
    .kernarg_segment_size: 112
    .language:       OpenCL C
    .language_version:
      - 2
      - 0
    .max_flat_workgroup_size: 64
    .name:           _ZN7rocprim17ROCPRIM_400000_NS6detail17trampoline_kernelINS0_14default_configENS1_27scan_by_key_config_selectorIisEEZZNS1_16scan_by_key_implILNS1_25lookback_scan_determinismE0ELb1ES3_N6thrust23THRUST_200600_302600_NS6detail15normal_iteratorINS9_10device_ptrIiEEEENSB_INSC_IsEEEESG_sNS9_4plusIvEENS9_8equal_toIvEEsEE10hipError_tPvRmT2_T3_T4_T5_mT6_T7_P12ihipStream_tbENKUlT_T0_E_clISt17integral_constantIbLb0EES10_IbLb1EEEEDaSW_SX_EUlSW_E_NS1_11comp_targetILNS1_3genE4ELNS1_11target_archE910ELNS1_3gpuE8ELNS1_3repE0EEENS1_30default_config_static_selectorELNS0_4arch9wavefront6targetE0EEEvT1_
    .private_segment_fixed_size: 0
    .sgpr_count:     0
    .sgpr_spill_count: 0
    .symbol:         _ZN7rocprim17ROCPRIM_400000_NS6detail17trampoline_kernelINS0_14default_configENS1_27scan_by_key_config_selectorIisEEZZNS1_16scan_by_key_implILNS1_25lookback_scan_determinismE0ELb1ES3_N6thrust23THRUST_200600_302600_NS6detail15normal_iteratorINS9_10device_ptrIiEEEENSB_INSC_IsEEEESG_sNS9_4plusIvEENS9_8equal_toIvEEsEE10hipError_tPvRmT2_T3_T4_T5_mT6_T7_P12ihipStream_tbENKUlT_T0_E_clISt17integral_constantIbLb0EES10_IbLb1EEEEDaSW_SX_EUlSW_E_NS1_11comp_targetILNS1_3genE4ELNS1_11target_archE910ELNS1_3gpuE8ELNS1_3repE0EEENS1_30default_config_static_selectorELNS0_4arch9wavefront6targetE0EEEvT1_.kd
    .uniform_work_group_size: 1
    .uses_dynamic_stack: false
    .vgpr_count:     0
    .vgpr_spill_count: 0
    .wavefront_size: 32
  - .args:
      - .offset:         0
        .size:           112
        .value_kind:     by_value
    .group_segment_fixed_size: 0
    .kernarg_segment_align: 8
    .kernarg_segment_size: 112
    .language:       OpenCL C
    .language_version:
      - 2
      - 0
    .max_flat_workgroup_size: 256
    .name:           _ZN7rocprim17ROCPRIM_400000_NS6detail17trampoline_kernelINS0_14default_configENS1_27scan_by_key_config_selectorIisEEZZNS1_16scan_by_key_implILNS1_25lookback_scan_determinismE0ELb1ES3_N6thrust23THRUST_200600_302600_NS6detail15normal_iteratorINS9_10device_ptrIiEEEENSB_INSC_IsEEEESG_sNS9_4plusIvEENS9_8equal_toIvEEsEE10hipError_tPvRmT2_T3_T4_T5_mT6_T7_P12ihipStream_tbENKUlT_T0_E_clISt17integral_constantIbLb0EES10_IbLb1EEEEDaSW_SX_EUlSW_E_NS1_11comp_targetILNS1_3genE3ELNS1_11target_archE908ELNS1_3gpuE7ELNS1_3repE0EEENS1_30default_config_static_selectorELNS0_4arch9wavefront6targetE0EEEvT1_
    .private_segment_fixed_size: 0
    .sgpr_count:     0
    .sgpr_spill_count: 0
    .symbol:         _ZN7rocprim17ROCPRIM_400000_NS6detail17trampoline_kernelINS0_14default_configENS1_27scan_by_key_config_selectorIisEEZZNS1_16scan_by_key_implILNS1_25lookback_scan_determinismE0ELb1ES3_N6thrust23THRUST_200600_302600_NS6detail15normal_iteratorINS9_10device_ptrIiEEEENSB_INSC_IsEEEESG_sNS9_4plusIvEENS9_8equal_toIvEEsEE10hipError_tPvRmT2_T3_T4_T5_mT6_T7_P12ihipStream_tbENKUlT_T0_E_clISt17integral_constantIbLb0EES10_IbLb1EEEEDaSW_SX_EUlSW_E_NS1_11comp_targetILNS1_3genE3ELNS1_11target_archE908ELNS1_3gpuE7ELNS1_3repE0EEENS1_30default_config_static_selectorELNS0_4arch9wavefront6targetE0EEEvT1_.kd
    .uniform_work_group_size: 1
    .uses_dynamic_stack: false
    .vgpr_count:     0
    .vgpr_spill_count: 0
    .wavefront_size: 32
  - .args:
      - .offset:         0
        .size:           112
        .value_kind:     by_value
    .group_segment_fixed_size: 0
    .kernarg_segment_align: 8
    .kernarg_segment_size: 112
    .language:       OpenCL C
    .language_version:
      - 2
      - 0
    .max_flat_workgroup_size: 64
    .name:           _ZN7rocprim17ROCPRIM_400000_NS6detail17trampoline_kernelINS0_14default_configENS1_27scan_by_key_config_selectorIisEEZZNS1_16scan_by_key_implILNS1_25lookback_scan_determinismE0ELb1ES3_N6thrust23THRUST_200600_302600_NS6detail15normal_iteratorINS9_10device_ptrIiEEEENSB_INSC_IsEEEESG_sNS9_4plusIvEENS9_8equal_toIvEEsEE10hipError_tPvRmT2_T3_T4_T5_mT6_T7_P12ihipStream_tbENKUlT_T0_E_clISt17integral_constantIbLb0EES10_IbLb1EEEEDaSW_SX_EUlSW_E_NS1_11comp_targetILNS1_3genE2ELNS1_11target_archE906ELNS1_3gpuE6ELNS1_3repE0EEENS1_30default_config_static_selectorELNS0_4arch9wavefront6targetE0EEEvT1_
    .private_segment_fixed_size: 0
    .sgpr_count:     0
    .sgpr_spill_count: 0
    .symbol:         _ZN7rocprim17ROCPRIM_400000_NS6detail17trampoline_kernelINS0_14default_configENS1_27scan_by_key_config_selectorIisEEZZNS1_16scan_by_key_implILNS1_25lookback_scan_determinismE0ELb1ES3_N6thrust23THRUST_200600_302600_NS6detail15normal_iteratorINS9_10device_ptrIiEEEENSB_INSC_IsEEEESG_sNS9_4plusIvEENS9_8equal_toIvEEsEE10hipError_tPvRmT2_T3_T4_T5_mT6_T7_P12ihipStream_tbENKUlT_T0_E_clISt17integral_constantIbLb0EES10_IbLb1EEEEDaSW_SX_EUlSW_E_NS1_11comp_targetILNS1_3genE2ELNS1_11target_archE906ELNS1_3gpuE6ELNS1_3repE0EEENS1_30default_config_static_selectorELNS0_4arch9wavefront6targetE0EEEvT1_.kd
    .uniform_work_group_size: 1
    .uses_dynamic_stack: false
    .vgpr_count:     0
    .vgpr_spill_count: 0
    .wavefront_size: 32
  - .args:
      - .offset:         0
        .size:           112
        .value_kind:     by_value
    .group_segment_fixed_size: 0
    .kernarg_segment_align: 8
    .kernarg_segment_size: 112
    .language:       OpenCL C
    .language_version:
      - 2
      - 0
    .max_flat_workgroup_size: 256
    .name:           _ZN7rocprim17ROCPRIM_400000_NS6detail17trampoline_kernelINS0_14default_configENS1_27scan_by_key_config_selectorIisEEZZNS1_16scan_by_key_implILNS1_25lookback_scan_determinismE0ELb1ES3_N6thrust23THRUST_200600_302600_NS6detail15normal_iteratorINS9_10device_ptrIiEEEENSB_INSC_IsEEEESG_sNS9_4plusIvEENS9_8equal_toIvEEsEE10hipError_tPvRmT2_T3_T4_T5_mT6_T7_P12ihipStream_tbENKUlT_T0_E_clISt17integral_constantIbLb0EES10_IbLb1EEEEDaSW_SX_EUlSW_E_NS1_11comp_targetILNS1_3genE10ELNS1_11target_archE1200ELNS1_3gpuE4ELNS1_3repE0EEENS1_30default_config_static_selectorELNS0_4arch9wavefront6targetE0EEEvT1_
    .private_segment_fixed_size: 0
    .sgpr_count:     0
    .sgpr_spill_count: 0
    .symbol:         _ZN7rocprim17ROCPRIM_400000_NS6detail17trampoline_kernelINS0_14default_configENS1_27scan_by_key_config_selectorIisEEZZNS1_16scan_by_key_implILNS1_25lookback_scan_determinismE0ELb1ES3_N6thrust23THRUST_200600_302600_NS6detail15normal_iteratorINS9_10device_ptrIiEEEENSB_INSC_IsEEEESG_sNS9_4plusIvEENS9_8equal_toIvEEsEE10hipError_tPvRmT2_T3_T4_T5_mT6_T7_P12ihipStream_tbENKUlT_T0_E_clISt17integral_constantIbLb0EES10_IbLb1EEEEDaSW_SX_EUlSW_E_NS1_11comp_targetILNS1_3genE10ELNS1_11target_archE1200ELNS1_3gpuE4ELNS1_3repE0EEENS1_30default_config_static_selectorELNS0_4arch9wavefront6targetE0EEEvT1_.kd
    .uniform_work_group_size: 1
    .uses_dynamic_stack: false
    .vgpr_count:     0
    .vgpr_spill_count: 0
    .wavefront_size: 32
  - .args:
      - .offset:         0
        .size:           112
        .value_kind:     by_value
    .group_segment_fixed_size: 0
    .kernarg_segment_align: 8
    .kernarg_segment_size: 112
    .language:       OpenCL C
    .language_version:
      - 2
      - 0
    .max_flat_workgroup_size: 64
    .name:           _ZN7rocprim17ROCPRIM_400000_NS6detail17trampoline_kernelINS0_14default_configENS1_27scan_by_key_config_selectorIisEEZZNS1_16scan_by_key_implILNS1_25lookback_scan_determinismE0ELb1ES3_N6thrust23THRUST_200600_302600_NS6detail15normal_iteratorINS9_10device_ptrIiEEEENSB_INSC_IsEEEESG_sNS9_4plusIvEENS9_8equal_toIvEEsEE10hipError_tPvRmT2_T3_T4_T5_mT6_T7_P12ihipStream_tbENKUlT_T0_E_clISt17integral_constantIbLb0EES10_IbLb1EEEEDaSW_SX_EUlSW_E_NS1_11comp_targetILNS1_3genE9ELNS1_11target_archE1100ELNS1_3gpuE3ELNS1_3repE0EEENS1_30default_config_static_selectorELNS0_4arch9wavefront6targetE0EEEvT1_
    .private_segment_fixed_size: 0
    .sgpr_count:     0
    .sgpr_spill_count: 0
    .symbol:         _ZN7rocprim17ROCPRIM_400000_NS6detail17trampoline_kernelINS0_14default_configENS1_27scan_by_key_config_selectorIisEEZZNS1_16scan_by_key_implILNS1_25lookback_scan_determinismE0ELb1ES3_N6thrust23THRUST_200600_302600_NS6detail15normal_iteratorINS9_10device_ptrIiEEEENSB_INSC_IsEEEESG_sNS9_4plusIvEENS9_8equal_toIvEEsEE10hipError_tPvRmT2_T3_T4_T5_mT6_T7_P12ihipStream_tbENKUlT_T0_E_clISt17integral_constantIbLb0EES10_IbLb1EEEEDaSW_SX_EUlSW_E_NS1_11comp_targetILNS1_3genE9ELNS1_11target_archE1100ELNS1_3gpuE3ELNS1_3repE0EEENS1_30default_config_static_selectorELNS0_4arch9wavefront6targetE0EEEvT1_.kd
    .uniform_work_group_size: 1
    .uses_dynamic_stack: false
    .vgpr_count:     0
    .vgpr_spill_count: 0
    .wavefront_size: 32
  - .args:
      - .offset:         0
        .size:           112
        .value_kind:     by_value
    .group_segment_fixed_size: 0
    .kernarg_segment_align: 8
    .kernarg_segment_size: 112
    .language:       OpenCL C
    .language_version:
      - 2
      - 0
    .max_flat_workgroup_size: 64
    .name:           _ZN7rocprim17ROCPRIM_400000_NS6detail17trampoline_kernelINS0_14default_configENS1_27scan_by_key_config_selectorIisEEZZNS1_16scan_by_key_implILNS1_25lookback_scan_determinismE0ELb1ES3_N6thrust23THRUST_200600_302600_NS6detail15normal_iteratorINS9_10device_ptrIiEEEENSB_INSC_IsEEEESG_sNS9_4plusIvEENS9_8equal_toIvEEsEE10hipError_tPvRmT2_T3_T4_T5_mT6_T7_P12ihipStream_tbENKUlT_T0_E_clISt17integral_constantIbLb0EES10_IbLb1EEEEDaSW_SX_EUlSW_E_NS1_11comp_targetILNS1_3genE8ELNS1_11target_archE1030ELNS1_3gpuE2ELNS1_3repE0EEENS1_30default_config_static_selectorELNS0_4arch9wavefront6targetE0EEEvT1_
    .private_segment_fixed_size: 0
    .sgpr_count:     0
    .sgpr_spill_count: 0
    .symbol:         _ZN7rocprim17ROCPRIM_400000_NS6detail17trampoline_kernelINS0_14default_configENS1_27scan_by_key_config_selectorIisEEZZNS1_16scan_by_key_implILNS1_25lookback_scan_determinismE0ELb1ES3_N6thrust23THRUST_200600_302600_NS6detail15normal_iteratorINS9_10device_ptrIiEEEENSB_INSC_IsEEEESG_sNS9_4plusIvEENS9_8equal_toIvEEsEE10hipError_tPvRmT2_T3_T4_T5_mT6_T7_P12ihipStream_tbENKUlT_T0_E_clISt17integral_constantIbLb0EES10_IbLb1EEEEDaSW_SX_EUlSW_E_NS1_11comp_targetILNS1_3genE8ELNS1_11target_archE1030ELNS1_3gpuE2ELNS1_3repE0EEENS1_30default_config_static_selectorELNS0_4arch9wavefront6targetE0EEEvT1_.kd
    .uniform_work_group_size: 1
    .uses_dynamic_stack: false
    .vgpr_count:     0
    .vgpr_spill_count: 0
    .wavefront_size: 32
  - .args:
      - .offset:         0
        .size:           16
        .value_kind:     by_value
      - .offset:         16
        .size:           8
        .value_kind:     by_value
      - .offset:         24
        .size:           8
        .value_kind:     by_value
    .group_segment_fixed_size: 0
    .kernarg_segment_align: 8
    .kernarg_segment_size: 32
    .language:       OpenCL C
    .language_version:
      - 2
      - 0
    .max_flat_workgroup_size: 256
    .name:           _ZN6thrust23THRUST_200600_302600_NS11hip_rocprim14__parallel_for6kernelILj256ENS1_20__uninitialized_fill7functorINS0_10device_ptrIfEEfEEmLj1EEEvT0_T1_SA_
    .private_segment_fixed_size: 0
    .sgpr_count:     14
    .sgpr_spill_count: 0
    .symbol:         _ZN6thrust23THRUST_200600_302600_NS11hip_rocprim14__parallel_for6kernelILj256ENS1_20__uninitialized_fill7functorINS0_10device_ptrIfEEfEEmLj1EEEvT0_T1_SA_.kd
    .uniform_work_group_size: 1
    .uses_dynamic_stack: false
    .vgpr_count:     2
    .vgpr_spill_count: 0
    .wavefront_size: 32
  - .args:
      - .offset:         0
        .size:           112
        .value_kind:     by_value
    .group_segment_fixed_size: 14336
    .kernarg_segment_align: 8
    .kernarg_segment_size: 112
    .language:       OpenCL C
    .language_version:
      - 2
      - 0
    .max_flat_workgroup_size: 256
    .name:           _ZN7rocprim17ROCPRIM_400000_NS6detail17trampoline_kernelINS0_14default_configENS1_27scan_by_key_config_selectorIijEEZZNS1_16scan_by_key_implILNS1_25lookback_scan_determinismE0ELb0ES3_N6thrust23THRUST_200600_302600_NS6detail15normal_iteratorINS9_10device_ptrIiEEEENSB_INSC_IjEEEENSB_INSC_IfEEEEjNS9_4plusIvEENS9_8equal_toIvEEjEE10hipError_tPvRmT2_T3_T4_T5_mT6_T7_P12ihipStream_tbENKUlT_T0_E_clISt17integral_constantIbLb0EES13_EEDaSY_SZ_EUlSY_E_NS1_11comp_targetILNS1_3genE0ELNS1_11target_archE4294967295ELNS1_3gpuE0ELNS1_3repE0EEENS1_30default_config_static_selectorELNS0_4arch9wavefront6targetE0EEEvT1_
    .private_segment_fixed_size: 0
    .sgpr_count:     44
    .sgpr_spill_count: 0
    .symbol:         _ZN7rocprim17ROCPRIM_400000_NS6detail17trampoline_kernelINS0_14default_configENS1_27scan_by_key_config_selectorIijEEZZNS1_16scan_by_key_implILNS1_25lookback_scan_determinismE0ELb0ES3_N6thrust23THRUST_200600_302600_NS6detail15normal_iteratorINS9_10device_ptrIiEEEENSB_INSC_IjEEEENSB_INSC_IfEEEEjNS9_4plusIvEENS9_8equal_toIvEEjEE10hipError_tPvRmT2_T3_T4_T5_mT6_T7_P12ihipStream_tbENKUlT_T0_E_clISt17integral_constantIbLb0EES13_EEDaSY_SZ_EUlSY_E_NS1_11comp_targetILNS1_3genE0ELNS1_11target_archE4294967295ELNS1_3gpuE0ELNS1_3repE0EEENS1_30default_config_static_selectorELNS0_4arch9wavefront6targetE0EEEvT1_.kd
    .uniform_work_group_size: 1
    .uses_dynamic_stack: false
    .vgpr_count:     60
    .vgpr_spill_count: 0
    .wavefront_size: 32
  - .args:
      - .offset:         0
        .size:           112
        .value_kind:     by_value
    .group_segment_fixed_size: 0
    .kernarg_segment_align: 8
    .kernarg_segment_size: 112
    .language:       OpenCL C
    .language_version:
      - 2
      - 0
    .max_flat_workgroup_size: 256
    .name:           _ZN7rocprim17ROCPRIM_400000_NS6detail17trampoline_kernelINS0_14default_configENS1_27scan_by_key_config_selectorIijEEZZNS1_16scan_by_key_implILNS1_25lookback_scan_determinismE0ELb0ES3_N6thrust23THRUST_200600_302600_NS6detail15normal_iteratorINS9_10device_ptrIiEEEENSB_INSC_IjEEEENSB_INSC_IfEEEEjNS9_4plusIvEENS9_8equal_toIvEEjEE10hipError_tPvRmT2_T3_T4_T5_mT6_T7_P12ihipStream_tbENKUlT_T0_E_clISt17integral_constantIbLb0EES13_EEDaSY_SZ_EUlSY_E_NS1_11comp_targetILNS1_3genE10ELNS1_11target_archE1201ELNS1_3gpuE5ELNS1_3repE0EEENS1_30default_config_static_selectorELNS0_4arch9wavefront6targetE0EEEvT1_
    .private_segment_fixed_size: 0
    .sgpr_count:     0
    .sgpr_spill_count: 0
    .symbol:         _ZN7rocprim17ROCPRIM_400000_NS6detail17trampoline_kernelINS0_14default_configENS1_27scan_by_key_config_selectorIijEEZZNS1_16scan_by_key_implILNS1_25lookback_scan_determinismE0ELb0ES3_N6thrust23THRUST_200600_302600_NS6detail15normal_iteratorINS9_10device_ptrIiEEEENSB_INSC_IjEEEENSB_INSC_IfEEEEjNS9_4plusIvEENS9_8equal_toIvEEjEE10hipError_tPvRmT2_T3_T4_T5_mT6_T7_P12ihipStream_tbENKUlT_T0_E_clISt17integral_constantIbLb0EES13_EEDaSY_SZ_EUlSY_E_NS1_11comp_targetILNS1_3genE10ELNS1_11target_archE1201ELNS1_3gpuE5ELNS1_3repE0EEENS1_30default_config_static_selectorELNS0_4arch9wavefront6targetE0EEEvT1_.kd
    .uniform_work_group_size: 1
    .uses_dynamic_stack: false
    .vgpr_count:     0
    .vgpr_spill_count: 0
    .wavefront_size: 32
  - .args:
      - .offset:         0
        .size:           112
        .value_kind:     by_value
    .group_segment_fixed_size: 0
    .kernarg_segment_align: 8
    .kernarg_segment_size: 112
    .language:       OpenCL C
    .language_version:
      - 2
      - 0
    .max_flat_workgroup_size: 256
    .name:           _ZN7rocprim17ROCPRIM_400000_NS6detail17trampoline_kernelINS0_14default_configENS1_27scan_by_key_config_selectorIijEEZZNS1_16scan_by_key_implILNS1_25lookback_scan_determinismE0ELb0ES3_N6thrust23THRUST_200600_302600_NS6detail15normal_iteratorINS9_10device_ptrIiEEEENSB_INSC_IjEEEENSB_INSC_IfEEEEjNS9_4plusIvEENS9_8equal_toIvEEjEE10hipError_tPvRmT2_T3_T4_T5_mT6_T7_P12ihipStream_tbENKUlT_T0_E_clISt17integral_constantIbLb0EES13_EEDaSY_SZ_EUlSY_E_NS1_11comp_targetILNS1_3genE5ELNS1_11target_archE942ELNS1_3gpuE9ELNS1_3repE0EEENS1_30default_config_static_selectorELNS0_4arch9wavefront6targetE0EEEvT1_
    .private_segment_fixed_size: 0
    .sgpr_count:     0
    .sgpr_spill_count: 0
    .symbol:         _ZN7rocprim17ROCPRIM_400000_NS6detail17trampoline_kernelINS0_14default_configENS1_27scan_by_key_config_selectorIijEEZZNS1_16scan_by_key_implILNS1_25lookback_scan_determinismE0ELb0ES3_N6thrust23THRUST_200600_302600_NS6detail15normal_iteratorINS9_10device_ptrIiEEEENSB_INSC_IjEEEENSB_INSC_IfEEEEjNS9_4plusIvEENS9_8equal_toIvEEjEE10hipError_tPvRmT2_T3_T4_T5_mT6_T7_P12ihipStream_tbENKUlT_T0_E_clISt17integral_constantIbLb0EES13_EEDaSY_SZ_EUlSY_E_NS1_11comp_targetILNS1_3genE5ELNS1_11target_archE942ELNS1_3gpuE9ELNS1_3repE0EEENS1_30default_config_static_selectorELNS0_4arch9wavefront6targetE0EEEvT1_.kd
    .uniform_work_group_size: 1
    .uses_dynamic_stack: false
    .vgpr_count:     0
    .vgpr_spill_count: 0
    .wavefront_size: 32
  - .args:
      - .offset:         0
        .size:           112
        .value_kind:     by_value
    .group_segment_fixed_size: 0
    .kernarg_segment_align: 8
    .kernarg_segment_size: 112
    .language:       OpenCL C
    .language_version:
      - 2
      - 0
    .max_flat_workgroup_size: 256
    .name:           _ZN7rocprim17ROCPRIM_400000_NS6detail17trampoline_kernelINS0_14default_configENS1_27scan_by_key_config_selectorIijEEZZNS1_16scan_by_key_implILNS1_25lookback_scan_determinismE0ELb0ES3_N6thrust23THRUST_200600_302600_NS6detail15normal_iteratorINS9_10device_ptrIiEEEENSB_INSC_IjEEEENSB_INSC_IfEEEEjNS9_4plusIvEENS9_8equal_toIvEEjEE10hipError_tPvRmT2_T3_T4_T5_mT6_T7_P12ihipStream_tbENKUlT_T0_E_clISt17integral_constantIbLb0EES13_EEDaSY_SZ_EUlSY_E_NS1_11comp_targetILNS1_3genE4ELNS1_11target_archE910ELNS1_3gpuE8ELNS1_3repE0EEENS1_30default_config_static_selectorELNS0_4arch9wavefront6targetE0EEEvT1_
    .private_segment_fixed_size: 0
    .sgpr_count:     0
    .sgpr_spill_count: 0
    .symbol:         _ZN7rocprim17ROCPRIM_400000_NS6detail17trampoline_kernelINS0_14default_configENS1_27scan_by_key_config_selectorIijEEZZNS1_16scan_by_key_implILNS1_25lookback_scan_determinismE0ELb0ES3_N6thrust23THRUST_200600_302600_NS6detail15normal_iteratorINS9_10device_ptrIiEEEENSB_INSC_IjEEEENSB_INSC_IfEEEEjNS9_4plusIvEENS9_8equal_toIvEEjEE10hipError_tPvRmT2_T3_T4_T5_mT6_T7_P12ihipStream_tbENKUlT_T0_E_clISt17integral_constantIbLb0EES13_EEDaSY_SZ_EUlSY_E_NS1_11comp_targetILNS1_3genE4ELNS1_11target_archE910ELNS1_3gpuE8ELNS1_3repE0EEENS1_30default_config_static_selectorELNS0_4arch9wavefront6targetE0EEEvT1_.kd
    .uniform_work_group_size: 1
    .uses_dynamic_stack: false
    .vgpr_count:     0
    .vgpr_spill_count: 0
    .wavefront_size: 32
  - .args:
      - .offset:         0
        .size:           112
        .value_kind:     by_value
    .group_segment_fixed_size: 0
    .kernarg_segment_align: 8
    .kernarg_segment_size: 112
    .language:       OpenCL C
    .language_version:
      - 2
      - 0
    .max_flat_workgroup_size: 256
    .name:           _ZN7rocprim17ROCPRIM_400000_NS6detail17trampoline_kernelINS0_14default_configENS1_27scan_by_key_config_selectorIijEEZZNS1_16scan_by_key_implILNS1_25lookback_scan_determinismE0ELb0ES3_N6thrust23THRUST_200600_302600_NS6detail15normal_iteratorINS9_10device_ptrIiEEEENSB_INSC_IjEEEENSB_INSC_IfEEEEjNS9_4plusIvEENS9_8equal_toIvEEjEE10hipError_tPvRmT2_T3_T4_T5_mT6_T7_P12ihipStream_tbENKUlT_T0_E_clISt17integral_constantIbLb0EES13_EEDaSY_SZ_EUlSY_E_NS1_11comp_targetILNS1_3genE3ELNS1_11target_archE908ELNS1_3gpuE7ELNS1_3repE0EEENS1_30default_config_static_selectorELNS0_4arch9wavefront6targetE0EEEvT1_
    .private_segment_fixed_size: 0
    .sgpr_count:     0
    .sgpr_spill_count: 0
    .symbol:         _ZN7rocprim17ROCPRIM_400000_NS6detail17trampoline_kernelINS0_14default_configENS1_27scan_by_key_config_selectorIijEEZZNS1_16scan_by_key_implILNS1_25lookback_scan_determinismE0ELb0ES3_N6thrust23THRUST_200600_302600_NS6detail15normal_iteratorINS9_10device_ptrIiEEEENSB_INSC_IjEEEENSB_INSC_IfEEEEjNS9_4plusIvEENS9_8equal_toIvEEjEE10hipError_tPvRmT2_T3_T4_T5_mT6_T7_P12ihipStream_tbENKUlT_T0_E_clISt17integral_constantIbLb0EES13_EEDaSY_SZ_EUlSY_E_NS1_11comp_targetILNS1_3genE3ELNS1_11target_archE908ELNS1_3gpuE7ELNS1_3repE0EEENS1_30default_config_static_selectorELNS0_4arch9wavefront6targetE0EEEvT1_.kd
    .uniform_work_group_size: 1
    .uses_dynamic_stack: false
    .vgpr_count:     0
    .vgpr_spill_count: 0
    .wavefront_size: 32
  - .args:
      - .offset:         0
        .size:           112
        .value_kind:     by_value
    .group_segment_fixed_size: 0
    .kernarg_segment_align: 8
    .kernarg_segment_size: 112
    .language:       OpenCL C
    .language_version:
      - 2
      - 0
    .max_flat_workgroup_size: 256
    .name:           _ZN7rocprim17ROCPRIM_400000_NS6detail17trampoline_kernelINS0_14default_configENS1_27scan_by_key_config_selectorIijEEZZNS1_16scan_by_key_implILNS1_25lookback_scan_determinismE0ELb0ES3_N6thrust23THRUST_200600_302600_NS6detail15normal_iteratorINS9_10device_ptrIiEEEENSB_INSC_IjEEEENSB_INSC_IfEEEEjNS9_4plusIvEENS9_8equal_toIvEEjEE10hipError_tPvRmT2_T3_T4_T5_mT6_T7_P12ihipStream_tbENKUlT_T0_E_clISt17integral_constantIbLb0EES13_EEDaSY_SZ_EUlSY_E_NS1_11comp_targetILNS1_3genE2ELNS1_11target_archE906ELNS1_3gpuE6ELNS1_3repE0EEENS1_30default_config_static_selectorELNS0_4arch9wavefront6targetE0EEEvT1_
    .private_segment_fixed_size: 0
    .sgpr_count:     0
    .sgpr_spill_count: 0
    .symbol:         _ZN7rocprim17ROCPRIM_400000_NS6detail17trampoline_kernelINS0_14default_configENS1_27scan_by_key_config_selectorIijEEZZNS1_16scan_by_key_implILNS1_25lookback_scan_determinismE0ELb0ES3_N6thrust23THRUST_200600_302600_NS6detail15normal_iteratorINS9_10device_ptrIiEEEENSB_INSC_IjEEEENSB_INSC_IfEEEEjNS9_4plusIvEENS9_8equal_toIvEEjEE10hipError_tPvRmT2_T3_T4_T5_mT6_T7_P12ihipStream_tbENKUlT_T0_E_clISt17integral_constantIbLb0EES13_EEDaSY_SZ_EUlSY_E_NS1_11comp_targetILNS1_3genE2ELNS1_11target_archE906ELNS1_3gpuE6ELNS1_3repE0EEENS1_30default_config_static_selectorELNS0_4arch9wavefront6targetE0EEEvT1_.kd
    .uniform_work_group_size: 1
    .uses_dynamic_stack: false
    .vgpr_count:     0
    .vgpr_spill_count: 0
    .wavefront_size: 32
  - .args:
      - .offset:         0
        .size:           112
        .value_kind:     by_value
    .group_segment_fixed_size: 0
    .kernarg_segment_align: 8
    .kernarg_segment_size: 112
    .language:       OpenCL C
    .language_version:
      - 2
      - 0
    .max_flat_workgroup_size: 256
    .name:           _ZN7rocprim17ROCPRIM_400000_NS6detail17trampoline_kernelINS0_14default_configENS1_27scan_by_key_config_selectorIijEEZZNS1_16scan_by_key_implILNS1_25lookback_scan_determinismE0ELb0ES3_N6thrust23THRUST_200600_302600_NS6detail15normal_iteratorINS9_10device_ptrIiEEEENSB_INSC_IjEEEENSB_INSC_IfEEEEjNS9_4plusIvEENS9_8equal_toIvEEjEE10hipError_tPvRmT2_T3_T4_T5_mT6_T7_P12ihipStream_tbENKUlT_T0_E_clISt17integral_constantIbLb0EES13_EEDaSY_SZ_EUlSY_E_NS1_11comp_targetILNS1_3genE10ELNS1_11target_archE1200ELNS1_3gpuE4ELNS1_3repE0EEENS1_30default_config_static_selectorELNS0_4arch9wavefront6targetE0EEEvT1_
    .private_segment_fixed_size: 0
    .sgpr_count:     0
    .sgpr_spill_count: 0
    .symbol:         _ZN7rocprim17ROCPRIM_400000_NS6detail17trampoline_kernelINS0_14default_configENS1_27scan_by_key_config_selectorIijEEZZNS1_16scan_by_key_implILNS1_25lookback_scan_determinismE0ELb0ES3_N6thrust23THRUST_200600_302600_NS6detail15normal_iteratorINS9_10device_ptrIiEEEENSB_INSC_IjEEEENSB_INSC_IfEEEEjNS9_4plusIvEENS9_8equal_toIvEEjEE10hipError_tPvRmT2_T3_T4_T5_mT6_T7_P12ihipStream_tbENKUlT_T0_E_clISt17integral_constantIbLb0EES13_EEDaSY_SZ_EUlSY_E_NS1_11comp_targetILNS1_3genE10ELNS1_11target_archE1200ELNS1_3gpuE4ELNS1_3repE0EEENS1_30default_config_static_selectorELNS0_4arch9wavefront6targetE0EEEvT1_.kd
    .uniform_work_group_size: 1
    .uses_dynamic_stack: false
    .vgpr_count:     0
    .vgpr_spill_count: 0
    .wavefront_size: 32
  - .args:
      - .offset:         0
        .size:           112
        .value_kind:     by_value
    .group_segment_fixed_size: 0
    .kernarg_segment_align: 8
    .kernarg_segment_size: 112
    .language:       OpenCL C
    .language_version:
      - 2
      - 0
    .max_flat_workgroup_size: 256
    .name:           _ZN7rocprim17ROCPRIM_400000_NS6detail17trampoline_kernelINS0_14default_configENS1_27scan_by_key_config_selectorIijEEZZNS1_16scan_by_key_implILNS1_25lookback_scan_determinismE0ELb0ES3_N6thrust23THRUST_200600_302600_NS6detail15normal_iteratorINS9_10device_ptrIiEEEENSB_INSC_IjEEEENSB_INSC_IfEEEEjNS9_4plusIvEENS9_8equal_toIvEEjEE10hipError_tPvRmT2_T3_T4_T5_mT6_T7_P12ihipStream_tbENKUlT_T0_E_clISt17integral_constantIbLb0EES13_EEDaSY_SZ_EUlSY_E_NS1_11comp_targetILNS1_3genE9ELNS1_11target_archE1100ELNS1_3gpuE3ELNS1_3repE0EEENS1_30default_config_static_selectorELNS0_4arch9wavefront6targetE0EEEvT1_
    .private_segment_fixed_size: 0
    .sgpr_count:     0
    .sgpr_spill_count: 0
    .symbol:         _ZN7rocprim17ROCPRIM_400000_NS6detail17trampoline_kernelINS0_14default_configENS1_27scan_by_key_config_selectorIijEEZZNS1_16scan_by_key_implILNS1_25lookback_scan_determinismE0ELb0ES3_N6thrust23THRUST_200600_302600_NS6detail15normal_iteratorINS9_10device_ptrIiEEEENSB_INSC_IjEEEENSB_INSC_IfEEEEjNS9_4plusIvEENS9_8equal_toIvEEjEE10hipError_tPvRmT2_T3_T4_T5_mT6_T7_P12ihipStream_tbENKUlT_T0_E_clISt17integral_constantIbLb0EES13_EEDaSY_SZ_EUlSY_E_NS1_11comp_targetILNS1_3genE9ELNS1_11target_archE1100ELNS1_3gpuE3ELNS1_3repE0EEENS1_30default_config_static_selectorELNS0_4arch9wavefront6targetE0EEEvT1_.kd
    .uniform_work_group_size: 1
    .uses_dynamic_stack: false
    .vgpr_count:     0
    .vgpr_spill_count: 0
    .wavefront_size: 32
  - .args:
      - .offset:         0
        .size:           112
        .value_kind:     by_value
    .group_segment_fixed_size: 0
    .kernarg_segment_align: 8
    .kernarg_segment_size: 112
    .language:       OpenCL C
    .language_version:
      - 2
      - 0
    .max_flat_workgroup_size: 256
    .name:           _ZN7rocprim17ROCPRIM_400000_NS6detail17trampoline_kernelINS0_14default_configENS1_27scan_by_key_config_selectorIijEEZZNS1_16scan_by_key_implILNS1_25lookback_scan_determinismE0ELb0ES3_N6thrust23THRUST_200600_302600_NS6detail15normal_iteratorINS9_10device_ptrIiEEEENSB_INSC_IjEEEENSB_INSC_IfEEEEjNS9_4plusIvEENS9_8equal_toIvEEjEE10hipError_tPvRmT2_T3_T4_T5_mT6_T7_P12ihipStream_tbENKUlT_T0_E_clISt17integral_constantIbLb0EES13_EEDaSY_SZ_EUlSY_E_NS1_11comp_targetILNS1_3genE8ELNS1_11target_archE1030ELNS1_3gpuE2ELNS1_3repE0EEENS1_30default_config_static_selectorELNS0_4arch9wavefront6targetE0EEEvT1_
    .private_segment_fixed_size: 0
    .sgpr_count:     0
    .sgpr_spill_count: 0
    .symbol:         _ZN7rocprim17ROCPRIM_400000_NS6detail17trampoline_kernelINS0_14default_configENS1_27scan_by_key_config_selectorIijEEZZNS1_16scan_by_key_implILNS1_25lookback_scan_determinismE0ELb0ES3_N6thrust23THRUST_200600_302600_NS6detail15normal_iteratorINS9_10device_ptrIiEEEENSB_INSC_IjEEEENSB_INSC_IfEEEEjNS9_4plusIvEENS9_8equal_toIvEEjEE10hipError_tPvRmT2_T3_T4_T5_mT6_T7_P12ihipStream_tbENKUlT_T0_E_clISt17integral_constantIbLb0EES13_EEDaSY_SZ_EUlSY_E_NS1_11comp_targetILNS1_3genE8ELNS1_11target_archE1030ELNS1_3gpuE2ELNS1_3repE0EEENS1_30default_config_static_selectorELNS0_4arch9wavefront6targetE0EEEvT1_.kd
    .uniform_work_group_size: 1
    .uses_dynamic_stack: false
    .vgpr_count:     0
    .vgpr_spill_count: 0
    .wavefront_size: 32
  - .args:
      - .offset:         0
        .size:           112
        .value_kind:     by_value
    .group_segment_fixed_size: 0
    .kernarg_segment_align: 8
    .kernarg_segment_size: 112
    .language:       OpenCL C
    .language_version:
      - 2
      - 0
    .max_flat_workgroup_size: 256
    .name:           _ZN7rocprim17ROCPRIM_400000_NS6detail17trampoline_kernelINS0_14default_configENS1_27scan_by_key_config_selectorIijEEZZNS1_16scan_by_key_implILNS1_25lookback_scan_determinismE0ELb0ES3_N6thrust23THRUST_200600_302600_NS6detail15normal_iteratorINS9_10device_ptrIiEEEENSB_INSC_IjEEEENSB_INSC_IfEEEEjNS9_4plusIvEENS9_8equal_toIvEEjEE10hipError_tPvRmT2_T3_T4_T5_mT6_T7_P12ihipStream_tbENKUlT_T0_E_clISt17integral_constantIbLb1EES13_EEDaSY_SZ_EUlSY_E_NS1_11comp_targetILNS1_3genE0ELNS1_11target_archE4294967295ELNS1_3gpuE0ELNS1_3repE0EEENS1_30default_config_static_selectorELNS0_4arch9wavefront6targetE0EEEvT1_
    .private_segment_fixed_size: 0
    .sgpr_count:     0
    .sgpr_spill_count: 0
    .symbol:         _ZN7rocprim17ROCPRIM_400000_NS6detail17trampoline_kernelINS0_14default_configENS1_27scan_by_key_config_selectorIijEEZZNS1_16scan_by_key_implILNS1_25lookback_scan_determinismE0ELb0ES3_N6thrust23THRUST_200600_302600_NS6detail15normal_iteratorINS9_10device_ptrIiEEEENSB_INSC_IjEEEENSB_INSC_IfEEEEjNS9_4plusIvEENS9_8equal_toIvEEjEE10hipError_tPvRmT2_T3_T4_T5_mT6_T7_P12ihipStream_tbENKUlT_T0_E_clISt17integral_constantIbLb1EES13_EEDaSY_SZ_EUlSY_E_NS1_11comp_targetILNS1_3genE0ELNS1_11target_archE4294967295ELNS1_3gpuE0ELNS1_3repE0EEENS1_30default_config_static_selectorELNS0_4arch9wavefront6targetE0EEEvT1_.kd
    .uniform_work_group_size: 1
    .uses_dynamic_stack: false
    .vgpr_count:     0
    .vgpr_spill_count: 0
    .wavefront_size: 32
  - .args:
      - .offset:         0
        .size:           112
        .value_kind:     by_value
    .group_segment_fixed_size: 0
    .kernarg_segment_align: 8
    .kernarg_segment_size: 112
    .language:       OpenCL C
    .language_version:
      - 2
      - 0
    .max_flat_workgroup_size: 256
    .name:           _ZN7rocprim17ROCPRIM_400000_NS6detail17trampoline_kernelINS0_14default_configENS1_27scan_by_key_config_selectorIijEEZZNS1_16scan_by_key_implILNS1_25lookback_scan_determinismE0ELb0ES3_N6thrust23THRUST_200600_302600_NS6detail15normal_iteratorINS9_10device_ptrIiEEEENSB_INSC_IjEEEENSB_INSC_IfEEEEjNS9_4plusIvEENS9_8equal_toIvEEjEE10hipError_tPvRmT2_T3_T4_T5_mT6_T7_P12ihipStream_tbENKUlT_T0_E_clISt17integral_constantIbLb1EES13_EEDaSY_SZ_EUlSY_E_NS1_11comp_targetILNS1_3genE10ELNS1_11target_archE1201ELNS1_3gpuE5ELNS1_3repE0EEENS1_30default_config_static_selectorELNS0_4arch9wavefront6targetE0EEEvT1_
    .private_segment_fixed_size: 0
    .sgpr_count:     0
    .sgpr_spill_count: 0
    .symbol:         _ZN7rocprim17ROCPRIM_400000_NS6detail17trampoline_kernelINS0_14default_configENS1_27scan_by_key_config_selectorIijEEZZNS1_16scan_by_key_implILNS1_25lookback_scan_determinismE0ELb0ES3_N6thrust23THRUST_200600_302600_NS6detail15normal_iteratorINS9_10device_ptrIiEEEENSB_INSC_IjEEEENSB_INSC_IfEEEEjNS9_4plusIvEENS9_8equal_toIvEEjEE10hipError_tPvRmT2_T3_T4_T5_mT6_T7_P12ihipStream_tbENKUlT_T0_E_clISt17integral_constantIbLb1EES13_EEDaSY_SZ_EUlSY_E_NS1_11comp_targetILNS1_3genE10ELNS1_11target_archE1201ELNS1_3gpuE5ELNS1_3repE0EEENS1_30default_config_static_selectorELNS0_4arch9wavefront6targetE0EEEvT1_.kd
    .uniform_work_group_size: 1
    .uses_dynamic_stack: false
    .vgpr_count:     0
    .vgpr_spill_count: 0
    .wavefront_size: 32
  - .args:
      - .offset:         0
        .size:           112
        .value_kind:     by_value
    .group_segment_fixed_size: 0
    .kernarg_segment_align: 8
    .kernarg_segment_size: 112
    .language:       OpenCL C
    .language_version:
      - 2
      - 0
    .max_flat_workgroup_size: 256
    .name:           _ZN7rocprim17ROCPRIM_400000_NS6detail17trampoline_kernelINS0_14default_configENS1_27scan_by_key_config_selectorIijEEZZNS1_16scan_by_key_implILNS1_25lookback_scan_determinismE0ELb0ES3_N6thrust23THRUST_200600_302600_NS6detail15normal_iteratorINS9_10device_ptrIiEEEENSB_INSC_IjEEEENSB_INSC_IfEEEEjNS9_4plusIvEENS9_8equal_toIvEEjEE10hipError_tPvRmT2_T3_T4_T5_mT6_T7_P12ihipStream_tbENKUlT_T0_E_clISt17integral_constantIbLb1EES13_EEDaSY_SZ_EUlSY_E_NS1_11comp_targetILNS1_3genE5ELNS1_11target_archE942ELNS1_3gpuE9ELNS1_3repE0EEENS1_30default_config_static_selectorELNS0_4arch9wavefront6targetE0EEEvT1_
    .private_segment_fixed_size: 0
    .sgpr_count:     0
    .sgpr_spill_count: 0
    .symbol:         _ZN7rocprim17ROCPRIM_400000_NS6detail17trampoline_kernelINS0_14default_configENS1_27scan_by_key_config_selectorIijEEZZNS1_16scan_by_key_implILNS1_25lookback_scan_determinismE0ELb0ES3_N6thrust23THRUST_200600_302600_NS6detail15normal_iteratorINS9_10device_ptrIiEEEENSB_INSC_IjEEEENSB_INSC_IfEEEEjNS9_4plusIvEENS9_8equal_toIvEEjEE10hipError_tPvRmT2_T3_T4_T5_mT6_T7_P12ihipStream_tbENKUlT_T0_E_clISt17integral_constantIbLb1EES13_EEDaSY_SZ_EUlSY_E_NS1_11comp_targetILNS1_3genE5ELNS1_11target_archE942ELNS1_3gpuE9ELNS1_3repE0EEENS1_30default_config_static_selectorELNS0_4arch9wavefront6targetE0EEEvT1_.kd
    .uniform_work_group_size: 1
    .uses_dynamic_stack: false
    .vgpr_count:     0
    .vgpr_spill_count: 0
    .wavefront_size: 32
  - .args:
      - .offset:         0
        .size:           112
        .value_kind:     by_value
    .group_segment_fixed_size: 0
    .kernarg_segment_align: 8
    .kernarg_segment_size: 112
    .language:       OpenCL C
    .language_version:
      - 2
      - 0
    .max_flat_workgroup_size: 256
    .name:           _ZN7rocprim17ROCPRIM_400000_NS6detail17trampoline_kernelINS0_14default_configENS1_27scan_by_key_config_selectorIijEEZZNS1_16scan_by_key_implILNS1_25lookback_scan_determinismE0ELb0ES3_N6thrust23THRUST_200600_302600_NS6detail15normal_iteratorINS9_10device_ptrIiEEEENSB_INSC_IjEEEENSB_INSC_IfEEEEjNS9_4plusIvEENS9_8equal_toIvEEjEE10hipError_tPvRmT2_T3_T4_T5_mT6_T7_P12ihipStream_tbENKUlT_T0_E_clISt17integral_constantIbLb1EES13_EEDaSY_SZ_EUlSY_E_NS1_11comp_targetILNS1_3genE4ELNS1_11target_archE910ELNS1_3gpuE8ELNS1_3repE0EEENS1_30default_config_static_selectorELNS0_4arch9wavefront6targetE0EEEvT1_
    .private_segment_fixed_size: 0
    .sgpr_count:     0
    .sgpr_spill_count: 0
    .symbol:         _ZN7rocprim17ROCPRIM_400000_NS6detail17trampoline_kernelINS0_14default_configENS1_27scan_by_key_config_selectorIijEEZZNS1_16scan_by_key_implILNS1_25lookback_scan_determinismE0ELb0ES3_N6thrust23THRUST_200600_302600_NS6detail15normal_iteratorINS9_10device_ptrIiEEEENSB_INSC_IjEEEENSB_INSC_IfEEEEjNS9_4plusIvEENS9_8equal_toIvEEjEE10hipError_tPvRmT2_T3_T4_T5_mT6_T7_P12ihipStream_tbENKUlT_T0_E_clISt17integral_constantIbLb1EES13_EEDaSY_SZ_EUlSY_E_NS1_11comp_targetILNS1_3genE4ELNS1_11target_archE910ELNS1_3gpuE8ELNS1_3repE0EEENS1_30default_config_static_selectorELNS0_4arch9wavefront6targetE0EEEvT1_.kd
    .uniform_work_group_size: 1
    .uses_dynamic_stack: false
    .vgpr_count:     0
    .vgpr_spill_count: 0
    .wavefront_size: 32
  - .args:
      - .offset:         0
        .size:           112
        .value_kind:     by_value
    .group_segment_fixed_size: 0
    .kernarg_segment_align: 8
    .kernarg_segment_size: 112
    .language:       OpenCL C
    .language_version:
      - 2
      - 0
    .max_flat_workgroup_size: 256
    .name:           _ZN7rocprim17ROCPRIM_400000_NS6detail17trampoline_kernelINS0_14default_configENS1_27scan_by_key_config_selectorIijEEZZNS1_16scan_by_key_implILNS1_25lookback_scan_determinismE0ELb0ES3_N6thrust23THRUST_200600_302600_NS6detail15normal_iteratorINS9_10device_ptrIiEEEENSB_INSC_IjEEEENSB_INSC_IfEEEEjNS9_4plusIvEENS9_8equal_toIvEEjEE10hipError_tPvRmT2_T3_T4_T5_mT6_T7_P12ihipStream_tbENKUlT_T0_E_clISt17integral_constantIbLb1EES13_EEDaSY_SZ_EUlSY_E_NS1_11comp_targetILNS1_3genE3ELNS1_11target_archE908ELNS1_3gpuE7ELNS1_3repE0EEENS1_30default_config_static_selectorELNS0_4arch9wavefront6targetE0EEEvT1_
    .private_segment_fixed_size: 0
    .sgpr_count:     0
    .sgpr_spill_count: 0
    .symbol:         _ZN7rocprim17ROCPRIM_400000_NS6detail17trampoline_kernelINS0_14default_configENS1_27scan_by_key_config_selectorIijEEZZNS1_16scan_by_key_implILNS1_25lookback_scan_determinismE0ELb0ES3_N6thrust23THRUST_200600_302600_NS6detail15normal_iteratorINS9_10device_ptrIiEEEENSB_INSC_IjEEEENSB_INSC_IfEEEEjNS9_4plusIvEENS9_8equal_toIvEEjEE10hipError_tPvRmT2_T3_T4_T5_mT6_T7_P12ihipStream_tbENKUlT_T0_E_clISt17integral_constantIbLb1EES13_EEDaSY_SZ_EUlSY_E_NS1_11comp_targetILNS1_3genE3ELNS1_11target_archE908ELNS1_3gpuE7ELNS1_3repE0EEENS1_30default_config_static_selectorELNS0_4arch9wavefront6targetE0EEEvT1_.kd
    .uniform_work_group_size: 1
    .uses_dynamic_stack: false
    .vgpr_count:     0
    .vgpr_spill_count: 0
    .wavefront_size: 32
  - .args:
      - .offset:         0
        .size:           112
        .value_kind:     by_value
    .group_segment_fixed_size: 0
    .kernarg_segment_align: 8
    .kernarg_segment_size: 112
    .language:       OpenCL C
    .language_version:
      - 2
      - 0
    .max_flat_workgroup_size: 256
    .name:           _ZN7rocprim17ROCPRIM_400000_NS6detail17trampoline_kernelINS0_14default_configENS1_27scan_by_key_config_selectorIijEEZZNS1_16scan_by_key_implILNS1_25lookback_scan_determinismE0ELb0ES3_N6thrust23THRUST_200600_302600_NS6detail15normal_iteratorINS9_10device_ptrIiEEEENSB_INSC_IjEEEENSB_INSC_IfEEEEjNS9_4plusIvEENS9_8equal_toIvEEjEE10hipError_tPvRmT2_T3_T4_T5_mT6_T7_P12ihipStream_tbENKUlT_T0_E_clISt17integral_constantIbLb1EES13_EEDaSY_SZ_EUlSY_E_NS1_11comp_targetILNS1_3genE2ELNS1_11target_archE906ELNS1_3gpuE6ELNS1_3repE0EEENS1_30default_config_static_selectorELNS0_4arch9wavefront6targetE0EEEvT1_
    .private_segment_fixed_size: 0
    .sgpr_count:     0
    .sgpr_spill_count: 0
    .symbol:         _ZN7rocprim17ROCPRIM_400000_NS6detail17trampoline_kernelINS0_14default_configENS1_27scan_by_key_config_selectorIijEEZZNS1_16scan_by_key_implILNS1_25lookback_scan_determinismE0ELb0ES3_N6thrust23THRUST_200600_302600_NS6detail15normal_iteratorINS9_10device_ptrIiEEEENSB_INSC_IjEEEENSB_INSC_IfEEEEjNS9_4plusIvEENS9_8equal_toIvEEjEE10hipError_tPvRmT2_T3_T4_T5_mT6_T7_P12ihipStream_tbENKUlT_T0_E_clISt17integral_constantIbLb1EES13_EEDaSY_SZ_EUlSY_E_NS1_11comp_targetILNS1_3genE2ELNS1_11target_archE906ELNS1_3gpuE6ELNS1_3repE0EEENS1_30default_config_static_selectorELNS0_4arch9wavefront6targetE0EEEvT1_.kd
    .uniform_work_group_size: 1
    .uses_dynamic_stack: false
    .vgpr_count:     0
    .vgpr_spill_count: 0
    .wavefront_size: 32
  - .args:
      - .offset:         0
        .size:           112
        .value_kind:     by_value
    .group_segment_fixed_size: 0
    .kernarg_segment_align: 8
    .kernarg_segment_size: 112
    .language:       OpenCL C
    .language_version:
      - 2
      - 0
    .max_flat_workgroup_size: 256
    .name:           _ZN7rocprim17ROCPRIM_400000_NS6detail17trampoline_kernelINS0_14default_configENS1_27scan_by_key_config_selectorIijEEZZNS1_16scan_by_key_implILNS1_25lookback_scan_determinismE0ELb0ES3_N6thrust23THRUST_200600_302600_NS6detail15normal_iteratorINS9_10device_ptrIiEEEENSB_INSC_IjEEEENSB_INSC_IfEEEEjNS9_4plusIvEENS9_8equal_toIvEEjEE10hipError_tPvRmT2_T3_T4_T5_mT6_T7_P12ihipStream_tbENKUlT_T0_E_clISt17integral_constantIbLb1EES13_EEDaSY_SZ_EUlSY_E_NS1_11comp_targetILNS1_3genE10ELNS1_11target_archE1200ELNS1_3gpuE4ELNS1_3repE0EEENS1_30default_config_static_selectorELNS0_4arch9wavefront6targetE0EEEvT1_
    .private_segment_fixed_size: 0
    .sgpr_count:     0
    .sgpr_spill_count: 0
    .symbol:         _ZN7rocprim17ROCPRIM_400000_NS6detail17trampoline_kernelINS0_14default_configENS1_27scan_by_key_config_selectorIijEEZZNS1_16scan_by_key_implILNS1_25lookback_scan_determinismE0ELb0ES3_N6thrust23THRUST_200600_302600_NS6detail15normal_iteratorINS9_10device_ptrIiEEEENSB_INSC_IjEEEENSB_INSC_IfEEEEjNS9_4plusIvEENS9_8equal_toIvEEjEE10hipError_tPvRmT2_T3_T4_T5_mT6_T7_P12ihipStream_tbENKUlT_T0_E_clISt17integral_constantIbLb1EES13_EEDaSY_SZ_EUlSY_E_NS1_11comp_targetILNS1_3genE10ELNS1_11target_archE1200ELNS1_3gpuE4ELNS1_3repE0EEENS1_30default_config_static_selectorELNS0_4arch9wavefront6targetE0EEEvT1_.kd
    .uniform_work_group_size: 1
    .uses_dynamic_stack: false
    .vgpr_count:     0
    .vgpr_spill_count: 0
    .wavefront_size: 32
  - .args:
      - .offset:         0
        .size:           112
        .value_kind:     by_value
    .group_segment_fixed_size: 0
    .kernarg_segment_align: 8
    .kernarg_segment_size: 112
    .language:       OpenCL C
    .language_version:
      - 2
      - 0
    .max_flat_workgroup_size: 256
    .name:           _ZN7rocprim17ROCPRIM_400000_NS6detail17trampoline_kernelINS0_14default_configENS1_27scan_by_key_config_selectorIijEEZZNS1_16scan_by_key_implILNS1_25lookback_scan_determinismE0ELb0ES3_N6thrust23THRUST_200600_302600_NS6detail15normal_iteratorINS9_10device_ptrIiEEEENSB_INSC_IjEEEENSB_INSC_IfEEEEjNS9_4plusIvEENS9_8equal_toIvEEjEE10hipError_tPvRmT2_T3_T4_T5_mT6_T7_P12ihipStream_tbENKUlT_T0_E_clISt17integral_constantIbLb1EES13_EEDaSY_SZ_EUlSY_E_NS1_11comp_targetILNS1_3genE9ELNS1_11target_archE1100ELNS1_3gpuE3ELNS1_3repE0EEENS1_30default_config_static_selectorELNS0_4arch9wavefront6targetE0EEEvT1_
    .private_segment_fixed_size: 0
    .sgpr_count:     0
    .sgpr_spill_count: 0
    .symbol:         _ZN7rocprim17ROCPRIM_400000_NS6detail17trampoline_kernelINS0_14default_configENS1_27scan_by_key_config_selectorIijEEZZNS1_16scan_by_key_implILNS1_25lookback_scan_determinismE0ELb0ES3_N6thrust23THRUST_200600_302600_NS6detail15normal_iteratorINS9_10device_ptrIiEEEENSB_INSC_IjEEEENSB_INSC_IfEEEEjNS9_4plusIvEENS9_8equal_toIvEEjEE10hipError_tPvRmT2_T3_T4_T5_mT6_T7_P12ihipStream_tbENKUlT_T0_E_clISt17integral_constantIbLb1EES13_EEDaSY_SZ_EUlSY_E_NS1_11comp_targetILNS1_3genE9ELNS1_11target_archE1100ELNS1_3gpuE3ELNS1_3repE0EEENS1_30default_config_static_selectorELNS0_4arch9wavefront6targetE0EEEvT1_.kd
    .uniform_work_group_size: 1
    .uses_dynamic_stack: false
    .vgpr_count:     0
    .vgpr_spill_count: 0
    .wavefront_size: 32
  - .args:
      - .offset:         0
        .size:           112
        .value_kind:     by_value
    .group_segment_fixed_size: 0
    .kernarg_segment_align: 8
    .kernarg_segment_size: 112
    .language:       OpenCL C
    .language_version:
      - 2
      - 0
    .max_flat_workgroup_size: 256
    .name:           _ZN7rocprim17ROCPRIM_400000_NS6detail17trampoline_kernelINS0_14default_configENS1_27scan_by_key_config_selectorIijEEZZNS1_16scan_by_key_implILNS1_25lookback_scan_determinismE0ELb0ES3_N6thrust23THRUST_200600_302600_NS6detail15normal_iteratorINS9_10device_ptrIiEEEENSB_INSC_IjEEEENSB_INSC_IfEEEEjNS9_4plusIvEENS9_8equal_toIvEEjEE10hipError_tPvRmT2_T3_T4_T5_mT6_T7_P12ihipStream_tbENKUlT_T0_E_clISt17integral_constantIbLb1EES13_EEDaSY_SZ_EUlSY_E_NS1_11comp_targetILNS1_3genE8ELNS1_11target_archE1030ELNS1_3gpuE2ELNS1_3repE0EEENS1_30default_config_static_selectorELNS0_4arch9wavefront6targetE0EEEvT1_
    .private_segment_fixed_size: 0
    .sgpr_count:     0
    .sgpr_spill_count: 0
    .symbol:         _ZN7rocprim17ROCPRIM_400000_NS6detail17trampoline_kernelINS0_14default_configENS1_27scan_by_key_config_selectorIijEEZZNS1_16scan_by_key_implILNS1_25lookback_scan_determinismE0ELb0ES3_N6thrust23THRUST_200600_302600_NS6detail15normal_iteratorINS9_10device_ptrIiEEEENSB_INSC_IjEEEENSB_INSC_IfEEEEjNS9_4plusIvEENS9_8equal_toIvEEjEE10hipError_tPvRmT2_T3_T4_T5_mT6_T7_P12ihipStream_tbENKUlT_T0_E_clISt17integral_constantIbLb1EES13_EEDaSY_SZ_EUlSY_E_NS1_11comp_targetILNS1_3genE8ELNS1_11target_archE1030ELNS1_3gpuE2ELNS1_3repE0EEENS1_30default_config_static_selectorELNS0_4arch9wavefront6targetE0EEEvT1_.kd
    .uniform_work_group_size: 1
    .uses_dynamic_stack: false
    .vgpr_count:     0
    .vgpr_spill_count: 0
    .wavefront_size: 32
  - .args:
      - .offset:         0
        .size:           112
        .value_kind:     by_value
    .group_segment_fixed_size: 0
    .kernarg_segment_align: 8
    .kernarg_segment_size: 112
    .language:       OpenCL C
    .language_version:
      - 2
      - 0
    .max_flat_workgroup_size: 256
    .name:           _ZN7rocprim17ROCPRIM_400000_NS6detail17trampoline_kernelINS0_14default_configENS1_27scan_by_key_config_selectorIijEEZZNS1_16scan_by_key_implILNS1_25lookback_scan_determinismE0ELb0ES3_N6thrust23THRUST_200600_302600_NS6detail15normal_iteratorINS9_10device_ptrIiEEEENSB_INSC_IjEEEENSB_INSC_IfEEEEjNS9_4plusIvEENS9_8equal_toIvEEjEE10hipError_tPvRmT2_T3_T4_T5_mT6_T7_P12ihipStream_tbENKUlT_T0_E_clISt17integral_constantIbLb1EES12_IbLb0EEEEDaSY_SZ_EUlSY_E_NS1_11comp_targetILNS1_3genE0ELNS1_11target_archE4294967295ELNS1_3gpuE0ELNS1_3repE0EEENS1_30default_config_static_selectorELNS0_4arch9wavefront6targetE0EEEvT1_
    .private_segment_fixed_size: 0
    .sgpr_count:     0
    .sgpr_spill_count: 0
    .symbol:         _ZN7rocprim17ROCPRIM_400000_NS6detail17trampoline_kernelINS0_14default_configENS1_27scan_by_key_config_selectorIijEEZZNS1_16scan_by_key_implILNS1_25lookback_scan_determinismE0ELb0ES3_N6thrust23THRUST_200600_302600_NS6detail15normal_iteratorINS9_10device_ptrIiEEEENSB_INSC_IjEEEENSB_INSC_IfEEEEjNS9_4plusIvEENS9_8equal_toIvEEjEE10hipError_tPvRmT2_T3_T4_T5_mT6_T7_P12ihipStream_tbENKUlT_T0_E_clISt17integral_constantIbLb1EES12_IbLb0EEEEDaSY_SZ_EUlSY_E_NS1_11comp_targetILNS1_3genE0ELNS1_11target_archE4294967295ELNS1_3gpuE0ELNS1_3repE0EEENS1_30default_config_static_selectorELNS0_4arch9wavefront6targetE0EEEvT1_.kd
    .uniform_work_group_size: 1
    .uses_dynamic_stack: false
    .vgpr_count:     0
    .vgpr_spill_count: 0
    .wavefront_size: 32
  - .args:
      - .offset:         0
        .size:           112
        .value_kind:     by_value
    .group_segment_fixed_size: 0
    .kernarg_segment_align: 8
    .kernarg_segment_size: 112
    .language:       OpenCL C
    .language_version:
      - 2
      - 0
    .max_flat_workgroup_size: 256
    .name:           _ZN7rocprim17ROCPRIM_400000_NS6detail17trampoline_kernelINS0_14default_configENS1_27scan_by_key_config_selectorIijEEZZNS1_16scan_by_key_implILNS1_25lookback_scan_determinismE0ELb0ES3_N6thrust23THRUST_200600_302600_NS6detail15normal_iteratorINS9_10device_ptrIiEEEENSB_INSC_IjEEEENSB_INSC_IfEEEEjNS9_4plusIvEENS9_8equal_toIvEEjEE10hipError_tPvRmT2_T3_T4_T5_mT6_T7_P12ihipStream_tbENKUlT_T0_E_clISt17integral_constantIbLb1EES12_IbLb0EEEEDaSY_SZ_EUlSY_E_NS1_11comp_targetILNS1_3genE10ELNS1_11target_archE1201ELNS1_3gpuE5ELNS1_3repE0EEENS1_30default_config_static_selectorELNS0_4arch9wavefront6targetE0EEEvT1_
    .private_segment_fixed_size: 0
    .sgpr_count:     0
    .sgpr_spill_count: 0
    .symbol:         _ZN7rocprim17ROCPRIM_400000_NS6detail17trampoline_kernelINS0_14default_configENS1_27scan_by_key_config_selectorIijEEZZNS1_16scan_by_key_implILNS1_25lookback_scan_determinismE0ELb0ES3_N6thrust23THRUST_200600_302600_NS6detail15normal_iteratorINS9_10device_ptrIiEEEENSB_INSC_IjEEEENSB_INSC_IfEEEEjNS9_4plusIvEENS9_8equal_toIvEEjEE10hipError_tPvRmT2_T3_T4_T5_mT6_T7_P12ihipStream_tbENKUlT_T0_E_clISt17integral_constantIbLb1EES12_IbLb0EEEEDaSY_SZ_EUlSY_E_NS1_11comp_targetILNS1_3genE10ELNS1_11target_archE1201ELNS1_3gpuE5ELNS1_3repE0EEENS1_30default_config_static_selectorELNS0_4arch9wavefront6targetE0EEEvT1_.kd
    .uniform_work_group_size: 1
    .uses_dynamic_stack: false
    .vgpr_count:     0
    .vgpr_spill_count: 0
    .wavefront_size: 32
  - .args:
      - .offset:         0
        .size:           112
        .value_kind:     by_value
    .group_segment_fixed_size: 0
    .kernarg_segment_align: 8
    .kernarg_segment_size: 112
    .language:       OpenCL C
    .language_version:
      - 2
      - 0
    .max_flat_workgroup_size: 256
    .name:           _ZN7rocprim17ROCPRIM_400000_NS6detail17trampoline_kernelINS0_14default_configENS1_27scan_by_key_config_selectorIijEEZZNS1_16scan_by_key_implILNS1_25lookback_scan_determinismE0ELb0ES3_N6thrust23THRUST_200600_302600_NS6detail15normal_iteratorINS9_10device_ptrIiEEEENSB_INSC_IjEEEENSB_INSC_IfEEEEjNS9_4plusIvEENS9_8equal_toIvEEjEE10hipError_tPvRmT2_T3_T4_T5_mT6_T7_P12ihipStream_tbENKUlT_T0_E_clISt17integral_constantIbLb1EES12_IbLb0EEEEDaSY_SZ_EUlSY_E_NS1_11comp_targetILNS1_3genE5ELNS1_11target_archE942ELNS1_3gpuE9ELNS1_3repE0EEENS1_30default_config_static_selectorELNS0_4arch9wavefront6targetE0EEEvT1_
    .private_segment_fixed_size: 0
    .sgpr_count:     0
    .sgpr_spill_count: 0
    .symbol:         _ZN7rocprim17ROCPRIM_400000_NS6detail17trampoline_kernelINS0_14default_configENS1_27scan_by_key_config_selectorIijEEZZNS1_16scan_by_key_implILNS1_25lookback_scan_determinismE0ELb0ES3_N6thrust23THRUST_200600_302600_NS6detail15normal_iteratorINS9_10device_ptrIiEEEENSB_INSC_IjEEEENSB_INSC_IfEEEEjNS9_4plusIvEENS9_8equal_toIvEEjEE10hipError_tPvRmT2_T3_T4_T5_mT6_T7_P12ihipStream_tbENKUlT_T0_E_clISt17integral_constantIbLb1EES12_IbLb0EEEEDaSY_SZ_EUlSY_E_NS1_11comp_targetILNS1_3genE5ELNS1_11target_archE942ELNS1_3gpuE9ELNS1_3repE0EEENS1_30default_config_static_selectorELNS0_4arch9wavefront6targetE0EEEvT1_.kd
    .uniform_work_group_size: 1
    .uses_dynamic_stack: false
    .vgpr_count:     0
    .vgpr_spill_count: 0
    .wavefront_size: 32
  - .args:
      - .offset:         0
        .size:           112
        .value_kind:     by_value
    .group_segment_fixed_size: 0
    .kernarg_segment_align: 8
    .kernarg_segment_size: 112
    .language:       OpenCL C
    .language_version:
      - 2
      - 0
    .max_flat_workgroup_size: 256
    .name:           _ZN7rocprim17ROCPRIM_400000_NS6detail17trampoline_kernelINS0_14default_configENS1_27scan_by_key_config_selectorIijEEZZNS1_16scan_by_key_implILNS1_25lookback_scan_determinismE0ELb0ES3_N6thrust23THRUST_200600_302600_NS6detail15normal_iteratorINS9_10device_ptrIiEEEENSB_INSC_IjEEEENSB_INSC_IfEEEEjNS9_4plusIvEENS9_8equal_toIvEEjEE10hipError_tPvRmT2_T3_T4_T5_mT6_T7_P12ihipStream_tbENKUlT_T0_E_clISt17integral_constantIbLb1EES12_IbLb0EEEEDaSY_SZ_EUlSY_E_NS1_11comp_targetILNS1_3genE4ELNS1_11target_archE910ELNS1_3gpuE8ELNS1_3repE0EEENS1_30default_config_static_selectorELNS0_4arch9wavefront6targetE0EEEvT1_
    .private_segment_fixed_size: 0
    .sgpr_count:     0
    .sgpr_spill_count: 0
    .symbol:         _ZN7rocprim17ROCPRIM_400000_NS6detail17trampoline_kernelINS0_14default_configENS1_27scan_by_key_config_selectorIijEEZZNS1_16scan_by_key_implILNS1_25lookback_scan_determinismE0ELb0ES3_N6thrust23THRUST_200600_302600_NS6detail15normal_iteratorINS9_10device_ptrIiEEEENSB_INSC_IjEEEENSB_INSC_IfEEEEjNS9_4plusIvEENS9_8equal_toIvEEjEE10hipError_tPvRmT2_T3_T4_T5_mT6_T7_P12ihipStream_tbENKUlT_T0_E_clISt17integral_constantIbLb1EES12_IbLb0EEEEDaSY_SZ_EUlSY_E_NS1_11comp_targetILNS1_3genE4ELNS1_11target_archE910ELNS1_3gpuE8ELNS1_3repE0EEENS1_30default_config_static_selectorELNS0_4arch9wavefront6targetE0EEEvT1_.kd
    .uniform_work_group_size: 1
    .uses_dynamic_stack: false
    .vgpr_count:     0
    .vgpr_spill_count: 0
    .wavefront_size: 32
  - .args:
      - .offset:         0
        .size:           112
        .value_kind:     by_value
    .group_segment_fixed_size: 0
    .kernarg_segment_align: 8
    .kernarg_segment_size: 112
    .language:       OpenCL C
    .language_version:
      - 2
      - 0
    .max_flat_workgroup_size: 256
    .name:           _ZN7rocprim17ROCPRIM_400000_NS6detail17trampoline_kernelINS0_14default_configENS1_27scan_by_key_config_selectorIijEEZZNS1_16scan_by_key_implILNS1_25lookback_scan_determinismE0ELb0ES3_N6thrust23THRUST_200600_302600_NS6detail15normal_iteratorINS9_10device_ptrIiEEEENSB_INSC_IjEEEENSB_INSC_IfEEEEjNS9_4plusIvEENS9_8equal_toIvEEjEE10hipError_tPvRmT2_T3_T4_T5_mT6_T7_P12ihipStream_tbENKUlT_T0_E_clISt17integral_constantIbLb1EES12_IbLb0EEEEDaSY_SZ_EUlSY_E_NS1_11comp_targetILNS1_3genE3ELNS1_11target_archE908ELNS1_3gpuE7ELNS1_3repE0EEENS1_30default_config_static_selectorELNS0_4arch9wavefront6targetE0EEEvT1_
    .private_segment_fixed_size: 0
    .sgpr_count:     0
    .sgpr_spill_count: 0
    .symbol:         _ZN7rocprim17ROCPRIM_400000_NS6detail17trampoline_kernelINS0_14default_configENS1_27scan_by_key_config_selectorIijEEZZNS1_16scan_by_key_implILNS1_25lookback_scan_determinismE0ELb0ES3_N6thrust23THRUST_200600_302600_NS6detail15normal_iteratorINS9_10device_ptrIiEEEENSB_INSC_IjEEEENSB_INSC_IfEEEEjNS9_4plusIvEENS9_8equal_toIvEEjEE10hipError_tPvRmT2_T3_T4_T5_mT6_T7_P12ihipStream_tbENKUlT_T0_E_clISt17integral_constantIbLb1EES12_IbLb0EEEEDaSY_SZ_EUlSY_E_NS1_11comp_targetILNS1_3genE3ELNS1_11target_archE908ELNS1_3gpuE7ELNS1_3repE0EEENS1_30default_config_static_selectorELNS0_4arch9wavefront6targetE0EEEvT1_.kd
    .uniform_work_group_size: 1
    .uses_dynamic_stack: false
    .vgpr_count:     0
    .vgpr_spill_count: 0
    .wavefront_size: 32
  - .args:
      - .offset:         0
        .size:           112
        .value_kind:     by_value
    .group_segment_fixed_size: 0
    .kernarg_segment_align: 8
    .kernarg_segment_size: 112
    .language:       OpenCL C
    .language_version:
      - 2
      - 0
    .max_flat_workgroup_size: 256
    .name:           _ZN7rocprim17ROCPRIM_400000_NS6detail17trampoline_kernelINS0_14default_configENS1_27scan_by_key_config_selectorIijEEZZNS1_16scan_by_key_implILNS1_25lookback_scan_determinismE0ELb0ES3_N6thrust23THRUST_200600_302600_NS6detail15normal_iteratorINS9_10device_ptrIiEEEENSB_INSC_IjEEEENSB_INSC_IfEEEEjNS9_4plusIvEENS9_8equal_toIvEEjEE10hipError_tPvRmT2_T3_T4_T5_mT6_T7_P12ihipStream_tbENKUlT_T0_E_clISt17integral_constantIbLb1EES12_IbLb0EEEEDaSY_SZ_EUlSY_E_NS1_11comp_targetILNS1_3genE2ELNS1_11target_archE906ELNS1_3gpuE6ELNS1_3repE0EEENS1_30default_config_static_selectorELNS0_4arch9wavefront6targetE0EEEvT1_
    .private_segment_fixed_size: 0
    .sgpr_count:     0
    .sgpr_spill_count: 0
    .symbol:         _ZN7rocprim17ROCPRIM_400000_NS6detail17trampoline_kernelINS0_14default_configENS1_27scan_by_key_config_selectorIijEEZZNS1_16scan_by_key_implILNS1_25lookback_scan_determinismE0ELb0ES3_N6thrust23THRUST_200600_302600_NS6detail15normal_iteratorINS9_10device_ptrIiEEEENSB_INSC_IjEEEENSB_INSC_IfEEEEjNS9_4plusIvEENS9_8equal_toIvEEjEE10hipError_tPvRmT2_T3_T4_T5_mT6_T7_P12ihipStream_tbENKUlT_T0_E_clISt17integral_constantIbLb1EES12_IbLb0EEEEDaSY_SZ_EUlSY_E_NS1_11comp_targetILNS1_3genE2ELNS1_11target_archE906ELNS1_3gpuE6ELNS1_3repE0EEENS1_30default_config_static_selectorELNS0_4arch9wavefront6targetE0EEEvT1_.kd
    .uniform_work_group_size: 1
    .uses_dynamic_stack: false
    .vgpr_count:     0
    .vgpr_spill_count: 0
    .wavefront_size: 32
  - .args:
      - .offset:         0
        .size:           112
        .value_kind:     by_value
    .group_segment_fixed_size: 0
    .kernarg_segment_align: 8
    .kernarg_segment_size: 112
    .language:       OpenCL C
    .language_version:
      - 2
      - 0
    .max_flat_workgroup_size: 256
    .name:           _ZN7rocprim17ROCPRIM_400000_NS6detail17trampoline_kernelINS0_14default_configENS1_27scan_by_key_config_selectorIijEEZZNS1_16scan_by_key_implILNS1_25lookback_scan_determinismE0ELb0ES3_N6thrust23THRUST_200600_302600_NS6detail15normal_iteratorINS9_10device_ptrIiEEEENSB_INSC_IjEEEENSB_INSC_IfEEEEjNS9_4plusIvEENS9_8equal_toIvEEjEE10hipError_tPvRmT2_T3_T4_T5_mT6_T7_P12ihipStream_tbENKUlT_T0_E_clISt17integral_constantIbLb1EES12_IbLb0EEEEDaSY_SZ_EUlSY_E_NS1_11comp_targetILNS1_3genE10ELNS1_11target_archE1200ELNS1_3gpuE4ELNS1_3repE0EEENS1_30default_config_static_selectorELNS0_4arch9wavefront6targetE0EEEvT1_
    .private_segment_fixed_size: 0
    .sgpr_count:     0
    .sgpr_spill_count: 0
    .symbol:         _ZN7rocprim17ROCPRIM_400000_NS6detail17trampoline_kernelINS0_14default_configENS1_27scan_by_key_config_selectorIijEEZZNS1_16scan_by_key_implILNS1_25lookback_scan_determinismE0ELb0ES3_N6thrust23THRUST_200600_302600_NS6detail15normal_iteratorINS9_10device_ptrIiEEEENSB_INSC_IjEEEENSB_INSC_IfEEEEjNS9_4plusIvEENS9_8equal_toIvEEjEE10hipError_tPvRmT2_T3_T4_T5_mT6_T7_P12ihipStream_tbENKUlT_T0_E_clISt17integral_constantIbLb1EES12_IbLb0EEEEDaSY_SZ_EUlSY_E_NS1_11comp_targetILNS1_3genE10ELNS1_11target_archE1200ELNS1_3gpuE4ELNS1_3repE0EEENS1_30default_config_static_selectorELNS0_4arch9wavefront6targetE0EEEvT1_.kd
    .uniform_work_group_size: 1
    .uses_dynamic_stack: false
    .vgpr_count:     0
    .vgpr_spill_count: 0
    .wavefront_size: 32
  - .args:
      - .offset:         0
        .size:           112
        .value_kind:     by_value
    .group_segment_fixed_size: 0
    .kernarg_segment_align: 8
    .kernarg_segment_size: 112
    .language:       OpenCL C
    .language_version:
      - 2
      - 0
    .max_flat_workgroup_size: 256
    .name:           _ZN7rocprim17ROCPRIM_400000_NS6detail17trampoline_kernelINS0_14default_configENS1_27scan_by_key_config_selectorIijEEZZNS1_16scan_by_key_implILNS1_25lookback_scan_determinismE0ELb0ES3_N6thrust23THRUST_200600_302600_NS6detail15normal_iteratorINS9_10device_ptrIiEEEENSB_INSC_IjEEEENSB_INSC_IfEEEEjNS9_4plusIvEENS9_8equal_toIvEEjEE10hipError_tPvRmT2_T3_T4_T5_mT6_T7_P12ihipStream_tbENKUlT_T0_E_clISt17integral_constantIbLb1EES12_IbLb0EEEEDaSY_SZ_EUlSY_E_NS1_11comp_targetILNS1_3genE9ELNS1_11target_archE1100ELNS1_3gpuE3ELNS1_3repE0EEENS1_30default_config_static_selectorELNS0_4arch9wavefront6targetE0EEEvT1_
    .private_segment_fixed_size: 0
    .sgpr_count:     0
    .sgpr_spill_count: 0
    .symbol:         _ZN7rocprim17ROCPRIM_400000_NS6detail17trampoline_kernelINS0_14default_configENS1_27scan_by_key_config_selectorIijEEZZNS1_16scan_by_key_implILNS1_25lookback_scan_determinismE0ELb0ES3_N6thrust23THRUST_200600_302600_NS6detail15normal_iteratorINS9_10device_ptrIiEEEENSB_INSC_IjEEEENSB_INSC_IfEEEEjNS9_4plusIvEENS9_8equal_toIvEEjEE10hipError_tPvRmT2_T3_T4_T5_mT6_T7_P12ihipStream_tbENKUlT_T0_E_clISt17integral_constantIbLb1EES12_IbLb0EEEEDaSY_SZ_EUlSY_E_NS1_11comp_targetILNS1_3genE9ELNS1_11target_archE1100ELNS1_3gpuE3ELNS1_3repE0EEENS1_30default_config_static_selectorELNS0_4arch9wavefront6targetE0EEEvT1_.kd
    .uniform_work_group_size: 1
    .uses_dynamic_stack: false
    .vgpr_count:     0
    .vgpr_spill_count: 0
    .wavefront_size: 32
  - .args:
      - .offset:         0
        .size:           112
        .value_kind:     by_value
    .group_segment_fixed_size: 0
    .kernarg_segment_align: 8
    .kernarg_segment_size: 112
    .language:       OpenCL C
    .language_version:
      - 2
      - 0
    .max_flat_workgroup_size: 256
    .name:           _ZN7rocprim17ROCPRIM_400000_NS6detail17trampoline_kernelINS0_14default_configENS1_27scan_by_key_config_selectorIijEEZZNS1_16scan_by_key_implILNS1_25lookback_scan_determinismE0ELb0ES3_N6thrust23THRUST_200600_302600_NS6detail15normal_iteratorINS9_10device_ptrIiEEEENSB_INSC_IjEEEENSB_INSC_IfEEEEjNS9_4plusIvEENS9_8equal_toIvEEjEE10hipError_tPvRmT2_T3_T4_T5_mT6_T7_P12ihipStream_tbENKUlT_T0_E_clISt17integral_constantIbLb1EES12_IbLb0EEEEDaSY_SZ_EUlSY_E_NS1_11comp_targetILNS1_3genE8ELNS1_11target_archE1030ELNS1_3gpuE2ELNS1_3repE0EEENS1_30default_config_static_selectorELNS0_4arch9wavefront6targetE0EEEvT1_
    .private_segment_fixed_size: 0
    .sgpr_count:     0
    .sgpr_spill_count: 0
    .symbol:         _ZN7rocprim17ROCPRIM_400000_NS6detail17trampoline_kernelINS0_14default_configENS1_27scan_by_key_config_selectorIijEEZZNS1_16scan_by_key_implILNS1_25lookback_scan_determinismE0ELb0ES3_N6thrust23THRUST_200600_302600_NS6detail15normal_iteratorINS9_10device_ptrIiEEEENSB_INSC_IjEEEENSB_INSC_IfEEEEjNS9_4plusIvEENS9_8equal_toIvEEjEE10hipError_tPvRmT2_T3_T4_T5_mT6_T7_P12ihipStream_tbENKUlT_T0_E_clISt17integral_constantIbLb1EES12_IbLb0EEEEDaSY_SZ_EUlSY_E_NS1_11comp_targetILNS1_3genE8ELNS1_11target_archE1030ELNS1_3gpuE2ELNS1_3repE0EEENS1_30default_config_static_selectorELNS0_4arch9wavefront6targetE0EEEvT1_.kd
    .uniform_work_group_size: 1
    .uses_dynamic_stack: false
    .vgpr_count:     0
    .vgpr_spill_count: 0
    .wavefront_size: 32
  - .args:
      - .offset:         0
        .size:           112
        .value_kind:     by_value
    .group_segment_fixed_size: 14336
    .kernarg_segment_align: 8
    .kernarg_segment_size: 112
    .language:       OpenCL C
    .language_version:
      - 2
      - 0
    .max_flat_workgroup_size: 256
    .name:           _ZN7rocprim17ROCPRIM_400000_NS6detail17trampoline_kernelINS0_14default_configENS1_27scan_by_key_config_selectorIijEEZZNS1_16scan_by_key_implILNS1_25lookback_scan_determinismE0ELb0ES3_N6thrust23THRUST_200600_302600_NS6detail15normal_iteratorINS9_10device_ptrIiEEEENSB_INSC_IjEEEENSB_INSC_IfEEEEjNS9_4plusIvEENS9_8equal_toIvEEjEE10hipError_tPvRmT2_T3_T4_T5_mT6_T7_P12ihipStream_tbENKUlT_T0_E_clISt17integral_constantIbLb0EES12_IbLb1EEEEDaSY_SZ_EUlSY_E_NS1_11comp_targetILNS1_3genE0ELNS1_11target_archE4294967295ELNS1_3gpuE0ELNS1_3repE0EEENS1_30default_config_static_selectorELNS0_4arch9wavefront6targetE0EEEvT1_
    .private_segment_fixed_size: 0
    .sgpr_count:     46
    .sgpr_spill_count: 0
    .symbol:         _ZN7rocprim17ROCPRIM_400000_NS6detail17trampoline_kernelINS0_14default_configENS1_27scan_by_key_config_selectorIijEEZZNS1_16scan_by_key_implILNS1_25lookback_scan_determinismE0ELb0ES3_N6thrust23THRUST_200600_302600_NS6detail15normal_iteratorINS9_10device_ptrIiEEEENSB_INSC_IjEEEENSB_INSC_IfEEEEjNS9_4plusIvEENS9_8equal_toIvEEjEE10hipError_tPvRmT2_T3_T4_T5_mT6_T7_P12ihipStream_tbENKUlT_T0_E_clISt17integral_constantIbLb0EES12_IbLb1EEEEDaSY_SZ_EUlSY_E_NS1_11comp_targetILNS1_3genE0ELNS1_11target_archE4294967295ELNS1_3gpuE0ELNS1_3repE0EEENS1_30default_config_static_selectorELNS0_4arch9wavefront6targetE0EEEvT1_.kd
    .uniform_work_group_size: 1
    .uses_dynamic_stack: false
    .vgpr_count:     60
    .vgpr_spill_count: 0
    .wavefront_size: 32
  - .args:
      - .offset:         0
        .size:           112
        .value_kind:     by_value
    .group_segment_fixed_size: 0
    .kernarg_segment_align: 8
    .kernarg_segment_size: 112
    .language:       OpenCL C
    .language_version:
      - 2
      - 0
    .max_flat_workgroup_size: 256
    .name:           _ZN7rocprim17ROCPRIM_400000_NS6detail17trampoline_kernelINS0_14default_configENS1_27scan_by_key_config_selectorIijEEZZNS1_16scan_by_key_implILNS1_25lookback_scan_determinismE0ELb0ES3_N6thrust23THRUST_200600_302600_NS6detail15normal_iteratorINS9_10device_ptrIiEEEENSB_INSC_IjEEEENSB_INSC_IfEEEEjNS9_4plusIvEENS9_8equal_toIvEEjEE10hipError_tPvRmT2_T3_T4_T5_mT6_T7_P12ihipStream_tbENKUlT_T0_E_clISt17integral_constantIbLb0EES12_IbLb1EEEEDaSY_SZ_EUlSY_E_NS1_11comp_targetILNS1_3genE10ELNS1_11target_archE1201ELNS1_3gpuE5ELNS1_3repE0EEENS1_30default_config_static_selectorELNS0_4arch9wavefront6targetE0EEEvT1_
    .private_segment_fixed_size: 0
    .sgpr_count:     0
    .sgpr_spill_count: 0
    .symbol:         _ZN7rocprim17ROCPRIM_400000_NS6detail17trampoline_kernelINS0_14default_configENS1_27scan_by_key_config_selectorIijEEZZNS1_16scan_by_key_implILNS1_25lookback_scan_determinismE0ELb0ES3_N6thrust23THRUST_200600_302600_NS6detail15normal_iteratorINS9_10device_ptrIiEEEENSB_INSC_IjEEEENSB_INSC_IfEEEEjNS9_4plusIvEENS9_8equal_toIvEEjEE10hipError_tPvRmT2_T3_T4_T5_mT6_T7_P12ihipStream_tbENKUlT_T0_E_clISt17integral_constantIbLb0EES12_IbLb1EEEEDaSY_SZ_EUlSY_E_NS1_11comp_targetILNS1_3genE10ELNS1_11target_archE1201ELNS1_3gpuE5ELNS1_3repE0EEENS1_30default_config_static_selectorELNS0_4arch9wavefront6targetE0EEEvT1_.kd
    .uniform_work_group_size: 1
    .uses_dynamic_stack: false
    .vgpr_count:     0
    .vgpr_spill_count: 0
    .wavefront_size: 32
  - .args:
      - .offset:         0
        .size:           112
        .value_kind:     by_value
    .group_segment_fixed_size: 0
    .kernarg_segment_align: 8
    .kernarg_segment_size: 112
    .language:       OpenCL C
    .language_version:
      - 2
      - 0
    .max_flat_workgroup_size: 256
    .name:           _ZN7rocprim17ROCPRIM_400000_NS6detail17trampoline_kernelINS0_14default_configENS1_27scan_by_key_config_selectorIijEEZZNS1_16scan_by_key_implILNS1_25lookback_scan_determinismE0ELb0ES3_N6thrust23THRUST_200600_302600_NS6detail15normal_iteratorINS9_10device_ptrIiEEEENSB_INSC_IjEEEENSB_INSC_IfEEEEjNS9_4plusIvEENS9_8equal_toIvEEjEE10hipError_tPvRmT2_T3_T4_T5_mT6_T7_P12ihipStream_tbENKUlT_T0_E_clISt17integral_constantIbLb0EES12_IbLb1EEEEDaSY_SZ_EUlSY_E_NS1_11comp_targetILNS1_3genE5ELNS1_11target_archE942ELNS1_3gpuE9ELNS1_3repE0EEENS1_30default_config_static_selectorELNS0_4arch9wavefront6targetE0EEEvT1_
    .private_segment_fixed_size: 0
    .sgpr_count:     0
    .sgpr_spill_count: 0
    .symbol:         _ZN7rocprim17ROCPRIM_400000_NS6detail17trampoline_kernelINS0_14default_configENS1_27scan_by_key_config_selectorIijEEZZNS1_16scan_by_key_implILNS1_25lookback_scan_determinismE0ELb0ES3_N6thrust23THRUST_200600_302600_NS6detail15normal_iteratorINS9_10device_ptrIiEEEENSB_INSC_IjEEEENSB_INSC_IfEEEEjNS9_4plusIvEENS9_8equal_toIvEEjEE10hipError_tPvRmT2_T3_T4_T5_mT6_T7_P12ihipStream_tbENKUlT_T0_E_clISt17integral_constantIbLb0EES12_IbLb1EEEEDaSY_SZ_EUlSY_E_NS1_11comp_targetILNS1_3genE5ELNS1_11target_archE942ELNS1_3gpuE9ELNS1_3repE0EEENS1_30default_config_static_selectorELNS0_4arch9wavefront6targetE0EEEvT1_.kd
    .uniform_work_group_size: 1
    .uses_dynamic_stack: false
    .vgpr_count:     0
    .vgpr_spill_count: 0
    .wavefront_size: 32
  - .args:
      - .offset:         0
        .size:           112
        .value_kind:     by_value
    .group_segment_fixed_size: 0
    .kernarg_segment_align: 8
    .kernarg_segment_size: 112
    .language:       OpenCL C
    .language_version:
      - 2
      - 0
    .max_flat_workgroup_size: 256
    .name:           _ZN7rocprim17ROCPRIM_400000_NS6detail17trampoline_kernelINS0_14default_configENS1_27scan_by_key_config_selectorIijEEZZNS1_16scan_by_key_implILNS1_25lookback_scan_determinismE0ELb0ES3_N6thrust23THRUST_200600_302600_NS6detail15normal_iteratorINS9_10device_ptrIiEEEENSB_INSC_IjEEEENSB_INSC_IfEEEEjNS9_4plusIvEENS9_8equal_toIvEEjEE10hipError_tPvRmT2_T3_T4_T5_mT6_T7_P12ihipStream_tbENKUlT_T0_E_clISt17integral_constantIbLb0EES12_IbLb1EEEEDaSY_SZ_EUlSY_E_NS1_11comp_targetILNS1_3genE4ELNS1_11target_archE910ELNS1_3gpuE8ELNS1_3repE0EEENS1_30default_config_static_selectorELNS0_4arch9wavefront6targetE0EEEvT1_
    .private_segment_fixed_size: 0
    .sgpr_count:     0
    .sgpr_spill_count: 0
    .symbol:         _ZN7rocprim17ROCPRIM_400000_NS6detail17trampoline_kernelINS0_14default_configENS1_27scan_by_key_config_selectorIijEEZZNS1_16scan_by_key_implILNS1_25lookback_scan_determinismE0ELb0ES3_N6thrust23THRUST_200600_302600_NS6detail15normal_iteratorINS9_10device_ptrIiEEEENSB_INSC_IjEEEENSB_INSC_IfEEEEjNS9_4plusIvEENS9_8equal_toIvEEjEE10hipError_tPvRmT2_T3_T4_T5_mT6_T7_P12ihipStream_tbENKUlT_T0_E_clISt17integral_constantIbLb0EES12_IbLb1EEEEDaSY_SZ_EUlSY_E_NS1_11comp_targetILNS1_3genE4ELNS1_11target_archE910ELNS1_3gpuE8ELNS1_3repE0EEENS1_30default_config_static_selectorELNS0_4arch9wavefront6targetE0EEEvT1_.kd
    .uniform_work_group_size: 1
    .uses_dynamic_stack: false
    .vgpr_count:     0
    .vgpr_spill_count: 0
    .wavefront_size: 32
  - .args:
      - .offset:         0
        .size:           112
        .value_kind:     by_value
    .group_segment_fixed_size: 0
    .kernarg_segment_align: 8
    .kernarg_segment_size: 112
    .language:       OpenCL C
    .language_version:
      - 2
      - 0
    .max_flat_workgroup_size: 256
    .name:           _ZN7rocprim17ROCPRIM_400000_NS6detail17trampoline_kernelINS0_14default_configENS1_27scan_by_key_config_selectorIijEEZZNS1_16scan_by_key_implILNS1_25lookback_scan_determinismE0ELb0ES3_N6thrust23THRUST_200600_302600_NS6detail15normal_iteratorINS9_10device_ptrIiEEEENSB_INSC_IjEEEENSB_INSC_IfEEEEjNS9_4plusIvEENS9_8equal_toIvEEjEE10hipError_tPvRmT2_T3_T4_T5_mT6_T7_P12ihipStream_tbENKUlT_T0_E_clISt17integral_constantIbLb0EES12_IbLb1EEEEDaSY_SZ_EUlSY_E_NS1_11comp_targetILNS1_3genE3ELNS1_11target_archE908ELNS1_3gpuE7ELNS1_3repE0EEENS1_30default_config_static_selectorELNS0_4arch9wavefront6targetE0EEEvT1_
    .private_segment_fixed_size: 0
    .sgpr_count:     0
    .sgpr_spill_count: 0
    .symbol:         _ZN7rocprim17ROCPRIM_400000_NS6detail17trampoline_kernelINS0_14default_configENS1_27scan_by_key_config_selectorIijEEZZNS1_16scan_by_key_implILNS1_25lookback_scan_determinismE0ELb0ES3_N6thrust23THRUST_200600_302600_NS6detail15normal_iteratorINS9_10device_ptrIiEEEENSB_INSC_IjEEEENSB_INSC_IfEEEEjNS9_4plusIvEENS9_8equal_toIvEEjEE10hipError_tPvRmT2_T3_T4_T5_mT6_T7_P12ihipStream_tbENKUlT_T0_E_clISt17integral_constantIbLb0EES12_IbLb1EEEEDaSY_SZ_EUlSY_E_NS1_11comp_targetILNS1_3genE3ELNS1_11target_archE908ELNS1_3gpuE7ELNS1_3repE0EEENS1_30default_config_static_selectorELNS0_4arch9wavefront6targetE0EEEvT1_.kd
    .uniform_work_group_size: 1
    .uses_dynamic_stack: false
    .vgpr_count:     0
    .vgpr_spill_count: 0
    .wavefront_size: 32
  - .args:
      - .offset:         0
        .size:           112
        .value_kind:     by_value
    .group_segment_fixed_size: 0
    .kernarg_segment_align: 8
    .kernarg_segment_size: 112
    .language:       OpenCL C
    .language_version:
      - 2
      - 0
    .max_flat_workgroup_size: 256
    .name:           _ZN7rocprim17ROCPRIM_400000_NS6detail17trampoline_kernelINS0_14default_configENS1_27scan_by_key_config_selectorIijEEZZNS1_16scan_by_key_implILNS1_25lookback_scan_determinismE0ELb0ES3_N6thrust23THRUST_200600_302600_NS6detail15normal_iteratorINS9_10device_ptrIiEEEENSB_INSC_IjEEEENSB_INSC_IfEEEEjNS9_4plusIvEENS9_8equal_toIvEEjEE10hipError_tPvRmT2_T3_T4_T5_mT6_T7_P12ihipStream_tbENKUlT_T0_E_clISt17integral_constantIbLb0EES12_IbLb1EEEEDaSY_SZ_EUlSY_E_NS1_11comp_targetILNS1_3genE2ELNS1_11target_archE906ELNS1_3gpuE6ELNS1_3repE0EEENS1_30default_config_static_selectorELNS0_4arch9wavefront6targetE0EEEvT1_
    .private_segment_fixed_size: 0
    .sgpr_count:     0
    .sgpr_spill_count: 0
    .symbol:         _ZN7rocprim17ROCPRIM_400000_NS6detail17trampoline_kernelINS0_14default_configENS1_27scan_by_key_config_selectorIijEEZZNS1_16scan_by_key_implILNS1_25lookback_scan_determinismE0ELb0ES3_N6thrust23THRUST_200600_302600_NS6detail15normal_iteratorINS9_10device_ptrIiEEEENSB_INSC_IjEEEENSB_INSC_IfEEEEjNS9_4plusIvEENS9_8equal_toIvEEjEE10hipError_tPvRmT2_T3_T4_T5_mT6_T7_P12ihipStream_tbENKUlT_T0_E_clISt17integral_constantIbLb0EES12_IbLb1EEEEDaSY_SZ_EUlSY_E_NS1_11comp_targetILNS1_3genE2ELNS1_11target_archE906ELNS1_3gpuE6ELNS1_3repE0EEENS1_30default_config_static_selectorELNS0_4arch9wavefront6targetE0EEEvT1_.kd
    .uniform_work_group_size: 1
    .uses_dynamic_stack: false
    .vgpr_count:     0
    .vgpr_spill_count: 0
    .wavefront_size: 32
  - .args:
      - .offset:         0
        .size:           112
        .value_kind:     by_value
    .group_segment_fixed_size: 0
    .kernarg_segment_align: 8
    .kernarg_segment_size: 112
    .language:       OpenCL C
    .language_version:
      - 2
      - 0
    .max_flat_workgroup_size: 256
    .name:           _ZN7rocprim17ROCPRIM_400000_NS6detail17trampoline_kernelINS0_14default_configENS1_27scan_by_key_config_selectorIijEEZZNS1_16scan_by_key_implILNS1_25lookback_scan_determinismE0ELb0ES3_N6thrust23THRUST_200600_302600_NS6detail15normal_iteratorINS9_10device_ptrIiEEEENSB_INSC_IjEEEENSB_INSC_IfEEEEjNS9_4plusIvEENS9_8equal_toIvEEjEE10hipError_tPvRmT2_T3_T4_T5_mT6_T7_P12ihipStream_tbENKUlT_T0_E_clISt17integral_constantIbLb0EES12_IbLb1EEEEDaSY_SZ_EUlSY_E_NS1_11comp_targetILNS1_3genE10ELNS1_11target_archE1200ELNS1_3gpuE4ELNS1_3repE0EEENS1_30default_config_static_selectorELNS0_4arch9wavefront6targetE0EEEvT1_
    .private_segment_fixed_size: 0
    .sgpr_count:     0
    .sgpr_spill_count: 0
    .symbol:         _ZN7rocprim17ROCPRIM_400000_NS6detail17trampoline_kernelINS0_14default_configENS1_27scan_by_key_config_selectorIijEEZZNS1_16scan_by_key_implILNS1_25lookback_scan_determinismE0ELb0ES3_N6thrust23THRUST_200600_302600_NS6detail15normal_iteratorINS9_10device_ptrIiEEEENSB_INSC_IjEEEENSB_INSC_IfEEEEjNS9_4plusIvEENS9_8equal_toIvEEjEE10hipError_tPvRmT2_T3_T4_T5_mT6_T7_P12ihipStream_tbENKUlT_T0_E_clISt17integral_constantIbLb0EES12_IbLb1EEEEDaSY_SZ_EUlSY_E_NS1_11comp_targetILNS1_3genE10ELNS1_11target_archE1200ELNS1_3gpuE4ELNS1_3repE0EEENS1_30default_config_static_selectorELNS0_4arch9wavefront6targetE0EEEvT1_.kd
    .uniform_work_group_size: 1
    .uses_dynamic_stack: false
    .vgpr_count:     0
    .vgpr_spill_count: 0
    .wavefront_size: 32
  - .args:
      - .offset:         0
        .size:           112
        .value_kind:     by_value
    .group_segment_fixed_size: 0
    .kernarg_segment_align: 8
    .kernarg_segment_size: 112
    .language:       OpenCL C
    .language_version:
      - 2
      - 0
    .max_flat_workgroup_size: 256
    .name:           _ZN7rocprim17ROCPRIM_400000_NS6detail17trampoline_kernelINS0_14default_configENS1_27scan_by_key_config_selectorIijEEZZNS1_16scan_by_key_implILNS1_25lookback_scan_determinismE0ELb0ES3_N6thrust23THRUST_200600_302600_NS6detail15normal_iteratorINS9_10device_ptrIiEEEENSB_INSC_IjEEEENSB_INSC_IfEEEEjNS9_4plusIvEENS9_8equal_toIvEEjEE10hipError_tPvRmT2_T3_T4_T5_mT6_T7_P12ihipStream_tbENKUlT_T0_E_clISt17integral_constantIbLb0EES12_IbLb1EEEEDaSY_SZ_EUlSY_E_NS1_11comp_targetILNS1_3genE9ELNS1_11target_archE1100ELNS1_3gpuE3ELNS1_3repE0EEENS1_30default_config_static_selectorELNS0_4arch9wavefront6targetE0EEEvT1_
    .private_segment_fixed_size: 0
    .sgpr_count:     0
    .sgpr_spill_count: 0
    .symbol:         _ZN7rocprim17ROCPRIM_400000_NS6detail17trampoline_kernelINS0_14default_configENS1_27scan_by_key_config_selectorIijEEZZNS1_16scan_by_key_implILNS1_25lookback_scan_determinismE0ELb0ES3_N6thrust23THRUST_200600_302600_NS6detail15normal_iteratorINS9_10device_ptrIiEEEENSB_INSC_IjEEEENSB_INSC_IfEEEEjNS9_4plusIvEENS9_8equal_toIvEEjEE10hipError_tPvRmT2_T3_T4_T5_mT6_T7_P12ihipStream_tbENKUlT_T0_E_clISt17integral_constantIbLb0EES12_IbLb1EEEEDaSY_SZ_EUlSY_E_NS1_11comp_targetILNS1_3genE9ELNS1_11target_archE1100ELNS1_3gpuE3ELNS1_3repE0EEENS1_30default_config_static_selectorELNS0_4arch9wavefront6targetE0EEEvT1_.kd
    .uniform_work_group_size: 1
    .uses_dynamic_stack: false
    .vgpr_count:     0
    .vgpr_spill_count: 0
    .wavefront_size: 32
  - .args:
      - .offset:         0
        .size:           112
        .value_kind:     by_value
    .group_segment_fixed_size: 0
    .kernarg_segment_align: 8
    .kernarg_segment_size: 112
    .language:       OpenCL C
    .language_version:
      - 2
      - 0
    .max_flat_workgroup_size: 256
    .name:           _ZN7rocprim17ROCPRIM_400000_NS6detail17trampoline_kernelINS0_14default_configENS1_27scan_by_key_config_selectorIijEEZZNS1_16scan_by_key_implILNS1_25lookback_scan_determinismE0ELb0ES3_N6thrust23THRUST_200600_302600_NS6detail15normal_iteratorINS9_10device_ptrIiEEEENSB_INSC_IjEEEENSB_INSC_IfEEEEjNS9_4plusIvEENS9_8equal_toIvEEjEE10hipError_tPvRmT2_T3_T4_T5_mT6_T7_P12ihipStream_tbENKUlT_T0_E_clISt17integral_constantIbLb0EES12_IbLb1EEEEDaSY_SZ_EUlSY_E_NS1_11comp_targetILNS1_3genE8ELNS1_11target_archE1030ELNS1_3gpuE2ELNS1_3repE0EEENS1_30default_config_static_selectorELNS0_4arch9wavefront6targetE0EEEvT1_
    .private_segment_fixed_size: 0
    .sgpr_count:     0
    .sgpr_spill_count: 0
    .symbol:         _ZN7rocprim17ROCPRIM_400000_NS6detail17trampoline_kernelINS0_14default_configENS1_27scan_by_key_config_selectorIijEEZZNS1_16scan_by_key_implILNS1_25lookback_scan_determinismE0ELb0ES3_N6thrust23THRUST_200600_302600_NS6detail15normal_iteratorINS9_10device_ptrIiEEEENSB_INSC_IjEEEENSB_INSC_IfEEEEjNS9_4plusIvEENS9_8equal_toIvEEjEE10hipError_tPvRmT2_T3_T4_T5_mT6_T7_P12ihipStream_tbENKUlT_T0_E_clISt17integral_constantIbLb0EES12_IbLb1EEEEDaSY_SZ_EUlSY_E_NS1_11comp_targetILNS1_3genE8ELNS1_11target_archE1030ELNS1_3gpuE2ELNS1_3repE0EEENS1_30default_config_static_selectorELNS0_4arch9wavefront6targetE0EEEvT1_.kd
    .uniform_work_group_size: 1
    .uses_dynamic_stack: false
    .vgpr_count:     0
    .vgpr_spill_count: 0
    .wavefront_size: 32
  - .args:
      - .offset:         0
        .size:           112
        .value_kind:     by_value
    .group_segment_fixed_size: 14336
    .kernarg_segment_align: 8
    .kernarg_segment_size: 112
    .language:       OpenCL C
    .language_version:
      - 2
      - 0
    .max_flat_workgroup_size: 256
    .name:           _ZN7rocprim17ROCPRIM_400000_NS6detail17trampoline_kernelINS0_14default_configENS1_27scan_by_key_config_selectorIifEEZZNS1_16scan_by_key_implILNS1_25lookback_scan_determinismE0ELb1ES3_N6thrust23THRUST_200600_302600_NS6detail15normal_iteratorINS9_10device_ptrIiEEEENSB_INSC_IjEEEENSB_INSC_IfEEEEfNS9_4plusIvEENS9_8equal_toIvEEfEE10hipError_tPvRmT2_T3_T4_T5_mT6_T7_P12ihipStream_tbENKUlT_T0_E_clISt17integral_constantIbLb0EES13_EEDaSY_SZ_EUlSY_E_NS1_11comp_targetILNS1_3genE0ELNS1_11target_archE4294967295ELNS1_3gpuE0ELNS1_3repE0EEENS1_30default_config_static_selectorELNS0_4arch9wavefront6targetE0EEEvT1_
    .private_segment_fixed_size: 0
    .sgpr_count:     50
    .sgpr_spill_count: 0
    .symbol:         _ZN7rocprim17ROCPRIM_400000_NS6detail17trampoline_kernelINS0_14default_configENS1_27scan_by_key_config_selectorIifEEZZNS1_16scan_by_key_implILNS1_25lookback_scan_determinismE0ELb1ES3_N6thrust23THRUST_200600_302600_NS6detail15normal_iteratorINS9_10device_ptrIiEEEENSB_INSC_IjEEEENSB_INSC_IfEEEEfNS9_4plusIvEENS9_8equal_toIvEEfEE10hipError_tPvRmT2_T3_T4_T5_mT6_T7_P12ihipStream_tbENKUlT_T0_E_clISt17integral_constantIbLb0EES13_EEDaSY_SZ_EUlSY_E_NS1_11comp_targetILNS1_3genE0ELNS1_11target_archE4294967295ELNS1_3gpuE0ELNS1_3repE0EEENS1_30default_config_static_selectorELNS0_4arch9wavefront6targetE0EEEvT1_.kd
    .uniform_work_group_size: 1
    .uses_dynamic_stack: false
    .vgpr_count:     62
    .vgpr_spill_count: 0
    .wavefront_size: 32
  - .args:
      - .offset:         0
        .size:           112
        .value_kind:     by_value
    .group_segment_fixed_size: 0
    .kernarg_segment_align: 8
    .kernarg_segment_size: 112
    .language:       OpenCL C
    .language_version:
      - 2
      - 0
    .max_flat_workgroup_size: 256
    .name:           _ZN7rocprim17ROCPRIM_400000_NS6detail17trampoline_kernelINS0_14default_configENS1_27scan_by_key_config_selectorIifEEZZNS1_16scan_by_key_implILNS1_25lookback_scan_determinismE0ELb1ES3_N6thrust23THRUST_200600_302600_NS6detail15normal_iteratorINS9_10device_ptrIiEEEENSB_INSC_IjEEEENSB_INSC_IfEEEEfNS9_4plusIvEENS9_8equal_toIvEEfEE10hipError_tPvRmT2_T3_T4_T5_mT6_T7_P12ihipStream_tbENKUlT_T0_E_clISt17integral_constantIbLb0EES13_EEDaSY_SZ_EUlSY_E_NS1_11comp_targetILNS1_3genE10ELNS1_11target_archE1201ELNS1_3gpuE5ELNS1_3repE0EEENS1_30default_config_static_selectorELNS0_4arch9wavefront6targetE0EEEvT1_
    .private_segment_fixed_size: 0
    .sgpr_count:     0
    .sgpr_spill_count: 0
    .symbol:         _ZN7rocprim17ROCPRIM_400000_NS6detail17trampoline_kernelINS0_14default_configENS1_27scan_by_key_config_selectorIifEEZZNS1_16scan_by_key_implILNS1_25lookback_scan_determinismE0ELb1ES3_N6thrust23THRUST_200600_302600_NS6detail15normal_iteratorINS9_10device_ptrIiEEEENSB_INSC_IjEEEENSB_INSC_IfEEEEfNS9_4plusIvEENS9_8equal_toIvEEfEE10hipError_tPvRmT2_T3_T4_T5_mT6_T7_P12ihipStream_tbENKUlT_T0_E_clISt17integral_constantIbLb0EES13_EEDaSY_SZ_EUlSY_E_NS1_11comp_targetILNS1_3genE10ELNS1_11target_archE1201ELNS1_3gpuE5ELNS1_3repE0EEENS1_30default_config_static_selectorELNS0_4arch9wavefront6targetE0EEEvT1_.kd
    .uniform_work_group_size: 1
    .uses_dynamic_stack: false
    .vgpr_count:     0
    .vgpr_spill_count: 0
    .wavefront_size: 32
  - .args:
      - .offset:         0
        .size:           112
        .value_kind:     by_value
    .group_segment_fixed_size: 0
    .kernarg_segment_align: 8
    .kernarg_segment_size: 112
    .language:       OpenCL C
    .language_version:
      - 2
      - 0
    .max_flat_workgroup_size: 256
    .name:           _ZN7rocprim17ROCPRIM_400000_NS6detail17trampoline_kernelINS0_14default_configENS1_27scan_by_key_config_selectorIifEEZZNS1_16scan_by_key_implILNS1_25lookback_scan_determinismE0ELb1ES3_N6thrust23THRUST_200600_302600_NS6detail15normal_iteratorINS9_10device_ptrIiEEEENSB_INSC_IjEEEENSB_INSC_IfEEEEfNS9_4plusIvEENS9_8equal_toIvEEfEE10hipError_tPvRmT2_T3_T4_T5_mT6_T7_P12ihipStream_tbENKUlT_T0_E_clISt17integral_constantIbLb0EES13_EEDaSY_SZ_EUlSY_E_NS1_11comp_targetILNS1_3genE5ELNS1_11target_archE942ELNS1_3gpuE9ELNS1_3repE0EEENS1_30default_config_static_selectorELNS0_4arch9wavefront6targetE0EEEvT1_
    .private_segment_fixed_size: 0
    .sgpr_count:     0
    .sgpr_spill_count: 0
    .symbol:         _ZN7rocprim17ROCPRIM_400000_NS6detail17trampoline_kernelINS0_14default_configENS1_27scan_by_key_config_selectorIifEEZZNS1_16scan_by_key_implILNS1_25lookback_scan_determinismE0ELb1ES3_N6thrust23THRUST_200600_302600_NS6detail15normal_iteratorINS9_10device_ptrIiEEEENSB_INSC_IjEEEENSB_INSC_IfEEEEfNS9_4plusIvEENS9_8equal_toIvEEfEE10hipError_tPvRmT2_T3_T4_T5_mT6_T7_P12ihipStream_tbENKUlT_T0_E_clISt17integral_constantIbLb0EES13_EEDaSY_SZ_EUlSY_E_NS1_11comp_targetILNS1_3genE5ELNS1_11target_archE942ELNS1_3gpuE9ELNS1_3repE0EEENS1_30default_config_static_selectorELNS0_4arch9wavefront6targetE0EEEvT1_.kd
    .uniform_work_group_size: 1
    .uses_dynamic_stack: false
    .vgpr_count:     0
    .vgpr_spill_count: 0
    .wavefront_size: 32
  - .args:
      - .offset:         0
        .size:           112
        .value_kind:     by_value
    .group_segment_fixed_size: 0
    .kernarg_segment_align: 8
    .kernarg_segment_size: 112
    .language:       OpenCL C
    .language_version:
      - 2
      - 0
    .max_flat_workgroup_size: 256
    .name:           _ZN7rocprim17ROCPRIM_400000_NS6detail17trampoline_kernelINS0_14default_configENS1_27scan_by_key_config_selectorIifEEZZNS1_16scan_by_key_implILNS1_25lookback_scan_determinismE0ELb1ES3_N6thrust23THRUST_200600_302600_NS6detail15normal_iteratorINS9_10device_ptrIiEEEENSB_INSC_IjEEEENSB_INSC_IfEEEEfNS9_4plusIvEENS9_8equal_toIvEEfEE10hipError_tPvRmT2_T3_T4_T5_mT6_T7_P12ihipStream_tbENKUlT_T0_E_clISt17integral_constantIbLb0EES13_EEDaSY_SZ_EUlSY_E_NS1_11comp_targetILNS1_3genE4ELNS1_11target_archE910ELNS1_3gpuE8ELNS1_3repE0EEENS1_30default_config_static_selectorELNS0_4arch9wavefront6targetE0EEEvT1_
    .private_segment_fixed_size: 0
    .sgpr_count:     0
    .sgpr_spill_count: 0
    .symbol:         _ZN7rocprim17ROCPRIM_400000_NS6detail17trampoline_kernelINS0_14default_configENS1_27scan_by_key_config_selectorIifEEZZNS1_16scan_by_key_implILNS1_25lookback_scan_determinismE0ELb1ES3_N6thrust23THRUST_200600_302600_NS6detail15normal_iteratorINS9_10device_ptrIiEEEENSB_INSC_IjEEEENSB_INSC_IfEEEEfNS9_4plusIvEENS9_8equal_toIvEEfEE10hipError_tPvRmT2_T3_T4_T5_mT6_T7_P12ihipStream_tbENKUlT_T0_E_clISt17integral_constantIbLb0EES13_EEDaSY_SZ_EUlSY_E_NS1_11comp_targetILNS1_3genE4ELNS1_11target_archE910ELNS1_3gpuE8ELNS1_3repE0EEENS1_30default_config_static_selectorELNS0_4arch9wavefront6targetE0EEEvT1_.kd
    .uniform_work_group_size: 1
    .uses_dynamic_stack: false
    .vgpr_count:     0
    .vgpr_spill_count: 0
    .wavefront_size: 32
  - .args:
      - .offset:         0
        .size:           112
        .value_kind:     by_value
    .group_segment_fixed_size: 0
    .kernarg_segment_align: 8
    .kernarg_segment_size: 112
    .language:       OpenCL C
    .language_version:
      - 2
      - 0
    .max_flat_workgroup_size: 256
    .name:           _ZN7rocprim17ROCPRIM_400000_NS6detail17trampoline_kernelINS0_14default_configENS1_27scan_by_key_config_selectorIifEEZZNS1_16scan_by_key_implILNS1_25lookback_scan_determinismE0ELb1ES3_N6thrust23THRUST_200600_302600_NS6detail15normal_iteratorINS9_10device_ptrIiEEEENSB_INSC_IjEEEENSB_INSC_IfEEEEfNS9_4plusIvEENS9_8equal_toIvEEfEE10hipError_tPvRmT2_T3_T4_T5_mT6_T7_P12ihipStream_tbENKUlT_T0_E_clISt17integral_constantIbLb0EES13_EEDaSY_SZ_EUlSY_E_NS1_11comp_targetILNS1_3genE3ELNS1_11target_archE908ELNS1_3gpuE7ELNS1_3repE0EEENS1_30default_config_static_selectorELNS0_4arch9wavefront6targetE0EEEvT1_
    .private_segment_fixed_size: 0
    .sgpr_count:     0
    .sgpr_spill_count: 0
    .symbol:         _ZN7rocprim17ROCPRIM_400000_NS6detail17trampoline_kernelINS0_14default_configENS1_27scan_by_key_config_selectorIifEEZZNS1_16scan_by_key_implILNS1_25lookback_scan_determinismE0ELb1ES3_N6thrust23THRUST_200600_302600_NS6detail15normal_iteratorINS9_10device_ptrIiEEEENSB_INSC_IjEEEENSB_INSC_IfEEEEfNS9_4plusIvEENS9_8equal_toIvEEfEE10hipError_tPvRmT2_T3_T4_T5_mT6_T7_P12ihipStream_tbENKUlT_T0_E_clISt17integral_constantIbLb0EES13_EEDaSY_SZ_EUlSY_E_NS1_11comp_targetILNS1_3genE3ELNS1_11target_archE908ELNS1_3gpuE7ELNS1_3repE0EEENS1_30default_config_static_selectorELNS0_4arch9wavefront6targetE0EEEvT1_.kd
    .uniform_work_group_size: 1
    .uses_dynamic_stack: false
    .vgpr_count:     0
    .vgpr_spill_count: 0
    .wavefront_size: 32
  - .args:
      - .offset:         0
        .size:           112
        .value_kind:     by_value
    .group_segment_fixed_size: 0
    .kernarg_segment_align: 8
    .kernarg_segment_size: 112
    .language:       OpenCL C
    .language_version:
      - 2
      - 0
    .max_flat_workgroup_size: 256
    .name:           _ZN7rocprim17ROCPRIM_400000_NS6detail17trampoline_kernelINS0_14default_configENS1_27scan_by_key_config_selectorIifEEZZNS1_16scan_by_key_implILNS1_25lookback_scan_determinismE0ELb1ES3_N6thrust23THRUST_200600_302600_NS6detail15normal_iteratorINS9_10device_ptrIiEEEENSB_INSC_IjEEEENSB_INSC_IfEEEEfNS9_4plusIvEENS9_8equal_toIvEEfEE10hipError_tPvRmT2_T3_T4_T5_mT6_T7_P12ihipStream_tbENKUlT_T0_E_clISt17integral_constantIbLb0EES13_EEDaSY_SZ_EUlSY_E_NS1_11comp_targetILNS1_3genE2ELNS1_11target_archE906ELNS1_3gpuE6ELNS1_3repE0EEENS1_30default_config_static_selectorELNS0_4arch9wavefront6targetE0EEEvT1_
    .private_segment_fixed_size: 0
    .sgpr_count:     0
    .sgpr_spill_count: 0
    .symbol:         _ZN7rocprim17ROCPRIM_400000_NS6detail17trampoline_kernelINS0_14default_configENS1_27scan_by_key_config_selectorIifEEZZNS1_16scan_by_key_implILNS1_25lookback_scan_determinismE0ELb1ES3_N6thrust23THRUST_200600_302600_NS6detail15normal_iteratorINS9_10device_ptrIiEEEENSB_INSC_IjEEEENSB_INSC_IfEEEEfNS9_4plusIvEENS9_8equal_toIvEEfEE10hipError_tPvRmT2_T3_T4_T5_mT6_T7_P12ihipStream_tbENKUlT_T0_E_clISt17integral_constantIbLb0EES13_EEDaSY_SZ_EUlSY_E_NS1_11comp_targetILNS1_3genE2ELNS1_11target_archE906ELNS1_3gpuE6ELNS1_3repE0EEENS1_30default_config_static_selectorELNS0_4arch9wavefront6targetE0EEEvT1_.kd
    .uniform_work_group_size: 1
    .uses_dynamic_stack: false
    .vgpr_count:     0
    .vgpr_spill_count: 0
    .wavefront_size: 32
  - .args:
      - .offset:         0
        .size:           112
        .value_kind:     by_value
    .group_segment_fixed_size: 0
    .kernarg_segment_align: 8
    .kernarg_segment_size: 112
    .language:       OpenCL C
    .language_version:
      - 2
      - 0
    .max_flat_workgroup_size: 256
    .name:           _ZN7rocprim17ROCPRIM_400000_NS6detail17trampoline_kernelINS0_14default_configENS1_27scan_by_key_config_selectorIifEEZZNS1_16scan_by_key_implILNS1_25lookback_scan_determinismE0ELb1ES3_N6thrust23THRUST_200600_302600_NS6detail15normal_iteratorINS9_10device_ptrIiEEEENSB_INSC_IjEEEENSB_INSC_IfEEEEfNS9_4plusIvEENS9_8equal_toIvEEfEE10hipError_tPvRmT2_T3_T4_T5_mT6_T7_P12ihipStream_tbENKUlT_T0_E_clISt17integral_constantIbLb0EES13_EEDaSY_SZ_EUlSY_E_NS1_11comp_targetILNS1_3genE10ELNS1_11target_archE1200ELNS1_3gpuE4ELNS1_3repE0EEENS1_30default_config_static_selectorELNS0_4arch9wavefront6targetE0EEEvT1_
    .private_segment_fixed_size: 0
    .sgpr_count:     0
    .sgpr_spill_count: 0
    .symbol:         _ZN7rocprim17ROCPRIM_400000_NS6detail17trampoline_kernelINS0_14default_configENS1_27scan_by_key_config_selectorIifEEZZNS1_16scan_by_key_implILNS1_25lookback_scan_determinismE0ELb1ES3_N6thrust23THRUST_200600_302600_NS6detail15normal_iteratorINS9_10device_ptrIiEEEENSB_INSC_IjEEEENSB_INSC_IfEEEEfNS9_4plusIvEENS9_8equal_toIvEEfEE10hipError_tPvRmT2_T3_T4_T5_mT6_T7_P12ihipStream_tbENKUlT_T0_E_clISt17integral_constantIbLb0EES13_EEDaSY_SZ_EUlSY_E_NS1_11comp_targetILNS1_3genE10ELNS1_11target_archE1200ELNS1_3gpuE4ELNS1_3repE0EEENS1_30default_config_static_selectorELNS0_4arch9wavefront6targetE0EEEvT1_.kd
    .uniform_work_group_size: 1
    .uses_dynamic_stack: false
    .vgpr_count:     0
    .vgpr_spill_count: 0
    .wavefront_size: 32
  - .args:
      - .offset:         0
        .size:           112
        .value_kind:     by_value
    .group_segment_fixed_size: 0
    .kernarg_segment_align: 8
    .kernarg_segment_size: 112
    .language:       OpenCL C
    .language_version:
      - 2
      - 0
    .max_flat_workgroup_size: 256
    .name:           _ZN7rocprim17ROCPRIM_400000_NS6detail17trampoline_kernelINS0_14default_configENS1_27scan_by_key_config_selectorIifEEZZNS1_16scan_by_key_implILNS1_25lookback_scan_determinismE0ELb1ES3_N6thrust23THRUST_200600_302600_NS6detail15normal_iteratorINS9_10device_ptrIiEEEENSB_INSC_IjEEEENSB_INSC_IfEEEEfNS9_4plusIvEENS9_8equal_toIvEEfEE10hipError_tPvRmT2_T3_T4_T5_mT6_T7_P12ihipStream_tbENKUlT_T0_E_clISt17integral_constantIbLb0EES13_EEDaSY_SZ_EUlSY_E_NS1_11comp_targetILNS1_3genE9ELNS1_11target_archE1100ELNS1_3gpuE3ELNS1_3repE0EEENS1_30default_config_static_selectorELNS0_4arch9wavefront6targetE0EEEvT1_
    .private_segment_fixed_size: 0
    .sgpr_count:     0
    .sgpr_spill_count: 0
    .symbol:         _ZN7rocprim17ROCPRIM_400000_NS6detail17trampoline_kernelINS0_14default_configENS1_27scan_by_key_config_selectorIifEEZZNS1_16scan_by_key_implILNS1_25lookback_scan_determinismE0ELb1ES3_N6thrust23THRUST_200600_302600_NS6detail15normal_iteratorINS9_10device_ptrIiEEEENSB_INSC_IjEEEENSB_INSC_IfEEEEfNS9_4plusIvEENS9_8equal_toIvEEfEE10hipError_tPvRmT2_T3_T4_T5_mT6_T7_P12ihipStream_tbENKUlT_T0_E_clISt17integral_constantIbLb0EES13_EEDaSY_SZ_EUlSY_E_NS1_11comp_targetILNS1_3genE9ELNS1_11target_archE1100ELNS1_3gpuE3ELNS1_3repE0EEENS1_30default_config_static_selectorELNS0_4arch9wavefront6targetE0EEEvT1_.kd
    .uniform_work_group_size: 1
    .uses_dynamic_stack: false
    .vgpr_count:     0
    .vgpr_spill_count: 0
    .wavefront_size: 32
  - .args:
      - .offset:         0
        .size:           112
        .value_kind:     by_value
    .group_segment_fixed_size: 0
    .kernarg_segment_align: 8
    .kernarg_segment_size: 112
    .language:       OpenCL C
    .language_version:
      - 2
      - 0
    .max_flat_workgroup_size: 256
    .name:           _ZN7rocprim17ROCPRIM_400000_NS6detail17trampoline_kernelINS0_14default_configENS1_27scan_by_key_config_selectorIifEEZZNS1_16scan_by_key_implILNS1_25lookback_scan_determinismE0ELb1ES3_N6thrust23THRUST_200600_302600_NS6detail15normal_iteratorINS9_10device_ptrIiEEEENSB_INSC_IjEEEENSB_INSC_IfEEEEfNS9_4plusIvEENS9_8equal_toIvEEfEE10hipError_tPvRmT2_T3_T4_T5_mT6_T7_P12ihipStream_tbENKUlT_T0_E_clISt17integral_constantIbLb0EES13_EEDaSY_SZ_EUlSY_E_NS1_11comp_targetILNS1_3genE8ELNS1_11target_archE1030ELNS1_3gpuE2ELNS1_3repE0EEENS1_30default_config_static_selectorELNS0_4arch9wavefront6targetE0EEEvT1_
    .private_segment_fixed_size: 0
    .sgpr_count:     0
    .sgpr_spill_count: 0
    .symbol:         _ZN7rocprim17ROCPRIM_400000_NS6detail17trampoline_kernelINS0_14default_configENS1_27scan_by_key_config_selectorIifEEZZNS1_16scan_by_key_implILNS1_25lookback_scan_determinismE0ELb1ES3_N6thrust23THRUST_200600_302600_NS6detail15normal_iteratorINS9_10device_ptrIiEEEENSB_INSC_IjEEEENSB_INSC_IfEEEEfNS9_4plusIvEENS9_8equal_toIvEEfEE10hipError_tPvRmT2_T3_T4_T5_mT6_T7_P12ihipStream_tbENKUlT_T0_E_clISt17integral_constantIbLb0EES13_EEDaSY_SZ_EUlSY_E_NS1_11comp_targetILNS1_3genE8ELNS1_11target_archE1030ELNS1_3gpuE2ELNS1_3repE0EEENS1_30default_config_static_selectorELNS0_4arch9wavefront6targetE0EEEvT1_.kd
    .uniform_work_group_size: 1
    .uses_dynamic_stack: false
    .vgpr_count:     0
    .vgpr_spill_count: 0
    .wavefront_size: 32
  - .args:
      - .offset:         0
        .size:           112
        .value_kind:     by_value
    .group_segment_fixed_size: 0
    .kernarg_segment_align: 8
    .kernarg_segment_size: 112
    .language:       OpenCL C
    .language_version:
      - 2
      - 0
    .max_flat_workgroup_size: 256
    .name:           _ZN7rocprim17ROCPRIM_400000_NS6detail17trampoline_kernelINS0_14default_configENS1_27scan_by_key_config_selectorIifEEZZNS1_16scan_by_key_implILNS1_25lookback_scan_determinismE0ELb1ES3_N6thrust23THRUST_200600_302600_NS6detail15normal_iteratorINS9_10device_ptrIiEEEENSB_INSC_IjEEEENSB_INSC_IfEEEEfNS9_4plusIvEENS9_8equal_toIvEEfEE10hipError_tPvRmT2_T3_T4_T5_mT6_T7_P12ihipStream_tbENKUlT_T0_E_clISt17integral_constantIbLb1EES13_EEDaSY_SZ_EUlSY_E_NS1_11comp_targetILNS1_3genE0ELNS1_11target_archE4294967295ELNS1_3gpuE0ELNS1_3repE0EEENS1_30default_config_static_selectorELNS0_4arch9wavefront6targetE0EEEvT1_
    .private_segment_fixed_size: 0
    .sgpr_count:     0
    .sgpr_spill_count: 0
    .symbol:         _ZN7rocprim17ROCPRIM_400000_NS6detail17trampoline_kernelINS0_14default_configENS1_27scan_by_key_config_selectorIifEEZZNS1_16scan_by_key_implILNS1_25lookback_scan_determinismE0ELb1ES3_N6thrust23THRUST_200600_302600_NS6detail15normal_iteratorINS9_10device_ptrIiEEEENSB_INSC_IjEEEENSB_INSC_IfEEEEfNS9_4plusIvEENS9_8equal_toIvEEfEE10hipError_tPvRmT2_T3_T4_T5_mT6_T7_P12ihipStream_tbENKUlT_T0_E_clISt17integral_constantIbLb1EES13_EEDaSY_SZ_EUlSY_E_NS1_11comp_targetILNS1_3genE0ELNS1_11target_archE4294967295ELNS1_3gpuE0ELNS1_3repE0EEENS1_30default_config_static_selectorELNS0_4arch9wavefront6targetE0EEEvT1_.kd
    .uniform_work_group_size: 1
    .uses_dynamic_stack: false
    .vgpr_count:     0
    .vgpr_spill_count: 0
    .wavefront_size: 32
  - .args:
      - .offset:         0
        .size:           112
        .value_kind:     by_value
    .group_segment_fixed_size: 0
    .kernarg_segment_align: 8
    .kernarg_segment_size: 112
    .language:       OpenCL C
    .language_version:
      - 2
      - 0
    .max_flat_workgroup_size: 256
    .name:           _ZN7rocprim17ROCPRIM_400000_NS6detail17trampoline_kernelINS0_14default_configENS1_27scan_by_key_config_selectorIifEEZZNS1_16scan_by_key_implILNS1_25lookback_scan_determinismE0ELb1ES3_N6thrust23THRUST_200600_302600_NS6detail15normal_iteratorINS9_10device_ptrIiEEEENSB_INSC_IjEEEENSB_INSC_IfEEEEfNS9_4plusIvEENS9_8equal_toIvEEfEE10hipError_tPvRmT2_T3_T4_T5_mT6_T7_P12ihipStream_tbENKUlT_T0_E_clISt17integral_constantIbLb1EES13_EEDaSY_SZ_EUlSY_E_NS1_11comp_targetILNS1_3genE10ELNS1_11target_archE1201ELNS1_3gpuE5ELNS1_3repE0EEENS1_30default_config_static_selectorELNS0_4arch9wavefront6targetE0EEEvT1_
    .private_segment_fixed_size: 0
    .sgpr_count:     0
    .sgpr_spill_count: 0
    .symbol:         _ZN7rocprim17ROCPRIM_400000_NS6detail17trampoline_kernelINS0_14default_configENS1_27scan_by_key_config_selectorIifEEZZNS1_16scan_by_key_implILNS1_25lookback_scan_determinismE0ELb1ES3_N6thrust23THRUST_200600_302600_NS6detail15normal_iteratorINS9_10device_ptrIiEEEENSB_INSC_IjEEEENSB_INSC_IfEEEEfNS9_4plusIvEENS9_8equal_toIvEEfEE10hipError_tPvRmT2_T3_T4_T5_mT6_T7_P12ihipStream_tbENKUlT_T0_E_clISt17integral_constantIbLb1EES13_EEDaSY_SZ_EUlSY_E_NS1_11comp_targetILNS1_3genE10ELNS1_11target_archE1201ELNS1_3gpuE5ELNS1_3repE0EEENS1_30default_config_static_selectorELNS0_4arch9wavefront6targetE0EEEvT1_.kd
    .uniform_work_group_size: 1
    .uses_dynamic_stack: false
    .vgpr_count:     0
    .vgpr_spill_count: 0
    .wavefront_size: 32
  - .args:
      - .offset:         0
        .size:           112
        .value_kind:     by_value
    .group_segment_fixed_size: 0
    .kernarg_segment_align: 8
    .kernarg_segment_size: 112
    .language:       OpenCL C
    .language_version:
      - 2
      - 0
    .max_flat_workgroup_size: 256
    .name:           _ZN7rocprim17ROCPRIM_400000_NS6detail17trampoline_kernelINS0_14default_configENS1_27scan_by_key_config_selectorIifEEZZNS1_16scan_by_key_implILNS1_25lookback_scan_determinismE0ELb1ES3_N6thrust23THRUST_200600_302600_NS6detail15normal_iteratorINS9_10device_ptrIiEEEENSB_INSC_IjEEEENSB_INSC_IfEEEEfNS9_4plusIvEENS9_8equal_toIvEEfEE10hipError_tPvRmT2_T3_T4_T5_mT6_T7_P12ihipStream_tbENKUlT_T0_E_clISt17integral_constantIbLb1EES13_EEDaSY_SZ_EUlSY_E_NS1_11comp_targetILNS1_3genE5ELNS1_11target_archE942ELNS1_3gpuE9ELNS1_3repE0EEENS1_30default_config_static_selectorELNS0_4arch9wavefront6targetE0EEEvT1_
    .private_segment_fixed_size: 0
    .sgpr_count:     0
    .sgpr_spill_count: 0
    .symbol:         _ZN7rocprim17ROCPRIM_400000_NS6detail17trampoline_kernelINS0_14default_configENS1_27scan_by_key_config_selectorIifEEZZNS1_16scan_by_key_implILNS1_25lookback_scan_determinismE0ELb1ES3_N6thrust23THRUST_200600_302600_NS6detail15normal_iteratorINS9_10device_ptrIiEEEENSB_INSC_IjEEEENSB_INSC_IfEEEEfNS9_4plusIvEENS9_8equal_toIvEEfEE10hipError_tPvRmT2_T3_T4_T5_mT6_T7_P12ihipStream_tbENKUlT_T0_E_clISt17integral_constantIbLb1EES13_EEDaSY_SZ_EUlSY_E_NS1_11comp_targetILNS1_3genE5ELNS1_11target_archE942ELNS1_3gpuE9ELNS1_3repE0EEENS1_30default_config_static_selectorELNS0_4arch9wavefront6targetE0EEEvT1_.kd
    .uniform_work_group_size: 1
    .uses_dynamic_stack: false
    .vgpr_count:     0
    .vgpr_spill_count: 0
    .wavefront_size: 32
  - .args:
      - .offset:         0
        .size:           112
        .value_kind:     by_value
    .group_segment_fixed_size: 0
    .kernarg_segment_align: 8
    .kernarg_segment_size: 112
    .language:       OpenCL C
    .language_version:
      - 2
      - 0
    .max_flat_workgroup_size: 256
    .name:           _ZN7rocprim17ROCPRIM_400000_NS6detail17trampoline_kernelINS0_14default_configENS1_27scan_by_key_config_selectorIifEEZZNS1_16scan_by_key_implILNS1_25lookback_scan_determinismE0ELb1ES3_N6thrust23THRUST_200600_302600_NS6detail15normal_iteratorINS9_10device_ptrIiEEEENSB_INSC_IjEEEENSB_INSC_IfEEEEfNS9_4plusIvEENS9_8equal_toIvEEfEE10hipError_tPvRmT2_T3_T4_T5_mT6_T7_P12ihipStream_tbENKUlT_T0_E_clISt17integral_constantIbLb1EES13_EEDaSY_SZ_EUlSY_E_NS1_11comp_targetILNS1_3genE4ELNS1_11target_archE910ELNS1_3gpuE8ELNS1_3repE0EEENS1_30default_config_static_selectorELNS0_4arch9wavefront6targetE0EEEvT1_
    .private_segment_fixed_size: 0
    .sgpr_count:     0
    .sgpr_spill_count: 0
    .symbol:         _ZN7rocprim17ROCPRIM_400000_NS6detail17trampoline_kernelINS0_14default_configENS1_27scan_by_key_config_selectorIifEEZZNS1_16scan_by_key_implILNS1_25lookback_scan_determinismE0ELb1ES3_N6thrust23THRUST_200600_302600_NS6detail15normal_iteratorINS9_10device_ptrIiEEEENSB_INSC_IjEEEENSB_INSC_IfEEEEfNS9_4plusIvEENS9_8equal_toIvEEfEE10hipError_tPvRmT2_T3_T4_T5_mT6_T7_P12ihipStream_tbENKUlT_T0_E_clISt17integral_constantIbLb1EES13_EEDaSY_SZ_EUlSY_E_NS1_11comp_targetILNS1_3genE4ELNS1_11target_archE910ELNS1_3gpuE8ELNS1_3repE0EEENS1_30default_config_static_selectorELNS0_4arch9wavefront6targetE0EEEvT1_.kd
    .uniform_work_group_size: 1
    .uses_dynamic_stack: false
    .vgpr_count:     0
    .vgpr_spill_count: 0
    .wavefront_size: 32
  - .args:
      - .offset:         0
        .size:           112
        .value_kind:     by_value
    .group_segment_fixed_size: 0
    .kernarg_segment_align: 8
    .kernarg_segment_size: 112
    .language:       OpenCL C
    .language_version:
      - 2
      - 0
    .max_flat_workgroup_size: 256
    .name:           _ZN7rocprim17ROCPRIM_400000_NS6detail17trampoline_kernelINS0_14default_configENS1_27scan_by_key_config_selectorIifEEZZNS1_16scan_by_key_implILNS1_25lookback_scan_determinismE0ELb1ES3_N6thrust23THRUST_200600_302600_NS6detail15normal_iteratorINS9_10device_ptrIiEEEENSB_INSC_IjEEEENSB_INSC_IfEEEEfNS9_4plusIvEENS9_8equal_toIvEEfEE10hipError_tPvRmT2_T3_T4_T5_mT6_T7_P12ihipStream_tbENKUlT_T0_E_clISt17integral_constantIbLb1EES13_EEDaSY_SZ_EUlSY_E_NS1_11comp_targetILNS1_3genE3ELNS1_11target_archE908ELNS1_3gpuE7ELNS1_3repE0EEENS1_30default_config_static_selectorELNS0_4arch9wavefront6targetE0EEEvT1_
    .private_segment_fixed_size: 0
    .sgpr_count:     0
    .sgpr_spill_count: 0
    .symbol:         _ZN7rocprim17ROCPRIM_400000_NS6detail17trampoline_kernelINS0_14default_configENS1_27scan_by_key_config_selectorIifEEZZNS1_16scan_by_key_implILNS1_25lookback_scan_determinismE0ELb1ES3_N6thrust23THRUST_200600_302600_NS6detail15normal_iteratorINS9_10device_ptrIiEEEENSB_INSC_IjEEEENSB_INSC_IfEEEEfNS9_4plusIvEENS9_8equal_toIvEEfEE10hipError_tPvRmT2_T3_T4_T5_mT6_T7_P12ihipStream_tbENKUlT_T0_E_clISt17integral_constantIbLb1EES13_EEDaSY_SZ_EUlSY_E_NS1_11comp_targetILNS1_3genE3ELNS1_11target_archE908ELNS1_3gpuE7ELNS1_3repE0EEENS1_30default_config_static_selectorELNS0_4arch9wavefront6targetE0EEEvT1_.kd
    .uniform_work_group_size: 1
    .uses_dynamic_stack: false
    .vgpr_count:     0
    .vgpr_spill_count: 0
    .wavefront_size: 32
  - .args:
      - .offset:         0
        .size:           112
        .value_kind:     by_value
    .group_segment_fixed_size: 0
    .kernarg_segment_align: 8
    .kernarg_segment_size: 112
    .language:       OpenCL C
    .language_version:
      - 2
      - 0
    .max_flat_workgroup_size: 256
    .name:           _ZN7rocprim17ROCPRIM_400000_NS6detail17trampoline_kernelINS0_14default_configENS1_27scan_by_key_config_selectorIifEEZZNS1_16scan_by_key_implILNS1_25lookback_scan_determinismE0ELb1ES3_N6thrust23THRUST_200600_302600_NS6detail15normal_iteratorINS9_10device_ptrIiEEEENSB_INSC_IjEEEENSB_INSC_IfEEEEfNS9_4plusIvEENS9_8equal_toIvEEfEE10hipError_tPvRmT2_T3_T4_T5_mT6_T7_P12ihipStream_tbENKUlT_T0_E_clISt17integral_constantIbLb1EES13_EEDaSY_SZ_EUlSY_E_NS1_11comp_targetILNS1_3genE2ELNS1_11target_archE906ELNS1_3gpuE6ELNS1_3repE0EEENS1_30default_config_static_selectorELNS0_4arch9wavefront6targetE0EEEvT1_
    .private_segment_fixed_size: 0
    .sgpr_count:     0
    .sgpr_spill_count: 0
    .symbol:         _ZN7rocprim17ROCPRIM_400000_NS6detail17trampoline_kernelINS0_14default_configENS1_27scan_by_key_config_selectorIifEEZZNS1_16scan_by_key_implILNS1_25lookback_scan_determinismE0ELb1ES3_N6thrust23THRUST_200600_302600_NS6detail15normal_iteratorINS9_10device_ptrIiEEEENSB_INSC_IjEEEENSB_INSC_IfEEEEfNS9_4plusIvEENS9_8equal_toIvEEfEE10hipError_tPvRmT2_T3_T4_T5_mT6_T7_P12ihipStream_tbENKUlT_T0_E_clISt17integral_constantIbLb1EES13_EEDaSY_SZ_EUlSY_E_NS1_11comp_targetILNS1_3genE2ELNS1_11target_archE906ELNS1_3gpuE6ELNS1_3repE0EEENS1_30default_config_static_selectorELNS0_4arch9wavefront6targetE0EEEvT1_.kd
    .uniform_work_group_size: 1
    .uses_dynamic_stack: false
    .vgpr_count:     0
    .vgpr_spill_count: 0
    .wavefront_size: 32
  - .args:
      - .offset:         0
        .size:           112
        .value_kind:     by_value
    .group_segment_fixed_size: 0
    .kernarg_segment_align: 8
    .kernarg_segment_size: 112
    .language:       OpenCL C
    .language_version:
      - 2
      - 0
    .max_flat_workgroup_size: 256
    .name:           _ZN7rocprim17ROCPRIM_400000_NS6detail17trampoline_kernelINS0_14default_configENS1_27scan_by_key_config_selectorIifEEZZNS1_16scan_by_key_implILNS1_25lookback_scan_determinismE0ELb1ES3_N6thrust23THRUST_200600_302600_NS6detail15normal_iteratorINS9_10device_ptrIiEEEENSB_INSC_IjEEEENSB_INSC_IfEEEEfNS9_4plusIvEENS9_8equal_toIvEEfEE10hipError_tPvRmT2_T3_T4_T5_mT6_T7_P12ihipStream_tbENKUlT_T0_E_clISt17integral_constantIbLb1EES13_EEDaSY_SZ_EUlSY_E_NS1_11comp_targetILNS1_3genE10ELNS1_11target_archE1200ELNS1_3gpuE4ELNS1_3repE0EEENS1_30default_config_static_selectorELNS0_4arch9wavefront6targetE0EEEvT1_
    .private_segment_fixed_size: 0
    .sgpr_count:     0
    .sgpr_spill_count: 0
    .symbol:         _ZN7rocprim17ROCPRIM_400000_NS6detail17trampoline_kernelINS0_14default_configENS1_27scan_by_key_config_selectorIifEEZZNS1_16scan_by_key_implILNS1_25lookback_scan_determinismE0ELb1ES3_N6thrust23THRUST_200600_302600_NS6detail15normal_iteratorINS9_10device_ptrIiEEEENSB_INSC_IjEEEENSB_INSC_IfEEEEfNS9_4plusIvEENS9_8equal_toIvEEfEE10hipError_tPvRmT2_T3_T4_T5_mT6_T7_P12ihipStream_tbENKUlT_T0_E_clISt17integral_constantIbLb1EES13_EEDaSY_SZ_EUlSY_E_NS1_11comp_targetILNS1_3genE10ELNS1_11target_archE1200ELNS1_3gpuE4ELNS1_3repE0EEENS1_30default_config_static_selectorELNS0_4arch9wavefront6targetE0EEEvT1_.kd
    .uniform_work_group_size: 1
    .uses_dynamic_stack: false
    .vgpr_count:     0
    .vgpr_spill_count: 0
    .wavefront_size: 32
  - .args:
      - .offset:         0
        .size:           112
        .value_kind:     by_value
    .group_segment_fixed_size: 0
    .kernarg_segment_align: 8
    .kernarg_segment_size: 112
    .language:       OpenCL C
    .language_version:
      - 2
      - 0
    .max_flat_workgroup_size: 256
    .name:           _ZN7rocprim17ROCPRIM_400000_NS6detail17trampoline_kernelINS0_14default_configENS1_27scan_by_key_config_selectorIifEEZZNS1_16scan_by_key_implILNS1_25lookback_scan_determinismE0ELb1ES3_N6thrust23THRUST_200600_302600_NS6detail15normal_iteratorINS9_10device_ptrIiEEEENSB_INSC_IjEEEENSB_INSC_IfEEEEfNS9_4plusIvEENS9_8equal_toIvEEfEE10hipError_tPvRmT2_T3_T4_T5_mT6_T7_P12ihipStream_tbENKUlT_T0_E_clISt17integral_constantIbLb1EES13_EEDaSY_SZ_EUlSY_E_NS1_11comp_targetILNS1_3genE9ELNS1_11target_archE1100ELNS1_3gpuE3ELNS1_3repE0EEENS1_30default_config_static_selectorELNS0_4arch9wavefront6targetE0EEEvT1_
    .private_segment_fixed_size: 0
    .sgpr_count:     0
    .sgpr_spill_count: 0
    .symbol:         _ZN7rocprim17ROCPRIM_400000_NS6detail17trampoline_kernelINS0_14default_configENS1_27scan_by_key_config_selectorIifEEZZNS1_16scan_by_key_implILNS1_25lookback_scan_determinismE0ELb1ES3_N6thrust23THRUST_200600_302600_NS6detail15normal_iteratorINS9_10device_ptrIiEEEENSB_INSC_IjEEEENSB_INSC_IfEEEEfNS9_4plusIvEENS9_8equal_toIvEEfEE10hipError_tPvRmT2_T3_T4_T5_mT6_T7_P12ihipStream_tbENKUlT_T0_E_clISt17integral_constantIbLb1EES13_EEDaSY_SZ_EUlSY_E_NS1_11comp_targetILNS1_3genE9ELNS1_11target_archE1100ELNS1_3gpuE3ELNS1_3repE0EEENS1_30default_config_static_selectorELNS0_4arch9wavefront6targetE0EEEvT1_.kd
    .uniform_work_group_size: 1
    .uses_dynamic_stack: false
    .vgpr_count:     0
    .vgpr_spill_count: 0
    .wavefront_size: 32
  - .args:
      - .offset:         0
        .size:           112
        .value_kind:     by_value
    .group_segment_fixed_size: 0
    .kernarg_segment_align: 8
    .kernarg_segment_size: 112
    .language:       OpenCL C
    .language_version:
      - 2
      - 0
    .max_flat_workgroup_size: 256
    .name:           _ZN7rocprim17ROCPRIM_400000_NS6detail17trampoline_kernelINS0_14default_configENS1_27scan_by_key_config_selectorIifEEZZNS1_16scan_by_key_implILNS1_25lookback_scan_determinismE0ELb1ES3_N6thrust23THRUST_200600_302600_NS6detail15normal_iteratorINS9_10device_ptrIiEEEENSB_INSC_IjEEEENSB_INSC_IfEEEEfNS9_4plusIvEENS9_8equal_toIvEEfEE10hipError_tPvRmT2_T3_T4_T5_mT6_T7_P12ihipStream_tbENKUlT_T0_E_clISt17integral_constantIbLb1EES13_EEDaSY_SZ_EUlSY_E_NS1_11comp_targetILNS1_3genE8ELNS1_11target_archE1030ELNS1_3gpuE2ELNS1_3repE0EEENS1_30default_config_static_selectorELNS0_4arch9wavefront6targetE0EEEvT1_
    .private_segment_fixed_size: 0
    .sgpr_count:     0
    .sgpr_spill_count: 0
    .symbol:         _ZN7rocprim17ROCPRIM_400000_NS6detail17trampoline_kernelINS0_14default_configENS1_27scan_by_key_config_selectorIifEEZZNS1_16scan_by_key_implILNS1_25lookback_scan_determinismE0ELb1ES3_N6thrust23THRUST_200600_302600_NS6detail15normal_iteratorINS9_10device_ptrIiEEEENSB_INSC_IjEEEENSB_INSC_IfEEEEfNS9_4plusIvEENS9_8equal_toIvEEfEE10hipError_tPvRmT2_T3_T4_T5_mT6_T7_P12ihipStream_tbENKUlT_T0_E_clISt17integral_constantIbLb1EES13_EEDaSY_SZ_EUlSY_E_NS1_11comp_targetILNS1_3genE8ELNS1_11target_archE1030ELNS1_3gpuE2ELNS1_3repE0EEENS1_30default_config_static_selectorELNS0_4arch9wavefront6targetE0EEEvT1_.kd
    .uniform_work_group_size: 1
    .uses_dynamic_stack: false
    .vgpr_count:     0
    .vgpr_spill_count: 0
    .wavefront_size: 32
  - .args:
      - .offset:         0
        .size:           112
        .value_kind:     by_value
    .group_segment_fixed_size: 0
    .kernarg_segment_align: 8
    .kernarg_segment_size: 112
    .language:       OpenCL C
    .language_version:
      - 2
      - 0
    .max_flat_workgroup_size: 256
    .name:           _ZN7rocprim17ROCPRIM_400000_NS6detail17trampoline_kernelINS0_14default_configENS1_27scan_by_key_config_selectorIifEEZZNS1_16scan_by_key_implILNS1_25lookback_scan_determinismE0ELb1ES3_N6thrust23THRUST_200600_302600_NS6detail15normal_iteratorINS9_10device_ptrIiEEEENSB_INSC_IjEEEENSB_INSC_IfEEEEfNS9_4plusIvEENS9_8equal_toIvEEfEE10hipError_tPvRmT2_T3_T4_T5_mT6_T7_P12ihipStream_tbENKUlT_T0_E_clISt17integral_constantIbLb1EES12_IbLb0EEEEDaSY_SZ_EUlSY_E_NS1_11comp_targetILNS1_3genE0ELNS1_11target_archE4294967295ELNS1_3gpuE0ELNS1_3repE0EEENS1_30default_config_static_selectorELNS0_4arch9wavefront6targetE0EEEvT1_
    .private_segment_fixed_size: 0
    .sgpr_count:     0
    .sgpr_spill_count: 0
    .symbol:         _ZN7rocprim17ROCPRIM_400000_NS6detail17trampoline_kernelINS0_14default_configENS1_27scan_by_key_config_selectorIifEEZZNS1_16scan_by_key_implILNS1_25lookback_scan_determinismE0ELb1ES3_N6thrust23THRUST_200600_302600_NS6detail15normal_iteratorINS9_10device_ptrIiEEEENSB_INSC_IjEEEENSB_INSC_IfEEEEfNS9_4plusIvEENS9_8equal_toIvEEfEE10hipError_tPvRmT2_T3_T4_T5_mT6_T7_P12ihipStream_tbENKUlT_T0_E_clISt17integral_constantIbLb1EES12_IbLb0EEEEDaSY_SZ_EUlSY_E_NS1_11comp_targetILNS1_3genE0ELNS1_11target_archE4294967295ELNS1_3gpuE0ELNS1_3repE0EEENS1_30default_config_static_selectorELNS0_4arch9wavefront6targetE0EEEvT1_.kd
    .uniform_work_group_size: 1
    .uses_dynamic_stack: false
    .vgpr_count:     0
    .vgpr_spill_count: 0
    .wavefront_size: 32
  - .args:
      - .offset:         0
        .size:           112
        .value_kind:     by_value
    .group_segment_fixed_size: 0
    .kernarg_segment_align: 8
    .kernarg_segment_size: 112
    .language:       OpenCL C
    .language_version:
      - 2
      - 0
    .max_flat_workgroup_size: 256
    .name:           _ZN7rocprim17ROCPRIM_400000_NS6detail17trampoline_kernelINS0_14default_configENS1_27scan_by_key_config_selectorIifEEZZNS1_16scan_by_key_implILNS1_25lookback_scan_determinismE0ELb1ES3_N6thrust23THRUST_200600_302600_NS6detail15normal_iteratorINS9_10device_ptrIiEEEENSB_INSC_IjEEEENSB_INSC_IfEEEEfNS9_4plusIvEENS9_8equal_toIvEEfEE10hipError_tPvRmT2_T3_T4_T5_mT6_T7_P12ihipStream_tbENKUlT_T0_E_clISt17integral_constantIbLb1EES12_IbLb0EEEEDaSY_SZ_EUlSY_E_NS1_11comp_targetILNS1_3genE10ELNS1_11target_archE1201ELNS1_3gpuE5ELNS1_3repE0EEENS1_30default_config_static_selectorELNS0_4arch9wavefront6targetE0EEEvT1_
    .private_segment_fixed_size: 0
    .sgpr_count:     0
    .sgpr_spill_count: 0
    .symbol:         _ZN7rocprim17ROCPRIM_400000_NS6detail17trampoline_kernelINS0_14default_configENS1_27scan_by_key_config_selectorIifEEZZNS1_16scan_by_key_implILNS1_25lookback_scan_determinismE0ELb1ES3_N6thrust23THRUST_200600_302600_NS6detail15normal_iteratorINS9_10device_ptrIiEEEENSB_INSC_IjEEEENSB_INSC_IfEEEEfNS9_4plusIvEENS9_8equal_toIvEEfEE10hipError_tPvRmT2_T3_T4_T5_mT6_T7_P12ihipStream_tbENKUlT_T0_E_clISt17integral_constantIbLb1EES12_IbLb0EEEEDaSY_SZ_EUlSY_E_NS1_11comp_targetILNS1_3genE10ELNS1_11target_archE1201ELNS1_3gpuE5ELNS1_3repE0EEENS1_30default_config_static_selectorELNS0_4arch9wavefront6targetE0EEEvT1_.kd
    .uniform_work_group_size: 1
    .uses_dynamic_stack: false
    .vgpr_count:     0
    .vgpr_spill_count: 0
    .wavefront_size: 32
  - .args:
      - .offset:         0
        .size:           112
        .value_kind:     by_value
    .group_segment_fixed_size: 0
    .kernarg_segment_align: 8
    .kernarg_segment_size: 112
    .language:       OpenCL C
    .language_version:
      - 2
      - 0
    .max_flat_workgroup_size: 256
    .name:           _ZN7rocprim17ROCPRIM_400000_NS6detail17trampoline_kernelINS0_14default_configENS1_27scan_by_key_config_selectorIifEEZZNS1_16scan_by_key_implILNS1_25lookback_scan_determinismE0ELb1ES3_N6thrust23THRUST_200600_302600_NS6detail15normal_iteratorINS9_10device_ptrIiEEEENSB_INSC_IjEEEENSB_INSC_IfEEEEfNS9_4plusIvEENS9_8equal_toIvEEfEE10hipError_tPvRmT2_T3_T4_T5_mT6_T7_P12ihipStream_tbENKUlT_T0_E_clISt17integral_constantIbLb1EES12_IbLb0EEEEDaSY_SZ_EUlSY_E_NS1_11comp_targetILNS1_3genE5ELNS1_11target_archE942ELNS1_3gpuE9ELNS1_3repE0EEENS1_30default_config_static_selectorELNS0_4arch9wavefront6targetE0EEEvT1_
    .private_segment_fixed_size: 0
    .sgpr_count:     0
    .sgpr_spill_count: 0
    .symbol:         _ZN7rocprim17ROCPRIM_400000_NS6detail17trampoline_kernelINS0_14default_configENS1_27scan_by_key_config_selectorIifEEZZNS1_16scan_by_key_implILNS1_25lookback_scan_determinismE0ELb1ES3_N6thrust23THRUST_200600_302600_NS6detail15normal_iteratorINS9_10device_ptrIiEEEENSB_INSC_IjEEEENSB_INSC_IfEEEEfNS9_4plusIvEENS9_8equal_toIvEEfEE10hipError_tPvRmT2_T3_T4_T5_mT6_T7_P12ihipStream_tbENKUlT_T0_E_clISt17integral_constantIbLb1EES12_IbLb0EEEEDaSY_SZ_EUlSY_E_NS1_11comp_targetILNS1_3genE5ELNS1_11target_archE942ELNS1_3gpuE9ELNS1_3repE0EEENS1_30default_config_static_selectorELNS0_4arch9wavefront6targetE0EEEvT1_.kd
    .uniform_work_group_size: 1
    .uses_dynamic_stack: false
    .vgpr_count:     0
    .vgpr_spill_count: 0
    .wavefront_size: 32
  - .args:
      - .offset:         0
        .size:           112
        .value_kind:     by_value
    .group_segment_fixed_size: 0
    .kernarg_segment_align: 8
    .kernarg_segment_size: 112
    .language:       OpenCL C
    .language_version:
      - 2
      - 0
    .max_flat_workgroup_size: 256
    .name:           _ZN7rocprim17ROCPRIM_400000_NS6detail17trampoline_kernelINS0_14default_configENS1_27scan_by_key_config_selectorIifEEZZNS1_16scan_by_key_implILNS1_25lookback_scan_determinismE0ELb1ES3_N6thrust23THRUST_200600_302600_NS6detail15normal_iteratorINS9_10device_ptrIiEEEENSB_INSC_IjEEEENSB_INSC_IfEEEEfNS9_4plusIvEENS9_8equal_toIvEEfEE10hipError_tPvRmT2_T3_T4_T5_mT6_T7_P12ihipStream_tbENKUlT_T0_E_clISt17integral_constantIbLb1EES12_IbLb0EEEEDaSY_SZ_EUlSY_E_NS1_11comp_targetILNS1_3genE4ELNS1_11target_archE910ELNS1_3gpuE8ELNS1_3repE0EEENS1_30default_config_static_selectorELNS0_4arch9wavefront6targetE0EEEvT1_
    .private_segment_fixed_size: 0
    .sgpr_count:     0
    .sgpr_spill_count: 0
    .symbol:         _ZN7rocprim17ROCPRIM_400000_NS6detail17trampoline_kernelINS0_14default_configENS1_27scan_by_key_config_selectorIifEEZZNS1_16scan_by_key_implILNS1_25lookback_scan_determinismE0ELb1ES3_N6thrust23THRUST_200600_302600_NS6detail15normal_iteratorINS9_10device_ptrIiEEEENSB_INSC_IjEEEENSB_INSC_IfEEEEfNS9_4plusIvEENS9_8equal_toIvEEfEE10hipError_tPvRmT2_T3_T4_T5_mT6_T7_P12ihipStream_tbENKUlT_T0_E_clISt17integral_constantIbLb1EES12_IbLb0EEEEDaSY_SZ_EUlSY_E_NS1_11comp_targetILNS1_3genE4ELNS1_11target_archE910ELNS1_3gpuE8ELNS1_3repE0EEENS1_30default_config_static_selectorELNS0_4arch9wavefront6targetE0EEEvT1_.kd
    .uniform_work_group_size: 1
    .uses_dynamic_stack: false
    .vgpr_count:     0
    .vgpr_spill_count: 0
    .wavefront_size: 32
  - .args:
      - .offset:         0
        .size:           112
        .value_kind:     by_value
    .group_segment_fixed_size: 0
    .kernarg_segment_align: 8
    .kernarg_segment_size: 112
    .language:       OpenCL C
    .language_version:
      - 2
      - 0
    .max_flat_workgroup_size: 256
    .name:           _ZN7rocprim17ROCPRIM_400000_NS6detail17trampoline_kernelINS0_14default_configENS1_27scan_by_key_config_selectorIifEEZZNS1_16scan_by_key_implILNS1_25lookback_scan_determinismE0ELb1ES3_N6thrust23THRUST_200600_302600_NS6detail15normal_iteratorINS9_10device_ptrIiEEEENSB_INSC_IjEEEENSB_INSC_IfEEEEfNS9_4plusIvEENS9_8equal_toIvEEfEE10hipError_tPvRmT2_T3_T4_T5_mT6_T7_P12ihipStream_tbENKUlT_T0_E_clISt17integral_constantIbLb1EES12_IbLb0EEEEDaSY_SZ_EUlSY_E_NS1_11comp_targetILNS1_3genE3ELNS1_11target_archE908ELNS1_3gpuE7ELNS1_3repE0EEENS1_30default_config_static_selectorELNS0_4arch9wavefront6targetE0EEEvT1_
    .private_segment_fixed_size: 0
    .sgpr_count:     0
    .sgpr_spill_count: 0
    .symbol:         _ZN7rocprim17ROCPRIM_400000_NS6detail17trampoline_kernelINS0_14default_configENS1_27scan_by_key_config_selectorIifEEZZNS1_16scan_by_key_implILNS1_25lookback_scan_determinismE0ELb1ES3_N6thrust23THRUST_200600_302600_NS6detail15normal_iteratorINS9_10device_ptrIiEEEENSB_INSC_IjEEEENSB_INSC_IfEEEEfNS9_4plusIvEENS9_8equal_toIvEEfEE10hipError_tPvRmT2_T3_T4_T5_mT6_T7_P12ihipStream_tbENKUlT_T0_E_clISt17integral_constantIbLb1EES12_IbLb0EEEEDaSY_SZ_EUlSY_E_NS1_11comp_targetILNS1_3genE3ELNS1_11target_archE908ELNS1_3gpuE7ELNS1_3repE0EEENS1_30default_config_static_selectorELNS0_4arch9wavefront6targetE0EEEvT1_.kd
    .uniform_work_group_size: 1
    .uses_dynamic_stack: false
    .vgpr_count:     0
    .vgpr_spill_count: 0
    .wavefront_size: 32
  - .args:
      - .offset:         0
        .size:           112
        .value_kind:     by_value
    .group_segment_fixed_size: 0
    .kernarg_segment_align: 8
    .kernarg_segment_size: 112
    .language:       OpenCL C
    .language_version:
      - 2
      - 0
    .max_flat_workgroup_size: 256
    .name:           _ZN7rocprim17ROCPRIM_400000_NS6detail17trampoline_kernelINS0_14default_configENS1_27scan_by_key_config_selectorIifEEZZNS1_16scan_by_key_implILNS1_25lookback_scan_determinismE0ELb1ES3_N6thrust23THRUST_200600_302600_NS6detail15normal_iteratorINS9_10device_ptrIiEEEENSB_INSC_IjEEEENSB_INSC_IfEEEEfNS9_4plusIvEENS9_8equal_toIvEEfEE10hipError_tPvRmT2_T3_T4_T5_mT6_T7_P12ihipStream_tbENKUlT_T0_E_clISt17integral_constantIbLb1EES12_IbLb0EEEEDaSY_SZ_EUlSY_E_NS1_11comp_targetILNS1_3genE2ELNS1_11target_archE906ELNS1_3gpuE6ELNS1_3repE0EEENS1_30default_config_static_selectorELNS0_4arch9wavefront6targetE0EEEvT1_
    .private_segment_fixed_size: 0
    .sgpr_count:     0
    .sgpr_spill_count: 0
    .symbol:         _ZN7rocprim17ROCPRIM_400000_NS6detail17trampoline_kernelINS0_14default_configENS1_27scan_by_key_config_selectorIifEEZZNS1_16scan_by_key_implILNS1_25lookback_scan_determinismE0ELb1ES3_N6thrust23THRUST_200600_302600_NS6detail15normal_iteratorINS9_10device_ptrIiEEEENSB_INSC_IjEEEENSB_INSC_IfEEEEfNS9_4plusIvEENS9_8equal_toIvEEfEE10hipError_tPvRmT2_T3_T4_T5_mT6_T7_P12ihipStream_tbENKUlT_T0_E_clISt17integral_constantIbLb1EES12_IbLb0EEEEDaSY_SZ_EUlSY_E_NS1_11comp_targetILNS1_3genE2ELNS1_11target_archE906ELNS1_3gpuE6ELNS1_3repE0EEENS1_30default_config_static_selectorELNS0_4arch9wavefront6targetE0EEEvT1_.kd
    .uniform_work_group_size: 1
    .uses_dynamic_stack: false
    .vgpr_count:     0
    .vgpr_spill_count: 0
    .wavefront_size: 32
  - .args:
      - .offset:         0
        .size:           112
        .value_kind:     by_value
    .group_segment_fixed_size: 0
    .kernarg_segment_align: 8
    .kernarg_segment_size: 112
    .language:       OpenCL C
    .language_version:
      - 2
      - 0
    .max_flat_workgroup_size: 256
    .name:           _ZN7rocprim17ROCPRIM_400000_NS6detail17trampoline_kernelINS0_14default_configENS1_27scan_by_key_config_selectorIifEEZZNS1_16scan_by_key_implILNS1_25lookback_scan_determinismE0ELb1ES3_N6thrust23THRUST_200600_302600_NS6detail15normal_iteratorINS9_10device_ptrIiEEEENSB_INSC_IjEEEENSB_INSC_IfEEEEfNS9_4plusIvEENS9_8equal_toIvEEfEE10hipError_tPvRmT2_T3_T4_T5_mT6_T7_P12ihipStream_tbENKUlT_T0_E_clISt17integral_constantIbLb1EES12_IbLb0EEEEDaSY_SZ_EUlSY_E_NS1_11comp_targetILNS1_3genE10ELNS1_11target_archE1200ELNS1_3gpuE4ELNS1_3repE0EEENS1_30default_config_static_selectorELNS0_4arch9wavefront6targetE0EEEvT1_
    .private_segment_fixed_size: 0
    .sgpr_count:     0
    .sgpr_spill_count: 0
    .symbol:         _ZN7rocprim17ROCPRIM_400000_NS6detail17trampoline_kernelINS0_14default_configENS1_27scan_by_key_config_selectorIifEEZZNS1_16scan_by_key_implILNS1_25lookback_scan_determinismE0ELb1ES3_N6thrust23THRUST_200600_302600_NS6detail15normal_iteratorINS9_10device_ptrIiEEEENSB_INSC_IjEEEENSB_INSC_IfEEEEfNS9_4plusIvEENS9_8equal_toIvEEfEE10hipError_tPvRmT2_T3_T4_T5_mT6_T7_P12ihipStream_tbENKUlT_T0_E_clISt17integral_constantIbLb1EES12_IbLb0EEEEDaSY_SZ_EUlSY_E_NS1_11comp_targetILNS1_3genE10ELNS1_11target_archE1200ELNS1_3gpuE4ELNS1_3repE0EEENS1_30default_config_static_selectorELNS0_4arch9wavefront6targetE0EEEvT1_.kd
    .uniform_work_group_size: 1
    .uses_dynamic_stack: false
    .vgpr_count:     0
    .vgpr_spill_count: 0
    .wavefront_size: 32
  - .args:
      - .offset:         0
        .size:           112
        .value_kind:     by_value
    .group_segment_fixed_size: 0
    .kernarg_segment_align: 8
    .kernarg_segment_size: 112
    .language:       OpenCL C
    .language_version:
      - 2
      - 0
    .max_flat_workgroup_size: 256
    .name:           _ZN7rocprim17ROCPRIM_400000_NS6detail17trampoline_kernelINS0_14default_configENS1_27scan_by_key_config_selectorIifEEZZNS1_16scan_by_key_implILNS1_25lookback_scan_determinismE0ELb1ES3_N6thrust23THRUST_200600_302600_NS6detail15normal_iteratorINS9_10device_ptrIiEEEENSB_INSC_IjEEEENSB_INSC_IfEEEEfNS9_4plusIvEENS9_8equal_toIvEEfEE10hipError_tPvRmT2_T3_T4_T5_mT6_T7_P12ihipStream_tbENKUlT_T0_E_clISt17integral_constantIbLb1EES12_IbLb0EEEEDaSY_SZ_EUlSY_E_NS1_11comp_targetILNS1_3genE9ELNS1_11target_archE1100ELNS1_3gpuE3ELNS1_3repE0EEENS1_30default_config_static_selectorELNS0_4arch9wavefront6targetE0EEEvT1_
    .private_segment_fixed_size: 0
    .sgpr_count:     0
    .sgpr_spill_count: 0
    .symbol:         _ZN7rocprim17ROCPRIM_400000_NS6detail17trampoline_kernelINS0_14default_configENS1_27scan_by_key_config_selectorIifEEZZNS1_16scan_by_key_implILNS1_25lookback_scan_determinismE0ELb1ES3_N6thrust23THRUST_200600_302600_NS6detail15normal_iteratorINS9_10device_ptrIiEEEENSB_INSC_IjEEEENSB_INSC_IfEEEEfNS9_4plusIvEENS9_8equal_toIvEEfEE10hipError_tPvRmT2_T3_T4_T5_mT6_T7_P12ihipStream_tbENKUlT_T0_E_clISt17integral_constantIbLb1EES12_IbLb0EEEEDaSY_SZ_EUlSY_E_NS1_11comp_targetILNS1_3genE9ELNS1_11target_archE1100ELNS1_3gpuE3ELNS1_3repE0EEENS1_30default_config_static_selectorELNS0_4arch9wavefront6targetE0EEEvT1_.kd
    .uniform_work_group_size: 1
    .uses_dynamic_stack: false
    .vgpr_count:     0
    .vgpr_spill_count: 0
    .wavefront_size: 32
  - .args:
      - .offset:         0
        .size:           112
        .value_kind:     by_value
    .group_segment_fixed_size: 0
    .kernarg_segment_align: 8
    .kernarg_segment_size: 112
    .language:       OpenCL C
    .language_version:
      - 2
      - 0
    .max_flat_workgroup_size: 256
    .name:           _ZN7rocprim17ROCPRIM_400000_NS6detail17trampoline_kernelINS0_14default_configENS1_27scan_by_key_config_selectorIifEEZZNS1_16scan_by_key_implILNS1_25lookback_scan_determinismE0ELb1ES3_N6thrust23THRUST_200600_302600_NS6detail15normal_iteratorINS9_10device_ptrIiEEEENSB_INSC_IjEEEENSB_INSC_IfEEEEfNS9_4plusIvEENS9_8equal_toIvEEfEE10hipError_tPvRmT2_T3_T4_T5_mT6_T7_P12ihipStream_tbENKUlT_T0_E_clISt17integral_constantIbLb1EES12_IbLb0EEEEDaSY_SZ_EUlSY_E_NS1_11comp_targetILNS1_3genE8ELNS1_11target_archE1030ELNS1_3gpuE2ELNS1_3repE0EEENS1_30default_config_static_selectorELNS0_4arch9wavefront6targetE0EEEvT1_
    .private_segment_fixed_size: 0
    .sgpr_count:     0
    .sgpr_spill_count: 0
    .symbol:         _ZN7rocprim17ROCPRIM_400000_NS6detail17trampoline_kernelINS0_14default_configENS1_27scan_by_key_config_selectorIifEEZZNS1_16scan_by_key_implILNS1_25lookback_scan_determinismE0ELb1ES3_N6thrust23THRUST_200600_302600_NS6detail15normal_iteratorINS9_10device_ptrIiEEEENSB_INSC_IjEEEENSB_INSC_IfEEEEfNS9_4plusIvEENS9_8equal_toIvEEfEE10hipError_tPvRmT2_T3_T4_T5_mT6_T7_P12ihipStream_tbENKUlT_T0_E_clISt17integral_constantIbLb1EES12_IbLb0EEEEDaSY_SZ_EUlSY_E_NS1_11comp_targetILNS1_3genE8ELNS1_11target_archE1030ELNS1_3gpuE2ELNS1_3repE0EEENS1_30default_config_static_selectorELNS0_4arch9wavefront6targetE0EEEvT1_.kd
    .uniform_work_group_size: 1
    .uses_dynamic_stack: false
    .vgpr_count:     0
    .vgpr_spill_count: 0
    .wavefront_size: 32
  - .args:
      - .offset:         0
        .size:           112
        .value_kind:     by_value
    .group_segment_fixed_size: 14336
    .kernarg_segment_align: 8
    .kernarg_segment_size: 112
    .language:       OpenCL C
    .language_version:
      - 2
      - 0
    .max_flat_workgroup_size: 256
    .name:           _ZN7rocprim17ROCPRIM_400000_NS6detail17trampoline_kernelINS0_14default_configENS1_27scan_by_key_config_selectorIifEEZZNS1_16scan_by_key_implILNS1_25lookback_scan_determinismE0ELb1ES3_N6thrust23THRUST_200600_302600_NS6detail15normal_iteratorINS9_10device_ptrIiEEEENSB_INSC_IjEEEENSB_INSC_IfEEEEfNS9_4plusIvEENS9_8equal_toIvEEfEE10hipError_tPvRmT2_T3_T4_T5_mT6_T7_P12ihipStream_tbENKUlT_T0_E_clISt17integral_constantIbLb0EES12_IbLb1EEEEDaSY_SZ_EUlSY_E_NS1_11comp_targetILNS1_3genE0ELNS1_11target_archE4294967295ELNS1_3gpuE0ELNS1_3repE0EEENS1_30default_config_static_selectorELNS0_4arch9wavefront6targetE0EEEvT1_
    .private_segment_fixed_size: 0
    .sgpr_count:     52
    .sgpr_spill_count: 0
    .symbol:         _ZN7rocprim17ROCPRIM_400000_NS6detail17trampoline_kernelINS0_14default_configENS1_27scan_by_key_config_selectorIifEEZZNS1_16scan_by_key_implILNS1_25lookback_scan_determinismE0ELb1ES3_N6thrust23THRUST_200600_302600_NS6detail15normal_iteratorINS9_10device_ptrIiEEEENSB_INSC_IjEEEENSB_INSC_IfEEEEfNS9_4plusIvEENS9_8equal_toIvEEfEE10hipError_tPvRmT2_T3_T4_T5_mT6_T7_P12ihipStream_tbENKUlT_T0_E_clISt17integral_constantIbLb0EES12_IbLb1EEEEDaSY_SZ_EUlSY_E_NS1_11comp_targetILNS1_3genE0ELNS1_11target_archE4294967295ELNS1_3gpuE0ELNS1_3repE0EEENS1_30default_config_static_selectorELNS0_4arch9wavefront6targetE0EEEvT1_.kd
    .uniform_work_group_size: 1
    .uses_dynamic_stack: false
    .vgpr_count:     62
    .vgpr_spill_count: 0
    .wavefront_size: 32
  - .args:
      - .offset:         0
        .size:           112
        .value_kind:     by_value
    .group_segment_fixed_size: 0
    .kernarg_segment_align: 8
    .kernarg_segment_size: 112
    .language:       OpenCL C
    .language_version:
      - 2
      - 0
    .max_flat_workgroup_size: 256
    .name:           _ZN7rocprim17ROCPRIM_400000_NS6detail17trampoline_kernelINS0_14default_configENS1_27scan_by_key_config_selectorIifEEZZNS1_16scan_by_key_implILNS1_25lookback_scan_determinismE0ELb1ES3_N6thrust23THRUST_200600_302600_NS6detail15normal_iteratorINS9_10device_ptrIiEEEENSB_INSC_IjEEEENSB_INSC_IfEEEEfNS9_4plusIvEENS9_8equal_toIvEEfEE10hipError_tPvRmT2_T3_T4_T5_mT6_T7_P12ihipStream_tbENKUlT_T0_E_clISt17integral_constantIbLb0EES12_IbLb1EEEEDaSY_SZ_EUlSY_E_NS1_11comp_targetILNS1_3genE10ELNS1_11target_archE1201ELNS1_3gpuE5ELNS1_3repE0EEENS1_30default_config_static_selectorELNS0_4arch9wavefront6targetE0EEEvT1_
    .private_segment_fixed_size: 0
    .sgpr_count:     0
    .sgpr_spill_count: 0
    .symbol:         _ZN7rocprim17ROCPRIM_400000_NS6detail17trampoline_kernelINS0_14default_configENS1_27scan_by_key_config_selectorIifEEZZNS1_16scan_by_key_implILNS1_25lookback_scan_determinismE0ELb1ES3_N6thrust23THRUST_200600_302600_NS6detail15normal_iteratorINS9_10device_ptrIiEEEENSB_INSC_IjEEEENSB_INSC_IfEEEEfNS9_4plusIvEENS9_8equal_toIvEEfEE10hipError_tPvRmT2_T3_T4_T5_mT6_T7_P12ihipStream_tbENKUlT_T0_E_clISt17integral_constantIbLb0EES12_IbLb1EEEEDaSY_SZ_EUlSY_E_NS1_11comp_targetILNS1_3genE10ELNS1_11target_archE1201ELNS1_3gpuE5ELNS1_3repE0EEENS1_30default_config_static_selectorELNS0_4arch9wavefront6targetE0EEEvT1_.kd
    .uniform_work_group_size: 1
    .uses_dynamic_stack: false
    .vgpr_count:     0
    .vgpr_spill_count: 0
    .wavefront_size: 32
  - .args:
      - .offset:         0
        .size:           112
        .value_kind:     by_value
    .group_segment_fixed_size: 0
    .kernarg_segment_align: 8
    .kernarg_segment_size: 112
    .language:       OpenCL C
    .language_version:
      - 2
      - 0
    .max_flat_workgroup_size: 256
    .name:           _ZN7rocprim17ROCPRIM_400000_NS6detail17trampoline_kernelINS0_14default_configENS1_27scan_by_key_config_selectorIifEEZZNS1_16scan_by_key_implILNS1_25lookback_scan_determinismE0ELb1ES3_N6thrust23THRUST_200600_302600_NS6detail15normal_iteratorINS9_10device_ptrIiEEEENSB_INSC_IjEEEENSB_INSC_IfEEEEfNS9_4plusIvEENS9_8equal_toIvEEfEE10hipError_tPvRmT2_T3_T4_T5_mT6_T7_P12ihipStream_tbENKUlT_T0_E_clISt17integral_constantIbLb0EES12_IbLb1EEEEDaSY_SZ_EUlSY_E_NS1_11comp_targetILNS1_3genE5ELNS1_11target_archE942ELNS1_3gpuE9ELNS1_3repE0EEENS1_30default_config_static_selectorELNS0_4arch9wavefront6targetE0EEEvT1_
    .private_segment_fixed_size: 0
    .sgpr_count:     0
    .sgpr_spill_count: 0
    .symbol:         _ZN7rocprim17ROCPRIM_400000_NS6detail17trampoline_kernelINS0_14default_configENS1_27scan_by_key_config_selectorIifEEZZNS1_16scan_by_key_implILNS1_25lookback_scan_determinismE0ELb1ES3_N6thrust23THRUST_200600_302600_NS6detail15normal_iteratorINS9_10device_ptrIiEEEENSB_INSC_IjEEEENSB_INSC_IfEEEEfNS9_4plusIvEENS9_8equal_toIvEEfEE10hipError_tPvRmT2_T3_T4_T5_mT6_T7_P12ihipStream_tbENKUlT_T0_E_clISt17integral_constantIbLb0EES12_IbLb1EEEEDaSY_SZ_EUlSY_E_NS1_11comp_targetILNS1_3genE5ELNS1_11target_archE942ELNS1_3gpuE9ELNS1_3repE0EEENS1_30default_config_static_selectorELNS0_4arch9wavefront6targetE0EEEvT1_.kd
    .uniform_work_group_size: 1
    .uses_dynamic_stack: false
    .vgpr_count:     0
    .vgpr_spill_count: 0
    .wavefront_size: 32
  - .args:
      - .offset:         0
        .size:           112
        .value_kind:     by_value
    .group_segment_fixed_size: 0
    .kernarg_segment_align: 8
    .kernarg_segment_size: 112
    .language:       OpenCL C
    .language_version:
      - 2
      - 0
    .max_flat_workgroup_size: 256
    .name:           _ZN7rocprim17ROCPRIM_400000_NS6detail17trampoline_kernelINS0_14default_configENS1_27scan_by_key_config_selectorIifEEZZNS1_16scan_by_key_implILNS1_25lookback_scan_determinismE0ELb1ES3_N6thrust23THRUST_200600_302600_NS6detail15normal_iteratorINS9_10device_ptrIiEEEENSB_INSC_IjEEEENSB_INSC_IfEEEEfNS9_4plusIvEENS9_8equal_toIvEEfEE10hipError_tPvRmT2_T3_T4_T5_mT6_T7_P12ihipStream_tbENKUlT_T0_E_clISt17integral_constantIbLb0EES12_IbLb1EEEEDaSY_SZ_EUlSY_E_NS1_11comp_targetILNS1_3genE4ELNS1_11target_archE910ELNS1_3gpuE8ELNS1_3repE0EEENS1_30default_config_static_selectorELNS0_4arch9wavefront6targetE0EEEvT1_
    .private_segment_fixed_size: 0
    .sgpr_count:     0
    .sgpr_spill_count: 0
    .symbol:         _ZN7rocprim17ROCPRIM_400000_NS6detail17trampoline_kernelINS0_14default_configENS1_27scan_by_key_config_selectorIifEEZZNS1_16scan_by_key_implILNS1_25lookback_scan_determinismE0ELb1ES3_N6thrust23THRUST_200600_302600_NS6detail15normal_iteratorINS9_10device_ptrIiEEEENSB_INSC_IjEEEENSB_INSC_IfEEEEfNS9_4plusIvEENS9_8equal_toIvEEfEE10hipError_tPvRmT2_T3_T4_T5_mT6_T7_P12ihipStream_tbENKUlT_T0_E_clISt17integral_constantIbLb0EES12_IbLb1EEEEDaSY_SZ_EUlSY_E_NS1_11comp_targetILNS1_3genE4ELNS1_11target_archE910ELNS1_3gpuE8ELNS1_3repE0EEENS1_30default_config_static_selectorELNS0_4arch9wavefront6targetE0EEEvT1_.kd
    .uniform_work_group_size: 1
    .uses_dynamic_stack: false
    .vgpr_count:     0
    .vgpr_spill_count: 0
    .wavefront_size: 32
  - .args:
      - .offset:         0
        .size:           112
        .value_kind:     by_value
    .group_segment_fixed_size: 0
    .kernarg_segment_align: 8
    .kernarg_segment_size: 112
    .language:       OpenCL C
    .language_version:
      - 2
      - 0
    .max_flat_workgroup_size: 256
    .name:           _ZN7rocprim17ROCPRIM_400000_NS6detail17trampoline_kernelINS0_14default_configENS1_27scan_by_key_config_selectorIifEEZZNS1_16scan_by_key_implILNS1_25lookback_scan_determinismE0ELb1ES3_N6thrust23THRUST_200600_302600_NS6detail15normal_iteratorINS9_10device_ptrIiEEEENSB_INSC_IjEEEENSB_INSC_IfEEEEfNS9_4plusIvEENS9_8equal_toIvEEfEE10hipError_tPvRmT2_T3_T4_T5_mT6_T7_P12ihipStream_tbENKUlT_T0_E_clISt17integral_constantIbLb0EES12_IbLb1EEEEDaSY_SZ_EUlSY_E_NS1_11comp_targetILNS1_3genE3ELNS1_11target_archE908ELNS1_3gpuE7ELNS1_3repE0EEENS1_30default_config_static_selectorELNS0_4arch9wavefront6targetE0EEEvT1_
    .private_segment_fixed_size: 0
    .sgpr_count:     0
    .sgpr_spill_count: 0
    .symbol:         _ZN7rocprim17ROCPRIM_400000_NS6detail17trampoline_kernelINS0_14default_configENS1_27scan_by_key_config_selectorIifEEZZNS1_16scan_by_key_implILNS1_25lookback_scan_determinismE0ELb1ES3_N6thrust23THRUST_200600_302600_NS6detail15normal_iteratorINS9_10device_ptrIiEEEENSB_INSC_IjEEEENSB_INSC_IfEEEEfNS9_4plusIvEENS9_8equal_toIvEEfEE10hipError_tPvRmT2_T3_T4_T5_mT6_T7_P12ihipStream_tbENKUlT_T0_E_clISt17integral_constantIbLb0EES12_IbLb1EEEEDaSY_SZ_EUlSY_E_NS1_11comp_targetILNS1_3genE3ELNS1_11target_archE908ELNS1_3gpuE7ELNS1_3repE0EEENS1_30default_config_static_selectorELNS0_4arch9wavefront6targetE0EEEvT1_.kd
    .uniform_work_group_size: 1
    .uses_dynamic_stack: false
    .vgpr_count:     0
    .vgpr_spill_count: 0
    .wavefront_size: 32
  - .args:
      - .offset:         0
        .size:           112
        .value_kind:     by_value
    .group_segment_fixed_size: 0
    .kernarg_segment_align: 8
    .kernarg_segment_size: 112
    .language:       OpenCL C
    .language_version:
      - 2
      - 0
    .max_flat_workgroup_size: 256
    .name:           _ZN7rocprim17ROCPRIM_400000_NS6detail17trampoline_kernelINS0_14default_configENS1_27scan_by_key_config_selectorIifEEZZNS1_16scan_by_key_implILNS1_25lookback_scan_determinismE0ELb1ES3_N6thrust23THRUST_200600_302600_NS6detail15normal_iteratorINS9_10device_ptrIiEEEENSB_INSC_IjEEEENSB_INSC_IfEEEEfNS9_4plusIvEENS9_8equal_toIvEEfEE10hipError_tPvRmT2_T3_T4_T5_mT6_T7_P12ihipStream_tbENKUlT_T0_E_clISt17integral_constantIbLb0EES12_IbLb1EEEEDaSY_SZ_EUlSY_E_NS1_11comp_targetILNS1_3genE2ELNS1_11target_archE906ELNS1_3gpuE6ELNS1_3repE0EEENS1_30default_config_static_selectorELNS0_4arch9wavefront6targetE0EEEvT1_
    .private_segment_fixed_size: 0
    .sgpr_count:     0
    .sgpr_spill_count: 0
    .symbol:         _ZN7rocprim17ROCPRIM_400000_NS6detail17trampoline_kernelINS0_14default_configENS1_27scan_by_key_config_selectorIifEEZZNS1_16scan_by_key_implILNS1_25lookback_scan_determinismE0ELb1ES3_N6thrust23THRUST_200600_302600_NS6detail15normal_iteratorINS9_10device_ptrIiEEEENSB_INSC_IjEEEENSB_INSC_IfEEEEfNS9_4plusIvEENS9_8equal_toIvEEfEE10hipError_tPvRmT2_T3_T4_T5_mT6_T7_P12ihipStream_tbENKUlT_T0_E_clISt17integral_constantIbLb0EES12_IbLb1EEEEDaSY_SZ_EUlSY_E_NS1_11comp_targetILNS1_3genE2ELNS1_11target_archE906ELNS1_3gpuE6ELNS1_3repE0EEENS1_30default_config_static_selectorELNS0_4arch9wavefront6targetE0EEEvT1_.kd
    .uniform_work_group_size: 1
    .uses_dynamic_stack: false
    .vgpr_count:     0
    .vgpr_spill_count: 0
    .wavefront_size: 32
  - .args:
      - .offset:         0
        .size:           112
        .value_kind:     by_value
    .group_segment_fixed_size: 0
    .kernarg_segment_align: 8
    .kernarg_segment_size: 112
    .language:       OpenCL C
    .language_version:
      - 2
      - 0
    .max_flat_workgroup_size: 256
    .name:           _ZN7rocprim17ROCPRIM_400000_NS6detail17trampoline_kernelINS0_14default_configENS1_27scan_by_key_config_selectorIifEEZZNS1_16scan_by_key_implILNS1_25lookback_scan_determinismE0ELb1ES3_N6thrust23THRUST_200600_302600_NS6detail15normal_iteratorINS9_10device_ptrIiEEEENSB_INSC_IjEEEENSB_INSC_IfEEEEfNS9_4plusIvEENS9_8equal_toIvEEfEE10hipError_tPvRmT2_T3_T4_T5_mT6_T7_P12ihipStream_tbENKUlT_T0_E_clISt17integral_constantIbLb0EES12_IbLb1EEEEDaSY_SZ_EUlSY_E_NS1_11comp_targetILNS1_3genE10ELNS1_11target_archE1200ELNS1_3gpuE4ELNS1_3repE0EEENS1_30default_config_static_selectorELNS0_4arch9wavefront6targetE0EEEvT1_
    .private_segment_fixed_size: 0
    .sgpr_count:     0
    .sgpr_spill_count: 0
    .symbol:         _ZN7rocprim17ROCPRIM_400000_NS6detail17trampoline_kernelINS0_14default_configENS1_27scan_by_key_config_selectorIifEEZZNS1_16scan_by_key_implILNS1_25lookback_scan_determinismE0ELb1ES3_N6thrust23THRUST_200600_302600_NS6detail15normal_iteratorINS9_10device_ptrIiEEEENSB_INSC_IjEEEENSB_INSC_IfEEEEfNS9_4plusIvEENS9_8equal_toIvEEfEE10hipError_tPvRmT2_T3_T4_T5_mT6_T7_P12ihipStream_tbENKUlT_T0_E_clISt17integral_constantIbLb0EES12_IbLb1EEEEDaSY_SZ_EUlSY_E_NS1_11comp_targetILNS1_3genE10ELNS1_11target_archE1200ELNS1_3gpuE4ELNS1_3repE0EEENS1_30default_config_static_selectorELNS0_4arch9wavefront6targetE0EEEvT1_.kd
    .uniform_work_group_size: 1
    .uses_dynamic_stack: false
    .vgpr_count:     0
    .vgpr_spill_count: 0
    .wavefront_size: 32
  - .args:
      - .offset:         0
        .size:           112
        .value_kind:     by_value
    .group_segment_fixed_size: 0
    .kernarg_segment_align: 8
    .kernarg_segment_size: 112
    .language:       OpenCL C
    .language_version:
      - 2
      - 0
    .max_flat_workgroup_size: 256
    .name:           _ZN7rocprim17ROCPRIM_400000_NS6detail17trampoline_kernelINS0_14default_configENS1_27scan_by_key_config_selectorIifEEZZNS1_16scan_by_key_implILNS1_25lookback_scan_determinismE0ELb1ES3_N6thrust23THRUST_200600_302600_NS6detail15normal_iteratorINS9_10device_ptrIiEEEENSB_INSC_IjEEEENSB_INSC_IfEEEEfNS9_4plusIvEENS9_8equal_toIvEEfEE10hipError_tPvRmT2_T3_T4_T5_mT6_T7_P12ihipStream_tbENKUlT_T0_E_clISt17integral_constantIbLb0EES12_IbLb1EEEEDaSY_SZ_EUlSY_E_NS1_11comp_targetILNS1_3genE9ELNS1_11target_archE1100ELNS1_3gpuE3ELNS1_3repE0EEENS1_30default_config_static_selectorELNS0_4arch9wavefront6targetE0EEEvT1_
    .private_segment_fixed_size: 0
    .sgpr_count:     0
    .sgpr_spill_count: 0
    .symbol:         _ZN7rocprim17ROCPRIM_400000_NS6detail17trampoline_kernelINS0_14default_configENS1_27scan_by_key_config_selectorIifEEZZNS1_16scan_by_key_implILNS1_25lookback_scan_determinismE0ELb1ES3_N6thrust23THRUST_200600_302600_NS6detail15normal_iteratorINS9_10device_ptrIiEEEENSB_INSC_IjEEEENSB_INSC_IfEEEEfNS9_4plusIvEENS9_8equal_toIvEEfEE10hipError_tPvRmT2_T3_T4_T5_mT6_T7_P12ihipStream_tbENKUlT_T0_E_clISt17integral_constantIbLb0EES12_IbLb1EEEEDaSY_SZ_EUlSY_E_NS1_11comp_targetILNS1_3genE9ELNS1_11target_archE1100ELNS1_3gpuE3ELNS1_3repE0EEENS1_30default_config_static_selectorELNS0_4arch9wavefront6targetE0EEEvT1_.kd
    .uniform_work_group_size: 1
    .uses_dynamic_stack: false
    .vgpr_count:     0
    .vgpr_spill_count: 0
    .wavefront_size: 32
  - .args:
      - .offset:         0
        .size:           112
        .value_kind:     by_value
    .group_segment_fixed_size: 0
    .kernarg_segment_align: 8
    .kernarg_segment_size: 112
    .language:       OpenCL C
    .language_version:
      - 2
      - 0
    .max_flat_workgroup_size: 256
    .name:           _ZN7rocprim17ROCPRIM_400000_NS6detail17trampoline_kernelINS0_14default_configENS1_27scan_by_key_config_selectorIifEEZZNS1_16scan_by_key_implILNS1_25lookback_scan_determinismE0ELb1ES3_N6thrust23THRUST_200600_302600_NS6detail15normal_iteratorINS9_10device_ptrIiEEEENSB_INSC_IjEEEENSB_INSC_IfEEEEfNS9_4plusIvEENS9_8equal_toIvEEfEE10hipError_tPvRmT2_T3_T4_T5_mT6_T7_P12ihipStream_tbENKUlT_T0_E_clISt17integral_constantIbLb0EES12_IbLb1EEEEDaSY_SZ_EUlSY_E_NS1_11comp_targetILNS1_3genE8ELNS1_11target_archE1030ELNS1_3gpuE2ELNS1_3repE0EEENS1_30default_config_static_selectorELNS0_4arch9wavefront6targetE0EEEvT1_
    .private_segment_fixed_size: 0
    .sgpr_count:     0
    .sgpr_spill_count: 0
    .symbol:         _ZN7rocprim17ROCPRIM_400000_NS6detail17trampoline_kernelINS0_14default_configENS1_27scan_by_key_config_selectorIifEEZZNS1_16scan_by_key_implILNS1_25lookback_scan_determinismE0ELb1ES3_N6thrust23THRUST_200600_302600_NS6detail15normal_iteratorINS9_10device_ptrIiEEEENSB_INSC_IjEEEENSB_INSC_IfEEEEfNS9_4plusIvEENS9_8equal_toIvEEfEE10hipError_tPvRmT2_T3_T4_T5_mT6_T7_P12ihipStream_tbENKUlT_T0_E_clISt17integral_constantIbLb0EES12_IbLb1EEEEDaSY_SZ_EUlSY_E_NS1_11comp_targetILNS1_3genE8ELNS1_11target_archE1030ELNS1_3gpuE2ELNS1_3repE0EEENS1_30default_config_static_selectorELNS0_4arch9wavefront6targetE0EEEvT1_.kd
    .uniform_work_group_size: 1
    .uses_dynamic_stack: false
    .vgpr_count:     0
    .vgpr_spill_count: 0
    .wavefront_size: 32
  - .args:
      - .offset:         0
        .size:           112
        .value_kind:     by_value
    .group_segment_fixed_size: 14336
    .kernarg_segment_align: 8
    .kernarg_segment_size: 112
    .language:       OpenCL C
    .language_version:
      - 2
      - 0
    .max_flat_workgroup_size: 256
    .name:           _ZN7rocprim17ROCPRIM_400000_NS6detail17trampoline_kernelINS0_14default_configENS1_27scan_by_key_config_selectorIiiEEZZNS1_16scan_by_key_implILNS1_25lookback_scan_determinismE0ELb1ES3_N6thrust23THRUST_200600_302600_NS6detail15normal_iteratorINS9_10device_ptrIiEEEENSB_INSC_IjEEEENSB_INSC_IfEEEEiNS9_4plusIvEENS9_8equal_toIvEEiEE10hipError_tPvRmT2_T3_T4_T5_mT6_T7_P12ihipStream_tbENKUlT_T0_E_clISt17integral_constantIbLb0EES13_EEDaSY_SZ_EUlSY_E_NS1_11comp_targetILNS1_3genE0ELNS1_11target_archE4294967295ELNS1_3gpuE0ELNS1_3repE0EEENS1_30default_config_static_selectorELNS0_4arch9wavefront6targetE0EEEvT1_
    .private_segment_fixed_size: 0
    .sgpr_count:     39
    .sgpr_spill_count: 0
    .symbol:         _ZN7rocprim17ROCPRIM_400000_NS6detail17trampoline_kernelINS0_14default_configENS1_27scan_by_key_config_selectorIiiEEZZNS1_16scan_by_key_implILNS1_25lookback_scan_determinismE0ELb1ES3_N6thrust23THRUST_200600_302600_NS6detail15normal_iteratorINS9_10device_ptrIiEEEENSB_INSC_IjEEEENSB_INSC_IfEEEEiNS9_4plusIvEENS9_8equal_toIvEEiEE10hipError_tPvRmT2_T3_T4_T5_mT6_T7_P12ihipStream_tbENKUlT_T0_E_clISt17integral_constantIbLb0EES13_EEDaSY_SZ_EUlSY_E_NS1_11comp_targetILNS1_3genE0ELNS1_11target_archE4294967295ELNS1_3gpuE0ELNS1_3repE0EEENS1_30default_config_static_selectorELNS0_4arch9wavefront6targetE0EEEvT1_.kd
    .uniform_work_group_size: 1
    .uses_dynamic_stack: false
    .vgpr_count:     62
    .vgpr_spill_count: 0
    .wavefront_size: 32
  - .args:
      - .offset:         0
        .size:           112
        .value_kind:     by_value
    .group_segment_fixed_size: 0
    .kernarg_segment_align: 8
    .kernarg_segment_size: 112
    .language:       OpenCL C
    .language_version:
      - 2
      - 0
    .max_flat_workgroup_size: 256
    .name:           _ZN7rocprim17ROCPRIM_400000_NS6detail17trampoline_kernelINS0_14default_configENS1_27scan_by_key_config_selectorIiiEEZZNS1_16scan_by_key_implILNS1_25lookback_scan_determinismE0ELb1ES3_N6thrust23THRUST_200600_302600_NS6detail15normal_iteratorINS9_10device_ptrIiEEEENSB_INSC_IjEEEENSB_INSC_IfEEEEiNS9_4plusIvEENS9_8equal_toIvEEiEE10hipError_tPvRmT2_T3_T4_T5_mT6_T7_P12ihipStream_tbENKUlT_T0_E_clISt17integral_constantIbLb0EES13_EEDaSY_SZ_EUlSY_E_NS1_11comp_targetILNS1_3genE10ELNS1_11target_archE1201ELNS1_3gpuE5ELNS1_3repE0EEENS1_30default_config_static_selectorELNS0_4arch9wavefront6targetE0EEEvT1_
    .private_segment_fixed_size: 0
    .sgpr_count:     0
    .sgpr_spill_count: 0
    .symbol:         _ZN7rocprim17ROCPRIM_400000_NS6detail17trampoline_kernelINS0_14default_configENS1_27scan_by_key_config_selectorIiiEEZZNS1_16scan_by_key_implILNS1_25lookback_scan_determinismE0ELb1ES3_N6thrust23THRUST_200600_302600_NS6detail15normal_iteratorINS9_10device_ptrIiEEEENSB_INSC_IjEEEENSB_INSC_IfEEEEiNS9_4plusIvEENS9_8equal_toIvEEiEE10hipError_tPvRmT2_T3_T4_T5_mT6_T7_P12ihipStream_tbENKUlT_T0_E_clISt17integral_constantIbLb0EES13_EEDaSY_SZ_EUlSY_E_NS1_11comp_targetILNS1_3genE10ELNS1_11target_archE1201ELNS1_3gpuE5ELNS1_3repE0EEENS1_30default_config_static_selectorELNS0_4arch9wavefront6targetE0EEEvT1_.kd
    .uniform_work_group_size: 1
    .uses_dynamic_stack: false
    .vgpr_count:     0
    .vgpr_spill_count: 0
    .wavefront_size: 32
  - .args:
      - .offset:         0
        .size:           112
        .value_kind:     by_value
    .group_segment_fixed_size: 0
    .kernarg_segment_align: 8
    .kernarg_segment_size: 112
    .language:       OpenCL C
    .language_version:
      - 2
      - 0
    .max_flat_workgroup_size: 256
    .name:           _ZN7rocprim17ROCPRIM_400000_NS6detail17trampoline_kernelINS0_14default_configENS1_27scan_by_key_config_selectorIiiEEZZNS1_16scan_by_key_implILNS1_25lookback_scan_determinismE0ELb1ES3_N6thrust23THRUST_200600_302600_NS6detail15normal_iteratorINS9_10device_ptrIiEEEENSB_INSC_IjEEEENSB_INSC_IfEEEEiNS9_4plusIvEENS9_8equal_toIvEEiEE10hipError_tPvRmT2_T3_T4_T5_mT6_T7_P12ihipStream_tbENKUlT_T0_E_clISt17integral_constantIbLb0EES13_EEDaSY_SZ_EUlSY_E_NS1_11comp_targetILNS1_3genE5ELNS1_11target_archE942ELNS1_3gpuE9ELNS1_3repE0EEENS1_30default_config_static_selectorELNS0_4arch9wavefront6targetE0EEEvT1_
    .private_segment_fixed_size: 0
    .sgpr_count:     0
    .sgpr_spill_count: 0
    .symbol:         _ZN7rocprim17ROCPRIM_400000_NS6detail17trampoline_kernelINS0_14default_configENS1_27scan_by_key_config_selectorIiiEEZZNS1_16scan_by_key_implILNS1_25lookback_scan_determinismE0ELb1ES3_N6thrust23THRUST_200600_302600_NS6detail15normal_iteratorINS9_10device_ptrIiEEEENSB_INSC_IjEEEENSB_INSC_IfEEEEiNS9_4plusIvEENS9_8equal_toIvEEiEE10hipError_tPvRmT2_T3_T4_T5_mT6_T7_P12ihipStream_tbENKUlT_T0_E_clISt17integral_constantIbLb0EES13_EEDaSY_SZ_EUlSY_E_NS1_11comp_targetILNS1_3genE5ELNS1_11target_archE942ELNS1_3gpuE9ELNS1_3repE0EEENS1_30default_config_static_selectorELNS0_4arch9wavefront6targetE0EEEvT1_.kd
    .uniform_work_group_size: 1
    .uses_dynamic_stack: false
    .vgpr_count:     0
    .vgpr_spill_count: 0
    .wavefront_size: 32
  - .args:
      - .offset:         0
        .size:           112
        .value_kind:     by_value
    .group_segment_fixed_size: 0
    .kernarg_segment_align: 8
    .kernarg_segment_size: 112
    .language:       OpenCL C
    .language_version:
      - 2
      - 0
    .max_flat_workgroup_size: 256
    .name:           _ZN7rocprim17ROCPRIM_400000_NS6detail17trampoline_kernelINS0_14default_configENS1_27scan_by_key_config_selectorIiiEEZZNS1_16scan_by_key_implILNS1_25lookback_scan_determinismE0ELb1ES3_N6thrust23THRUST_200600_302600_NS6detail15normal_iteratorINS9_10device_ptrIiEEEENSB_INSC_IjEEEENSB_INSC_IfEEEEiNS9_4plusIvEENS9_8equal_toIvEEiEE10hipError_tPvRmT2_T3_T4_T5_mT6_T7_P12ihipStream_tbENKUlT_T0_E_clISt17integral_constantIbLb0EES13_EEDaSY_SZ_EUlSY_E_NS1_11comp_targetILNS1_3genE4ELNS1_11target_archE910ELNS1_3gpuE8ELNS1_3repE0EEENS1_30default_config_static_selectorELNS0_4arch9wavefront6targetE0EEEvT1_
    .private_segment_fixed_size: 0
    .sgpr_count:     0
    .sgpr_spill_count: 0
    .symbol:         _ZN7rocprim17ROCPRIM_400000_NS6detail17trampoline_kernelINS0_14default_configENS1_27scan_by_key_config_selectorIiiEEZZNS1_16scan_by_key_implILNS1_25lookback_scan_determinismE0ELb1ES3_N6thrust23THRUST_200600_302600_NS6detail15normal_iteratorINS9_10device_ptrIiEEEENSB_INSC_IjEEEENSB_INSC_IfEEEEiNS9_4plusIvEENS9_8equal_toIvEEiEE10hipError_tPvRmT2_T3_T4_T5_mT6_T7_P12ihipStream_tbENKUlT_T0_E_clISt17integral_constantIbLb0EES13_EEDaSY_SZ_EUlSY_E_NS1_11comp_targetILNS1_3genE4ELNS1_11target_archE910ELNS1_3gpuE8ELNS1_3repE0EEENS1_30default_config_static_selectorELNS0_4arch9wavefront6targetE0EEEvT1_.kd
    .uniform_work_group_size: 1
    .uses_dynamic_stack: false
    .vgpr_count:     0
    .vgpr_spill_count: 0
    .wavefront_size: 32
  - .args:
      - .offset:         0
        .size:           112
        .value_kind:     by_value
    .group_segment_fixed_size: 0
    .kernarg_segment_align: 8
    .kernarg_segment_size: 112
    .language:       OpenCL C
    .language_version:
      - 2
      - 0
    .max_flat_workgroup_size: 256
    .name:           _ZN7rocprim17ROCPRIM_400000_NS6detail17trampoline_kernelINS0_14default_configENS1_27scan_by_key_config_selectorIiiEEZZNS1_16scan_by_key_implILNS1_25lookback_scan_determinismE0ELb1ES3_N6thrust23THRUST_200600_302600_NS6detail15normal_iteratorINS9_10device_ptrIiEEEENSB_INSC_IjEEEENSB_INSC_IfEEEEiNS9_4plusIvEENS9_8equal_toIvEEiEE10hipError_tPvRmT2_T3_T4_T5_mT6_T7_P12ihipStream_tbENKUlT_T0_E_clISt17integral_constantIbLb0EES13_EEDaSY_SZ_EUlSY_E_NS1_11comp_targetILNS1_3genE3ELNS1_11target_archE908ELNS1_3gpuE7ELNS1_3repE0EEENS1_30default_config_static_selectorELNS0_4arch9wavefront6targetE0EEEvT1_
    .private_segment_fixed_size: 0
    .sgpr_count:     0
    .sgpr_spill_count: 0
    .symbol:         _ZN7rocprim17ROCPRIM_400000_NS6detail17trampoline_kernelINS0_14default_configENS1_27scan_by_key_config_selectorIiiEEZZNS1_16scan_by_key_implILNS1_25lookback_scan_determinismE0ELb1ES3_N6thrust23THRUST_200600_302600_NS6detail15normal_iteratorINS9_10device_ptrIiEEEENSB_INSC_IjEEEENSB_INSC_IfEEEEiNS9_4plusIvEENS9_8equal_toIvEEiEE10hipError_tPvRmT2_T3_T4_T5_mT6_T7_P12ihipStream_tbENKUlT_T0_E_clISt17integral_constantIbLb0EES13_EEDaSY_SZ_EUlSY_E_NS1_11comp_targetILNS1_3genE3ELNS1_11target_archE908ELNS1_3gpuE7ELNS1_3repE0EEENS1_30default_config_static_selectorELNS0_4arch9wavefront6targetE0EEEvT1_.kd
    .uniform_work_group_size: 1
    .uses_dynamic_stack: false
    .vgpr_count:     0
    .vgpr_spill_count: 0
    .wavefront_size: 32
  - .args:
      - .offset:         0
        .size:           112
        .value_kind:     by_value
    .group_segment_fixed_size: 0
    .kernarg_segment_align: 8
    .kernarg_segment_size: 112
    .language:       OpenCL C
    .language_version:
      - 2
      - 0
    .max_flat_workgroup_size: 256
    .name:           _ZN7rocprim17ROCPRIM_400000_NS6detail17trampoline_kernelINS0_14default_configENS1_27scan_by_key_config_selectorIiiEEZZNS1_16scan_by_key_implILNS1_25lookback_scan_determinismE0ELb1ES3_N6thrust23THRUST_200600_302600_NS6detail15normal_iteratorINS9_10device_ptrIiEEEENSB_INSC_IjEEEENSB_INSC_IfEEEEiNS9_4plusIvEENS9_8equal_toIvEEiEE10hipError_tPvRmT2_T3_T4_T5_mT6_T7_P12ihipStream_tbENKUlT_T0_E_clISt17integral_constantIbLb0EES13_EEDaSY_SZ_EUlSY_E_NS1_11comp_targetILNS1_3genE2ELNS1_11target_archE906ELNS1_3gpuE6ELNS1_3repE0EEENS1_30default_config_static_selectorELNS0_4arch9wavefront6targetE0EEEvT1_
    .private_segment_fixed_size: 0
    .sgpr_count:     0
    .sgpr_spill_count: 0
    .symbol:         _ZN7rocprim17ROCPRIM_400000_NS6detail17trampoline_kernelINS0_14default_configENS1_27scan_by_key_config_selectorIiiEEZZNS1_16scan_by_key_implILNS1_25lookback_scan_determinismE0ELb1ES3_N6thrust23THRUST_200600_302600_NS6detail15normal_iteratorINS9_10device_ptrIiEEEENSB_INSC_IjEEEENSB_INSC_IfEEEEiNS9_4plusIvEENS9_8equal_toIvEEiEE10hipError_tPvRmT2_T3_T4_T5_mT6_T7_P12ihipStream_tbENKUlT_T0_E_clISt17integral_constantIbLb0EES13_EEDaSY_SZ_EUlSY_E_NS1_11comp_targetILNS1_3genE2ELNS1_11target_archE906ELNS1_3gpuE6ELNS1_3repE0EEENS1_30default_config_static_selectorELNS0_4arch9wavefront6targetE0EEEvT1_.kd
    .uniform_work_group_size: 1
    .uses_dynamic_stack: false
    .vgpr_count:     0
    .vgpr_spill_count: 0
    .wavefront_size: 32
  - .args:
      - .offset:         0
        .size:           112
        .value_kind:     by_value
    .group_segment_fixed_size: 0
    .kernarg_segment_align: 8
    .kernarg_segment_size: 112
    .language:       OpenCL C
    .language_version:
      - 2
      - 0
    .max_flat_workgroup_size: 256
    .name:           _ZN7rocprim17ROCPRIM_400000_NS6detail17trampoline_kernelINS0_14default_configENS1_27scan_by_key_config_selectorIiiEEZZNS1_16scan_by_key_implILNS1_25lookback_scan_determinismE0ELb1ES3_N6thrust23THRUST_200600_302600_NS6detail15normal_iteratorINS9_10device_ptrIiEEEENSB_INSC_IjEEEENSB_INSC_IfEEEEiNS9_4plusIvEENS9_8equal_toIvEEiEE10hipError_tPvRmT2_T3_T4_T5_mT6_T7_P12ihipStream_tbENKUlT_T0_E_clISt17integral_constantIbLb0EES13_EEDaSY_SZ_EUlSY_E_NS1_11comp_targetILNS1_3genE10ELNS1_11target_archE1200ELNS1_3gpuE4ELNS1_3repE0EEENS1_30default_config_static_selectorELNS0_4arch9wavefront6targetE0EEEvT1_
    .private_segment_fixed_size: 0
    .sgpr_count:     0
    .sgpr_spill_count: 0
    .symbol:         _ZN7rocprim17ROCPRIM_400000_NS6detail17trampoline_kernelINS0_14default_configENS1_27scan_by_key_config_selectorIiiEEZZNS1_16scan_by_key_implILNS1_25lookback_scan_determinismE0ELb1ES3_N6thrust23THRUST_200600_302600_NS6detail15normal_iteratorINS9_10device_ptrIiEEEENSB_INSC_IjEEEENSB_INSC_IfEEEEiNS9_4plusIvEENS9_8equal_toIvEEiEE10hipError_tPvRmT2_T3_T4_T5_mT6_T7_P12ihipStream_tbENKUlT_T0_E_clISt17integral_constantIbLb0EES13_EEDaSY_SZ_EUlSY_E_NS1_11comp_targetILNS1_3genE10ELNS1_11target_archE1200ELNS1_3gpuE4ELNS1_3repE0EEENS1_30default_config_static_selectorELNS0_4arch9wavefront6targetE0EEEvT1_.kd
    .uniform_work_group_size: 1
    .uses_dynamic_stack: false
    .vgpr_count:     0
    .vgpr_spill_count: 0
    .wavefront_size: 32
  - .args:
      - .offset:         0
        .size:           112
        .value_kind:     by_value
    .group_segment_fixed_size: 0
    .kernarg_segment_align: 8
    .kernarg_segment_size: 112
    .language:       OpenCL C
    .language_version:
      - 2
      - 0
    .max_flat_workgroup_size: 256
    .name:           _ZN7rocprim17ROCPRIM_400000_NS6detail17trampoline_kernelINS0_14default_configENS1_27scan_by_key_config_selectorIiiEEZZNS1_16scan_by_key_implILNS1_25lookback_scan_determinismE0ELb1ES3_N6thrust23THRUST_200600_302600_NS6detail15normal_iteratorINS9_10device_ptrIiEEEENSB_INSC_IjEEEENSB_INSC_IfEEEEiNS9_4plusIvEENS9_8equal_toIvEEiEE10hipError_tPvRmT2_T3_T4_T5_mT6_T7_P12ihipStream_tbENKUlT_T0_E_clISt17integral_constantIbLb0EES13_EEDaSY_SZ_EUlSY_E_NS1_11comp_targetILNS1_3genE9ELNS1_11target_archE1100ELNS1_3gpuE3ELNS1_3repE0EEENS1_30default_config_static_selectorELNS0_4arch9wavefront6targetE0EEEvT1_
    .private_segment_fixed_size: 0
    .sgpr_count:     0
    .sgpr_spill_count: 0
    .symbol:         _ZN7rocprim17ROCPRIM_400000_NS6detail17trampoline_kernelINS0_14default_configENS1_27scan_by_key_config_selectorIiiEEZZNS1_16scan_by_key_implILNS1_25lookback_scan_determinismE0ELb1ES3_N6thrust23THRUST_200600_302600_NS6detail15normal_iteratorINS9_10device_ptrIiEEEENSB_INSC_IjEEEENSB_INSC_IfEEEEiNS9_4plusIvEENS9_8equal_toIvEEiEE10hipError_tPvRmT2_T3_T4_T5_mT6_T7_P12ihipStream_tbENKUlT_T0_E_clISt17integral_constantIbLb0EES13_EEDaSY_SZ_EUlSY_E_NS1_11comp_targetILNS1_3genE9ELNS1_11target_archE1100ELNS1_3gpuE3ELNS1_3repE0EEENS1_30default_config_static_selectorELNS0_4arch9wavefront6targetE0EEEvT1_.kd
    .uniform_work_group_size: 1
    .uses_dynamic_stack: false
    .vgpr_count:     0
    .vgpr_spill_count: 0
    .wavefront_size: 32
  - .args:
      - .offset:         0
        .size:           112
        .value_kind:     by_value
    .group_segment_fixed_size: 0
    .kernarg_segment_align: 8
    .kernarg_segment_size: 112
    .language:       OpenCL C
    .language_version:
      - 2
      - 0
    .max_flat_workgroup_size: 256
    .name:           _ZN7rocprim17ROCPRIM_400000_NS6detail17trampoline_kernelINS0_14default_configENS1_27scan_by_key_config_selectorIiiEEZZNS1_16scan_by_key_implILNS1_25lookback_scan_determinismE0ELb1ES3_N6thrust23THRUST_200600_302600_NS6detail15normal_iteratorINS9_10device_ptrIiEEEENSB_INSC_IjEEEENSB_INSC_IfEEEEiNS9_4plusIvEENS9_8equal_toIvEEiEE10hipError_tPvRmT2_T3_T4_T5_mT6_T7_P12ihipStream_tbENKUlT_T0_E_clISt17integral_constantIbLb0EES13_EEDaSY_SZ_EUlSY_E_NS1_11comp_targetILNS1_3genE8ELNS1_11target_archE1030ELNS1_3gpuE2ELNS1_3repE0EEENS1_30default_config_static_selectorELNS0_4arch9wavefront6targetE0EEEvT1_
    .private_segment_fixed_size: 0
    .sgpr_count:     0
    .sgpr_spill_count: 0
    .symbol:         _ZN7rocprim17ROCPRIM_400000_NS6detail17trampoline_kernelINS0_14default_configENS1_27scan_by_key_config_selectorIiiEEZZNS1_16scan_by_key_implILNS1_25lookback_scan_determinismE0ELb1ES3_N6thrust23THRUST_200600_302600_NS6detail15normal_iteratorINS9_10device_ptrIiEEEENSB_INSC_IjEEEENSB_INSC_IfEEEEiNS9_4plusIvEENS9_8equal_toIvEEiEE10hipError_tPvRmT2_T3_T4_T5_mT6_T7_P12ihipStream_tbENKUlT_T0_E_clISt17integral_constantIbLb0EES13_EEDaSY_SZ_EUlSY_E_NS1_11comp_targetILNS1_3genE8ELNS1_11target_archE1030ELNS1_3gpuE2ELNS1_3repE0EEENS1_30default_config_static_selectorELNS0_4arch9wavefront6targetE0EEEvT1_.kd
    .uniform_work_group_size: 1
    .uses_dynamic_stack: false
    .vgpr_count:     0
    .vgpr_spill_count: 0
    .wavefront_size: 32
  - .args:
      - .offset:         0
        .size:           112
        .value_kind:     by_value
    .group_segment_fixed_size: 0
    .kernarg_segment_align: 8
    .kernarg_segment_size: 112
    .language:       OpenCL C
    .language_version:
      - 2
      - 0
    .max_flat_workgroup_size: 256
    .name:           _ZN7rocprim17ROCPRIM_400000_NS6detail17trampoline_kernelINS0_14default_configENS1_27scan_by_key_config_selectorIiiEEZZNS1_16scan_by_key_implILNS1_25lookback_scan_determinismE0ELb1ES3_N6thrust23THRUST_200600_302600_NS6detail15normal_iteratorINS9_10device_ptrIiEEEENSB_INSC_IjEEEENSB_INSC_IfEEEEiNS9_4plusIvEENS9_8equal_toIvEEiEE10hipError_tPvRmT2_T3_T4_T5_mT6_T7_P12ihipStream_tbENKUlT_T0_E_clISt17integral_constantIbLb1EES13_EEDaSY_SZ_EUlSY_E_NS1_11comp_targetILNS1_3genE0ELNS1_11target_archE4294967295ELNS1_3gpuE0ELNS1_3repE0EEENS1_30default_config_static_selectorELNS0_4arch9wavefront6targetE0EEEvT1_
    .private_segment_fixed_size: 0
    .sgpr_count:     0
    .sgpr_spill_count: 0
    .symbol:         _ZN7rocprim17ROCPRIM_400000_NS6detail17trampoline_kernelINS0_14default_configENS1_27scan_by_key_config_selectorIiiEEZZNS1_16scan_by_key_implILNS1_25lookback_scan_determinismE0ELb1ES3_N6thrust23THRUST_200600_302600_NS6detail15normal_iteratorINS9_10device_ptrIiEEEENSB_INSC_IjEEEENSB_INSC_IfEEEEiNS9_4plusIvEENS9_8equal_toIvEEiEE10hipError_tPvRmT2_T3_T4_T5_mT6_T7_P12ihipStream_tbENKUlT_T0_E_clISt17integral_constantIbLb1EES13_EEDaSY_SZ_EUlSY_E_NS1_11comp_targetILNS1_3genE0ELNS1_11target_archE4294967295ELNS1_3gpuE0ELNS1_3repE0EEENS1_30default_config_static_selectorELNS0_4arch9wavefront6targetE0EEEvT1_.kd
    .uniform_work_group_size: 1
    .uses_dynamic_stack: false
    .vgpr_count:     0
    .vgpr_spill_count: 0
    .wavefront_size: 32
  - .args:
      - .offset:         0
        .size:           112
        .value_kind:     by_value
    .group_segment_fixed_size: 0
    .kernarg_segment_align: 8
    .kernarg_segment_size: 112
    .language:       OpenCL C
    .language_version:
      - 2
      - 0
    .max_flat_workgroup_size: 256
    .name:           _ZN7rocprim17ROCPRIM_400000_NS6detail17trampoline_kernelINS0_14default_configENS1_27scan_by_key_config_selectorIiiEEZZNS1_16scan_by_key_implILNS1_25lookback_scan_determinismE0ELb1ES3_N6thrust23THRUST_200600_302600_NS6detail15normal_iteratorINS9_10device_ptrIiEEEENSB_INSC_IjEEEENSB_INSC_IfEEEEiNS9_4plusIvEENS9_8equal_toIvEEiEE10hipError_tPvRmT2_T3_T4_T5_mT6_T7_P12ihipStream_tbENKUlT_T0_E_clISt17integral_constantIbLb1EES13_EEDaSY_SZ_EUlSY_E_NS1_11comp_targetILNS1_3genE10ELNS1_11target_archE1201ELNS1_3gpuE5ELNS1_3repE0EEENS1_30default_config_static_selectorELNS0_4arch9wavefront6targetE0EEEvT1_
    .private_segment_fixed_size: 0
    .sgpr_count:     0
    .sgpr_spill_count: 0
    .symbol:         _ZN7rocprim17ROCPRIM_400000_NS6detail17trampoline_kernelINS0_14default_configENS1_27scan_by_key_config_selectorIiiEEZZNS1_16scan_by_key_implILNS1_25lookback_scan_determinismE0ELb1ES3_N6thrust23THRUST_200600_302600_NS6detail15normal_iteratorINS9_10device_ptrIiEEEENSB_INSC_IjEEEENSB_INSC_IfEEEEiNS9_4plusIvEENS9_8equal_toIvEEiEE10hipError_tPvRmT2_T3_T4_T5_mT6_T7_P12ihipStream_tbENKUlT_T0_E_clISt17integral_constantIbLb1EES13_EEDaSY_SZ_EUlSY_E_NS1_11comp_targetILNS1_3genE10ELNS1_11target_archE1201ELNS1_3gpuE5ELNS1_3repE0EEENS1_30default_config_static_selectorELNS0_4arch9wavefront6targetE0EEEvT1_.kd
    .uniform_work_group_size: 1
    .uses_dynamic_stack: false
    .vgpr_count:     0
    .vgpr_spill_count: 0
    .wavefront_size: 32
  - .args:
      - .offset:         0
        .size:           112
        .value_kind:     by_value
    .group_segment_fixed_size: 0
    .kernarg_segment_align: 8
    .kernarg_segment_size: 112
    .language:       OpenCL C
    .language_version:
      - 2
      - 0
    .max_flat_workgroup_size: 256
    .name:           _ZN7rocprim17ROCPRIM_400000_NS6detail17trampoline_kernelINS0_14default_configENS1_27scan_by_key_config_selectorIiiEEZZNS1_16scan_by_key_implILNS1_25lookback_scan_determinismE0ELb1ES3_N6thrust23THRUST_200600_302600_NS6detail15normal_iteratorINS9_10device_ptrIiEEEENSB_INSC_IjEEEENSB_INSC_IfEEEEiNS9_4plusIvEENS9_8equal_toIvEEiEE10hipError_tPvRmT2_T3_T4_T5_mT6_T7_P12ihipStream_tbENKUlT_T0_E_clISt17integral_constantIbLb1EES13_EEDaSY_SZ_EUlSY_E_NS1_11comp_targetILNS1_3genE5ELNS1_11target_archE942ELNS1_3gpuE9ELNS1_3repE0EEENS1_30default_config_static_selectorELNS0_4arch9wavefront6targetE0EEEvT1_
    .private_segment_fixed_size: 0
    .sgpr_count:     0
    .sgpr_spill_count: 0
    .symbol:         _ZN7rocprim17ROCPRIM_400000_NS6detail17trampoline_kernelINS0_14default_configENS1_27scan_by_key_config_selectorIiiEEZZNS1_16scan_by_key_implILNS1_25lookback_scan_determinismE0ELb1ES3_N6thrust23THRUST_200600_302600_NS6detail15normal_iteratorINS9_10device_ptrIiEEEENSB_INSC_IjEEEENSB_INSC_IfEEEEiNS9_4plusIvEENS9_8equal_toIvEEiEE10hipError_tPvRmT2_T3_T4_T5_mT6_T7_P12ihipStream_tbENKUlT_T0_E_clISt17integral_constantIbLb1EES13_EEDaSY_SZ_EUlSY_E_NS1_11comp_targetILNS1_3genE5ELNS1_11target_archE942ELNS1_3gpuE9ELNS1_3repE0EEENS1_30default_config_static_selectorELNS0_4arch9wavefront6targetE0EEEvT1_.kd
    .uniform_work_group_size: 1
    .uses_dynamic_stack: false
    .vgpr_count:     0
    .vgpr_spill_count: 0
    .wavefront_size: 32
  - .args:
      - .offset:         0
        .size:           112
        .value_kind:     by_value
    .group_segment_fixed_size: 0
    .kernarg_segment_align: 8
    .kernarg_segment_size: 112
    .language:       OpenCL C
    .language_version:
      - 2
      - 0
    .max_flat_workgroup_size: 256
    .name:           _ZN7rocprim17ROCPRIM_400000_NS6detail17trampoline_kernelINS0_14default_configENS1_27scan_by_key_config_selectorIiiEEZZNS1_16scan_by_key_implILNS1_25lookback_scan_determinismE0ELb1ES3_N6thrust23THRUST_200600_302600_NS6detail15normal_iteratorINS9_10device_ptrIiEEEENSB_INSC_IjEEEENSB_INSC_IfEEEEiNS9_4plusIvEENS9_8equal_toIvEEiEE10hipError_tPvRmT2_T3_T4_T5_mT6_T7_P12ihipStream_tbENKUlT_T0_E_clISt17integral_constantIbLb1EES13_EEDaSY_SZ_EUlSY_E_NS1_11comp_targetILNS1_3genE4ELNS1_11target_archE910ELNS1_3gpuE8ELNS1_3repE0EEENS1_30default_config_static_selectorELNS0_4arch9wavefront6targetE0EEEvT1_
    .private_segment_fixed_size: 0
    .sgpr_count:     0
    .sgpr_spill_count: 0
    .symbol:         _ZN7rocprim17ROCPRIM_400000_NS6detail17trampoline_kernelINS0_14default_configENS1_27scan_by_key_config_selectorIiiEEZZNS1_16scan_by_key_implILNS1_25lookback_scan_determinismE0ELb1ES3_N6thrust23THRUST_200600_302600_NS6detail15normal_iteratorINS9_10device_ptrIiEEEENSB_INSC_IjEEEENSB_INSC_IfEEEEiNS9_4plusIvEENS9_8equal_toIvEEiEE10hipError_tPvRmT2_T3_T4_T5_mT6_T7_P12ihipStream_tbENKUlT_T0_E_clISt17integral_constantIbLb1EES13_EEDaSY_SZ_EUlSY_E_NS1_11comp_targetILNS1_3genE4ELNS1_11target_archE910ELNS1_3gpuE8ELNS1_3repE0EEENS1_30default_config_static_selectorELNS0_4arch9wavefront6targetE0EEEvT1_.kd
    .uniform_work_group_size: 1
    .uses_dynamic_stack: false
    .vgpr_count:     0
    .vgpr_spill_count: 0
    .wavefront_size: 32
  - .args:
      - .offset:         0
        .size:           112
        .value_kind:     by_value
    .group_segment_fixed_size: 0
    .kernarg_segment_align: 8
    .kernarg_segment_size: 112
    .language:       OpenCL C
    .language_version:
      - 2
      - 0
    .max_flat_workgroup_size: 256
    .name:           _ZN7rocprim17ROCPRIM_400000_NS6detail17trampoline_kernelINS0_14default_configENS1_27scan_by_key_config_selectorIiiEEZZNS1_16scan_by_key_implILNS1_25lookback_scan_determinismE0ELb1ES3_N6thrust23THRUST_200600_302600_NS6detail15normal_iteratorINS9_10device_ptrIiEEEENSB_INSC_IjEEEENSB_INSC_IfEEEEiNS9_4plusIvEENS9_8equal_toIvEEiEE10hipError_tPvRmT2_T3_T4_T5_mT6_T7_P12ihipStream_tbENKUlT_T0_E_clISt17integral_constantIbLb1EES13_EEDaSY_SZ_EUlSY_E_NS1_11comp_targetILNS1_3genE3ELNS1_11target_archE908ELNS1_3gpuE7ELNS1_3repE0EEENS1_30default_config_static_selectorELNS0_4arch9wavefront6targetE0EEEvT1_
    .private_segment_fixed_size: 0
    .sgpr_count:     0
    .sgpr_spill_count: 0
    .symbol:         _ZN7rocprim17ROCPRIM_400000_NS6detail17trampoline_kernelINS0_14default_configENS1_27scan_by_key_config_selectorIiiEEZZNS1_16scan_by_key_implILNS1_25lookback_scan_determinismE0ELb1ES3_N6thrust23THRUST_200600_302600_NS6detail15normal_iteratorINS9_10device_ptrIiEEEENSB_INSC_IjEEEENSB_INSC_IfEEEEiNS9_4plusIvEENS9_8equal_toIvEEiEE10hipError_tPvRmT2_T3_T4_T5_mT6_T7_P12ihipStream_tbENKUlT_T0_E_clISt17integral_constantIbLb1EES13_EEDaSY_SZ_EUlSY_E_NS1_11comp_targetILNS1_3genE3ELNS1_11target_archE908ELNS1_3gpuE7ELNS1_3repE0EEENS1_30default_config_static_selectorELNS0_4arch9wavefront6targetE0EEEvT1_.kd
    .uniform_work_group_size: 1
    .uses_dynamic_stack: false
    .vgpr_count:     0
    .vgpr_spill_count: 0
    .wavefront_size: 32
  - .args:
      - .offset:         0
        .size:           112
        .value_kind:     by_value
    .group_segment_fixed_size: 0
    .kernarg_segment_align: 8
    .kernarg_segment_size: 112
    .language:       OpenCL C
    .language_version:
      - 2
      - 0
    .max_flat_workgroup_size: 256
    .name:           _ZN7rocprim17ROCPRIM_400000_NS6detail17trampoline_kernelINS0_14default_configENS1_27scan_by_key_config_selectorIiiEEZZNS1_16scan_by_key_implILNS1_25lookback_scan_determinismE0ELb1ES3_N6thrust23THRUST_200600_302600_NS6detail15normal_iteratorINS9_10device_ptrIiEEEENSB_INSC_IjEEEENSB_INSC_IfEEEEiNS9_4plusIvEENS9_8equal_toIvEEiEE10hipError_tPvRmT2_T3_T4_T5_mT6_T7_P12ihipStream_tbENKUlT_T0_E_clISt17integral_constantIbLb1EES13_EEDaSY_SZ_EUlSY_E_NS1_11comp_targetILNS1_3genE2ELNS1_11target_archE906ELNS1_3gpuE6ELNS1_3repE0EEENS1_30default_config_static_selectorELNS0_4arch9wavefront6targetE0EEEvT1_
    .private_segment_fixed_size: 0
    .sgpr_count:     0
    .sgpr_spill_count: 0
    .symbol:         _ZN7rocprim17ROCPRIM_400000_NS6detail17trampoline_kernelINS0_14default_configENS1_27scan_by_key_config_selectorIiiEEZZNS1_16scan_by_key_implILNS1_25lookback_scan_determinismE0ELb1ES3_N6thrust23THRUST_200600_302600_NS6detail15normal_iteratorINS9_10device_ptrIiEEEENSB_INSC_IjEEEENSB_INSC_IfEEEEiNS9_4plusIvEENS9_8equal_toIvEEiEE10hipError_tPvRmT2_T3_T4_T5_mT6_T7_P12ihipStream_tbENKUlT_T0_E_clISt17integral_constantIbLb1EES13_EEDaSY_SZ_EUlSY_E_NS1_11comp_targetILNS1_3genE2ELNS1_11target_archE906ELNS1_3gpuE6ELNS1_3repE0EEENS1_30default_config_static_selectorELNS0_4arch9wavefront6targetE0EEEvT1_.kd
    .uniform_work_group_size: 1
    .uses_dynamic_stack: false
    .vgpr_count:     0
    .vgpr_spill_count: 0
    .wavefront_size: 32
  - .args:
      - .offset:         0
        .size:           112
        .value_kind:     by_value
    .group_segment_fixed_size: 0
    .kernarg_segment_align: 8
    .kernarg_segment_size: 112
    .language:       OpenCL C
    .language_version:
      - 2
      - 0
    .max_flat_workgroup_size: 256
    .name:           _ZN7rocprim17ROCPRIM_400000_NS6detail17trampoline_kernelINS0_14default_configENS1_27scan_by_key_config_selectorIiiEEZZNS1_16scan_by_key_implILNS1_25lookback_scan_determinismE0ELb1ES3_N6thrust23THRUST_200600_302600_NS6detail15normal_iteratorINS9_10device_ptrIiEEEENSB_INSC_IjEEEENSB_INSC_IfEEEEiNS9_4plusIvEENS9_8equal_toIvEEiEE10hipError_tPvRmT2_T3_T4_T5_mT6_T7_P12ihipStream_tbENKUlT_T0_E_clISt17integral_constantIbLb1EES13_EEDaSY_SZ_EUlSY_E_NS1_11comp_targetILNS1_3genE10ELNS1_11target_archE1200ELNS1_3gpuE4ELNS1_3repE0EEENS1_30default_config_static_selectorELNS0_4arch9wavefront6targetE0EEEvT1_
    .private_segment_fixed_size: 0
    .sgpr_count:     0
    .sgpr_spill_count: 0
    .symbol:         _ZN7rocprim17ROCPRIM_400000_NS6detail17trampoline_kernelINS0_14default_configENS1_27scan_by_key_config_selectorIiiEEZZNS1_16scan_by_key_implILNS1_25lookback_scan_determinismE0ELb1ES3_N6thrust23THRUST_200600_302600_NS6detail15normal_iteratorINS9_10device_ptrIiEEEENSB_INSC_IjEEEENSB_INSC_IfEEEEiNS9_4plusIvEENS9_8equal_toIvEEiEE10hipError_tPvRmT2_T3_T4_T5_mT6_T7_P12ihipStream_tbENKUlT_T0_E_clISt17integral_constantIbLb1EES13_EEDaSY_SZ_EUlSY_E_NS1_11comp_targetILNS1_3genE10ELNS1_11target_archE1200ELNS1_3gpuE4ELNS1_3repE0EEENS1_30default_config_static_selectorELNS0_4arch9wavefront6targetE0EEEvT1_.kd
    .uniform_work_group_size: 1
    .uses_dynamic_stack: false
    .vgpr_count:     0
    .vgpr_spill_count: 0
    .wavefront_size: 32
  - .args:
      - .offset:         0
        .size:           112
        .value_kind:     by_value
    .group_segment_fixed_size: 0
    .kernarg_segment_align: 8
    .kernarg_segment_size: 112
    .language:       OpenCL C
    .language_version:
      - 2
      - 0
    .max_flat_workgroup_size: 256
    .name:           _ZN7rocprim17ROCPRIM_400000_NS6detail17trampoline_kernelINS0_14default_configENS1_27scan_by_key_config_selectorIiiEEZZNS1_16scan_by_key_implILNS1_25lookback_scan_determinismE0ELb1ES3_N6thrust23THRUST_200600_302600_NS6detail15normal_iteratorINS9_10device_ptrIiEEEENSB_INSC_IjEEEENSB_INSC_IfEEEEiNS9_4plusIvEENS9_8equal_toIvEEiEE10hipError_tPvRmT2_T3_T4_T5_mT6_T7_P12ihipStream_tbENKUlT_T0_E_clISt17integral_constantIbLb1EES13_EEDaSY_SZ_EUlSY_E_NS1_11comp_targetILNS1_3genE9ELNS1_11target_archE1100ELNS1_3gpuE3ELNS1_3repE0EEENS1_30default_config_static_selectorELNS0_4arch9wavefront6targetE0EEEvT1_
    .private_segment_fixed_size: 0
    .sgpr_count:     0
    .sgpr_spill_count: 0
    .symbol:         _ZN7rocprim17ROCPRIM_400000_NS6detail17trampoline_kernelINS0_14default_configENS1_27scan_by_key_config_selectorIiiEEZZNS1_16scan_by_key_implILNS1_25lookback_scan_determinismE0ELb1ES3_N6thrust23THRUST_200600_302600_NS6detail15normal_iteratorINS9_10device_ptrIiEEEENSB_INSC_IjEEEENSB_INSC_IfEEEEiNS9_4plusIvEENS9_8equal_toIvEEiEE10hipError_tPvRmT2_T3_T4_T5_mT6_T7_P12ihipStream_tbENKUlT_T0_E_clISt17integral_constantIbLb1EES13_EEDaSY_SZ_EUlSY_E_NS1_11comp_targetILNS1_3genE9ELNS1_11target_archE1100ELNS1_3gpuE3ELNS1_3repE0EEENS1_30default_config_static_selectorELNS0_4arch9wavefront6targetE0EEEvT1_.kd
    .uniform_work_group_size: 1
    .uses_dynamic_stack: false
    .vgpr_count:     0
    .vgpr_spill_count: 0
    .wavefront_size: 32
  - .args:
      - .offset:         0
        .size:           112
        .value_kind:     by_value
    .group_segment_fixed_size: 0
    .kernarg_segment_align: 8
    .kernarg_segment_size: 112
    .language:       OpenCL C
    .language_version:
      - 2
      - 0
    .max_flat_workgroup_size: 256
    .name:           _ZN7rocprim17ROCPRIM_400000_NS6detail17trampoline_kernelINS0_14default_configENS1_27scan_by_key_config_selectorIiiEEZZNS1_16scan_by_key_implILNS1_25lookback_scan_determinismE0ELb1ES3_N6thrust23THRUST_200600_302600_NS6detail15normal_iteratorINS9_10device_ptrIiEEEENSB_INSC_IjEEEENSB_INSC_IfEEEEiNS9_4plusIvEENS9_8equal_toIvEEiEE10hipError_tPvRmT2_T3_T4_T5_mT6_T7_P12ihipStream_tbENKUlT_T0_E_clISt17integral_constantIbLb1EES13_EEDaSY_SZ_EUlSY_E_NS1_11comp_targetILNS1_3genE8ELNS1_11target_archE1030ELNS1_3gpuE2ELNS1_3repE0EEENS1_30default_config_static_selectorELNS0_4arch9wavefront6targetE0EEEvT1_
    .private_segment_fixed_size: 0
    .sgpr_count:     0
    .sgpr_spill_count: 0
    .symbol:         _ZN7rocprim17ROCPRIM_400000_NS6detail17trampoline_kernelINS0_14default_configENS1_27scan_by_key_config_selectorIiiEEZZNS1_16scan_by_key_implILNS1_25lookback_scan_determinismE0ELb1ES3_N6thrust23THRUST_200600_302600_NS6detail15normal_iteratorINS9_10device_ptrIiEEEENSB_INSC_IjEEEENSB_INSC_IfEEEEiNS9_4plusIvEENS9_8equal_toIvEEiEE10hipError_tPvRmT2_T3_T4_T5_mT6_T7_P12ihipStream_tbENKUlT_T0_E_clISt17integral_constantIbLb1EES13_EEDaSY_SZ_EUlSY_E_NS1_11comp_targetILNS1_3genE8ELNS1_11target_archE1030ELNS1_3gpuE2ELNS1_3repE0EEENS1_30default_config_static_selectorELNS0_4arch9wavefront6targetE0EEEvT1_.kd
    .uniform_work_group_size: 1
    .uses_dynamic_stack: false
    .vgpr_count:     0
    .vgpr_spill_count: 0
    .wavefront_size: 32
  - .args:
      - .offset:         0
        .size:           112
        .value_kind:     by_value
    .group_segment_fixed_size: 0
    .kernarg_segment_align: 8
    .kernarg_segment_size: 112
    .language:       OpenCL C
    .language_version:
      - 2
      - 0
    .max_flat_workgroup_size: 256
    .name:           _ZN7rocprim17ROCPRIM_400000_NS6detail17trampoline_kernelINS0_14default_configENS1_27scan_by_key_config_selectorIiiEEZZNS1_16scan_by_key_implILNS1_25lookback_scan_determinismE0ELb1ES3_N6thrust23THRUST_200600_302600_NS6detail15normal_iteratorINS9_10device_ptrIiEEEENSB_INSC_IjEEEENSB_INSC_IfEEEEiNS9_4plusIvEENS9_8equal_toIvEEiEE10hipError_tPvRmT2_T3_T4_T5_mT6_T7_P12ihipStream_tbENKUlT_T0_E_clISt17integral_constantIbLb1EES12_IbLb0EEEEDaSY_SZ_EUlSY_E_NS1_11comp_targetILNS1_3genE0ELNS1_11target_archE4294967295ELNS1_3gpuE0ELNS1_3repE0EEENS1_30default_config_static_selectorELNS0_4arch9wavefront6targetE0EEEvT1_
    .private_segment_fixed_size: 0
    .sgpr_count:     0
    .sgpr_spill_count: 0
    .symbol:         _ZN7rocprim17ROCPRIM_400000_NS6detail17trampoline_kernelINS0_14default_configENS1_27scan_by_key_config_selectorIiiEEZZNS1_16scan_by_key_implILNS1_25lookback_scan_determinismE0ELb1ES3_N6thrust23THRUST_200600_302600_NS6detail15normal_iteratorINS9_10device_ptrIiEEEENSB_INSC_IjEEEENSB_INSC_IfEEEEiNS9_4plusIvEENS9_8equal_toIvEEiEE10hipError_tPvRmT2_T3_T4_T5_mT6_T7_P12ihipStream_tbENKUlT_T0_E_clISt17integral_constantIbLb1EES12_IbLb0EEEEDaSY_SZ_EUlSY_E_NS1_11comp_targetILNS1_3genE0ELNS1_11target_archE4294967295ELNS1_3gpuE0ELNS1_3repE0EEENS1_30default_config_static_selectorELNS0_4arch9wavefront6targetE0EEEvT1_.kd
    .uniform_work_group_size: 1
    .uses_dynamic_stack: false
    .vgpr_count:     0
    .vgpr_spill_count: 0
    .wavefront_size: 32
  - .args:
      - .offset:         0
        .size:           112
        .value_kind:     by_value
    .group_segment_fixed_size: 0
    .kernarg_segment_align: 8
    .kernarg_segment_size: 112
    .language:       OpenCL C
    .language_version:
      - 2
      - 0
    .max_flat_workgroup_size: 256
    .name:           _ZN7rocprim17ROCPRIM_400000_NS6detail17trampoline_kernelINS0_14default_configENS1_27scan_by_key_config_selectorIiiEEZZNS1_16scan_by_key_implILNS1_25lookback_scan_determinismE0ELb1ES3_N6thrust23THRUST_200600_302600_NS6detail15normal_iteratorINS9_10device_ptrIiEEEENSB_INSC_IjEEEENSB_INSC_IfEEEEiNS9_4plusIvEENS9_8equal_toIvEEiEE10hipError_tPvRmT2_T3_T4_T5_mT6_T7_P12ihipStream_tbENKUlT_T0_E_clISt17integral_constantIbLb1EES12_IbLb0EEEEDaSY_SZ_EUlSY_E_NS1_11comp_targetILNS1_3genE10ELNS1_11target_archE1201ELNS1_3gpuE5ELNS1_3repE0EEENS1_30default_config_static_selectorELNS0_4arch9wavefront6targetE0EEEvT1_
    .private_segment_fixed_size: 0
    .sgpr_count:     0
    .sgpr_spill_count: 0
    .symbol:         _ZN7rocprim17ROCPRIM_400000_NS6detail17trampoline_kernelINS0_14default_configENS1_27scan_by_key_config_selectorIiiEEZZNS1_16scan_by_key_implILNS1_25lookback_scan_determinismE0ELb1ES3_N6thrust23THRUST_200600_302600_NS6detail15normal_iteratorINS9_10device_ptrIiEEEENSB_INSC_IjEEEENSB_INSC_IfEEEEiNS9_4plusIvEENS9_8equal_toIvEEiEE10hipError_tPvRmT2_T3_T4_T5_mT6_T7_P12ihipStream_tbENKUlT_T0_E_clISt17integral_constantIbLb1EES12_IbLb0EEEEDaSY_SZ_EUlSY_E_NS1_11comp_targetILNS1_3genE10ELNS1_11target_archE1201ELNS1_3gpuE5ELNS1_3repE0EEENS1_30default_config_static_selectorELNS0_4arch9wavefront6targetE0EEEvT1_.kd
    .uniform_work_group_size: 1
    .uses_dynamic_stack: false
    .vgpr_count:     0
    .vgpr_spill_count: 0
    .wavefront_size: 32
  - .args:
      - .offset:         0
        .size:           112
        .value_kind:     by_value
    .group_segment_fixed_size: 0
    .kernarg_segment_align: 8
    .kernarg_segment_size: 112
    .language:       OpenCL C
    .language_version:
      - 2
      - 0
    .max_flat_workgroup_size: 256
    .name:           _ZN7rocprim17ROCPRIM_400000_NS6detail17trampoline_kernelINS0_14default_configENS1_27scan_by_key_config_selectorIiiEEZZNS1_16scan_by_key_implILNS1_25lookback_scan_determinismE0ELb1ES3_N6thrust23THRUST_200600_302600_NS6detail15normal_iteratorINS9_10device_ptrIiEEEENSB_INSC_IjEEEENSB_INSC_IfEEEEiNS9_4plusIvEENS9_8equal_toIvEEiEE10hipError_tPvRmT2_T3_T4_T5_mT6_T7_P12ihipStream_tbENKUlT_T0_E_clISt17integral_constantIbLb1EES12_IbLb0EEEEDaSY_SZ_EUlSY_E_NS1_11comp_targetILNS1_3genE5ELNS1_11target_archE942ELNS1_3gpuE9ELNS1_3repE0EEENS1_30default_config_static_selectorELNS0_4arch9wavefront6targetE0EEEvT1_
    .private_segment_fixed_size: 0
    .sgpr_count:     0
    .sgpr_spill_count: 0
    .symbol:         _ZN7rocprim17ROCPRIM_400000_NS6detail17trampoline_kernelINS0_14default_configENS1_27scan_by_key_config_selectorIiiEEZZNS1_16scan_by_key_implILNS1_25lookback_scan_determinismE0ELb1ES3_N6thrust23THRUST_200600_302600_NS6detail15normal_iteratorINS9_10device_ptrIiEEEENSB_INSC_IjEEEENSB_INSC_IfEEEEiNS9_4plusIvEENS9_8equal_toIvEEiEE10hipError_tPvRmT2_T3_T4_T5_mT6_T7_P12ihipStream_tbENKUlT_T0_E_clISt17integral_constantIbLb1EES12_IbLb0EEEEDaSY_SZ_EUlSY_E_NS1_11comp_targetILNS1_3genE5ELNS1_11target_archE942ELNS1_3gpuE9ELNS1_3repE0EEENS1_30default_config_static_selectorELNS0_4arch9wavefront6targetE0EEEvT1_.kd
    .uniform_work_group_size: 1
    .uses_dynamic_stack: false
    .vgpr_count:     0
    .vgpr_spill_count: 0
    .wavefront_size: 32
  - .args:
      - .offset:         0
        .size:           112
        .value_kind:     by_value
    .group_segment_fixed_size: 0
    .kernarg_segment_align: 8
    .kernarg_segment_size: 112
    .language:       OpenCL C
    .language_version:
      - 2
      - 0
    .max_flat_workgroup_size: 256
    .name:           _ZN7rocprim17ROCPRIM_400000_NS6detail17trampoline_kernelINS0_14default_configENS1_27scan_by_key_config_selectorIiiEEZZNS1_16scan_by_key_implILNS1_25lookback_scan_determinismE0ELb1ES3_N6thrust23THRUST_200600_302600_NS6detail15normal_iteratorINS9_10device_ptrIiEEEENSB_INSC_IjEEEENSB_INSC_IfEEEEiNS9_4plusIvEENS9_8equal_toIvEEiEE10hipError_tPvRmT2_T3_T4_T5_mT6_T7_P12ihipStream_tbENKUlT_T0_E_clISt17integral_constantIbLb1EES12_IbLb0EEEEDaSY_SZ_EUlSY_E_NS1_11comp_targetILNS1_3genE4ELNS1_11target_archE910ELNS1_3gpuE8ELNS1_3repE0EEENS1_30default_config_static_selectorELNS0_4arch9wavefront6targetE0EEEvT1_
    .private_segment_fixed_size: 0
    .sgpr_count:     0
    .sgpr_spill_count: 0
    .symbol:         _ZN7rocprim17ROCPRIM_400000_NS6detail17trampoline_kernelINS0_14default_configENS1_27scan_by_key_config_selectorIiiEEZZNS1_16scan_by_key_implILNS1_25lookback_scan_determinismE0ELb1ES3_N6thrust23THRUST_200600_302600_NS6detail15normal_iteratorINS9_10device_ptrIiEEEENSB_INSC_IjEEEENSB_INSC_IfEEEEiNS9_4plusIvEENS9_8equal_toIvEEiEE10hipError_tPvRmT2_T3_T4_T5_mT6_T7_P12ihipStream_tbENKUlT_T0_E_clISt17integral_constantIbLb1EES12_IbLb0EEEEDaSY_SZ_EUlSY_E_NS1_11comp_targetILNS1_3genE4ELNS1_11target_archE910ELNS1_3gpuE8ELNS1_3repE0EEENS1_30default_config_static_selectorELNS0_4arch9wavefront6targetE0EEEvT1_.kd
    .uniform_work_group_size: 1
    .uses_dynamic_stack: false
    .vgpr_count:     0
    .vgpr_spill_count: 0
    .wavefront_size: 32
  - .args:
      - .offset:         0
        .size:           112
        .value_kind:     by_value
    .group_segment_fixed_size: 0
    .kernarg_segment_align: 8
    .kernarg_segment_size: 112
    .language:       OpenCL C
    .language_version:
      - 2
      - 0
    .max_flat_workgroup_size: 256
    .name:           _ZN7rocprim17ROCPRIM_400000_NS6detail17trampoline_kernelINS0_14default_configENS1_27scan_by_key_config_selectorIiiEEZZNS1_16scan_by_key_implILNS1_25lookback_scan_determinismE0ELb1ES3_N6thrust23THRUST_200600_302600_NS6detail15normal_iteratorINS9_10device_ptrIiEEEENSB_INSC_IjEEEENSB_INSC_IfEEEEiNS9_4plusIvEENS9_8equal_toIvEEiEE10hipError_tPvRmT2_T3_T4_T5_mT6_T7_P12ihipStream_tbENKUlT_T0_E_clISt17integral_constantIbLb1EES12_IbLb0EEEEDaSY_SZ_EUlSY_E_NS1_11comp_targetILNS1_3genE3ELNS1_11target_archE908ELNS1_3gpuE7ELNS1_3repE0EEENS1_30default_config_static_selectorELNS0_4arch9wavefront6targetE0EEEvT1_
    .private_segment_fixed_size: 0
    .sgpr_count:     0
    .sgpr_spill_count: 0
    .symbol:         _ZN7rocprim17ROCPRIM_400000_NS6detail17trampoline_kernelINS0_14default_configENS1_27scan_by_key_config_selectorIiiEEZZNS1_16scan_by_key_implILNS1_25lookback_scan_determinismE0ELb1ES3_N6thrust23THRUST_200600_302600_NS6detail15normal_iteratorINS9_10device_ptrIiEEEENSB_INSC_IjEEEENSB_INSC_IfEEEEiNS9_4plusIvEENS9_8equal_toIvEEiEE10hipError_tPvRmT2_T3_T4_T5_mT6_T7_P12ihipStream_tbENKUlT_T0_E_clISt17integral_constantIbLb1EES12_IbLb0EEEEDaSY_SZ_EUlSY_E_NS1_11comp_targetILNS1_3genE3ELNS1_11target_archE908ELNS1_3gpuE7ELNS1_3repE0EEENS1_30default_config_static_selectorELNS0_4arch9wavefront6targetE0EEEvT1_.kd
    .uniform_work_group_size: 1
    .uses_dynamic_stack: false
    .vgpr_count:     0
    .vgpr_spill_count: 0
    .wavefront_size: 32
  - .args:
      - .offset:         0
        .size:           112
        .value_kind:     by_value
    .group_segment_fixed_size: 0
    .kernarg_segment_align: 8
    .kernarg_segment_size: 112
    .language:       OpenCL C
    .language_version:
      - 2
      - 0
    .max_flat_workgroup_size: 256
    .name:           _ZN7rocprim17ROCPRIM_400000_NS6detail17trampoline_kernelINS0_14default_configENS1_27scan_by_key_config_selectorIiiEEZZNS1_16scan_by_key_implILNS1_25lookback_scan_determinismE0ELb1ES3_N6thrust23THRUST_200600_302600_NS6detail15normal_iteratorINS9_10device_ptrIiEEEENSB_INSC_IjEEEENSB_INSC_IfEEEEiNS9_4plusIvEENS9_8equal_toIvEEiEE10hipError_tPvRmT2_T3_T4_T5_mT6_T7_P12ihipStream_tbENKUlT_T0_E_clISt17integral_constantIbLb1EES12_IbLb0EEEEDaSY_SZ_EUlSY_E_NS1_11comp_targetILNS1_3genE2ELNS1_11target_archE906ELNS1_3gpuE6ELNS1_3repE0EEENS1_30default_config_static_selectorELNS0_4arch9wavefront6targetE0EEEvT1_
    .private_segment_fixed_size: 0
    .sgpr_count:     0
    .sgpr_spill_count: 0
    .symbol:         _ZN7rocprim17ROCPRIM_400000_NS6detail17trampoline_kernelINS0_14default_configENS1_27scan_by_key_config_selectorIiiEEZZNS1_16scan_by_key_implILNS1_25lookback_scan_determinismE0ELb1ES3_N6thrust23THRUST_200600_302600_NS6detail15normal_iteratorINS9_10device_ptrIiEEEENSB_INSC_IjEEEENSB_INSC_IfEEEEiNS9_4plusIvEENS9_8equal_toIvEEiEE10hipError_tPvRmT2_T3_T4_T5_mT6_T7_P12ihipStream_tbENKUlT_T0_E_clISt17integral_constantIbLb1EES12_IbLb0EEEEDaSY_SZ_EUlSY_E_NS1_11comp_targetILNS1_3genE2ELNS1_11target_archE906ELNS1_3gpuE6ELNS1_3repE0EEENS1_30default_config_static_selectorELNS0_4arch9wavefront6targetE0EEEvT1_.kd
    .uniform_work_group_size: 1
    .uses_dynamic_stack: false
    .vgpr_count:     0
    .vgpr_spill_count: 0
    .wavefront_size: 32
  - .args:
      - .offset:         0
        .size:           112
        .value_kind:     by_value
    .group_segment_fixed_size: 0
    .kernarg_segment_align: 8
    .kernarg_segment_size: 112
    .language:       OpenCL C
    .language_version:
      - 2
      - 0
    .max_flat_workgroup_size: 256
    .name:           _ZN7rocprim17ROCPRIM_400000_NS6detail17trampoline_kernelINS0_14default_configENS1_27scan_by_key_config_selectorIiiEEZZNS1_16scan_by_key_implILNS1_25lookback_scan_determinismE0ELb1ES3_N6thrust23THRUST_200600_302600_NS6detail15normal_iteratorINS9_10device_ptrIiEEEENSB_INSC_IjEEEENSB_INSC_IfEEEEiNS9_4plusIvEENS9_8equal_toIvEEiEE10hipError_tPvRmT2_T3_T4_T5_mT6_T7_P12ihipStream_tbENKUlT_T0_E_clISt17integral_constantIbLb1EES12_IbLb0EEEEDaSY_SZ_EUlSY_E_NS1_11comp_targetILNS1_3genE10ELNS1_11target_archE1200ELNS1_3gpuE4ELNS1_3repE0EEENS1_30default_config_static_selectorELNS0_4arch9wavefront6targetE0EEEvT1_
    .private_segment_fixed_size: 0
    .sgpr_count:     0
    .sgpr_spill_count: 0
    .symbol:         _ZN7rocprim17ROCPRIM_400000_NS6detail17trampoline_kernelINS0_14default_configENS1_27scan_by_key_config_selectorIiiEEZZNS1_16scan_by_key_implILNS1_25lookback_scan_determinismE0ELb1ES3_N6thrust23THRUST_200600_302600_NS6detail15normal_iteratorINS9_10device_ptrIiEEEENSB_INSC_IjEEEENSB_INSC_IfEEEEiNS9_4plusIvEENS9_8equal_toIvEEiEE10hipError_tPvRmT2_T3_T4_T5_mT6_T7_P12ihipStream_tbENKUlT_T0_E_clISt17integral_constantIbLb1EES12_IbLb0EEEEDaSY_SZ_EUlSY_E_NS1_11comp_targetILNS1_3genE10ELNS1_11target_archE1200ELNS1_3gpuE4ELNS1_3repE0EEENS1_30default_config_static_selectorELNS0_4arch9wavefront6targetE0EEEvT1_.kd
    .uniform_work_group_size: 1
    .uses_dynamic_stack: false
    .vgpr_count:     0
    .vgpr_spill_count: 0
    .wavefront_size: 32
  - .args:
      - .offset:         0
        .size:           112
        .value_kind:     by_value
    .group_segment_fixed_size: 0
    .kernarg_segment_align: 8
    .kernarg_segment_size: 112
    .language:       OpenCL C
    .language_version:
      - 2
      - 0
    .max_flat_workgroup_size: 256
    .name:           _ZN7rocprim17ROCPRIM_400000_NS6detail17trampoline_kernelINS0_14default_configENS1_27scan_by_key_config_selectorIiiEEZZNS1_16scan_by_key_implILNS1_25lookback_scan_determinismE0ELb1ES3_N6thrust23THRUST_200600_302600_NS6detail15normal_iteratorINS9_10device_ptrIiEEEENSB_INSC_IjEEEENSB_INSC_IfEEEEiNS9_4plusIvEENS9_8equal_toIvEEiEE10hipError_tPvRmT2_T3_T4_T5_mT6_T7_P12ihipStream_tbENKUlT_T0_E_clISt17integral_constantIbLb1EES12_IbLb0EEEEDaSY_SZ_EUlSY_E_NS1_11comp_targetILNS1_3genE9ELNS1_11target_archE1100ELNS1_3gpuE3ELNS1_3repE0EEENS1_30default_config_static_selectorELNS0_4arch9wavefront6targetE0EEEvT1_
    .private_segment_fixed_size: 0
    .sgpr_count:     0
    .sgpr_spill_count: 0
    .symbol:         _ZN7rocprim17ROCPRIM_400000_NS6detail17trampoline_kernelINS0_14default_configENS1_27scan_by_key_config_selectorIiiEEZZNS1_16scan_by_key_implILNS1_25lookback_scan_determinismE0ELb1ES3_N6thrust23THRUST_200600_302600_NS6detail15normal_iteratorINS9_10device_ptrIiEEEENSB_INSC_IjEEEENSB_INSC_IfEEEEiNS9_4plusIvEENS9_8equal_toIvEEiEE10hipError_tPvRmT2_T3_T4_T5_mT6_T7_P12ihipStream_tbENKUlT_T0_E_clISt17integral_constantIbLb1EES12_IbLb0EEEEDaSY_SZ_EUlSY_E_NS1_11comp_targetILNS1_3genE9ELNS1_11target_archE1100ELNS1_3gpuE3ELNS1_3repE0EEENS1_30default_config_static_selectorELNS0_4arch9wavefront6targetE0EEEvT1_.kd
    .uniform_work_group_size: 1
    .uses_dynamic_stack: false
    .vgpr_count:     0
    .vgpr_spill_count: 0
    .wavefront_size: 32
  - .args:
      - .offset:         0
        .size:           112
        .value_kind:     by_value
    .group_segment_fixed_size: 0
    .kernarg_segment_align: 8
    .kernarg_segment_size: 112
    .language:       OpenCL C
    .language_version:
      - 2
      - 0
    .max_flat_workgroup_size: 256
    .name:           _ZN7rocprim17ROCPRIM_400000_NS6detail17trampoline_kernelINS0_14default_configENS1_27scan_by_key_config_selectorIiiEEZZNS1_16scan_by_key_implILNS1_25lookback_scan_determinismE0ELb1ES3_N6thrust23THRUST_200600_302600_NS6detail15normal_iteratorINS9_10device_ptrIiEEEENSB_INSC_IjEEEENSB_INSC_IfEEEEiNS9_4plusIvEENS9_8equal_toIvEEiEE10hipError_tPvRmT2_T3_T4_T5_mT6_T7_P12ihipStream_tbENKUlT_T0_E_clISt17integral_constantIbLb1EES12_IbLb0EEEEDaSY_SZ_EUlSY_E_NS1_11comp_targetILNS1_3genE8ELNS1_11target_archE1030ELNS1_3gpuE2ELNS1_3repE0EEENS1_30default_config_static_selectorELNS0_4arch9wavefront6targetE0EEEvT1_
    .private_segment_fixed_size: 0
    .sgpr_count:     0
    .sgpr_spill_count: 0
    .symbol:         _ZN7rocprim17ROCPRIM_400000_NS6detail17trampoline_kernelINS0_14default_configENS1_27scan_by_key_config_selectorIiiEEZZNS1_16scan_by_key_implILNS1_25lookback_scan_determinismE0ELb1ES3_N6thrust23THRUST_200600_302600_NS6detail15normal_iteratorINS9_10device_ptrIiEEEENSB_INSC_IjEEEENSB_INSC_IfEEEEiNS9_4plusIvEENS9_8equal_toIvEEiEE10hipError_tPvRmT2_T3_T4_T5_mT6_T7_P12ihipStream_tbENKUlT_T0_E_clISt17integral_constantIbLb1EES12_IbLb0EEEEDaSY_SZ_EUlSY_E_NS1_11comp_targetILNS1_3genE8ELNS1_11target_archE1030ELNS1_3gpuE2ELNS1_3repE0EEENS1_30default_config_static_selectorELNS0_4arch9wavefront6targetE0EEEvT1_.kd
    .uniform_work_group_size: 1
    .uses_dynamic_stack: false
    .vgpr_count:     0
    .vgpr_spill_count: 0
    .wavefront_size: 32
  - .args:
      - .offset:         0
        .size:           112
        .value_kind:     by_value
    .group_segment_fixed_size: 14336
    .kernarg_segment_align: 8
    .kernarg_segment_size: 112
    .language:       OpenCL C
    .language_version:
      - 2
      - 0
    .max_flat_workgroup_size: 256
    .name:           _ZN7rocprim17ROCPRIM_400000_NS6detail17trampoline_kernelINS0_14default_configENS1_27scan_by_key_config_selectorIiiEEZZNS1_16scan_by_key_implILNS1_25lookback_scan_determinismE0ELb1ES3_N6thrust23THRUST_200600_302600_NS6detail15normal_iteratorINS9_10device_ptrIiEEEENSB_INSC_IjEEEENSB_INSC_IfEEEEiNS9_4plusIvEENS9_8equal_toIvEEiEE10hipError_tPvRmT2_T3_T4_T5_mT6_T7_P12ihipStream_tbENKUlT_T0_E_clISt17integral_constantIbLb0EES12_IbLb1EEEEDaSY_SZ_EUlSY_E_NS1_11comp_targetILNS1_3genE0ELNS1_11target_archE4294967295ELNS1_3gpuE0ELNS1_3repE0EEENS1_30default_config_static_selectorELNS0_4arch9wavefront6targetE0EEEvT1_
    .private_segment_fixed_size: 0
    .sgpr_count:     41
    .sgpr_spill_count: 0
    .symbol:         _ZN7rocprim17ROCPRIM_400000_NS6detail17trampoline_kernelINS0_14default_configENS1_27scan_by_key_config_selectorIiiEEZZNS1_16scan_by_key_implILNS1_25lookback_scan_determinismE0ELb1ES3_N6thrust23THRUST_200600_302600_NS6detail15normal_iteratorINS9_10device_ptrIiEEEENSB_INSC_IjEEEENSB_INSC_IfEEEEiNS9_4plusIvEENS9_8equal_toIvEEiEE10hipError_tPvRmT2_T3_T4_T5_mT6_T7_P12ihipStream_tbENKUlT_T0_E_clISt17integral_constantIbLb0EES12_IbLb1EEEEDaSY_SZ_EUlSY_E_NS1_11comp_targetILNS1_3genE0ELNS1_11target_archE4294967295ELNS1_3gpuE0ELNS1_3repE0EEENS1_30default_config_static_selectorELNS0_4arch9wavefront6targetE0EEEvT1_.kd
    .uniform_work_group_size: 1
    .uses_dynamic_stack: false
    .vgpr_count:     62
    .vgpr_spill_count: 0
    .wavefront_size: 32
  - .args:
      - .offset:         0
        .size:           112
        .value_kind:     by_value
    .group_segment_fixed_size: 0
    .kernarg_segment_align: 8
    .kernarg_segment_size: 112
    .language:       OpenCL C
    .language_version:
      - 2
      - 0
    .max_flat_workgroup_size: 256
    .name:           _ZN7rocprim17ROCPRIM_400000_NS6detail17trampoline_kernelINS0_14default_configENS1_27scan_by_key_config_selectorIiiEEZZNS1_16scan_by_key_implILNS1_25lookback_scan_determinismE0ELb1ES3_N6thrust23THRUST_200600_302600_NS6detail15normal_iteratorINS9_10device_ptrIiEEEENSB_INSC_IjEEEENSB_INSC_IfEEEEiNS9_4plusIvEENS9_8equal_toIvEEiEE10hipError_tPvRmT2_T3_T4_T5_mT6_T7_P12ihipStream_tbENKUlT_T0_E_clISt17integral_constantIbLb0EES12_IbLb1EEEEDaSY_SZ_EUlSY_E_NS1_11comp_targetILNS1_3genE10ELNS1_11target_archE1201ELNS1_3gpuE5ELNS1_3repE0EEENS1_30default_config_static_selectorELNS0_4arch9wavefront6targetE0EEEvT1_
    .private_segment_fixed_size: 0
    .sgpr_count:     0
    .sgpr_spill_count: 0
    .symbol:         _ZN7rocprim17ROCPRIM_400000_NS6detail17trampoline_kernelINS0_14default_configENS1_27scan_by_key_config_selectorIiiEEZZNS1_16scan_by_key_implILNS1_25lookback_scan_determinismE0ELb1ES3_N6thrust23THRUST_200600_302600_NS6detail15normal_iteratorINS9_10device_ptrIiEEEENSB_INSC_IjEEEENSB_INSC_IfEEEEiNS9_4plusIvEENS9_8equal_toIvEEiEE10hipError_tPvRmT2_T3_T4_T5_mT6_T7_P12ihipStream_tbENKUlT_T0_E_clISt17integral_constantIbLb0EES12_IbLb1EEEEDaSY_SZ_EUlSY_E_NS1_11comp_targetILNS1_3genE10ELNS1_11target_archE1201ELNS1_3gpuE5ELNS1_3repE0EEENS1_30default_config_static_selectorELNS0_4arch9wavefront6targetE0EEEvT1_.kd
    .uniform_work_group_size: 1
    .uses_dynamic_stack: false
    .vgpr_count:     0
    .vgpr_spill_count: 0
    .wavefront_size: 32
  - .args:
      - .offset:         0
        .size:           112
        .value_kind:     by_value
    .group_segment_fixed_size: 0
    .kernarg_segment_align: 8
    .kernarg_segment_size: 112
    .language:       OpenCL C
    .language_version:
      - 2
      - 0
    .max_flat_workgroup_size: 256
    .name:           _ZN7rocprim17ROCPRIM_400000_NS6detail17trampoline_kernelINS0_14default_configENS1_27scan_by_key_config_selectorIiiEEZZNS1_16scan_by_key_implILNS1_25lookback_scan_determinismE0ELb1ES3_N6thrust23THRUST_200600_302600_NS6detail15normal_iteratorINS9_10device_ptrIiEEEENSB_INSC_IjEEEENSB_INSC_IfEEEEiNS9_4plusIvEENS9_8equal_toIvEEiEE10hipError_tPvRmT2_T3_T4_T5_mT6_T7_P12ihipStream_tbENKUlT_T0_E_clISt17integral_constantIbLb0EES12_IbLb1EEEEDaSY_SZ_EUlSY_E_NS1_11comp_targetILNS1_3genE5ELNS1_11target_archE942ELNS1_3gpuE9ELNS1_3repE0EEENS1_30default_config_static_selectorELNS0_4arch9wavefront6targetE0EEEvT1_
    .private_segment_fixed_size: 0
    .sgpr_count:     0
    .sgpr_spill_count: 0
    .symbol:         _ZN7rocprim17ROCPRIM_400000_NS6detail17trampoline_kernelINS0_14default_configENS1_27scan_by_key_config_selectorIiiEEZZNS1_16scan_by_key_implILNS1_25lookback_scan_determinismE0ELb1ES3_N6thrust23THRUST_200600_302600_NS6detail15normal_iteratorINS9_10device_ptrIiEEEENSB_INSC_IjEEEENSB_INSC_IfEEEEiNS9_4plusIvEENS9_8equal_toIvEEiEE10hipError_tPvRmT2_T3_T4_T5_mT6_T7_P12ihipStream_tbENKUlT_T0_E_clISt17integral_constantIbLb0EES12_IbLb1EEEEDaSY_SZ_EUlSY_E_NS1_11comp_targetILNS1_3genE5ELNS1_11target_archE942ELNS1_3gpuE9ELNS1_3repE0EEENS1_30default_config_static_selectorELNS0_4arch9wavefront6targetE0EEEvT1_.kd
    .uniform_work_group_size: 1
    .uses_dynamic_stack: false
    .vgpr_count:     0
    .vgpr_spill_count: 0
    .wavefront_size: 32
  - .args:
      - .offset:         0
        .size:           112
        .value_kind:     by_value
    .group_segment_fixed_size: 0
    .kernarg_segment_align: 8
    .kernarg_segment_size: 112
    .language:       OpenCL C
    .language_version:
      - 2
      - 0
    .max_flat_workgroup_size: 256
    .name:           _ZN7rocprim17ROCPRIM_400000_NS6detail17trampoline_kernelINS0_14default_configENS1_27scan_by_key_config_selectorIiiEEZZNS1_16scan_by_key_implILNS1_25lookback_scan_determinismE0ELb1ES3_N6thrust23THRUST_200600_302600_NS6detail15normal_iteratorINS9_10device_ptrIiEEEENSB_INSC_IjEEEENSB_INSC_IfEEEEiNS9_4plusIvEENS9_8equal_toIvEEiEE10hipError_tPvRmT2_T3_T4_T5_mT6_T7_P12ihipStream_tbENKUlT_T0_E_clISt17integral_constantIbLb0EES12_IbLb1EEEEDaSY_SZ_EUlSY_E_NS1_11comp_targetILNS1_3genE4ELNS1_11target_archE910ELNS1_3gpuE8ELNS1_3repE0EEENS1_30default_config_static_selectorELNS0_4arch9wavefront6targetE0EEEvT1_
    .private_segment_fixed_size: 0
    .sgpr_count:     0
    .sgpr_spill_count: 0
    .symbol:         _ZN7rocprim17ROCPRIM_400000_NS6detail17trampoline_kernelINS0_14default_configENS1_27scan_by_key_config_selectorIiiEEZZNS1_16scan_by_key_implILNS1_25lookback_scan_determinismE0ELb1ES3_N6thrust23THRUST_200600_302600_NS6detail15normal_iteratorINS9_10device_ptrIiEEEENSB_INSC_IjEEEENSB_INSC_IfEEEEiNS9_4plusIvEENS9_8equal_toIvEEiEE10hipError_tPvRmT2_T3_T4_T5_mT6_T7_P12ihipStream_tbENKUlT_T0_E_clISt17integral_constantIbLb0EES12_IbLb1EEEEDaSY_SZ_EUlSY_E_NS1_11comp_targetILNS1_3genE4ELNS1_11target_archE910ELNS1_3gpuE8ELNS1_3repE0EEENS1_30default_config_static_selectorELNS0_4arch9wavefront6targetE0EEEvT1_.kd
    .uniform_work_group_size: 1
    .uses_dynamic_stack: false
    .vgpr_count:     0
    .vgpr_spill_count: 0
    .wavefront_size: 32
  - .args:
      - .offset:         0
        .size:           112
        .value_kind:     by_value
    .group_segment_fixed_size: 0
    .kernarg_segment_align: 8
    .kernarg_segment_size: 112
    .language:       OpenCL C
    .language_version:
      - 2
      - 0
    .max_flat_workgroup_size: 256
    .name:           _ZN7rocprim17ROCPRIM_400000_NS6detail17trampoline_kernelINS0_14default_configENS1_27scan_by_key_config_selectorIiiEEZZNS1_16scan_by_key_implILNS1_25lookback_scan_determinismE0ELb1ES3_N6thrust23THRUST_200600_302600_NS6detail15normal_iteratorINS9_10device_ptrIiEEEENSB_INSC_IjEEEENSB_INSC_IfEEEEiNS9_4plusIvEENS9_8equal_toIvEEiEE10hipError_tPvRmT2_T3_T4_T5_mT6_T7_P12ihipStream_tbENKUlT_T0_E_clISt17integral_constantIbLb0EES12_IbLb1EEEEDaSY_SZ_EUlSY_E_NS1_11comp_targetILNS1_3genE3ELNS1_11target_archE908ELNS1_3gpuE7ELNS1_3repE0EEENS1_30default_config_static_selectorELNS0_4arch9wavefront6targetE0EEEvT1_
    .private_segment_fixed_size: 0
    .sgpr_count:     0
    .sgpr_spill_count: 0
    .symbol:         _ZN7rocprim17ROCPRIM_400000_NS6detail17trampoline_kernelINS0_14default_configENS1_27scan_by_key_config_selectorIiiEEZZNS1_16scan_by_key_implILNS1_25lookback_scan_determinismE0ELb1ES3_N6thrust23THRUST_200600_302600_NS6detail15normal_iteratorINS9_10device_ptrIiEEEENSB_INSC_IjEEEENSB_INSC_IfEEEEiNS9_4plusIvEENS9_8equal_toIvEEiEE10hipError_tPvRmT2_T3_T4_T5_mT6_T7_P12ihipStream_tbENKUlT_T0_E_clISt17integral_constantIbLb0EES12_IbLb1EEEEDaSY_SZ_EUlSY_E_NS1_11comp_targetILNS1_3genE3ELNS1_11target_archE908ELNS1_3gpuE7ELNS1_3repE0EEENS1_30default_config_static_selectorELNS0_4arch9wavefront6targetE0EEEvT1_.kd
    .uniform_work_group_size: 1
    .uses_dynamic_stack: false
    .vgpr_count:     0
    .vgpr_spill_count: 0
    .wavefront_size: 32
  - .args:
      - .offset:         0
        .size:           112
        .value_kind:     by_value
    .group_segment_fixed_size: 0
    .kernarg_segment_align: 8
    .kernarg_segment_size: 112
    .language:       OpenCL C
    .language_version:
      - 2
      - 0
    .max_flat_workgroup_size: 256
    .name:           _ZN7rocprim17ROCPRIM_400000_NS6detail17trampoline_kernelINS0_14default_configENS1_27scan_by_key_config_selectorIiiEEZZNS1_16scan_by_key_implILNS1_25lookback_scan_determinismE0ELb1ES3_N6thrust23THRUST_200600_302600_NS6detail15normal_iteratorINS9_10device_ptrIiEEEENSB_INSC_IjEEEENSB_INSC_IfEEEEiNS9_4plusIvEENS9_8equal_toIvEEiEE10hipError_tPvRmT2_T3_T4_T5_mT6_T7_P12ihipStream_tbENKUlT_T0_E_clISt17integral_constantIbLb0EES12_IbLb1EEEEDaSY_SZ_EUlSY_E_NS1_11comp_targetILNS1_3genE2ELNS1_11target_archE906ELNS1_3gpuE6ELNS1_3repE0EEENS1_30default_config_static_selectorELNS0_4arch9wavefront6targetE0EEEvT1_
    .private_segment_fixed_size: 0
    .sgpr_count:     0
    .sgpr_spill_count: 0
    .symbol:         _ZN7rocprim17ROCPRIM_400000_NS6detail17trampoline_kernelINS0_14default_configENS1_27scan_by_key_config_selectorIiiEEZZNS1_16scan_by_key_implILNS1_25lookback_scan_determinismE0ELb1ES3_N6thrust23THRUST_200600_302600_NS6detail15normal_iteratorINS9_10device_ptrIiEEEENSB_INSC_IjEEEENSB_INSC_IfEEEEiNS9_4plusIvEENS9_8equal_toIvEEiEE10hipError_tPvRmT2_T3_T4_T5_mT6_T7_P12ihipStream_tbENKUlT_T0_E_clISt17integral_constantIbLb0EES12_IbLb1EEEEDaSY_SZ_EUlSY_E_NS1_11comp_targetILNS1_3genE2ELNS1_11target_archE906ELNS1_3gpuE6ELNS1_3repE0EEENS1_30default_config_static_selectorELNS0_4arch9wavefront6targetE0EEEvT1_.kd
    .uniform_work_group_size: 1
    .uses_dynamic_stack: false
    .vgpr_count:     0
    .vgpr_spill_count: 0
    .wavefront_size: 32
  - .args:
      - .offset:         0
        .size:           112
        .value_kind:     by_value
    .group_segment_fixed_size: 0
    .kernarg_segment_align: 8
    .kernarg_segment_size: 112
    .language:       OpenCL C
    .language_version:
      - 2
      - 0
    .max_flat_workgroup_size: 256
    .name:           _ZN7rocprim17ROCPRIM_400000_NS6detail17trampoline_kernelINS0_14default_configENS1_27scan_by_key_config_selectorIiiEEZZNS1_16scan_by_key_implILNS1_25lookback_scan_determinismE0ELb1ES3_N6thrust23THRUST_200600_302600_NS6detail15normal_iteratorINS9_10device_ptrIiEEEENSB_INSC_IjEEEENSB_INSC_IfEEEEiNS9_4plusIvEENS9_8equal_toIvEEiEE10hipError_tPvRmT2_T3_T4_T5_mT6_T7_P12ihipStream_tbENKUlT_T0_E_clISt17integral_constantIbLb0EES12_IbLb1EEEEDaSY_SZ_EUlSY_E_NS1_11comp_targetILNS1_3genE10ELNS1_11target_archE1200ELNS1_3gpuE4ELNS1_3repE0EEENS1_30default_config_static_selectorELNS0_4arch9wavefront6targetE0EEEvT1_
    .private_segment_fixed_size: 0
    .sgpr_count:     0
    .sgpr_spill_count: 0
    .symbol:         _ZN7rocprim17ROCPRIM_400000_NS6detail17trampoline_kernelINS0_14default_configENS1_27scan_by_key_config_selectorIiiEEZZNS1_16scan_by_key_implILNS1_25lookback_scan_determinismE0ELb1ES3_N6thrust23THRUST_200600_302600_NS6detail15normal_iteratorINS9_10device_ptrIiEEEENSB_INSC_IjEEEENSB_INSC_IfEEEEiNS9_4plusIvEENS9_8equal_toIvEEiEE10hipError_tPvRmT2_T3_T4_T5_mT6_T7_P12ihipStream_tbENKUlT_T0_E_clISt17integral_constantIbLb0EES12_IbLb1EEEEDaSY_SZ_EUlSY_E_NS1_11comp_targetILNS1_3genE10ELNS1_11target_archE1200ELNS1_3gpuE4ELNS1_3repE0EEENS1_30default_config_static_selectorELNS0_4arch9wavefront6targetE0EEEvT1_.kd
    .uniform_work_group_size: 1
    .uses_dynamic_stack: false
    .vgpr_count:     0
    .vgpr_spill_count: 0
    .wavefront_size: 32
  - .args:
      - .offset:         0
        .size:           112
        .value_kind:     by_value
    .group_segment_fixed_size: 0
    .kernarg_segment_align: 8
    .kernarg_segment_size: 112
    .language:       OpenCL C
    .language_version:
      - 2
      - 0
    .max_flat_workgroup_size: 256
    .name:           _ZN7rocprim17ROCPRIM_400000_NS6detail17trampoline_kernelINS0_14default_configENS1_27scan_by_key_config_selectorIiiEEZZNS1_16scan_by_key_implILNS1_25lookback_scan_determinismE0ELb1ES3_N6thrust23THRUST_200600_302600_NS6detail15normal_iteratorINS9_10device_ptrIiEEEENSB_INSC_IjEEEENSB_INSC_IfEEEEiNS9_4plusIvEENS9_8equal_toIvEEiEE10hipError_tPvRmT2_T3_T4_T5_mT6_T7_P12ihipStream_tbENKUlT_T0_E_clISt17integral_constantIbLb0EES12_IbLb1EEEEDaSY_SZ_EUlSY_E_NS1_11comp_targetILNS1_3genE9ELNS1_11target_archE1100ELNS1_3gpuE3ELNS1_3repE0EEENS1_30default_config_static_selectorELNS0_4arch9wavefront6targetE0EEEvT1_
    .private_segment_fixed_size: 0
    .sgpr_count:     0
    .sgpr_spill_count: 0
    .symbol:         _ZN7rocprim17ROCPRIM_400000_NS6detail17trampoline_kernelINS0_14default_configENS1_27scan_by_key_config_selectorIiiEEZZNS1_16scan_by_key_implILNS1_25lookback_scan_determinismE0ELb1ES3_N6thrust23THRUST_200600_302600_NS6detail15normal_iteratorINS9_10device_ptrIiEEEENSB_INSC_IjEEEENSB_INSC_IfEEEEiNS9_4plusIvEENS9_8equal_toIvEEiEE10hipError_tPvRmT2_T3_T4_T5_mT6_T7_P12ihipStream_tbENKUlT_T0_E_clISt17integral_constantIbLb0EES12_IbLb1EEEEDaSY_SZ_EUlSY_E_NS1_11comp_targetILNS1_3genE9ELNS1_11target_archE1100ELNS1_3gpuE3ELNS1_3repE0EEENS1_30default_config_static_selectorELNS0_4arch9wavefront6targetE0EEEvT1_.kd
    .uniform_work_group_size: 1
    .uses_dynamic_stack: false
    .vgpr_count:     0
    .vgpr_spill_count: 0
    .wavefront_size: 32
  - .args:
      - .offset:         0
        .size:           112
        .value_kind:     by_value
    .group_segment_fixed_size: 0
    .kernarg_segment_align: 8
    .kernarg_segment_size: 112
    .language:       OpenCL C
    .language_version:
      - 2
      - 0
    .max_flat_workgroup_size: 256
    .name:           _ZN7rocprim17ROCPRIM_400000_NS6detail17trampoline_kernelINS0_14default_configENS1_27scan_by_key_config_selectorIiiEEZZNS1_16scan_by_key_implILNS1_25lookback_scan_determinismE0ELb1ES3_N6thrust23THRUST_200600_302600_NS6detail15normal_iteratorINS9_10device_ptrIiEEEENSB_INSC_IjEEEENSB_INSC_IfEEEEiNS9_4plusIvEENS9_8equal_toIvEEiEE10hipError_tPvRmT2_T3_T4_T5_mT6_T7_P12ihipStream_tbENKUlT_T0_E_clISt17integral_constantIbLb0EES12_IbLb1EEEEDaSY_SZ_EUlSY_E_NS1_11comp_targetILNS1_3genE8ELNS1_11target_archE1030ELNS1_3gpuE2ELNS1_3repE0EEENS1_30default_config_static_selectorELNS0_4arch9wavefront6targetE0EEEvT1_
    .private_segment_fixed_size: 0
    .sgpr_count:     0
    .sgpr_spill_count: 0
    .symbol:         _ZN7rocprim17ROCPRIM_400000_NS6detail17trampoline_kernelINS0_14default_configENS1_27scan_by_key_config_selectorIiiEEZZNS1_16scan_by_key_implILNS1_25lookback_scan_determinismE0ELb1ES3_N6thrust23THRUST_200600_302600_NS6detail15normal_iteratorINS9_10device_ptrIiEEEENSB_INSC_IjEEEENSB_INSC_IfEEEEiNS9_4plusIvEENS9_8equal_toIvEEiEE10hipError_tPvRmT2_T3_T4_T5_mT6_T7_P12ihipStream_tbENKUlT_T0_E_clISt17integral_constantIbLb0EES12_IbLb1EEEEDaSY_SZ_EUlSY_E_NS1_11comp_targetILNS1_3genE8ELNS1_11target_archE1030ELNS1_3gpuE2ELNS1_3repE0EEENS1_30default_config_static_selectorELNS0_4arch9wavefront6targetE0EEEvT1_.kd
    .uniform_work_group_size: 1
    .uses_dynamic_stack: false
    .vgpr_count:     0
    .vgpr_spill_count: 0
    .wavefront_size: 32
  - .args:
      - .offset:         0
        .size:           112
        .value_kind:     by_value
    .group_segment_fixed_size: 14336
    .kernarg_segment_align: 8
    .kernarg_segment_size: 112
    .language:       OpenCL C
    .language_version:
      - 2
      - 0
    .max_flat_workgroup_size: 256
    .name:           _ZN7rocprim17ROCPRIM_400000_NS6detail17trampoline_kernelINS0_14default_configENS1_27scan_by_key_config_selectorIiiEEZZNS1_16scan_by_key_implILNS1_25lookback_scan_determinismE0ELb1ES3_N6thrust23THRUST_200600_302600_NS6detail15normal_iteratorINS9_10device_ptrIiEEEENSB_INSC_IjEEEESE_iNS9_4plusIvEENS9_8equal_toIvEEiEE10hipError_tPvRmT2_T3_T4_T5_mT6_T7_P12ihipStream_tbENKUlT_T0_E_clISt17integral_constantIbLb0EES11_EEDaSW_SX_EUlSW_E_NS1_11comp_targetILNS1_3genE0ELNS1_11target_archE4294967295ELNS1_3gpuE0ELNS1_3repE0EEENS1_30default_config_static_selectorELNS0_4arch9wavefront6targetE0EEEvT1_
    .private_segment_fixed_size: 0
    .sgpr_count:     39
    .sgpr_spill_count: 0
    .symbol:         _ZN7rocprim17ROCPRIM_400000_NS6detail17trampoline_kernelINS0_14default_configENS1_27scan_by_key_config_selectorIiiEEZZNS1_16scan_by_key_implILNS1_25lookback_scan_determinismE0ELb1ES3_N6thrust23THRUST_200600_302600_NS6detail15normal_iteratorINS9_10device_ptrIiEEEENSB_INSC_IjEEEESE_iNS9_4plusIvEENS9_8equal_toIvEEiEE10hipError_tPvRmT2_T3_T4_T5_mT6_T7_P12ihipStream_tbENKUlT_T0_E_clISt17integral_constantIbLb0EES11_EEDaSW_SX_EUlSW_E_NS1_11comp_targetILNS1_3genE0ELNS1_11target_archE4294967295ELNS1_3gpuE0ELNS1_3repE0EEENS1_30default_config_static_selectorELNS0_4arch9wavefront6targetE0EEEvT1_.kd
    .uniform_work_group_size: 1
    .uses_dynamic_stack: false
    .vgpr_count:     62
    .vgpr_spill_count: 0
    .wavefront_size: 32
  - .args:
      - .offset:         0
        .size:           112
        .value_kind:     by_value
    .group_segment_fixed_size: 0
    .kernarg_segment_align: 8
    .kernarg_segment_size: 112
    .language:       OpenCL C
    .language_version:
      - 2
      - 0
    .max_flat_workgroup_size: 256
    .name:           _ZN7rocprim17ROCPRIM_400000_NS6detail17trampoline_kernelINS0_14default_configENS1_27scan_by_key_config_selectorIiiEEZZNS1_16scan_by_key_implILNS1_25lookback_scan_determinismE0ELb1ES3_N6thrust23THRUST_200600_302600_NS6detail15normal_iteratorINS9_10device_ptrIiEEEENSB_INSC_IjEEEESE_iNS9_4plusIvEENS9_8equal_toIvEEiEE10hipError_tPvRmT2_T3_T4_T5_mT6_T7_P12ihipStream_tbENKUlT_T0_E_clISt17integral_constantIbLb0EES11_EEDaSW_SX_EUlSW_E_NS1_11comp_targetILNS1_3genE10ELNS1_11target_archE1201ELNS1_3gpuE5ELNS1_3repE0EEENS1_30default_config_static_selectorELNS0_4arch9wavefront6targetE0EEEvT1_
    .private_segment_fixed_size: 0
    .sgpr_count:     0
    .sgpr_spill_count: 0
    .symbol:         _ZN7rocprim17ROCPRIM_400000_NS6detail17trampoline_kernelINS0_14default_configENS1_27scan_by_key_config_selectorIiiEEZZNS1_16scan_by_key_implILNS1_25lookback_scan_determinismE0ELb1ES3_N6thrust23THRUST_200600_302600_NS6detail15normal_iteratorINS9_10device_ptrIiEEEENSB_INSC_IjEEEESE_iNS9_4plusIvEENS9_8equal_toIvEEiEE10hipError_tPvRmT2_T3_T4_T5_mT6_T7_P12ihipStream_tbENKUlT_T0_E_clISt17integral_constantIbLb0EES11_EEDaSW_SX_EUlSW_E_NS1_11comp_targetILNS1_3genE10ELNS1_11target_archE1201ELNS1_3gpuE5ELNS1_3repE0EEENS1_30default_config_static_selectorELNS0_4arch9wavefront6targetE0EEEvT1_.kd
    .uniform_work_group_size: 1
    .uses_dynamic_stack: false
    .vgpr_count:     0
    .vgpr_spill_count: 0
    .wavefront_size: 32
  - .args:
      - .offset:         0
        .size:           112
        .value_kind:     by_value
    .group_segment_fixed_size: 0
    .kernarg_segment_align: 8
    .kernarg_segment_size: 112
    .language:       OpenCL C
    .language_version:
      - 2
      - 0
    .max_flat_workgroup_size: 256
    .name:           _ZN7rocprim17ROCPRIM_400000_NS6detail17trampoline_kernelINS0_14default_configENS1_27scan_by_key_config_selectorIiiEEZZNS1_16scan_by_key_implILNS1_25lookback_scan_determinismE0ELb1ES3_N6thrust23THRUST_200600_302600_NS6detail15normal_iteratorINS9_10device_ptrIiEEEENSB_INSC_IjEEEESE_iNS9_4plusIvEENS9_8equal_toIvEEiEE10hipError_tPvRmT2_T3_T4_T5_mT6_T7_P12ihipStream_tbENKUlT_T0_E_clISt17integral_constantIbLb0EES11_EEDaSW_SX_EUlSW_E_NS1_11comp_targetILNS1_3genE5ELNS1_11target_archE942ELNS1_3gpuE9ELNS1_3repE0EEENS1_30default_config_static_selectorELNS0_4arch9wavefront6targetE0EEEvT1_
    .private_segment_fixed_size: 0
    .sgpr_count:     0
    .sgpr_spill_count: 0
    .symbol:         _ZN7rocprim17ROCPRIM_400000_NS6detail17trampoline_kernelINS0_14default_configENS1_27scan_by_key_config_selectorIiiEEZZNS1_16scan_by_key_implILNS1_25lookback_scan_determinismE0ELb1ES3_N6thrust23THRUST_200600_302600_NS6detail15normal_iteratorINS9_10device_ptrIiEEEENSB_INSC_IjEEEESE_iNS9_4plusIvEENS9_8equal_toIvEEiEE10hipError_tPvRmT2_T3_T4_T5_mT6_T7_P12ihipStream_tbENKUlT_T0_E_clISt17integral_constantIbLb0EES11_EEDaSW_SX_EUlSW_E_NS1_11comp_targetILNS1_3genE5ELNS1_11target_archE942ELNS1_3gpuE9ELNS1_3repE0EEENS1_30default_config_static_selectorELNS0_4arch9wavefront6targetE0EEEvT1_.kd
    .uniform_work_group_size: 1
    .uses_dynamic_stack: false
    .vgpr_count:     0
    .vgpr_spill_count: 0
    .wavefront_size: 32
  - .args:
      - .offset:         0
        .size:           112
        .value_kind:     by_value
    .group_segment_fixed_size: 0
    .kernarg_segment_align: 8
    .kernarg_segment_size: 112
    .language:       OpenCL C
    .language_version:
      - 2
      - 0
    .max_flat_workgroup_size: 256
    .name:           _ZN7rocprim17ROCPRIM_400000_NS6detail17trampoline_kernelINS0_14default_configENS1_27scan_by_key_config_selectorIiiEEZZNS1_16scan_by_key_implILNS1_25lookback_scan_determinismE0ELb1ES3_N6thrust23THRUST_200600_302600_NS6detail15normal_iteratorINS9_10device_ptrIiEEEENSB_INSC_IjEEEESE_iNS9_4plusIvEENS9_8equal_toIvEEiEE10hipError_tPvRmT2_T3_T4_T5_mT6_T7_P12ihipStream_tbENKUlT_T0_E_clISt17integral_constantIbLb0EES11_EEDaSW_SX_EUlSW_E_NS1_11comp_targetILNS1_3genE4ELNS1_11target_archE910ELNS1_3gpuE8ELNS1_3repE0EEENS1_30default_config_static_selectorELNS0_4arch9wavefront6targetE0EEEvT1_
    .private_segment_fixed_size: 0
    .sgpr_count:     0
    .sgpr_spill_count: 0
    .symbol:         _ZN7rocprim17ROCPRIM_400000_NS6detail17trampoline_kernelINS0_14default_configENS1_27scan_by_key_config_selectorIiiEEZZNS1_16scan_by_key_implILNS1_25lookback_scan_determinismE0ELb1ES3_N6thrust23THRUST_200600_302600_NS6detail15normal_iteratorINS9_10device_ptrIiEEEENSB_INSC_IjEEEESE_iNS9_4plusIvEENS9_8equal_toIvEEiEE10hipError_tPvRmT2_T3_T4_T5_mT6_T7_P12ihipStream_tbENKUlT_T0_E_clISt17integral_constantIbLb0EES11_EEDaSW_SX_EUlSW_E_NS1_11comp_targetILNS1_3genE4ELNS1_11target_archE910ELNS1_3gpuE8ELNS1_3repE0EEENS1_30default_config_static_selectorELNS0_4arch9wavefront6targetE0EEEvT1_.kd
    .uniform_work_group_size: 1
    .uses_dynamic_stack: false
    .vgpr_count:     0
    .vgpr_spill_count: 0
    .wavefront_size: 32
  - .args:
      - .offset:         0
        .size:           112
        .value_kind:     by_value
    .group_segment_fixed_size: 0
    .kernarg_segment_align: 8
    .kernarg_segment_size: 112
    .language:       OpenCL C
    .language_version:
      - 2
      - 0
    .max_flat_workgroup_size: 256
    .name:           _ZN7rocprim17ROCPRIM_400000_NS6detail17trampoline_kernelINS0_14default_configENS1_27scan_by_key_config_selectorIiiEEZZNS1_16scan_by_key_implILNS1_25lookback_scan_determinismE0ELb1ES3_N6thrust23THRUST_200600_302600_NS6detail15normal_iteratorINS9_10device_ptrIiEEEENSB_INSC_IjEEEESE_iNS9_4plusIvEENS9_8equal_toIvEEiEE10hipError_tPvRmT2_T3_T4_T5_mT6_T7_P12ihipStream_tbENKUlT_T0_E_clISt17integral_constantIbLb0EES11_EEDaSW_SX_EUlSW_E_NS1_11comp_targetILNS1_3genE3ELNS1_11target_archE908ELNS1_3gpuE7ELNS1_3repE0EEENS1_30default_config_static_selectorELNS0_4arch9wavefront6targetE0EEEvT1_
    .private_segment_fixed_size: 0
    .sgpr_count:     0
    .sgpr_spill_count: 0
    .symbol:         _ZN7rocprim17ROCPRIM_400000_NS6detail17trampoline_kernelINS0_14default_configENS1_27scan_by_key_config_selectorIiiEEZZNS1_16scan_by_key_implILNS1_25lookback_scan_determinismE0ELb1ES3_N6thrust23THRUST_200600_302600_NS6detail15normal_iteratorINS9_10device_ptrIiEEEENSB_INSC_IjEEEESE_iNS9_4plusIvEENS9_8equal_toIvEEiEE10hipError_tPvRmT2_T3_T4_T5_mT6_T7_P12ihipStream_tbENKUlT_T0_E_clISt17integral_constantIbLb0EES11_EEDaSW_SX_EUlSW_E_NS1_11comp_targetILNS1_3genE3ELNS1_11target_archE908ELNS1_3gpuE7ELNS1_3repE0EEENS1_30default_config_static_selectorELNS0_4arch9wavefront6targetE0EEEvT1_.kd
    .uniform_work_group_size: 1
    .uses_dynamic_stack: false
    .vgpr_count:     0
    .vgpr_spill_count: 0
    .wavefront_size: 32
  - .args:
      - .offset:         0
        .size:           112
        .value_kind:     by_value
    .group_segment_fixed_size: 0
    .kernarg_segment_align: 8
    .kernarg_segment_size: 112
    .language:       OpenCL C
    .language_version:
      - 2
      - 0
    .max_flat_workgroup_size: 256
    .name:           _ZN7rocprim17ROCPRIM_400000_NS6detail17trampoline_kernelINS0_14default_configENS1_27scan_by_key_config_selectorIiiEEZZNS1_16scan_by_key_implILNS1_25lookback_scan_determinismE0ELb1ES3_N6thrust23THRUST_200600_302600_NS6detail15normal_iteratorINS9_10device_ptrIiEEEENSB_INSC_IjEEEESE_iNS9_4plusIvEENS9_8equal_toIvEEiEE10hipError_tPvRmT2_T3_T4_T5_mT6_T7_P12ihipStream_tbENKUlT_T0_E_clISt17integral_constantIbLb0EES11_EEDaSW_SX_EUlSW_E_NS1_11comp_targetILNS1_3genE2ELNS1_11target_archE906ELNS1_3gpuE6ELNS1_3repE0EEENS1_30default_config_static_selectorELNS0_4arch9wavefront6targetE0EEEvT1_
    .private_segment_fixed_size: 0
    .sgpr_count:     0
    .sgpr_spill_count: 0
    .symbol:         _ZN7rocprim17ROCPRIM_400000_NS6detail17trampoline_kernelINS0_14default_configENS1_27scan_by_key_config_selectorIiiEEZZNS1_16scan_by_key_implILNS1_25lookback_scan_determinismE0ELb1ES3_N6thrust23THRUST_200600_302600_NS6detail15normal_iteratorINS9_10device_ptrIiEEEENSB_INSC_IjEEEESE_iNS9_4plusIvEENS9_8equal_toIvEEiEE10hipError_tPvRmT2_T3_T4_T5_mT6_T7_P12ihipStream_tbENKUlT_T0_E_clISt17integral_constantIbLb0EES11_EEDaSW_SX_EUlSW_E_NS1_11comp_targetILNS1_3genE2ELNS1_11target_archE906ELNS1_3gpuE6ELNS1_3repE0EEENS1_30default_config_static_selectorELNS0_4arch9wavefront6targetE0EEEvT1_.kd
    .uniform_work_group_size: 1
    .uses_dynamic_stack: false
    .vgpr_count:     0
    .vgpr_spill_count: 0
    .wavefront_size: 32
  - .args:
      - .offset:         0
        .size:           112
        .value_kind:     by_value
    .group_segment_fixed_size: 0
    .kernarg_segment_align: 8
    .kernarg_segment_size: 112
    .language:       OpenCL C
    .language_version:
      - 2
      - 0
    .max_flat_workgroup_size: 256
    .name:           _ZN7rocprim17ROCPRIM_400000_NS6detail17trampoline_kernelINS0_14default_configENS1_27scan_by_key_config_selectorIiiEEZZNS1_16scan_by_key_implILNS1_25lookback_scan_determinismE0ELb1ES3_N6thrust23THRUST_200600_302600_NS6detail15normal_iteratorINS9_10device_ptrIiEEEENSB_INSC_IjEEEESE_iNS9_4plusIvEENS9_8equal_toIvEEiEE10hipError_tPvRmT2_T3_T4_T5_mT6_T7_P12ihipStream_tbENKUlT_T0_E_clISt17integral_constantIbLb0EES11_EEDaSW_SX_EUlSW_E_NS1_11comp_targetILNS1_3genE10ELNS1_11target_archE1200ELNS1_3gpuE4ELNS1_3repE0EEENS1_30default_config_static_selectorELNS0_4arch9wavefront6targetE0EEEvT1_
    .private_segment_fixed_size: 0
    .sgpr_count:     0
    .sgpr_spill_count: 0
    .symbol:         _ZN7rocprim17ROCPRIM_400000_NS6detail17trampoline_kernelINS0_14default_configENS1_27scan_by_key_config_selectorIiiEEZZNS1_16scan_by_key_implILNS1_25lookback_scan_determinismE0ELb1ES3_N6thrust23THRUST_200600_302600_NS6detail15normal_iteratorINS9_10device_ptrIiEEEENSB_INSC_IjEEEESE_iNS9_4plusIvEENS9_8equal_toIvEEiEE10hipError_tPvRmT2_T3_T4_T5_mT6_T7_P12ihipStream_tbENKUlT_T0_E_clISt17integral_constantIbLb0EES11_EEDaSW_SX_EUlSW_E_NS1_11comp_targetILNS1_3genE10ELNS1_11target_archE1200ELNS1_3gpuE4ELNS1_3repE0EEENS1_30default_config_static_selectorELNS0_4arch9wavefront6targetE0EEEvT1_.kd
    .uniform_work_group_size: 1
    .uses_dynamic_stack: false
    .vgpr_count:     0
    .vgpr_spill_count: 0
    .wavefront_size: 32
  - .args:
      - .offset:         0
        .size:           112
        .value_kind:     by_value
    .group_segment_fixed_size: 0
    .kernarg_segment_align: 8
    .kernarg_segment_size: 112
    .language:       OpenCL C
    .language_version:
      - 2
      - 0
    .max_flat_workgroup_size: 256
    .name:           _ZN7rocprim17ROCPRIM_400000_NS6detail17trampoline_kernelINS0_14default_configENS1_27scan_by_key_config_selectorIiiEEZZNS1_16scan_by_key_implILNS1_25lookback_scan_determinismE0ELb1ES3_N6thrust23THRUST_200600_302600_NS6detail15normal_iteratorINS9_10device_ptrIiEEEENSB_INSC_IjEEEESE_iNS9_4plusIvEENS9_8equal_toIvEEiEE10hipError_tPvRmT2_T3_T4_T5_mT6_T7_P12ihipStream_tbENKUlT_T0_E_clISt17integral_constantIbLb0EES11_EEDaSW_SX_EUlSW_E_NS1_11comp_targetILNS1_3genE9ELNS1_11target_archE1100ELNS1_3gpuE3ELNS1_3repE0EEENS1_30default_config_static_selectorELNS0_4arch9wavefront6targetE0EEEvT1_
    .private_segment_fixed_size: 0
    .sgpr_count:     0
    .sgpr_spill_count: 0
    .symbol:         _ZN7rocprim17ROCPRIM_400000_NS6detail17trampoline_kernelINS0_14default_configENS1_27scan_by_key_config_selectorIiiEEZZNS1_16scan_by_key_implILNS1_25lookback_scan_determinismE0ELb1ES3_N6thrust23THRUST_200600_302600_NS6detail15normal_iteratorINS9_10device_ptrIiEEEENSB_INSC_IjEEEESE_iNS9_4plusIvEENS9_8equal_toIvEEiEE10hipError_tPvRmT2_T3_T4_T5_mT6_T7_P12ihipStream_tbENKUlT_T0_E_clISt17integral_constantIbLb0EES11_EEDaSW_SX_EUlSW_E_NS1_11comp_targetILNS1_3genE9ELNS1_11target_archE1100ELNS1_3gpuE3ELNS1_3repE0EEENS1_30default_config_static_selectorELNS0_4arch9wavefront6targetE0EEEvT1_.kd
    .uniform_work_group_size: 1
    .uses_dynamic_stack: false
    .vgpr_count:     0
    .vgpr_spill_count: 0
    .wavefront_size: 32
  - .args:
      - .offset:         0
        .size:           112
        .value_kind:     by_value
    .group_segment_fixed_size: 0
    .kernarg_segment_align: 8
    .kernarg_segment_size: 112
    .language:       OpenCL C
    .language_version:
      - 2
      - 0
    .max_flat_workgroup_size: 256
    .name:           _ZN7rocprim17ROCPRIM_400000_NS6detail17trampoline_kernelINS0_14default_configENS1_27scan_by_key_config_selectorIiiEEZZNS1_16scan_by_key_implILNS1_25lookback_scan_determinismE0ELb1ES3_N6thrust23THRUST_200600_302600_NS6detail15normal_iteratorINS9_10device_ptrIiEEEENSB_INSC_IjEEEESE_iNS9_4plusIvEENS9_8equal_toIvEEiEE10hipError_tPvRmT2_T3_T4_T5_mT6_T7_P12ihipStream_tbENKUlT_T0_E_clISt17integral_constantIbLb0EES11_EEDaSW_SX_EUlSW_E_NS1_11comp_targetILNS1_3genE8ELNS1_11target_archE1030ELNS1_3gpuE2ELNS1_3repE0EEENS1_30default_config_static_selectorELNS0_4arch9wavefront6targetE0EEEvT1_
    .private_segment_fixed_size: 0
    .sgpr_count:     0
    .sgpr_spill_count: 0
    .symbol:         _ZN7rocprim17ROCPRIM_400000_NS6detail17trampoline_kernelINS0_14default_configENS1_27scan_by_key_config_selectorIiiEEZZNS1_16scan_by_key_implILNS1_25lookback_scan_determinismE0ELb1ES3_N6thrust23THRUST_200600_302600_NS6detail15normal_iteratorINS9_10device_ptrIiEEEENSB_INSC_IjEEEESE_iNS9_4plusIvEENS9_8equal_toIvEEiEE10hipError_tPvRmT2_T3_T4_T5_mT6_T7_P12ihipStream_tbENKUlT_T0_E_clISt17integral_constantIbLb0EES11_EEDaSW_SX_EUlSW_E_NS1_11comp_targetILNS1_3genE8ELNS1_11target_archE1030ELNS1_3gpuE2ELNS1_3repE0EEENS1_30default_config_static_selectorELNS0_4arch9wavefront6targetE0EEEvT1_.kd
    .uniform_work_group_size: 1
    .uses_dynamic_stack: false
    .vgpr_count:     0
    .vgpr_spill_count: 0
    .wavefront_size: 32
  - .args:
      - .offset:         0
        .size:           112
        .value_kind:     by_value
    .group_segment_fixed_size: 0
    .kernarg_segment_align: 8
    .kernarg_segment_size: 112
    .language:       OpenCL C
    .language_version:
      - 2
      - 0
    .max_flat_workgroup_size: 256
    .name:           _ZN7rocprim17ROCPRIM_400000_NS6detail17trampoline_kernelINS0_14default_configENS1_27scan_by_key_config_selectorIiiEEZZNS1_16scan_by_key_implILNS1_25lookback_scan_determinismE0ELb1ES3_N6thrust23THRUST_200600_302600_NS6detail15normal_iteratorINS9_10device_ptrIiEEEENSB_INSC_IjEEEESE_iNS9_4plusIvEENS9_8equal_toIvEEiEE10hipError_tPvRmT2_T3_T4_T5_mT6_T7_P12ihipStream_tbENKUlT_T0_E_clISt17integral_constantIbLb1EES11_EEDaSW_SX_EUlSW_E_NS1_11comp_targetILNS1_3genE0ELNS1_11target_archE4294967295ELNS1_3gpuE0ELNS1_3repE0EEENS1_30default_config_static_selectorELNS0_4arch9wavefront6targetE0EEEvT1_
    .private_segment_fixed_size: 0
    .sgpr_count:     0
    .sgpr_spill_count: 0
    .symbol:         _ZN7rocprim17ROCPRIM_400000_NS6detail17trampoline_kernelINS0_14default_configENS1_27scan_by_key_config_selectorIiiEEZZNS1_16scan_by_key_implILNS1_25lookback_scan_determinismE0ELb1ES3_N6thrust23THRUST_200600_302600_NS6detail15normal_iteratorINS9_10device_ptrIiEEEENSB_INSC_IjEEEESE_iNS9_4plusIvEENS9_8equal_toIvEEiEE10hipError_tPvRmT2_T3_T4_T5_mT6_T7_P12ihipStream_tbENKUlT_T0_E_clISt17integral_constantIbLb1EES11_EEDaSW_SX_EUlSW_E_NS1_11comp_targetILNS1_3genE0ELNS1_11target_archE4294967295ELNS1_3gpuE0ELNS1_3repE0EEENS1_30default_config_static_selectorELNS0_4arch9wavefront6targetE0EEEvT1_.kd
    .uniform_work_group_size: 1
    .uses_dynamic_stack: false
    .vgpr_count:     0
    .vgpr_spill_count: 0
    .wavefront_size: 32
  - .args:
      - .offset:         0
        .size:           112
        .value_kind:     by_value
    .group_segment_fixed_size: 0
    .kernarg_segment_align: 8
    .kernarg_segment_size: 112
    .language:       OpenCL C
    .language_version:
      - 2
      - 0
    .max_flat_workgroup_size: 256
    .name:           _ZN7rocprim17ROCPRIM_400000_NS6detail17trampoline_kernelINS0_14default_configENS1_27scan_by_key_config_selectorIiiEEZZNS1_16scan_by_key_implILNS1_25lookback_scan_determinismE0ELb1ES3_N6thrust23THRUST_200600_302600_NS6detail15normal_iteratorINS9_10device_ptrIiEEEENSB_INSC_IjEEEESE_iNS9_4plusIvEENS9_8equal_toIvEEiEE10hipError_tPvRmT2_T3_T4_T5_mT6_T7_P12ihipStream_tbENKUlT_T0_E_clISt17integral_constantIbLb1EES11_EEDaSW_SX_EUlSW_E_NS1_11comp_targetILNS1_3genE10ELNS1_11target_archE1201ELNS1_3gpuE5ELNS1_3repE0EEENS1_30default_config_static_selectorELNS0_4arch9wavefront6targetE0EEEvT1_
    .private_segment_fixed_size: 0
    .sgpr_count:     0
    .sgpr_spill_count: 0
    .symbol:         _ZN7rocprim17ROCPRIM_400000_NS6detail17trampoline_kernelINS0_14default_configENS1_27scan_by_key_config_selectorIiiEEZZNS1_16scan_by_key_implILNS1_25lookback_scan_determinismE0ELb1ES3_N6thrust23THRUST_200600_302600_NS6detail15normal_iteratorINS9_10device_ptrIiEEEENSB_INSC_IjEEEESE_iNS9_4plusIvEENS9_8equal_toIvEEiEE10hipError_tPvRmT2_T3_T4_T5_mT6_T7_P12ihipStream_tbENKUlT_T0_E_clISt17integral_constantIbLb1EES11_EEDaSW_SX_EUlSW_E_NS1_11comp_targetILNS1_3genE10ELNS1_11target_archE1201ELNS1_3gpuE5ELNS1_3repE0EEENS1_30default_config_static_selectorELNS0_4arch9wavefront6targetE0EEEvT1_.kd
    .uniform_work_group_size: 1
    .uses_dynamic_stack: false
    .vgpr_count:     0
    .vgpr_spill_count: 0
    .wavefront_size: 32
  - .args:
      - .offset:         0
        .size:           112
        .value_kind:     by_value
    .group_segment_fixed_size: 0
    .kernarg_segment_align: 8
    .kernarg_segment_size: 112
    .language:       OpenCL C
    .language_version:
      - 2
      - 0
    .max_flat_workgroup_size: 256
    .name:           _ZN7rocprim17ROCPRIM_400000_NS6detail17trampoline_kernelINS0_14default_configENS1_27scan_by_key_config_selectorIiiEEZZNS1_16scan_by_key_implILNS1_25lookback_scan_determinismE0ELb1ES3_N6thrust23THRUST_200600_302600_NS6detail15normal_iteratorINS9_10device_ptrIiEEEENSB_INSC_IjEEEESE_iNS9_4plusIvEENS9_8equal_toIvEEiEE10hipError_tPvRmT2_T3_T4_T5_mT6_T7_P12ihipStream_tbENKUlT_T0_E_clISt17integral_constantIbLb1EES11_EEDaSW_SX_EUlSW_E_NS1_11comp_targetILNS1_3genE5ELNS1_11target_archE942ELNS1_3gpuE9ELNS1_3repE0EEENS1_30default_config_static_selectorELNS0_4arch9wavefront6targetE0EEEvT1_
    .private_segment_fixed_size: 0
    .sgpr_count:     0
    .sgpr_spill_count: 0
    .symbol:         _ZN7rocprim17ROCPRIM_400000_NS6detail17trampoline_kernelINS0_14default_configENS1_27scan_by_key_config_selectorIiiEEZZNS1_16scan_by_key_implILNS1_25lookback_scan_determinismE0ELb1ES3_N6thrust23THRUST_200600_302600_NS6detail15normal_iteratorINS9_10device_ptrIiEEEENSB_INSC_IjEEEESE_iNS9_4plusIvEENS9_8equal_toIvEEiEE10hipError_tPvRmT2_T3_T4_T5_mT6_T7_P12ihipStream_tbENKUlT_T0_E_clISt17integral_constantIbLb1EES11_EEDaSW_SX_EUlSW_E_NS1_11comp_targetILNS1_3genE5ELNS1_11target_archE942ELNS1_3gpuE9ELNS1_3repE0EEENS1_30default_config_static_selectorELNS0_4arch9wavefront6targetE0EEEvT1_.kd
    .uniform_work_group_size: 1
    .uses_dynamic_stack: false
    .vgpr_count:     0
    .vgpr_spill_count: 0
    .wavefront_size: 32
  - .args:
      - .offset:         0
        .size:           112
        .value_kind:     by_value
    .group_segment_fixed_size: 0
    .kernarg_segment_align: 8
    .kernarg_segment_size: 112
    .language:       OpenCL C
    .language_version:
      - 2
      - 0
    .max_flat_workgroup_size: 256
    .name:           _ZN7rocprim17ROCPRIM_400000_NS6detail17trampoline_kernelINS0_14default_configENS1_27scan_by_key_config_selectorIiiEEZZNS1_16scan_by_key_implILNS1_25lookback_scan_determinismE0ELb1ES3_N6thrust23THRUST_200600_302600_NS6detail15normal_iteratorINS9_10device_ptrIiEEEENSB_INSC_IjEEEESE_iNS9_4plusIvEENS9_8equal_toIvEEiEE10hipError_tPvRmT2_T3_T4_T5_mT6_T7_P12ihipStream_tbENKUlT_T0_E_clISt17integral_constantIbLb1EES11_EEDaSW_SX_EUlSW_E_NS1_11comp_targetILNS1_3genE4ELNS1_11target_archE910ELNS1_3gpuE8ELNS1_3repE0EEENS1_30default_config_static_selectorELNS0_4arch9wavefront6targetE0EEEvT1_
    .private_segment_fixed_size: 0
    .sgpr_count:     0
    .sgpr_spill_count: 0
    .symbol:         _ZN7rocprim17ROCPRIM_400000_NS6detail17trampoline_kernelINS0_14default_configENS1_27scan_by_key_config_selectorIiiEEZZNS1_16scan_by_key_implILNS1_25lookback_scan_determinismE0ELb1ES3_N6thrust23THRUST_200600_302600_NS6detail15normal_iteratorINS9_10device_ptrIiEEEENSB_INSC_IjEEEESE_iNS9_4plusIvEENS9_8equal_toIvEEiEE10hipError_tPvRmT2_T3_T4_T5_mT6_T7_P12ihipStream_tbENKUlT_T0_E_clISt17integral_constantIbLb1EES11_EEDaSW_SX_EUlSW_E_NS1_11comp_targetILNS1_3genE4ELNS1_11target_archE910ELNS1_3gpuE8ELNS1_3repE0EEENS1_30default_config_static_selectorELNS0_4arch9wavefront6targetE0EEEvT1_.kd
    .uniform_work_group_size: 1
    .uses_dynamic_stack: false
    .vgpr_count:     0
    .vgpr_spill_count: 0
    .wavefront_size: 32
  - .args:
      - .offset:         0
        .size:           112
        .value_kind:     by_value
    .group_segment_fixed_size: 0
    .kernarg_segment_align: 8
    .kernarg_segment_size: 112
    .language:       OpenCL C
    .language_version:
      - 2
      - 0
    .max_flat_workgroup_size: 256
    .name:           _ZN7rocprim17ROCPRIM_400000_NS6detail17trampoline_kernelINS0_14default_configENS1_27scan_by_key_config_selectorIiiEEZZNS1_16scan_by_key_implILNS1_25lookback_scan_determinismE0ELb1ES3_N6thrust23THRUST_200600_302600_NS6detail15normal_iteratorINS9_10device_ptrIiEEEENSB_INSC_IjEEEESE_iNS9_4plusIvEENS9_8equal_toIvEEiEE10hipError_tPvRmT2_T3_T4_T5_mT6_T7_P12ihipStream_tbENKUlT_T0_E_clISt17integral_constantIbLb1EES11_EEDaSW_SX_EUlSW_E_NS1_11comp_targetILNS1_3genE3ELNS1_11target_archE908ELNS1_3gpuE7ELNS1_3repE0EEENS1_30default_config_static_selectorELNS0_4arch9wavefront6targetE0EEEvT1_
    .private_segment_fixed_size: 0
    .sgpr_count:     0
    .sgpr_spill_count: 0
    .symbol:         _ZN7rocprim17ROCPRIM_400000_NS6detail17trampoline_kernelINS0_14default_configENS1_27scan_by_key_config_selectorIiiEEZZNS1_16scan_by_key_implILNS1_25lookback_scan_determinismE0ELb1ES3_N6thrust23THRUST_200600_302600_NS6detail15normal_iteratorINS9_10device_ptrIiEEEENSB_INSC_IjEEEESE_iNS9_4plusIvEENS9_8equal_toIvEEiEE10hipError_tPvRmT2_T3_T4_T5_mT6_T7_P12ihipStream_tbENKUlT_T0_E_clISt17integral_constantIbLb1EES11_EEDaSW_SX_EUlSW_E_NS1_11comp_targetILNS1_3genE3ELNS1_11target_archE908ELNS1_3gpuE7ELNS1_3repE0EEENS1_30default_config_static_selectorELNS0_4arch9wavefront6targetE0EEEvT1_.kd
    .uniform_work_group_size: 1
    .uses_dynamic_stack: false
    .vgpr_count:     0
    .vgpr_spill_count: 0
    .wavefront_size: 32
  - .args:
      - .offset:         0
        .size:           112
        .value_kind:     by_value
    .group_segment_fixed_size: 0
    .kernarg_segment_align: 8
    .kernarg_segment_size: 112
    .language:       OpenCL C
    .language_version:
      - 2
      - 0
    .max_flat_workgroup_size: 256
    .name:           _ZN7rocprim17ROCPRIM_400000_NS6detail17trampoline_kernelINS0_14default_configENS1_27scan_by_key_config_selectorIiiEEZZNS1_16scan_by_key_implILNS1_25lookback_scan_determinismE0ELb1ES3_N6thrust23THRUST_200600_302600_NS6detail15normal_iteratorINS9_10device_ptrIiEEEENSB_INSC_IjEEEESE_iNS9_4plusIvEENS9_8equal_toIvEEiEE10hipError_tPvRmT2_T3_T4_T5_mT6_T7_P12ihipStream_tbENKUlT_T0_E_clISt17integral_constantIbLb1EES11_EEDaSW_SX_EUlSW_E_NS1_11comp_targetILNS1_3genE2ELNS1_11target_archE906ELNS1_3gpuE6ELNS1_3repE0EEENS1_30default_config_static_selectorELNS0_4arch9wavefront6targetE0EEEvT1_
    .private_segment_fixed_size: 0
    .sgpr_count:     0
    .sgpr_spill_count: 0
    .symbol:         _ZN7rocprim17ROCPRIM_400000_NS6detail17trampoline_kernelINS0_14default_configENS1_27scan_by_key_config_selectorIiiEEZZNS1_16scan_by_key_implILNS1_25lookback_scan_determinismE0ELb1ES3_N6thrust23THRUST_200600_302600_NS6detail15normal_iteratorINS9_10device_ptrIiEEEENSB_INSC_IjEEEESE_iNS9_4plusIvEENS9_8equal_toIvEEiEE10hipError_tPvRmT2_T3_T4_T5_mT6_T7_P12ihipStream_tbENKUlT_T0_E_clISt17integral_constantIbLb1EES11_EEDaSW_SX_EUlSW_E_NS1_11comp_targetILNS1_3genE2ELNS1_11target_archE906ELNS1_3gpuE6ELNS1_3repE0EEENS1_30default_config_static_selectorELNS0_4arch9wavefront6targetE0EEEvT1_.kd
    .uniform_work_group_size: 1
    .uses_dynamic_stack: false
    .vgpr_count:     0
    .vgpr_spill_count: 0
    .wavefront_size: 32
  - .args:
      - .offset:         0
        .size:           112
        .value_kind:     by_value
    .group_segment_fixed_size: 0
    .kernarg_segment_align: 8
    .kernarg_segment_size: 112
    .language:       OpenCL C
    .language_version:
      - 2
      - 0
    .max_flat_workgroup_size: 256
    .name:           _ZN7rocprim17ROCPRIM_400000_NS6detail17trampoline_kernelINS0_14default_configENS1_27scan_by_key_config_selectorIiiEEZZNS1_16scan_by_key_implILNS1_25lookback_scan_determinismE0ELb1ES3_N6thrust23THRUST_200600_302600_NS6detail15normal_iteratorINS9_10device_ptrIiEEEENSB_INSC_IjEEEESE_iNS9_4plusIvEENS9_8equal_toIvEEiEE10hipError_tPvRmT2_T3_T4_T5_mT6_T7_P12ihipStream_tbENKUlT_T0_E_clISt17integral_constantIbLb1EES11_EEDaSW_SX_EUlSW_E_NS1_11comp_targetILNS1_3genE10ELNS1_11target_archE1200ELNS1_3gpuE4ELNS1_3repE0EEENS1_30default_config_static_selectorELNS0_4arch9wavefront6targetE0EEEvT1_
    .private_segment_fixed_size: 0
    .sgpr_count:     0
    .sgpr_spill_count: 0
    .symbol:         _ZN7rocprim17ROCPRIM_400000_NS6detail17trampoline_kernelINS0_14default_configENS1_27scan_by_key_config_selectorIiiEEZZNS1_16scan_by_key_implILNS1_25lookback_scan_determinismE0ELb1ES3_N6thrust23THRUST_200600_302600_NS6detail15normal_iteratorINS9_10device_ptrIiEEEENSB_INSC_IjEEEESE_iNS9_4plusIvEENS9_8equal_toIvEEiEE10hipError_tPvRmT2_T3_T4_T5_mT6_T7_P12ihipStream_tbENKUlT_T0_E_clISt17integral_constantIbLb1EES11_EEDaSW_SX_EUlSW_E_NS1_11comp_targetILNS1_3genE10ELNS1_11target_archE1200ELNS1_3gpuE4ELNS1_3repE0EEENS1_30default_config_static_selectorELNS0_4arch9wavefront6targetE0EEEvT1_.kd
    .uniform_work_group_size: 1
    .uses_dynamic_stack: false
    .vgpr_count:     0
    .vgpr_spill_count: 0
    .wavefront_size: 32
  - .args:
      - .offset:         0
        .size:           112
        .value_kind:     by_value
    .group_segment_fixed_size: 0
    .kernarg_segment_align: 8
    .kernarg_segment_size: 112
    .language:       OpenCL C
    .language_version:
      - 2
      - 0
    .max_flat_workgroup_size: 256
    .name:           _ZN7rocprim17ROCPRIM_400000_NS6detail17trampoline_kernelINS0_14default_configENS1_27scan_by_key_config_selectorIiiEEZZNS1_16scan_by_key_implILNS1_25lookback_scan_determinismE0ELb1ES3_N6thrust23THRUST_200600_302600_NS6detail15normal_iteratorINS9_10device_ptrIiEEEENSB_INSC_IjEEEESE_iNS9_4plusIvEENS9_8equal_toIvEEiEE10hipError_tPvRmT2_T3_T4_T5_mT6_T7_P12ihipStream_tbENKUlT_T0_E_clISt17integral_constantIbLb1EES11_EEDaSW_SX_EUlSW_E_NS1_11comp_targetILNS1_3genE9ELNS1_11target_archE1100ELNS1_3gpuE3ELNS1_3repE0EEENS1_30default_config_static_selectorELNS0_4arch9wavefront6targetE0EEEvT1_
    .private_segment_fixed_size: 0
    .sgpr_count:     0
    .sgpr_spill_count: 0
    .symbol:         _ZN7rocprim17ROCPRIM_400000_NS6detail17trampoline_kernelINS0_14default_configENS1_27scan_by_key_config_selectorIiiEEZZNS1_16scan_by_key_implILNS1_25lookback_scan_determinismE0ELb1ES3_N6thrust23THRUST_200600_302600_NS6detail15normal_iteratorINS9_10device_ptrIiEEEENSB_INSC_IjEEEESE_iNS9_4plusIvEENS9_8equal_toIvEEiEE10hipError_tPvRmT2_T3_T4_T5_mT6_T7_P12ihipStream_tbENKUlT_T0_E_clISt17integral_constantIbLb1EES11_EEDaSW_SX_EUlSW_E_NS1_11comp_targetILNS1_3genE9ELNS1_11target_archE1100ELNS1_3gpuE3ELNS1_3repE0EEENS1_30default_config_static_selectorELNS0_4arch9wavefront6targetE0EEEvT1_.kd
    .uniform_work_group_size: 1
    .uses_dynamic_stack: false
    .vgpr_count:     0
    .vgpr_spill_count: 0
    .wavefront_size: 32
  - .args:
      - .offset:         0
        .size:           112
        .value_kind:     by_value
    .group_segment_fixed_size: 0
    .kernarg_segment_align: 8
    .kernarg_segment_size: 112
    .language:       OpenCL C
    .language_version:
      - 2
      - 0
    .max_flat_workgroup_size: 256
    .name:           _ZN7rocprim17ROCPRIM_400000_NS6detail17trampoline_kernelINS0_14default_configENS1_27scan_by_key_config_selectorIiiEEZZNS1_16scan_by_key_implILNS1_25lookback_scan_determinismE0ELb1ES3_N6thrust23THRUST_200600_302600_NS6detail15normal_iteratorINS9_10device_ptrIiEEEENSB_INSC_IjEEEESE_iNS9_4plusIvEENS9_8equal_toIvEEiEE10hipError_tPvRmT2_T3_T4_T5_mT6_T7_P12ihipStream_tbENKUlT_T0_E_clISt17integral_constantIbLb1EES11_EEDaSW_SX_EUlSW_E_NS1_11comp_targetILNS1_3genE8ELNS1_11target_archE1030ELNS1_3gpuE2ELNS1_3repE0EEENS1_30default_config_static_selectorELNS0_4arch9wavefront6targetE0EEEvT1_
    .private_segment_fixed_size: 0
    .sgpr_count:     0
    .sgpr_spill_count: 0
    .symbol:         _ZN7rocprim17ROCPRIM_400000_NS6detail17trampoline_kernelINS0_14default_configENS1_27scan_by_key_config_selectorIiiEEZZNS1_16scan_by_key_implILNS1_25lookback_scan_determinismE0ELb1ES3_N6thrust23THRUST_200600_302600_NS6detail15normal_iteratorINS9_10device_ptrIiEEEENSB_INSC_IjEEEESE_iNS9_4plusIvEENS9_8equal_toIvEEiEE10hipError_tPvRmT2_T3_T4_T5_mT6_T7_P12ihipStream_tbENKUlT_T0_E_clISt17integral_constantIbLb1EES11_EEDaSW_SX_EUlSW_E_NS1_11comp_targetILNS1_3genE8ELNS1_11target_archE1030ELNS1_3gpuE2ELNS1_3repE0EEENS1_30default_config_static_selectorELNS0_4arch9wavefront6targetE0EEEvT1_.kd
    .uniform_work_group_size: 1
    .uses_dynamic_stack: false
    .vgpr_count:     0
    .vgpr_spill_count: 0
    .wavefront_size: 32
  - .args:
      - .offset:         0
        .size:           112
        .value_kind:     by_value
    .group_segment_fixed_size: 0
    .kernarg_segment_align: 8
    .kernarg_segment_size: 112
    .language:       OpenCL C
    .language_version:
      - 2
      - 0
    .max_flat_workgroup_size: 256
    .name:           _ZN7rocprim17ROCPRIM_400000_NS6detail17trampoline_kernelINS0_14default_configENS1_27scan_by_key_config_selectorIiiEEZZNS1_16scan_by_key_implILNS1_25lookback_scan_determinismE0ELb1ES3_N6thrust23THRUST_200600_302600_NS6detail15normal_iteratorINS9_10device_ptrIiEEEENSB_INSC_IjEEEESE_iNS9_4plusIvEENS9_8equal_toIvEEiEE10hipError_tPvRmT2_T3_T4_T5_mT6_T7_P12ihipStream_tbENKUlT_T0_E_clISt17integral_constantIbLb1EES10_IbLb0EEEEDaSW_SX_EUlSW_E_NS1_11comp_targetILNS1_3genE0ELNS1_11target_archE4294967295ELNS1_3gpuE0ELNS1_3repE0EEENS1_30default_config_static_selectorELNS0_4arch9wavefront6targetE0EEEvT1_
    .private_segment_fixed_size: 0
    .sgpr_count:     0
    .sgpr_spill_count: 0
    .symbol:         _ZN7rocprim17ROCPRIM_400000_NS6detail17trampoline_kernelINS0_14default_configENS1_27scan_by_key_config_selectorIiiEEZZNS1_16scan_by_key_implILNS1_25lookback_scan_determinismE0ELb1ES3_N6thrust23THRUST_200600_302600_NS6detail15normal_iteratorINS9_10device_ptrIiEEEENSB_INSC_IjEEEESE_iNS9_4plusIvEENS9_8equal_toIvEEiEE10hipError_tPvRmT2_T3_T4_T5_mT6_T7_P12ihipStream_tbENKUlT_T0_E_clISt17integral_constantIbLb1EES10_IbLb0EEEEDaSW_SX_EUlSW_E_NS1_11comp_targetILNS1_3genE0ELNS1_11target_archE4294967295ELNS1_3gpuE0ELNS1_3repE0EEENS1_30default_config_static_selectorELNS0_4arch9wavefront6targetE0EEEvT1_.kd
    .uniform_work_group_size: 1
    .uses_dynamic_stack: false
    .vgpr_count:     0
    .vgpr_spill_count: 0
    .wavefront_size: 32
  - .args:
      - .offset:         0
        .size:           112
        .value_kind:     by_value
    .group_segment_fixed_size: 0
    .kernarg_segment_align: 8
    .kernarg_segment_size: 112
    .language:       OpenCL C
    .language_version:
      - 2
      - 0
    .max_flat_workgroup_size: 256
    .name:           _ZN7rocprim17ROCPRIM_400000_NS6detail17trampoline_kernelINS0_14default_configENS1_27scan_by_key_config_selectorIiiEEZZNS1_16scan_by_key_implILNS1_25lookback_scan_determinismE0ELb1ES3_N6thrust23THRUST_200600_302600_NS6detail15normal_iteratorINS9_10device_ptrIiEEEENSB_INSC_IjEEEESE_iNS9_4plusIvEENS9_8equal_toIvEEiEE10hipError_tPvRmT2_T3_T4_T5_mT6_T7_P12ihipStream_tbENKUlT_T0_E_clISt17integral_constantIbLb1EES10_IbLb0EEEEDaSW_SX_EUlSW_E_NS1_11comp_targetILNS1_3genE10ELNS1_11target_archE1201ELNS1_3gpuE5ELNS1_3repE0EEENS1_30default_config_static_selectorELNS0_4arch9wavefront6targetE0EEEvT1_
    .private_segment_fixed_size: 0
    .sgpr_count:     0
    .sgpr_spill_count: 0
    .symbol:         _ZN7rocprim17ROCPRIM_400000_NS6detail17trampoline_kernelINS0_14default_configENS1_27scan_by_key_config_selectorIiiEEZZNS1_16scan_by_key_implILNS1_25lookback_scan_determinismE0ELb1ES3_N6thrust23THRUST_200600_302600_NS6detail15normal_iteratorINS9_10device_ptrIiEEEENSB_INSC_IjEEEESE_iNS9_4plusIvEENS9_8equal_toIvEEiEE10hipError_tPvRmT2_T3_T4_T5_mT6_T7_P12ihipStream_tbENKUlT_T0_E_clISt17integral_constantIbLb1EES10_IbLb0EEEEDaSW_SX_EUlSW_E_NS1_11comp_targetILNS1_3genE10ELNS1_11target_archE1201ELNS1_3gpuE5ELNS1_3repE0EEENS1_30default_config_static_selectorELNS0_4arch9wavefront6targetE0EEEvT1_.kd
    .uniform_work_group_size: 1
    .uses_dynamic_stack: false
    .vgpr_count:     0
    .vgpr_spill_count: 0
    .wavefront_size: 32
  - .args:
      - .offset:         0
        .size:           112
        .value_kind:     by_value
    .group_segment_fixed_size: 0
    .kernarg_segment_align: 8
    .kernarg_segment_size: 112
    .language:       OpenCL C
    .language_version:
      - 2
      - 0
    .max_flat_workgroup_size: 256
    .name:           _ZN7rocprim17ROCPRIM_400000_NS6detail17trampoline_kernelINS0_14default_configENS1_27scan_by_key_config_selectorIiiEEZZNS1_16scan_by_key_implILNS1_25lookback_scan_determinismE0ELb1ES3_N6thrust23THRUST_200600_302600_NS6detail15normal_iteratorINS9_10device_ptrIiEEEENSB_INSC_IjEEEESE_iNS9_4plusIvEENS9_8equal_toIvEEiEE10hipError_tPvRmT2_T3_T4_T5_mT6_T7_P12ihipStream_tbENKUlT_T0_E_clISt17integral_constantIbLb1EES10_IbLb0EEEEDaSW_SX_EUlSW_E_NS1_11comp_targetILNS1_3genE5ELNS1_11target_archE942ELNS1_3gpuE9ELNS1_3repE0EEENS1_30default_config_static_selectorELNS0_4arch9wavefront6targetE0EEEvT1_
    .private_segment_fixed_size: 0
    .sgpr_count:     0
    .sgpr_spill_count: 0
    .symbol:         _ZN7rocprim17ROCPRIM_400000_NS6detail17trampoline_kernelINS0_14default_configENS1_27scan_by_key_config_selectorIiiEEZZNS1_16scan_by_key_implILNS1_25lookback_scan_determinismE0ELb1ES3_N6thrust23THRUST_200600_302600_NS6detail15normal_iteratorINS9_10device_ptrIiEEEENSB_INSC_IjEEEESE_iNS9_4plusIvEENS9_8equal_toIvEEiEE10hipError_tPvRmT2_T3_T4_T5_mT6_T7_P12ihipStream_tbENKUlT_T0_E_clISt17integral_constantIbLb1EES10_IbLb0EEEEDaSW_SX_EUlSW_E_NS1_11comp_targetILNS1_3genE5ELNS1_11target_archE942ELNS1_3gpuE9ELNS1_3repE0EEENS1_30default_config_static_selectorELNS0_4arch9wavefront6targetE0EEEvT1_.kd
    .uniform_work_group_size: 1
    .uses_dynamic_stack: false
    .vgpr_count:     0
    .vgpr_spill_count: 0
    .wavefront_size: 32
  - .args:
      - .offset:         0
        .size:           112
        .value_kind:     by_value
    .group_segment_fixed_size: 0
    .kernarg_segment_align: 8
    .kernarg_segment_size: 112
    .language:       OpenCL C
    .language_version:
      - 2
      - 0
    .max_flat_workgroup_size: 256
    .name:           _ZN7rocprim17ROCPRIM_400000_NS6detail17trampoline_kernelINS0_14default_configENS1_27scan_by_key_config_selectorIiiEEZZNS1_16scan_by_key_implILNS1_25lookback_scan_determinismE0ELb1ES3_N6thrust23THRUST_200600_302600_NS6detail15normal_iteratorINS9_10device_ptrIiEEEENSB_INSC_IjEEEESE_iNS9_4plusIvEENS9_8equal_toIvEEiEE10hipError_tPvRmT2_T3_T4_T5_mT6_T7_P12ihipStream_tbENKUlT_T0_E_clISt17integral_constantIbLb1EES10_IbLb0EEEEDaSW_SX_EUlSW_E_NS1_11comp_targetILNS1_3genE4ELNS1_11target_archE910ELNS1_3gpuE8ELNS1_3repE0EEENS1_30default_config_static_selectorELNS0_4arch9wavefront6targetE0EEEvT1_
    .private_segment_fixed_size: 0
    .sgpr_count:     0
    .sgpr_spill_count: 0
    .symbol:         _ZN7rocprim17ROCPRIM_400000_NS6detail17trampoline_kernelINS0_14default_configENS1_27scan_by_key_config_selectorIiiEEZZNS1_16scan_by_key_implILNS1_25lookback_scan_determinismE0ELb1ES3_N6thrust23THRUST_200600_302600_NS6detail15normal_iteratorINS9_10device_ptrIiEEEENSB_INSC_IjEEEESE_iNS9_4plusIvEENS9_8equal_toIvEEiEE10hipError_tPvRmT2_T3_T4_T5_mT6_T7_P12ihipStream_tbENKUlT_T0_E_clISt17integral_constantIbLb1EES10_IbLb0EEEEDaSW_SX_EUlSW_E_NS1_11comp_targetILNS1_3genE4ELNS1_11target_archE910ELNS1_3gpuE8ELNS1_3repE0EEENS1_30default_config_static_selectorELNS0_4arch9wavefront6targetE0EEEvT1_.kd
    .uniform_work_group_size: 1
    .uses_dynamic_stack: false
    .vgpr_count:     0
    .vgpr_spill_count: 0
    .wavefront_size: 32
  - .args:
      - .offset:         0
        .size:           112
        .value_kind:     by_value
    .group_segment_fixed_size: 0
    .kernarg_segment_align: 8
    .kernarg_segment_size: 112
    .language:       OpenCL C
    .language_version:
      - 2
      - 0
    .max_flat_workgroup_size: 256
    .name:           _ZN7rocprim17ROCPRIM_400000_NS6detail17trampoline_kernelINS0_14default_configENS1_27scan_by_key_config_selectorIiiEEZZNS1_16scan_by_key_implILNS1_25lookback_scan_determinismE0ELb1ES3_N6thrust23THRUST_200600_302600_NS6detail15normal_iteratorINS9_10device_ptrIiEEEENSB_INSC_IjEEEESE_iNS9_4plusIvEENS9_8equal_toIvEEiEE10hipError_tPvRmT2_T3_T4_T5_mT6_T7_P12ihipStream_tbENKUlT_T0_E_clISt17integral_constantIbLb1EES10_IbLb0EEEEDaSW_SX_EUlSW_E_NS1_11comp_targetILNS1_3genE3ELNS1_11target_archE908ELNS1_3gpuE7ELNS1_3repE0EEENS1_30default_config_static_selectorELNS0_4arch9wavefront6targetE0EEEvT1_
    .private_segment_fixed_size: 0
    .sgpr_count:     0
    .sgpr_spill_count: 0
    .symbol:         _ZN7rocprim17ROCPRIM_400000_NS6detail17trampoline_kernelINS0_14default_configENS1_27scan_by_key_config_selectorIiiEEZZNS1_16scan_by_key_implILNS1_25lookback_scan_determinismE0ELb1ES3_N6thrust23THRUST_200600_302600_NS6detail15normal_iteratorINS9_10device_ptrIiEEEENSB_INSC_IjEEEESE_iNS9_4plusIvEENS9_8equal_toIvEEiEE10hipError_tPvRmT2_T3_T4_T5_mT6_T7_P12ihipStream_tbENKUlT_T0_E_clISt17integral_constantIbLb1EES10_IbLb0EEEEDaSW_SX_EUlSW_E_NS1_11comp_targetILNS1_3genE3ELNS1_11target_archE908ELNS1_3gpuE7ELNS1_3repE0EEENS1_30default_config_static_selectorELNS0_4arch9wavefront6targetE0EEEvT1_.kd
    .uniform_work_group_size: 1
    .uses_dynamic_stack: false
    .vgpr_count:     0
    .vgpr_spill_count: 0
    .wavefront_size: 32
  - .args:
      - .offset:         0
        .size:           112
        .value_kind:     by_value
    .group_segment_fixed_size: 0
    .kernarg_segment_align: 8
    .kernarg_segment_size: 112
    .language:       OpenCL C
    .language_version:
      - 2
      - 0
    .max_flat_workgroup_size: 256
    .name:           _ZN7rocprim17ROCPRIM_400000_NS6detail17trampoline_kernelINS0_14default_configENS1_27scan_by_key_config_selectorIiiEEZZNS1_16scan_by_key_implILNS1_25lookback_scan_determinismE0ELb1ES3_N6thrust23THRUST_200600_302600_NS6detail15normal_iteratorINS9_10device_ptrIiEEEENSB_INSC_IjEEEESE_iNS9_4plusIvEENS9_8equal_toIvEEiEE10hipError_tPvRmT2_T3_T4_T5_mT6_T7_P12ihipStream_tbENKUlT_T0_E_clISt17integral_constantIbLb1EES10_IbLb0EEEEDaSW_SX_EUlSW_E_NS1_11comp_targetILNS1_3genE2ELNS1_11target_archE906ELNS1_3gpuE6ELNS1_3repE0EEENS1_30default_config_static_selectorELNS0_4arch9wavefront6targetE0EEEvT1_
    .private_segment_fixed_size: 0
    .sgpr_count:     0
    .sgpr_spill_count: 0
    .symbol:         _ZN7rocprim17ROCPRIM_400000_NS6detail17trampoline_kernelINS0_14default_configENS1_27scan_by_key_config_selectorIiiEEZZNS1_16scan_by_key_implILNS1_25lookback_scan_determinismE0ELb1ES3_N6thrust23THRUST_200600_302600_NS6detail15normal_iteratorINS9_10device_ptrIiEEEENSB_INSC_IjEEEESE_iNS9_4plusIvEENS9_8equal_toIvEEiEE10hipError_tPvRmT2_T3_T4_T5_mT6_T7_P12ihipStream_tbENKUlT_T0_E_clISt17integral_constantIbLb1EES10_IbLb0EEEEDaSW_SX_EUlSW_E_NS1_11comp_targetILNS1_3genE2ELNS1_11target_archE906ELNS1_3gpuE6ELNS1_3repE0EEENS1_30default_config_static_selectorELNS0_4arch9wavefront6targetE0EEEvT1_.kd
    .uniform_work_group_size: 1
    .uses_dynamic_stack: false
    .vgpr_count:     0
    .vgpr_spill_count: 0
    .wavefront_size: 32
  - .args:
      - .offset:         0
        .size:           112
        .value_kind:     by_value
    .group_segment_fixed_size: 0
    .kernarg_segment_align: 8
    .kernarg_segment_size: 112
    .language:       OpenCL C
    .language_version:
      - 2
      - 0
    .max_flat_workgroup_size: 256
    .name:           _ZN7rocprim17ROCPRIM_400000_NS6detail17trampoline_kernelINS0_14default_configENS1_27scan_by_key_config_selectorIiiEEZZNS1_16scan_by_key_implILNS1_25lookback_scan_determinismE0ELb1ES3_N6thrust23THRUST_200600_302600_NS6detail15normal_iteratorINS9_10device_ptrIiEEEENSB_INSC_IjEEEESE_iNS9_4plusIvEENS9_8equal_toIvEEiEE10hipError_tPvRmT2_T3_T4_T5_mT6_T7_P12ihipStream_tbENKUlT_T0_E_clISt17integral_constantIbLb1EES10_IbLb0EEEEDaSW_SX_EUlSW_E_NS1_11comp_targetILNS1_3genE10ELNS1_11target_archE1200ELNS1_3gpuE4ELNS1_3repE0EEENS1_30default_config_static_selectorELNS0_4arch9wavefront6targetE0EEEvT1_
    .private_segment_fixed_size: 0
    .sgpr_count:     0
    .sgpr_spill_count: 0
    .symbol:         _ZN7rocprim17ROCPRIM_400000_NS6detail17trampoline_kernelINS0_14default_configENS1_27scan_by_key_config_selectorIiiEEZZNS1_16scan_by_key_implILNS1_25lookback_scan_determinismE0ELb1ES3_N6thrust23THRUST_200600_302600_NS6detail15normal_iteratorINS9_10device_ptrIiEEEENSB_INSC_IjEEEESE_iNS9_4plusIvEENS9_8equal_toIvEEiEE10hipError_tPvRmT2_T3_T4_T5_mT6_T7_P12ihipStream_tbENKUlT_T0_E_clISt17integral_constantIbLb1EES10_IbLb0EEEEDaSW_SX_EUlSW_E_NS1_11comp_targetILNS1_3genE10ELNS1_11target_archE1200ELNS1_3gpuE4ELNS1_3repE0EEENS1_30default_config_static_selectorELNS0_4arch9wavefront6targetE0EEEvT1_.kd
    .uniform_work_group_size: 1
    .uses_dynamic_stack: false
    .vgpr_count:     0
    .vgpr_spill_count: 0
    .wavefront_size: 32
  - .args:
      - .offset:         0
        .size:           112
        .value_kind:     by_value
    .group_segment_fixed_size: 0
    .kernarg_segment_align: 8
    .kernarg_segment_size: 112
    .language:       OpenCL C
    .language_version:
      - 2
      - 0
    .max_flat_workgroup_size: 256
    .name:           _ZN7rocprim17ROCPRIM_400000_NS6detail17trampoline_kernelINS0_14default_configENS1_27scan_by_key_config_selectorIiiEEZZNS1_16scan_by_key_implILNS1_25lookback_scan_determinismE0ELb1ES3_N6thrust23THRUST_200600_302600_NS6detail15normal_iteratorINS9_10device_ptrIiEEEENSB_INSC_IjEEEESE_iNS9_4plusIvEENS9_8equal_toIvEEiEE10hipError_tPvRmT2_T3_T4_T5_mT6_T7_P12ihipStream_tbENKUlT_T0_E_clISt17integral_constantIbLb1EES10_IbLb0EEEEDaSW_SX_EUlSW_E_NS1_11comp_targetILNS1_3genE9ELNS1_11target_archE1100ELNS1_3gpuE3ELNS1_3repE0EEENS1_30default_config_static_selectorELNS0_4arch9wavefront6targetE0EEEvT1_
    .private_segment_fixed_size: 0
    .sgpr_count:     0
    .sgpr_spill_count: 0
    .symbol:         _ZN7rocprim17ROCPRIM_400000_NS6detail17trampoline_kernelINS0_14default_configENS1_27scan_by_key_config_selectorIiiEEZZNS1_16scan_by_key_implILNS1_25lookback_scan_determinismE0ELb1ES3_N6thrust23THRUST_200600_302600_NS6detail15normal_iteratorINS9_10device_ptrIiEEEENSB_INSC_IjEEEESE_iNS9_4plusIvEENS9_8equal_toIvEEiEE10hipError_tPvRmT2_T3_T4_T5_mT6_T7_P12ihipStream_tbENKUlT_T0_E_clISt17integral_constantIbLb1EES10_IbLb0EEEEDaSW_SX_EUlSW_E_NS1_11comp_targetILNS1_3genE9ELNS1_11target_archE1100ELNS1_3gpuE3ELNS1_3repE0EEENS1_30default_config_static_selectorELNS0_4arch9wavefront6targetE0EEEvT1_.kd
    .uniform_work_group_size: 1
    .uses_dynamic_stack: false
    .vgpr_count:     0
    .vgpr_spill_count: 0
    .wavefront_size: 32
  - .args:
      - .offset:         0
        .size:           112
        .value_kind:     by_value
    .group_segment_fixed_size: 0
    .kernarg_segment_align: 8
    .kernarg_segment_size: 112
    .language:       OpenCL C
    .language_version:
      - 2
      - 0
    .max_flat_workgroup_size: 256
    .name:           _ZN7rocprim17ROCPRIM_400000_NS6detail17trampoline_kernelINS0_14default_configENS1_27scan_by_key_config_selectorIiiEEZZNS1_16scan_by_key_implILNS1_25lookback_scan_determinismE0ELb1ES3_N6thrust23THRUST_200600_302600_NS6detail15normal_iteratorINS9_10device_ptrIiEEEENSB_INSC_IjEEEESE_iNS9_4plusIvEENS9_8equal_toIvEEiEE10hipError_tPvRmT2_T3_T4_T5_mT6_T7_P12ihipStream_tbENKUlT_T0_E_clISt17integral_constantIbLb1EES10_IbLb0EEEEDaSW_SX_EUlSW_E_NS1_11comp_targetILNS1_3genE8ELNS1_11target_archE1030ELNS1_3gpuE2ELNS1_3repE0EEENS1_30default_config_static_selectorELNS0_4arch9wavefront6targetE0EEEvT1_
    .private_segment_fixed_size: 0
    .sgpr_count:     0
    .sgpr_spill_count: 0
    .symbol:         _ZN7rocprim17ROCPRIM_400000_NS6detail17trampoline_kernelINS0_14default_configENS1_27scan_by_key_config_selectorIiiEEZZNS1_16scan_by_key_implILNS1_25lookback_scan_determinismE0ELb1ES3_N6thrust23THRUST_200600_302600_NS6detail15normal_iteratorINS9_10device_ptrIiEEEENSB_INSC_IjEEEESE_iNS9_4plusIvEENS9_8equal_toIvEEiEE10hipError_tPvRmT2_T3_T4_T5_mT6_T7_P12ihipStream_tbENKUlT_T0_E_clISt17integral_constantIbLb1EES10_IbLb0EEEEDaSW_SX_EUlSW_E_NS1_11comp_targetILNS1_3genE8ELNS1_11target_archE1030ELNS1_3gpuE2ELNS1_3repE0EEENS1_30default_config_static_selectorELNS0_4arch9wavefront6targetE0EEEvT1_.kd
    .uniform_work_group_size: 1
    .uses_dynamic_stack: false
    .vgpr_count:     0
    .vgpr_spill_count: 0
    .wavefront_size: 32
  - .args:
      - .offset:         0
        .size:           112
        .value_kind:     by_value
    .group_segment_fixed_size: 14336
    .kernarg_segment_align: 8
    .kernarg_segment_size: 112
    .language:       OpenCL C
    .language_version:
      - 2
      - 0
    .max_flat_workgroup_size: 256
    .name:           _ZN7rocprim17ROCPRIM_400000_NS6detail17trampoline_kernelINS0_14default_configENS1_27scan_by_key_config_selectorIiiEEZZNS1_16scan_by_key_implILNS1_25lookback_scan_determinismE0ELb1ES3_N6thrust23THRUST_200600_302600_NS6detail15normal_iteratorINS9_10device_ptrIiEEEENSB_INSC_IjEEEESE_iNS9_4plusIvEENS9_8equal_toIvEEiEE10hipError_tPvRmT2_T3_T4_T5_mT6_T7_P12ihipStream_tbENKUlT_T0_E_clISt17integral_constantIbLb0EES10_IbLb1EEEEDaSW_SX_EUlSW_E_NS1_11comp_targetILNS1_3genE0ELNS1_11target_archE4294967295ELNS1_3gpuE0ELNS1_3repE0EEENS1_30default_config_static_selectorELNS0_4arch9wavefront6targetE0EEEvT1_
    .private_segment_fixed_size: 0
    .sgpr_count:     41
    .sgpr_spill_count: 0
    .symbol:         _ZN7rocprim17ROCPRIM_400000_NS6detail17trampoline_kernelINS0_14default_configENS1_27scan_by_key_config_selectorIiiEEZZNS1_16scan_by_key_implILNS1_25lookback_scan_determinismE0ELb1ES3_N6thrust23THRUST_200600_302600_NS6detail15normal_iteratorINS9_10device_ptrIiEEEENSB_INSC_IjEEEESE_iNS9_4plusIvEENS9_8equal_toIvEEiEE10hipError_tPvRmT2_T3_T4_T5_mT6_T7_P12ihipStream_tbENKUlT_T0_E_clISt17integral_constantIbLb0EES10_IbLb1EEEEDaSW_SX_EUlSW_E_NS1_11comp_targetILNS1_3genE0ELNS1_11target_archE4294967295ELNS1_3gpuE0ELNS1_3repE0EEENS1_30default_config_static_selectorELNS0_4arch9wavefront6targetE0EEEvT1_.kd
    .uniform_work_group_size: 1
    .uses_dynamic_stack: false
    .vgpr_count:     62
    .vgpr_spill_count: 0
    .wavefront_size: 32
  - .args:
      - .offset:         0
        .size:           112
        .value_kind:     by_value
    .group_segment_fixed_size: 0
    .kernarg_segment_align: 8
    .kernarg_segment_size: 112
    .language:       OpenCL C
    .language_version:
      - 2
      - 0
    .max_flat_workgroup_size: 256
    .name:           _ZN7rocprim17ROCPRIM_400000_NS6detail17trampoline_kernelINS0_14default_configENS1_27scan_by_key_config_selectorIiiEEZZNS1_16scan_by_key_implILNS1_25lookback_scan_determinismE0ELb1ES3_N6thrust23THRUST_200600_302600_NS6detail15normal_iteratorINS9_10device_ptrIiEEEENSB_INSC_IjEEEESE_iNS9_4plusIvEENS9_8equal_toIvEEiEE10hipError_tPvRmT2_T3_T4_T5_mT6_T7_P12ihipStream_tbENKUlT_T0_E_clISt17integral_constantIbLb0EES10_IbLb1EEEEDaSW_SX_EUlSW_E_NS1_11comp_targetILNS1_3genE10ELNS1_11target_archE1201ELNS1_3gpuE5ELNS1_3repE0EEENS1_30default_config_static_selectorELNS0_4arch9wavefront6targetE0EEEvT1_
    .private_segment_fixed_size: 0
    .sgpr_count:     0
    .sgpr_spill_count: 0
    .symbol:         _ZN7rocprim17ROCPRIM_400000_NS6detail17trampoline_kernelINS0_14default_configENS1_27scan_by_key_config_selectorIiiEEZZNS1_16scan_by_key_implILNS1_25lookback_scan_determinismE0ELb1ES3_N6thrust23THRUST_200600_302600_NS6detail15normal_iteratorINS9_10device_ptrIiEEEENSB_INSC_IjEEEESE_iNS9_4plusIvEENS9_8equal_toIvEEiEE10hipError_tPvRmT2_T3_T4_T5_mT6_T7_P12ihipStream_tbENKUlT_T0_E_clISt17integral_constantIbLb0EES10_IbLb1EEEEDaSW_SX_EUlSW_E_NS1_11comp_targetILNS1_3genE10ELNS1_11target_archE1201ELNS1_3gpuE5ELNS1_3repE0EEENS1_30default_config_static_selectorELNS0_4arch9wavefront6targetE0EEEvT1_.kd
    .uniform_work_group_size: 1
    .uses_dynamic_stack: false
    .vgpr_count:     0
    .vgpr_spill_count: 0
    .wavefront_size: 32
  - .args:
      - .offset:         0
        .size:           112
        .value_kind:     by_value
    .group_segment_fixed_size: 0
    .kernarg_segment_align: 8
    .kernarg_segment_size: 112
    .language:       OpenCL C
    .language_version:
      - 2
      - 0
    .max_flat_workgroup_size: 256
    .name:           _ZN7rocprim17ROCPRIM_400000_NS6detail17trampoline_kernelINS0_14default_configENS1_27scan_by_key_config_selectorIiiEEZZNS1_16scan_by_key_implILNS1_25lookback_scan_determinismE0ELb1ES3_N6thrust23THRUST_200600_302600_NS6detail15normal_iteratorINS9_10device_ptrIiEEEENSB_INSC_IjEEEESE_iNS9_4plusIvEENS9_8equal_toIvEEiEE10hipError_tPvRmT2_T3_T4_T5_mT6_T7_P12ihipStream_tbENKUlT_T0_E_clISt17integral_constantIbLb0EES10_IbLb1EEEEDaSW_SX_EUlSW_E_NS1_11comp_targetILNS1_3genE5ELNS1_11target_archE942ELNS1_3gpuE9ELNS1_3repE0EEENS1_30default_config_static_selectorELNS0_4arch9wavefront6targetE0EEEvT1_
    .private_segment_fixed_size: 0
    .sgpr_count:     0
    .sgpr_spill_count: 0
    .symbol:         _ZN7rocprim17ROCPRIM_400000_NS6detail17trampoline_kernelINS0_14default_configENS1_27scan_by_key_config_selectorIiiEEZZNS1_16scan_by_key_implILNS1_25lookback_scan_determinismE0ELb1ES3_N6thrust23THRUST_200600_302600_NS6detail15normal_iteratorINS9_10device_ptrIiEEEENSB_INSC_IjEEEESE_iNS9_4plusIvEENS9_8equal_toIvEEiEE10hipError_tPvRmT2_T3_T4_T5_mT6_T7_P12ihipStream_tbENKUlT_T0_E_clISt17integral_constantIbLb0EES10_IbLb1EEEEDaSW_SX_EUlSW_E_NS1_11comp_targetILNS1_3genE5ELNS1_11target_archE942ELNS1_3gpuE9ELNS1_3repE0EEENS1_30default_config_static_selectorELNS0_4arch9wavefront6targetE0EEEvT1_.kd
    .uniform_work_group_size: 1
    .uses_dynamic_stack: false
    .vgpr_count:     0
    .vgpr_spill_count: 0
    .wavefront_size: 32
  - .args:
      - .offset:         0
        .size:           112
        .value_kind:     by_value
    .group_segment_fixed_size: 0
    .kernarg_segment_align: 8
    .kernarg_segment_size: 112
    .language:       OpenCL C
    .language_version:
      - 2
      - 0
    .max_flat_workgroup_size: 256
    .name:           _ZN7rocprim17ROCPRIM_400000_NS6detail17trampoline_kernelINS0_14default_configENS1_27scan_by_key_config_selectorIiiEEZZNS1_16scan_by_key_implILNS1_25lookback_scan_determinismE0ELb1ES3_N6thrust23THRUST_200600_302600_NS6detail15normal_iteratorINS9_10device_ptrIiEEEENSB_INSC_IjEEEESE_iNS9_4plusIvEENS9_8equal_toIvEEiEE10hipError_tPvRmT2_T3_T4_T5_mT6_T7_P12ihipStream_tbENKUlT_T0_E_clISt17integral_constantIbLb0EES10_IbLb1EEEEDaSW_SX_EUlSW_E_NS1_11comp_targetILNS1_3genE4ELNS1_11target_archE910ELNS1_3gpuE8ELNS1_3repE0EEENS1_30default_config_static_selectorELNS0_4arch9wavefront6targetE0EEEvT1_
    .private_segment_fixed_size: 0
    .sgpr_count:     0
    .sgpr_spill_count: 0
    .symbol:         _ZN7rocprim17ROCPRIM_400000_NS6detail17trampoline_kernelINS0_14default_configENS1_27scan_by_key_config_selectorIiiEEZZNS1_16scan_by_key_implILNS1_25lookback_scan_determinismE0ELb1ES3_N6thrust23THRUST_200600_302600_NS6detail15normal_iteratorINS9_10device_ptrIiEEEENSB_INSC_IjEEEESE_iNS9_4plusIvEENS9_8equal_toIvEEiEE10hipError_tPvRmT2_T3_T4_T5_mT6_T7_P12ihipStream_tbENKUlT_T0_E_clISt17integral_constantIbLb0EES10_IbLb1EEEEDaSW_SX_EUlSW_E_NS1_11comp_targetILNS1_3genE4ELNS1_11target_archE910ELNS1_3gpuE8ELNS1_3repE0EEENS1_30default_config_static_selectorELNS0_4arch9wavefront6targetE0EEEvT1_.kd
    .uniform_work_group_size: 1
    .uses_dynamic_stack: false
    .vgpr_count:     0
    .vgpr_spill_count: 0
    .wavefront_size: 32
  - .args:
      - .offset:         0
        .size:           112
        .value_kind:     by_value
    .group_segment_fixed_size: 0
    .kernarg_segment_align: 8
    .kernarg_segment_size: 112
    .language:       OpenCL C
    .language_version:
      - 2
      - 0
    .max_flat_workgroup_size: 256
    .name:           _ZN7rocprim17ROCPRIM_400000_NS6detail17trampoline_kernelINS0_14default_configENS1_27scan_by_key_config_selectorIiiEEZZNS1_16scan_by_key_implILNS1_25lookback_scan_determinismE0ELb1ES3_N6thrust23THRUST_200600_302600_NS6detail15normal_iteratorINS9_10device_ptrIiEEEENSB_INSC_IjEEEESE_iNS9_4plusIvEENS9_8equal_toIvEEiEE10hipError_tPvRmT2_T3_T4_T5_mT6_T7_P12ihipStream_tbENKUlT_T0_E_clISt17integral_constantIbLb0EES10_IbLb1EEEEDaSW_SX_EUlSW_E_NS1_11comp_targetILNS1_3genE3ELNS1_11target_archE908ELNS1_3gpuE7ELNS1_3repE0EEENS1_30default_config_static_selectorELNS0_4arch9wavefront6targetE0EEEvT1_
    .private_segment_fixed_size: 0
    .sgpr_count:     0
    .sgpr_spill_count: 0
    .symbol:         _ZN7rocprim17ROCPRIM_400000_NS6detail17trampoline_kernelINS0_14default_configENS1_27scan_by_key_config_selectorIiiEEZZNS1_16scan_by_key_implILNS1_25lookback_scan_determinismE0ELb1ES3_N6thrust23THRUST_200600_302600_NS6detail15normal_iteratorINS9_10device_ptrIiEEEENSB_INSC_IjEEEESE_iNS9_4plusIvEENS9_8equal_toIvEEiEE10hipError_tPvRmT2_T3_T4_T5_mT6_T7_P12ihipStream_tbENKUlT_T0_E_clISt17integral_constantIbLb0EES10_IbLb1EEEEDaSW_SX_EUlSW_E_NS1_11comp_targetILNS1_3genE3ELNS1_11target_archE908ELNS1_3gpuE7ELNS1_3repE0EEENS1_30default_config_static_selectorELNS0_4arch9wavefront6targetE0EEEvT1_.kd
    .uniform_work_group_size: 1
    .uses_dynamic_stack: false
    .vgpr_count:     0
    .vgpr_spill_count: 0
    .wavefront_size: 32
  - .args:
      - .offset:         0
        .size:           112
        .value_kind:     by_value
    .group_segment_fixed_size: 0
    .kernarg_segment_align: 8
    .kernarg_segment_size: 112
    .language:       OpenCL C
    .language_version:
      - 2
      - 0
    .max_flat_workgroup_size: 256
    .name:           _ZN7rocprim17ROCPRIM_400000_NS6detail17trampoline_kernelINS0_14default_configENS1_27scan_by_key_config_selectorIiiEEZZNS1_16scan_by_key_implILNS1_25lookback_scan_determinismE0ELb1ES3_N6thrust23THRUST_200600_302600_NS6detail15normal_iteratorINS9_10device_ptrIiEEEENSB_INSC_IjEEEESE_iNS9_4plusIvEENS9_8equal_toIvEEiEE10hipError_tPvRmT2_T3_T4_T5_mT6_T7_P12ihipStream_tbENKUlT_T0_E_clISt17integral_constantIbLb0EES10_IbLb1EEEEDaSW_SX_EUlSW_E_NS1_11comp_targetILNS1_3genE2ELNS1_11target_archE906ELNS1_3gpuE6ELNS1_3repE0EEENS1_30default_config_static_selectorELNS0_4arch9wavefront6targetE0EEEvT1_
    .private_segment_fixed_size: 0
    .sgpr_count:     0
    .sgpr_spill_count: 0
    .symbol:         _ZN7rocprim17ROCPRIM_400000_NS6detail17trampoline_kernelINS0_14default_configENS1_27scan_by_key_config_selectorIiiEEZZNS1_16scan_by_key_implILNS1_25lookback_scan_determinismE0ELb1ES3_N6thrust23THRUST_200600_302600_NS6detail15normal_iteratorINS9_10device_ptrIiEEEENSB_INSC_IjEEEESE_iNS9_4plusIvEENS9_8equal_toIvEEiEE10hipError_tPvRmT2_T3_T4_T5_mT6_T7_P12ihipStream_tbENKUlT_T0_E_clISt17integral_constantIbLb0EES10_IbLb1EEEEDaSW_SX_EUlSW_E_NS1_11comp_targetILNS1_3genE2ELNS1_11target_archE906ELNS1_3gpuE6ELNS1_3repE0EEENS1_30default_config_static_selectorELNS0_4arch9wavefront6targetE0EEEvT1_.kd
    .uniform_work_group_size: 1
    .uses_dynamic_stack: false
    .vgpr_count:     0
    .vgpr_spill_count: 0
    .wavefront_size: 32
  - .args:
      - .offset:         0
        .size:           112
        .value_kind:     by_value
    .group_segment_fixed_size: 0
    .kernarg_segment_align: 8
    .kernarg_segment_size: 112
    .language:       OpenCL C
    .language_version:
      - 2
      - 0
    .max_flat_workgroup_size: 256
    .name:           _ZN7rocprim17ROCPRIM_400000_NS6detail17trampoline_kernelINS0_14default_configENS1_27scan_by_key_config_selectorIiiEEZZNS1_16scan_by_key_implILNS1_25lookback_scan_determinismE0ELb1ES3_N6thrust23THRUST_200600_302600_NS6detail15normal_iteratorINS9_10device_ptrIiEEEENSB_INSC_IjEEEESE_iNS9_4plusIvEENS9_8equal_toIvEEiEE10hipError_tPvRmT2_T3_T4_T5_mT6_T7_P12ihipStream_tbENKUlT_T0_E_clISt17integral_constantIbLb0EES10_IbLb1EEEEDaSW_SX_EUlSW_E_NS1_11comp_targetILNS1_3genE10ELNS1_11target_archE1200ELNS1_3gpuE4ELNS1_3repE0EEENS1_30default_config_static_selectorELNS0_4arch9wavefront6targetE0EEEvT1_
    .private_segment_fixed_size: 0
    .sgpr_count:     0
    .sgpr_spill_count: 0
    .symbol:         _ZN7rocprim17ROCPRIM_400000_NS6detail17trampoline_kernelINS0_14default_configENS1_27scan_by_key_config_selectorIiiEEZZNS1_16scan_by_key_implILNS1_25lookback_scan_determinismE0ELb1ES3_N6thrust23THRUST_200600_302600_NS6detail15normal_iteratorINS9_10device_ptrIiEEEENSB_INSC_IjEEEESE_iNS9_4plusIvEENS9_8equal_toIvEEiEE10hipError_tPvRmT2_T3_T4_T5_mT6_T7_P12ihipStream_tbENKUlT_T0_E_clISt17integral_constantIbLb0EES10_IbLb1EEEEDaSW_SX_EUlSW_E_NS1_11comp_targetILNS1_3genE10ELNS1_11target_archE1200ELNS1_3gpuE4ELNS1_3repE0EEENS1_30default_config_static_selectorELNS0_4arch9wavefront6targetE0EEEvT1_.kd
    .uniform_work_group_size: 1
    .uses_dynamic_stack: false
    .vgpr_count:     0
    .vgpr_spill_count: 0
    .wavefront_size: 32
  - .args:
      - .offset:         0
        .size:           112
        .value_kind:     by_value
    .group_segment_fixed_size: 0
    .kernarg_segment_align: 8
    .kernarg_segment_size: 112
    .language:       OpenCL C
    .language_version:
      - 2
      - 0
    .max_flat_workgroup_size: 256
    .name:           _ZN7rocprim17ROCPRIM_400000_NS6detail17trampoline_kernelINS0_14default_configENS1_27scan_by_key_config_selectorIiiEEZZNS1_16scan_by_key_implILNS1_25lookback_scan_determinismE0ELb1ES3_N6thrust23THRUST_200600_302600_NS6detail15normal_iteratorINS9_10device_ptrIiEEEENSB_INSC_IjEEEESE_iNS9_4plusIvEENS9_8equal_toIvEEiEE10hipError_tPvRmT2_T3_T4_T5_mT6_T7_P12ihipStream_tbENKUlT_T0_E_clISt17integral_constantIbLb0EES10_IbLb1EEEEDaSW_SX_EUlSW_E_NS1_11comp_targetILNS1_3genE9ELNS1_11target_archE1100ELNS1_3gpuE3ELNS1_3repE0EEENS1_30default_config_static_selectorELNS0_4arch9wavefront6targetE0EEEvT1_
    .private_segment_fixed_size: 0
    .sgpr_count:     0
    .sgpr_spill_count: 0
    .symbol:         _ZN7rocprim17ROCPRIM_400000_NS6detail17trampoline_kernelINS0_14default_configENS1_27scan_by_key_config_selectorIiiEEZZNS1_16scan_by_key_implILNS1_25lookback_scan_determinismE0ELb1ES3_N6thrust23THRUST_200600_302600_NS6detail15normal_iteratorINS9_10device_ptrIiEEEENSB_INSC_IjEEEESE_iNS9_4plusIvEENS9_8equal_toIvEEiEE10hipError_tPvRmT2_T3_T4_T5_mT6_T7_P12ihipStream_tbENKUlT_T0_E_clISt17integral_constantIbLb0EES10_IbLb1EEEEDaSW_SX_EUlSW_E_NS1_11comp_targetILNS1_3genE9ELNS1_11target_archE1100ELNS1_3gpuE3ELNS1_3repE0EEENS1_30default_config_static_selectorELNS0_4arch9wavefront6targetE0EEEvT1_.kd
    .uniform_work_group_size: 1
    .uses_dynamic_stack: false
    .vgpr_count:     0
    .vgpr_spill_count: 0
    .wavefront_size: 32
  - .args:
      - .offset:         0
        .size:           112
        .value_kind:     by_value
    .group_segment_fixed_size: 0
    .kernarg_segment_align: 8
    .kernarg_segment_size: 112
    .language:       OpenCL C
    .language_version:
      - 2
      - 0
    .max_flat_workgroup_size: 256
    .name:           _ZN7rocprim17ROCPRIM_400000_NS6detail17trampoline_kernelINS0_14default_configENS1_27scan_by_key_config_selectorIiiEEZZNS1_16scan_by_key_implILNS1_25lookback_scan_determinismE0ELb1ES3_N6thrust23THRUST_200600_302600_NS6detail15normal_iteratorINS9_10device_ptrIiEEEENSB_INSC_IjEEEESE_iNS9_4plusIvEENS9_8equal_toIvEEiEE10hipError_tPvRmT2_T3_T4_T5_mT6_T7_P12ihipStream_tbENKUlT_T0_E_clISt17integral_constantIbLb0EES10_IbLb1EEEEDaSW_SX_EUlSW_E_NS1_11comp_targetILNS1_3genE8ELNS1_11target_archE1030ELNS1_3gpuE2ELNS1_3repE0EEENS1_30default_config_static_selectorELNS0_4arch9wavefront6targetE0EEEvT1_
    .private_segment_fixed_size: 0
    .sgpr_count:     0
    .sgpr_spill_count: 0
    .symbol:         _ZN7rocprim17ROCPRIM_400000_NS6detail17trampoline_kernelINS0_14default_configENS1_27scan_by_key_config_selectorIiiEEZZNS1_16scan_by_key_implILNS1_25lookback_scan_determinismE0ELb1ES3_N6thrust23THRUST_200600_302600_NS6detail15normal_iteratorINS9_10device_ptrIiEEEENSB_INSC_IjEEEESE_iNS9_4plusIvEENS9_8equal_toIvEEiEE10hipError_tPvRmT2_T3_T4_T5_mT6_T7_P12ihipStream_tbENKUlT_T0_E_clISt17integral_constantIbLb0EES10_IbLb1EEEEDaSW_SX_EUlSW_E_NS1_11comp_targetILNS1_3genE8ELNS1_11target_archE1030ELNS1_3gpuE2ELNS1_3repE0EEENS1_30default_config_static_selectorELNS0_4arch9wavefront6targetE0EEEvT1_.kd
    .uniform_work_group_size: 1
    .uses_dynamic_stack: false
    .vgpr_count:     0
    .vgpr_spill_count: 0
    .wavefront_size: 32
  - .args:
      - .offset:         0
        .size:           112
        .value_kind:     by_value
    .group_segment_fixed_size: 14336
    .kernarg_segment_align: 8
    .kernarg_segment_size: 112
    .language:       OpenCL C
    .language_version:
      - 2
      - 0
    .max_flat_workgroup_size: 256
    .name:           _ZN7rocprim17ROCPRIM_400000_NS6detail17trampoline_kernelINS0_14default_configENS1_27scan_by_key_config_selectorIifEEZZNS1_16scan_by_key_implILNS1_25lookback_scan_determinismE0ELb1ES3_N6thrust23THRUST_200600_302600_NS6detail15normal_iteratorINS9_10device_ptrIiEEEENSB_INSC_IjEEEESE_fNS9_4plusIvEENS9_8equal_toIvEEfEE10hipError_tPvRmT2_T3_T4_T5_mT6_T7_P12ihipStream_tbENKUlT_T0_E_clISt17integral_constantIbLb0EES11_EEDaSW_SX_EUlSW_E_NS1_11comp_targetILNS1_3genE0ELNS1_11target_archE4294967295ELNS1_3gpuE0ELNS1_3repE0EEENS1_30default_config_static_selectorELNS0_4arch9wavefront6targetE0EEEvT1_
    .private_segment_fixed_size: 0
    .sgpr_count:     50
    .sgpr_spill_count: 0
    .symbol:         _ZN7rocprim17ROCPRIM_400000_NS6detail17trampoline_kernelINS0_14default_configENS1_27scan_by_key_config_selectorIifEEZZNS1_16scan_by_key_implILNS1_25lookback_scan_determinismE0ELb1ES3_N6thrust23THRUST_200600_302600_NS6detail15normal_iteratorINS9_10device_ptrIiEEEENSB_INSC_IjEEEESE_fNS9_4plusIvEENS9_8equal_toIvEEfEE10hipError_tPvRmT2_T3_T4_T5_mT6_T7_P12ihipStream_tbENKUlT_T0_E_clISt17integral_constantIbLb0EES11_EEDaSW_SX_EUlSW_E_NS1_11comp_targetILNS1_3genE0ELNS1_11target_archE4294967295ELNS1_3gpuE0ELNS1_3repE0EEENS1_30default_config_static_selectorELNS0_4arch9wavefront6targetE0EEEvT1_.kd
    .uniform_work_group_size: 1
    .uses_dynamic_stack: false
    .vgpr_count:     62
    .vgpr_spill_count: 0
    .wavefront_size: 32
  - .args:
      - .offset:         0
        .size:           112
        .value_kind:     by_value
    .group_segment_fixed_size: 0
    .kernarg_segment_align: 8
    .kernarg_segment_size: 112
    .language:       OpenCL C
    .language_version:
      - 2
      - 0
    .max_flat_workgroup_size: 256
    .name:           _ZN7rocprim17ROCPRIM_400000_NS6detail17trampoline_kernelINS0_14default_configENS1_27scan_by_key_config_selectorIifEEZZNS1_16scan_by_key_implILNS1_25lookback_scan_determinismE0ELb1ES3_N6thrust23THRUST_200600_302600_NS6detail15normal_iteratorINS9_10device_ptrIiEEEENSB_INSC_IjEEEESE_fNS9_4plusIvEENS9_8equal_toIvEEfEE10hipError_tPvRmT2_T3_T4_T5_mT6_T7_P12ihipStream_tbENKUlT_T0_E_clISt17integral_constantIbLb0EES11_EEDaSW_SX_EUlSW_E_NS1_11comp_targetILNS1_3genE10ELNS1_11target_archE1201ELNS1_3gpuE5ELNS1_3repE0EEENS1_30default_config_static_selectorELNS0_4arch9wavefront6targetE0EEEvT1_
    .private_segment_fixed_size: 0
    .sgpr_count:     0
    .sgpr_spill_count: 0
    .symbol:         _ZN7rocprim17ROCPRIM_400000_NS6detail17trampoline_kernelINS0_14default_configENS1_27scan_by_key_config_selectorIifEEZZNS1_16scan_by_key_implILNS1_25lookback_scan_determinismE0ELb1ES3_N6thrust23THRUST_200600_302600_NS6detail15normal_iteratorINS9_10device_ptrIiEEEENSB_INSC_IjEEEESE_fNS9_4plusIvEENS9_8equal_toIvEEfEE10hipError_tPvRmT2_T3_T4_T5_mT6_T7_P12ihipStream_tbENKUlT_T0_E_clISt17integral_constantIbLb0EES11_EEDaSW_SX_EUlSW_E_NS1_11comp_targetILNS1_3genE10ELNS1_11target_archE1201ELNS1_3gpuE5ELNS1_3repE0EEENS1_30default_config_static_selectorELNS0_4arch9wavefront6targetE0EEEvT1_.kd
    .uniform_work_group_size: 1
    .uses_dynamic_stack: false
    .vgpr_count:     0
    .vgpr_spill_count: 0
    .wavefront_size: 32
  - .args:
      - .offset:         0
        .size:           112
        .value_kind:     by_value
    .group_segment_fixed_size: 0
    .kernarg_segment_align: 8
    .kernarg_segment_size: 112
    .language:       OpenCL C
    .language_version:
      - 2
      - 0
    .max_flat_workgroup_size: 256
    .name:           _ZN7rocprim17ROCPRIM_400000_NS6detail17trampoline_kernelINS0_14default_configENS1_27scan_by_key_config_selectorIifEEZZNS1_16scan_by_key_implILNS1_25lookback_scan_determinismE0ELb1ES3_N6thrust23THRUST_200600_302600_NS6detail15normal_iteratorINS9_10device_ptrIiEEEENSB_INSC_IjEEEESE_fNS9_4plusIvEENS9_8equal_toIvEEfEE10hipError_tPvRmT2_T3_T4_T5_mT6_T7_P12ihipStream_tbENKUlT_T0_E_clISt17integral_constantIbLb0EES11_EEDaSW_SX_EUlSW_E_NS1_11comp_targetILNS1_3genE5ELNS1_11target_archE942ELNS1_3gpuE9ELNS1_3repE0EEENS1_30default_config_static_selectorELNS0_4arch9wavefront6targetE0EEEvT1_
    .private_segment_fixed_size: 0
    .sgpr_count:     0
    .sgpr_spill_count: 0
    .symbol:         _ZN7rocprim17ROCPRIM_400000_NS6detail17trampoline_kernelINS0_14default_configENS1_27scan_by_key_config_selectorIifEEZZNS1_16scan_by_key_implILNS1_25lookback_scan_determinismE0ELb1ES3_N6thrust23THRUST_200600_302600_NS6detail15normal_iteratorINS9_10device_ptrIiEEEENSB_INSC_IjEEEESE_fNS9_4plusIvEENS9_8equal_toIvEEfEE10hipError_tPvRmT2_T3_T4_T5_mT6_T7_P12ihipStream_tbENKUlT_T0_E_clISt17integral_constantIbLb0EES11_EEDaSW_SX_EUlSW_E_NS1_11comp_targetILNS1_3genE5ELNS1_11target_archE942ELNS1_3gpuE9ELNS1_3repE0EEENS1_30default_config_static_selectorELNS0_4arch9wavefront6targetE0EEEvT1_.kd
    .uniform_work_group_size: 1
    .uses_dynamic_stack: false
    .vgpr_count:     0
    .vgpr_spill_count: 0
    .wavefront_size: 32
  - .args:
      - .offset:         0
        .size:           112
        .value_kind:     by_value
    .group_segment_fixed_size: 0
    .kernarg_segment_align: 8
    .kernarg_segment_size: 112
    .language:       OpenCL C
    .language_version:
      - 2
      - 0
    .max_flat_workgroup_size: 256
    .name:           _ZN7rocprim17ROCPRIM_400000_NS6detail17trampoline_kernelINS0_14default_configENS1_27scan_by_key_config_selectorIifEEZZNS1_16scan_by_key_implILNS1_25lookback_scan_determinismE0ELb1ES3_N6thrust23THRUST_200600_302600_NS6detail15normal_iteratorINS9_10device_ptrIiEEEENSB_INSC_IjEEEESE_fNS9_4plusIvEENS9_8equal_toIvEEfEE10hipError_tPvRmT2_T3_T4_T5_mT6_T7_P12ihipStream_tbENKUlT_T0_E_clISt17integral_constantIbLb0EES11_EEDaSW_SX_EUlSW_E_NS1_11comp_targetILNS1_3genE4ELNS1_11target_archE910ELNS1_3gpuE8ELNS1_3repE0EEENS1_30default_config_static_selectorELNS0_4arch9wavefront6targetE0EEEvT1_
    .private_segment_fixed_size: 0
    .sgpr_count:     0
    .sgpr_spill_count: 0
    .symbol:         _ZN7rocprim17ROCPRIM_400000_NS6detail17trampoline_kernelINS0_14default_configENS1_27scan_by_key_config_selectorIifEEZZNS1_16scan_by_key_implILNS1_25lookback_scan_determinismE0ELb1ES3_N6thrust23THRUST_200600_302600_NS6detail15normal_iteratorINS9_10device_ptrIiEEEENSB_INSC_IjEEEESE_fNS9_4plusIvEENS9_8equal_toIvEEfEE10hipError_tPvRmT2_T3_T4_T5_mT6_T7_P12ihipStream_tbENKUlT_T0_E_clISt17integral_constantIbLb0EES11_EEDaSW_SX_EUlSW_E_NS1_11comp_targetILNS1_3genE4ELNS1_11target_archE910ELNS1_3gpuE8ELNS1_3repE0EEENS1_30default_config_static_selectorELNS0_4arch9wavefront6targetE0EEEvT1_.kd
    .uniform_work_group_size: 1
    .uses_dynamic_stack: false
    .vgpr_count:     0
    .vgpr_spill_count: 0
    .wavefront_size: 32
  - .args:
      - .offset:         0
        .size:           112
        .value_kind:     by_value
    .group_segment_fixed_size: 0
    .kernarg_segment_align: 8
    .kernarg_segment_size: 112
    .language:       OpenCL C
    .language_version:
      - 2
      - 0
    .max_flat_workgroup_size: 256
    .name:           _ZN7rocprim17ROCPRIM_400000_NS6detail17trampoline_kernelINS0_14default_configENS1_27scan_by_key_config_selectorIifEEZZNS1_16scan_by_key_implILNS1_25lookback_scan_determinismE0ELb1ES3_N6thrust23THRUST_200600_302600_NS6detail15normal_iteratorINS9_10device_ptrIiEEEENSB_INSC_IjEEEESE_fNS9_4plusIvEENS9_8equal_toIvEEfEE10hipError_tPvRmT2_T3_T4_T5_mT6_T7_P12ihipStream_tbENKUlT_T0_E_clISt17integral_constantIbLb0EES11_EEDaSW_SX_EUlSW_E_NS1_11comp_targetILNS1_3genE3ELNS1_11target_archE908ELNS1_3gpuE7ELNS1_3repE0EEENS1_30default_config_static_selectorELNS0_4arch9wavefront6targetE0EEEvT1_
    .private_segment_fixed_size: 0
    .sgpr_count:     0
    .sgpr_spill_count: 0
    .symbol:         _ZN7rocprim17ROCPRIM_400000_NS6detail17trampoline_kernelINS0_14default_configENS1_27scan_by_key_config_selectorIifEEZZNS1_16scan_by_key_implILNS1_25lookback_scan_determinismE0ELb1ES3_N6thrust23THRUST_200600_302600_NS6detail15normal_iteratorINS9_10device_ptrIiEEEENSB_INSC_IjEEEESE_fNS9_4plusIvEENS9_8equal_toIvEEfEE10hipError_tPvRmT2_T3_T4_T5_mT6_T7_P12ihipStream_tbENKUlT_T0_E_clISt17integral_constantIbLb0EES11_EEDaSW_SX_EUlSW_E_NS1_11comp_targetILNS1_3genE3ELNS1_11target_archE908ELNS1_3gpuE7ELNS1_3repE0EEENS1_30default_config_static_selectorELNS0_4arch9wavefront6targetE0EEEvT1_.kd
    .uniform_work_group_size: 1
    .uses_dynamic_stack: false
    .vgpr_count:     0
    .vgpr_spill_count: 0
    .wavefront_size: 32
  - .args:
      - .offset:         0
        .size:           112
        .value_kind:     by_value
    .group_segment_fixed_size: 0
    .kernarg_segment_align: 8
    .kernarg_segment_size: 112
    .language:       OpenCL C
    .language_version:
      - 2
      - 0
    .max_flat_workgroup_size: 256
    .name:           _ZN7rocprim17ROCPRIM_400000_NS6detail17trampoline_kernelINS0_14default_configENS1_27scan_by_key_config_selectorIifEEZZNS1_16scan_by_key_implILNS1_25lookback_scan_determinismE0ELb1ES3_N6thrust23THRUST_200600_302600_NS6detail15normal_iteratorINS9_10device_ptrIiEEEENSB_INSC_IjEEEESE_fNS9_4plusIvEENS9_8equal_toIvEEfEE10hipError_tPvRmT2_T3_T4_T5_mT6_T7_P12ihipStream_tbENKUlT_T0_E_clISt17integral_constantIbLb0EES11_EEDaSW_SX_EUlSW_E_NS1_11comp_targetILNS1_3genE2ELNS1_11target_archE906ELNS1_3gpuE6ELNS1_3repE0EEENS1_30default_config_static_selectorELNS0_4arch9wavefront6targetE0EEEvT1_
    .private_segment_fixed_size: 0
    .sgpr_count:     0
    .sgpr_spill_count: 0
    .symbol:         _ZN7rocprim17ROCPRIM_400000_NS6detail17trampoline_kernelINS0_14default_configENS1_27scan_by_key_config_selectorIifEEZZNS1_16scan_by_key_implILNS1_25lookback_scan_determinismE0ELb1ES3_N6thrust23THRUST_200600_302600_NS6detail15normal_iteratorINS9_10device_ptrIiEEEENSB_INSC_IjEEEESE_fNS9_4plusIvEENS9_8equal_toIvEEfEE10hipError_tPvRmT2_T3_T4_T5_mT6_T7_P12ihipStream_tbENKUlT_T0_E_clISt17integral_constantIbLb0EES11_EEDaSW_SX_EUlSW_E_NS1_11comp_targetILNS1_3genE2ELNS1_11target_archE906ELNS1_3gpuE6ELNS1_3repE0EEENS1_30default_config_static_selectorELNS0_4arch9wavefront6targetE0EEEvT1_.kd
    .uniform_work_group_size: 1
    .uses_dynamic_stack: false
    .vgpr_count:     0
    .vgpr_spill_count: 0
    .wavefront_size: 32
  - .args:
      - .offset:         0
        .size:           112
        .value_kind:     by_value
    .group_segment_fixed_size: 0
    .kernarg_segment_align: 8
    .kernarg_segment_size: 112
    .language:       OpenCL C
    .language_version:
      - 2
      - 0
    .max_flat_workgroup_size: 256
    .name:           _ZN7rocprim17ROCPRIM_400000_NS6detail17trampoline_kernelINS0_14default_configENS1_27scan_by_key_config_selectorIifEEZZNS1_16scan_by_key_implILNS1_25lookback_scan_determinismE0ELb1ES3_N6thrust23THRUST_200600_302600_NS6detail15normal_iteratorINS9_10device_ptrIiEEEENSB_INSC_IjEEEESE_fNS9_4plusIvEENS9_8equal_toIvEEfEE10hipError_tPvRmT2_T3_T4_T5_mT6_T7_P12ihipStream_tbENKUlT_T0_E_clISt17integral_constantIbLb0EES11_EEDaSW_SX_EUlSW_E_NS1_11comp_targetILNS1_3genE10ELNS1_11target_archE1200ELNS1_3gpuE4ELNS1_3repE0EEENS1_30default_config_static_selectorELNS0_4arch9wavefront6targetE0EEEvT1_
    .private_segment_fixed_size: 0
    .sgpr_count:     0
    .sgpr_spill_count: 0
    .symbol:         _ZN7rocprim17ROCPRIM_400000_NS6detail17trampoline_kernelINS0_14default_configENS1_27scan_by_key_config_selectorIifEEZZNS1_16scan_by_key_implILNS1_25lookback_scan_determinismE0ELb1ES3_N6thrust23THRUST_200600_302600_NS6detail15normal_iteratorINS9_10device_ptrIiEEEENSB_INSC_IjEEEESE_fNS9_4plusIvEENS9_8equal_toIvEEfEE10hipError_tPvRmT2_T3_T4_T5_mT6_T7_P12ihipStream_tbENKUlT_T0_E_clISt17integral_constantIbLb0EES11_EEDaSW_SX_EUlSW_E_NS1_11comp_targetILNS1_3genE10ELNS1_11target_archE1200ELNS1_3gpuE4ELNS1_3repE0EEENS1_30default_config_static_selectorELNS0_4arch9wavefront6targetE0EEEvT1_.kd
    .uniform_work_group_size: 1
    .uses_dynamic_stack: false
    .vgpr_count:     0
    .vgpr_spill_count: 0
    .wavefront_size: 32
  - .args:
      - .offset:         0
        .size:           112
        .value_kind:     by_value
    .group_segment_fixed_size: 0
    .kernarg_segment_align: 8
    .kernarg_segment_size: 112
    .language:       OpenCL C
    .language_version:
      - 2
      - 0
    .max_flat_workgroup_size: 256
    .name:           _ZN7rocprim17ROCPRIM_400000_NS6detail17trampoline_kernelINS0_14default_configENS1_27scan_by_key_config_selectorIifEEZZNS1_16scan_by_key_implILNS1_25lookback_scan_determinismE0ELb1ES3_N6thrust23THRUST_200600_302600_NS6detail15normal_iteratorINS9_10device_ptrIiEEEENSB_INSC_IjEEEESE_fNS9_4plusIvEENS9_8equal_toIvEEfEE10hipError_tPvRmT2_T3_T4_T5_mT6_T7_P12ihipStream_tbENKUlT_T0_E_clISt17integral_constantIbLb0EES11_EEDaSW_SX_EUlSW_E_NS1_11comp_targetILNS1_3genE9ELNS1_11target_archE1100ELNS1_3gpuE3ELNS1_3repE0EEENS1_30default_config_static_selectorELNS0_4arch9wavefront6targetE0EEEvT1_
    .private_segment_fixed_size: 0
    .sgpr_count:     0
    .sgpr_spill_count: 0
    .symbol:         _ZN7rocprim17ROCPRIM_400000_NS6detail17trampoline_kernelINS0_14default_configENS1_27scan_by_key_config_selectorIifEEZZNS1_16scan_by_key_implILNS1_25lookback_scan_determinismE0ELb1ES3_N6thrust23THRUST_200600_302600_NS6detail15normal_iteratorINS9_10device_ptrIiEEEENSB_INSC_IjEEEESE_fNS9_4plusIvEENS9_8equal_toIvEEfEE10hipError_tPvRmT2_T3_T4_T5_mT6_T7_P12ihipStream_tbENKUlT_T0_E_clISt17integral_constantIbLb0EES11_EEDaSW_SX_EUlSW_E_NS1_11comp_targetILNS1_3genE9ELNS1_11target_archE1100ELNS1_3gpuE3ELNS1_3repE0EEENS1_30default_config_static_selectorELNS0_4arch9wavefront6targetE0EEEvT1_.kd
    .uniform_work_group_size: 1
    .uses_dynamic_stack: false
    .vgpr_count:     0
    .vgpr_spill_count: 0
    .wavefront_size: 32
  - .args:
      - .offset:         0
        .size:           112
        .value_kind:     by_value
    .group_segment_fixed_size: 0
    .kernarg_segment_align: 8
    .kernarg_segment_size: 112
    .language:       OpenCL C
    .language_version:
      - 2
      - 0
    .max_flat_workgroup_size: 256
    .name:           _ZN7rocprim17ROCPRIM_400000_NS6detail17trampoline_kernelINS0_14default_configENS1_27scan_by_key_config_selectorIifEEZZNS1_16scan_by_key_implILNS1_25lookback_scan_determinismE0ELb1ES3_N6thrust23THRUST_200600_302600_NS6detail15normal_iteratorINS9_10device_ptrIiEEEENSB_INSC_IjEEEESE_fNS9_4plusIvEENS9_8equal_toIvEEfEE10hipError_tPvRmT2_T3_T4_T5_mT6_T7_P12ihipStream_tbENKUlT_T0_E_clISt17integral_constantIbLb0EES11_EEDaSW_SX_EUlSW_E_NS1_11comp_targetILNS1_3genE8ELNS1_11target_archE1030ELNS1_3gpuE2ELNS1_3repE0EEENS1_30default_config_static_selectorELNS0_4arch9wavefront6targetE0EEEvT1_
    .private_segment_fixed_size: 0
    .sgpr_count:     0
    .sgpr_spill_count: 0
    .symbol:         _ZN7rocprim17ROCPRIM_400000_NS6detail17trampoline_kernelINS0_14default_configENS1_27scan_by_key_config_selectorIifEEZZNS1_16scan_by_key_implILNS1_25lookback_scan_determinismE0ELb1ES3_N6thrust23THRUST_200600_302600_NS6detail15normal_iteratorINS9_10device_ptrIiEEEENSB_INSC_IjEEEESE_fNS9_4plusIvEENS9_8equal_toIvEEfEE10hipError_tPvRmT2_T3_T4_T5_mT6_T7_P12ihipStream_tbENKUlT_T0_E_clISt17integral_constantIbLb0EES11_EEDaSW_SX_EUlSW_E_NS1_11comp_targetILNS1_3genE8ELNS1_11target_archE1030ELNS1_3gpuE2ELNS1_3repE0EEENS1_30default_config_static_selectorELNS0_4arch9wavefront6targetE0EEEvT1_.kd
    .uniform_work_group_size: 1
    .uses_dynamic_stack: false
    .vgpr_count:     0
    .vgpr_spill_count: 0
    .wavefront_size: 32
  - .args:
      - .offset:         0
        .size:           112
        .value_kind:     by_value
    .group_segment_fixed_size: 0
    .kernarg_segment_align: 8
    .kernarg_segment_size: 112
    .language:       OpenCL C
    .language_version:
      - 2
      - 0
    .max_flat_workgroup_size: 256
    .name:           _ZN7rocprim17ROCPRIM_400000_NS6detail17trampoline_kernelINS0_14default_configENS1_27scan_by_key_config_selectorIifEEZZNS1_16scan_by_key_implILNS1_25lookback_scan_determinismE0ELb1ES3_N6thrust23THRUST_200600_302600_NS6detail15normal_iteratorINS9_10device_ptrIiEEEENSB_INSC_IjEEEESE_fNS9_4plusIvEENS9_8equal_toIvEEfEE10hipError_tPvRmT2_T3_T4_T5_mT6_T7_P12ihipStream_tbENKUlT_T0_E_clISt17integral_constantIbLb1EES11_EEDaSW_SX_EUlSW_E_NS1_11comp_targetILNS1_3genE0ELNS1_11target_archE4294967295ELNS1_3gpuE0ELNS1_3repE0EEENS1_30default_config_static_selectorELNS0_4arch9wavefront6targetE0EEEvT1_
    .private_segment_fixed_size: 0
    .sgpr_count:     0
    .sgpr_spill_count: 0
    .symbol:         _ZN7rocprim17ROCPRIM_400000_NS6detail17trampoline_kernelINS0_14default_configENS1_27scan_by_key_config_selectorIifEEZZNS1_16scan_by_key_implILNS1_25lookback_scan_determinismE0ELb1ES3_N6thrust23THRUST_200600_302600_NS6detail15normal_iteratorINS9_10device_ptrIiEEEENSB_INSC_IjEEEESE_fNS9_4plusIvEENS9_8equal_toIvEEfEE10hipError_tPvRmT2_T3_T4_T5_mT6_T7_P12ihipStream_tbENKUlT_T0_E_clISt17integral_constantIbLb1EES11_EEDaSW_SX_EUlSW_E_NS1_11comp_targetILNS1_3genE0ELNS1_11target_archE4294967295ELNS1_3gpuE0ELNS1_3repE0EEENS1_30default_config_static_selectorELNS0_4arch9wavefront6targetE0EEEvT1_.kd
    .uniform_work_group_size: 1
    .uses_dynamic_stack: false
    .vgpr_count:     0
    .vgpr_spill_count: 0
    .wavefront_size: 32
  - .args:
      - .offset:         0
        .size:           112
        .value_kind:     by_value
    .group_segment_fixed_size: 0
    .kernarg_segment_align: 8
    .kernarg_segment_size: 112
    .language:       OpenCL C
    .language_version:
      - 2
      - 0
    .max_flat_workgroup_size: 256
    .name:           _ZN7rocprim17ROCPRIM_400000_NS6detail17trampoline_kernelINS0_14default_configENS1_27scan_by_key_config_selectorIifEEZZNS1_16scan_by_key_implILNS1_25lookback_scan_determinismE0ELb1ES3_N6thrust23THRUST_200600_302600_NS6detail15normal_iteratorINS9_10device_ptrIiEEEENSB_INSC_IjEEEESE_fNS9_4plusIvEENS9_8equal_toIvEEfEE10hipError_tPvRmT2_T3_T4_T5_mT6_T7_P12ihipStream_tbENKUlT_T0_E_clISt17integral_constantIbLb1EES11_EEDaSW_SX_EUlSW_E_NS1_11comp_targetILNS1_3genE10ELNS1_11target_archE1201ELNS1_3gpuE5ELNS1_3repE0EEENS1_30default_config_static_selectorELNS0_4arch9wavefront6targetE0EEEvT1_
    .private_segment_fixed_size: 0
    .sgpr_count:     0
    .sgpr_spill_count: 0
    .symbol:         _ZN7rocprim17ROCPRIM_400000_NS6detail17trampoline_kernelINS0_14default_configENS1_27scan_by_key_config_selectorIifEEZZNS1_16scan_by_key_implILNS1_25lookback_scan_determinismE0ELb1ES3_N6thrust23THRUST_200600_302600_NS6detail15normal_iteratorINS9_10device_ptrIiEEEENSB_INSC_IjEEEESE_fNS9_4plusIvEENS9_8equal_toIvEEfEE10hipError_tPvRmT2_T3_T4_T5_mT6_T7_P12ihipStream_tbENKUlT_T0_E_clISt17integral_constantIbLb1EES11_EEDaSW_SX_EUlSW_E_NS1_11comp_targetILNS1_3genE10ELNS1_11target_archE1201ELNS1_3gpuE5ELNS1_3repE0EEENS1_30default_config_static_selectorELNS0_4arch9wavefront6targetE0EEEvT1_.kd
    .uniform_work_group_size: 1
    .uses_dynamic_stack: false
    .vgpr_count:     0
    .vgpr_spill_count: 0
    .wavefront_size: 32
  - .args:
      - .offset:         0
        .size:           112
        .value_kind:     by_value
    .group_segment_fixed_size: 0
    .kernarg_segment_align: 8
    .kernarg_segment_size: 112
    .language:       OpenCL C
    .language_version:
      - 2
      - 0
    .max_flat_workgroup_size: 256
    .name:           _ZN7rocprim17ROCPRIM_400000_NS6detail17trampoline_kernelINS0_14default_configENS1_27scan_by_key_config_selectorIifEEZZNS1_16scan_by_key_implILNS1_25lookback_scan_determinismE0ELb1ES3_N6thrust23THRUST_200600_302600_NS6detail15normal_iteratorINS9_10device_ptrIiEEEENSB_INSC_IjEEEESE_fNS9_4plusIvEENS9_8equal_toIvEEfEE10hipError_tPvRmT2_T3_T4_T5_mT6_T7_P12ihipStream_tbENKUlT_T0_E_clISt17integral_constantIbLb1EES11_EEDaSW_SX_EUlSW_E_NS1_11comp_targetILNS1_3genE5ELNS1_11target_archE942ELNS1_3gpuE9ELNS1_3repE0EEENS1_30default_config_static_selectorELNS0_4arch9wavefront6targetE0EEEvT1_
    .private_segment_fixed_size: 0
    .sgpr_count:     0
    .sgpr_spill_count: 0
    .symbol:         _ZN7rocprim17ROCPRIM_400000_NS6detail17trampoline_kernelINS0_14default_configENS1_27scan_by_key_config_selectorIifEEZZNS1_16scan_by_key_implILNS1_25lookback_scan_determinismE0ELb1ES3_N6thrust23THRUST_200600_302600_NS6detail15normal_iteratorINS9_10device_ptrIiEEEENSB_INSC_IjEEEESE_fNS9_4plusIvEENS9_8equal_toIvEEfEE10hipError_tPvRmT2_T3_T4_T5_mT6_T7_P12ihipStream_tbENKUlT_T0_E_clISt17integral_constantIbLb1EES11_EEDaSW_SX_EUlSW_E_NS1_11comp_targetILNS1_3genE5ELNS1_11target_archE942ELNS1_3gpuE9ELNS1_3repE0EEENS1_30default_config_static_selectorELNS0_4arch9wavefront6targetE0EEEvT1_.kd
    .uniform_work_group_size: 1
    .uses_dynamic_stack: false
    .vgpr_count:     0
    .vgpr_spill_count: 0
    .wavefront_size: 32
  - .args:
      - .offset:         0
        .size:           112
        .value_kind:     by_value
    .group_segment_fixed_size: 0
    .kernarg_segment_align: 8
    .kernarg_segment_size: 112
    .language:       OpenCL C
    .language_version:
      - 2
      - 0
    .max_flat_workgroup_size: 256
    .name:           _ZN7rocprim17ROCPRIM_400000_NS6detail17trampoline_kernelINS0_14default_configENS1_27scan_by_key_config_selectorIifEEZZNS1_16scan_by_key_implILNS1_25lookback_scan_determinismE0ELb1ES3_N6thrust23THRUST_200600_302600_NS6detail15normal_iteratorINS9_10device_ptrIiEEEENSB_INSC_IjEEEESE_fNS9_4plusIvEENS9_8equal_toIvEEfEE10hipError_tPvRmT2_T3_T4_T5_mT6_T7_P12ihipStream_tbENKUlT_T0_E_clISt17integral_constantIbLb1EES11_EEDaSW_SX_EUlSW_E_NS1_11comp_targetILNS1_3genE4ELNS1_11target_archE910ELNS1_3gpuE8ELNS1_3repE0EEENS1_30default_config_static_selectorELNS0_4arch9wavefront6targetE0EEEvT1_
    .private_segment_fixed_size: 0
    .sgpr_count:     0
    .sgpr_spill_count: 0
    .symbol:         _ZN7rocprim17ROCPRIM_400000_NS6detail17trampoline_kernelINS0_14default_configENS1_27scan_by_key_config_selectorIifEEZZNS1_16scan_by_key_implILNS1_25lookback_scan_determinismE0ELb1ES3_N6thrust23THRUST_200600_302600_NS6detail15normal_iteratorINS9_10device_ptrIiEEEENSB_INSC_IjEEEESE_fNS9_4plusIvEENS9_8equal_toIvEEfEE10hipError_tPvRmT2_T3_T4_T5_mT6_T7_P12ihipStream_tbENKUlT_T0_E_clISt17integral_constantIbLb1EES11_EEDaSW_SX_EUlSW_E_NS1_11comp_targetILNS1_3genE4ELNS1_11target_archE910ELNS1_3gpuE8ELNS1_3repE0EEENS1_30default_config_static_selectorELNS0_4arch9wavefront6targetE0EEEvT1_.kd
    .uniform_work_group_size: 1
    .uses_dynamic_stack: false
    .vgpr_count:     0
    .vgpr_spill_count: 0
    .wavefront_size: 32
  - .args:
      - .offset:         0
        .size:           112
        .value_kind:     by_value
    .group_segment_fixed_size: 0
    .kernarg_segment_align: 8
    .kernarg_segment_size: 112
    .language:       OpenCL C
    .language_version:
      - 2
      - 0
    .max_flat_workgroup_size: 256
    .name:           _ZN7rocprim17ROCPRIM_400000_NS6detail17trampoline_kernelINS0_14default_configENS1_27scan_by_key_config_selectorIifEEZZNS1_16scan_by_key_implILNS1_25lookback_scan_determinismE0ELb1ES3_N6thrust23THRUST_200600_302600_NS6detail15normal_iteratorINS9_10device_ptrIiEEEENSB_INSC_IjEEEESE_fNS9_4plusIvEENS9_8equal_toIvEEfEE10hipError_tPvRmT2_T3_T4_T5_mT6_T7_P12ihipStream_tbENKUlT_T0_E_clISt17integral_constantIbLb1EES11_EEDaSW_SX_EUlSW_E_NS1_11comp_targetILNS1_3genE3ELNS1_11target_archE908ELNS1_3gpuE7ELNS1_3repE0EEENS1_30default_config_static_selectorELNS0_4arch9wavefront6targetE0EEEvT1_
    .private_segment_fixed_size: 0
    .sgpr_count:     0
    .sgpr_spill_count: 0
    .symbol:         _ZN7rocprim17ROCPRIM_400000_NS6detail17trampoline_kernelINS0_14default_configENS1_27scan_by_key_config_selectorIifEEZZNS1_16scan_by_key_implILNS1_25lookback_scan_determinismE0ELb1ES3_N6thrust23THRUST_200600_302600_NS6detail15normal_iteratorINS9_10device_ptrIiEEEENSB_INSC_IjEEEESE_fNS9_4plusIvEENS9_8equal_toIvEEfEE10hipError_tPvRmT2_T3_T4_T5_mT6_T7_P12ihipStream_tbENKUlT_T0_E_clISt17integral_constantIbLb1EES11_EEDaSW_SX_EUlSW_E_NS1_11comp_targetILNS1_3genE3ELNS1_11target_archE908ELNS1_3gpuE7ELNS1_3repE0EEENS1_30default_config_static_selectorELNS0_4arch9wavefront6targetE0EEEvT1_.kd
    .uniform_work_group_size: 1
    .uses_dynamic_stack: false
    .vgpr_count:     0
    .vgpr_spill_count: 0
    .wavefront_size: 32
  - .args:
      - .offset:         0
        .size:           112
        .value_kind:     by_value
    .group_segment_fixed_size: 0
    .kernarg_segment_align: 8
    .kernarg_segment_size: 112
    .language:       OpenCL C
    .language_version:
      - 2
      - 0
    .max_flat_workgroup_size: 256
    .name:           _ZN7rocprim17ROCPRIM_400000_NS6detail17trampoline_kernelINS0_14default_configENS1_27scan_by_key_config_selectorIifEEZZNS1_16scan_by_key_implILNS1_25lookback_scan_determinismE0ELb1ES3_N6thrust23THRUST_200600_302600_NS6detail15normal_iteratorINS9_10device_ptrIiEEEENSB_INSC_IjEEEESE_fNS9_4plusIvEENS9_8equal_toIvEEfEE10hipError_tPvRmT2_T3_T4_T5_mT6_T7_P12ihipStream_tbENKUlT_T0_E_clISt17integral_constantIbLb1EES11_EEDaSW_SX_EUlSW_E_NS1_11comp_targetILNS1_3genE2ELNS1_11target_archE906ELNS1_3gpuE6ELNS1_3repE0EEENS1_30default_config_static_selectorELNS0_4arch9wavefront6targetE0EEEvT1_
    .private_segment_fixed_size: 0
    .sgpr_count:     0
    .sgpr_spill_count: 0
    .symbol:         _ZN7rocprim17ROCPRIM_400000_NS6detail17trampoline_kernelINS0_14default_configENS1_27scan_by_key_config_selectorIifEEZZNS1_16scan_by_key_implILNS1_25lookback_scan_determinismE0ELb1ES3_N6thrust23THRUST_200600_302600_NS6detail15normal_iteratorINS9_10device_ptrIiEEEENSB_INSC_IjEEEESE_fNS9_4plusIvEENS9_8equal_toIvEEfEE10hipError_tPvRmT2_T3_T4_T5_mT6_T7_P12ihipStream_tbENKUlT_T0_E_clISt17integral_constantIbLb1EES11_EEDaSW_SX_EUlSW_E_NS1_11comp_targetILNS1_3genE2ELNS1_11target_archE906ELNS1_3gpuE6ELNS1_3repE0EEENS1_30default_config_static_selectorELNS0_4arch9wavefront6targetE0EEEvT1_.kd
    .uniform_work_group_size: 1
    .uses_dynamic_stack: false
    .vgpr_count:     0
    .vgpr_spill_count: 0
    .wavefront_size: 32
  - .args:
      - .offset:         0
        .size:           112
        .value_kind:     by_value
    .group_segment_fixed_size: 0
    .kernarg_segment_align: 8
    .kernarg_segment_size: 112
    .language:       OpenCL C
    .language_version:
      - 2
      - 0
    .max_flat_workgroup_size: 256
    .name:           _ZN7rocprim17ROCPRIM_400000_NS6detail17trampoline_kernelINS0_14default_configENS1_27scan_by_key_config_selectorIifEEZZNS1_16scan_by_key_implILNS1_25lookback_scan_determinismE0ELb1ES3_N6thrust23THRUST_200600_302600_NS6detail15normal_iteratorINS9_10device_ptrIiEEEENSB_INSC_IjEEEESE_fNS9_4plusIvEENS9_8equal_toIvEEfEE10hipError_tPvRmT2_T3_T4_T5_mT6_T7_P12ihipStream_tbENKUlT_T0_E_clISt17integral_constantIbLb1EES11_EEDaSW_SX_EUlSW_E_NS1_11comp_targetILNS1_3genE10ELNS1_11target_archE1200ELNS1_3gpuE4ELNS1_3repE0EEENS1_30default_config_static_selectorELNS0_4arch9wavefront6targetE0EEEvT1_
    .private_segment_fixed_size: 0
    .sgpr_count:     0
    .sgpr_spill_count: 0
    .symbol:         _ZN7rocprim17ROCPRIM_400000_NS6detail17trampoline_kernelINS0_14default_configENS1_27scan_by_key_config_selectorIifEEZZNS1_16scan_by_key_implILNS1_25lookback_scan_determinismE0ELb1ES3_N6thrust23THRUST_200600_302600_NS6detail15normal_iteratorINS9_10device_ptrIiEEEENSB_INSC_IjEEEESE_fNS9_4plusIvEENS9_8equal_toIvEEfEE10hipError_tPvRmT2_T3_T4_T5_mT6_T7_P12ihipStream_tbENKUlT_T0_E_clISt17integral_constantIbLb1EES11_EEDaSW_SX_EUlSW_E_NS1_11comp_targetILNS1_3genE10ELNS1_11target_archE1200ELNS1_3gpuE4ELNS1_3repE0EEENS1_30default_config_static_selectorELNS0_4arch9wavefront6targetE0EEEvT1_.kd
    .uniform_work_group_size: 1
    .uses_dynamic_stack: false
    .vgpr_count:     0
    .vgpr_spill_count: 0
    .wavefront_size: 32
  - .args:
      - .offset:         0
        .size:           112
        .value_kind:     by_value
    .group_segment_fixed_size: 0
    .kernarg_segment_align: 8
    .kernarg_segment_size: 112
    .language:       OpenCL C
    .language_version:
      - 2
      - 0
    .max_flat_workgroup_size: 256
    .name:           _ZN7rocprim17ROCPRIM_400000_NS6detail17trampoline_kernelINS0_14default_configENS1_27scan_by_key_config_selectorIifEEZZNS1_16scan_by_key_implILNS1_25lookback_scan_determinismE0ELb1ES3_N6thrust23THRUST_200600_302600_NS6detail15normal_iteratorINS9_10device_ptrIiEEEENSB_INSC_IjEEEESE_fNS9_4plusIvEENS9_8equal_toIvEEfEE10hipError_tPvRmT2_T3_T4_T5_mT6_T7_P12ihipStream_tbENKUlT_T0_E_clISt17integral_constantIbLb1EES11_EEDaSW_SX_EUlSW_E_NS1_11comp_targetILNS1_3genE9ELNS1_11target_archE1100ELNS1_3gpuE3ELNS1_3repE0EEENS1_30default_config_static_selectorELNS0_4arch9wavefront6targetE0EEEvT1_
    .private_segment_fixed_size: 0
    .sgpr_count:     0
    .sgpr_spill_count: 0
    .symbol:         _ZN7rocprim17ROCPRIM_400000_NS6detail17trampoline_kernelINS0_14default_configENS1_27scan_by_key_config_selectorIifEEZZNS1_16scan_by_key_implILNS1_25lookback_scan_determinismE0ELb1ES3_N6thrust23THRUST_200600_302600_NS6detail15normal_iteratorINS9_10device_ptrIiEEEENSB_INSC_IjEEEESE_fNS9_4plusIvEENS9_8equal_toIvEEfEE10hipError_tPvRmT2_T3_T4_T5_mT6_T7_P12ihipStream_tbENKUlT_T0_E_clISt17integral_constantIbLb1EES11_EEDaSW_SX_EUlSW_E_NS1_11comp_targetILNS1_3genE9ELNS1_11target_archE1100ELNS1_3gpuE3ELNS1_3repE0EEENS1_30default_config_static_selectorELNS0_4arch9wavefront6targetE0EEEvT1_.kd
    .uniform_work_group_size: 1
    .uses_dynamic_stack: false
    .vgpr_count:     0
    .vgpr_spill_count: 0
    .wavefront_size: 32
  - .args:
      - .offset:         0
        .size:           112
        .value_kind:     by_value
    .group_segment_fixed_size: 0
    .kernarg_segment_align: 8
    .kernarg_segment_size: 112
    .language:       OpenCL C
    .language_version:
      - 2
      - 0
    .max_flat_workgroup_size: 256
    .name:           _ZN7rocprim17ROCPRIM_400000_NS6detail17trampoline_kernelINS0_14default_configENS1_27scan_by_key_config_selectorIifEEZZNS1_16scan_by_key_implILNS1_25lookback_scan_determinismE0ELb1ES3_N6thrust23THRUST_200600_302600_NS6detail15normal_iteratorINS9_10device_ptrIiEEEENSB_INSC_IjEEEESE_fNS9_4plusIvEENS9_8equal_toIvEEfEE10hipError_tPvRmT2_T3_T4_T5_mT6_T7_P12ihipStream_tbENKUlT_T0_E_clISt17integral_constantIbLb1EES11_EEDaSW_SX_EUlSW_E_NS1_11comp_targetILNS1_3genE8ELNS1_11target_archE1030ELNS1_3gpuE2ELNS1_3repE0EEENS1_30default_config_static_selectorELNS0_4arch9wavefront6targetE0EEEvT1_
    .private_segment_fixed_size: 0
    .sgpr_count:     0
    .sgpr_spill_count: 0
    .symbol:         _ZN7rocprim17ROCPRIM_400000_NS6detail17trampoline_kernelINS0_14default_configENS1_27scan_by_key_config_selectorIifEEZZNS1_16scan_by_key_implILNS1_25lookback_scan_determinismE0ELb1ES3_N6thrust23THRUST_200600_302600_NS6detail15normal_iteratorINS9_10device_ptrIiEEEENSB_INSC_IjEEEESE_fNS9_4plusIvEENS9_8equal_toIvEEfEE10hipError_tPvRmT2_T3_T4_T5_mT6_T7_P12ihipStream_tbENKUlT_T0_E_clISt17integral_constantIbLb1EES11_EEDaSW_SX_EUlSW_E_NS1_11comp_targetILNS1_3genE8ELNS1_11target_archE1030ELNS1_3gpuE2ELNS1_3repE0EEENS1_30default_config_static_selectorELNS0_4arch9wavefront6targetE0EEEvT1_.kd
    .uniform_work_group_size: 1
    .uses_dynamic_stack: false
    .vgpr_count:     0
    .vgpr_spill_count: 0
    .wavefront_size: 32
  - .args:
      - .offset:         0
        .size:           112
        .value_kind:     by_value
    .group_segment_fixed_size: 0
    .kernarg_segment_align: 8
    .kernarg_segment_size: 112
    .language:       OpenCL C
    .language_version:
      - 2
      - 0
    .max_flat_workgroup_size: 256
    .name:           _ZN7rocprim17ROCPRIM_400000_NS6detail17trampoline_kernelINS0_14default_configENS1_27scan_by_key_config_selectorIifEEZZNS1_16scan_by_key_implILNS1_25lookback_scan_determinismE0ELb1ES3_N6thrust23THRUST_200600_302600_NS6detail15normal_iteratorINS9_10device_ptrIiEEEENSB_INSC_IjEEEESE_fNS9_4plusIvEENS9_8equal_toIvEEfEE10hipError_tPvRmT2_T3_T4_T5_mT6_T7_P12ihipStream_tbENKUlT_T0_E_clISt17integral_constantIbLb1EES10_IbLb0EEEEDaSW_SX_EUlSW_E_NS1_11comp_targetILNS1_3genE0ELNS1_11target_archE4294967295ELNS1_3gpuE0ELNS1_3repE0EEENS1_30default_config_static_selectorELNS0_4arch9wavefront6targetE0EEEvT1_
    .private_segment_fixed_size: 0
    .sgpr_count:     0
    .sgpr_spill_count: 0
    .symbol:         _ZN7rocprim17ROCPRIM_400000_NS6detail17trampoline_kernelINS0_14default_configENS1_27scan_by_key_config_selectorIifEEZZNS1_16scan_by_key_implILNS1_25lookback_scan_determinismE0ELb1ES3_N6thrust23THRUST_200600_302600_NS6detail15normal_iteratorINS9_10device_ptrIiEEEENSB_INSC_IjEEEESE_fNS9_4plusIvEENS9_8equal_toIvEEfEE10hipError_tPvRmT2_T3_T4_T5_mT6_T7_P12ihipStream_tbENKUlT_T0_E_clISt17integral_constantIbLb1EES10_IbLb0EEEEDaSW_SX_EUlSW_E_NS1_11comp_targetILNS1_3genE0ELNS1_11target_archE4294967295ELNS1_3gpuE0ELNS1_3repE0EEENS1_30default_config_static_selectorELNS0_4arch9wavefront6targetE0EEEvT1_.kd
    .uniform_work_group_size: 1
    .uses_dynamic_stack: false
    .vgpr_count:     0
    .vgpr_spill_count: 0
    .wavefront_size: 32
  - .args:
      - .offset:         0
        .size:           112
        .value_kind:     by_value
    .group_segment_fixed_size: 0
    .kernarg_segment_align: 8
    .kernarg_segment_size: 112
    .language:       OpenCL C
    .language_version:
      - 2
      - 0
    .max_flat_workgroup_size: 256
    .name:           _ZN7rocprim17ROCPRIM_400000_NS6detail17trampoline_kernelINS0_14default_configENS1_27scan_by_key_config_selectorIifEEZZNS1_16scan_by_key_implILNS1_25lookback_scan_determinismE0ELb1ES3_N6thrust23THRUST_200600_302600_NS6detail15normal_iteratorINS9_10device_ptrIiEEEENSB_INSC_IjEEEESE_fNS9_4plusIvEENS9_8equal_toIvEEfEE10hipError_tPvRmT2_T3_T4_T5_mT6_T7_P12ihipStream_tbENKUlT_T0_E_clISt17integral_constantIbLb1EES10_IbLb0EEEEDaSW_SX_EUlSW_E_NS1_11comp_targetILNS1_3genE10ELNS1_11target_archE1201ELNS1_3gpuE5ELNS1_3repE0EEENS1_30default_config_static_selectorELNS0_4arch9wavefront6targetE0EEEvT1_
    .private_segment_fixed_size: 0
    .sgpr_count:     0
    .sgpr_spill_count: 0
    .symbol:         _ZN7rocprim17ROCPRIM_400000_NS6detail17trampoline_kernelINS0_14default_configENS1_27scan_by_key_config_selectorIifEEZZNS1_16scan_by_key_implILNS1_25lookback_scan_determinismE0ELb1ES3_N6thrust23THRUST_200600_302600_NS6detail15normal_iteratorINS9_10device_ptrIiEEEENSB_INSC_IjEEEESE_fNS9_4plusIvEENS9_8equal_toIvEEfEE10hipError_tPvRmT2_T3_T4_T5_mT6_T7_P12ihipStream_tbENKUlT_T0_E_clISt17integral_constantIbLb1EES10_IbLb0EEEEDaSW_SX_EUlSW_E_NS1_11comp_targetILNS1_3genE10ELNS1_11target_archE1201ELNS1_3gpuE5ELNS1_3repE0EEENS1_30default_config_static_selectorELNS0_4arch9wavefront6targetE0EEEvT1_.kd
    .uniform_work_group_size: 1
    .uses_dynamic_stack: false
    .vgpr_count:     0
    .vgpr_spill_count: 0
    .wavefront_size: 32
  - .args:
      - .offset:         0
        .size:           112
        .value_kind:     by_value
    .group_segment_fixed_size: 0
    .kernarg_segment_align: 8
    .kernarg_segment_size: 112
    .language:       OpenCL C
    .language_version:
      - 2
      - 0
    .max_flat_workgroup_size: 256
    .name:           _ZN7rocprim17ROCPRIM_400000_NS6detail17trampoline_kernelINS0_14default_configENS1_27scan_by_key_config_selectorIifEEZZNS1_16scan_by_key_implILNS1_25lookback_scan_determinismE0ELb1ES3_N6thrust23THRUST_200600_302600_NS6detail15normal_iteratorINS9_10device_ptrIiEEEENSB_INSC_IjEEEESE_fNS9_4plusIvEENS9_8equal_toIvEEfEE10hipError_tPvRmT2_T3_T4_T5_mT6_T7_P12ihipStream_tbENKUlT_T0_E_clISt17integral_constantIbLb1EES10_IbLb0EEEEDaSW_SX_EUlSW_E_NS1_11comp_targetILNS1_3genE5ELNS1_11target_archE942ELNS1_3gpuE9ELNS1_3repE0EEENS1_30default_config_static_selectorELNS0_4arch9wavefront6targetE0EEEvT1_
    .private_segment_fixed_size: 0
    .sgpr_count:     0
    .sgpr_spill_count: 0
    .symbol:         _ZN7rocprim17ROCPRIM_400000_NS6detail17trampoline_kernelINS0_14default_configENS1_27scan_by_key_config_selectorIifEEZZNS1_16scan_by_key_implILNS1_25lookback_scan_determinismE0ELb1ES3_N6thrust23THRUST_200600_302600_NS6detail15normal_iteratorINS9_10device_ptrIiEEEENSB_INSC_IjEEEESE_fNS9_4plusIvEENS9_8equal_toIvEEfEE10hipError_tPvRmT2_T3_T4_T5_mT6_T7_P12ihipStream_tbENKUlT_T0_E_clISt17integral_constantIbLb1EES10_IbLb0EEEEDaSW_SX_EUlSW_E_NS1_11comp_targetILNS1_3genE5ELNS1_11target_archE942ELNS1_3gpuE9ELNS1_3repE0EEENS1_30default_config_static_selectorELNS0_4arch9wavefront6targetE0EEEvT1_.kd
    .uniform_work_group_size: 1
    .uses_dynamic_stack: false
    .vgpr_count:     0
    .vgpr_spill_count: 0
    .wavefront_size: 32
  - .args:
      - .offset:         0
        .size:           112
        .value_kind:     by_value
    .group_segment_fixed_size: 0
    .kernarg_segment_align: 8
    .kernarg_segment_size: 112
    .language:       OpenCL C
    .language_version:
      - 2
      - 0
    .max_flat_workgroup_size: 256
    .name:           _ZN7rocprim17ROCPRIM_400000_NS6detail17trampoline_kernelINS0_14default_configENS1_27scan_by_key_config_selectorIifEEZZNS1_16scan_by_key_implILNS1_25lookback_scan_determinismE0ELb1ES3_N6thrust23THRUST_200600_302600_NS6detail15normal_iteratorINS9_10device_ptrIiEEEENSB_INSC_IjEEEESE_fNS9_4plusIvEENS9_8equal_toIvEEfEE10hipError_tPvRmT2_T3_T4_T5_mT6_T7_P12ihipStream_tbENKUlT_T0_E_clISt17integral_constantIbLb1EES10_IbLb0EEEEDaSW_SX_EUlSW_E_NS1_11comp_targetILNS1_3genE4ELNS1_11target_archE910ELNS1_3gpuE8ELNS1_3repE0EEENS1_30default_config_static_selectorELNS0_4arch9wavefront6targetE0EEEvT1_
    .private_segment_fixed_size: 0
    .sgpr_count:     0
    .sgpr_spill_count: 0
    .symbol:         _ZN7rocprim17ROCPRIM_400000_NS6detail17trampoline_kernelINS0_14default_configENS1_27scan_by_key_config_selectorIifEEZZNS1_16scan_by_key_implILNS1_25lookback_scan_determinismE0ELb1ES3_N6thrust23THRUST_200600_302600_NS6detail15normal_iteratorINS9_10device_ptrIiEEEENSB_INSC_IjEEEESE_fNS9_4plusIvEENS9_8equal_toIvEEfEE10hipError_tPvRmT2_T3_T4_T5_mT6_T7_P12ihipStream_tbENKUlT_T0_E_clISt17integral_constantIbLb1EES10_IbLb0EEEEDaSW_SX_EUlSW_E_NS1_11comp_targetILNS1_3genE4ELNS1_11target_archE910ELNS1_3gpuE8ELNS1_3repE0EEENS1_30default_config_static_selectorELNS0_4arch9wavefront6targetE0EEEvT1_.kd
    .uniform_work_group_size: 1
    .uses_dynamic_stack: false
    .vgpr_count:     0
    .vgpr_spill_count: 0
    .wavefront_size: 32
  - .args:
      - .offset:         0
        .size:           112
        .value_kind:     by_value
    .group_segment_fixed_size: 0
    .kernarg_segment_align: 8
    .kernarg_segment_size: 112
    .language:       OpenCL C
    .language_version:
      - 2
      - 0
    .max_flat_workgroup_size: 256
    .name:           _ZN7rocprim17ROCPRIM_400000_NS6detail17trampoline_kernelINS0_14default_configENS1_27scan_by_key_config_selectorIifEEZZNS1_16scan_by_key_implILNS1_25lookback_scan_determinismE0ELb1ES3_N6thrust23THRUST_200600_302600_NS6detail15normal_iteratorINS9_10device_ptrIiEEEENSB_INSC_IjEEEESE_fNS9_4plusIvEENS9_8equal_toIvEEfEE10hipError_tPvRmT2_T3_T4_T5_mT6_T7_P12ihipStream_tbENKUlT_T0_E_clISt17integral_constantIbLb1EES10_IbLb0EEEEDaSW_SX_EUlSW_E_NS1_11comp_targetILNS1_3genE3ELNS1_11target_archE908ELNS1_3gpuE7ELNS1_3repE0EEENS1_30default_config_static_selectorELNS0_4arch9wavefront6targetE0EEEvT1_
    .private_segment_fixed_size: 0
    .sgpr_count:     0
    .sgpr_spill_count: 0
    .symbol:         _ZN7rocprim17ROCPRIM_400000_NS6detail17trampoline_kernelINS0_14default_configENS1_27scan_by_key_config_selectorIifEEZZNS1_16scan_by_key_implILNS1_25lookback_scan_determinismE0ELb1ES3_N6thrust23THRUST_200600_302600_NS6detail15normal_iteratorINS9_10device_ptrIiEEEENSB_INSC_IjEEEESE_fNS9_4plusIvEENS9_8equal_toIvEEfEE10hipError_tPvRmT2_T3_T4_T5_mT6_T7_P12ihipStream_tbENKUlT_T0_E_clISt17integral_constantIbLb1EES10_IbLb0EEEEDaSW_SX_EUlSW_E_NS1_11comp_targetILNS1_3genE3ELNS1_11target_archE908ELNS1_3gpuE7ELNS1_3repE0EEENS1_30default_config_static_selectorELNS0_4arch9wavefront6targetE0EEEvT1_.kd
    .uniform_work_group_size: 1
    .uses_dynamic_stack: false
    .vgpr_count:     0
    .vgpr_spill_count: 0
    .wavefront_size: 32
  - .args:
      - .offset:         0
        .size:           112
        .value_kind:     by_value
    .group_segment_fixed_size: 0
    .kernarg_segment_align: 8
    .kernarg_segment_size: 112
    .language:       OpenCL C
    .language_version:
      - 2
      - 0
    .max_flat_workgroup_size: 256
    .name:           _ZN7rocprim17ROCPRIM_400000_NS6detail17trampoline_kernelINS0_14default_configENS1_27scan_by_key_config_selectorIifEEZZNS1_16scan_by_key_implILNS1_25lookback_scan_determinismE0ELb1ES3_N6thrust23THRUST_200600_302600_NS6detail15normal_iteratorINS9_10device_ptrIiEEEENSB_INSC_IjEEEESE_fNS9_4plusIvEENS9_8equal_toIvEEfEE10hipError_tPvRmT2_T3_T4_T5_mT6_T7_P12ihipStream_tbENKUlT_T0_E_clISt17integral_constantIbLb1EES10_IbLb0EEEEDaSW_SX_EUlSW_E_NS1_11comp_targetILNS1_3genE2ELNS1_11target_archE906ELNS1_3gpuE6ELNS1_3repE0EEENS1_30default_config_static_selectorELNS0_4arch9wavefront6targetE0EEEvT1_
    .private_segment_fixed_size: 0
    .sgpr_count:     0
    .sgpr_spill_count: 0
    .symbol:         _ZN7rocprim17ROCPRIM_400000_NS6detail17trampoline_kernelINS0_14default_configENS1_27scan_by_key_config_selectorIifEEZZNS1_16scan_by_key_implILNS1_25lookback_scan_determinismE0ELb1ES3_N6thrust23THRUST_200600_302600_NS6detail15normal_iteratorINS9_10device_ptrIiEEEENSB_INSC_IjEEEESE_fNS9_4plusIvEENS9_8equal_toIvEEfEE10hipError_tPvRmT2_T3_T4_T5_mT6_T7_P12ihipStream_tbENKUlT_T0_E_clISt17integral_constantIbLb1EES10_IbLb0EEEEDaSW_SX_EUlSW_E_NS1_11comp_targetILNS1_3genE2ELNS1_11target_archE906ELNS1_3gpuE6ELNS1_3repE0EEENS1_30default_config_static_selectorELNS0_4arch9wavefront6targetE0EEEvT1_.kd
    .uniform_work_group_size: 1
    .uses_dynamic_stack: false
    .vgpr_count:     0
    .vgpr_spill_count: 0
    .wavefront_size: 32
  - .args:
      - .offset:         0
        .size:           112
        .value_kind:     by_value
    .group_segment_fixed_size: 0
    .kernarg_segment_align: 8
    .kernarg_segment_size: 112
    .language:       OpenCL C
    .language_version:
      - 2
      - 0
    .max_flat_workgroup_size: 256
    .name:           _ZN7rocprim17ROCPRIM_400000_NS6detail17trampoline_kernelINS0_14default_configENS1_27scan_by_key_config_selectorIifEEZZNS1_16scan_by_key_implILNS1_25lookback_scan_determinismE0ELb1ES3_N6thrust23THRUST_200600_302600_NS6detail15normal_iteratorINS9_10device_ptrIiEEEENSB_INSC_IjEEEESE_fNS9_4plusIvEENS9_8equal_toIvEEfEE10hipError_tPvRmT2_T3_T4_T5_mT6_T7_P12ihipStream_tbENKUlT_T0_E_clISt17integral_constantIbLb1EES10_IbLb0EEEEDaSW_SX_EUlSW_E_NS1_11comp_targetILNS1_3genE10ELNS1_11target_archE1200ELNS1_3gpuE4ELNS1_3repE0EEENS1_30default_config_static_selectorELNS0_4arch9wavefront6targetE0EEEvT1_
    .private_segment_fixed_size: 0
    .sgpr_count:     0
    .sgpr_spill_count: 0
    .symbol:         _ZN7rocprim17ROCPRIM_400000_NS6detail17trampoline_kernelINS0_14default_configENS1_27scan_by_key_config_selectorIifEEZZNS1_16scan_by_key_implILNS1_25lookback_scan_determinismE0ELb1ES3_N6thrust23THRUST_200600_302600_NS6detail15normal_iteratorINS9_10device_ptrIiEEEENSB_INSC_IjEEEESE_fNS9_4plusIvEENS9_8equal_toIvEEfEE10hipError_tPvRmT2_T3_T4_T5_mT6_T7_P12ihipStream_tbENKUlT_T0_E_clISt17integral_constantIbLb1EES10_IbLb0EEEEDaSW_SX_EUlSW_E_NS1_11comp_targetILNS1_3genE10ELNS1_11target_archE1200ELNS1_3gpuE4ELNS1_3repE0EEENS1_30default_config_static_selectorELNS0_4arch9wavefront6targetE0EEEvT1_.kd
    .uniform_work_group_size: 1
    .uses_dynamic_stack: false
    .vgpr_count:     0
    .vgpr_spill_count: 0
    .wavefront_size: 32
  - .args:
      - .offset:         0
        .size:           112
        .value_kind:     by_value
    .group_segment_fixed_size: 0
    .kernarg_segment_align: 8
    .kernarg_segment_size: 112
    .language:       OpenCL C
    .language_version:
      - 2
      - 0
    .max_flat_workgroup_size: 256
    .name:           _ZN7rocprim17ROCPRIM_400000_NS6detail17trampoline_kernelINS0_14default_configENS1_27scan_by_key_config_selectorIifEEZZNS1_16scan_by_key_implILNS1_25lookback_scan_determinismE0ELb1ES3_N6thrust23THRUST_200600_302600_NS6detail15normal_iteratorINS9_10device_ptrIiEEEENSB_INSC_IjEEEESE_fNS9_4plusIvEENS9_8equal_toIvEEfEE10hipError_tPvRmT2_T3_T4_T5_mT6_T7_P12ihipStream_tbENKUlT_T0_E_clISt17integral_constantIbLb1EES10_IbLb0EEEEDaSW_SX_EUlSW_E_NS1_11comp_targetILNS1_3genE9ELNS1_11target_archE1100ELNS1_3gpuE3ELNS1_3repE0EEENS1_30default_config_static_selectorELNS0_4arch9wavefront6targetE0EEEvT1_
    .private_segment_fixed_size: 0
    .sgpr_count:     0
    .sgpr_spill_count: 0
    .symbol:         _ZN7rocprim17ROCPRIM_400000_NS6detail17trampoline_kernelINS0_14default_configENS1_27scan_by_key_config_selectorIifEEZZNS1_16scan_by_key_implILNS1_25lookback_scan_determinismE0ELb1ES3_N6thrust23THRUST_200600_302600_NS6detail15normal_iteratorINS9_10device_ptrIiEEEENSB_INSC_IjEEEESE_fNS9_4plusIvEENS9_8equal_toIvEEfEE10hipError_tPvRmT2_T3_T4_T5_mT6_T7_P12ihipStream_tbENKUlT_T0_E_clISt17integral_constantIbLb1EES10_IbLb0EEEEDaSW_SX_EUlSW_E_NS1_11comp_targetILNS1_3genE9ELNS1_11target_archE1100ELNS1_3gpuE3ELNS1_3repE0EEENS1_30default_config_static_selectorELNS0_4arch9wavefront6targetE0EEEvT1_.kd
    .uniform_work_group_size: 1
    .uses_dynamic_stack: false
    .vgpr_count:     0
    .vgpr_spill_count: 0
    .wavefront_size: 32
  - .args:
      - .offset:         0
        .size:           112
        .value_kind:     by_value
    .group_segment_fixed_size: 0
    .kernarg_segment_align: 8
    .kernarg_segment_size: 112
    .language:       OpenCL C
    .language_version:
      - 2
      - 0
    .max_flat_workgroup_size: 256
    .name:           _ZN7rocprim17ROCPRIM_400000_NS6detail17trampoline_kernelINS0_14default_configENS1_27scan_by_key_config_selectorIifEEZZNS1_16scan_by_key_implILNS1_25lookback_scan_determinismE0ELb1ES3_N6thrust23THRUST_200600_302600_NS6detail15normal_iteratorINS9_10device_ptrIiEEEENSB_INSC_IjEEEESE_fNS9_4plusIvEENS9_8equal_toIvEEfEE10hipError_tPvRmT2_T3_T4_T5_mT6_T7_P12ihipStream_tbENKUlT_T0_E_clISt17integral_constantIbLb1EES10_IbLb0EEEEDaSW_SX_EUlSW_E_NS1_11comp_targetILNS1_3genE8ELNS1_11target_archE1030ELNS1_3gpuE2ELNS1_3repE0EEENS1_30default_config_static_selectorELNS0_4arch9wavefront6targetE0EEEvT1_
    .private_segment_fixed_size: 0
    .sgpr_count:     0
    .sgpr_spill_count: 0
    .symbol:         _ZN7rocprim17ROCPRIM_400000_NS6detail17trampoline_kernelINS0_14default_configENS1_27scan_by_key_config_selectorIifEEZZNS1_16scan_by_key_implILNS1_25lookback_scan_determinismE0ELb1ES3_N6thrust23THRUST_200600_302600_NS6detail15normal_iteratorINS9_10device_ptrIiEEEENSB_INSC_IjEEEESE_fNS9_4plusIvEENS9_8equal_toIvEEfEE10hipError_tPvRmT2_T3_T4_T5_mT6_T7_P12ihipStream_tbENKUlT_T0_E_clISt17integral_constantIbLb1EES10_IbLb0EEEEDaSW_SX_EUlSW_E_NS1_11comp_targetILNS1_3genE8ELNS1_11target_archE1030ELNS1_3gpuE2ELNS1_3repE0EEENS1_30default_config_static_selectorELNS0_4arch9wavefront6targetE0EEEvT1_.kd
    .uniform_work_group_size: 1
    .uses_dynamic_stack: false
    .vgpr_count:     0
    .vgpr_spill_count: 0
    .wavefront_size: 32
  - .args:
      - .offset:         0
        .size:           112
        .value_kind:     by_value
    .group_segment_fixed_size: 14336
    .kernarg_segment_align: 8
    .kernarg_segment_size: 112
    .language:       OpenCL C
    .language_version:
      - 2
      - 0
    .max_flat_workgroup_size: 256
    .name:           _ZN7rocprim17ROCPRIM_400000_NS6detail17trampoline_kernelINS0_14default_configENS1_27scan_by_key_config_selectorIifEEZZNS1_16scan_by_key_implILNS1_25lookback_scan_determinismE0ELb1ES3_N6thrust23THRUST_200600_302600_NS6detail15normal_iteratorINS9_10device_ptrIiEEEENSB_INSC_IjEEEESE_fNS9_4plusIvEENS9_8equal_toIvEEfEE10hipError_tPvRmT2_T3_T4_T5_mT6_T7_P12ihipStream_tbENKUlT_T0_E_clISt17integral_constantIbLb0EES10_IbLb1EEEEDaSW_SX_EUlSW_E_NS1_11comp_targetILNS1_3genE0ELNS1_11target_archE4294967295ELNS1_3gpuE0ELNS1_3repE0EEENS1_30default_config_static_selectorELNS0_4arch9wavefront6targetE0EEEvT1_
    .private_segment_fixed_size: 0
    .sgpr_count:     52
    .sgpr_spill_count: 0
    .symbol:         _ZN7rocprim17ROCPRIM_400000_NS6detail17trampoline_kernelINS0_14default_configENS1_27scan_by_key_config_selectorIifEEZZNS1_16scan_by_key_implILNS1_25lookback_scan_determinismE0ELb1ES3_N6thrust23THRUST_200600_302600_NS6detail15normal_iteratorINS9_10device_ptrIiEEEENSB_INSC_IjEEEESE_fNS9_4plusIvEENS9_8equal_toIvEEfEE10hipError_tPvRmT2_T3_T4_T5_mT6_T7_P12ihipStream_tbENKUlT_T0_E_clISt17integral_constantIbLb0EES10_IbLb1EEEEDaSW_SX_EUlSW_E_NS1_11comp_targetILNS1_3genE0ELNS1_11target_archE4294967295ELNS1_3gpuE0ELNS1_3repE0EEENS1_30default_config_static_selectorELNS0_4arch9wavefront6targetE0EEEvT1_.kd
    .uniform_work_group_size: 1
    .uses_dynamic_stack: false
    .vgpr_count:     62
    .vgpr_spill_count: 0
    .wavefront_size: 32
  - .args:
      - .offset:         0
        .size:           112
        .value_kind:     by_value
    .group_segment_fixed_size: 0
    .kernarg_segment_align: 8
    .kernarg_segment_size: 112
    .language:       OpenCL C
    .language_version:
      - 2
      - 0
    .max_flat_workgroup_size: 256
    .name:           _ZN7rocprim17ROCPRIM_400000_NS6detail17trampoline_kernelINS0_14default_configENS1_27scan_by_key_config_selectorIifEEZZNS1_16scan_by_key_implILNS1_25lookback_scan_determinismE0ELb1ES3_N6thrust23THRUST_200600_302600_NS6detail15normal_iteratorINS9_10device_ptrIiEEEENSB_INSC_IjEEEESE_fNS9_4plusIvEENS9_8equal_toIvEEfEE10hipError_tPvRmT2_T3_T4_T5_mT6_T7_P12ihipStream_tbENKUlT_T0_E_clISt17integral_constantIbLb0EES10_IbLb1EEEEDaSW_SX_EUlSW_E_NS1_11comp_targetILNS1_3genE10ELNS1_11target_archE1201ELNS1_3gpuE5ELNS1_3repE0EEENS1_30default_config_static_selectorELNS0_4arch9wavefront6targetE0EEEvT1_
    .private_segment_fixed_size: 0
    .sgpr_count:     0
    .sgpr_spill_count: 0
    .symbol:         _ZN7rocprim17ROCPRIM_400000_NS6detail17trampoline_kernelINS0_14default_configENS1_27scan_by_key_config_selectorIifEEZZNS1_16scan_by_key_implILNS1_25lookback_scan_determinismE0ELb1ES3_N6thrust23THRUST_200600_302600_NS6detail15normal_iteratorINS9_10device_ptrIiEEEENSB_INSC_IjEEEESE_fNS9_4plusIvEENS9_8equal_toIvEEfEE10hipError_tPvRmT2_T3_T4_T5_mT6_T7_P12ihipStream_tbENKUlT_T0_E_clISt17integral_constantIbLb0EES10_IbLb1EEEEDaSW_SX_EUlSW_E_NS1_11comp_targetILNS1_3genE10ELNS1_11target_archE1201ELNS1_3gpuE5ELNS1_3repE0EEENS1_30default_config_static_selectorELNS0_4arch9wavefront6targetE0EEEvT1_.kd
    .uniform_work_group_size: 1
    .uses_dynamic_stack: false
    .vgpr_count:     0
    .vgpr_spill_count: 0
    .wavefront_size: 32
  - .args:
      - .offset:         0
        .size:           112
        .value_kind:     by_value
    .group_segment_fixed_size: 0
    .kernarg_segment_align: 8
    .kernarg_segment_size: 112
    .language:       OpenCL C
    .language_version:
      - 2
      - 0
    .max_flat_workgroup_size: 256
    .name:           _ZN7rocprim17ROCPRIM_400000_NS6detail17trampoline_kernelINS0_14default_configENS1_27scan_by_key_config_selectorIifEEZZNS1_16scan_by_key_implILNS1_25lookback_scan_determinismE0ELb1ES3_N6thrust23THRUST_200600_302600_NS6detail15normal_iteratorINS9_10device_ptrIiEEEENSB_INSC_IjEEEESE_fNS9_4plusIvEENS9_8equal_toIvEEfEE10hipError_tPvRmT2_T3_T4_T5_mT6_T7_P12ihipStream_tbENKUlT_T0_E_clISt17integral_constantIbLb0EES10_IbLb1EEEEDaSW_SX_EUlSW_E_NS1_11comp_targetILNS1_3genE5ELNS1_11target_archE942ELNS1_3gpuE9ELNS1_3repE0EEENS1_30default_config_static_selectorELNS0_4arch9wavefront6targetE0EEEvT1_
    .private_segment_fixed_size: 0
    .sgpr_count:     0
    .sgpr_spill_count: 0
    .symbol:         _ZN7rocprim17ROCPRIM_400000_NS6detail17trampoline_kernelINS0_14default_configENS1_27scan_by_key_config_selectorIifEEZZNS1_16scan_by_key_implILNS1_25lookback_scan_determinismE0ELb1ES3_N6thrust23THRUST_200600_302600_NS6detail15normal_iteratorINS9_10device_ptrIiEEEENSB_INSC_IjEEEESE_fNS9_4plusIvEENS9_8equal_toIvEEfEE10hipError_tPvRmT2_T3_T4_T5_mT6_T7_P12ihipStream_tbENKUlT_T0_E_clISt17integral_constantIbLb0EES10_IbLb1EEEEDaSW_SX_EUlSW_E_NS1_11comp_targetILNS1_3genE5ELNS1_11target_archE942ELNS1_3gpuE9ELNS1_3repE0EEENS1_30default_config_static_selectorELNS0_4arch9wavefront6targetE0EEEvT1_.kd
    .uniform_work_group_size: 1
    .uses_dynamic_stack: false
    .vgpr_count:     0
    .vgpr_spill_count: 0
    .wavefront_size: 32
  - .args:
      - .offset:         0
        .size:           112
        .value_kind:     by_value
    .group_segment_fixed_size: 0
    .kernarg_segment_align: 8
    .kernarg_segment_size: 112
    .language:       OpenCL C
    .language_version:
      - 2
      - 0
    .max_flat_workgroup_size: 256
    .name:           _ZN7rocprim17ROCPRIM_400000_NS6detail17trampoline_kernelINS0_14default_configENS1_27scan_by_key_config_selectorIifEEZZNS1_16scan_by_key_implILNS1_25lookback_scan_determinismE0ELb1ES3_N6thrust23THRUST_200600_302600_NS6detail15normal_iteratorINS9_10device_ptrIiEEEENSB_INSC_IjEEEESE_fNS9_4plusIvEENS9_8equal_toIvEEfEE10hipError_tPvRmT2_T3_T4_T5_mT6_T7_P12ihipStream_tbENKUlT_T0_E_clISt17integral_constantIbLb0EES10_IbLb1EEEEDaSW_SX_EUlSW_E_NS1_11comp_targetILNS1_3genE4ELNS1_11target_archE910ELNS1_3gpuE8ELNS1_3repE0EEENS1_30default_config_static_selectorELNS0_4arch9wavefront6targetE0EEEvT1_
    .private_segment_fixed_size: 0
    .sgpr_count:     0
    .sgpr_spill_count: 0
    .symbol:         _ZN7rocprim17ROCPRIM_400000_NS6detail17trampoline_kernelINS0_14default_configENS1_27scan_by_key_config_selectorIifEEZZNS1_16scan_by_key_implILNS1_25lookback_scan_determinismE0ELb1ES3_N6thrust23THRUST_200600_302600_NS6detail15normal_iteratorINS9_10device_ptrIiEEEENSB_INSC_IjEEEESE_fNS9_4plusIvEENS9_8equal_toIvEEfEE10hipError_tPvRmT2_T3_T4_T5_mT6_T7_P12ihipStream_tbENKUlT_T0_E_clISt17integral_constantIbLb0EES10_IbLb1EEEEDaSW_SX_EUlSW_E_NS1_11comp_targetILNS1_3genE4ELNS1_11target_archE910ELNS1_3gpuE8ELNS1_3repE0EEENS1_30default_config_static_selectorELNS0_4arch9wavefront6targetE0EEEvT1_.kd
    .uniform_work_group_size: 1
    .uses_dynamic_stack: false
    .vgpr_count:     0
    .vgpr_spill_count: 0
    .wavefront_size: 32
  - .args:
      - .offset:         0
        .size:           112
        .value_kind:     by_value
    .group_segment_fixed_size: 0
    .kernarg_segment_align: 8
    .kernarg_segment_size: 112
    .language:       OpenCL C
    .language_version:
      - 2
      - 0
    .max_flat_workgroup_size: 256
    .name:           _ZN7rocprim17ROCPRIM_400000_NS6detail17trampoline_kernelINS0_14default_configENS1_27scan_by_key_config_selectorIifEEZZNS1_16scan_by_key_implILNS1_25lookback_scan_determinismE0ELb1ES3_N6thrust23THRUST_200600_302600_NS6detail15normal_iteratorINS9_10device_ptrIiEEEENSB_INSC_IjEEEESE_fNS9_4plusIvEENS9_8equal_toIvEEfEE10hipError_tPvRmT2_T3_T4_T5_mT6_T7_P12ihipStream_tbENKUlT_T0_E_clISt17integral_constantIbLb0EES10_IbLb1EEEEDaSW_SX_EUlSW_E_NS1_11comp_targetILNS1_3genE3ELNS1_11target_archE908ELNS1_3gpuE7ELNS1_3repE0EEENS1_30default_config_static_selectorELNS0_4arch9wavefront6targetE0EEEvT1_
    .private_segment_fixed_size: 0
    .sgpr_count:     0
    .sgpr_spill_count: 0
    .symbol:         _ZN7rocprim17ROCPRIM_400000_NS6detail17trampoline_kernelINS0_14default_configENS1_27scan_by_key_config_selectorIifEEZZNS1_16scan_by_key_implILNS1_25lookback_scan_determinismE0ELb1ES3_N6thrust23THRUST_200600_302600_NS6detail15normal_iteratorINS9_10device_ptrIiEEEENSB_INSC_IjEEEESE_fNS9_4plusIvEENS9_8equal_toIvEEfEE10hipError_tPvRmT2_T3_T4_T5_mT6_T7_P12ihipStream_tbENKUlT_T0_E_clISt17integral_constantIbLb0EES10_IbLb1EEEEDaSW_SX_EUlSW_E_NS1_11comp_targetILNS1_3genE3ELNS1_11target_archE908ELNS1_3gpuE7ELNS1_3repE0EEENS1_30default_config_static_selectorELNS0_4arch9wavefront6targetE0EEEvT1_.kd
    .uniform_work_group_size: 1
    .uses_dynamic_stack: false
    .vgpr_count:     0
    .vgpr_spill_count: 0
    .wavefront_size: 32
  - .args:
      - .offset:         0
        .size:           112
        .value_kind:     by_value
    .group_segment_fixed_size: 0
    .kernarg_segment_align: 8
    .kernarg_segment_size: 112
    .language:       OpenCL C
    .language_version:
      - 2
      - 0
    .max_flat_workgroup_size: 256
    .name:           _ZN7rocprim17ROCPRIM_400000_NS6detail17trampoline_kernelINS0_14default_configENS1_27scan_by_key_config_selectorIifEEZZNS1_16scan_by_key_implILNS1_25lookback_scan_determinismE0ELb1ES3_N6thrust23THRUST_200600_302600_NS6detail15normal_iteratorINS9_10device_ptrIiEEEENSB_INSC_IjEEEESE_fNS9_4plusIvEENS9_8equal_toIvEEfEE10hipError_tPvRmT2_T3_T4_T5_mT6_T7_P12ihipStream_tbENKUlT_T0_E_clISt17integral_constantIbLb0EES10_IbLb1EEEEDaSW_SX_EUlSW_E_NS1_11comp_targetILNS1_3genE2ELNS1_11target_archE906ELNS1_3gpuE6ELNS1_3repE0EEENS1_30default_config_static_selectorELNS0_4arch9wavefront6targetE0EEEvT1_
    .private_segment_fixed_size: 0
    .sgpr_count:     0
    .sgpr_spill_count: 0
    .symbol:         _ZN7rocprim17ROCPRIM_400000_NS6detail17trampoline_kernelINS0_14default_configENS1_27scan_by_key_config_selectorIifEEZZNS1_16scan_by_key_implILNS1_25lookback_scan_determinismE0ELb1ES3_N6thrust23THRUST_200600_302600_NS6detail15normal_iteratorINS9_10device_ptrIiEEEENSB_INSC_IjEEEESE_fNS9_4plusIvEENS9_8equal_toIvEEfEE10hipError_tPvRmT2_T3_T4_T5_mT6_T7_P12ihipStream_tbENKUlT_T0_E_clISt17integral_constantIbLb0EES10_IbLb1EEEEDaSW_SX_EUlSW_E_NS1_11comp_targetILNS1_3genE2ELNS1_11target_archE906ELNS1_3gpuE6ELNS1_3repE0EEENS1_30default_config_static_selectorELNS0_4arch9wavefront6targetE0EEEvT1_.kd
    .uniform_work_group_size: 1
    .uses_dynamic_stack: false
    .vgpr_count:     0
    .vgpr_spill_count: 0
    .wavefront_size: 32
  - .args:
      - .offset:         0
        .size:           112
        .value_kind:     by_value
    .group_segment_fixed_size: 0
    .kernarg_segment_align: 8
    .kernarg_segment_size: 112
    .language:       OpenCL C
    .language_version:
      - 2
      - 0
    .max_flat_workgroup_size: 256
    .name:           _ZN7rocprim17ROCPRIM_400000_NS6detail17trampoline_kernelINS0_14default_configENS1_27scan_by_key_config_selectorIifEEZZNS1_16scan_by_key_implILNS1_25lookback_scan_determinismE0ELb1ES3_N6thrust23THRUST_200600_302600_NS6detail15normal_iteratorINS9_10device_ptrIiEEEENSB_INSC_IjEEEESE_fNS9_4plusIvEENS9_8equal_toIvEEfEE10hipError_tPvRmT2_T3_T4_T5_mT6_T7_P12ihipStream_tbENKUlT_T0_E_clISt17integral_constantIbLb0EES10_IbLb1EEEEDaSW_SX_EUlSW_E_NS1_11comp_targetILNS1_3genE10ELNS1_11target_archE1200ELNS1_3gpuE4ELNS1_3repE0EEENS1_30default_config_static_selectorELNS0_4arch9wavefront6targetE0EEEvT1_
    .private_segment_fixed_size: 0
    .sgpr_count:     0
    .sgpr_spill_count: 0
    .symbol:         _ZN7rocprim17ROCPRIM_400000_NS6detail17trampoline_kernelINS0_14default_configENS1_27scan_by_key_config_selectorIifEEZZNS1_16scan_by_key_implILNS1_25lookback_scan_determinismE0ELb1ES3_N6thrust23THRUST_200600_302600_NS6detail15normal_iteratorINS9_10device_ptrIiEEEENSB_INSC_IjEEEESE_fNS9_4plusIvEENS9_8equal_toIvEEfEE10hipError_tPvRmT2_T3_T4_T5_mT6_T7_P12ihipStream_tbENKUlT_T0_E_clISt17integral_constantIbLb0EES10_IbLb1EEEEDaSW_SX_EUlSW_E_NS1_11comp_targetILNS1_3genE10ELNS1_11target_archE1200ELNS1_3gpuE4ELNS1_3repE0EEENS1_30default_config_static_selectorELNS0_4arch9wavefront6targetE0EEEvT1_.kd
    .uniform_work_group_size: 1
    .uses_dynamic_stack: false
    .vgpr_count:     0
    .vgpr_spill_count: 0
    .wavefront_size: 32
  - .args:
      - .offset:         0
        .size:           112
        .value_kind:     by_value
    .group_segment_fixed_size: 0
    .kernarg_segment_align: 8
    .kernarg_segment_size: 112
    .language:       OpenCL C
    .language_version:
      - 2
      - 0
    .max_flat_workgroup_size: 256
    .name:           _ZN7rocprim17ROCPRIM_400000_NS6detail17trampoline_kernelINS0_14default_configENS1_27scan_by_key_config_selectorIifEEZZNS1_16scan_by_key_implILNS1_25lookback_scan_determinismE0ELb1ES3_N6thrust23THRUST_200600_302600_NS6detail15normal_iteratorINS9_10device_ptrIiEEEENSB_INSC_IjEEEESE_fNS9_4plusIvEENS9_8equal_toIvEEfEE10hipError_tPvRmT2_T3_T4_T5_mT6_T7_P12ihipStream_tbENKUlT_T0_E_clISt17integral_constantIbLb0EES10_IbLb1EEEEDaSW_SX_EUlSW_E_NS1_11comp_targetILNS1_3genE9ELNS1_11target_archE1100ELNS1_3gpuE3ELNS1_3repE0EEENS1_30default_config_static_selectorELNS0_4arch9wavefront6targetE0EEEvT1_
    .private_segment_fixed_size: 0
    .sgpr_count:     0
    .sgpr_spill_count: 0
    .symbol:         _ZN7rocprim17ROCPRIM_400000_NS6detail17trampoline_kernelINS0_14default_configENS1_27scan_by_key_config_selectorIifEEZZNS1_16scan_by_key_implILNS1_25lookback_scan_determinismE0ELb1ES3_N6thrust23THRUST_200600_302600_NS6detail15normal_iteratorINS9_10device_ptrIiEEEENSB_INSC_IjEEEESE_fNS9_4plusIvEENS9_8equal_toIvEEfEE10hipError_tPvRmT2_T3_T4_T5_mT6_T7_P12ihipStream_tbENKUlT_T0_E_clISt17integral_constantIbLb0EES10_IbLb1EEEEDaSW_SX_EUlSW_E_NS1_11comp_targetILNS1_3genE9ELNS1_11target_archE1100ELNS1_3gpuE3ELNS1_3repE0EEENS1_30default_config_static_selectorELNS0_4arch9wavefront6targetE0EEEvT1_.kd
    .uniform_work_group_size: 1
    .uses_dynamic_stack: false
    .vgpr_count:     0
    .vgpr_spill_count: 0
    .wavefront_size: 32
  - .args:
      - .offset:         0
        .size:           112
        .value_kind:     by_value
    .group_segment_fixed_size: 0
    .kernarg_segment_align: 8
    .kernarg_segment_size: 112
    .language:       OpenCL C
    .language_version:
      - 2
      - 0
    .max_flat_workgroup_size: 256
    .name:           _ZN7rocprim17ROCPRIM_400000_NS6detail17trampoline_kernelINS0_14default_configENS1_27scan_by_key_config_selectorIifEEZZNS1_16scan_by_key_implILNS1_25lookback_scan_determinismE0ELb1ES3_N6thrust23THRUST_200600_302600_NS6detail15normal_iteratorINS9_10device_ptrIiEEEENSB_INSC_IjEEEESE_fNS9_4plusIvEENS9_8equal_toIvEEfEE10hipError_tPvRmT2_T3_T4_T5_mT6_T7_P12ihipStream_tbENKUlT_T0_E_clISt17integral_constantIbLb0EES10_IbLb1EEEEDaSW_SX_EUlSW_E_NS1_11comp_targetILNS1_3genE8ELNS1_11target_archE1030ELNS1_3gpuE2ELNS1_3repE0EEENS1_30default_config_static_selectorELNS0_4arch9wavefront6targetE0EEEvT1_
    .private_segment_fixed_size: 0
    .sgpr_count:     0
    .sgpr_spill_count: 0
    .symbol:         _ZN7rocprim17ROCPRIM_400000_NS6detail17trampoline_kernelINS0_14default_configENS1_27scan_by_key_config_selectorIifEEZZNS1_16scan_by_key_implILNS1_25lookback_scan_determinismE0ELb1ES3_N6thrust23THRUST_200600_302600_NS6detail15normal_iteratorINS9_10device_ptrIiEEEENSB_INSC_IjEEEESE_fNS9_4plusIvEENS9_8equal_toIvEEfEE10hipError_tPvRmT2_T3_T4_T5_mT6_T7_P12ihipStream_tbENKUlT_T0_E_clISt17integral_constantIbLb0EES10_IbLb1EEEEDaSW_SX_EUlSW_E_NS1_11comp_targetILNS1_3genE8ELNS1_11target_archE1030ELNS1_3gpuE2ELNS1_3repE0EEENS1_30default_config_static_selectorELNS0_4arch9wavefront6targetE0EEEvT1_.kd
    .uniform_work_group_size: 1
    .uses_dynamic_stack: false
    .vgpr_count:     0
    .vgpr_spill_count: 0
    .wavefront_size: 32
  - .args:
      - .offset:         0
        .size:           24
        .value_kind:     by_value
      - .offset:         24
        .size:           8
        .value_kind:     by_value
      - .offset:         32
        .size:           8
        .value_kind:     by_value
    .group_segment_fixed_size: 0
    .kernarg_segment_align: 8
    .kernarg_segment_size: 40
    .language:       OpenCL C
    .language_version:
      - 2
      - 0
    .max_flat_workgroup_size: 256
    .name:           _ZN6thrust23THRUST_200600_302600_NS11hip_rocprim14__parallel_for6kernelILj256ENS1_11__transform17unary_transform_fINS0_7pointerIiNS1_3tagENS0_11use_defaultES8_EENS0_10device_ptrIjEENS4_14no_stencil_tagENS0_8identityIiEENS4_21always_true_predicateEEElLj1EEEvT0_T1_SI_
    .private_segment_fixed_size: 0
    .sgpr_count:     11
    .sgpr_spill_count: 0
    .symbol:         _ZN6thrust23THRUST_200600_302600_NS11hip_rocprim14__parallel_for6kernelILj256ENS1_11__transform17unary_transform_fINS0_7pointerIiNS1_3tagENS0_11use_defaultES8_EENS0_10device_ptrIjEENS4_14no_stencil_tagENS0_8identityIiEENS4_21always_true_predicateEEElLj1EEEvT0_T1_SI_.kd
    .uniform_work_group_size: 1
    .uses_dynamic_stack: false
    .vgpr_count:     6
    .vgpr_spill_count: 0
    .wavefront_size: 32
  - .args:
      - .address_space:  global
        .offset:         0
        .size:           8
        .value_kind:     global_buffer
      - .offset:         8
        .size:           4
        .value_kind:     by_value
      - .offset:         12
        .size:           4
        .value_kind:     by_value
      - .address_space:  global
        .offset:         16
        .size:           8
        .value_kind:     global_buffer
      - .address_space:  global
        .offset:         24
        .size:           8
        .value_kind:     global_buffer
      - .actual_access:  write_only
        .address_space:  global
        .offset:         32
        .size:           8
        .value_kind:     global_buffer
      - .offset:         40
        .size:           8
        .value_kind:     by_value
      - .offset:         48
        .size:           4
        .value_kind:     by_value
      - .offset:         52
        .size:           1
        .value_kind:     by_value
      - .offset:         56
        .size:           4
        .value_kind:     hidden_block_count_x
      - .offset:         60
        .size:           4
        .value_kind:     hidden_block_count_y
      - .offset:         64
        .size:           4
        .value_kind:     hidden_block_count_z
      - .offset:         68
        .size:           2
        .value_kind:     hidden_group_size_x
      - .offset:         70
        .size:           2
        .value_kind:     hidden_group_size_y
      - .offset:         72
        .size:           2
        .value_kind:     hidden_group_size_z
      - .offset:         74
        .size:           2
        .value_kind:     hidden_remainder_x
      - .offset:         76
        .size:           2
        .value_kind:     hidden_remainder_y
      - .offset:         78
        .size:           2
        .value_kind:     hidden_remainder_z
      - .offset:         96
        .size:           8
        .value_kind:     hidden_global_offset_x
      - .offset:         104
        .size:           8
        .value_kind:     hidden_global_offset_y
      - .offset:         112
        .size:           8
        .value_kind:     hidden_global_offset_z
      - .offset:         120
        .size:           2
        .value_kind:     hidden_grid_dims
    .group_segment_fixed_size: 0
    .kernarg_segment_align: 8
    .kernarg_segment_size: 312
    .language:       OpenCL C
    .language_version:
      - 2
      - 0
    .max_flat_workgroup_size: 256
    .name:           _ZN7rocprim17ROCPRIM_400000_NS6detail30init_device_scan_by_key_kernelINS1_19lookback_scan_stateINS0_5tupleIJjbEEELb0ELb1EEEN6thrust23THRUST_200600_302600_NS6detail15normal_iteratorINS8_10device_ptrIjEEEEjNS1_16block_id_wrapperIjLb0EEEEEvT_jjPNSG_10value_typeET0_PNSt15iterator_traitsISJ_E10value_typeEmT1_T2_
    .private_segment_fixed_size: 0
    .sgpr_count:     19
    .sgpr_spill_count: 0
    .symbol:         _ZN7rocprim17ROCPRIM_400000_NS6detail30init_device_scan_by_key_kernelINS1_19lookback_scan_stateINS0_5tupleIJjbEEELb0ELb1EEEN6thrust23THRUST_200600_302600_NS6detail15normal_iteratorINS8_10device_ptrIjEEEEjNS1_16block_id_wrapperIjLb0EEEEEvT_jjPNSG_10value_typeET0_PNSt15iterator_traitsISJ_E10value_typeEmT1_T2_.kd
    .uniform_work_group_size: 1
    .uses_dynamic_stack: false
    .vgpr_count:     10
    .vgpr_spill_count: 0
    .wavefront_size: 32
  - .args:
      - .offset:         0
        .size:           112
        .value_kind:     by_value
    .group_segment_fixed_size: 14336
    .kernarg_segment_align: 8
    .kernarg_segment_size: 112
    .language:       OpenCL C
    .language_version:
      - 2
      - 0
    .max_flat_workgroup_size: 256
    .name:           _ZN7rocprim17ROCPRIM_400000_NS6detail17trampoline_kernelINS0_14default_configENS1_27scan_by_key_config_selectorIjjEEZZNS1_16scan_by_key_implILNS1_25lookback_scan_determinismE0ELb0ES3_N6thrust23THRUST_200600_302600_NS6detail15normal_iteratorINS9_10device_ptrIjEEEESE_SE_jNS9_4plusIvEENS9_8equal_toIvEEjEE10hipError_tPvRmT2_T3_T4_T5_mT6_T7_P12ihipStream_tbENKUlT_T0_E_clISt17integral_constantIbLb0EESZ_EEDaSU_SV_EUlSU_E_NS1_11comp_targetILNS1_3genE0ELNS1_11target_archE4294967295ELNS1_3gpuE0ELNS1_3repE0EEENS1_30default_config_static_selectorELNS0_4arch9wavefront6targetE0EEEvT1_
    .private_segment_fixed_size: 0
    .sgpr_count:     44
    .sgpr_spill_count: 0
    .symbol:         _ZN7rocprim17ROCPRIM_400000_NS6detail17trampoline_kernelINS0_14default_configENS1_27scan_by_key_config_selectorIjjEEZZNS1_16scan_by_key_implILNS1_25lookback_scan_determinismE0ELb0ES3_N6thrust23THRUST_200600_302600_NS6detail15normal_iteratorINS9_10device_ptrIjEEEESE_SE_jNS9_4plusIvEENS9_8equal_toIvEEjEE10hipError_tPvRmT2_T3_T4_T5_mT6_T7_P12ihipStream_tbENKUlT_T0_E_clISt17integral_constantIbLb0EESZ_EEDaSU_SV_EUlSU_E_NS1_11comp_targetILNS1_3genE0ELNS1_11target_archE4294967295ELNS1_3gpuE0ELNS1_3repE0EEENS1_30default_config_static_selectorELNS0_4arch9wavefront6targetE0EEEvT1_.kd
    .uniform_work_group_size: 1
    .uses_dynamic_stack: false
    .vgpr_count:     60
    .vgpr_spill_count: 0
    .wavefront_size: 32
  - .args:
      - .offset:         0
        .size:           112
        .value_kind:     by_value
    .group_segment_fixed_size: 0
    .kernarg_segment_align: 8
    .kernarg_segment_size: 112
    .language:       OpenCL C
    .language_version:
      - 2
      - 0
    .max_flat_workgroup_size: 256
    .name:           _ZN7rocprim17ROCPRIM_400000_NS6detail17trampoline_kernelINS0_14default_configENS1_27scan_by_key_config_selectorIjjEEZZNS1_16scan_by_key_implILNS1_25lookback_scan_determinismE0ELb0ES3_N6thrust23THRUST_200600_302600_NS6detail15normal_iteratorINS9_10device_ptrIjEEEESE_SE_jNS9_4plusIvEENS9_8equal_toIvEEjEE10hipError_tPvRmT2_T3_T4_T5_mT6_T7_P12ihipStream_tbENKUlT_T0_E_clISt17integral_constantIbLb0EESZ_EEDaSU_SV_EUlSU_E_NS1_11comp_targetILNS1_3genE10ELNS1_11target_archE1201ELNS1_3gpuE5ELNS1_3repE0EEENS1_30default_config_static_selectorELNS0_4arch9wavefront6targetE0EEEvT1_
    .private_segment_fixed_size: 0
    .sgpr_count:     0
    .sgpr_spill_count: 0
    .symbol:         _ZN7rocprim17ROCPRIM_400000_NS6detail17trampoline_kernelINS0_14default_configENS1_27scan_by_key_config_selectorIjjEEZZNS1_16scan_by_key_implILNS1_25lookback_scan_determinismE0ELb0ES3_N6thrust23THRUST_200600_302600_NS6detail15normal_iteratorINS9_10device_ptrIjEEEESE_SE_jNS9_4plusIvEENS9_8equal_toIvEEjEE10hipError_tPvRmT2_T3_T4_T5_mT6_T7_P12ihipStream_tbENKUlT_T0_E_clISt17integral_constantIbLb0EESZ_EEDaSU_SV_EUlSU_E_NS1_11comp_targetILNS1_3genE10ELNS1_11target_archE1201ELNS1_3gpuE5ELNS1_3repE0EEENS1_30default_config_static_selectorELNS0_4arch9wavefront6targetE0EEEvT1_.kd
    .uniform_work_group_size: 1
    .uses_dynamic_stack: false
    .vgpr_count:     0
    .vgpr_spill_count: 0
    .wavefront_size: 32
  - .args:
      - .offset:         0
        .size:           112
        .value_kind:     by_value
    .group_segment_fixed_size: 0
    .kernarg_segment_align: 8
    .kernarg_segment_size: 112
    .language:       OpenCL C
    .language_version:
      - 2
      - 0
    .max_flat_workgroup_size: 256
    .name:           _ZN7rocprim17ROCPRIM_400000_NS6detail17trampoline_kernelINS0_14default_configENS1_27scan_by_key_config_selectorIjjEEZZNS1_16scan_by_key_implILNS1_25lookback_scan_determinismE0ELb0ES3_N6thrust23THRUST_200600_302600_NS6detail15normal_iteratorINS9_10device_ptrIjEEEESE_SE_jNS9_4plusIvEENS9_8equal_toIvEEjEE10hipError_tPvRmT2_T3_T4_T5_mT6_T7_P12ihipStream_tbENKUlT_T0_E_clISt17integral_constantIbLb0EESZ_EEDaSU_SV_EUlSU_E_NS1_11comp_targetILNS1_3genE5ELNS1_11target_archE942ELNS1_3gpuE9ELNS1_3repE0EEENS1_30default_config_static_selectorELNS0_4arch9wavefront6targetE0EEEvT1_
    .private_segment_fixed_size: 0
    .sgpr_count:     0
    .sgpr_spill_count: 0
    .symbol:         _ZN7rocprim17ROCPRIM_400000_NS6detail17trampoline_kernelINS0_14default_configENS1_27scan_by_key_config_selectorIjjEEZZNS1_16scan_by_key_implILNS1_25lookback_scan_determinismE0ELb0ES3_N6thrust23THRUST_200600_302600_NS6detail15normal_iteratorINS9_10device_ptrIjEEEESE_SE_jNS9_4plusIvEENS9_8equal_toIvEEjEE10hipError_tPvRmT2_T3_T4_T5_mT6_T7_P12ihipStream_tbENKUlT_T0_E_clISt17integral_constantIbLb0EESZ_EEDaSU_SV_EUlSU_E_NS1_11comp_targetILNS1_3genE5ELNS1_11target_archE942ELNS1_3gpuE9ELNS1_3repE0EEENS1_30default_config_static_selectorELNS0_4arch9wavefront6targetE0EEEvT1_.kd
    .uniform_work_group_size: 1
    .uses_dynamic_stack: false
    .vgpr_count:     0
    .vgpr_spill_count: 0
    .wavefront_size: 32
  - .args:
      - .offset:         0
        .size:           112
        .value_kind:     by_value
    .group_segment_fixed_size: 0
    .kernarg_segment_align: 8
    .kernarg_segment_size: 112
    .language:       OpenCL C
    .language_version:
      - 2
      - 0
    .max_flat_workgroup_size: 256
    .name:           _ZN7rocprim17ROCPRIM_400000_NS6detail17trampoline_kernelINS0_14default_configENS1_27scan_by_key_config_selectorIjjEEZZNS1_16scan_by_key_implILNS1_25lookback_scan_determinismE0ELb0ES3_N6thrust23THRUST_200600_302600_NS6detail15normal_iteratorINS9_10device_ptrIjEEEESE_SE_jNS9_4plusIvEENS9_8equal_toIvEEjEE10hipError_tPvRmT2_T3_T4_T5_mT6_T7_P12ihipStream_tbENKUlT_T0_E_clISt17integral_constantIbLb0EESZ_EEDaSU_SV_EUlSU_E_NS1_11comp_targetILNS1_3genE4ELNS1_11target_archE910ELNS1_3gpuE8ELNS1_3repE0EEENS1_30default_config_static_selectorELNS0_4arch9wavefront6targetE0EEEvT1_
    .private_segment_fixed_size: 0
    .sgpr_count:     0
    .sgpr_spill_count: 0
    .symbol:         _ZN7rocprim17ROCPRIM_400000_NS6detail17trampoline_kernelINS0_14default_configENS1_27scan_by_key_config_selectorIjjEEZZNS1_16scan_by_key_implILNS1_25lookback_scan_determinismE0ELb0ES3_N6thrust23THRUST_200600_302600_NS6detail15normal_iteratorINS9_10device_ptrIjEEEESE_SE_jNS9_4plusIvEENS9_8equal_toIvEEjEE10hipError_tPvRmT2_T3_T4_T5_mT6_T7_P12ihipStream_tbENKUlT_T0_E_clISt17integral_constantIbLb0EESZ_EEDaSU_SV_EUlSU_E_NS1_11comp_targetILNS1_3genE4ELNS1_11target_archE910ELNS1_3gpuE8ELNS1_3repE0EEENS1_30default_config_static_selectorELNS0_4arch9wavefront6targetE0EEEvT1_.kd
    .uniform_work_group_size: 1
    .uses_dynamic_stack: false
    .vgpr_count:     0
    .vgpr_spill_count: 0
    .wavefront_size: 32
  - .args:
      - .offset:         0
        .size:           112
        .value_kind:     by_value
    .group_segment_fixed_size: 0
    .kernarg_segment_align: 8
    .kernarg_segment_size: 112
    .language:       OpenCL C
    .language_version:
      - 2
      - 0
    .max_flat_workgroup_size: 256
    .name:           _ZN7rocprim17ROCPRIM_400000_NS6detail17trampoline_kernelINS0_14default_configENS1_27scan_by_key_config_selectorIjjEEZZNS1_16scan_by_key_implILNS1_25lookback_scan_determinismE0ELb0ES3_N6thrust23THRUST_200600_302600_NS6detail15normal_iteratorINS9_10device_ptrIjEEEESE_SE_jNS9_4plusIvEENS9_8equal_toIvEEjEE10hipError_tPvRmT2_T3_T4_T5_mT6_T7_P12ihipStream_tbENKUlT_T0_E_clISt17integral_constantIbLb0EESZ_EEDaSU_SV_EUlSU_E_NS1_11comp_targetILNS1_3genE3ELNS1_11target_archE908ELNS1_3gpuE7ELNS1_3repE0EEENS1_30default_config_static_selectorELNS0_4arch9wavefront6targetE0EEEvT1_
    .private_segment_fixed_size: 0
    .sgpr_count:     0
    .sgpr_spill_count: 0
    .symbol:         _ZN7rocprim17ROCPRIM_400000_NS6detail17trampoline_kernelINS0_14default_configENS1_27scan_by_key_config_selectorIjjEEZZNS1_16scan_by_key_implILNS1_25lookback_scan_determinismE0ELb0ES3_N6thrust23THRUST_200600_302600_NS6detail15normal_iteratorINS9_10device_ptrIjEEEESE_SE_jNS9_4plusIvEENS9_8equal_toIvEEjEE10hipError_tPvRmT2_T3_T4_T5_mT6_T7_P12ihipStream_tbENKUlT_T0_E_clISt17integral_constantIbLb0EESZ_EEDaSU_SV_EUlSU_E_NS1_11comp_targetILNS1_3genE3ELNS1_11target_archE908ELNS1_3gpuE7ELNS1_3repE0EEENS1_30default_config_static_selectorELNS0_4arch9wavefront6targetE0EEEvT1_.kd
    .uniform_work_group_size: 1
    .uses_dynamic_stack: false
    .vgpr_count:     0
    .vgpr_spill_count: 0
    .wavefront_size: 32
  - .args:
      - .offset:         0
        .size:           112
        .value_kind:     by_value
    .group_segment_fixed_size: 0
    .kernarg_segment_align: 8
    .kernarg_segment_size: 112
    .language:       OpenCL C
    .language_version:
      - 2
      - 0
    .max_flat_workgroup_size: 256
    .name:           _ZN7rocprim17ROCPRIM_400000_NS6detail17trampoline_kernelINS0_14default_configENS1_27scan_by_key_config_selectorIjjEEZZNS1_16scan_by_key_implILNS1_25lookback_scan_determinismE0ELb0ES3_N6thrust23THRUST_200600_302600_NS6detail15normal_iteratorINS9_10device_ptrIjEEEESE_SE_jNS9_4plusIvEENS9_8equal_toIvEEjEE10hipError_tPvRmT2_T3_T4_T5_mT6_T7_P12ihipStream_tbENKUlT_T0_E_clISt17integral_constantIbLb0EESZ_EEDaSU_SV_EUlSU_E_NS1_11comp_targetILNS1_3genE2ELNS1_11target_archE906ELNS1_3gpuE6ELNS1_3repE0EEENS1_30default_config_static_selectorELNS0_4arch9wavefront6targetE0EEEvT1_
    .private_segment_fixed_size: 0
    .sgpr_count:     0
    .sgpr_spill_count: 0
    .symbol:         _ZN7rocprim17ROCPRIM_400000_NS6detail17trampoline_kernelINS0_14default_configENS1_27scan_by_key_config_selectorIjjEEZZNS1_16scan_by_key_implILNS1_25lookback_scan_determinismE0ELb0ES3_N6thrust23THRUST_200600_302600_NS6detail15normal_iteratorINS9_10device_ptrIjEEEESE_SE_jNS9_4plusIvEENS9_8equal_toIvEEjEE10hipError_tPvRmT2_T3_T4_T5_mT6_T7_P12ihipStream_tbENKUlT_T0_E_clISt17integral_constantIbLb0EESZ_EEDaSU_SV_EUlSU_E_NS1_11comp_targetILNS1_3genE2ELNS1_11target_archE906ELNS1_3gpuE6ELNS1_3repE0EEENS1_30default_config_static_selectorELNS0_4arch9wavefront6targetE0EEEvT1_.kd
    .uniform_work_group_size: 1
    .uses_dynamic_stack: false
    .vgpr_count:     0
    .vgpr_spill_count: 0
    .wavefront_size: 32
  - .args:
      - .offset:         0
        .size:           112
        .value_kind:     by_value
    .group_segment_fixed_size: 0
    .kernarg_segment_align: 8
    .kernarg_segment_size: 112
    .language:       OpenCL C
    .language_version:
      - 2
      - 0
    .max_flat_workgroup_size: 256
    .name:           _ZN7rocprim17ROCPRIM_400000_NS6detail17trampoline_kernelINS0_14default_configENS1_27scan_by_key_config_selectorIjjEEZZNS1_16scan_by_key_implILNS1_25lookback_scan_determinismE0ELb0ES3_N6thrust23THRUST_200600_302600_NS6detail15normal_iteratorINS9_10device_ptrIjEEEESE_SE_jNS9_4plusIvEENS9_8equal_toIvEEjEE10hipError_tPvRmT2_T3_T4_T5_mT6_T7_P12ihipStream_tbENKUlT_T0_E_clISt17integral_constantIbLb0EESZ_EEDaSU_SV_EUlSU_E_NS1_11comp_targetILNS1_3genE10ELNS1_11target_archE1200ELNS1_3gpuE4ELNS1_3repE0EEENS1_30default_config_static_selectorELNS0_4arch9wavefront6targetE0EEEvT1_
    .private_segment_fixed_size: 0
    .sgpr_count:     0
    .sgpr_spill_count: 0
    .symbol:         _ZN7rocprim17ROCPRIM_400000_NS6detail17trampoline_kernelINS0_14default_configENS1_27scan_by_key_config_selectorIjjEEZZNS1_16scan_by_key_implILNS1_25lookback_scan_determinismE0ELb0ES3_N6thrust23THRUST_200600_302600_NS6detail15normal_iteratorINS9_10device_ptrIjEEEESE_SE_jNS9_4plusIvEENS9_8equal_toIvEEjEE10hipError_tPvRmT2_T3_T4_T5_mT6_T7_P12ihipStream_tbENKUlT_T0_E_clISt17integral_constantIbLb0EESZ_EEDaSU_SV_EUlSU_E_NS1_11comp_targetILNS1_3genE10ELNS1_11target_archE1200ELNS1_3gpuE4ELNS1_3repE0EEENS1_30default_config_static_selectorELNS0_4arch9wavefront6targetE0EEEvT1_.kd
    .uniform_work_group_size: 1
    .uses_dynamic_stack: false
    .vgpr_count:     0
    .vgpr_spill_count: 0
    .wavefront_size: 32
  - .args:
      - .offset:         0
        .size:           112
        .value_kind:     by_value
    .group_segment_fixed_size: 0
    .kernarg_segment_align: 8
    .kernarg_segment_size: 112
    .language:       OpenCL C
    .language_version:
      - 2
      - 0
    .max_flat_workgroup_size: 256
    .name:           _ZN7rocprim17ROCPRIM_400000_NS6detail17trampoline_kernelINS0_14default_configENS1_27scan_by_key_config_selectorIjjEEZZNS1_16scan_by_key_implILNS1_25lookback_scan_determinismE0ELb0ES3_N6thrust23THRUST_200600_302600_NS6detail15normal_iteratorINS9_10device_ptrIjEEEESE_SE_jNS9_4plusIvEENS9_8equal_toIvEEjEE10hipError_tPvRmT2_T3_T4_T5_mT6_T7_P12ihipStream_tbENKUlT_T0_E_clISt17integral_constantIbLb0EESZ_EEDaSU_SV_EUlSU_E_NS1_11comp_targetILNS1_3genE9ELNS1_11target_archE1100ELNS1_3gpuE3ELNS1_3repE0EEENS1_30default_config_static_selectorELNS0_4arch9wavefront6targetE0EEEvT1_
    .private_segment_fixed_size: 0
    .sgpr_count:     0
    .sgpr_spill_count: 0
    .symbol:         _ZN7rocprim17ROCPRIM_400000_NS6detail17trampoline_kernelINS0_14default_configENS1_27scan_by_key_config_selectorIjjEEZZNS1_16scan_by_key_implILNS1_25lookback_scan_determinismE0ELb0ES3_N6thrust23THRUST_200600_302600_NS6detail15normal_iteratorINS9_10device_ptrIjEEEESE_SE_jNS9_4plusIvEENS9_8equal_toIvEEjEE10hipError_tPvRmT2_T3_T4_T5_mT6_T7_P12ihipStream_tbENKUlT_T0_E_clISt17integral_constantIbLb0EESZ_EEDaSU_SV_EUlSU_E_NS1_11comp_targetILNS1_3genE9ELNS1_11target_archE1100ELNS1_3gpuE3ELNS1_3repE0EEENS1_30default_config_static_selectorELNS0_4arch9wavefront6targetE0EEEvT1_.kd
    .uniform_work_group_size: 1
    .uses_dynamic_stack: false
    .vgpr_count:     0
    .vgpr_spill_count: 0
    .wavefront_size: 32
  - .args:
      - .offset:         0
        .size:           112
        .value_kind:     by_value
    .group_segment_fixed_size: 0
    .kernarg_segment_align: 8
    .kernarg_segment_size: 112
    .language:       OpenCL C
    .language_version:
      - 2
      - 0
    .max_flat_workgroup_size: 256
    .name:           _ZN7rocprim17ROCPRIM_400000_NS6detail17trampoline_kernelINS0_14default_configENS1_27scan_by_key_config_selectorIjjEEZZNS1_16scan_by_key_implILNS1_25lookback_scan_determinismE0ELb0ES3_N6thrust23THRUST_200600_302600_NS6detail15normal_iteratorINS9_10device_ptrIjEEEESE_SE_jNS9_4plusIvEENS9_8equal_toIvEEjEE10hipError_tPvRmT2_T3_T4_T5_mT6_T7_P12ihipStream_tbENKUlT_T0_E_clISt17integral_constantIbLb0EESZ_EEDaSU_SV_EUlSU_E_NS1_11comp_targetILNS1_3genE8ELNS1_11target_archE1030ELNS1_3gpuE2ELNS1_3repE0EEENS1_30default_config_static_selectorELNS0_4arch9wavefront6targetE0EEEvT1_
    .private_segment_fixed_size: 0
    .sgpr_count:     0
    .sgpr_spill_count: 0
    .symbol:         _ZN7rocprim17ROCPRIM_400000_NS6detail17trampoline_kernelINS0_14default_configENS1_27scan_by_key_config_selectorIjjEEZZNS1_16scan_by_key_implILNS1_25lookback_scan_determinismE0ELb0ES3_N6thrust23THRUST_200600_302600_NS6detail15normal_iteratorINS9_10device_ptrIjEEEESE_SE_jNS9_4plusIvEENS9_8equal_toIvEEjEE10hipError_tPvRmT2_T3_T4_T5_mT6_T7_P12ihipStream_tbENKUlT_T0_E_clISt17integral_constantIbLb0EESZ_EEDaSU_SV_EUlSU_E_NS1_11comp_targetILNS1_3genE8ELNS1_11target_archE1030ELNS1_3gpuE2ELNS1_3repE0EEENS1_30default_config_static_selectorELNS0_4arch9wavefront6targetE0EEEvT1_.kd
    .uniform_work_group_size: 1
    .uses_dynamic_stack: false
    .vgpr_count:     0
    .vgpr_spill_count: 0
    .wavefront_size: 32
  - .args:
      - .address_space:  global
        .offset:         0
        .size:           8
        .value_kind:     global_buffer
      - .offset:         8
        .size:           4
        .value_kind:     by_value
      - .offset:         12
        .size:           4
        .value_kind:     by_value
      - .address_space:  global
        .offset:         16
        .size:           8
        .value_kind:     global_buffer
      - .address_space:  global
        .offset:         24
        .size:           8
        .value_kind:     global_buffer
      - .actual_access:  write_only
        .address_space:  global
        .offset:         32
        .size:           8
        .value_kind:     global_buffer
      - .offset:         40
        .size:           8
        .value_kind:     by_value
      - .offset:         48
        .size:           4
        .value_kind:     by_value
      - .address_space:  global
        .offset:         56
        .size:           8
        .value_kind:     global_buffer
      - .offset:         64
        .size:           4
        .value_kind:     hidden_block_count_x
      - .offset:         68
        .size:           4
        .value_kind:     hidden_block_count_y
      - .offset:         72
        .size:           4
        .value_kind:     hidden_block_count_z
      - .offset:         76
        .size:           2
        .value_kind:     hidden_group_size_x
      - .offset:         78
        .size:           2
        .value_kind:     hidden_group_size_y
      - .offset:         80
        .size:           2
        .value_kind:     hidden_group_size_z
      - .offset:         82
        .size:           2
        .value_kind:     hidden_remainder_x
      - .offset:         84
        .size:           2
        .value_kind:     hidden_remainder_y
      - .offset:         86
        .size:           2
        .value_kind:     hidden_remainder_z
      - .offset:         104
        .size:           8
        .value_kind:     hidden_global_offset_x
      - .offset:         112
        .size:           8
        .value_kind:     hidden_global_offset_y
      - .offset:         120
        .size:           8
        .value_kind:     hidden_global_offset_z
      - .offset:         128
        .size:           2
        .value_kind:     hidden_grid_dims
    .group_segment_fixed_size: 0
    .kernarg_segment_align: 8
    .kernarg_segment_size: 320
    .language:       OpenCL C
    .language_version:
      - 2
      - 0
    .max_flat_workgroup_size: 256
    .name:           _ZN7rocprim17ROCPRIM_400000_NS6detail30init_device_scan_by_key_kernelINS1_19lookback_scan_stateINS0_5tupleIJjbEEELb1ELb1EEEN6thrust23THRUST_200600_302600_NS6detail15normal_iteratorINS8_10device_ptrIjEEEEjNS1_16block_id_wrapperIjLb1EEEEEvT_jjPNSG_10value_typeET0_PNSt15iterator_traitsISJ_E10value_typeEmT1_T2_
    .private_segment_fixed_size: 0
    .sgpr_count:     19
    .sgpr_spill_count: 0
    .symbol:         _ZN7rocprim17ROCPRIM_400000_NS6detail30init_device_scan_by_key_kernelINS1_19lookback_scan_stateINS0_5tupleIJjbEEELb1ELb1EEEN6thrust23THRUST_200600_302600_NS6detail15normal_iteratorINS8_10device_ptrIjEEEEjNS1_16block_id_wrapperIjLb1EEEEEvT_jjPNSG_10value_typeET0_PNSt15iterator_traitsISJ_E10value_typeEmT1_T2_.kd
    .uniform_work_group_size: 1
    .uses_dynamic_stack: false
    .vgpr_count:     10
    .vgpr_spill_count: 0
    .wavefront_size: 32
  - .args:
      - .offset:         0
        .size:           112
        .value_kind:     by_value
    .group_segment_fixed_size: 0
    .kernarg_segment_align: 8
    .kernarg_segment_size: 112
    .language:       OpenCL C
    .language_version:
      - 2
      - 0
    .max_flat_workgroup_size: 256
    .name:           _ZN7rocprim17ROCPRIM_400000_NS6detail17trampoline_kernelINS0_14default_configENS1_27scan_by_key_config_selectorIjjEEZZNS1_16scan_by_key_implILNS1_25lookback_scan_determinismE0ELb0ES3_N6thrust23THRUST_200600_302600_NS6detail15normal_iteratorINS9_10device_ptrIjEEEESE_SE_jNS9_4plusIvEENS9_8equal_toIvEEjEE10hipError_tPvRmT2_T3_T4_T5_mT6_T7_P12ihipStream_tbENKUlT_T0_E_clISt17integral_constantIbLb1EESZ_EEDaSU_SV_EUlSU_E_NS1_11comp_targetILNS1_3genE0ELNS1_11target_archE4294967295ELNS1_3gpuE0ELNS1_3repE0EEENS1_30default_config_static_selectorELNS0_4arch9wavefront6targetE0EEEvT1_
    .private_segment_fixed_size: 0
    .sgpr_count:     0
    .sgpr_spill_count: 0
    .symbol:         _ZN7rocprim17ROCPRIM_400000_NS6detail17trampoline_kernelINS0_14default_configENS1_27scan_by_key_config_selectorIjjEEZZNS1_16scan_by_key_implILNS1_25lookback_scan_determinismE0ELb0ES3_N6thrust23THRUST_200600_302600_NS6detail15normal_iteratorINS9_10device_ptrIjEEEESE_SE_jNS9_4plusIvEENS9_8equal_toIvEEjEE10hipError_tPvRmT2_T3_T4_T5_mT6_T7_P12ihipStream_tbENKUlT_T0_E_clISt17integral_constantIbLb1EESZ_EEDaSU_SV_EUlSU_E_NS1_11comp_targetILNS1_3genE0ELNS1_11target_archE4294967295ELNS1_3gpuE0ELNS1_3repE0EEENS1_30default_config_static_selectorELNS0_4arch9wavefront6targetE0EEEvT1_.kd
    .uniform_work_group_size: 1
    .uses_dynamic_stack: false
    .vgpr_count:     0
    .vgpr_spill_count: 0
    .wavefront_size: 32
  - .args:
      - .offset:         0
        .size:           112
        .value_kind:     by_value
    .group_segment_fixed_size: 0
    .kernarg_segment_align: 8
    .kernarg_segment_size: 112
    .language:       OpenCL C
    .language_version:
      - 2
      - 0
    .max_flat_workgroup_size: 256
    .name:           _ZN7rocprim17ROCPRIM_400000_NS6detail17trampoline_kernelINS0_14default_configENS1_27scan_by_key_config_selectorIjjEEZZNS1_16scan_by_key_implILNS1_25lookback_scan_determinismE0ELb0ES3_N6thrust23THRUST_200600_302600_NS6detail15normal_iteratorINS9_10device_ptrIjEEEESE_SE_jNS9_4plusIvEENS9_8equal_toIvEEjEE10hipError_tPvRmT2_T3_T4_T5_mT6_T7_P12ihipStream_tbENKUlT_T0_E_clISt17integral_constantIbLb1EESZ_EEDaSU_SV_EUlSU_E_NS1_11comp_targetILNS1_3genE10ELNS1_11target_archE1201ELNS1_3gpuE5ELNS1_3repE0EEENS1_30default_config_static_selectorELNS0_4arch9wavefront6targetE0EEEvT1_
    .private_segment_fixed_size: 0
    .sgpr_count:     0
    .sgpr_spill_count: 0
    .symbol:         _ZN7rocprim17ROCPRIM_400000_NS6detail17trampoline_kernelINS0_14default_configENS1_27scan_by_key_config_selectorIjjEEZZNS1_16scan_by_key_implILNS1_25lookback_scan_determinismE0ELb0ES3_N6thrust23THRUST_200600_302600_NS6detail15normal_iteratorINS9_10device_ptrIjEEEESE_SE_jNS9_4plusIvEENS9_8equal_toIvEEjEE10hipError_tPvRmT2_T3_T4_T5_mT6_T7_P12ihipStream_tbENKUlT_T0_E_clISt17integral_constantIbLb1EESZ_EEDaSU_SV_EUlSU_E_NS1_11comp_targetILNS1_3genE10ELNS1_11target_archE1201ELNS1_3gpuE5ELNS1_3repE0EEENS1_30default_config_static_selectorELNS0_4arch9wavefront6targetE0EEEvT1_.kd
    .uniform_work_group_size: 1
    .uses_dynamic_stack: false
    .vgpr_count:     0
    .vgpr_spill_count: 0
    .wavefront_size: 32
  - .args:
      - .offset:         0
        .size:           112
        .value_kind:     by_value
    .group_segment_fixed_size: 0
    .kernarg_segment_align: 8
    .kernarg_segment_size: 112
    .language:       OpenCL C
    .language_version:
      - 2
      - 0
    .max_flat_workgroup_size: 256
    .name:           _ZN7rocprim17ROCPRIM_400000_NS6detail17trampoline_kernelINS0_14default_configENS1_27scan_by_key_config_selectorIjjEEZZNS1_16scan_by_key_implILNS1_25lookback_scan_determinismE0ELb0ES3_N6thrust23THRUST_200600_302600_NS6detail15normal_iteratorINS9_10device_ptrIjEEEESE_SE_jNS9_4plusIvEENS9_8equal_toIvEEjEE10hipError_tPvRmT2_T3_T4_T5_mT6_T7_P12ihipStream_tbENKUlT_T0_E_clISt17integral_constantIbLb1EESZ_EEDaSU_SV_EUlSU_E_NS1_11comp_targetILNS1_3genE5ELNS1_11target_archE942ELNS1_3gpuE9ELNS1_3repE0EEENS1_30default_config_static_selectorELNS0_4arch9wavefront6targetE0EEEvT1_
    .private_segment_fixed_size: 0
    .sgpr_count:     0
    .sgpr_spill_count: 0
    .symbol:         _ZN7rocprim17ROCPRIM_400000_NS6detail17trampoline_kernelINS0_14default_configENS1_27scan_by_key_config_selectorIjjEEZZNS1_16scan_by_key_implILNS1_25lookback_scan_determinismE0ELb0ES3_N6thrust23THRUST_200600_302600_NS6detail15normal_iteratorINS9_10device_ptrIjEEEESE_SE_jNS9_4plusIvEENS9_8equal_toIvEEjEE10hipError_tPvRmT2_T3_T4_T5_mT6_T7_P12ihipStream_tbENKUlT_T0_E_clISt17integral_constantIbLb1EESZ_EEDaSU_SV_EUlSU_E_NS1_11comp_targetILNS1_3genE5ELNS1_11target_archE942ELNS1_3gpuE9ELNS1_3repE0EEENS1_30default_config_static_selectorELNS0_4arch9wavefront6targetE0EEEvT1_.kd
    .uniform_work_group_size: 1
    .uses_dynamic_stack: false
    .vgpr_count:     0
    .vgpr_spill_count: 0
    .wavefront_size: 32
  - .args:
      - .offset:         0
        .size:           112
        .value_kind:     by_value
    .group_segment_fixed_size: 0
    .kernarg_segment_align: 8
    .kernarg_segment_size: 112
    .language:       OpenCL C
    .language_version:
      - 2
      - 0
    .max_flat_workgroup_size: 256
    .name:           _ZN7rocprim17ROCPRIM_400000_NS6detail17trampoline_kernelINS0_14default_configENS1_27scan_by_key_config_selectorIjjEEZZNS1_16scan_by_key_implILNS1_25lookback_scan_determinismE0ELb0ES3_N6thrust23THRUST_200600_302600_NS6detail15normal_iteratorINS9_10device_ptrIjEEEESE_SE_jNS9_4plusIvEENS9_8equal_toIvEEjEE10hipError_tPvRmT2_T3_T4_T5_mT6_T7_P12ihipStream_tbENKUlT_T0_E_clISt17integral_constantIbLb1EESZ_EEDaSU_SV_EUlSU_E_NS1_11comp_targetILNS1_3genE4ELNS1_11target_archE910ELNS1_3gpuE8ELNS1_3repE0EEENS1_30default_config_static_selectorELNS0_4arch9wavefront6targetE0EEEvT1_
    .private_segment_fixed_size: 0
    .sgpr_count:     0
    .sgpr_spill_count: 0
    .symbol:         _ZN7rocprim17ROCPRIM_400000_NS6detail17trampoline_kernelINS0_14default_configENS1_27scan_by_key_config_selectorIjjEEZZNS1_16scan_by_key_implILNS1_25lookback_scan_determinismE0ELb0ES3_N6thrust23THRUST_200600_302600_NS6detail15normal_iteratorINS9_10device_ptrIjEEEESE_SE_jNS9_4plusIvEENS9_8equal_toIvEEjEE10hipError_tPvRmT2_T3_T4_T5_mT6_T7_P12ihipStream_tbENKUlT_T0_E_clISt17integral_constantIbLb1EESZ_EEDaSU_SV_EUlSU_E_NS1_11comp_targetILNS1_3genE4ELNS1_11target_archE910ELNS1_3gpuE8ELNS1_3repE0EEENS1_30default_config_static_selectorELNS0_4arch9wavefront6targetE0EEEvT1_.kd
    .uniform_work_group_size: 1
    .uses_dynamic_stack: false
    .vgpr_count:     0
    .vgpr_spill_count: 0
    .wavefront_size: 32
  - .args:
      - .offset:         0
        .size:           112
        .value_kind:     by_value
    .group_segment_fixed_size: 0
    .kernarg_segment_align: 8
    .kernarg_segment_size: 112
    .language:       OpenCL C
    .language_version:
      - 2
      - 0
    .max_flat_workgroup_size: 256
    .name:           _ZN7rocprim17ROCPRIM_400000_NS6detail17trampoline_kernelINS0_14default_configENS1_27scan_by_key_config_selectorIjjEEZZNS1_16scan_by_key_implILNS1_25lookback_scan_determinismE0ELb0ES3_N6thrust23THRUST_200600_302600_NS6detail15normal_iteratorINS9_10device_ptrIjEEEESE_SE_jNS9_4plusIvEENS9_8equal_toIvEEjEE10hipError_tPvRmT2_T3_T4_T5_mT6_T7_P12ihipStream_tbENKUlT_T0_E_clISt17integral_constantIbLb1EESZ_EEDaSU_SV_EUlSU_E_NS1_11comp_targetILNS1_3genE3ELNS1_11target_archE908ELNS1_3gpuE7ELNS1_3repE0EEENS1_30default_config_static_selectorELNS0_4arch9wavefront6targetE0EEEvT1_
    .private_segment_fixed_size: 0
    .sgpr_count:     0
    .sgpr_spill_count: 0
    .symbol:         _ZN7rocprim17ROCPRIM_400000_NS6detail17trampoline_kernelINS0_14default_configENS1_27scan_by_key_config_selectorIjjEEZZNS1_16scan_by_key_implILNS1_25lookback_scan_determinismE0ELb0ES3_N6thrust23THRUST_200600_302600_NS6detail15normal_iteratorINS9_10device_ptrIjEEEESE_SE_jNS9_4plusIvEENS9_8equal_toIvEEjEE10hipError_tPvRmT2_T3_T4_T5_mT6_T7_P12ihipStream_tbENKUlT_T0_E_clISt17integral_constantIbLb1EESZ_EEDaSU_SV_EUlSU_E_NS1_11comp_targetILNS1_3genE3ELNS1_11target_archE908ELNS1_3gpuE7ELNS1_3repE0EEENS1_30default_config_static_selectorELNS0_4arch9wavefront6targetE0EEEvT1_.kd
    .uniform_work_group_size: 1
    .uses_dynamic_stack: false
    .vgpr_count:     0
    .vgpr_spill_count: 0
    .wavefront_size: 32
  - .args:
      - .offset:         0
        .size:           112
        .value_kind:     by_value
    .group_segment_fixed_size: 0
    .kernarg_segment_align: 8
    .kernarg_segment_size: 112
    .language:       OpenCL C
    .language_version:
      - 2
      - 0
    .max_flat_workgroup_size: 256
    .name:           _ZN7rocprim17ROCPRIM_400000_NS6detail17trampoline_kernelINS0_14default_configENS1_27scan_by_key_config_selectorIjjEEZZNS1_16scan_by_key_implILNS1_25lookback_scan_determinismE0ELb0ES3_N6thrust23THRUST_200600_302600_NS6detail15normal_iteratorINS9_10device_ptrIjEEEESE_SE_jNS9_4plusIvEENS9_8equal_toIvEEjEE10hipError_tPvRmT2_T3_T4_T5_mT6_T7_P12ihipStream_tbENKUlT_T0_E_clISt17integral_constantIbLb1EESZ_EEDaSU_SV_EUlSU_E_NS1_11comp_targetILNS1_3genE2ELNS1_11target_archE906ELNS1_3gpuE6ELNS1_3repE0EEENS1_30default_config_static_selectorELNS0_4arch9wavefront6targetE0EEEvT1_
    .private_segment_fixed_size: 0
    .sgpr_count:     0
    .sgpr_spill_count: 0
    .symbol:         _ZN7rocprim17ROCPRIM_400000_NS6detail17trampoline_kernelINS0_14default_configENS1_27scan_by_key_config_selectorIjjEEZZNS1_16scan_by_key_implILNS1_25lookback_scan_determinismE0ELb0ES3_N6thrust23THRUST_200600_302600_NS6detail15normal_iteratorINS9_10device_ptrIjEEEESE_SE_jNS9_4plusIvEENS9_8equal_toIvEEjEE10hipError_tPvRmT2_T3_T4_T5_mT6_T7_P12ihipStream_tbENKUlT_T0_E_clISt17integral_constantIbLb1EESZ_EEDaSU_SV_EUlSU_E_NS1_11comp_targetILNS1_3genE2ELNS1_11target_archE906ELNS1_3gpuE6ELNS1_3repE0EEENS1_30default_config_static_selectorELNS0_4arch9wavefront6targetE0EEEvT1_.kd
    .uniform_work_group_size: 1
    .uses_dynamic_stack: false
    .vgpr_count:     0
    .vgpr_spill_count: 0
    .wavefront_size: 32
  - .args:
      - .offset:         0
        .size:           112
        .value_kind:     by_value
    .group_segment_fixed_size: 0
    .kernarg_segment_align: 8
    .kernarg_segment_size: 112
    .language:       OpenCL C
    .language_version:
      - 2
      - 0
    .max_flat_workgroup_size: 256
    .name:           _ZN7rocprim17ROCPRIM_400000_NS6detail17trampoline_kernelINS0_14default_configENS1_27scan_by_key_config_selectorIjjEEZZNS1_16scan_by_key_implILNS1_25lookback_scan_determinismE0ELb0ES3_N6thrust23THRUST_200600_302600_NS6detail15normal_iteratorINS9_10device_ptrIjEEEESE_SE_jNS9_4plusIvEENS9_8equal_toIvEEjEE10hipError_tPvRmT2_T3_T4_T5_mT6_T7_P12ihipStream_tbENKUlT_T0_E_clISt17integral_constantIbLb1EESZ_EEDaSU_SV_EUlSU_E_NS1_11comp_targetILNS1_3genE10ELNS1_11target_archE1200ELNS1_3gpuE4ELNS1_3repE0EEENS1_30default_config_static_selectorELNS0_4arch9wavefront6targetE0EEEvT1_
    .private_segment_fixed_size: 0
    .sgpr_count:     0
    .sgpr_spill_count: 0
    .symbol:         _ZN7rocprim17ROCPRIM_400000_NS6detail17trampoline_kernelINS0_14default_configENS1_27scan_by_key_config_selectorIjjEEZZNS1_16scan_by_key_implILNS1_25lookback_scan_determinismE0ELb0ES3_N6thrust23THRUST_200600_302600_NS6detail15normal_iteratorINS9_10device_ptrIjEEEESE_SE_jNS9_4plusIvEENS9_8equal_toIvEEjEE10hipError_tPvRmT2_T3_T4_T5_mT6_T7_P12ihipStream_tbENKUlT_T0_E_clISt17integral_constantIbLb1EESZ_EEDaSU_SV_EUlSU_E_NS1_11comp_targetILNS1_3genE10ELNS1_11target_archE1200ELNS1_3gpuE4ELNS1_3repE0EEENS1_30default_config_static_selectorELNS0_4arch9wavefront6targetE0EEEvT1_.kd
    .uniform_work_group_size: 1
    .uses_dynamic_stack: false
    .vgpr_count:     0
    .vgpr_spill_count: 0
    .wavefront_size: 32
  - .args:
      - .offset:         0
        .size:           112
        .value_kind:     by_value
    .group_segment_fixed_size: 0
    .kernarg_segment_align: 8
    .kernarg_segment_size: 112
    .language:       OpenCL C
    .language_version:
      - 2
      - 0
    .max_flat_workgroup_size: 256
    .name:           _ZN7rocprim17ROCPRIM_400000_NS6detail17trampoline_kernelINS0_14default_configENS1_27scan_by_key_config_selectorIjjEEZZNS1_16scan_by_key_implILNS1_25lookback_scan_determinismE0ELb0ES3_N6thrust23THRUST_200600_302600_NS6detail15normal_iteratorINS9_10device_ptrIjEEEESE_SE_jNS9_4plusIvEENS9_8equal_toIvEEjEE10hipError_tPvRmT2_T3_T4_T5_mT6_T7_P12ihipStream_tbENKUlT_T0_E_clISt17integral_constantIbLb1EESZ_EEDaSU_SV_EUlSU_E_NS1_11comp_targetILNS1_3genE9ELNS1_11target_archE1100ELNS1_3gpuE3ELNS1_3repE0EEENS1_30default_config_static_selectorELNS0_4arch9wavefront6targetE0EEEvT1_
    .private_segment_fixed_size: 0
    .sgpr_count:     0
    .sgpr_spill_count: 0
    .symbol:         _ZN7rocprim17ROCPRIM_400000_NS6detail17trampoline_kernelINS0_14default_configENS1_27scan_by_key_config_selectorIjjEEZZNS1_16scan_by_key_implILNS1_25lookback_scan_determinismE0ELb0ES3_N6thrust23THRUST_200600_302600_NS6detail15normal_iteratorINS9_10device_ptrIjEEEESE_SE_jNS9_4plusIvEENS9_8equal_toIvEEjEE10hipError_tPvRmT2_T3_T4_T5_mT6_T7_P12ihipStream_tbENKUlT_T0_E_clISt17integral_constantIbLb1EESZ_EEDaSU_SV_EUlSU_E_NS1_11comp_targetILNS1_3genE9ELNS1_11target_archE1100ELNS1_3gpuE3ELNS1_3repE0EEENS1_30default_config_static_selectorELNS0_4arch9wavefront6targetE0EEEvT1_.kd
    .uniform_work_group_size: 1
    .uses_dynamic_stack: false
    .vgpr_count:     0
    .vgpr_spill_count: 0
    .wavefront_size: 32
  - .args:
      - .offset:         0
        .size:           112
        .value_kind:     by_value
    .group_segment_fixed_size: 0
    .kernarg_segment_align: 8
    .kernarg_segment_size: 112
    .language:       OpenCL C
    .language_version:
      - 2
      - 0
    .max_flat_workgroup_size: 256
    .name:           _ZN7rocprim17ROCPRIM_400000_NS6detail17trampoline_kernelINS0_14default_configENS1_27scan_by_key_config_selectorIjjEEZZNS1_16scan_by_key_implILNS1_25lookback_scan_determinismE0ELb0ES3_N6thrust23THRUST_200600_302600_NS6detail15normal_iteratorINS9_10device_ptrIjEEEESE_SE_jNS9_4plusIvEENS9_8equal_toIvEEjEE10hipError_tPvRmT2_T3_T4_T5_mT6_T7_P12ihipStream_tbENKUlT_T0_E_clISt17integral_constantIbLb1EESZ_EEDaSU_SV_EUlSU_E_NS1_11comp_targetILNS1_3genE8ELNS1_11target_archE1030ELNS1_3gpuE2ELNS1_3repE0EEENS1_30default_config_static_selectorELNS0_4arch9wavefront6targetE0EEEvT1_
    .private_segment_fixed_size: 0
    .sgpr_count:     0
    .sgpr_spill_count: 0
    .symbol:         _ZN7rocprim17ROCPRIM_400000_NS6detail17trampoline_kernelINS0_14default_configENS1_27scan_by_key_config_selectorIjjEEZZNS1_16scan_by_key_implILNS1_25lookback_scan_determinismE0ELb0ES3_N6thrust23THRUST_200600_302600_NS6detail15normal_iteratorINS9_10device_ptrIjEEEESE_SE_jNS9_4plusIvEENS9_8equal_toIvEEjEE10hipError_tPvRmT2_T3_T4_T5_mT6_T7_P12ihipStream_tbENKUlT_T0_E_clISt17integral_constantIbLb1EESZ_EEDaSU_SV_EUlSU_E_NS1_11comp_targetILNS1_3genE8ELNS1_11target_archE1030ELNS1_3gpuE2ELNS1_3repE0EEENS1_30default_config_static_selectorELNS0_4arch9wavefront6targetE0EEEvT1_.kd
    .uniform_work_group_size: 1
    .uses_dynamic_stack: false
    .vgpr_count:     0
    .vgpr_spill_count: 0
    .wavefront_size: 32
  - .args:
      - .address_space:  global
        .offset:         0
        .size:           8
        .value_kind:     global_buffer
      - .offset:         8
        .size:           4
        .value_kind:     by_value
      - .offset:         12
        .size:           4
        .value_kind:     by_value
      - .address_space:  global
        .offset:         16
        .size:           8
        .value_kind:     global_buffer
      - .address_space:  global
        .offset:         24
        .size:           8
        .value_kind:     global_buffer
      - .actual_access:  write_only
        .address_space:  global
        .offset:         32
        .size:           8
        .value_kind:     global_buffer
      - .offset:         40
        .size:           8
        .value_kind:     by_value
      - .offset:         48
        .size:           4
        .value_kind:     by_value
      - .offset:         52
        .size:           1
        .value_kind:     by_value
      - .offset:         56
        .size:           4
        .value_kind:     hidden_block_count_x
      - .offset:         60
        .size:           4
        .value_kind:     hidden_block_count_y
      - .offset:         64
        .size:           4
        .value_kind:     hidden_block_count_z
      - .offset:         68
        .size:           2
        .value_kind:     hidden_group_size_x
      - .offset:         70
        .size:           2
        .value_kind:     hidden_group_size_y
      - .offset:         72
        .size:           2
        .value_kind:     hidden_group_size_z
      - .offset:         74
        .size:           2
        .value_kind:     hidden_remainder_x
      - .offset:         76
        .size:           2
        .value_kind:     hidden_remainder_y
      - .offset:         78
        .size:           2
        .value_kind:     hidden_remainder_z
      - .offset:         96
        .size:           8
        .value_kind:     hidden_global_offset_x
      - .offset:         104
        .size:           8
        .value_kind:     hidden_global_offset_y
      - .offset:         112
        .size:           8
        .value_kind:     hidden_global_offset_z
      - .offset:         120
        .size:           2
        .value_kind:     hidden_grid_dims
    .group_segment_fixed_size: 0
    .kernarg_segment_align: 8
    .kernarg_segment_size: 312
    .language:       OpenCL C
    .language_version:
      - 2
      - 0
    .max_flat_workgroup_size: 256
    .name:           _ZN7rocprim17ROCPRIM_400000_NS6detail30init_device_scan_by_key_kernelINS1_19lookback_scan_stateINS0_5tupleIJjbEEELb1ELb1EEEN6thrust23THRUST_200600_302600_NS6detail15normal_iteratorINS8_10device_ptrIjEEEEjNS1_16block_id_wrapperIjLb0EEEEEvT_jjPNSG_10value_typeET0_PNSt15iterator_traitsISJ_E10value_typeEmT1_T2_
    .private_segment_fixed_size: 0
    .sgpr_count:     19
    .sgpr_spill_count: 0
    .symbol:         _ZN7rocprim17ROCPRIM_400000_NS6detail30init_device_scan_by_key_kernelINS1_19lookback_scan_stateINS0_5tupleIJjbEEELb1ELb1EEEN6thrust23THRUST_200600_302600_NS6detail15normal_iteratorINS8_10device_ptrIjEEEEjNS1_16block_id_wrapperIjLb0EEEEEvT_jjPNSG_10value_typeET0_PNSt15iterator_traitsISJ_E10value_typeEmT1_T2_.kd
    .uniform_work_group_size: 1
    .uses_dynamic_stack: false
    .vgpr_count:     10
    .vgpr_spill_count: 0
    .wavefront_size: 32
  - .args:
      - .offset:         0
        .size:           112
        .value_kind:     by_value
    .group_segment_fixed_size: 0
    .kernarg_segment_align: 8
    .kernarg_segment_size: 112
    .language:       OpenCL C
    .language_version:
      - 2
      - 0
    .max_flat_workgroup_size: 256
    .name:           _ZN7rocprim17ROCPRIM_400000_NS6detail17trampoline_kernelINS0_14default_configENS1_27scan_by_key_config_selectorIjjEEZZNS1_16scan_by_key_implILNS1_25lookback_scan_determinismE0ELb0ES3_N6thrust23THRUST_200600_302600_NS6detail15normal_iteratorINS9_10device_ptrIjEEEESE_SE_jNS9_4plusIvEENS9_8equal_toIvEEjEE10hipError_tPvRmT2_T3_T4_T5_mT6_T7_P12ihipStream_tbENKUlT_T0_E_clISt17integral_constantIbLb1EESY_IbLb0EEEEDaSU_SV_EUlSU_E_NS1_11comp_targetILNS1_3genE0ELNS1_11target_archE4294967295ELNS1_3gpuE0ELNS1_3repE0EEENS1_30default_config_static_selectorELNS0_4arch9wavefront6targetE0EEEvT1_
    .private_segment_fixed_size: 0
    .sgpr_count:     0
    .sgpr_spill_count: 0
    .symbol:         _ZN7rocprim17ROCPRIM_400000_NS6detail17trampoline_kernelINS0_14default_configENS1_27scan_by_key_config_selectorIjjEEZZNS1_16scan_by_key_implILNS1_25lookback_scan_determinismE0ELb0ES3_N6thrust23THRUST_200600_302600_NS6detail15normal_iteratorINS9_10device_ptrIjEEEESE_SE_jNS9_4plusIvEENS9_8equal_toIvEEjEE10hipError_tPvRmT2_T3_T4_T5_mT6_T7_P12ihipStream_tbENKUlT_T0_E_clISt17integral_constantIbLb1EESY_IbLb0EEEEDaSU_SV_EUlSU_E_NS1_11comp_targetILNS1_3genE0ELNS1_11target_archE4294967295ELNS1_3gpuE0ELNS1_3repE0EEENS1_30default_config_static_selectorELNS0_4arch9wavefront6targetE0EEEvT1_.kd
    .uniform_work_group_size: 1
    .uses_dynamic_stack: false
    .vgpr_count:     0
    .vgpr_spill_count: 0
    .wavefront_size: 32
  - .args:
      - .offset:         0
        .size:           112
        .value_kind:     by_value
    .group_segment_fixed_size: 0
    .kernarg_segment_align: 8
    .kernarg_segment_size: 112
    .language:       OpenCL C
    .language_version:
      - 2
      - 0
    .max_flat_workgroup_size: 256
    .name:           _ZN7rocprim17ROCPRIM_400000_NS6detail17trampoline_kernelINS0_14default_configENS1_27scan_by_key_config_selectorIjjEEZZNS1_16scan_by_key_implILNS1_25lookback_scan_determinismE0ELb0ES3_N6thrust23THRUST_200600_302600_NS6detail15normal_iteratorINS9_10device_ptrIjEEEESE_SE_jNS9_4plusIvEENS9_8equal_toIvEEjEE10hipError_tPvRmT2_T3_T4_T5_mT6_T7_P12ihipStream_tbENKUlT_T0_E_clISt17integral_constantIbLb1EESY_IbLb0EEEEDaSU_SV_EUlSU_E_NS1_11comp_targetILNS1_3genE10ELNS1_11target_archE1201ELNS1_3gpuE5ELNS1_3repE0EEENS1_30default_config_static_selectorELNS0_4arch9wavefront6targetE0EEEvT1_
    .private_segment_fixed_size: 0
    .sgpr_count:     0
    .sgpr_spill_count: 0
    .symbol:         _ZN7rocprim17ROCPRIM_400000_NS6detail17trampoline_kernelINS0_14default_configENS1_27scan_by_key_config_selectorIjjEEZZNS1_16scan_by_key_implILNS1_25lookback_scan_determinismE0ELb0ES3_N6thrust23THRUST_200600_302600_NS6detail15normal_iteratorINS9_10device_ptrIjEEEESE_SE_jNS9_4plusIvEENS9_8equal_toIvEEjEE10hipError_tPvRmT2_T3_T4_T5_mT6_T7_P12ihipStream_tbENKUlT_T0_E_clISt17integral_constantIbLb1EESY_IbLb0EEEEDaSU_SV_EUlSU_E_NS1_11comp_targetILNS1_3genE10ELNS1_11target_archE1201ELNS1_3gpuE5ELNS1_3repE0EEENS1_30default_config_static_selectorELNS0_4arch9wavefront6targetE0EEEvT1_.kd
    .uniform_work_group_size: 1
    .uses_dynamic_stack: false
    .vgpr_count:     0
    .vgpr_spill_count: 0
    .wavefront_size: 32
  - .args:
      - .offset:         0
        .size:           112
        .value_kind:     by_value
    .group_segment_fixed_size: 0
    .kernarg_segment_align: 8
    .kernarg_segment_size: 112
    .language:       OpenCL C
    .language_version:
      - 2
      - 0
    .max_flat_workgroup_size: 256
    .name:           _ZN7rocprim17ROCPRIM_400000_NS6detail17trampoline_kernelINS0_14default_configENS1_27scan_by_key_config_selectorIjjEEZZNS1_16scan_by_key_implILNS1_25lookback_scan_determinismE0ELb0ES3_N6thrust23THRUST_200600_302600_NS6detail15normal_iteratorINS9_10device_ptrIjEEEESE_SE_jNS9_4plusIvEENS9_8equal_toIvEEjEE10hipError_tPvRmT2_T3_T4_T5_mT6_T7_P12ihipStream_tbENKUlT_T0_E_clISt17integral_constantIbLb1EESY_IbLb0EEEEDaSU_SV_EUlSU_E_NS1_11comp_targetILNS1_3genE5ELNS1_11target_archE942ELNS1_3gpuE9ELNS1_3repE0EEENS1_30default_config_static_selectorELNS0_4arch9wavefront6targetE0EEEvT1_
    .private_segment_fixed_size: 0
    .sgpr_count:     0
    .sgpr_spill_count: 0
    .symbol:         _ZN7rocprim17ROCPRIM_400000_NS6detail17trampoline_kernelINS0_14default_configENS1_27scan_by_key_config_selectorIjjEEZZNS1_16scan_by_key_implILNS1_25lookback_scan_determinismE0ELb0ES3_N6thrust23THRUST_200600_302600_NS6detail15normal_iteratorINS9_10device_ptrIjEEEESE_SE_jNS9_4plusIvEENS9_8equal_toIvEEjEE10hipError_tPvRmT2_T3_T4_T5_mT6_T7_P12ihipStream_tbENKUlT_T0_E_clISt17integral_constantIbLb1EESY_IbLb0EEEEDaSU_SV_EUlSU_E_NS1_11comp_targetILNS1_3genE5ELNS1_11target_archE942ELNS1_3gpuE9ELNS1_3repE0EEENS1_30default_config_static_selectorELNS0_4arch9wavefront6targetE0EEEvT1_.kd
    .uniform_work_group_size: 1
    .uses_dynamic_stack: false
    .vgpr_count:     0
    .vgpr_spill_count: 0
    .wavefront_size: 32
  - .args:
      - .offset:         0
        .size:           112
        .value_kind:     by_value
    .group_segment_fixed_size: 0
    .kernarg_segment_align: 8
    .kernarg_segment_size: 112
    .language:       OpenCL C
    .language_version:
      - 2
      - 0
    .max_flat_workgroup_size: 256
    .name:           _ZN7rocprim17ROCPRIM_400000_NS6detail17trampoline_kernelINS0_14default_configENS1_27scan_by_key_config_selectorIjjEEZZNS1_16scan_by_key_implILNS1_25lookback_scan_determinismE0ELb0ES3_N6thrust23THRUST_200600_302600_NS6detail15normal_iteratorINS9_10device_ptrIjEEEESE_SE_jNS9_4plusIvEENS9_8equal_toIvEEjEE10hipError_tPvRmT2_T3_T4_T5_mT6_T7_P12ihipStream_tbENKUlT_T0_E_clISt17integral_constantIbLb1EESY_IbLb0EEEEDaSU_SV_EUlSU_E_NS1_11comp_targetILNS1_3genE4ELNS1_11target_archE910ELNS1_3gpuE8ELNS1_3repE0EEENS1_30default_config_static_selectorELNS0_4arch9wavefront6targetE0EEEvT1_
    .private_segment_fixed_size: 0
    .sgpr_count:     0
    .sgpr_spill_count: 0
    .symbol:         _ZN7rocprim17ROCPRIM_400000_NS6detail17trampoline_kernelINS0_14default_configENS1_27scan_by_key_config_selectorIjjEEZZNS1_16scan_by_key_implILNS1_25lookback_scan_determinismE0ELb0ES3_N6thrust23THRUST_200600_302600_NS6detail15normal_iteratorINS9_10device_ptrIjEEEESE_SE_jNS9_4plusIvEENS9_8equal_toIvEEjEE10hipError_tPvRmT2_T3_T4_T5_mT6_T7_P12ihipStream_tbENKUlT_T0_E_clISt17integral_constantIbLb1EESY_IbLb0EEEEDaSU_SV_EUlSU_E_NS1_11comp_targetILNS1_3genE4ELNS1_11target_archE910ELNS1_3gpuE8ELNS1_3repE0EEENS1_30default_config_static_selectorELNS0_4arch9wavefront6targetE0EEEvT1_.kd
    .uniform_work_group_size: 1
    .uses_dynamic_stack: false
    .vgpr_count:     0
    .vgpr_spill_count: 0
    .wavefront_size: 32
  - .args:
      - .offset:         0
        .size:           112
        .value_kind:     by_value
    .group_segment_fixed_size: 0
    .kernarg_segment_align: 8
    .kernarg_segment_size: 112
    .language:       OpenCL C
    .language_version:
      - 2
      - 0
    .max_flat_workgroup_size: 256
    .name:           _ZN7rocprim17ROCPRIM_400000_NS6detail17trampoline_kernelINS0_14default_configENS1_27scan_by_key_config_selectorIjjEEZZNS1_16scan_by_key_implILNS1_25lookback_scan_determinismE0ELb0ES3_N6thrust23THRUST_200600_302600_NS6detail15normal_iteratorINS9_10device_ptrIjEEEESE_SE_jNS9_4plusIvEENS9_8equal_toIvEEjEE10hipError_tPvRmT2_T3_T4_T5_mT6_T7_P12ihipStream_tbENKUlT_T0_E_clISt17integral_constantIbLb1EESY_IbLb0EEEEDaSU_SV_EUlSU_E_NS1_11comp_targetILNS1_3genE3ELNS1_11target_archE908ELNS1_3gpuE7ELNS1_3repE0EEENS1_30default_config_static_selectorELNS0_4arch9wavefront6targetE0EEEvT1_
    .private_segment_fixed_size: 0
    .sgpr_count:     0
    .sgpr_spill_count: 0
    .symbol:         _ZN7rocprim17ROCPRIM_400000_NS6detail17trampoline_kernelINS0_14default_configENS1_27scan_by_key_config_selectorIjjEEZZNS1_16scan_by_key_implILNS1_25lookback_scan_determinismE0ELb0ES3_N6thrust23THRUST_200600_302600_NS6detail15normal_iteratorINS9_10device_ptrIjEEEESE_SE_jNS9_4plusIvEENS9_8equal_toIvEEjEE10hipError_tPvRmT2_T3_T4_T5_mT6_T7_P12ihipStream_tbENKUlT_T0_E_clISt17integral_constantIbLb1EESY_IbLb0EEEEDaSU_SV_EUlSU_E_NS1_11comp_targetILNS1_3genE3ELNS1_11target_archE908ELNS1_3gpuE7ELNS1_3repE0EEENS1_30default_config_static_selectorELNS0_4arch9wavefront6targetE0EEEvT1_.kd
    .uniform_work_group_size: 1
    .uses_dynamic_stack: false
    .vgpr_count:     0
    .vgpr_spill_count: 0
    .wavefront_size: 32
  - .args:
      - .offset:         0
        .size:           112
        .value_kind:     by_value
    .group_segment_fixed_size: 0
    .kernarg_segment_align: 8
    .kernarg_segment_size: 112
    .language:       OpenCL C
    .language_version:
      - 2
      - 0
    .max_flat_workgroup_size: 256
    .name:           _ZN7rocprim17ROCPRIM_400000_NS6detail17trampoline_kernelINS0_14default_configENS1_27scan_by_key_config_selectorIjjEEZZNS1_16scan_by_key_implILNS1_25lookback_scan_determinismE0ELb0ES3_N6thrust23THRUST_200600_302600_NS6detail15normal_iteratorINS9_10device_ptrIjEEEESE_SE_jNS9_4plusIvEENS9_8equal_toIvEEjEE10hipError_tPvRmT2_T3_T4_T5_mT6_T7_P12ihipStream_tbENKUlT_T0_E_clISt17integral_constantIbLb1EESY_IbLb0EEEEDaSU_SV_EUlSU_E_NS1_11comp_targetILNS1_3genE2ELNS1_11target_archE906ELNS1_3gpuE6ELNS1_3repE0EEENS1_30default_config_static_selectorELNS0_4arch9wavefront6targetE0EEEvT1_
    .private_segment_fixed_size: 0
    .sgpr_count:     0
    .sgpr_spill_count: 0
    .symbol:         _ZN7rocprim17ROCPRIM_400000_NS6detail17trampoline_kernelINS0_14default_configENS1_27scan_by_key_config_selectorIjjEEZZNS1_16scan_by_key_implILNS1_25lookback_scan_determinismE0ELb0ES3_N6thrust23THRUST_200600_302600_NS6detail15normal_iteratorINS9_10device_ptrIjEEEESE_SE_jNS9_4plusIvEENS9_8equal_toIvEEjEE10hipError_tPvRmT2_T3_T4_T5_mT6_T7_P12ihipStream_tbENKUlT_T0_E_clISt17integral_constantIbLb1EESY_IbLb0EEEEDaSU_SV_EUlSU_E_NS1_11comp_targetILNS1_3genE2ELNS1_11target_archE906ELNS1_3gpuE6ELNS1_3repE0EEENS1_30default_config_static_selectorELNS0_4arch9wavefront6targetE0EEEvT1_.kd
    .uniform_work_group_size: 1
    .uses_dynamic_stack: false
    .vgpr_count:     0
    .vgpr_spill_count: 0
    .wavefront_size: 32
  - .args:
      - .offset:         0
        .size:           112
        .value_kind:     by_value
    .group_segment_fixed_size: 0
    .kernarg_segment_align: 8
    .kernarg_segment_size: 112
    .language:       OpenCL C
    .language_version:
      - 2
      - 0
    .max_flat_workgroup_size: 256
    .name:           _ZN7rocprim17ROCPRIM_400000_NS6detail17trampoline_kernelINS0_14default_configENS1_27scan_by_key_config_selectorIjjEEZZNS1_16scan_by_key_implILNS1_25lookback_scan_determinismE0ELb0ES3_N6thrust23THRUST_200600_302600_NS6detail15normal_iteratorINS9_10device_ptrIjEEEESE_SE_jNS9_4plusIvEENS9_8equal_toIvEEjEE10hipError_tPvRmT2_T3_T4_T5_mT6_T7_P12ihipStream_tbENKUlT_T0_E_clISt17integral_constantIbLb1EESY_IbLb0EEEEDaSU_SV_EUlSU_E_NS1_11comp_targetILNS1_3genE10ELNS1_11target_archE1200ELNS1_3gpuE4ELNS1_3repE0EEENS1_30default_config_static_selectorELNS0_4arch9wavefront6targetE0EEEvT1_
    .private_segment_fixed_size: 0
    .sgpr_count:     0
    .sgpr_spill_count: 0
    .symbol:         _ZN7rocprim17ROCPRIM_400000_NS6detail17trampoline_kernelINS0_14default_configENS1_27scan_by_key_config_selectorIjjEEZZNS1_16scan_by_key_implILNS1_25lookback_scan_determinismE0ELb0ES3_N6thrust23THRUST_200600_302600_NS6detail15normal_iteratorINS9_10device_ptrIjEEEESE_SE_jNS9_4plusIvEENS9_8equal_toIvEEjEE10hipError_tPvRmT2_T3_T4_T5_mT6_T7_P12ihipStream_tbENKUlT_T0_E_clISt17integral_constantIbLb1EESY_IbLb0EEEEDaSU_SV_EUlSU_E_NS1_11comp_targetILNS1_3genE10ELNS1_11target_archE1200ELNS1_3gpuE4ELNS1_3repE0EEENS1_30default_config_static_selectorELNS0_4arch9wavefront6targetE0EEEvT1_.kd
    .uniform_work_group_size: 1
    .uses_dynamic_stack: false
    .vgpr_count:     0
    .vgpr_spill_count: 0
    .wavefront_size: 32
  - .args:
      - .offset:         0
        .size:           112
        .value_kind:     by_value
    .group_segment_fixed_size: 0
    .kernarg_segment_align: 8
    .kernarg_segment_size: 112
    .language:       OpenCL C
    .language_version:
      - 2
      - 0
    .max_flat_workgroup_size: 256
    .name:           _ZN7rocprim17ROCPRIM_400000_NS6detail17trampoline_kernelINS0_14default_configENS1_27scan_by_key_config_selectorIjjEEZZNS1_16scan_by_key_implILNS1_25lookback_scan_determinismE0ELb0ES3_N6thrust23THRUST_200600_302600_NS6detail15normal_iteratorINS9_10device_ptrIjEEEESE_SE_jNS9_4plusIvEENS9_8equal_toIvEEjEE10hipError_tPvRmT2_T3_T4_T5_mT6_T7_P12ihipStream_tbENKUlT_T0_E_clISt17integral_constantIbLb1EESY_IbLb0EEEEDaSU_SV_EUlSU_E_NS1_11comp_targetILNS1_3genE9ELNS1_11target_archE1100ELNS1_3gpuE3ELNS1_3repE0EEENS1_30default_config_static_selectorELNS0_4arch9wavefront6targetE0EEEvT1_
    .private_segment_fixed_size: 0
    .sgpr_count:     0
    .sgpr_spill_count: 0
    .symbol:         _ZN7rocprim17ROCPRIM_400000_NS6detail17trampoline_kernelINS0_14default_configENS1_27scan_by_key_config_selectorIjjEEZZNS1_16scan_by_key_implILNS1_25lookback_scan_determinismE0ELb0ES3_N6thrust23THRUST_200600_302600_NS6detail15normal_iteratorINS9_10device_ptrIjEEEESE_SE_jNS9_4plusIvEENS9_8equal_toIvEEjEE10hipError_tPvRmT2_T3_T4_T5_mT6_T7_P12ihipStream_tbENKUlT_T0_E_clISt17integral_constantIbLb1EESY_IbLb0EEEEDaSU_SV_EUlSU_E_NS1_11comp_targetILNS1_3genE9ELNS1_11target_archE1100ELNS1_3gpuE3ELNS1_3repE0EEENS1_30default_config_static_selectorELNS0_4arch9wavefront6targetE0EEEvT1_.kd
    .uniform_work_group_size: 1
    .uses_dynamic_stack: false
    .vgpr_count:     0
    .vgpr_spill_count: 0
    .wavefront_size: 32
  - .args:
      - .offset:         0
        .size:           112
        .value_kind:     by_value
    .group_segment_fixed_size: 0
    .kernarg_segment_align: 8
    .kernarg_segment_size: 112
    .language:       OpenCL C
    .language_version:
      - 2
      - 0
    .max_flat_workgroup_size: 256
    .name:           _ZN7rocprim17ROCPRIM_400000_NS6detail17trampoline_kernelINS0_14default_configENS1_27scan_by_key_config_selectorIjjEEZZNS1_16scan_by_key_implILNS1_25lookback_scan_determinismE0ELb0ES3_N6thrust23THRUST_200600_302600_NS6detail15normal_iteratorINS9_10device_ptrIjEEEESE_SE_jNS9_4plusIvEENS9_8equal_toIvEEjEE10hipError_tPvRmT2_T3_T4_T5_mT6_T7_P12ihipStream_tbENKUlT_T0_E_clISt17integral_constantIbLb1EESY_IbLb0EEEEDaSU_SV_EUlSU_E_NS1_11comp_targetILNS1_3genE8ELNS1_11target_archE1030ELNS1_3gpuE2ELNS1_3repE0EEENS1_30default_config_static_selectorELNS0_4arch9wavefront6targetE0EEEvT1_
    .private_segment_fixed_size: 0
    .sgpr_count:     0
    .sgpr_spill_count: 0
    .symbol:         _ZN7rocprim17ROCPRIM_400000_NS6detail17trampoline_kernelINS0_14default_configENS1_27scan_by_key_config_selectorIjjEEZZNS1_16scan_by_key_implILNS1_25lookback_scan_determinismE0ELb0ES3_N6thrust23THRUST_200600_302600_NS6detail15normal_iteratorINS9_10device_ptrIjEEEESE_SE_jNS9_4plusIvEENS9_8equal_toIvEEjEE10hipError_tPvRmT2_T3_T4_T5_mT6_T7_P12ihipStream_tbENKUlT_T0_E_clISt17integral_constantIbLb1EESY_IbLb0EEEEDaSU_SV_EUlSU_E_NS1_11comp_targetILNS1_3genE8ELNS1_11target_archE1030ELNS1_3gpuE2ELNS1_3repE0EEENS1_30default_config_static_selectorELNS0_4arch9wavefront6targetE0EEEvT1_.kd
    .uniform_work_group_size: 1
    .uses_dynamic_stack: false
    .vgpr_count:     0
    .vgpr_spill_count: 0
    .wavefront_size: 32
  - .args:
      - .address_space:  global
        .offset:         0
        .size:           8
        .value_kind:     global_buffer
      - .offset:         8
        .size:           4
        .value_kind:     by_value
      - .offset:         12
        .size:           4
        .value_kind:     by_value
      - .address_space:  global
        .offset:         16
        .size:           8
        .value_kind:     global_buffer
      - .address_space:  global
        .offset:         24
        .size:           8
        .value_kind:     global_buffer
      - .actual_access:  write_only
        .address_space:  global
        .offset:         32
        .size:           8
        .value_kind:     global_buffer
      - .offset:         40
        .size:           8
        .value_kind:     by_value
      - .offset:         48
        .size:           4
        .value_kind:     by_value
      - .address_space:  global
        .offset:         56
        .size:           8
        .value_kind:     global_buffer
      - .offset:         64
        .size:           4
        .value_kind:     hidden_block_count_x
      - .offset:         68
        .size:           4
        .value_kind:     hidden_block_count_y
      - .offset:         72
        .size:           4
        .value_kind:     hidden_block_count_z
      - .offset:         76
        .size:           2
        .value_kind:     hidden_group_size_x
      - .offset:         78
        .size:           2
        .value_kind:     hidden_group_size_y
      - .offset:         80
        .size:           2
        .value_kind:     hidden_group_size_z
      - .offset:         82
        .size:           2
        .value_kind:     hidden_remainder_x
      - .offset:         84
        .size:           2
        .value_kind:     hidden_remainder_y
      - .offset:         86
        .size:           2
        .value_kind:     hidden_remainder_z
      - .offset:         104
        .size:           8
        .value_kind:     hidden_global_offset_x
      - .offset:         112
        .size:           8
        .value_kind:     hidden_global_offset_y
      - .offset:         120
        .size:           8
        .value_kind:     hidden_global_offset_z
      - .offset:         128
        .size:           2
        .value_kind:     hidden_grid_dims
    .group_segment_fixed_size: 0
    .kernarg_segment_align: 8
    .kernarg_segment_size: 320
    .language:       OpenCL C
    .language_version:
      - 2
      - 0
    .max_flat_workgroup_size: 256
    .name:           _ZN7rocprim17ROCPRIM_400000_NS6detail30init_device_scan_by_key_kernelINS1_19lookback_scan_stateINS0_5tupleIJjbEEELb0ELb1EEEN6thrust23THRUST_200600_302600_NS6detail15normal_iteratorINS8_10device_ptrIjEEEEjNS1_16block_id_wrapperIjLb1EEEEEvT_jjPNSG_10value_typeET0_PNSt15iterator_traitsISJ_E10value_typeEmT1_T2_
    .private_segment_fixed_size: 0
    .sgpr_count:     19
    .sgpr_spill_count: 0
    .symbol:         _ZN7rocprim17ROCPRIM_400000_NS6detail30init_device_scan_by_key_kernelINS1_19lookback_scan_stateINS0_5tupleIJjbEEELb0ELb1EEEN6thrust23THRUST_200600_302600_NS6detail15normal_iteratorINS8_10device_ptrIjEEEEjNS1_16block_id_wrapperIjLb1EEEEEvT_jjPNSG_10value_typeET0_PNSt15iterator_traitsISJ_E10value_typeEmT1_T2_.kd
    .uniform_work_group_size: 1
    .uses_dynamic_stack: false
    .vgpr_count:     10
    .vgpr_spill_count: 0
    .wavefront_size: 32
  - .args:
      - .offset:         0
        .size:           112
        .value_kind:     by_value
    .group_segment_fixed_size: 14336
    .kernarg_segment_align: 8
    .kernarg_segment_size: 112
    .language:       OpenCL C
    .language_version:
      - 2
      - 0
    .max_flat_workgroup_size: 256
    .name:           _ZN7rocprim17ROCPRIM_400000_NS6detail17trampoline_kernelINS0_14default_configENS1_27scan_by_key_config_selectorIjjEEZZNS1_16scan_by_key_implILNS1_25lookback_scan_determinismE0ELb0ES3_N6thrust23THRUST_200600_302600_NS6detail15normal_iteratorINS9_10device_ptrIjEEEESE_SE_jNS9_4plusIvEENS9_8equal_toIvEEjEE10hipError_tPvRmT2_T3_T4_T5_mT6_T7_P12ihipStream_tbENKUlT_T0_E_clISt17integral_constantIbLb0EESY_IbLb1EEEEDaSU_SV_EUlSU_E_NS1_11comp_targetILNS1_3genE0ELNS1_11target_archE4294967295ELNS1_3gpuE0ELNS1_3repE0EEENS1_30default_config_static_selectorELNS0_4arch9wavefront6targetE0EEEvT1_
    .private_segment_fixed_size: 0
    .sgpr_count:     46
    .sgpr_spill_count: 0
    .symbol:         _ZN7rocprim17ROCPRIM_400000_NS6detail17trampoline_kernelINS0_14default_configENS1_27scan_by_key_config_selectorIjjEEZZNS1_16scan_by_key_implILNS1_25lookback_scan_determinismE0ELb0ES3_N6thrust23THRUST_200600_302600_NS6detail15normal_iteratorINS9_10device_ptrIjEEEESE_SE_jNS9_4plusIvEENS9_8equal_toIvEEjEE10hipError_tPvRmT2_T3_T4_T5_mT6_T7_P12ihipStream_tbENKUlT_T0_E_clISt17integral_constantIbLb0EESY_IbLb1EEEEDaSU_SV_EUlSU_E_NS1_11comp_targetILNS1_3genE0ELNS1_11target_archE4294967295ELNS1_3gpuE0ELNS1_3repE0EEENS1_30default_config_static_selectorELNS0_4arch9wavefront6targetE0EEEvT1_.kd
    .uniform_work_group_size: 1
    .uses_dynamic_stack: false
    .vgpr_count:     60
    .vgpr_spill_count: 0
    .wavefront_size: 32
  - .args:
      - .offset:         0
        .size:           112
        .value_kind:     by_value
    .group_segment_fixed_size: 0
    .kernarg_segment_align: 8
    .kernarg_segment_size: 112
    .language:       OpenCL C
    .language_version:
      - 2
      - 0
    .max_flat_workgroup_size: 256
    .name:           _ZN7rocprim17ROCPRIM_400000_NS6detail17trampoline_kernelINS0_14default_configENS1_27scan_by_key_config_selectorIjjEEZZNS1_16scan_by_key_implILNS1_25lookback_scan_determinismE0ELb0ES3_N6thrust23THRUST_200600_302600_NS6detail15normal_iteratorINS9_10device_ptrIjEEEESE_SE_jNS9_4plusIvEENS9_8equal_toIvEEjEE10hipError_tPvRmT2_T3_T4_T5_mT6_T7_P12ihipStream_tbENKUlT_T0_E_clISt17integral_constantIbLb0EESY_IbLb1EEEEDaSU_SV_EUlSU_E_NS1_11comp_targetILNS1_3genE10ELNS1_11target_archE1201ELNS1_3gpuE5ELNS1_3repE0EEENS1_30default_config_static_selectorELNS0_4arch9wavefront6targetE0EEEvT1_
    .private_segment_fixed_size: 0
    .sgpr_count:     0
    .sgpr_spill_count: 0
    .symbol:         _ZN7rocprim17ROCPRIM_400000_NS6detail17trampoline_kernelINS0_14default_configENS1_27scan_by_key_config_selectorIjjEEZZNS1_16scan_by_key_implILNS1_25lookback_scan_determinismE0ELb0ES3_N6thrust23THRUST_200600_302600_NS6detail15normal_iteratorINS9_10device_ptrIjEEEESE_SE_jNS9_4plusIvEENS9_8equal_toIvEEjEE10hipError_tPvRmT2_T3_T4_T5_mT6_T7_P12ihipStream_tbENKUlT_T0_E_clISt17integral_constantIbLb0EESY_IbLb1EEEEDaSU_SV_EUlSU_E_NS1_11comp_targetILNS1_3genE10ELNS1_11target_archE1201ELNS1_3gpuE5ELNS1_3repE0EEENS1_30default_config_static_selectorELNS0_4arch9wavefront6targetE0EEEvT1_.kd
    .uniform_work_group_size: 1
    .uses_dynamic_stack: false
    .vgpr_count:     0
    .vgpr_spill_count: 0
    .wavefront_size: 32
  - .args:
      - .offset:         0
        .size:           112
        .value_kind:     by_value
    .group_segment_fixed_size: 0
    .kernarg_segment_align: 8
    .kernarg_segment_size: 112
    .language:       OpenCL C
    .language_version:
      - 2
      - 0
    .max_flat_workgroup_size: 256
    .name:           _ZN7rocprim17ROCPRIM_400000_NS6detail17trampoline_kernelINS0_14default_configENS1_27scan_by_key_config_selectorIjjEEZZNS1_16scan_by_key_implILNS1_25lookback_scan_determinismE0ELb0ES3_N6thrust23THRUST_200600_302600_NS6detail15normal_iteratorINS9_10device_ptrIjEEEESE_SE_jNS9_4plusIvEENS9_8equal_toIvEEjEE10hipError_tPvRmT2_T3_T4_T5_mT6_T7_P12ihipStream_tbENKUlT_T0_E_clISt17integral_constantIbLb0EESY_IbLb1EEEEDaSU_SV_EUlSU_E_NS1_11comp_targetILNS1_3genE5ELNS1_11target_archE942ELNS1_3gpuE9ELNS1_3repE0EEENS1_30default_config_static_selectorELNS0_4arch9wavefront6targetE0EEEvT1_
    .private_segment_fixed_size: 0
    .sgpr_count:     0
    .sgpr_spill_count: 0
    .symbol:         _ZN7rocprim17ROCPRIM_400000_NS6detail17trampoline_kernelINS0_14default_configENS1_27scan_by_key_config_selectorIjjEEZZNS1_16scan_by_key_implILNS1_25lookback_scan_determinismE0ELb0ES3_N6thrust23THRUST_200600_302600_NS6detail15normal_iteratorINS9_10device_ptrIjEEEESE_SE_jNS9_4plusIvEENS9_8equal_toIvEEjEE10hipError_tPvRmT2_T3_T4_T5_mT6_T7_P12ihipStream_tbENKUlT_T0_E_clISt17integral_constantIbLb0EESY_IbLb1EEEEDaSU_SV_EUlSU_E_NS1_11comp_targetILNS1_3genE5ELNS1_11target_archE942ELNS1_3gpuE9ELNS1_3repE0EEENS1_30default_config_static_selectorELNS0_4arch9wavefront6targetE0EEEvT1_.kd
    .uniform_work_group_size: 1
    .uses_dynamic_stack: false
    .vgpr_count:     0
    .vgpr_spill_count: 0
    .wavefront_size: 32
  - .args:
      - .offset:         0
        .size:           112
        .value_kind:     by_value
    .group_segment_fixed_size: 0
    .kernarg_segment_align: 8
    .kernarg_segment_size: 112
    .language:       OpenCL C
    .language_version:
      - 2
      - 0
    .max_flat_workgroup_size: 256
    .name:           _ZN7rocprim17ROCPRIM_400000_NS6detail17trampoline_kernelINS0_14default_configENS1_27scan_by_key_config_selectorIjjEEZZNS1_16scan_by_key_implILNS1_25lookback_scan_determinismE0ELb0ES3_N6thrust23THRUST_200600_302600_NS6detail15normal_iteratorINS9_10device_ptrIjEEEESE_SE_jNS9_4plusIvEENS9_8equal_toIvEEjEE10hipError_tPvRmT2_T3_T4_T5_mT6_T7_P12ihipStream_tbENKUlT_T0_E_clISt17integral_constantIbLb0EESY_IbLb1EEEEDaSU_SV_EUlSU_E_NS1_11comp_targetILNS1_3genE4ELNS1_11target_archE910ELNS1_3gpuE8ELNS1_3repE0EEENS1_30default_config_static_selectorELNS0_4arch9wavefront6targetE0EEEvT1_
    .private_segment_fixed_size: 0
    .sgpr_count:     0
    .sgpr_spill_count: 0
    .symbol:         _ZN7rocprim17ROCPRIM_400000_NS6detail17trampoline_kernelINS0_14default_configENS1_27scan_by_key_config_selectorIjjEEZZNS1_16scan_by_key_implILNS1_25lookback_scan_determinismE0ELb0ES3_N6thrust23THRUST_200600_302600_NS6detail15normal_iteratorINS9_10device_ptrIjEEEESE_SE_jNS9_4plusIvEENS9_8equal_toIvEEjEE10hipError_tPvRmT2_T3_T4_T5_mT6_T7_P12ihipStream_tbENKUlT_T0_E_clISt17integral_constantIbLb0EESY_IbLb1EEEEDaSU_SV_EUlSU_E_NS1_11comp_targetILNS1_3genE4ELNS1_11target_archE910ELNS1_3gpuE8ELNS1_3repE0EEENS1_30default_config_static_selectorELNS0_4arch9wavefront6targetE0EEEvT1_.kd
    .uniform_work_group_size: 1
    .uses_dynamic_stack: false
    .vgpr_count:     0
    .vgpr_spill_count: 0
    .wavefront_size: 32
  - .args:
      - .offset:         0
        .size:           112
        .value_kind:     by_value
    .group_segment_fixed_size: 0
    .kernarg_segment_align: 8
    .kernarg_segment_size: 112
    .language:       OpenCL C
    .language_version:
      - 2
      - 0
    .max_flat_workgroup_size: 256
    .name:           _ZN7rocprim17ROCPRIM_400000_NS6detail17trampoline_kernelINS0_14default_configENS1_27scan_by_key_config_selectorIjjEEZZNS1_16scan_by_key_implILNS1_25lookback_scan_determinismE0ELb0ES3_N6thrust23THRUST_200600_302600_NS6detail15normal_iteratorINS9_10device_ptrIjEEEESE_SE_jNS9_4plusIvEENS9_8equal_toIvEEjEE10hipError_tPvRmT2_T3_T4_T5_mT6_T7_P12ihipStream_tbENKUlT_T0_E_clISt17integral_constantIbLb0EESY_IbLb1EEEEDaSU_SV_EUlSU_E_NS1_11comp_targetILNS1_3genE3ELNS1_11target_archE908ELNS1_3gpuE7ELNS1_3repE0EEENS1_30default_config_static_selectorELNS0_4arch9wavefront6targetE0EEEvT1_
    .private_segment_fixed_size: 0
    .sgpr_count:     0
    .sgpr_spill_count: 0
    .symbol:         _ZN7rocprim17ROCPRIM_400000_NS6detail17trampoline_kernelINS0_14default_configENS1_27scan_by_key_config_selectorIjjEEZZNS1_16scan_by_key_implILNS1_25lookback_scan_determinismE0ELb0ES3_N6thrust23THRUST_200600_302600_NS6detail15normal_iteratorINS9_10device_ptrIjEEEESE_SE_jNS9_4plusIvEENS9_8equal_toIvEEjEE10hipError_tPvRmT2_T3_T4_T5_mT6_T7_P12ihipStream_tbENKUlT_T0_E_clISt17integral_constantIbLb0EESY_IbLb1EEEEDaSU_SV_EUlSU_E_NS1_11comp_targetILNS1_3genE3ELNS1_11target_archE908ELNS1_3gpuE7ELNS1_3repE0EEENS1_30default_config_static_selectorELNS0_4arch9wavefront6targetE0EEEvT1_.kd
    .uniform_work_group_size: 1
    .uses_dynamic_stack: false
    .vgpr_count:     0
    .vgpr_spill_count: 0
    .wavefront_size: 32
  - .args:
      - .offset:         0
        .size:           112
        .value_kind:     by_value
    .group_segment_fixed_size: 0
    .kernarg_segment_align: 8
    .kernarg_segment_size: 112
    .language:       OpenCL C
    .language_version:
      - 2
      - 0
    .max_flat_workgroup_size: 256
    .name:           _ZN7rocprim17ROCPRIM_400000_NS6detail17trampoline_kernelINS0_14default_configENS1_27scan_by_key_config_selectorIjjEEZZNS1_16scan_by_key_implILNS1_25lookback_scan_determinismE0ELb0ES3_N6thrust23THRUST_200600_302600_NS6detail15normal_iteratorINS9_10device_ptrIjEEEESE_SE_jNS9_4plusIvEENS9_8equal_toIvEEjEE10hipError_tPvRmT2_T3_T4_T5_mT6_T7_P12ihipStream_tbENKUlT_T0_E_clISt17integral_constantIbLb0EESY_IbLb1EEEEDaSU_SV_EUlSU_E_NS1_11comp_targetILNS1_3genE2ELNS1_11target_archE906ELNS1_3gpuE6ELNS1_3repE0EEENS1_30default_config_static_selectorELNS0_4arch9wavefront6targetE0EEEvT1_
    .private_segment_fixed_size: 0
    .sgpr_count:     0
    .sgpr_spill_count: 0
    .symbol:         _ZN7rocprim17ROCPRIM_400000_NS6detail17trampoline_kernelINS0_14default_configENS1_27scan_by_key_config_selectorIjjEEZZNS1_16scan_by_key_implILNS1_25lookback_scan_determinismE0ELb0ES3_N6thrust23THRUST_200600_302600_NS6detail15normal_iteratorINS9_10device_ptrIjEEEESE_SE_jNS9_4plusIvEENS9_8equal_toIvEEjEE10hipError_tPvRmT2_T3_T4_T5_mT6_T7_P12ihipStream_tbENKUlT_T0_E_clISt17integral_constantIbLb0EESY_IbLb1EEEEDaSU_SV_EUlSU_E_NS1_11comp_targetILNS1_3genE2ELNS1_11target_archE906ELNS1_3gpuE6ELNS1_3repE0EEENS1_30default_config_static_selectorELNS0_4arch9wavefront6targetE0EEEvT1_.kd
    .uniform_work_group_size: 1
    .uses_dynamic_stack: false
    .vgpr_count:     0
    .vgpr_spill_count: 0
    .wavefront_size: 32
  - .args:
      - .offset:         0
        .size:           112
        .value_kind:     by_value
    .group_segment_fixed_size: 0
    .kernarg_segment_align: 8
    .kernarg_segment_size: 112
    .language:       OpenCL C
    .language_version:
      - 2
      - 0
    .max_flat_workgroup_size: 256
    .name:           _ZN7rocprim17ROCPRIM_400000_NS6detail17trampoline_kernelINS0_14default_configENS1_27scan_by_key_config_selectorIjjEEZZNS1_16scan_by_key_implILNS1_25lookback_scan_determinismE0ELb0ES3_N6thrust23THRUST_200600_302600_NS6detail15normal_iteratorINS9_10device_ptrIjEEEESE_SE_jNS9_4plusIvEENS9_8equal_toIvEEjEE10hipError_tPvRmT2_T3_T4_T5_mT6_T7_P12ihipStream_tbENKUlT_T0_E_clISt17integral_constantIbLb0EESY_IbLb1EEEEDaSU_SV_EUlSU_E_NS1_11comp_targetILNS1_3genE10ELNS1_11target_archE1200ELNS1_3gpuE4ELNS1_3repE0EEENS1_30default_config_static_selectorELNS0_4arch9wavefront6targetE0EEEvT1_
    .private_segment_fixed_size: 0
    .sgpr_count:     0
    .sgpr_spill_count: 0
    .symbol:         _ZN7rocprim17ROCPRIM_400000_NS6detail17trampoline_kernelINS0_14default_configENS1_27scan_by_key_config_selectorIjjEEZZNS1_16scan_by_key_implILNS1_25lookback_scan_determinismE0ELb0ES3_N6thrust23THRUST_200600_302600_NS6detail15normal_iteratorINS9_10device_ptrIjEEEESE_SE_jNS9_4plusIvEENS9_8equal_toIvEEjEE10hipError_tPvRmT2_T3_T4_T5_mT6_T7_P12ihipStream_tbENKUlT_T0_E_clISt17integral_constantIbLb0EESY_IbLb1EEEEDaSU_SV_EUlSU_E_NS1_11comp_targetILNS1_3genE10ELNS1_11target_archE1200ELNS1_3gpuE4ELNS1_3repE0EEENS1_30default_config_static_selectorELNS0_4arch9wavefront6targetE0EEEvT1_.kd
    .uniform_work_group_size: 1
    .uses_dynamic_stack: false
    .vgpr_count:     0
    .vgpr_spill_count: 0
    .wavefront_size: 32
  - .args:
      - .offset:         0
        .size:           112
        .value_kind:     by_value
    .group_segment_fixed_size: 0
    .kernarg_segment_align: 8
    .kernarg_segment_size: 112
    .language:       OpenCL C
    .language_version:
      - 2
      - 0
    .max_flat_workgroup_size: 256
    .name:           _ZN7rocprim17ROCPRIM_400000_NS6detail17trampoline_kernelINS0_14default_configENS1_27scan_by_key_config_selectorIjjEEZZNS1_16scan_by_key_implILNS1_25lookback_scan_determinismE0ELb0ES3_N6thrust23THRUST_200600_302600_NS6detail15normal_iteratorINS9_10device_ptrIjEEEESE_SE_jNS9_4plusIvEENS9_8equal_toIvEEjEE10hipError_tPvRmT2_T3_T4_T5_mT6_T7_P12ihipStream_tbENKUlT_T0_E_clISt17integral_constantIbLb0EESY_IbLb1EEEEDaSU_SV_EUlSU_E_NS1_11comp_targetILNS1_3genE9ELNS1_11target_archE1100ELNS1_3gpuE3ELNS1_3repE0EEENS1_30default_config_static_selectorELNS0_4arch9wavefront6targetE0EEEvT1_
    .private_segment_fixed_size: 0
    .sgpr_count:     0
    .sgpr_spill_count: 0
    .symbol:         _ZN7rocprim17ROCPRIM_400000_NS6detail17trampoline_kernelINS0_14default_configENS1_27scan_by_key_config_selectorIjjEEZZNS1_16scan_by_key_implILNS1_25lookback_scan_determinismE0ELb0ES3_N6thrust23THRUST_200600_302600_NS6detail15normal_iteratorINS9_10device_ptrIjEEEESE_SE_jNS9_4plusIvEENS9_8equal_toIvEEjEE10hipError_tPvRmT2_T3_T4_T5_mT6_T7_P12ihipStream_tbENKUlT_T0_E_clISt17integral_constantIbLb0EESY_IbLb1EEEEDaSU_SV_EUlSU_E_NS1_11comp_targetILNS1_3genE9ELNS1_11target_archE1100ELNS1_3gpuE3ELNS1_3repE0EEENS1_30default_config_static_selectorELNS0_4arch9wavefront6targetE0EEEvT1_.kd
    .uniform_work_group_size: 1
    .uses_dynamic_stack: false
    .vgpr_count:     0
    .vgpr_spill_count: 0
    .wavefront_size: 32
  - .args:
      - .offset:         0
        .size:           112
        .value_kind:     by_value
    .group_segment_fixed_size: 0
    .kernarg_segment_align: 8
    .kernarg_segment_size: 112
    .language:       OpenCL C
    .language_version:
      - 2
      - 0
    .max_flat_workgroup_size: 256
    .name:           _ZN7rocprim17ROCPRIM_400000_NS6detail17trampoline_kernelINS0_14default_configENS1_27scan_by_key_config_selectorIjjEEZZNS1_16scan_by_key_implILNS1_25lookback_scan_determinismE0ELb0ES3_N6thrust23THRUST_200600_302600_NS6detail15normal_iteratorINS9_10device_ptrIjEEEESE_SE_jNS9_4plusIvEENS9_8equal_toIvEEjEE10hipError_tPvRmT2_T3_T4_T5_mT6_T7_P12ihipStream_tbENKUlT_T0_E_clISt17integral_constantIbLb0EESY_IbLb1EEEEDaSU_SV_EUlSU_E_NS1_11comp_targetILNS1_3genE8ELNS1_11target_archE1030ELNS1_3gpuE2ELNS1_3repE0EEENS1_30default_config_static_selectorELNS0_4arch9wavefront6targetE0EEEvT1_
    .private_segment_fixed_size: 0
    .sgpr_count:     0
    .sgpr_spill_count: 0
    .symbol:         _ZN7rocprim17ROCPRIM_400000_NS6detail17trampoline_kernelINS0_14default_configENS1_27scan_by_key_config_selectorIjjEEZZNS1_16scan_by_key_implILNS1_25lookback_scan_determinismE0ELb0ES3_N6thrust23THRUST_200600_302600_NS6detail15normal_iteratorINS9_10device_ptrIjEEEESE_SE_jNS9_4plusIvEENS9_8equal_toIvEEjEE10hipError_tPvRmT2_T3_T4_T5_mT6_T7_P12ihipStream_tbENKUlT_T0_E_clISt17integral_constantIbLb0EESY_IbLb1EEEEDaSU_SV_EUlSU_E_NS1_11comp_targetILNS1_3genE8ELNS1_11target_archE1030ELNS1_3gpuE2ELNS1_3repE0EEENS1_30default_config_static_selectorELNS0_4arch9wavefront6targetE0EEEvT1_.kd
    .uniform_work_group_size: 1
    .uses_dynamic_stack: false
    .vgpr_count:     0
    .vgpr_spill_count: 0
    .wavefront_size: 32
  - .args:
      - .offset:         0
        .size:           16
        .value_kind:     by_value
      - .offset:         16
        .size:           8
        .value_kind:     by_value
      - .offset:         24
        .size:           8
        .value_kind:     by_value
    .group_segment_fixed_size: 0
    .kernarg_segment_align: 8
    .kernarg_segment_size: 32
    .language:       OpenCL C
    .language_version:
      - 2
      - 0
    .max_flat_workgroup_size: 256
    .name:           _ZN6thrust23THRUST_200600_302600_NS11hip_rocprim14__parallel_for6kernelILj256ENS1_10for_each_fINS0_10device_ptrI11FixedVectorIiLj1EEEENS0_6detail16wrapped_functionINS9_23allocator_traits_detail5gozerEvEEEElLj1EEEvT0_T1_SG_
    .private_segment_fixed_size: 0
    .sgpr_count:     0
    .sgpr_spill_count: 0
    .symbol:         _ZN6thrust23THRUST_200600_302600_NS11hip_rocprim14__parallel_for6kernelILj256ENS1_10for_each_fINS0_10device_ptrI11FixedVectorIiLj1EEEENS0_6detail16wrapped_functionINS9_23allocator_traits_detail5gozerEvEEEElLj1EEEvT0_T1_SG_.kd
    .uniform_work_group_size: 1
    .uses_dynamic_stack: false
    .vgpr_count:     0
    .vgpr_spill_count: 0
    .wavefront_size: 32
  - .args:
      - .offset:         0
        .size:           16
        .value_kind:     by_value
      - .offset:         16
        .size:           8
        .value_kind:     by_value
      - .offset:         24
        .size:           8
        .value_kind:     by_value
    .group_segment_fixed_size: 0
    .kernarg_segment_align: 8
    .kernarg_segment_size: 32
    .language:       OpenCL C
    .language_version:
      - 2
      - 0
    .max_flat_workgroup_size: 256
    .name:           _ZN6thrust23THRUST_200600_302600_NS11hip_rocprim14__parallel_for6kernelILj256ENS1_10for_each_fINS0_10device_ptrI11FixedVectorIiLj1EEEENS0_6detail16wrapped_functionINS9_23allocator_traits_detail24construct1_via_allocatorINS0_16device_allocatorIS7_EEEEvEEEEmLj1EEEvT0_T1_SJ_
    .private_segment_fixed_size: 0
    .sgpr_count:     11
    .sgpr_spill_count: 0
    .symbol:         _ZN6thrust23THRUST_200600_302600_NS11hip_rocprim14__parallel_for6kernelILj256ENS1_10for_each_fINS0_10device_ptrI11FixedVectorIiLj1EEEENS0_6detail16wrapped_functionINS9_23allocator_traits_detail24construct1_via_allocatorINS0_16device_allocatorIS7_EEEEvEEEEmLj1EEEvT0_T1_SJ_.kd
    .uniform_work_group_size: 1
    .uses_dynamic_stack: false
    .vgpr_count:     2
    .vgpr_spill_count: 0
    .wavefront_size: 32
  - .args:
      - .address_space:  global
        .offset:         0
        .size:           8
        .value_kind:     global_buffer
      - .offset:         8
        .size:           4
        .value_kind:     by_value
      - .offset:         12
        .size:           4
        .value_kind:     by_value
      - .address_space:  global
        .offset:         16
        .size:           8
        .value_kind:     global_buffer
      - .address_space:  global
        .offset:         24
        .size:           8
        .value_kind:     global_buffer
      - .actual_access:  write_only
        .address_space:  global
        .offset:         32
        .size:           8
        .value_kind:     global_buffer
      - .offset:         40
        .size:           8
        .value_kind:     by_value
      - .offset:         48
        .size:           4
        .value_kind:     by_value
      - .offset:         52
        .size:           1
        .value_kind:     by_value
      - .offset:         56
        .size:           4
        .value_kind:     hidden_block_count_x
      - .offset:         60
        .size:           4
        .value_kind:     hidden_block_count_y
      - .offset:         64
        .size:           4
        .value_kind:     hidden_block_count_z
      - .offset:         68
        .size:           2
        .value_kind:     hidden_group_size_x
      - .offset:         70
        .size:           2
        .value_kind:     hidden_group_size_y
      - .offset:         72
        .size:           2
        .value_kind:     hidden_group_size_z
      - .offset:         74
        .size:           2
        .value_kind:     hidden_remainder_x
      - .offset:         76
        .size:           2
        .value_kind:     hidden_remainder_y
      - .offset:         78
        .size:           2
        .value_kind:     hidden_remainder_z
      - .offset:         96
        .size:           8
        .value_kind:     hidden_global_offset_x
      - .offset:         104
        .size:           8
        .value_kind:     hidden_global_offset_y
      - .offset:         112
        .size:           8
        .value_kind:     hidden_global_offset_z
      - .offset:         120
        .size:           2
        .value_kind:     hidden_grid_dims
    .group_segment_fixed_size: 0
    .kernarg_segment_align: 8
    .kernarg_segment_size: 312
    .language:       OpenCL C
    .language_version:
      - 2
      - 0
    .max_flat_workgroup_size: 256
    .name:           _ZN7rocprim17ROCPRIM_400000_NS6detail30init_device_scan_by_key_kernelINS1_19lookback_scan_stateINS0_5tupleIJ11FixedVectorIiLj1EEbEEELb0ELb1EEEN6thrust23THRUST_200600_302600_NS6detail15normal_iteratorINSA_10device_ptrIjEEEEjNS1_16block_id_wrapperIjLb0EEEEEvT_jjPNSI_10value_typeET0_PNSt15iterator_traitsISL_E10value_typeEmT1_T2_
    .private_segment_fixed_size: 0
    .sgpr_count:     19
    .sgpr_spill_count: 0
    .symbol:         _ZN7rocprim17ROCPRIM_400000_NS6detail30init_device_scan_by_key_kernelINS1_19lookback_scan_stateINS0_5tupleIJ11FixedVectorIiLj1EEbEEELb0ELb1EEEN6thrust23THRUST_200600_302600_NS6detail15normal_iteratorINSA_10device_ptrIjEEEEjNS1_16block_id_wrapperIjLb0EEEEEvT_jjPNSI_10value_typeET0_PNSt15iterator_traitsISL_E10value_typeEmT1_T2_.kd
    .uniform_work_group_size: 1
    .uses_dynamic_stack: false
    .vgpr_count:     10
    .vgpr_spill_count: 0
    .wavefront_size: 32
  - .args:
      - .address_space:  global
        .offset:         0
        .size:           8
        .value_kind:     global_buffer
      - .offset:         8
        .size:           4
        .value_kind:     by_value
      - .offset:         12
        .size:           4
        .value_kind:     by_value
      - .address_space:  global
        .offset:         16
        .size:           8
        .value_kind:     global_buffer
      - .offset:         24
        .size:           1
        .value_kind:     by_value
      - .offset:         32
        .size:           4
        .value_kind:     hidden_block_count_x
      - .offset:         36
        .size:           4
        .value_kind:     hidden_block_count_y
      - .offset:         40
        .size:           4
        .value_kind:     hidden_block_count_z
      - .offset:         44
        .size:           2
        .value_kind:     hidden_group_size_x
      - .offset:         46
        .size:           2
        .value_kind:     hidden_group_size_y
      - .offset:         48
        .size:           2
        .value_kind:     hidden_group_size_z
      - .offset:         50
        .size:           2
        .value_kind:     hidden_remainder_x
      - .offset:         52
        .size:           2
        .value_kind:     hidden_remainder_y
      - .offset:         54
        .size:           2
        .value_kind:     hidden_remainder_z
      - .offset:         72
        .size:           8
        .value_kind:     hidden_global_offset_x
      - .offset:         80
        .size:           8
        .value_kind:     hidden_global_offset_y
      - .offset:         88
        .size:           8
        .value_kind:     hidden_global_offset_z
      - .offset:         96
        .size:           2
        .value_kind:     hidden_grid_dims
    .group_segment_fixed_size: 0
    .kernarg_segment_align: 8
    .kernarg_segment_size: 288
    .language:       OpenCL C
    .language_version:
      - 2
      - 0
    .max_flat_workgroup_size: 256
    .name:           _ZN7rocprim17ROCPRIM_400000_NS6detail30init_device_scan_by_key_kernelINS1_19lookback_scan_stateINS0_5tupleIJ11FixedVectorIiLj1EEbEEELb0ELb1EEENS1_16block_id_wrapperIjLb0EEEEEvT_jjPNSB_10value_typeET0_
    .private_segment_fixed_size: 0
    .sgpr_count:     13
    .sgpr_spill_count: 0
    .symbol:         _ZN7rocprim17ROCPRIM_400000_NS6detail30init_device_scan_by_key_kernelINS1_19lookback_scan_stateINS0_5tupleIJ11FixedVectorIiLj1EEbEEELb0ELb1EEENS1_16block_id_wrapperIjLb0EEEEEvT_jjPNSB_10value_typeET0_.kd
    .uniform_work_group_size: 1
    .uses_dynamic_stack: false
    .vgpr_count:     9
    .vgpr_spill_count: 0
    .wavefront_size: 32
  - .args:
      - .offset:         0
        .size:           112
        .value_kind:     by_value
    .group_segment_fixed_size: 14336
    .kernarg_segment_align: 8
    .kernarg_segment_size: 112
    .language:       OpenCL C
    .language_version:
      - 2
      - 0
    .max_flat_workgroup_size: 256
    .name:           _ZN7rocprim17ROCPRIM_400000_NS6detail17trampoline_kernelINS0_14default_configENS1_27scan_by_key_config_selectorIj11FixedVectorIiLj1EEEEZZNS1_16scan_by_key_implILNS1_25lookback_scan_determinismE0ELb0ES3_N6thrust23THRUST_200600_302600_NS6detail15normal_iteratorINSB_10device_ptrIjEEEENSD_INSE_IS6_EEEESI_S6_NSB_4plusIvEENSB_8equal_toIvEES6_EE10hipError_tPvRmT2_T3_T4_T5_mT6_T7_P12ihipStream_tbENKUlT_T0_E_clISt17integral_constantIbLb0EES13_EEDaSY_SZ_EUlSY_E_NS1_11comp_targetILNS1_3genE0ELNS1_11target_archE4294967295ELNS1_3gpuE0ELNS1_3repE0EEENS1_30default_config_static_selectorELNS0_4arch9wavefront6targetE0EEEvT1_
    .private_segment_fixed_size: 0
    .sgpr_count:     44
    .sgpr_spill_count: 0
    .symbol:         _ZN7rocprim17ROCPRIM_400000_NS6detail17trampoline_kernelINS0_14default_configENS1_27scan_by_key_config_selectorIj11FixedVectorIiLj1EEEEZZNS1_16scan_by_key_implILNS1_25lookback_scan_determinismE0ELb0ES3_N6thrust23THRUST_200600_302600_NS6detail15normal_iteratorINSB_10device_ptrIjEEEENSD_INSE_IS6_EEEESI_S6_NSB_4plusIvEENSB_8equal_toIvEES6_EE10hipError_tPvRmT2_T3_T4_T5_mT6_T7_P12ihipStream_tbENKUlT_T0_E_clISt17integral_constantIbLb0EES13_EEDaSY_SZ_EUlSY_E_NS1_11comp_targetILNS1_3genE0ELNS1_11target_archE4294967295ELNS1_3gpuE0ELNS1_3repE0EEENS1_30default_config_static_selectorELNS0_4arch9wavefront6targetE0EEEvT1_.kd
    .uniform_work_group_size: 1
    .uses_dynamic_stack: false
    .vgpr_count:     60
    .vgpr_spill_count: 0
    .wavefront_size: 32
  - .args:
      - .offset:         0
        .size:           112
        .value_kind:     by_value
    .group_segment_fixed_size: 0
    .kernarg_segment_align: 8
    .kernarg_segment_size: 112
    .language:       OpenCL C
    .language_version:
      - 2
      - 0
    .max_flat_workgroup_size: 256
    .name:           _ZN7rocprim17ROCPRIM_400000_NS6detail17trampoline_kernelINS0_14default_configENS1_27scan_by_key_config_selectorIj11FixedVectorIiLj1EEEEZZNS1_16scan_by_key_implILNS1_25lookback_scan_determinismE0ELb0ES3_N6thrust23THRUST_200600_302600_NS6detail15normal_iteratorINSB_10device_ptrIjEEEENSD_INSE_IS6_EEEESI_S6_NSB_4plusIvEENSB_8equal_toIvEES6_EE10hipError_tPvRmT2_T3_T4_T5_mT6_T7_P12ihipStream_tbENKUlT_T0_E_clISt17integral_constantIbLb0EES13_EEDaSY_SZ_EUlSY_E_NS1_11comp_targetILNS1_3genE10ELNS1_11target_archE1201ELNS1_3gpuE5ELNS1_3repE0EEENS1_30default_config_static_selectorELNS0_4arch9wavefront6targetE0EEEvT1_
    .private_segment_fixed_size: 0
    .sgpr_count:     0
    .sgpr_spill_count: 0
    .symbol:         _ZN7rocprim17ROCPRIM_400000_NS6detail17trampoline_kernelINS0_14default_configENS1_27scan_by_key_config_selectorIj11FixedVectorIiLj1EEEEZZNS1_16scan_by_key_implILNS1_25lookback_scan_determinismE0ELb0ES3_N6thrust23THRUST_200600_302600_NS6detail15normal_iteratorINSB_10device_ptrIjEEEENSD_INSE_IS6_EEEESI_S6_NSB_4plusIvEENSB_8equal_toIvEES6_EE10hipError_tPvRmT2_T3_T4_T5_mT6_T7_P12ihipStream_tbENKUlT_T0_E_clISt17integral_constantIbLb0EES13_EEDaSY_SZ_EUlSY_E_NS1_11comp_targetILNS1_3genE10ELNS1_11target_archE1201ELNS1_3gpuE5ELNS1_3repE0EEENS1_30default_config_static_selectorELNS0_4arch9wavefront6targetE0EEEvT1_.kd
    .uniform_work_group_size: 1
    .uses_dynamic_stack: false
    .vgpr_count:     0
    .vgpr_spill_count: 0
    .wavefront_size: 32
  - .args:
      - .offset:         0
        .size:           112
        .value_kind:     by_value
    .group_segment_fixed_size: 0
    .kernarg_segment_align: 8
    .kernarg_segment_size: 112
    .language:       OpenCL C
    .language_version:
      - 2
      - 0
    .max_flat_workgroup_size: 256
    .name:           _ZN7rocprim17ROCPRIM_400000_NS6detail17trampoline_kernelINS0_14default_configENS1_27scan_by_key_config_selectorIj11FixedVectorIiLj1EEEEZZNS1_16scan_by_key_implILNS1_25lookback_scan_determinismE0ELb0ES3_N6thrust23THRUST_200600_302600_NS6detail15normal_iteratorINSB_10device_ptrIjEEEENSD_INSE_IS6_EEEESI_S6_NSB_4plusIvEENSB_8equal_toIvEES6_EE10hipError_tPvRmT2_T3_T4_T5_mT6_T7_P12ihipStream_tbENKUlT_T0_E_clISt17integral_constantIbLb0EES13_EEDaSY_SZ_EUlSY_E_NS1_11comp_targetILNS1_3genE5ELNS1_11target_archE942ELNS1_3gpuE9ELNS1_3repE0EEENS1_30default_config_static_selectorELNS0_4arch9wavefront6targetE0EEEvT1_
    .private_segment_fixed_size: 0
    .sgpr_count:     0
    .sgpr_spill_count: 0
    .symbol:         _ZN7rocprim17ROCPRIM_400000_NS6detail17trampoline_kernelINS0_14default_configENS1_27scan_by_key_config_selectorIj11FixedVectorIiLj1EEEEZZNS1_16scan_by_key_implILNS1_25lookback_scan_determinismE0ELb0ES3_N6thrust23THRUST_200600_302600_NS6detail15normal_iteratorINSB_10device_ptrIjEEEENSD_INSE_IS6_EEEESI_S6_NSB_4plusIvEENSB_8equal_toIvEES6_EE10hipError_tPvRmT2_T3_T4_T5_mT6_T7_P12ihipStream_tbENKUlT_T0_E_clISt17integral_constantIbLb0EES13_EEDaSY_SZ_EUlSY_E_NS1_11comp_targetILNS1_3genE5ELNS1_11target_archE942ELNS1_3gpuE9ELNS1_3repE0EEENS1_30default_config_static_selectorELNS0_4arch9wavefront6targetE0EEEvT1_.kd
    .uniform_work_group_size: 1
    .uses_dynamic_stack: false
    .vgpr_count:     0
    .vgpr_spill_count: 0
    .wavefront_size: 32
  - .args:
      - .offset:         0
        .size:           112
        .value_kind:     by_value
    .group_segment_fixed_size: 0
    .kernarg_segment_align: 8
    .kernarg_segment_size: 112
    .language:       OpenCL C
    .language_version:
      - 2
      - 0
    .max_flat_workgroup_size: 256
    .name:           _ZN7rocprim17ROCPRIM_400000_NS6detail17trampoline_kernelINS0_14default_configENS1_27scan_by_key_config_selectorIj11FixedVectorIiLj1EEEEZZNS1_16scan_by_key_implILNS1_25lookback_scan_determinismE0ELb0ES3_N6thrust23THRUST_200600_302600_NS6detail15normal_iteratorINSB_10device_ptrIjEEEENSD_INSE_IS6_EEEESI_S6_NSB_4plusIvEENSB_8equal_toIvEES6_EE10hipError_tPvRmT2_T3_T4_T5_mT6_T7_P12ihipStream_tbENKUlT_T0_E_clISt17integral_constantIbLb0EES13_EEDaSY_SZ_EUlSY_E_NS1_11comp_targetILNS1_3genE4ELNS1_11target_archE910ELNS1_3gpuE8ELNS1_3repE0EEENS1_30default_config_static_selectorELNS0_4arch9wavefront6targetE0EEEvT1_
    .private_segment_fixed_size: 0
    .sgpr_count:     0
    .sgpr_spill_count: 0
    .symbol:         _ZN7rocprim17ROCPRIM_400000_NS6detail17trampoline_kernelINS0_14default_configENS1_27scan_by_key_config_selectorIj11FixedVectorIiLj1EEEEZZNS1_16scan_by_key_implILNS1_25lookback_scan_determinismE0ELb0ES3_N6thrust23THRUST_200600_302600_NS6detail15normal_iteratorINSB_10device_ptrIjEEEENSD_INSE_IS6_EEEESI_S6_NSB_4plusIvEENSB_8equal_toIvEES6_EE10hipError_tPvRmT2_T3_T4_T5_mT6_T7_P12ihipStream_tbENKUlT_T0_E_clISt17integral_constantIbLb0EES13_EEDaSY_SZ_EUlSY_E_NS1_11comp_targetILNS1_3genE4ELNS1_11target_archE910ELNS1_3gpuE8ELNS1_3repE0EEENS1_30default_config_static_selectorELNS0_4arch9wavefront6targetE0EEEvT1_.kd
    .uniform_work_group_size: 1
    .uses_dynamic_stack: false
    .vgpr_count:     0
    .vgpr_spill_count: 0
    .wavefront_size: 32
  - .args:
      - .offset:         0
        .size:           112
        .value_kind:     by_value
    .group_segment_fixed_size: 0
    .kernarg_segment_align: 8
    .kernarg_segment_size: 112
    .language:       OpenCL C
    .language_version:
      - 2
      - 0
    .max_flat_workgroup_size: 256
    .name:           _ZN7rocprim17ROCPRIM_400000_NS6detail17trampoline_kernelINS0_14default_configENS1_27scan_by_key_config_selectorIj11FixedVectorIiLj1EEEEZZNS1_16scan_by_key_implILNS1_25lookback_scan_determinismE0ELb0ES3_N6thrust23THRUST_200600_302600_NS6detail15normal_iteratorINSB_10device_ptrIjEEEENSD_INSE_IS6_EEEESI_S6_NSB_4plusIvEENSB_8equal_toIvEES6_EE10hipError_tPvRmT2_T3_T4_T5_mT6_T7_P12ihipStream_tbENKUlT_T0_E_clISt17integral_constantIbLb0EES13_EEDaSY_SZ_EUlSY_E_NS1_11comp_targetILNS1_3genE3ELNS1_11target_archE908ELNS1_3gpuE7ELNS1_3repE0EEENS1_30default_config_static_selectorELNS0_4arch9wavefront6targetE0EEEvT1_
    .private_segment_fixed_size: 0
    .sgpr_count:     0
    .sgpr_spill_count: 0
    .symbol:         _ZN7rocprim17ROCPRIM_400000_NS6detail17trampoline_kernelINS0_14default_configENS1_27scan_by_key_config_selectorIj11FixedVectorIiLj1EEEEZZNS1_16scan_by_key_implILNS1_25lookback_scan_determinismE0ELb0ES3_N6thrust23THRUST_200600_302600_NS6detail15normal_iteratorINSB_10device_ptrIjEEEENSD_INSE_IS6_EEEESI_S6_NSB_4plusIvEENSB_8equal_toIvEES6_EE10hipError_tPvRmT2_T3_T4_T5_mT6_T7_P12ihipStream_tbENKUlT_T0_E_clISt17integral_constantIbLb0EES13_EEDaSY_SZ_EUlSY_E_NS1_11comp_targetILNS1_3genE3ELNS1_11target_archE908ELNS1_3gpuE7ELNS1_3repE0EEENS1_30default_config_static_selectorELNS0_4arch9wavefront6targetE0EEEvT1_.kd
    .uniform_work_group_size: 1
    .uses_dynamic_stack: false
    .vgpr_count:     0
    .vgpr_spill_count: 0
    .wavefront_size: 32
  - .args:
      - .offset:         0
        .size:           112
        .value_kind:     by_value
    .group_segment_fixed_size: 0
    .kernarg_segment_align: 8
    .kernarg_segment_size: 112
    .language:       OpenCL C
    .language_version:
      - 2
      - 0
    .max_flat_workgroup_size: 256
    .name:           _ZN7rocprim17ROCPRIM_400000_NS6detail17trampoline_kernelINS0_14default_configENS1_27scan_by_key_config_selectorIj11FixedVectorIiLj1EEEEZZNS1_16scan_by_key_implILNS1_25lookback_scan_determinismE0ELb0ES3_N6thrust23THRUST_200600_302600_NS6detail15normal_iteratorINSB_10device_ptrIjEEEENSD_INSE_IS6_EEEESI_S6_NSB_4plusIvEENSB_8equal_toIvEES6_EE10hipError_tPvRmT2_T3_T4_T5_mT6_T7_P12ihipStream_tbENKUlT_T0_E_clISt17integral_constantIbLb0EES13_EEDaSY_SZ_EUlSY_E_NS1_11comp_targetILNS1_3genE2ELNS1_11target_archE906ELNS1_3gpuE6ELNS1_3repE0EEENS1_30default_config_static_selectorELNS0_4arch9wavefront6targetE0EEEvT1_
    .private_segment_fixed_size: 0
    .sgpr_count:     0
    .sgpr_spill_count: 0
    .symbol:         _ZN7rocprim17ROCPRIM_400000_NS6detail17trampoline_kernelINS0_14default_configENS1_27scan_by_key_config_selectorIj11FixedVectorIiLj1EEEEZZNS1_16scan_by_key_implILNS1_25lookback_scan_determinismE0ELb0ES3_N6thrust23THRUST_200600_302600_NS6detail15normal_iteratorINSB_10device_ptrIjEEEENSD_INSE_IS6_EEEESI_S6_NSB_4plusIvEENSB_8equal_toIvEES6_EE10hipError_tPvRmT2_T3_T4_T5_mT6_T7_P12ihipStream_tbENKUlT_T0_E_clISt17integral_constantIbLb0EES13_EEDaSY_SZ_EUlSY_E_NS1_11comp_targetILNS1_3genE2ELNS1_11target_archE906ELNS1_3gpuE6ELNS1_3repE0EEENS1_30default_config_static_selectorELNS0_4arch9wavefront6targetE0EEEvT1_.kd
    .uniform_work_group_size: 1
    .uses_dynamic_stack: false
    .vgpr_count:     0
    .vgpr_spill_count: 0
    .wavefront_size: 32
  - .args:
      - .offset:         0
        .size:           112
        .value_kind:     by_value
    .group_segment_fixed_size: 0
    .kernarg_segment_align: 8
    .kernarg_segment_size: 112
    .language:       OpenCL C
    .language_version:
      - 2
      - 0
    .max_flat_workgroup_size: 256
    .name:           _ZN7rocprim17ROCPRIM_400000_NS6detail17trampoline_kernelINS0_14default_configENS1_27scan_by_key_config_selectorIj11FixedVectorIiLj1EEEEZZNS1_16scan_by_key_implILNS1_25lookback_scan_determinismE0ELb0ES3_N6thrust23THRUST_200600_302600_NS6detail15normal_iteratorINSB_10device_ptrIjEEEENSD_INSE_IS6_EEEESI_S6_NSB_4plusIvEENSB_8equal_toIvEES6_EE10hipError_tPvRmT2_T3_T4_T5_mT6_T7_P12ihipStream_tbENKUlT_T0_E_clISt17integral_constantIbLb0EES13_EEDaSY_SZ_EUlSY_E_NS1_11comp_targetILNS1_3genE10ELNS1_11target_archE1200ELNS1_3gpuE4ELNS1_3repE0EEENS1_30default_config_static_selectorELNS0_4arch9wavefront6targetE0EEEvT1_
    .private_segment_fixed_size: 0
    .sgpr_count:     0
    .sgpr_spill_count: 0
    .symbol:         _ZN7rocprim17ROCPRIM_400000_NS6detail17trampoline_kernelINS0_14default_configENS1_27scan_by_key_config_selectorIj11FixedVectorIiLj1EEEEZZNS1_16scan_by_key_implILNS1_25lookback_scan_determinismE0ELb0ES3_N6thrust23THRUST_200600_302600_NS6detail15normal_iteratorINSB_10device_ptrIjEEEENSD_INSE_IS6_EEEESI_S6_NSB_4plusIvEENSB_8equal_toIvEES6_EE10hipError_tPvRmT2_T3_T4_T5_mT6_T7_P12ihipStream_tbENKUlT_T0_E_clISt17integral_constantIbLb0EES13_EEDaSY_SZ_EUlSY_E_NS1_11comp_targetILNS1_3genE10ELNS1_11target_archE1200ELNS1_3gpuE4ELNS1_3repE0EEENS1_30default_config_static_selectorELNS0_4arch9wavefront6targetE0EEEvT1_.kd
    .uniform_work_group_size: 1
    .uses_dynamic_stack: false
    .vgpr_count:     0
    .vgpr_spill_count: 0
    .wavefront_size: 32
  - .args:
      - .offset:         0
        .size:           112
        .value_kind:     by_value
    .group_segment_fixed_size: 0
    .kernarg_segment_align: 8
    .kernarg_segment_size: 112
    .language:       OpenCL C
    .language_version:
      - 2
      - 0
    .max_flat_workgroup_size: 256
    .name:           _ZN7rocprim17ROCPRIM_400000_NS6detail17trampoline_kernelINS0_14default_configENS1_27scan_by_key_config_selectorIj11FixedVectorIiLj1EEEEZZNS1_16scan_by_key_implILNS1_25lookback_scan_determinismE0ELb0ES3_N6thrust23THRUST_200600_302600_NS6detail15normal_iteratorINSB_10device_ptrIjEEEENSD_INSE_IS6_EEEESI_S6_NSB_4plusIvEENSB_8equal_toIvEES6_EE10hipError_tPvRmT2_T3_T4_T5_mT6_T7_P12ihipStream_tbENKUlT_T0_E_clISt17integral_constantIbLb0EES13_EEDaSY_SZ_EUlSY_E_NS1_11comp_targetILNS1_3genE9ELNS1_11target_archE1100ELNS1_3gpuE3ELNS1_3repE0EEENS1_30default_config_static_selectorELNS0_4arch9wavefront6targetE0EEEvT1_
    .private_segment_fixed_size: 0
    .sgpr_count:     0
    .sgpr_spill_count: 0
    .symbol:         _ZN7rocprim17ROCPRIM_400000_NS6detail17trampoline_kernelINS0_14default_configENS1_27scan_by_key_config_selectorIj11FixedVectorIiLj1EEEEZZNS1_16scan_by_key_implILNS1_25lookback_scan_determinismE0ELb0ES3_N6thrust23THRUST_200600_302600_NS6detail15normal_iteratorINSB_10device_ptrIjEEEENSD_INSE_IS6_EEEESI_S6_NSB_4plusIvEENSB_8equal_toIvEES6_EE10hipError_tPvRmT2_T3_T4_T5_mT6_T7_P12ihipStream_tbENKUlT_T0_E_clISt17integral_constantIbLb0EES13_EEDaSY_SZ_EUlSY_E_NS1_11comp_targetILNS1_3genE9ELNS1_11target_archE1100ELNS1_3gpuE3ELNS1_3repE0EEENS1_30default_config_static_selectorELNS0_4arch9wavefront6targetE0EEEvT1_.kd
    .uniform_work_group_size: 1
    .uses_dynamic_stack: false
    .vgpr_count:     0
    .vgpr_spill_count: 0
    .wavefront_size: 32
  - .args:
      - .offset:         0
        .size:           112
        .value_kind:     by_value
    .group_segment_fixed_size: 0
    .kernarg_segment_align: 8
    .kernarg_segment_size: 112
    .language:       OpenCL C
    .language_version:
      - 2
      - 0
    .max_flat_workgroup_size: 256
    .name:           _ZN7rocprim17ROCPRIM_400000_NS6detail17trampoline_kernelINS0_14default_configENS1_27scan_by_key_config_selectorIj11FixedVectorIiLj1EEEEZZNS1_16scan_by_key_implILNS1_25lookback_scan_determinismE0ELb0ES3_N6thrust23THRUST_200600_302600_NS6detail15normal_iteratorINSB_10device_ptrIjEEEENSD_INSE_IS6_EEEESI_S6_NSB_4plusIvEENSB_8equal_toIvEES6_EE10hipError_tPvRmT2_T3_T4_T5_mT6_T7_P12ihipStream_tbENKUlT_T0_E_clISt17integral_constantIbLb0EES13_EEDaSY_SZ_EUlSY_E_NS1_11comp_targetILNS1_3genE8ELNS1_11target_archE1030ELNS1_3gpuE2ELNS1_3repE0EEENS1_30default_config_static_selectorELNS0_4arch9wavefront6targetE0EEEvT1_
    .private_segment_fixed_size: 0
    .sgpr_count:     0
    .sgpr_spill_count: 0
    .symbol:         _ZN7rocprim17ROCPRIM_400000_NS6detail17trampoline_kernelINS0_14default_configENS1_27scan_by_key_config_selectorIj11FixedVectorIiLj1EEEEZZNS1_16scan_by_key_implILNS1_25lookback_scan_determinismE0ELb0ES3_N6thrust23THRUST_200600_302600_NS6detail15normal_iteratorINSB_10device_ptrIjEEEENSD_INSE_IS6_EEEESI_S6_NSB_4plusIvEENSB_8equal_toIvEES6_EE10hipError_tPvRmT2_T3_T4_T5_mT6_T7_P12ihipStream_tbENKUlT_T0_E_clISt17integral_constantIbLb0EES13_EEDaSY_SZ_EUlSY_E_NS1_11comp_targetILNS1_3genE8ELNS1_11target_archE1030ELNS1_3gpuE2ELNS1_3repE0EEENS1_30default_config_static_selectorELNS0_4arch9wavefront6targetE0EEEvT1_.kd
    .uniform_work_group_size: 1
    .uses_dynamic_stack: false
    .vgpr_count:     0
    .vgpr_spill_count: 0
    .wavefront_size: 32
  - .args:
      - .address_space:  global
        .offset:         0
        .size:           8
        .value_kind:     global_buffer
      - .offset:         8
        .size:           4
        .value_kind:     by_value
      - .offset:         12
        .size:           4
        .value_kind:     by_value
      - .address_space:  global
        .offset:         16
        .size:           8
        .value_kind:     global_buffer
      - .address_space:  global
        .offset:         24
        .size:           8
        .value_kind:     global_buffer
      - .actual_access:  write_only
        .address_space:  global
        .offset:         32
        .size:           8
        .value_kind:     global_buffer
      - .offset:         40
        .size:           8
        .value_kind:     by_value
      - .offset:         48
        .size:           4
        .value_kind:     by_value
      - .address_space:  global
        .offset:         56
        .size:           8
        .value_kind:     global_buffer
      - .offset:         64
        .size:           4
        .value_kind:     hidden_block_count_x
      - .offset:         68
        .size:           4
        .value_kind:     hidden_block_count_y
      - .offset:         72
        .size:           4
        .value_kind:     hidden_block_count_z
      - .offset:         76
        .size:           2
        .value_kind:     hidden_group_size_x
      - .offset:         78
        .size:           2
        .value_kind:     hidden_group_size_y
      - .offset:         80
        .size:           2
        .value_kind:     hidden_group_size_z
      - .offset:         82
        .size:           2
        .value_kind:     hidden_remainder_x
      - .offset:         84
        .size:           2
        .value_kind:     hidden_remainder_y
      - .offset:         86
        .size:           2
        .value_kind:     hidden_remainder_z
      - .offset:         104
        .size:           8
        .value_kind:     hidden_global_offset_x
      - .offset:         112
        .size:           8
        .value_kind:     hidden_global_offset_y
      - .offset:         120
        .size:           8
        .value_kind:     hidden_global_offset_z
      - .offset:         128
        .size:           2
        .value_kind:     hidden_grid_dims
    .group_segment_fixed_size: 0
    .kernarg_segment_align: 8
    .kernarg_segment_size: 320
    .language:       OpenCL C
    .language_version:
      - 2
      - 0
    .max_flat_workgroup_size: 256
    .name:           _ZN7rocprim17ROCPRIM_400000_NS6detail30init_device_scan_by_key_kernelINS1_19lookback_scan_stateINS0_5tupleIJ11FixedVectorIiLj1EEbEEELb1ELb1EEEN6thrust23THRUST_200600_302600_NS6detail15normal_iteratorINSA_10device_ptrIjEEEEjNS1_16block_id_wrapperIjLb1EEEEEvT_jjPNSI_10value_typeET0_PNSt15iterator_traitsISL_E10value_typeEmT1_T2_
    .private_segment_fixed_size: 0
    .sgpr_count:     19
    .sgpr_spill_count: 0
    .symbol:         _ZN7rocprim17ROCPRIM_400000_NS6detail30init_device_scan_by_key_kernelINS1_19lookback_scan_stateINS0_5tupleIJ11FixedVectorIiLj1EEbEEELb1ELb1EEEN6thrust23THRUST_200600_302600_NS6detail15normal_iteratorINSA_10device_ptrIjEEEEjNS1_16block_id_wrapperIjLb1EEEEEvT_jjPNSI_10value_typeET0_PNSt15iterator_traitsISL_E10value_typeEmT1_T2_.kd
    .uniform_work_group_size: 1
    .uses_dynamic_stack: false
    .vgpr_count:     10
    .vgpr_spill_count: 0
    .wavefront_size: 32
  - .args:
      - .address_space:  global
        .offset:         0
        .size:           8
        .value_kind:     global_buffer
      - .offset:         8
        .size:           4
        .value_kind:     by_value
      - .offset:         12
        .size:           4
        .value_kind:     by_value
      - .address_space:  global
        .offset:         16
        .size:           8
        .value_kind:     global_buffer
      - .address_space:  global
        .offset:         24
        .size:           8
        .value_kind:     global_buffer
      - .offset:         32
        .size:           4
        .value_kind:     hidden_block_count_x
      - .offset:         36
        .size:           4
        .value_kind:     hidden_block_count_y
      - .offset:         40
        .size:           4
        .value_kind:     hidden_block_count_z
      - .offset:         44
        .size:           2
        .value_kind:     hidden_group_size_x
      - .offset:         46
        .size:           2
        .value_kind:     hidden_group_size_y
      - .offset:         48
        .size:           2
        .value_kind:     hidden_group_size_z
      - .offset:         50
        .size:           2
        .value_kind:     hidden_remainder_x
      - .offset:         52
        .size:           2
        .value_kind:     hidden_remainder_y
      - .offset:         54
        .size:           2
        .value_kind:     hidden_remainder_z
      - .offset:         72
        .size:           8
        .value_kind:     hidden_global_offset_x
      - .offset:         80
        .size:           8
        .value_kind:     hidden_global_offset_y
      - .offset:         88
        .size:           8
        .value_kind:     hidden_global_offset_z
      - .offset:         96
        .size:           2
        .value_kind:     hidden_grid_dims
    .group_segment_fixed_size: 0
    .kernarg_segment_align: 8
    .kernarg_segment_size: 288
    .language:       OpenCL C
    .language_version:
      - 2
      - 0
    .max_flat_workgroup_size: 256
    .name:           _ZN7rocprim17ROCPRIM_400000_NS6detail30init_device_scan_by_key_kernelINS1_19lookback_scan_stateINS0_5tupleIJ11FixedVectorIiLj1EEbEEELb1ELb1EEENS1_16block_id_wrapperIjLb1EEEEEvT_jjPNSB_10value_typeET0_
    .private_segment_fixed_size: 0
    .sgpr_count:     15
    .sgpr_spill_count: 0
    .symbol:         _ZN7rocprim17ROCPRIM_400000_NS6detail30init_device_scan_by_key_kernelINS1_19lookback_scan_stateINS0_5tupleIJ11FixedVectorIiLj1EEbEEELb1ELb1EEENS1_16block_id_wrapperIjLb1EEEEEvT_jjPNSB_10value_typeET0_.kd
    .uniform_work_group_size: 1
    .uses_dynamic_stack: false
    .vgpr_count:     9
    .vgpr_spill_count: 0
    .wavefront_size: 32
  - .args:
      - .offset:         0
        .size:           112
        .value_kind:     by_value
    .group_segment_fixed_size: 0
    .kernarg_segment_align: 8
    .kernarg_segment_size: 112
    .language:       OpenCL C
    .language_version:
      - 2
      - 0
    .max_flat_workgroup_size: 256
    .name:           _ZN7rocprim17ROCPRIM_400000_NS6detail17trampoline_kernelINS0_14default_configENS1_27scan_by_key_config_selectorIj11FixedVectorIiLj1EEEEZZNS1_16scan_by_key_implILNS1_25lookback_scan_determinismE0ELb0ES3_N6thrust23THRUST_200600_302600_NS6detail15normal_iteratorINSB_10device_ptrIjEEEENSD_INSE_IS6_EEEESI_S6_NSB_4plusIvEENSB_8equal_toIvEES6_EE10hipError_tPvRmT2_T3_T4_T5_mT6_T7_P12ihipStream_tbENKUlT_T0_E_clISt17integral_constantIbLb1EES13_EEDaSY_SZ_EUlSY_E_NS1_11comp_targetILNS1_3genE0ELNS1_11target_archE4294967295ELNS1_3gpuE0ELNS1_3repE0EEENS1_30default_config_static_selectorELNS0_4arch9wavefront6targetE0EEEvT1_
    .private_segment_fixed_size: 0
    .sgpr_count:     0
    .sgpr_spill_count: 0
    .symbol:         _ZN7rocprim17ROCPRIM_400000_NS6detail17trampoline_kernelINS0_14default_configENS1_27scan_by_key_config_selectorIj11FixedVectorIiLj1EEEEZZNS1_16scan_by_key_implILNS1_25lookback_scan_determinismE0ELb0ES3_N6thrust23THRUST_200600_302600_NS6detail15normal_iteratorINSB_10device_ptrIjEEEENSD_INSE_IS6_EEEESI_S6_NSB_4plusIvEENSB_8equal_toIvEES6_EE10hipError_tPvRmT2_T3_T4_T5_mT6_T7_P12ihipStream_tbENKUlT_T0_E_clISt17integral_constantIbLb1EES13_EEDaSY_SZ_EUlSY_E_NS1_11comp_targetILNS1_3genE0ELNS1_11target_archE4294967295ELNS1_3gpuE0ELNS1_3repE0EEENS1_30default_config_static_selectorELNS0_4arch9wavefront6targetE0EEEvT1_.kd
    .uniform_work_group_size: 1
    .uses_dynamic_stack: false
    .vgpr_count:     0
    .vgpr_spill_count: 0
    .wavefront_size: 32
  - .args:
      - .offset:         0
        .size:           112
        .value_kind:     by_value
    .group_segment_fixed_size: 0
    .kernarg_segment_align: 8
    .kernarg_segment_size: 112
    .language:       OpenCL C
    .language_version:
      - 2
      - 0
    .max_flat_workgroup_size: 256
    .name:           _ZN7rocprim17ROCPRIM_400000_NS6detail17trampoline_kernelINS0_14default_configENS1_27scan_by_key_config_selectorIj11FixedVectorIiLj1EEEEZZNS1_16scan_by_key_implILNS1_25lookback_scan_determinismE0ELb0ES3_N6thrust23THRUST_200600_302600_NS6detail15normal_iteratorINSB_10device_ptrIjEEEENSD_INSE_IS6_EEEESI_S6_NSB_4plusIvEENSB_8equal_toIvEES6_EE10hipError_tPvRmT2_T3_T4_T5_mT6_T7_P12ihipStream_tbENKUlT_T0_E_clISt17integral_constantIbLb1EES13_EEDaSY_SZ_EUlSY_E_NS1_11comp_targetILNS1_3genE10ELNS1_11target_archE1201ELNS1_3gpuE5ELNS1_3repE0EEENS1_30default_config_static_selectorELNS0_4arch9wavefront6targetE0EEEvT1_
    .private_segment_fixed_size: 0
    .sgpr_count:     0
    .sgpr_spill_count: 0
    .symbol:         _ZN7rocprim17ROCPRIM_400000_NS6detail17trampoline_kernelINS0_14default_configENS1_27scan_by_key_config_selectorIj11FixedVectorIiLj1EEEEZZNS1_16scan_by_key_implILNS1_25lookback_scan_determinismE0ELb0ES3_N6thrust23THRUST_200600_302600_NS6detail15normal_iteratorINSB_10device_ptrIjEEEENSD_INSE_IS6_EEEESI_S6_NSB_4plusIvEENSB_8equal_toIvEES6_EE10hipError_tPvRmT2_T3_T4_T5_mT6_T7_P12ihipStream_tbENKUlT_T0_E_clISt17integral_constantIbLb1EES13_EEDaSY_SZ_EUlSY_E_NS1_11comp_targetILNS1_3genE10ELNS1_11target_archE1201ELNS1_3gpuE5ELNS1_3repE0EEENS1_30default_config_static_selectorELNS0_4arch9wavefront6targetE0EEEvT1_.kd
    .uniform_work_group_size: 1
    .uses_dynamic_stack: false
    .vgpr_count:     0
    .vgpr_spill_count: 0
    .wavefront_size: 32
  - .args:
      - .offset:         0
        .size:           112
        .value_kind:     by_value
    .group_segment_fixed_size: 0
    .kernarg_segment_align: 8
    .kernarg_segment_size: 112
    .language:       OpenCL C
    .language_version:
      - 2
      - 0
    .max_flat_workgroup_size: 256
    .name:           _ZN7rocprim17ROCPRIM_400000_NS6detail17trampoline_kernelINS0_14default_configENS1_27scan_by_key_config_selectorIj11FixedVectorIiLj1EEEEZZNS1_16scan_by_key_implILNS1_25lookback_scan_determinismE0ELb0ES3_N6thrust23THRUST_200600_302600_NS6detail15normal_iteratorINSB_10device_ptrIjEEEENSD_INSE_IS6_EEEESI_S6_NSB_4plusIvEENSB_8equal_toIvEES6_EE10hipError_tPvRmT2_T3_T4_T5_mT6_T7_P12ihipStream_tbENKUlT_T0_E_clISt17integral_constantIbLb1EES13_EEDaSY_SZ_EUlSY_E_NS1_11comp_targetILNS1_3genE5ELNS1_11target_archE942ELNS1_3gpuE9ELNS1_3repE0EEENS1_30default_config_static_selectorELNS0_4arch9wavefront6targetE0EEEvT1_
    .private_segment_fixed_size: 0
    .sgpr_count:     0
    .sgpr_spill_count: 0
    .symbol:         _ZN7rocprim17ROCPRIM_400000_NS6detail17trampoline_kernelINS0_14default_configENS1_27scan_by_key_config_selectorIj11FixedVectorIiLj1EEEEZZNS1_16scan_by_key_implILNS1_25lookback_scan_determinismE0ELb0ES3_N6thrust23THRUST_200600_302600_NS6detail15normal_iteratorINSB_10device_ptrIjEEEENSD_INSE_IS6_EEEESI_S6_NSB_4plusIvEENSB_8equal_toIvEES6_EE10hipError_tPvRmT2_T3_T4_T5_mT6_T7_P12ihipStream_tbENKUlT_T0_E_clISt17integral_constantIbLb1EES13_EEDaSY_SZ_EUlSY_E_NS1_11comp_targetILNS1_3genE5ELNS1_11target_archE942ELNS1_3gpuE9ELNS1_3repE0EEENS1_30default_config_static_selectorELNS0_4arch9wavefront6targetE0EEEvT1_.kd
    .uniform_work_group_size: 1
    .uses_dynamic_stack: false
    .vgpr_count:     0
    .vgpr_spill_count: 0
    .wavefront_size: 32
  - .args:
      - .offset:         0
        .size:           112
        .value_kind:     by_value
    .group_segment_fixed_size: 0
    .kernarg_segment_align: 8
    .kernarg_segment_size: 112
    .language:       OpenCL C
    .language_version:
      - 2
      - 0
    .max_flat_workgroup_size: 256
    .name:           _ZN7rocprim17ROCPRIM_400000_NS6detail17trampoline_kernelINS0_14default_configENS1_27scan_by_key_config_selectorIj11FixedVectorIiLj1EEEEZZNS1_16scan_by_key_implILNS1_25lookback_scan_determinismE0ELb0ES3_N6thrust23THRUST_200600_302600_NS6detail15normal_iteratorINSB_10device_ptrIjEEEENSD_INSE_IS6_EEEESI_S6_NSB_4plusIvEENSB_8equal_toIvEES6_EE10hipError_tPvRmT2_T3_T4_T5_mT6_T7_P12ihipStream_tbENKUlT_T0_E_clISt17integral_constantIbLb1EES13_EEDaSY_SZ_EUlSY_E_NS1_11comp_targetILNS1_3genE4ELNS1_11target_archE910ELNS1_3gpuE8ELNS1_3repE0EEENS1_30default_config_static_selectorELNS0_4arch9wavefront6targetE0EEEvT1_
    .private_segment_fixed_size: 0
    .sgpr_count:     0
    .sgpr_spill_count: 0
    .symbol:         _ZN7rocprim17ROCPRIM_400000_NS6detail17trampoline_kernelINS0_14default_configENS1_27scan_by_key_config_selectorIj11FixedVectorIiLj1EEEEZZNS1_16scan_by_key_implILNS1_25lookback_scan_determinismE0ELb0ES3_N6thrust23THRUST_200600_302600_NS6detail15normal_iteratorINSB_10device_ptrIjEEEENSD_INSE_IS6_EEEESI_S6_NSB_4plusIvEENSB_8equal_toIvEES6_EE10hipError_tPvRmT2_T3_T4_T5_mT6_T7_P12ihipStream_tbENKUlT_T0_E_clISt17integral_constantIbLb1EES13_EEDaSY_SZ_EUlSY_E_NS1_11comp_targetILNS1_3genE4ELNS1_11target_archE910ELNS1_3gpuE8ELNS1_3repE0EEENS1_30default_config_static_selectorELNS0_4arch9wavefront6targetE0EEEvT1_.kd
    .uniform_work_group_size: 1
    .uses_dynamic_stack: false
    .vgpr_count:     0
    .vgpr_spill_count: 0
    .wavefront_size: 32
  - .args:
      - .offset:         0
        .size:           112
        .value_kind:     by_value
    .group_segment_fixed_size: 0
    .kernarg_segment_align: 8
    .kernarg_segment_size: 112
    .language:       OpenCL C
    .language_version:
      - 2
      - 0
    .max_flat_workgroup_size: 256
    .name:           _ZN7rocprim17ROCPRIM_400000_NS6detail17trampoline_kernelINS0_14default_configENS1_27scan_by_key_config_selectorIj11FixedVectorIiLj1EEEEZZNS1_16scan_by_key_implILNS1_25lookback_scan_determinismE0ELb0ES3_N6thrust23THRUST_200600_302600_NS6detail15normal_iteratorINSB_10device_ptrIjEEEENSD_INSE_IS6_EEEESI_S6_NSB_4plusIvEENSB_8equal_toIvEES6_EE10hipError_tPvRmT2_T3_T4_T5_mT6_T7_P12ihipStream_tbENKUlT_T0_E_clISt17integral_constantIbLb1EES13_EEDaSY_SZ_EUlSY_E_NS1_11comp_targetILNS1_3genE3ELNS1_11target_archE908ELNS1_3gpuE7ELNS1_3repE0EEENS1_30default_config_static_selectorELNS0_4arch9wavefront6targetE0EEEvT1_
    .private_segment_fixed_size: 0
    .sgpr_count:     0
    .sgpr_spill_count: 0
    .symbol:         _ZN7rocprim17ROCPRIM_400000_NS6detail17trampoline_kernelINS0_14default_configENS1_27scan_by_key_config_selectorIj11FixedVectorIiLj1EEEEZZNS1_16scan_by_key_implILNS1_25lookback_scan_determinismE0ELb0ES3_N6thrust23THRUST_200600_302600_NS6detail15normal_iteratorINSB_10device_ptrIjEEEENSD_INSE_IS6_EEEESI_S6_NSB_4plusIvEENSB_8equal_toIvEES6_EE10hipError_tPvRmT2_T3_T4_T5_mT6_T7_P12ihipStream_tbENKUlT_T0_E_clISt17integral_constantIbLb1EES13_EEDaSY_SZ_EUlSY_E_NS1_11comp_targetILNS1_3genE3ELNS1_11target_archE908ELNS1_3gpuE7ELNS1_3repE0EEENS1_30default_config_static_selectorELNS0_4arch9wavefront6targetE0EEEvT1_.kd
    .uniform_work_group_size: 1
    .uses_dynamic_stack: false
    .vgpr_count:     0
    .vgpr_spill_count: 0
    .wavefront_size: 32
  - .args:
      - .offset:         0
        .size:           112
        .value_kind:     by_value
    .group_segment_fixed_size: 0
    .kernarg_segment_align: 8
    .kernarg_segment_size: 112
    .language:       OpenCL C
    .language_version:
      - 2
      - 0
    .max_flat_workgroup_size: 256
    .name:           _ZN7rocprim17ROCPRIM_400000_NS6detail17trampoline_kernelINS0_14default_configENS1_27scan_by_key_config_selectorIj11FixedVectorIiLj1EEEEZZNS1_16scan_by_key_implILNS1_25lookback_scan_determinismE0ELb0ES3_N6thrust23THRUST_200600_302600_NS6detail15normal_iteratorINSB_10device_ptrIjEEEENSD_INSE_IS6_EEEESI_S6_NSB_4plusIvEENSB_8equal_toIvEES6_EE10hipError_tPvRmT2_T3_T4_T5_mT6_T7_P12ihipStream_tbENKUlT_T0_E_clISt17integral_constantIbLb1EES13_EEDaSY_SZ_EUlSY_E_NS1_11comp_targetILNS1_3genE2ELNS1_11target_archE906ELNS1_3gpuE6ELNS1_3repE0EEENS1_30default_config_static_selectorELNS0_4arch9wavefront6targetE0EEEvT1_
    .private_segment_fixed_size: 0
    .sgpr_count:     0
    .sgpr_spill_count: 0
    .symbol:         _ZN7rocprim17ROCPRIM_400000_NS6detail17trampoline_kernelINS0_14default_configENS1_27scan_by_key_config_selectorIj11FixedVectorIiLj1EEEEZZNS1_16scan_by_key_implILNS1_25lookback_scan_determinismE0ELb0ES3_N6thrust23THRUST_200600_302600_NS6detail15normal_iteratorINSB_10device_ptrIjEEEENSD_INSE_IS6_EEEESI_S6_NSB_4plusIvEENSB_8equal_toIvEES6_EE10hipError_tPvRmT2_T3_T4_T5_mT6_T7_P12ihipStream_tbENKUlT_T0_E_clISt17integral_constantIbLb1EES13_EEDaSY_SZ_EUlSY_E_NS1_11comp_targetILNS1_3genE2ELNS1_11target_archE906ELNS1_3gpuE6ELNS1_3repE0EEENS1_30default_config_static_selectorELNS0_4arch9wavefront6targetE0EEEvT1_.kd
    .uniform_work_group_size: 1
    .uses_dynamic_stack: false
    .vgpr_count:     0
    .vgpr_spill_count: 0
    .wavefront_size: 32
  - .args:
      - .offset:         0
        .size:           112
        .value_kind:     by_value
    .group_segment_fixed_size: 0
    .kernarg_segment_align: 8
    .kernarg_segment_size: 112
    .language:       OpenCL C
    .language_version:
      - 2
      - 0
    .max_flat_workgroup_size: 256
    .name:           _ZN7rocprim17ROCPRIM_400000_NS6detail17trampoline_kernelINS0_14default_configENS1_27scan_by_key_config_selectorIj11FixedVectorIiLj1EEEEZZNS1_16scan_by_key_implILNS1_25lookback_scan_determinismE0ELb0ES3_N6thrust23THRUST_200600_302600_NS6detail15normal_iteratorINSB_10device_ptrIjEEEENSD_INSE_IS6_EEEESI_S6_NSB_4plusIvEENSB_8equal_toIvEES6_EE10hipError_tPvRmT2_T3_T4_T5_mT6_T7_P12ihipStream_tbENKUlT_T0_E_clISt17integral_constantIbLb1EES13_EEDaSY_SZ_EUlSY_E_NS1_11comp_targetILNS1_3genE10ELNS1_11target_archE1200ELNS1_3gpuE4ELNS1_3repE0EEENS1_30default_config_static_selectorELNS0_4arch9wavefront6targetE0EEEvT1_
    .private_segment_fixed_size: 0
    .sgpr_count:     0
    .sgpr_spill_count: 0
    .symbol:         _ZN7rocprim17ROCPRIM_400000_NS6detail17trampoline_kernelINS0_14default_configENS1_27scan_by_key_config_selectorIj11FixedVectorIiLj1EEEEZZNS1_16scan_by_key_implILNS1_25lookback_scan_determinismE0ELb0ES3_N6thrust23THRUST_200600_302600_NS6detail15normal_iteratorINSB_10device_ptrIjEEEENSD_INSE_IS6_EEEESI_S6_NSB_4plusIvEENSB_8equal_toIvEES6_EE10hipError_tPvRmT2_T3_T4_T5_mT6_T7_P12ihipStream_tbENKUlT_T0_E_clISt17integral_constantIbLb1EES13_EEDaSY_SZ_EUlSY_E_NS1_11comp_targetILNS1_3genE10ELNS1_11target_archE1200ELNS1_3gpuE4ELNS1_3repE0EEENS1_30default_config_static_selectorELNS0_4arch9wavefront6targetE0EEEvT1_.kd
    .uniform_work_group_size: 1
    .uses_dynamic_stack: false
    .vgpr_count:     0
    .vgpr_spill_count: 0
    .wavefront_size: 32
  - .args:
      - .offset:         0
        .size:           112
        .value_kind:     by_value
    .group_segment_fixed_size: 0
    .kernarg_segment_align: 8
    .kernarg_segment_size: 112
    .language:       OpenCL C
    .language_version:
      - 2
      - 0
    .max_flat_workgroup_size: 256
    .name:           _ZN7rocprim17ROCPRIM_400000_NS6detail17trampoline_kernelINS0_14default_configENS1_27scan_by_key_config_selectorIj11FixedVectorIiLj1EEEEZZNS1_16scan_by_key_implILNS1_25lookback_scan_determinismE0ELb0ES3_N6thrust23THRUST_200600_302600_NS6detail15normal_iteratorINSB_10device_ptrIjEEEENSD_INSE_IS6_EEEESI_S6_NSB_4plusIvEENSB_8equal_toIvEES6_EE10hipError_tPvRmT2_T3_T4_T5_mT6_T7_P12ihipStream_tbENKUlT_T0_E_clISt17integral_constantIbLb1EES13_EEDaSY_SZ_EUlSY_E_NS1_11comp_targetILNS1_3genE9ELNS1_11target_archE1100ELNS1_3gpuE3ELNS1_3repE0EEENS1_30default_config_static_selectorELNS0_4arch9wavefront6targetE0EEEvT1_
    .private_segment_fixed_size: 0
    .sgpr_count:     0
    .sgpr_spill_count: 0
    .symbol:         _ZN7rocprim17ROCPRIM_400000_NS6detail17trampoline_kernelINS0_14default_configENS1_27scan_by_key_config_selectorIj11FixedVectorIiLj1EEEEZZNS1_16scan_by_key_implILNS1_25lookback_scan_determinismE0ELb0ES3_N6thrust23THRUST_200600_302600_NS6detail15normal_iteratorINSB_10device_ptrIjEEEENSD_INSE_IS6_EEEESI_S6_NSB_4plusIvEENSB_8equal_toIvEES6_EE10hipError_tPvRmT2_T3_T4_T5_mT6_T7_P12ihipStream_tbENKUlT_T0_E_clISt17integral_constantIbLb1EES13_EEDaSY_SZ_EUlSY_E_NS1_11comp_targetILNS1_3genE9ELNS1_11target_archE1100ELNS1_3gpuE3ELNS1_3repE0EEENS1_30default_config_static_selectorELNS0_4arch9wavefront6targetE0EEEvT1_.kd
    .uniform_work_group_size: 1
    .uses_dynamic_stack: false
    .vgpr_count:     0
    .vgpr_spill_count: 0
    .wavefront_size: 32
  - .args:
      - .offset:         0
        .size:           112
        .value_kind:     by_value
    .group_segment_fixed_size: 0
    .kernarg_segment_align: 8
    .kernarg_segment_size: 112
    .language:       OpenCL C
    .language_version:
      - 2
      - 0
    .max_flat_workgroup_size: 256
    .name:           _ZN7rocprim17ROCPRIM_400000_NS6detail17trampoline_kernelINS0_14default_configENS1_27scan_by_key_config_selectorIj11FixedVectorIiLj1EEEEZZNS1_16scan_by_key_implILNS1_25lookback_scan_determinismE0ELb0ES3_N6thrust23THRUST_200600_302600_NS6detail15normal_iteratorINSB_10device_ptrIjEEEENSD_INSE_IS6_EEEESI_S6_NSB_4plusIvEENSB_8equal_toIvEES6_EE10hipError_tPvRmT2_T3_T4_T5_mT6_T7_P12ihipStream_tbENKUlT_T0_E_clISt17integral_constantIbLb1EES13_EEDaSY_SZ_EUlSY_E_NS1_11comp_targetILNS1_3genE8ELNS1_11target_archE1030ELNS1_3gpuE2ELNS1_3repE0EEENS1_30default_config_static_selectorELNS0_4arch9wavefront6targetE0EEEvT1_
    .private_segment_fixed_size: 0
    .sgpr_count:     0
    .sgpr_spill_count: 0
    .symbol:         _ZN7rocprim17ROCPRIM_400000_NS6detail17trampoline_kernelINS0_14default_configENS1_27scan_by_key_config_selectorIj11FixedVectorIiLj1EEEEZZNS1_16scan_by_key_implILNS1_25lookback_scan_determinismE0ELb0ES3_N6thrust23THRUST_200600_302600_NS6detail15normal_iteratorINSB_10device_ptrIjEEEENSD_INSE_IS6_EEEESI_S6_NSB_4plusIvEENSB_8equal_toIvEES6_EE10hipError_tPvRmT2_T3_T4_T5_mT6_T7_P12ihipStream_tbENKUlT_T0_E_clISt17integral_constantIbLb1EES13_EEDaSY_SZ_EUlSY_E_NS1_11comp_targetILNS1_3genE8ELNS1_11target_archE1030ELNS1_3gpuE2ELNS1_3repE0EEENS1_30default_config_static_selectorELNS0_4arch9wavefront6targetE0EEEvT1_.kd
    .uniform_work_group_size: 1
    .uses_dynamic_stack: false
    .vgpr_count:     0
    .vgpr_spill_count: 0
    .wavefront_size: 32
  - .args:
      - .address_space:  global
        .offset:         0
        .size:           8
        .value_kind:     global_buffer
      - .offset:         8
        .size:           4
        .value_kind:     by_value
      - .offset:         12
        .size:           4
        .value_kind:     by_value
      - .address_space:  global
        .offset:         16
        .size:           8
        .value_kind:     global_buffer
      - .address_space:  global
        .offset:         24
        .size:           8
        .value_kind:     global_buffer
      - .actual_access:  write_only
        .address_space:  global
        .offset:         32
        .size:           8
        .value_kind:     global_buffer
      - .offset:         40
        .size:           8
        .value_kind:     by_value
      - .offset:         48
        .size:           4
        .value_kind:     by_value
      - .offset:         52
        .size:           1
        .value_kind:     by_value
      - .offset:         56
        .size:           4
        .value_kind:     hidden_block_count_x
      - .offset:         60
        .size:           4
        .value_kind:     hidden_block_count_y
      - .offset:         64
        .size:           4
        .value_kind:     hidden_block_count_z
      - .offset:         68
        .size:           2
        .value_kind:     hidden_group_size_x
      - .offset:         70
        .size:           2
        .value_kind:     hidden_group_size_y
      - .offset:         72
        .size:           2
        .value_kind:     hidden_group_size_z
      - .offset:         74
        .size:           2
        .value_kind:     hidden_remainder_x
      - .offset:         76
        .size:           2
        .value_kind:     hidden_remainder_y
      - .offset:         78
        .size:           2
        .value_kind:     hidden_remainder_z
      - .offset:         96
        .size:           8
        .value_kind:     hidden_global_offset_x
      - .offset:         104
        .size:           8
        .value_kind:     hidden_global_offset_y
      - .offset:         112
        .size:           8
        .value_kind:     hidden_global_offset_z
      - .offset:         120
        .size:           2
        .value_kind:     hidden_grid_dims
    .group_segment_fixed_size: 0
    .kernarg_segment_align: 8
    .kernarg_segment_size: 312
    .language:       OpenCL C
    .language_version:
      - 2
      - 0
    .max_flat_workgroup_size: 256
    .name:           _ZN7rocprim17ROCPRIM_400000_NS6detail30init_device_scan_by_key_kernelINS1_19lookback_scan_stateINS0_5tupleIJ11FixedVectorIiLj1EEbEEELb1ELb1EEEN6thrust23THRUST_200600_302600_NS6detail15normal_iteratorINSA_10device_ptrIjEEEEjNS1_16block_id_wrapperIjLb0EEEEEvT_jjPNSI_10value_typeET0_PNSt15iterator_traitsISL_E10value_typeEmT1_T2_
    .private_segment_fixed_size: 0
    .sgpr_count:     19
    .sgpr_spill_count: 0
    .symbol:         _ZN7rocprim17ROCPRIM_400000_NS6detail30init_device_scan_by_key_kernelINS1_19lookback_scan_stateINS0_5tupleIJ11FixedVectorIiLj1EEbEEELb1ELb1EEEN6thrust23THRUST_200600_302600_NS6detail15normal_iteratorINSA_10device_ptrIjEEEEjNS1_16block_id_wrapperIjLb0EEEEEvT_jjPNSI_10value_typeET0_PNSt15iterator_traitsISL_E10value_typeEmT1_T2_.kd
    .uniform_work_group_size: 1
    .uses_dynamic_stack: false
    .vgpr_count:     10
    .vgpr_spill_count: 0
    .wavefront_size: 32
  - .args:
      - .address_space:  global
        .offset:         0
        .size:           8
        .value_kind:     global_buffer
      - .offset:         8
        .size:           4
        .value_kind:     by_value
      - .offset:         12
        .size:           4
        .value_kind:     by_value
      - .address_space:  global
        .offset:         16
        .size:           8
        .value_kind:     global_buffer
      - .offset:         24
        .size:           1
        .value_kind:     by_value
      - .offset:         32
        .size:           4
        .value_kind:     hidden_block_count_x
      - .offset:         36
        .size:           4
        .value_kind:     hidden_block_count_y
      - .offset:         40
        .size:           4
        .value_kind:     hidden_block_count_z
      - .offset:         44
        .size:           2
        .value_kind:     hidden_group_size_x
      - .offset:         46
        .size:           2
        .value_kind:     hidden_group_size_y
      - .offset:         48
        .size:           2
        .value_kind:     hidden_group_size_z
      - .offset:         50
        .size:           2
        .value_kind:     hidden_remainder_x
      - .offset:         52
        .size:           2
        .value_kind:     hidden_remainder_y
      - .offset:         54
        .size:           2
        .value_kind:     hidden_remainder_z
      - .offset:         72
        .size:           8
        .value_kind:     hidden_global_offset_x
      - .offset:         80
        .size:           8
        .value_kind:     hidden_global_offset_y
      - .offset:         88
        .size:           8
        .value_kind:     hidden_global_offset_z
      - .offset:         96
        .size:           2
        .value_kind:     hidden_grid_dims
    .group_segment_fixed_size: 0
    .kernarg_segment_align: 8
    .kernarg_segment_size: 288
    .language:       OpenCL C
    .language_version:
      - 2
      - 0
    .max_flat_workgroup_size: 256
    .name:           _ZN7rocprim17ROCPRIM_400000_NS6detail30init_device_scan_by_key_kernelINS1_19lookback_scan_stateINS0_5tupleIJ11FixedVectorIiLj1EEbEEELb1ELb1EEENS1_16block_id_wrapperIjLb0EEEEEvT_jjPNSB_10value_typeET0_
    .private_segment_fixed_size: 0
    .sgpr_count:     13
    .sgpr_spill_count: 0
    .symbol:         _ZN7rocprim17ROCPRIM_400000_NS6detail30init_device_scan_by_key_kernelINS1_19lookback_scan_stateINS0_5tupleIJ11FixedVectorIiLj1EEbEEELb1ELb1EEENS1_16block_id_wrapperIjLb0EEEEEvT_jjPNSB_10value_typeET0_.kd
    .uniform_work_group_size: 1
    .uses_dynamic_stack: false
    .vgpr_count:     9
    .vgpr_spill_count: 0
    .wavefront_size: 32
  - .args:
      - .offset:         0
        .size:           112
        .value_kind:     by_value
    .group_segment_fixed_size: 0
    .kernarg_segment_align: 8
    .kernarg_segment_size: 112
    .language:       OpenCL C
    .language_version:
      - 2
      - 0
    .max_flat_workgroup_size: 256
    .name:           _ZN7rocprim17ROCPRIM_400000_NS6detail17trampoline_kernelINS0_14default_configENS1_27scan_by_key_config_selectorIj11FixedVectorIiLj1EEEEZZNS1_16scan_by_key_implILNS1_25lookback_scan_determinismE0ELb0ES3_N6thrust23THRUST_200600_302600_NS6detail15normal_iteratorINSB_10device_ptrIjEEEENSD_INSE_IS6_EEEESI_S6_NSB_4plusIvEENSB_8equal_toIvEES6_EE10hipError_tPvRmT2_T3_T4_T5_mT6_T7_P12ihipStream_tbENKUlT_T0_E_clISt17integral_constantIbLb1EES12_IbLb0EEEEDaSY_SZ_EUlSY_E_NS1_11comp_targetILNS1_3genE0ELNS1_11target_archE4294967295ELNS1_3gpuE0ELNS1_3repE0EEENS1_30default_config_static_selectorELNS0_4arch9wavefront6targetE0EEEvT1_
    .private_segment_fixed_size: 0
    .sgpr_count:     0
    .sgpr_spill_count: 0
    .symbol:         _ZN7rocprim17ROCPRIM_400000_NS6detail17trampoline_kernelINS0_14default_configENS1_27scan_by_key_config_selectorIj11FixedVectorIiLj1EEEEZZNS1_16scan_by_key_implILNS1_25lookback_scan_determinismE0ELb0ES3_N6thrust23THRUST_200600_302600_NS6detail15normal_iteratorINSB_10device_ptrIjEEEENSD_INSE_IS6_EEEESI_S6_NSB_4plusIvEENSB_8equal_toIvEES6_EE10hipError_tPvRmT2_T3_T4_T5_mT6_T7_P12ihipStream_tbENKUlT_T0_E_clISt17integral_constantIbLb1EES12_IbLb0EEEEDaSY_SZ_EUlSY_E_NS1_11comp_targetILNS1_3genE0ELNS1_11target_archE4294967295ELNS1_3gpuE0ELNS1_3repE0EEENS1_30default_config_static_selectorELNS0_4arch9wavefront6targetE0EEEvT1_.kd
    .uniform_work_group_size: 1
    .uses_dynamic_stack: false
    .vgpr_count:     0
    .vgpr_spill_count: 0
    .wavefront_size: 32
  - .args:
      - .offset:         0
        .size:           112
        .value_kind:     by_value
    .group_segment_fixed_size: 0
    .kernarg_segment_align: 8
    .kernarg_segment_size: 112
    .language:       OpenCL C
    .language_version:
      - 2
      - 0
    .max_flat_workgroup_size: 256
    .name:           _ZN7rocprim17ROCPRIM_400000_NS6detail17trampoline_kernelINS0_14default_configENS1_27scan_by_key_config_selectorIj11FixedVectorIiLj1EEEEZZNS1_16scan_by_key_implILNS1_25lookback_scan_determinismE0ELb0ES3_N6thrust23THRUST_200600_302600_NS6detail15normal_iteratorINSB_10device_ptrIjEEEENSD_INSE_IS6_EEEESI_S6_NSB_4plusIvEENSB_8equal_toIvEES6_EE10hipError_tPvRmT2_T3_T4_T5_mT6_T7_P12ihipStream_tbENKUlT_T0_E_clISt17integral_constantIbLb1EES12_IbLb0EEEEDaSY_SZ_EUlSY_E_NS1_11comp_targetILNS1_3genE10ELNS1_11target_archE1201ELNS1_3gpuE5ELNS1_3repE0EEENS1_30default_config_static_selectorELNS0_4arch9wavefront6targetE0EEEvT1_
    .private_segment_fixed_size: 0
    .sgpr_count:     0
    .sgpr_spill_count: 0
    .symbol:         _ZN7rocprim17ROCPRIM_400000_NS6detail17trampoline_kernelINS0_14default_configENS1_27scan_by_key_config_selectorIj11FixedVectorIiLj1EEEEZZNS1_16scan_by_key_implILNS1_25lookback_scan_determinismE0ELb0ES3_N6thrust23THRUST_200600_302600_NS6detail15normal_iteratorINSB_10device_ptrIjEEEENSD_INSE_IS6_EEEESI_S6_NSB_4plusIvEENSB_8equal_toIvEES6_EE10hipError_tPvRmT2_T3_T4_T5_mT6_T7_P12ihipStream_tbENKUlT_T0_E_clISt17integral_constantIbLb1EES12_IbLb0EEEEDaSY_SZ_EUlSY_E_NS1_11comp_targetILNS1_3genE10ELNS1_11target_archE1201ELNS1_3gpuE5ELNS1_3repE0EEENS1_30default_config_static_selectorELNS0_4arch9wavefront6targetE0EEEvT1_.kd
    .uniform_work_group_size: 1
    .uses_dynamic_stack: false
    .vgpr_count:     0
    .vgpr_spill_count: 0
    .wavefront_size: 32
  - .args:
      - .offset:         0
        .size:           112
        .value_kind:     by_value
    .group_segment_fixed_size: 0
    .kernarg_segment_align: 8
    .kernarg_segment_size: 112
    .language:       OpenCL C
    .language_version:
      - 2
      - 0
    .max_flat_workgroup_size: 256
    .name:           _ZN7rocprim17ROCPRIM_400000_NS6detail17trampoline_kernelINS0_14default_configENS1_27scan_by_key_config_selectorIj11FixedVectorIiLj1EEEEZZNS1_16scan_by_key_implILNS1_25lookback_scan_determinismE0ELb0ES3_N6thrust23THRUST_200600_302600_NS6detail15normal_iteratorINSB_10device_ptrIjEEEENSD_INSE_IS6_EEEESI_S6_NSB_4plusIvEENSB_8equal_toIvEES6_EE10hipError_tPvRmT2_T3_T4_T5_mT6_T7_P12ihipStream_tbENKUlT_T0_E_clISt17integral_constantIbLb1EES12_IbLb0EEEEDaSY_SZ_EUlSY_E_NS1_11comp_targetILNS1_3genE5ELNS1_11target_archE942ELNS1_3gpuE9ELNS1_3repE0EEENS1_30default_config_static_selectorELNS0_4arch9wavefront6targetE0EEEvT1_
    .private_segment_fixed_size: 0
    .sgpr_count:     0
    .sgpr_spill_count: 0
    .symbol:         _ZN7rocprim17ROCPRIM_400000_NS6detail17trampoline_kernelINS0_14default_configENS1_27scan_by_key_config_selectorIj11FixedVectorIiLj1EEEEZZNS1_16scan_by_key_implILNS1_25lookback_scan_determinismE0ELb0ES3_N6thrust23THRUST_200600_302600_NS6detail15normal_iteratorINSB_10device_ptrIjEEEENSD_INSE_IS6_EEEESI_S6_NSB_4plusIvEENSB_8equal_toIvEES6_EE10hipError_tPvRmT2_T3_T4_T5_mT6_T7_P12ihipStream_tbENKUlT_T0_E_clISt17integral_constantIbLb1EES12_IbLb0EEEEDaSY_SZ_EUlSY_E_NS1_11comp_targetILNS1_3genE5ELNS1_11target_archE942ELNS1_3gpuE9ELNS1_3repE0EEENS1_30default_config_static_selectorELNS0_4arch9wavefront6targetE0EEEvT1_.kd
    .uniform_work_group_size: 1
    .uses_dynamic_stack: false
    .vgpr_count:     0
    .vgpr_spill_count: 0
    .wavefront_size: 32
  - .args:
      - .offset:         0
        .size:           112
        .value_kind:     by_value
    .group_segment_fixed_size: 0
    .kernarg_segment_align: 8
    .kernarg_segment_size: 112
    .language:       OpenCL C
    .language_version:
      - 2
      - 0
    .max_flat_workgroup_size: 256
    .name:           _ZN7rocprim17ROCPRIM_400000_NS6detail17trampoline_kernelINS0_14default_configENS1_27scan_by_key_config_selectorIj11FixedVectorIiLj1EEEEZZNS1_16scan_by_key_implILNS1_25lookback_scan_determinismE0ELb0ES3_N6thrust23THRUST_200600_302600_NS6detail15normal_iteratorINSB_10device_ptrIjEEEENSD_INSE_IS6_EEEESI_S6_NSB_4plusIvEENSB_8equal_toIvEES6_EE10hipError_tPvRmT2_T3_T4_T5_mT6_T7_P12ihipStream_tbENKUlT_T0_E_clISt17integral_constantIbLb1EES12_IbLb0EEEEDaSY_SZ_EUlSY_E_NS1_11comp_targetILNS1_3genE4ELNS1_11target_archE910ELNS1_3gpuE8ELNS1_3repE0EEENS1_30default_config_static_selectorELNS0_4arch9wavefront6targetE0EEEvT1_
    .private_segment_fixed_size: 0
    .sgpr_count:     0
    .sgpr_spill_count: 0
    .symbol:         _ZN7rocprim17ROCPRIM_400000_NS6detail17trampoline_kernelINS0_14default_configENS1_27scan_by_key_config_selectorIj11FixedVectorIiLj1EEEEZZNS1_16scan_by_key_implILNS1_25lookback_scan_determinismE0ELb0ES3_N6thrust23THRUST_200600_302600_NS6detail15normal_iteratorINSB_10device_ptrIjEEEENSD_INSE_IS6_EEEESI_S6_NSB_4plusIvEENSB_8equal_toIvEES6_EE10hipError_tPvRmT2_T3_T4_T5_mT6_T7_P12ihipStream_tbENKUlT_T0_E_clISt17integral_constantIbLb1EES12_IbLb0EEEEDaSY_SZ_EUlSY_E_NS1_11comp_targetILNS1_3genE4ELNS1_11target_archE910ELNS1_3gpuE8ELNS1_3repE0EEENS1_30default_config_static_selectorELNS0_4arch9wavefront6targetE0EEEvT1_.kd
    .uniform_work_group_size: 1
    .uses_dynamic_stack: false
    .vgpr_count:     0
    .vgpr_spill_count: 0
    .wavefront_size: 32
  - .args:
      - .offset:         0
        .size:           112
        .value_kind:     by_value
    .group_segment_fixed_size: 0
    .kernarg_segment_align: 8
    .kernarg_segment_size: 112
    .language:       OpenCL C
    .language_version:
      - 2
      - 0
    .max_flat_workgroup_size: 256
    .name:           _ZN7rocprim17ROCPRIM_400000_NS6detail17trampoline_kernelINS0_14default_configENS1_27scan_by_key_config_selectorIj11FixedVectorIiLj1EEEEZZNS1_16scan_by_key_implILNS1_25lookback_scan_determinismE0ELb0ES3_N6thrust23THRUST_200600_302600_NS6detail15normal_iteratorINSB_10device_ptrIjEEEENSD_INSE_IS6_EEEESI_S6_NSB_4plusIvEENSB_8equal_toIvEES6_EE10hipError_tPvRmT2_T3_T4_T5_mT6_T7_P12ihipStream_tbENKUlT_T0_E_clISt17integral_constantIbLb1EES12_IbLb0EEEEDaSY_SZ_EUlSY_E_NS1_11comp_targetILNS1_3genE3ELNS1_11target_archE908ELNS1_3gpuE7ELNS1_3repE0EEENS1_30default_config_static_selectorELNS0_4arch9wavefront6targetE0EEEvT1_
    .private_segment_fixed_size: 0
    .sgpr_count:     0
    .sgpr_spill_count: 0
    .symbol:         _ZN7rocprim17ROCPRIM_400000_NS6detail17trampoline_kernelINS0_14default_configENS1_27scan_by_key_config_selectorIj11FixedVectorIiLj1EEEEZZNS1_16scan_by_key_implILNS1_25lookback_scan_determinismE0ELb0ES3_N6thrust23THRUST_200600_302600_NS6detail15normal_iteratorINSB_10device_ptrIjEEEENSD_INSE_IS6_EEEESI_S6_NSB_4plusIvEENSB_8equal_toIvEES6_EE10hipError_tPvRmT2_T3_T4_T5_mT6_T7_P12ihipStream_tbENKUlT_T0_E_clISt17integral_constantIbLb1EES12_IbLb0EEEEDaSY_SZ_EUlSY_E_NS1_11comp_targetILNS1_3genE3ELNS1_11target_archE908ELNS1_3gpuE7ELNS1_3repE0EEENS1_30default_config_static_selectorELNS0_4arch9wavefront6targetE0EEEvT1_.kd
    .uniform_work_group_size: 1
    .uses_dynamic_stack: false
    .vgpr_count:     0
    .vgpr_spill_count: 0
    .wavefront_size: 32
  - .args:
      - .offset:         0
        .size:           112
        .value_kind:     by_value
    .group_segment_fixed_size: 0
    .kernarg_segment_align: 8
    .kernarg_segment_size: 112
    .language:       OpenCL C
    .language_version:
      - 2
      - 0
    .max_flat_workgroup_size: 256
    .name:           _ZN7rocprim17ROCPRIM_400000_NS6detail17trampoline_kernelINS0_14default_configENS1_27scan_by_key_config_selectorIj11FixedVectorIiLj1EEEEZZNS1_16scan_by_key_implILNS1_25lookback_scan_determinismE0ELb0ES3_N6thrust23THRUST_200600_302600_NS6detail15normal_iteratorINSB_10device_ptrIjEEEENSD_INSE_IS6_EEEESI_S6_NSB_4plusIvEENSB_8equal_toIvEES6_EE10hipError_tPvRmT2_T3_T4_T5_mT6_T7_P12ihipStream_tbENKUlT_T0_E_clISt17integral_constantIbLb1EES12_IbLb0EEEEDaSY_SZ_EUlSY_E_NS1_11comp_targetILNS1_3genE2ELNS1_11target_archE906ELNS1_3gpuE6ELNS1_3repE0EEENS1_30default_config_static_selectorELNS0_4arch9wavefront6targetE0EEEvT1_
    .private_segment_fixed_size: 0
    .sgpr_count:     0
    .sgpr_spill_count: 0
    .symbol:         _ZN7rocprim17ROCPRIM_400000_NS6detail17trampoline_kernelINS0_14default_configENS1_27scan_by_key_config_selectorIj11FixedVectorIiLj1EEEEZZNS1_16scan_by_key_implILNS1_25lookback_scan_determinismE0ELb0ES3_N6thrust23THRUST_200600_302600_NS6detail15normal_iteratorINSB_10device_ptrIjEEEENSD_INSE_IS6_EEEESI_S6_NSB_4plusIvEENSB_8equal_toIvEES6_EE10hipError_tPvRmT2_T3_T4_T5_mT6_T7_P12ihipStream_tbENKUlT_T0_E_clISt17integral_constantIbLb1EES12_IbLb0EEEEDaSY_SZ_EUlSY_E_NS1_11comp_targetILNS1_3genE2ELNS1_11target_archE906ELNS1_3gpuE6ELNS1_3repE0EEENS1_30default_config_static_selectorELNS0_4arch9wavefront6targetE0EEEvT1_.kd
    .uniform_work_group_size: 1
    .uses_dynamic_stack: false
    .vgpr_count:     0
    .vgpr_spill_count: 0
    .wavefront_size: 32
  - .args:
      - .offset:         0
        .size:           112
        .value_kind:     by_value
    .group_segment_fixed_size: 0
    .kernarg_segment_align: 8
    .kernarg_segment_size: 112
    .language:       OpenCL C
    .language_version:
      - 2
      - 0
    .max_flat_workgroup_size: 256
    .name:           _ZN7rocprim17ROCPRIM_400000_NS6detail17trampoline_kernelINS0_14default_configENS1_27scan_by_key_config_selectorIj11FixedVectorIiLj1EEEEZZNS1_16scan_by_key_implILNS1_25lookback_scan_determinismE0ELb0ES3_N6thrust23THRUST_200600_302600_NS6detail15normal_iteratorINSB_10device_ptrIjEEEENSD_INSE_IS6_EEEESI_S6_NSB_4plusIvEENSB_8equal_toIvEES6_EE10hipError_tPvRmT2_T3_T4_T5_mT6_T7_P12ihipStream_tbENKUlT_T0_E_clISt17integral_constantIbLb1EES12_IbLb0EEEEDaSY_SZ_EUlSY_E_NS1_11comp_targetILNS1_3genE10ELNS1_11target_archE1200ELNS1_3gpuE4ELNS1_3repE0EEENS1_30default_config_static_selectorELNS0_4arch9wavefront6targetE0EEEvT1_
    .private_segment_fixed_size: 0
    .sgpr_count:     0
    .sgpr_spill_count: 0
    .symbol:         _ZN7rocprim17ROCPRIM_400000_NS6detail17trampoline_kernelINS0_14default_configENS1_27scan_by_key_config_selectorIj11FixedVectorIiLj1EEEEZZNS1_16scan_by_key_implILNS1_25lookback_scan_determinismE0ELb0ES3_N6thrust23THRUST_200600_302600_NS6detail15normal_iteratorINSB_10device_ptrIjEEEENSD_INSE_IS6_EEEESI_S6_NSB_4plusIvEENSB_8equal_toIvEES6_EE10hipError_tPvRmT2_T3_T4_T5_mT6_T7_P12ihipStream_tbENKUlT_T0_E_clISt17integral_constantIbLb1EES12_IbLb0EEEEDaSY_SZ_EUlSY_E_NS1_11comp_targetILNS1_3genE10ELNS1_11target_archE1200ELNS1_3gpuE4ELNS1_3repE0EEENS1_30default_config_static_selectorELNS0_4arch9wavefront6targetE0EEEvT1_.kd
    .uniform_work_group_size: 1
    .uses_dynamic_stack: false
    .vgpr_count:     0
    .vgpr_spill_count: 0
    .wavefront_size: 32
  - .args:
      - .offset:         0
        .size:           112
        .value_kind:     by_value
    .group_segment_fixed_size: 0
    .kernarg_segment_align: 8
    .kernarg_segment_size: 112
    .language:       OpenCL C
    .language_version:
      - 2
      - 0
    .max_flat_workgroup_size: 256
    .name:           _ZN7rocprim17ROCPRIM_400000_NS6detail17trampoline_kernelINS0_14default_configENS1_27scan_by_key_config_selectorIj11FixedVectorIiLj1EEEEZZNS1_16scan_by_key_implILNS1_25lookback_scan_determinismE0ELb0ES3_N6thrust23THRUST_200600_302600_NS6detail15normal_iteratorINSB_10device_ptrIjEEEENSD_INSE_IS6_EEEESI_S6_NSB_4plusIvEENSB_8equal_toIvEES6_EE10hipError_tPvRmT2_T3_T4_T5_mT6_T7_P12ihipStream_tbENKUlT_T0_E_clISt17integral_constantIbLb1EES12_IbLb0EEEEDaSY_SZ_EUlSY_E_NS1_11comp_targetILNS1_3genE9ELNS1_11target_archE1100ELNS1_3gpuE3ELNS1_3repE0EEENS1_30default_config_static_selectorELNS0_4arch9wavefront6targetE0EEEvT1_
    .private_segment_fixed_size: 0
    .sgpr_count:     0
    .sgpr_spill_count: 0
    .symbol:         _ZN7rocprim17ROCPRIM_400000_NS6detail17trampoline_kernelINS0_14default_configENS1_27scan_by_key_config_selectorIj11FixedVectorIiLj1EEEEZZNS1_16scan_by_key_implILNS1_25lookback_scan_determinismE0ELb0ES3_N6thrust23THRUST_200600_302600_NS6detail15normal_iteratorINSB_10device_ptrIjEEEENSD_INSE_IS6_EEEESI_S6_NSB_4plusIvEENSB_8equal_toIvEES6_EE10hipError_tPvRmT2_T3_T4_T5_mT6_T7_P12ihipStream_tbENKUlT_T0_E_clISt17integral_constantIbLb1EES12_IbLb0EEEEDaSY_SZ_EUlSY_E_NS1_11comp_targetILNS1_3genE9ELNS1_11target_archE1100ELNS1_3gpuE3ELNS1_3repE0EEENS1_30default_config_static_selectorELNS0_4arch9wavefront6targetE0EEEvT1_.kd
    .uniform_work_group_size: 1
    .uses_dynamic_stack: false
    .vgpr_count:     0
    .vgpr_spill_count: 0
    .wavefront_size: 32
  - .args:
      - .offset:         0
        .size:           112
        .value_kind:     by_value
    .group_segment_fixed_size: 0
    .kernarg_segment_align: 8
    .kernarg_segment_size: 112
    .language:       OpenCL C
    .language_version:
      - 2
      - 0
    .max_flat_workgroup_size: 256
    .name:           _ZN7rocprim17ROCPRIM_400000_NS6detail17trampoline_kernelINS0_14default_configENS1_27scan_by_key_config_selectorIj11FixedVectorIiLj1EEEEZZNS1_16scan_by_key_implILNS1_25lookback_scan_determinismE0ELb0ES3_N6thrust23THRUST_200600_302600_NS6detail15normal_iteratorINSB_10device_ptrIjEEEENSD_INSE_IS6_EEEESI_S6_NSB_4plusIvEENSB_8equal_toIvEES6_EE10hipError_tPvRmT2_T3_T4_T5_mT6_T7_P12ihipStream_tbENKUlT_T0_E_clISt17integral_constantIbLb1EES12_IbLb0EEEEDaSY_SZ_EUlSY_E_NS1_11comp_targetILNS1_3genE8ELNS1_11target_archE1030ELNS1_3gpuE2ELNS1_3repE0EEENS1_30default_config_static_selectorELNS0_4arch9wavefront6targetE0EEEvT1_
    .private_segment_fixed_size: 0
    .sgpr_count:     0
    .sgpr_spill_count: 0
    .symbol:         _ZN7rocprim17ROCPRIM_400000_NS6detail17trampoline_kernelINS0_14default_configENS1_27scan_by_key_config_selectorIj11FixedVectorIiLj1EEEEZZNS1_16scan_by_key_implILNS1_25lookback_scan_determinismE0ELb0ES3_N6thrust23THRUST_200600_302600_NS6detail15normal_iteratorINSB_10device_ptrIjEEEENSD_INSE_IS6_EEEESI_S6_NSB_4plusIvEENSB_8equal_toIvEES6_EE10hipError_tPvRmT2_T3_T4_T5_mT6_T7_P12ihipStream_tbENKUlT_T0_E_clISt17integral_constantIbLb1EES12_IbLb0EEEEDaSY_SZ_EUlSY_E_NS1_11comp_targetILNS1_3genE8ELNS1_11target_archE1030ELNS1_3gpuE2ELNS1_3repE0EEENS1_30default_config_static_selectorELNS0_4arch9wavefront6targetE0EEEvT1_.kd
    .uniform_work_group_size: 1
    .uses_dynamic_stack: false
    .vgpr_count:     0
    .vgpr_spill_count: 0
    .wavefront_size: 32
  - .args:
      - .address_space:  global
        .offset:         0
        .size:           8
        .value_kind:     global_buffer
      - .offset:         8
        .size:           4
        .value_kind:     by_value
      - .offset:         12
        .size:           4
        .value_kind:     by_value
      - .address_space:  global
        .offset:         16
        .size:           8
        .value_kind:     global_buffer
      - .address_space:  global
        .offset:         24
        .size:           8
        .value_kind:     global_buffer
      - .actual_access:  write_only
        .address_space:  global
        .offset:         32
        .size:           8
        .value_kind:     global_buffer
      - .offset:         40
        .size:           8
        .value_kind:     by_value
      - .offset:         48
        .size:           4
        .value_kind:     by_value
      - .address_space:  global
        .offset:         56
        .size:           8
        .value_kind:     global_buffer
      - .offset:         64
        .size:           4
        .value_kind:     hidden_block_count_x
      - .offset:         68
        .size:           4
        .value_kind:     hidden_block_count_y
      - .offset:         72
        .size:           4
        .value_kind:     hidden_block_count_z
      - .offset:         76
        .size:           2
        .value_kind:     hidden_group_size_x
      - .offset:         78
        .size:           2
        .value_kind:     hidden_group_size_y
      - .offset:         80
        .size:           2
        .value_kind:     hidden_group_size_z
      - .offset:         82
        .size:           2
        .value_kind:     hidden_remainder_x
      - .offset:         84
        .size:           2
        .value_kind:     hidden_remainder_y
      - .offset:         86
        .size:           2
        .value_kind:     hidden_remainder_z
      - .offset:         104
        .size:           8
        .value_kind:     hidden_global_offset_x
      - .offset:         112
        .size:           8
        .value_kind:     hidden_global_offset_y
      - .offset:         120
        .size:           8
        .value_kind:     hidden_global_offset_z
      - .offset:         128
        .size:           2
        .value_kind:     hidden_grid_dims
    .group_segment_fixed_size: 0
    .kernarg_segment_align: 8
    .kernarg_segment_size: 320
    .language:       OpenCL C
    .language_version:
      - 2
      - 0
    .max_flat_workgroup_size: 256
    .name:           _ZN7rocprim17ROCPRIM_400000_NS6detail30init_device_scan_by_key_kernelINS1_19lookback_scan_stateINS0_5tupleIJ11FixedVectorIiLj1EEbEEELb0ELb1EEEN6thrust23THRUST_200600_302600_NS6detail15normal_iteratorINSA_10device_ptrIjEEEEjNS1_16block_id_wrapperIjLb1EEEEEvT_jjPNSI_10value_typeET0_PNSt15iterator_traitsISL_E10value_typeEmT1_T2_
    .private_segment_fixed_size: 0
    .sgpr_count:     19
    .sgpr_spill_count: 0
    .symbol:         _ZN7rocprim17ROCPRIM_400000_NS6detail30init_device_scan_by_key_kernelINS1_19lookback_scan_stateINS0_5tupleIJ11FixedVectorIiLj1EEbEEELb0ELb1EEEN6thrust23THRUST_200600_302600_NS6detail15normal_iteratorINSA_10device_ptrIjEEEEjNS1_16block_id_wrapperIjLb1EEEEEvT_jjPNSI_10value_typeET0_PNSt15iterator_traitsISL_E10value_typeEmT1_T2_.kd
    .uniform_work_group_size: 1
    .uses_dynamic_stack: false
    .vgpr_count:     10
    .vgpr_spill_count: 0
    .wavefront_size: 32
  - .args:
      - .address_space:  global
        .offset:         0
        .size:           8
        .value_kind:     global_buffer
      - .offset:         8
        .size:           4
        .value_kind:     by_value
      - .offset:         12
        .size:           4
        .value_kind:     by_value
      - .address_space:  global
        .offset:         16
        .size:           8
        .value_kind:     global_buffer
      - .address_space:  global
        .offset:         24
        .size:           8
        .value_kind:     global_buffer
      - .offset:         32
        .size:           4
        .value_kind:     hidden_block_count_x
      - .offset:         36
        .size:           4
        .value_kind:     hidden_block_count_y
      - .offset:         40
        .size:           4
        .value_kind:     hidden_block_count_z
      - .offset:         44
        .size:           2
        .value_kind:     hidden_group_size_x
      - .offset:         46
        .size:           2
        .value_kind:     hidden_group_size_y
      - .offset:         48
        .size:           2
        .value_kind:     hidden_group_size_z
      - .offset:         50
        .size:           2
        .value_kind:     hidden_remainder_x
      - .offset:         52
        .size:           2
        .value_kind:     hidden_remainder_y
      - .offset:         54
        .size:           2
        .value_kind:     hidden_remainder_z
      - .offset:         72
        .size:           8
        .value_kind:     hidden_global_offset_x
      - .offset:         80
        .size:           8
        .value_kind:     hidden_global_offset_y
      - .offset:         88
        .size:           8
        .value_kind:     hidden_global_offset_z
      - .offset:         96
        .size:           2
        .value_kind:     hidden_grid_dims
    .group_segment_fixed_size: 0
    .kernarg_segment_align: 8
    .kernarg_segment_size: 288
    .language:       OpenCL C
    .language_version:
      - 2
      - 0
    .max_flat_workgroup_size: 256
    .name:           _ZN7rocprim17ROCPRIM_400000_NS6detail30init_device_scan_by_key_kernelINS1_19lookback_scan_stateINS0_5tupleIJ11FixedVectorIiLj1EEbEEELb0ELb1EEENS1_16block_id_wrapperIjLb1EEEEEvT_jjPNSB_10value_typeET0_
    .private_segment_fixed_size: 0
    .sgpr_count:     15
    .sgpr_spill_count: 0
    .symbol:         _ZN7rocprim17ROCPRIM_400000_NS6detail30init_device_scan_by_key_kernelINS1_19lookback_scan_stateINS0_5tupleIJ11FixedVectorIiLj1EEbEEELb0ELb1EEENS1_16block_id_wrapperIjLb1EEEEEvT_jjPNSB_10value_typeET0_.kd
    .uniform_work_group_size: 1
    .uses_dynamic_stack: false
    .vgpr_count:     9
    .vgpr_spill_count: 0
    .wavefront_size: 32
  - .args:
      - .offset:         0
        .size:           112
        .value_kind:     by_value
    .group_segment_fixed_size: 14336
    .kernarg_segment_align: 8
    .kernarg_segment_size: 112
    .language:       OpenCL C
    .language_version:
      - 2
      - 0
    .max_flat_workgroup_size: 256
    .name:           _ZN7rocprim17ROCPRIM_400000_NS6detail17trampoline_kernelINS0_14default_configENS1_27scan_by_key_config_selectorIj11FixedVectorIiLj1EEEEZZNS1_16scan_by_key_implILNS1_25lookback_scan_determinismE0ELb0ES3_N6thrust23THRUST_200600_302600_NS6detail15normal_iteratorINSB_10device_ptrIjEEEENSD_INSE_IS6_EEEESI_S6_NSB_4plusIvEENSB_8equal_toIvEES6_EE10hipError_tPvRmT2_T3_T4_T5_mT6_T7_P12ihipStream_tbENKUlT_T0_E_clISt17integral_constantIbLb0EES12_IbLb1EEEEDaSY_SZ_EUlSY_E_NS1_11comp_targetILNS1_3genE0ELNS1_11target_archE4294967295ELNS1_3gpuE0ELNS1_3repE0EEENS1_30default_config_static_selectorELNS0_4arch9wavefront6targetE0EEEvT1_
    .private_segment_fixed_size: 0
    .sgpr_count:     46
    .sgpr_spill_count: 0
    .symbol:         _ZN7rocprim17ROCPRIM_400000_NS6detail17trampoline_kernelINS0_14default_configENS1_27scan_by_key_config_selectorIj11FixedVectorIiLj1EEEEZZNS1_16scan_by_key_implILNS1_25lookback_scan_determinismE0ELb0ES3_N6thrust23THRUST_200600_302600_NS6detail15normal_iteratorINSB_10device_ptrIjEEEENSD_INSE_IS6_EEEESI_S6_NSB_4plusIvEENSB_8equal_toIvEES6_EE10hipError_tPvRmT2_T3_T4_T5_mT6_T7_P12ihipStream_tbENKUlT_T0_E_clISt17integral_constantIbLb0EES12_IbLb1EEEEDaSY_SZ_EUlSY_E_NS1_11comp_targetILNS1_3genE0ELNS1_11target_archE4294967295ELNS1_3gpuE0ELNS1_3repE0EEENS1_30default_config_static_selectorELNS0_4arch9wavefront6targetE0EEEvT1_.kd
    .uniform_work_group_size: 1
    .uses_dynamic_stack: false
    .vgpr_count:     60
    .vgpr_spill_count: 0
    .wavefront_size: 32
  - .args:
      - .offset:         0
        .size:           112
        .value_kind:     by_value
    .group_segment_fixed_size: 0
    .kernarg_segment_align: 8
    .kernarg_segment_size: 112
    .language:       OpenCL C
    .language_version:
      - 2
      - 0
    .max_flat_workgroup_size: 256
    .name:           _ZN7rocprim17ROCPRIM_400000_NS6detail17trampoline_kernelINS0_14default_configENS1_27scan_by_key_config_selectorIj11FixedVectorIiLj1EEEEZZNS1_16scan_by_key_implILNS1_25lookback_scan_determinismE0ELb0ES3_N6thrust23THRUST_200600_302600_NS6detail15normal_iteratorINSB_10device_ptrIjEEEENSD_INSE_IS6_EEEESI_S6_NSB_4plusIvEENSB_8equal_toIvEES6_EE10hipError_tPvRmT2_T3_T4_T5_mT6_T7_P12ihipStream_tbENKUlT_T0_E_clISt17integral_constantIbLb0EES12_IbLb1EEEEDaSY_SZ_EUlSY_E_NS1_11comp_targetILNS1_3genE10ELNS1_11target_archE1201ELNS1_3gpuE5ELNS1_3repE0EEENS1_30default_config_static_selectorELNS0_4arch9wavefront6targetE0EEEvT1_
    .private_segment_fixed_size: 0
    .sgpr_count:     0
    .sgpr_spill_count: 0
    .symbol:         _ZN7rocprim17ROCPRIM_400000_NS6detail17trampoline_kernelINS0_14default_configENS1_27scan_by_key_config_selectorIj11FixedVectorIiLj1EEEEZZNS1_16scan_by_key_implILNS1_25lookback_scan_determinismE0ELb0ES3_N6thrust23THRUST_200600_302600_NS6detail15normal_iteratorINSB_10device_ptrIjEEEENSD_INSE_IS6_EEEESI_S6_NSB_4plusIvEENSB_8equal_toIvEES6_EE10hipError_tPvRmT2_T3_T4_T5_mT6_T7_P12ihipStream_tbENKUlT_T0_E_clISt17integral_constantIbLb0EES12_IbLb1EEEEDaSY_SZ_EUlSY_E_NS1_11comp_targetILNS1_3genE10ELNS1_11target_archE1201ELNS1_3gpuE5ELNS1_3repE0EEENS1_30default_config_static_selectorELNS0_4arch9wavefront6targetE0EEEvT1_.kd
    .uniform_work_group_size: 1
    .uses_dynamic_stack: false
    .vgpr_count:     0
    .vgpr_spill_count: 0
    .wavefront_size: 32
  - .args:
      - .offset:         0
        .size:           112
        .value_kind:     by_value
    .group_segment_fixed_size: 0
    .kernarg_segment_align: 8
    .kernarg_segment_size: 112
    .language:       OpenCL C
    .language_version:
      - 2
      - 0
    .max_flat_workgroup_size: 256
    .name:           _ZN7rocprim17ROCPRIM_400000_NS6detail17trampoline_kernelINS0_14default_configENS1_27scan_by_key_config_selectorIj11FixedVectorIiLj1EEEEZZNS1_16scan_by_key_implILNS1_25lookback_scan_determinismE0ELb0ES3_N6thrust23THRUST_200600_302600_NS6detail15normal_iteratorINSB_10device_ptrIjEEEENSD_INSE_IS6_EEEESI_S6_NSB_4plusIvEENSB_8equal_toIvEES6_EE10hipError_tPvRmT2_T3_T4_T5_mT6_T7_P12ihipStream_tbENKUlT_T0_E_clISt17integral_constantIbLb0EES12_IbLb1EEEEDaSY_SZ_EUlSY_E_NS1_11comp_targetILNS1_3genE5ELNS1_11target_archE942ELNS1_3gpuE9ELNS1_3repE0EEENS1_30default_config_static_selectorELNS0_4arch9wavefront6targetE0EEEvT1_
    .private_segment_fixed_size: 0
    .sgpr_count:     0
    .sgpr_spill_count: 0
    .symbol:         _ZN7rocprim17ROCPRIM_400000_NS6detail17trampoline_kernelINS0_14default_configENS1_27scan_by_key_config_selectorIj11FixedVectorIiLj1EEEEZZNS1_16scan_by_key_implILNS1_25lookback_scan_determinismE0ELb0ES3_N6thrust23THRUST_200600_302600_NS6detail15normal_iteratorINSB_10device_ptrIjEEEENSD_INSE_IS6_EEEESI_S6_NSB_4plusIvEENSB_8equal_toIvEES6_EE10hipError_tPvRmT2_T3_T4_T5_mT6_T7_P12ihipStream_tbENKUlT_T0_E_clISt17integral_constantIbLb0EES12_IbLb1EEEEDaSY_SZ_EUlSY_E_NS1_11comp_targetILNS1_3genE5ELNS1_11target_archE942ELNS1_3gpuE9ELNS1_3repE0EEENS1_30default_config_static_selectorELNS0_4arch9wavefront6targetE0EEEvT1_.kd
    .uniform_work_group_size: 1
    .uses_dynamic_stack: false
    .vgpr_count:     0
    .vgpr_spill_count: 0
    .wavefront_size: 32
  - .args:
      - .offset:         0
        .size:           112
        .value_kind:     by_value
    .group_segment_fixed_size: 0
    .kernarg_segment_align: 8
    .kernarg_segment_size: 112
    .language:       OpenCL C
    .language_version:
      - 2
      - 0
    .max_flat_workgroup_size: 256
    .name:           _ZN7rocprim17ROCPRIM_400000_NS6detail17trampoline_kernelINS0_14default_configENS1_27scan_by_key_config_selectorIj11FixedVectorIiLj1EEEEZZNS1_16scan_by_key_implILNS1_25lookback_scan_determinismE0ELb0ES3_N6thrust23THRUST_200600_302600_NS6detail15normal_iteratorINSB_10device_ptrIjEEEENSD_INSE_IS6_EEEESI_S6_NSB_4plusIvEENSB_8equal_toIvEES6_EE10hipError_tPvRmT2_T3_T4_T5_mT6_T7_P12ihipStream_tbENKUlT_T0_E_clISt17integral_constantIbLb0EES12_IbLb1EEEEDaSY_SZ_EUlSY_E_NS1_11comp_targetILNS1_3genE4ELNS1_11target_archE910ELNS1_3gpuE8ELNS1_3repE0EEENS1_30default_config_static_selectorELNS0_4arch9wavefront6targetE0EEEvT1_
    .private_segment_fixed_size: 0
    .sgpr_count:     0
    .sgpr_spill_count: 0
    .symbol:         _ZN7rocprim17ROCPRIM_400000_NS6detail17trampoline_kernelINS0_14default_configENS1_27scan_by_key_config_selectorIj11FixedVectorIiLj1EEEEZZNS1_16scan_by_key_implILNS1_25lookback_scan_determinismE0ELb0ES3_N6thrust23THRUST_200600_302600_NS6detail15normal_iteratorINSB_10device_ptrIjEEEENSD_INSE_IS6_EEEESI_S6_NSB_4plusIvEENSB_8equal_toIvEES6_EE10hipError_tPvRmT2_T3_T4_T5_mT6_T7_P12ihipStream_tbENKUlT_T0_E_clISt17integral_constantIbLb0EES12_IbLb1EEEEDaSY_SZ_EUlSY_E_NS1_11comp_targetILNS1_3genE4ELNS1_11target_archE910ELNS1_3gpuE8ELNS1_3repE0EEENS1_30default_config_static_selectorELNS0_4arch9wavefront6targetE0EEEvT1_.kd
    .uniform_work_group_size: 1
    .uses_dynamic_stack: false
    .vgpr_count:     0
    .vgpr_spill_count: 0
    .wavefront_size: 32
  - .args:
      - .offset:         0
        .size:           112
        .value_kind:     by_value
    .group_segment_fixed_size: 0
    .kernarg_segment_align: 8
    .kernarg_segment_size: 112
    .language:       OpenCL C
    .language_version:
      - 2
      - 0
    .max_flat_workgroup_size: 256
    .name:           _ZN7rocprim17ROCPRIM_400000_NS6detail17trampoline_kernelINS0_14default_configENS1_27scan_by_key_config_selectorIj11FixedVectorIiLj1EEEEZZNS1_16scan_by_key_implILNS1_25lookback_scan_determinismE0ELb0ES3_N6thrust23THRUST_200600_302600_NS6detail15normal_iteratorINSB_10device_ptrIjEEEENSD_INSE_IS6_EEEESI_S6_NSB_4plusIvEENSB_8equal_toIvEES6_EE10hipError_tPvRmT2_T3_T4_T5_mT6_T7_P12ihipStream_tbENKUlT_T0_E_clISt17integral_constantIbLb0EES12_IbLb1EEEEDaSY_SZ_EUlSY_E_NS1_11comp_targetILNS1_3genE3ELNS1_11target_archE908ELNS1_3gpuE7ELNS1_3repE0EEENS1_30default_config_static_selectorELNS0_4arch9wavefront6targetE0EEEvT1_
    .private_segment_fixed_size: 0
    .sgpr_count:     0
    .sgpr_spill_count: 0
    .symbol:         _ZN7rocprim17ROCPRIM_400000_NS6detail17trampoline_kernelINS0_14default_configENS1_27scan_by_key_config_selectorIj11FixedVectorIiLj1EEEEZZNS1_16scan_by_key_implILNS1_25lookback_scan_determinismE0ELb0ES3_N6thrust23THRUST_200600_302600_NS6detail15normal_iteratorINSB_10device_ptrIjEEEENSD_INSE_IS6_EEEESI_S6_NSB_4plusIvEENSB_8equal_toIvEES6_EE10hipError_tPvRmT2_T3_T4_T5_mT6_T7_P12ihipStream_tbENKUlT_T0_E_clISt17integral_constantIbLb0EES12_IbLb1EEEEDaSY_SZ_EUlSY_E_NS1_11comp_targetILNS1_3genE3ELNS1_11target_archE908ELNS1_3gpuE7ELNS1_3repE0EEENS1_30default_config_static_selectorELNS0_4arch9wavefront6targetE0EEEvT1_.kd
    .uniform_work_group_size: 1
    .uses_dynamic_stack: false
    .vgpr_count:     0
    .vgpr_spill_count: 0
    .wavefront_size: 32
  - .args:
      - .offset:         0
        .size:           112
        .value_kind:     by_value
    .group_segment_fixed_size: 0
    .kernarg_segment_align: 8
    .kernarg_segment_size: 112
    .language:       OpenCL C
    .language_version:
      - 2
      - 0
    .max_flat_workgroup_size: 256
    .name:           _ZN7rocprim17ROCPRIM_400000_NS6detail17trampoline_kernelINS0_14default_configENS1_27scan_by_key_config_selectorIj11FixedVectorIiLj1EEEEZZNS1_16scan_by_key_implILNS1_25lookback_scan_determinismE0ELb0ES3_N6thrust23THRUST_200600_302600_NS6detail15normal_iteratorINSB_10device_ptrIjEEEENSD_INSE_IS6_EEEESI_S6_NSB_4plusIvEENSB_8equal_toIvEES6_EE10hipError_tPvRmT2_T3_T4_T5_mT6_T7_P12ihipStream_tbENKUlT_T0_E_clISt17integral_constantIbLb0EES12_IbLb1EEEEDaSY_SZ_EUlSY_E_NS1_11comp_targetILNS1_3genE2ELNS1_11target_archE906ELNS1_3gpuE6ELNS1_3repE0EEENS1_30default_config_static_selectorELNS0_4arch9wavefront6targetE0EEEvT1_
    .private_segment_fixed_size: 0
    .sgpr_count:     0
    .sgpr_spill_count: 0
    .symbol:         _ZN7rocprim17ROCPRIM_400000_NS6detail17trampoline_kernelINS0_14default_configENS1_27scan_by_key_config_selectorIj11FixedVectorIiLj1EEEEZZNS1_16scan_by_key_implILNS1_25lookback_scan_determinismE0ELb0ES3_N6thrust23THRUST_200600_302600_NS6detail15normal_iteratorINSB_10device_ptrIjEEEENSD_INSE_IS6_EEEESI_S6_NSB_4plusIvEENSB_8equal_toIvEES6_EE10hipError_tPvRmT2_T3_T4_T5_mT6_T7_P12ihipStream_tbENKUlT_T0_E_clISt17integral_constantIbLb0EES12_IbLb1EEEEDaSY_SZ_EUlSY_E_NS1_11comp_targetILNS1_3genE2ELNS1_11target_archE906ELNS1_3gpuE6ELNS1_3repE0EEENS1_30default_config_static_selectorELNS0_4arch9wavefront6targetE0EEEvT1_.kd
    .uniform_work_group_size: 1
    .uses_dynamic_stack: false
    .vgpr_count:     0
    .vgpr_spill_count: 0
    .wavefront_size: 32
  - .args:
      - .offset:         0
        .size:           112
        .value_kind:     by_value
    .group_segment_fixed_size: 0
    .kernarg_segment_align: 8
    .kernarg_segment_size: 112
    .language:       OpenCL C
    .language_version:
      - 2
      - 0
    .max_flat_workgroup_size: 256
    .name:           _ZN7rocprim17ROCPRIM_400000_NS6detail17trampoline_kernelINS0_14default_configENS1_27scan_by_key_config_selectorIj11FixedVectorIiLj1EEEEZZNS1_16scan_by_key_implILNS1_25lookback_scan_determinismE0ELb0ES3_N6thrust23THRUST_200600_302600_NS6detail15normal_iteratorINSB_10device_ptrIjEEEENSD_INSE_IS6_EEEESI_S6_NSB_4plusIvEENSB_8equal_toIvEES6_EE10hipError_tPvRmT2_T3_T4_T5_mT6_T7_P12ihipStream_tbENKUlT_T0_E_clISt17integral_constantIbLb0EES12_IbLb1EEEEDaSY_SZ_EUlSY_E_NS1_11comp_targetILNS1_3genE10ELNS1_11target_archE1200ELNS1_3gpuE4ELNS1_3repE0EEENS1_30default_config_static_selectorELNS0_4arch9wavefront6targetE0EEEvT1_
    .private_segment_fixed_size: 0
    .sgpr_count:     0
    .sgpr_spill_count: 0
    .symbol:         _ZN7rocprim17ROCPRIM_400000_NS6detail17trampoline_kernelINS0_14default_configENS1_27scan_by_key_config_selectorIj11FixedVectorIiLj1EEEEZZNS1_16scan_by_key_implILNS1_25lookback_scan_determinismE0ELb0ES3_N6thrust23THRUST_200600_302600_NS6detail15normal_iteratorINSB_10device_ptrIjEEEENSD_INSE_IS6_EEEESI_S6_NSB_4plusIvEENSB_8equal_toIvEES6_EE10hipError_tPvRmT2_T3_T4_T5_mT6_T7_P12ihipStream_tbENKUlT_T0_E_clISt17integral_constantIbLb0EES12_IbLb1EEEEDaSY_SZ_EUlSY_E_NS1_11comp_targetILNS1_3genE10ELNS1_11target_archE1200ELNS1_3gpuE4ELNS1_3repE0EEENS1_30default_config_static_selectorELNS0_4arch9wavefront6targetE0EEEvT1_.kd
    .uniform_work_group_size: 1
    .uses_dynamic_stack: false
    .vgpr_count:     0
    .vgpr_spill_count: 0
    .wavefront_size: 32
  - .args:
      - .offset:         0
        .size:           112
        .value_kind:     by_value
    .group_segment_fixed_size: 0
    .kernarg_segment_align: 8
    .kernarg_segment_size: 112
    .language:       OpenCL C
    .language_version:
      - 2
      - 0
    .max_flat_workgroup_size: 256
    .name:           _ZN7rocprim17ROCPRIM_400000_NS6detail17trampoline_kernelINS0_14default_configENS1_27scan_by_key_config_selectorIj11FixedVectorIiLj1EEEEZZNS1_16scan_by_key_implILNS1_25lookback_scan_determinismE0ELb0ES3_N6thrust23THRUST_200600_302600_NS6detail15normal_iteratorINSB_10device_ptrIjEEEENSD_INSE_IS6_EEEESI_S6_NSB_4plusIvEENSB_8equal_toIvEES6_EE10hipError_tPvRmT2_T3_T4_T5_mT6_T7_P12ihipStream_tbENKUlT_T0_E_clISt17integral_constantIbLb0EES12_IbLb1EEEEDaSY_SZ_EUlSY_E_NS1_11comp_targetILNS1_3genE9ELNS1_11target_archE1100ELNS1_3gpuE3ELNS1_3repE0EEENS1_30default_config_static_selectorELNS0_4arch9wavefront6targetE0EEEvT1_
    .private_segment_fixed_size: 0
    .sgpr_count:     0
    .sgpr_spill_count: 0
    .symbol:         _ZN7rocprim17ROCPRIM_400000_NS6detail17trampoline_kernelINS0_14default_configENS1_27scan_by_key_config_selectorIj11FixedVectorIiLj1EEEEZZNS1_16scan_by_key_implILNS1_25lookback_scan_determinismE0ELb0ES3_N6thrust23THRUST_200600_302600_NS6detail15normal_iteratorINSB_10device_ptrIjEEEENSD_INSE_IS6_EEEESI_S6_NSB_4plusIvEENSB_8equal_toIvEES6_EE10hipError_tPvRmT2_T3_T4_T5_mT6_T7_P12ihipStream_tbENKUlT_T0_E_clISt17integral_constantIbLb0EES12_IbLb1EEEEDaSY_SZ_EUlSY_E_NS1_11comp_targetILNS1_3genE9ELNS1_11target_archE1100ELNS1_3gpuE3ELNS1_3repE0EEENS1_30default_config_static_selectorELNS0_4arch9wavefront6targetE0EEEvT1_.kd
    .uniform_work_group_size: 1
    .uses_dynamic_stack: false
    .vgpr_count:     0
    .vgpr_spill_count: 0
    .wavefront_size: 32
  - .args:
      - .offset:         0
        .size:           112
        .value_kind:     by_value
    .group_segment_fixed_size: 0
    .kernarg_segment_align: 8
    .kernarg_segment_size: 112
    .language:       OpenCL C
    .language_version:
      - 2
      - 0
    .max_flat_workgroup_size: 256
    .name:           _ZN7rocprim17ROCPRIM_400000_NS6detail17trampoline_kernelINS0_14default_configENS1_27scan_by_key_config_selectorIj11FixedVectorIiLj1EEEEZZNS1_16scan_by_key_implILNS1_25lookback_scan_determinismE0ELb0ES3_N6thrust23THRUST_200600_302600_NS6detail15normal_iteratorINSB_10device_ptrIjEEEENSD_INSE_IS6_EEEESI_S6_NSB_4plusIvEENSB_8equal_toIvEES6_EE10hipError_tPvRmT2_T3_T4_T5_mT6_T7_P12ihipStream_tbENKUlT_T0_E_clISt17integral_constantIbLb0EES12_IbLb1EEEEDaSY_SZ_EUlSY_E_NS1_11comp_targetILNS1_3genE8ELNS1_11target_archE1030ELNS1_3gpuE2ELNS1_3repE0EEENS1_30default_config_static_selectorELNS0_4arch9wavefront6targetE0EEEvT1_
    .private_segment_fixed_size: 0
    .sgpr_count:     0
    .sgpr_spill_count: 0
    .symbol:         _ZN7rocprim17ROCPRIM_400000_NS6detail17trampoline_kernelINS0_14default_configENS1_27scan_by_key_config_selectorIj11FixedVectorIiLj1EEEEZZNS1_16scan_by_key_implILNS1_25lookback_scan_determinismE0ELb0ES3_N6thrust23THRUST_200600_302600_NS6detail15normal_iteratorINSB_10device_ptrIjEEEENSD_INSE_IS6_EEEESI_S6_NSB_4plusIvEENSB_8equal_toIvEES6_EE10hipError_tPvRmT2_T3_T4_T5_mT6_T7_P12ihipStream_tbENKUlT_T0_E_clISt17integral_constantIbLb0EES12_IbLb1EEEEDaSY_SZ_EUlSY_E_NS1_11comp_targetILNS1_3genE8ELNS1_11target_archE1030ELNS1_3gpuE2ELNS1_3repE0EEENS1_30default_config_static_selectorELNS0_4arch9wavefront6targetE0EEEvT1_.kd
    .uniform_work_group_size: 1
    .uses_dynamic_stack: false
    .vgpr_count:     0
    .vgpr_spill_count: 0
    .wavefront_size: 32
  - .args:
      - .offset:         0
        .size:           112
        .value_kind:     by_value
    .group_segment_fixed_size: 14336
    .kernarg_segment_align: 8
    .kernarg_segment_size: 112
    .language:       OpenCL C
    .language_version:
      - 2
      - 0
    .max_flat_workgroup_size: 256
    .name:           _ZN7rocprim17ROCPRIM_400000_NS6detail17trampoline_kernelINS0_14default_configENS1_27scan_by_key_config_selectorIj11FixedVectorIiLj1EEEEZZNS1_16scan_by_key_implILNS1_25lookback_scan_determinismE0ELb1ES3_N6thrust23THRUST_200600_302600_NS6detail15normal_iteratorINSB_10device_ptrIjEEEENSD_INSE_IS6_EEEESI_S6_NSB_4plusIvEENSB_8equal_toIvEES6_EE10hipError_tPvRmT2_T3_T4_T5_mT6_T7_P12ihipStream_tbENKUlT_T0_E_clISt17integral_constantIbLb0EES13_EEDaSY_SZ_EUlSY_E_NS1_11comp_targetILNS1_3genE0ELNS1_11target_archE4294967295ELNS1_3gpuE0ELNS1_3repE0EEENS1_30default_config_static_selectorELNS0_4arch9wavefront6targetE0EEEvT1_
    .private_segment_fixed_size: 0
    .sgpr_count:     39
    .sgpr_spill_count: 0
    .symbol:         _ZN7rocprim17ROCPRIM_400000_NS6detail17trampoline_kernelINS0_14default_configENS1_27scan_by_key_config_selectorIj11FixedVectorIiLj1EEEEZZNS1_16scan_by_key_implILNS1_25lookback_scan_determinismE0ELb1ES3_N6thrust23THRUST_200600_302600_NS6detail15normal_iteratorINSB_10device_ptrIjEEEENSD_INSE_IS6_EEEESI_S6_NSB_4plusIvEENSB_8equal_toIvEES6_EE10hipError_tPvRmT2_T3_T4_T5_mT6_T7_P12ihipStream_tbENKUlT_T0_E_clISt17integral_constantIbLb0EES13_EEDaSY_SZ_EUlSY_E_NS1_11comp_targetILNS1_3genE0ELNS1_11target_archE4294967295ELNS1_3gpuE0ELNS1_3repE0EEENS1_30default_config_static_selectorELNS0_4arch9wavefront6targetE0EEEvT1_.kd
    .uniform_work_group_size: 1
    .uses_dynamic_stack: false
    .vgpr_count:     62
    .vgpr_spill_count: 0
    .wavefront_size: 32
  - .args:
      - .offset:         0
        .size:           112
        .value_kind:     by_value
    .group_segment_fixed_size: 0
    .kernarg_segment_align: 8
    .kernarg_segment_size: 112
    .language:       OpenCL C
    .language_version:
      - 2
      - 0
    .max_flat_workgroup_size: 256
    .name:           _ZN7rocprim17ROCPRIM_400000_NS6detail17trampoline_kernelINS0_14default_configENS1_27scan_by_key_config_selectorIj11FixedVectorIiLj1EEEEZZNS1_16scan_by_key_implILNS1_25lookback_scan_determinismE0ELb1ES3_N6thrust23THRUST_200600_302600_NS6detail15normal_iteratorINSB_10device_ptrIjEEEENSD_INSE_IS6_EEEESI_S6_NSB_4plusIvEENSB_8equal_toIvEES6_EE10hipError_tPvRmT2_T3_T4_T5_mT6_T7_P12ihipStream_tbENKUlT_T0_E_clISt17integral_constantIbLb0EES13_EEDaSY_SZ_EUlSY_E_NS1_11comp_targetILNS1_3genE10ELNS1_11target_archE1201ELNS1_3gpuE5ELNS1_3repE0EEENS1_30default_config_static_selectorELNS0_4arch9wavefront6targetE0EEEvT1_
    .private_segment_fixed_size: 0
    .sgpr_count:     0
    .sgpr_spill_count: 0
    .symbol:         _ZN7rocprim17ROCPRIM_400000_NS6detail17trampoline_kernelINS0_14default_configENS1_27scan_by_key_config_selectorIj11FixedVectorIiLj1EEEEZZNS1_16scan_by_key_implILNS1_25lookback_scan_determinismE0ELb1ES3_N6thrust23THRUST_200600_302600_NS6detail15normal_iteratorINSB_10device_ptrIjEEEENSD_INSE_IS6_EEEESI_S6_NSB_4plusIvEENSB_8equal_toIvEES6_EE10hipError_tPvRmT2_T3_T4_T5_mT6_T7_P12ihipStream_tbENKUlT_T0_E_clISt17integral_constantIbLb0EES13_EEDaSY_SZ_EUlSY_E_NS1_11comp_targetILNS1_3genE10ELNS1_11target_archE1201ELNS1_3gpuE5ELNS1_3repE0EEENS1_30default_config_static_selectorELNS0_4arch9wavefront6targetE0EEEvT1_.kd
    .uniform_work_group_size: 1
    .uses_dynamic_stack: false
    .vgpr_count:     0
    .vgpr_spill_count: 0
    .wavefront_size: 32
  - .args:
      - .offset:         0
        .size:           112
        .value_kind:     by_value
    .group_segment_fixed_size: 0
    .kernarg_segment_align: 8
    .kernarg_segment_size: 112
    .language:       OpenCL C
    .language_version:
      - 2
      - 0
    .max_flat_workgroup_size: 256
    .name:           _ZN7rocprim17ROCPRIM_400000_NS6detail17trampoline_kernelINS0_14default_configENS1_27scan_by_key_config_selectorIj11FixedVectorIiLj1EEEEZZNS1_16scan_by_key_implILNS1_25lookback_scan_determinismE0ELb1ES3_N6thrust23THRUST_200600_302600_NS6detail15normal_iteratorINSB_10device_ptrIjEEEENSD_INSE_IS6_EEEESI_S6_NSB_4plusIvEENSB_8equal_toIvEES6_EE10hipError_tPvRmT2_T3_T4_T5_mT6_T7_P12ihipStream_tbENKUlT_T0_E_clISt17integral_constantIbLb0EES13_EEDaSY_SZ_EUlSY_E_NS1_11comp_targetILNS1_3genE5ELNS1_11target_archE942ELNS1_3gpuE9ELNS1_3repE0EEENS1_30default_config_static_selectorELNS0_4arch9wavefront6targetE0EEEvT1_
    .private_segment_fixed_size: 0
    .sgpr_count:     0
    .sgpr_spill_count: 0
    .symbol:         _ZN7rocprim17ROCPRIM_400000_NS6detail17trampoline_kernelINS0_14default_configENS1_27scan_by_key_config_selectorIj11FixedVectorIiLj1EEEEZZNS1_16scan_by_key_implILNS1_25lookback_scan_determinismE0ELb1ES3_N6thrust23THRUST_200600_302600_NS6detail15normal_iteratorINSB_10device_ptrIjEEEENSD_INSE_IS6_EEEESI_S6_NSB_4plusIvEENSB_8equal_toIvEES6_EE10hipError_tPvRmT2_T3_T4_T5_mT6_T7_P12ihipStream_tbENKUlT_T0_E_clISt17integral_constantIbLb0EES13_EEDaSY_SZ_EUlSY_E_NS1_11comp_targetILNS1_3genE5ELNS1_11target_archE942ELNS1_3gpuE9ELNS1_3repE0EEENS1_30default_config_static_selectorELNS0_4arch9wavefront6targetE0EEEvT1_.kd
    .uniform_work_group_size: 1
    .uses_dynamic_stack: false
    .vgpr_count:     0
    .vgpr_spill_count: 0
    .wavefront_size: 32
  - .args:
      - .offset:         0
        .size:           112
        .value_kind:     by_value
    .group_segment_fixed_size: 0
    .kernarg_segment_align: 8
    .kernarg_segment_size: 112
    .language:       OpenCL C
    .language_version:
      - 2
      - 0
    .max_flat_workgroup_size: 256
    .name:           _ZN7rocprim17ROCPRIM_400000_NS6detail17trampoline_kernelINS0_14default_configENS1_27scan_by_key_config_selectorIj11FixedVectorIiLj1EEEEZZNS1_16scan_by_key_implILNS1_25lookback_scan_determinismE0ELb1ES3_N6thrust23THRUST_200600_302600_NS6detail15normal_iteratorINSB_10device_ptrIjEEEENSD_INSE_IS6_EEEESI_S6_NSB_4plusIvEENSB_8equal_toIvEES6_EE10hipError_tPvRmT2_T3_T4_T5_mT6_T7_P12ihipStream_tbENKUlT_T0_E_clISt17integral_constantIbLb0EES13_EEDaSY_SZ_EUlSY_E_NS1_11comp_targetILNS1_3genE4ELNS1_11target_archE910ELNS1_3gpuE8ELNS1_3repE0EEENS1_30default_config_static_selectorELNS0_4arch9wavefront6targetE0EEEvT1_
    .private_segment_fixed_size: 0
    .sgpr_count:     0
    .sgpr_spill_count: 0
    .symbol:         _ZN7rocprim17ROCPRIM_400000_NS6detail17trampoline_kernelINS0_14default_configENS1_27scan_by_key_config_selectorIj11FixedVectorIiLj1EEEEZZNS1_16scan_by_key_implILNS1_25lookback_scan_determinismE0ELb1ES3_N6thrust23THRUST_200600_302600_NS6detail15normal_iteratorINSB_10device_ptrIjEEEENSD_INSE_IS6_EEEESI_S6_NSB_4plusIvEENSB_8equal_toIvEES6_EE10hipError_tPvRmT2_T3_T4_T5_mT6_T7_P12ihipStream_tbENKUlT_T0_E_clISt17integral_constantIbLb0EES13_EEDaSY_SZ_EUlSY_E_NS1_11comp_targetILNS1_3genE4ELNS1_11target_archE910ELNS1_3gpuE8ELNS1_3repE0EEENS1_30default_config_static_selectorELNS0_4arch9wavefront6targetE0EEEvT1_.kd
    .uniform_work_group_size: 1
    .uses_dynamic_stack: false
    .vgpr_count:     0
    .vgpr_spill_count: 0
    .wavefront_size: 32
  - .args:
      - .offset:         0
        .size:           112
        .value_kind:     by_value
    .group_segment_fixed_size: 0
    .kernarg_segment_align: 8
    .kernarg_segment_size: 112
    .language:       OpenCL C
    .language_version:
      - 2
      - 0
    .max_flat_workgroup_size: 256
    .name:           _ZN7rocprim17ROCPRIM_400000_NS6detail17trampoline_kernelINS0_14default_configENS1_27scan_by_key_config_selectorIj11FixedVectorIiLj1EEEEZZNS1_16scan_by_key_implILNS1_25lookback_scan_determinismE0ELb1ES3_N6thrust23THRUST_200600_302600_NS6detail15normal_iteratorINSB_10device_ptrIjEEEENSD_INSE_IS6_EEEESI_S6_NSB_4plusIvEENSB_8equal_toIvEES6_EE10hipError_tPvRmT2_T3_T4_T5_mT6_T7_P12ihipStream_tbENKUlT_T0_E_clISt17integral_constantIbLb0EES13_EEDaSY_SZ_EUlSY_E_NS1_11comp_targetILNS1_3genE3ELNS1_11target_archE908ELNS1_3gpuE7ELNS1_3repE0EEENS1_30default_config_static_selectorELNS0_4arch9wavefront6targetE0EEEvT1_
    .private_segment_fixed_size: 0
    .sgpr_count:     0
    .sgpr_spill_count: 0
    .symbol:         _ZN7rocprim17ROCPRIM_400000_NS6detail17trampoline_kernelINS0_14default_configENS1_27scan_by_key_config_selectorIj11FixedVectorIiLj1EEEEZZNS1_16scan_by_key_implILNS1_25lookback_scan_determinismE0ELb1ES3_N6thrust23THRUST_200600_302600_NS6detail15normal_iteratorINSB_10device_ptrIjEEEENSD_INSE_IS6_EEEESI_S6_NSB_4plusIvEENSB_8equal_toIvEES6_EE10hipError_tPvRmT2_T3_T4_T5_mT6_T7_P12ihipStream_tbENKUlT_T0_E_clISt17integral_constantIbLb0EES13_EEDaSY_SZ_EUlSY_E_NS1_11comp_targetILNS1_3genE3ELNS1_11target_archE908ELNS1_3gpuE7ELNS1_3repE0EEENS1_30default_config_static_selectorELNS0_4arch9wavefront6targetE0EEEvT1_.kd
    .uniform_work_group_size: 1
    .uses_dynamic_stack: false
    .vgpr_count:     0
    .vgpr_spill_count: 0
    .wavefront_size: 32
  - .args:
      - .offset:         0
        .size:           112
        .value_kind:     by_value
    .group_segment_fixed_size: 0
    .kernarg_segment_align: 8
    .kernarg_segment_size: 112
    .language:       OpenCL C
    .language_version:
      - 2
      - 0
    .max_flat_workgroup_size: 256
    .name:           _ZN7rocprim17ROCPRIM_400000_NS6detail17trampoline_kernelINS0_14default_configENS1_27scan_by_key_config_selectorIj11FixedVectorIiLj1EEEEZZNS1_16scan_by_key_implILNS1_25lookback_scan_determinismE0ELb1ES3_N6thrust23THRUST_200600_302600_NS6detail15normal_iteratorINSB_10device_ptrIjEEEENSD_INSE_IS6_EEEESI_S6_NSB_4plusIvEENSB_8equal_toIvEES6_EE10hipError_tPvRmT2_T3_T4_T5_mT6_T7_P12ihipStream_tbENKUlT_T0_E_clISt17integral_constantIbLb0EES13_EEDaSY_SZ_EUlSY_E_NS1_11comp_targetILNS1_3genE2ELNS1_11target_archE906ELNS1_3gpuE6ELNS1_3repE0EEENS1_30default_config_static_selectorELNS0_4arch9wavefront6targetE0EEEvT1_
    .private_segment_fixed_size: 0
    .sgpr_count:     0
    .sgpr_spill_count: 0
    .symbol:         _ZN7rocprim17ROCPRIM_400000_NS6detail17trampoline_kernelINS0_14default_configENS1_27scan_by_key_config_selectorIj11FixedVectorIiLj1EEEEZZNS1_16scan_by_key_implILNS1_25lookback_scan_determinismE0ELb1ES3_N6thrust23THRUST_200600_302600_NS6detail15normal_iteratorINSB_10device_ptrIjEEEENSD_INSE_IS6_EEEESI_S6_NSB_4plusIvEENSB_8equal_toIvEES6_EE10hipError_tPvRmT2_T3_T4_T5_mT6_T7_P12ihipStream_tbENKUlT_T0_E_clISt17integral_constantIbLb0EES13_EEDaSY_SZ_EUlSY_E_NS1_11comp_targetILNS1_3genE2ELNS1_11target_archE906ELNS1_3gpuE6ELNS1_3repE0EEENS1_30default_config_static_selectorELNS0_4arch9wavefront6targetE0EEEvT1_.kd
    .uniform_work_group_size: 1
    .uses_dynamic_stack: false
    .vgpr_count:     0
    .vgpr_spill_count: 0
    .wavefront_size: 32
  - .args:
      - .offset:         0
        .size:           112
        .value_kind:     by_value
    .group_segment_fixed_size: 0
    .kernarg_segment_align: 8
    .kernarg_segment_size: 112
    .language:       OpenCL C
    .language_version:
      - 2
      - 0
    .max_flat_workgroup_size: 256
    .name:           _ZN7rocprim17ROCPRIM_400000_NS6detail17trampoline_kernelINS0_14default_configENS1_27scan_by_key_config_selectorIj11FixedVectorIiLj1EEEEZZNS1_16scan_by_key_implILNS1_25lookback_scan_determinismE0ELb1ES3_N6thrust23THRUST_200600_302600_NS6detail15normal_iteratorINSB_10device_ptrIjEEEENSD_INSE_IS6_EEEESI_S6_NSB_4plusIvEENSB_8equal_toIvEES6_EE10hipError_tPvRmT2_T3_T4_T5_mT6_T7_P12ihipStream_tbENKUlT_T0_E_clISt17integral_constantIbLb0EES13_EEDaSY_SZ_EUlSY_E_NS1_11comp_targetILNS1_3genE10ELNS1_11target_archE1200ELNS1_3gpuE4ELNS1_3repE0EEENS1_30default_config_static_selectorELNS0_4arch9wavefront6targetE0EEEvT1_
    .private_segment_fixed_size: 0
    .sgpr_count:     0
    .sgpr_spill_count: 0
    .symbol:         _ZN7rocprim17ROCPRIM_400000_NS6detail17trampoline_kernelINS0_14default_configENS1_27scan_by_key_config_selectorIj11FixedVectorIiLj1EEEEZZNS1_16scan_by_key_implILNS1_25lookback_scan_determinismE0ELb1ES3_N6thrust23THRUST_200600_302600_NS6detail15normal_iteratorINSB_10device_ptrIjEEEENSD_INSE_IS6_EEEESI_S6_NSB_4plusIvEENSB_8equal_toIvEES6_EE10hipError_tPvRmT2_T3_T4_T5_mT6_T7_P12ihipStream_tbENKUlT_T0_E_clISt17integral_constantIbLb0EES13_EEDaSY_SZ_EUlSY_E_NS1_11comp_targetILNS1_3genE10ELNS1_11target_archE1200ELNS1_3gpuE4ELNS1_3repE0EEENS1_30default_config_static_selectorELNS0_4arch9wavefront6targetE0EEEvT1_.kd
    .uniform_work_group_size: 1
    .uses_dynamic_stack: false
    .vgpr_count:     0
    .vgpr_spill_count: 0
    .wavefront_size: 32
  - .args:
      - .offset:         0
        .size:           112
        .value_kind:     by_value
    .group_segment_fixed_size: 0
    .kernarg_segment_align: 8
    .kernarg_segment_size: 112
    .language:       OpenCL C
    .language_version:
      - 2
      - 0
    .max_flat_workgroup_size: 256
    .name:           _ZN7rocprim17ROCPRIM_400000_NS6detail17trampoline_kernelINS0_14default_configENS1_27scan_by_key_config_selectorIj11FixedVectorIiLj1EEEEZZNS1_16scan_by_key_implILNS1_25lookback_scan_determinismE0ELb1ES3_N6thrust23THRUST_200600_302600_NS6detail15normal_iteratorINSB_10device_ptrIjEEEENSD_INSE_IS6_EEEESI_S6_NSB_4plusIvEENSB_8equal_toIvEES6_EE10hipError_tPvRmT2_T3_T4_T5_mT6_T7_P12ihipStream_tbENKUlT_T0_E_clISt17integral_constantIbLb0EES13_EEDaSY_SZ_EUlSY_E_NS1_11comp_targetILNS1_3genE9ELNS1_11target_archE1100ELNS1_3gpuE3ELNS1_3repE0EEENS1_30default_config_static_selectorELNS0_4arch9wavefront6targetE0EEEvT1_
    .private_segment_fixed_size: 0
    .sgpr_count:     0
    .sgpr_spill_count: 0
    .symbol:         _ZN7rocprim17ROCPRIM_400000_NS6detail17trampoline_kernelINS0_14default_configENS1_27scan_by_key_config_selectorIj11FixedVectorIiLj1EEEEZZNS1_16scan_by_key_implILNS1_25lookback_scan_determinismE0ELb1ES3_N6thrust23THRUST_200600_302600_NS6detail15normal_iteratorINSB_10device_ptrIjEEEENSD_INSE_IS6_EEEESI_S6_NSB_4plusIvEENSB_8equal_toIvEES6_EE10hipError_tPvRmT2_T3_T4_T5_mT6_T7_P12ihipStream_tbENKUlT_T0_E_clISt17integral_constantIbLb0EES13_EEDaSY_SZ_EUlSY_E_NS1_11comp_targetILNS1_3genE9ELNS1_11target_archE1100ELNS1_3gpuE3ELNS1_3repE0EEENS1_30default_config_static_selectorELNS0_4arch9wavefront6targetE0EEEvT1_.kd
    .uniform_work_group_size: 1
    .uses_dynamic_stack: false
    .vgpr_count:     0
    .vgpr_spill_count: 0
    .wavefront_size: 32
  - .args:
      - .offset:         0
        .size:           112
        .value_kind:     by_value
    .group_segment_fixed_size: 0
    .kernarg_segment_align: 8
    .kernarg_segment_size: 112
    .language:       OpenCL C
    .language_version:
      - 2
      - 0
    .max_flat_workgroup_size: 256
    .name:           _ZN7rocprim17ROCPRIM_400000_NS6detail17trampoline_kernelINS0_14default_configENS1_27scan_by_key_config_selectorIj11FixedVectorIiLj1EEEEZZNS1_16scan_by_key_implILNS1_25lookback_scan_determinismE0ELb1ES3_N6thrust23THRUST_200600_302600_NS6detail15normal_iteratorINSB_10device_ptrIjEEEENSD_INSE_IS6_EEEESI_S6_NSB_4plusIvEENSB_8equal_toIvEES6_EE10hipError_tPvRmT2_T3_T4_T5_mT6_T7_P12ihipStream_tbENKUlT_T0_E_clISt17integral_constantIbLb0EES13_EEDaSY_SZ_EUlSY_E_NS1_11comp_targetILNS1_3genE8ELNS1_11target_archE1030ELNS1_3gpuE2ELNS1_3repE0EEENS1_30default_config_static_selectorELNS0_4arch9wavefront6targetE0EEEvT1_
    .private_segment_fixed_size: 0
    .sgpr_count:     0
    .sgpr_spill_count: 0
    .symbol:         _ZN7rocprim17ROCPRIM_400000_NS6detail17trampoline_kernelINS0_14default_configENS1_27scan_by_key_config_selectorIj11FixedVectorIiLj1EEEEZZNS1_16scan_by_key_implILNS1_25lookback_scan_determinismE0ELb1ES3_N6thrust23THRUST_200600_302600_NS6detail15normal_iteratorINSB_10device_ptrIjEEEENSD_INSE_IS6_EEEESI_S6_NSB_4plusIvEENSB_8equal_toIvEES6_EE10hipError_tPvRmT2_T3_T4_T5_mT6_T7_P12ihipStream_tbENKUlT_T0_E_clISt17integral_constantIbLb0EES13_EEDaSY_SZ_EUlSY_E_NS1_11comp_targetILNS1_3genE8ELNS1_11target_archE1030ELNS1_3gpuE2ELNS1_3repE0EEENS1_30default_config_static_selectorELNS0_4arch9wavefront6targetE0EEEvT1_.kd
    .uniform_work_group_size: 1
    .uses_dynamic_stack: false
    .vgpr_count:     0
    .vgpr_spill_count: 0
    .wavefront_size: 32
  - .args:
      - .offset:         0
        .size:           112
        .value_kind:     by_value
    .group_segment_fixed_size: 0
    .kernarg_segment_align: 8
    .kernarg_segment_size: 112
    .language:       OpenCL C
    .language_version:
      - 2
      - 0
    .max_flat_workgroup_size: 256
    .name:           _ZN7rocprim17ROCPRIM_400000_NS6detail17trampoline_kernelINS0_14default_configENS1_27scan_by_key_config_selectorIj11FixedVectorIiLj1EEEEZZNS1_16scan_by_key_implILNS1_25lookback_scan_determinismE0ELb1ES3_N6thrust23THRUST_200600_302600_NS6detail15normal_iteratorINSB_10device_ptrIjEEEENSD_INSE_IS6_EEEESI_S6_NSB_4plusIvEENSB_8equal_toIvEES6_EE10hipError_tPvRmT2_T3_T4_T5_mT6_T7_P12ihipStream_tbENKUlT_T0_E_clISt17integral_constantIbLb1EES13_EEDaSY_SZ_EUlSY_E_NS1_11comp_targetILNS1_3genE0ELNS1_11target_archE4294967295ELNS1_3gpuE0ELNS1_3repE0EEENS1_30default_config_static_selectorELNS0_4arch9wavefront6targetE0EEEvT1_
    .private_segment_fixed_size: 0
    .sgpr_count:     0
    .sgpr_spill_count: 0
    .symbol:         _ZN7rocprim17ROCPRIM_400000_NS6detail17trampoline_kernelINS0_14default_configENS1_27scan_by_key_config_selectorIj11FixedVectorIiLj1EEEEZZNS1_16scan_by_key_implILNS1_25lookback_scan_determinismE0ELb1ES3_N6thrust23THRUST_200600_302600_NS6detail15normal_iteratorINSB_10device_ptrIjEEEENSD_INSE_IS6_EEEESI_S6_NSB_4plusIvEENSB_8equal_toIvEES6_EE10hipError_tPvRmT2_T3_T4_T5_mT6_T7_P12ihipStream_tbENKUlT_T0_E_clISt17integral_constantIbLb1EES13_EEDaSY_SZ_EUlSY_E_NS1_11comp_targetILNS1_3genE0ELNS1_11target_archE4294967295ELNS1_3gpuE0ELNS1_3repE0EEENS1_30default_config_static_selectorELNS0_4arch9wavefront6targetE0EEEvT1_.kd
    .uniform_work_group_size: 1
    .uses_dynamic_stack: false
    .vgpr_count:     0
    .vgpr_spill_count: 0
    .wavefront_size: 32
  - .args:
      - .offset:         0
        .size:           112
        .value_kind:     by_value
    .group_segment_fixed_size: 0
    .kernarg_segment_align: 8
    .kernarg_segment_size: 112
    .language:       OpenCL C
    .language_version:
      - 2
      - 0
    .max_flat_workgroup_size: 256
    .name:           _ZN7rocprim17ROCPRIM_400000_NS6detail17trampoline_kernelINS0_14default_configENS1_27scan_by_key_config_selectorIj11FixedVectorIiLj1EEEEZZNS1_16scan_by_key_implILNS1_25lookback_scan_determinismE0ELb1ES3_N6thrust23THRUST_200600_302600_NS6detail15normal_iteratorINSB_10device_ptrIjEEEENSD_INSE_IS6_EEEESI_S6_NSB_4plusIvEENSB_8equal_toIvEES6_EE10hipError_tPvRmT2_T3_T4_T5_mT6_T7_P12ihipStream_tbENKUlT_T0_E_clISt17integral_constantIbLb1EES13_EEDaSY_SZ_EUlSY_E_NS1_11comp_targetILNS1_3genE10ELNS1_11target_archE1201ELNS1_3gpuE5ELNS1_3repE0EEENS1_30default_config_static_selectorELNS0_4arch9wavefront6targetE0EEEvT1_
    .private_segment_fixed_size: 0
    .sgpr_count:     0
    .sgpr_spill_count: 0
    .symbol:         _ZN7rocprim17ROCPRIM_400000_NS6detail17trampoline_kernelINS0_14default_configENS1_27scan_by_key_config_selectorIj11FixedVectorIiLj1EEEEZZNS1_16scan_by_key_implILNS1_25lookback_scan_determinismE0ELb1ES3_N6thrust23THRUST_200600_302600_NS6detail15normal_iteratorINSB_10device_ptrIjEEEENSD_INSE_IS6_EEEESI_S6_NSB_4plusIvEENSB_8equal_toIvEES6_EE10hipError_tPvRmT2_T3_T4_T5_mT6_T7_P12ihipStream_tbENKUlT_T0_E_clISt17integral_constantIbLb1EES13_EEDaSY_SZ_EUlSY_E_NS1_11comp_targetILNS1_3genE10ELNS1_11target_archE1201ELNS1_3gpuE5ELNS1_3repE0EEENS1_30default_config_static_selectorELNS0_4arch9wavefront6targetE0EEEvT1_.kd
    .uniform_work_group_size: 1
    .uses_dynamic_stack: false
    .vgpr_count:     0
    .vgpr_spill_count: 0
    .wavefront_size: 32
  - .args:
      - .offset:         0
        .size:           112
        .value_kind:     by_value
    .group_segment_fixed_size: 0
    .kernarg_segment_align: 8
    .kernarg_segment_size: 112
    .language:       OpenCL C
    .language_version:
      - 2
      - 0
    .max_flat_workgroup_size: 256
    .name:           _ZN7rocprim17ROCPRIM_400000_NS6detail17trampoline_kernelINS0_14default_configENS1_27scan_by_key_config_selectorIj11FixedVectorIiLj1EEEEZZNS1_16scan_by_key_implILNS1_25lookback_scan_determinismE0ELb1ES3_N6thrust23THRUST_200600_302600_NS6detail15normal_iteratorINSB_10device_ptrIjEEEENSD_INSE_IS6_EEEESI_S6_NSB_4plusIvEENSB_8equal_toIvEES6_EE10hipError_tPvRmT2_T3_T4_T5_mT6_T7_P12ihipStream_tbENKUlT_T0_E_clISt17integral_constantIbLb1EES13_EEDaSY_SZ_EUlSY_E_NS1_11comp_targetILNS1_3genE5ELNS1_11target_archE942ELNS1_3gpuE9ELNS1_3repE0EEENS1_30default_config_static_selectorELNS0_4arch9wavefront6targetE0EEEvT1_
    .private_segment_fixed_size: 0
    .sgpr_count:     0
    .sgpr_spill_count: 0
    .symbol:         _ZN7rocprim17ROCPRIM_400000_NS6detail17trampoline_kernelINS0_14default_configENS1_27scan_by_key_config_selectorIj11FixedVectorIiLj1EEEEZZNS1_16scan_by_key_implILNS1_25lookback_scan_determinismE0ELb1ES3_N6thrust23THRUST_200600_302600_NS6detail15normal_iteratorINSB_10device_ptrIjEEEENSD_INSE_IS6_EEEESI_S6_NSB_4plusIvEENSB_8equal_toIvEES6_EE10hipError_tPvRmT2_T3_T4_T5_mT6_T7_P12ihipStream_tbENKUlT_T0_E_clISt17integral_constantIbLb1EES13_EEDaSY_SZ_EUlSY_E_NS1_11comp_targetILNS1_3genE5ELNS1_11target_archE942ELNS1_3gpuE9ELNS1_3repE0EEENS1_30default_config_static_selectorELNS0_4arch9wavefront6targetE0EEEvT1_.kd
    .uniform_work_group_size: 1
    .uses_dynamic_stack: false
    .vgpr_count:     0
    .vgpr_spill_count: 0
    .wavefront_size: 32
  - .args:
      - .offset:         0
        .size:           112
        .value_kind:     by_value
    .group_segment_fixed_size: 0
    .kernarg_segment_align: 8
    .kernarg_segment_size: 112
    .language:       OpenCL C
    .language_version:
      - 2
      - 0
    .max_flat_workgroup_size: 256
    .name:           _ZN7rocprim17ROCPRIM_400000_NS6detail17trampoline_kernelINS0_14default_configENS1_27scan_by_key_config_selectorIj11FixedVectorIiLj1EEEEZZNS1_16scan_by_key_implILNS1_25lookback_scan_determinismE0ELb1ES3_N6thrust23THRUST_200600_302600_NS6detail15normal_iteratorINSB_10device_ptrIjEEEENSD_INSE_IS6_EEEESI_S6_NSB_4plusIvEENSB_8equal_toIvEES6_EE10hipError_tPvRmT2_T3_T4_T5_mT6_T7_P12ihipStream_tbENKUlT_T0_E_clISt17integral_constantIbLb1EES13_EEDaSY_SZ_EUlSY_E_NS1_11comp_targetILNS1_3genE4ELNS1_11target_archE910ELNS1_3gpuE8ELNS1_3repE0EEENS1_30default_config_static_selectorELNS0_4arch9wavefront6targetE0EEEvT1_
    .private_segment_fixed_size: 0
    .sgpr_count:     0
    .sgpr_spill_count: 0
    .symbol:         _ZN7rocprim17ROCPRIM_400000_NS6detail17trampoline_kernelINS0_14default_configENS1_27scan_by_key_config_selectorIj11FixedVectorIiLj1EEEEZZNS1_16scan_by_key_implILNS1_25lookback_scan_determinismE0ELb1ES3_N6thrust23THRUST_200600_302600_NS6detail15normal_iteratorINSB_10device_ptrIjEEEENSD_INSE_IS6_EEEESI_S6_NSB_4plusIvEENSB_8equal_toIvEES6_EE10hipError_tPvRmT2_T3_T4_T5_mT6_T7_P12ihipStream_tbENKUlT_T0_E_clISt17integral_constantIbLb1EES13_EEDaSY_SZ_EUlSY_E_NS1_11comp_targetILNS1_3genE4ELNS1_11target_archE910ELNS1_3gpuE8ELNS1_3repE0EEENS1_30default_config_static_selectorELNS0_4arch9wavefront6targetE0EEEvT1_.kd
    .uniform_work_group_size: 1
    .uses_dynamic_stack: false
    .vgpr_count:     0
    .vgpr_spill_count: 0
    .wavefront_size: 32
  - .args:
      - .offset:         0
        .size:           112
        .value_kind:     by_value
    .group_segment_fixed_size: 0
    .kernarg_segment_align: 8
    .kernarg_segment_size: 112
    .language:       OpenCL C
    .language_version:
      - 2
      - 0
    .max_flat_workgroup_size: 256
    .name:           _ZN7rocprim17ROCPRIM_400000_NS6detail17trampoline_kernelINS0_14default_configENS1_27scan_by_key_config_selectorIj11FixedVectorIiLj1EEEEZZNS1_16scan_by_key_implILNS1_25lookback_scan_determinismE0ELb1ES3_N6thrust23THRUST_200600_302600_NS6detail15normal_iteratorINSB_10device_ptrIjEEEENSD_INSE_IS6_EEEESI_S6_NSB_4plusIvEENSB_8equal_toIvEES6_EE10hipError_tPvRmT2_T3_T4_T5_mT6_T7_P12ihipStream_tbENKUlT_T0_E_clISt17integral_constantIbLb1EES13_EEDaSY_SZ_EUlSY_E_NS1_11comp_targetILNS1_3genE3ELNS1_11target_archE908ELNS1_3gpuE7ELNS1_3repE0EEENS1_30default_config_static_selectorELNS0_4arch9wavefront6targetE0EEEvT1_
    .private_segment_fixed_size: 0
    .sgpr_count:     0
    .sgpr_spill_count: 0
    .symbol:         _ZN7rocprim17ROCPRIM_400000_NS6detail17trampoline_kernelINS0_14default_configENS1_27scan_by_key_config_selectorIj11FixedVectorIiLj1EEEEZZNS1_16scan_by_key_implILNS1_25lookback_scan_determinismE0ELb1ES3_N6thrust23THRUST_200600_302600_NS6detail15normal_iteratorINSB_10device_ptrIjEEEENSD_INSE_IS6_EEEESI_S6_NSB_4plusIvEENSB_8equal_toIvEES6_EE10hipError_tPvRmT2_T3_T4_T5_mT6_T7_P12ihipStream_tbENKUlT_T0_E_clISt17integral_constantIbLb1EES13_EEDaSY_SZ_EUlSY_E_NS1_11comp_targetILNS1_3genE3ELNS1_11target_archE908ELNS1_3gpuE7ELNS1_3repE0EEENS1_30default_config_static_selectorELNS0_4arch9wavefront6targetE0EEEvT1_.kd
    .uniform_work_group_size: 1
    .uses_dynamic_stack: false
    .vgpr_count:     0
    .vgpr_spill_count: 0
    .wavefront_size: 32
  - .args:
      - .offset:         0
        .size:           112
        .value_kind:     by_value
    .group_segment_fixed_size: 0
    .kernarg_segment_align: 8
    .kernarg_segment_size: 112
    .language:       OpenCL C
    .language_version:
      - 2
      - 0
    .max_flat_workgroup_size: 256
    .name:           _ZN7rocprim17ROCPRIM_400000_NS6detail17trampoline_kernelINS0_14default_configENS1_27scan_by_key_config_selectorIj11FixedVectorIiLj1EEEEZZNS1_16scan_by_key_implILNS1_25lookback_scan_determinismE0ELb1ES3_N6thrust23THRUST_200600_302600_NS6detail15normal_iteratorINSB_10device_ptrIjEEEENSD_INSE_IS6_EEEESI_S6_NSB_4plusIvEENSB_8equal_toIvEES6_EE10hipError_tPvRmT2_T3_T4_T5_mT6_T7_P12ihipStream_tbENKUlT_T0_E_clISt17integral_constantIbLb1EES13_EEDaSY_SZ_EUlSY_E_NS1_11comp_targetILNS1_3genE2ELNS1_11target_archE906ELNS1_3gpuE6ELNS1_3repE0EEENS1_30default_config_static_selectorELNS0_4arch9wavefront6targetE0EEEvT1_
    .private_segment_fixed_size: 0
    .sgpr_count:     0
    .sgpr_spill_count: 0
    .symbol:         _ZN7rocprim17ROCPRIM_400000_NS6detail17trampoline_kernelINS0_14default_configENS1_27scan_by_key_config_selectorIj11FixedVectorIiLj1EEEEZZNS1_16scan_by_key_implILNS1_25lookback_scan_determinismE0ELb1ES3_N6thrust23THRUST_200600_302600_NS6detail15normal_iteratorINSB_10device_ptrIjEEEENSD_INSE_IS6_EEEESI_S6_NSB_4plusIvEENSB_8equal_toIvEES6_EE10hipError_tPvRmT2_T3_T4_T5_mT6_T7_P12ihipStream_tbENKUlT_T0_E_clISt17integral_constantIbLb1EES13_EEDaSY_SZ_EUlSY_E_NS1_11comp_targetILNS1_3genE2ELNS1_11target_archE906ELNS1_3gpuE6ELNS1_3repE0EEENS1_30default_config_static_selectorELNS0_4arch9wavefront6targetE0EEEvT1_.kd
    .uniform_work_group_size: 1
    .uses_dynamic_stack: false
    .vgpr_count:     0
    .vgpr_spill_count: 0
    .wavefront_size: 32
  - .args:
      - .offset:         0
        .size:           112
        .value_kind:     by_value
    .group_segment_fixed_size: 0
    .kernarg_segment_align: 8
    .kernarg_segment_size: 112
    .language:       OpenCL C
    .language_version:
      - 2
      - 0
    .max_flat_workgroup_size: 256
    .name:           _ZN7rocprim17ROCPRIM_400000_NS6detail17trampoline_kernelINS0_14default_configENS1_27scan_by_key_config_selectorIj11FixedVectorIiLj1EEEEZZNS1_16scan_by_key_implILNS1_25lookback_scan_determinismE0ELb1ES3_N6thrust23THRUST_200600_302600_NS6detail15normal_iteratorINSB_10device_ptrIjEEEENSD_INSE_IS6_EEEESI_S6_NSB_4plusIvEENSB_8equal_toIvEES6_EE10hipError_tPvRmT2_T3_T4_T5_mT6_T7_P12ihipStream_tbENKUlT_T0_E_clISt17integral_constantIbLb1EES13_EEDaSY_SZ_EUlSY_E_NS1_11comp_targetILNS1_3genE10ELNS1_11target_archE1200ELNS1_3gpuE4ELNS1_3repE0EEENS1_30default_config_static_selectorELNS0_4arch9wavefront6targetE0EEEvT1_
    .private_segment_fixed_size: 0
    .sgpr_count:     0
    .sgpr_spill_count: 0
    .symbol:         _ZN7rocprim17ROCPRIM_400000_NS6detail17trampoline_kernelINS0_14default_configENS1_27scan_by_key_config_selectorIj11FixedVectorIiLj1EEEEZZNS1_16scan_by_key_implILNS1_25lookback_scan_determinismE0ELb1ES3_N6thrust23THRUST_200600_302600_NS6detail15normal_iteratorINSB_10device_ptrIjEEEENSD_INSE_IS6_EEEESI_S6_NSB_4plusIvEENSB_8equal_toIvEES6_EE10hipError_tPvRmT2_T3_T4_T5_mT6_T7_P12ihipStream_tbENKUlT_T0_E_clISt17integral_constantIbLb1EES13_EEDaSY_SZ_EUlSY_E_NS1_11comp_targetILNS1_3genE10ELNS1_11target_archE1200ELNS1_3gpuE4ELNS1_3repE0EEENS1_30default_config_static_selectorELNS0_4arch9wavefront6targetE0EEEvT1_.kd
    .uniform_work_group_size: 1
    .uses_dynamic_stack: false
    .vgpr_count:     0
    .vgpr_spill_count: 0
    .wavefront_size: 32
  - .args:
      - .offset:         0
        .size:           112
        .value_kind:     by_value
    .group_segment_fixed_size: 0
    .kernarg_segment_align: 8
    .kernarg_segment_size: 112
    .language:       OpenCL C
    .language_version:
      - 2
      - 0
    .max_flat_workgroup_size: 256
    .name:           _ZN7rocprim17ROCPRIM_400000_NS6detail17trampoline_kernelINS0_14default_configENS1_27scan_by_key_config_selectorIj11FixedVectorIiLj1EEEEZZNS1_16scan_by_key_implILNS1_25lookback_scan_determinismE0ELb1ES3_N6thrust23THRUST_200600_302600_NS6detail15normal_iteratorINSB_10device_ptrIjEEEENSD_INSE_IS6_EEEESI_S6_NSB_4plusIvEENSB_8equal_toIvEES6_EE10hipError_tPvRmT2_T3_T4_T5_mT6_T7_P12ihipStream_tbENKUlT_T0_E_clISt17integral_constantIbLb1EES13_EEDaSY_SZ_EUlSY_E_NS1_11comp_targetILNS1_3genE9ELNS1_11target_archE1100ELNS1_3gpuE3ELNS1_3repE0EEENS1_30default_config_static_selectorELNS0_4arch9wavefront6targetE0EEEvT1_
    .private_segment_fixed_size: 0
    .sgpr_count:     0
    .sgpr_spill_count: 0
    .symbol:         _ZN7rocprim17ROCPRIM_400000_NS6detail17trampoline_kernelINS0_14default_configENS1_27scan_by_key_config_selectorIj11FixedVectorIiLj1EEEEZZNS1_16scan_by_key_implILNS1_25lookback_scan_determinismE0ELb1ES3_N6thrust23THRUST_200600_302600_NS6detail15normal_iteratorINSB_10device_ptrIjEEEENSD_INSE_IS6_EEEESI_S6_NSB_4plusIvEENSB_8equal_toIvEES6_EE10hipError_tPvRmT2_T3_T4_T5_mT6_T7_P12ihipStream_tbENKUlT_T0_E_clISt17integral_constantIbLb1EES13_EEDaSY_SZ_EUlSY_E_NS1_11comp_targetILNS1_3genE9ELNS1_11target_archE1100ELNS1_3gpuE3ELNS1_3repE0EEENS1_30default_config_static_selectorELNS0_4arch9wavefront6targetE0EEEvT1_.kd
    .uniform_work_group_size: 1
    .uses_dynamic_stack: false
    .vgpr_count:     0
    .vgpr_spill_count: 0
    .wavefront_size: 32
  - .args:
      - .offset:         0
        .size:           112
        .value_kind:     by_value
    .group_segment_fixed_size: 0
    .kernarg_segment_align: 8
    .kernarg_segment_size: 112
    .language:       OpenCL C
    .language_version:
      - 2
      - 0
    .max_flat_workgroup_size: 256
    .name:           _ZN7rocprim17ROCPRIM_400000_NS6detail17trampoline_kernelINS0_14default_configENS1_27scan_by_key_config_selectorIj11FixedVectorIiLj1EEEEZZNS1_16scan_by_key_implILNS1_25lookback_scan_determinismE0ELb1ES3_N6thrust23THRUST_200600_302600_NS6detail15normal_iteratorINSB_10device_ptrIjEEEENSD_INSE_IS6_EEEESI_S6_NSB_4plusIvEENSB_8equal_toIvEES6_EE10hipError_tPvRmT2_T3_T4_T5_mT6_T7_P12ihipStream_tbENKUlT_T0_E_clISt17integral_constantIbLb1EES13_EEDaSY_SZ_EUlSY_E_NS1_11comp_targetILNS1_3genE8ELNS1_11target_archE1030ELNS1_3gpuE2ELNS1_3repE0EEENS1_30default_config_static_selectorELNS0_4arch9wavefront6targetE0EEEvT1_
    .private_segment_fixed_size: 0
    .sgpr_count:     0
    .sgpr_spill_count: 0
    .symbol:         _ZN7rocprim17ROCPRIM_400000_NS6detail17trampoline_kernelINS0_14default_configENS1_27scan_by_key_config_selectorIj11FixedVectorIiLj1EEEEZZNS1_16scan_by_key_implILNS1_25lookback_scan_determinismE0ELb1ES3_N6thrust23THRUST_200600_302600_NS6detail15normal_iteratorINSB_10device_ptrIjEEEENSD_INSE_IS6_EEEESI_S6_NSB_4plusIvEENSB_8equal_toIvEES6_EE10hipError_tPvRmT2_T3_T4_T5_mT6_T7_P12ihipStream_tbENKUlT_T0_E_clISt17integral_constantIbLb1EES13_EEDaSY_SZ_EUlSY_E_NS1_11comp_targetILNS1_3genE8ELNS1_11target_archE1030ELNS1_3gpuE2ELNS1_3repE0EEENS1_30default_config_static_selectorELNS0_4arch9wavefront6targetE0EEEvT1_.kd
    .uniform_work_group_size: 1
    .uses_dynamic_stack: false
    .vgpr_count:     0
    .vgpr_spill_count: 0
    .wavefront_size: 32
  - .args:
      - .offset:         0
        .size:           112
        .value_kind:     by_value
    .group_segment_fixed_size: 0
    .kernarg_segment_align: 8
    .kernarg_segment_size: 112
    .language:       OpenCL C
    .language_version:
      - 2
      - 0
    .max_flat_workgroup_size: 256
    .name:           _ZN7rocprim17ROCPRIM_400000_NS6detail17trampoline_kernelINS0_14default_configENS1_27scan_by_key_config_selectorIj11FixedVectorIiLj1EEEEZZNS1_16scan_by_key_implILNS1_25lookback_scan_determinismE0ELb1ES3_N6thrust23THRUST_200600_302600_NS6detail15normal_iteratorINSB_10device_ptrIjEEEENSD_INSE_IS6_EEEESI_S6_NSB_4plusIvEENSB_8equal_toIvEES6_EE10hipError_tPvRmT2_T3_T4_T5_mT6_T7_P12ihipStream_tbENKUlT_T0_E_clISt17integral_constantIbLb1EES12_IbLb0EEEEDaSY_SZ_EUlSY_E_NS1_11comp_targetILNS1_3genE0ELNS1_11target_archE4294967295ELNS1_3gpuE0ELNS1_3repE0EEENS1_30default_config_static_selectorELNS0_4arch9wavefront6targetE0EEEvT1_
    .private_segment_fixed_size: 0
    .sgpr_count:     0
    .sgpr_spill_count: 0
    .symbol:         _ZN7rocprim17ROCPRIM_400000_NS6detail17trampoline_kernelINS0_14default_configENS1_27scan_by_key_config_selectorIj11FixedVectorIiLj1EEEEZZNS1_16scan_by_key_implILNS1_25lookback_scan_determinismE0ELb1ES3_N6thrust23THRUST_200600_302600_NS6detail15normal_iteratorINSB_10device_ptrIjEEEENSD_INSE_IS6_EEEESI_S6_NSB_4plusIvEENSB_8equal_toIvEES6_EE10hipError_tPvRmT2_T3_T4_T5_mT6_T7_P12ihipStream_tbENKUlT_T0_E_clISt17integral_constantIbLb1EES12_IbLb0EEEEDaSY_SZ_EUlSY_E_NS1_11comp_targetILNS1_3genE0ELNS1_11target_archE4294967295ELNS1_3gpuE0ELNS1_3repE0EEENS1_30default_config_static_selectorELNS0_4arch9wavefront6targetE0EEEvT1_.kd
    .uniform_work_group_size: 1
    .uses_dynamic_stack: false
    .vgpr_count:     0
    .vgpr_spill_count: 0
    .wavefront_size: 32
  - .args:
      - .offset:         0
        .size:           112
        .value_kind:     by_value
    .group_segment_fixed_size: 0
    .kernarg_segment_align: 8
    .kernarg_segment_size: 112
    .language:       OpenCL C
    .language_version:
      - 2
      - 0
    .max_flat_workgroup_size: 256
    .name:           _ZN7rocprim17ROCPRIM_400000_NS6detail17trampoline_kernelINS0_14default_configENS1_27scan_by_key_config_selectorIj11FixedVectorIiLj1EEEEZZNS1_16scan_by_key_implILNS1_25lookback_scan_determinismE0ELb1ES3_N6thrust23THRUST_200600_302600_NS6detail15normal_iteratorINSB_10device_ptrIjEEEENSD_INSE_IS6_EEEESI_S6_NSB_4plusIvEENSB_8equal_toIvEES6_EE10hipError_tPvRmT2_T3_T4_T5_mT6_T7_P12ihipStream_tbENKUlT_T0_E_clISt17integral_constantIbLb1EES12_IbLb0EEEEDaSY_SZ_EUlSY_E_NS1_11comp_targetILNS1_3genE10ELNS1_11target_archE1201ELNS1_3gpuE5ELNS1_3repE0EEENS1_30default_config_static_selectorELNS0_4arch9wavefront6targetE0EEEvT1_
    .private_segment_fixed_size: 0
    .sgpr_count:     0
    .sgpr_spill_count: 0
    .symbol:         _ZN7rocprim17ROCPRIM_400000_NS6detail17trampoline_kernelINS0_14default_configENS1_27scan_by_key_config_selectorIj11FixedVectorIiLj1EEEEZZNS1_16scan_by_key_implILNS1_25lookback_scan_determinismE0ELb1ES3_N6thrust23THRUST_200600_302600_NS6detail15normal_iteratorINSB_10device_ptrIjEEEENSD_INSE_IS6_EEEESI_S6_NSB_4plusIvEENSB_8equal_toIvEES6_EE10hipError_tPvRmT2_T3_T4_T5_mT6_T7_P12ihipStream_tbENKUlT_T0_E_clISt17integral_constantIbLb1EES12_IbLb0EEEEDaSY_SZ_EUlSY_E_NS1_11comp_targetILNS1_3genE10ELNS1_11target_archE1201ELNS1_3gpuE5ELNS1_3repE0EEENS1_30default_config_static_selectorELNS0_4arch9wavefront6targetE0EEEvT1_.kd
    .uniform_work_group_size: 1
    .uses_dynamic_stack: false
    .vgpr_count:     0
    .vgpr_spill_count: 0
    .wavefront_size: 32
  - .args:
      - .offset:         0
        .size:           112
        .value_kind:     by_value
    .group_segment_fixed_size: 0
    .kernarg_segment_align: 8
    .kernarg_segment_size: 112
    .language:       OpenCL C
    .language_version:
      - 2
      - 0
    .max_flat_workgroup_size: 256
    .name:           _ZN7rocprim17ROCPRIM_400000_NS6detail17trampoline_kernelINS0_14default_configENS1_27scan_by_key_config_selectorIj11FixedVectorIiLj1EEEEZZNS1_16scan_by_key_implILNS1_25lookback_scan_determinismE0ELb1ES3_N6thrust23THRUST_200600_302600_NS6detail15normal_iteratorINSB_10device_ptrIjEEEENSD_INSE_IS6_EEEESI_S6_NSB_4plusIvEENSB_8equal_toIvEES6_EE10hipError_tPvRmT2_T3_T4_T5_mT6_T7_P12ihipStream_tbENKUlT_T0_E_clISt17integral_constantIbLb1EES12_IbLb0EEEEDaSY_SZ_EUlSY_E_NS1_11comp_targetILNS1_3genE5ELNS1_11target_archE942ELNS1_3gpuE9ELNS1_3repE0EEENS1_30default_config_static_selectorELNS0_4arch9wavefront6targetE0EEEvT1_
    .private_segment_fixed_size: 0
    .sgpr_count:     0
    .sgpr_spill_count: 0
    .symbol:         _ZN7rocprim17ROCPRIM_400000_NS6detail17trampoline_kernelINS0_14default_configENS1_27scan_by_key_config_selectorIj11FixedVectorIiLj1EEEEZZNS1_16scan_by_key_implILNS1_25lookback_scan_determinismE0ELb1ES3_N6thrust23THRUST_200600_302600_NS6detail15normal_iteratorINSB_10device_ptrIjEEEENSD_INSE_IS6_EEEESI_S6_NSB_4plusIvEENSB_8equal_toIvEES6_EE10hipError_tPvRmT2_T3_T4_T5_mT6_T7_P12ihipStream_tbENKUlT_T0_E_clISt17integral_constantIbLb1EES12_IbLb0EEEEDaSY_SZ_EUlSY_E_NS1_11comp_targetILNS1_3genE5ELNS1_11target_archE942ELNS1_3gpuE9ELNS1_3repE0EEENS1_30default_config_static_selectorELNS0_4arch9wavefront6targetE0EEEvT1_.kd
    .uniform_work_group_size: 1
    .uses_dynamic_stack: false
    .vgpr_count:     0
    .vgpr_spill_count: 0
    .wavefront_size: 32
  - .args:
      - .offset:         0
        .size:           112
        .value_kind:     by_value
    .group_segment_fixed_size: 0
    .kernarg_segment_align: 8
    .kernarg_segment_size: 112
    .language:       OpenCL C
    .language_version:
      - 2
      - 0
    .max_flat_workgroup_size: 256
    .name:           _ZN7rocprim17ROCPRIM_400000_NS6detail17trampoline_kernelINS0_14default_configENS1_27scan_by_key_config_selectorIj11FixedVectorIiLj1EEEEZZNS1_16scan_by_key_implILNS1_25lookback_scan_determinismE0ELb1ES3_N6thrust23THRUST_200600_302600_NS6detail15normal_iteratorINSB_10device_ptrIjEEEENSD_INSE_IS6_EEEESI_S6_NSB_4plusIvEENSB_8equal_toIvEES6_EE10hipError_tPvRmT2_T3_T4_T5_mT6_T7_P12ihipStream_tbENKUlT_T0_E_clISt17integral_constantIbLb1EES12_IbLb0EEEEDaSY_SZ_EUlSY_E_NS1_11comp_targetILNS1_3genE4ELNS1_11target_archE910ELNS1_3gpuE8ELNS1_3repE0EEENS1_30default_config_static_selectorELNS0_4arch9wavefront6targetE0EEEvT1_
    .private_segment_fixed_size: 0
    .sgpr_count:     0
    .sgpr_spill_count: 0
    .symbol:         _ZN7rocprim17ROCPRIM_400000_NS6detail17trampoline_kernelINS0_14default_configENS1_27scan_by_key_config_selectorIj11FixedVectorIiLj1EEEEZZNS1_16scan_by_key_implILNS1_25lookback_scan_determinismE0ELb1ES3_N6thrust23THRUST_200600_302600_NS6detail15normal_iteratorINSB_10device_ptrIjEEEENSD_INSE_IS6_EEEESI_S6_NSB_4plusIvEENSB_8equal_toIvEES6_EE10hipError_tPvRmT2_T3_T4_T5_mT6_T7_P12ihipStream_tbENKUlT_T0_E_clISt17integral_constantIbLb1EES12_IbLb0EEEEDaSY_SZ_EUlSY_E_NS1_11comp_targetILNS1_3genE4ELNS1_11target_archE910ELNS1_3gpuE8ELNS1_3repE0EEENS1_30default_config_static_selectorELNS0_4arch9wavefront6targetE0EEEvT1_.kd
    .uniform_work_group_size: 1
    .uses_dynamic_stack: false
    .vgpr_count:     0
    .vgpr_spill_count: 0
    .wavefront_size: 32
  - .args:
      - .offset:         0
        .size:           112
        .value_kind:     by_value
    .group_segment_fixed_size: 0
    .kernarg_segment_align: 8
    .kernarg_segment_size: 112
    .language:       OpenCL C
    .language_version:
      - 2
      - 0
    .max_flat_workgroup_size: 256
    .name:           _ZN7rocprim17ROCPRIM_400000_NS6detail17trampoline_kernelINS0_14default_configENS1_27scan_by_key_config_selectorIj11FixedVectorIiLj1EEEEZZNS1_16scan_by_key_implILNS1_25lookback_scan_determinismE0ELb1ES3_N6thrust23THRUST_200600_302600_NS6detail15normal_iteratorINSB_10device_ptrIjEEEENSD_INSE_IS6_EEEESI_S6_NSB_4plusIvEENSB_8equal_toIvEES6_EE10hipError_tPvRmT2_T3_T4_T5_mT6_T7_P12ihipStream_tbENKUlT_T0_E_clISt17integral_constantIbLb1EES12_IbLb0EEEEDaSY_SZ_EUlSY_E_NS1_11comp_targetILNS1_3genE3ELNS1_11target_archE908ELNS1_3gpuE7ELNS1_3repE0EEENS1_30default_config_static_selectorELNS0_4arch9wavefront6targetE0EEEvT1_
    .private_segment_fixed_size: 0
    .sgpr_count:     0
    .sgpr_spill_count: 0
    .symbol:         _ZN7rocprim17ROCPRIM_400000_NS6detail17trampoline_kernelINS0_14default_configENS1_27scan_by_key_config_selectorIj11FixedVectorIiLj1EEEEZZNS1_16scan_by_key_implILNS1_25lookback_scan_determinismE0ELb1ES3_N6thrust23THRUST_200600_302600_NS6detail15normal_iteratorINSB_10device_ptrIjEEEENSD_INSE_IS6_EEEESI_S6_NSB_4plusIvEENSB_8equal_toIvEES6_EE10hipError_tPvRmT2_T3_T4_T5_mT6_T7_P12ihipStream_tbENKUlT_T0_E_clISt17integral_constantIbLb1EES12_IbLb0EEEEDaSY_SZ_EUlSY_E_NS1_11comp_targetILNS1_3genE3ELNS1_11target_archE908ELNS1_3gpuE7ELNS1_3repE0EEENS1_30default_config_static_selectorELNS0_4arch9wavefront6targetE0EEEvT1_.kd
    .uniform_work_group_size: 1
    .uses_dynamic_stack: false
    .vgpr_count:     0
    .vgpr_spill_count: 0
    .wavefront_size: 32
  - .args:
      - .offset:         0
        .size:           112
        .value_kind:     by_value
    .group_segment_fixed_size: 0
    .kernarg_segment_align: 8
    .kernarg_segment_size: 112
    .language:       OpenCL C
    .language_version:
      - 2
      - 0
    .max_flat_workgroup_size: 256
    .name:           _ZN7rocprim17ROCPRIM_400000_NS6detail17trampoline_kernelINS0_14default_configENS1_27scan_by_key_config_selectorIj11FixedVectorIiLj1EEEEZZNS1_16scan_by_key_implILNS1_25lookback_scan_determinismE0ELb1ES3_N6thrust23THRUST_200600_302600_NS6detail15normal_iteratorINSB_10device_ptrIjEEEENSD_INSE_IS6_EEEESI_S6_NSB_4plusIvEENSB_8equal_toIvEES6_EE10hipError_tPvRmT2_T3_T4_T5_mT6_T7_P12ihipStream_tbENKUlT_T0_E_clISt17integral_constantIbLb1EES12_IbLb0EEEEDaSY_SZ_EUlSY_E_NS1_11comp_targetILNS1_3genE2ELNS1_11target_archE906ELNS1_3gpuE6ELNS1_3repE0EEENS1_30default_config_static_selectorELNS0_4arch9wavefront6targetE0EEEvT1_
    .private_segment_fixed_size: 0
    .sgpr_count:     0
    .sgpr_spill_count: 0
    .symbol:         _ZN7rocprim17ROCPRIM_400000_NS6detail17trampoline_kernelINS0_14default_configENS1_27scan_by_key_config_selectorIj11FixedVectorIiLj1EEEEZZNS1_16scan_by_key_implILNS1_25lookback_scan_determinismE0ELb1ES3_N6thrust23THRUST_200600_302600_NS6detail15normal_iteratorINSB_10device_ptrIjEEEENSD_INSE_IS6_EEEESI_S6_NSB_4plusIvEENSB_8equal_toIvEES6_EE10hipError_tPvRmT2_T3_T4_T5_mT6_T7_P12ihipStream_tbENKUlT_T0_E_clISt17integral_constantIbLb1EES12_IbLb0EEEEDaSY_SZ_EUlSY_E_NS1_11comp_targetILNS1_3genE2ELNS1_11target_archE906ELNS1_3gpuE6ELNS1_3repE0EEENS1_30default_config_static_selectorELNS0_4arch9wavefront6targetE0EEEvT1_.kd
    .uniform_work_group_size: 1
    .uses_dynamic_stack: false
    .vgpr_count:     0
    .vgpr_spill_count: 0
    .wavefront_size: 32
  - .args:
      - .offset:         0
        .size:           112
        .value_kind:     by_value
    .group_segment_fixed_size: 0
    .kernarg_segment_align: 8
    .kernarg_segment_size: 112
    .language:       OpenCL C
    .language_version:
      - 2
      - 0
    .max_flat_workgroup_size: 256
    .name:           _ZN7rocprim17ROCPRIM_400000_NS6detail17trampoline_kernelINS0_14default_configENS1_27scan_by_key_config_selectorIj11FixedVectorIiLj1EEEEZZNS1_16scan_by_key_implILNS1_25lookback_scan_determinismE0ELb1ES3_N6thrust23THRUST_200600_302600_NS6detail15normal_iteratorINSB_10device_ptrIjEEEENSD_INSE_IS6_EEEESI_S6_NSB_4plusIvEENSB_8equal_toIvEES6_EE10hipError_tPvRmT2_T3_T4_T5_mT6_T7_P12ihipStream_tbENKUlT_T0_E_clISt17integral_constantIbLb1EES12_IbLb0EEEEDaSY_SZ_EUlSY_E_NS1_11comp_targetILNS1_3genE10ELNS1_11target_archE1200ELNS1_3gpuE4ELNS1_3repE0EEENS1_30default_config_static_selectorELNS0_4arch9wavefront6targetE0EEEvT1_
    .private_segment_fixed_size: 0
    .sgpr_count:     0
    .sgpr_spill_count: 0
    .symbol:         _ZN7rocprim17ROCPRIM_400000_NS6detail17trampoline_kernelINS0_14default_configENS1_27scan_by_key_config_selectorIj11FixedVectorIiLj1EEEEZZNS1_16scan_by_key_implILNS1_25lookback_scan_determinismE0ELb1ES3_N6thrust23THRUST_200600_302600_NS6detail15normal_iteratorINSB_10device_ptrIjEEEENSD_INSE_IS6_EEEESI_S6_NSB_4plusIvEENSB_8equal_toIvEES6_EE10hipError_tPvRmT2_T3_T4_T5_mT6_T7_P12ihipStream_tbENKUlT_T0_E_clISt17integral_constantIbLb1EES12_IbLb0EEEEDaSY_SZ_EUlSY_E_NS1_11comp_targetILNS1_3genE10ELNS1_11target_archE1200ELNS1_3gpuE4ELNS1_3repE0EEENS1_30default_config_static_selectorELNS0_4arch9wavefront6targetE0EEEvT1_.kd
    .uniform_work_group_size: 1
    .uses_dynamic_stack: false
    .vgpr_count:     0
    .vgpr_spill_count: 0
    .wavefront_size: 32
  - .args:
      - .offset:         0
        .size:           112
        .value_kind:     by_value
    .group_segment_fixed_size: 0
    .kernarg_segment_align: 8
    .kernarg_segment_size: 112
    .language:       OpenCL C
    .language_version:
      - 2
      - 0
    .max_flat_workgroup_size: 256
    .name:           _ZN7rocprim17ROCPRIM_400000_NS6detail17trampoline_kernelINS0_14default_configENS1_27scan_by_key_config_selectorIj11FixedVectorIiLj1EEEEZZNS1_16scan_by_key_implILNS1_25lookback_scan_determinismE0ELb1ES3_N6thrust23THRUST_200600_302600_NS6detail15normal_iteratorINSB_10device_ptrIjEEEENSD_INSE_IS6_EEEESI_S6_NSB_4plusIvEENSB_8equal_toIvEES6_EE10hipError_tPvRmT2_T3_T4_T5_mT6_T7_P12ihipStream_tbENKUlT_T0_E_clISt17integral_constantIbLb1EES12_IbLb0EEEEDaSY_SZ_EUlSY_E_NS1_11comp_targetILNS1_3genE9ELNS1_11target_archE1100ELNS1_3gpuE3ELNS1_3repE0EEENS1_30default_config_static_selectorELNS0_4arch9wavefront6targetE0EEEvT1_
    .private_segment_fixed_size: 0
    .sgpr_count:     0
    .sgpr_spill_count: 0
    .symbol:         _ZN7rocprim17ROCPRIM_400000_NS6detail17trampoline_kernelINS0_14default_configENS1_27scan_by_key_config_selectorIj11FixedVectorIiLj1EEEEZZNS1_16scan_by_key_implILNS1_25lookback_scan_determinismE0ELb1ES3_N6thrust23THRUST_200600_302600_NS6detail15normal_iteratorINSB_10device_ptrIjEEEENSD_INSE_IS6_EEEESI_S6_NSB_4plusIvEENSB_8equal_toIvEES6_EE10hipError_tPvRmT2_T3_T4_T5_mT6_T7_P12ihipStream_tbENKUlT_T0_E_clISt17integral_constantIbLb1EES12_IbLb0EEEEDaSY_SZ_EUlSY_E_NS1_11comp_targetILNS1_3genE9ELNS1_11target_archE1100ELNS1_3gpuE3ELNS1_3repE0EEENS1_30default_config_static_selectorELNS0_4arch9wavefront6targetE0EEEvT1_.kd
    .uniform_work_group_size: 1
    .uses_dynamic_stack: false
    .vgpr_count:     0
    .vgpr_spill_count: 0
    .wavefront_size: 32
  - .args:
      - .offset:         0
        .size:           112
        .value_kind:     by_value
    .group_segment_fixed_size: 0
    .kernarg_segment_align: 8
    .kernarg_segment_size: 112
    .language:       OpenCL C
    .language_version:
      - 2
      - 0
    .max_flat_workgroup_size: 256
    .name:           _ZN7rocprim17ROCPRIM_400000_NS6detail17trampoline_kernelINS0_14default_configENS1_27scan_by_key_config_selectorIj11FixedVectorIiLj1EEEEZZNS1_16scan_by_key_implILNS1_25lookback_scan_determinismE0ELb1ES3_N6thrust23THRUST_200600_302600_NS6detail15normal_iteratorINSB_10device_ptrIjEEEENSD_INSE_IS6_EEEESI_S6_NSB_4plusIvEENSB_8equal_toIvEES6_EE10hipError_tPvRmT2_T3_T4_T5_mT6_T7_P12ihipStream_tbENKUlT_T0_E_clISt17integral_constantIbLb1EES12_IbLb0EEEEDaSY_SZ_EUlSY_E_NS1_11comp_targetILNS1_3genE8ELNS1_11target_archE1030ELNS1_3gpuE2ELNS1_3repE0EEENS1_30default_config_static_selectorELNS0_4arch9wavefront6targetE0EEEvT1_
    .private_segment_fixed_size: 0
    .sgpr_count:     0
    .sgpr_spill_count: 0
    .symbol:         _ZN7rocprim17ROCPRIM_400000_NS6detail17trampoline_kernelINS0_14default_configENS1_27scan_by_key_config_selectorIj11FixedVectorIiLj1EEEEZZNS1_16scan_by_key_implILNS1_25lookback_scan_determinismE0ELb1ES3_N6thrust23THRUST_200600_302600_NS6detail15normal_iteratorINSB_10device_ptrIjEEEENSD_INSE_IS6_EEEESI_S6_NSB_4plusIvEENSB_8equal_toIvEES6_EE10hipError_tPvRmT2_T3_T4_T5_mT6_T7_P12ihipStream_tbENKUlT_T0_E_clISt17integral_constantIbLb1EES12_IbLb0EEEEDaSY_SZ_EUlSY_E_NS1_11comp_targetILNS1_3genE8ELNS1_11target_archE1030ELNS1_3gpuE2ELNS1_3repE0EEENS1_30default_config_static_selectorELNS0_4arch9wavefront6targetE0EEEvT1_.kd
    .uniform_work_group_size: 1
    .uses_dynamic_stack: false
    .vgpr_count:     0
    .vgpr_spill_count: 0
    .wavefront_size: 32
  - .args:
      - .offset:         0
        .size:           112
        .value_kind:     by_value
    .group_segment_fixed_size: 14336
    .kernarg_segment_align: 8
    .kernarg_segment_size: 112
    .language:       OpenCL C
    .language_version:
      - 2
      - 0
    .max_flat_workgroup_size: 256
    .name:           _ZN7rocprim17ROCPRIM_400000_NS6detail17trampoline_kernelINS0_14default_configENS1_27scan_by_key_config_selectorIj11FixedVectorIiLj1EEEEZZNS1_16scan_by_key_implILNS1_25lookback_scan_determinismE0ELb1ES3_N6thrust23THRUST_200600_302600_NS6detail15normal_iteratorINSB_10device_ptrIjEEEENSD_INSE_IS6_EEEESI_S6_NSB_4plusIvEENSB_8equal_toIvEES6_EE10hipError_tPvRmT2_T3_T4_T5_mT6_T7_P12ihipStream_tbENKUlT_T0_E_clISt17integral_constantIbLb0EES12_IbLb1EEEEDaSY_SZ_EUlSY_E_NS1_11comp_targetILNS1_3genE0ELNS1_11target_archE4294967295ELNS1_3gpuE0ELNS1_3repE0EEENS1_30default_config_static_selectorELNS0_4arch9wavefront6targetE0EEEvT1_
    .private_segment_fixed_size: 0
    .sgpr_count:     41
    .sgpr_spill_count: 0
    .symbol:         _ZN7rocprim17ROCPRIM_400000_NS6detail17trampoline_kernelINS0_14default_configENS1_27scan_by_key_config_selectorIj11FixedVectorIiLj1EEEEZZNS1_16scan_by_key_implILNS1_25lookback_scan_determinismE0ELb1ES3_N6thrust23THRUST_200600_302600_NS6detail15normal_iteratorINSB_10device_ptrIjEEEENSD_INSE_IS6_EEEESI_S6_NSB_4plusIvEENSB_8equal_toIvEES6_EE10hipError_tPvRmT2_T3_T4_T5_mT6_T7_P12ihipStream_tbENKUlT_T0_E_clISt17integral_constantIbLb0EES12_IbLb1EEEEDaSY_SZ_EUlSY_E_NS1_11comp_targetILNS1_3genE0ELNS1_11target_archE4294967295ELNS1_3gpuE0ELNS1_3repE0EEENS1_30default_config_static_selectorELNS0_4arch9wavefront6targetE0EEEvT1_.kd
    .uniform_work_group_size: 1
    .uses_dynamic_stack: false
    .vgpr_count:     62
    .vgpr_spill_count: 0
    .wavefront_size: 32
  - .args:
      - .offset:         0
        .size:           112
        .value_kind:     by_value
    .group_segment_fixed_size: 0
    .kernarg_segment_align: 8
    .kernarg_segment_size: 112
    .language:       OpenCL C
    .language_version:
      - 2
      - 0
    .max_flat_workgroup_size: 256
    .name:           _ZN7rocprim17ROCPRIM_400000_NS6detail17trampoline_kernelINS0_14default_configENS1_27scan_by_key_config_selectorIj11FixedVectorIiLj1EEEEZZNS1_16scan_by_key_implILNS1_25lookback_scan_determinismE0ELb1ES3_N6thrust23THRUST_200600_302600_NS6detail15normal_iteratorINSB_10device_ptrIjEEEENSD_INSE_IS6_EEEESI_S6_NSB_4plusIvEENSB_8equal_toIvEES6_EE10hipError_tPvRmT2_T3_T4_T5_mT6_T7_P12ihipStream_tbENKUlT_T0_E_clISt17integral_constantIbLb0EES12_IbLb1EEEEDaSY_SZ_EUlSY_E_NS1_11comp_targetILNS1_3genE10ELNS1_11target_archE1201ELNS1_3gpuE5ELNS1_3repE0EEENS1_30default_config_static_selectorELNS0_4arch9wavefront6targetE0EEEvT1_
    .private_segment_fixed_size: 0
    .sgpr_count:     0
    .sgpr_spill_count: 0
    .symbol:         _ZN7rocprim17ROCPRIM_400000_NS6detail17trampoline_kernelINS0_14default_configENS1_27scan_by_key_config_selectorIj11FixedVectorIiLj1EEEEZZNS1_16scan_by_key_implILNS1_25lookback_scan_determinismE0ELb1ES3_N6thrust23THRUST_200600_302600_NS6detail15normal_iteratorINSB_10device_ptrIjEEEENSD_INSE_IS6_EEEESI_S6_NSB_4plusIvEENSB_8equal_toIvEES6_EE10hipError_tPvRmT2_T3_T4_T5_mT6_T7_P12ihipStream_tbENKUlT_T0_E_clISt17integral_constantIbLb0EES12_IbLb1EEEEDaSY_SZ_EUlSY_E_NS1_11comp_targetILNS1_3genE10ELNS1_11target_archE1201ELNS1_3gpuE5ELNS1_3repE0EEENS1_30default_config_static_selectorELNS0_4arch9wavefront6targetE0EEEvT1_.kd
    .uniform_work_group_size: 1
    .uses_dynamic_stack: false
    .vgpr_count:     0
    .vgpr_spill_count: 0
    .wavefront_size: 32
  - .args:
      - .offset:         0
        .size:           112
        .value_kind:     by_value
    .group_segment_fixed_size: 0
    .kernarg_segment_align: 8
    .kernarg_segment_size: 112
    .language:       OpenCL C
    .language_version:
      - 2
      - 0
    .max_flat_workgroup_size: 256
    .name:           _ZN7rocprim17ROCPRIM_400000_NS6detail17trampoline_kernelINS0_14default_configENS1_27scan_by_key_config_selectorIj11FixedVectorIiLj1EEEEZZNS1_16scan_by_key_implILNS1_25lookback_scan_determinismE0ELb1ES3_N6thrust23THRUST_200600_302600_NS6detail15normal_iteratorINSB_10device_ptrIjEEEENSD_INSE_IS6_EEEESI_S6_NSB_4plusIvEENSB_8equal_toIvEES6_EE10hipError_tPvRmT2_T3_T4_T5_mT6_T7_P12ihipStream_tbENKUlT_T0_E_clISt17integral_constantIbLb0EES12_IbLb1EEEEDaSY_SZ_EUlSY_E_NS1_11comp_targetILNS1_3genE5ELNS1_11target_archE942ELNS1_3gpuE9ELNS1_3repE0EEENS1_30default_config_static_selectorELNS0_4arch9wavefront6targetE0EEEvT1_
    .private_segment_fixed_size: 0
    .sgpr_count:     0
    .sgpr_spill_count: 0
    .symbol:         _ZN7rocprim17ROCPRIM_400000_NS6detail17trampoline_kernelINS0_14default_configENS1_27scan_by_key_config_selectorIj11FixedVectorIiLj1EEEEZZNS1_16scan_by_key_implILNS1_25lookback_scan_determinismE0ELb1ES3_N6thrust23THRUST_200600_302600_NS6detail15normal_iteratorINSB_10device_ptrIjEEEENSD_INSE_IS6_EEEESI_S6_NSB_4plusIvEENSB_8equal_toIvEES6_EE10hipError_tPvRmT2_T3_T4_T5_mT6_T7_P12ihipStream_tbENKUlT_T0_E_clISt17integral_constantIbLb0EES12_IbLb1EEEEDaSY_SZ_EUlSY_E_NS1_11comp_targetILNS1_3genE5ELNS1_11target_archE942ELNS1_3gpuE9ELNS1_3repE0EEENS1_30default_config_static_selectorELNS0_4arch9wavefront6targetE0EEEvT1_.kd
    .uniform_work_group_size: 1
    .uses_dynamic_stack: false
    .vgpr_count:     0
    .vgpr_spill_count: 0
    .wavefront_size: 32
  - .args:
      - .offset:         0
        .size:           112
        .value_kind:     by_value
    .group_segment_fixed_size: 0
    .kernarg_segment_align: 8
    .kernarg_segment_size: 112
    .language:       OpenCL C
    .language_version:
      - 2
      - 0
    .max_flat_workgroup_size: 256
    .name:           _ZN7rocprim17ROCPRIM_400000_NS6detail17trampoline_kernelINS0_14default_configENS1_27scan_by_key_config_selectorIj11FixedVectorIiLj1EEEEZZNS1_16scan_by_key_implILNS1_25lookback_scan_determinismE0ELb1ES3_N6thrust23THRUST_200600_302600_NS6detail15normal_iteratorINSB_10device_ptrIjEEEENSD_INSE_IS6_EEEESI_S6_NSB_4plusIvEENSB_8equal_toIvEES6_EE10hipError_tPvRmT2_T3_T4_T5_mT6_T7_P12ihipStream_tbENKUlT_T0_E_clISt17integral_constantIbLb0EES12_IbLb1EEEEDaSY_SZ_EUlSY_E_NS1_11comp_targetILNS1_3genE4ELNS1_11target_archE910ELNS1_3gpuE8ELNS1_3repE0EEENS1_30default_config_static_selectorELNS0_4arch9wavefront6targetE0EEEvT1_
    .private_segment_fixed_size: 0
    .sgpr_count:     0
    .sgpr_spill_count: 0
    .symbol:         _ZN7rocprim17ROCPRIM_400000_NS6detail17trampoline_kernelINS0_14default_configENS1_27scan_by_key_config_selectorIj11FixedVectorIiLj1EEEEZZNS1_16scan_by_key_implILNS1_25lookback_scan_determinismE0ELb1ES3_N6thrust23THRUST_200600_302600_NS6detail15normal_iteratorINSB_10device_ptrIjEEEENSD_INSE_IS6_EEEESI_S6_NSB_4plusIvEENSB_8equal_toIvEES6_EE10hipError_tPvRmT2_T3_T4_T5_mT6_T7_P12ihipStream_tbENKUlT_T0_E_clISt17integral_constantIbLb0EES12_IbLb1EEEEDaSY_SZ_EUlSY_E_NS1_11comp_targetILNS1_3genE4ELNS1_11target_archE910ELNS1_3gpuE8ELNS1_3repE0EEENS1_30default_config_static_selectorELNS0_4arch9wavefront6targetE0EEEvT1_.kd
    .uniform_work_group_size: 1
    .uses_dynamic_stack: false
    .vgpr_count:     0
    .vgpr_spill_count: 0
    .wavefront_size: 32
  - .args:
      - .offset:         0
        .size:           112
        .value_kind:     by_value
    .group_segment_fixed_size: 0
    .kernarg_segment_align: 8
    .kernarg_segment_size: 112
    .language:       OpenCL C
    .language_version:
      - 2
      - 0
    .max_flat_workgroup_size: 256
    .name:           _ZN7rocprim17ROCPRIM_400000_NS6detail17trampoline_kernelINS0_14default_configENS1_27scan_by_key_config_selectorIj11FixedVectorIiLj1EEEEZZNS1_16scan_by_key_implILNS1_25lookback_scan_determinismE0ELb1ES3_N6thrust23THRUST_200600_302600_NS6detail15normal_iteratorINSB_10device_ptrIjEEEENSD_INSE_IS6_EEEESI_S6_NSB_4plusIvEENSB_8equal_toIvEES6_EE10hipError_tPvRmT2_T3_T4_T5_mT6_T7_P12ihipStream_tbENKUlT_T0_E_clISt17integral_constantIbLb0EES12_IbLb1EEEEDaSY_SZ_EUlSY_E_NS1_11comp_targetILNS1_3genE3ELNS1_11target_archE908ELNS1_3gpuE7ELNS1_3repE0EEENS1_30default_config_static_selectorELNS0_4arch9wavefront6targetE0EEEvT1_
    .private_segment_fixed_size: 0
    .sgpr_count:     0
    .sgpr_spill_count: 0
    .symbol:         _ZN7rocprim17ROCPRIM_400000_NS6detail17trampoline_kernelINS0_14default_configENS1_27scan_by_key_config_selectorIj11FixedVectorIiLj1EEEEZZNS1_16scan_by_key_implILNS1_25lookback_scan_determinismE0ELb1ES3_N6thrust23THRUST_200600_302600_NS6detail15normal_iteratorINSB_10device_ptrIjEEEENSD_INSE_IS6_EEEESI_S6_NSB_4plusIvEENSB_8equal_toIvEES6_EE10hipError_tPvRmT2_T3_T4_T5_mT6_T7_P12ihipStream_tbENKUlT_T0_E_clISt17integral_constantIbLb0EES12_IbLb1EEEEDaSY_SZ_EUlSY_E_NS1_11comp_targetILNS1_3genE3ELNS1_11target_archE908ELNS1_3gpuE7ELNS1_3repE0EEENS1_30default_config_static_selectorELNS0_4arch9wavefront6targetE0EEEvT1_.kd
    .uniform_work_group_size: 1
    .uses_dynamic_stack: false
    .vgpr_count:     0
    .vgpr_spill_count: 0
    .wavefront_size: 32
  - .args:
      - .offset:         0
        .size:           112
        .value_kind:     by_value
    .group_segment_fixed_size: 0
    .kernarg_segment_align: 8
    .kernarg_segment_size: 112
    .language:       OpenCL C
    .language_version:
      - 2
      - 0
    .max_flat_workgroup_size: 256
    .name:           _ZN7rocprim17ROCPRIM_400000_NS6detail17trampoline_kernelINS0_14default_configENS1_27scan_by_key_config_selectorIj11FixedVectorIiLj1EEEEZZNS1_16scan_by_key_implILNS1_25lookback_scan_determinismE0ELb1ES3_N6thrust23THRUST_200600_302600_NS6detail15normal_iteratorINSB_10device_ptrIjEEEENSD_INSE_IS6_EEEESI_S6_NSB_4plusIvEENSB_8equal_toIvEES6_EE10hipError_tPvRmT2_T3_T4_T5_mT6_T7_P12ihipStream_tbENKUlT_T0_E_clISt17integral_constantIbLb0EES12_IbLb1EEEEDaSY_SZ_EUlSY_E_NS1_11comp_targetILNS1_3genE2ELNS1_11target_archE906ELNS1_3gpuE6ELNS1_3repE0EEENS1_30default_config_static_selectorELNS0_4arch9wavefront6targetE0EEEvT1_
    .private_segment_fixed_size: 0
    .sgpr_count:     0
    .sgpr_spill_count: 0
    .symbol:         _ZN7rocprim17ROCPRIM_400000_NS6detail17trampoline_kernelINS0_14default_configENS1_27scan_by_key_config_selectorIj11FixedVectorIiLj1EEEEZZNS1_16scan_by_key_implILNS1_25lookback_scan_determinismE0ELb1ES3_N6thrust23THRUST_200600_302600_NS6detail15normal_iteratorINSB_10device_ptrIjEEEENSD_INSE_IS6_EEEESI_S6_NSB_4plusIvEENSB_8equal_toIvEES6_EE10hipError_tPvRmT2_T3_T4_T5_mT6_T7_P12ihipStream_tbENKUlT_T0_E_clISt17integral_constantIbLb0EES12_IbLb1EEEEDaSY_SZ_EUlSY_E_NS1_11comp_targetILNS1_3genE2ELNS1_11target_archE906ELNS1_3gpuE6ELNS1_3repE0EEENS1_30default_config_static_selectorELNS0_4arch9wavefront6targetE0EEEvT1_.kd
    .uniform_work_group_size: 1
    .uses_dynamic_stack: false
    .vgpr_count:     0
    .vgpr_spill_count: 0
    .wavefront_size: 32
  - .args:
      - .offset:         0
        .size:           112
        .value_kind:     by_value
    .group_segment_fixed_size: 0
    .kernarg_segment_align: 8
    .kernarg_segment_size: 112
    .language:       OpenCL C
    .language_version:
      - 2
      - 0
    .max_flat_workgroup_size: 256
    .name:           _ZN7rocprim17ROCPRIM_400000_NS6detail17trampoline_kernelINS0_14default_configENS1_27scan_by_key_config_selectorIj11FixedVectorIiLj1EEEEZZNS1_16scan_by_key_implILNS1_25lookback_scan_determinismE0ELb1ES3_N6thrust23THRUST_200600_302600_NS6detail15normal_iteratorINSB_10device_ptrIjEEEENSD_INSE_IS6_EEEESI_S6_NSB_4plusIvEENSB_8equal_toIvEES6_EE10hipError_tPvRmT2_T3_T4_T5_mT6_T7_P12ihipStream_tbENKUlT_T0_E_clISt17integral_constantIbLb0EES12_IbLb1EEEEDaSY_SZ_EUlSY_E_NS1_11comp_targetILNS1_3genE10ELNS1_11target_archE1200ELNS1_3gpuE4ELNS1_3repE0EEENS1_30default_config_static_selectorELNS0_4arch9wavefront6targetE0EEEvT1_
    .private_segment_fixed_size: 0
    .sgpr_count:     0
    .sgpr_spill_count: 0
    .symbol:         _ZN7rocprim17ROCPRIM_400000_NS6detail17trampoline_kernelINS0_14default_configENS1_27scan_by_key_config_selectorIj11FixedVectorIiLj1EEEEZZNS1_16scan_by_key_implILNS1_25lookback_scan_determinismE0ELb1ES3_N6thrust23THRUST_200600_302600_NS6detail15normal_iteratorINSB_10device_ptrIjEEEENSD_INSE_IS6_EEEESI_S6_NSB_4plusIvEENSB_8equal_toIvEES6_EE10hipError_tPvRmT2_T3_T4_T5_mT6_T7_P12ihipStream_tbENKUlT_T0_E_clISt17integral_constantIbLb0EES12_IbLb1EEEEDaSY_SZ_EUlSY_E_NS1_11comp_targetILNS1_3genE10ELNS1_11target_archE1200ELNS1_3gpuE4ELNS1_3repE0EEENS1_30default_config_static_selectorELNS0_4arch9wavefront6targetE0EEEvT1_.kd
    .uniform_work_group_size: 1
    .uses_dynamic_stack: false
    .vgpr_count:     0
    .vgpr_spill_count: 0
    .wavefront_size: 32
  - .args:
      - .offset:         0
        .size:           112
        .value_kind:     by_value
    .group_segment_fixed_size: 0
    .kernarg_segment_align: 8
    .kernarg_segment_size: 112
    .language:       OpenCL C
    .language_version:
      - 2
      - 0
    .max_flat_workgroup_size: 256
    .name:           _ZN7rocprim17ROCPRIM_400000_NS6detail17trampoline_kernelINS0_14default_configENS1_27scan_by_key_config_selectorIj11FixedVectorIiLj1EEEEZZNS1_16scan_by_key_implILNS1_25lookback_scan_determinismE0ELb1ES3_N6thrust23THRUST_200600_302600_NS6detail15normal_iteratorINSB_10device_ptrIjEEEENSD_INSE_IS6_EEEESI_S6_NSB_4plusIvEENSB_8equal_toIvEES6_EE10hipError_tPvRmT2_T3_T4_T5_mT6_T7_P12ihipStream_tbENKUlT_T0_E_clISt17integral_constantIbLb0EES12_IbLb1EEEEDaSY_SZ_EUlSY_E_NS1_11comp_targetILNS1_3genE9ELNS1_11target_archE1100ELNS1_3gpuE3ELNS1_3repE0EEENS1_30default_config_static_selectorELNS0_4arch9wavefront6targetE0EEEvT1_
    .private_segment_fixed_size: 0
    .sgpr_count:     0
    .sgpr_spill_count: 0
    .symbol:         _ZN7rocprim17ROCPRIM_400000_NS6detail17trampoline_kernelINS0_14default_configENS1_27scan_by_key_config_selectorIj11FixedVectorIiLj1EEEEZZNS1_16scan_by_key_implILNS1_25lookback_scan_determinismE0ELb1ES3_N6thrust23THRUST_200600_302600_NS6detail15normal_iteratorINSB_10device_ptrIjEEEENSD_INSE_IS6_EEEESI_S6_NSB_4plusIvEENSB_8equal_toIvEES6_EE10hipError_tPvRmT2_T3_T4_T5_mT6_T7_P12ihipStream_tbENKUlT_T0_E_clISt17integral_constantIbLb0EES12_IbLb1EEEEDaSY_SZ_EUlSY_E_NS1_11comp_targetILNS1_3genE9ELNS1_11target_archE1100ELNS1_3gpuE3ELNS1_3repE0EEENS1_30default_config_static_selectorELNS0_4arch9wavefront6targetE0EEEvT1_.kd
    .uniform_work_group_size: 1
    .uses_dynamic_stack: false
    .vgpr_count:     0
    .vgpr_spill_count: 0
    .wavefront_size: 32
  - .args:
      - .offset:         0
        .size:           112
        .value_kind:     by_value
    .group_segment_fixed_size: 0
    .kernarg_segment_align: 8
    .kernarg_segment_size: 112
    .language:       OpenCL C
    .language_version:
      - 2
      - 0
    .max_flat_workgroup_size: 256
    .name:           _ZN7rocprim17ROCPRIM_400000_NS6detail17trampoline_kernelINS0_14default_configENS1_27scan_by_key_config_selectorIj11FixedVectorIiLj1EEEEZZNS1_16scan_by_key_implILNS1_25lookback_scan_determinismE0ELb1ES3_N6thrust23THRUST_200600_302600_NS6detail15normal_iteratorINSB_10device_ptrIjEEEENSD_INSE_IS6_EEEESI_S6_NSB_4plusIvEENSB_8equal_toIvEES6_EE10hipError_tPvRmT2_T3_T4_T5_mT6_T7_P12ihipStream_tbENKUlT_T0_E_clISt17integral_constantIbLb0EES12_IbLb1EEEEDaSY_SZ_EUlSY_E_NS1_11comp_targetILNS1_3genE8ELNS1_11target_archE1030ELNS1_3gpuE2ELNS1_3repE0EEENS1_30default_config_static_selectorELNS0_4arch9wavefront6targetE0EEEvT1_
    .private_segment_fixed_size: 0
    .sgpr_count:     0
    .sgpr_spill_count: 0
    .symbol:         _ZN7rocprim17ROCPRIM_400000_NS6detail17trampoline_kernelINS0_14default_configENS1_27scan_by_key_config_selectorIj11FixedVectorIiLj1EEEEZZNS1_16scan_by_key_implILNS1_25lookback_scan_determinismE0ELb1ES3_N6thrust23THRUST_200600_302600_NS6detail15normal_iteratorINSB_10device_ptrIjEEEENSD_INSE_IS6_EEEESI_S6_NSB_4plusIvEENSB_8equal_toIvEES6_EE10hipError_tPvRmT2_T3_T4_T5_mT6_T7_P12ihipStream_tbENKUlT_T0_E_clISt17integral_constantIbLb0EES12_IbLb1EEEEDaSY_SZ_EUlSY_E_NS1_11comp_targetILNS1_3genE8ELNS1_11target_archE1030ELNS1_3gpuE2ELNS1_3repE0EEENS1_30default_config_static_selectorELNS0_4arch9wavefront6targetE0EEEvT1_.kd
    .uniform_work_group_size: 1
    .uses_dynamic_stack: false
    .vgpr_count:     0
    .vgpr_spill_count: 0
    .wavefront_size: 32
  - .args:
      - .offset:         0
        .size:           16
        .value_kind:     by_value
      - .offset:         16
        .size:           8
        .value_kind:     by_value
      - .offset:         24
        .size:           8
        .value_kind:     by_value
    .group_segment_fixed_size: 0
    .kernarg_segment_align: 8
    .kernarg_segment_size: 32
    .language:       OpenCL C
    .language_version:
      - 2
      - 0
    .max_flat_workgroup_size: 256
    .name:           _ZN6thrust23THRUST_200600_302600_NS11hip_rocprim14__parallel_for6kernelILj256ENS1_10for_each_fINS0_10device_ptrI11FixedVectorIiLj2EEEENS0_6detail16wrapped_functionINS9_23allocator_traits_detail5gozerEvEEEElLj1EEEvT0_T1_SG_
    .private_segment_fixed_size: 0
    .sgpr_count:     0
    .sgpr_spill_count: 0
    .symbol:         _ZN6thrust23THRUST_200600_302600_NS11hip_rocprim14__parallel_for6kernelILj256ENS1_10for_each_fINS0_10device_ptrI11FixedVectorIiLj2EEEENS0_6detail16wrapped_functionINS9_23allocator_traits_detail5gozerEvEEEElLj1EEEvT0_T1_SG_.kd
    .uniform_work_group_size: 1
    .uses_dynamic_stack: false
    .vgpr_count:     0
    .vgpr_spill_count: 0
    .wavefront_size: 32
  - .args:
      - .offset:         0
        .size:           16
        .value_kind:     by_value
      - .offset:         16
        .size:           8
        .value_kind:     by_value
      - .offset:         24
        .size:           8
        .value_kind:     by_value
    .group_segment_fixed_size: 0
    .kernarg_segment_align: 8
    .kernarg_segment_size: 32
    .language:       OpenCL C
    .language_version:
      - 2
      - 0
    .max_flat_workgroup_size: 256
    .name:           _ZN6thrust23THRUST_200600_302600_NS11hip_rocprim14__parallel_for6kernelILj256ENS1_10for_each_fINS0_10device_ptrI11FixedVectorIiLj2EEEENS0_6detail16wrapped_functionINS9_23allocator_traits_detail24construct1_via_allocatorINS0_16device_allocatorIS7_EEEEvEEEEmLj1EEEvT0_T1_SJ_
    .private_segment_fixed_size: 0
    .sgpr_count:     14
    .sgpr_spill_count: 0
    .symbol:         _ZN6thrust23THRUST_200600_302600_NS11hip_rocprim14__parallel_for6kernelILj256ENS1_10for_each_fINS0_10device_ptrI11FixedVectorIiLj2EEEENS0_6detail16wrapped_functionINS9_23allocator_traits_detail24construct1_via_allocatorINS0_16device_allocatorIS7_EEEEvEEEEmLj1EEEvT0_T1_SJ_.kd
    .uniform_work_group_size: 1
    .uses_dynamic_stack: false
    .vgpr_count:     4
    .vgpr_spill_count: 0
    .wavefront_size: 32
  - .args:
      - .address_space:  global
        .offset:         0
        .size:           8
        .value_kind:     global_buffer
      - .offset:         8
        .size:           4
        .value_kind:     by_value
      - .offset:         12
        .size:           4
        .value_kind:     by_value
      - .address_space:  global
        .offset:         16
        .size:           8
        .value_kind:     global_buffer
      - .address_space:  global
        .offset:         24
        .size:           8
        .value_kind:     global_buffer
      - .actual_access:  write_only
        .address_space:  global
        .offset:         32
        .size:           8
        .value_kind:     global_buffer
      - .offset:         40
        .size:           8
        .value_kind:     by_value
      - .offset:         48
        .size:           4
        .value_kind:     by_value
      - .offset:         52
        .size:           1
        .value_kind:     by_value
      - .offset:         56
        .size:           4
        .value_kind:     hidden_block_count_x
      - .offset:         60
        .size:           4
        .value_kind:     hidden_block_count_y
      - .offset:         64
        .size:           4
        .value_kind:     hidden_block_count_z
      - .offset:         68
        .size:           2
        .value_kind:     hidden_group_size_x
      - .offset:         70
        .size:           2
        .value_kind:     hidden_group_size_y
      - .offset:         72
        .size:           2
        .value_kind:     hidden_group_size_z
      - .offset:         74
        .size:           2
        .value_kind:     hidden_remainder_x
      - .offset:         76
        .size:           2
        .value_kind:     hidden_remainder_y
      - .offset:         78
        .size:           2
        .value_kind:     hidden_remainder_z
      - .offset:         96
        .size:           8
        .value_kind:     hidden_global_offset_x
      - .offset:         104
        .size:           8
        .value_kind:     hidden_global_offset_y
      - .offset:         112
        .size:           8
        .value_kind:     hidden_global_offset_z
      - .offset:         120
        .size:           2
        .value_kind:     hidden_grid_dims
    .group_segment_fixed_size: 0
    .kernarg_segment_align: 8
    .kernarg_segment_size: 312
    .language:       OpenCL C
    .language_version:
      - 2
      - 0
    .max_flat_workgroup_size: 256
    .name:           _ZN7rocprim17ROCPRIM_400000_NS6detail30init_device_scan_by_key_kernelINS1_19lookback_scan_stateINS0_5tupleIJ11FixedVectorIiLj2EEbEEELb0ELb1EEEN6thrust23THRUST_200600_302600_NS6detail15normal_iteratorINSA_10device_ptrIjEEEEjNS1_16block_id_wrapperIjLb0EEEEEvT_jjPNSI_10value_typeET0_PNSt15iterator_traitsISL_E10value_typeEmT1_T2_
    .private_segment_fixed_size: 0
    .sgpr_count:     19
    .sgpr_spill_count: 0
    .symbol:         _ZN7rocprim17ROCPRIM_400000_NS6detail30init_device_scan_by_key_kernelINS1_19lookback_scan_stateINS0_5tupleIJ11FixedVectorIiLj2EEbEEELb0ELb1EEEN6thrust23THRUST_200600_302600_NS6detail15normal_iteratorINSA_10device_ptrIjEEEEjNS1_16block_id_wrapperIjLb0EEEEEvT_jjPNSI_10value_typeET0_PNSt15iterator_traitsISL_E10value_typeEmT1_T2_.kd
    .uniform_work_group_size: 1
    .uses_dynamic_stack: false
    .vgpr_count:     10
    .vgpr_spill_count: 0
    .wavefront_size: 32
  - .args:
      - .address_space:  global
        .offset:         0
        .size:           8
        .value_kind:     global_buffer
      - .offset:         8
        .size:           4
        .value_kind:     by_value
      - .offset:         12
        .size:           4
        .value_kind:     by_value
      - .address_space:  global
        .offset:         16
        .size:           8
        .value_kind:     global_buffer
      - .offset:         24
        .size:           1
        .value_kind:     by_value
      - .offset:         32
        .size:           4
        .value_kind:     hidden_block_count_x
      - .offset:         36
        .size:           4
        .value_kind:     hidden_block_count_y
      - .offset:         40
        .size:           4
        .value_kind:     hidden_block_count_z
      - .offset:         44
        .size:           2
        .value_kind:     hidden_group_size_x
      - .offset:         46
        .size:           2
        .value_kind:     hidden_group_size_y
      - .offset:         48
        .size:           2
        .value_kind:     hidden_group_size_z
      - .offset:         50
        .size:           2
        .value_kind:     hidden_remainder_x
      - .offset:         52
        .size:           2
        .value_kind:     hidden_remainder_y
      - .offset:         54
        .size:           2
        .value_kind:     hidden_remainder_z
      - .offset:         72
        .size:           8
        .value_kind:     hidden_global_offset_x
      - .offset:         80
        .size:           8
        .value_kind:     hidden_global_offset_y
      - .offset:         88
        .size:           8
        .value_kind:     hidden_global_offset_z
      - .offset:         96
        .size:           2
        .value_kind:     hidden_grid_dims
    .group_segment_fixed_size: 0
    .kernarg_segment_align: 8
    .kernarg_segment_size: 288
    .language:       OpenCL C
    .language_version:
      - 2
      - 0
    .max_flat_workgroup_size: 256
    .name:           _ZN7rocprim17ROCPRIM_400000_NS6detail30init_device_scan_by_key_kernelINS1_19lookback_scan_stateINS0_5tupleIJ11FixedVectorIiLj2EEbEEELb0ELb1EEENS1_16block_id_wrapperIjLb0EEEEEvT_jjPNSB_10value_typeET0_
    .private_segment_fixed_size: 0
    .sgpr_count:     13
    .sgpr_spill_count: 0
    .symbol:         _ZN7rocprim17ROCPRIM_400000_NS6detail30init_device_scan_by_key_kernelINS1_19lookback_scan_stateINS0_5tupleIJ11FixedVectorIiLj2EEbEEELb0ELb1EEENS1_16block_id_wrapperIjLb0EEEEEvT_jjPNSB_10value_typeET0_.kd
    .uniform_work_group_size: 1
    .uses_dynamic_stack: false
    .vgpr_count:     9
    .vgpr_spill_count: 0
    .wavefront_size: 32
  - .args:
      - .offset:         0
        .size:           120
        .value_kind:     by_value
    .group_segment_fixed_size: 10240
    .kernarg_segment_align: 8
    .kernarg_segment_size: 120
    .language:       OpenCL C
    .language_version:
      - 2
      - 0
    .max_flat_workgroup_size: 128
    .name:           _ZN7rocprim17ROCPRIM_400000_NS6detail17trampoline_kernelINS0_14default_configENS1_27scan_by_key_config_selectorIj11FixedVectorIiLj2EEEEZZNS1_16scan_by_key_implILNS1_25lookback_scan_determinismE0ELb0ES3_N6thrust23THRUST_200600_302600_NS6detail15normal_iteratorINSB_10device_ptrIjEEEENSD_INSE_IS6_EEEESI_S6_NSB_4plusIvEENSB_8equal_toIvEES6_EE10hipError_tPvRmT2_T3_T4_T5_mT6_T7_P12ihipStream_tbENKUlT_T0_E_clISt17integral_constantIbLb0EES13_EEDaSY_SZ_EUlSY_E_NS1_11comp_targetILNS1_3genE0ELNS1_11target_archE4294967295ELNS1_3gpuE0ELNS1_3repE0EEENS1_30default_config_static_selectorELNS0_4arch9wavefront6targetE0EEEvT1_
    .private_segment_fixed_size: 0
    .sgpr_count:     49
    .sgpr_spill_count: 0
    .symbol:         _ZN7rocprim17ROCPRIM_400000_NS6detail17trampoline_kernelINS0_14default_configENS1_27scan_by_key_config_selectorIj11FixedVectorIiLj2EEEEZZNS1_16scan_by_key_implILNS1_25lookback_scan_determinismE0ELb0ES3_N6thrust23THRUST_200600_302600_NS6detail15normal_iteratorINSB_10device_ptrIjEEEENSD_INSE_IS6_EEEESI_S6_NSB_4plusIvEENSB_8equal_toIvEES6_EE10hipError_tPvRmT2_T3_T4_T5_mT6_T7_P12ihipStream_tbENKUlT_T0_E_clISt17integral_constantIbLb0EES13_EEDaSY_SZ_EUlSY_E_NS1_11comp_targetILNS1_3genE0ELNS1_11target_archE4294967295ELNS1_3gpuE0ELNS1_3repE0EEENS1_30default_config_static_selectorELNS0_4arch9wavefront6targetE0EEEvT1_.kd
    .uniform_work_group_size: 1
    .uses_dynamic_stack: false
    .vgpr_count:     74
    .vgpr_spill_count: 0
    .wavefront_size: 32
  - .args:
      - .offset:         0
        .size:           120
        .value_kind:     by_value
    .group_segment_fixed_size: 0
    .kernarg_segment_align: 8
    .kernarg_segment_size: 120
    .language:       OpenCL C
    .language_version:
      - 2
      - 0
    .max_flat_workgroup_size: 256
    .name:           _ZN7rocprim17ROCPRIM_400000_NS6detail17trampoline_kernelINS0_14default_configENS1_27scan_by_key_config_selectorIj11FixedVectorIiLj2EEEEZZNS1_16scan_by_key_implILNS1_25lookback_scan_determinismE0ELb0ES3_N6thrust23THRUST_200600_302600_NS6detail15normal_iteratorINSB_10device_ptrIjEEEENSD_INSE_IS6_EEEESI_S6_NSB_4plusIvEENSB_8equal_toIvEES6_EE10hipError_tPvRmT2_T3_T4_T5_mT6_T7_P12ihipStream_tbENKUlT_T0_E_clISt17integral_constantIbLb0EES13_EEDaSY_SZ_EUlSY_E_NS1_11comp_targetILNS1_3genE10ELNS1_11target_archE1201ELNS1_3gpuE5ELNS1_3repE0EEENS1_30default_config_static_selectorELNS0_4arch9wavefront6targetE0EEEvT1_
    .private_segment_fixed_size: 0
    .sgpr_count:     0
    .sgpr_spill_count: 0
    .symbol:         _ZN7rocprim17ROCPRIM_400000_NS6detail17trampoline_kernelINS0_14default_configENS1_27scan_by_key_config_selectorIj11FixedVectorIiLj2EEEEZZNS1_16scan_by_key_implILNS1_25lookback_scan_determinismE0ELb0ES3_N6thrust23THRUST_200600_302600_NS6detail15normal_iteratorINSB_10device_ptrIjEEEENSD_INSE_IS6_EEEESI_S6_NSB_4plusIvEENSB_8equal_toIvEES6_EE10hipError_tPvRmT2_T3_T4_T5_mT6_T7_P12ihipStream_tbENKUlT_T0_E_clISt17integral_constantIbLb0EES13_EEDaSY_SZ_EUlSY_E_NS1_11comp_targetILNS1_3genE10ELNS1_11target_archE1201ELNS1_3gpuE5ELNS1_3repE0EEENS1_30default_config_static_selectorELNS0_4arch9wavefront6targetE0EEEvT1_.kd
    .uniform_work_group_size: 1
    .uses_dynamic_stack: false
    .vgpr_count:     0
    .vgpr_spill_count: 0
    .wavefront_size: 32
  - .args:
      - .offset:         0
        .size:           120
        .value_kind:     by_value
    .group_segment_fixed_size: 0
    .kernarg_segment_align: 8
    .kernarg_segment_size: 120
    .language:       OpenCL C
    .language_version:
      - 2
      - 0
    .max_flat_workgroup_size: 256
    .name:           _ZN7rocprim17ROCPRIM_400000_NS6detail17trampoline_kernelINS0_14default_configENS1_27scan_by_key_config_selectorIj11FixedVectorIiLj2EEEEZZNS1_16scan_by_key_implILNS1_25lookback_scan_determinismE0ELb0ES3_N6thrust23THRUST_200600_302600_NS6detail15normal_iteratorINSB_10device_ptrIjEEEENSD_INSE_IS6_EEEESI_S6_NSB_4plusIvEENSB_8equal_toIvEES6_EE10hipError_tPvRmT2_T3_T4_T5_mT6_T7_P12ihipStream_tbENKUlT_T0_E_clISt17integral_constantIbLb0EES13_EEDaSY_SZ_EUlSY_E_NS1_11comp_targetILNS1_3genE5ELNS1_11target_archE942ELNS1_3gpuE9ELNS1_3repE0EEENS1_30default_config_static_selectorELNS0_4arch9wavefront6targetE0EEEvT1_
    .private_segment_fixed_size: 0
    .sgpr_count:     0
    .sgpr_spill_count: 0
    .symbol:         _ZN7rocprim17ROCPRIM_400000_NS6detail17trampoline_kernelINS0_14default_configENS1_27scan_by_key_config_selectorIj11FixedVectorIiLj2EEEEZZNS1_16scan_by_key_implILNS1_25lookback_scan_determinismE0ELb0ES3_N6thrust23THRUST_200600_302600_NS6detail15normal_iteratorINSB_10device_ptrIjEEEENSD_INSE_IS6_EEEESI_S6_NSB_4plusIvEENSB_8equal_toIvEES6_EE10hipError_tPvRmT2_T3_T4_T5_mT6_T7_P12ihipStream_tbENKUlT_T0_E_clISt17integral_constantIbLb0EES13_EEDaSY_SZ_EUlSY_E_NS1_11comp_targetILNS1_3genE5ELNS1_11target_archE942ELNS1_3gpuE9ELNS1_3repE0EEENS1_30default_config_static_selectorELNS0_4arch9wavefront6targetE0EEEvT1_.kd
    .uniform_work_group_size: 1
    .uses_dynamic_stack: false
    .vgpr_count:     0
    .vgpr_spill_count: 0
    .wavefront_size: 32
  - .args:
      - .offset:         0
        .size:           120
        .value_kind:     by_value
    .group_segment_fixed_size: 0
    .kernarg_segment_align: 8
    .kernarg_segment_size: 120
    .language:       OpenCL C
    .language_version:
      - 2
      - 0
    .max_flat_workgroup_size: 64
    .name:           _ZN7rocprim17ROCPRIM_400000_NS6detail17trampoline_kernelINS0_14default_configENS1_27scan_by_key_config_selectorIj11FixedVectorIiLj2EEEEZZNS1_16scan_by_key_implILNS1_25lookback_scan_determinismE0ELb0ES3_N6thrust23THRUST_200600_302600_NS6detail15normal_iteratorINSB_10device_ptrIjEEEENSD_INSE_IS6_EEEESI_S6_NSB_4plusIvEENSB_8equal_toIvEES6_EE10hipError_tPvRmT2_T3_T4_T5_mT6_T7_P12ihipStream_tbENKUlT_T0_E_clISt17integral_constantIbLb0EES13_EEDaSY_SZ_EUlSY_E_NS1_11comp_targetILNS1_3genE4ELNS1_11target_archE910ELNS1_3gpuE8ELNS1_3repE0EEENS1_30default_config_static_selectorELNS0_4arch9wavefront6targetE0EEEvT1_
    .private_segment_fixed_size: 0
    .sgpr_count:     0
    .sgpr_spill_count: 0
    .symbol:         _ZN7rocprim17ROCPRIM_400000_NS6detail17trampoline_kernelINS0_14default_configENS1_27scan_by_key_config_selectorIj11FixedVectorIiLj2EEEEZZNS1_16scan_by_key_implILNS1_25lookback_scan_determinismE0ELb0ES3_N6thrust23THRUST_200600_302600_NS6detail15normal_iteratorINSB_10device_ptrIjEEEENSD_INSE_IS6_EEEESI_S6_NSB_4plusIvEENSB_8equal_toIvEES6_EE10hipError_tPvRmT2_T3_T4_T5_mT6_T7_P12ihipStream_tbENKUlT_T0_E_clISt17integral_constantIbLb0EES13_EEDaSY_SZ_EUlSY_E_NS1_11comp_targetILNS1_3genE4ELNS1_11target_archE910ELNS1_3gpuE8ELNS1_3repE0EEENS1_30default_config_static_selectorELNS0_4arch9wavefront6targetE0EEEvT1_.kd
    .uniform_work_group_size: 1
    .uses_dynamic_stack: false
    .vgpr_count:     0
    .vgpr_spill_count: 0
    .wavefront_size: 32
  - .args:
      - .offset:         0
        .size:           120
        .value_kind:     by_value
    .group_segment_fixed_size: 0
    .kernarg_segment_align: 8
    .kernarg_segment_size: 120
    .language:       OpenCL C
    .language_version:
      - 2
      - 0
    .max_flat_workgroup_size: 128
    .name:           _ZN7rocprim17ROCPRIM_400000_NS6detail17trampoline_kernelINS0_14default_configENS1_27scan_by_key_config_selectorIj11FixedVectorIiLj2EEEEZZNS1_16scan_by_key_implILNS1_25lookback_scan_determinismE0ELb0ES3_N6thrust23THRUST_200600_302600_NS6detail15normal_iteratorINSB_10device_ptrIjEEEENSD_INSE_IS6_EEEESI_S6_NSB_4plusIvEENSB_8equal_toIvEES6_EE10hipError_tPvRmT2_T3_T4_T5_mT6_T7_P12ihipStream_tbENKUlT_T0_E_clISt17integral_constantIbLb0EES13_EEDaSY_SZ_EUlSY_E_NS1_11comp_targetILNS1_3genE3ELNS1_11target_archE908ELNS1_3gpuE7ELNS1_3repE0EEENS1_30default_config_static_selectorELNS0_4arch9wavefront6targetE0EEEvT1_
    .private_segment_fixed_size: 0
    .sgpr_count:     0
    .sgpr_spill_count: 0
    .symbol:         _ZN7rocprim17ROCPRIM_400000_NS6detail17trampoline_kernelINS0_14default_configENS1_27scan_by_key_config_selectorIj11FixedVectorIiLj2EEEEZZNS1_16scan_by_key_implILNS1_25lookback_scan_determinismE0ELb0ES3_N6thrust23THRUST_200600_302600_NS6detail15normal_iteratorINSB_10device_ptrIjEEEENSD_INSE_IS6_EEEESI_S6_NSB_4plusIvEENSB_8equal_toIvEES6_EE10hipError_tPvRmT2_T3_T4_T5_mT6_T7_P12ihipStream_tbENKUlT_T0_E_clISt17integral_constantIbLb0EES13_EEDaSY_SZ_EUlSY_E_NS1_11comp_targetILNS1_3genE3ELNS1_11target_archE908ELNS1_3gpuE7ELNS1_3repE0EEENS1_30default_config_static_selectorELNS0_4arch9wavefront6targetE0EEEvT1_.kd
    .uniform_work_group_size: 1
    .uses_dynamic_stack: false
    .vgpr_count:     0
    .vgpr_spill_count: 0
    .wavefront_size: 32
  - .args:
      - .offset:         0
        .size:           120
        .value_kind:     by_value
    .group_segment_fixed_size: 0
    .kernarg_segment_align: 8
    .kernarg_segment_size: 120
    .language:       OpenCL C
    .language_version:
      - 2
      - 0
    .max_flat_workgroup_size: 64
    .name:           _ZN7rocprim17ROCPRIM_400000_NS6detail17trampoline_kernelINS0_14default_configENS1_27scan_by_key_config_selectorIj11FixedVectorIiLj2EEEEZZNS1_16scan_by_key_implILNS1_25lookback_scan_determinismE0ELb0ES3_N6thrust23THRUST_200600_302600_NS6detail15normal_iteratorINSB_10device_ptrIjEEEENSD_INSE_IS6_EEEESI_S6_NSB_4plusIvEENSB_8equal_toIvEES6_EE10hipError_tPvRmT2_T3_T4_T5_mT6_T7_P12ihipStream_tbENKUlT_T0_E_clISt17integral_constantIbLb0EES13_EEDaSY_SZ_EUlSY_E_NS1_11comp_targetILNS1_3genE2ELNS1_11target_archE906ELNS1_3gpuE6ELNS1_3repE0EEENS1_30default_config_static_selectorELNS0_4arch9wavefront6targetE0EEEvT1_
    .private_segment_fixed_size: 0
    .sgpr_count:     0
    .sgpr_spill_count: 0
    .symbol:         _ZN7rocprim17ROCPRIM_400000_NS6detail17trampoline_kernelINS0_14default_configENS1_27scan_by_key_config_selectorIj11FixedVectorIiLj2EEEEZZNS1_16scan_by_key_implILNS1_25lookback_scan_determinismE0ELb0ES3_N6thrust23THRUST_200600_302600_NS6detail15normal_iteratorINSB_10device_ptrIjEEEENSD_INSE_IS6_EEEESI_S6_NSB_4plusIvEENSB_8equal_toIvEES6_EE10hipError_tPvRmT2_T3_T4_T5_mT6_T7_P12ihipStream_tbENKUlT_T0_E_clISt17integral_constantIbLb0EES13_EEDaSY_SZ_EUlSY_E_NS1_11comp_targetILNS1_3genE2ELNS1_11target_archE906ELNS1_3gpuE6ELNS1_3repE0EEENS1_30default_config_static_selectorELNS0_4arch9wavefront6targetE0EEEvT1_.kd
    .uniform_work_group_size: 1
    .uses_dynamic_stack: false
    .vgpr_count:     0
    .vgpr_spill_count: 0
    .wavefront_size: 32
  - .args:
      - .offset:         0
        .size:           120
        .value_kind:     by_value
    .group_segment_fixed_size: 0
    .kernarg_segment_align: 8
    .kernarg_segment_size: 120
    .language:       OpenCL C
    .language_version:
      - 2
      - 0
    .max_flat_workgroup_size: 256
    .name:           _ZN7rocprim17ROCPRIM_400000_NS6detail17trampoline_kernelINS0_14default_configENS1_27scan_by_key_config_selectorIj11FixedVectorIiLj2EEEEZZNS1_16scan_by_key_implILNS1_25lookback_scan_determinismE0ELb0ES3_N6thrust23THRUST_200600_302600_NS6detail15normal_iteratorINSB_10device_ptrIjEEEENSD_INSE_IS6_EEEESI_S6_NSB_4plusIvEENSB_8equal_toIvEES6_EE10hipError_tPvRmT2_T3_T4_T5_mT6_T7_P12ihipStream_tbENKUlT_T0_E_clISt17integral_constantIbLb0EES13_EEDaSY_SZ_EUlSY_E_NS1_11comp_targetILNS1_3genE10ELNS1_11target_archE1200ELNS1_3gpuE4ELNS1_3repE0EEENS1_30default_config_static_selectorELNS0_4arch9wavefront6targetE0EEEvT1_
    .private_segment_fixed_size: 0
    .sgpr_count:     0
    .sgpr_spill_count: 0
    .symbol:         _ZN7rocprim17ROCPRIM_400000_NS6detail17trampoline_kernelINS0_14default_configENS1_27scan_by_key_config_selectorIj11FixedVectorIiLj2EEEEZZNS1_16scan_by_key_implILNS1_25lookback_scan_determinismE0ELb0ES3_N6thrust23THRUST_200600_302600_NS6detail15normal_iteratorINSB_10device_ptrIjEEEENSD_INSE_IS6_EEEESI_S6_NSB_4plusIvEENSB_8equal_toIvEES6_EE10hipError_tPvRmT2_T3_T4_T5_mT6_T7_P12ihipStream_tbENKUlT_T0_E_clISt17integral_constantIbLb0EES13_EEDaSY_SZ_EUlSY_E_NS1_11comp_targetILNS1_3genE10ELNS1_11target_archE1200ELNS1_3gpuE4ELNS1_3repE0EEENS1_30default_config_static_selectorELNS0_4arch9wavefront6targetE0EEEvT1_.kd
    .uniform_work_group_size: 1
    .uses_dynamic_stack: false
    .vgpr_count:     0
    .vgpr_spill_count: 0
    .wavefront_size: 32
  - .args:
      - .offset:         0
        .size:           120
        .value_kind:     by_value
    .group_segment_fixed_size: 0
    .kernarg_segment_align: 8
    .kernarg_segment_size: 120
    .language:       OpenCL C
    .language_version:
      - 2
      - 0
    .max_flat_workgroup_size: 256
    .name:           _ZN7rocprim17ROCPRIM_400000_NS6detail17trampoline_kernelINS0_14default_configENS1_27scan_by_key_config_selectorIj11FixedVectorIiLj2EEEEZZNS1_16scan_by_key_implILNS1_25lookback_scan_determinismE0ELb0ES3_N6thrust23THRUST_200600_302600_NS6detail15normal_iteratorINSB_10device_ptrIjEEEENSD_INSE_IS6_EEEESI_S6_NSB_4plusIvEENSB_8equal_toIvEES6_EE10hipError_tPvRmT2_T3_T4_T5_mT6_T7_P12ihipStream_tbENKUlT_T0_E_clISt17integral_constantIbLb0EES13_EEDaSY_SZ_EUlSY_E_NS1_11comp_targetILNS1_3genE9ELNS1_11target_archE1100ELNS1_3gpuE3ELNS1_3repE0EEENS1_30default_config_static_selectorELNS0_4arch9wavefront6targetE0EEEvT1_
    .private_segment_fixed_size: 0
    .sgpr_count:     0
    .sgpr_spill_count: 0
    .symbol:         _ZN7rocprim17ROCPRIM_400000_NS6detail17trampoline_kernelINS0_14default_configENS1_27scan_by_key_config_selectorIj11FixedVectorIiLj2EEEEZZNS1_16scan_by_key_implILNS1_25lookback_scan_determinismE0ELb0ES3_N6thrust23THRUST_200600_302600_NS6detail15normal_iteratorINSB_10device_ptrIjEEEENSD_INSE_IS6_EEEESI_S6_NSB_4plusIvEENSB_8equal_toIvEES6_EE10hipError_tPvRmT2_T3_T4_T5_mT6_T7_P12ihipStream_tbENKUlT_T0_E_clISt17integral_constantIbLb0EES13_EEDaSY_SZ_EUlSY_E_NS1_11comp_targetILNS1_3genE9ELNS1_11target_archE1100ELNS1_3gpuE3ELNS1_3repE0EEENS1_30default_config_static_selectorELNS0_4arch9wavefront6targetE0EEEvT1_.kd
    .uniform_work_group_size: 1
    .uses_dynamic_stack: false
    .vgpr_count:     0
    .vgpr_spill_count: 0
    .wavefront_size: 32
  - .args:
      - .offset:         0
        .size:           120
        .value_kind:     by_value
    .group_segment_fixed_size: 0
    .kernarg_segment_align: 8
    .kernarg_segment_size: 120
    .language:       OpenCL C
    .language_version:
      - 2
      - 0
    .max_flat_workgroup_size: 256
    .name:           _ZN7rocprim17ROCPRIM_400000_NS6detail17trampoline_kernelINS0_14default_configENS1_27scan_by_key_config_selectorIj11FixedVectorIiLj2EEEEZZNS1_16scan_by_key_implILNS1_25lookback_scan_determinismE0ELb0ES3_N6thrust23THRUST_200600_302600_NS6detail15normal_iteratorINSB_10device_ptrIjEEEENSD_INSE_IS6_EEEESI_S6_NSB_4plusIvEENSB_8equal_toIvEES6_EE10hipError_tPvRmT2_T3_T4_T5_mT6_T7_P12ihipStream_tbENKUlT_T0_E_clISt17integral_constantIbLb0EES13_EEDaSY_SZ_EUlSY_E_NS1_11comp_targetILNS1_3genE8ELNS1_11target_archE1030ELNS1_3gpuE2ELNS1_3repE0EEENS1_30default_config_static_selectorELNS0_4arch9wavefront6targetE0EEEvT1_
    .private_segment_fixed_size: 0
    .sgpr_count:     0
    .sgpr_spill_count: 0
    .symbol:         _ZN7rocprim17ROCPRIM_400000_NS6detail17trampoline_kernelINS0_14default_configENS1_27scan_by_key_config_selectorIj11FixedVectorIiLj2EEEEZZNS1_16scan_by_key_implILNS1_25lookback_scan_determinismE0ELb0ES3_N6thrust23THRUST_200600_302600_NS6detail15normal_iteratorINSB_10device_ptrIjEEEENSD_INSE_IS6_EEEESI_S6_NSB_4plusIvEENSB_8equal_toIvEES6_EE10hipError_tPvRmT2_T3_T4_T5_mT6_T7_P12ihipStream_tbENKUlT_T0_E_clISt17integral_constantIbLb0EES13_EEDaSY_SZ_EUlSY_E_NS1_11comp_targetILNS1_3genE8ELNS1_11target_archE1030ELNS1_3gpuE2ELNS1_3repE0EEENS1_30default_config_static_selectorELNS0_4arch9wavefront6targetE0EEEvT1_.kd
    .uniform_work_group_size: 1
    .uses_dynamic_stack: false
    .vgpr_count:     0
    .vgpr_spill_count: 0
    .wavefront_size: 32
  - .args:
      - .address_space:  global
        .offset:         0
        .size:           8
        .value_kind:     global_buffer
      - .offset:         8
        .size:           4
        .value_kind:     by_value
      - .offset:         12
        .size:           4
        .value_kind:     by_value
      - .address_space:  global
        .offset:         16
        .size:           8
        .value_kind:     global_buffer
      - .address_space:  global
        .offset:         24
        .size:           8
        .value_kind:     global_buffer
      - .actual_access:  write_only
        .address_space:  global
        .offset:         32
        .size:           8
        .value_kind:     global_buffer
      - .offset:         40
        .size:           8
        .value_kind:     by_value
      - .offset:         48
        .size:           4
        .value_kind:     by_value
      - .address_space:  global
        .offset:         56
        .size:           8
        .value_kind:     global_buffer
      - .offset:         64
        .size:           4
        .value_kind:     hidden_block_count_x
      - .offset:         68
        .size:           4
        .value_kind:     hidden_block_count_y
      - .offset:         72
        .size:           4
        .value_kind:     hidden_block_count_z
      - .offset:         76
        .size:           2
        .value_kind:     hidden_group_size_x
      - .offset:         78
        .size:           2
        .value_kind:     hidden_group_size_y
      - .offset:         80
        .size:           2
        .value_kind:     hidden_group_size_z
      - .offset:         82
        .size:           2
        .value_kind:     hidden_remainder_x
      - .offset:         84
        .size:           2
        .value_kind:     hidden_remainder_y
      - .offset:         86
        .size:           2
        .value_kind:     hidden_remainder_z
      - .offset:         104
        .size:           8
        .value_kind:     hidden_global_offset_x
      - .offset:         112
        .size:           8
        .value_kind:     hidden_global_offset_y
      - .offset:         120
        .size:           8
        .value_kind:     hidden_global_offset_z
      - .offset:         128
        .size:           2
        .value_kind:     hidden_grid_dims
    .group_segment_fixed_size: 0
    .kernarg_segment_align: 8
    .kernarg_segment_size: 320
    .language:       OpenCL C
    .language_version:
      - 2
      - 0
    .max_flat_workgroup_size: 256
    .name:           _ZN7rocprim17ROCPRIM_400000_NS6detail30init_device_scan_by_key_kernelINS1_19lookback_scan_stateINS0_5tupleIJ11FixedVectorIiLj2EEbEEELb1ELb1EEEN6thrust23THRUST_200600_302600_NS6detail15normal_iteratorINSA_10device_ptrIjEEEEjNS1_16block_id_wrapperIjLb1EEEEEvT_jjPNSI_10value_typeET0_PNSt15iterator_traitsISL_E10value_typeEmT1_T2_
    .private_segment_fixed_size: 0
    .sgpr_count:     19
    .sgpr_spill_count: 0
    .symbol:         _ZN7rocprim17ROCPRIM_400000_NS6detail30init_device_scan_by_key_kernelINS1_19lookback_scan_stateINS0_5tupleIJ11FixedVectorIiLj2EEbEEELb1ELb1EEEN6thrust23THRUST_200600_302600_NS6detail15normal_iteratorINSA_10device_ptrIjEEEEjNS1_16block_id_wrapperIjLb1EEEEEvT_jjPNSI_10value_typeET0_PNSt15iterator_traitsISL_E10value_typeEmT1_T2_.kd
    .uniform_work_group_size: 1
    .uses_dynamic_stack: false
    .vgpr_count:     10
    .vgpr_spill_count: 0
    .wavefront_size: 32
  - .args:
      - .address_space:  global
        .offset:         0
        .size:           8
        .value_kind:     global_buffer
      - .offset:         8
        .size:           4
        .value_kind:     by_value
      - .offset:         12
        .size:           4
        .value_kind:     by_value
      - .address_space:  global
        .offset:         16
        .size:           8
        .value_kind:     global_buffer
      - .address_space:  global
        .offset:         24
        .size:           8
        .value_kind:     global_buffer
      - .offset:         32
        .size:           4
        .value_kind:     hidden_block_count_x
      - .offset:         36
        .size:           4
        .value_kind:     hidden_block_count_y
      - .offset:         40
        .size:           4
        .value_kind:     hidden_block_count_z
      - .offset:         44
        .size:           2
        .value_kind:     hidden_group_size_x
      - .offset:         46
        .size:           2
        .value_kind:     hidden_group_size_y
      - .offset:         48
        .size:           2
        .value_kind:     hidden_group_size_z
      - .offset:         50
        .size:           2
        .value_kind:     hidden_remainder_x
      - .offset:         52
        .size:           2
        .value_kind:     hidden_remainder_y
      - .offset:         54
        .size:           2
        .value_kind:     hidden_remainder_z
      - .offset:         72
        .size:           8
        .value_kind:     hidden_global_offset_x
      - .offset:         80
        .size:           8
        .value_kind:     hidden_global_offset_y
      - .offset:         88
        .size:           8
        .value_kind:     hidden_global_offset_z
      - .offset:         96
        .size:           2
        .value_kind:     hidden_grid_dims
    .group_segment_fixed_size: 0
    .kernarg_segment_align: 8
    .kernarg_segment_size: 288
    .language:       OpenCL C
    .language_version:
      - 2
      - 0
    .max_flat_workgroup_size: 256
    .name:           _ZN7rocprim17ROCPRIM_400000_NS6detail30init_device_scan_by_key_kernelINS1_19lookback_scan_stateINS0_5tupleIJ11FixedVectorIiLj2EEbEEELb1ELb1EEENS1_16block_id_wrapperIjLb1EEEEEvT_jjPNSB_10value_typeET0_
    .private_segment_fixed_size: 0
    .sgpr_count:     15
    .sgpr_spill_count: 0
    .symbol:         _ZN7rocprim17ROCPRIM_400000_NS6detail30init_device_scan_by_key_kernelINS1_19lookback_scan_stateINS0_5tupleIJ11FixedVectorIiLj2EEbEEELb1ELb1EEENS1_16block_id_wrapperIjLb1EEEEEvT_jjPNSB_10value_typeET0_.kd
    .uniform_work_group_size: 1
    .uses_dynamic_stack: false
    .vgpr_count:     9
    .vgpr_spill_count: 0
    .wavefront_size: 32
  - .args:
      - .offset:         0
        .size:           120
        .value_kind:     by_value
    .group_segment_fixed_size: 0
    .kernarg_segment_align: 8
    .kernarg_segment_size: 120
    .language:       OpenCL C
    .language_version:
      - 2
      - 0
    .max_flat_workgroup_size: 128
    .name:           _ZN7rocprim17ROCPRIM_400000_NS6detail17trampoline_kernelINS0_14default_configENS1_27scan_by_key_config_selectorIj11FixedVectorIiLj2EEEEZZNS1_16scan_by_key_implILNS1_25lookback_scan_determinismE0ELb0ES3_N6thrust23THRUST_200600_302600_NS6detail15normal_iteratorINSB_10device_ptrIjEEEENSD_INSE_IS6_EEEESI_S6_NSB_4plusIvEENSB_8equal_toIvEES6_EE10hipError_tPvRmT2_T3_T4_T5_mT6_T7_P12ihipStream_tbENKUlT_T0_E_clISt17integral_constantIbLb1EES13_EEDaSY_SZ_EUlSY_E_NS1_11comp_targetILNS1_3genE0ELNS1_11target_archE4294967295ELNS1_3gpuE0ELNS1_3repE0EEENS1_30default_config_static_selectorELNS0_4arch9wavefront6targetE0EEEvT1_
    .private_segment_fixed_size: 0
    .sgpr_count:     0
    .sgpr_spill_count: 0
    .symbol:         _ZN7rocprim17ROCPRIM_400000_NS6detail17trampoline_kernelINS0_14default_configENS1_27scan_by_key_config_selectorIj11FixedVectorIiLj2EEEEZZNS1_16scan_by_key_implILNS1_25lookback_scan_determinismE0ELb0ES3_N6thrust23THRUST_200600_302600_NS6detail15normal_iteratorINSB_10device_ptrIjEEEENSD_INSE_IS6_EEEESI_S6_NSB_4plusIvEENSB_8equal_toIvEES6_EE10hipError_tPvRmT2_T3_T4_T5_mT6_T7_P12ihipStream_tbENKUlT_T0_E_clISt17integral_constantIbLb1EES13_EEDaSY_SZ_EUlSY_E_NS1_11comp_targetILNS1_3genE0ELNS1_11target_archE4294967295ELNS1_3gpuE0ELNS1_3repE0EEENS1_30default_config_static_selectorELNS0_4arch9wavefront6targetE0EEEvT1_.kd
    .uniform_work_group_size: 1
    .uses_dynamic_stack: false
    .vgpr_count:     0
    .vgpr_spill_count: 0
    .wavefront_size: 32
  - .args:
      - .offset:         0
        .size:           120
        .value_kind:     by_value
    .group_segment_fixed_size: 0
    .kernarg_segment_align: 8
    .kernarg_segment_size: 120
    .language:       OpenCL C
    .language_version:
      - 2
      - 0
    .max_flat_workgroup_size: 256
    .name:           _ZN7rocprim17ROCPRIM_400000_NS6detail17trampoline_kernelINS0_14default_configENS1_27scan_by_key_config_selectorIj11FixedVectorIiLj2EEEEZZNS1_16scan_by_key_implILNS1_25lookback_scan_determinismE0ELb0ES3_N6thrust23THRUST_200600_302600_NS6detail15normal_iteratorINSB_10device_ptrIjEEEENSD_INSE_IS6_EEEESI_S6_NSB_4plusIvEENSB_8equal_toIvEES6_EE10hipError_tPvRmT2_T3_T4_T5_mT6_T7_P12ihipStream_tbENKUlT_T0_E_clISt17integral_constantIbLb1EES13_EEDaSY_SZ_EUlSY_E_NS1_11comp_targetILNS1_3genE10ELNS1_11target_archE1201ELNS1_3gpuE5ELNS1_3repE0EEENS1_30default_config_static_selectorELNS0_4arch9wavefront6targetE0EEEvT1_
    .private_segment_fixed_size: 0
    .sgpr_count:     0
    .sgpr_spill_count: 0
    .symbol:         _ZN7rocprim17ROCPRIM_400000_NS6detail17trampoline_kernelINS0_14default_configENS1_27scan_by_key_config_selectorIj11FixedVectorIiLj2EEEEZZNS1_16scan_by_key_implILNS1_25lookback_scan_determinismE0ELb0ES3_N6thrust23THRUST_200600_302600_NS6detail15normal_iteratorINSB_10device_ptrIjEEEENSD_INSE_IS6_EEEESI_S6_NSB_4plusIvEENSB_8equal_toIvEES6_EE10hipError_tPvRmT2_T3_T4_T5_mT6_T7_P12ihipStream_tbENKUlT_T0_E_clISt17integral_constantIbLb1EES13_EEDaSY_SZ_EUlSY_E_NS1_11comp_targetILNS1_3genE10ELNS1_11target_archE1201ELNS1_3gpuE5ELNS1_3repE0EEENS1_30default_config_static_selectorELNS0_4arch9wavefront6targetE0EEEvT1_.kd
    .uniform_work_group_size: 1
    .uses_dynamic_stack: false
    .vgpr_count:     0
    .vgpr_spill_count: 0
    .wavefront_size: 32
  - .args:
      - .offset:         0
        .size:           120
        .value_kind:     by_value
    .group_segment_fixed_size: 0
    .kernarg_segment_align: 8
    .kernarg_segment_size: 120
    .language:       OpenCL C
    .language_version:
      - 2
      - 0
    .max_flat_workgroup_size: 256
    .name:           _ZN7rocprim17ROCPRIM_400000_NS6detail17trampoline_kernelINS0_14default_configENS1_27scan_by_key_config_selectorIj11FixedVectorIiLj2EEEEZZNS1_16scan_by_key_implILNS1_25lookback_scan_determinismE0ELb0ES3_N6thrust23THRUST_200600_302600_NS6detail15normal_iteratorINSB_10device_ptrIjEEEENSD_INSE_IS6_EEEESI_S6_NSB_4plusIvEENSB_8equal_toIvEES6_EE10hipError_tPvRmT2_T3_T4_T5_mT6_T7_P12ihipStream_tbENKUlT_T0_E_clISt17integral_constantIbLb1EES13_EEDaSY_SZ_EUlSY_E_NS1_11comp_targetILNS1_3genE5ELNS1_11target_archE942ELNS1_3gpuE9ELNS1_3repE0EEENS1_30default_config_static_selectorELNS0_4arch9wavefront6targetE0EEEvT1_
    .private_segment_fixed_size: 0
    .sgpr_count:     0
    .sgpr_spill_count: 0
    .symbol:         _ZN7rocprim17ROCPRIM_400000_NS6detail17trampoline_kernelINS0_14default_configENS1_27scan_by_key_config_selectorIj11FixedVectorIiLj2EEEEZZNS1_16scan_by_key_implILNS1_25lookback_scan_determinismE0ELb0ES3_N6thrust23THRUST_200600_302600_NS6detail15normal_iteratorINSB_10device_ptrIjEEEENSD_INSE_IS6_EEEESI_S6_NSB_4plusIvEENSB_8equal_toIvEES6_EE10hipError_tPvRmT2_T3_T4_T5_mT6_T7_P12ihipStream_tbENKUlT_T0_E_clISt17integral_constantIbLb1EES13_EEDaSY_SZ_EUlSY_E_NS1_11comp_targetILNS1_3genE5ELNS1_11target_archE942ELNS1_3gpuE9ELNS1_3repE0EEENS1_30default_config_static_selectorELNS0_4arch9wavefront6targetE0EEEvT1_.kd
    .uniform_work_group_size: 1
    .uses_dynamic_stack: false
    .vgpr_count:     0
    .vgpr_spill_count: 0
    .wavefront_size: 32
  - .args:
      - .offset:         0
        .size:           120
        .value_kind:     by_value
    .group_segment_fixed_size: 0
    .kernarg_segment_align: 8
    .kernarg_segment_size: 120
    .language:       OpenCL C
    .language_version:
      - 2
      - 0
    .max_flat_workgroup_size: 64
    .name:           _ZN7rocprim17ROCPRIM_400000_NS6detail17trampoline_kernelINS0_14default_configENS1_27scan_by_key_config_selectorIj11FixedVectorIiLj2EEEEZZNS1_16scan_by_key_implILNS1_25lookback_scan_determinismE0ELb0ES3_N6thrust23THRUST_200600_302600_NS6detail15normal_iteratorINSB_10device_ptrIjEEEENSD_INSE_IS6_EEEESI_S6_NSB_4plusIvEENSB_8equal_toIvEES6_EE10hipError_tPvRmT2_T3_T4_T5_mT6_T7_P12ihipStream_tbENKUlT_T0_E_clISt17integral_constantIbLb1EES13_EEDaSY_SZ_EUlSY_E_NS1_11comp_targetILNS1_3genE4ELNS1_11target_archE910ELNS1_3gpuE8ELNS1_3repE0EEENS1_30default_config_static_selectorELNS0_4arch9wavefront6targetE0EEEvT1_
    .private_segment_fixed_size: 0
    .sgpr_count:     0
    .sgpr_spill_count: 0
    .symbol:         _ZN7rocprim17ROCPRIM_400000_NS6detail17trampoline_kernelINS0_14default_configENS1_27scan_by_key_config_selectorIj11FixedVectorIiLj2EEEEZZNS1_16scan_by_key_implILNS1_25lookback_scan_determinismE0ELb0ES3_N6thrust23THRUST_200600_302600_NS6detail15normal_iteratorINSB_10device_ptrIjEEEENSD_INSE_IS6_EEEESI_S6_NSB_4plusIvEENSB_8equal_toIvEES6_EE10hipError_tPvRmT2_T3_T4_T5_mT6_T7_P12ihipStream_tbENKUlT_T0_E_clISt17integral_constantIbLb1EES13_EEDaSY_SZ_EUlSY_E_NS1_11comp_targetILNS1_3genE4ELNS1_11target_archE910ELNS1_3gpuE8ELNS1_3repE0EEENS1_30default_config_static_selectorELNS0_4arch9wavefront6targetE0EEEvT1_.kd
    .uniform_work_group_size: 1
    .uses_dynamic_stack: false
    .vgpr_count:     0
    .vgpr_spill_count: 0
    .wavefront_size: 32
  - .args:
      - .offset:         0
        .size:           120
        .value_kind:     by_value
    .group_segment_fixed_size: 0
    .kernarg_segment_align: 8
    .kernarg_segment_size: 120
    .language:       OpenCL C
    .language_version:
      - 2
      - 0
    .max_flat_workgroup_size: 128
    .name:           _ZN7rocprim17ROCPRIM_400000_NS6detail17trampoline_kernelINS0_14default_configENS1_27scan_by_key_config_selectorIj11FixedVectorIiLj2EEEEZZNS1_16scan_by_key_implILNS1_25lookback_scan_determinismE0ELb0ES3_N6thrust23THRUST_200600_302600_NS6detail15normal_iteratorINSB_10device_ptrIjEEEENSD_INSE_IS6_EEEESI_S6_NSB_4plusIvEENSB_8equal_toIvEES6_EE10hipError_tPvRmT2_T3_T4_T5_mT6_T7_P12ihipStream_tbENKUlT_T0_E_clISt17integral_constantIbLb1EES13_EEDaSY_SZ_EUlSY_E_NS1_11comp_targetILNS1_3genE3ELNS1_11target_archE908ELNS1_3gpuE7ELNS1_3repE0EEENS1_30default_config_static_selectorELNS0_4arch9wavefront6targetE0EEEvT1_
    .private_segment_fixed_size: 0
    .sgpr_count:     0
    .sgpr_spill_count: 0
    .symbol:         _ZN7rocprim17ROCPRIM_400000_NS6detail17trampoline_kernelINS0_14default_configENS1_27scan_by_key_config_selectorIj11FixedVectorIiLj2EEEEZZNS1_16scan_by_key_implILNS1_25lookback_scan_determinismE0ELb0ES3_N6thrust23THRUST_200600_302600_NS6detail15normal_iteratorINSB_10device_ptrIjEEEENSD_INSE_IS6_EEEESI_S6_NSB_4plusIvEENSB_8equal_toIvEES6_EE10hipError_tPvRmT2_T3_T4_T5_mT6_T7_P12ihipStream_tbENKUlT_T0_E_clISt17integral_constantIbLb1EES13_EEDaSY_SZ_EUlSY_E_NS1_11comp_targetILNS1_3genE3ELNS1_11target_archE908ELNS1_3gpuE7ELNS1_3repE0EEENS1_30default_config_static_selectorELNS0_4arch9wavefront6targetE0EEEvT1_.kd
    .uniform_work_group_size: 1
    .uses_dynamic_stack: false
    .vgpr_count:     0
    .vgpr_spill_count: 0
    .wavefront_size: 32
  - .args:
      - .offset:         0
        .size:           120
        .value_kind:     by_value
    .group_segment_fixed_size: 0
    .kernarg_segment_align: 8
    .kernarg_segment_size: 120
    .language:       OpenCL C
    .language_version:
      - 2
      - 0
    .max_flat_workgroup_size: 64
    .name:           _ZN7rocprim17ROCPRIM_400000_NS6detail17trampoline_kernelINS0_14default_configENS1_27scan_by_key_config_selectorIj11FixedVectorIiLj2EEEEZZNS1_16scan_by_key_implILNS1_25lookback_scan_determinismE0ELb0ES3_N6thrust23THRUST_200600_302600_NS6detail15normal_iteratorINSB_10device_ptrIjEEEENSD_INSE_IS6_EEEESI_S6_NSB_4plusIvEENSB_8equal_toIvEES6_EE10hipError_tPvRmT2_T3_T4_T5_mT6_T7_P12ihipStream_tbENKUlT_T0_E_clISt17integral_constantIbLb1EES13_EEDaSY_SZ_EUlSY_E_NS1_11comp_targetILNS1_3genE2ELNS1_11target_archE906ELNS1_3gpuE6ELNS1_3repE0EEENS1_30default_config_static_selectorELNS0_4arch9wavefront6targetE0EEEvT1_
    .private_segment_fixed_size: 0
    .sgpr_count:     0
    .sgpr_spill_count: 0
    .symbol:         _ZN7rocprim17ROCPRIM_400000_NS6detail17trampoline_kernelINS0_14default_configENS1_27scan_by_key_config_selectorIj11FixedVectorIiLj2EEEEZZNS1_16scan_by_key_implILNS1_25lookback_scan_determinismE0ELb0ES3_N6thrust23THRUST_200600_302600_NS6detail15normal_iteratorINSB_10device_ptrIjEEEENSD_INSE_IS6_EEEESI_S6_NSB_4plusIvEENSB_8equal_toIvEES6_EE10hipError_tPvRmT2_T3_T4_T5_mT6_T7_P12ihipStream_tbENKUlT_T0_E_clISt17integral_constantIbLb1EES13_EEDaSY_SZ_EUlSY_E_NS1_11comp_targetILNS1_3genE2ELNS1_11target_archE906ELNS1_3gpuE6ELNS1_3repE0EEENS1_30default_config_static_selectorELNS0_4arch9wavefront6targetE0EEEvT1_.kd
    .uniform_work_group_size: 1
    .uses_dynamic_stack: false
    .vgpr_count:     0
    .vgpr_spill_count: 0
    .wavefront_size: 32
  - .args:
      - .offset:         0
        .size:           120
        .value_kind:     by_value
    .group_segment_fixed_size: 0
    .kernarg_segment_align: 8
    .kernarg_segment_size: 120
    .language:       OpenCL C
    .language_version:
      - 2
      - 0
    .max_flat_workgroup_size: 256
    .name:           _ZN7rocprim17ROCPRIM_400000_NS6detail17trampoline_kernelINS0_14default_configENS1_27scan_by_key_config_selectorIj11FixedVectorIiLj2EEEEZZNS1_16scan_by_key_implILNS1_25lookback_scan_determinismE0ELb0ES3_N6thrust23THRUST_200600_302600_NS6detail15normal_iteratorINSB_10device_ptrIjEEEENSD_INSE_IS6_EEEESI_S6_NSB_4plusIvEENSB_8equal_toIvEES6_EE10hipError_tPvRmT2_T3_T4_T5_mT6_T7_P12ihipStream_tbENKUlT_T0_E_clISt17integral_constantIbLb1EES13_EEDaSY_SZ_EUlSY_E_NS1_11comp_targetILNS1_3genE10ELNS1_11target_archE1200ELNS1_3gpuE4ELNS1_3repE0EEENS1_30default_config_static_selectorELNS0_4arch9wavefront6targetE0EEEvT1_
    .private_segment_fixed_size: 0
    .sgpr_count:     0
    .sgpr_spill_count: 0
    .symbol:         _ZN7rocprim17ROCPRIM_400000_NS6detail17trampoline_kernelINS0_14default_configENS1_27scan_by_key_config_selectorIj11FixedVectorIiLj2EEEEZZNS1_16scan_by_key_implILNS1_25lookback_scan_determinismE0ELb0ES3_N6thrust23THRUST_200600_302600_NS6detail15normal_iteratorINSB_10device_ptrIjEEEENSD_INSE_IS6_EEEESI_S6_NSB_4plusIvEENSB_8equal_toIvEES6_EE10hipError_tPvRmT2_T3_T4_T5_mT6_T7_P12ihipStream_tbENKUlT_T0_E_clISt17integral_constantIbLb1EES13_EEDaSY_SZ_EUlSY_E_NS1_11comp_targetILNS1_3genE10ELNS1_11target_archE1200ELNS1_3gpuE4ELNS1_3repE0EEENS1_30default_config_static_selectorELNS0_4arch9wavefront6targetE0EEEvT1_.kd
    .uniform_work_group_size: 1
    .uses_dynamic_stack: false
    .vgpr_count:     0
    .vgpr_spill_count: 0
    .wavefront_size: 32
  - .args:
      - .offset:         0
        .size:           120
        .value_kind:     by_value
    .group_segment_fixed_size: 0
    .kernarg_segment_align: 8
    .kernarg_segment_size: 120
    .language:       OpenCL C
    .language_version:
      - 2
      - 0
    .max_flat_workgroup_size: 256
    .name:           _ZN7rocprim17ROCPRIM_400000_NS6detail17trampoline_kernelINS0_14default_configENS1_27scan_by_key_config_selectorIj11FixedVectorIiLj2EEEEZZNS1_16scan_by_key_implILNS1_25lookback_scan_determinismE0ELb0ES3_N6thrust23THRUST_200600_302600_NS6detail15normal_iteratorINSB_10device_ptrIjEEEENSD_INSE_IS6_EEEESI_S6_NSB_4plusIvEENSB_8equal_toIvEES6_EE10hipError_tPvRmT2_T3_T4_T5_mT6_T7_P12ihipStream_tbENKUlT_T0_E_clISt17integral_constantIbLb1EES13_EEDaSY_SZ_EUlSY_E_NS1_11comp_targetILNS1_3genE9ELNS1_11target_archE1100ELNS1_3gpuE3ELNS1_3repE0EEENS1_30default_config_static_selectorELNS0_4arch9wavefront6targetE0EEEvT1_
    .private_segment_fixed_size: 0
    .sgpr_count:     0
    .sgpr_spill_count: 0
    .symbol:         _ZN7rocprim17ROCPRIM_400000_NS6detail17trampoline_kernelINS0_14default_configENS1_27scan_by_key_config_selectorIj11FixedVectorIiLj2EEEEZZNS1_16scan_by_key_implILNS1_25lookback_scan_determinismE0ELb0ES3_N6thrust23THRUST_200600_302600_NS6detail15normal_iteratorINSB_10device_ptrIjEEEENSD_INSE_IS6_EEEESI_S6_NSB_4plusIvEENSB_8equal_toIvEES6_EE10hipError_tPvRmT2_T3_T4_T5_mT6_T7_P12ihipStream_tbENKUlT_T0_E_clISt17integral_constantIbLb1EES13_EEDaSY_SZ_EUlSY_E_NS1_11comp_targetILNS1_3genE9ELNS1_11target_archE1100ELNS1_3gpuE3ELNS1_3repE0EEENS1_30default_config_static_selectorELNS0_4arch9wavefront6targetE0EEEvT1_.kd
    .uniform_work_group_size: 1
    .uses_dynamic_stack: false
    .vgpr_count:     0
    .vgpr_spill_count: 0
    .wavefront_size: 32
  - .args:
      - .offset:         0
        .size:           120
        .value_kind:     by_value
    .group_segment_fixed_size: 0
    .kernarg_segment_align: 8
    .kernarg_segment_size: 120
    .language:       OpenCL C
    .language_version:
      - 2
      - 0
    .max_flat_workgroup_size: 256
    .name:           _ZN7rocprim17ROCPRIM_400000_NS6detail17trampoline_kernelINS0_14default_configENS1_27scan_by_key_config_selectorIj11FixedVectorIiLj2EEEEZZNS1_16scan_by_key_implILNS1_25lookback_scan_determinismE0ELb0ES3_N6thrust23THRUST_200600_302600_NS6detail15normal_iteratorINSB_10device_ptrIjEEEENSD_INSE_IS6_EEEESI_S6_NSB_4plusIvEENSB_8equal_toIvEES6_EE10hipError_tPvRmT2_T3_T4_T5_mT6_T7_P12ihipStream_tbENKUlT_T0_E_clISt17integral_constantIbLb1EES13_EEDaSY_SZ_EUlSY_E_NS1_11comp_targetILNS1_3genE8ELNS1_11target_archE1030ELNS1_3gpuE2ELNS1_3repE0EEENS1_30default_config_static_selectorELNS0_4arch9wavefront6targetE0EEEvT1_
    .private_segment_fixed_size: 0
    .sgpr_count:     0
    .sgpr_spill_count: 0
    .symbol:         _ZN7rocprim17ROCPRIM_400000_NS6detail17trampoline_kernelINS0_14default_configENS1_27scan_by_key_config_selectorIj11FixedVectorIiLj2EEEEZZNS1_16scan_by_key_implILNS1_25lookback_scan_determinismE0ELb0ES3_N6thrust23THRUST_200600_302600_NS6detail15normal_iteratorINSB_10device_ptrIjEEEENSD_INSE_IS6_EEEESI_S6_NSB_4plusIvEENSB_8equal_toIvEES6_EE10hipError_tPvRmT2_T3_T4_T5_mT6_T7_P12ihipStream_tbENKUlT_T0_E_clISt17integral_constantIbLb1EES13_EEDaSY_SZ_EUlSY_E_NS1_11comp_targetILNS1_3genE8ELNS1_11target_archE1030ELNS1_3gpuE2ELNS1_3repE0EEENS1_30default_config_static_selectorELNS0_4arch9wavefront6targetE0EEEvT1_.kd
    .uniform_work_group_size: 1
    .uses_dynamic_stack: false
    .vgpr_count:     0
    .vgpr_spill_count: 0
    .wavefront_size: 32
  - .args:
      - .address_space:  global
        .offset:         0
        .size:           8
        .value_kind:     global_buffer
      - .offset:         8
        .size:           4
        .value_kind:     by_value
      - .offset:         12
        .size:           4
        .value_kind:     by_value
      - .address_space:  global
        .offset:         16
        .size:           8
        .value_kind:     global_buffer
      - .address_space:  global
        .offset:         24
        .size:           8
        .value_kind:     global_buffer
      - .actual_access:  write_only
        .address_space:  global
        .offset:         32
        .size:           8
        .value_kind:     global_buffer
      - .offset:         40
        .size:           8
        .value_kind:     by_value
      - .offset:         48
        .size:           4
        .value_kind:     by_value
      - .offset:         52
        .size:           1
        .value_kind:     by_value
      - .offset:         56
        .size:           4
        .value_kind:     hidden_block_count_x
      - .offset:         60
        .size:           4
        .value_kind:     hidden_block_count_y
      - .offset:         64
        .size:           4
        .value_kind:     hidden_block_count_z
      - .offset:         68
        .size:           2
        .value_kind:     hidden_group_size_x
      - .offset:         70
        .size:           2
        .value_kind:     hidden_group_size_y
      - .offset:         72
        .size:           2
        .value_kind:     hidden_group_size_z
      - .offset:         74
        .size:           2
        .value_kind:     hidden_remainder_x
      - .offset:         76
        .size:           2
        .value_kind:     hidden_remainder_y
      - .offset:         78
        .size:           2
        .value_kind:     hidden_remainder_z
      - .offset:         96
        .size:           8
        .value_kind:     hidden_global_offset_x
      - .offset:         104
        .size:           8
        .value_kind:     hidden_global_offset_y
      - .offset:         112
        .size:           8
        .value_kind:     hidden_global_offset_z
      - .offset:         120
        .size:           2
        .value_kind:     hidden_grid_dims
    .group_segment_fixed_size: 0
    .kernarg_segment_align: 8
    .kernarg_segment_size: 312
    .language:       OpenCL C
    .language_version:
      - 2
      - 0
    .max_flat_workgroup_size: 256
    .name:           _ZN7rocprim17ROCPRIM_400000_NS6detail30init_device_scan_by_key_kernelINS1_19lookback_scan_stateINS0_5tupleIJ11FixedVectorIiLj2EEbEEELb1ELb1EEEN6thrust23THRUST_200600_302600_NS6detail15normal_iteratorINSA_10device_ptrIjEEEEjNS1_16block_id_wrapperIjLb0EEEEEvT_jjPNSI_10value_typeET0_PNSt15iterator_traitsISL_E10value_typeEmT1_T2_
    .private_segment_fixed_size: 0
    .sgpr_count:     19
    .sgpr_spill_count: 0
    .symbol:         _ZN7rocprim17ROCPRIM_400000_NS6detail30init_device_scan_by_key_kernelINS1_19lookback_scan_stateINS0_5tupleIJ11FixedVectorIiLj2EEbEEELb1ELb1EEEN6thrust23THRUST_200600_302600_NS6detail15normal_iteratorINSA_10device_ptrIjEEEEjNS1_16block_id_wrapperIjLb0EEEEEvT_jjPNSI_10value_typeET0_PNSt15iterator_traitsISL_E10value_typeEmT1_T2_.kd
    .uniform_work_group_size: 1
    .uses_dynamic_stack: false
    .vgpr_count:     10
    .vgpr_spill_count: 0
    .wavefront_size: 32
  - .args:
      - .address_space:  global
        .offset:         0
        .size:           8
        .value_kind:     global_buffer
      - .offset:         8
        .size:           4
        .value_kind:     by_value
      - .offset:         12
        .size:           4
        .value_kind:     by_value
      - .address_space:  global
        .offset:         16
        .size:           8
        .value_kind:     global_buffer
      - .offset:         24
        .size:           1
        .value_kind:     by_value
      - .offset:         32
        .size:           4
        .value_kind:     hidden_block_count_x
      - .offset:         36
        .size:           4
        .value_kind:     hidden_block_count_y
      - .offset:         40
        .size:           4
        .value_kind:     hidden_block_count_z
      - .offset:         44
        .size:           2
        .value_kind:     hidden_group_size_x
      - .offset:         46
        .size:           2
        .value_kind:     hidden_group_size_y
      - .offset:         48
        .size:           2
        .value_kind:     hidden_group_size_z
      - .offset:         50
        .size:           2
        .value_kind:     hidden_remainder_x
      - .offset:         52
        .size:           2
        .value_kind:     hidden_remainder_y
      - .offset:         54
        .size:           2
        .value_kind:     hidden_remainder_z
      - .offset:         72
        .size:           8
        .value_kind:     hidden_global_offset_x
      - .offset:         80
        .size:           8
        .value_kind:     hidden_global_offset_y
      - .offset:         88
        .size:           8
        .value_kind:     hidden_global_offset_z
      - .offset:         96
        .size:           2
        .value_kind:     hidden_grid_dims
    .group_segment_fixed_size: 0
    .kernarg_segment_align: 8
    .kernarg_segment_size: 288
    .language:       OpenCL C
    .language_version:
      - 2
      - 0
    .max_flat_workgroup_size: 256
    .name:           _ZN7rocprim17ROCPRIM_400000_NS6detail30init_device_scan_by_key_kernelINS1_19lookback_scan_stateINS0_5tupleIJ11FixedVectorIiLj2EEbEEELb1ELb1EEENS1_16block_id_wrapperIjLb0EEEEEvT_jjPNSB_10value_typeET0_
    .private_segment_fixed_size: 0
    .sgpr_count:     13
    .sgpr_spill_count: 0
    .symbol:         _ZN7rocprim17ROCPRIM_400000_NS6detail30init_device_scan_by_key_kernelINS1_19lookback_scan_stateINS0_5tupleIJ11FixedVectorIiLj2EEbEEELb1ELb1EEENS1_16block_id_wrapperIjLb0EEEEEvT_jjPNSB_10value_typeET0_.kd
    .uniform_work_group_size: 1
    .uses_dynamic_stack: false
    .vgpr_count:     9
    .vgpr_spill_count: 0
    .wavefront_size: 32
  - .args:
      - .offset:         0
        .size:           120
        .value_kind:     by_value
    .group_segment_fixed_size: 0
    .kernarg_segment_align: 8
    .kernarg_segment_size: 120
    .language:       OpenCL C
    .language_version:
      - 2
      - 0
    .max_flat_workgroup_size: 128
    .name:           _ZN7rocprim17ROCPRIM_400000_NS6detail17trampoline_kernelINS0_14default_configENS1_27scan_by_key_config_selectorIj11FixedVectorIiLj2EEEEZZNS1_16scan_by_key_implILNS1_25lookback_scan_determinismE0ELb0ES3_N6thrust23THRUST_200600_302600_NS6detail15normal_iteratorINSB_10device_ptrIjEEEENSD_INSE_IS6_EEEESI_S6_NSB_4plusIvEENSB_8equal_toIvEES6_EE10hipError_tPvRmT2_T3_T4_T5_mT6_T7_P12ihipStream_tbENKUlT_T0_E_clISt17integral_constantIbLb1EES12_IbLb0EEEEDaSY_SZ_EUlSY_E_NS1_11comp_targetILNS1_3genE0ELNS1_11target_archE4294967295ELNS1_3gpuE0ELNS1_3repE0EEENS1_30default_config_static_selectorELNS0_4arch9wavefront6targetE0EEEvT1_
    .private_segment_fixed_size: 0
    .sgpr_count:     0
    .sgpr_spill_count: 0
    .symbol:         _ZN7rocprim17ROCPRIM_400000_NS6detail17trampoline_kernelINS0_14default_configENS1_27scan_by_key_config_selectorIj11FixedVectorIiLj2EEEEZZNS1_16scan_by_key_implILNS1_25lookback_scan_determinismE0ELb0ES3_N6thrust23THRUST_200600_302600_NS6detail15normal_iteratorINSB_10device_ptrIjEEEENSD_INSE_IS6_EEEESI_S6_NSB_4plusIvEENSB_8equal_toIvEES6_EE10hipError_tPvRmT2_T3_T4_T5_mT6_T7_P12ihipStream_tbENKUlT_T0_E_clISt17integral_constantIbLb1EES12_IbLb0EEEEDaSY_SZ_EUlSY_E_NS1_11comp_targetILNS1_3genE0ELNS1_11target_archE4294967295ELNS1_3gpuE0ELNS1_3repE0EEENS1_30default_config_static_selectorELNS0_4arch9wavefront6targetE0EEEvT1_.kd
    .uniform_work_group_size: 1
    .uses_dynamic_stack: false
    .vgpr_count:     0
    .vgpr_spill_count: 0
    .wavefront_size: 32
  - .args:
      - .offset:         0
        .size:           120
        .value_kind:     by_value
    .group_segment_fixed_size: 0
    .kernarg_segment_align: 8
    .kernarg_segment_size: 120
    .language:       OpenCL C
    .language_version:
      - 2
      - 0
    .max_flat_workgroup_size: 256
    .name:           _ZN7rocprim17ROCPRIM_400000_NS6detail17trampoline_kernelINS0_14default_configENS1_27scan_by_key_config_selectorIj11FixedVectorIiLj2EEEEZZNS1_16scan_by_key_implILNS1_25lookback_scan_determinismE0ELb0ES3_N6thrust23THRUST_200600_302600_NS6detail15normal_iteratorINSB_10device_ptrIjEEEENSD_INSE_IS6_EEEESI_S6_NSB_4plusIvEENSB_8equal_toIvEES6_EE10hipError_tPvRmT2_T3_T4_T5_mT6_T7_P12ihipStream_tbENKUlT_T0_E_clISt17integral_constantIbLb1EES12_IbLb0EEEEDaSY_SZ_EUlSY_E_NS1_11comp_targetILNS1_3genE10ELNS1_11target_archE1201ELNS1_3gpuE5ELNS1_3repE0EEENS1_30default_config_static_selectorELNS0_4arch9wavefront6targetE0EEEvT1_
    .private_segment_fixed_size: 0
    .sgpr_count:     0
    .sgpr_spill_count: 0
    .symbol:         _ZN7rocprim17ROCPRIM_400000_NS6detail17trampoline_kernelINS0_14default_configENS1_27scan_by_key_config_selectorIj11FixedVectorIiLj2EEEEZZNS1_16scan_by_key_implILNS1_25lookback_scan_determinismE0ELb0ES3_N6thrust23THRUST_200600_302600_NS6detail15normal_iteratorINSB_10device_ptrIjEEEENSD_INSE_IS6_EEEESI_S6_NSB_4plusIvEENSB_8equal_toIvEES6_EE10hipError_tPvRmT2_T3_T4_T5_mT6_T7_P12ihipStream_tbENKUlT_T0_E_clISt17integral_constantIbLb1EES12_IbLb0EEEEDaSY_SZ_EUlSY_E_NS1_11comp_targetILNS1_3genE10ELNS1_11target_archE1201ELNS1_3gpuE5ELNS1_3repE0EEENS1_30default_config_static_selectorELNS0_4arch9wavefront6targetE0EEEvT1_.kd
    .uniform_work_group_size: 1
    .uses_dynamic_stack: false
    .vgpr_count:     0
    .vgpr_spill_count: 0
    .wavefront_size: 32
  - .args:
      - .offset:         0
        .size:           120
        .value_kind:     by_value
    .group_segment_fixed_size: 0
    .kernarg_segment_align: 8
    .kernarg_segment_size: 120
    .language:       OpenCL C
    .language_version:
      - 2
      - 0
    .max_flat_workgroup_size: 256
    .name:           _ZN7rocprim17ROCPRIM_400000_NS6detail17trampoline_kernelINS0_14default_configENS1_27scan_by_key_config_selectorIj11FixedVectorIiLj2EEEEZZNS1_16scan_by_key_implILNS1_25lookback_scan_determinismE0ELb0ES3_N6thrust23THRUST_200600_302600_NS6detail15normal_iteratorINSB_10device_ptrIjEEEENSD_INSE_IS6_EEEESI_S6_NSB_4plusIvEENSB_8equal_toIvEES6_EE10hipError_tPvRmT2_T3_T4_T5_mT6_T7_P12ihipStream_tbENKUlT_T0_E_clISt17integral_constantIbLb1EES12_IbLb0EEEEDaSY_SZ_EUlSY_E_NS1_11comp_targetILNS1_3genE5ELNS1_11target_archE942ELNS1_3gpuE9ELNS1_3repE0EEENS1_30default_config_static_selectorELNS0_4arch9wavefront6targetE0EEEvT1_
    .private_segment_fixed_size: 0
    .sgpr_count:     0
    .sgpr_spill_count: 0
    .symbol:         _ZN7rocprim17ROCPRIM_400000_NS6detail17trampoline_kernelINS0_14default_configENS1_27scan_by_key_config_selectorIj11FixedVectorIiLj2EEEEZZNS1_16scan_by_key_implILNS1_25lookback_scan_determinismE0ELb0ES3_N6thrust23THRUST_200600_302600_NS6detail15normal_iteratorINSB_10device_ptrIjEEEENSD_INSE_IS6_EEEESI_S6_NSB_4plusIvEENSB_8equal_toIvEES6_EE10hipError_tPvRmT2_T3_T4_T5_mT6_T7_P12ihipStream_tbENKUlT_T0_E_clISt17integral_constantIbLb1EES12_IbLb0EEEEDaSY_SZ_EUlSY_E_NS1_11comp_targetILNS1_3genE5ELNS1_11target_archE942ELNS1_3gpuE9ELNS1_3repE0EEENS1_30default_config_static_selectorELNS0_4arch9wavefront6targetE0EEEvT1_.kd
    .uniform_work_group_size: 1
    .uses_dynamic_stack: false
    .vgpr_count:     0
    .vgpr_spill_count: 0
    .wavefront_size: 32
  - .args:
      - .offset:         0
        .size:           120
        .value_kind:     by_value
    .group_segment_fixed_size: 0
    .kernarg_segment_align: 8
    .kernarg_segment_size: 120
    .language:       OpenCL C
    .language_version:
      - 2
      - 0
    .max_flat_workgroup_size: 64
    .name:           _ZN7rocprim17ROCPRIM_400000_NS6detail17trampoline_kernelINS0_14default_configENS1_27scan_by_key_config_selectorIj11FixedVectorIiLj2EEEEZZNS1_16scan_by_key_implILNS1_25lookback_scan_determinismE0ELb0ES3_N6thrust23THRUST_200600_302600_NS6detail15normal_iteratorINSB_10device_ptrIjEEEENSD_INSE_IS6_EEEESI_S6_NSB_4plusIvEENSB_8equal_toIvEES6_EE10hipError_tPvRmT2_T3_T4_T5_mT6_T7_P12ihipStream_tbENKUlT_T0_E_clISt17integral_constantIbLb1EES12_IbLb0EEEEDaSY_SZ_EUlSY_E_NS1_11comp_targetILNS1_3genE4ELNS1_11target_archE910ELNS1_3gpuE8ELNS1_3repE0EEENS1_30default_config_static_selectorELNS0_4arch9wavefront6targetE0EEEvT1_
    .private_segment_fixed_size: 0
    .sgpr_count:     0
    .sgpr_spill_count: 0
    .symbol:         _ZN7rocprim17ROCPRIM_400000_NS6detail17trampoline_kernelINS0_14default_configENS1_27scan_by_key_config_selectorIj11FixedVectorIiLj2EEEEZZNS1_16scan_by_key_implILNS1_25lookback_scan_determinismE0ELb0ES3_N6thrust23THRUST_200600_302600_NS6detail15normal_iteratorINSB_10device_ptrIjEEEENSD_INSE_IS6_EEEESI_S6_NSB_4plusIvEENSB_8equal_toIvEES6_EE10hipError_tPvRmT2_T3_T4_T5_mT6_T7_P12ihipStream_tbENKUlT_T0_E_clISt17integral_constantIbLb1EES12_IbLb0EEEEDaSY_SZ_EUlSY_E_NS1_11comp_targetILNS1_3genE4ELNS1_11target_archE910ELNS1_3gpuE8ELNS1_3repE0EEENS1_30default_config_static_selectorELNS0_4arch9wavefront6targetE0EEEvT1_.kd
    .uniform_work_group_size: 1
    .uses_dynamic_stack: false
    .vgpr_count:     0
    .vgpr_spill_count: 0
    .wavefront_size: 32
  - .args:
      - .offset:         0
        .size:           120
        .value_kind:     by_value
    .group_segment_fixed_size: 0
    .kernarg_segment_align: 8
    .kernarg_segment_size: 120
    .language:       OpenCL C
    .language_version:
      - 2
      - 0
    .max_flat_workgroup_size: 128
    .name:           _ZN7rocprim17ROCPRIM_400000_NS6detail17trampoline_kernelINS0_14default_configENS1_27scan_by_key_config_selectorIj11FixedVectorIiLj2EEEEZZNS1_16scan_by_key_implILNS1_25lookback_scan_determinismE0ELb0ES3_N6thrust23THRUST_200600_302600_NS6detail15normal_iteratorINSB_10device_ptrIjEEEENSD_INSE_IS6_EEEESI_S6_NSB_4plusIvEENSB_8equal_toIvEES6_EE10hipError_tPvRmT2_T3_T4_T5_mT6_T7_P12ihipStream_tbENKUlT_T0_E_clISt17integral_constantIbLb1EES12_IbLb0EEEEDaSY_SZ_EUlSY_E_NS1_11comp_targetILNS1_3genE3ELNS1_11target_archE908ELNS1_3gpuE7ELNS1_3repE0EEENS1_30default_config_static_selectorELNS0_4arch9wavefront6targetE0EEEvT1_
    .private_segment_fixed_size: 0
    .sgpr_count:     0
    .sgpr_spill_count: 0
    .symbol:         _ZN7rocprim17ROCPRIM_400000_NS6detail17trampoline_kernelINS0_14default_configENS1_27scan_by_key_config_selectorIj11FixedVectorIiLj2EEEEZZNS1_16scan_by_key_implILNS1_25lookback_scan_determinismE0ELb0ES3_N6thrust23THRUST_200600_302600_NS6detail15normal_iteratorINSB_10device_ptrIjEEEENSD_INSE_IS6_EEEESI_S6_NSB_4plusIvEENSB_8equal_toIvEES6_EE10hipError_tPvRmT2_T3_T4_T5_mT6_T7_P12ihipStream_tbENKUlT_T0_E_clISt17integral_constantIbLb1EES12_IbLb0EEEEDaSY_SZ_EUlSY_E_NS1_11comp_targetILNS1_3genE3ELNS1_11target_archE908ELNS1_3gpuE7ELNS1_3repE0EEENS1_30default_config_static_selectorELNS0_4arch9wavefront6targetE0EEEvT1_.kd
    .uniform_work_group_size: 1
    .uses_dynamic_stack: false
    .vgpr_count:     0
    .vgpr_spill_count: 0
    .wavefront_size: 32
  - .args:
      - .offset:         0
        .size:           120
        .value_kind:     by_value
    .group_segment_fixed_size: 0
    .kernarg_segment_align: 8
    .kernarg_segment_size: 120
    .language:       OpenCL C
    .language_version:
      - 2
      - 0
    .max_flat_workgroup_size: 64
    .name:           _ZN7rocprim17ROCPRIM_400000_NS6detail17trampoline_kernelINS0_14default_configENS1_27scan_by_key_config_selectorIj11FixedVectorIiLj2EEEEZZNS1_16scan_by_key_implILNS1_25lookback_scan_determinismE0ELb0ES3_N6thrust23THRUST_200600_302600_NS6detail15normal_iteratorINSB_10device_ptrIjEEEENSD_INSE_IS6_EEEESI_S6_NSB_4plusIvEENSB_8equal_toIvEES6_EE10hipError_tPvRmT2_T3_T4_T5_mT6_T7_P12ihipStream_tbENKUlT_T0_E_clISt17integral_constantIbLb1EES12_IbLb0EEEEDaSY_SZ_EUlSY_E_NS1_11comp_targetILNS1_3genE2ELNS1_11target_archE906ELNS1_3gpuE6ELNS1_3repE0EEENS1_30default_config_static_selectorELNS0_4arch9wavefront6targetE0EEEvT1_
    .private_segment_fixed_size: 0
    .sgpr_count:     0
    .sgpr_spill_count: 0
    .symbol:         _ZN7rocprim17ROCPRIM_400000_NS6detail17trampoline_kernelINS0_14default_configENS1_27scan_by_key_config_selectorIj11FixedVectorIiLj2EEEEZZNS1_16scan_by_key_implILNS1_25lookback_scan_determinismE0ELb0ES3_N6thrust23THRUST_200600_302600_NS6detail15normal_iteratorINSB_10device_ptrIjEEEENSD_INSE_IS6_EEEESI_S6_NSB_4plusIvEENSB_8equal_toIvEES6_EE10hipError_tPvRmT2_T3_T4_T5_mT6_T7_P12ihipStream_tbENKUlT_T0_E_clISt17integral_constantIbLb1EES12_IbLb0EEEEDaSY_SZ_EUlSY_E_NS1_11comp_targetILNS1_3genE2ELNS1_11target_archE906ELNS1_3gpuE6ELNS1_3repE0EEENS1_30default_config_static_selectorELNS0_4arch9wavefront6targetE0EEEvT1_.kd
    .uniform_work_group_size: 1
    .uses_dynamic_stack: false
    .vgpr_count:     0
    .vgpr_spill_count: 0
    .wavefront_size: 32
  - .args:
      - .offset:         0
        .size:           120
        .value_kind:     by_value
    .group_segment_fixed_size: 0
    .kernarg_segment_align: 8
    .kernarg_segment_size: 120
    .language:       OpenCL C
    .language_version:
      - 2
      - 0
    .max_flat_workgroup_size: 256
    .name:           _ZN7rocprim17ROCPRIM_400000_NS6detail17trampoline_kernelINS0_14default_configENS1_27scan_by_key_config_selectorIj11FixedVectorIiLj2EEEEZZNS1_16scan_by_key_implILNS1_25lookback_scan_determinismE0ELb0ES3_N6thrust23THRUST_200600_302600_NS6detail15normal_iteratorINSB_10device_ptrIjEEEENSD_INSE_IS6_EEEESI_S6_NSB_4plusIvEENSB_8equal_toIvEES6_EE10hipError_tPvRmT2_T3_T4_T5_mT6_T7_P12ihipStream_tbENKUlT_T0_E_clISt17integral_constantIbLb1EES12_IbLb0EEEEDaSY_SZ_EUlSY_E_NS1_11comp_targetILNS1_3genE10ELNS1_11target_archE1200ELNS1_3gpuE4ELNS1_3repE0EEENS1_30default_config_static_selectorELNS0_4arch9wavefront6targetE0EEEvT1_
    .private_segment_fixed_size: 0
    .sgpr_count:     0
    .sgpr_spill_count: 0
    .symbol:         _ZN7rocprim17ROCPRIM_400000_NS6detail17trampoline_kernelINS0_14default_configENS1_27scan_by_key_config_selectorIj11FixedVectorIiLj2EEEEZZNS1_16scan_by_key_implILNS1_25lookback_scan_determinismE0ELb0ES3_N6thrust23THRUST_200600_302600_NS6detail15normal_iteratorINSB_10device_ptrIjEEEENSD_INSE_IS6_EEEESI_S6_NSB_4plusIvEENSB_8equal_toIvEES6_EE10hipError_tPvRmT2_T3_T4_T5_mT6_T7_P12ihipStream_tbENKUlT_T0_E_clISt17integral_constantIbLb1EES12_IbLb0EEEEDaSY_SZ_EUlSY_E_NS1_11comp_targetILNS1_3genE10ELNS1_11target_archE1200ELNS1_3gpuE4ELNS1_3repE0EEENS1_30default_config_static_selectorELNS0_4arch9wavefront6targetE0EEEvT1_.kd
    .uniform_work_group_size: 1
    .uses_dynamic_stack: false
    .vgpr_count:     0
    .vgpr_spill_count: 0
    .wavefront_size: 32
  - .args:
      - .offset:         0
        .size:           120
        .value_kind:     by_value
    .group_segment_fixed_size: 0
    .kernarg_segment_align: 8
    .kernarg_segment_size: 120
    .language:       OpenCL C
    .language_version:
      - 2
      - 0
    .max_flat_workgroup_size: 256
    .name:           _ZN7rocprim17ROCPRIM_400000_NS6detail17trampoline_kernelINS0_14default_configENS1_27scan_by_key_config_selectorIj11FixedVectorIiLj2EEEEZZNS1_16scan_by_key_implILNS1_25lookback_scan_determinismE0ELb0ES3_N6thrust23THRUST_200600_302600_NS6detail15normal_iteratorINSB_10device_ptrIjEEEENSD_INSE_IS6_EEEESI_S6_NSB_4plusIvEENSB_8equal_toIvEES6_EE10hipError_tPvRmT2_T3_T4_T5_mT6_T7_P12ihipStream_tbENKUlT_T0_E_clISt17integral_constantIbLb1EES12_IbLb0EEEEDaSY_SZ_EUlSY_E_NS1_11comp_targetILNS1_3genE9ELNS1_11target_archE1100ELNS1_3gpuE3ELNS1_3repE0EEENS1_30default_config_static_selectorELNS0_4arch9wavefront6targetE0EEEvT1_
    .private_segment_fixed_size: 0
    .sgpr_count:     0
    .sgpr_spill_count: 0
    .symbol:         _ZN7rocprim17ROCPRIM_400000_NS6detail17trampoline_kernelINS0_14default_configENS1_27scan_by_key_config_selectorIj11FixedVectorIiLj2EEEEZZNS1_16scan_by_key_implILNS1_25lookback_scan_determinismE0ELb0ES3_N6thrust23THRUST_200600_302600_NS6detail15normal_iteratorINSB_10device_ptrIjEEEENSD_INSE_IS6_EEEESI_S6_NSB_4plusIvEENSB_8equal_toIvEES6_EE10hipError_tPvRmT2_T3_T4_T5_mT6_T7_P12ihipStream_tbENKUlT_T0_E_clISt17integral_constantIbLb1EES12_IbLb0EEEEDaSY_SZ_EUlSY_E_NS1_11comp_targetILNS1_3genE9ELNS1_11target_archE1100ELNS1_3gpuE3ELNS1_3repE0EEENS1_30default_config_static_selectorELNS0_4arch9wavefront6targetE0EEEvT1_.kd
    .uniform_work_group_size: 1
    .uses_dynamic_stack: false
    .vgpr_count:     0
    .vgpr_spill_count: 0
    .wavefront_size: 32
  - .args:
      - .offset:         0
        .size:           120
        .value_kind:     by_value
    .group_segment_fixed_size: 0
    .kernarg_segment_align: 8
    .kernarg_segment_size: 120
    .language:       OpenCL C
    .language_version:
      - 2
      - 0
    .max_flat_workgroup_size: 256
    .name:           _ZN7rocprim17ROCPRIM_400000_NS6detail17trampoline_kernelINS0_14default_configENS1_27scan_by_key_config_selectorIj11FixedVectorIiLj2EEEEZZNS1_16scan_by_key_implILNS1_25lookback_scan_determinismE0ELb0ES3_N6thrust23THRUST_200600_302600_NS6detail15normal_iteratorINSB_10device_ptrIjEEEENSD_INSE_IS6_EEEESI_S6_NSB_4plusIvEENSB_8equal_toIvEES6_EE10hipError_tPvRmT2_T3_T4_T5_mT6_T7_P12ihipStream_tbENKUlT_T0_E_clISt17integral_constantIbLb1EES12_IbLb0EEEEDaSY_SZ_EUlSY_E_NS1_11comp_targetILNS1_3genE8ELNS1_11target_archE1030ELNS1_3gpuE2ELNS1_3repE0EEENS1_30default_config_static_selectorELNS0_4arch9wavefront6targetE0EEEvT1_
    .private_segment_fixed_size: 0
    .sgpr_count:     0
    .sgpr_spill_count: 0
    .symbol:         _ZN7rocprim17ROCPRIM_400000_NS6detail17trampoline_kernelINS0_14default_configENS1_27scan_by_key_config_selectorIj11FixedVectorIiLj2EEEEZZNS1_16scan_by_key_implILNS1_25lookback_scan_determinismE0ELb0ES3_N6thrust23THRUST_200600_302600_NS6detail15normal_iteratorINSB_10device_ptrIjEEEENSD_INSE_IS6_EEEESI_S6_NSB_4plusIvEENSB_8equal_toIvEES6_EE10hipError_tPvRmT2_T3_T4_T5_mT6_T7_P12ihipStream_tbENKUlT_T0_E_clISt17integral_constantIbLb1EES12_IbLb0EEEEDaSY_SZ_EUlSY_E_NS1_11comp_targetILNS1_3genE8ELNS1_11target_archE1030ELNS1_3gpuE2ELNS1_3repE0EEENS1_30default_config_static_selectorELNS0_4arch9wavefront6targetE0EEEvT1_.kd
    .uniform_work_group_size: 1
    .uses_dynamic_stack: false
    .vgpr_count:     0
    .vgpr_spill_count: 0
    .wavefront_size: 32
  - .args:
      - .address_space:  global
        .offset:         0
        .size:           8
        .value_kind:     global_buffer
      - .offset:         8
        .size:           4
        .value_kind:     by_value
      - .offset:         12
        .size:           4
        .value_kind:     by_value
      - .address_space:  global
        .offset:         16
        .size:           8
        .value_kind:     global_buffer
      - .address_space:  global
        .offset:         24
        .size:           8
        .value_kind:     global_buffer
      - .actual_access:  write_only
        .address_space:  global
        .offset:         32
        .size:           8
        .value_kind:     global_buffer
      - .offset:         40
        .size:           8
        .value_kind:     by_value
      - .offset:         48
        .size:           4
        .value_kind:     by_value
      - .address_space:  global
        .offset:         56
        .size:           8
        .value_kind:     global_buffer
      - .offset:         64
        .size:           4
        .value_kind:     hidden_block_count_x
      - .offset:         68
        .size:           4
        .value_kind:     hidden_block_count_y
      - .offset:         72
        .size:           4
        .value_kind:     hidden_block_count_z
      - .offset:         76
        .size:           2
        .value_kind:     hidden_group_size_x
      - .offset:         78
        .size:           2
        .value_kind:     hidden_group_size_y
      - .offset:         80
        .size:           2
        .value_kind:     hidden_group_size_z
      - .offset:         82
        .size:           2
        .value_kind:     hidden_remainder_x
      - .offset:         84
        .size:           2
        .value_kind:     hidden_remainder_y
      - .offset:         86
        .size:           2
        .value_kind:     hidden_remainder_z
      - .offset:         104
        .size:           8
        .value_kind:     hidden_global_offset_x
      - .offset:         112
        .size:           8
        .value_kind:     hidden_global_offset_y
      - .offset:         120
        .size:           8
        .value_kind:     hidden_global_offset_z
      - .offset:         128
        .size:           2
        .value_kind:     hidden_grid_dims
    .group_segment_fixed_size: 0
    .kernarg_segment_align: 8
    .kernarg_segment_size: 320
    .language:       OpenCL C
    .language_version:
      - 2
      - 0
    .max_flat_workgroup_size: 256
    .name:           _ZN7rocprim17ROCPRIM_400000_NS6detail30init_device_scan_by_key_kernelINS1_19lookback_scan_stateINS0_5tupleIJ11FixedVectorIiLj2EEbEEELb0ELb1EEEN6thrust23THRUST_200600_302600_NS6detail15normal_iteratorINSA_10device_ptrIjEEEEjNS1_16block_id_wrapperIjLb1EEEEEvT_jjPNSI_10value_typeET0_PNSt15iterator_traitsISL_E10value_typeEmT1_T2_
    .private_segment_fixed_size: 0
    .sgpr_count:     19
    .sgpr_spill_count: 0
    .symbol:         _ZN7rocprim17ROCPRIM_400000_NS6detail30init_device_scan_by_key_kernelINS1_19lookback_scan_stateINS0_5tupleIJ11FixedVectorIiLj2EEbEEELb0ELb1EEEN6thrust23THRUST_200600_302600_NS6detail15normal_iteratorINSA_10device_ptrIjEEEEjNS1_16block_id_wrapperIjLb1EEEEEvT_jjPNSI_10value_typeET0_PNSt15iterator_traitsISL_E10value_typeEmT1_T2_.kd
    .uniform_work_group_size: 1
    .uses_dynamic_stack: false
    .vgpr_count:     10
    .vgpr_spill_count: 0
    .wavefront_size: 32
  - .args:
      - .address_space:  global
        .offset:         0
        .size:           8
        .value_kind:     global_buffer
      - .offset:         8
        .size:           4
        .value_kind:     by_value
      - .offset:         12
        .size:           4
        .value_kind:     by_value
      - .address_space:  global
        .offset:         16
        .size:           8
        .value_kind:     global_buffer
      - .address_space:  global
        .offset:         24
        .size:           8
        .value_kind:     global_buffer
      - .offset:         32
        .size:           4
        .value_kind:     hidden_block_count_x
      - .offset:         36
        .size:           4
        .value_kind:     hidden_block_count_y
      - .offset:         40
        .size:           4
        .value_kind:     hidden_block_count_z
      - .offset:         44
        .size:           2
        .value_kind:     hidden_group_size_x
      - .offset:         46
        .size:           2
        .value_kind:     hidden_group_size_y
      - .offset:         48
        .size:           2
        .value_kind:     hidden_group_size_z
      - .offset:         50
        .size:           2
        .value_kind:     hidden_remainder_x
      - .offset:         52
        .size:           2
        .value_kind:     hidden_remainder_y
      - .offset:         54
        .size:           2
        .value_kind:     hidden_remainder_z
      - .offset:         72
        .size:           8
        .value_kind:     hidden_global_offset_x
      - .offset:         80
        .size:           8
        .value_kind:     hidden_global_offset_y
      - .offset:         88
        .size:           8
        .value_kind:     hidden_global_offset_z
      - .offset:         96
        .size:           2
        .value_kind:     hidden_grid_dims
    .group_segment_fixed_size: 0
    .kernarg_segment_align: 8
    .kernarg_segment_size: 288
    .language:       OpenCL C
    .language_version:
      - 2
      - 0
    .max_flat_workgroup_size: 256
    .name:           _ZN7rocprim17ROCPRIM_400000_NS6detail30init_device_scan_by_key_kernelINS1_19lookback_scan_stateINS0_5tupleIJ11FixedVectorIiLj2EEbEEELb0ELb1EEENS1_16block_id_wrapperIjLb1EEEEEvT_jjPNSB_10value_typeET0_
    .private_segment_fixed_size: 0
    .sgpr_count:     15
    .sgpr_spill_count: 0
    .symbol:         _ZN7rocprim17ROCPRIM_400000_NS6detail30init_device_scan_by_key_kernelINS1_19lookback_scan_stateINS0_5tupleIJ11FixedVectorIiLj2EEbEEELb0ELb1EEENS1_16block_id_wrapperIjLb1EEEEEvT_jjPNSB_10value_typeET0_.kd
    .uniform_work_group_size: 1
    .uses_dynamic_stack: false
    .vgpr_count:     9
    .vgpr_spill_count: 0
    .wavefront_size: 32
  - .args:
      - .offset:         0
        .size:           120
        .value_kind:     by_value
    .group_segment_fixed_size: 10240
    .kernarg_segment_align: 8
    .kernarg_segment_size: 120
    .language:       OpenCL C
    .language_version:
      - 2
      - 0
    .max_flat_workgroup_size: 128
    .name:           _ZN7rocprim17ROCPRIM_400000_NS6detail17trampoline_kernelINS0_14default_configENS1_27scan_by_key_config_selectorIj11FixedVectorIiLj2EEEEZZNS1_16scan_by_key_implILNS1_25lookback_scan_determinismE0ELb0ES3_N6thrust23THRUST_200600_302600_NS6detail15normal_iteratorINSB_10device_ptrIjEEEENSD_INSE_IS6_EEEESI_S6_NSB_4plusIvEENSB_8equal_toIvEES6_EE10hipError_tPvRmT2_T3_T4_T5_mT6_T7_P12ihipStream_tbENKUlT_T0_E_clISt17integral_constantIbLb0EES12_IbLb1EEEEDaSY_SZ_EUlSY_E_NS1_11comp_targetILNS1_3genE0ELNS1_11target_archE4294967295ELNS1_3gpuE0ELNS1_3repE0EEENS1_30default_config_static_selectorELNS0_4arch9wavefront6targetE0EEEvT1_
    .private_segment_fixed_size: 0
    .sgpr_count:     51
    .sgpr_spill_count: 0
    .symbol:         _ZN7rocprim17ROCPRIM_400000_NS6detail17trampoline_kernelINS0_14default_configENS1_27scan_by_key_config_selectorIj11FixedVectorIiLj2EEEEZZNS1_16scan_by_key_implILNS1_25lookback_scan_determinismE0ELb0ES3_N6thrust23THRUST_200600_302600_NS6detail15normal_iteratorINSB_10device_ptrIjEEEENSD_INSE_IS6_EEEESI_S6_NSB_4plusIvEENSB_8equal_toIvEES6_EE10hipError_tPvRmT2_T3_T4_T5_mT6_T7_P12ihipStream_tbENKUlT_T0_E_clISt17integral_constantIbLb0EES12_IbLb1EEEEDaSY_SZ_EUlSY_E_NS1_11comp_targetILNS1_3genE0ELNS1_11target_archE4294967295ELNS1_3gpuE0ELNS1_3repE0EEENS1_30default_config_static_selectorELNS0_4arch9wavefront6targetE0EEEvT1_.kd
    .uniform_work_group_size: 1
    .uses_dynamic_stack: false
    .vgpr_count:     74
    .vgpr_spill_count: 0
    .wavefront_size: 32
  - .args:
      - .offset:         0
        .size:           120
        .value_kind:     by_value
    .group_segment_fixed_size: 0
    .kernarg_segment_align: 8
    .kernarg_segment_size: 120
    .language:       OpenCL C
    .language_version:
      - 2
      - 0
    .max_flat_workgroup_size: 256
    .name:           _ZN7rocprim17ROCPRIM_400000_NS6detail17trampoline_kernelINS0_14default_configENS1_27scan_by_key_config_selectorIj11FixedVectorIiLj2EEEEZZNS1_16scan_by_key_implILNS1_25lookback_scan_determinismE0ELb0ES3_N6thrust23THRUST_200600_302600_NS6detail15normal_iteratorINSB_10device_ptrIjEEEENSD_INSE_IS6_EEEESI_S6_NSB_4plusIvEENSB_8equal_toIvEES6_EE10hipError_tPvRmT2_T3_T4_T5_mT6_T7_P12ihipStream_tbENKUlT_T0_E_clISt17integral_constantIbLb0EES12_IbLb1EEEEDaSY_SZ_EUlSY_E_NS1_11comp_targetILNS1_3genE10ELNS1_11target_archE1201ELNS1_3gpuE5ELNS1_3repE0EEENS1_30default_config_static_selectorELNS0_4arch9wavefront6targetE0EEEvT1_
    .private_segment_fixed_size: 0
    .sgpr_count:     0
    .sgpr_spill_count: 0
    .symbol:         _ZN7rocprim17ROCPRIM_400000_NS6detail17trampoline_kernelINS0_14default_configENS1_27scan_by_key_config_selectorIj11FixedVectorIiLj2EEEEZZNS1_16scan_by_key_implILNS1_25lookback_scan_determinismE0ELb0ES3_N6thrust23THRUST_200600_302600_NS6detail15normal_iteratorINSB_10device_ptrIjEEEENSD_INSE_IS6_EEEESI_S6_NSB_4plusIvEENSB_8equal_toIvEES6_EE10hipError_tPvRmT2_T3_T4_T5_mT6_T7_P12ihipStream_tbENKUlT_T0_E_clISt17integral_constantIbLb0EES12_IbLb1EEEEDaSY_SZ_EUlSY_E_NS1_11comp_targetILNS1_3genE10ELNS1_11target_archE1201ELNS1_3gpuE5ELNS1_3repE0EEENS1_30default_config_static_selectorELNS0_4arch9wavefront6targetE0EEEvT1_.kd
    .uniform_work_group_size: 1
    .uses_dynamic_stack: false
    .vgpr_count:     0
    .vgpr_spill_count: 0
    .wavefront_size: 32
  - .args:
      - .offset:         0
        .size:           120
        .value_kind:     by_value
    .group_segment_fixed_size: 0
    .kernarg_segment_align: 8
    .kernarg_segment_size: 120
    .language:       OpenCL C
    .language_version:
      - 2
      - 0
    .max_flat_workgroup_size: 256
    .name:           _ZN7rocprim17ROCPRIM_400000_NS6detail17trampoline_kernelINS0_14default_configENS1_27scan_by_key_config_selectorIj11FixedVectorIiLj2EEEEZZNS1_16scan_by_key_implILNS1_25lookback_scan_determinismE0ELb0ES3_N6thrust23THRUST_200600_302600_NS6detail15normal_iteratorINSB_10device_ptrIjEEEENSD_INSE_IS6_EEEESI_S6_NSB_4plusIvEENSB_8equal_toIvEES6_EE10hipError_tPvRmT2_T3_T4_T5_mT6_T7_P12ihipStream_tbENKUlT_T0_E_clISt17integral_constantIbLb0EES12_IbLb1EEEEDaSY_SZ_EUlSY_E_NS1_11comp_targetILNS1_3genE5ELNS1_11target_archE942ELNS1_3gpuE9ELNS1_3repE0EEENS1_30default_config_static_selectorELNS0_4arch9wavefront6targetE0EEEvT1_
    .private_segment_fixed_size: 0
    .sgpr_count:     0
    .sgpr_spill_count: 0
    .symbol:         _ZN7rocprim17ROCPRIM_400000_NS6detail17trampoline_kernelINS0_14default_configENS1_27scan_by_key_config_selectorIj11FixedVectorIiLj2EEEEZZNS1_16scan_by_key_implILNS1_25lookback_scan_determinismE0ELb0ES3_N6thrust23THRUST_200600_302600_NS6detail15normal_iteratorINSB_10device_ptrIjEEEENSD_INSE_IS6_EEEESI_S6_NSB_4plusIvEENSB_8equal_toIvEES6_EE10hipError_tPvRmT2_T3_T4_T5_mT6_T7_P12ihipStream_tbENKUlT_T0_E_clISt17integral_constantIbLb0EES12_IbLb1EEEEDaSY_SZ_EUlSY_E_NS1_11comp_targetILNS1_3genE5ELNS1_11target_archE942ELNS1_3gpuE9ELNS1_3repE0EEENS1_30default_config_static_selectorELNS0_4arch9wavefront6targetE0EEEvT1_.kd
    .uniform_work_group_size: 1
    .uses_dynamic_stack: false
    .vgpr_count:     0
    .vgpr_spill_count: 0
    .wavefront_size: 32
  - .args:
      - .offset:         0
        .size:           120
        .value_kind:     by_value
    .group_segment_fixed_size: 0
    .kernarg_segment_align: 8
    .kernarg_segment_size: 120
    .language:       OpenCL C
    .language_version:
      - 2
      - 0
    .max_flat_workgroup_size: 64
    .name:           _ZN7rocprim17ROCPRIM_400000_NS6detail17trampoline_kernelINS0_14default_configENS1_27scan_by_key_config_selectorIj11FixedVectorIiLj2EEEEZZNS1_16scan_by_key_implILNS1_25lookback_scan_determinismE0ELb0ES3_N6thrust23THRUST_200600_302600_NS6detail15normal_iteratorINSB_10device_ptrIjEEEENSD_INSE_IS6_EEEESI_S6_NSB_4plusIvEENSB_8equal_toIvEES6_EE10hipError_tPvRmT2_T3_T4_T5_mT6_T7_P12ihipStream_tbENKUlT_T0_E_clISt17integral_constantIbLb0EES12_IbLb1EEEEDaSY_SZ_EUlSY_E_NS1_11comp_targetILNS1_3genE4ELNS1_11target_archE910ELNS1_3gpuE8ELNS1_3repE0EEENS1_30default_config_static_selectorELNS0_4arch9wavefront6targetE0EEEvT1_
    .private_segment_fixed_size: 0
    .sgpr_count:     0
    .sgpr_spill_count: 0
    .symbol:         _ZN7rocprim17ROCPRIM_400000_NS6detail17trampoline_kernelINS0_14default_configENS1_27scan_by_key_config_selectorIj11FixedVectorIiLj2EEEEZZNS1_16scan_by_key_implILNS1_25lookback_scan_determinismE0ELb0ES3_N6thrust23THRUST_200600_302600_NS6detail15normal_iteratorINSB_10device_ptrIjEEEENSD_INSE_IS6_EEEESI_S6_NSB_4plusIvEENSB_8equal_toIvEES6_EE10hipError_tPvRmT2_T3_T4_T5_mT6_T7_P12ihipStream_tbENKUlT_T0_E_clISt17integral_constantIbLb0EES12_IbLb1EEEEDaSY_SZ_EUlSY_E_NS1_11comp_targetILNS1_3genE4ELNS1_11target_archE910ELNS1_3gpuE8ELNS1_3repE0EEENS1_30default_config_static_selectorELNS0_4arch9wavefront6targetE0EEEvT1_.kd
    .uniform_work_group_size: 1
    .uses_dynamic_stack: false
    .vgpr_count:     0
    .vgpr_spill_count: 0
    .wavefront_size: 32
  - .args:
      - .offset:         0
        .size:           120
        .value_kind:     by_value
    .group_segment_fixed_size: 0
    .kernarg_segment_align: 8
    .kernarg_segment_size: 120
    .language:       OpenCL C
    .language_version:
      - 2
      - 0
    .max_flat_workgroup_size: 128
    .name:           _ZN7rocprim17ROCPRIM_400000_NS6detail17trampoline_kernelINS0_14default_configENS1_27scan_by_key_config_selectorIj11FixedVectorIiLj2EEEEZZNS1_16scan_by_key_implILNS1_25lookback_scan_determinismE0ELb0ES3_N6thrust23THRUST_200600_302600_NS6detail15normal_iteratorINSB_10device_ptrIjEEEENSD_INSE_IS6_EEEESI_S6_NSB_4plusIvEENSB_8equal_toIvEES6_EE10hipError_tPvRmT2_T3_T4_T5_mT6_T7_P12ihipStream_tbENKUlT_T0_E_clISt17integral_constantIbLb0EES12_IbLb1EEEEDaSY_SZ_EUlSY_E_NS1_11comp_targetILNS1_3genE3ELNS1_11target_archE908ELNS1_3gpuE7ELNS1_3repE0EEENS1_30default_config_static_selectorELNS0_4arch9wavefront6targetE0EEEvT1_
    .private_segment_fixed_size: 0
    .sgpr_count:     0
    .sgpr_spill_count: 0
    .symbol:         _ZN7rocprim17ROCPRIM_400000_NS6detail17trampoline_kernelINS0_14default_configENS1_27scan_by_key_config_selectorIj11FixedVectorIiLj2EEEEZZNS1_16scan_by_key_implILNS1_25lookback_scan_determinismE0ELb0ES3_N6thrust23THRUST_200600_302600_NS6detail15normal_iteratorINSB_10device_ptrIjEEEENSD_INSE_IS6_EEEESI_S6_NSB_4plusIvEENSB_8equal_toIvEES6_EE10hipError_tPvRmT2_T3_T4_T5_mT6_T7_P12ihipStream_tbENKUlT_T0_E_clISt17integral_constantIbLb0EES12_IbLb1EEEEDaSY_SZ_EUlSY_E_NS1_11comp_targetILNS1_3genE3ELNS1_11target_archE908ELNS1_3gpuE7ELNS1_3repE0EEENS1_30default_config_static_selectorELNS0_4arch9wavefront6targetE0EEEvT1_.kd
    .uniform_work_group_size: 1
    .uses_dynamic_stack: false
    .vgpr_count:     0
    .vgpr_spill_count: 0
    .wavefront_size: 32
  - .args:
      - .offset:         0
        .size:           120
        .value_kind:     by_value
    .group_segment_fixed_size: 0
    .kernarg_segment_align: 8
    .kernarg_segment_size: 120
    .language:       OpenCL C
    .language_version:
      - 2
      - 0
    .max_flat_workgroup_size: 64
    .name:           _ZN7rocprim17ROCPRIM_400000_NS6detail17trampoline_kernelINS0_14default_configENS1_27scan_by_key_config_selectorIj11FixedVectorIiLj2EEEEZZNS1_16scan_by_key_implILNS1_25lookback_scan_determinismE0ELb0ES3_N6thrust23THRUST_200600_302600_NS6detail15normal_iteratorINSB_10device_ptrIjEEEENSD_INSE_IS6_EEEESI_S6_NSB_4plusIvEENSB_8equal_toIvEES6_EE10hipError_tPvRmT2_T3_T4_T5_mT6_T7_P12ihipStream_tbENKUlT_T0_E_clISt17integral_constantIbLb0EES12_IbLb1EEEEDaSY_SZ_EUlSY_E_NS1_11comp_targetILNS1_3genE2ELNS1_11target_archE906ELNS1_3gpuE6ELNS1_3repE0EEENS1_30default_config_static_selectorELNS0_4arch9wavefront6targetE0EEEvT1_
    .private_segment_fixed_size: 0
    .sgpr_count:     0
    .sgpr_spill_count: 0
    .symbol:         _ZN7rocprim17ROCPRIM_400000_NS6detail17trampoline_kernelINS0_14default_configENS1_27scan_by_key_config_selectorIj11FixedVectorIiLj2EEEEZZNS1_16scan_by_key_implILNS1_25lookback_scan_determinismE0ELb0ES3_N6thrust23THRUST_200600_302600_NS6detail15normal_iteratorINSB_10device_ptrIjEEEENSD_INSE_IS6_EEEESI_S6_NSB_4plusIvEENSB_8equal_toIvEES6_EE10hipError_tPvRmT2_T3_T4_T5_mT6_T7_P12ihipStream_tbENKUlT_T0_E_clISt17integral_constantIbLb0EES12_IbLb1EEEEDaSY_SZ_EUlSY_E_NS1_11comp_targetILNS1_3genE2ELNS1_11target_archE906ELNS1_3gpuE6ELNS1_3repE0EEENS1_30default_config_static_selectorELNS0_4arch9wavefront6targetE0EEEvT1_.kd
    .uniform_work_group_size: 1
    .uses_dynamic_stack: false
    .vgpr_count:     0
    .vgpr_spill_count: 0
    .wavefront_size: 32
  - .args:
      - .offset:         0
        .size:           120
        .value_kind:     by_value
    .group_segment_fixed_size: 0
    .kernarg_segment_align: 8
    .kernarg_segment_size: 120
    .language:       OpenCL C
    .language_version:
      - 2
      - 0
    .max_flat_workgroup_size: 256
    .name:           _ZN7rocprim17ROCPRIM_400000_NS6detail17trampoline_kernelINS0_14default_configENS1_27scan_by_key_config_selectorIj11FixedVectorIiLj2EEEEZZNS1_16scan_by_key_implILNS1_25lookback_scan_determinismE0ELb0ES3_N6thrust23THRUST_200600_302600_NS6detail15normal_iteratorINSB_10device_ptrIjEEEENSD_INSE_IS6_EEEESI_S6_NSB_4plusIvEENSB_8equal_toIvEES6_EE10hipError_tPvRmT2_T3_T4_T5_mT6_T7_P12ihipStream_tbENKUlT_T0_E_clISt17integral_constantIbLb0EES12_IbLb1EEEEDaSY_SZ_EUlSY_E_NS1_11comp_targetILNS1_3genE10ELNS1_11target_archE1200ELNS1_3gpuE4ELNS1_3repE0EEENS1_30default_config_static_selectorELNS0_4arch9wavefront6targetE0EEEvT1_
    .private_segment_fixed_size: 0
    .sgpr_count:     0
    .sgpr_spill_count: 0
    .symbol:         _ZN7rocprim17ROCPRIM_400000_NS6detail17trampoline_kernelINS0_14default_configENS1_27scan_by_key_config_selectorIj11FixedVectorIiLj2EEEEZZNS1_16scan_by_key_implILNS1_25lookback_scan_determinismE0ELb0ES3_N6thrust23THRUST_200600_302600_NS6detail15normal_iteratorINSB_10device_ptrIjEEEENSD_INSE_IS6_EEEESI_S6_NSB_4plusIvEENSB_8equal_toIvEES6_EE10hipError_tPvRmT2_T3_T4_T5_mT6_T7_P12ihipStream_tbENKUlT_T0_E_clISt17integral_constantIbLb0EES12_IbLb1EEEEDaSY_SZ_EUlSY_E_NS1_11comp_targetILNS1_3genE10ELNS1_11target_archE1200ELNS1_3gpuE4ELNS1_3repE0EEENS1_30default_config_static_selectorELNS0_4arch9wavefront6targetE0EEEvT1_.kd
    .uniform_work_group_size: 1
    .uses_dynamic_stack: false
    .vgpr_count:     0
    .vgpr_spill_count: 0
    .wavefront_size: 32
  - .args:
      - .offset:         0
        .size:           120
        .value_kind:     by_value
    .group_segment_fixed_size: 0
    .kernarg_segment_align: 8
    .kernarg_segment_size: 120
    .language:       OpenCL C
    .language_version:
      - 2
      - 0
    .max_flat_workgroup_size: 256
    .name:           _ZN7rocprim17ROCPRIM_400000_NS6detail17trampoline_kernelINS0_14default_configENS1_27scan_by_key_config_selectorIj11FixedVectorIiLj2EEEEZZNS1_16scan_by_key_implILNS1_25lookback_scan_determinismE0ELb0ES3_N6thrust23THRUST_200600_302600_NS6detail15normal_iteratorINSB_10device_ptrIjEEEENSD_INSE_IS6_EEEESI_S6_NSB_4plusIvEENSB_8equal_toIvEES6_EE10hipError_tPvRmT2_T3_T4_T5_mT6_T7_P12ihipStream_tbENKUlT_T0_E_clISt17integral_constantIbLb0EES12_IbLb1EEEEDaSY_SZ_EUlSY_E_NS1_11comp_targetILNS1_3genE9ELNS1_11target_archE1100ELNS1_3gpuE3ELNS1_3repE0EEENS1_30default_config_static_selectorELNS0_4arch9wavefront6targetE0EEEvT1_
    .private_segment_fixed_size: 0
    .sgpr_count:     0
    .sgpr_spill_count: 0
    .symbol:         _ZN7rocprim17ROCPRIM_400000_NS6detail17trampoline_kernelINS0_14default_configENS1_27scan_by_key_config_selectorIj11FixedVectorIiLj2EEEEZZNS1_16scan_by_key_implILNS1_25lookback_scan_determinismE0ELb0ES3_N6thrust23THRUST_200600_302600_NS6detail15normal_iteratorINSB_10device_ptrIjEEEENSD_INSE_IS6_EEEESI_S6_NSB_4plusIvEENSB_8equal_toIvEES6_EE10hipError_tPvRmT2_T3_T4_T5_mT6_T7_P12ihipStream_tbENKUlT_T0_E_clISt17integral_constantIbLb0EES12_IbLb1EEEEDaSY_SZ_EUlSY_E_NS1_11comp_targetILNS1_3genE9ELNS1_11target_archE1100ELNS1_3gpuE3ELNS1_3repE0EEENS1_30default_config_static_selectorELNS0_4arch9wavefront6targetE0EEEvT1_.kd
    .uniform_work_group_size: 1
    .uses_dynamic_stack: false
    .vgpr_count:     0
    .vgpr_spill_count: 0
    .wavefront_size: 32
  - .args:
      - .offset:         0
        .size:           120
        .value_kind:     by_value
    .group_segment_fixed_size: 0
    .kernarg_segment_align: 8
    .kernarg_segment_size: 120
    .language:       OpenCL C
    .language_version:
      - 2
      - 0
    .max_flat_workgroup_size: 256
    .name:           _ZN7rocprim17ROCPRIM_400000_NS6detail17trampoline_kernelINS0_14default_configENS1_27scan_by_key_config_selectorIj11FixedVectorIiLj2EEEEZZNS1_16scan_by_key_implILNS1_25lookback_scan_determinismE0ELb0ES3_N6thrust23THRUST_200600_302600_NS6detail15normal_iteratorINSB_10device_ptrIjEEEENSD_INSE_IS6_EEEESI_S6_NSB_4plusIvEENSB_8equal_toIvEES6_EE10hipError_tPvRmT2_T3_T4_T5_mT6_T7_P12ihipStream_tbENKUlT_T0_E_clISt17integral_constantIbLb0EES12_IbLb1EEEEDaSY_SZ_EUlSY_E_NS1_11comp_targetILNS1_3genE8ELNS1_11target_archE1030ELNS1_3gpuE2ELNS1_3repE0EEENS1_30default_config_static_selectorELNS0_4arch9wavefront6targetE0EEEvT1_
    .private_segment_fixed_size: 0
    .sgpr_count:     0
    .sgpr_spill_count: 0
    .symbol:         _ZN7rocprim17ROCPRIM_400000_NS6detail17trampoline_kernelINS0_14default_configENS1_27scan_by_key_config_selectorIj11FixedVectorIiLj2EEEEZZNS1_16scan_by_key_implILNS1_25lookback_scan_determinismE0ELb0ES3_N6thrust23THRUST_200600_302600_NS6detail15normal_iteratorINSB_10device_ptrIjEEEENSD_INSE_IS6_EEEESI_S6_NSB_4plusIvEENSB_8equal_toIvEES6_EE10hipError_tPvRmT2_T3_T4_T5_mT6_T7_P12ihipStream_tbENKUlT_T0_E_clISt17integral_constantIbLb0EES12_IbLb1EEEEDaSY_SZ_EUlSY_E_NS1_11comp_targetILNS1_3genE8ELNS1_11target_archE1030ELNS1_3gpuE2ELNS1_3repE0EEENS1_30default_config_static_selectorELNS0_4arch9wavefront6targetE0EEEvT1_.kd
    .uniform_work_group_size: 1
    .uses_dynamic_stack: false
    .vgpr_count:     0
    .vgpr_spill_count: 0
    .wavefront_size: 32
  - .args:
      - .offset:         0
        .size:           120
        .value_kind:     by_value
    .group_segment_fixed_size: 10240
    .kernarg_segment_align: 8
    .kernarg_segment_size: 120
    .language:       OpenCL C
    .language_version:
      - 2
      - 0
    .max_flat_workgroup_size: 128
    .name:           _ZN7rocprim17ROCPRIM_400000_NS6detail17trampoline_kernelINS0_14default_configENS1_27scan_by_key_config_selectorIj11FixedVectorIiLj2EEEEZZNS1_16scan_by_key_implILNS1_25lookback_scan_determinismE0ELb1ES3_N6thrust23THRUST_200600_302600_NS6detail15normal_iteratorINSB_10device_ptrIjEEEENSD_INSE_IS6_EEEESI_S6_NSB_4plusIvEENSB_8equal_toIvEES6_EE10hipError_tPvRmT2_T3_T4_T5_mT6_T7_P12ihipStream_tbENKUlT_T0_E_clISt17integral_constantIbLb0EES13_EEDaSY_SZ_EUlSY_E_NS1_11comp_targetILNS1_3genE0ELNS1_11target_archE4294967295ELNS1_3gpuE0ELNS1_3repE0EEENS1_30default_config_static_selectorELNS0_4arch9wavefront6targetE0EEEvT1_
    .private_segment_fixed_size: 0
    .sgpr_count:     46
    .sgpr_spill_count: 0
    .symbol:         _ZN7rocprim17ROCPRIM_400000_NS6detail17trampoline_kernelINS0_14default_configENS1_27scan_by_key_config_selectorIj11FixedVectorIiLj2EEEEZZNS1_16scan_by_key_implILNS1_25lookback_scan_determinismE0ELb1ES3_N6thrust23THRUST_200600_302600_NS6detail15normal_iteratorINSB_10device_ptrIjEEEENSD_INSE_IS6_EEEESI_S6_NSB_4plusIvEENSB_8equal_toIvEES6_EE10hipError_tPvRmT2_T3_T4_T5_mT6_T7_P12ihipStream_tbENKUlT_T0_E_clISt17integral_constantIbLb0EES13_EEDaSY_SZ_EUlSY_E_NS1_11comp_targetILNS1_3genE0ELNS1_11target_archE4294967295ELNS1_3gpuE0ELNS1_3repE0EEENS1_30default_config_static_selectorELNS0_4arch9wavefront6targetE0EEEvT1_.kd
    .uniform_work_group_size: 1
    .uses_dynamic_stack: false
    .vgpr_count:     76
    .vgpr_spill_count: 0
    .wavefront_size: 32
  - .args:
      - .offset:         0
        .size:           120
        .value_kind:     by_value
    .group_segment_fixed_size: 0
    .kernarg_segment_align: 8
    .kernarg_segment_size: 120
    .language:       OpenCL C
    .language_version:
      - 2
      - 0
    .max_flat_workgroup_size: 256
    .name:           _ZN7rocprim17ROCPRIM_400000_NS6detail17trampoline_kernelINS0_14default_configENS1_27scan_by_key_config_selectorIj11FixedVectorIiLj2EEEEZZNS1_16scan_by_key_implILNS1_25lookback_scan_determinismE0ELb1ES3_N6thrust23THRUST_200600_302600_NS6detail15normal_iteratorINSB_10device_ptrIjEEEENSD_INSE_IS6_EEEESI_S6_NSB_4plusIvEENSB_8equal_toIvEES6_EE10hipError_tPvRmT2_T3_T4_T5_mT6_T7_P12ihipStream_tbENKUlT_T0_E_clISt17integral_constantIbLb0EES13_EEDaSY_SZ_EUlSY_E_NS1_11comp_targetILNS1_3genE10ELNS1_11target_archE1201ELNS1_3gpuE5ELNS1_3repE0EEENS1_30default_config_static_selectorELNS0_4arch9wavefront6targetE0EEEvT1_
    .private_segment_fixed_size: 0
    .sgpr_count:     0
    .sgpr_spill_count: 0
    .symbol:         _ZN7rocprim17ROCPRIM_400000_NS6detail17trampoline_kernelINS0_14default_configENS1_27scan_by_key_config_selectorIj11FixedVectorIiLj2EEEEZZNS1_16scan_by_key_implILNS1_25lookback_scan_determinismE0ELb1ES3_N6thrust23THRUST_200600_302600_NS6detail15normal_iteratorINSB_10device_ptrIjEEEENSD_INSE_IS6_EEEESI_S6_NSB_4plusIvEENSB_8equal_toIvEES6_EE10hipError_tPvRmT2_T3_T4_T5_mT6_T7_P12ihipStream_tbENKUlT_T0_E_clISt17integral_constantIbLb0EES13_EEDaSY_SZ_EUlSY_E_NS1_11comp_targetILNS1_3genE10ELNS1_11target_archE1201ELNS1_3gpuE5ELNS1_3repE0EEENS1_30default_config_static_selectorELNS0_4arch9wavefront6targetE0EEEvT1_.kd
    .uniform_work_group_size: 1
    .uses_dynamic_stack: false
    .vgpr_count:     0
    .vgpr_spill_count: 0
    .wavefront_size: 32
  - .args:
      - .offset:         0
        .size:           120
        .value_kind:     by_value
    .group_segment_fixed_size: 0
    .kernarg_segment_align: 8
    .kernarg_segment_size: 120
    .language:       OpenCL C
    .language_version:
      - 2
      - 0
    .max_flat_workgroup_size: 256
    .name:           _ZN7rocprim17ROCPRIM_400000_NS6detail17trampoline_kernelINS0_14default_configENS1_27scan_by_key_config_selectorIj11FixedVectorIiLj2EEEEZZNS1_16scan_by_key_implILNS1_25lookback_scan_determinismE0ELb1ES3_N6thrust23THRUST_200600_302600_NS6detail15normal_iteratorINSB_10device_ptrIjEEEENSD_INSE_IS6_EEEESI_S6_NSB_4plusIvEENSB_8equal_toIvEES6_EE10hipError_tPvRmT2_T3_T4_T5_mT6_T7_P12ihipStream_tbENKUlT_T0_E_clISt17integral_constantIbLb0EES13_EEDaSY_SZ_EUlSY_E_NS1_11comp_targetILNS1_3genE5ELNS1_11target_archE942ELNS1_3gpuE9ELNS1_3repE0EEENS1_30default_config_static_selectorELNS0_4arch9wavefront6targetE0EEEvT1_
    .private_segment_fixed_size: 0
    .sgpr_count:     0
    .sgpr_spill_count: 0
    .symbol:         _ZN7rocprim17ROCPRIM_400000_NS6detail17trampoline_kernelINS0_14default_configENS1_27scan_by_key_config_selectorIj11FixedVectorIiLj2EEEEZZNS1_16scan_by_key_implILNS1_25lookback_scan_determinismE0ELb1ES3_N6thrust23THRUST_200600_302600_NS6detail15normal_iteratorINSB_10device_ptrIjEEEENSD_INSE_IS6_EEEESI_S6_NSB_4plusIvEENSB_8equal_toIvEES6_EE10hipError_tPvRmT2_T3_T4_T5_mT6_T7_P12ihipStream_tbENKUlT_T0_E_clISt17integral_constantIbLb0EES13_EEDaSY_SZ_EUlSY_E_NS1_11comp_targetILNS1_3genE5ELNS1_11target_archE942ELNS1_3gpuE9ELNS1_3repE0EEENS1_30default_config_static_selectorELNS0_4arch9wavefront6targetE0EEEvT1_.kd
    .uniform_work_group_size: 1
    .uses_dynamic_stack: false
    .vgpr_count:     0
    .vgpr_spill_count: 0
    .wavefront_size: 32
  - .args:
      - .offset:         0
        .size:           120
        .value_kind:     by_value
    .group_segment_fixed_size: 0
    .kernarg_segment_align: 8
    .kernarg_segment_size: 120
    .language:       OpenCL C
    .language_version:
      - 2
      - 0
    .max_flat_workgroup_size: 64
    .name:           _ZN7rocprim17ROCPRIM_400000_NS6detail17trampoline_kernelINS0_14default_configENS1_27scan_by_key_config_selectorIj11FixedVectorIiLj2EEEEZZNS1_16scan_by_key_implILNS1_25lookback_scan_determinismE0ELb1ES3_N6thrust23THRUST_200600_302600_NS6detail15normal_iteratorINSB_10device_ptrIjEEEENSD_INSE_IS6_EEEESI_S6_NSB_4plusIvEENSB_8equal_toIvEES6_EE10hipError_tPvRmT2_T3_T4_T5_mT6_T7_P12ihipStream_tbENKUlT_T0_E_clISt17integral_constantIbLb0EES13_EEDaSY_SZ_EUlSY_E_NS1_11comp_targetILNS1_3genE4ELNS1_11target_archE910ELNS1_3gpuE8ELNS1_3repE0EEENS1_30default_config_static_selectorELNS0_4arch9wavefront6targetE0EEEvT1_
    .private_segment_fixed_size: 0
    .sgpr_count:     0
    .sgpr_spill_count: 0
    .symbol:         _ZN7rocprim17ROCPRIM_400000_NS6detail17trampoline_kernelINS0_14default_configENS1_27scan_by_key_config_selectorIj11FixedVectorIiLj2EEEEZZNS1_16scan_by_key_implILNS1_25lookback_scan_determinismE0ELb1ES3_N6thrust23THRUST_200600_302600_NS6detail15normal_iteratorINSB_10device_ptrIjEEEENSD_INSE_IS6_EEEESI_S6_NSB_4plusIvEENSB_8equal_toIvEES6_EE10hipError_tPvRmT2_T3_T4_T5_mT6_T7_P12ihipStream_tbENKUlT_T0_E_clISt17integral_constantIbLb0EES13_EEDaSY_SZ_EUlSY_E_NS1_11comp_targetILNS1_3genE4ELNS1_11target_archE910ELNS1_3gpuE8ELNS1_3repE0EEENS1_30default_config_static_selectorELNS0_4arch9wavefront6targetE0EEEvT1_.kd
    .uniform_work_group_size: 1
    .uses_dynamic_stack: false
    .vgpr_count:     0
    .vgpr_spill_count: 0
    .wavefront_size: 32
  - .args:
      - .offset:         0
        .size:           120
        .value_kind:     by_value
    .group_segment_fixed_size: 0
    .kernarg_segment_align: 8
    .kernarg_segment_size: 120
    .language:       OpenCL C
    .language_version:
      - 2
      - 0
    .max_flat_workgroup_size: 128
    .name:           _ZN7rocprim17ROCPRIM_400000_NS6detail17trampoline_kernelINS0_14default_configENS1_27scan_by_key_config_selectorIj11FixedVectorIiLj2EEEEZZNS1_16scan_by_key_implILNS1_25lookback_scan_determinismE0ELb1ES3_N6thrust23THRUST_200600_302600_NS6detail15normal_iteratorINSB_10device_ptrIjEEEENSD_INSE_IS6_EEEESI_S6_NSB_4plusIvEENSB_8equal_toIvEES6_EE10hipError_tPvRmT2_T3_T4_T5_mT6_T7_P12ihipStream_tbENKUlT_T0_E_clISt17integral_constantIbLb0EES13_EEDaSY_SZ_EUlSY_E_NS1_11comp_targetILNS1_3genE3ELNS1_11target_archE908ELNS1_3gpuE7ELNS1_3repE0EEENS1_30default_config_static_selectorELNS0_4arch9wavefront6targetE0EEEvT1_
    .private_segment_fixed_size: 0
    .sgpr_count:     0
    .sgpr_spill_count: 0
    .symbol:         _ZN7rocprim17ROCPRIM_400000_NS6detail17trampoline_kernelINS0_14default_configENS1_27scan_by_key_config_selectorIj11FixedVectorIiLj2EEEEZZNS1_16scan_by_key_implILNS1_25lookback_scan_determinismE0ELb1ES3_N6thrust23THRUST_200600_302600_NS6detail15normal_iteratorINSB_10device_ptrIjEEEENSD_INSE_IS6_EEEESI_S6_NSB_4plusIvEENSB_8equal_toIvEES6_EE10hipError_tPvRmT2_T3_T4_T5_mT6_T7_P12ihipStream_tbENKUlT_T0_E_clISt17integral_constantIbLb0EES13_EEDaSY_SZ_EUlSY_E_NS1_11comp_targetILNS1_3genE3ELNS1_11target_archE908ELNS1_3gpuE7ELNS1_3repE0EEENS1_30default_config_static_selectorELNS0_4arch9wavefront6targetE0EEEvT1_.kd
    .uniform_work_group_size: 1
    .uses_dynamic_stack: false
    .vgpr_count:     0
    .vgpr_spill_count: 0
    .wavefront_size: 32
  - .args:
      - .offset:         0
        .size:           120
        .value_kind:     by_value
    .group_segment_fixed_size: 0
    .kernarg_segment_align: 8
    .kernarg_segment_size: 120
    .language:       OpenCL C
    .language_version:
      - 2
      - 0
    .max_flat_workgroup_size: 64
    .name:           _ZN7rocprim17ROCPRIM_400000_NS6detail17trampoline_kernelINS0_14default_configENS1_27scan_by_key_config_selectorIj11FixedVectorIiLj2EEEEZZNS1_16scan_by_key_implILNS1_25lookback_scan_determinismE0ELb1ES3_N6thrust23THRUST_200600_302600_NS6detail15normal_iteratorINSB_10device_ptrIjEEEENSD_INSE_IS6_EEEESI_S6_NSB_4plusIvEENSB_8equal_toIvEES6_EE10hipError_tPvRmT2_T3_T4_T5_mT6_T7_P12ihipStream_tbENKUlT_T0_E_clISt17integral_constantIbLb0EES13_EEDaSY_SZ_EUlSY_E_NS1_11comp_targetILNS1_3genE2ELNS1_11target_archE906ELNS1_3gpuE6ELNS1_3repE0EEENS1_30default_config_static_selectorELNS0_4arch9wavefront6targetE0EEEvT1_
    .private_segment_fixed_size: 0
    .sgpr_count:     0
    .sgpr_spill_count: 0
    .symbol:         _ZN7rocprim17ROCPRIM_400000_NS6detail17trampoline_kernelINS0_14default_configENS1_27scan_by_key_config_selectorIj11FixedVectorIiLj2EEEEZZNS1_16scan_by_key_implILNS1_25lookback_scan_determinismE0ELb1ES3_N6thrust23THRUST_200600_302600_NS6detail15normal_iteratorINSB_10device_ptrIjEEEENSD_INSE_IS6_EEEESI_S6_NSB_4plusIvEENSB_8equal_toIvEES6_EE10hipError_tPvRmT2_T3_T4_T5_mT6_T7_P12ihipStream_tbENKUlT_T0_E_clISt17integral_constantIbLb0EES13_EEDaSY_SZ_EUlSY_E_NS1_11comp_targetILNS1_3genE2ELNS1_11target_archE906ELNS1_3gpuE6ELNS1_3repE0EEENS1_30default_config_static_selectorELNS0_4arch9wavefront6targetE0EEEvT1_.kd
    .uniform_work_group_size: 1
    .uses_dynamic_stack: false
    .vgpr_count:     0
    .vgpr_spill_count: 0
    .wavefront_size: 32
  - .args:
      - .offset:         0
        .size:           120
        .value_kind:     by_value
    .group_segment_fixed_size: 0
    .kernarg_segment_align: 8
    .kernarg_segment_size: 120
    .language:       OpenCL C
    .language_version:
      - 2
      - 0
    .max_flat_workgroup_size: 256
    .name:           _ZN7rocprim17ROCPRIM_400000_NS6detail17trampoline_kernelINS0_14default_configENS1_27scan_by_key_config_selectorIj11FixedVectorIiLj2EEEEZZNS1_16scan_by_key_implILNS1_25lookback_scan_determinismE0ELb1ES3_N6thrust23THRUST_200600_302600_NS6detail15normal_iteratorINSB_10device_ptrIjEEEENSD_INSE_IS6_EEEESI_S6_NSB_4plusIvEENSB_8equal_toIvEES6_EE10hipError_tPvRmT2_T3_T4_T5_mT6_T7_P12ihipStream_tbENKUlT_T0_E_clISt17integral_constantIbLb0EES13_EEDaSY_SZ_EUlSY_E_NS1_11comp_targetILNS1_3genE10ELNS1_11target_archE1200ELNS1_3gpuE4ELNS1_3repE0EEENS1_30default_config_static_selectorELNS0_4arch9wavefront6targetE0EEEvT1_
    .private_segment_fixed_size: 0
    .sgpr_count:     0
    .sgpr_spill_count: 0
    .symbol:         _ZN7rocprim17ROCPRIM_400000_NS6detail17trampoline_kernelINS0_14default_configENS1_27scan_by_key_config_selectorIj11FixedVectorIiLj2EEEEZZNS1_16scan_by_key_implILNS1_25lookback_scan_determinismE0ELb1ES3_N6thrust23THRUST_200600_302600_NS6detail15normal_iteratorINSB_10device_ptrIjEEEENSD_INSE_IS6_EEEESI_S6_NSB_4plusIvEENSB_8equal_toIvEES6_EE10hipError_tPvRmT2_T3_T4_T5_mT6_T7_P12ihipStream_tbENKUlT_T0_E_clISt17integral_constantIbLb0EES13_EEDaSY_SZ_EUlSY_E_NS1_11comp_targetILNS1_3genE10ELNS1_11target_archE1200ELNS1_3gpuE4ELNS1_3repE0EEENS1_30default_config_static_selectorELNS0_4arch9wavefront6targetE0EEEvT1_.kd
    .uniform_work_group_size: 1
    .uses_dynamic_stack: false
    .vgpr_count:     0
    .vgpr_spill_count: 0
    .wavefront_size: 32
  - .args:
      - .offset:         0
        .size:           120
        .value_kind:     by_value
    .group_segment_fixed_size: 0
    .kernarg_segment_align: 8
    .kernarg_segment_size: 120
    .language:       OpenCL C
    .language_version:
      - 2
      - 0
    .max_flat_workgroup_size: 256
    .name:           _ZN7rocprim17ROCPRIM_400000_NS6detail17trampoline_kernelINS0_14default_configENS1_27scan_by_key_config_selectorIj11FixedVectorIiLj2EEEEZZNS1_16scan_by_key_implILNS1_25lookback_scan_determinismE0ELb1ES3_N6thrust23THRUST_200600_302600_NS6detail15normal_iteratorINSB_10device_ptrIjEEEENSD_INSE_IS6_EEEESI_S6_NSB_4plusIvEENSB_8equal_toIvEES6_EE10hipError_tPvRmT2_T3_T4_T5_mT6_T7_P12ihipStream_tbENKUlT_T0_E_clISt17integral_constantIbLb0EES13_EEDaSY_SZ_EUlSY_E_NS1_11comp_targetILNS1_3genE9ELNS1_11target_archE1100ELNS1_3gpuE3ELNS1_3repE0EEENS1_30default_config_static_selectorELNS0_4arch9wavefront6targetE0EEEvT1_
    .private_segment_fixed_size: 0
    .sgpr_count:     0
    .sgpr_spill_count: 0
    .symbol:         _ZN7rocprim17ROCPRIM_400000_NS6detail17trampoline_kernelINS0_14default_configENS1_27scan_by_key_config_selectorIj11FixedVectorIiLj2EEEEZZNS1_16scan_by_key_implILNS1_25lookback_scan_determinismE0ELb1ES3_N6thrust23THRUST_200600_302600_NS6detail15normal_iteratorINSB_10device_ptrIjEEEENSD_INSE_IS6_EEEESI_S6_NSB_4plusIvEENSB_8equal_toIvEES6_EE10hipError_tPvRmT2_T3_T4_T5_mT6_T7_P12ihipStream_tbENKUlT_T0_E_clISt17integral_constantIbLb0EES13_EEDaSY_SZ_EUlSY_E_NS1_11comp_targetILNS1_3genE9ELNS1_11target_archE1100ELNS1_3gpuE3ELNS1_3repE0EEENS1_30default_config_static_selectorELNS0_4arch9wavefront6targetE0EEEvT1_.kd
    .uniform_work_group_size: 1
    .uses_dynamic_stack: false
    .vgpr_count:     0
    .vgpr_spill_count: 0
    .wavefront_size: 32
  - .args:
      - .offset:         0
        .size:           120
        .value_kind:     by_value
    .group_segment_fixed_size: 0
    .kernarg_segment_align: 8
    .kernarg_segment_size: 120
    .language:       OpenCL C
    .language_version:
      - 2
      - 0
    .max_flat_workgroup_size: 256
    .name:           _ZN7rocprim17ROCPRIM_400000_NS6detail17trampoline_kernelINS0_14default_configENS1_27scan_by_key_config_selectorIj11FixedVectorIiLj2EEEEZZNS1_16scan_by_key_implILNS1_25lookback_scan_determinismE0ELb1ES3_N6thrust23THRUST_200600_302600_NS6detail15normal_iteratorINSB_10device_ptrIjEEEENSD_INSE_IS6_EEEESI_S6_NSB_4plusIvEENSB_8equal_toIvEES6_EE10hipError_tPvRmT2_T3_T4_T5_mT6_T7_P12ihipStream_tbENKUlT_T0_E_clISt17integral_constantIbLb0EES13_EEDaSY_SZ_EUlSY_E_NS1_11comp_targetILNS1_3genE8ELNS1_11target_archE1030ELNS1_3gpuE2ELNS1_3repE0EEENS1_30default_config_static_selectorELNS0_4arch9wavefront6targetE0EEEvT1_
    .private_segment_fixed_size: 0
    .sgpr_count:     0
    .sgpr_spill_count: 0
    .symbol:         _ZN7rocprim17ROCPRIM_400000_NS6detail17trampoline_kernelINS0_14default_configENS1_27scan_by_key_config_selectorIj11FixedVectorIiLj2EEEEZZNS1_16scan_by_key_implILNS1_25lookback_scan_determinismE0ELb1ES3_N6thrust23THRUST_200600_302600_NS6detail15normal_iteratorINSB_10device_ptrIjEEEENSD_INSE_IS6_EEEESI_S6_NSB_4plusIvEENSB_8equal_toIvEES6_EE10hipError_tPvRmT2_T3_T4_T5_mT6_T7_P12ihipStream_tbENKUlT_T0_E_clISt17integral_constantIbLb0EES13_EEDaSY_SZ_EUlSY_E_NS1_11comp_targetILNS1_3genE8ELNS1_11target_archE1030ELNS1_3gpuE2ELNS1_3repE0EEENS1_30default_config_static_selectorELNS0_4arch9wavefront6targetE0EEEvT1_.kd
    .uniform_work_group_size: 1
    .uses_dynamic_stack: false
    .vgpr_count:     0
    .vgpr_spill_count: 0
    .wavefront_size: 32
  - .args:
      - .offset:         0
        .size:           120
        .value_kind:     by_value
    .group_segment_fixed_size: 0
    .kernarg_segment_align: 8
    .kernarg_segment_size: 120
    .language:       OpenCL C
    .language_version:
      - 2
      - 0
    .max_flat_workgroup_size: 128
    .name:           _ZN7rocprim17ROCPRIM_400000_NS6detail17trampoline_kernelINS0_14default_configENS1_27scan_by_key_config_selectorIj11FixedVectorIiLj2EEEEZZNS1_16scan_by_key_implILNS1_25lookback_scan_determinismE0ELb1ES3_N6thrust23THRUST_200600_302600_NS6detail15normal_iteratorINSB_10device_ptrIjEEEENSD_INSE_IS6_EEEESI_S6_NSB_4plusIvEENSB_8equal_toIvEES6_EE10hipError_tPvRmT2_T3_T4_T5_mT6_T7_P12ihipStream_tbENKUlT_T0_E_clISt17integral_constantIbLb1EES13_EEDaSY_SZ_EUlSY_E_NS1_11comp_targetILNS1_3genE0ELNS1_11target_archE4294967295ELNS1_3gpuE0ELNS1_3repE0EEENS1_30default_config_static_selectorELNS0_4arch9wavefront6targetE0EEEvT1_
    .private_segment_fixed_size: 0
    .sgpr_count:     0
    .sgpr_spill_count: 0
    .symbol:         _ZN7rocprim17ROCPRIM_400000_NS6detail17trampoline_kernelINS0_14default_configENS1_27scan_by_key_config_selectorIj11FixedVectorIiLj2EEEEZZNS1_16scan_by_key_implILNS1_25lookback_scan_determinismE0ELb1ES3_N6thrust23THRUST_200600_302600_NS6detail15normal_iteratorINSB_10device_ptrIjEEEENSD_INSE_IS6_EEEESI_S6_NSB_4plusIvEENSB_8equal_toIvEES6_EE10hipError_tPvRmT2_T3_T4_T5_mT6_T7_P12ihipStream_tbENKUlT_T0_E_clISt17integral_constantIbLb1EES13_EEDaSY_SZ_EUlSY_E_NS1_11comp_targetILNS1_3genE0ELNS1_11target_archE4294967295ELNS1_3gpuE0ELNS1_3repE0EEENS1_30default_config_static_selectorELNS0_4arch9wavefront6targetE0EEEvT1_.kd
    .uniform_work_group_size: 1
    .uses_dynamic_stack: false
    .vgpr_count:     0
    .vgpr_spill_count: 0
    .wavefront_size: 32
  - .args:
      - .offset:         0
        .size:           120
        .value_kind:     by_value
    .group_segment_fixed_size: 0
    .kernarg_segment_align: 8
    .kernarg_segment_size: 120
    .language:       OpenCL C
    .language_version:
      - 2
      - 0
    .max_flat_workgroup_size: 256
    .name:           _ZN7rocprim17ROCPRIM_400000_NS6detail17trampoline_kernelINS0_14default_configENS1_27scan_by_key_config_selectorIj11FixedVectorIiLj2EEEEZZNS1_16scan_by_key_implILNS1_25lookback_scan_determinismE0ELb1ES3_N6thrust23THRUST_200600_302600_NS6detail15normal_iteratorINSB_10device_ptrIjEEEENSD_INSE_IS6_EEEESI_S6_NSB_4plusIvEENSB_8equal_toIvEES6_EE10hipError_tPvRmT2_T3_T4_T5_mT6_T7_P12ihipStream_tbENKUlT_T0_E_clISt17integral_constantIbLb1EES13_EEDaSY_SZ_EUlSY_E_NS1_11comp_targetILNS1_3genE10ELNS1_11target_archE1201ELNS1_3gpuE5ELNS1_3repE0EEENS1_30default_config_static_selectorELNS0_4arch9wavefront6targetE0EEEvT1_
    .private_segment_fixed_size: 0
    .sgpr_count:     0
    .sgpr_spill_count: 0
    .symbol:         _ZN7rocprim17ROCPRIM_400000_NS6detail17trampoline_kernelINS0_14default_configENS1_27scan_by_key_config_selectorIj11FixedVectorIiLj2EEEEZZNS1_16scan_by_key_implILNS1_25lookback_scan_determinismE0ELb1ES3_N6thrust23THRUST_200600_302600_NS6detail15normal_iteratorINSB_10device_ptrIjEEEENSD_INSE_IS6_EEEESI_S6_NSB_4plusIvEENSB_8equal_toIvEES6_EE10hipError_tPvRmT2_T3_T4_T5_mT6_T7_P12ihipStream_tbENKUlT_T0_E_clISt17integral_constantIbLb1EES13_EEDaSY_SZ_EUlSY_E_NS1_11comp_targetILNS1_3genE10ELNS1_11target_archE1201ELNS1_3gpuE5ELNS1_3repE0EEENS1_30default_config_static_selectorELNS0_4arch9wavefront6targetE0EEEvT1_.kd
    .uniform_work_group_size: 1
    .uses_dynamic_stack: false
    .vgpr_count:     0
    .vgpr_spill_count: 0
    .wavefront_size: 32
  - .args:
      - .offset:         0
        .size:           120
        .value_kind:     by_value
    .group_segment_fixed_size: 0
    .kernarg_segment_align: 8
    .kernarg_segment_size: 120
    .language:       OpenCL C
    .language_version:
      - 2
      - 0
    .max_flat_workgroup_size: 256
    .name:           _ZN7rocprim17ROCPRIM_400000_NS6detail17trampoline_kernelINS0_14default_configENS1_27scan_by_key_config_selectorIj11FixedVectorIiLj2EEEEZZNS1_16scan_by_key_implILNS1_25lookback_scan_determinismE0ELb1ES3_N6thrust23THRUST_200600_302600_NS6detail15normal_iteratorINSB_10device_ptrIjEEEENSD_INSE_IS6_EEEESI_S6_NSB_4plusIvEENSB_8equal_toIvEES6_EE10hipError_tPvRmT2_T3_T4_T5_mT6_T7_P12ihipStream_tbENKUlT_T0_E_clISt17integral_constantIbLb1EES13_EEDaSY_SZ_EUlSY_E_NS1_11comp_targetILNS1_3genE5ELNS1_11target_archE942ELNS1_3gpuE9ELNS1_3repE0EEENS1_30default_config_static_selectorELNS0_4arch9wavefront6targetE0EEEvT1_
    .private_segment_fixed_size: 0
    .sgpr_count:     0
    .sgpr_spill_count: 0
    .symbol:         _ZN7rocprim17ROCPRIM_400000_NS6detail17trampoline_kernelINS0_14default_configENS1_27scan_by_key_config_selectorIj11FixedVectorIiLj2EEEEZZNS1_16scan_by_key_implILNS1_25lookback_scan_determinismE0ELb1ES3_N6thrust23THRUST_200600_302600_NS6detail15normal_iteratorINSB_10device_ptrIjEEEENSD_INSE_IS6_EEEESI_S6_NSB_4plusIvEENSB_8equal_toIvEES6_EE10hipError_tPvRmT2_T3_T4_T5_mT6_T7_P12ihipStream_tbENKUlT_T0_E_clISt17integral_constantIbLb1EES13_EEDaSY_SZ_EUlSY_E_NS1_11comp_targetILNS1_3genE5ELNS1_11target_archE942ELNS1_3gpuE9ELNS1_3repE0EEENS1_30default_config_static_selectorELNS0_4arch9wavefront6targetE0EEEvT1_.kd
    .uniform_work_group_size: 1
    .uses_dynamic_stack: false
    .vgpr_count:     0
    .vgpr_spill_count: 0
    .wavefront_size: 32
  - .args:
      - .offset:         0
        .size:           120
        .value_kind:     by_value
    .group_segment_fixed_size: 0
    .kernarg_segment_align: 8
    .kernarg_segment_size: 120
    .language:       OpenCL C
    .language_version:
      - 2
      - 0
    .max_flat_workgroup_size: 64
    .name:           _ZN7rocprim17ROCPRIM_400000_NS6detail17trampoline_kernelINS0_14default_configENS1_27scan_by_key_config_selectorIj11FixedVectorIiLj2EEEEZZNS1_16scan_by_key_implILNS1_25lookback_scan_determinismE0ELb1ES3_N6thrust23THRUST_200600_302600_NS6detail15normal_iteratorINSB_10device_ptrIjEEEENSD_INSE_IS6_EEEESI_S6_NSB_4plusIvEENSB_8equal_toIvEES6_EE10hipError_tPvRmT2_T3_T4_T5_mT6_T7_P12ihipStream_tbENKUlT_T0_E_clISt17integral_constantIbLb1EES13_EEDaSY_SZ_EUlSY_E_NS1_11comp_targetILNS1_3genE4ELNS1_11target_archE910ELNS1_3gpuE8ELNS1_3repE0EEENS1_30default_config_static_selectorELNS0_4arch9wavefront6targetE0EEEvT1_
    .private_segment_fixed_size: 0
    .sgpr_count:     0
    .sgpr_spill_count: 0
    .symbol:         _ZN7rocprim17ROCPRIM_400000_NS6detail17trampoline_kernelINS0_14default_configENS1_27scan_by_key_config_selectorIj11FixedVectorIiLj2EEEEZZNS1_16scan_by_key_implILNS1_25lookback_scan_determinismE0ELb1ES3_N6thrust23THRUST_200600_302600_NS6detail15normal_iteratorINSB_10device_ptrIjEEEENSD_INSE_IS6_EEEESI_S6_NSB_4plusIvEENSB_8equal_toIvEES6_EE10hipError_tPvRmT2_T3_T4_T5_mT6_T7_P12ihipStream_tbENKUlT_T0_E_clISt17integral_constantIbLb1EES13_EEDaSY_SZ_EUlSY_E_NS1_11comp_targetILNS1_3genE4ELNS1_11target_archE910ELNS1_3gpuE8ELNS1_3repE0EEENS1_30default_config_static_selectorELNS0_4arch9wavefront6targetE0EEEvT1_.kd
    .uniform_work_group_size: 1
    .uses_dynamic_stack: false
    .vgpr_count:     0
    .vgpr_spill_count: 0
    .wavefront_size: 32
  - .args:
      - .offset:         0
        .size:           120
        .value_kind:     by_value
    .group_segment_fixed_size: 0
    .kernarg_segment_align: 8
    .kernarg_segment_size: 120
    .language:       OpenCL C
    .language_version:
      - 2
      - 0
    .max_flat_workgroup_size: 128
    .name:           _ZN7rocprim17ROCPRIM_400000_NS6detail17trampoline_kernelINS0_14default_configENS1_27scan_by_key_config_selectorIj11FixedVectorIiLj2EEEEZZNS1_16scan_by_key_implILNS1_25lookback_scan_determinismE0ELb1ES3_N6thrust23THRUST_200600_302600_NS6detail15normal_iteratorINSB_10device_ptrIjEEEENSD_INSE_IS6_EEEESI_S6_NSB_4plusIvEENSB_8equal_toIvEES6_EE10hipError_tPvRmT2_T3_T4_T5_mT6_T7_P12ihipStream_tbENKUlT_T0_E_clISt17integral_constantIbLb1EES13_EEDaSY_SZ_EUlSY_E_NS1_11comp_targetILNS1_3genE3ELNS1_11target_archE908ELNS1_3gpuE7ELNS1_3repE0EEENS1_30default_config_static_selectorELNS0_4arch9wavefront6targetE0EEEvT1_
    .private_segment_fixed_size: 0
    .sgpr_count:     0
    .sgpr_spill_count: 0
    .symbol:         _ZN7rocprim17ROCPRIM_400000_NS6detail17trampoline_kernelINS0_14default_configENS1_27scan_by_key_config_selectorIj11FixedVectorIiLj2EEEEZZNS1_16scan_by_key_implILNS1_25lookback_scan_determinismE0ELb1ES3_N6thrust23THRUST_200600_302600_NS6detail15normal_iteratorINSB_10device_ptrIjEEEENSD_INSE_IS6_EEEESI_S6_NSB_4plusIvEENSB_8equal_toIvEES6_EE10hipError_tPvRmT2_T3_T4_T5_mT6_T7_P12ihipStream_tbENKUlT_T0_E_clISt17integral_constantIbLb1EES13_EEDaSY_SZ_EUlSY_E_NS1_11comp_targetILNS1_3genE3ELNS1_11target_archE908ELNS1_3gpuE7ELNS1_3repE0EEENS1_30default_config_static_selectorELNS0_4arch9wavefront6targetE0EEEvT1_.kd
    .uniform_work_group_size: 1
    .uses_dynamic_stack: false
    .vgpr_count:     0
    .vgpr_spill_count: 0
    .wavefront_size: 32
  - .args:
      - .offset:         0
        .size:           120
        .value_kind:     by_value
    .group_segment_fixed_size: 0
    .kernarg_segment_align: 8
    .kernarg_segment_size: 120
    .language:       OpenCL C
    .language_version:
      - 2
      - 0
    .max_flat_workgroup_size: 64
    .name:           _ZN7rocprim17ROCPRIM_400000_NS6detail17trampoline_kernelINS0_14default_configENS1_27scan_by_key_config_selectorIj11FixedVectorIiLj2EEEEZZNS1_16scan_by_key_implILNS1_25lookback_scan_determinismE0ELb1ES3_N6thrust23THRUST_200600_302600_NS6detail15normal_iteratorINSB_10device_ptrIjEEEENSD_INSE_IS6_EEEESI_S6_NSB_4plusIvEENSB_8equal_toIvEES6_EE10hipError_tPvRmT2_T3_T4_T5_mT6_T7_P12ihipStream_tbENKUlT_T0_E_clISt17integral_constantIbLb1EES13_EEDaSY_SZ_EUlSY_E_NS1_11comp_targetILNS1_3genE2ELNS1_11target_archE906ELNS1_3gpuE6ELNS1_3repE0EEENS1_30default_config_static_selectorELNS0_4arch9wavefront6targetE0EEEvT1_
    .private_segment_fixed_size: 0
    .sgpr_count:     0
    .sgpr_spill_count: 0
    .symbol:         _ZN7rocprim17ROCPRIM_400000_NS6detail17trampoline_kernelINS0_14default_configENS1_27scan_by_key_config_selectorIj11FixedVectorIiLj2EEEEZZNS1_16scan_by_key_implILNS1_25lookback_scan_determinismE0ELb1ES3_N6thrust23THRUST_200600_302600_NS6detail15normal_iteratorINSB_10device_ptrIjEEEENSD_INSE_IS6_EEEESI_S6_NSB_4plusIvEENSB_8equal_toIvEES6_EE10hipError_tPvRmT2_T3_T4_T5_mT6_T7_P12ihipStream_tbENKUlT_T0_E_clISt17integral_constantIbLb1EES13_EEDaSY_SZ_EUlSY_E_NS1_11comp_targetILNS1_3genE2ELNS1_11target_archE906ELNS1_3gpuE6ELNS1_3repE0EEENS1_30default_config_static_selectorELNS0_4arch9wavefront6targetE0EEEvT1_.kd
    .uniform_work_group_size: 1
    .uses_dynamic_stack: false
    .vgpr_count:     0
    .vgpr_spill_count: 0
    .wavefront_size: 32
  - .args:
      - .offset:         0
        .size:           120
        .value_kind:     by_value
    .group_segment_fixed_size: 0
    .kernarg_segment_align: 8
    .kernarg_segment_size: 120
    .language:       OpenCL C
    .language_version:
      - 2
      - 0
    .max_flat_workgroup_size: 256
    .name:           _ZN7rocprim17ROCPRIM_400000_NS6detail17trampoline_kernelINS0_14default_configENS1_27scan_by_key_config_selectorIj11FixedVectorIiLj2EEEEZZNS1_16scan_by_key_implILNS1_25lookback_scan_determinismE0ELb1ES3_N6thrust23THRUST_200600_302600_NS6detail15normal_iteratorINSB_10device_ptrIjEEEENSD_INSE_IS6_EEEESI_S6_NSB_4plusIvEENSB_8equal_toIvEES6_EE10hipError_tPvRmT2_T3_T4_T5_mT6_T7_P12ihipStream_tbENKUlT_T0_E_clISt17integral_constantIbLb1EES13_EEDaSY_SZ_EUlSY_E_NS1_11comp_targetILNS1_3genE10ELNS1_11target_archE1200ELNS1_3gpuE4ELNS1_3repE0EEENS1_30default_config_static_selectorELNS0_4arch9wavefront6targetE0EEEvT1_
    .private_segment_fixed_size: 0
    .sgpr_count:     0
    .sgpr_spill_count: 0
    .symbol:         _ZN7rocprim17ROCPRIM_400000_NS6detail17trampoline_kernelINS0_14default_configENS1_27scan_by_key_config_selectorIj11FixedVectorIiLj2EEEEZZNS1_16scan_by_key_implILNS1_25lookback_scan_determinismE0ELb1ES3_N6thrust23THRUST_200600_302600_NS6detail15normal_iteratorINSB_10device_ptrIjEEEENSD_INSE_IS6_EEEESI_S6_NSB_4plusIvEENSB_8equal_toIvEES6_EE10hipError_tPvRmT2_T3_T4_T5_mT6_T7_P12ihipStream_tbENKUlT_T0_E_clISt17integral_constantIbLb1EES13_EEDaSY_SZ_EUlSY_E_NS1_11comp_targetILNS1_3genE10ELNS1_11target_archE1200ELNS1_3gpuE4ELNS1_3repE0EEENS1_30default_config_static_selectorELNS0_4arch9wavefront6targetE0EEEvT1_.kd
    .uniform_work_group_size: 1
    .uses_dynamic_stack: false
    .vgpr_count:     0
    .vgpr_spill_count: 0
    .wavefront_size: 32
  - .args:
      - .offset:         0
        .size:           120
        .value_kind:     by_value
    .group_segment_fixed_size: 0
    .kernarg_segment_align: 8
    .kernarg_segment_size: 120
    .language:       OpenCL C
    .language_version:
      - 2
      - 0
    .max_flat_workgroup_size: 256
    .name:           _ZN7rocprim17ROCPRIM_400000_NS6detail17trampoline_kernelINS0_14default_configENS1_27scan_by_key_config_selectorIj11FixedVectorIiLj2EEEEZZNS1_16scan_by_key_implILNS1_25lookback_scan_determinismE0ELb1ES3_N6thrust23THRUST_200600_302600_NS6detail15normal_iteratorINSB_10device_ptrIjEEEENSD_INSE_IS6_EEEESI_S6_NSB_4plusIvEENSB_8equal_toIvEES6_EE10hipError_tPvRmT2_T3_T4_T5_mT6_T7_P12ihipStream_tbENKUlT_T0_E_clISt17integral_constantIbLb1EES13_EEDaSY_SZ_EUlSY_E_NS1_11comp_targetILNS1_3genE9ELNS1_11target_archE1100ELNS1_3gpuE3ELNS1_3repE0EEENS1_30default_config_static_selectorELNS0_4arch9wavefront6targetE0EEEvT1_
    .private_segment_fixed_size: 0
    .sgpr_count:     0
    .sgpr_spill_count: 0
    .symbol:         _ZN7rocprim17ROCPRIM_400000_NS6detail17trampoline_kernelINS0_14default_configENS1_27scan_by_key_config_selectorIj11FixedVectorIiLj2EEEEZZNS1_16scan_by_key_implILNS1_25lookback_scan_determinismE0ELb1ES3_N6thrust23THRUST_200600_302600_NS6detail15normal_iteratorINSB_10device_ptrIjEEEENSD_INSE_IS6_EEEESI_S6_NSB_4plusIvEENSB_8equal_toIvEES6_EE10hipError_tPvRmT2_T3_T4_T5_mT6_T7_P12ihipStream_tbENKUlT_T0_E_clISt17integral_constantIbLb1EES13_EEDaSY_SZ_EUlSY_E_NS1_11comp_targetILNS1_3genE9ELNS1_11target_archE1100ELNS1_3gpuE3ELNS1_3repE0EEENS1_30default_config_static_selectorELNS0_4arch9wavefront6targetE0EEEvT1_.kd
    .uniform_work_group_size: 1
    .uses_dynamic_stack: false
    .vgpr_count:     0
    .vgpr_spill_count: 0
    .wavefront_size: 32
  - .args:
      - .offset:         0
        .size:           120
        .value_kind:     by_value
    .group_segment_fixed_size: 0
    .kernarg_segment_align: 8
    .kernarg_segment_size: 120
    .language:       OpenCL C
    .language_version:
      - 2
      - 0
    .max_flat_workgroup_size: 256
    .name:           _ZN7rocprim17ROCPRIM_400000_NS6detail17trampoline_kernelINS0_14default_configENS1_27scan_by_key_config_selectorIj11FixedVectorIiLj2EEEEZZNS1_16scan_by_key_implILNS1_25lookback_scan_determinismE0ELb1ES3_N6thrust23THRUST_200600_302600_NS6detail15normal_iteratorINSB_10device_ptrIjEEEENSD_INSE_IS6_EEEESI_S6_NSB_4plusIvEENSB_8equal_toIvEES6_EE10hipError_tPvRmT2_T3_T4_T5_mT6_T7_P12ihipStream_tbENKUlT_T0_E_clISt17integral_constantIbLb1EES13_EEDaSY_SZ_EUlSY_E_NS1_11comp_targetILNS1_3genE8ELNS1_11target_archE1030ELNS1_3gpuE2ELNS1_3repE0EEENS1_30default_config_static_selectorELNS0_4arch9wavefront6targetE0EEEvT1_
    .private_segment_fixed_size: 0
    .sgpr_count:     0
    .sgpr_spill_count: 0
    .symbol:         _ZN7rocprim17ROCPRIM_400000_NS6detail17trampoline_kernelINS0_14default_configENS1_27scan_by_key_config_selectorIj11FixedVectorIiLj2EEEEZZNS1_16scan_by_key_implILNS1_25lookback_scan_determinismE0ELb1ES3_N6thrust23THRUST_200600_302600_NS6detail15normal_iteratorINSB_10device_ptrIjEEEENSD_INSE_IS6_EEEESI_S6_NSB_4plusIvEENSB_8equal_toIvEES6_EE10hipError_tPvRmT2_T3_T4_T5_mT6_T7_P12ihipStream_tbENKUlT_T0_E_clISt17integral_constantIbLb1EES13_EEDaSY_SZ_EUlSY_E_NS1_11comp_targetILNS1_3genE8ELNS1_11target_archE1030ELNS1_3gpuE2ELNS1_3repE0EEENS1_30default_config_static_selectorELNS0_4arch9wavefront6targetE0EEEvT1_.kd
    .uniform_work_group_size: 1
    .uses_dynamic_stack: false
    .vgpr_count:     0
    .vgpr_spill_count: 0
    .wavefront_size: 32
  - .args:
      - .offset:         0
        .size:           120
        .value_kind:     by_value
    .group_segment_fixed_size: 0
    .kernarg_segment_align: 8
    .kernarg_segment_size: 120
    .language:       OpenCL C
    .language_version:
      - 2
      - 0
    .max_flat_workgroup_size: 128
    .name:           _ZN7rocprim17ROCPRIM_400000_NS6detail17trampoline_kernelINS0_14default_configENS1_27scan_by_key_config_selectorIj11FixedVectorIiLj2EEEEZZNS1_16scan_by_key_implILNS1_25lookback_scan_determinismE0ELb1ES3_N6thrust23THRUST_200600_302600_NS6detail15normal_iteratorINSB_10device_ptrIjEEEENSD_INSE_IS6_EEEESI_S6_NSB_4plusIvEENSB_8equal_toIvEES6_EE10hipError_tPvRmT2_T3_T4_T5_mT6_T7_P12ihipStream_tbENKUlT_T0_E_clISt17integral_constantIbLb1EES12_IbLb0EEEEDaSY_SZ_EUlSY_E_NS1_11comp_targetILNS1_3genE0ELNS1_11target_archE4294967295ELNS1_3gpuE0ELNS1_3repE0EEENS1_30default_config_static_selectorELNS0_4arch9wavefront6targetE0EEEvT1_
    .private_segment_fixed_size: 0
    .sgpr_count:     0
    .sgpr_spill_count: 0
    .symbol:         _ZN7rocprim17ROCPRIM_400000_NS6detail17trampoline_kernelINS0_14default_configENS1_27scan_by_key_config_selectorIj11FixedVectorIiLj2EEEEZZNS1_16scan_by_key_implILNS1_25lookback_scan_determinismE0ELb1ES3_N6thrust23THRUST_200600_302600_NS6detail15normal_iteratorINSB_10device_ptrIjEEEENSD_INSE_IS6_EEEESI_S6_NSB_4plusIvEENSB_8equal_toIvEES6_EE10hipError_tPvRmT2_T3_T4_T5_mT6_T7_P12ihipStream_tbENKUlT_T0_E_clISt17integral_constantIbLb1EES12_IbLb0EEEEDaSY_SZ_EUlSY_E_NS1_11comp_targetILNS1_3genE0ELNS1_11target_archE4294967295ELNS1_3gpuE0ELNS1_3repE0EEENS1_30default_config_static_selectorELNS0_4arch9wavefront6targetE0EEEvT1_.kd
    .uniform_work_group_size: 1
    .uses_dynamic_stack: false
    .vgpr_count:     0
    .vgpr_spill_count: 0
    .wavefront_size: 32
  - .args:
      - .offset:         0
        .size:           120
        .value_kind:     by_value
    .group_segment_fixed_size: 0
    .kernarg_segment_align: 8
    .kernarg_segment_size: 120
    .language:       OpenCL C
    .language_version:
      - 2
      - 0
    .max_flat_workgroup_size: 256
    .name:           _ZN7rocprim17ROCPRIM_400000_NS6detail17trampoline_kernelINS0_14default_configENS1_27scan_by_key_config_selectorIj11FixedVectorIiLj2EEEEZZNS1_16scan_by_key_implILNS1_25lookback_scan_determinismE0ELb1ES3_N6thrust23THRUST_200600_302600_NS6detail15normal_iteratorINSB_10device_ptrIjEEEENSD_INSE_IS6_EEEESI_S6_NSB_4plusIvEENSB_8equal_toIvEES6_EE10hipError_tPvRmT2_T3_T4_T5_mT6_T7_P12ihipStream_tbENKUlT_T0_E_clISt17integral_constantIbLb1EES12_IbLb0EEEEDaSY_SZ_EUlSY_E_NS1_11comp_targetILNS1_3genE10ELNS1_11target_archE1201ELNS1_3gpuE5ELNS1_3repE0EEENS1_30default_config_static_selectorELNS0_4arch9wavefront6targetE0EEEvT1_
    .private_segment_fixed_size: 0
    .sgpr_count:     0
    .sgpr_spill_count: 0
    .symbol:         _ZN7rocprim17ROCPRIM_400000_NS6detail17trampoline_kernelINS0_14default_configENS1_27scan_by_key_config_selectorIj11FixedVectorIiLj2EEEEZZNS1_16scan_by_key_implILNS1_25lookback_scan_determinismE0ELb1ES3_N6thrust23THRUST_200600_302600_NS6detail15normal_iteratorINSB_10device_ptrIjEEEENSD_INSE_IS6_EEEESI_S6_NSB_4plusIvEENSB_8equal_toIvEES6_EE10hipError_tPvRmT2_T3_T4_T5_mT6_T7_P12ihipStream_tbENKUlT_T0_E_clISt17integral_constantIbLb1EES12_IbLb0EEEEDaSY_SZ_EUlSY_E_NS1_11comp_targetILNS1_3genE10ELNS1_11target_archE1201ELNS1_3gpuE5ELNS1_3repE0EEENS1_30default_config_static_selectorELNS0_4arch9wavefront6targetE0EEEvT1_.kd
    .uniform_work_group_size: 1
    .uses_dynamic_stack: false
    .vgpr_count:     0
    .vgpr_spill_count: 0
    .wavefront_size: 32
  - .args:
      - .offset:         0
        .size:           120
        .value_kind:     by_value
    .group_segment_fixed_size: 0
    .kernarg_segment_align: 8
    .kernarg_segment_size: 120
    .language:       OpenCL C
    .language_version:
      - 2
      - 0
    .max_flat_workgroup_size: 256
    .name:           _ZN7rocprim17ROCPRIM_400000_NS6detail17trampoline_kernelINS0_14default_configENS1_27scan_by_key_config_selectorIj11FixedVectorIiLj2EEEEZZNS1_16scan_by_key_implILNS1_25lookback_scan_determinismE0ELb1ES3_N6thrust23THRUST_200600_302600_NS6detail15normal_iteratorINSB_10device_ptrIjEEEENSD_INSE_IS6_EEEESI_S6_NSB_4plusIvEENSB_8equal_toIvEES6_EE10hipError_tPvRmT2_T3_T4_T5_mT6_T7_P12ihipStream_tbENKUlT_T0_E_clISt17integral_constantIbLb1EES12_IbLb0EEEEDaSY_SZ_EUlSY_E_NS1_11comp_targetILNS1_3genE5ELNS1_11target_archE942ELNS1_3gpuE9ELNS1_3repE0EEENS1_30default_config_static_selectorELNS0_4arch9wavefront6targetE0EEEvT1_
    .private_segment_fixed_size: 0
    .sgpr_count:     0
    .sgpr_spill_count: 0
    .symbol:         _ZN7rocprim17ROCPRIM_400000_NS6detail17trampoline_kernelINS0_14default_configENS1_27scan_by_key_config_selectorIj11FixedVectorIiLj2EEEEZZNS1_16scan_by_key_implILNS1_25lookback_scan_determinismE0ELb1ES3_N6thrust23THRUST_200600_302600_NS6detail15normal_iteratorINSB_10device_ptrIjEEEENSD_INSE_IS6_EEEESI_S6_NSB_4plusIvEENSB_8equal_toIvEES6_EE10hipError_tPvRmT2_T3_T4_T5_mT6_T7_P12ihipStream_tbENKUlT_T0_E_clISt17integral_constantIbLb1EES12_IbLb0EEEEDaSY_SZ_EUlSY_E_NS1_11comp_targetILNS1_3genE5ELNS1_11target_archE942ELNS1_3gpuE9ELNS1_3repE0EEENS1_30default_config_static_selectorELNS0_4arch9wavefront6targetE0EEEvT1_.kd
    .uniform_work_group_size: 1
    .uses_dynamic_stack: false
    .vgpr_count:     0
    .vgpr_spill_count: 0
    .wavefront_size: 32
  - .args:
      - .offset:         0
        .size:           120
        .value_kind:     by_value
    .group_segment_fixed_size: 0
    .kernarg_segment_align: 8
    .kernarg_segment_size: 120
    .language:       OpenCL C
    .language_version:
      - 2
      - 0
    .max_flat_workgroup_size: 64
    .name:           _ZN7rocprim17ROCPRIM_400000_NS6detail17trampoline_kernelINS0_14default_configENS1_27scan_by_key_config_selectorIj11FixedVectorIiLj2EEEEZZNS1_16scan_by_key_implILNS1_25lookback_scan_determinismE0ELb1ES3_N6thrust23THRUST_200600_302600_NS6detail15normal_iteratorINSB_10device_ptrIjEEEENSD_INSE_IS6_EEEESI_S6_NSB_4plusIvEENSB_8equal_toIvEES6_EE10hipError_tPvRmT2_T3_T4_T5_mT6_T7_P12ihipStream_tbENKUlT_T0_E_clISt17integral_constantIbLb1EES12_IbLb0EEEEDaSY_SZ_EUlSY_E_NS1_11comp_targetILNS1_3genE4ELNS1_11target_archE910ELNS1_3gpuE8ELNS1_3repE0EEENS1_30default_config_static_selectorELNS0_4arch9wavefront6targetE0EEEvT1_
    .private_segment_fixed_size: 0
    .sgpr_count:     0
    .sgpr_spill_count: 0
    .symbol:         _ZN7rocprim17ROCPRIM_400000_NS6detail17trampoline_kernelINS0_14default_configENS1_27scan_by_key_config_selectorIj11FixedVectorIiLj2EEEEZZNS1_16scan_by_key_implILNS1_25lookback_scan_determinismE0ELb1ES3_N6thrust23THRUST_200600_302600_NS6detail15normal_iteratorINSB_10device_ptrIjEEEENSD_INSE_IS6_EEEESI_S6_NSB_4plusIvEENSB_8equal_toIvEES6_EE10hipError_tPvRmT2_T3_T4_T5_mT6_T7_P12ihipStream_tbENKUlT_T0_E_clISt17integral_constantIbLb1EES12_IbLb0EEEEDaSY_SZ_EUlSY_E_NS1_11comp_targetILNS1_3genE4ELNS1_11target_archE910ELNS1_3gpuE8ELNS1_3repE0EEENS1_30default_config_static_selectorELNS0_4arch9wavefront6targetE0EEEvT1_.kd
    .uniform_work_group_size: 1
    .uses_dynamic_stack: false
    .vgpr_count:     0
    .vgpr_spill_count: 0
    .wavefront_size: 32
  - .args:
      - .offset:         0
        .size:           120
        .value_kind:     by_value
    .group_segment_fixed_size: 0
    .kernarg_segment_align: 8
    .kernarg_segment_size: 120
    .language:       OpenCL C
    .language_version:
      - 2
      - 0
    .max_flat_workgroup_size: 128
    .name:           _ZN7rocprim17ROCPRIM_400000_NS6detail17trampoline_kernelINS0_14default_configENS1_27scan_by_key_config_selectorIj11FixedVectorIiLj2EEEEZZNS1_16scan_by_key_implILNS1_25lookback_scan_determinismE0ELb1ES3_N6thrust23THRUST_200600_302600_NS6detail15normal_iteratorINSB_10device_ptrIjEEEENSD_INSE_IS6_EEEESI_S6_NSB_4plusIvEENSB_8equal_toIvEES6_EE10hipError_tPvRmT2_T3_T4_T5_mT6_T7_P12ihipStream_tbENKUlT_T0_E_clISt17integral_constantIbLb1EES12_IbLb0EEEEDaSY_SZ_EUlSY_E_NS1_11comp_targetILNS1_3genE3ELNS1_11target_archE908ELNS1_3gpuE7ELNS1_3repE0EEENS1_30default_config_static_selectorELNS0_4arch9wavefront6targetE0EEEvT1_
    .private_segment_fixed_size: 0
    .sgpr_count:     0
    .sgpr_spill_count: 0
    .symbol:         _ZN7rocprim17ROCPRIM_400000_NS6detail17trampoline_kernelINS0_14default_configENS1_27scan_by_key_config_selectorIj11FixedVectorIiLj2EEEEZZNS1_16scan_by_key_implILNS1_25lookback_scan_determinismE0ELb1ES3_N6thrust23THRUST_200600_302600_NS6detail15normal_iteratorINSB_10device_ptrIjEEEENSD_INSE_IS6_EEEESI_S6_NSB_4plusIvEENSB_8equal_toIvEES6_EE10hipError_tPvRmT2_T3_T4_T5_mT6_T7_P12ihipStream_tbENKUlT_T0_E_clISt17integral_constantIbLb1EES12_IbLb0EEEEDaSY_SZ_EUlSY_E_NS1_11comp_targetILNS1_3genE3ELNS1_11target_archE908ELNS1_3gpuE7ELNS1_3repE0EEENS1_30default_config_static_selectorELNS0_4arch9wavefront6targetE0EEEvT1_.kd
    .uniform_work_group_size: 1
    .uses_dynamic_stack: false
    .vgpr_count:     0
    .vgpr_spill_count: 0
    .wavefront_size: 32
  - .args:
      - .offset:         0
        .size:           120
        .value_kind:     by_value
    .group_segment_fixed_size: 0
    .kernarg_segment_align: 8
    .kernarg_segment_size: 120
    .language:       OpenCL C
    .language_version:
      - 2
      - 0
    .max_flat_workgroup_size: 64
    .name:           _ZN7rocprim17ROCPRIM_400000_NS6detail17trampoline_kernelINS0_14default_configENS1_27scan_by_key_config_selectorIj11FixedVectorIiLj2EEEEZZNS1_16scan_by_key_implILNS1_25lookback_scan_determinismE0ELb1ES3_N6thrust23THRUST_200600_302600_NS6detail15normal_iteratorINSB_10device_ptrIjEEEENSD_INSE_IS6_EEEESI_S6_NSB_4plusIvEENSB_8equal_toIvEES6_EE10hipError_tPvRmT2_T3_T4_T5_mT6_T7_P12ihipStream_tbENKUlT_T0_E_clISt17integral_constantIbLb1EES12_IbLb0EEEEDaSY_SZ_EUlSY_E_NS1_11comp_targetILNS1_3genE2ELNS1_11target_archE906ELNS1_3gpuE6ELNS1_3repE0EEENS1_30default_config_static_selectorELNS0_4arch9wavefront6targetE0EEEvT1_
    .private_segment_fixed_size: 0
    .sgpr_count:     0
    .sgpr_spill_count: 0
    .symbol:         _ZN7rocprim17ROCPRIM_400000_NS6detail17trampoline_kernelINS0_14default_configENS1_27scan_by_key_config_selectorIj11FixedVectorIiLj2EEEEZZNS1_16scan_by_key_implILNS1_25lookback_scan_determinismE0ELb1ES3_N6thrust23THRUST_200600_302600_NS6detail15normal_iteratorINSB_10device_ptrIjEEEENSD_INSE_IS6_EEEESI_S6_NSB_4plusIvEENSB_8equal_toIvEES6_EE10hipError_tPvRmT2_T3_T4_T5_mT6_T7_P12ihipStream_tbENKUlT_T0_E_clISt17integral_constantIbLb1EES12_IbLb0EEEEDaSY_SZ_EUlSY_E_NS1_11comp_targetILNS1_3genE2ELNS1_11target_archE906ELNS1_3gpuE6ELNS1_3repE0EEENS1_30default_config_static_selectorELNS0_4arch9wavefront6targetE0EEEvT1_.kd
    .uniform_work_group_size: 1
    .uses_dynamic_stack: false
    .vgpr_count:     0
    .vgpr_spill_count: 0
    .wavefront_size: 32
  - .args:
      - .offset:         0
        .size:           120
        .value_kind:     by_value
    .group_segment_fixed_size: 0
    .kernarg_segment_align: 8
    .kernarg_segment_size: 120
    .language:       OpenCL C
    .language_version:
      - 2
      - 0
    .max_flat_workgroup_size: 256
    .name:           _ZN7rocprim17ROCPRIM_400000_NS6detail17trampoline_kernelINS0_14default_configENS1_27scan_by_key_config_selectorIj11FixedVectorIiLj2EEEEZZNS1_16scan_by_key_implILNS1_25lookback_scan_determinismE0ELb1ES3_N6thrust23THRUST_200600_302600_NS6detail15normal_iteratorINSB_10device_ptrIjEEEENSD_INSE_IS6_EEEESI_S6_NSB_4plusIvEENSB_8equal_toIvEES6_EE10hipError_tPvRmT2_T3_T4_T5_mT6_T7_P12ihipStream_tbENKUlT_T0_E_clISt17integral_constantIbLb1EES12_IbLb0EEEEDaSY_SZ_EUlSY_E_NS1_11comp_targetILNS1_3genE10ELNS1_11target_archE1200ELNS1_3gpuE4ELNS1_3repE0EEENS1_30default_config_static_selectorELNS0_4arch9wavefront6targetE0EEEvT1_
    .private_segment_fixed_size: 0
    .sgpr_count:     0
    .sgpr_spill_count: 0
    .symbol:         _ZN7rocprim17ROCPRIM_400000_NS6detail17trampoline_kernelINS0_14default_configENS1_27scan_by_key_config_selectorIj11FixedVectorIiLj2EEEEZZNS1_16scan_by_key_implILNS1_25lookback_scan_determinismE0ELb1ES3_N6thrust23THRUST_200600_302600_NS6detail15normal_iteratorINSB_10device_ptrIjEEEENSD_INSE_IS6_EEEESI_S6_NSB_4plusIvEENSB_8equal_toIvEES6_EE10hipError_tPvRmT2_T3_T4_T5_mT6_T7_P12ihipStream_tbENKUlT_T0_E_clISt17integral_constantIbLb1EES12_IbLb0EEEEDaSY_SZ_EUlSY_E_NS1_11comp_targetILNS1_3genE10ELNS1_11target_archE1200ELNS1_3gpuE4ELNS1_3repE0EEENS1_30default_config_static_selectorELNS0_4arch9wavefront6targetE0EEEvT1_.kd
    .uniform_work_group_size: 1
    .uses_dynamic_stack: false
    .vgpr_count:     0
    .vgpr_spill_count: 0
    .wavefront_size: 32
  - .args:
      - .offset:         0
        .size:           120
        .value_kind:     by_value
    .group_segment_fixed_size: 0
    .kernarg_segment_align: 8
    .kernarg_segment_size: 120
    .language:       OpenCL C
    .language_version:
      - 2
      - 0
    .max_flat_workgroup_size: 256
    .name:           _ZN7rocprim17ROCPRIM_400000_NS6detail17trampoline_kernelINS0_14default_configENS1_27scan_by_key_config_selectorIj11FixedVectorIiLj2EEEEZZNS1_16scan_by_key_implILNS1_25lookback_scan_determinismE0ELb1ES3_N6thrust23THRUST_200600_302600_NS6detail15normal_iteratorINSB_10device_ptrIjEEEENSD_INSE_IS6_EEEESI_S6_NSB_4plusIvEENSB_8equal_toIvEES6_EE10hipError_tPvRmT2_T3_T4_T5_mT6_T7_P12ihipStream_tbENKUlT_T0_E_clISt17integral_constantIbLb1EES12_IbLb0EEEEDaSY_SZ_EUlSY_E_NS1_11comp_targetILNS1_3genE9ELNS1_11target_archE1100ELNS1_3gpuE3ELNS1_3repE0EEENS1_30default_config_static_selectorELNS0_4arch9wavefront6targetE0EEEvT1_
    .private_segment_fixed_size: 0
    .sgpr_count:     0
    .sgpr_spill_count: 0
    .symbol:         _ZN7rocprim17ROCPRIM_400000_NS6detail17trampoline_kernelINS0_14default_configENS1_27scan_by_key_config_selectorIj11FixedVectorIiLj2EEEEZZNS1_16scan_by_key_implILNS1_25lookback_scan_determinismE0ELb1ES3_N6thrust23THRUST_200600_302600_NS6detail15normal_iteratorINSB_10device_ptrIjEEEENSD_INSE_IS6_EEEESI_S6_NSB_4plusIvEENSB_8equal_toIvEES6_EE10hipError_tPvRmT2_T3_T4_T5_mT6_T7_P12ihipStream_tbENKUlT_T0_E_clISt17integral_constantIbLb1EES12_IbLb0EEEEDaSY_SZ_EUlSY_E_NS1_11comp_targetILNS1_3genE9ELNS1_11target_archE1100ELNS1_3gpuE3ELNS1_3repE0EEENS1_30default_config_static_selectorELNS0_4arch9wavefront6targetE0EEEvT1_.kd
    .uniform_work_group_size: 1
    .uses_dynamic_stack: false
    .vgpr_count:     0
    .vgpr_spill_count: 0
    .wavefront_size: 32
  - .args:
      - .offset:         0
        .size:           120
        .value_kind:     by_value
    .group_segment_fixed_size: 0
    .kernarg_segment_align: 8
    .kernarg_segment_size: 120
    .language:       OpenCL C
    .language_version:
      - 2
      - 0
    .max_flat_workgroup_size: 256
    .name:           _ZN7rocprim17ROCPRIM_400000_NS6detail17trampoline_kernelINS0_14default_configENS1_27scan_by_key_config_selectorIj11FixedVectorIiLj2EEEEZZNS1_16scan_by_key_implILNS1_25lookback_scan_determinismE0ELb1ES3_N6thrust23THRUST_200600_302600_NS6detail15normal_iteratorINSB_10device_ptrIjEEEENSD_INSE_IS6_EEEESI_S6_NSB_4plusIvEENSB_8equal_toIvEES6_EE10hipError_tPvRmT2_T3_T4_T5_mT6_T7_P12ihipStream_tbENKUlT_T0_E_clISt17integral_constantIbLb1EES12_IbLb0EEEEDaSY_SZ_EUlSY_E_NS1_11comp_targetILNS1_3genE8ELNS1_11target_archE1030ELNS1_3gpuE2ELNS1_3repE0EEENS1_30default_config_static_selectorELNS0_4arch9wavefront6targetE0EEEvT1_
    .private_segment_fixed_size: 0
    .sgpr_count:     0
    .sgpr_spill_count: 0
    .symbol:         _ZN7rocprim17ROCPRIM_400000_NS6detail17trampoline_kernelINS0_14default_configENS1_27scan_by_key_config_selectorIj11FixedVectorIiLj2EEEEZZNS1_16scan_by_key_implILNS1_25lookback_scan_determinismE0ELb1ES3_N6thrust23THRUST_200600_302600_NS6detail15normal_iteratorINSB_10device_ptrIjEEEENSD_INSE_IS6_EEEESI_S6_NSB_4plusIvEENSB_8equal_toIvEES6_EE10hipError_tPvRmT2_T3_T4_T5_mT6_T7_P12ihipStream_tbENKUlT_T0_E_clISt17integral_constantIbLb1EES12_IbLb0EEEEDaSY_SZ_EUlSY_E_NS1_11comp_targetILNS1_3genE8ELNS1_11target_archE1030ELNS1_3gpuE2ELNS1_3repE0EEENS1_30default_config_static_selectorELNS0_4arch9wavefront6targetE0EEEvT1_.kd
    .uniform_work_group_size: 1
    .uses_dynamic_stack: false
    .vgpr_count:     0
    .vgpr_spill_count: 0
    .wavefront_size: 32
  - .args:
      - .offset:         0
        .size:           120
        .value_kind:     by_value
    .group_segment_fixed_size: 10240
    .kernarg_segment_align: 8
    .kernarg_segment_size: 120
    .language:       OpenCL C
    .language_version:
      - 2
      - 0
    .max_flat_workgroup_size: 128
    .name:           _ZN7rocprim17ROCPRIM_400000_NS6detail17trampoline_kernelINS0_14default_configENS1_27scan_by_key_config_selectorIj11FixedVectorIiLj2EEEEZZNS1_16scan_by_key_implILNS1_25lookback_scan_determinismE0ELb1ES3_N6thrust23THRUST_200600_302600_NS6detail15normal_iteratorINSB_10device_ptrIjEEEENSD_INSE_IS6_EEEESI_S6_NSB_4plusIvEENSB_8equal_toIvEES6_EE10hipError_tPvRmT2_T3_T4_T5_mT6_T7_P12ihipStream_tbENKUlT_T0_E_clISt17integral_constantIbLb0EES12_IbLb1EEEEDaSY_SZ_EUlSY_E_NS1_11comp_targetILNS1_3genE0ELNS1_11target_archE4294967295ELNS1_3gpuE0ELNS1_3repE0EEENS1_30default_config_static_selectorELNS0_4arch9wavefront6targetE0EEEvT1_
    .private_segment_fixed_size: 0
    .sgpr_count:     48
    .sgpr_spill_count: 0
    .symbol:         _ZN7rocprim17ROCPRIM_400000_NS6detail17trampoline_kernelINS0_14default_configENS1_27scan_by_key_config_selectorIj11FixedVectorIiLj2EEEEZZNS1_16scan_by_key_implILNS1_25lookback_scan_determinismE0ELb1ES3_N6thrust23THRUST_200600_302600_NS6detail15normal_iteratorINSB_10device_ptrIjEEEENSD_INSE_IS6_EEEESI_S6_NSB_4plusIvEENSB_8equal_toIvEES6_EE10hipError_tPvRmT2_T3_T4_T5_mT6_T7_P12ihipStream_tbENKUlT_T0_E_clISt17integral_constantIbLb0EES12_IbLb1EEEEDaSY_SZ_EUlSY_E_NS1_11comp_targetILNS1_3genE0ELNS1_11target_archE4294967295ELNS1_3gpuE0ELNS1_3repE0EEENS1_30default_config_static_selectorELNS0_4arch9wavefront6targetE0EEEvT1_.kd
    .uniform_work_group_size: 1
    .uses_dynamic_stack: false
    .vgpr_count:     76
    .vgpr_spill_count: 0
    .wavefront_size: 32
  - .args:
      - .offset:         0
        .size:           120
        .value_kind:     by_value
    .group_segment_fixed_size: 0
    .kernarg_segment_align: 8
    .kernarg_segment_size: 120
    .language:       OpenCL C
    .language_version:
      - 2
      - 0
    .max_flat_workgroup_size: 256
    .name:           _ZN7rocprim17ROCPRIM_400000_NS6detail17trampoline_kernelINS0_14default_configENS1_27scan_by_key_config_selectorIj11FixedVectorIiLj2EEEEZZNS1_16scan_by_key_implILNS1_25lookback_scan_determinismE0ELb1ES3_N6thrust23THRUST_200600_302600_NS6detail15normal_iteratorINSB_10device_ptrIjEEEENSD_INSE_IS6_EEEESI_S6_NSB_4plusIvEENSB_8equal_toIvEES6_EE10hipError_tPvRmT2_T3_T4_T5_mT6_T7_P12ihipStream_tbENKUlT_T0_E_clISt17integral_constantIbLb0EES12_IbLb1EEEEDaSY_SZ_EUlSY_E_NS1_11comp_targetILNS1_3genE10ELNS1_11target_archE1201ELNS1_3gpuE5ELNS1_3repE0EEENS1_30default_config_static_selectorELNS0_4arch9wavefront6targetE0EEEvT1_
    .private_segment_fixed_size: 0
    .sgpr_count:     0
    .sgpr_spill_count: 0
    .symbol:         _ZN7rocprim17ROCPRIM_400000_NS6detail17trampoline_kernelINS0_14default_configENS1_27scan_by_key_config_selectorIj11FixedVectorIiLj2EEEEZZNS1_16scan_by_key_implILNS1_25lookback_scan_determinismE0ELb1ES3_N6thrust23THRUST_200600_302600_NS6detail15normal_iteratorINSB_10device_ptrIjEEEENSD_INSE_IS6_EEEESI_S6_NSB_4plusIvEENSB_8equal_toIvEES6_EE10hipError_tPvRmT2_T3_T4_T5_mT6_T7_P12ihipStream_tbENKUlT_T0_E_clISt17integral_constantIbLb0EES12_IbLb1EEEEDaSY_SZ_EUlSY_E_NS1_11comp_targetILNS1_3genE10ELNS1_11target_archE1201ELNS1_3gpuE5ELNS1_3repE0EEENS1_30default_config_static_selectorELNS0_4arch9wavefront6targetE0EEEvT1_.kd
    .uniform_work_group_size: 1
    .uses_dynamic_stack: false
    .vgpr_count:     0
    .vgpr_spill_count: 0
    .wavefront_size: 32
  - .args:
      - .offset:         0
        .size:           120
        .value_kind:     by_value
    .group_segment_fixed_size: 0
    .kernarg_segment_align: 8
    .kernarg_segment_size: 120
    .language:       OpenCL C
    .language_version:
      - 2
      - 0
    .max_flat_workgroup_size: 256
    .name:           _ZN7rocprim17ROCPRIM_400000_NS6detail17trampoline_kernelINS0_14default_configENS1_27scan_by_key_config_selectorIj11FixedVectorIiLj2EEEEZZNS1_16scan_by_key_implILNS1_25lookback_scan_determinismE0ELb1ES3_N6thrust23THRUST_200600_302600_NS6detail15normal_iteratorINSB_10device_ptrIjEEEENSD_INSE_IS6_EEEESI_S6_NSB_4plusIvEENSB_8equal_toIvEES6_EE10hipError_tPvRmT2_T3_T4_T5_mT6_T7_P12ihipStream_tbENKUlT_T0_E_clISt17integral_constantIbLb0EES12_IbLb1EEEEDaSY_SZ_EUlSY_E_NS1_11comp_targetILNS1_3genE5ELNS1_11target_archE942ELNS1_3gpuE9ELNS1_3repE0EEENS1_30default_config_static_selectorELNS0_4arch9wavefront6targetE0EEEvT1_
    .private_segment_fixed_size: 0
    .sgpr_count:     0
    .sgpr_spill_count: 0
    .symbol:         _ZN7rocprim17ROCPRIM_400000_NS6detail17trampoline_kernelINS0_14default_configENS1_27scan_by_key_config_selectorIj11FixedVectorIiLj2EEEEZZNS1_16scan_by_key_implILNS1_25lookback_scan_determinismE0ELb1ES3_N6thrust23THRUST_200600_302600_NS6detail15normal_iteratorINSB_10device_ptrIjEEEENSD_INSE_IS6_EEEESI_S6_NSB_4plusIvEENSB_8equal_toIvEES6_EE10hipError_tPvRmT2_T3_T4_T5_mT6_T7_P12ihipStream_tbENKUlT_T0_E_clISt17integral_constantIbLb0EES12_IbLb1EEEEDaSY_SZ_EUlSY_E_NS1_11comp_targetILNS1_3genE5ELNS1_11target_archE942ELNS1_3gpuE9ELNS1_3repE0EEENS1_30default_config_static_selectorELNS0_4arch9wavefront6targetE0EEEvT1_.kd
    .uniform_work_group_size: 1
    .uses_dynamic_stack: false
    .vgpr_count:     0
    .vgpr_spill_count: 0
    .wavefront_size: 32
  - .args:
      - .offset:         0
        .size:           120
        .value_kind:     by_value
    .group_segment_fixed_size: 0
    .kernarg_segment_align: 8
    .kernarg_segment_size: 120
    .language:       OpenCL C
    .language_version:
      - 2
      - 0
    .max_flat_workgroup_size: 64
    .name:           _ZN7rocprim17ROCPRIM_400000_NS6detail17trampoline_kernelINS0_14default_configENS1_27scan_by_key_config_selectorIj11FixedVectorIiLj2EEEEZZNS1_16scan_by_key_implILNS1_25lookback_scan_determinismE0ELb1ES3_N6thrust23THRUST_200600_302600_NS6detail15normal_iteratorINSB_10device_ptrIjEEEENSD_INSE_IS6_EEEESI_S6_NSB_4plusIvEENSB_8equal_toIvEES6_EE10hipError_tPvRmT2_T3_T4_T5_mT6_T7_P12ihipStream_tbENKUlT_T0_E_clISt17integral_constantIbLb0EES12_IbLb1EEEEDaSY_SZ_EUlSY_E_NS1_11comp_targetILNS1_3genE4ELNS1_11target_archE910ELNS1_3gpuE8ELNS1_3repE0EEENS1_30default_config_static_selectorELNS0_4arch9wavefront6targetE0EEEvT1_
    .private_segment_fixed_size: 0
    .sgpr_count:     0
    .sgpr_spill_count: 0
    .symbol:         _ZN7rocprim17ROCPRIM_400000_NS6detail17trampoline_kernelINS0_14default_configENS1_27scan_by_key_config_selectorIj11FixedVectorIiLj2EEEEZZNS1_16scan_by_key_implILNS1_25lookback_scan_determinismE0ELb1ES3_N6thrust23THRUST_200600_302600_NS6detail15normal_iteratorINSB_10device_ptrIjEEEENSD_INSE_IS6_EEEESI_S6_NSB_4plusIvEENSB_8equal_toIvEES6_EE10hipError_tPvRmT2_T3_T4_T5_mT6_T7_P12ihipStream_tbENKUlT_T0_E_clISt17integral_constantIbLb0EES12_IbLb1EEEEDaSY_SZ_EUlSY_E_NS1_11comp_targetILNS1_3genE4ELNS1_11target_archE910ELNS1_3gpuE8ELNS1_3repE0EEENS1_30default_config_static_selectorELNS0_4arch9wavefront6targetE0EEEvT1_.kd
    .uniform_work_group_size: 1
    .uses_dynamic_stack: false
    .vgpr_count:     0
    .vgpr_spill_count: 0
    .wavefront_size: 32
  - .args:
      - .offset:         0
        .size:           120
        .value_kind:     by_value
    .group_segment_fixed_size: 0
    .kernarg_segment_align: 8
    .kernarg_segment_size: 120
    .language:       OpenCL C
    .language_version:
      - 2
      - 0
    .max_flat_workgroup_size: 128
    .name:           _ZN7rocprim17ROCPRIM_400000_NS6detail17trampoline_kernelINS0_14default_configENS1_27scan_by_key_config_selectorIj11FixedVectorIiLj2EEEEZZNS1_16scan_by_key_implILNS1_25lookback_scan_determinismE0ELb1ES3_N6thrust23THRUST_200600_302600_NS6detail15normal_iteratorINSB_10device_ptrIjEEEENSD_INSE_IS6_EEEESI_S6_NSB_4plusIvEENSB_8equal_toIvEES6_EE10hipError_tPvRmT2_T3_T4_T5_mT6_T7_P12ihipStream_tbENKUlT_T0_E_clISt17integral_constantIbLb0EES12_IbLb1EEEEDaSY_SZ_EUlSY_E_NS1_11comp_targetILNS1_3genE3ELNS1_11target_archE908ELNS1_3gpuE7ELNS1_3repE0EEENS1_30default_config_static_selectorELNS0_4arch9wavefront6targetE0EEEvT1_
    .private_segment_fixed_size: 0
    .sgpr_count:     0
    .sgpr_spill_count: 0
    .symbol:         _ZN7rocprim17ROCPRIM_400000_NS6detail17trampoline_kernelINS0_14default_configENS1_27scan_by_key_config_selectorIj11FixedVectorIiLj2EEEEZZNS1_16scan_by_key_implILNS1_25lookback_scan_determinismE0ELb1ES3_N6thrust23THRUST_200600_302600_NS6detail15normal_iteratorINSB_10device_ptrIjEEEENSD_INSE_IS6_EEEESI_S6_NSB_4plusIvEENSB_8equal_toIvEES6_EE10hipError_tPvRmT2_T3_T4_T5_mT6_T7_P12ihipStream_tbENKUlT_T0_E_clISt17integral_constantIbLb0EES12_IbLb1EEEEDaSY_SZ_EUlSY_E_NS1_11comp_targetILNS1_3genE3ELNS1_11target_archE908ELNS1_3gpuE7ELNS1_3repE0EEENS1_30default_config_static_selectorELNS0_4arch9wavefront6targetE0EEEvT1_.kd
    .uniform_work_group_size: 1
    .uses_dynamic_stack: false
    .vgpr_count:     0
    .vgpr_spill_count: 0
    .wavefront_size: 32
  - .args:
      - .offset:         0
        .size:           120
        .value_kind:     by_value
    .group_segment_fixed_size: 0
    .kernarg_segment_align: 8
    .kernarg_segment_size: 120
    .language:       OpenCL C
    .language_version:
      - 2
      - 0
    .max_flat_workgroup_size: 64
    .name:           _ZN7rocprim17ROCPRIM_400000_NS6detail17trampoline_kernelINS0_14default_configENS1_27scan_by_key_config_selectorIj11FixedVectorIiLj2EEEEZZNS1_16scan_by_key_implILNS1_25lookback_scan_determinismE0ELb1ES3_N6thrust23THRUST_200600_302600_NS6detail15normal_iteratorINSB_10device_ptrIjEEEENSD_INSE_IS6_EEEESI_S6_NSB_4plusIvEENSB_8equal_toIvEES6_EE10hipError_tPvRmT2_T3_T4_T5_mT6_T7_P12ihipStream_tbENKUlT_T0_E_clISt17integral_constantIbLb0EES12_IbLb1EEEEDaSY_SZ_EUlSY_E_NS1_11comp_targetILNS1_3genE2ELNS1_11target_archE906ELNS1_3gpuE6ELNS1_3repE0EEENS1_30default_config_static_selectorELNS0_4arch9wavefront6targetE0EEEvT1_
    .private_segment_fixed_size: 0
    .sgpr_count:     0
    .sgpr_spill_count: 0
    .symbol:         _ZN7rocprim17ROCPRIM_400000_NS6detail17trampoline_kernelINS0_14default_configENS1_27scan_by_key_config_selectorIj11FixedVectorIiLj2EEEEZZNS1_16scan_by_key_implILNS1_25lookback_scan_determinismE0ELb1ES3_N6thrust23THRUST_200600_302600_NS6detail15normal_iteratorINSB_10device_ptrIjEEEENSD_INSE_IS6_EEEESI_S6_NSB_4plusIvEENSB_8equal_toIvEES6_EE10hipError_tPvRmT2_T3_T4_T5_mT6_T7_P12ihipStream_tbENKUlT_T0_E_clISt17integral_constantIbLb0EES12_IbLb1EEEEDaSY_SZ_EUlSY_E_NS1_11comp_targetILNS1_3genE2ELNS1_11target_archE906ELNS1_3gpuE6ELNS1_3repE0EEENS1_30default_config_static_selectorELNS0_4arch9wavefront6targetE0EEEvT1_.kd
    .uniform_work_group_size: 1
    .uses_dynamic_stack: false
    .vgpr_count:     0
    .vgpr_spill_count: 0
    .wavefront_size: 32
  - .args:
      - .offset:         0
        .size:           120
        .value_kind:     by_value
    .group_segment_fixed_size: 0
    .kernarg_segment_align: 8
    .kernarg_segment_size: 120
    .language:       OpenCL C
    .language_version:
      - 2
      - 0
    .max_flat_workgroup_size: 256
    .name:           _ZN7rocprim17ROCPRIM_400000_NS6detail17trampoline_kernelINS0_14default_configENS1_27scan_by_key_config_selectorIj11FixedVectorIiLj2EEEEZZNS1_16scan_by_key_implILNS1_25lookback_scan_determinismE0ELb1ES3_N6thrust23THRUST_200600_302600_NS6detail15normal_iteratorINSB_10device_ptrIjEEEENSD_INSE_IS6_EEEESI_S6_NSB_4plusIvEENSB_8equal_toIvEES6_EE10hipError_tPvRmT2_T3_T4_T5_mT6_T7_P12ihipStream_tbENKUlT_T0_E_clISt17integral_constantIbLb0EES12_IbLb1EEEEDaSY_SZ_EUlSY_E_NS1_11comp_targetILNS1_3genE10ELNS1_11target_archE1200ELNS1_3gpuE4ELNS1_3repE0EEENS1_30default_config_static_selectorELNS0_4arch9wavefront6targetE0EEEvT1_
    .private_segment_fixed_size: 0
    .sgpr_count:     0
    .sgpr_spill_count: 0
    .symbol:         _ZN7rocprim17ROCPRIM_400000_NS6detail17trampoline_kernelINS0_14default_configENS1_27scan_by_key_config_selectorIj11FixedVectorIiLj2EEEEZZNS1_16scan_by_key_implILNS1_25lookback_scan_determinismE0ELb1ES3_N6thrust23THRUST_200600_302600_NS6detail15normal_iteratorINSB_10device_ptrIjEEEENSD_INSE_IS6_EEEESI_S6_NSB_4plusIvEENSB_8equal_toIvEES6_EE10hipError_tPvRmT2_T3_T4_T5_mT6_T7_P12ihipStream_tbENKUlT_T0_E_clISt17integral_constantIbLb0EES12_IbLb1EEEEDaSY_SZ_EUlSY_E_NS1_11comp_targetILNS1_3genE10ELNS1_11target_archE1200ELNS1_3gpuE4ELNS1_3repE0EEENS1_30default_config_static_selectorELNS0_4arch9wavefront6targetE0EEEvT1_.kd
    .uniform_work_group_size: 1
    .uses_dynamic_stack: false
    .vgpr_count:     0
    .vgpr_spill_count: 0
    .wavefront_size: 32
  - .args:
      - .offset:         0
        .size:           120
        .value_kind:     by_value
    .group_segment_fixed_size: 0
    .kernarg_segment_align: 8
    .kernarg_segment_size: 120
    .language:       OpenCL C
    .language_version:
      - 2
      - 0
    .max_flat_workgroup_size: 256
    .name:           _ZN7rocprim17ROCPRIM_400000_NS6detail17trampoline_kernelINS0_14default_configENS1_27scan_by_key_config_selectorIj11FixedVectorIiLj2EEEEZZNS1_16scan_by_key_implILNS1_25lookback_scan_determinismE0ELb1ES3_N6thrust23THRUST_200600_302600_NS6detail15normal_iteratorINSB_10device_ptrIjEEEENSD_INSE_IS6_EEEESI_S6_NSB_4plusIvEENSB_8equal_toIvEES6_EE10hipError_tPvRmT2_T3_T4_T5_mT6_T7_P12ihipStream_tbENKUlT_T0_E_clISt17integral_constantIbLb0EES12_IbLb1EEEEDaSY_SZ_EUlSY_E_NS1_11comp_targetILNS1_3genE9ELNS1_11target_archE1100ELNS1_3gpuE3ELNS1_3repE0EEENS1_30default_config_static_selectorELNS0_4arch9wavefront6targetE0EEEvT1_
    .private_segment_fixed_size: 0
    .sgpr_count:     0
    .sgpr_spill_count: 0
    .symbol:         _ZN7rocprim17ROCPRIM_400000_NS6detail17trampoline_kernelINS0_14default_configENS1_27scan_by_key_config_selectorIj11FixedVectorIiLj2EEEEZZNS1_16scan_by_key_implILNS1_25lookback_scan_determinismE0ELb1ES3_N6thrust23THRUST_200600_302600_NS6detail15normal_iteratorINSB_10device_ptrIjEEEENSD_INSE_IS6_EEEESI_S6_NSB_4plusIvEENSB_8equal_toIvEES6_EE10hipError_tPvRmT2_T3_T4_T5_mT6_T7_P12ihipStream_tbENKUlT_T0_E_clISt17integral_constantIbLb0EES12_IbLb1EEEEDaSY_SZ_EUlSY_E_NS1_11comp_targetILNS1_3genE9ELNS1_11target_archE1100ELNS1_3gpuE3ELNS1_3repE0EEENS1_30default_config_static_selectorELNS0_4arch9wavefront6targetE0EEEvT1_.kd
    .uniform_work_group_size: 1
    .uses_dynamic_stack: false
    .vgpr_count:     0
    .vgpr_spill_count: 0
    .wavefront_size: 32
  - .args:
      - .offset:         0
        .size:           120
        .value_kind:     by_value
    .group_segment_fixed_size: 0
    .kernarg_segment_align: 8
    .kernarg_segment_size: 120
    .language:       OpenCL C
    .language_version:
      - 2
      - 0
    .max_flat_workgroup_size: 256
    .name:           _ZN7rocprim17ROCPRIM_400000_NS6detail17trampoline_kernelINS0_14default_configENS1_27scan_by_key_config_selectorIj11FixedVectorIiLj2EEEEZZNS1_16scan_by_key_implILNS1_25lookback_scan_determinismE0ELb1ES3_N6thrust23THRUST_200600_302600_NS6detail15normal_iteratorINSB_10device_ptrIjEEEENSD_INSE_IS6_EEEESI_S6_NSB_4plusIvEENSB_8equal_toIvEES6_EE10hipError_tPvRmT2_T3_T4_T5_mT6_T7_P12ihipStream_tbENKUlT_T0_E_clISt17integral_constantIbLb0EES12_IbLb1EEEEDaSY_SZ_EUlSY_E_NS1_11comp_targetILNS1_3genE8ELNS1_11target_archE1030ELNS1_3gpuE2ELNS1_3repE0EEENS1_30default_config_static_selectorELNS0_4arch9wavefront6targetE0EEEvT1_
    .private_segment_fixed_size: 0
    .sgpr_count:     0
    .sgpr_spill_count: 0
    .symbol:         _ZN7rocprim17ROCPRIM_400000_NS6detail17trampoline_kernelINS0_14default_configENS1_27scan_by_key_config_selectorIj11FixedVectorIiLj2EEEEZZNS1_16scan_by_key_implILNS1_25lookback_scan_determinismE0ELb1ES3_N6thrust23THRUST_200600_302600_NS6detail15normal_iteratorINSB_10device_ptrIjEEEENSD_INSE_IS6_EEEESI_S6_NSB_4plusIvEENSB_8equal_toIvEES6_EE10hipError_tPvRmT2_T3_T4_T5_mT6_T7_P12ihipStream_tbENKUlT_T0_E_clISt17integral_constantIbLb0EES12_IbLb1EEEEDaSY_SZ_EUlSY_E_NS1_11comp_targetILNS1_3genE8ELNS1_11target_archE1030ELNS1_3gpuE2ELNS1_3repE0EEENS1_30default_config_static_selectorELNS0_4arch9wavefront6targetE0EEEvT1_.kd
    .uniform_work_group_size: 1
    .uses_dynamic_stack: false
    .vgpr_count:     0
    .vgpr_spill_count: 0
    .wavefront_size: 32
  - .args:
      - .offset:         0
        .size:           16
        .value_kind:     by_value
      - .offset:         16
        .size:           8
        .value_kind:     by_value
      - .offset:         24
        .size:           8
        .value_kind:     by_value
    .group_segment_fixed_size: 0
    .kernarg_segment_align: 8
    .kernarg_segment_size: 32
    .language:       OpenCL C
    .language_version:
      - 2
      - 0
    .max_flat_workgroup_size: 256
    .name:           _ZN6thrust23THRUST_200600_302600_NS11hip_rocprim14__parallel_for6kernelILj256ENS1_10for_each_fINS0_10device_ptrI11FixedVectorIiLj4EEEENS0_6detail16wrapped_functionINS9_23allocator_traits_detail5gozerEvEEEElLj1EEEvT0_T1_SG_
    .private_segment_fixed_size: 0
    .sgpr_count:     0
    .sgpr_spill_count: 0
    .symbol:         _ZN6thrust23THRUST_200600_302600_NS11hip_rocprim14__parallel_for6kernelILj256ENS1_10for_each_fINS0_10device_ptrI11FixedVectorIiLj4EEEENS0_6detail16wrapped_functionINS9_23allocator_traits_detail5gozerEvEEEElLj1EEEvT0_T1_SG_.kd
    .uniform_work_group_size: 1
    .uses_dynamic_stack: false
    .vgpr_count:     0
    .vgpr_spill_count: 0
    .wavefront_size: 32
  - .args:
      - .offset:         0
        .size:           16
        .value_kind:     by_value
      - .offset:         16
        .size:           8
        .value_kind:     by_value
      - .offset:         24
        .size:           8
        .value_kind:     by_value
    .group_segment_fixed_size: 0
    .kernarg_segment_align: 8
    .kernarg_segment_size: 32
    .language:       OpenCL C
    .language_version:
      - 2
      - 0
    .max_flat_workgroup_size: 256
    .name:           _ZN6thrust23THRUST_200600_302600_NS11hip_rocprim14__parallel_for6kernelILj256ENS1_10for_each_fINS0_10device_ptrI11FixedVectorIiLj4EEEENS0_6detail16wrapped_functionINS9_23allocator_traits_detail24construct1_via_allocatorINS0_16device_allocatorIS7_EEEEvEEEEmLj1EEEvT0_T1_SJ_
    .private_segment_fixed_size: 0
    .sgpr_count:     11
    .sgpr_spill_count: 0
    .symbol:         _ZN6thrust23THRUST_200600_302600_NS11hip_rocprim14__parallel_for6kernelILj256ENS1_10for_each_fINS0_10device_ptrI11FixedVectorIiLj4EEEENS0_6detail16wrapped_functionINS9_23allocator_traits_detail24construct1_via_allocatorINS0_16device_allocatorIS7_EEEEvEEEEmLj1EEEvT0_T1_SJ_.kd
    .uniform_work_group_size: 1
    .uses_dynamic_stack: false
    .vgpr_count:     8
    .vgpr_spill_count: 0
    .wavefront_size: 32
  - .args:
      - .offset:         0
        .size:           24
        .value_kind:     by_value
      - .offset:         24
        .size:           4
        .value_kind:     by_value
      - .offset:         28
        .size:           4
        .value_kind:     by_value
      - .address_space:  global
        .offset:         32
        .size:           8
        .value_kind:     global_buffer
      - .address_space:  global
        .offset:         40
        .size:           8
        .value_kind:     global_buffer
      - .actual_access:  write_only
        .address_space:  global
        .offset:         48
        .size:           8
        .value_kind:     global_buffer
      - .offset:         56
        .size:           8
        .value_kind:     by_value
      - .offset:         64
        .size:           4
        .value_kind:     by_value
      - .offset:         68
        .size:           1
        .value_kind:     by_value
      - .offset:         72
        .size:           4
        .value_kind:     hidden_block_count_x
      - .offset:         76
        .size:           4
        .value_kind:     hidden_block_count_y
      - .offset:         80
        .size:           4
        .value_kind:     hidden_block_count_z
      - .offset:         84
        .size:           2
        .value_kind:     hidden_group_size_x
      - .offset:         86
        .size:           2
        .value_kind:     hidden_group_size_y
      - .offset:         88
        .size:           2
        .value_kind:     hidden_group_size_z
      - .offset:         90
        .size:           2
        .value_kind:     hidden_remainder_x
      - .offset:         92
        .size:           2
        .value_kind:     hidden_remainder_y
      - .offset:         94
        .size:           2
        .value_kind:     hidden_remainder_z
      - .offset:         112
        .size:           8
        .value_kind:     hidden_global_offset_x
      - .offset:         120
        .size:           8
        .value_kind:     hidden_global_offset_y
      - .offset:         128
        .size:           8
        .value_kind:     hidden_global_offset_z
      - .offset:         136
        .size:           2
        .value_kind:     hidden_grid_dims
    .group_segment_fixed_size: 5120
    .kernarg_segment_align: 8
    .kernarg_segment_size: 328
    .language:       OpenCL C
    .language_version:
      - 2
      - 0
    .max_flat_workgroup_size: 256
    .name:           _ZN7rocprim17ROCPRIM_400000_NS6detail30init_device_scan_by_key_kernelINS1_19lookback_scan_stateINS0_5tupleIJ11FixedVectorIiLj4EEbEEELb0ELb0EEEN6thrust23THRUST_200600_302600_NS6detail15normal_iteratorINSA_10device_ptrIjEEEEjNS1_16block_id_wrapperIjLb0EEEEEvT_jjPNSI_10value_typeET0_PNSt15iterator_traitsISL_E10value_typeEmT1_T2_
    .private_segment_fixed_size: 0
    .sgpr_count:     23
    .sgpr_spill_count: 0
    .symbol:         _ZN7rocprim17ROCPRIM_400000_NS6detail30init_device_scan_by_key_kernelINS1_19lookback_scan_stateINS0_5tupleIJ11FixedVectorIiLj4EEbEEELb0ELb0EEEN6thrust23THRUST_200600_302600_NS6detail15normal_iteratorINSA_10device_ptrIjEEEEjNS1_16block_id_wrapperIjLb0EEEEEvT_jjPNSI_10value_typeET0_PNSt15iterator_traitsISL_E10value_typeEmT1_T2_.kd
    .uniform_work_group_size: 1
    .uses_dynamic_stack: false
    .vgpr_count:     8
    .vgpr_spill_count: 0
    .wavefront_size: 32
  - .args:
      - .offset:         0
        .size:           24
        .value_kind:     by_value
      - .offset:         24
        .size:           4
        .value_kind:     by_value
      - .offset:         28
        .size:           4
        .value_kind:     by_value
      - .address_space:  global
        .offset:         32
        .size:           8
        .value_kind:     global_buffer
      - .offset:         40
        .size:           1
        .value_kind:     by_value
      - .offset:         48
        .size:           4
        .value_kind:     hidden_block_count_x
      - .offset:         52
        .size:           4
        .value_kind:     hidden_block_count_y
      - .offset:         56
        .size:           4
        .value_kind:     hidden_block_count_z
      - .offset:         60
        .size:           2
        .value_kind:     hidden_group_size_x
      - .offset:         62
        .size:           2
        .value_kind:     hidden_group_size_y
      - .offset:         64
        .size:           2
        .value_kind:     hidden_group_size_z
      - .offset:         66
        .size:           2
        .value_kind:     hidden_remainder_x
      - .offset:         68
        .size:           2
        .value_kind:     hidden_remainder_y
      - .offset:         70
        .size:           2
        .value_kind:     hidden_remainder_z
      - .offset:         88
        .size:           8
        .value_kind:     hidden_global_offset_x
      - .offset:         96
        .size:           8
        .value_kind:     hidden_global_offset_y
      - .offset:         104
        .size:           8
        .value_kind:     hidden_global_offset_z
      - .offset:         112
        .size:           2
        .value_kind:     hidden_grid_dims
    .group_segment_fixed_size: 5120
    .kernarg_segment_align: 8
    .kernarg_segment_size: 304
    .language:       OpenCL C
    .language_version:
      - 2
      - 0
    .max_flat_workgroup_size: 256
    .name:           _ZN7rocprim17ROCPRIM_400000_NS6detail30init_device_scan_by_key_kernelINS1_19lookback_scan_stateINS0_5tupleIJ11FixedVectorIiLj4EEbEEELb0ELb0EEENS1_16block_id_wrapperIjLb0EEEEEvT_jjPNSB_10value_typeET0_
    .private_segment_fixed_size: 0
    .sgpr_count:     17
    .sgpr_spill_count: 0
    .symbol:         _ZN7rocprim17ROCPRIM_400000_NS6detail30init_device_scan_by_key_kernelINS1_19lookback_scan_stateINS0_5tupleIJ11FixedVectorIiLj4EEbEEELb0ELb0EEENS1_16block_id_wrapperIjLb0EEEEEvT_jjPNSB_10value_typeET0_.kd
    .uniform_work_group_size: 1
    .uses_dynamic_stack: false
    .vgpr_count:     8
    .vgpr_spill_count: 0
    .wavefront_size: 32
  - .args:
      - .offset:         0
        .size:           144
        .value_kind:     by_value
    .group_segment_fixed_size: 20480
    .kernarg_segment_align: 8
    .kernarg_segment_size: 144
    .language:       OpenCL C
    .language_version:
      - 2
      - 0
    .max_flat_workgroup_size: 64
    .name:           _ZN7rocprim17ROCPRIM_400000_NS6detail17trampoline_kernelINS0_14default_configENS1_27scan_by_key_config_selectorIj11FixedVectorIiLj4EEEEZZNS1_16scan_by_key_implILNS1_25lookback_scan_determinismE0ELb0ES3_N6thrust23THRUST_200600_302600_NS6detail15normal_iteratorINSB_10device_ptrIjEEEENSD_INSE_IS6_EEEESI_S6_NSB_4plusIvEENSB_8equal_toIvEES6_EE10hipError_tPvRmT2_T3_T4_T5_mT6_T7_P12ihipStream_tbENKUlT_T0_E_clISt17integral_constantIbLb0EES13_EEDaSY_SZ_EUlSY_E_NS1_11comp_targetILNS1_3genE0ELNS1_11target_archE4294967295ELNS1_3gpuE0ELNS1_3repE0EEENS1_30default_config_static_selectorELNS0_4arch9wavefront6targetE0EEEvT1_
    .private_segment_fixed_size: 448
    .sgpr_count:     64
    .sgpr_spill_count: 0
    .symbol:         _ZN7rocprim17ROCPRIM_400000_NS6detail17trampoline_kernelINS0_14default_configENS1_27scan_by_key_config_selectorIj11FixedVectorIiLj4EEEEZZNS1_16scan_by_key_implILNS1_25lookback_scan_determinismE0ELb0ES3_N6thrust23THRUST_200600_302600_NS6detail15normal_iteratorINSB_10device_ptrIjEEEENSD_INSE_IS6_EEEESI_S6_NSB_4plusIvEENSB_8equal_toIvEES6_EE10hipError_tPvRmT2_T3_T4_T5_mT6_T7_P12ihipStream_tbENKUlT_T0_E_clISt17integral_constantIbLb0EES13_EEDaSY_SZ_EUlSY_E_NS1_11comp_targetILNS1_3genE0ELNS1_11target_archE4294967295ELNS1_3gpuE0ELNS1_3repE0EEENS1_30default_config_static_selectorELNS0_4arch9wavefront6targetE0EEEvT1_.kd
    .uniform_work_group_size: 1
    .uses_dynamic_stack: false
    .vgpr_count:     85
    .vgpr_spill_count: 0
    .wavefront_size: 32
  - .args:
      - .offset:         0
        .size:           144
        .value_kind:     by_value
    .group_segment_fixed_size: 0
    .kernarg_segment_align: 8
    .kernarg_segment_size: 144
    .language:       OpenCL C
    .language_version:
      - 2
      - 0
    .max_flat_workgroup_size: 256
    .name:           _ZN7rocprim17ROCPRIM_400000_NS6detail17trampoline_kernelINS0_14default_configENS1_27scan_by_key_config_selectorIj11FixedVectorIiLj4EEEEZZNS1_16scan_by_key_implILNS1_25lookback_scan_determinismE0ELb0ES3_N6thrust23THRUST_200600_302600_NS6detail15normal_iteratorINSB_10device_ptrIjEEEENSD_INSE_IS6_EEEESI_S6_NSB_4plusIvEENSB_8equal_toIvEES6_EE10hipError_tPvRmT2_T3_T4_T5_mT6_T7_P12ihipStream_tbENKUlT_T0_E_clISt17integral_constantIbLb0EES13_EEDaSY_SZ_EUlSY_E_NS1_11comp_targetILNS1_3genE10ELNS1_11target_archE1201ELNS1_3gpuE5ELNS1_3repE0EEENS1_30default_config_static_selectorELNS0_4arch9wavefront6targetE0EEEvT1_
    .private_segment_fixed_size: 0
    .sgpr_count:     0
    .sgpr_spill_count: 0
    .symbol:         _ZN7rocprim17ROCPRIM_400000_NS6detail17trampoline_kernelINS0_14default_configENS1_27scan_by_key_config_selectorIj11FixedVectorIiLj4EEEEZZNS1_16scan_by_key_implILNS1_25lookback_scan_determinismE0ELb0ES3_N6thrust23THRUST_200600_302600_NS6detail15normal_iteratorINSB_10device_ptrIjEEEENSD_INSE_IS6_EEEESI_S6_NSB_4plusIvEENSB_8equal_toIvEES6_EE10hipError_tPvRmT2_T3_T4_T5_mT6_T7_P12ihipStream_tbENKUlT_T0_E_clISt17integral_constantIbLb0EES13_EEDaSY_SZ_EUlSY_E_NS1_11comp_targetILNS1_3genE10ELNS1_11target_archE1201ELNS1_3gpuE5ELNS1_3repE0EEENS1_30default_config_static_selectorELNS0_4arch9wavefront6targetE0EEEvT1_.kd
    .uniform_work_group_size: 1
    .uses_dynamic_stack: false
    .vgpr_count:     0
    .vgpr_spill_count: 0
    .wavefront_size: 32
  - .args:
      - .offset:         0
        .size:           144
        .value_kind:     by_value
    .group_segment_fixed_size: 0
    .kernarg_segment_align: 8
    .kernarg_segment_size: 144
    .language:       OpenCL C
    .language_version:
      - 2
      - 0
    .max_flat_workgroup_size: 128
    .name:           _ZN7rocprim17ROCPRIM_400000_NS6detail17trampoline_kernelINS0_14default_configENS1_27scan_by_key_config_selectorIj11FixedVectorIiLj4EEEEZZNS1_16scan_by_key_implILNS1_25lookback_scan_determinismE0ELb0ES3_N6thrust23THRUST_200600_302600_NS6detail15normal_iteratorINSB_10device_ptrIjEEEENSD_INSE_IS6_EEEESI_S6_NSB_4plusIvEENSB_8equal_toIvEES6_EE10hipError_tPvRmT2_T3_T4_T5_mT6_T7_P12ihipStream_tbENKUlT_T0_E_clISt17integral_constantIbLb0EES13_EEDaSY_SZ_EUlSY_E_NS1_11comp_targetILNS1_3genE5ELNS1_11target_archE942ELNS1_3gpuE9ELNS1_3repE0EEENS1_30default_config_static_selectorELNS0_4arch9wavefront6targetE0EEEvT1_
    .private_segment_fixed_size: 0
    .sgpr_count:     0
    .sgpr_spill_count: 0
    .symbol:         _ZN7rocprim17ROCPRIM_400000_NS6detail17trampoline_kernelINS0_14default_configENS1_27scan_by_key_config_selectorIj11FixedVectorIiLj4EEEEZZNS1_16scan_by_key_implILNS1_25lookback_scan_determinismE0ELb0ES3_N6thrust23THRUST_200600_302600_NS6detail15normal_iteratorINSB_10device_ptrIjEEEENSD_INSE_IS6_EEEESI_S6_NSB_4plusIvEENSB_8equal_toIvEES6_EE10hipError_tPvRmT2_T3_T4_T5_mT6_T7_P12ihipStream_tbENKUlT_T0_E_clISt17integral_constantIbLb0EES13_EEDaSY_SZ_EUlSY_E_NS1_11comp_targetILNS1_3genE5ELNS1_11target_archE942ELNS1_3gpuE9ELNS1_3repE0EEENS1_30default_config_static_selectorELNS0_4arch9wavefront6targetE0EEEvT1_.kd
    .uniform_work_group_size: 1
    .uses_dynamic_stack: false
    .vgpr_count:     0
    .vgpr_spill_count: 0
    .wavefront_size: 32
  - .args:
      - .offset:         0
        .size:           144
        .value_kind:     by_value
    .group_segment_fixed_size: 0
    .kernarg_segment_align: 8
    .kernarg_segment_size: 144
    .language:       OpenCL C
    .language_version:
      - 2
      - 0
    .max_flat_workgroup_size: 256
    .name:           _ZN7rocprim17ROCPRIM_400000_NS6detail17trampoline_kernelINS0_14default_configENS1_27scan_by_key_config_selectorIj11FixedVectorIiLj4EEEEZZNS1_16scan_by_key_implILNS1_25lookback_scan_determinismE0ELb0ES3_N6thrust23THRUST_200600_302600_NS6detail15normal_iteratorINSB_10device_ptrIjEEEENSD_INSE_IS6_EEEESI_S6_NSB_4plusIvEENSB_8equal_toIvEES6_EE10hipError_tPvRmT2_T3_T4_T5_mT6_T7_P12ihipStream_tbENKUlT_T0_E_clISt17integral_constantIbLb0EES13_EEDaSY_SZ_EUlSY_E_NS1_11comp_targetILNS1_3genE4ELNS1_11target_archE910ELNS1_3gpuE8ELNS1_3repE0EEENS1_30default_config_static_selectorELNS0_4arch9wavefront6targetE0EEEvT1_
    .private_segment_fixed_size: 0
    .sgpr_count:     0
    .sgpr_spill_count: 0
    .symbol:         _ZN7rocprim17ROCPRIM_400000_NS6detail17trampoline_kernelINS0_14default_configENS1_27scan_by_key_config_selectorIj11FixedVectorIiLj4EEEEZZNS1_16scan_by_key_implILNS1_25lookback_scan_determinismE0ELb0ES3_N6thrust23THRUST_200600_302600_NS6detail15normal_iteratorINSB_10device_ptrIjEEEENSD_INSE_IS6_EEEESI_S6_NSB_4plusIvEENSB_8equal_toIvEES6_EE10hipError_tPvRmT2_T3_T4_T5_mT6_T7_P12ihipStream_tbENKUlT_T0_E_clISt17integral_constantIbLb0EES13_EEDaSY_SZ_EUlSY_E_NS1_11comp_targetILNS1_3genE4ELNS1_11target_archE910ELNS1_3gpuE8ELNS1_3repE0EEENS1_30default_config_static_selectorELNS0_4arch9wavefront6targetE0EEEvT1_.kd
    .uniform_work_group_size: 1
    .uses_dynamic_stack: false
    .vgpr_count:     0
    .vgpr_spill_count: 0
    .wavefront_size: 32
  - .args:
      - .offset:         0
        .size:           144
        .value_kind:     by_value
    .group_segment_fixed_size: 0
    .kernarg_segment_align: 8
    .kernarg_segment_size: 144
    .language:       OpenCL C
    .language_version:
      - 2
      - 0
    .max_flat_workgroup_size: 64
    .name:           _ZN7rocprim17ROCPRIM_400000_NS6detail17trampoline_kernelINS0_14default_configENS1_27scan_by_key_config_selectorIj11FixedVectorIiLj4EEEEZZNS1_16scan_by_key_implILNS1_25lookback_scan_determinismE0ELb0ES3_N6thrust23THRUST_200600_302600_NS6detail15normal_iteratorINSB_10device_ptrIjEEEENSD_INSE_IS6_EEEESI_S6_NSB_4plusIvEENSB_8equal_toIvEES6_EE10hipError_tPvRmT2_T3_T4_T5_mT6_T7_P12ihipStream_tbENKUlT_T0_E_clISt17integral_constantIbLb0EES13_EEDaSY_SZ_EUlSY_E_NS1_11comp_targetILNS1_3genE3ELNS1_11target_archE908ELNS1_3gpuE7ELNS1_3repE0EEENS1_30default_config_static_selectorELNS0_4arch9wavefront6targetE0EEEvT1_
    .private_segment_fixed_size: 0
    .sgpr_count:     0
    .sgpr_spill_count: 0
    .symbol:         _ZN7rocprim17ROCPRIM_400000_NS6detail17trampoline_kernelINS0_14default_configENS1_27scan_by_key_config_selectorIj11FixedVectorIiLj4EEEEZZNS1_16scan_by_key_implILNS1_25lookback_scan_determinismE0ELb0ES3_N6thrust23THRUST_200600_302600_NS6detail15normal_iteratorINSB_10device_ptrIjEEEENSD_INSE_IS6_EEEESI_S6_NSB_4plusIvEENSB_8equal_toIvEES6_EE10hipError_tPvRmT2_T3_T4_T5_mT6_T7_P12ihipStream_tbENKUlT_T0_E_clISt17integral_constantIbLb0EES13_EEDaSY_SZ_EUlSY_E_NS1_11comp_targetILNS1_3genE3ELNS1_11target_archE908ELNS1_3gpuE7ELNS1_3repE0EEENS1_30default_config_static_selectorELNS0_4arch9wavefront6targetE0EEEvT1_.kd
    .uniform_work_group_size: 1
    .uses_dynamic_stack: false
    .vgpr_count:     0
    .vgpr_spill_count: 0
    .wavefront_size: 32
  - .args:
      - .offset:         0
        .size:           144
        .value_kind:     by_value
    .group_segment_fixed_size: 0
    .kernarg_segment_align: 8
    .kernarg_segment_size: 144
    .language:       OpenCL C
    .language_version:
      - 2
      - 0
    .max_flat_workgroup_size: 256
    .name:           _ZN7rocprim17ROCPRIM_400000_NS6detail17trampoline_kernelINS0_14default_configENS1_27scan_by_key_config_selectorIj11FixedVectorIiLj4EEEEZZNS1_16scan_by_key_implILNS1_25lookback_scan_determinismE0ELb0ES3_N6thrust23THRUST_200600_302600_NS6detail15normal_iteratorINSB_10device_ptrIjEEEENSD_INSE_IS6_EEEESI_S6_NSB_4plusIvEENSB_8equal_toIvEES6_EE10hipError_tPvRmT2_T3_T4_T5_mT6_T7_P12ihipStream_tbENKUlT_T0_E_clISt17integral_constantIbLb0EES13_EEDaSY_SZ_EUlSY_E_NS1_11comp_targetILNS1_3genE2ELNS1_11target_archE906ELNS1_3gpuE6ELNS1_3repE0EEENS1_30default_config_static_selectorELNS0_4arch9wavefront6targetE0EEEvT1_
    .private_segment_fixed_size: 0
    .sgpr_count:     0
    .sgpr_spill_count: 0
    .symbol:         _ZN7rocprim17ROCPRIM_400000_NS6detail17trampoline_kernelINS0_14default_configENS1_27scan_by_key_config_selectorIj11FixedVectorIiLj4EEEEZZNS1_16scan_by_key_implILNS1_25lookback_scan_determinismE0ELb0ES3_N6thrust23THRUST_200600_302600_NS6detail15normal_iteratorINSB_10device_ptrIjEEEENSD_INSE_IS6_EEEESI_S6_NSB_4plusIvEENSB_8equal_toIvEES6_EE10hipError_tPvRmT2_T3_T4_T5_mT6_T7_P12ihipStream_tbENKUlT_T0_E_clISt17integral_constantIbLb0EES13_EEDaSY_SZ_EUlSY_E_NS1_11comp_targetILNS1_3genE2ELNS1_11target_archE906ELNS1_3gpuE6ELNS1_3repE0EEENS1_30default_config_static_selectorELNS0_4arch9wavefront6targetE0EEEvT1_.kd
    .uniform_work_group_size: 1
    .uses_dynamic_stack: false
    .vgpr_count:     0
    .vgpr_spill_count: 0
    .wavefront_size: 32
  - .args:
      - .offset:         0
        .size:           144
        .value_kind:     by_value
    .group_segment_fixed_size: 0
    .kernarg_segment_align: 8
    .kernarg_segment_size: 144
    .language:       OpenCL C
    .language_version:
      - 2
      - 0
    .max_flat_workgroup_size: 256
    .name:           _ZN7rocprim17ROCPRIM_400000_NS6detail17trampoline_kernelINS0_14default_configENS1_27scan_by_key_config_selectorIj11FixedVectorIiLj4EEEEZZNS1_16scan_by_key_implILNS1_25lookback_scan_determinismE0ELb0ES3_N6thrust23THRUST_200600_302600_NS6detail15normal_iteratorINSB_10device_ptrIjEEEENSD_INSE_IS6_EEEESI_S6_NSB_4plusIvEENSB_8equal_toIvEES6_EE10hipError_tPvRmT2_T3_T4_T5_mT6_T7_P12ihipStream_tbENKUlT_T0_E_clISt17integral_constantIbLb0EES13_EEDaSY_SZ_EUlSY_E_NS1_11comp_targetILNS1_3genE10ELNS1_11target_archE1200ELNS1_3gpuE4ELNS1_3repE0EEENS1_30default_config_static_selectorELNS0_4arch9wavefront6targetE0EEEvT1_
    .private_segment_fixed_size: 0
    .sgpr_count:     0
    .sgpr_spill_count: 0
    .symbol:         _ZN7rocprim17ROCPRIM_400000_NS6detail17trampoline_kernelINS0_14default_configENS1_27scan_by_key_config_selectorIj11FixedVectorIiLj4EEEEZZNS1_16scan_by_key_implILNS1_25lookback_scan_determinismE0ELb0ES3_N6thrust23THRUST_200600_302600_NS6detail15normal_iteratorINSB_10device_ptrIjEEEENSD_INSE_IS6_EEEESI_S6_NSB_4plusIvEENSB_8equal_toIvEES6_EE10hipError_tPvRmT2_T3_T4_T5_mT6_T7_P12ihipStream_tbENKUlT_T0_E_clISt17integral_constantIbLb0EES13_EEDaSY_SZ_EUlSY_E_NS1_11comp_targetILNS1_3genE10ELNS1_11target_archE1200ELNS1_3gpuE4ELNS1_3repE0EEENS1_30default_config_static_selectorELNS0_4arch9wavefront6targetE0EEEvT1_.kd
    .uniform_work_group_size: 1
    .uses_dynamic_stack: false
    .vgpr_count:     0
    .vgpr_spill_count: 0
    .wavefront_size: 32
  - .args:
      - .offset:         0
        .size:           144
        .value_kind:     by_value
    .group_segment_fixed_size: 0
    .kernarg_segment_align: 8
    .kernarg_segment_size: 144
    .language:       OpenCL C
    .language_version:
      - 2
      - 0
    .max_flat_workgroup_size: 256
    .name:           _ZN7rocprim17ROCPRIM_400000_NS6detail17trampoline_kernelINS0_14default_configENS1_27scan_by_key_config_selectorIj11FixedVectorIiLj4EEEEZZNS1_16scan_by_key_implILNS1_25lookback_scan_determinismE0ELb0ES3_N6thrust23THRUST_200600_302600_NS6detail15normal_iteratorINSB_10device_ptrIjEEEENSD_INSE_IS6_EEEESI_S6_NSB_4plusIvEENSB_8equal_toIvEES6_EE10hipError_tPvRmT2_T3_T4_T5_mT6_T7_P12ihipStream_tbENKUlT_T0_E_clISt17integral_constantIbLb0EES13_EEDaSY_SZ_EUlSY_E_NS1_11comp_targetILNS1_3genE9ELNS1_11target_archE1100ELNS1_3gpuE3ELNS1_3repE0EEENS1_30default_config_static_selectorELNS0_4arch9wavefront6targetE0EEEvT1_
    .private_segment_fixed_size: 0
    .sgpr_count:     0
    .sgpr_spill_count: 0
    .symbol:         _ZN7rocprim17ROCPRIM_400000_NS6detail17trampoline_kernelINS0_14default_configENS1_27scan_by_key_config_selectorIj11FixedVectorIiLj4EEEEZZNS1_16scan_by_key_implILNS1_25lookback_scan_determinismE0ELb0ES3_N6thrust23THRUST_200600_302600_NS6detail15normal_iteratorINSB_10device_ptrIjEEEENSD_INSE_IS6_EEEESI_S6_NSB_4plusIvEENSB_8equal_toIvEES6_EE10hipError_tPvRmT2_T3_T4_T5_mT6_T7_P12ihipStream_tbENKUlT_T0_E_clISt17integral_constantIbLb0EES13_EEDaSY_SZ_EUlSY_E_NS1_11comp_targetILNS1_3genE9ELNS1_11target_archE1100ELNS1_3gpuE3ELNS1_3repE0EEENS1_30default_config_static_selectorELNS0_4arch9wavefront6targetE0EEEvT1_.kd
    .uniform_work_group_size: 1
    .uses_dynamic_stack: false
    .vgpr_count:     0
    .vgpr_spill_count: 0
    .wavefront_size: 32
  - .args:
      - .offset:         0
        .size:           144
        .value_kind:     by_value
    .group_segment_fixed_size: 0
    .kernarg_segment_align: 8
    .kernarg_segment_size: 144
    .language:       OpenCL C
    .language_version:
      - 2
      - 0
    .max_flat_workgroup_size: 256
    .name:           _ZN7rocprim17ROCPRIM_400000_NS6detail17trampoline_kernelINS0_14default_configENS1_27scan_by_key_config_selectorIj11FixedVectorIiLj4EEEEZZNS1_16scan_by_key_implILNS1_25lookback_scan_determinismE0ELb0ES3_N6thrust23THRUST_200600_302600_NS6detail15normal_iteratorINSB_10device_ptrIjEEEENSD_INSE_IS6_EEEESI_S6_NSB_4plusIvEENSB_8equal_toIvEES6_EE10hipError_tPvRmT2_T3_T4_T5_mT6_T7_P12ihipStream_tbENKUlT_T0_E_clISt17integral_constantIbLb0EES13_EEDaSY_SZ_EUlSY_E_NS1_11comp_targetILNS1_3genE8ELNS1_11target_archE1030ELNS1_3gpuE2ELNS1_3repE0EEENS1_30default_config_static_selectorELNS0_4arch9wavefront6targetE0EEEvT1_
    .private_segment_fixed_size: 0
    .sgpr_count:     0
    .sgpr_spill_count: 0
    .symbol:         _ZN7rocprim17ROCPRIM_400000_NS6detail17trampoline_kernelINS0_14default_configENS1_27scan_by_key_config_selectorIj11FixedVectorIiLj4EEEEZZNS1_16scan_by_key_implILNS1_25lookback_scan_determinismE0ELb0ES3_N6thrust23THRUST_200600_302600_NS6detail15normal_iteratorINSB_10device_ptrIjEEEENSD_INSE_IS6_EEEESI_S6_NSB_4plusIvEENSB_8equal_toIvEES6_EE10hipError_tPvRmT2_T3_T4_T5_mT6_T7_P12ihipStream_tbENKUlT_T0_E_clISt17integral_constantIbLb0EES13_EEDaSY_SZ_EUlSY_E_NS1_11comp_targetILNS1_3genE8ELNS1_11target_archE1030ELNS1_3gpuE2ELNS1_3repE0EEENS1_30default_config_static_selectorELNS0_4arch9wavefront6targetE0EEEvT1_.kd
    .uniform_work_group_size: 1
    .uses_dynamic_stack: false
    .vgpr_count:     0
    .vgpr_spill_count: 0
    .wavefront_size: 32
  - .args:
      - .offset:         0
        .size:           24
        .value_kind:     by_value
      - .offset:         24
        .size:           4
        .value_kind:     by_value
      - .offset:         28
        .size:           4
        .value_kind:     by_value
      - .address_space:  global
        .offset:         32
        .size:           8
        .value_kind:     global_buffer
      - .address_space:  global
        .offset:         40
        .size:           8
        .value_kind:     global_buffer
      - .actual_access:  write_only
        .address_space:  global
        .offset:         48
        .size:           8
        .value_kind:     global_buffer
      - .offset:         56
        .size:           8
        .value_kind:     by_value
      - .offset:         64
        .size:           4
        .value_kind:     by_value
      - .address_space:  global
        .offset:         72
        .size:           8
        .value_kind:     global_buffer
      - .offset:         80
        .size:           4
        .value_kind:     hidden_block_count_x
      - .offset:         84
        .size:           4
        .value_kind:     hidden_block_count_y
      - .offset:         88
        .size:           4
        .value_kind:     hidden_block_count_z
      - .offset:         92
        .size:           2
        .value_kind:     hidden_group_size_x
      - .offset:         94
        .size:           2
        .value_kind:     hidden_group_size_y
      - .offset:         96
        .size:           2
        .value_kind:     hidden_group_size_z
      - .offset:         98
        .size:           2
        .value_kind:     hidden_remainder_x
      - .offset:         100
        .size:           2
        .value_kind:     hidden_remainder_y
      - .offset:         102
        .size:           2
        .value_kind:     hidden_remainder_z
      - .offset:         120
        .size:           8
        .value_kind:     hidden_global_offset_x
      - .offset:         128
        .size:           8
        .value_kind:     hidden_global_offset_y
      - .offset:         136
        .size:           8
        .value_kind:     hidden_global_offset_z
      - .offset:         144
        .size:           2
        .value_kind:     hidden_grid_dims
    .group_segment_fixed_size: 5120
    .kernarg_segment_align: 8
    .kernarg_segment_size: 336
    .language:       OpenCL C
    .language_version:
      - 2
      - 0
    .max_flat_workgroup_size: 256
    .name:           _ZN7rocprim17ROCPRIM_400000_NS6detail30init_device_scan_by_key_kernelINS1_19lookback_scan_stateINS0_5tupleIJ11FixedVectorIiLj4EEbEEELb1ELb0EEEN6thrust23THRUST_200600_302600_NS6detail15normal_iteratorINSA_10device_ptrIjEEEEjNS1_16block_id_wrapperIjLb1EEEEEvT_jjPNSI_10value_typeET0_PNSt15iterator_traitsISL_E10value_typeEmT1_T2_
    .private_segment_fixed_size: 0
    .sgpr_count:     24
    .sgpr_spill_count: 0
    .symbol:         _ZN7rocprim17ROCPRIM_400000_NS6detail30init_device_scan_by_key_kernelINS1_19lookback_scan_stateINS0_5tupleIJ11FixedVectorIiLj4EEbEEELb1ELb0EEEN6thrust23THRUST_200600_302600_NS6detail15normal_iteratorINSA_10device_ptrIjEEEEjNS1_16block_id_wrapperIjLb1EEEEEvT_jjPNSI_10value_typeET0_PNSt15iterator_traitsISL_E10value_typeEmT1_T2_.kd
    .uniform_work_group_size: 1
    .uses_dynamic_stack: false
    .vgpr_count:     8
    .vgpr_spill_count: 0
    .wavefront_size: 32
  - .args:
      - .offset:         0
        .size:           24
        .value_kind:     by_value
      - .offset:         24
        .size:           4
        .value_kind:     by_value
      - .offset:         28
        .size:           4
        .value_kind:     by_value
      - .address_space:  global
        .offset:         32
        .size:           8
        .value_kind:     global_buffer
      - .address_space:  global
        .offset:         40
        .size:           8
        .value_kind:     global_buffer
      - .offset:         48
        .size:           4
        .value_kind:     hidden_block_count_x
      - .offset:         52
        .size:           4
        .value_kind:     hidden_block_count_y
      - .offset:         56
        .size:           4
        .value_kind:     hidden_block_count_z
      - .offset:         60
        .size:           2
        .value_kind:     hidden_group_size_x
      - .offset:         62
        .size:           2
        .value_kind:     hidden_group_size_y
      - .offset:         64
        .size:           2
        .value_kind:     hidden_group_size_z
      - .offset:         66
        .size:           2
        .value_kind:     hidden_remainder_x
      - .offset:         68
        .size:           2
        .value_kind:     hidden_remainder_y
      - .offset:         70
        .size:           2
        .value_kind:     hidden_remainder_z
      - .offset:         88
        .size:           8
        .value_kind:     hidden_global_offset_x
      - .offset:         96
        .size:           8
        .value_kind:     hidden_global_offset_y
      - .offset:         104
        .size:           8
        .value_kind:     hidden_global_offset_z
      - .offset:         112
        .size:           2
        .value_kind:     hidden_grid_dims
    .group_segment_fixed_size: 5120
    .kernarg_segment_align: 8
    .kernarg_segment_size: 304
    .language:       OpenCL C
    .language_version:
      - 2
      - 0
    .max_flat_workgroup_size: 256
    .name:           _ZN7rocprim17ROCPRIM_400000_NS6detail30init_device_scan_by_key_kernelINS1_19lookback_scan_stateINS0_5tupleIJ11FixedVectorIiLj4EEbEEELb1ELb0EEENS1_16block_id_wrapperIjLb1EEEEEvT_jjPNSB_10value_typeET0_
    .private_segment_fixed_size: 0
    .sgpr_count:     20
    .sgpr_spill_count: 0
    .symbol:         _ZN7rocprim17ROCPRIM_400000_NS6detail30init_device_scan_by_key_kernelINS1_19lookback_scan_stateINS0_5tupleIJ11FixedVectorIiLj4EEbEEELb1ELb0EEENS1_16block_id_wrapperIjLb1EEEEEvT_jjPNSB_10value_typeET0_.kd
    .uniform_work_group_size: 1
    .uses_dynamic_stack: false
    .vgpr_count:     8
    .vgpr_spill_count: 0
    .wavefront_size: 32
  - .args:
      - .offset:         0
        .size:           144
        .value_kind:     by_value
    .group_segment_fixed_size: 0
    .kernarg_segment_align: 8
    .kernarg_segment_size: 144
    .language:       OpenCL C
    .language_version:
      - 2
      - 0
    .max_flat_workgroup_size: 64
    .name:           _ZN7rocprim17ROCPRIM_400000_NS6detail17trampoline_kernelINS0_14default_configENS1_27scan_by_key_config_selectorIj11FixedVectorIiLj4EEEEZZNS1_16scan_by_key_implILNS1_25lookback_scan_determinismE0ELb0ES3_N6thrust23THRUST_200600_302600_NS6detail15normal_iteratorINSB_10device_ptrIjEEEENSD_INSE_IS6_EEEESI_S6_NSB_4plusIvEENSB_8equal_toIvEES6_EE10hipError_tPvRmT2_T3_T4_T5_mT6_T7_P12ihipStream_tbENKUlT_T0_E_clISt17integral_constantIbLb1EES13_EEDaSY_SZ_EUlSY_E_NS1_11comp_targetILNS1_3genE0ELNS1_11target_archE4294967295ELNS1_3gpuE0ELNS1_3repE0EEENS1_30default_config_static_selectorELNS0_4arch9wavefront6targetE0EEEvT1_
    .private_segment_fixed_size: 0
    .sgpr_count:     0
    .sgpr_spill_count: 0
    .symbol:         _ZN7rocprim17ROCPRIM_400000_NS6detail17trampoline_kernelINS0_14default_configENS1_27scan_by_key_config_selectorIj11FixedVectorIiLj4EEEEZZNS1_16scan_by_key_implILNS1_25lookback_scan_determinismE0ELb0ES3_N6thrust23THRUST_200600_302600_NS6detail15normal_iteratorINSB_10device_ptrIjEEEENSD_INSE_IS6_EEEESI_S6_NSB_4plusIvEENSB_8equal_toIvEES6_EE10hipError_tPvRmT2_T3_T4_T5_mT6_T7_P12ihipStream_tbENKUlT_T0_E_clISt17integral_constantIbLb1EES13_EEDaSY_SZ_EUlSY_E_NS1_11comp_targetILNS1_3genE0ELNS1_11target_archE4294967295ELNS1_3gpuE0ELNS1_3repE0EEENS1_30default_config_static_selectorELNS0_4arch9wavefront6targetE0EEEvT1_.kd
    .uniform_work_group_size: 1
    .uses_dynamic_stack: false
    .vgpr_count:     0
    .vgpr_spill_count: 0
    .wavefront_size: 32
  - .args:
      - .offset:         0
        .size:           144
        .value_kind:     by_value
    .group_segment_fixed_size: 0
    .kernarg_segment_align: 8
    .kernarg_segment_size: 144
    .language:       OpenCL C
    .language_version:
      - 2
      - 0
    .max_flat_workgroup_size: 256
    .name:           _ZN7rocprim17ROCPRIM_400000_NS6detail17trampoline_kernelINS0_14default_configENS1_27scan_by_key_config_selectorIj11FixedVectorIiLj4EEEEZZNS1_16scan_by_key_implILNS1_25lookback_scan_determinismE0ELb0ES3_N6thrust23THRUST_200600_302600_NS6detail15normal_iteratorINSB_10device_ptrIjEEEENSD_INSE_IS6_EEEESI_S6_NSB_4plusIvEENSB_8equal_toIvEES6_EE10hipError_tPvRmT2_T3_T4_T5_mT6_T7_P12ihipStream_tbENKUlT_T0_E_clISt17integral_constantIbLb1EES13_EEDaSY_SZ_EUlSY_E_NS1_11comp_targetILNS1_3genE10ELNS1_11target_archE1201ELNS1_3gpuE5ELNS1_3repE0EEENS1_30default_config_static_selectorELNS0_4arch9wavefront6targetE0EEEvT1_
    .private_segment_fixed_size: 0
    .sgpr_count:     0
    .sgpr_spill_count: 0
    .symbol:         _ZN7rocprim17ROCPRIM_400000_NS6detail17trampoline_kernelINS0_14default_configENS1_27scan_by_key_config_selectorIj11FixedVectorIiLj4EEEEZZNS1_16scan_by_key_implILNS1_25lookback_scan_determinismE0ELb0ES3_N6thrust23THRUST_200600_302600_NS6detail15normal_iteratorINSB_10device_ptrIjEEEENSD_INSE_IS6_EEEESI_S6_NSB_4plusIvEENSB_8equal_toIvEES6_EE10hipError_tPvRmT2_T3_T4_T5_mT6_T7_P12ihipStream_tbENKUlT_T0_E_clISt17integral_constantIbLb1EES13_EEDaSY_SZ_EUlSY_E_NS1_11comp_targetILNS1_3genE10ELNS1_11target_archE1201ELNS1_3gpuE5ELNS1_3repE0EEENS1_30default_config_static_selectorELNS0_4arch9wavefront6targetE0EEEvT1_.kd
    .uniform_work_group_size: 1
    .uses_dynamic_stack: false
    .vgpr_count:     0
    .vgpr_spill_count: 0
    .wavefront_size: 32
  - .args:
      - .offset:         0
        .size:           144
        .value_kind:     by_value
    .group_segment_fixed_size: 0
    .kernarg_segment_align: 8
    .kernarg_segment_size: 144
    .language:       OpenCL C
    .language_version:
      - 2
      - 0
    .max_flat_workgroup_size: 128
    .name:           _ZN7rocprim17ROCPRIM_400000_NS6detail17trampoline_kernelINS0_14default_configENS1_27scan_by_key_config_selectorIj11FixedVectorIiLj4EEEEZZNS1_16scan_by_key_implILNS1_25lookback_scan_determinismE0ELb0ES3_N6thrust23THRUST_200600_302600_NS6detail15normal_iteratorINSB_10device_ptrIjEEEENSD_INSE_IS6_EEEESI_S6_NSB_4plusIvEENSB_8equal_toIvEES6_EE10hipError_tPvRmT2_T3_T4_T5_mT6_T7_P12ihipStream_tbENKUlT_T0_E_clISt17integral_constantIbLb1EES13_EEDaSY_SZ_EUlSY_E_NS1_11comp_targetILNS1_3genE5ELNS1_11target_archE942ELNS1_3gpuE9ELNS1_3repE0EEENS1_30default_config_static_selectorELNS0_4arch9wavefront6targetE0EEEvT1_
    .private_segment_fixed_size: 0
    .sgpr_count:     0
    .sgpr_spill_count: 0
    .symbol:         _ZN7rocprim17ROCPRIM_400000_NS6detail17trampoline_kernelINS0_14default_configENS1_27scan_by_key_config_selectorIj11FixedVectorIiLj4EEEEZZNS1_16scan_by_key_implILNS1_25lookback_scan_determinismE0ELb0ES3_N6thrust23THRUST_200600_302600_NS6detail15normal_iteratorINSB_10device_ptrIjEEEENSD_INSE_IS6_EEEESI_S6_NSB_4plusIvEENSB_8equal_toIvEES6_EE10hipError_tPvRmT2_T3_T4_T5_mT6_T7_P12ihipStream_tbENKUlT_T0_E_clISt17integral_constantIbLb1EES13_EEDaSY_SZ_EUlSY_E_NS1_11comp_targetILNS1_3genE5ELNS1_11target_archE942ELNS1_3gpuE9ELNS1_3repE0EEENS1_30default_config_static_selectorELNS0_4arch9wavefront6targetE0EEEvT1_.kd
    .uniform_work_group_size: 1
    .uses_dynamic_stack: false
    .vgpr_count:     0
    .vgpr_spill_count: 0
    .wavefront_size: 32
  - .args:
      - .offset:         0
        .size:           144
        .value_kind:     by_value
    .group_segment_fixed_size: 0
    .kernarg_segment_align: 8
    .kernarg_segment_size: 144
    .language:       OpenCL C
    .language_version:
      - 2
      - 0
    .max_flat_workgroup_size: 256
    .name:           _ZN7rocprim17ROCPRIM_400000_NS6detail17trampoline_kernelINS0_14default_configENS1_27scan_by_key_config_selectorIj11FixedVectorIiLj4EEEEZZNS1_16scan_by_key_implILNS1_25lookback_scan_determinismE0ELb0ES3_N6thrust23THRUST_200600_302600_NS6detail15normal_iteratorINSB_10device_ptrIjEEEENSD_INSE_IS6_EEEESI_S6_NSB_4plusIvEENSB_8equal_toIvEES6_EE10hipError_tPvRmT2_T3_T4_T5_mT6_T7_P12ihipStream_tbENKUlT_T0_E_clISt17integral_constantIbLb1EES13_EEDaSY_SZ_EUlSY_E_NS1_11comp_targetILNS1_3genE4ELNS1_11target_archE910ELNS1_3gpuE8ELNS1_3repE0EEENS1_30default_config_static_selectorELNS0_4arch9wavefront6targetE0EEEvT1_
    .private_segment_fixed_size: 0
    .sgpr_count:     0
    .sgpr_spill_count: 0
    .symbol:         _ZN7rocprim17ROCPRIM_400000_NS6detail17trampoline_kernelINS0_14default_configENS1_27scan_by_key_config_selectorIj11FixedVectorIiLj4EEEEZZNS1_16scan_by_key_implILNS1_25lookback_scan_determinismE0ELb0ES3_N6thrust23THRUST_200600_302600_NS6detail15normal_iteratorINSB_10device_ptrIjEEEENSD_INSE_IS6_EEEESI_S6_NSB_4plusIvEENSB_8equal_toIvEES6_EE10hipError_tPvRmT2_T3_T4_T5_mT6_T7_P12ihipStream_tbENKUlT_T0_E_clISt17integral_constantIbLb1EES13_EEDaSY_SZ_EUlSY_E_NS1_11comp_targetILNS1_3genE4ELNS1_11target_archE910ELNS1_3gpuE8ELNS1_3repE0EEENS1_30default_config_static_selectorELNS0_4arch9wavefront6targetE0EEEvT1_.kd
    .uniform_work_group_size: 1
    .uses_dynamic_stack: false
    .vgpr_count:     0
    .vgpr_spill_count: 0
    .wavefront_size: 32
  - .args:
      - .offset:         0
        .size:           144
        .value_kind:     by_value
    .group_segment_fixed_size: 0
    .kernarg_segment_align: 8
    .kernarg_segment_size: 144
    .language:       OpenCL C
    .language_version:
      - 2
      - 0
    .max_flat_workgroup_size: 64
    .name:           _ZN7rocprim17ROCPRIM_400000_NS6detail17trampoline_kernelINS0_14default_configENS1_27scan_by_key_config_selectorIj11FixedVectorIiLj4EEEEZZNS1_16scan_by_key_implILNS1_25lookback_scan_determinismE0ELb0ES3_N6thrust23THRUST_200600_302600_NS6detail15normal_iteratorINSB_10device_ptrIjEEEENSD_INSE_IS6_EEEESI_S6_NSB_4plusIvEENSB_8equal_toIvEES6_EE10hipError_tPvRmT2_T3_T4_T5_mT6_T7_P12ihipStream_tbENKUlT_T0_E_clISt17integral_constantIbLb1EES13_EEDaSY_SZ_EUlSY_E_NS1_11comp_targetILNS1_3genE3ELNS1_11target_archE908ELNS1_3gpuE7ELNS1_3repE0EEENS1_30default_config_static_selectorELNS0_4arch9wavefront6targetE0EEEvT1_
    .private_segment_fixed_size: 0
    .sgpr_count:     0
    .sgpr_spill_count: 0
    .symbol:         _ZN7rocprim17ROCPRIM_400000_NS6detail17trampoline_kernelINS0_14default_configENS1_27scan_by_key_config_selectorIj11FixedVectorIiLj4EEEEZZNS1_16scan_by_key_implILNS1_25lookback_scan_determinismE0ELb0ES3_N6thrust23THRUST_200600_302600_NS6detail15normal_iteratorINSB_10device_ptrIjEEEENSD_INSE_IS6_EEEESI_S6_NSB_4plusIvEENSB_8equal_toIvEES6_EE10hipError_tPvRmT2_T3_T4_T5_mT6_T7_P12ihipStream_tbENKUlT_T0_E_clISt17integral_constantIbLb1EES13_EEDaSY_SZ_EUlSY_E_NS1_11comp_targetILNS1_3genE3ELNS1_11target_archE908ELNS1_3gpuE7ELNS1_3repE0EEENS1_30default_config_static_selectorELNS0_4arch9wavefront6targetE0EEEvT1_.kd
    .uniform_work_group_size: 1
    .uses_dynamic_stack: false
    .vgpr_count:     0
    .vgpr_spill_count: 0
    .wavefront_size: 32
  - .args:
      - .offset:         0
        .size:           144
        .value_kind:     by_value
    .group_segment_fixed_size: 0
    .kernarg_segment_align: 8
    .kernarg_segment_size: 144
    .language:       OpenCL C
    .language_version:
      - 2
      - 0
    .max_flat_workgroup_size: 256
    .name:           _ZN7rocprim17ROCPRIM_400000_NS6detail17trampoline_kernelINS0_14default_configENS1_27scan_by_key_config_selectorIj11FixedVectorIiLj4EEEEZZNS1_16scan_by_key_implILNS1_25lookback_scan_determinismE0ELb0ES3_N6thrust23THRUST_200600_302600_NS6detail15normal_iteratorINSB_10device_ptrIjEEEENSD_INSE_IS6_EEEESI_S6_NSB_4plusIvEENSB_8equal_toIvEES6_EE10hipError_tPvRmT2_T3_T4_T5_mT6_T7_P12ihipStream_tbENKUlT_T0_E_clISt17integral_constantIbLb1EES13_EEDaSY_SZ_EUlSY_E_NS1_11comp_targetILNS1_3genE2ELNS1_11target_archE906ELNS1_3gpuE6ELNS1_3repE0EEENS1_30default_config_static_selectorELNS0_4arch9wavefront6targetE0EEEvT1_
    .private_segment_fixed_size: 0
    .sgpr_count:     0
    .sgpr_spill_count: 0
    .symbol:         _ZN7rocprim17ROCPRIM_400000_NS6detail17trampoline_kernelINS0_14default_configENS1_27scan_by_key_config_selectorIj11FixedVectorIiLj4EEEEZZNS1_16scan_by_key_implILNS1_25lookback_scan_determinismE0ELb0ES3_N6thrust23THRUST_200600_302600_NS6detail15normal_iteratorINSB_10device_ptrIjEEEENSD_INSE_IS6_EEEESI_S6_NSB_4plusIvEENSB_8equal_toIvEES6_EE10hipError_tPvRmT2_T3_T4_T5_mT6_T7_P12ihipStream_tbENKUlT_T0_E_clISt17integral_constantIbLb1EES13_EEDaSY_SZ_EUlSY_E_NS1_11comp_targetILNS1_3genE2ELNS1_11target_archE906ELNS1_3gpuE6ELNS1_3repE0EEENS1_30default_config_static_selectorELNS0_4arch9wavefront6targetE0EEEvT1_.kd
    .uniform_work_group_size: 1
    .uses_dynamic_stack: false
    .vgpr_count:     0
    .vgpr_spill_count: 0
    .wavefront_size: 32
  - .args:
      - .offset:         0
        .size:           144
        .value_kind:     by_value
    .group_segment_fixed_size: 0
    .kernarg_segment_align: 8
    .kernarg_segment_size: 144
    .language:       OpenCL C
    .language_version:
      - 2
      - 0
    .max_flat_workgroup_size: 256
    .name:           _ZN7rocprim17ROCPRIM_400000_NS6detail17trampoline_kernelINS0_14default_configENS1_27scan_by_key_config_selectorIj11FixedVectorIiLj4EEEEZZNS1_16scan_by_key_implILNS1_25lookback_scan_determinismE0ELb0ES3_N6thrust23THRUST_200600_302600_NS6detail15normal_iteratorINSB_10device_ptrIjEEEENSD_INSE_IS6_EEEESI_S6_NSB_4plusIvEENSB_8equal_toIvEES6_EE10hipError_tPvRmT2_T3_T4_T5_mT6_T7_P12ihipStream_tbENKUlT_T0_E_clISt17integral_constantIbLb1EES13_EEDaSY_SZ_EUlSY_E_NS1_11comp_targetILNS1_3genE10ELNS1_11target_archE1200ELNS1_3gpuE4ELNS1_3repE0EEENS1_30default_config_static_selectorELNS0_4arch9wavefront6targetE0EEEvT1_
    .private_segment_fixed_size: 0
    .sgpr_count:     0
    .sgpr_spill_count: 0
    .symbol:         _ZN7rocprim17ROCPRIM_400000_NS6detail17trampoline_kernelINS0_14default_configENS1_27scan_by_key_config_selectorIj11FixedVectorIiLj4EEEEZZNS1_16scan_by_key_implILNS1_25lookback_scan_determinismE0ELb0ES3_N6thrust23THRUST_200600_302600_NS6detail15normal_iteratorINSB_10device_ptrIjEEEENSD_INSE_IS6_EEEESI_S6_NSB_4plusIvEENSB_8equal_toIvEES6_EE10hipError_tPvRmT2_T3_T4_T5_mT6_T7_P12ihipStream_tbENKUlT_T0_E_clISt17integral_constantIbLb1EES13_EEDaSY_SZ_EUlSY_E_NS1_11comp_targetILNS1_3genE10ELNS1_11target_archE1200ELNS1_3gpuE4ELNS1_3repE0EEENS1_30default_config_static_selectorELNS0_4arch9wavefront6targetE0EEEvT1_.kd
    .uniform_work_group_size: 1
    .uses_dynamic_stack: false
    .vgpr_count:     0
    .vgpr_spill_count: 0
    .wavefront_size: 32
  - .args:
      - .offset:         0
        .size:           144
        .value_kind:     by_value
    .group_segment_fixed_size: 0
    .kernarg_segment_align: 8
    .kernarg_segment_size: 144
    .language:       OpenCL C
    .language_version:
      - 2
      - 0
    .max_flat_workgroup_size: 256
    .name:           _ZN7rocprim17ROCPRIM_400000_NS6detail17trampoline_kernelINS0_14default_configENS1_27scan_by_key_config_selectorIj11FixedVectorIiLj4EEEEZZNS1_16scan_by_key_implILNS1_25lookback_scan_determinismE0ELb0ES3_N6thrust23THRUST_200600_302600_NS6detail15normal_iteratorINSB_10device_ptrIjEEEENSD_INSE_IS6_EEEESI_S6_NSB_4plusIvEENSB_8equal_toIvEES6_EE10hipError_tPvRmT2_T3_T4_T5_mT6_T7_P12ihipStream_tbENKUlT_T0_E_clISt17integral_constantIbLb1EES13_EEDaSY_SZ_EUlSY_E_NS1_11comp_targetILNS1_3genE9ELNS1_11target_archE1100ELNS1_3gpuE3ELNS1_3repE0EEENS1_30default_config_static_selectorELNS0_4arch9wavefront6targetE0EEEvT1_
    .private_segment_fixed_size: 0
    .sgpr_count:     0
    .sgpr_spill_count: 0
    .symbol:         _ZN7rocprim17ROCPRIM_400000_NS6detail17trampoline_kernelINS0_14default_configENS1_27scan_by_key_config_selectorIj11FixedVectorIiLj4EEEEZZNS1_16scan_by_key_implILNS1_25lookback_scan_determinismE0ELb0ES3_N6thrust23THRUST_200600_302600_NS6detail15normal_iteratorINSB_10device_ptrIjEEEENSD_INSE_IS6_EEEESI_S6_NSB_4plusIvEENSB_8equal_toIvEES6_EE10hipError_tPvRmT2_T3_T4_T5_mT6_T7_P12ihipStream_tbENKUlT_T0_E_clISt17integral_constantIbLb1EES13_EEDaSY_SZ_EUlSY_E_NS1_11comp_targetILNS1_3genE9ELNS1_11target_archE1100ELNS1_3gpuE3ELNS1_3repE0EEENS1_30default_config_static_selectorELNS0_4arch9wavefront6targetE0EEEvT1_.kd
    .uniform_work_group_size: 1
    .uses_dynamic_stack: false
    .vgpr_count:     0
    .vgpr_spill_count: 0
    .wavefront_size: 32
  - .args:
      - .offset:         0
        .size:           144
        .value_kind:     by_value
    .group_segment_fixed_size: 0
    .kernarg_segment_align: 8
    .kernarg_segment_size: 144
    .language:       OpenCL C
    .language_version:
      - 2
      - 0
    .max_flat_workgroup_size: 256
    .name:           _ZN7rocprim17ROCPRIM_400000_NS6detail17trampoline_kernelINS0_14default_configENS1_27scan_by_key_config_selectorIj11FixedVectorIiLj4EEEEZZNS1_16scan_by_key_implILNS1_25lookback_scan_determinismE0ELb0ES3_N6thrust23THRUST_200600_302600_NS6detail15normal_iteratorINSB_10device_ptrIjEEEENSD_INSE_IS6_EEEESI_S6_NSB_4plusIvEENSB_8equal_toIvEES6_EE10hipError_tPvRmT2_T3_T4_T5_mT6_T7_P12ihipStream_tbENKUlT_T0_E_clISt17integral_constantIbLb1EES13_EEDaSY_SZ_EUlSY_E_NS1_11comp_targetILNS1_3genE8ELNS1_11target_archE1030ELNS1_3gpuE2ELNS1_3repE0EEENS1_30default_config_static_selectorELNS0_4arch9wavefront6targetE0EEEvT1_
    .private_segment_fixed_size: 0
    .sgpr_count:     0
    .sgpr_spill_count: 0
    .symbol:         _ZN7rocprim17ROCPRIM_400000_NS6detail17trampoline_kernelINS0_14default_configENS1_27scan_by_key_config_selectorIj11FixedVectorIiLj4EEEEZZNS1_16scan_by_key_implILNS1_25lookback_scan_determinismE0ELb0ES3_N6thrust23THRUST_200600_302600_NS6detail15normal_iteratorINSB_10device_ptrIjEEEENSD_INSE_IS6_EEEESI_S6_NSB_4plusIvEENSB_8equal_toIvEES6_EE10hipError_tPvRmT2_T3_T4_T5_mT6_T7_P12ihipStream_tbENKUlT_T0_E_clISt17integral_constantIbLb1EES13_EEDaSY_SZ_EUlSY_E_NS1_11comp_targetILNS1_3genE8ELNS1_11target_archE1030ELNS1_3gpuE2ELNS1_3repE0EEENS1_30default_config_static_selectorELNS0_4arch9wavefront6targetE0EEEvT1_.kd
    .uniform_work_group_size: 1
    .uses_dynamic_stack: false
    .vgpr_count:     0
    .vgpr_spill_count: 0
    .wavefront_size: 32
  - .args:
      - .offset:         0
        .size:           24
        .value_kind:     by_value
      - .offset:         24
        .size:           4
        .value_kind:     by_value
      - .offset:         28
        .size:           4
        .value_kind:     by_value
      - .address_space:  global
        .offset:         32
        .size:           8
        .value_kind:     global_buffer
      - .address_space:  global
        .offset:         40
        .size:           8
        .value_kind:     global_buffer
      - .actual_access:  write_only
        .address_space:  global
        .offset:         48
        .size:           8
        .value_kind:     global_buffer
      - .offset:         56
        .size:           8
        .value_kind:     by_value
      - .offset:         64
        .size:           4
        .value_kind:     by_value
      - .offset:         68
        .size:           1
        .value_kind:     by_value
      - .offset:         72
        .size:           4
        .value_kind:     hidden_block_count_x
      - .offset:         76
        .size:           4
        .value_kind:     hidden_block_count_y
      - .offset:         80
        .size:           4
        .value_kind:     hidden_block_count_z
      - .offset:         84
        .size:           2
        .value_kind:     hidden_group_size_x
      - .offset:         86
        .size:           2
        .value_kind:     hidden_group_size_y
      - .offset:         88
        .size:           2
        .value_kind:     hidden_group_size_z
      - .offset:         90
        .size:           2
        .value_kind:     hidden_remainder_x
      - .offset:         92
        .size:           2
        .value_kind:     hidden_remainder_y
      - .offset:         94
        .size:           2
        .value_kind:     hidden_remainder_z
      - .offset:         112
        .size:           8
        .value_kind:     hidden_global_offset_x
      - .offset:         120
        .size:           8
        .value_kind:     hidden_global_offset_y
      - .offset:         128
        .size:           8
        .value_kind:     hidden_global_offset_z
      - .offset:         136
        .size:           2
        .value_kind:     hidden_grid_dims
    .group_segment_fixed_size: 5120
    .kernarg_segment_align: 8
    .kernarg_segment_size: 328
    .language:       OpenCL C
    .language_version:
      - 2
      - 0
    .max_flat_workgroup_size: 256
    .name:           _ZN7rocprim17ROCPRIM_400000_NS6detail30init_device_scan_by_key_kernelINS1_19lookback_scan_stateINS0_5tupleIJ11FixedVectorIiLj4EEbEEELb1ELb0EEEN6thrust23THRUST_200600_302600_NS6detail15normal_iteratorINSA_10device_ptrIjEEEEjNS1_16block_id_wrapperIjLb0EEEEEvT_jjPNSI_10value_typeET0_PNSt15iterator_traitsISL_E10value_typeEmT1_T2_
    .private_segment_fixed_size: 0
    .sgpr_count:     24
    .sgpr_spill_count: 0
    .symbol:         _ZN7rocprim17ROCPRIM_400000_NS6detail30init_device_scan_by_key_kernelINS1_19lookback_scan_stateINS0_5tupleIJ11FixedVectorIiLj4EEbEEELb1ELb0EEEN6thrust23THRUST_200600_302600_NS6detail15normal_iteratorINSA_10device_ptrIjEEEEjNS1_16block_id_wrapperIjLb0EEEEEvT_jjPNSI_10value_typeET0_PNSt15iterator_traitsISL_E10value_typeEmT1_T2_.kd
    .uniform_work_group_size: 1
    .uses_dynamic_stack: false
    .vgpr_count:     8
    .vgpr_spill_count: 0
    .wavefront_size: 32
  - .args:
      - .offset:         0
        .size:           24
        .value_kind:     by_value
      - .offset:         24
        .size:           4
        .value_kind:     by_value
      - .offset:         28
        .size:           4
        .value_kind:     by_value
      - .address_space:  global
        .offset:         32
        .size:           8
        .value_kind:     global_buffer
      - .offset:         40
        .size:           1
        .value_kind:     by_value
      - .offset:         48
        .size:           4
        .value_kind:     hidden_block_count_x
      - .offset:         52
        .size:           4
        .value_kind:     hidden_block_count_y
      - .offset:         56
        .size:           4
        .value_kind:     hidden_block_count_z
      - .offset:         60
        .size:           2
        .value_kind:     hidden_group_size_x
      - .offset:         62
        .size:           2
        .value_kind:     hidden_group_size_y
      - .offset:         64
        .size:           2
        .value_kind:     hidden_group_size_z
      - .offset:         66
        .size:           2
        .value_kind:     hidden_remainder_x
      - .offset:         68
        .size:           2
        .value_kind:     hidden_remainder_y
      - .offset:         70
        .size:           2
        .value_kind:     hidden_remainder_z
      - .offset:         88
        .size:           8
        .value_kind:     hidden_global_offset_x
      - .offset:         96
        .size:           8
        .value_kind:     hidden_global_offset_y
      - .offset:         104
        .size:           8
        .value_kind:     hidden_global_offset_z
      - .offset:         112
        .size:           2
        .value_kind:     hidden_grid_dims
    .group_segment_fixed_size: 5120
    .kernarg_segment_align: 8
    .kernarg_segment_size: 304
    .language:       OpenCL C
    .language_version:
      - 2
      - 0
    .max_flat_workgroup_size: 256
    .name:           _ZN7rocprim17ROCPRIM_400000_NS6detail30init_device_scan_by_key_kernelINS1_19lookback_scan_stateINS0_5tupleIJ11FixedVectorIiLj4EEbEEELb1ELb0EEENS1_16block_id_wrapperIjLb0EEEEEvT_jjPNSB_10value_typeET0_
    .private_segment_fixed_size: 0
    .sgpr_count:     18
    .sgpr_spill_count: 0
    .symbol:         _ZN7rocprim17ROCPRIM_400000_NS6detail30init_device_scan_by_key_kernelINS1_19lookback_scan_stateINS0_5tupleIJ11FixedVectorIiLj4EEbEEELb1ELb0EEENS1_16block_id_wrapperIjLb0EEEEEvT_jjPNSB_10value_typeET0_.kd
    .uniform_work_group_size: 1
    .uses_dynamic_stack: false
    .vgpr_count:     8
    .vgpr_spill_count: 0
    .wavefront_size: 32
  - .args:
      - .offset:         0
        .size:           144
        .value_kind:     by_value
    .group_segment_fixed_size: 0
    .kernarg_segment_align: 8
    .kernarg_segment_size: 144
    .language:       OpenCL C
    .language_version:
      - 2
      - 0
    .max_flat_workgroup_size: 64
    .name:           _ZN7rocprim17ROCPRIM_400000_NS6detail17trampoline_kernelINS0_14default_configENS1_27scan_by_key_config_selectorIj11FixedVectorIiLj4EEEEZZNS1_16scan_by_key_implILNS1_25lookback_scan_determinismE0ELb0ES3_N6thrust23THRUST_200600_302600_NS6detail15normal_iteratorINSB_10device_ptrIjEEEENSD_INSE_IS6_EEEESI_S6_NSB_4plusIvEENSB_8equal_toIvEES6_EE10hipError_tPvRmT2_T3_T4_T5_mT6_T7_P12ihipStream_tbENKUlT_T0_E_clISt17integral_constantIbLb1EES12_IbLb0EEEEDaSY_SZ_EUlSY_E_NS1_11comp_targetILNS1_3genE0ELNS1_11target_archE4294967295ELNS1_3gpuE0ELNS1_3repE0EEENS1_30default_config_static_selectorELNS0_4arch9wavefront6targetE0EEEvT1_
    .private_segment_fixed_size: 0
    .sgpr_count:     0
    .sgpr_spill_count: 0
    .symbol:         _ZN7rocprim17ROCPRIM_400000_NS6detail17trampoline_kernelINS0_14default_configENS1_27scan_by_key_config_selectorIj11FixedVectorIiLj4EEEEZZNS1_16scan_by_key_implILNS1_25lookback_scan_determinismE0ELb0ES3_N6thrust23THRUST_200600_302600_NS6detail15normal_iteratorINSB_10device_ptrIjEEEENSD_INSE_IS6_EEEESI_S6_NSB_4plusIvEENSB_8equal_toIvEES6_EE10hipError_tPvRmT2_T3_T4_T5_mT6_T7_P12ihipStream_tbENKUlT_T0_E_clISt17integral_constantIbLb1EES12_IbLb0EEEEDaSY_SZ_EUlSY_E_NS1_11comp_targetILNS1_3genE0ELNS1_11target_archE4294967295ELNS1_3gpuE0ELNS1_3repE0EEENS1_30default_config_static_selectorELNS0_4arch9wavefront6targetE0EEEvT1_.kd
    .uniform_work_group_size: 1
    .uses_dynamic_stack: false
    .vgpr_count:     0
    .vgpr_spill_count: 0
    .wavefront_size: 32
  - .args:
      - .offset:         0
        .size:           144
        .value_kind:     by_value
    .group_segment_fixed_size: 0
    .kernarg_segment_align: 8
    .kernarg_segment_size: 144
    .language:       OpenCL C
    .language_version:
      - 2
      - 0
    .max_flat_workgroup_size: 256
    .name:           _ZN7rocprim17ROCPRIM_400000_NS6detail17trampoline_kernelINS0_14default_configENS1_27scan_by_key_config_selectorIj11FixedVectorIiLj4EEEEZZNS1_16scan_by_key_implILNS1_25lookback_scan_determinismE0ELb0ES3_N6thrust23THRUST_200600_302600_NS6detail15normal_iteratorINSB_10device_ptrIjEEEENSD_INSE_IS6_EEEESI_S6_NSB_4plusIvEENSB_8equal_toIvEES6_EE10hipError_tPvRmT2_T3_T4_T5_mT6_T7_P12ihipStream_tbENKUlT_T0_E_clISt17integral_constantIbLb1EES12_IbLb0EEEEDaSY_SZ_EUlSY_E_NS1_11comp_targetILNS1_3genE10ELNS1_11target_archE1201ELNS1_3gpuE5ELNS1_3repE0EEENS1_30default_config_static_selectorELNS0_4arch9wavefront6targetE0EEEvT1_
    .private_segment_fixed_size: 0
    .sgpr_count:     0
    .sgpr_spill_count: 0
    .symbol:         _ZN7rocprim17ROCPRIM_400000_NS6detail17trampoline_kernelINS0_14default_configENS1_27scan_by_key_config_selectorIj11FixedVectorIiLj4EEEEZZNS1_16scan_by_key_implILNS1_25lookback_scan_determinismE0ELb0ES3_N6thrust23THRUST_200600_302600_NS6detail15normal_iteratorINSB_10device_ptrIjEEEENSD_INSE_IS6_EEEESI_S6_NSB_4plusIvEENSB_8equal_toIvEES6_EE10hipError_tPvRmT2_T3_T4_T5_mT6_T7_P12ihipStream_tbENKUlT_T0_E_clISt17integral_constantIbLb1EES12_IbLb0EEEEDaSY_SZ_EUlSY_E_NS1_11comp_targetILNS1_3genE10ELNS1_11target_archE1201ELNS1_3gpuE5ELNS1_3repE0EEENS1_30default_config_static_selectorELNS0_4arch9wavefront6targetE0EEEvT1_.kd
    .uniform_work_group_size: 1
    .uses_dynamic_stack: false
    .vgpr_count:     0
    .vgpr_spill_count: 0
    .wavefront_size: 32
  - .args:
      - .offset:         0
        .size:           144
        .value_kind:     by_value
    .group_segment_fixed_size: 0
    .kernarg_segment_align: 8
    .kernarg_segment_size: 144
    .language:       OpenCL C
    .language_version:
      - 2
      - 0
    .max_flat_workgroup_size: 128
    .name:           _ZN7rocprim17ROCPRIM_400000_NS6detail17trampoline_kernelINS0_14default_configENS1_27scan_by_key_config_selectorIj11FixedVectorIiLj4EEEEZZNS1_16scan_by_key_implILNS1_25lookback_scan_determinismE0ELb0ES3_N6thrust23THRUST_200600_302600_NS6detail15normal_iteratorINSB_10device_ptrIjEEEENSD_INSE_IS6_EEEESI_S6_NSB_4plusIvEENSB_8equal_toIvEES6_EE10hipError_tPvRmT2_T3_T4_T5_mT6_T7_P12ihipStream_tbENKUlT_T0_E_clISt17integral_constantIbLb1EES12_IbLb0EEEEDaSY_SZ_EUlSY_E_NS1_11comp_targetILNS1_3genE5ELNS1_11target_archE942ELNS1_3gpuE9ELNS1_3repE0EEENS1_30default_config_static_selectorELNS0_4arch9wavefront6targetE0EEEvT1_
    .private_segment_fixed_size: 0
    .sgpr_count:     0
    .sgpr_spill_count: 0
    .symbol:         _ZN7rocprim17ROCPRIM_400000_NS6detail17trampoline_kernelINS0_14default_configENS1_27scan_by_key_config_selectorIj11FixedVectorIiLj4EEEEZZNS1_16scan_by_key_implILNS1_25lookback_scan_determinismE0ELb0ES3_N6thrust23THRUST_200600_302600_NS6detail15normal_iteratorINSB_10device_ptrIjEEEENSD_INSE_IS6_EEEESI_S6_NSB_4plusIvEENSB_8equal_toIvEES6_EE10hipError_tPvRmT2_T3_T4_T5_mT6_T7_P12ihipStream_tbENKUlT_T0_E_clISt17integral_constantIbLb1EES12_IbLb0EEEEDaSY_SZ_EUlSY_E_NS1_11comp_targetILNS1_3genE5ELNS1_11target_archE942ELNS1_3gpuE9ELNS1_3repE0EEENS1_30default_config_static_selectorELNS0_4arch9wavefront6targetE0EEEvT1_.kd
    .uniform_work_group_size: 1
    .uses_dynamic_stack: false
    .vgpr_count:     0
    .vgpr_spill_count: 0
    .wavefront_size: 32
  - .args:
      - .offset:         0
        .size:           144
        .value_kind:     by_value
    .group_segment_fixed_size: 0
    .kernarg_segment_align: 8
    .kernarg_segment_size: 144
    .language:       OpenCL C
    .language_version:
      - 2
      - 0
    .max_flat_workgroup_size: 256
    .name:           _ZN7rocprim17ROCPRIM_400000_NS6detail17trampoline_kernelINS0_14default_configENS1_27scan_by_key_config_selectorIj11FixedVectorIiLj4EEEEZZNS1_16scan_by_key_implILNS1_25lookback_scan_determinismE0ELb0ES3_N6thrust23THRUST_200600_302600_NS6detail15normal_iteratorINSB_10device_ptrIjEEEENSD_INSE_IS6_EEEESI_S6_NSB_4plusIvEENSB_8equal_toIvEES6_EE10hipError_tPvRmT2_T3_T4_T5_mT6_T7_P12ihipStream_tbENKUlT_T0_E_clISt17integral_constantIbLb1EES12_IbLb0EEEEDaSY_SZ_EUlSY_E_NS1_11comp_targetILNS1_3genE4ELNS1_11target_archE910ELNS1_3gpuE8ELNS1_3repE0EEENS1_30default_config_static_selectorELNS0_4arch9wavefront6targetE0EEEvT1_
    .private_segment_fixed_size: 0
    .sgpr_count:     0
    .sgpr_spill_count: 0
    .symbol:         _ZN7rocprim17ROCPRIM_400000_NS6detail17trampoline_kernelINS0_14default_configENS1_27scan_by_key_config_selectorIj11FixedVectorIiLj4EEEEZZNS1_16scan_by_key_implILNS1_25lookback_scan_determinismE0ELb0ES3_N6thrust23THRUST_200600_302600_NS6detail15normal_iteratorINSB_10device_ptrIjEEEENSD_INSE_IS6_EEEESI_S6_NSB_4plusIvEENSB_8equal_toIvEES6_EE10hipError_tPvRmT2_T3_T4_T5_mT6_T7_P12ihipStream_tbENKUlT_T0_E_clISt17integral_constantIbLb1EES12_IbLb0EEEEDaSY_SZ_EUlSY_E_NS1_11comp_targetILNS1_3genE4ELNS1_11target_archE910ELNS1_3gpuE8ELNS1_3repE0EEENS1_30default_config_static_selectorELNS0_4arch9wavefront6targetE0EEEvT1_.kd
    .uniform_work_group_size: 1
    .uses_dynamic_stack: false
    .vgpr_count:     0
    .vgpr_spill_count: 0
    .wavefront_size: 32
  - .args:
      - .offset:         0
        .size:           144
        .value_kind:     by_value
    .group_segment_fixed_size: 0
    .kernarg_segment_align: 8
    .kernarg_segment_size: 144
    .language:       OpenCL C
    .language_version:
      - 2
      - 0
    .max_flat_workgroup_size: 64
    .name:           _ZN7rocprim17ROCPRIM_400000_NS6detail17trampoline_kernelINS0_14default_configENS1_27scan_by_key_config_selectorIj11FixedVectorIiLj4EEEEZZNS1_16scan_by_key_implILNS1_25lookback_scan_determinismE0ELb0ES3_N6thrust23THRUST_200600_302600_NS6detail15normal_iteratorINSB_10device_ptrIjEEEENSD_INSE_IS6_EEEESI_S6_NSB_4plusIvEENSB_8equal_toIvEES6_EE10hipError_tPvRmT2_T3_T4_T5_mT6_T7_P12ihipStream_tbENKUlT_T0_E_clISt17integral_constantIbLb1EES12_IbLb0EEEEDaSY_SZ_EUlSY_E_NS1_11comp_targetILNS1_3genE3ELNS1_11target_archE908ELNS1_3gpuE7ELNS1_3repE0EEENS1_30default_config_static_selectorELNS0_4arch9wavefront6targetE0EEEvT1_
    .private_segment_fixed_size: 0
    .sgpr_count:     0
    .sgpr_spill_count: 0
    .symbol:         _ZN7rocprim17ROCPRIM_400000_NS6detail17trampoline_kernelINS0_14default_configENS1_27scan_by_key_config_selectorIj11FixedVectorIiLj4EEEEZZNS1_16scan_by_key_implILNS1_25lookback_scan_determinismE0ELb0ES3_N6thrust23THRUST_200600_302600_NS6detail15normal_iteratorINSB_10device_ptrIjEEEENSD_INSE_IS6_EEEESI_S6_NSB_4plusIvEENSB_8equal_toIvEES6_EE10hipError_tPvRmT2_T3_T4_T5_mT6_T7_P12ihipStream_tbENKUlT_T0_E_clISt17integral_constantIbLb1EES12_IbLb0EEEEDaSY_SZ_EUlSY_E_NS1_11comp_targetILNS1_3genE3ELNS1_11target_archE908ELNS1_3gpuE7ELNS1_3repE0EEENS1_30default_config_static_selectorELNS0_4arch9wavefront6targetE0EEEvT1_.kd
    .uniform_work_group_size: 1
    .uses_dynamic_stack: false
    .vgpr_count:     0
    .vgpr_spill_count: 0
    .wavefront_size: 32
  - .args:
      - .offset:         0
        .size:           144
        .value_kind:     by_value
    .group_segment_fixed_size: 0
    .kernarg_segment_align: 8
    .kernarg_segment_size: 144
    .language:       OpenCL C
    .language_version:
      - 2
      - 0
    .max_flat_workgroup_size: 256
    .name:           _ZN7rocprim17ROCPRIM_400000_NS6detail17trampoline_kernelINS0_14default_configENS1_27scan_by_key_config_selectorIj11FixedVectorIiLj4EEEEZZNS1_16scan_by_key_implILNS1_25lookback_scan_determinismE0ELb0ES3_N6thrust23THRUST_200600_302600_NS6detail15normal_iteratorINSB_10device_ptrIjEEEENSD_INSE_IS6_EEEESI_S6_NSB_4plusIvEENSB_8equal_toIvEES6_EE10hipError_tPvRmT2_T3_T4_T5_mT6_T7_P12ihipStream_tbENKUlT_T0_E_clISt17integral_constantIbLb1EES12_IbLb0EEEEDaSY_SZ_EUlSY_E_NS1_11comp_targetILNS1_3genE2ELNS1_11target_archE906ELNS1_3gpuE6ELNS1_3repE0EEENS1_30default_config_static_selectorELNS0_4arch9wavefront6targetE0EEEvT1_
    .private_segment_fixed_size: 0
    .sgpr_count:     0
    .sgpr_spill_count: 0
    .symbol:         _ZN7rocprim17ROCPRIM_400000_NS6detail17trampoline_kernelINS0_14default_configENS1_27scan_by_key_config_selectorIj11FixedVectorIiLj4EEEEZZNS1_16scan_by_key_implILNS1_25lookback_scan_determinismE0ELb0ES3_N6thrust23THRUST_200600_302600_NS6detail15normal_iteratorINSB_10device_ptrIjEEEENSD_INSE_IS6_EEEESI_S6_NSB_4plusIvEENSB_8equal_toIvEES6_EE10hipError_tPvRmT2_T3_T4_T5_mT6_T7_P12ihipStream_tbENKUlT_T0_E_clISt17integral_constantIbLb1EES12_IbLb0EEEEDaSY_SZ_EUlSY_E_NS1_11comp_targetILNS1_3genE2ELNS1_11target_archE906ELNS1_3gpuE6ELNS1_3repE0EEENS1_30default_config_static_selectorELNS0_4arch9wavefront6targetE0EEEvT1_.kd
    .uniform_work_group_size: 1
    .uses_dynamic_stack: false
    .vgpr_count:     0
    .vgpr_spill_count: 0
    .wavefront_size: 32
  - .args:
      - .offset:         0
        .size:           144
        .value_kind:     by_value
    .group_segment_fixed_size: 0
    .kernarg_segment_align: 8
    .kernarg_segment_size: 144
    .language:       OpenCL C
    .language_version:
      - 2
      - 0
    .max_flat_workgroup_size: 256
    .name:           _ZN7rocprim17ROCPRIM_400000_NS6detail17trampoline_kernelINS0_14default_configENS1_27scan_by_key_config_selectorIj11FixedVectorIiLj4EEEEZZNS1_16scan_by_key_implILNS1_25lookback_scan_determinismE0ELb0ES3_N6thrust23THRUST_200600_302600_NS6detail15normal_iteratorINSB_10device_ptrIjEEEENSD_INSE_IS6_EEEESI_S6_NSB_4plusIvEENSB_8equal_toIvEES6_EE10hipError_tPvRmT2_T3_T4_T5_mT6_T7_P12ihipStream_tbENKUlT_T0_E_clISt17integral_constantIbLb1EES12_IbLb0EEEEDaSY_SZ_EUlSY_E_NS1_11comp_targetILNS1_3genE10ELNS1_11target_archE1200ELNS1_3gpuE4ELNS1_3repE0EEENS1_30default_config_static_selectorELNS0_4arch9wavefront6targetE0EEEvT1_
    .private_segment_fixed_size: 0
    .sgpr_count:     0
    .sgpr_spill_count: 0
    .symbol:         _ZN7rocprim17ROCPRIM_400000_NS6detail17trampoline_kernelINS0_14default_configENS1_27scan_by_key_config_selectorIj11FixedVectorIiLj4EEEEZZNS1_16scan_by_key_implILNS1_25lookback_scan_determinismE0ELb0ES3_N6thrust23THRUST_200600_302600_NS6detail15normal_iteratorINSB_10device_ptrIjEEEENSD_INSE_IS6_EEEESI_S6_NSB_4plusIvEENSB_8equal_toIvEES6_EE10hipError_tPvRmT2_T3_T4_T5_mT6_T7_P12ihipStream_tbENKUlT_T0_E_clISt17integral_constantIbLb1EES12_IbLb0EEEEDaSY_SZ_EUlSY_E_NS1_11comp_targetILNS1_3genE10ELNS1_11target_archE1200ELNS1_3gpuE4ELNS1_3repE0EEENS1_30default_config_static_selectorELNS0_4arch9wavefront6targetE0EEEvT1_.kd
    .uniform_work_group_size: 1
    .uses_dynamic_stack: false
    .vgpr_count:     0
    .vgpr_spill_count: 0
    .wavefront_size: 32
  - .args:
      - .offset:         0
        .size:           144
        .value_kind:     by_value
    .group_segment_fixed_size: 0
    .kernarg_segment_align: 8
    .kernarg_segment_size: 144
    .language:       OpenCL C
    .language_version:
      - 2
      - 0
    .max_flat_workgroup_size: 256
    .name:           _ZN7rocprim17ROCPRIM_400000_NS6detail17trampoline_kernelINS0_14default_configENS1_27scan_by_key_config_selectorIj11FixedVectorIiLj4EEEEZZNS1_16scan_by_key_implILNS1_25lookback_scan_determinismE0ELb0ES3_N6thrust23THRUST_200600_302600_NS6detail15normal_iteratorINSB_10device_ptrIjEEEENSD_INSE_IS6_EEEESI_S6_NSB_4plusIvEENSB_8equal_toIvEES6_EE10hipError_tPvRmT2_T3_T4_T5_mT6_T7_P12ihipStream_tbENKUlT_T0_E_clISt17integral_constantIbLb1EES12_IbLb0EEEEDaSY_SZ_EUlSY_E_NS1_11comp_targetILNS1_3genE9ELNS1_11target_archE1100ELNS1_3gpuE3ELNS1_3repE0EEENS1_30default_config_static_selectorELNS0_4arch9wavefront6targetE0EEEvT1_
    .private_segment_fixed_size: 0
    .sgpr_count:     0
    .sgpr_spill_count: 0
    .symbol:         _ZN7rocprim17ROCPRIM_400000_NS6detail17trampoline_kernelINS0_14default_configENS1_27scan_by_key_config_selectorIj11FixedVectorIiLj4EEEEZZNS1_16scan_by_key_implILNS1_25lookback_scan_determinismE0ELb0ES3_N6thrust23THRUST_200600_302600_NS6detail15normal_iteratorINSB_10device_ptrIjEEEENSD_INSE_IS6_EEEESI_S6_NSB_4plusIvEENSB_8equal_toIvEES6_EE10hipError_tPvRmT2_T3_T4_T5_mT6_T7_P12ihipStream_tbENKUlT_T0_E_clISt17integral_constantIbLb1EES12_IbLb0EEEEDaSY_SZ_EUlSY_E_NS1_11comp_targetILNS1_3genE9ELNS1_11target_archE1100ELNS1_3gpuE3ELNS1_3repE0EEENS1_30default_config_static_selectorELNS0_4arch9wavefront6targetE0EEEvT1_.kd
    .uniform_work_group_size: 1
    .uses_dynamic_stack: false
    .vgpr_count:     0
    .vgpr_spill_count: 0
    .wavefront_size: 32
  - .args:
      - .offset:         0
        .size:           144
        .value_kind:     by_value
    .group_segment_fixed_size: 0
    .kernarg_segment_align: 8
    .kernarg_segment_size: 144
    .language:       OpenCL C
    .language_version:
      - 2
      - 0
    .max_flat_workgroup_size: 256
    .name:           _ZN7rocprim17ROCPRIM_400000_NS6detail17trampoline_kernelINS0_14default_configENS1_27scan_by_key_config_selectorIj11FixedVectorIiLj4EEEEZZNS1_16scan_by_key_implILNS1_25lookback_scan_determinismE0ELb0ES3_N6thrust23THRUST_200600_302600_NS6detail15normal_iteratorINSB_10device_ptrIjEEEENSD_INSE_IS6_EEEESI_S6_NSB_4plusIvEENSB_8equal_toIvEES6_EE10hipError_tPvRmT2_T3_T4_T5_mT6_T7_P12ihipStream_tbENKUlT_T0_E_clISt17integral_constantIbLb1EES12_IbLb0EEEEDaSY_SZ_EUlSY_E_NS1_11comp_targetILNS1_3genE8ELNS1_11target_archE1030ELNS1_3gpuE2ELNS1_3repE0EEENS1_30default_config_static_selectorELNS0_4arch9wavefront6targetE0EEEvT1_
    .private_segment_fixed_size: 0
    .sgpr_count:     0
    .sgpr_spill_count: 0
    .symbol:         _ZN7rocprim17ROCPRIM_400000_NS6detail17trampoline_kernelINS0_14default_configENS1_27scan_by_key_config_selectorIj11FixedVectorIiLj4EEEEZZNS1_16scan_by_key_implILNS1_25lookback_scan_determinismE0ELb0ES3_N6thrust23THRUST_200600_302600_NS6detail15normal_iteratorINSB_10device_ptrIjEEEENSD_INSE_IS6_EEEESI_S6_NSB_4plusIvEENSB_8equal_toIvEES6_EE10hipError_tPvRmT2_T3_T4_T5_mT6_T7_P12ihipStream_tbENKUlT_T0_E_clISt17integral_constantIbLb1EES12_IbLb0EEEEDaSY_SZ_EUlSY_E_NS1_11comp_targetILNS1_3genE8ELNS1_11target_archE1030ELNS1_3gpuE2ELNS1_3repE0EEENS1_30default_config_static_selectorELNS0_4arch9wavefront6targetE0EEEvT1_.kd
    .uniform_work_group_size: 1
    .uses_dynamic_stack: false
    .vgpr_count:     0
    .vgpr_spill_count: 0
    .wavefront_size: 32
  - .args:
      - .offset:         0
        .size:           24
        .value_kind:     by_value
      - .offset:         24
        .size:           4
        .value_kind:     by_value
      - .offset:         28
        .size:           4
        .value_kind:     by_value
      - .address_space:  global
        .offset:         32
        .size:           8
        .value_kind:     global_buffer
      - .address_space:  global
        .offset:         40
        .size:           8
        .value_kind:     global_buffer
      - .actual_access:  write_only
        .address_space:  global
        .offset:         48
        .size:           8
        .value_kind:     global_buffer
      - .offset:         56
        .size:           8
        .value_kind:     by_value
      - .offset:         64
        .size:           4
        .value_kind:     by_value
      - .address_space:  global
        .offset:         72
        .size:           8
        .value_kind:     global_buffer
      - .offset:         80
        .size:           4
        .value_kind:     hidden_block_count_x
      - .offset:         84
        .size:           4
        .value_kind:     hidden_block_count_y
      - .offset:         88
        .size:           4
        .value_kind:     hidden_block_count_z
      - .offset:         92
        .size:           2
        .value_kind:     hidden_group_size_x
      - .offset:         94
        .size:           2
        .value_kind:     hidden_group_size_y
      - .offset:         96
        .size:           2
        .value_kind:     hidden_group_size_z
      - .offset:         98
        .size:           2
        .value_kind:     hidden_remainder_x
      - .offset:         100
        .size:           2
        .value_kind:     hidden_remainder_y
      - .offset:         102
        .size:           2
        .value_kind:     hidden_remainder_z
      - .offset:         120
        .size:           8
        .value_kind:     hidden_global_offset_x
      - .offset:         128
        .size:           8
        .value_kind:     hidden_global_offset_y
      - .offset:         136
        .size:           8
        .value_kind:     hidden_global_offset_z
      - .offset:         144
        .size:           2
        .value_kind:     hidden_grid_dims
    .group_segment_fixed_size: 5120
    .kernarg_segment_align: 8
    .kernarg_segment_size: 336
    .language:       OpenCL C
    .language_version:
      - 2
      - 0
    .max_flat_workgroup_size: 256
    .name:           _ZN7rocprim17ROCPRIM_400000_NS6detail30init_device_scan_by_key_kernelINS1_19lookback_scan_stateINS0_5tupleIJ11FixedVectorIiLj4EEbEEELb0ELb0EEEN6thrust23THRUST_200600_302600_NS6detail15normal_iteratorINSA_10device_ptrIjEEEEjNS1_16block_id_wrapperIjLb1EEEEEvT_jjPNSI_10value_typeET0_PNSt15iterator_traitsISL_E10value_typeEmT1_T2_
    .private_segment_fixed_size: 0
    .sgpr_count:     23
    .sgpr_spill_count: 0
    .symbol:         _ZN7rocprim17ROCPRIM_400000_NS6detail30init_device_scan_by_key_kernelINS1_19lookback_scan_stateINS0_5tupleIJ11FixedVectorIiLj4EEbEEELb0ELb0EEEN6thrust23THRUST_200600_302600_NS6detail15normal_iteratorINSA_10device_ptrIjEEEEjNS1_16block_id_wrapperIjLb1EEEEEvT_jjPNSI_10value_typeET0_PNSt15iterator_traitsISL_E10value_typeEmT1_T2_.kd
    .uniform_work_group_size: 1
    .uses_dynamic_stack: false
    .vgpr_count:     8
    .vgpr_spill_count: 0
    .wavefront_size: 32
  - .args:
      - .offset:         0
        .size:           24
        .value_kind:     by_value
      - .offset:         24
        .size:           4
        .value_kind:     by_value
      - .offset:         28
        .size:           4
        .value_kind:     by_value
      - .address_space:  global
        .offset:         32
        .size:           8
        .value_kind:     global_buffer
      - .address_space:  global
        .offset:         40
        .size:           8
        .value_kind:     global_buffer
      - .offset:         48
        .size:           4
        .value_kind:     hidden_block_count_x
      - .offset:         52
        .size:           4
        .value_kind:     hidden_block_count_y
      - .offset:         56
        .size:           4
        .value_kind:     hidden_block_count_z
      - .offset:         60
        .size:           2
        .value_kind:     hidden_group_size_x
      - .offset:         62
        .size:           2
        .value_kind:     hidden_group_size_y
      - .offset:         64
        .size:           2
        .value_kind:     hidden_group_size_z
      - .offset:         66
        .size:           2
        .value_kind:     hidden_remainder_x
      - .offset:         68
        .size:           2
        .value_kind:     hidden_remainder_y
      - .offset:         70
        .size:           2
        .value_kind:     hidden_remainder_z
      - .offset:         88
        .size:           8
        .value_kind:     hidden_global_offset_x
      - .offset:         96
        .size:           8
        .value_kind:     hidden_global_offset_y
      - .offset:         104
        .size:           8
        .value_kind:     hidden_global_offset_z
      - .offset:         112
        .size:           2
        .value_kind:     hidden_grid_dims
    .group_segment_fixed_size: 5120
    .kernarg_segment_align: 8
    .kernarg_segment_size: 304
    .language:       OpenCL C
    .language_version:
      - 2
      - 0
    .max_flat_workgroup_size: 256
    .name:           _ZN7rocprim17ROCPRIM_400000_NS6detail30init_device_scan_by_key_kernelINS1_19lookback_scan_stateINS0_5tupleIJ11FixedVectorIiLj4EEbEEELb0ELb0EEENS1_16block_id_wrapperIjLb1EEEEEvT_jjPNSB_10value_typeET0_
    .private_segment_fixed_size: 0
    .sgpr_count:     19
    .sgpr_spill_count: 0
    .symbol:         _ZN7rocprim17ROCPRIM_400000_NS6detail30init_device_scan_by_key_kernelINS1_19lookback_scan_stateINS0_5tupleIJ11FixedVectorIiLj4EEbEEELb0ELb0EEENS1_16block_id_wrapperIjLb1EEEEEvT_jjPNSB_10value_typeET0_.kd
    .uniform_work_group_size: 1
    .uses_dynamic_stack: false
    .vgpr_count:     8
    .vgpr_spill_count: 0
    .wavefront_size: 32
  - .args:
      - .offset:         0
        .size:           144
        .value_kind:     by_value
    .group_segment_fixed_size: 20480
    .kernarg_segment_align: 8
    .kernarg_segment_size: 144
    .language:       OpenCL C
    .language_version:
      - 2
      - 0
    .max_flat_workgroup_size: 64
    .name:           _ZN7rocprim17ROCPRIM_400000_NS6detail17trampoline_kernelINS0_14default_configENS1_27scan_by_key_config_selectorIj11FixedVectorIiLj4EEEEZZNS1_16scan_by_key_implILNS1_25lookback_scan_determinismE0ELb0ES3_N6thrust23THRUST_200600_302600_NS6detail15normal_iteratorINSB_10device_ptrIjEEEENSD_INSE_IS6_EEEESI_S6_NSB_4plusIvEENSB_8equal_toIvEES6_EE10hipError_tPvRmT2_T3_T4_T5_mT6_T7_P12ihipStream_tbENKUlT_T0_E_clISt17integral_constantIbLb0EES12_IbLb1EEEEDaSY_SZ_EUlSY_E_NS1_11comp_targetILNS1_3genE0ELNS1_11target_archE4294967295ELNS1_3gpuE0ELNS1_3repE0EEENS1_30default_config_static_selectorELNS0_4arch9wavefront6targetE0EEEvT1_
    .private_segment_fixed_size: 448
    .sgpr_count:     68
    .sgpr_spill_count: 0
    .symbol:         _ZN7rocprim17ROCPRIM_400000_NS6detail17trampoline_kernelINS0_14default_configENS1_27scan_by_key_config_selectorIj11FixedVectorIiLj4EEEEZZNS1_16scan_by_key_implILNS1_25lookback_scan_determinismE0ELb0ES3_N6thrust23THRUST_200600_302600_NS6detail15normal_iteratorINSB_10device_ptrIjEEEENSD_INSE_IS6_EEEESI_S6_NSB_4plusIvEENSB_8equal_toIvEES6_EE10hipError_tPvRmT2_T3_T4_T5_mT6_T7_P12ihipStream_tbENKUlT_T0_E_clISt17integral_constantIbLb0EES12_IbLb1EEEEDaSY_SZ_EUlSY_E_NS1_11comp_targetILNS1_3genE0ELNS1_11target_archE4294967295ELNS1_3gpuE0ELNS1_3repE0EEENS1_30default_config_static_selectorELNS0_4arch9wavefront6targetE0EEEvT1_.kd
    .uniform_work_group_size: 1
    .uses_dynamic_stack: false
    .vgpr_count:     83
    .vgpr_spill_count: 0
    .wavefront_size: 32
  - .args:
      - .offset:         0
        .size:           144
        .value_kind:     by_value
    .group_segment_fixed_size: 0
    .kernarg_segment_align: 8
    .kernarg_segment_size: 144
    .language:       OpenCL C
    .language_version:
      - 2
      - 0
    .max_flat_workgroup_size: 256
    .name:           _ZN7rocprim17ROCPRIM_400000_NS6detail17trampoline_kernelINS0_14default_configENS1_27scan_by_key_config_selectorIj11FixedVectorIiLj4EEEEZZNS1_16scan_by_key_implILNS1_25lookback_scan_determinismE0ELb0ES3_N6thrust23THRUST_200600_302600_NS6detail15normal_iteratorINSB_10device_ptrIjEEEENSD_INSE_IS6_EEEESI_S6_NSB_4plusIvEENSB_8equal_toIvEES6_EE10hipError_tPvRmT2_T3_T4_T5_mT6_T7_P12ihipStream_tbENKUlT_T0_E_clISt17integral_constantIbLb0EES12_IbLb1EEEEDaSY_SZ_EUlSY_E_NS1_11comp_targetILNS1_3genE10ELNS1_11target_archE1201ELNS1_3gpuE5ELNS1_3repE0EEENS1_30default_config_static_selectorELNS0_4arch9wavefront6targetE0EEEvT1_
    .private_segment_fixed_size: 0
    .sgpr_count:     0
    .sgpr_spill_count: 0
    .symbol:         _ZN7rocprim17ROCPRIM_400000_NS6detail17trampoline_kernelINS0_14default_configENS1_27scan_by_key_config_selectorIj11FixedVectorIiLj4EEEEZZNS1_16scan_by_key_implILNS1_25lookback_scan_determinismE0ELb0ES3_N6thrust23THRUST_200600_302600_NS6detail15normal_iteratorINSB_10device_ptrIjEEEENSD_INSE_IS6_EEEESI_S6_NSB_4plusIvEENSB_8equal_toIvEES6_EE10hipError_tPvRmT2_T3_T4_T5_mT6_T7_P12ihipStream_tbENKUlT_T0_E_clISt17integral_constantIbLb0EES12_IbLb1EEEEDaSY_SZ_EUlSY_E_NS1_11comp_targetILNS1_3genE10ELNS1_11target_archE1201ELNS1_3gpuE5ELNS1_3repE0EEENS1_30default_config_static_selectorELNS0_4arch9wavefront6targetE0EEEvT1_.kd
    .uniform_work_group_size: 1
    .uses_dynamic_stack: false
    .vgpr_count:     0
    .vgpr_spill_count: 0
    .wavefront_size: 32
  - .args:
      - .offset:         0
        .size:           144
        .value_kind:     by_value
    .group_segment_fixed_size: 0
    .kernarg_segment_align: 8
    .kernarg_segment_size: 144
    .language:       OpenCL C
    .language_version:
      - 2
      - 0
    .max_flat_workgroup_size: 128
    .name:           _ZN7rocprim17ROCPRIM_400000_NS6detail17trampoline_kernelINS0_14default_configENS1_27scan_by_key_config_selectorIj11FixedVectorIiLj4EEEEZZNS1_16scan_by_key_implILNS1_25lookback_scan_determinismE0ELb0ES3_N6thrust23THRUST_200600_302600_NS6detail15normal_iteratorINSB_10device_ptrIjEEEENSD_INSE_IS6_EEEESI_S6_NSB_4plusIvEENSB_8equal_toIvEES6_EE10hipError_tPvRmT2_T3_T4_T5_mT6_T7_P12ihipStream_tbENKUlT_T0_E_clISt17integral_constantIbLb0EES12_IbLb1EEEEDaSY_SZ_EUlSY_E_NS1_11comp_targetILNS1_3genE5ELNS1_11target_archE942ELNS1_3gpuE9ELNS1_3repE0EEENS1_30default_config_static_selectorELNS0_4arch9wavefront6targetE0EEEvT1_
    .private_segment_fixed_size: 0
    .sgpr_count:     0
    .sgpr_spill_count: 0
    .symbol:         _ZN7rocprim17ROCPRIM_400000_NS6detail17trampoline_kernelINS0_14default_configENS1_27scan_by_key_config_selectorIj11FixedVectorIiLj4EEEEZZNS1_16scan_by_key_implILNS1_25lookback_scan_determinismE0ELb0ES3_N6thrust23THRUST_200600_302600_NS6detail15normal_iteratorINSB_10device_ptrIjEEEENSD_INSE_IS6_EEEESI_S6_NSB_4plusIvEENSB_8equal_toIvEES6_EE10hipError_tPvRmT2_T3_T4_T5_mT6_T7_P12ihipStream_tbENKUlT_T0_E_clISt17integral_constantIbLb0EES12_IbLb1EEEEDaSY_SZ_EUlSY_E_NS1_11comp_targetILNS1_3genE5ELNS1_11target_archE942ELNS1_3gpuE9ELNS1_3repE0EEENS1_30default_config_static_selectorELNS0_4arch9wavefront6targetE0EEEvT1_.kd
    .uniform_work_group_size: 1
    .uses_dynamic_stack: false
    .vgpr_count:     0
    .vgpr_spill_count: 0
    .wavefront_size: 32
  - .args:
      - .offset:         0
        .size:           144
        .value_kind:     by_value
    .group_segment_fixed_size: 0
    .kernarg_segment_align: 8
    .kernarg_segment_size: 144
    .language:       OpenCL C
    .language_version:
      - 2
      - 0
    .max_flat_workgroup_size: 256
    .name:           _ZN7rocprim17ROCPRIM_400000_NS6detail17trampoline_kernelINS0_14default_configENS1_27scan_by_key_config_selectorIj11FixedVectorIiLj4EEEEZZNS1_16scan_by_key_implILNS1_25lookback_scan_determinismE0ELb0ES3_N6thrust23THRUST_200600_302600_NS6detail15normal_iteratorINSB_10device_ptrIjEEEENSD_INSE_IS6_EEEESI_S6_NSB_4plusIvEENSB_8equal_toIvEES6_EE10hipError_tPvRmT2_T3_T4_T5_mT6_T7_P12ihipStream_tbENKUlT_T0_E_clISt17integral_constantIbLb0EES12_IbLb1EEEEDaSY_SZ_EUlSY_E_NS1_11comp_targetILNS1_3genE4ELNS1_11target_archE910ELNS1_3gpuE8ELNS1_3repE0EEENS1_30default_config_static_selectorELNS0_4arch9wavefront6targetE0EEEvT1_
    .private_segment_fixed_size: 0
    .sgpr_count:     0
    .sgpr_spill_count: 0
    .symbol:         _ZN7rocprim17ROCPRIM_400000_NS6detail17trampoline_kernelINS0_14default_configENS1_27scan_by_key_config_selectorIj11FixedVectorIiLj4EEEEZZNS1_16scan_by_key_implILNS1_25lookback_scan_determinismE0ELb0ES3_N6thrust23THRUST_200600_302600_NS6detail15normal_iteratorINSB_10device_ptrIjEEEENSD_INSE_IS6_EEEESI_S6_NSB_4plusIvEENSB_8equal_toIvEES6_EE10hipError_tPvRmT2_T3_T4_T5_mT6_T7_P12ihipStream_tbENKUlT_T0_E_clISt17integral_constantIbLb0EES12_IbLb1EEEEDaSY_SZ_EUlSY_E_NS1_11comp_targetILNS1_3genE4ELNS1_11target_archE910ELNS1_3gpuE8ELNS1_3repE0EEENS1_30default_config_static_selectorELNS0_4arch9wavefront6targetE0EEEvT1_.kd
    .uniform_work_group_size: 1
    .uses_dynamic_stack: false
    .vgpr_count:     0
    .vgpr_spill_count: 0
    .wavefront_size: 32
  - .args:
      - .offset:         0
        .size:           144
        .value_kind:     by_value
    .group_segment_fixed_size: 0
    .kernarg_segment_align: 8
    .kernarg_segment_size: 144
    .language:       OpenCL C
    .language_version:
      - 2
      - 0
    .max_flat_workgroup_size: 64
    .name:           _ZN7rocprim17ROCPRIM_400000_NS6detail17trampoline_kernelINS0_14default_configENS1_27scan_by_key_config_selectorIj11FixedVectorIiLj4EEEEZZNS1_16scan_by_key_implILNS1_25lookback_scan_determinismE0ELb0ES3_N6thrust23THRUST_200600_302600_NS6detail15normal_iteratorINSB_10device_ptrIjEEEENSD_INSE_IS6_EEEESI_S6_NSB_4plusIvEENSB_8equal_toIvEES6_EE10hipError_tPvRmT2_T3_T4_T5_mT6_T7_P12ihipStream_tbENKUlT_T0_E_clISt17integral_constantIbLb0EES12_IbLb1EEEEDaSY_SZ_EUlSY_E_NS1_11comp_targetILNS1_3genE3ELNS1_11target_archE908ELNS1_3gpuE7ELNS1_3repE0EEENS1_30default_config_static_selectorELNS0_4arch9wavefront6targetE0EEEvT1_
    .private_segment_fixed_size: 0
    .sgpr_count:     0
    .sgpr_spill_count: 0
    .symbol:         _ZN7rocprim17ROCPRIM_400000_NS6detail17trampoline_kernelINS0_14default_configENS1_27scan_by_key_config_selectorIj11FixedVectorIiLj4EEEEZZNS1_16scan_by_key_implILNS1_25lookback_scan_determinismE0ELb0ES3_N6thrust23THRUST_200600_302600_NS6detail15normal_iteratorINSB_10device_ptrIjEEEENSD_INSE_IS6_EEEESI_S6_NSB_4plusIvEENSB_8equal_toIvEES6_EE10hipError_tPvRmT2_T3_T4_T5_mT6_T7_P12ihipStream_tbENKUlT_T0_E_clISt17integral_constantIbLb0EES12_IbLb1EEEEDaSY_SZ_EUlSY_E_NS1_11comp_targetILNS1_3genE3ELNS1_11target_archE908ELNS1_3gpuE7ELNS1_3repE0EEENS1_30default_config_static_selectorELNS0_4arch9wavefront6targetE0EEEvT1_.kd
    .uniform_work_group_size: 1
    .uses_dynamic_stack: false
    .vgpr_count:     0
    .vgpr_spill_count: 0
    .wavefront_size: 32
  - .args:
      - .offset:         0
        .size:           144
        .value_kind:     by_value
    .group_segment_fixed_size: 0
    .kernarg_segment_align: 8
    .kernarg_segment_size: 144
    .language:       OpenCL C
    .language_version:
      - 2
      - 0
    .max_flat_workgroup_size: 256
    .name:           _ZN7rocprim17ROCPRIM_400000_NS6detail17trampoline_kernelINS0_14default_configENS1_27scan_by_key_config_selectorIj11FixedVectorIiLj4EEEEZZNS1_16scan_by_key_implILNS1_25lookback_scan_determinismE0ELb0ES3_N6thrust23THRUST_200600_302600_NS6detail15normal_iteratorINSB_10device_ptrIjEEEENSD_INSE_IS6_EEEESI_S6_NSB_4plusIvEENSB_8equal_toIvEES6_EE10hipError_tPvRmT2_T3_T4_T5_mT6_T7_P12ihipStream_tbENKUlT_T0_E_clISt17integral_constantIbLb0EES12_IbLb1EEEEDaSY_SZ_EUlSY_E_NS1_11comp_targetILNS1_3genE2ELNS1_11target_archE906ELNS1_3gpuE6ELNS1_3repE0EEENS1_30default_config_static_selectorELNS0_4arch9wavefront6targetE0EEEvT1_
    .private_segment_fixed_size: 0
    .sgpr_count:     0
    .sgpr_spill_count: 0
    .symbol:         _ZN7rocprim17ROCPRIM_400000_NS6detail17trampoline_kernelINS0_14default_configENS1_27scan_by_key_config_selectorIj11FixedVectorIiLj4EEEEZZNS1_16scan_by_key_implILNS1_25lookback_scan_determinismE0ELb0ES3_N6thrust23THRUST_200600_302600_NS6detail15normal_iteratorINSB_10device_ptrIjEEEENSD_INSE_IS6_EEEESI_S6_NSB_4plusIvEENSB_8equal_toIvEES6_EE10hipError_tPvRmT2_T3_T4_T5_mT6_T7_P12ihipStream_tbENKUlT_T0_E_clISt17integral_constantIbLb0EES12_IbLb1EEEEDaSY_SZ_EUlSY_E_NS1_11comp_targetILNS1_3genE2ELNS1_11target_archE906ELNS1_3gpuE6ELNS1_3repE0EEENS1_30default_config_static_selectorELNS0_4arch9wavefront6targetE0EEEvT1_.kd
    .uniform_work_group_size: 1
    .uses_dynamic_stack: false
    .vgpr_count:     0
    .vgpr_spill_count: 0
    .wavefront_size: 32
  - .args:
      - .offset:         0
        .size:           144
        .value_kind:     by_value
    .group_segment_fixed_size: 0
    .kernarg_segment_align: 8
    .kernarg_segment_size: 144
    .language:       OpenCL C
    .language_version:
      - 2
      - 0
    .max_flat_workgroup_size: 256
    .name:           _ZN7rocprim17ROCPRIM_400000_NS6detail17trampoline_kernelINS0_14default_configENS1_27scan_by_key_config_selectorIj11FixedVectorIiLj4EEEEZZNS1_16scan_by_key_implILNS1_25lookback_scan_determinismE0ELb0ES3_N6thrust23THRUST_200600_302600_NS6detail15normal_iteratorINSB_10device_ptrIjEEEENSD_INSE_IS6_EEEESI_S6_NSB_4plusIvEENSB_8equal_toIvEES6_EE10hipError_tPvRmT2_T3_T4_T5_mT6_T7_P12ihipStream_tbENKUlT_T0_E_clISt17integral_constantIbLb0EES12_IbLb1EEEEDaSY_SZ_EUlSY_E_NS1_11comp_targetILNS1_3genE10ELNS1_11target_archE1200ELNS1_3gpuE4ELNS1_3repE0EEENS1_30default_config_static_selectorELNS0_4arch9wavefront6targetE0EEEvT1_
    .private_segment_fixed_size: 0
    .sgpr_count:     0
    .sgpr_spill_count: 0
    .symbol:         _ZN7rocprim17ROCPRIM_400000_NS6detail17trampoline_kernelINS0_14default_configENS1_27scan_by_key_config_selectorIj11FixedVectorIiLj4EEEEZZNS1_16scan_by_key_implILNS1_25lookback_scan_determinismE0ELb0ES3_N6thrust23THRUST_200600_302600_NS6detail15normal_iteratorINSB_10device_ptrIjEEEENSD_INSE_IS6_EEEESI_S6_NSB_4plusIvEENSB_8equal_toIvEES6_EE10hipError_tPvRmT2_T3_T4_T5_mT6_T7_P12ihipStream_tbENKUlT_T0_E_clISt17integral_constantIbLb0EES12_IbLb1EEEEDaSY_SZ_EUlSY_E_NS1_11comp_targetILNS1_3genE10ELNS1_11target_archE1200ELNS1_3gpuE4ELNS1_3repE0EEENS1_30default_config_static_selectorELNS0_4arch9wavefront6targetE0EEEvT1_.kd
    .uniform_work_group_size: 1
    .uses_dynamic_stack: false
    .vgpr_count:     0
    .vgpr_spill_count: 0
    .wavefront_size: 32
  - .args:
      - .offset:         0
        .size:           144
        .value_kind:     by_value
    .group_segment_fixed_size: 0
    .kernarg_segment_align: 8
    .kernarg_segment_size: 144
    .language:       OpenCL C
    .language_version:
      - 2
      - 0
    .max_flat_workgroup_size: 256
    .name:           _ZN7rocprim17ROCPRIM_400000_NS6detail17trampoline_kernelINS0_14default_configENS1_27scan_by_key_config_selectorIj11FixedVectorIiLj4EEEEZZNS1_16scan_by_key_implILNS1_25lookback_scan_determinismE0ELb0ES3_N6thrust23THRUST_200600_302600_NS6detail15normal_iteratorINSB_10device_ptrIjEEEENSD_INSE_IS6_EEEESI_S6_NSB_4plusIvEENSB_8equal_toIvEES6_EE10hipError_tPvRmT2_T3_T4_T5_mT6_T7_P12ihipStream_tbENKUlT_T0_E_clISt17integral_constantIbLb0EES12_IbLb1EEEEDaSY_SZ_EUlSY_E_NS1_11comp_targetILNS1_3genE9ELNS1_11target_archE1100ELNS1_3gpuE3ELNS1_3repE0EEENS1_30default_config_static_selectorELNS0_4arch9wavefront6targetE0EEEvT1_
    .private_segment_fixed_size: 0
    .sgpr_count:     0
    .sgpr_spill_count: 0
    .symbol:         _ZN7rocprim17ROCPRIM_400000_NS6detail17trampoline_kernelINS0_14default_configENS1_27scan_by_key_config_selectorIj11FixedVectorIiLj4EEEEZZNS1_16scan_by_key_implILNS1_25lookback_scan_determinismE0ELb0ES3_N6thrust23THRUST_200600_302600_NS6detail15normal_iteratorINSB_10device_ptrIjEEEENSD_INSE_IS6_EEEESI_S6_NSB_4plusIvEENSB_8equal_toIvEES6_EE10hipError_tPvRmT2_T3_T4_T5_mT6_T7_P12ihipStream_tbENKUlT_T0_E_clISt17integral_constantIbLb0EES12_IbLb1EEEEDaSY_SZ_EUlSY_E_NS1_11comp_targetILNS1_3genE9ELNS1_11target_archE1100ELNS1_3gpuE3ELNS1_3repE0EEENS1_30default_config_static_selectorELNS0_4arch9wavefront6targetE0EEEvT1_.kd
    .uniform_work_group_size: 1
    .uses_dynamic_stack: false
    .vgpr_count:     0
    .vgpr_spill_count: 0
    .wavefront_size: 32
  - .args:
      - .offset:         0
        .size:           144
        .value_kind:     by_value
    .group_segment_fixed_size: 0
    .kernarg_segment_align: 8
    .kernarg_segment_size: 144
    .language:       OpenCL C
    .language_version:
      - 2
      - 0
    .max_flat_workgroup_size: 256
    .name:           _ZN7rocprim17ROCPRIM_400000_NS6detail17trampoline_kernelINS0_14default_configENS1_27scan_by_key_config_selectorIj11FixedVectorIiLj4EEEEZZNS1_16scan_by_key_implILNS1_25lookback_scan_determinismE0ELb0ES3_N6thrust23THRUST_200600_302600_NS6detail15normal_iteratorINSB_10device_ptrIjEEEENSD_INSE_IS6_EEEESI_S6_NSB_4plusIvEENSB_8equal_toIvEES6_EE10hipError_tPvRmT2_T3_T4_T5_mT6_T7_P12ihipStream_tbENKUlT_T0_E_clISt17integral_constantIbLb0EES12_IbLb1EEEEDaSY_SZ_EUlSY_E_NS1_11comp_targetILNS1_3genE8ELNS1_11target_archE1030ELNS1_3gpuE2ELNS1_3repE0EEENS1_30default_config_static_selectorELNS0_4arch9wavefront6targetE0EEEvT1_
    .private_segment_fixed_size: 0
    .sgpr_count:     0
    .sgpr_spill_count: 0
    .symbol:         _ZN7rocprim17ROCPRIM_400000_NS6detail17trampoline_kernelINS0_14default_configENS1_27scan_by_key_config_selectorIj11FixedVectorIiLj4EEEEZZNS1_16scan_by_key_implILNS1_25lookback_scan_determinismE0ELb0ES3_N6thrust23THRUST_200600_302600_NS6detail15normal_iteratorINSB_10device_ptrIjEEEENSD_INSE_IS6_EEEESI_S6_NSB_4plusIvEENSB_8equal_toIvEES6_EE10hipError_tPvRmT2_T3_T4_T5_mT6_T7_P12ihipStream_tbENKUlT_T0_E_clISt17integral_constantIbLb0EES12_IbLb1EEEEDaSY_SZ_EUlSY_E_NS1_11comp_targetILNS1_3genE8ELNS1_11target_archE1030ELNS1_3gpuE2ELNS1_3repE0EEENS1_30default_config_static_selectorELNS0_4arch9wavefront6targetE0EEEvT1_.kd
    .uniform_work_group_size: 1
    .uses_dynamic_stack: false
    .vgpr_count:     0
    .vgpr_spill_count: 0
    .wavefront_size: 32
  - .args:
      - .offset:         0
        .size:           144
        .value_kind:     by_value
    .group_segment_fixed_size: 20480
    .kernarg_segment_align: 8
    .kernarg_segment_size: 144
    .language:       OpenCL C
    .language_version:
      - 2
      - 0
    .max_flat_workgroup_size: 64
    .name:           _ZN7rocprim17ROCPRIM_400000_NS6detail17trampoline_kernelINS0_14default_configENS1_27scan_by_key_config_selectorIj11FixedVectorIiLj4EEEEZZNS1_16scan_by_key_implILNS1_25lookback_scan_determinismE0ELb1ES3_N6thrust23THRUST_200600_302600_NS6detail15normal_iteratorINSB_10device_ptrIjEEEENSD_INSE_IS6_EEEESI_S6_NSB_4plusIvEENSB_8equal_toIvEES6_EE10hipError_tPvRmT2_T3_T4_T5_mT6_T7_P12ihipStream_tbENKUlT_T0_E_clISt17integral_constantIbLb0EES13_EEDaSY_SZ_EUlSY_E_NS1_11comp_targetILNS1_3genE0ELNS1_11target_archE4294967295ELNS1_3gpuE0ELNS1_3repE0EEENS1_30default_config_static_selectorELNS0_4arch9wavefront6targetE0EEEvT1_
    .private_segment_fixed_size: 464
    .sgpr_count:     62
    .sgpr_spill_count: 0
    .symbol:         _ZN7rocprim17ROCPRIM_400000_NS6detail17trampoline_kernelINS0_14default_configENS1_27scan_by_key_config_selectorIj11FixedVectorIiLj4EEEEZZNS1_16scan_by_key_implILNS1_25lookback_scan_determinismE0ELb1ES3_N6thrust23THRUST_200600_302600_NS6detail15normal_iteratorINSB_10device_ptrIjEEEENSD_INSE_IS6_EEEESI_S6_NSB_4plusIvEENSB_8equal_toIvEES6_EE10hipError_tPvRmT2_T3_T4_T5_mT6_T7_P12ihipStream_tbENKUlT_T0_E_clISt17integral_constantIbLb0EES13_EEDaSY_SZ_EUlSY_E_NS1_11comp_targetILNS1_3genE0ELNS1_11target_archE4294967295ELNS1_3gpuE0ELNS1_3repE0EEENS1_30default_config_static_selectorELNS0_4arch9wavefront6targetE0EEEvT1_.kd
    .uniform_work_group_size: 1
    .uses_dynamic_stack: false
    .vgpr_count:     65
    .vgpr_spill_count: 0
    .wavefront_size: 32
  - .args:
      - .offset:         0
        .size:           144
        .value_kind:     by_value
    .group_segment_fixed_size: 0
    .kernarg_segment_align: 8
    .kernarg_segment_size: 144
    .language:       OpenCL C
    .language_version:
      - 2
      - 0
    .max_flat_workgroup_size: 256
    .name:           _ZN7rocprim17ROCPRIM_400000_NS6detail17trampoline_kernelINS0_14default_configENS1_27scan_by_key_config_selectorIj11FixedVectorIiLj4EEEEZZNS1_16scan_by_key_implILNS1_25lookback_scan_determinismE0ELb1ES3_N6thrust23THRUST_200600_302600_NS6detail15normal_iteratorINSB_10device_ptrIjEEEENSD_INSE_IS6_EEEESI_S6_NSB_4plusIvEENSB_8equal_toIvEES6_EE10hipError_tPvRmT2_T3_T4_T5_mT6_T7_P12ihipStream_tbENKUlT_T0_E_clISt17integral_constantIbLb0EES13_EEDaSY_SZ_EUlSY_E_NS1_11comp_targetILNS1_3genE10ELNS1_11target_archE1201ELNS1_3gpuE5ELNS1_3repE0EEENS1_30default_config_static_selectorELNS0_4arch9wavefront6targetE0EEEvT1_
    .private_segment_fixed_size: 0
    .sgpr_count:     0
    .sgpr_spill_count: 0
    .symbol:         _ZN7rocprim17ROCPRIM_400000_NS6detail17trampoline_kernelINS0_14default_configENS1_27scan_by_key_config_selectorIj11FixedVectorIiLj4EEEEZZNS1_16scan_by_key_implILNS1_25lookback_scan_determinismE0ELb1ES3_N6thrust23THRUST_200600_302600_NS6detail15normal_iteratorINSB_10device_ptrIjEEEENSD_INSE_IS6_EEEESI_S6_NSB_4plusIvEENSB_8equal_toIvEES6_EE10hipError_tPvRmT2_T3_T4_T5_mT6_T7_P12ihipStream_tbENKUlT_T0_E_clISt17integral_constantIbLb0EES13_EEDaSY_SZ_EUlSY_E_NS1_11comp_targetILNS1_3genE10ELNS1_11target_archE1201ELNS1_3gpuE5ELNS1_3repE0EEENS1_30default_config_static_selectorELNS0_4arch9wavefront6targetE0EEEvT1_.kd
    .uniform_work_group_size: 1
    .uses_dynamic_stack: false
    .vgpr_count:     0
    .vgpr_spill_count: 0
    .wavefront_size: 32
  - .args:
      - .offset:         0
        .size:           144
        .value_kind:     by_value
    .group_segment_fixed_size: 0
    .kernarg_segment_align: 8
    .kernarg_segment_size: 144
    .language:       OpenCL C
    .language_version:
      - 2
      - 0
    .max_flat_workgroup_size: 128
    .name:           _ZN7rocprim17ROCPRIM_400000_NS6detail17trampoline_kernelINS0_14default_configENS1_27scan_by_key_config_selectorIj11FixedVectorIiLj4EEEEZZNS1_16scan_by_key_implILNS1_25lookback_scan_determinismE0ELb1ES3_N6thrust23THRUST_200600_302600_NS6detail15normal_iteratorINSB_10device_ptrIjEEEENSD_INSE_IS6_EEEESI_S6_NSB_4plusIvEENSB_8equal_toIvEES6_EE10hipError_tPvRmT2_T3_T4_T5_mT6_T7_P12ihipStream_tbENKUlT_T0_E_clISt17integral_constantIbLb0EES13_EEDaSY_SZ_EUlSY_E_NS1_11comp_targetILNS1_3genE5ELNS1_11target_archE942ELNS1_3gpuE9ELNS1_3repE0EEENS1_30default_config_static_selectorELNS0_4arch9wavefront6targetE0EEEvT1_
    .private_segment_fixed_size: 0
    .sgpr_count:     0
    .sgpr_spill_count: 0
    .symbol:         _ZN7rocprim17ROCPRIM_400000_NS6detail17trampoline_kernelINS0_14default_configENS1_27scan_by_key_config_selectorIj11FixedVectorIiLj4EEEEZZNS1_16scan_by_key_implILNS1_25lookback_scan_determinismE0ELb1ES3_N6thrust23THRUST_200600_302600_NS6detail15normal_iteratorINSB_10device_ptrIjEEEENSD_INSE_IS6_EEEESI_S6_NSB_4plusIvEENSB_8equal_toIvEES6_EE10hipError_tPvRmT2_T3_T4_T5_mT6_T7_P12ihipStream_tbENKUlT_T0_E_clISt17integral_constantIbLb0EES13_EEDaSY_SZ_EUlSY_E_NS1_11comp_targetILNS1_3genE5ELNS1_11target_archE942ELNS1_3gpuE9ELNS1_3repE0EEENS1_30default_config_static_selectorELNS0_4arch9wavefront6targetE0EEEvT1_.kd
    .uniform_work_group_size: 1
    .uses_dynamic_stack: false
    .vgpr_count:     0
    .vgpr_spill_count: 0
    .wavefront_size: 32
  - .args:
      - .offset:         0
        .size:           144
        .value_kind:     by_value
    .group_segment_fixed_size: 0
    .kernarg_segment_align: 8
    .kernarg_segment_size: 144
    .language:       OpenCL C
    .language_version:
      - 2
      - 0
    .max_flat_workgroup_size: 256
    .name:           _ZN7rocprim17ROCPRIM_400000_NS6detail17trampoline_kernelINS0_14default_configENS1_27scan_by_key_config_selectorIj11FixedVectorIiLj4EEEEZZNS1_16scan_by_key_implILNS1_25lookback_scan_determinismE0ELb1ES3_N6thrust23THRUST_200600_302600_NS6detail15normal_iteratorINSB_10device_ptrIjEEEENSD_INSE_IS6_EEEESI_S6_NSB_4plusIvEENSB_8equal_toIvEES6_EE10hipError_tPvRmT2_T3_T4_T5_mT6_T7_P12ihipStream_tbENKUlT_T0_E_clISt17integral_constantIbLb0EES13_EEDaSY_SZ_EUlSY_E_NS1_11comp_targetILNS1_3genE4ELNS1_11target_archE910ELNS1_3gpuE8ELNS1_3repE0EEENS1_30default_config_static_selectorELNS0_4arch9wavefront6targetE0EEEvT1_
    .private_segment_fixed_size: 0
    .sgpr_count:     0
    .sgpr_spill_count: 0
    .symbol:         _ZN7rocprim17ROCPRIM_400000_NS6detail17trampoline_kernelINS0_14default_configENS1_27scan_by_key_config_selectorIj11FixedVectorIiLj4EEEEZZNS1_16scan_by_key_implILNS1_25lookback_scan_determinismE0ELb1ES3_N6thrust23THRUST_200600_302600_NS6detail15normal_iteratorINSB_10device_ptrIjEEEENSD_INSE_IS6_EEEESI_S6_NSB_4plusIvEENSB_8equal_toIvEES6_EE10hipError_tPvRmT2_T3_T4_T5_mT6_T7_P12ihipStream_tbENKUlT_T0_E_clISt17integral_constantIbLb0EES13_EEDaSY_SZ_EUlSY_E_NS1_11comp_targetILNS1_3genE4ELNS1_11target_archE910ELNS1_3gpuE8ELNS1_3repE0EEENS1_30default_config_static_selectorELNS0_4arch9wavefront6targetE0EEEvT1_.kd
    .uniform_work_group_size: 1
    .uses_dynamic_stack: false
    .vgpr_count:     0
    .vgpr_spill_count: 0
    .wavefront_size: 32
  - .args:
      - .offset:         0
        .size:           144
        .value_kind:     by_value
    .group_segment_fixed_size: 0
    .kernarg_segment_align: 8
    .kernarg_segment_size: 144
    .language:       OpenCL C
    .language_version:
      - 2
      - 0
    .max_flat_workgroup_size: 64
    .name:           _ZN7rocprim17ROCPRIM_400000_NS6detail17trampoline_kernelINS0_14default_configENS1_27scan_by_key_config_selectorIj11FixedVectorIiLj4EEEEZZNS1_16scan_by_key_implILNS1_25lookback_scan_determinismE0ELb1ES3_N6thrust23THRUST_200600_302600_NS6detail15normal_iteratorINSB_10device_ptrIjEEEENSD_INSE_IS6_EEEESI_S6_NSB_4plusIvEENSB_8equal_toIvEES6_EE10hipError_tPvRmT2_T3_T4_T5_mT6_T7_P12ihipStream_tbENKUlT_T0_E_clISt17integral_constantIbLb0EES13_EEDaSY_SZ_EUlSY_E_NS1_11comp_targetILNS1_3genE3ELNS1_11target_archE908ELNS1_3gpuE7ELNS1_3repE0EEENS1_30default_config_static_selectorELNS0_4arch9wavefront6targetE0EEEvT1_
    .private_segment_fixed_size: 0
    .sgpr_count:     0
    .sgpr_spill_count: 0
    .symbol:         _ZN7rocprim17ROCPRIM_400000_NS6detail17trampoline_kernelINS0_14default_configENS1_27scan_by_key_config_selectorIj11FixedVectorIiLj4EEEEZZNS1_16scan_by_key_implILNS1_25lookback_scan_determinismE0ELb1ES3_N6thrust23THRUST_200600_302600_NS6detail15normal_iteratorINSB_10device_ptrIjEEEENSD_INSE_IS6_EEEESI_S6_NSB_4plusIvEENSB_8equal_toIvEES6_EE10hipError_tPvRmT2_T3_T4_T5_mT6_T7_P12ihipStream_tbENKUlT_T0_E_clISt17integral_constantIbLb0EES13_EEDaSY_SZ_EUlSY_E_NS1_11comp_targetILNS1_3genE3ELNS1_11target_archE908ELNS1_3gpuE7ELNS1_3repE0EEENS1_30default_config_static_selectorELNS0_4arch9wavefront6targetE0EEEvT1_.kd
    .uniform_work_group_size: 1
    .uses_dynamic_stack: false
    .vgpr_count:     0
    .vgpr_spill_count: 0
    .wavefront_size: 32
  - .args:
      - .offset:         0
        .size:           144
        .value_kind:     by_value
    .group_segment_fixed_size: 0
    .kernarg_segment_align: 8
    .kernarg_segment_size: 144
    .language:       OpenCL C
    .language_version:
      - 2
      - 0
    .max_flat_workgroup_size: 256
    .name:           _ZN7rocprim17ROCPRIM_400000_NS6detail17trampoline_kernelINS0_14default_configENS1_27scan_by_key_config_selectorIj11FixedVectorIiLj4EEEEZZNS1_16scan_by_key_implILNS1_25lookback_scan_determinismE0ELb1ES3_N6thrust23THRUST_200600_302600_NS6detail15normal_iteratorINSB_10device_ptrIjEEEENSD_INSE_IS6_EEEESI_S6_NSB_4plusIvEENSB_8equal_toIvEES6_EE10hipError_tPvRmT2_T3_T4_T5_mT6_T7_P12ihipStream_tbENKUlT_T0_E_clISt17integral_constantIbLb0EES13_EEDaSY_SZ_EUlSY_E_NS1_11comp_targetILNS1_3genE2ELNS1_11target_archE906ELNS1_3gpuE6ELNS1_3repE0EEENS1_30default_config_static_selectorELNS0_4arch9wavefront6targetE0EEEvT1_
    .private_segment_fixed_size: 0
    .sgpr_count:     0
    .sgpr_spill_count: 0
    .symbol:         _ZN7rocprim17ROCPRIM_400000_NS6detail17trampoline_kernelINS0_14default_configENS1_27scan_by_key_config_selectorIj11FixedVectorIiLj4EEEEZZNS1_16scan_by_key_implILNS1_25lookback_scan_determinismE0ELb1ES3_N6thrust23THRUST_200600_302600_NS6detail15normal_iteratorINSB_10device_ptrIjEEEENSD_INSE_IS6_EEEESI_S6_NSB_4plusIvEENSB_8equal_toIvEES6_EE10hipError_tPvRmT2_T3_T4_T5_mT6_T7_P12ihipStream_tbENKUlT_T0_E_clISt17integral_constantIbLb0EES13_EEDaSY_SZ_EUlSY_E_NS1_11comp_targetILNS1_3genE2ELNS1_11target_archE906ELNS1_3gpuE6ELNS1_3repE0EEENS1_30default_config_static_selectorELNS0_4arch9wavefront6targetE0EEEvT1_.kd
    .uniform_work_group_size: 1
    .uses_dynamic_stack: false
    .vgpr_count:     0
    .vgpr_spill_count: 0
    .wavefront_size: 32
  - .args:
      - .offset:         0
        .size:           144
        .value_kind:     by_value
    .group_segment_fixed_size: 0
    .kernarg_segment_align: 8
    .kernarg_segment_size: 144
    .language:       OpenCL C
    .language_version:
      - 2
      - 0
    .max_flat_workgroup_size: 256
    .name:           _ZN7rocprim17ROCPRIM_400000_NS6detail17trampoline_kernelINS0_14default_configENS1_27scan_by_key_config_selectorIj11FixedVectorIiLj4EEEEZZNS1_16scan_by_key_implILNS1_25lookback_scan_determinismE0ELb1ES3_N6thrust23THRUST_200600_302600_NS6detail15normal_iteratorINSB_10device_ptrIjEEEENSD_INSE_IS6_EEEESI_S6_NSB_4plusIvEENSB_8equal_toIvEES6_EE10hipError_tPvRmT2_T3_T4_T5_mT6_T7_P12ihipStream_tbENKUlT_T0_E_clISt17integral_constantIbLb0EES13_EEDaSY_SZ_EUlSY_E_NS1_11comp_targetILNS1_3genE10ELNS1_11target_archE1200ELNS1_3gpuE4ELNS1_3repE0EEENS1_30default_config_static_selectorELNS0_4arch9wavefront6targetE0EEEvT1_
    .private_segment_fixed_size: 0
    .sgpr_count:     0
    .sgpr_spill_count: 0
    .symbol:         _ZN7rocprim17ROCPRIM_400000_NS6detail17trampoline_kernelINS0_14default_configENS1_27scan_by_key_config_selectorIj11FixedVectorIiLj4EEEEZZNS1_16scan_by_key_implILNS1_25lookback_scan_determinismE0ELb1ES3_N6thrust23THRUST_200600_302600_NS6detail15normal_iteratorINSB_10device_ptrIjEEEENSD_INSE_IS6_EEEESI_S6_NSB_4plusIvEENSB_8equal_toIvEES6_EE10hipError_tPvRmT2_T3_T4_T5_mT6_T7_P12ihipStream_tbENKUlT_T0_E_clISt17integral_constantIbLb0EES13_EEDaSY_SZ_EUlSY_E_NS1_11comp_targetILNS1_3genE10ELNS1_11target_archE1200ELNS1_3gpuE4ELNS1_3repE0EEENS1_30default_config_static_selectorELNS0_4arch9wavefront6targetE0EEEvT1_.kd
    .uniform_work_group_size: 1
    .uses_dynamic_stack: false
    .vgpr_count:     0
    .vgpr_spill_count: 0
    .wavefront_size: 32
  - .args:
      - .offset:         0
        .size:           144
        .value_kind:     by_value
    .group_segment_fixed_size: 0
    .kernarg_segment_align: 8
    .kernarg_segment_size: 144
    .language:       OpenCL C
    .language_version:
      - 2
      - 0
    .max_flat_workgroup_size: 256
    .name:           _ZN7rocprim17ROCPRIM_400000_NS6detail17trampoline_kernelINS0_14default_configENS1_27scan_by_key_config_selectorIj11FixedVectorIiLj4EEEEZZNS1_16scan_by_key_implILNS1_25lookback_scan_determinismE0ELb1ES3_N6thrust23THRUST_200600_302600_NS6detail15normal_iteratorINSB_10device_ptrIjEEEENSD_INSE_IS6_EEEESI_S6_NSB_4plusIvEENSB_8equal_toIvEES6_EE10hipError_tPvRmT2_T3_T4_T5_mT6_T7_P12ihipStream_tbENKUlT_T0_E_clISt17integral_constantIbLb0EES13_EEDaSY_SZ_EUlSY_E_NS1_11comp_targetILNS1_3genE9ELNS1_11target_archE1100ELNS1_3gpuE3ELNS1_3repE0EEENS1_30default_config_static_selectorELNS0_4arch9wavefront6targetE0EEEvT1_
    .private_segment_fixed_size: 0
    .sgpr_count:     0
    .sgpr_spill_count: 0
    .symbol:         _ZN7rocprim17ROCPRIM_400000_NS6detail17trampoline_kernelINS0_14default_configENS1_27scan_by_key_config_selectorIj11FixedVectorIiLj4EEEEZZNS1_16scan_by_key_implILNS1_25lookback_scan_determinismE0ELb1ES3_N6thrust23THRUST_200600_302600_NS6detail15normal_iteratorINSB_10device_ptrIjEEEENSD_INSE_IS6_EEEESI_S6_NSB_4plusIvEENSB_8equal_toIvEES6_EE10hipError_tPvRmT2_T3_T4_T5_mT6_T7_P12ihipStream_tbENKUlT_T0_E_clISt17integral_constantIbLb0EES13_EEDaSY_SZ_EUlSY_E_NS1_11comp_targetILNS1_3genE9ELNS1_11target_archE1100ELNS1_3gpuE3ELNS1_3repE0EEENS1_30default_config_static_selectorELNS0_4arch9wavefront6targetE0EEEvT1_.kd
    .uniform_work_group_size: 1
    .uses_dynamic_stack: false
    .vgpr_count:     0
    .vgpr_spill_count: 0
    .wavefront_size: 32
  - .args:
      - .offset:         0
        .size:           144
        .value_kind:     by_value
    .group_segment_fixed_size: 0
    .kernarg_segment_align: 8
    .kernarg_segment_size: 144
    .language:       OpenCL C
    .language_version:
      - 2
      - 0
    .max_flat_workgroup_size: 256
    .name:           _ZN7rocprim17ROCPRIM_400000_NS6detail17trampoline_kernelINS0_14default_configENS1_27scan_by_key_config_selectorIj11FixedVectorIiLj4EEEEZZNS1_16scan_by_key_implILNS1_25lookback_scan_determinismE0ELb1ES3_N6thrust23THRUST_200600_302600_NS6detail15normal_iteratorINSB_10device_ptrIjEEEENSD_INSE_IS6_EEEESI_S6_NSB_4plusIvEENSB_8equal_toIvEES6_EE10hipError_tPvRmT2_T3_T4_T5_mT6_T7_P12ihipStream_tbENKUlT_T0_E_clISt17integral_constantIbLb0EES13_EEDaSY_SZ_EUlSY_E_NS1_11comp_targetILNS1_3genE8ELNS1_11target_archE1030ELNS1_3gpuE2ELNS1_3repE0EEENS1_30default_config_static_selectorELNS0_4arch9wavefront6targetE0EEEvT1_
    .private_segment_fixed_size: 0
    .sgpr_count:     0
    .sgpr_spill_count: 0
    .symbol:         _ZN7rocprim17ROCPRIM_400000_NS6detail17trampoline_kernelINS0_14default_configENS1_27scan_by_key_config_selectorIj11FixedVectorIiLj4EEEEZZNS1_16scan_by_key_implILNS1_25lookback_scan_determinismE0ELb1ES3_N6thrust23THRUST_200600_302600_NS6detail15normal_iteratorINSB_10device_ptrIjEEEENSD_INSE_IS6_EEEESI_S6_NSB_4plusIvEENSB_8equal_toIvEES6_EE10hipError_tPvRmT2_T3_T4_T5_mT6_T7_P12ihipStream_tbENKUlT_T0_E_clISt17integral_constantIbLb0EES13_EEDaSY_SZ_EUlSY_E_NS1_11comp_targetILNS1_3genE8ELNS1_11target_archE1030ELNS1_3gpuE2ELNS1_3repE0EEENS1_30default_config_static_selectorELNS0_4arch9wavefront6targetE0EEEvT1_.kd
    .uniform_work_group_size: 1
    .uses_dynamic_stack: false
    .vgpr_count:     0
    .vgpr_spill_count: 0
    .wavefront_size: 32
  - .args:
      - .offset:         0
        .size:           144
        .value_kind:     by_value
    .group_segment_fixed_size: 0
    .kernarg_segment_align: 8
    .kernarg_segment_size: 144
    .language:       OpenCL C
    .language_version:
      - 2
      - 0
    .max_flat_workgroup_size: 64
    .name:           _ZN7rocprim17ROCPRIM_400000_NS6detail17trampoline_kernelINS0_14default_configENS1_27scan_by_key_config_selectorIj11FixedVectorIiLj4EEEEZZNS1_16scan_by_key_implILNS1_25lookback_scan_determinismE0ELb1ES3_N6thrust23THRUST_200600_302600_NS6detail15normal_iteratorINSB_10device_ptrIjEEEENSD_INSE_IS6_EEEESI_S6_NSB_4plusIvEENSB_8equal_toIvEES6_EE10hipError_tPvRmT2_T3_T4_T5_mT6_T7_P12ihipStream_tbENKUlT_T0_E_clISt17integral_constantIbLb1EES13_EEDaSY_SZ_EUlSY_E_NS1_11comp_targetILNS1_3genE0ELNS1_11target_archE4294967295ELNS1_3gpuE0ELNS1_3repE0EEENS1_30default_config_static_selectorELNS0_4arch9wavefront6targetE0EEEvT1_
    .private_segment_fixed_size: 0
    .sgpr_count:     0
    .sgpr_spill_count: 0
    .symbol:         _ZN7rocprim17ROCPRIM_400000_NS6detail17trampoline_kernelINS0_14default_configENS1_27scan_by_key_config_selectorIj11FixedVectorIiLj4EEEEZZNS1_16scan_by_key_implILNS1_25lookback_scan_determinismE0ELb1ES3_N6thrust23THRUST_200600_302600_NS6detail15normal_iteratorINSB_10device_ptrIjEEEENSD_INSE_IS6_EEEESI_S6_NSB_4plusIvEENSB_8equal_toIvEES6_EE10hipError_tPvRmT2_T3_T4_T5_mT6_T7_P12ihipStream_tbENKUlT_T0_E_clISt17integral_constantIbLb1EES13_EEDaSY_SZ_EUlSY_E_NS1_11comp_targetILNS1_3genE0ELNS1_11target_archE4294967295ELNS1_3gpuE0ELNS1_3repE0EEENS1_30default_config_static_selectorELNS0_4arch9wavefront6targetE0EEEvT1_.kd
    .uniform_work_group_size: 1
    .uses_dynamic_stack: false
    .vgpr_count:     0
    .vgpr_spill_count: 0
    .wavefront_size: 32
  - .args:
      - .offset:         0
        .size:           144
        .value_kind:     by_value
    .group_segment_fixed_size: 0
    .kernarg_segment_align: 8
    .kernarg_segment_size: 144
    .language:       OpenCL C
    .language_version:
      - 2
      - 0
    .max_flat_workgroup_size: 256
    .name:           _ZN7rocprim17ROCPRIM_400000_NS6detail17trampoline_kernelINS0_14default_configENS1_27scan_by_key_config_selectorIj11FixedVectorIiLj4EEEEZZNS1_16scan_by_key_implILNS1_25lookback_scan_determinismE0ELb1ES3_N6thrust23THRUST_200600_302600_NS6detail15normal_iteratorINSB_10device_ptrIjEEEENSD_INSE_IS6_EEEESI_S6_NSB_4plusIvEENSB_8equal_toIvEES6_EE10hipError_tPvRmT2_T3_T4_T5_mT6_T7_P12ihipStream_tbENKUlT_T0_E_clISt17integral_constantIbLb1EES13_EEDaSY_SZ_EUlSY_E_NS1_11comp_targetILNS1_3genE10ELNS1_11target_archE1201ELNS1_3gpuE5ELNS1_3repE0EEENS1_30default_config_static_selectorELNS0_4arch9wavefront6targetE0EEEvT1_
    .private_segment_fixed_size: 0
    .sgpr_count:     0
    .sgpr_spill_count: 0
    .symbol:         _ZN7rocprim17ROCPRIM_400000_NS6detail17trampoline_kernelINS0_14default_configENS1_27scan_by_key_config_selectorIj11FixedVectorIiLj4EEEEZZNS1_16scan_by_key_implILNS1_25lookback_scan_determinismE0ELb1ES3_N6thrust23THRUST_200600_302600_NS6detail15normal_iteratorINSB_10device_ptrIjEEEENSD_INSE_IS6_EEEESI_S6_NSB_4plusIvEENSB_8equal_toIvEES6_EE10hipError_tPvRmT2_T3_T4_T5_mT6_T7_P12ihipStream_tbENKUlT_T0_E_clISt17integral_constantIbLb1EES13_EEDaSY_SZ_EUlSY_E_NS1_11comp_targetILNS1_3genE10ELNS1_11target_archE1201ELNS1_3gpuE5ELNS1_3repE0EEENS1_30default_config_static_selectorELNS0_4arch9wavefront6targetE0EEEvT1_.kd
    .uniform_work_group_size: 1
    .uses_dynamic_stack: false
    .vgpr_count:     0
    .vgpr_spill_count: 0
    .wavefront_size: 32
  - .args:
      - .offset:         0
        .size:           144
        .value_kind:     by_value
    .group_segment_fixed_size: 0
    .kernarg_segment_align: 8
    .kernarg_segment_size: 144
    .language:       OpenCL C
    .language_version:
      - 2
      - 0
    .max_flat_workgroup_size: 128
    .name:           _ZN7rocprim17ROCPRIM_400000_NS6detail17trampoline_kernelINS0_14default_configENS1_27scan_by_key_config_selectorIj11FixedVectorIiLj4EEEEZZNS1_16scan_by_key_implILNS1_25lookback_scan_determinismE0ELb1ES3_N6thrust23THRUST_200600_302600_NS6detail15normal_iteratorINSB_10device_ptrIjEEEENSD_INSE_IS6_EEEESI_S6_NSB_4plusIvEENSB_8equal_toIvEES6_EE10hipError_tPvRmT2_T3_T4_T5_mT6_T7_P12ihipStream_tbENKUlT_T0_E_clISt17integral_constantIbLb1EES13_EEDaSY_SZ_EUlSY_E_NS1_11comp_targetILNS1_3genE5ELNS1_11target_archE942ELNS1_3gpuE9ELNS1_3repE0EEENS1_30default_config_static_selectorELNS0_4arch9wavefront6targetE0EEEvT1_
    .private_segment_fixed_size: 0
    .sgpr_count:     0
    .sgpr_spill_count: 0
    .symbol:         _ZN7rocprim17ROCPRIM_400000_NS6detail17trampoline_kernelINS0_14default_configENS1_27scan_by_key_config_selectorIj11FixedVectorIiLj4EEEEZZNS1_16scan_by_key_implILNS1_25lookback_scan_determinismE0ELb1ES3_N6thrust23THRUST_200600_302600_NS6detail15normal_iteratorINSB_10device_ptrIjEEEENSD_INSE_IS6_EEEESI_S6_NSB_4plusIvEENSB_8equal_toIvEES6_EE10hipError_tPvRmT2_T3_T4_T5_mT6_T7_P12ihipStream_tbENKUlT_T0_E_clISt17integral_constantIbLb1EES13_EEDaSY_SZ_EUlSY_E_NS1_11comp_targetILNS1_3genE5ELNS1_11target_archE942ELNS1_3gpuE9ELNS1_3repE0EEENS1_30default_config_static_selectorELNS0_4arch9wavefront6targetE0EEEvT1_.kd
    .uniform_work_group_size: 1
    .uses_dynamic_stack: false
    .vgpr_count:     0
    .vgpr_spill_count: 0
    .wavefront_size: 32
  - .args:
      - .offset:         0
        .size:           144
        .value_kind:     by_value
    .group_segment_fixed_size: 0
    .kernarg_segment_align: 8
    .kernarg_segment_size: 144
    .language:       OpenCL C
    .language_version:
      - 2
      - 0
    .max_flat_workgroup_size: 256
    .name:           _ZN7rocprim17ROCPRIM_400000_NS6detail17trampoline_kernelINS0_14default_configENS1_27scan_by_key_config_selectorIj11FixedVectorIiLj4EEEEZZNS1_16scan_by_key_implILNS1_25lookback_scan_determinismE0ELb1ES3_N6thrust23THRUST_200600_302600_NS6detail15normal_iteratorINSB_10device_ptrIjEEEENSD_INSE_IS6_EEEESI_S6_NSB_4plusIvEENSB_8equal_toIvEES6_EE10hipError_tPvRmT2_T3_T4_T5_mT6_T7_P12ihipStream_tbENKUlT_T0_E_clISt17integral_constantIbLb1EES13_EEDaSY_SZ_EUlSY_E_NS1_11comp_targetILNS1_3genE4ELNS1_11target_archE910ELNS1_3gpuE8ELNS1_3repE0EEENS1_30default_config_static_selectorELNS0_4arch9wavefront6targetE0EEEvT1_
    .private_segment_fixed_size: 0
    .sgpr_count:     0
    .sgpr_spill_count: 0
    .symbol:         _ZN7rocprim17ROCPRIM_400000_NS6detail17trampoline_kernelINS0_14default_configENS1_27scan_by_key_config_selectorIj11FixedVectorIiLj4EEEEZZNS1_16scan_by_key_implILNS1_25lookback_scan_determinismE0ELb1ES3_N6thrust23THRUST_200600_302600_NS6detail15normal_iteratorINSB_10device_ptrIjEEEENSD_INSE_IS6_EEEESI_S6_NSB_4plusIvEENSB_8equal_toIvEES6_EE10hipError_tPvRmT2_T3_T4_T5_mT6_T7_P12ihipStream_tbENKUlT_T0_E_clISt17integral_constantIbLb1EES13_EEDaSY_SZ_EUlSY_E_NS1_11comp_targetILNS1_3genE4ELNS1_11target_archE910ELNS1_3gpuE8ELNS1_3repE0EEENS1_30default_config_static_selectorELNS0_4arch9wavefront6targetE0EEEvT1_.kd
    .uniform_work_group_size: 1
    .uses_dynamic_stack: false
    .vgpr_count:     0
    .vgpr_spill_count: 0
    .wavefront_size: 32
  - .args:
      - .offset:         0
        .size:           144
        .value_kind:     by_value
    .group_segment_fixed_size: 0
    .kernarg_segment_align: 8
    .kernarg_segment_size: 144
    .language:       OpenCL C
    .language_version:
      - 2
      - 0
    .max_flat_workgroup_size: 64
    .name:           _ZN7rocprim17ROCPRIM_400000_NS6detail17trampoline_kernelINS0_14default_configENS1_27scan_by_key_config_selectorIj11FixedVectorIiLj4EEEEZZNS1_16scan_by_key_implILNS1_25lookback_scan_determinismE0ELb1ES3_N6thrust23THRUST_200600_302600_NS6detail15normal_iteratorINSB_10device_ptrIjEEEENSD_INSE_IS6_EEEESI_S6_NSB_4plusIvEENSB_8equal_toIvEES6_EE10hipError_tPvRmT2_T3_T4_T5_mT6_T7_P12ihipStream_tbENKUlT_T0_E_clISt17integral_constantIbLb1EES13_EEDaSY_SZ_EUlSY_E_NS1_11comp_targetILNS1_3genE3ELNS1_11target_archE908ELNS1_3gpuE7ELNS1_3repE0EEENS1_30default_config_static_selectorELNS0_4arch9wavefront6targetE0EEEvT1_
    .private_segment_fixed_size: 0
    .sgpr_count:     0
    .sgpr_spill_count: 0
    .symbol:         _ZN7rocprim17ROCPRIM_400000_NS6detail17trampoline_kernelINS0_14default_configENS1_27scan_by_key_config_selectorIj11FixedVectorIiLj4EEEEZZNS1_16scan_by_key_implILNS1_25lookback_scan_determinismE0ELb1ES3_N6thrust23THRUST_200600_302600_NS6detail15normal_iteratorINSB_10device_ptrIjEEEENSD_INSE_IS6_EEEESI_S6_NSB_4plusIvEENSB_8equal_toIvEES6_EE10hipError_tPvRmT2_T3_T4_T5_mT6_T7_P12ihipStream_tbENKUlT_T0_E_clISt17integral_constantIbLb1EES13_EEDaSY_SZ_EUlSY_E_NS1_11comp_targetILNS1_3genE3ELNS1_11target_archE908ELNS1_3gpuE7ELNS1_3repE0EEENS1_30default_config_static_selectorELNS0_4arch9wavefront6targetE0EEEvT1_.kd
    .uniform_work_group_size: 1
    .uses_dynamic_stack: false
    .vgpr_count:     0
    .vgpr_spill_count: 0
    .wavefront_size: 32
  - .args:
      - .offset:         0
        .size:           144
        .value_kind:     by_value
    .group_segment_fixed_size: 0
    .kernarg_segment_align: 8
    .kernarg_segment_size: 144
    .language:       OpenCL C
    .language_version:
      - 2
      - 0
    .max_flat_workgroup_size: 256
    .name:           _ZN7rocprim17ROCPRIM_400000_NS6detail17trampoline_kernelINS0_14default_configENS1_27scan_by_key_config_selectorIj11FixedVectorIiLj4EEEEZZNS1_16scan_by_key_implILNS1_25lookback_scan_determinismE0ELb1ES3_N6thrust23THRUST_200600_302600_NS6detail15normal_iteratorINSB_10device_ptrIjEEEENSD_INSE_IS6_EEEESI_S6_NSB_4plusIvEENSB_8equal_toIvEES6_EE10hipError_tPvRmT2_T3_T4_T5_mT6_T7_P12ihipStream_tbENKUlT_T0_E_clISt17integral_constantIbLb1EES13_EEDaSY_SZ_EUlSY_E_NS1_11comp_targetILNS1_3genE2ELNS1_11target_archE906ELNS1_3gpuE6ELNS1_3repE0EEENS1_30default_config_static_selectorELNS0_4arch9wavefront6targetE0EEEvT1_
    .private_segment_fixed_size: 0
    .sgpr_count:     0
    .sgpr_spill_count: 0
    .symbol:         _ZN7rocprim17ROCPRIM_400000_NS6detail17trampoline_kernelINS0_14default_configENS1_27scan_by_key_config_selectorIj11FixedVectorIiLj4EEEEZZNS1_16scan_by_key_implILNS1_25lookback_scan_determinismE0ELb1ES3_N6thrust23THRUST_200600_302600_NS6detail15normal_iteratorINSB_10device_ptrIjEEEENSD_INSE_IS6_EEEESI_S6_NSB_4plusIvEENSB_8equal_toIvEES6_EE10hipError_tPvRmT2_T3_T4_T5_mT6_T7_P12ihipStream_tbENKUlT_T0_E_clISt17integral_constantIbLb1EES13_EEDaSY_SZ_EUlSY_E_NS1_11comp_targetILNS1_3genE2ELNS1_11target_archE906ELNS1_3gpuE6ELNS1_3repE0EEENS1_30default_config_static_selectorELNS0_4arch9wavefront6targetE0EEEvT1_.kd
    .uniform_work_group_size: 1
    .uses_dynamic_stack: false
    .vgpr_count:     0
    .vgpr_spill_count: 0
    .wavefront_size: 32
  - .args:
      - .offset:         0
        .size:           144
        .value_kind:     by_value
    .group_segment_fixed_size: 0
    .kernarg_segment_align: 8
    .kernarg_segment_size: 144
    .language:       OpenCL C
    .language_version:
      - 2
      - 0
    .max_flat_workgroup_size: 256
    .name:           _ZN7rocprim17ROCPRIM_400000_NS6detail17trampoline_kernelINS0_14default_configENS1_27scan_by_key_config_selectorIj11FixedVectorIiLj4EEEEZZNS1_16scan_by_key_implILNS1_25lookback_scan_determinismE0ELb1ES3_N6thrust23THRUST_200600_302600_NS6detail15normal_iteratorINSB_10device_ptrIjEEEENSD_INSE_IS6_EEEESI_S6_NSB_4plusIvEENSB_8equal_toIvEES6_EE10hipError_tPvRmT2_T3_T4_T5_mT6_T7_P12ihipStream_tbENKUlT_T0_E_clISt17integral_constantIbLb1EES13_EEDaSY_SZ_EUlSY_E_NS1_11comp_targetILNS1_3genE10ELNS1_11target_archE1200ELNS1_3gpuE4ELNS1_3repE0EEENS1_30default_config_static_selectorELNS0_4arch9wavefront6targetE0EEEvT1_
    .private_segment_fixed_size: 0
    .sgpr_count:     0
    .sgpr_spill_count: 0
    .symbol:         _ZN7rocprim17ROCPRIM_400000_NS6detail17trampoline_kernelINS0_14default_configENS1_27scan_by_key_config_selectorIj11FixedVectorIiLj4EEEEZZNS1_16scan_by_key_implILNS1_25lookback_scan_determinismE0ELb1ES3_N6thrust23THRUST_200600_302600_NS6detail15normal_iteratorINSB_10device_ptrIjEEEENSD_INSE_IS6_EEEESI_S6_NSB_4plusIvEENSB_8equal_toIvEES6_EE10hipError_tPvRmT2_T3_T4_T5_mT6_T7_P12ihipStream_tbENKUlT_T0_E_clISt17integral_constantIbLb1EES13_EEDaSY_SZ_EUlSY_E_NS1_11comp_targetILNS1_3genE10ELNS1_11target_archE1200ELNS1_3gpuE4ELNS1_3repE0EEENS1_30default_config_static_selectorELNS0_4arch9wavefront6targetE0EEEvT1_.kd
    .uniform_work_group_size: 1
    .uses_dynamic_stack: false
    .vgpr_count:     0
    .vgpr_spill_count: 0
    .wavefront_size: 32
  - .args:
      - .offset:         0
        .size:           144
        .value_kind:     by_value
    .group_segment_fixed_size: 0
    .kernarg_segment_align: 8
    .kernarg_segment_size: 144
    .language:       OpenCL C
    .language_version:
      - 2
      - 0
    .max_flat_workgroup_size: 256
    .name:           _ZN7rocprim17ROCPRIM_400000_NS6detail17trampoline_kernelINS0_14default_configENS1_27scan_by_key_config_selectorIj11FixedVectorIiLj4EEEEZZNS1_16scan_by_key_implILNS1_25lookback_scan_determinismE0ELb1ES3_N6thrust23THRUST_200600_302600_NS6detail15normal_iteratorINSB_10device_ptrIjEEEENSD_INSE_IS6_EEEESI_S6_NSB_4plusIvEENSB_8equal_toIvEES6_EE10hipError_tPvRmT2_T3_T4_T5_mT6_T7_P12ihipStream_tbENKUlT_T0_E_clISt17integral_constantIbLb1EES13_EEDaSY_SZ_EUlSY_E_NS1_11comp_targetILNS1_3genE9ELNS1_11target_archE1100ELNS1_3gpuE3ELNS1_3repE0EEENS1_30default_config_static_selectorELNS0_4arch9wavefront6targetE0EEEvT1_
    .private_segment_fixed_size: 0
    .sgpr_count:     0
    .sgpr_spill_count: 0
    .symbol:         _ZN7rocprim17ROCPRIM_400000_NS6detail17trampoline_kernelINS0_14default_configENS1_27scan_by_key_config_selectorIj11FixedVectorIiLj4EEEEZZNS1_16scan_by_key_implILNS1_25lookback_scan_determinismE0ELb1ES3_N6thrust23THRUST_200600_302600_NS6detail15normal_iteratorINSB_10device_ptrIjEEEENSD_INSE_IS6_EEEESI_S6_NSB_4plusIvEENSB_8equal_toIvEES6_EE10hipError_tPvRmT2_T3_T4_T5_mT6_T7_P12ihipStream_tbENKUlT_T0_E_clISt17integral_constantIbLb1EES13_EEDaSY_SZ_EUlSY_E_NS1_11comp_targetILNS1_3genE9ELNS1_11target_archE1100ELNS1_3gpuE3ELNS1_3repE0EEENS1_30default_config_static_selectorELNS0_4arch9wavefront6targetE0EEEvT1_.kd
    .uniform_work_group_size: 1
    .uses_dynamic_stack: false
    .vgpr_count:     0
    .vgpr_spill_count: 0
    .wavefront_size: 32
  - .args:
      - .offset:         0
        .size:           144
        .value_kind:     by_value
    .group_segment_fixed_size: 0
    .kernarg_segment_align: 8
    .kernarg_segment_size: 144
    .language:       OpenCL C
    .language_version:
      - 2
      - 0
    .max_flat_workgroup_size: 256
    .name:           _ZN7rocprim17ROCPRIM_400000_NS6detail17trampoline_kernelINS0_14default_configENS1_27scan_by_key_config_selectorIj11FixedVectorIiLj4EEEEZZNS1_16scan_by_key_implILNS1_25lookback_scan_determinismE0ELb1ES3_N6thrust23THRUST_200600_302600_NS6detail15normal_iteratorINSB_10device_ptrIjEEEENSD_INSE_IS6_EEEESI_S6_NSB_4plusIvEENSB_8equal_toIvEES6_EE10hipError_tPvRmT2_T3_T4_T5_mT6_T7_P12ihipStream_tbENKUlT_T0_E_clISt17integral_constantIbLb1EES13_EEDaSY_SZ_EUlSY_E_NS1_11comp_targetILNS1_3genE8ELNS1_11target_archE1030ELNS1_3gpuE2ELNS1_3repE0EEENS1_30default_config_static_selectorELNS0_4arch9wavefront6targetE0EEEvT1_
    .private_segment_fixed_size: 0
    .sgpr_count:     0
    .sgpr_spill_count: 0
    .symbol:         _ZN7rocprim17ROCPRIM_400000_NS6detail17trampoline_kernelINS0_14default_configENS1_27scan_by_key_config_selectorIj11FixedVectorIiLj4EEEEZZNS1_16scan_by_key_implILNS1_25lookback_scan_determinismE0ELb1ES3_N6thrust23THRUST_200600_302600_NS6detail15normal_iteratorINSB_10device_ptrIjEEEENSD_INSE_IS6_EEEESI_S6_NSB_4plusIvEENSB_8equal_toIvEES6_EE10hipError_tPvRmT2_T3_T4_T5_mT6_T7_P12ihipStream_tbENKUlT_T0_E_clISt17integral_constantIbLb1EES13_EEDaSY_SZ_EUlSY_E_NS1_11comp_targetILNS1_3genE8ELNS1_11target_archE1030ELNS1_3gpuE2ELNS1_3repE0EEENS1_30default_config_static_selectorELNS0_4arch9wavefront6targetE0EEEvT1_.kd
    .uniform_work_group_size: 1
    .uses_dynamic_stack: false
    .vgpr_count:     0
    .vgpr_spill_count: 0
    .wavefront_size: 32
  - .args:
      - .offset:         0
        .size:           144
        .value_kind:     by_value
    .group_segment_fixed_size: 0
    .kernarg_segment_align: 8
    .kernarg_segment_size: 144
    .language:       OpenCL C
    .language_version:
      - 2
      - 0
    .max_flat_workgroup_size: 64
    .name:           _ZN7rocprim17ROCPRIM_400000_NS6detail17trampoline_kernelINS0_14default_configENS1_27scan_by_key_config_selectorIj11FixedVectorIiLj4EEEEZZNS1_16scan_by_key_implILNS1_25lookback_scan_determinismE0ELb1ES3_N6thrust23THRUST_200600_302600_NS6detail15normal_iteratorINSB_10device_ptrIjEEEENSD_INSE_IS6_EEEESI_S6_NSB_4plusIvEENSB_8equal_toIvEES6_EE10hipError_tPvRmT2_T3_T4_T5_mT6_T7_P12ihipStream_tbENKUlT_T0_E_clISt17integral_constantIbLb1EES12_IbLb0EEEEDaSY_SZ_EUlSY_E_NS1_11comp_targetILNS1_3genE0ELNS1_11target_archE4294967295ELNS1_3gpuE0ELNS1_3repE0EEENS1_30default_config_static_selectorELNS0_4arch9wavefront6targetE0EEEvT1_
    .private_segment_fixed_size: 0
    .sgpr_count:     0
    .sgpr_spill_count: 0
    .symbol:         _ZN7rocprim17ROCPRIM_400000_NS6detail17trampoline_kernelINS0_14default_configENS1_27scan_by_key_config_selectorIj11FixedVectorIiLj4EEEEZZNS1_16scan_by_key_implILNS1_25lookback_scan_determinismE0ELb1ES3_N6thrust23THRUST_200600_302600_NS6detail15normal_iteratorINSB_10device_ptrIjEEEENSD_INSE_IS6_EEEESI_S6_NSB_4plusIvEENSB_8equal_toIvEES6_EE10hipError_tPvRmT2_T3_T4_T5_mT6_T7_P12ihipStream_tbENKUlT_T0_E_clISt17integral_constantIbLb1EES12_IbLb0EEEEDaSY_SZ_EUlSY_E_NS1_11comp_targetILNS1_3genE0ELNS1_11target_archE4294967295ELNS1_3gpuE0ELNS1_3repE0EEENS1_30default_config_static_selectorELNS0_4arch9wavefront6targetE0EEEvT1_.kd
    .uniform_work_group_size: 1
    .uses_dynamic_stack: false
    .vgpr_count:     0
    .vgpr_spill_count: 0
    .wavefront_size: 32
  - .args:
      - .offset:         0
        .size:           144
        .value_kind:     by_value
    .group_segment_fixed_size: 0
    .kernarg_segment_align: 8
    .kernarg_segment_size: 144
    .language:       OpenCL C
    .language_version:
      - 2
      - 0
    .max_flat_workgroup_size: 256
    .name:           _ZN7rocprim17ROCPRIM_400000_NS6detail17trampoline_kernelINS0_14default_configENS1_27scan_by_key_config_selectorIj11FixedVectorIiLj4EEEEZZNS1_16scan_by_key_implILNS1_25lookback_scan_determinismE0ELb1ES3_N6thrust23THRUST_200600_302600_NS6detail15normal_iteratorINSB_10device_ptrIjEEEENSD_INSE_IS6_EEEESI_S6_NSB_4plusIvEENSB_8equal_toIvEES6_EE10hipError_tPvRmT2_T3_T4_T5_mT6_T7_P12ihipStream_tbENKUlT_T0_E_clISt17integral_constantIbLb1EES12_IbLb0EEEEDaSY_SZ_EUlSY_E_NS1_11comp_targetILNS1_3genE10ELNS1_11target_archE1201ELNS1_3gpuE5ELNS1_3repE0EEENS1_30default_config_static_selectorELNS0_4arch9wavefront6targetE0EEEvT1_
    .private_segment_fixed_size: 0
    .sgpr_count:     0
    .sgpr_spill_count: 0
    .symbol:         _ZN7rocprim17ROCPRIM_400000_NS6detail17trampoline_kernelINS0_14default_configENS1_27scan_by_key_config_selectorIj11FixedVectorIiLj4EEEEZZNS1_16scan_by_key_implILNS1_25lookback_scan_determinismE0ELb1ES3_N6thrust23THRUST_200600_302600_NS6detail15normal_iteratorINSB_10device_ptrIjEEEENSD_INSE_IS6_EEEESI_S6_NSB_4plusIvEENSB_8equal_toIvEES6_EE10hipError_tPvRmT2_T3_T4_T5_mT6_T7_P12ihipStream_tbENKUlT_T0_E_clISt17integral_constantIbLb1EES12_IbLb0EEEEDaSY_SZ_EUlSY_E_NS1_11comp_targetILNS1_3genE10ELNS1_11target_archE1201ELNS1_3gpuE5ELNS1_3repE0EEENS1_30default_config_static_selectorELNS0_4arch9wavefront6targetE0EEEvT1_.kd
    .uniform_work_group_size: 1
    .uses_dynamic_stack: false
    .vgpr_count:     0
    .vgpr_spill_count: 0
    .wavefront_size: 32
  - .args:
      - .offset:         0
        .size:           144
        .value_kind:     by_value
    .group_segment_fixed_size: 0
    .kernarg_segment_align: 8
    .kernarg_segment_size: 144
    .language:       OpenCL C
    .language_version:
      - 2
      - 0
    .max_flat_workgroup_size: 128
    .name:           _ZN7rocprim17ROCPRIM_400000_NS6detail17trampoline_kernelINS0_14default_configENS1_27scan_by_key_config_selectorIj11FixedVectorIiLj4EEEEZZNS1_16scan_by_key_implILNS1_25lookback_scan_determinismE0ELb1ES3_N6thrust23THRUST_200600_302600_NS6detail15normal_iteratorINSB_10device_ptrIjEEEENSD_INSE_IS6_EEEESI_S6_NSB_4plusIvEENSB_8equal_toIvEES6_EE10hipError_tPvRmT2_T3_T4_T5_mT6_T7_P12ihipStream_tbENKUlT_T0_E_clISt17integral_constantIbLb1EES12_IbLb0EEEEDaSY_SZ_EUlSY_E_NS1_11comp_targetILNS1_3genE5ELNS1_11target_archE942ELNS1_3gpuE9ELNS1_3repE0EEENS1_30default_config_static_selectorELNS0_4arch9wavefront6targetE0EEEvT1_
    .private_segment_fixed_size: 0
    .sgpr_count:     0
    .sgpr_spill_count: 0
    .symbol:         _ZN7rocprim17ROCPRIM_400000_NS6detail17trampoline_kernelINS0_14default_configENS1_27scan_by_key_config_selectorIj11FixedVectorIiLj4EEEEZZNS1_16scan_by_key_implILNS1_25lookback_scan_determinismE0ELb1ES3_N6thrust23THRUST_200600_302600_NS6detail15normal_iteratorINSB_10device_ptrIjEEEENSD_INSE_IS6_EEEESI_S6_NSB_4plusIvEENSB_8equal_toIvEES6_EE10hipError_tPvRmT2_T3_T4_T5_mT6_T7_P12ihipStream_tbENKUlT_T0_E_clISt17integral_constantIbLb1EES12_IbLb0EEEEDaSY_SZ_EUlSY_E_NS1_11comp_targetILNS1_3genE5ELNS1_11target_archE942ELNS1_3gpuE9ELNS1_3repE0EEENS1_30default_config_static_selectorELNS0_4arch9wavefront6targetE0EEEvT1_.kd
    .uniform_work_group_size: 1
    .uses_dynamic_stack: false
    .vgpr_count:     0
    .vgpr_spill_count: 0
    .wavefront_size: 32
  - .args:
      - .offset:         0
        .size:           144
        .value_kind:     by_value
    .group_segment_fixed_size: 0
    .kernarg_segment_align: 8
    .kernarg_segment_size: 144
    .language:       OpenCL C
    .language_version:
      - 2
      - 0
    .max_flat_workgroup_size: 256
    .name:           _ZN7rocprim17ROCPRIM_400000_NS6detail17trampoline_kernelINS0_14default_configENS1_27scan_by_key_config_selectorIj11FixedVectorIiLj4EEEEZZNS1_16scan_by_key_implILNS1_25lookback_scan_determinismE0ELb1ES3_N6thrust23THRUST_200600_302600_NS6detail15normal_iteratorINSB_10device_ptrIjEEEENSD_INSE_IS6_EEEESI_S6_NSB_4plusIvEENSB_8equal_toIvEES6_EE10hipError_tPvRmT2_T3_T4_T5_mT6_T7_P12ihipStream_tbENKUlT_T0_E_clISt17integral_constantIbLb1EES12_IbLb0EEEEDaSY_SZ_EUlSY_E_NS1_11comp_targetILNS1_3genE4ELNS1_11target_archE910ELNS1_3gpuE8ELNS1_3repE0EEENS1_30default_config_static_selectorELNS0_4arch9wavefront6targetE0EEEvT1_
    .private_segment_fixed_size: 0
    .sgpr_count:     0
    .sgpr_spill_count: 0
    .symbol:         _ZN7rocprim17ROCPRIM_400000_NS6detail17trampoline_kernelINS0_14default_configENS1_27scan_by_key_config_selectorIj11FixedVectorIiLj4EEEEZZNS1_16scan_by_key_implILNS1_25lookback_scan_determinismE0ELb1ES3_N6thrust23THRUST_200600_302600_NS6detail15normal_iteratorINSB_10device_ptrIjEEEENSD_INSE_IS6_EEEESI_S6_NSB_4plusIvEENSB_8equal_toIvEES6_EE10hipError_tPvRmT2_T3_T4_T5_mT6_T7_P12ihipStream_tbENKUlT_T0_E_clISt17integral_constantIbLb1EES12_IbLb0EEEEDaSY_SZ_EUlSY_E_NS1_11comp_targetILNS1_3genE4ELNS1_11target_archE910ELNS1_3gpuE8ELNS1_3repE0EEENS1_30default_config_static_selectorELNS0_4arch9wavefront6targetE0EEEvT1_.kd
    .uniform_work_group_size: 1
    .uses_dynamic_stack: false
    .vgpr_count:     0
    .vgpr_spill_count: 0
    .wavefront_size: 32
  - .args:
      - .offset:         0
        .size:           144
        .value_kind:     by_value
    .group_segment_fixed_size: 0
    .kernarg_segment_align: 8
    .kernarg_segment_size: 144
    .language:       OpenCL C
    .language_version:
      - 2
      - 0
    .max_flat_workgroup_size: 64
    .name:           _ZN7rocprim17ROCPRIM_400000_NS6detail17trampoline_kernelINS0_14default_configENS1_27scan_by_key_config_selectorIj11FixedVectorIiLj4EEEEZZNS1_16scan_by_key_implILNS1_25lookback_scan_determinismE0ELb1ES3_N6thrust23THRUST_200600_302600_NS6detail15normal_iteratorINSB_10device_ptrIjEEEENSD_INSE_IS6_EEEESI_S6_NSB_4plusIvEENSB_8equal_toIvEES6_EE10hipError_tPvRmT2_T3_T4_T5_mT6_T7_P12ihipStream_tbENKUlT_T0_E_clISt17integral_constantIbLb1EES12_IbLb0EEEEDaSY_SZ_EUlSY_E_NS1_11comp_targetILNS1_3genE3ELNS1_11target_archE908ELNS1_3gpuE7ELNS1_3repE0EEENS1_30default_config_static_selectorELNS0_4arch9wavefront6targetE0EEEvT1_
    .private_segment_fixed_size: 0
    .sgpr_count:     0
    .sgpr_spill_count: 0
    .symbol:         _ZN7rocprim17ROCPRIM_400000_NS6detail17trampoline_kernelINS0_14default_configENS1_27scan_by_key_config_selectorIj11FixedVectorIiLj4EEEEZZNS1_16scan_by_key_implILNS1_25lookback_scan_determinismE0ELb1ES3_N6thrust23THRUST_200600_302600_NS6detail15normal_iteratorINSB_10device_ptrIjEEEENSD_INSE_IS6_EEEESI_S6_NSB_4plusIvEENSB_8equal_toIvEES6_EE10hipError_tPvRmT2_T3_T4_T5_mT6_T7_P12ihipStream_tbENKUlT_T0_E_clISt17integral_constantIbLb1EES12_IbLb0EEEEDaSY_SZ_EUlSY_E_NS1_11comp_targetILNS1_3genE3ELNS1_11target_archE908ELNS1_3gpuE7ELNS1_3repE0EEENS1_30default_config_static_selectorELNS0_4arch9wavefront6targetE0EEEvT1_.kd
    .uniform_work_group_size: 1
    .uses_dynamic_stack: false
    .vgpr_count:     0
    .vgpr_spill_count: 0
    .wavefront_size: 32
  - .args:
      - .offset:         0
        .size:           144
        .value_kind:     by_value
    .group_segment_fixed_size: 0
    .kernarg_segment_align: 8
    .kernarg_segment_size: 144
    .language:       OpenCL C
    .language_version:
      - 2
      - 0
    .max_flat_workgroup_size: 256
    .name:           _ZN7rocprim17ROCPRIM_400000_NS6detail17trampoline_kernelINS0_14default_configENS1_27scan_by_key_config_selectorIj11FixedVectorIiLj4EEEEZZNS1_16scan_by_key_implILNS1_25lookback_scan_determinismE0ELb1ES3_N6thrust23THRUST_200600_302600_NS6detail15normal_iteratorINSB_10device_ptrIjEEEENSD_INSE_IS6_EEEESI_S6_NSB_4plusIvEENSB_8equal_toIvEES6_EE10hipError_tPvRmT2_T3_T4_T5_mT6_T7_P12ihipStream_tbENKUlT_T0_E_clISt17integral_constantIbLb1EES12_IbLb0EEEEDaSY_SZ_EUlSY_E_NS1_11comp_targetILNS1_3genE2ELNS1_11target_archE906ELNS1_3gpuE6ELNS1_3repE0EEENS1_30default_config_static_selectorELNS0_4arch9wavefront6targetE0EEEvT1_
    .private_segment_fixed_size: 0
    .sgpr_count:     0
    .sgpr_spill_count: 0
    .symbol:         _ZN7rocprim17ROCPRIM_400000_NS6detail17trampoline_kernelINS0_14default_configENS1_27scan_by_key_config_selectorIj11FixedVectorIiLj4EEEEZZNS1_16scan_by_key_implILNS1_25lookback_scan_determinismE0ELb1ES3_N6thrust23THRUST_200600_302600_NS6detail15normal_iteratorINSB_10device_ptrIjEEEENSD_INSE_IS6_EEEESI_S6_NSB_4plusIvEENSB_8equal_toIvEES6_EE10hipError_tPvRmT2_T3_T4_T5_mT6_T7_P12ihipStream_tbENKUlT_T0_E_clISt17integral_constantIbLb1EES12_IbLb0EEEEDaSY_SZ_EUlSY_E_NS1_11comp_targetILNS1_3genE2ELNS1_11target_archE906ELNS1_3gpuE6ELNS1_3repE0EEENS1_30default_config_static_selectorELNS0_4arch9wavefront6targetE0EEEvT1_.kd
    .uniform_work_group_size: 1
    .uses_dynamic_stack: false
    .vgpr_count:     0
    .vgpr_spill_count: 0
    .wavefront_size: 32
  - .args:
      - .offset:         0
        .size:           144
        .value_kind:     by_value
    .group_segment_fixed_size: 0
    .kernarg_segment_align: 8
    .kernarg_segment_size: 144
    .language:       OpenCL C
    .language_version:
      - 2
      - 0
    .max_flat_workgroup_size: 256
    .name:           _ZN7rocprim17ROCPRIM_400000_NS6detail17trampoline_kernelINS0_14default_configENS1_27scan_by_key_config_selectorIj11FixedVectorIiLj4EEEEZZNS1_16scan_by_key_implILNS1_25lookback_scan_determinismE0ELb1ES3_N6thrust23THRUST_200600_302600_NS6detail15normal_iteratorINSB_10device_ptrIjEEEENSD_INSE_IS6_EEEESI_S6_NSB_4plusIvEENSB_8equal_toIvEES6_EE10hipError_tPvRmT2_T3_T4_T5_mT6_T7_P12ihipStream_tbENKUlT_T0_E_clISt17integral_constantIbLb1EES12_IbLb0EEEEDaSY_SZ_EUlSY_E_NS1_11comp_targetILNS1_3genE10ELNS1_11target_archE1200ELNS1_3gpuE4ELNS1_3repE0EEENS1_30default_config_static_selectorELNS0_4arch9wavefront6targetE0EEEvT1_
    .private_segment_fixed_size: 0
    .sgpr_count:     0
    .sgpr_spill_count: 0
    .symbol:         _ZN7rocprim17ROCPRIM_400000_NS6detail17trampoline_kernelINS0_14default_configENS1_27scan_by_key_config_selectorIj11FixedVectorIiLj4EEEEZZNS1_16scan_by_key_implILNS1_25lookback_scan_determinismE0ELb1ES3_N6thrust23THRUST_200600_302600_NS6detail15normal_iteratorINSB_10device_ptrIjEEEENSD_INSE_IS6_EEEESI_S6_NSB_4plusIvEENSB_8equal_toIvEES6_EE10hipError_tPvRmT2_T3_T4_T5_mT6_T7_P12ihipStream_tbENKUlT_T0_E_clISt17integral_constantIbLb1EES12_IbLb0EEEEDaSY_SZ_EUlSY_E_NS1_11comp_targetILNS1_3genE10ELNS1_11target_archE1200ELNS1_3gpuE4ELNS1_3repE0EEENS1_30default_config_static_selectorELNS0_4arch9wavefront6targetE0EEEvT1_.kd
    .uniform_work_group_size: 1
    .uses_dynamic_stack: false
    .vgpr_count:     0
    .vgpr_spill_count: 0
    .wavefront_size: 32
  - .args:
      - .offset:         0
        .size:           144
        .value_kind:     by_value
    .group_segment_fixed_size: 0
    .kernarg_segment_align: 8
    .kernarg_segment_size: 144
    .language:       OpenCL C
    .language_version:
      - 2
      - 0
    .max_flat_workgroup_size: 256
    .name:           _ZN7rocprim17ROCPRIM_400000_NS6detail17trampoline_kernelINS0_14default_configENS1_27scan_by_key_config_selectorIj11FixedVectorIiLj4EEEEZZNS1_16scan_by_key_implILNS1_25lookback_scan_determinismE0ELb1ES3_N6thrust23THRUST_200600_302600_NS6detail15normal_iteratorINSB_10device_ptrIjEEEENSD_INSE_IS6_EEEESI_S6_NSB_4plusIvEENSB_8equal_toIvEES6_EE10hipError_tPvRmT2_T3_T4_T5_mT6_T7_P12ihipStream_tbENKUlT_T0_E_clISt17integral_constantIbLb1EES12_IbLb0EEEEDaSY_SZ_EUlSY_E_NS1_11comp_targetILNS1_3genE9ELNS1_11target_archE1100ELNS1_3gpuE3ELNS1_3repE0EEENS1_30default_config_static_selectorELNS0_4arch9wavefront6targetE0EEEvT1_
    .private_segment_fixed_size: 0
    .sgpr_count:     0
    .sgpr_spill_count: 0
    .symbol:         _ZN7rocprim17ROCPRIM_400000_NS6detail17trampoline_kernelINS0_14default_configENS1_27scan_by_key_config_selectorIj11FixedVectorIiLj4EEEEZZNS1_16scan_by_key_implILNS1_25lookback_scan_determinismE0ELb1ES3_N6thrust23THRUST_200600_302600_NS6detail15normal_iteratorINSB_10device_ptrIjEEEENSD_INSE_IS6_EEEESI_S6_NSB_4plusIvEENSB_8equal_toIvEES6_EE10hipError_tPvRmT2_T3_T4_T5_mT6_T7_P12ihipStream_tbENKUlT_T0_E_clISt17integral_constantIbLb1EES12_IbLb0EEEEDaSY_SZ_EUlSY_E_NS1_11comp_targetILNS1_3genE9ELNS1_11target_archE1100ELNS1_3gpuE3ELNS1_3repE0EEENS1_30default_config_static_selectorELNS0_4arch9wavefront6targetE0EEEvT1_.kd
    .uniform_work_group_size: 1
    .uses_dynamic_stack: false
    .vgpr_count:     0
    .vgpr_spill_count: 0
    .wavefront_size: 32
  - .args:
      - .offset:         0
        .size:           144
        .value_kind:     by_value
    .group_segment_fixed_size: 0
    .kernarg_segment_align: 8
    .kernarg_segment_size: 144
    .language:       OpenCL C
    .language_version:
      - 2
      - 0
    .max_flat_workgroup_size: 256
    .name:           _ZN7rocprim17ROCPRIM_400000_NS6detail17trampoline_kernelINS0_14default_configENS1_27scan_by_key_config_selectorIj11FixedVectorIiLj4EEEEZZNS1_16scan_by_key_implILNS1_25lookback_scan_determinismE0ELb1ES3_N6thrust23THRUST_200600_302600_NS6detail15normal_iteratorINSB_10device_ptrIjEEEENSD_INSE_IS6_EEEESI_S6_NSB_4plusIvEENSB_8equal_toIvEES6_EE10hipError_tPvRmT2_T3_T4_T5_mT6_T7_P12ihipStream_tbENKUlT_T0_E_clISt17integral_constantIbLb1EES12_IbLb0EEEEDaSY_SZ_EUlSY_E_NS1_11comp_targetILNS1_3genE8ELNS1_11target_archE1030ELNS1_3gpuE2ELNS1_3repE0EEENS1_30default_config_static_selectorELNS0_4arch9wavefront6targetE0EEEvT1_
    .private_segment_fixed_size: 0
    .sgpr_count:     0
    .sgpr_spill_count: 0
    .symbol:         _ZN7rocprim17ROCPRIM_400000_NS6detail17trampoline_kernelINS0_14default_configENS1_27scan_by_key_config_selectorIj11FixedVectorIiLj4EEEEZZNS1_16scan_by_key_implILNS1_25lookback_scan_determinismE0ELb1ES3_N6thrust23THRUST_200600_302600_NS6detail15normal_iteratorINSB_10device_ptrIjEEEENSD_INSE_IS6_EEEESI_S6_NSB_4plusIvEENSB_8equal_toIvEES6_EE10hipError_tPvRmT2_T3_T4_T5_mT6_T7_P12ihipStream_tbENKUlT_T0_E_clISt17integral_constantIbLb1EES12_IbLb0EEEEDaSY_SZ_EUlSY_E_NS1_11comp_targetILNS1_3genE8ELNS1_11target_archE1030ELNS1_3gpuE2ELNS1_3repE0EEENS1_30default_config_static_selectorELNS0_4arch9wavefront6targetE0EEEvT1_.kd
    .uniform_work_group_size: 1
    .uses_dynamic_stack: false
    .vgpr_count:     0
    .vgpr_spill_count: 0
    .wavefront_size: 32
  - .args:
      - .offset:         0
        .size:           144
        .value_kind:     by_value
    .group_segment_fixed_size: 20480
    .kernarg_segment_align: 8
    .kernarg_segment_size: 144
    .language:       OpenCL C
    .language_version:
      - 2
      - 0
    .max_flat_workgroup_size: 64
    .name:           _ZN7rocprim17ROCPRIM_400000_NS6detail17trampoline_kernelINS0_14default_configENS1_27scan_by_key_config_selectorIj11FixedVectorIiLj4EEEEZZNS1_16scan_by_key_implILNS1_25lookback_scan_determinismE0ELb1ES3_N6thrust23THRUST_200600_302600_NS6detail15normal_iteratorINSB_10device_ptrIjEEEENSD_INSE_IS6_EEEESI_S6_NSB_4plusIvEENSB_8equal_toIvEES6_EE10hipError_tPvRmT2_T3_T4_T5_mT6_T7_P12ihipStream_tbENKUlT_T0_E_clISt17integral_constantIbLb0EES12_IbLb1EEEEDaSY_SZ_EUlSY_E_NS1_11comp_targetILNS1_3genE0ELNS1_11target_archE4294967295ELNS1_3gpuE0ELNS1_3repE0EEENS1_30default_config_static_selectorELNS0_4arch9wavefront6targetE0EEEvT1_
    .private_segment_fixed_size: 464
    .sgpr_count:     66
    .sgpr_spill_count: 0
    .symbol:         _ZN7rocprim17ROCPRIM_400000_NS6detail17trampoline_kernelINS0_14default_configENS1_27scan_by_key_config_selectorIj11FixedVectorIiLj4EEEEZZNS1_16scan_by_key_implILNS1_25lookback_scan_determinismE0ELb1ES3_N6thrust23THRUST_200600_302600_NS6detail15normal_iteratorINSB_10device_ptrIjEEEENSD_INSE_IS6_EEEESI_S6_NSB_4plusIvEENSB_8equal_toIvEES6_EE10hipError_tPvRmT2_T3_T4_T5_mT6_T7_P12ihipStream_tbENKUlT_T0_E_clISt17integral_constantIbLb0EES12_IbLb1EEEEDaSY_SZ_EUlSY_E_NS1_11comp_targetILNS1_3genE0ELNS1_11target_archE4294967295ELNS1_3gpuE0ELNS1_3repE0EEENS1_30default_config_static_selectorELNS0_4arch9wavefront6targetE0EEEvT1_.kd
    .uniform_work_group_size: 1
    .uses_dynamic_stack: false
    .vgpr_count:     63
    .vgpr_spill_count: 0
    .wavefront_size: 32
  - .args:
      - .offset:         0
        .size:           144
        .value_kind:     by_value
    .group_segment_fixed_size: 0
    .kernarg_segment_align: 8
    .kernarg_segment_size: 144
    .language:       OpenCL C
    .language_version:
      - 2
      - 0
    .max_flat_workgroup_size: 256
    .name:           _ZN7rocprim17ROCPRIM_400000_NS6detail17trampoline_kernelINS0_14default_configENS1_27scan_by_key_config_selectorIj11FixedVectorIiLj4EEEEZZNS1_16scan_by_key_implILNS1_25lookback_scan_determinismE0ELb1ES3_N6thrust23THRUST_200600_302600_NS6detail15normal_iteratorINSB_10device_ptrIjEEEENSD_INSE_IS6_EEEESI_S6_NSB_4plusIvEENSB_8equal_toIvEES6_EE10hipError_tPvRmT2_T3_T4_T5_mT6_T7_P12ihipStream_tbENKUlT_T0_E_clISt17integral_constantIbLb0EES12_IbLb1EEEEDaSY_SZ_EUlSY_E_NS1_11comp_targetILNS1_3genE10ELNS1_11target_archE1201ELNS1_3gpuE5ELNS1_3repE0EEENS1_30default_config_static_selectorELNS0_4arch9wavefront6targetE0EEEvT1_
    .private_segment_fixed_size: 0
    .sgpr_count:     0
    .sgpr_spill_count: 0
    .symbol:         _ZN7rocprim17ROCPRIM_400000_NS6detail17trampoline_kernelINS0_14default_configENS1_27scan_by_key_config_selectorIj11FixedVectorIiLj4EEEEZZNS1_16scan_by_key_implILNS1_25lookback_scan_determinismE0ELb1ES3_N6thrust23THRUST_200600_302600_NS6detail15normal_iteratorINSB_10device_ptrIjEEEENSD_INSE_IS6_EEEESI_S6_NSB_4plusIvEENSB_8equal_toIvEES6_EE10hipError_tPvRmT2_T3_T4_T5_mT6_T7_P12ihipStream_tbENKUlT_T0_E_clISt17integral_constantIbLb0EES12_IbLb1EEEEDaSY_SZ_EUlSY_E_NS1_11comp_targetILNS1_3genE10ELNS1_11target_archE1201ELNS1_3gpuE5ELNS1_3repE0EEENS1_30default_config_static_selectorELNS0_4arch9wavefront6targetE0EEEvT1_.kd
    .uniform_work_group_size: 1
    .uses_dynamic_stack: false
    .vgpr_count:     0
    .vgpr_spill_count: 0
    .wavefront_size: 32
  - .args:
      - .offset:         0
        .size:           144
        .value_kind:     by_value
    .group_segment_fixed_size: 0
    .kernarg_segment_align: 8
    .kernarg_segment_size: 144
    .language:       OpenCL C
    .language_version:
      - 2
      - 0
    .max_flat_workgroup_size: 128
    .name:           _ZN7rocprim17ROCPRIM_400000_NS6detail17trampoline_kernelINS0_14default_configENS1_27scan_by_key_config_selectorIj11FixedVectorIiLj4EEEEZZNS1_16scan_by_key_implILNS1_25lookback_scan_determinismE0ELb1ES3_N6thrust23THRUST_200600_302600_NS6detail15normal_iteratorINSB_10device_ptrIjEEEENSD_INSE_IS6_EEEESI_S6_NSB_4plusIvEENSB_8equal_toIvEES6_EE10hipError_tPvRmT2_T3_T4_T5_mT6_T7_P12ihipStream_tbENKUlT_T0_E_clISt17integral_constantIbLb0EES12_IbLb1EEEEDaSY_SZ_EUlSY_E_NS1_11comp_targetILNS1_3genE5ELNS1_11target_archE942ELNS1_3gpuE9ELNS1_3repE0EEENS1_30default_config_static_selectorELNS0_4arch9wavefront6targetE0EEEvT1_
    .private_segment_fixed_size: 0
    .sgpr_count:     0
    .sgpr_spill_count: 0
    .symbol:         _ZN7rocprim17ROCPRIM_400000_NS6detail17trampoline_kernelINS0_14default_configENS1_27scan_by_key_config_selectorIj11FixedVectorIiLj4EEEEZZNS1_16scan_by_key_implILNS1_25lookback_scan_determinismE0ELb1ES3_N6thrust23THRUST_200600_302600_NS6detail15normal_iteratorINSB_10device_ptrIjEEEENSD_INSE_IS6_EEEESI_S6_NSB_4plusIvEENSB_8equal_toIvEES6_EE10hipError_tPvRmT2_T3_T4_T5_mT6_T7_P12ihipStream_tbENKUlT_T0_E_clISt17integral_constantIbLb0EES12_IbLb1EEEEDaSY_SZ_EUlSY_E_NS1_11comp_targetILNS1_3genE5ELNS1_11target_archE942ELNS1_3gpuE9ELNS1_3repE0EEENS1_30default_config_static_selectorELNS0_4arch9wavefront6targetE0EEEvT1_.kd
    .uniform_work_group_size: 1
    .uses_dynamic_stack: false
    .vgpr_count:     0
    .vgpr_spill_count: 0
    .wavefront_size: 32
  - .args:
      - .offset:         0
        .size:           144
        .value_kind:     by_value
    .group_segment_fixed_size: 0
    .kernarg_segment_align: 8
    .kernarg_segment_size: 144
    .language:       OpenCL C
    .language_version:
      - 2
      - 0
    .max_flat_workgroup_size: 256
    .name:           _ZN7rocprim17ROCPRIM_400000_NS6detail17trampoline_kernelINS0_14default_configENS1_27scan_by_key_config_selectorIj11FixedVectorIiLj4EEEEZZNS1_16scan_by_key_implILNS1_25lookback_scan_determinismE0ELb1ES3_N6thrust23THRUST_200600_302600_NS6detail15normal_iteratorINSB_10device_ptrIjEEEENSD_INSE_IS6_EEEESI_S6_NSB_4plusIvEENSB_8equal_toIvEES6_EE10hipError_tPvRmT2_T3_T4_T5_mT6_T7_P12ihipStream_tbENKUlT_T0_E_clISt17integral_constantIbLb0EES12_IbLb1EEEEDaSY_SZ_EUlSY_E_NS1_11comp_targetILNS1_3genE4ELNS1_11target_archE910ELNS1_3gpuE8ELNS1_3repE0EEENS1_30default_config_static_selectorELNS0_4arch9wavefront6targetE0EEEvT1_
    .private_segment_fixed_size: 0
    .sgpr_count:     0
    .sgpr_spill_count: 0
    .symbol:         _ZN7rocprim17ROCPRIM_400000_NS6detail17trampoline_kernelINS0_14default_configENS1_27scan_by_key_config_selectorIj11FixedVectorIiLj4EEEEZZNS1_16scan_by_key_implILNS1_25lookback_scan_determinismE0ELb1ES3_N6thrust23THRUST_200600_302600_NS6detail15normal_iteratorINSB_10device_ptrIjEEEENSD_INSE_IS6_EEEESI_S6_NSB_4plusIvEENSB_8equal_toIvEES6_EE10hipError_tPvRmT2_T3_T4_T5_mT6_T7_P12ihipStream_tbENKUlT_T0_E_clISt17integral_constantIbLb0EES12_IbLb1EEEEDaSY_SZ_EUlSY_E_NS1_11comp_targetILNS1_3genE4ELNS1_11target_archE910ELNS1_3gpuE8ELNS1_3repE0EEENS1_30default_config_static_selectorELNS0_4arch9wavefront6targetE0EEEvT1_.kd
    .uniform_work_group_size: 1
    .uses_dynamic_stack: false
    .vgpr_count:     0
    .vgpr_spill_count: 0
    .wavefront_size: 32
  - .args:
      - .offset:         0
        .size:           144
        .value_kind:     by_value
    .group_segment_fixed_size: 0
    .kernarg_segment_align: 8
    .kernarg_segment_size: 144
    .language:       OpenCL C
    .language_version:
      - 2
      - 0
    .max_flat_workgroup_size: 64
    .name:           _ZN7rocprim17ROCPRIM_400000_NS6detail17trampoline_kernelINS0_14default_configENS1_27scan_by_key_config_selectorIj11FixedVectorIiLj4EEEEZZNS1_16scan_by_key_implILNS1_25lookback_scan_determinismE0ELb1ES3_N6thrust23THRUST_200600_302600_NS6detail15normal_iteratorINSB_10device_ptrIjEEEENSD_INSE_IS6_EEEESI_S6_NSB_4plusIvEENSB_8equal_toIvEES6_EE10hipError_tPvRmT2_T3_T4_T5_mT6_T7_P12ihipStream_tbENKUlT_T0_E_clISt17integral_constantIbLb0EES12_IbLb1EEEEDaSY_SZ_EUlSY_E_NS1_11comp_targetILNS1_3genE3ELNS1_11target_archE908ELNS1_3gpuE7ELNS1_3repE0EEENS1_30default_config_static_selectorELNS0_4arch9wavefront6targetE0EEEvT1_
    .private_segment_fixed_size: 0
    .sgpr_count:     0
    .sgpr_spill_count: 0
    .symbol:         _ZN7rocprim17ROCPRIM_400000_NS6detail17trampoline_kernelINS0_14default_configENS1_27scan_by_key_config_selectorIj11FixedVectorIiLj4EEEEZZNS1_16scan_by_key_implILNS1_25lookback_scan_determinismE0ELb1ES3_N6thrust23THRUST_200600_302600_NS6detail15normal_iteratorINSB_10device_ptrIjEEEENSD_INSE_IS6_EEEESI_S6_NSB_4plusIvEENSB_8equal_toIvEES6_EE10hipError_tPvRmT2_T3_T4_T5_mT6_T7_P12ihipStream_tbENKUlT_T0_E_clISt17integral_constantIbLb0EES12_IbLb1EEEEDaSY_SZ_EUlSY_E_NS1_11comp_targetILNS1_3genE3ELNS1_11target_archE908ELNS1_3gpuE7ELNS1_3repE0EEENS1_30default_config_static_selectorELNS0_4arch9wavefront6targetE0EEEvT1_.kd
    .uniform_work_group_size: 1
    .uses_dynamic_stack: false
    .vgpr_count:     0
    .vgpr_spill_count: 0
    .wavefront_size: 32
  - .args:
      - .offset:         0
        .size:           144
        .value_kind:     by_value
    .group_segment_fixed_size: 0
    .kernarg_segment_align: 8
    .kernarg_segment_size: 144
    .language:       OpenCL C
    .language_version:
      - 2
      - 0
    .max_flat_workgroup_size: 256
    .name:           _ZN7rocprim17ROCPRIM_400000_NS6detail17trampoline_kernelINS0_14default_configENS1_27scan_by_key_config_selectorIj11FixedVectorIiLj4EEEEZZNS1_16scan_by_key_implILNS1_25lookback_scan_determinismE0ELb1ES3_N6thrust23THRUST_200600_302600_NS6detail15normal_iteratorINSB_10device_ptrIjEEEENSD_INSE_IS6_EEEESI_S6_NSB_4plusIvEENSB_8equal_toIvEES6_EE10hipError_tPvRmT2_T3_T4_T5_mT6_T7_P12ihipStream_tbENKUlT_T0_E_clISt17integral_constantIbLb0EES12_IbLb1EEEEDaSY_SZ_EUlSY_E_NS1_11comp_targetILNS1_3genE2ELNS1_11target_archE906ELNS1_3gpuE6ELNS1_3repE0EEENS1_30default_config_static_selectorELNS0_4arch9wavefront6targetE0EEEvT1_
    .private_segment_fixed_size: 0
    .sgpr_count:     0
    .sgpr_spill_count: 0
    .symbol:         _ZN7rocprim17ROCPRIM_400000_NS6detail17trampoline_kernelINS0_14default_configENS1_27scan_by_key_config_selectorIj11FixedVectorIiLj4EEEEZZNS1_16scan_by_key_implILNS1_25lookback_scan_determinismE0ELb1ES3_N6thrust23THRUST_200600_302600_NS6detail15normal_iteratorINSB_10device_ptrIjEEEENSD_INSE_IS6_EEEESI_S6_NSB_4plusIvEENSB_8equal_toIvEES6_EE10hipError_tPvRmT2_T3_T4_T5_mT6_T7_P12ihipStream_tbENKUlT_T0_E_clISt17integral_constantIbLb0EES12_IbLb1EEEEDaSY_SZ_EUlSY_E_NS1_11comp_targetILNS1_3genE2ELNS1_11target_archE906ELNS1_3gpuE6ELNS1_3repE0EEENS1_30default_config_static_selectorELNS0_4arch9wavefront6targetE0EEEvT1_.kd
    .uniform_work_group_size: 1
    .uses_dynamic_stack: false
    .vgpr_count:     0
    .vgpr_spill_count: 0
    .wavefront_size: 32
  - .args:
      - .offset:         0
        .size:           144
        .value_kind:     by_value
    .group_segment_fixed_size: 0
    .kernarg_segment_align: 8
    .kernarg_segment_size: 144
    .language:       OpenCL C
    .language_version:
      - 2
      - 0
    .max_flat_workgroup_size: 256
    .name:           _ZN7rocprim17ROCPRIM_400000_NS6detail17trampoline_kernelINS0_14default_configENS1_27scan_by_key_config_selectorIj11FixedVectorIiLj4EEEEZZNS1_16scan_by_key_implILNS1_25lookback_scan_determinismE0ELb1ES3_N6thrust23THRUST_200600_302600_NS6detail15normal_iteratorINSB_10device_ptrIjEEEENSD_INSE_IS6_EEEESI_S6_NSB_4plusIvEENSB_8equal_toIvEES6_EE10hipError_tPvRmT2_T3_T4_T5_mT6_T7_P12ihipStream_tbENKUlT_T0_E_clISt17integral_constantIbLb0EES12_IbLb1EEEEDaSY_SZ_EUlSY_E_NS1_11comp_targetILNS1_3genE10ELNS1_11target_archE1200ELNS1_3gpuE4ELNS1_3repE0EEENS1_30default_config_static_selectorELNS0_4arch9wavefront6targetE0EEEvT1_
    .private_segment_fixed_size: 0
    .sgpr_count:     0
    .sgpr_spill_count: 0
    .symbol:         _ZN7rocprim17ROCPRIM_400000_NS6detail17trampoline_kernelINS0_14default_configENS1_27scan_by_key_config_selectorIj11FixedVectorIiLj4EEEEZZNS1_16scan_by_key_implILNS1_25lookback_scan_determinismE0ELb1ES3_N6thrust23THRUST_200600_302600_NS6detail15normal_iteratorINSB_10device_ptrIjEEEENSD_INSE_IS6_EEEESI_S6_NSB_4plusIvEENSB_8equal_toIvEES6_EE10hipError_tPvRmT2_T3_T4_T5_mT6_T7_P12ihipStream_tbENKUlT_T0_E_clISt17integral_constantIbLb0EES12_IbLb1EEEEDaSY_SZ_EUlSY_E_NS1_11comp_targetILNS1_3genE10ELNS1_11target_archE1200ELNS1_3gpuE4ELNS1_3repE0EEENS1_30default_config_static_selectorELNS0_4arch9wavefront6targetE0EEEvT1_.kd
    .uniform_work_group_size: 1
    .uses_dynamic_stack: false
    .vgpr_count:     0
    .vgpr_spill_count: 0
    .wavefront_size: 32
  - .args:
      - .offset:         0
        .size:           144
        .value_kind:     by_value
    .group_segment_fixed_size: 0
    .kernarg_segment_align: 8
    .kernarg_segment_size: 144
    .language:       OpenCL C
    .language_version:
      - 2
      - 0
    .max_flat_workgroup_size: 256
    .name:           _ZN7rocprim17ROCPRIM_400000_NS6detail17trampoline_kernelINS0_14default_configENS1_27scan_by_key_config_selectorIj11FixedVectorIiLj4EEEEZZNS1_16scan_by_key_implILNS1_25lookback_scan_determinismE0ELb1ES3_N6thrust23THRUST_200600_302600_NS6detail15normal_iteratorINSB_10device_ptrIjEEEENSD_INSE_IS6_EEEESI_S6_NSB_4plusIvEENSB_8equal_toIvEES6_EE10hipError_tPvRmT2_T3_T4_T5_mT6_T7_P12ihipStream_tbENKUlT_T0_E_clISt17integral_constantIbLb0EES12_IbLb1EEEEDaSY_SZ_EUlSY_E_NS1_11comp_targetILNS1_3genE9ELNS1_11target_archE1100ELNS1_3gpuE3ELNS1_3repE0EEENS1_30default_config_static_selectorELNS0_4arch9wavefront6targetE0EEEvT1_
    .private_segment_fixed_size: 0
    .sgpr_count:     0
    .sgpr_spill_count: 0
    .symbol:         _ZN7rocprim17ROCPRIM_400000_NS6detail17trampoline_kernelINS0_14default_configENS1_27scan_by_key_config_selectorIj11FixedVectorIiLj4EEEEZZNS1_16scan_by_key_implILNS1_25lookback_scan_determinismE0ELb1ES3_N6thrust23THRUST_200600_302600_NS6detail15normal_iteratorINSB_10device_ptrIjEEEENSD_INSE_IS6_EEEESI_S6_NSB_4plusIvEENSB_8equal_toIvEES6_EE10hipError_tPvRmT2_T3_T4_T5_mT6_T7_P12ihipStream_tbENKUlT_T0_E_clISt17integral_constantIbLb0EES12_IbLb1EEEEDaSY_SZ_EUlSY_E_NS1_11comp_targetILNS1_3genE9ELNS1_11target_archE1100ELNS1_3gpuE3ELNS1_3repE0EEENS1_30default_config_static_selectorELNS0_4arch9wavefront6targetE0EEEvT1_.kd
    .uniform_work_group_size: 1
    .uses_dynamic_stack: false
    .vgpr_count:     0
    .vgpr_spill_count: 0
    .wavefront_size: 32
  - .args:
      - .offset:         0
        .size:           144
        .value_kind:     by_value
    .group_segment_fixed_size: 0
    .kernarg_segment_align: 8
    .kernarg_segment_size: 144
    .language:       OpenCL C
    .language_version:
      - 2
      - 0
    .max_flat_workgroup_size: 256
    .name:           _ZN7rocprim17ROCPRIM_400000_NS6detail17trampoline_kernelINS0_14default_configENS1_27scan_by_key_config_selectorIj11FixedVectorIiLj4EEEEZZNS1_16scan_by_key_implILNS1_25lookback_scan_determinismE0ELb1ES3_N6thrust23THRUST_200600_302600_NS6detail15normal_iteratorINSB_10device_ptrIjEEEENSD_INSE_IS6_EEEESI_S6_NSB_4plusIvEENSB_8equal_toIvEES6_EE10hipError_tPvRmT2_T3_T4_T5_mT6_T7_P12ihipStream_tbENKUlT_T0_E_clISt17integral_constantIbLb0EES12_IbLb1EEEEDaSY_SZ_EUlSY_E_NS1_11comp_targetILNS1_3genE8ELNS1_11target_archE1030ELNS1_3gpuE2ELNS1_3repE0EEENS1_30default_config_static_selectorELNS0_4arch9wavefront6targetE0EEEvT1_
    .private_segment_fixed_size: 0
    .sgpr_count:     0
    .sgpr_spill_count: 0
    .symbol:         _ZN7rocprim17ROCPRIM_400000_NS6detail17trampoline_kernelINS0_14default_configENS1_27scan_by_key_config_selectorIj11FixedVectorIiLj4EEEEZZNS1_16scan_by_key_implILNS1_25lookback_scan_determinismE0ELb1ES3_N6thrust23THRUST_200600_302600_NS6detail15normal_iteratorINSB_10device_ptrIjEEEENSD_INSE_IS6_EEEESI_S6_NSB_4plusIvEENSB_8equal_toIvEES6_EE10hipError_tPvRmT2_T3_T4_T5_mT6_T7_P12ihipStream_tbENKUlT_T0_E_clISt17integral_constantIbLb0EES12_IbLb1EEEEDaSY_SZ_EUlSY_E_NS1_11comp_targetILNS1_3genE8ELNS1_11target_archE1030ELNS1_3gpuE2ELNS1_3repE0EEENS1_30default_config_static_selectorELNS0_4arch9wavefront6targetE0EEEvT1_.kd
    .uniform_work_group_size: 1
    .uses_dynamic_stack: false
    .vgpr_count:     0
    .vgpr_spill_count: 0
    .wavefront_size: 32
  - .args:
      - .offset:         0
        .size:           16
        .value_kind:     by_value
      - .offset:         16
        .size:           8
        .value_kind:     by_value
      - .offset:         24
        .size:           8
        .value_kind:     by_value
    .group_segment_fixed_size: 0
    .kernarg_segment_align: 8
    .kernarg_segment_size: 32
    .language:       OpenCL C
    .language_version:
      - 2
      - 0
    .max_flat_workgroup_size: 256
    .name:           _ZN6thrust23THRUST_200600_302600_NS11hip_rocprim14__parallel_for6kernelILj256ENS1_10for_each_fINS0_10device_ptrI11FixedVectorIiLj8EEEENS0_6detail16wrapped_functionINS9_23allocator_traits_detail5gozerEvEEEElLj1EEEvT0_T1_SG_
    .private_segment_fixed_size: 0
    .sgpr_count:     0
    .sgpr_spill_count: 0
    .symbol:         _ZN6thrust23THRUST_200600_302600_NS11hip_rocprim14__parallel_for6kernelILj256ENS1_10for_each_fINS0_10device_ptrI11FixedVectorIiLj8EEEENS0_6detail16wrapped_functionINS9_23allocator_traits_detail5gozerEvEEEElLj1EEEvT0_T1_SG_.kd
    .uniform_work_group_size: 1
    .uses_dynamic_stack: false
    .vgpr_count:     0
    .vgpr_spill_count: 0
    .wavefront_size: 32
  - .args:
      - .offset:         0
        .size:           16
        .value_kind:     by_value
      - .offset:         16
        .size:           8
        .value_kind:     by_value
      - .offset:         24
        .size:           8
        .value_kind:     by_value
    .group_segment_fixed_size: 0
    .kernarg_segment_align: 8
    .kernarg_segment_size: 32
    .language:       OpenCL C
    .language_version:
      - 2
      - 0
    .max_flat_workgroup_size: 256
    .name:           _ZN6thrust23THRUST_200600_302600_NS11hip_rocprim14__parallel_for6kernelILj256ENS1_10for_each_fINS0_10device_ptrI11FixedVectorIiLj8EEEENS0_6detail16wrapped_functionINS9_23allocator_traits_detail24construct1_via_allocatorINS0_16device_allocatorIS7_EEEEvEEEEmLj1EEEvT0_T1_SJ_
    .private_segment_fixed_size: 0
    .sgpr_count:     11
    .sgpr_spill_count: 0
    .symbol:         _ZN6thrust23THRUST_200600_302600_NS11hip_rocprim14__parallel_for6kernelILj256ENS1_10for_each_fINS0_10device_ptrI11FixedVectorIiLj8EEEENS0_6detail16wrapped_functionINS9_23allocator_traits_detail24construct1_via_allocatorINS0_16device_allocatorIS7_EEEEvEEEEmLj1EEEvT0_T1_SJ_.kd
    .uniform_work_group_size: 1
    .uses_dynamic_stack: false
    .vgpr_count:     8
    .vgpr_spill_count: 0
    .wavefront_size: 32
  - .args:
      - .offset:         0
        .size:           24
        .value_kind:     by_value
      - .offset:         24
        .size:           4
        .value_kind:     by_value
      - .offset:         28
        .size:           4
        .value_kind:     by_value
      - .address_space:  global
        .offset:         32
        .size:           8
        .value_kind:     global_buffer
      - .address_space:  global
        .offset:         40
        .size:           8
        .value_kind:     global_buffer
      - .actual_access:  write_only
        .address_space:  global
        .offset:         48
        .size:           8
        .value_kind:     global_buffer
      - .offset:         56
        .size:           8
        .value_kind:     by_value
      - .offset:         64
        .size:           4
        .value_kind:     by_value
      - .offset:         68
        .size:           1
        .value_kind:     by_value
      - .offset:         72
        .size:           4
        .value_kind:     hidden_block_count_x
      - .offset:         76
        .size:           4
        .value_kind:     hidden_block_count_y
      - .offset:         80
        .size:           4
        .value_kind:     hidden_block_count_z
      - .offset:         84
        .size:           2
        .value_kind:     hidden_group_size_x
      - .offset:         86
        .size:           2
        .value_kind:     hidden_group_size_y
      - .offset:         88
        .size:           2
        .value_kind:     hidden_group_size_z
      - .offset:         90
        .size:           2
        .value_kind:     hidden_remainder_x
      - .offset:         92
        .size:           2
        .value_kind:     hidden_remainder_y
      - .offset:         94
        .size:           2
        .value_kind:     hidden_remainder_z
      - .offset:         112
        .size:           8
        .value_kind:     hidden_global_offset_x
      - .offset:         120
        .size:           8
        .value_kind:     hidden_global_offset_y
      - .offset:         128
        .size:           8
        .value_kind:     hidden_global_offset_z
      - .offset:         136
        .size:           2
        .value_kind:     hidden_grid_dims
    .group_segment_fixed_size: 9216
    .kernarg_segment_align: 8
    .kernarg_segment_size: 328
    .language:       OpenCL C
    .language_version:
      - 2
      - 0
    .max_flat_workgroup_size: 256
    .name:           _ZN7rocprim17ROCPRIM_400000_NS6detail30init_device_scan_by_key_kernelINS1_19lookback_scan_stateINS0_5tupleIJ11FixedVectorIiLj8EEbEEELb0ELb0EEEN6thrust23THRUST_200600_302600_NS6detail15normal_iteratorINSA_10device_ptrIjEEEEjNS1_16block_id_wrapperIjLb0EEEEEvT_jjPNSI_10value_typeET0_PNSt15iterator_traitsISL_E10value_typeEmT1_T2_
    .private_segment_fixed_size: 0
    .sgpr_count:     23
    .sgpr_spill_count: 0
    .symbol:         _ZN7rocprim17ROCPRIM_400000_NS6detail30init_device_scan_by_key_kernelINS1_19lookback_scan_stateINS0_5tupleIJ11FixedVectorIiLj8EEbEEELb0ELb0EEEN6thrust23THRUST_200600_302600_NS6detail15normal_iteratorINSA_10device_ptrIjEEEEjNS1_16block_id_wrapperIjLb0EEEEEvT_jjPNSI_10value_typeET0_PNSt15iterator_traitsISL_E10value_typeEmT1_T2_.kd
    .uniform_work_group_size: 1
    .uses_dynamic_stack: false
    .vgpr_count:     12
    .vgpr_spill_count: 0
    .wavefront_size: 32
  - .args:
      - .offset:         0
        .size:           24
        .value_kind:     by_value
      - .offset:         24
        .size:           4
        .value_kind:     by_value
      - .offset:         28
        .size:           4
        .value_kind:     by_value
      - .address_space:  global
        .offset:         32
        .size:           8
        .value_kind:     global_buffer
      - .offset:         40
        .size:           1
        .value_kind:     by_value
      - .offset:         48
        .size:           4
        .value_kind:     hidden_block_count_x
      - .offset:         52
        .size:           4
        .value_kind:     hidden_block_count_y
      - .offset:         56
        .size:           4
        .value_kind:     hidden_block_count_z
      - .offset:         60
        .size:           2
        .value_kind:     hidden_group_size_x
      - .offset:         62
        .size:           2
        .value_kind:     hidden_group_size_y
      - .offset:         64
        .size:           2
        .value_kind:     hidden_group_size_z
      - .offset:         66
        .size:           2
        .value_kind:     hidden_remainder_x
      - .offset:         68
        .size:           2
        .value_kind:     hidden_remainder_y
      - .offset:         70
        .size:           2
        .value_kind:     hidden_remainder_z
      - .offset:         88
        .size:           8
        .value_kind:     hidden_global_offset_x
      - .offset:         96
        .size:           8
        .value_kind:     hidden_global_offset_y
      - .offset:         104
        .size:           8
        .value_kind:     hidden_global_offset_z
      - .offset:         112
        .size:           2
        .value_kind:     hidden_grid_dims
    .group_segment_fixed_size: 9216
    .kernarg_segment_align: 8
    .kernarg_segment_size: 304
    .language:       OpenCL C
    .language_version:
      - 2
      - 0
    .max_flat_workgroup_size: 256
    .name:           _ZN7rocprim17ROCPRIM_400000_NS6detail30init_device_scan_by_key_kernelINS1_19lookback_scan_stateINS0_5tupleIJ11FixedVectorIiLj8EEbEEELb0ELb0EEENS1_16block_id_wrapperIjLb0EEEEEvT_jjPNSB_10value_typeET0_
    .private_segment_fixed_size: 0
    .sgpr_count:     17
    .sgpr_spill_count: 0
    .symbol:         _ZN7rocprim17ROCPRIM_400000_NS6detail30init_device_scan_by_key_kernelINS1_19lookback_scan_stateINS0_5tupleIJ11FixedVectorIiLj8EEbEEELb0ELb0EEENS1_16block_id_wrapperIjLb0EEEEEvT_jjPNSB_10value_typeET0_.kd
    .uniform_work_group_size: 1
    .uses_dynamic_stack: false
    .vgpr_count:     12
    .vgpr_spill_count: 0
    .wavefront_size: 32
  - .args:
      - .offset:         0
        .size:           160
        .value_kind:     by_value
    .group_segment_fixed_size: 33792
    .kernarg_segment_align: 8
    .kernarg_segment_size: 160
    .language:       OpenCL C
    .language_version:
      - 2
      - 0
    .max_flat_workgroup_size: 256
    .name:           _ZN7rocprim17ROCPRIM_400000_NS6detail17trampoline_kernelINS0_14default_configENS1_27scan_by_key_config_selectorIj11FixedVectorIiLj8EEEEZZNS1_16scan_by_key_implILNS1_25lookback_scan_determinismE0ELb0ES3_N6thrust23THRUST_200600_302600_NS6detail15normal_iteratorINSB_10device_ptrIjEEEENSD_INSE_IS6_EEEESI_S6_NSB_4plusIvEENSB_8equal_toIvEES6_EE10hipError_tPvRmT2_T3_T4_T5_mT6_T7_P12ihipStream_tbENKUlT_T0_E_clISt17integral_constantIbLb0EES13_EEDaSY_SZ_EUlSY_E_NS1_11comp_targetILNS1_3genE0ELNS1_11target_archE4294967295ELNS1_3gpuE0ELNS1_3repE0EEENS1_30default_config_static_selectorELNS0_4arch9wavefront6targetE0EEEvT1_
    .private_segment_fixed_size: 400
    .sgpr_count:     46
    .sgpr_spill_count: 0
    .symbol:         _ZN7rocprim17ROCPRIM_400000_NS6detail17trampoline_kernelINS0_14default_configENS1_27scan_by_key_config_selectorIj11FixedVectorIiLj8EEEEZZNS1_16scan_by_key_implILNS1_25lookback_scan_determinismE0ELb0ES3_N6thrust23THRUST_200600_302600_NS6detail15normal_iteratorINSB_10device_ptrIjEEEENSD_INSE_IS6_EEEESI_S6_NSB_4plusIvEENSB_8equal_toIvEES6_EE10hipError_tPvRmT2_T3_T4_T5_mT6_T7_P12ihipStream_tbENKUlT_T0_E_clISt17integral_constantIbLb0EES13_EEDaSY_SZ_EUlSY_E_NS1_11comp_targetILNS1_3genE0ELNS1_11target_archE4294967295ELNS1_3gpuE0ELNS1_3repE0EEENS1_30default_config_static_selectorELNS0_4arch9wavefront6targetE0EEEvT1_.kd
    .uniform_work_group_size: 1
    .uses_dynamic_stack: false
    .vgpr_count:     47
    .vgpr_spill_count: 0
    .wavefront_size: 32
  - .args:
      - .offset:         0
        .size:           160
        .value_kind:     by_value
    .group_segment_fixed_size: 0
    .kernarg_segment_align: 8
    .kernarg_segment_size: 160
    .language:       OpenCL C
    .language_version:
      - 2
      - 0
    .max_flat_workgroup_size: 256
    .name:           _ZN7rocprim17ROCPRIM_400000_NS6detail17trampoline_kernelINS0_14default_configENS1_27scan_by_key_config_selectorIj11FixedVectorIiLj8EEEEZZNS1_16scan_by_key_implILNS1_25lookback_scan_determinismE0ELb0ES3_N6thrust23THRUST_200600_302600_NS6detail15normal_iteratorINSB_10device_ptrIjEEEENSD_INSE_IS6_EEEESI_S6_NSB_4plusIvEENSB_8equal_toIvEES6_EE10hipError_tPvRmT2_T3_T4_T5_mT6_T7_P12ihipStream_tbENKUlT_T0_E_clISt17integral_constantIbLb0EES13_EEDaSY_SZ_EUlSY_E_NS1_11comp_targetILNS1_3genE10ELNS1_11target_archE1201ELNS1_3gpuE5ELNS1_3repE0EEENS1_30default_config_static_selectorELNS0_4arch9wavefront6targetE0EEEvT1_
    .private_segment_fixed_size: 0
    .sgpr_count:     0
    .sgpr_spill_count: 0
    .symbol:         _ZN7rocprim17ROCPRIM_400000_NS6detail17trampoline_kernelINS0_14default_configENS1_27scan_by_key_config_selectorIj11FixedVectorIiLj8EEEEZZNS1_16scan_by_key_implILNS1_25lookback_scan_determinismE0ELb0ES3_N6thrust23THRUST_200600_302600_NS6detail15normal_iteratorINSB_10device_ptrIjEEEENSD_INSE_IS6_EEEESI_S6_NSB_4plusIvEENSB_8equal_toIvEES6_EE10hipError_tPvRmT2_T3_T4_T5_mT6_T7_P12ihipStream_tbENKUlT_T0_E_clISt17integral_constantIbLb0EES13_EEDaSY_SZ_EUlSY_E_NS1_11comp_targetILNS1_3genE10ELNS1_11target_archE1201ELNS1_3gpuE5ELNS1_3repE0EEENS1_30default_config_static_selectorELNS0_4arch9wavefront6targetE0EEEvT1_.kd
    .uniform_work_group_size: 1
    .uses_dynamic_stack: false
    .vgpr_count:     0
    .vgpr_spill_count: 0
    .wavefront_size: 32
  - .args:
      - .offset:         0
        .size:           160
        .value_kind:     by_value
    .group_segment_fixed_size: 0
    .kernarg_segment_align: 8
    .kernarg_segment_size: 160
    .language:       OpenCL C
    .language_version:
      - 2
      - 0
    .max_flat_workgroup_size: 256
    .name:           _ZN7rocprim17ROCPRIM_400000_NS6detail17trampoline_kernelINS0_14default_configENS1_27scan_by_key_config_selectorIj11FixedVectorIiLj8EEEEZZNS1_16scan_by_key_implILNS1_25lookback_scan_determinismE0ELb0ES3_N6thrust23THRUST_200600_302600_NS6detail15normal_iteratorINSB_10device_ptrIjEEEENSD_INSE_IS6_EEEESI_S6_NSB_4plusIvEENSB_8equal_toIvEES6_EE10hipError_tPvRmT2_T3_T4_T5_mT6_T7_P12ihipStream_tbENKUlT_T0_E_clISt17integral_constantIbLb0EES13_EEDaSY_SZ_EUlSY_E_NS1_11comp_targetILNS1_3genE5ELNS1_11target_archE942ELNS1_3gpuE9ELNS1_3repE0EEENS1_30default_config_static_selectorELNS0_4arch9wavefront6targetE0EEEvT1_
    .private_segment_fixed_size: 0
    .sgpr_count:     0
    .sgpr_spill_count: 0
    .symbol:         _ZN7rocprim17ROCPRIM_400000_NS6detail17trampoline_kernelINS0_14default_configENS1_27scan_by_key_config_selectorIj11FixedVectorIiLj8EEEEZZNS1_16scan_by_key_implILNS1_25lookback_scan_determinismE0ELb0ES3_N6thrust23THRUST_200600_302600_NS6detail15normal_iteratorINSB_10device_ptrIjEEEENSD_INSE_IS6_EEEESI_S6_NSB_4plusIvEENSB_8equal_toIvEES6_EE10hipError_tPvRmT2_T3_T4_T5_mT6_T7_P12ihipStream_tbENKUlT_T0_E_clISt17integral_constantIbLb0EES13_EEDaSY_SZ_EUlSY_E_NS1_11comp_targetILNS1_3genE5ELNS1_11target_archE942ELNS1_3gpuE9ELNS1_3repE0EEENS1_30default_config_static_selectorELNS0_4arch9wavefront6targetE0EEEvT1_.kd
    .uniform_work_group_size: 1
    .uses_dynamic_stack: false
    .vgpr_count:     0
    .vgpr_spill_count: 0
    .wavefront_size: 32
  - .args:
      - .offset:         0
        .size:           160
        .value_kind:     by_value
    .group_segment_fixed_size: 0
    .kernarg_segment_align: 8
    .kernarg_segment_size: 160
    .language:       OpenCL C
    .language_version:
      - 2
      - 0
    .max_flat_workgroup_size: 256
    .name:           _ZN7rocprim17ROCPRIM_400000_NS6detail17trampoline_kernelINS0_14default_configENS1_27scan_by_key_config_selectorIj11FixedVectorIiLj8EEEEZZNS1_16scan_by_key_implILNS1_25lookback_scan_determinismE0ELb0ES3_N6thrust23THRUST_200600_302600_NS6detail15normal_iteratorINSB_10device_ptrIjEEEENSD_INSE_IS6_EEEESI_S6_NSB_4plusIvEENSB_8equal_toIvEES6_EE10hipError_tPvRmT2_T3_T4_T5_mT6_T7_P12ihipStream_tbENKUlT_T0_E_clISt17integral_constantIbLb0EES13_EEDaSY_SZ_EUlSY_E_NS1_11comp_targetILNS1_3genE4ELNS1_11target_archE910ELNS1_3gpuE8ELNS1_3repE0EEENS1_30default_config_static_selectorELNS0_4arch9wavefront6targetE0EEEvT1_
    .private_segment_fixed_size: 0
    .sgpr_count:     0
    .sgpr_spill_count: 0
    .symbol:         _ZN7rocprim17ROCPRIM_400000_NS6detail17trampoline_kernelINS0_14default_configENS1_27scan_by_key_config_selectorIj11FixedVectorIiLj8EEEEZZNS1_16scan_by_key_implILNS1_25lookback_scan_determinismE0ELb0ES3_N6thrust23THRUST_200600_302600_NS6detail15normal_iteratorINSB_10device_ptrIjEEEENSD_INSE_IS6_EEEESI_S6_NSB_4plusIvEENSB_8equal_toIvEES6_EE10hipError_tPvRmT2_T3_T4_T5_mT6_T7_P12ihipStream_tbENKUlT_T0_E_clISt17integral_constantIbLb0EES13_EEDaSY_SZ_EUlSY_E_NS1_11comp_targetILNS1_3genE4ELNS1_11target_archE910ELNS1_3gpuE8ELNS1_3repE0EEENS1_30default_config_static_selectorELNS0_4arch9wavefront6targetE0EEEvT1_.kd
    .uniform_work_group_size: 1
    .uses_dynamic_stack: false
    .vgpr_count:     0
    .vgpr_spill_count: 0
    .wavefront_size: 32
  - .args:
      - .offset:         0
        .size:           160
        .value_kind:     by_value
    .group_segment_fixed_size: 0
    .kernarg_segment_align: 8
    .kernarg_segment_size: 160
    .language:       OpenCL C
    .language_version:
      - 2
      - 0
    .max_flat_workgroup_size: 256
    .name:           _ZN7rocprim17ROCPRIM_400000_NS6detail17trampoline_kernelINS0_14default_configENS1_27scan_by_key_config_selectorIj11FixedVectorIiLj8EEEEZZNS1_16scan_by_key_implILNS1_25lookback_scan_determinismE0ELb0ES3_N6thrust23THRUST_200600_302600_NS6detail15normal_iteratorINSB_10device_ptrIjEEEENSD_INSE_IS6_EEEESI_S6_NSB_4plusIvEENSB_8equal_toIvEES6_EE10hipError_tPvRmT2_T3_T4_T5_mT6_T7_P12ihipStream_tbENKUlT_T0_E_clISt17integral_constantIbLb0EES13_EEDaSY_SZ_EUlSY_E_NS1_11comp_targetILNS1_3genE3ELNS1_11target_archE908ELNS1_3gpuE7ELNS1_3repE0EEENS1_30default_config_static_selectorELNS0_4arch9wavefront6targetE0EEEvT1_
    .private_segment_fixed_size: 0
    .sgpr_count:     0
    .sgpr_spill_count: 0
    .symbol:         _ZN7rocprim17ROCPRIM_400000_NS6detail17trampoline_kernelINS0_14default_configENS1_27scan_by_key_config_selectorIj11FixedVectorIiLj8EEEEZZNS1_16scan_by_key_implILNS1_25lookback_scan_determinismE0ELb0ES3_N6thrust23THRUST_200600_302600_NS6detail15normal_iteratorINSB_10device_ptrIjEEEENSD_INSE_IS6_EEEESI_S6_NSB_4plusIvEENSB_8equal_toIvEES6_EE10hipError_tPvRmT2_T3_T4_T5_mT6_T7_P12ihipStream_tbENKUlT_T0_E_clISt17integral_constantIbLb0EES13_EEDaSY_SZ_EUlSY_E_NS1_11comp_targetILNS1_3genE3ELNS1_11target_archE908ELNS1_3gpuE7ELNS1_3repE0EEENS1_30default_config_static_selectorELNS0_4arch9wavefront6targetE0EEEvT1_.kd
    .uniform_work_group_size: 1
    .uses_dynamic_stack: false
    .vgpr_count:     0
    .vgpr_spill_count: 0
    .wavefront_size: 32
  - .args:
      - .offset:         0
        .size:           160
        .value_kind:     by_value
    .group_segment_fixed_size: 0
    .kernarg_segment_align: 8
    .kernarg_segment_size: 160
    .language:       OpenCL C
    .language_version:
      - 2
      - 0
    .max_flat_workgroup_size: 256
    .name:           _ZN7rocprim17ROCPRIM_400000_NS6detail17trampoline_kernelINS0_14default_configENS1_27scan_by_key_config_selectorIj11FixedVectorIiLj8EEEEZZNS1_16scan_by_key_implILNS1_25lookback_scan_determinismE0ELb0ES3_N6thrust23THRUST_200600_302600_NS6detail15normal_iteratorINSB_10device_ptrIjEEEENSD_INSE_IS6_EEEESI_S6_NSB_4plusIvEENSB_8equal_toIvEES6_EE10hipError_tPvRmT2_T3_T4_T5_mT6_T7_P12ihipStream_tbENKUlT_T0_E_clISt17integral_constantIbLb0EES13_EEDaSY_SZ_EUlSY_E_NS1_11comp_targetILNS1_3genE2ELNS1_11target_archE906ELNS1_3gpuE6ELNS1_3repE0EEENS1_30default_config_static_selectorELNS0_4arch9wavefront6targetE0EEEvT1_
    .private_segment_fixed_size: 0
    .sgpr_count:     0
    .sgpr_spill_count: 0
    .symbol:         _ZN7rocprim17ROCPRIM_400000_NS6detail17trampoline_kernelINS0_14default_configENS1_27scan_by_key_config_selectorIj11FixedVectorIiLj8EEEEZZNS1_16scan_by_key_implILNS1_25lookback_scan_determinismE0ELb0ES3_N6thrust23THRUST_200600_302600_NS6detail15normal_iteratorINSB_10device_ptrIjEEEENSD_INSE_IS6_EEEESI_S6_NSB_4plusIvEENSB_8equal_toIvEES6_EE10hipError_tPvRmT2_T3_T4_T5_mT6_T7_P12ihipStream_tbENKUlT_T0_E_clISt17integral_constantIbLb0EES13_EEDaSY_SZ_EUlSY_E_NS1_11comp_targetILNS1_3genE2ELNS1_11target_archE906ELNS1_3gpuE6ELNS1_3repE0EEENS1_30default_config_static_selectorELNS0_4arch9wavefront6targetE0EEEvT1_.kd
    .uniform_work_group_size: 1
    .uses_dynamic_stack: false
    .vgpr_count:     0
    .vgpr_spill_count: 0
    .wavefront_size: 32
  - .args:
      - .offset:         0
        .size:           160
        .value_kind:     by_value
    .group_segment_fixed_size: 0
    .kernarg_segment_align: 8
    .kernarg_segment_size: 160
    .language:       OpenCL C
    .language_version:
      - 2
      - 0
    .max_flat_workgroup_size: 256
    .name:           _ZN7rocprim17ROCPRIM_400000_NS6detail17trampoline_kernelINS0_14default_configENS1_27scan_by_key_config_selectorIj11FixedVectorIiLj8EEEEZZNS1_16scan_by_key_implILNS1_25lookback_scan_determinismE0ELb0ES3_N6thrust23THRUST_200600_302600_NS6detail15normal_iteratorINSB_10device_ptrIjEEEENSD_INSE_IS6_EEEESI_S6_NSB_4plusIvEENSB_8equal_toIvEES6_EE10hipError_tPvRmT2_T3_T4_T5_mT6_T7_P12ihipStream_tbENKUlT_T0_E_clISt17integral_constantIbLb0EES13_EEDaSY_SZ_EUlSY_E_NS1_11comp_targetILNS1_3genE10ELNS1_11target_archE1200ELNS1_3gpuE4ELNS1_3repE0EEENS1_30default_config_static_selectorELNS0_4arch9wavefront6targetE0EEEvT1_
    .private_segment_fixed_size: 0
    .sgpr_count:     0
    .sgpr_spill_count: 0
    .symbol:         _ZN7rocprim17ROCPRIM_400000_NS6detail17trampoline_kernelINS0_14default_configENS1_27scan_by_key_config_selectorIj11FixedVectorIiLj8EEEEZZNS1_16scan_by_key_implILNS1_25lookback_scan_determinismE0ELb0ES3_N6thrust23THRUST_200600_302600_NS6detail15normal_iteratorINSB_10device_ptrIjEEEENSD_INSE_IS6_EEEESI_S6_NSB_4plusIvEENSB_8equal_toIvEES6_EE10hipError_tPvRmT2_T3_T4_T5_mT6_T7_P12ihipStream_tbENKUlT_T0_E_clISt17integral_constantIbLb0EES13_EEDaSY_SZ_EUlSY_E_NS1_11comp_targetILNS1_3genE10ELNS1_11target_archE1200ELNS1_3gpuE4ELNS1_3repE0EEENS1_30default_config_static_selectorELNS0_4arch9wavefront6targetE0EEEvT1_.kd
    .uniform_work_group_size: 1
    .uses_dynamic_stack: false
    .vgpr_count:     0
    .vgpr_spill_count: 0
    .wavefront_size: 32
  - .args:
      - .offset:         0
        .size:           160
        .value_kind:     by_value
    .group_segment_fixed_size: 0
    .kernarg_segment_align: 8
    .kernarg_segment_size: 160
    .language:       OpenCL C
    .language_version:
      - 2
      - 0
    .max_flat_workgroup_size: 256
    .name:           _ZN7rocprim17ROCPRIM_400000_NS6detail17trampoline_kernelINS0_14default_configENS1_27scan_by_key_config_selectorIj11FixedVectorIiLj8EEEEZZNS1_16scan_by_key_implILNS1_25lookback_scan_determinismE0ELb0ES3_N6thrust23THRUST_200600_302600_NS6detail15normal_iteratorINSB_10device_ptrIjEEEENSD_INSE_IS6_EEEESI_S6_NSB_4plusIvEENSB_8equal_toIvEES6_EE10hipError_tPvRmT2_T3_T4_T5_mT6_T7_P12ihipStream_tbENKUlT_T0_E_clISt17integral_constantIbLb0EES13_EEDaSY_SZ_EUlSY_E_NS1_11comp_targetILNS1_3genE9ELNS1_11target_archE1100ELNS1_3gpuE3ELNS1_3repE0EEENS1_30default_config_static_selectorELNS0_4arch9wavefront6targetE0EEEvT1_
    .private_segment_fixed_size: 0
    .sgpr_count:     0
    .sgpr_spill_count: 0
    .symbol:         _ZN7rocprim17ROCPRIM_400000_NS6detail17trampoline_kernelINS0_14default_configENS1_27scan_by_key_config_selectorIj11FixedVectorIiLj8EEEEZZNS1_16scan_by_key_implILNS1_25lookback_scan_determinismE0ELb0ES3_N6thrust23THRUST_200600_302600_NS6detail15normal_iteratorINSB_10device_ptrIjEEEENSD_INSE_IS6_EEEESI_S6_NSB_4plusIvEENSB_8equal_toIvEES6_EE10hipError_tPvRmT2_T3_T4_T5_mT6_T7_P12ihipStream_tbENKUlT_T0_E_clISt17integral_constantIbLb0EES13_EEDaSY_SZ_EUlSY_E_NS1_11comp_targetILNS1_3genE9ELNS1_11target_archE1100ELNS1_3gpuE3ELNS1_3repE0EEENS1_30default_config_static_selectorELNS0_4arch9wavefront6targetE0EEEvT1_.kd
    .uniform_work_group_size: 1
    .uses_dynamic_stack: false
    .vgpr_count:     0
    .vgpr_spill_count: 0
    .wavefront_size: 32
  - .args:
      - .offset:         0
        .size:           160
        .value_kind:     by_value
    .group_segment_fixed_size: 0
    .kernarg_segment_align: 8
    .kernarg_segment_size: 160
    .language:       OpenCL C
    .language_version:
      - 2
      - 0
    .max_flat_workgroup_size: 256
    .name:           _ZN7rocprim17ROCPRIM_400000_NS6detail17trampoline_kernelINS0_14default_configENS1_27scan_by_key_config_selectorIj11FixedVectorIiLj8EEEEZZNS1_16scan_by_key_implILNS1_25lookback_scan_determinismE0ELb0ES3_N6thrust23THRUST_200600_302600_NS6detail15normal_iteratorINSB_10device_ptrIjEEEENSD_INSE_IS6_EEEESI_S6_NSB_4plusIvEENSB_8equal_toIvEES6_EE10hipError_tPvRmT2_T3_T4_T5_mT6_T7_P12ihipStream_tbENKUlT_T0_E_clISt17integral_constantIbLb0EES13_EEDaSY_SZ_EUlSY_E_NS1_11comp_targetILNS1_3genE8ELNS1_11target_archE1030ELNS1_3gpuE2ELNS1_3repE0EEENS1_30default_config_static_selectorELNS0_4arch9wavefront6targetE0EEEvT1_
    .private_segment_fixed_size: 0
    .sgpr_count:     0
    .sgpr_spill_count: 0
    .symbol:         _ZN7rocprim17ROCPRIM_400000_NS6detail17trampoline_kernelINS0_14default_configENS1_27scan_by_key_config_selectorIj11FixedVectorIiLj8EEEEZZNS1_16scan_by_key_implILNS1_25lookback_scan_determinismE0ELb0ES3_N6thrust23THRUST_200600_302600_NS6detail15normal_iteratorINSB_10device_ptrIjEEEENSD_INSE_IS6_EEEESI_S6_NSB_4plusIvEENSB_8equal_toIvEES6_EE10hipError_tPvRmT2_T3_T4_T5_mT6_T7_P12ihipStream_tbENKUlT_T0_E_clISt17integral_constantIbLb0EES13_EEDaSY_SZ_EUlSY_E_NS1_11comp_targetILNS1_3genE8ELNS1_11target_archE1030ELNS1_3gpuE2ELNS1_3repE0EEENS1_30default_config_static_selectorELNS0_4arch9wavefront6targetE0EEEvT1_.kd
    .uniform_work_group_size: 1
    .uses_dynamic_stack: false
    .vgpr_count:     0
    .vgpr_spill_count: 0
    .wavefront_size: 32
  - .args:
      - .offset:         0
        .size:           24
        .value_kind:     by_value
      - .offset:         24
        .size:           4
        .value_kind:     by_value
      - .offset:         28
        .size:           4
        .value_kind:     by_value
      - .address_space:  global
        .offset:         32
        .size:           8
        .value_kind:     global_buffer
      - .address_space:  global
        .offset:         40
        .size:           8
        .value_kind:     global_buffer
      - .actual_access:  write_only
        .address_space:  global
        .offset:         48
        .size:           8
        .value_kind:     global_buffer
      - .offset:         56
        .size:           8
        .value_kind:     by_value
      - .offset:         64
        .size:           4
        .value_kind:     by_value
      - .address_space:  global
        .offset:         72
        .size:           8
        .value_kind:     global_buffer
      - .offset:         80
        .size:           4
        .value_kind:     hidden_block_count_x
      - .offset:         84
        .size:           4
        .value_kind:     hidden_block_count_y
      - .offset:         88
        .size:           4
        .value_kind:     hidden_block_count_z
      - .offset:         92
        .size:           2
        .value_kind:     hidden_group_size_x
      - .offset:         94
        .size:           2
        .value_kind:     hidden_group_size_y
      - .offset:         96
        .size:           2
        .value_kind:     hidden_group_size_z
      - .offset:         98
        .size:           2
        .value_kind:     hidden_remainder_x
      - .offset:         100
        .size:           2
        .value_kind:     hidden_remainder_y
      - .offset:         102
        .size:           2
        .value_kind:     hidden_remainder_z
      - .offset:         120
        .size:           8
        .value_kind:     hidden_global_offset_x
      - .offset:         128
        .size:           8
        .value_kind:     hidden_global_offset_y
      - .offset:         136
        .size:           8
        .value_kind:     hidden_global_offset_z
      - .offset:         144
        .size:           2
        .value_kind:     hidden_grid_dims
    .group_segment_fixed_size: 9216
    .kernarg_segment_align: 8
    .kernarg_segment_size: 336
    .language:       OpenCL C
    .language_version:
      - 2
      - 0
    .max_flat_workgroup_size: 256
    .name:           _ZN7rocprim17ROCPRIM_400000_NS6detail30init_device_scan_by_key_kernelINS1_19lookback_scan_stateINS0_5tupleIJ11FixedVectorIiLj8EEbEEELb1ELb0EEEN6thrust23THRUST_200600_302600_NS6detail15normal_iteratorINSA_10device_ptrIjEEEEjNS1_16block_id_wrapperIjLb1EEEEEvT_jjPNSI_10value_typeET0_PNSt15iterator_traitsISL_E10value_typeEmT1_T2_
    .private_segment_fixed_size: 0
    .sgpr_count:     24
    .sgpr_spill_count: 0
    .symbol:         _ZN7rocprim17ROCPRIM_400000_NS6detail30init_device_scan_by_key_kernelINS1_19lookback_scan_stateINS0_5tupleIJ11FixedVectorIiLj8EEbEEELb1ELb0EEEN6thrust23THRUST_200600_302600_NS6detail15normal_iteratorINSA_10device_ptrIjEEEEjNS1_16block_id_wrapperIjLb1EEEEEvT_jjPNSI_10value_typeET0_PNSt15iterator_traitsISL_E10value_typeEmT1_T2_.kd
    .uniform_work_group_size: 1
    .uses_dynamic_stack: false
    .vgpr_count:     12
    .vgpr_spill_count: 0
    .wavefront_size: 32
  - .args:
      - .offset:         0
        .size:           24
        .value_kind:     by_value
      - .offset:         24
        .size:           4
        .value_kind:     by_value
      - .offset:         28
        .size:           4
        .value_kind:     by_value
      - .address_space:  global
        .offset:         32
        .size:           8
        .value_kind:     global_buffer
      - .address_space:  global
        .offset:         40
        .size:           8
        .value_kind:     global_buffer
      - .offset:         48
        .size:           4
        .value_kind:     hidden_block_count_x
      - .offset:         52
        .size:           4
        .value_kind:     hidden_block_count_y
      - .offset:         56
        .size:           4
        .value_kind:     hidden_block_count_z
      - .offset:         60
        .size:           2
        .value_kind:     hidden_group_size_x
      - .offset:         62
        .size:           2
        .value_kind:     hidden_group_size_y
      - .offset:         64
        .size:           2
        .value_kind:     hidden_group_size_z
      - .offset:         66
        .size:           2
        .value_kind:     hidden_remainder_x
      - .offset:         68
        .size:           2
        .value_kind:     hidden_remainder_y
      - .offset:         70
        .size:           2
        .value_kind:     hidden_remainder_z
      - .offset:         88
        .size:           8
        .value_kind:     hidden_global_offset_x
      - .offset:         96
        .size:           8
        .value_kind:     hidden_global_offset_y
      - .offset:         104
        .size:           8
        .value_kind:     hidden_global_offset_z
      - .offset:         112
        .size:           2
        .value_kind:     hidden_grid_dims
    .group_segment_fixed_size: 9216
    .kernarg_segment_align: 8
    .kernarg_segment_size: 304
    .language:       OpenCL C
    .language_version:
      - 2
      - 0
    .max_flat_workgroup_size: 256
    .name:           _ZN7rocprim17ROCPRIM_400000_NS6detail30init_device_scan_by_key_kernelINS1_19lookback_scan_stateINS0_5tupleIJ11FixedVectorIiLj8EEbEEELb1ELb0EEENS1_16block_id_wrapperIjLb1EEEEEvT_jjPNSB_10value_typeET0_
    .private_segment_fixed_size: 0
    .sgpr_count:     20
    .sgpr_spill_count: 0
    .symbol:         _ZN7rocprim17ROCPRIM_400000_NS6detail30init_device_scan_by_key_kernelINS1_19lookback_scan_stateINS0_5tupleIJ11FixedVectorIiLj8EEbEEELb1ELb0EEENS1_16block_id_wrapperIjLb1EEEEEvT_jjPNSB_10value_typeET0_.kd
    .uniform_work_group_size: 1
    .uses_dynamic_stack: false
    .vgpr_count:     12
    .vgpr_spill_count: 0
    .wavefront_size: 32
  - .args:
      - .offset:         0
        .size:           160
        .value_kind:     by_value
    .group_segment_fixed_size: 0
    .kernarg_segment_align: 8
    .kernarg_segment_size: 160
    .language:       OpenCL C
    .language_version:
      - 2
      - 0
    .max_flat_workgroup_size: 256
    .name:           _ZN7rocprim17ROCPRIM_400000_NS6detail17trampoline_kernelINS0_14default_configENS1_27scan_by_key_config_selectorIj11FixedVectorIiLj8EEEEZZNS1_16scan_by_key_implILNS1_25lookback_scan_determinismE0ELb0ES3_N6thrust23THRUST_200600_302600_NS6detail15normal_iteratorINSB_10device_ptrIjEEEENSD_INSE_IS6_EEEESI_S6_NSB_4plusIvEENSB_8equal_toIvEES6_EE10hipError_tPvRmT2_T3_T4_T5_mT6_T7_P12ihipStream_tbENKUlT_T0_E_clISt17integral_constantIbLb1EES13_EEDaSY_SZ_EUlSY_E_NS1_11comp_targetILNS1_3genE0ELNS1_11target_archE4294967295ELNS1_3gpuE0ELNS1_3repE0EEENS1_30default_config_static_selectorELNS0_4arch9wavefront6targetE0EEEvT1_
    .private_segment_fixed_size: 0
    .sgpr_count:     0
    .sgpr_spill_count: 0
    .symbol:         _ZN7rocprim17ROCPRIM_400000_NS6detail17trampoline_kernelINS0_14default_configENS1_27scan_by_key_config_selectorIj11FixedVectorIiLj8EEEEZZNS1_16scan_by_key_implILNS1_25lookback_scan_determinismE0ELb0ES3_N6thrust23THRUST_200600_302600_NS6detail15normal_iteratorINSB_10device_ptrIjEEEENSD_INSE_IS6_EEEESI_S6_NSB_4plusIvEENSB_8equal_toIvEES6_EE10hipError_tPvRmT2_T3_T4_T5_mT6_T7_P12ihipStream_tbENKUlT_T0_E_clISt17integral_constantIbLb1EES13_EEDaSY_SZ_EUlSY_E_NS1_11comp_targetILNS1_3genE0ELNS1_11target_archE4294967295ELNS1_3gpuE0ELNS1_3repE0EEENS1_30default_config_static_selectorELNS0_4arch9wavefront6targetE0EEEvT1_.kd
    .uniform_work_group_size: 1
    .uses_dynamic_stack: false
    .vgpr_count:     0
    .vgpr_spill_count: 0
    .wavefront_size: 32
  - .args:
      - .offset:         0
        .size:           160
        .value_kind:     by_value
    .group_segment_fixed_size: 0
    .kernarg_segment_align: 8
    .kernarg_segment_size: 160
    .language:       OpenCL C
    .language_version:
      - 2
      - 0
    .max_flat_workgroup_size: 256
    .name:           _ZN7rocprim17ROCPRIM_400000_NS6detail17trampoline_kernelINS0_14default_configENS1_27scan_by_key_config_selectorIj11FixedVectorIiLj8EEEEZZNS1_16scan_by_key_implILNS1_25lookback_scan_determinismE0ELb0ES3_N6thrust23THRUST_200600_302600_NS6detail15normal_iteratorINSB_10device_ptrIjEEEENSD_INSE_IS6_EEEESI_S6_NSB_4plusIvEENSB_8equal_toIvEES6_EE10hipError_tPvRmT2_T3_T4_T5_mT6_T7_P12ihipStream_tbENKUlT_T0_E_clISt17integral_constantIbLb1EES13_EEDaSY_SZ_EUlSY_E_NS1_11comp_targetILNS1_3genE10ELNS1_11target_archE1201ELNS1_3gpuE5ELNS1_3repE0EEENS1_30default_config_static_selectorELNS0_4arch9wavefront6targetE0EEEvT1_
    .private_segment_fixed_size: 0
    .sgpr_count:     0
    .sgpr_spill_count: 0
    .symbol:         _ZN7rocprim17ROCPRIM_400000_NS6detail17trampoline_kernelINS0_14default_configENS1_27scan_by_key_config_selectorIj11FixedVectorIiLj8EEEEZZNS1_16scan_by_key_implILNS1_25lookback_scan_determinismE0ELb0ES3_N6thrust23THRUST_200600_302600_NS6detail15normal_iteratorINSB_10device_ptrIjEEEENSD_INSE_IS6_EEEESI_S6_NSB_4plusIvEENSB_8equal_toIvEES6_EE10hipError_tPvRmT2_T3_T4_T5_mT6_T7_P12ihipStream_tbENKUlT_T0_E_clISt17integral_constantIbLb1EES13_EEDaSY_SZ_EUlSY_E_NS1_11comp_targetILNS1_3genE10ELNS1_11target_archE1201ELNS1_3gpuE5ELNS1_3repE0EEENS1_30default_config_static_selectorELNS0_4arch9wavefront6targetE0EEEvT1_.kd
    .uniform_work_group_size: 1
    .uses_dynamic_stack: false
    .vgpr_count:     0
    .vgpr_spill_count: 0
    .wavefront_size: 32
  - .args:
      - .offset:         0
        .size:           160
        .value_kind:     by_value
    .group_segment_fixed_size: 0
    .kernarg_segment_align: 8
    .kernarg_segment_size: 160
    .language:       OpenCL C
    .language_version:
      - 2
      - 0
    .max_flat_workgroup_size: 256
    .name:           _ZN7rocprim17ROCPRIM_400000_NS6detail17trampoline_kernelINS0_14default_configENS1_27scan_by_key_config_selectorIj11FixedVectorIiLj8EEEEZZNS1_16scan_by_key_implILNS1_25lookback_scan_determinismE0ELb0ES3_N6thrust23THRUST_200600_302600_NS6detail15normal_iteratorINSB_10device_ptrIjEEEENSD_INSE_IS6_EEEESI_S6_NSB_4plusIvEENSB_8equal_toIvEES6_EE10hipError_tPvRmT2_T3_T4_T5_mT6_T7_P12ihipStream_tbENKUlT_T0_E_clISt17integral_constantIbLb1EES13_EEDaSY_SZ_EUlSY_E_NS1_11comp_targetILNS1_3genE5ELNS1_11target_archE942ELNS1_3gpuE9ELNS1_3repE0EEENS1_30default_config_static_selectorELNS0_4arch9wavefront6targetE0EEEvT1_
    .private_segment_fixed_size: 0
    .sgpr_count:     0
    .sgpr_spill_count: 0
    .symbol:         _ZN7rocprim17ROCPRIM_400000_NS6detail17trampoline_kernelINS0_14default_configENS1_27scan_by_key_config_selectorIj11FixedVectorIiLj8EEEEZZNS1_16scan_by_key_implILNS1_25lookback_scan_determinismE0ELb0ES3_N6thrust23THRUST_200600_302600_NS6detail15normal_iteratorINSB_10device_ptrIjEEEENSD_INSE_IS6_EEEESI_S6_NSB_4plusIvEENSB_8equal_toIvEES6_EE10hipError_tPvRmT2_T3_T4_T5_mT6_T7_P12ihipStream_tbENKUlT_T0_E_clISt17integral_constantIbLb1EES13_EEDaSY_SZ_EUlSY_E_NS1_11comp_targetILNS1_3genE5ELNS1_11target_archE942ELNS1_3gpuE9ELNS1_3repE0EEENS1_30default_config_static_selectorELNS0_4arch9wavefront6targetE0EEEvT1_.kd
    .uniform_work_group_size: 1
    .uses_dynamic_stack: false
    .vgpr_count:     0
    .vgpr_spill_count: 0
    .wavefront_size: 32
  - .args:
      - .offset:         0
        .size:           160
        .value_kind:     by_value
    .group_segment_fixed_size: 0
    .kernarg_segment_align: 8
    .kernarg_segment_size: 160
    .language:       OpenCL C
    .language_version:
      - 2
      - 0
    .max_flat_workgroup_size: 256
    .name:           _ZN7rocprim17ROCPRIM_400000_NS6detail17trampoline_kernelINS0_14default_configENS1_27scan_by_key_config_selectorIj11FixedVectorIiLj8EEEEZZNS1_16scan_by_key_implILNS1_25lookback_scan_determinismE0ELb0ES3_N6thrust23THRUST_200600_302600_NS6detail15normal_iteratorINSB_10device_ptrIjEEEENSD_INSE_IS6_EEEESI_S6_NSB_4plusIvEENSB_8equal_toIvEES6_EE10hipError_tPvRmT2_T3_T4_T5_mT6_T7_P12ihipStream_tbENKUlT_T0_E_clISt17integral_constantIbLb1EES13_EEDaSY_SZ_EUlSY_E_NS1_11comp_targetILNS1_3genE4ELNS1_11target_archE910ELNS1_3gpuE8ELNS1_3repE0EEENS1_30default_config_static_selectorELNS0_4arch9wavefront6targetE0EEEvT1_
    .private_segment_fixed_size: 0
    .sgpr_count:     0
    .sgpr_spill_count: 0
    .symbol:         _ZN7rocprim17ROCPRIM_400000_NS6detail17trampoline_kernelINS0_14default_configENS1_27scan_by_key_config_selectorIj11FixedVectorIiLj8EEEEZZNS1_16scan_by_key_implILNS1_25lookback_scan_determinismE0ELb0ES3_N6thrust23THRUST_200600_302600_NS6detail15normal_iteratorINSB_10device_ptrIjEEEENSD_INSE_IS6_EEEESI_S6_NSB_4plusIvEENSB_8equal_toIvEES6_EE10hipError_tPvRmT2_T3_T4_T5_mT6_T7_P12ihipStream_tbENKUlT_T0_E_clISt17integral_constantIbLb1EES13_EEDaSY_SZ_EUlSY_E_NS1_11comp_targetILNS1_3genE4ELNS1_11target_archE910ELNS1_3gpuE8ELNS1_3repE0EEENS1_30default_config_static_selectorELNS0_4arch9wavefront6targetE0EEEvT1_.kd
    .uniform_work_group_size: 1
    .uses_dynamic_stack: false
    .vgpr_count:     0
    .vgpr_spill_count: 0
    .wavefront_size: 32
  - .args:
      - .offset:         0
        .size:           160
        .value_kind:     by_value
    .group_segment_fixed_size: 0
    .kernarg_segment_align: 8
    .kernarg_segment_size: 160
    .language:       OpenCL C
    .language_version:
      - 2
      - 0
    .max_flat_workgroup_size: 256
    .name:           _ZN7rocprim17ROCPRIM_400000_NS6detail17trampoline_kernelINS0_14default_configENS1_27scan_by_key_config_selectorIj11FixedVectorIiLj8EEEEZZNS1_16scan_by_key_implILNS1_25lookback_scan_determinismE0ELb0ES3_N6thrust23THRUST_200600_302600_NS6detail15normal_iteratorINSB_10device_ptrIjEEEENSD_INSE_IS6_EEEESI_S6_NSB_4plusIvEENSB_8equal_toIvEES6_EE10hipError_tPvRmT2_T3_T4_T5_mT6_T7_P12ihipStream_tbENKUlT_T0_E_clISt17integral_constantIbLb1EES13_EEDaSY_SZ_EUlSY_E_NS1_11comp_targetILNS1_3genE3ELNS1_11target_archE908ELNS1_3gpuE7ELNS1_3repE0EEENS1_30default_config_static_selectorELNS0_4arch9wavefront6targetE0EEEvT1_
    .private_segment_fixed_size: 0
    .sgpr_count:     0
    .sgpr_spill_count: 0
    .symbol:         _ZN7rocprim17ROCPRIM_400000_NS6detail17trampoline_kernelINS0_14default_configENS1_27scan_by_key_config_selectorIj11FixedVectorIiLj8EEEEZZNS1_16scan_by_key_implILNS1_25lookback_scan_determinismE0ELb0ES3_N6thrust23THRUST_200600_302600_NS6detail15normal_iteratorINSB_10device_ptrIjEEEENSD_INSE_IS6_EEEESI_S6_NSB_4plusIvEENSB_8equal_toIvEES6_EE10hipError_tPvRmT2_T3_T4_T5_mT6_T7_P12ihipStream_tbENKUlT_T0_E_clISt17integral_constantIbLb1EES13_EEDaSY_SZ_EUlSY_E_NS1_11comp_targetILNS1_3genE3ELNS1_11target_archE908ELNS1_3gpuE7ELNS1_3repE0EEENS1_30default_config_static_selectorELNS0_4arch9wavefront6targetE0EEEvT1_.kd
    .uniform_work_group_size: 1
    .uses_dynamic_stack: false
    .vgpr_count:     0
    .vgpr_spill_count: 0
    .wavefront_size: 32
  - .args:
      - .offset:         0
        .size:           160
        .value_kind:     by_value
    .group_segment_fixed_size: 0
    .kernarg_segment_align: 8
    .kernarg_segment_size: 160
    .language:       OpenCL C
    .language_version:
      - 2
      - 0
    .max_flat_workgroup_size: 256
    .name:           _ZN7rocprim17ROCPRIM_400000_NS6detail17trampoline_kernelINS0_14default_configENS1_27scan_by_key_config_selectorIj11FixedVectorIiLj8EEEEZZNS1_16scan_by_key_implILNS1_25lookback_scan_determinismE0ELb0ES3_N6thrust23THRUST_200600_302600_NS6detail15normal_iteratorINSB_10device_ptrIjEEEENSD_INSE_IS6_EEEESI_S6_NSB_4plusIvEENSB_8equal_toIvEES6_EE10hipError_tPvRmT2_T3_T4_T5_mT6_T7_P12ihipStream_tbENKUlT_T0_E_clISt17integral_constantIbLb1EES13_EEDaSY_SZ_EUlSY_E_NS1_11comp_targetILNS1_3genE2ELNS1_11target_archE906ELNS1_3gpuE6ELNS1_3repE0EEENS1_30default_config_static_selectorELNS0_4arch9wavefront6targetE0EEEvT1_
    .private_segment_fixed_size: 0
    .sgpr_count:     0
    .sgpr_spill_count: 0
    .symbol:         _ZN7rocprim17ROCPRIM_400000_NS6detail17trampoline_kernelINS0_14default_configENS1_27scan_by_key_config_selectorIj11FixedVectorIiLj8EEEEZZNS1_16scan_by_key_implILNS1_25lookback_scan_determinismE0ELb0ES3_N6thrust23THRUST_200600_302600_NS6detail15normal_iteratorINSB_10device_ptrIjEEEENSD_INSE_IS6_EEEESI_S6_NSB_4plusIvEENSB_8equal_toIvEES6_EE10hipError_tPvRmT2_T3_T4_T5_mT6_T7_P12ihipStream_tbENKUlT_T0_E_clISt17integral_constantIbLb1EES13_EEDaSY_SZ_EUlSY_E_NS1_11comp_targetILNS1_3genE2ELNS1_11target_archE906ELNS1_3gpuE6ELNS1_3repE0EEENS1_30default_config_static_selectorELNS0_4arch9wavefront6targetE0EEEvT1_.kd
    .uniform_work_group_size: 1
    .uses_dynamic_stack: false
    .vgpr_count:     0
    .vgpr_spill_count: 0
    .wavefront_size: 32
  - .args:
      - .offset:         0
        .size:           160
        .value_kind:     by_value
    .group_segment_fixed_size: 0
    .kernarg_segment_align: 8
    .kernarg_segment_size: 160
    .language:       OpenCL C
    .language_version:
      - 2
      - 0
    .max_flat_workgroup_size: 256
    .name:           _ZN7rocprim17ROCPRIM_400000_NS6detail17trampoline_kernelINS0_14default_configENS1_27scan_by_key_config_selectorIj11FixedVectorIiLj8EEEEZZNS1_16scan_by_key_implILNS1_25lookback_scan_determinismE0ELb0ES3_N6thrust23THRUST_200600_302600_NS6detail15normal_iteratorINSB_10device_ptrIjEEEENSD_INSE_IS6_EEEESI_S6_NSB_4plusIvEENSB_8equal_toIvEES6_EE10hipError_tPvRmT2_T3_T4_T5_mT6_T7_P12ihipStream_tbENKUlT_T0_E_clISt17integral_constantIbLb1EES13_EEDaSY_SZ_EUlSY_E_NS1_11comp_targetILNS1_3genE10ELNS1_11target_archE1200ELNS1_3gpuE4ELNS1_3repE0EEENS1_30default_config_static_selectorELNS0_4arch9wavefront6targetE0EEEvT1_
    .private_segment_fixed_size: 0
    .sgpr_count:     0
    .sgpr_spill_count: 0
    .symbol:         _ZN7rocprim17ROCPRIM_400000_NS6detail17trampoline_kernelINS0_14default_configENS1_27scan_by_key_config_selectorIj11FixedVectorIiLj8EEEEZZNS1_16scan_by_key_implILNS1_25lookback_scan_determinismE0ELb0ES3_N6thrust23THRUST_200600_302600_NS6detail15normal_iteratorINSB_10device_ptrIjEEEENSD_INSE_IS6_EEEESI_S6_NSB_4plusIvEENSB_8equal_toIvEES6_EE10hipError_tPvRmT2_T3_T4_T5_mT6_T7_P12ihipStream_tbENKUlT_T0_E_clISt17integral_constantIbLb1EES13_EEDaSY_SZ_EUlSY_E_NS1_11comp_targetILNS1_3genE10ELNS1_11target_archE1200ELNS1_3gpuE4ELNS1_3repE0EEENS1_30default_config_static_selectorELNS0_4arch9wavefront6targetE0EEEvT1_.kd
    .uniform_work_group_size: 1
    .uses_dynamic_stack: false
    .vgpr_count:     0
    .vgpr_spill_count: 0
    .wavefront_size: 32
  - .args:
      - .offset:         0
        .size:           160
        .value_kind:     by_value
    .group_segment_fixed_size: 0
    .kernarg_segment_align: 8
    .kernarg_segment_size: 160
    .language:       OpenCL C
    .language_version:
      - 2
      - 0
    .max_flat_workgroup_size: 256
    .name:           _ZN7rocprim17ROCPRIM_400000_NS6detail17trampoline_kernelINS0_14default_configENS1_27scan_by_key_config_selectorIj11FixedVectorIiLj8EEEEZZNS1_16scan_by_key_implILNS1_25lookback_scan_determinismE0ELb0ES3_N6thrust23THRUST_200600_302600_NS6detail15normal_iteratorINSB_10device_ptrIjEEEENSD_INSE_IS6_EEEESI_S6_NSB_4plusIvEENSB_8equal_toIvEES6_EE10hipError_tPvRmT2_T3_T4_T5_mT6_T7_P12ihipStream_tbENKUlT_T0_E_clISt17integral_constantIbLb1EES13_EEDaSY_SZ_EUlSY_E_NS1_11comp_targetILNS1_3genE9ELNS1_11target_archE1100ELNS1_3gpuE3ELNS1_3repE0EEENS1_30default_config_static_selectorELNS0_4arch9wavefront6targetE0EEEvT1_
    .private_segment_fixed_size: 0
    .sgpr_count:     0
    .sgpr_spill_count: 0
    .symbol:         _ZN7rocprim17ROCPRIM_400000_NS6detail17trampoline_kernelINS0_14default_configENS1_27scan_by_key_config_selectorIj11FixedVectorIiLj8EEEEZZNS1_16scan_by_key_implILNS1_25lookback_scan_determinismE0ELb0ES3_N6thrust23THRUST_200600_302600_NS6detail15normal_iteratorINSB_10device_ptrIjEEEENSD_INSE_IS6_EEEESI_S6_NSB_4plusIvEENSB_8equal_toIvEES6_EE10hipError_tPvRmT2_T3_T4_T5_mT6_T7_P12ihipStream_tbENKUlT_T0_E_clISt17integral_constantIbLb1EES13_EEDaSY_SZ_EUlSY_E_NS1_11comp_targetILNS1_3genE9ELNS1_11target_archE1100ELNS1_3gpuE3ELNS1_3repE0EEENS1_30default_config_static_selectorELNS0_4arch9wavefront6targetE0EEEvT1_.kd
    .uniform_work_group_size: 1
    .uses_dynamic_stack: false
    .vgpr_count:     0
    .vgpr_spill_count: 0
    .wavefront_size: 32
  - .args:
      - .offset:         0
        .size:           160
        .value_kind:     by_value
    .group_segment_fixed_size: 0
    .kernarg_segment_align: 8
    .kernarg_segment_size: 160
    .language:       OpenCL C
    .language_version:
      - 2
      - 0
    .max_flat_workgroup_size: 256
    .name:           _ZN7rocprim17ROCPRIM_400000_NS6detail17trampoline_kernelINS0_14default_configENS1_27scan_by_key_config_selectorIj11FixedVectorIiLj8EEEEZZNS1_16scan_by_key_implILNS1_25lookback_scan_determinismE0ELb0ES3_N6thrust23THRUST_200600_302600_NS6detail15normal_iteratorINSB_10device_ptrIjEEEENSD_INSE_IS6_EEEESI_S6_NSB_4plusIvEENSB_8equal_toIvEES6_EE10hipError_tPvRmT2_T3_T4_T5_mT6_T7_P12ihipStream_tbENKUlT_T0_E_clISt17integral_constantIbLb1EES13_EEDaSY_SZ_EUlSY_E_NS1_11comp_targetILNS1_3genE8ELNS1_11target_archE1030ELNS1_3gpuE2ELNS1_3repE0EEENS1_30default_config_static_selectorELNS0_4arch9wavefront6targetE0EEEvT1_
    .private_segment_fixed_size: 0
    .sgpr_count:     0
    .sgpr_spill_count: 0
    .symbol:         _ZN7rocprim17ROCPRIM_400000_NS6detail17trampoline_kernelINS0_14default_configENS1_27scan_by_key_config_selectorIj11FixedVectorIiLj8EEEEZZNS1_16scan_by_key_implILNS1_25lookback_scan_determinismE0ELb0ES3_N6thrust23THRUST_200600_302600_NS6detail15normal_iteratorINSB_10device_ptrIjEEEENSD_INSE_IS6_EEEESI_S6_NSB_4plusIvEENSB_8equal_toIvEES6_EE10hipError_tPvRmT2_T3_T4_T5_mT6_T7_P12ihipStream_tbENKUlT_T0_E_clISt17integral_constantIbLb1EES13_EEDaSY_SZ_EUlSY_E_NS1_11comp_targetILNS1_3genE8ELNS1_11target_archE1030ELNS1_3gpuE2ELNS1_3repE0EEENS1_30default_config_static_selectorELNS0_4arch9wavefront6targetE0EEEvT1_.kd
    .uniform_work_group_size: 1
    .uses_dynamic_stack: false
    .vgpr_count:     0
    .vgpr_spill_count: 0
    .wavefront_size: 32
  - .args:
      - .offset:         0
        .size:           24
        .value_kind:     by_value
      - .offset:         24
        .size:           4
        .value_kind:     by_value
      - .offset:         28
        .size:           4
        .value_kind:     by_value
      - .address_space:  global
        .offset:         32
        .size:           8
        .value_kind:     global_buffer
      - .address_space:  global
        .offset:         40
        .size:           8
        .value_kind:     global_buffer
      - .actual_access:  write_only
        .address_space:  global
        .offset:         48
        .size:           8
        .value_kind:     global_buffer
      - .offset:         56
        .size:           8
        .value_kind:     by_value
      - .offset:         64
        .size:           4
        .value_kind:     by_value
      - .offset:         68
        .size:           1
        .value_kind:     by_value
      - .offset:         72
        .size:           4
        .value_kind:     hidden_block_count_x
      - .offset:         76
        .size:           4
        .value_kind:     hidden_block_count_y
      - .offset:         80
        .size:           4
        .value_kind:     hidden_block_count_z
      - .offset:         84
        .size:           2
        .value_kind:     hidden_group_size_x
      - .offset:         86
        .size:           2
        .value_kind:     hidden_group_size_y
      - .offset:         88
        .size:           2
        .value_kind:     hidden_group_size_z
      - .offset:         90
        .size:           2
        .value_kind:     hidden_remainder_x
      - .offset:         92
        .size:           2
        .value_kind:     hidden_remainder_y
      - .offset:         94
        .size:           2
        .value_kind:     hidden_remainder_z
      - .offset:         112
        .size:           8
        .value_kind:     hidden_global_offset_x
      - .offset:         120
        .size:           8
        .value_kind:     hidden_global_offset_y
      - .offset:         128
        .size:           8
        .value_kind:     hidden_global_offset_z
      - .offset:         136
        .size:           2
        .value_kind:     hidden_grid_dims
    .group_segment_fixed_size: 9216
    .kernarg_segment_align: 8
    .kernarg_segment_size: 328
    .language:       OpenCL C
    .language_version:
      - 2
      - 0
    .max_flat_workgroup_size: 256
    .name:           _ZN7rocprim17ROCPRIM_400000_NS6detail30init_device_scan_by_key_kernelINS1_19lookback_scan_stateINS0_5tupleIJ11FixedVectorIiLj8EEbEEELb1ELb0EEEN6thrust23THRUST_200600_302600_NS6detail15normal_iteratorINSA_10device_ptrIjEEEEjNS1_16block_id_wrapperIjLb0EEEEEvT_jjPNSI_10value_typeET0_PNSt15iterator_traitsISL_E10value_typeEmT1_T2_
    .private_segment_fixed_size: 0
    .sgpr_count:     24
    .sgpr_spill_count: 0
    .symbol:         _ZN7rocprim17ROCPRIM_400000_NS6detail30init_device_scan_by_key_kernelINS1_19lookback_scan_stateINS0_5tupleIJ11FixedVectorIiLj8EEbEEELb1ELb0EEEN6thrust23THRUST_200600_302600_NS6detail15normal_iteratorINSA_10device_ptrIjEEEEjNS1_16block_id_wrapperIjLb0EEEEEvT_jjPNSI_10value_typeET0_PNSt15iterator_traitsISL_E10value_typeEmT1_T2_.kd
    .uniform_work_group_size: 1
    .uses_dynamic_stack: false
    .vgpr_count:     12
    .vgpr_spill_count: 0
    .wavefront_size: 32
  - .args:
      - .offset:         0
        .size:           24
        .value_kind:     by_value
      - .offset:         24
        .size:           4
        .value_kind:     by_value
      - .offset:         28
        .size:           4
        .value_kind:     by_value
      - .address_space:  global
        .offset:         32
        .size:           8
        .value_kind:     global_buffer
      - .offset:         40
        .size:           1
        .value_kind:     by_value
      - .offset:         48
        .size:           4
        .value_kind:     hidden_block_count_x
      - .offset:         52
        .size:           4
        .value_kind:     hidden_block_count_y
      - .offset:         56
        .size:           4
        .value_kind:     hidden_block_count_z
      - .offset:         60
        .size:           2
        .value_kind:     hidden_group_size_x
      - .offset:         62
        .size:           2
        .value_kind:     hidden_group_size_y
      - .offset:         64
        .size:           2
        .value_kind:     hidden_group_size_z
      - .offset:         66
        .size:           2
        .value_kind:     hidden_remainder_x
      - .offset:         68
        .size:           2
        .value_kind:     hidden_remainder_y
      - .offset:         70
        .size:           2
        .value_kind:     hidden_remainder_z
      - .offset:         88
        .size:           8
        .value_kind:     hidden_global_offset_x
      - .offset:         96
        .size:           8
        .value_kind:     hidden_global_offset_y
      - .offset:         104
        .size:           8
        .value_kind:     hidden_global_offset_z
      - .offset:         112
        .size:           2
        .value_kind:     hidden_grid_dims
    .group_segment_fixed_size: 9216
    .kernarg_segment_align: 8
    .kernarg_segment_size: 304
    .language:       OpenCL C
    .language_version:
      - 2
      - 0
    .max_flat_workgroup_size: 256
    .name:           _ZN7rocprim17ROCPRIM_400000_NS6detail30init_device_scan_by_key_kernelINS1_19lookback_scan_stateINS0_5tupleIJ11FixedVectorIiLj8EEbEEELb1ELb0EEENS1_16block_id_wrapperIjLb0EEEEEvT_jjPNSB_10value_typeET0_
    .private_segment_fixed_size: 0
    .sgpr_count:     18
    .sgpr_spill_count: 0
    .symbol:         _ZN7rocprim17ROCPRIM_400000_NS6detail30init_device_scan_by_key_kernelINS1_19lookback_scan_stateINS0_5tupleIJ11FixedVectorIiLj8EEbEEELb1ELb0EEENS1_16block_id_wrapperIjLb0EEEEEvT_jjPNSB_10value_typeET0_.kd
    .uniform_work_group_size: 1
    .uses_dynamic_stack: false
    .vgpr_count:     12
    .vgpr_spill_count: 0
    .wavefront_size: 32
  - .args:
      - .offset:         0
        .size:           160
        .value_kind:     by_value
    .group_segment_fixed_size: 0
    .kernarg_segment_align: 8
    .kernarg_segment_size: 160
    .language:       OpenCL C
    .language_version:
      - 2
      - 0
    .max_flat_workgroup_size: 256
    .name:           _ZN7rocprim17ROCPRIM_400000_NS6detail17trampoline_kernelINS0_14default_configENS1_27scan_by_key_config_selectorIj11FixedVectorIiLj8EEEEZZNS1_16scan_by_key_implILNS1_25lookback_scan_determinismE0ELb0ES3_N6thrust23THRUST_200600_302600_NS6detail15normal_iteratorINSB_10device_ptrIjEEEENSD_INSE_IS6_EEEESI_S6_NSB_4plusIvEENSB_8equal_toIvEES6_EE10hipError_tPvRmT2_T3_T4_T5_mT6_T7_P12ihipStream_tbENKUlT_T0_E_clISt17integral_constantIbLb1EES12_IbLb0EEEEDaSY_SZ_EUlSY_E_NS1_11comp_targetILNS1_3genE0ELNS1_11target_archE4294967295ELNS1_3gpuE0ELNS1_3repE0EEENS1_30default_config_static_selectorELNS0_4arch9wavefront6targetE0EEEvT1_
    .private_segment_fixed_size: 0
    .sgpr_count:     0
    .sgpr_spill_count: 0
    .symbol:         _ZN7rocprim17ROCPRIM_400000_NS6detail17trampoline_kernelINS0_14default_configENS1_27scan_by_key_config_selectorIj11FixedVectorIiLj8EEEEZZNS1_16scan_by_key_implILNS1_25lookback_scan_determinismE0ELb0ES3_N6thrust23THRUST_200600_302600_NS6detail15normal_iteratorINSB_10device_ptrIjEEEENSD_INSE_IS6_EEEESI_S6_NSB_4plusIvEENSB_8equal_toIvEES6_EE10hipError_tPvRmT2_T3_T4_T5_mT6_T7_P12ihipStream_tbENKUlT_T0_E_clISt17integral_constantIbLb1EES12_IbLb0EEEEDaSY_SZ_EUlSY_E_NS1_11comp_targetILNS1_3genE0ELNS1_11target_archE4294967295ELNS1_3gpuE0ELNS1_3repE0EEENS1_30default_config_static_selectorELNS0_4arch9wavefront6targetE0EEEvT1_.kd
    .uniform_work_group_size: 1
    .uses_dynamic_stack: false
    .vgpr_count:     0
    .vgpr_spill_count: 0
    .wavefront_size: 32
  - .args:
      - .offset:         0
        .size:           160
        .value_kind:     by_value
    .group_segment_fixed_size: 0
    .kernarg_segment_align: 8
    .kernarg_segment_size: 160
    .language:       OpenCL C
    .language_version:
      - 2
      - 0
    .max_flat_workgroup_size: 256
    .name:           _ZN7rocprim17ROCPRIM_400000_NS6detail17trampoline_kernelINS0_14default_configENS1_27scan_by_key_config_selectorIj11FixedVectorIiLj8EEEEZZNS1_16scan_by_key_implILNS1_25lookback_scan_determinismE0ELb0ES3_N6thrust23THRUST_200600_302600_NS6detail15normal_iteratorINSB_10device_ptrIjEEEENSD_INSE_IS6_EEEESI_S6_NSB_4plusIvEENSB_8equal_toIvEES6_EE10hipError_tPvRmT2_T3_T4_T5_mT6_T7_P12ihipStream_tbENKUlT_T0_E_clISt17integral_constantIbLb1EES12_IbLb0EEEEDaSY_SZ_EUlSY_E_NS1_11comp_targetILNS1_3genE10ELNS1_11target_archE1201ELNS1_3gpuE5ELNS1_3repE0EEENS1_30default_config_static_selectorELNS0_4arch9wavefront6targetE0EEEvT1_
    .private_segment_fixed_size: 0
    .sgpr_count:     0
    .sgpr_spill_count: 0
    .symbol:         _ZN7rocprim17ROCPRIM_400000_NS6detail17trampoline_kernelINS0_14default_configENS1_27scan_by_key_config_selectorIj11FixedVectorIiLj8EEEEZZNS1_16scan_by_key_implILNS1_25lookback_scan_determinismE0ELb0ES3_N6thrust23THRUST_200600_302600_NS6detail15normal_iteratorINSB_10device_ptrIjEEEENSD_INSE_IS6_EEEESI_S6_NSB_4plusIvEENSB_8equal_toIvEES6_EE10hipError_tPvRmT2_T3_T4_T5_mT6_T7_P12ihipStream_tbENKUlT_T0_E_clISt17integral_constantIbLb1EES12_IbLb0EEEEDaSY_SZ_EUlSY_E_NS1_11comp_targetILNS1_3genE10ELNS1_11target_archE1201ELNS1_3gpuE5ELNS1_3repE0EEENS1_30default_config_static_selectorELNS0_4arch9wavefront6targetE0EEEvT1_.kd
    .uniform_work_group_size: 1
    .uses_dynamic_stack: false
    .vgpr_count:     0
    .vgpr_spill_count: 0
    .wavefront_size: 32
  - .args:
      - .offset:         0
        .size:           160
        .value_kind:     by_value
    .group_segment_fixed_size: 0
    .kernarg_segment_align: 8
    .kernarg_segment_size: 160
    .language:       OpenCL C
    .language_version:
      - 2
      - 0
    .max_flat_workgroup_size: 256
    .name:           _ZN7rocprim17ROCPRIM_400000_NS6detail17trampoline_kernelINS0_14default_configENS1_27scan_by_key_config_selectorIj11FixedVectorIiLj8EEEEZZNS1_16scan_by_key_implILNS1_25lookback_scan_determinismE0ELb0ES3_N6thrust23THRUST_200600_302600_NS6detail15normal_iteratorINSB_10device_ptrIjEEEENSD_INSE_IS6_EEEESI_S6_NSB_4plusIvEENSB_8equal_toIvEES6_EE10hipError_tPvRmT2_T3_T4_T5_mT6_T7_P12ihipStream_tbENKUlT_T0_E_clISt17integral_constantIbLb1EES12_IbLb0EEEEDaSY_SZ_EUlSY_E_NS1_11comp_targetILNS1_3genE5ELNS1_11target_archE942ELNS1_3gpuE9ELNS1_3repE0EEENS1_30default_config_static_selectorELNS0_4arch9wavefront6targetE0EEEvT1_
    .private_segment_fixed_size: 0
    .sgpr_count:     0
    .sgpr_spill_count: 0
    .symbol:         _ZN7rocprim17ROCPRIM_400000_NS6detail17trampoline_kernelINS0_14default_configENS1_27scan_by_key_config_selectorIj11FixedVectorIiLj8EEEEZZNS1_16scan_by_key_implILNS1_25lookback_scan_determinismE0ELb0ES3_N6thrust23THRUST_200600_302600_NS6detail15normal_iteratorINSB_10device_ptrIjEEEENSD_INSE_IS6_EEEESI_S6_NSB_4plusIvEENSB_8equal_toIvEES6_EE10hipError_tPvRmT2_T3_T4_T5_mT6_T7_P12ihipStream_tbENKUlT_T0_E_clISt17integral_constantIbLb1EES12_IbLb0EEEEDaSY_SZ_EUlSY_E_NS1_11comp_targetILNS1_3genE5ELNS1_11target_archE942ELNS1_3gpuE9ELNS1_3repE0EEENS1_30default_config_static_selectorELNS0_4arch9wavefront6targetE0EEEvT1_.kd
    .uniform_work_group_size: 1
    .uses_dynamic_stack: false
    .vgpr_count:     0
    .vgpr_spill_count: 0
    .wavefront_size: 32
  - .args:
      - .offset:         0
        .size:           160
        .value_kind:     by_value
    .group_segment_fixed_size: 0
    .kernarg_segment_align: 8
    .kernarg_segment_size: 160
    .language:       OpenCL C
    .language_version:
      - 2
      - 0
    .max_flat_workgroup_size: 256
    .name:           _ZN7rocprim17ROCPRIM_400000_NS6detail17trampoline_kernelINS0_14default_configENS1_27scan_by_key_config_selectorIj11FixedVectorIiLj8EEEEZZNS1_16scan_by_key_implILNS1_25lookback_scan_determinismE0ELb0ES3_N6thrust23THRUST_200600_302600_NS6detail15normal_iteratorINSB_10device_ptrIjEEEENSD_INSE_IS6_EEEESI_S6_NSB_4plusIvEENSB_8equal_toIvEES6_EE10hipError_tPvRmT2_T3_T4_T5_mT6_T7_P12ihipStream_tbENKUlT_T0_E_clISt17integral_constantIbLb1EES12_IbLb0EEEEDaSY_SZ_EUlSY_E_NS1_11comp_targetILNS1_3genE4ELNS1_11target_archE910ELNS1_3gpuE8ELNS1_3repE0EEENS1_30default_config_static_selectorELNS0_4arch9wavefront6targetE0EEEvT1_
    .private_segment_fixed_size: 0
    .sgpr_count:     0
    .sgpr_spill_count: 0
    .symbol:         _ZN7rocprim17ROCPRIM_400000_NS6detail17trampoline_kernelINS0_14default_configENS1_27scan_by_key_config_selectorIj11FixedVectorIiLj8EEEEZZNS1_16scan_by_key_implILNS1_25lookback_scan_determinismE0ELb0ES3_N6thrust23THRUST_200600_302600_NS6detail15normal_iteratorINSB_10device_ptrIjEEEENSD_INSE_IS6_EEEESI_S6_NSB_4plusIvEENSB_8equal_toIvEES6_EE10hipError_tPvRmT2_T3_T4_T5_mT6_T7_P12ihipStream_tbENKUlT_T0_E_clISt17integral_constantIbLb1EES12_IbLb0EEEEDaSY_SZ_EUlSY_E_NS1_11comp_targetILNS1_3genE4ELNS1_11target_archE910ELNS1_3gpuE8ELNS1_3repE0EEENS1_30default_config_static_selectorELNS0_4arch9wavefront6targetE0EEEvT1_.kd
    .uniform_work_group_size: 1
    .uses_dynamic_stack: false
    .vgpr_count:     0
    .vgpr_spill_count: 0
    .wavefront_size: 32
  - .args:
      - .offset:         0
        .size:           160
        .value_kind:     by_value
    .group_segment_fixed_size: 0
    .kernarg_segment_align: 8
    .kernarg_segment_size: 160
    .language:       OpenCL C
    .language_version:
      - 2
      - 0
    .max_flat_workgroup_size: 256
    .name:           _ZN7rocprim17ROCPRIM_400000_NS6detail17trampoline_kernelINS0_14default_configENS1_27scan_by_key_config_selectorIj11FixedVectorIiLj8EEEEZZNS1_16scan_by_key_implILNS1_25lookback_scan_determinismE0ELb0ES3_N6thrust23THRUST_200600_302600_NS6detail15normal_iteratorINSB_10device_ptrIjEEEENSD_INSE_IS6_EEEESI_S6_NSB_4plusIvEENSB_8equal_toIvEES6_EE10hipError_tPvRmT2_T3_T4_T5_mT6_T7_P12ihipStream_tbENKUlT_T0_E_clISt17integral_constantIbLb1EES12_IbLb0EEEEDaSY_SZ_EUlSY_E_NS1_11comp_targetILNS1_3genE3ELNS1_11target_archE908ELNS1_3gpuE7ELNS1_3repE0EEENS1_30default_config_static_selectorELNS0_4arch9wavefront6targetE0EEEvT1_
    .private_segment_fixed_size: 0
    .sgpr_count:     0
    .sgpr_spill_count: 0
    .symbol:         _ZN7rocprim17ROCPRIM_400000_NS6detail17trampoline_kernelINS0_14default_configENS1_27scan_by_key_config_selectorIj11FixedVectorIiLj8EEEEZZNS1_16scan_by_key_implILNS1_25lookback_scan_determinismE0ELb0ES3_N6thrust23THRUST_200600_302600_NS6detail15normal_iteratorINSB_10device_ptrIjEEEENSD_INSE_IS6_EEEESI_S6_NSB_4plusIvEENSB_8equal_toIvEES6_EE10hipError_tPvRmT2_T3_T4_T5_mT6_T7_P12ihipStream_tbENKUlT_T0_E_clISt17integral_constantIbLb1EES12_IbLb0EEEEDaSY_SZ_EUlSY_E_NS1_11comp_targetILNS1_3genE3ELNS1_11target_archE908ELNS1_3gpuE7ELNS1_3repE0EEENS1_30default_config_static_selectorELNS0_4arch9wavefront6targetE0EEEvT1_.kd
    .uniform_work_group_size: 1
    .uses_dynamic_stack: false
    .vgpr_count:     0
    .vgpr_spill_count: 0
    .wavefront_size: 32
  - .args:
      - .offset:         0
        .size:           160
        .value_kind:     by_value
    .group_segment_fixed_size: 0
    .kernarg_segment_align: 8
    .kernarg_segment_size: 160
    .language:       OpenCL C
    .language_version:
      - 2
      - 0
    .max_flat_workgroup_size: 256
    .name:           _ZN7rocprim17ROCPRIM_400000_NS6detail17trampoline_kernelINS0_14default_configENS1_27scan_by_key_config_selectorIj11FixedVectorIiLj8EEEEZZNS1_16scan_by_key_implILNS1_25lookback_scan_determinismE0ELb0ES3_N6thrust23THRUST_200600_302600_NS6detail15normal_iteratorINSB_10device_ptrIjEEEENSD_INSE_IS6_EEEESI_S6_NSB_4plusIvEENSB_8equal_toIvEES6_EE10hipError_tPvRmT2_T3_T4_T5_mT6_T7_P12ihipStream_tbENKUlT_T0_E_clISt17integral_constantIbLb1EES12_IbLb0EEEEDaSY_SZ_EUlSY_E_NS1_11comp_targetILNS1_3genE2ELNS1_11target_archE906ELNS1_3gpuE6ELNS1_3repE0EEENS1_30default_config_static_selectorELNS0_4arch9wavefront6targetE0EEEvT1_
    .private_segment_fixed_size: 0
    .sgpr_count:     0
    .sgpr_spill_count: 0
    .symbol:         _ZN7rocprim17ROCPRIM_400000_NS6detail17trampoline_kernelINS0_14default_configENS1_27scan_by_key_config_selectorIj11FixedVectorIiLj8EEEEZZNS1_16scan_by_key_implILNS1_25lookback_scan_determinismE0ELb0ES3_N6thrust23THRUST_200600_302600_NS6detail15normal_iteratorINSB_10device_ptrIjEEEENSD_INSE_IS6_EEEESI_S6_NSB_4plusIvEENSB_8equal_toIvEES6_EE10hipError_tPvRmT2_T3_T4_T5_mT6_T7_P12ihipStream_tbENKUlT_T0_E_clISt17integral_constantIbLb1EES12_IbLb0EEEEDaSY_SZ_EUlSY_E_NS1_11comp_targetILNS1_3genE2ELNS1_11target_archE906ELNS1_3gpuE6ELNS1_3repE0EEENS1_30default_config_static_selectorELNS0_4arch9wavefront6targetE0EEEvT1_.kd
    .uniform_work_group_size: 1
    .uses_dynamic_stack: false
    .vgpr_count:     0
    .vgpr_spill_count: 0
    .wavefront_size: 32
  - .args:
      - .offset:         0
        .size:           160
        .value_kind:     by_value
    .group_segment_fixed_size: 0
    .kernarg_segment_align: 8
    .kernarg_segment_size: 160
    .language:       OpenCL C
    .language_version:
      - 2
      - 0
    .max_flat_workgroup_size: 256
    .name:           _ZN7rocprim17ROCPRIM_400000_NS6detail17trampoline_kernelINS0_14default_configENS1_27scan_by_key_config_selectorIj11FixedVectorIiLj8EEEEZZNS1_16scan_by_key_implILNS1_25lookback_scan_determinismE0ELb0ES3_N6thrust23THRUST_200600_302600_NS6detail15normal_iteratorINSB_10device_ptrIjEEEENSD_INSE_IS6_EEEESI_S6_NSB_4plusIvEENSB_8equal_toIvEES6_EE10hipError_tPvRmT2_T3_T4_T5_mT6_T7_P12ihipStream_tbENKUlT_T0_E_clISt17integral_constantIbLb1EES12_IbLb0EEEEDaSY_SZ_EUlSY_E_NS1_11comp_targetILNS1_3genE10ELNS1_11target_archE1200ELNS1_3gpuE4ELNS1_3repE0EEENS1_30default_config_static_selectorELNS0_4arch9wavefront6targetE0EEEvT1_
    .private_segment_fixed_size: 0
    .sgpr_count:     0
    .sgpr_spill_count: 0
    .symbol:         _ZN7rocprim17ROCPRIM_400000_NS6detail17trampoline_kernelINS0_14default_configENS1_27scan_by_key_config_selectorIj11FixedVectorIiLj8EEEEZZNS1_16scan_by_key_implILNS1_25lookback_scan_determinismE0ELb0ES3_N6thrust23THRUST_200600_302600_NS6detail15normal_iteratorINSB_10device_ptrIjEEEENSD_INSE_IS6_EEEESI_S6_NSB_4plusIvEENSB_8equal_toIvEES6_EE10hipError_tPvRmT2_T3_T4_T5_mT6_T7_P12ihipStream_tbENKUlT_T0_E_clISt17integral_constantIbLb1EES12_IbLb0EEEEDaSY_SZ_EUlSY_E_NS1_11comp_targetILNS1_3genE10ELNS1_11target_archE1200ELNS1_3gpuE4ELNS1_3repE0EEENS1_30default_config_static_selectorELNS0_4arch9wavefront6targetE0EEEvT1_.kd
    .uniform_work_group_size: 1
    .uses_dynamic_stack: false
    .vgpr_count:     0
    .vgpr_spill_count: 0
    .wavefront_size: 32
  - .args:
      - .offset:         0
        .size:           160
        .value_kind:     by_value
    .group_segment_fixed_size: 0
    .kernarg_segment_align: 8
    .kernarg_segment_size: 160
    .language:       OpenCL C
    .language_version:
      - 2
      - 0
    .max_flat_workgroup_size: 256
    .name:           _ZN7rocprim17ROCPRIM_400000_NS6detail17trampoline_kernelINS0_14default_configENS1_27scan_by_key_config_selectorIj11FixedVectorIiLj8EEEEZZNS1_16scan_by_key_implILNS1_25lookback_scan_determinismE0ELb0ES3_N6thrust23THRUST_200600_302600_NS6detail15normal_iteratorINSB_10device_ptrIjEEEENSD_INSE_IS6_EEEESI_S6_NSB_4plusIvEENSB_8equal_toIvEES6_EE10hipError_tPvRmT2_T3_T4_T5_mT6_T7_P12ihipStream_tbENKUlT_T0_E_clISt17integral_constantIbLb1EES12_IbLb0EEEEDaSY_SZ_EUlSY_E_NS1_11comp_targetILNS1_3genE9ELNS1_11target_archE1100ELNS1_3gpuE3ELNS1_3repE0EEENS1_30default_config_static_selectorELNS0_4arch9wavefront6targetE0EEEvT1_
    .private_segment_fixed_size: 0
    .sgpr_count:     0
    .sgpr_spill_count: 0
    .symbol:         _ZN7rocprim17ROCPRIM_400000_NS6detail17trampoline_kernelINS0_14default_configENS1_27scan_by_key_config_selectorIj11FixedVectorIiLj8EEEEZZNS1_16scan_by_key_implILNS1_25lookback_scan_determinismE0ELb0ES3_N6thrust23THRUST_200600_302600_NS6detail15normal_iteratorINSB_10device_ptrIjEEEENSD_INSE_IS6_EEEESI_S6_NSB_4plusIvEENSB_8equal_toIvEES6_EE10hipError_tPvRmT2_T3_T4_T5_mT6_T7_P12ihipStream_tbENKUlT_T0_E_clISt17integral_constantIbLb1EES12_IbLb0EEEEDaSY_SZ_EUlSY_E_NS1_11comp_targetILNS1_3genE9ELNS1_11target_archE1100ELNS1_3gpuE3ELNS1_3repE0EEENS1_30default_config_static_selectorELNS0_4arch9wavefront6targetE0EEEvT1_.kd
    .uniform_work_group_size: 1
    .uses_dynamic_stack: false
    .vgpr_count:     0
    .vgpr_spill_count: 0
    .wavefront_size: 32
  - .args:
      - .offset:         0
        .size:           160
        .value_kind:     by_value
    .group_segment_fixed_size: 0
    .kernarg_segment_align: 8
    .kernarg_segment_size: 160
    .language:       OpenCL C
    .language_version:
      - 2
      - 0
    .max_flat_workgroup_size: 256
    .name:           _ZN7rocprim17ROCPRIM_400000_NS6detail17trampoline_kernelINS0_14default_configENS1_27scan_by_key_config_selectorIj11FixedVectorIiLj8EEEEZZNS1_16scan_by_key_implILNS1_25lookback_scan_determinismE0ELb0ES3_N6thrust23THRUST_200600_302600_NS6detail15normal_iteratorINSB_10device_ptrIjEEEENSD_INSE_IS6_EEEESI_S6_NSB_4plusIvEENSB_8equal_toIvEES6_EE10hipError_tPvRmT2_T3_T4_T5_mT6_T7_P12ihipStream_tbENKUlT_T0_E_clISt17integral_constantIbLb1EES12_IbLb0EEEEDaSY_SZ_EUlSY_E_NS1_11comp_targetILNS1_3genE8ELNS1_11target_archE1030ELNS1_3gpuE2ELNS1_3repE0EEENS1_30default_config_static_selectorELNS0_4arch9wavefront6targetE0EEEvT1_
    .private_segment_fixed_size: 0
    .sgpr_count:     0
    .sgpr_spill_count: 0
    .symbol:         _ZN7rocprim17ROCPRIM_400000_NS6detail17trampoline_kernelINS0_14default_configENS1_27scan_by_key_config_selectorIj11FixedVectorIiLj8EEEEZZNS1_16scan_by_key_implILNS1_25lookback_scan_determinismE0ELb0ES3_N6thrust23THRUST_200600_302600_NS6detail15normal_iteratorINSB_10device_ptrIjEEEENSD_INSE_IS6_EEEESI_S6_NSB_4plusIvEENSB_8equal_toIvEES6_EE10hipError_tPvRmT2_T3_T4_T5_mT6_T7_P12ihipStream_tbENKUlT_T0_E_clISt17integral_constantIbLb1EES12_IbLb0EEEEDaSY_SZ_EUlSY_E_NS1_11comp_targetILNS1_3genE8ELNS1_11target_archE1030ELNS1_3gpuE2ELNS1_3repE0EEENS1_30default_config_static_selectorELNS0_4arch9wavefront6targetE0EEEvT1_.kd
    .uniform_work_group_size: 1
    .uses_dynamic_stack: false
    .vgpr_count:     0
    .vgpr_spill_count: 0
    .wavefront_size: 32
  - .args:
      - .offset:         0
        .size:           24
        .value_kind:     by_value
      - .offset:         24
        .size:           4
        .value_kind:     by_value
      - .offset:         28
        .size:           4
        .value_kind:     by_value
      - .address_space:  global
        .offset:         32
        .size:           8
        .value_kind:     global_buffer
      - .address_space:  global
        .offset:         40
        .size:           8
        .value_kind:     global_buffer
      - .actual_access:  write_only
        .address_space:  global
        .offset:         48
        .size:           8
        .value_kind:     global_buffer
      - .offset:         56
        .size:           8
        .value_kind:     by_value
      - .offset:         64
        .size:           4
        .value_kind:     by_value
      - .address_space:  global
        .offset:         72
        .size:           8
        .value_kind:     global_buffer
      - .offset:         80
        .size:           4
        .value_kind:     hidden_block_count_x
      - .offset:         84
        .size:           4
        .value_kind:     hidden_block_count_y
      - .offset:         88
        .size:           4
        .value_kind:     hidden_block_count_z
      - .offset:         92
        .size:           2
        .value_kind:     hidden_group_size_x
      - .offset:         94
        .size:           2
        .value_kind:     hidden_group_size_y
      - .offset:         96
        .size:           2
        .value_kind:     hidden_group_size_z
      - .offset:         98
        .size:           2
        .value_kind:     hidden_remainder_x
      - .offset:         100
        .size:           2
        .value_kind:     hidden_remainder_y
      - .offset:         102
        .size:           2
        .value_kind:     hidden_remainder_z
      - .offset:         120
        .size:           8
        .value_kind:     hidden_global_offset_x
      - .offset:         128
        .size:           8
        .value_kind:     hidden_global_offset_y
      - .offset:         136
        .size:           8
        .value_kind:     hidden_global_offset_z
      - .offset:         144
        .size:           2
        .value_kind:     hidden_grid_dims
    .group_segment_fixed_size: 9216
    .kernarg_segment_align: 8
    .kernarg_segment_size: 336
    .language:       OpenCL C
    .language_version:
      - 2
      - 0
    .max_flat_workgroup_size: 256
    .name:           _ZN7rocprim17ROCPRIM_400000_NS6detail30init_device_scan_by_key_kernelINS1_19lookback_scan_stateINS0_5tupleIJ11FixedVectorIiLj8EEbEEELb0ELb0EEEN6thrust23THRUST_200600_302600_NS6detail15normal_iteratorINSA_10device_ptrIjEEEEjNS1_16block_id_wrapperIjLb1EEEEEvT_jjPNSI_10value_typeET0_PNSt15iterator_traitsISL_E10value_typeEmT1_T2_
    .private_segment_fixed_size: 0
    .sgpr_count:     23
    .sgpr_spill_count: 0
    .symbol:         _ZN7rocprim17ROCPRIM_400000_NS6detail30init_device_scan_by_key_kernelINS1_19lookback_scan_stateINS0_5tupleIJ11FixedVectorIiLj8EEbEEELb0ELb0EEEN6thrust23THRUST_200600_302600_NS6detail15normal_iteratorINSA_10device_ptrIjEEEEjNS1_16block_id_wrapperIjLb1EEEEEvT_jjPNSI_10value_typeET0_PNSt15iterator_traitsISL_E10value_typeEmT1_T2_.kd
    .uniform_work_group_size: 1
    .uses_dynamic_stack: false
    .vgpr_count:     12
    .vgpr_spill_count: 0
    .wavefront_size: 32
  - .args:
      - .offset:         0
        .size:           24
        .value_kind:     by_value
      - .offset:         24
        .size:           4
        .value_kind:     by_value
      - .offset:         28
        .size:           4
        .value_kind:     by_value
      - .address_space:  global
        .offset:         32
        .size:           8
        .value_kind:     global_buffer
      - .address_space:  global
        .offset:         40
        .size:           8
        .value_kind:     global_buffer
      - .offset:         48
        .size:           4
        .value_kind:     hidden_block_count_x
      - .offset:         52
        .size:           4
        .value_kind:     hidden_block_count_y
      - .offset:         56
        .size:           4
        .value_kind:     hidden_block_count_z
      - .offset:         60
        .size:           2
        .value_kind:     hidden_group_size_x
      - .offset:         62
        .size:           2
        .value_kind:     hidden_group_size_y
      - .offset:         64
        .size:           2
        .value_kind:     hidden_group_size_z
      - .offset:         66
        .size:           2
        .value_kind:     hidden_remainder_x
      - .offset:         68
        .size:           2
        .value_kind:     hidden_remainder_y
      - .offset:         70
        .size:           2
        .value_kind:     hidden_remainder_z
      - .offset:         88
        .size:           8
        .value_kind:     hidden_global_offset_x
      - .offset:         96
        .size:           8
        .value_kind:     hidden_global_offset_y
      - .offset:         104
        .size:           8
        .value_kind:     hidden_global_offset_z
      - .offset:         112
        .size:           2
        .value_kind:     hidden_grid_dims
    .group_segment_fixed_size: 9216
    .kernarg_segment_align: 8
    .kernarg_segment_size: 304
    .language:       OpenCL C
    .language_version:
      - 2
      - 0
    .max_flat_workgroup_size: 256
    .name:           _ZN7rocprim17ROCPRIM_400000_NS6detail30init_device_scan_by_key_kernelINS1_19lookback_scan_stateINS0_5tupleIJ11FixedVectorIiLj8EEbEEELb0ELb0EEENS1_16block_id_wrapperIjLb1EEEEEvT_jjPNSB_10value_typeET0_
    .private_segment_fixed_size: 0
    .sgpr_count:     19
    .sgpr_spill_count: 0
    .symbol:         _ZN7rocprim17ROCPRIM_400000_NS6detail30init_device_scan_by_key_kernelINS1_19lookback_scan_stateINS0_5tupleIJ11FixedVectorIiLj8EEbEEELb0ELb0EEENS1_16block_id_wrapperIjLb1EEEEEvT_jjPNSB_10value_typeET0_.kd
    .uniform_work_group_size: 1
    .uses_dynamic_stack: false
    .vgpr_count:     12
    .vgpr_spill_count: 0
    .wavefront_size: 32
  - .args:
      - .offset:         0
        .size:           160
        .value_kind:     by_value
    .group_segment_fixed_size: 33792
    .kernarg_segment_align: 8
    .kernarg_segment_size: 160
    .language:       OpenCL C
    .language_version:
      - 2
      - 0
    .max_flat_workgroup_size: 256
    .name:           _ZN7rocprim17ROCPRIM_400000_NS6detail17trampoline_kernelINS0_14default_configENS1_27scan_by_key_config_selectorIj11FixedVectorIiLj8EEEEZZNS1_16scan_by_key_implILNS1_25lookback_scan_determinismE0ELb0ES3_N6thrust23THRUST_200600_302600_NS6detail15normal_iteratorINSB_10device_ptrIjEEEENSD_INSE_IS6_EEEESI_S6_NSB_4plusIvEENSB_8equal_toIvEES6_EE10hipError_tPvRmT2_T3_T4_T5_mT6_T7_P12ihipStream_tbENKUlT_T0_E_clISt17integral_constantIbLb0EES12_IbLb1EEEEDaSY_SZ_EUlSY_E_NS1_11comp_targetILNS1_3genE0ELNS1_11target_archE4294967295ELNS1_3gpuE0ELNS1_3repE0EEENS1_30default_config_static_selectorELNS0_4arch9wavefront6targetE0EEEvT1_
    .private_segment_fixed_size: 400
    .sgpr_count:     50
    .sgpr_spill_count: 0
    .symbol:         _ZN7rocprim17ROCPRIM_400000_NS6detail17trampoline_kernelINS0_14default_configENS1_27scan_by_key_config_selectorIj11FixedVectorIiLj8EEEEZZNS1_16scan_by_key_implILNS1_25lookback_scan_determinismE0ELb0ES3_N6thrust23THRUST_200600_302600_NS6detail15normal_iteratorINSB_10device_ptrIjEEEENSD_INSE_IS6_EEEESI_S6_NSB_4plusIvEENSB_8equal_toIvEES6_EE10hipError_tPvRmT2_T3_T4_T5_mT6_T7_P12ihipStream_tbENKUlT_T0_E_clISt17integral_constantIbLb0EES12_IbLb1EEEEDaSY_SZ_EUlSY_E_NS1_11comp_targetILNS1_3genE0ELNS1_11target_archE4294967295ELNS1_3gpuE0ELNS1_3repE0EEENS1_30default_config_static_selectorELNS0_4arch9wavefront6targetE0EEEvT1_.kd
    .uniform_work_group_size: 1
    .uses_dynamic_stack: false
    .vgpr_count:     47
    .vgpr_spill_count: 0
    .wavefront_size: 32
  - .args:
      - .offset:         0
        .size:           160
        .value_kind:     by_value
    .group_segment_fixed_size: 0
    .kernarg_segment_align: 8
    .kernarg_segment_size: 160
    .language:       OpenCL C
    .language_version:
      - 2
      - 0
    .max_flat_workgroup_size: 256
    .name:           _ZN7rocprim17ROCPRIM_400000_NS6detail17trampoline_kernelINS0_14default_configENS1_27scan_by_key_config_selectorIj11FixedVectorIiLj8EEEEZZNS1_16scan_by_key_implILNS1_25lookback_scan_determinismE0ELb0ES3_N6thrust23THRUST_200600_302600_NS6detail15normal_iteratorINSB_10device_ptrIjEEEENSD_INSE_IS6_EEEESI_S6_NSB_4plusIvEENSB_8equal_toIvEES6_EE10hipError_tPvRmT2_T3_T4_T5_mT6_T7_P12ihipStream_tbENKUlT_T0_E_clISt17integral_constantIbLb0EES12_IbLb1EEEEDaSY_SZ_EUlSY_E_NS1_11comp_targetILNS1_3genE10ELNS1_11target_archE1201ELNS1_3gpuE5ELNS1_3repE0EEENS1_30default_config_static_selectorELNS0_4arch9wavefront6targetE0EEEvT1_
    .private_segment_fixed_size: 0
    .sgpr_count:     0
    .sgpr_spill_count: 0
    .symbol:         _ZN7rocprim17ROCPRIM_400000_NS6detail17trampoline_kernelINS0_14default_configENS1_27scan_by_key_config_selectorIj11FixedVectorIiLj8EEEEZZNS1_16scan_by_key_implILNS1_25lookback_scan_determinismE0ELb0ES3_N6thrust23THRUST_200600_302600_NS6detail15normal_iteratorINSB_10device_ptrIjEEEENSD_INSE_IS6_EEEESI_S6_NSB_4plusIvEENSB_8equal_toIvEES6_EE10hipError_tPvRmT2_T3_T4_T5_mT6_T7_P12ihipStream_tbENKUlT_T0_E_clISt17integral_constantIbLb0EES12_IbLb1EEEEDaSY_SZ_EUlSY_E_NS1_11comp_targetILNS1_3genE10ELNS1_11target_archE1201ELNS1_3gpuE5ELNS1_3repE0EEENS1_30default_config_static_selectorELNS0_4arch9wavefront6targetE0EEEvT1_.kd
    .uniform_work_group_size: 1
    .uses_dynamic_stack: false
    .vgpr_count:     0
    .vgpr_spill_count: 0
    .wavefront_size: 32
  - .args:
      - .offset:         0
        .size:           160
        .value_kind:     by_value
    .group_segment_fixed_size: 0
    .kernarg_segment_align: 8
    .kernarg_segment_size: 160
    .language:       OpenCL C
    .language_version:
      - 2
      - 0
    .max_flat_workgroup_size: 256
    .name:           _ZN7rocprim17ROCPRIM_400000_NS6detail17trampoline_kernelINS0_14default_configENS1_27scan_by_key_config_selectorIj11FixedVectorIiLj8EEEEZZNS1_16scan_by_key_implILNS1_25lookback_scan_determinismE0ELb0ES3_N6thrust23THRUST_200600_302600_NS6detail15normal_iteratorINSB_10device_ptrIjEEEENSD_INSE_IS6_EEEESI_S6_NSB_4plusIvEENSB_8equal_toIvEES6_EE10hipError_tPvRmT2_T3_T4_T5_mT6_T7_P12ihipStream_tbENKUlT_T0_E_clISt17integral_constantIbLb0EES12_IbLb1EEEEDaSY_SZ_EUlSY_E_NS1_11comp_targetILNS1_3genE5ELNS1_11target_archE942ELNS1_3gpuE9ELNS1_3repE0EEENS1_30default_config_static_selectorELNS0_4arch9wavefront6targetE0EEEvT1_
    .private_segment_fixed_size: 0
    .sgpr_count:     0
    .sgpr_spill_count: 0
    .symbol:         _ZN7rocprim17ROCPRIM_400000_NS6detail17trampoline_kernelINS0_14default_configENS1_27scan_by_key_config_selectorIj11FixedVectorIiLj8EEEEZZNS1_16scan_by_key_implILNS1_25lookback_scan_determinismE0ELb0ES3_N6thrust23THRUST_200600_302600_NS6detail15normal_iteratorINSB_10device_ptrIjEEEENSD_INSE_IS6_EEEESI_S6_NSB_4plusIvEENSB_8equal_toIvEES6_EE10hipError_tPvRmT2_T3_T4_T5_mT6_T7_P12ihipStream_tbENKUlT_T0_E_clISt17integral_constantIbLb0EES12_IbLb1EEEEDaSY_SZ_EUlSY_E_NS1_11comp_targetILNS1_3genE5ELNS1_11target_archE942ELNS1_3gpuE9ELNS1_3repE0EEENS1_30default_config_static_selectorELNS0_4arch9wavefront6targetE0EEEvT1_.kd
    .uniform_work_group_size: 1
    .uses_dynamic_stack: false
    .vgpr_count:     0
    .vgpr_spill_count: 0
    .wavefront_size: 32
  - .args:
      - .offset:         0
        .size:           160
        .value_kind:     by_value
    .group_segment_fixed_size: 0
    .kernarg_segment_align: 8
    .kernarg_segment_size: 160
    .language:       OpenCL C
    .language_version:
      - 2
      - 0
    .max_flat_workgroup_size: 256
    .name:           _ZN7rocprim17ROCPRIM_400000_NS6detail17trampoline_kernelINS0_14default_configENS1_27scan_by_key_config_selectorIj11FixedVectorIiLj8EEEEZZNS1_16scan_by_key_implILNS1_25lookback_scan_determinismE0ELb0ES3_N6thrust23THRUST_200600_302600_NS6detail15normal_iteratorINSB_10device_ptrIjEEEENSD_INSE_IS6_EEEESI_S6_NSB_4plusIvEENSB_8equal_toIvEES6_EE10hipError_tPvRmT2_T3_T4_T5_mT6_T7_P12ihipStream_tbENKUlT_T0_E_clISt17integral_constantIbLb0EES12_IbLb1EEEEDaSY_SZ_EUlSY_E_NS1_11comp_targetILNS1_3genE4ELNS1_11target_archE910ELNS1_3gpuE8ELNS1_3repE0EEENS1_30default_config_static_selectorELNS0_4arch9wavefront6targetE0EEEvT1_
    .private_segment_fixed_size: 0
    .sgpr_count:     0
    .sgpr_spill_count: 0
    .symbol:         _ZN7rocprim17ROCPRIM_400000_NS6detail17trampoline_kernelINS0_14default_configENS1_27scan_by_key_config_selectorIj11FixedVectorIiLj8EEEEZZNS1_16scan_by_key_implILNS1_25lookback_scan_determinismE0ELb0ES3_N6thrust23THRUST_200600_302600_NS6detail15normal_iteratorINSB_10device_ptrIjEEEENSD_INSE_IS6_EEEESI_S6_NSB_4plusIvEENSB_8equal_toIvEES6_EE10hipError_tPvRmT2_T3_T4_T5_mT6_T7_P12ihipStream_tbENKUlT_T0_E_clISt17integral_constantIbLb0EES12_IbLb1EEEEDaSY_SZ_EUlSY_E_NS1_11comp_targetILNS1_3genE4ELNS1_11target_archE910ELNS1_3gpuE8ELNS1_3repE0EEENS1_30default_config_static_selectorELNS0_4arch9wavefront6targetE0EEEvT1_.kd
    .uniform_work_group_size: 1
    .uses_dynamic_stack: false
    .vgpr_count:     0
    .vgpr_spill_count: 0
    .wavefront_size: 32
  - .args:
      - .offset:         0
        .size:           160
        .value_kind:     by_value
    .group_segment_fixed_size: 0
    .kernarg_segment_align: 8
    .kernarg_segment_size: 160
    .language:       OpenCL C
    .language_version:
      - 2
      - 0
    .max_flat_workgroup_size: 256
    .name:           _ZN7rocprim17ROCPRIM_400000_NS6detail17trampoline_kernelINS0_14default_configENS1_27scan_by_key_config_selectorIj11FixedVectorIiLj8EEEEZZNS1_16scan_by_key_implILNS1_25lookback_scan_determinismE0ELb0ES3_N6thrust23THRUST_200600_302600_NS6detail15normal_iteratorINSB_10device_ptrIjEEEENSD_INSE_IS6_EEEESI_S6_NSB_4plusIvEENSB_8equal_toIvEES6_EE10hipError_tPvRmT2_T3_T4_T5_mT6_T7_P12ihipStream_tbENKUlT_T0_E_clISt17integral_constantIbLb0EES12_IbLb1EEEEDaSY_SZ_EUlSY_E_NS1_11comp_targetILNS1_3genE3ELNS1_11target_archE908ELNS1_3gpuE7ELNS1_3repE0EEENS1_30default_config_static_selectorELNS0_4arch9wavefront6targetE0EEEvT1_
    .private_segment_fixed_size: 0
    .sgpr_count:     0
    .sgpr_spill_count: 0
    .symbol:         _ZN7rocprim17ROCPRIM_400000_NS6detail17trampoline_kernelINS0_14default_configENS1_27scan_by_key_config_selectorIj11FixedVectorIiLj8EEEEZZNS1_16scan_by_key_implILNS1_25lookback_scan_determinismE0ELb0ES3_N6thrust23THRUST_200600_302600_NS6detail15normal_iteratorINSB_10device_ptrIjEEEENSD_INSE_IS6_EEEESI_S6_NSB_4plusIvEENSB_8equal_toIvEES6_EE10hipError_tPvRmT2_T3_T4_T5_mT6_T7_P12ihipStream_tbENKUlT_T0_E_clISt17integral_constantIbLb0EES12_IbLb1EEEEDaSY_SZ_EUlSY_E_NS1_11comp_targetILNS1_3genE3ELNS1_11target_archE908ELNS1_3gpuE7ELNS1_3repE0EEENS1_30default_config_static_selectorELNS0_4arch9wavefront6targetE0EEEvT1_.kd
    .uniform_work_group_size: 1
    .uses_dynamic_stack: false
    .vgpr_count:     0
    .vgpr_spill_count: 0
    .wavefront_size: 32
  - .args:
      - .offset:         0
        .size:           160
        .value_kind:     by_value
    .group_segment_fixed_size: 0
    .kernarg_segment_align: 8
    .kernarg_segment_size: 160
    .language:       OpenCL C
    .language_version:
      - 2
      - 0
    .max_flat_workgroup_size: 256
    .name:           _ZN7rocprim17ROCPRIM_400000_NS6detail17trampoline_kernelINS0_14default_configENS1_27scan_by_key_config_selectorIj11FixedVectorIiLj8EEEEZZNS1_16scan_by_key_implILNS1_25lookback_scan_determinismE0ELb0ES3_N6thrust23THRUST_200600_302600_NS6detail15normal_iteratorINSB_10device_ptrIjEEEENSD_INSE_IS6_EEEESI_S6_NSB_4plusIvEENSB_8equal_toIvEES6_EE10hipError_tPvRmT2_T3_T4_T5_mT6_T7_P12ihipStream_tbENKUlT_T0_E_clISt17integral_constantIbLb0EES12_IbLb1EEEEDaSY_SZ_EUlSY_E_NS1_11comp_targetILNS1_3genE2ELNS1_11target_archE906ELNS1_3gpuE6ELNS1_3repE0EEENS1_30default_config_static_selectorELNS0_4arch9wavefront6targetE0EEEvT1_
    .private_segment_fixed_size: 0
    .sgpr_count:     0
    .sgpr_spill_count: 0
    .symbol:         _ZN7rocprim17ROCPRIM_400000_NS6detail17trampoline_kernelINS0_14default_configENS1_27scan_by_key_config_selectorIj11FixedVectorIiLj8EEEEZZNS1_16scan_by_key_implILNS1_25lookback_scan_determinismE0ELb0ES3_N6thrust23THRUST_200600_302600_NS6detail15normal_iteratorINSB_10device_ptrIjEEEENSD_INSE_IS6_EEEESI_S6_NSB_4plusIvEENSB_8equal_toIvEES6_EE10hipError_tPvRmT2_T3_T4_T5_mT6_T7_P12ihipStream_tbENKUlT_T0_E_clISt17integral_constantIbLb0EES12_IbLb1EEEEDaSY_SZ_EUlSY_E_NS1_11comp_targetILNS1_3genE2ELNS1_11target_archE906ELNS1_3gpuE6ELNS1_3repE0EEENS1_30default_config_static_selectorELNS0_4arch9wavefront6targetE0EEEvT1_.kd
    .uniform_work_group_size: 1
    .uses_dynamic_stack: false
    .vgpr_count:     0
    .vgpr_spill_count: 0
    .wavefront_size: 32
  - .args:
      - .offset:         0
        .size:           160
        .value_kind:     by_value
    .group_segment_fixed_size: 0
    .kernarg_segment_align: 8
    .kernarg_segment_size: 160
    .language:       OpenCL C
    .language_version:
      - 2
      - 0
    .max_flat_workgroup_size: 256
    .name:           _ZN7rocprim17ROCPRIM_400000_NS6detail17trampoline_kernelINS0_14default_configENS1_27scan_by_key_config_selectorIj11FixedVectorIiLj8EEEEZZNS1_16scan_by_key_implILNS1_25lookback_scan_determinismE0ELb0ES3_N6thrust23THRUST_200600_302600_NS6detail15normal_iteratorINSB_10device_ptrIjEEEENSD_INSE_IS6_EEEESI_S6_NSB_4plusIvEENSB_8equal_toIvEES6_EE10hipError_tPvRmT2_T3_T4_T5_mT6_T7_P12ihipStream_tbENKUlT_T0_E_clISt17integral_constantIbLb0EES12_IbLb1EEEEDaSY_SZ_EUlSY_E_NS1_11comp_targetILNS1_3genE10ELNS1_11target_archE1200ELNS1_3gpuE4ELNS1_3repE0EEENS1_30default_config_static_selectorELNS0_4arch9wavefront6targetE0EEEvT1_
    .private_segment_fixed_size: 0
    .sgpr_count:     0
    .sgpr_spill_count: 0
    .symbol:         _ZN7rocprim17ROCPRIM_400000_NS6detail17trampoline_kernelINS0_14default_configENS1_27scan_by_key_config_selectorIj11FixedVectorIiLj8EEEEZZNS1_16scan_by_key_implILNS1_25lookback_scan_determinismE0ELb0ES3_N6thrust23THRUST_200600_302600_NS6detail15normal_iteratorINSB_10device_ptrIjEEEENSD_INSE_IS6_EEEESI_S6_NSB_4plusIvEENSB_8equal_toIvEES6_EE10hipError_tPvRmT2_T3_T4_T5_mT6_T7_P12ihipStream_tbENKUlT_T0_E_clISt17integral_constantIbLb0EES12_IbLb1EEEEDaSY_SZ_EUlSY_E_NS1_11comp_targetILNS1_3genE10ELNS1_11target_archE1200ELNS1_3gpuE4ELNS1_3repE0EEENS1_30default_config_static_selectorELNS0_4arch9wavefront6targetE0EEEvT1_.kd
    .uniform_work_group_size: 1
    .uses_dynamic_stack: false
    .vgpr_count:     0
    .vgpr_spill_count: 0
    .wavefront_size: 32
  - .args:
      - .offset:         0
        .size:           160
        .value_kind:     by_value
    .group_segment_fixed_size: 0
    .kernarg_segment_align: 8
    .kernarg_segment_size: 160
    .language:       OpenCL C
    .language_version:
      - 2
      - 0
    .max_flat_workgroup_size: 256
    .name:           _ZN7rocprim17ROCPRIM_400000_NS6detail17trampoline_kernelINS0_14default_configENS1_27scan_by_key_config_selectorIj11FixedVectorIiLj8EEEEZZNS1_16scan_by_key_implILNS1_25lookback_scan_determinismE0ELb0ES3_N6thrust23THRUST_200600_302600_NS6detail15normal_iteratorINSB_10device_ptrIjEEEENSD_INSE_IS6_EEEESI_S6_NSB_4plusIvEENSB_8equal_toIvEES6_EE10hipError_tPvRmT2_T3_T4_T5_mT6_T7_P12ihipStream_tbENKUlT_T0_E_clISt17integral_constantIbLb0EES12_IbLb1EEEEDaSY_SZ_EUlSY_E_NS1_11comp_targetILNS1_3genE9ELNS1_11target_archE1100ELNS1_3gpuE3ELNS1_3repE0EEENS1_30default_config_static_selectorELNS0_4arch9wavefront6targetE0EEEvT1_
    .private_segment_fixed_size: 0
    .sgpr_count:     0
    .sgpr_spill_count: 0
    .symbol:         _ZN7rocprim17ROCPRIM_400000_NS6detail17trampoline_kernelINS0_14default_configENS1_27scan_by_key_config_selectorIj11FixedVectorIiLj8EEEEZZNS1_16scan_by_key_implILNS1_25lookback_scan_determinismE0ELb0ES3_N6thrust23THRUST_200600_302600_NS6detail15normal_iteratorINSB_10device_ptrIjEEEENSD_INSE_IS6_EEEESI_S6_NSB_4plusIvEENSB_8equal_toIvEES6_EE10hipError_tPvRmT2_T3_T4_T5_mT6_T7_P12ihipStream_tbENKUlT_T0_E_clISt17integral_constantIbLb0EES12_IbLb1EEEEDaSY_SZ_EUlSY_E_NS1_11comp_targetILNS1_3genE9ELNS1_11target_archE1100ELNS1_3gpuE3ELNS1_3repE0EEENS1_30default_config_static_selectorELNS0_4arch9wavefront6targetE0EEEvT1_.kd
    .uniform_work_group_size: 1
    .uses_dynamic_stack: false
    .vgpr_count:     0
    .vgpr_spill_count: 0
    .wavefront_size: 32
  - .args:
      - .offset:         0
        .size:           160
        .value_kind:     by_value
    .group_segment_fixed_size: 0
    .kernarg_segment_align: 8
    .kernarg_segment_size: 160
    .language:       OpenCL C
    .language_version:
      - 2
      - 0
    .max_flat_workgroup_size: 256
    .name:           _ZN7rocprim17ROCPRIM_400000_NS6detail17trampoline_kernelINS0_14default_configENS1_27scan_by_key_config_selectorIj11FixedVectorIiLj8EEEEZZNS1_16scan_by_key_implILNS1_25lookback_scan_determinismE0ELb0ES3_N6thrust23THRUST_200600_302600_NS6detail15normal_iteratorINSB_10device_ptrIjEEEENSD_INSE_IS6_EEEESI_S6_NSB_4plusIvEENSB_8equal_toIvEES6_EE10hipError_tPvRmT2_T3_T4_T5_mT6_T7_P12ihipStream_tbENKUlT_T0_E_clISt17integral_constantIbLb0EES12_IbLb1EEEEDaSY_SZ_EUlSY_E_NS1_11comp_targetILNS1_3genE8ELNS1_11target_archE1030ELNS1_3gpuE2ELNS1_3repE0EEENS1_30default_config_static_selectorELNS0_4arch9wavefront6targetE0EEEvT1_
    .private_segment_fixed_size: 0
    .sgpr_count:     0
    .sgpr_spill_count: 0
    .symbol:         _ZN7rocprim17ROCPRIM_400000_NS6detail17trampoline_kernelINS0_14default_configENS1_27scan_by_key_config_selectorIj11FixedVectorIiLj8EEEEZZNS1_16scan_by_key_implILNS1_25lookback_scan_determinismE0ELb0ES3_N6thrust23THRUST_200600_302600_NS6detail15normal_iteratorINSB_10device_ptrIjEEEENSD_INSE_IS6_EEEESI_S6_NSB_4plusIvEENSB_8equal_toIvEES6_EE10hipError_tPvRmT2_T3_T4_T5_mT6_T7_P12ihipStream_tbENKUlT_T0_E_clISt17integral_constantIbLb0EES12_IbLb1EEEEDaSY_SZ_EUlSY_E_NS1_11comp_targetILNS1_3genE8ELNS1_11target_archE1030ELNS1_3gpuE2ELNS1_3repE0EEENS1_30default_config_static_selectorELNS0_4arch9wavefront6targetE0EEEvT1_.kd
    .uniform_work_group_size: 1
    .uses_dynamic_stack: false
    .vgpr_count:     0
    .vgpr_spill_count: 0
    .wavefront_size: 32
  - .args:
      - .offset:         0
        .size:           160
        .value_kind:     by_value
    .group_segment_fixed_size: 33792
    .kernarg_segment_align: 8
    .kernarg_segment_size: 160
    .language:       OpenCL C
    .language_version:
      - 2
      - 0
    .max_flat_workgroup_size: 256
    .name:           _ZN7rocprim17ROCPRIM_400000_NS6detail17trampoline_kernelINS0_14default_configENS1_27scan_by_key_config_selectorIj11FixedVectorIiLj8EEEEZZNS1_16scan_by_key_implILNS1_25lookback_scan_determinismE0ELb1ES3_N6thrust23THRUST_200600_302600_NS6detail15normal_iteratorINSB_10device_ptrIjEEEENSD_INSE_IS6_EEEESI_S6_NSB_4plusIvEENSB_8equal_toIvEES6_EE10hipError_tPvRmT2_T3_T4_T5_mT6_T7_P12ihipStream_tbENKUlT_T0_E_clISt17integral_constantIbLb0EES13_EEDaSY_SZ_EUlSY_E_NS1_11comp_targetILNS1_3genE0ELNS1_11target_archE4294967295ELNS1_3gpuE0ELNS1_3repE0EEENS1_30default_config_static_selectorELNS0_4arch9wavefront6targetE0EEEvT1_
    .private_segment_fixed_size: 432
    .sgpr_count:     50
    .sgpr_spill_count: 0
    .symbol:         _ZN7rocprim17ROCPRIM_400000_NS6detail17trampoline_kernelINS0_14default_configENS1_27scan_by_key_config_selectorIj11FixedVectorIiLj8EEEEZZNS1_16scan_by_key_implILNS1_25lookback_scan_determinismE0ELb1ES3_N6thrust23THRUST_200600_302600_NS6detail15normal_iteratorINSB_10device_ptrIjEEEENSD_INSE_IS6_EEEESI_S6_NSB_4plusIvEENSB_8equal_toIvEES6_EE10hipError_tPvRmT2_T3_T4_T5_mT6_T7_P12ihipStream_tbENKUlT_T0_E_clISt17integral_constantIbLb0EES13_EEDaSY_SZ_EUlSY_E_NS1_11comp_targetILNS1_3genE0ELNS1_11target_archE4294967295ELNS1_3gpuE0ELNS1_3repE0EEENS1_30default_config_static_selectorELNS0_4arch9wavefront6targetE0EEEvT1_.kd
    .uniform_work_group_size: 1
    .uses_dynamic_stack: false
    .vgpr_count:     47
    .vgpr_spill_count: 0
    .wavefront_size: 32
  - .args:
      - .offset:         0
        .size:           160
        .value_kind:     by_value
    .group_segment_fixed_size: 0
    .kernarg_segment_align: 8
    .kernarg_segment_size: 160
    .language:       OpenCL C
    .language_version:
      - 2
      - 0
    .max_flat_workgroup_size: 256
    .name:           _ZN7rocprim17ROCPRIM_400000_NS6detail17trampoline_kernelINS0_14default_configENS1_27scan_by_key_config_selectorIj11FixedVectorIiLj8EEEEZZNS1_16scan_by_key_implILNS1_25lookback_scan_determinismE0ELb1ES3_N6thrust23THRUST_200600_302600_NS6detail15normal_iteratorINSB_10device_ptrIjEEEENSD_INSE_IS6_EEEESI_S6_NSB_4plusIvEENSB_8equal_toIvEES6_EE10hipError_tPvRmT2_T3_T4_T5_mT6_T7_P12ihipStream_tbENKUlT_T0_E_clISt17integral_constantIbLb0EES13_EEDaSY_SZ_EUlSY_E_NS1_11comp_targetILNS1_3genE10ELNS1_11target_archE1201ELNS1_3gpuE5ELNS1_3repE0EEENS1_30default_config_static_selectorELNS0_4arch9wavefront6targetE0EEEvT1_
    .private_segment_fixed_size: 0
    .sgpr_count:     0
    .sgpr_spill_count: 0
    .symbol:         _ZN7rocprim17ROCPRIM_400000_NS6detail17trampoline_kernelINS0_14default_configENS1_27scan_by_key_config_selectorIj11FixedVectorIiLj8EEEEZZNS1_16scan_by_key_implILNS1_25lookback_scan_determinismE0ELb1ES3_N6thrust23THRUST_200600_302600_NS6detail15normal_iteratorINSB_10device_ptrIjEEEENSD_INSE_IS6_EEEESI_S6_NSB_4plusIvEENSB_8equal_toIvEES6_EE10hipError_tPvRmT2_T3_T4_T5_mT6_T7_P12ihipStream_tbENKUlT_T0_E_clISt17integral_constantIbLb0EES13_EEDaSY_SZ_EUlSY_E_NS1_11comp_targetILNS1_3genE10ELNS1_11target_archE1201ELNS1_3gpuE5ELNS1_3repE0EEENS1_30default_config_static_selectorELNS0_4arch9wavefront6targetE0EEEvT1_.kd
    .uniform_work_group_size: 1
    .uses_dynamic_stack: false
    .vgpr_count:     0
    .vgpr_spill_count: 0
    .wavefront_size: 32
  - .args:
      - .offset:         0
        .size:           160
        .value_kind:     by_value
    .group_segment_fixed_size: 0
    .kernarg_segment_align: 8
    .kernarg_segment_size: 160
    .language:       OpenCL C
    .language_version:
      - 2
      - 0
    .max_flat_workgroup_size: 256
    .name:           _ZN7rocprim17ROCPRIM_400000_NS6detail17trampoline_kernelINS0_14default_configENS1_27scan_by_key_config_selectorIj11FixedVectorIiLj8EEEEZZNS1_16scan_by_key_implILNS1_25lookback_scan_determinismE0ELb1ES3_N6thrust23THRUST_200600_302600_NS6detail15normal_iteratorINSB_10device_ptrIjEEEENSD_INSE_IS6_EEEESI_S6_NSB_4plusIvEENSB_8equal_toIvEES6_EE10hipError_tPvRmT2_T3_T4_T5_mT6_T7_P12ihipStream_tbENKUlT_T0_E_clISt17integral_constantIbLb0EES13_EEDaSY_SZ_EUlSY_E_NS1_11comp_targetILNS1_3genE5ELNS1_11target_archE942ELNS1_3gpuE9ELNS1_3repE0EEENS1_30default_config_static_selectorELNS0_4arch9wavefront6targetE0EEEvT1_
    .private_segment_fixed_size: 0
    .sgpr_count:     0
    .sgpr_spill_count: 0
    .symbol:         _ZN7rocprim17ROCPRIM_400000_NS6detail17trampoline_kernelINS0_14default_configENS1_27scan_by_key_config_selectorIj11FixedVectorIiLj8EEEEZZNS1_16scan_by_key_implILNS1_25lookback_scan_determinismE0ELb1ES3_N6thrust23THRUST_200600_302600_NS6detail15normal_iteratorINSB_10device_ptrIjEEEENSD_INSE_IS6_EEEESI_S6_NSB_4plusIvEENSB_8equal_toIvEES6_EE10hipError_tPvRmT2_T3_T4_T5_mT6_T7_P12ihipStream_tbENKUlT_T0_E_clISt17integral_constantIbLb0EES13_EEDaSY_SZ_EUlSY_E_NS1_11comp_targetILNS1_3genE5ELNS1_11target_archE942ELNS1_3gpuE9ELNS1_3repE0EEENS1_30default_config_static_selectorELNS0_4arch9wavefront6targetE0EEEvT1_.kd
    .uniform_work_group_size: 1
    .uses_dynamic_stack: false
    .vgpr_count:     0
    .vgpr_spill_count: 0
    .wavefront_size: 32
  - .args:
      - .offset:         0
        .size:           160
        .value_kind:     by_value
    .group_segment_fixed_size: 0
    .kernarg_segment_align: 8
    .kernarg_segment_size: 160
    .language:       OpenCL C
    .language_version:
      - 2
      - 0
    .max_flat_workgroup_size: 256
    .name:           _ZN7rocprim17ROCPRIM_400000_NS6detail17trampoline_kernelINS0_14default_configENS1_27scan_by_key_config_selectorIj11FixedVectorIiLj8EEEEZZNS1_16scan_by_key_implILNS1_25lookback_scan_determinismE0ELb1ES3_N6thrust23THRUST_200600_302600_NS6detail15normal_iteratorINSB_10device_ptrIjEEEENSD_INSE_IS6_EEEESI_S6_NSB_4plusIvEENSB_8equal_toIvEES6_EE10hipError_tPvRmT2_T3_T4_T5_mT6_T7_P12ihipStream_tbENKUlT_T0_E_clISt17integral_constantIbLb0EES13_EEDaSY_SZ_EUlSY_E_NS1_11comp_targetILNS1_3genE4ELNS1_11target_archE910ELNS1_3gpuE8ELNS1_3repE0EEENS1_30default_config_static_selectorELNS0_4arch9wavefront6targetE0EEEvT1_
    .private_segment_fixed_size: 0
    .sgpr_count:     0
    .sgpr_spill_count: 0
    .symbol:         _ZN7rocprim17ROCPRIM_400000_NS6detail17trampoline_kernelINS0_14default_configENS1_27scan_by_key_config_selectorIj11FixedVectorIiLj8EEEEZZNS1_16scan_by_key_implILNS1_25lookback_scan_determinismE0ELb1ES3_N6thrust23THRUST_200600_302600_NS6detail15normal_iteratorINSB_10device_ptrIjEEEENSD_INSE_IS6_EEEESI_S6_NSB_4plusIvEENSB_8equal_toIvEES6_EE10hipError_tPvRmT2_T3_T4_T5_mT6_T7_P12ihipStream_tbENKUlT_T0_E_clISt17integral_constantIbLb0EES13_EEDaSY_SZ_EUlSY_E_NS1_11comp_targetILNS1_3genE4ELNS1_11target_archE910ELNS1_3gpuE8ELNS1_3repE0EEENS1_30default_config_static_selectorELNS0_4arch9wavefront6targetE0EEEvT1_.kd
    .uniform_work_group_size: 1
    .uses_dynamic_stack: false
    .vgpr_count:     0
    .vgpr_spill_count: 0
    .wavefront_size: 32
  - .args:
      - .offset:         0
        .size:           160
        .value_kind:     by_value
    .group_segment_fixed_size: 0
    .kernarg_segment_align: 8
    .kernarg_segment_size: 160
    .language:       OpenCL C
    .language_version:
      - 2
      - 0
    .max_flat_workgroup_size: 256
    .name:           _ZN7rocprim17ROCPRIM_400000_NS6detail17trampoline_kernelINS0_14default_configENS1_27scan_by_key_config_selectorIj11FixedVectorIiLj8EEEEZZNS1_16scan_by_key_implILNS1_25lookback_scan_determinismE0ELb1ES3_N6thrust23THRUST_200600_302600_NS6detail15normal_iteratorINSB_10device_ptrIjEEEENSD_INSE_IS6_EEEESI_S6_NSB_4plusIvEENSB_8equal_toIvEES6_EE10hipError_tPvRmT2_T3_T4_T5_mT6_T7_P12ihipStream_tbENKUlT_T0_E_clISt17integral_constantIbLb0EES13_EEDaSY_SZ_EUlSY_E_NS1_11comp_targetILNS1_3genE3ELNS1_11target_archE908ELNS1_3gpuE7ELNS1_3repE0EEENS1_30default_config_static_selectorELNS0_4arch9wavefront6targetE0EEEvT1_
    .private_segment_fixed_size: 0
    .sgpr_count:     0
    .sgpr_spill_count: 0
    .symbol:         _ZN7rocprim17ROCPRIM_400000_NS6detail17trampoline_kernelINS0_14default_configENS1_27scan_by_key_config_selectorIj11FixedVectorIiLj8EEEEZZNS1_16scan_by_key_implILNS1_25lookback_scan_determinismE0ELb1ES3_N6thrust23THRUST_200600_302600_NS6detail15normal_iteratorINSB_10device_ptrIjEEEENSD_INSE_IS6_EEEESI_S6_NSB_4plusIvEENSB_8equal_toIvEES6_EE10hipError_tPvRmT2_T3_T4_T5_mT6_T7_P12ihipStream_tbENKUlT_T0_E_clISt17integral_constantIbLb0EES13_EEDaSY_SZ_EUlSY_E_NS1_11comp_targetILNS1_3genE3ELNS1_11target_archE908ELNS1_3gpuE7ELNS1_3repE0EEENS1_30default_config_static_selectorELNS0_4arch9wavefront6targetE0EEEvT1_.kd
    .uniform_work_group_size: 1
    .uses_dynamic_stack: false
    .vgpr_count:     0
    .vgpr_spill_count: 0
    .wavefront_size: 32
  - .args:
      - .offset:         0
        .size:           160
        .value_kind:     by_value
    .group_segment_fixed_size: 0
    .kernarg_segment_align: 8
    .kernarg_segment_size: 160
    .language:       OpenCL C
    .language_version:
      - 2
      - 0
    .max_flat_workgroup_size: 256
    .name:           _ZN7rocprim17ROCPRIM_400000_NS6detail17trampoline_kernelINS0_14default_configENS1_27scan_by_key_config_selectorIj11FixedVectorIiLj8EEEEZZNS1_16scan_by_key_implILNS1_25lookback_scan_determinismE0ELb1ES3_N6thrust23THRUST_200600_302600_NS6detail15normal_iteratorINSB_10device_ptrIjEEEENSD_INSE_IS6_EEEESI_S6_NSB_4plusIvEENSB_8equal_toIvEES6_EE10hipError_tPvRmT2_T3_T4_T5_mT6_T7_P12ihipStream_tbENKUlT_T0_E_clISt17integral_constantIbLb0EES13_EEDaSY_SZ_EUlSY_E_NS1_11comp_targetILNS1_3genE2ELNS1_11target_archE906ELNS1_3gpuE6ELNS1_3repE0EEENS1_30default_config_static_selectorELNS0_4arch9wavefront6targetE0EEEvT1_
    .private_segment_fixed_size: 0
    .sgpr_count:     0
    .sgpr_spill_count: 0
    .symbol:         _ZN7rocprim17ROCPRIM_400000_NS6detail17trampoline_kernelINS0_14default_configENS1_27scan_by_key_config_selectorIj11FixedVectorIiLj8EEEEZZNS1_16scan_by_key_implILNS1_25lookback_scan_determinismE0ELb1ES3_N6thrust23THRUST_200600_302600_NS6detail15normal_iteratorINSB_10device_ptrIjEEEENSD_INSE_IS6_EEEESI_S6_NSB_4plusIvEENSB_8equal_toIvEES6_EE10hipError_tPvRmT2_T3_T4_T5_mT6_T7_P12ihipStream_tbENKUlT_T0_E_clISt17integral_constantIbLb0EES13_EEDaSY_SZ_EUlSY_E_NS1_11comp_targetILNS1_3genE2ELNS1_11target_archE906ELNS1_3gpuE6ELNS1_3repE0EEENS1_30default_config_static_selectorELNS0_4arch9wavefront6targetE0EEEvT1_.kd
    .uniform_work_group_size: 1
    .uses_dynamic_stack: false
    .vgpr_count:     0
    .vgpr_spill_count: 0
    .wavefront_size: 32
  - .args:
      - .offset:         0
        .size:           160
        .value_kind:     by_value
    .group_segment_fixed_size: 0
    .kernarg_segment_align: 8
    .kernarg_segment_size: 160
    .language:       OpenCL C
    .language_version:
      - 2
      - 0
    .max_flat_workgroup_size: 256
    .name:           _ZN7rocprim17ROCPRIM_400000_NS6detail17trampoline_kernelINS0_14default_configENS1_27scan_by_key_config_selectorIj11FixedVectorIiLj8EEEEZZNS1_16scan_by_key_implILNS1_25lookback_scan_determinismE0ELb1ES3_N6thrust23THRUST_200600_302600_NS6detail15normal_iteratorINSB_10device_ptrIjEEEENSD_INSE_IS6_EEEESI_S6_NSB_4plusIvEENSB_8equal_toIvEES6_EE10hipError_tPvRmT2_T3_T4_T5_mT6_T7_P12ihipStream_tbENKUlT_T0_E_clISt17integral_constantIbLb0EES13_EEDaSY_SZ_EUlSY_E_NS1_11comp_targetILNS1_3genE10ELNS1_11target_archE1200ELNS1_3gpuE4ELNS1_3repE0EEENS1_30default_config_static_selectorELNS0_4arch9wavefront6targetE0EEEvT1_
    .private_segment_fixed_size: 0
    .sgpr_count:     0
    .sgpr_spill_count: 0
    .symbol:         _ZN7rocprim17ROCPRIM_400000_NS6detail17trampoline_kernelINS0_14default_configENS1_27scan_by_key_config_selectorIj11FixedVectorIiLj8EEEEZZNS1_16scan_by_key_implILNS1_25lookback_scan_determinismE0ELb1ES3_N6thrust23THRUST_200600_302600_NS6detail15normal_iteratorINSB_10device_ptrIjEEEENSD_INSE_IS6_EEEESI_S6_NSB_4plusIvEENSB_8equal_toIvEES6_EE10hipError_tPvRmT2_T3_T4_T5_mT6_T7_P12ihipStream_tbENKUlT_T0_E_clISt17integral_constantIbLb0EES13_EEDaSY_SZ_EUlSY_E_NS1_11comp_targetILNS1_3genE10ELNS1_11target_archE1200ELNS1_3gpuE4ELNS1_3repE0EEENS1_30default_config_static_selectorELNS0_4arch9wavefront6targetE0EEEvT1_.kd
    .uniform_work_group_size: 1
    .uses_dynamic_stack: false
    .vgpr_count:     0
    .vgpr_spill_count: 0
    .wavefront_size: 32
  - .args:
      - .offset:         0
        .size:           160
        .value_kind:     by_value
    .group_segment_fixed_size: 0
    .kernarg_segment_align: 8
    .kernarg_segment_size: 160
    .language:       OpenCL C
    .language_version:
      - 2
      - 0
    .max_flat_workgroup_size: 256
    .name:           _ZN7rocprim17ROCPRIM_400000_NS6detail17trampoline_kernelINS0_14default_configENS1_27scan_by_key_config_selectorIj11FixedVectorIiLj8EEEEZZNS1_16scan_by_key_implILNS1_25lookback_scan_determinismE0ELb1ES3_N6thrust23THRUST_200600_302600_NS6detail15normal_iteratorINSB_10device_ptrIjEEEENSD_INSE_IS6_EEEESI_S6_NSB_4plusIvEENSB_8equal_toIvEES6_EE10hipError_tPvRmT2_T3_T4_T5_mT6_T7_P12ihipStream_tbENKUlT_T0_E_clISt17integral_constantIbLb0EES13_EEDaSY_SZ_EUlSY_E_NS1_11comp_targetILNS1_3genE9ELNS1_11target_archE1100ELNS1_3gpuE3ELNS1_3repE0EEENS1_30default_config_static_selectorELNS0_4arch9wavefront6targetE0EEEvT1_
    .private_segment_fixed_size: 0
    .sgpr_count:     0
    .sgpr_spill_count: 0
    .symbol:         _ZN7rocprim17ROCPRIM_400000_NS6detail17trampoline_kernelINS0_14default_configENS1_27scan_by_key_config_selectorIj11FixedVectorIiLj8EEEEZZNS1_16scan_by_key_implILNS1_25lookback_scan_determinismE0ELb1ES3_N6thrust23THRUST_200600_302600_NS6detail15normal_iteratorINSB_10device_ptrIjEEEENSD_INSE_IS6_EEEESI_S6_NSB_4plusIvEENSB_8equal_toIvEES6_EE10hipError_tPvRmT2_T3_T4_T5_mT6_T7_P12ihipStream_tbENKUlT_T0_E_clISt17integral_constantIbLb0EES13_EEDaSY_SZ_EUlSY_E_NS1_11comp_targetILNS1_3genE9ELNS1_11target_archE1100ELNS1_3gpuE3ELNS1_3repE0EEENS1_30default_config_static_selectorELNS0_4arch9wavefront6targetE0EEEvT1_.kd
    .uniform_work_group_size: 1
    .uses_dynamic_stack: false
    .vgpr_count:     0
    .vgpr_spill_count: 0
    .wavefront_size: 32
  - .args:
      - .offset:         0
        .size:           160
        .value_kind:     by_value
    .group_segment_fixed_size: 0
    .kernarg_segment_align: 8
    .kernarg_segment_size: 160
    .language:       OpenCL C
    .language_version:
      - 2
      - 0
    .max_flat_workgroup_size: 256
    .name:           _ZN7rocprim17ROCPRIM_400000_NS6detail17trampoline_kernelINS0_14default_configENS1_27scan_by_key_config_selectorIj11FixedVectorIiLj8EEEEZZNS1_16scan_by_key_implILNS1_25lookback_scan_determinismE0ELb1ES3_N6thrust23THRUST_200600_302600_NS6detail15normal_iteratorINSB_10device_ptrIjEEEENSD_INSE_IS6_EEEESI_S6_NSB_4plusIvEENSB_8equal_toIvEES6_EE10hipError_tPvRmT2_T3_T4_T5_mT6_T7_P12ihipStream_tbENKUlT_T0_E_clISt17integral_constantIbLb0EES13_EEDaSY_SZ_EUlSY_E_NS1_11comp_targetILNS1_3genE8ELNS1_11target_archE1030ELNS1_3gpuE2ELNS1_3repE0EEENS1_30default_config_static_selectorELNS0_4arch9wavefront6targetE0EEEvT1_
    .private_segment_fixed_size: 0
    .sgpr_count:     0
    .sgpr_spill_count: 0
    .symbol:         _ZN7rocprim17ROCPRIM_400000_NS6detail17trampoline_kernelINS0_14default_configENS1_27scan_by_key_config_selectorIj11FixedVectorIiLj8EEEEZZNS1_16scan_by_key_implILNS1_25lookback_scan_determinismE0ELb1ES3_N6thrust23THRUST_200600_302600_NS6detail15normal_iteratorINSB_10device_ptrIjEEEENSD_INSE_IS6_EEEESI_S6_NSB_4plusIvEENSB_8equal_toIvEES6_EE10hipError_tPvRmT2_T3_T4_T5_mT6_T7_P12ihipStream_tbENKUlT_T0_E_clISt17integral_constantIbLb0EES13_EEDaSY_SZ_EUlSY_E_NS1_11comp_targetILNS1_3genE8ELNS1_11target_archE1030ELNS1_3gpuE2ELNS1_3repE0EEENS1_30default_config_static_selectorELNS0_4arch9wavefront6targetE0EEEvT1_.kd
    .uniform_work_group_size: 1
    .uses_dynamic_stack: false
    .vgpr_count:     0
    .vgpr_spill_count: 0
    .wavefront_size: 32
  - .args:
      - .offset:         0
        .size:           160
        .value_kind:     by_value
    .group_segment_fixed_size: 0
    .kernarg_segment_align: 8
    .kernarg_segment_size: 160
    .language:       OpenCL C
    .language_version:
      - 2
      - 0
    .max_flat_workgroup_size: 256
    .name:           _ZN7rocprim17ROCPRIM_400000_NS6detail17trampoline_kernelINS0_14default_configENS1_27scan_by_key_config_selectorIj11FixedVectorIiLj8EEEEZZNS1_16scan_by_key_implILNS1_25lookback_scan_determinismE0ELb1ES3_N6thrust23THRUST_200600_302600_NS6detail15normal_iteratorINSB_10device_ptrIjEEEENSD_INSE_IS6_EEEESI_S6_NSB_4plusIvEENSB_8equal_toIvEES6_EE10hipError_tPvRmT2_T3_T4_T5_mT6_T7_P12ihipStream_tbENKUlT_T0_E_clISt17integral_constantIbLb1EES13_EEDaSY_SZ_EUlSY_E_NS1_11comp_targetILNS1_3genE0ELNS1_11target_archE4294967295ELNS1_3gpuE0ELNS1_3repE0EEENS1_30default_config_static_selectorELNS0_4arch9wavefront6targetE0EEEvT1_
    .private_segment_fixed_size: 0
    .sgpr_count:     0
    .sgpr_spill_count: 0
    .symbol:         _ZN7rocprim17ROCPRIM_400000_NS6detail17trampoline_kernelINS0_14default_configENS1_27scan_by_key_config_selectorIj11FixedVectorIiLj8EEEEZZNS1_16scan_by_key_implILNS1_25lookback_scan_determinismE0ELb1ES3_N6thrust23THRUST_200600_302600_NS6detail15normal_iteratorINSB_10device_ptrIjEEEENSD_INSE_IS6_EEEESI_S6_NSB_4plusIvEENSB_8equal_toIvEES6_EE10hipError_tPvRmT2_T3_T4_T5_mT6_T7_P12ihipStream_tbENKUlT_T0_E_clISt17integral_constantIbLb1EES13_EEDaSY_SZ_EUlSY_E_NS1_11comp_targetILNS1_3genE0ELNS1_11target_archE4294967295ELNS1_3gpuE0ELNS1_3repE0EEENS1_30default_config_static_selectorELNS0_4arch9wavefront6targetE0EEEvT1_.kd
    .uniform_work_group_size: 1
    .uses_dynamic_stack: false
    .vgpr_count:     0
    .vgpr_spill_count: 0
    .wavefront_size: 32
  - .args:
      - .offset:         0
        .size:           160
        .value_kind:     by_value
    .group_segment_fixed_size: 0
    .kernarg_segment_align: 8
    .kernarg_segment_size: 160
    .language:       OpenCL C
    .language_version:
      - 2
      - 0
    .max_flat_workgroup_size: 256
    .name:           _ZN7rocprim17ROCPRIM_400000_NS6detail17trampoline_kernelINS0_14default_configENS1_27scan_by_key_config_selectorIj11FixedVectorIiLj8EEEEZZNS1_16scan_by_key_implILNS1_25lookback_scan_determinismE0ELb1ES3_N6thrust23THRUST_200600_302600_NS6detail15normal_iteratorINSB_10device_ptrIjEEEENSD_INSE_IS6_EEEESI_S6_NSB_4plusIvEENSB_8equal_toIvEES6_EE10hipError_tPvRmT2_T3_T4_T5_mT6_T7_P12ihipStream_tbENKUlT_T0_E_clISt17integral_constantIbLb1EES13_EEDaSY_SZ_EUlSY_E_NS1_11comp_targetILNS1_3genE10ELNS1_11target_archE1201ELNS1_3gpuE5ELNS1_3repE0EEENS1_30default_config_static_selectorELNS0_4arch9wavefront6targetE0EEEvT1_
    .private_segment_fixed_size: 0
    .sgpr_count:     0
    .sgpr_spill_count: 0
    .symbol:         _ZN7rocprim17ROCPRIM_400000_NS6detail17trampoline_kernelINS0_14default_configENS1_27scan_by_key_config_selectorIj11FixedVectorIiLj8EEEEZZNS1_16scan_by_key_implILNS1_25lookback_scan_determinismE0ELb1ES3_N6thrust23THRUST_200600_302600_NS6detail15normal_iteratorINSB_10device_ptrIjEEEENSD_INSE_IS6_EEEESI_S6_NSB_4plusIvEENSB_8equal_toIvEES6_EE10hipError_tPvRmT2_T3_T4_T5_mT6_T7_P12ihipStream_tbENKUlT_T0_E_clISt17integral_constantIbLb1EES13_EEDaSY_SZ_EUlSY_E_NS1_11comp_targetILNS1_3genE10ELNS1_11target_archE1201ELNS1_3gpuE5ELNS1_3repE0EEENS1_30default_config_static_selectorELNS0_4arch9wavefront6targetE0EEEvT1_.kd
    .uniform_work_group_size: 1
    .uses_dynamic_stack: false
    .vgpr_count:     0
    .vgpr_spill_count: 0
    .wavefront_size: 32
  - .args:
      - .offset:         0
        .size:           160
        .value_kind:     by_value
    .group_segment_fixed_size: 0
    .kernarg_segment_align: 8
    .kernarg_segment_size: 160
    .language:       OpenCL C
    .language_version:
      - 2
      - 0
    .max_flat_workgroup_size: 256
    .name:           _ZN7rocprim17ROCPRIM_400000_NS6detail17trampoline_kernelINS0_14default_configENS1_27scan_by_key_config_selectorIj11FixedVectorIiLj8EEEEZZNS1_16scan_by_key_implILNS1_25lookback_scan_determinismE0ELb1ES3_N6thrust23THRUST_200600_302600_NS6detail15normal_iteratorINSB_10device_ptrIjEEEENSD_INSE_IS6_EEEESI_S6_NSB_4plusIvEENSB_8equal_toIvEES6_EE10hipError_tPvRmT2_T3_T4_T5_mT6_T7_P12ihipStream_tbENKUlT_T0_E_clISt17integral_constantIbLb1EES13_EEDaSY_SZ_EUlSY_E_NS1_11comp_targetILNS1_3genE5ELNS1_11target_archE942ELNS1_3gpuE9ELNS1_3repE0EEENS1_30default_config_static_selectorELNS0_4arch9wavefront6targetE0EEEvT1_
    .private_segment_fixed_size: 0
    .sgpr_count:     0
    .sgpr_spill_count: 0
    .symbol:         _ZN7rocprim17ROCPRIM_400000_NS6detail17trampoline_kernelINS0_14default_configENS1_27scan_by_key_config_selectorIj11FixedVectorIiLj8EEEEZZNS1_16scan_by_key_implILNS1_25lookback_scan_determinismE0ELb1ES3_N6thrust23THRUST_200600_302600_NS6detail15normal_iteratorINSB_10device_ptrIjEEEENSD_INSE_IS6_EEEESI_S6_NSB_4plusIvEENSB_8equal_toIvEES6_EE10hipError_tPvRmT2_T3_T4_T5_mT6_T7_P12ihipStream_tbENKUlT_T0_E_clISt17integral_constantIbLb1EES13_EEDaSY_SZ_EUlSY_E_NS1_11comp_targetILNS1_3genE5ELNS1_11target_archE942ELNS1_3gpuE9ELNS1_3repE0EEENS1_30default_config_static_selectorELNS0_4arch9wavefront6targetE0EEEvT1_.kd
    .uniform_work_group_size: 1
    .uses_dynamic_stack: false
    .vgpr_count:     0
    .vgpr_spill_count: 0
    .wavefront_size: 32
  - .args:
      - .offset:         0
        .size:           160
        .value_kind:     by_value
    .group_segment_fixed_size: 0
    .kernarg_segment_align: 8
    .kernarg_segment_size: 160
    .language:       OpenCL C
    .language_version:
      - 2
      - 0
    .max_flat_workgroup_size: 256
    .name:           _ZN7rocprim17ROCPRIM_400000_NS6detail17trampoline_kernelINS0_14default_configENS1_27scan_by_key_config_selectorIj11FixedVectorIiLj8EEEEZZNS1_16scan_by_key_implILNS1_25lookback_scan_determinismE0ELb1ES3_N6thrust23THRUST_200600_302600_NS6detail15normal_iteratorINSB_10device_ptrIjEEEENSD_INSE_IS6_EEEESI_S6_NSB_4plusIvEENSB_8equal_toIvEES6_EE10hipError_tPvRmT2_T3_T4_T5_mT6_T7_P12ihipStream_tbENKUlT_T0_E_clISt17integral_constantIbLb1EES13_EEDaSY_SZ_EUlSY_E_NS1_11comp_targetILNS1_3genE4ELNS1_11target_archE910ELNS1_3gpuE8ELNS1_3repE0EEENS1_30default_config_static_selectorELNS0_4arch9wavefront6targetE0EEEvT1_
    .private_segment_fixed_size: 0
    .sgpr_count:     0
    .sgpr_spill_count: 0
    .symbol:         _ZN7rocprim17ROCPRIM_400000_NS6detail17trampoline_kernelINS0_14default_configENS1_27scan_by_key_config_selectorIj11FixedVectorIiLj8EEEEZZNS1_16scan_by_key_implILNS1_25lookback_scan_determinismE0ELb1ES3_N6thrust23THRUST_200600_302600_NS6detail15normal_iteratorINSB_10device_ptrIjEEEENSD_INSE_IS6_EEEESI_S6_NSB_4plusIvEENSB_8equal_toIvEES6_EE10hipError_tPvRmT2_T3_T4_T5_mT6_T7_P12ihipStream_tbENKUlT_T0_E_clISt17integral_constantIbLb1EES13_EEDaSY_SZ_EUlSY_E_NS1_11comp_targetILNS1_3genE4ELNS1_11target_archE910ELNS1_3gpuE8ELNS1_3repE0EEENS1_30default_config_static_selectorELNS0_4arch9wavefront6targetE0EEEvT1_.kd
    .uniform_work_group_size: 1
    .uses_dynamic_stack: false
    .vgpr_count:     0
    .vgpr_spill_count: 0
    .wavefront_size: 32
  - .args:
      - .offset:         0
        .size:           160
        .value_kind:     by_value
    .group_segment_fixed_size: 0
    .kernarg_segment_align: 8
    .kernarg_segment_size: 160
    .language:       OpenCL C
    .language_version:
      - 2
      - 0
    .max_flat_workgroup_size: 256
    .name:           _ZN7rocprim17ROCPRIM_400000_NS6detail17trampoline_kernelINS0_14default_configENS1_27scan_by_key_config_selectorIj11FixedVectorIiLj8EEEEZZNS1_16scan_by_key_implILNS1_25lookback_scan_determinismE0ELb1ES3_N6thrust23THRUST_200600_302600_NS6detail15normal_iteratorINSB_10device_ptrIjEEEENSD_INSE_IS6_EEEESI_S6_NSB_4plusIvEENSB_8equal_toIvEES6_EE10hipError_tPvRmT2_T3_T4_T5_mT6_T7_P12ihipStream_tbENKUlT_T0_E_clISt17integral_constantIbLb1EES13_EEDaSY_SZ_EUlSY_E_NS1_11comp_targetILNS1_3genE3ELNS1_11target_archE908ELNS1_3gpuE7ELNS1_3repE0EEENS1_30default_config_static_selectorELNS0_4arch9wavefront6targetE0EEEvT1_
    .private_segment_fixed_size: 0
    .sgpr_count:     0
    .sgpr_spill_count: 0
    .symbol:         _ZN7rocprim17ROCPRIM_400000_NS6detail17trampoline_kernelINS0_14default_configENS1_27scan_by_key_config_selectorIj11FixedVectorIiLj8EEEEZZNS1_16scan_by_key_implILNS1_25lookback_scan_determinismE0ELb1ES3_N6thrust23THRUST_200600_302600_NS6detail15normal_iteratorINSB_10device_ptrIjEEEENSD_INSE_IS6_EEEESI_S6_NSB_4plusIvEENSB_8equal_toIvEES6_EE10hipError_tPvRmT2_T3_T4_T5_mT6_T7_P12ihipStream_tbENKUlT_T0_E_clISt17integral_constantIbLb1EES13_EEDaSY_SZ_EUlSY_E_NS1_11comp_targetILNS1_3genE3ELNS1_11target_archE908ELNS1_3gpuE7ELNS1_3repE0EEENS1_30default_config_static_selectorELNS0_4arch9wavefront6targetE0EEEvT1_.kd
    .uniform_work_group_size: 1
    .uses_dynamic_stack: false
    .vgpr_count:     0
    .vgpr_spill_count: 0
    .wavefront_size: 32
  - .args:
      - .offset:         0
        .size:           160
        .value_kind:     by_value
    .group_segment_fixed_size: 0
    .kernarg_segment_align: 8
    .kernarg_segment_size: 160
    .language:       OpenCL C
    .language_version:
      - 2
      - 0
    .max_flat_workgroup_size: 256
    .name:           _ZN7rocprim17ROCPRIM_400000_NS6detail17trampoline_kernelINS0_14default_configENS1_27scan_by_key_config_selectorIj11FixedVectorIiLj8EEEEZZNS1_16scan_by_key_implILNS1_25lookback_scan_determinismE0ELb1ES3_N6thrust23THRUST_200600_302600_NS6detail15normal_iteratorINSB_10device_ptrIjEEEENSD_INSE_IS6_EEEESI_S6_NSB_4plusIvEENSB_8equal_toIvEES6_EE10hipError_tPvRmT2_T3_T4_T5_mT6_T7_P12ihipStream_tbENKUlT_T0_E_clISt17integral_constantIbLb1EES13_EEDaSY_SZ_EUlSY_E_NS1_11comp_targetILNS1_3genE2ELNS1_11target_archE906ELNS1_3gpuE6ELNS1_3repE0EEENS1_30default_config_static_selectorELNS0_4arch9wavefront6targetE0EEEvT1_
    .private_segment_fixed_size: 0
    .sgpr_count:     0
    .sgpr_spill_count: 0
    .symbol:         _ZN7rocprim17ROCPRIM_400000_NS6detail17trampoline_kernelINS0_14default_configENS1_27scan_by_key_config_selectorIj11FixedVectorIiLj8EEEEZZNS1_16scan_by_key_implILNS1_25lookback_scan_determinismE0ELb1ES3_N6thrust23THRUST_200600_302600_NS6detail15normal_iteratorINSB_10device_ptrIjEEEENSD_INSE_IS6_EEEESI_S6_NSB_4plusIvEENSB_8equal_toIvEES6_EE10hipError_tPvRmT2_T3_T4_T5_mT6_T7_P12ihipStream_tbENKUlT_T0_E_clISt17integral_constantIbLb1EES13_EEDaSY_SZ_EUlSY_E_NS1_11comp_targetILNS1_3genE2ELNS1_11target_archE906ELNS1_3gpuE6ELNS1_3repE0EEENS1_30default_config_static_selectorELNS0_4arch9wavefront6targetE0EEEvT1_.kd
    .uniform_work_group_size: 1
    .uses_dynamic_stack: false
    .vgpr_count:     0
    .vgpr_spill_count: 0
    .wavefront_size: 32
  - .args:
      - .offset:         0
        .size:           160
        .value_kind:     by_value
    .group_segment_fixed_size: 0
    .kernarg_segment_align: 8
    .kernarg_segment_size: 160
    .language:       OpenCL C
    .language_version:
      - 2
      - 0
    .max_flat_workgroup_size: 256
    .name:           _ZN7rocprim17ROCPRIM_400000_NS6detail17trampoline_kernelINS0_14default_configENS1_27scan_by_key_config_selectorIj11FixedVectorIiLj8EEEEZZNS1_16scan_by_key_implILNS1_25lookback_scan_determinismE0ELb1ES3_N6thrust23THRUST_200600_302600_NS6detail15normal_iteratorINSB_10device_ptrIjEEEENSD_INSE_IS6_EEEESI_S6_NSB_4plusIvEENSB_8equal_toIvEES6_EE10hipError_tPvRmT2_T3_T4_T5_mT6_T7_P12ihipStream_tbENKUlT_T0_E_clISt17integral_constantIbLb1EES13_EEDaSY_SZ_EUlSY_E_NS1_11comp_targetILNS1_3genE10ELNS1_11target_archE1200ELNS1_3gpuE4ELNS1_3repE0EEENS1_30default_config_static_selectorELNS0_4arch9wavefront6targetE0EEEvT1_
    .private_segment_fixed_size: 0
    .sgpr_count:     0
    .sgpr_spill_count: 0
    .symbol:         _ZN7rocprim17ROCPRIM_400000_NS6detail17trampoline_kernelINS0_14default_configENS1_27scan_by_key_config_selectorIj11FixedVectorIiLj8EEEEZZNS1_16scan_by_key_implILNS1_25lookback_scan_determinismE0ELb1ES3_N6thrust23THRUST_200600_302600_NS6detail15normal_iteratorINSB_10device_ptrIjEEEENSD_INSE_IS6_EEEESI_S6_NSB_4plusIvEENSB_8equal_toIvEES6_EE10hipError_tPvRmT2_T3_T4_T5_mT6_T7_P12ihipStream_tbENKUlT_T0_E_clISt17integral_constantIbLb1EES13_EEDaSY_SZ_EUlSY_E_NS1_11comp_targetILNS1_3genE10ELNS1_11target_archE1200ELNS1_3gpuE4ELNS1_3repE0EEENS1_30default_config_static_selectorELNS0_4arch9wavefront6targetE0EEEvT1_.kd
    .uniform_work_group_size: 1
    .uses_dynamic_stack: false
    .vgpr_count:     0
    .vgpr_spill_count: 0
    .wavefront_size: 32
  - .args:
      - .offset:         0
        .size:           160
        .value_kind:     by_value
    .group_segment_fixed_size: 0
    .kernarg_segment_align: 8
    .kernarg_segment_size: 160
    .language:       OpenCL C
    .language_version:
      - 2
      - 0
    .max_flat_workgroup_size: 256
    .name:           _ZN7rocprim17ROCPRIM_400000_NS6detail17trampoline_kernelINS0_14default_configENS1_27scan_by_key_config_selectorIj11FixedVectorIiLj8EEEEZZNS1_16scan_by_key_implILNS1_25lookback_scan_determinismE0ELb1ES3_N6thrust23THRUST_200600_302600_NS6detail15normal_iteratorINSB_10device_ptrIjEEEENSD_INSE_IS6_EEEESI_S6_NSB_4plusIvEENSB_8equal_toIvEES6_EE10hipError_tPvRmT2_T3_T4_T5_mT6_T7_P12ihipStream_tbENKUlT_T0_E_clISt17integral_constantIbLb1EES13_EEDaSY_SZ_EUlSY_E_NS1_11comp_targetILNS1_3genE9ELNS1_11target_archE1100ELNS1_3gpuE3ELNS1_3repE0EEENS1_30default_config_static_selectorELNS0_4arch9wavefront6targetE0EEEvT1_
    .private_segment_fixed_size: 0
    .sgpr_count:     0
    .sgpr_spill_count: 0
    .symbol:         _ZN7rocprim17ROCPRIM_400000_NS6detail17trampoline_kernelINS0_14default_configENS1_27scan_by_key_config_selectorIj11FixedVectorIiLj8EEEEZZNS1_16scan_by_key_implILNS1_25lookback_scan_determinismE0ELb1ES3_N6thrust23THRUST_200600_302600_NS6detail15normal_iteratorINSB_10device_ptrIjEEEENSD_INSE_IS6_EEEESI_S6_NSB_4plusIvEENSB_8equal_toIvEES6_EE10hipError_tPvRmT2_T3_T4_T5_mT6_T7_P12ihipStream_tbENKUlT_T0_E_clISt17integral_constantIbLb1EES13_EEDaSY_SZ_EUlSY_E_NS1_11comp_targetILNS1_3genE9ELNS1_11target_archE1100ELNS1_3gpuE3ELNS1_3repE0EEENS1_30default_config_static_selectorELNS0_4arch9wavefront6targetE0EEEvT1_.kd
    .uniform_work_group_size: 1
    .uses_dynamic_stack: false
    .vgpr_count:     0
    .vgpr_spill_count: 0
    .wavefront_size: 32
  - .args:
      - .offset:         0
        .size:           160
        .value_kind:     by_value
    .group_segment_fixed_size: 0
    .kernarg_segment_align: 8
    .kernarg_segment_size: 160
    .language:       OpenCL C
    .language_version:
      - 2
      - 0
    .max_flat_workgroup_size: 256
    .name:           _ZN7rocprim17ROCPRIM_400000_NS6detail17trampoline_kernelINS0_14default_configENS1_27scan_by_key_config_selectorIj11FixedVectorIiLj8EEEEZZNS1_16scan_by_key_implILNS1_25lookback_scan_determinismE0ELb1ES3_N6thrust23THRUST_200600_302600_NS6detail15normal_iteratorINSB_10device_ptrIjEEEENSD_INSE_IS6_EEEESI_S6_NSB_4plusIvEENSB_8equal_toIvEES6_EE10hipError_tPvRmT2_T3_T4_T5_mT6_T7_P12ihipStream_tbENKUlT_T0_E_clISt17integral_constantIbLb1EES13_EEDaSY_SZ_EUlSY_E_NS1_11comp_targetILNS1_3genE8ELNS1_11target_archE1030ELNS1_3gpuE2ELNS1_3repE0EEENS1_30default_config_static_selectorELNS0_4arch9wavefront6targetE0EEEvT1_
    .private_segment_fixed_size: 0
    .sgpr_count:     0
    .sgpr_spill_count: 0
    .symbol:         _ZN7rocprim17ROCPRIM_400000_NS6detail17trampoline_kernelINS0_14default_configENS1_27scan_by_key_config_selectorIj11FixedVectorIiLj8EEEEZZNS1_16scan_by_key_implILNS1_25lookback_scan_determinismE0ELb1ES3_N6thrust23THRUST_200600_302600_NS6detail15normal_iteratorINSB_10device_ptrIjEEEENSD_INSE_IS6_EEEESI_S6_NSB_4plusIvEENSB_8equal_toIvEES6_EE10hipError_tPvRmT2_T3_T4_T5_mT6_T7_P12ihipStream_tbENKUlT_T0_E_clISt17integral_constantIbLb1EES13_EEDaSY_SZ_EUlSY_E_NS1_11comp_targetILNS1_3genE8ELNS1_11target_archE1030ELNS1_3gpuE2ELNS1_3repE0EEENS1_30default_config_static_selectorELNS0_4arch9wavefront6targetE0EEEvT1_.kd
    .uniform_work_group_size: 1
    .uses_dynamic_stack: false
    .vgpr_count:     0
    .vgpr_spill_count: 0
    .wavefront_size: 32
  - .args:
      - .offset:         0
        .size:           160
        .value_kind:     by_value
    .group_segment_fixed_size: 0
    .kernarg_segment_align: 8
    .kernarg_segment_size: 160
    .language:       OpenCL C
    .language_version:
      - 2
      - 0
    .max_flat_workgroup_size: 256
    .name:           _ZN7rocprim17ROCPRIM_400000_NS6detail17trampoline_kernelINS0_14default_configENS1_27scan_by_key_config_selectorIj11FixedVectorIiLj8EEEEZZNS1_16scan_by_key_implILNS1_25lookback_scan_determinismE0ELb1ES3_N6thrust23THRUST_200600_302600_NS6detail15normal_iteratorINSB_10device_ptrIjEEEENSD_INSE_IS6_EEEESI_S6_NSB_4plusIvEENSB_8equal_toIvEES6_EE10hipError_tPvRmT2_T3_T4_T5_mT6_T7_P12ihipStream_tbENKUlT_T0_E_clISt17integral_constantIbLb1EES12_IbLb0EEEEDaSY_SZ_EUlSY_E_NS1_11comp_targetILNS1_3genE0ELNS1_11target_archE4294967295ELNS1_3gpuE0ELNS1_3repE0EEENS1_30default_config_static_selectorELNS0_4arch9wavefront6targetE0EEEvT1_
    .private_segment_fixed_size: 0
    .sgpr_count:     0
    .sgpr_spill_count: 0
    .symbol:         _ZN7rocprim17ROCPRIM_400000_NS6detail17trampoline_kernelINS0_14default_configENS1_27scan_by_key_config_selectorIj11FixedVectorIiLj8EEEEZZNS1_16scan_by_key_implILNS1_25lookback_scan_determinismE0ELb1ES3_N6thrust23THRUST_200600_302600_NS6detail15normal_iteratorINSB_10device_ptrIjEEEENSD_INSE_IS6_EEEESI_S6_NSB_4plusIvEENSB_8equal_toIvEES6_EE10hipError_tPvRmT2_T3_T4_T5_mT6_T7_P12ihipStream_tbENKUlT_T0_E_clISt17integral_constantIbLb1EES12_IbLb0EEEEDaSY_SZ_EUlSY_E_NS1_11comp_targetILNS1_3genE0ELNS1_11target_archE4294967295ELNS1_3gpuE0ELNS1_3repE0EEENS1_30default_config_static_selectorELNS0_4arch9wavefront6targetE0EEEvT1_.kd
    .uniform_work_group_size: 1
    .uses_dynamic_stack: false
    .vgpr_count:     0
    .vgpr_spill_count: 0
    .wavefront_size: 32
  - .args:
      - .offset:         0
        .size:           160
        .value_kind:     by_value
    .group_segment_fixed_size: 0
    .kernarg_segment_align: 8
    .kernarg_segment_size: 160
    .language:       OpenCL C
    .language_version:
      - 2
      - 0
    .max_flat_workgroup_size: 256
    .name:           _ZN7rocprim17ROCPRIM_400000_NS6detail17trampoline_kernelINS0_14default_configENS1_27scan_by_key_config_selectorIj11FixedVectorIiLj8EEEEZZNS1_16scan_by_key_implILNS1_25lookback_scan_determinismE0ELb1ES3_N6thrust23THRUST_200600_302600_NS6detail15normal_iteratorINSB_10device_ptrIjEEEENSD_INSE_IS6_EEEESI_S6_NSB_4plusIvEENSB_8equal_toIvEES6_EE10hipError_tPvRmT2_T3_T4_T5_mT6_T7_P12ihipStream_tbENKUlT_T0_E_clISt17integral_constantIbLb1EES12_IbLb0EEEEDaSY_SZ_EUlSY_E_NS1_11comp_targetILNS1_3genE10ELNS1_11target_archE1201ELNS1_3gpuE5ELNS1_3repE0EEENS1_30default_config_static_selectorELNS0_4arch9wavefront6targetE0EEEvT1_
    .private_segment_fixed_size: 0
    .sgpr_count:     0
    .sgpr_spill_count: 0
    .symbol:         _ZN7rocprim17ROCPRIM_400000_NS6detail17trampoline_kernelINS0_14default_configENS1_27scan_by_key_config_selectorIj11FixedVectorIiLj8EEEEZZNS1_16scan_by_key_implILNS1_25lookback_scan_determinismE0ELb1ES3_N6thrust23THRUST_200600_302600_NS6detail15normal_iteratorINSB_10device_ptrIjEEEENSD_INSE_IS6_EEEESI_S6_NSB_4plusIvEENSB_8equal_toIvEES6_EE10hipError_tPvRmT2_T3_T4_T5_mT6_T7_P12ihipStream_tbENKUlT_T0_E_clISt17integral_constantIbLb1EES12_IbLb0EEEEDaSY_SZ_EUlSY_E_NS1_11comp_targetILNS1_3genE10ELNS1_11target_archE1201ELNS1_3gpuE5ELNS1_3repE0EEENS1_30default_config_static_selectorELNS0_4arch9wavefront6targetE0EEEvT1_.kd
    .uniform_work_group_size: 1
    .uses_dynamic_stack: false
    .vgpr_count:     0
    .vgpr_spill_count: 0
    .wavefront_size: 32
  - .args:
      - .offset:         0
        .size:           160
        .value_kind:     by_value
    .group_segment_fixed_size: 0
    .kernarg_segment_align: 8
    .kernarg_segment_size: 160
    .language:       OpenCL C
    .language_version:
      - 2
      - 0
    .max_flat_workgroup_size: 256
    .name:           _ZN7rocprim17ROCPRIM_400000_NS6detail17trampoline_kernelINS0_14default_configENS1_27scan_by_key_config_selectorIj11FixedVectorIiLj8EEEEZZNS1_16scan_by_key_implILNS1_25lookback_scan_determinismE0ELb1ES3_N6thrust23THRUST_200600_302600_NS6detail15normal_iteratorINSB_10device_ptrIjEEEENSD_INSE_IS6_EEEESI_S6_NSB_4plusIvEENSB_8equal_toIvEES6_EE10hipError_tPvRmT2_T3_T4_T5_mT6_T7_P12ihipStream_tbENKUlT_T0_E_clISt17integral_constantIbLb1EES12_IbLb0EEEEDaSY_SZ_EUlSY_E_NS1_11comp_targetILNS1_3genE5ELNS1_11target_archE942ELNS1_3gpuE9ELNS1_3repE0EEENS1_30default_config_static_selectorELNS0_4arch9wavefront6targetE0EEEvT1_
    .private_segment_fixed_size: 0
    .sgpr_count:     0
    .sgpr_spill_count: 0
    .symbol:         _ZN7rocprim17ROCPRIM_400000_NS6detail17trampoline_kernelINS0_14default_configENS1_27scan_by_key_config_selectorIj11FixedVectorIiLj8EEEEZZNS1_16scan_by_key_implILNS1_25lookback_scan_determinismE0ELb1ES3_N6thrust23THRUST_200600_302600_NS6detail15normal_iteratorINSB_10device_ptrIjEEEENSD_INSE_IS6_EEEESI_S6_NSB_4plusIvEENSB_8equal_toIvEES6_EE10hipError_tPvRmT2_T3_T4_T5_mT6_T7_P12ihipStream_tbENKUlT_T0_E_clISt17integral_constantIbLb1EES12_IbLb0EEEEDaSY_SZ_EUlSY_E_NS1_11comp_targetILNS1_3genE5ELNS1_11target_archE942ELNS1_3gpuE9ELNS1_3repE0EEENS1_30default_config_static_selectorELNS0_4arch9wavefront6targetE0EEEvT1_.kd
    .uniform_work_group_size: 1
    .uses_dynamic_stack: false
    .vgpr_count:     0
    .vgpr_spill_count: 0
    .wavefront_size: 32
  - .args:
      - .offset:         0
        .size:           160
        .value_kind:     by_value
    .group_segment_fixed_size: 0
    .kernarg_segment_align: 8
    .kernarg_segment_size: 160
    .language:       OpenCL C
    .language_version:
      - 2
      - 0
    .max_flat_workgroup_size: 256
    .name:           _ZN7rocprim17ROCPRIM_400000_NS6detail17trampoline_kernelINS0_14default_configENS1_27scan_by_key_config_selectorIj11FixedVectorIiLj8EEEEZZNS1_16scan_by_key_implILNS1_25lookback_scan_determinismE0ELb1ES3_N6thrust23THRUST_200600_302600_NS6detail15normal_iteratorINSB_10device_ptrIjEEEENSD_INSE_IS6_EEEESI_S6_NSB_4plusIvEENSB_8equal_toIvEES6_EE10hipError_tPvRmT2_T3_T4_T5_mT6_T7_P12ihipStream_tbENKUlT_T0_E_clISt17integral_constantIbLb1EES12_IbLb0EEEEDaSY_SZ_EUlSY_E_NS1_11comp_targetILNS1_3genE4ELNS1_11target_archE910ELNS1_3gpuE8ELNS1_3repE0EEENS1_30default_config_static_selectorELNS0_4arch9wavefront6targetE0EEEvT1_
    .private_segment_fixed_size: 0
    .sgpr_count:     0
    .sgpr_spill_count: 0
    .symbol:         _ZN7rocprim17ROCPRIM_400000_NS6detail17trampoline_kernelINS0_14default_configENS1_27scan_by_key_config_selectorIj11FixedVectorIiLj8EEEEZZNS1_16scan_by_key_implILNS1_25lookback_scan_determinismE0ELb1ES3_N6thrust23THRUST_200600_302600_NS6detail15normal_iteratorINSB_10device_ptrIjEEEENSD_INSE_IS6_EEEESI_S6_NSB_4plusIvEENSB_8equal_toIvEES6_EE10hipError_tPvRmT2_T3_T4_T5_mT6_T7_P12ihipStream_tbENKUlT_T0_E_clISt17integral_constantIbLb1EES12_IbLb0EEEEDaSY_SZ_EUlSY_E_NS1_11comp_targetILNS1_3genE4ELNS1_11target_archE910ELNS1_3gpuE8ELNS1_3repE0EEENS1_30default_config_static_selectorELNS0_4arch9wavefront6targetE0EEEvT1_.kd
    .uniform_work_group_size: 1
    .uses_dynamic_stack: false
    .vgpr_count:     0
    .vgpr_spill_count: 0
    .wavefront_size: 32
  - .args:
      - .offset:         0
        .size:           160
        .value_kind:     by_value
    .group_segment_fixed_size: 0
    .kernarg_segment_align: 8
    .kernarg_segment_size: 160
    .language:       OpenCL C
    .language_version:
      - 2
      - 0
    .max_flat_workgroup_size: 256
    .name:           _ZN7rocprim17ROCPRIM_400000_NS6detail17trampoline_kernelINS0_14default_configENS1_27scan_by_key_config_selectorIj11FixedVectorIiLj8EEEEZZNS1_16scan_by_key_implILNS1_25lookback_scan_determinismE0ELb1ES3_N6thrust23THRUST_200600_302600_NS6detail15normal_iteratorINSB_10device_ptrIjEEEENSD_INSE_IS6_EEEESI_S6_NSB_4plusIvEENSB_8equal_toIvEES6_EE10hipError_tPvRmT2_T3_T4_T5_mT6_T7_P12ihipStream_tbENKUlT_T0_E_clISt17integral_constantIbLb1EES12_IbLb0EEEEDaSY_SZ_EUlSY_E_NS1_11comp_targetILNS1_3genE3ELNS1_11target_archE908ELNS1_3gpuE7ELNS1_3repE0EEENS1_30default_config_static_selectorELNS0_4arch9wavefront6targetE0EEEvT1_
    .private_segment_fixed_size: 0
    .sgpr_count:     0
    .sgpr_spill_count: 0
    .symbol:         _ZN7rocprim17ROCPRIM_400000_NS6detail17trampoline_kernelINS0_14default_configENS1_27scan_by_key_config_selectorIj11FixedVectorIiLj8EEEEZZNS1_16scan_by_key_implILNS1_25lookback_scan_determinismE0ELb1ES3_N6thrust23THRUST_200600_302600_NS6detail15normal_iteratorINSB_10device_ptrIjEEEENSD_INSE_IS6_EEEESI_S6_NSB_4plusIvEENSB_8equal_toIvEES6_EE10hipError_tPvRmT2_T3_T4_T5_mT6_T7_P12ihipStream_tbENKUlT_T0_E_clISt17integral_constantIbLb1EES12_IbLb0EEEEDaSY_SZ_EUlSY_E_NS1_11comp_targetILNS1_3genE3ELNS1_11target_archE908ELNS1_3gpuE7ELNS1_3repE0EEENS1_30default_config_static_selectorELNS0_4arch9wavefront6targetE0EEEvT1_.kd
    .uniform_work_group_size: 1
    .uses_dynamic_stack: false
    .vgpr_count:     0
    .vgpr_spill_count: 0
    .wavefront_size: 32
  - .args:
      - .offset:         0
        .size:           160
        .value_kind:     by_value
    .group_segment_fixed_size: 0
    .kernarg_segment_align: 8
    .kernarg_segment_size: 160
    .language:       OpenCL C
    .language_version:
      - 2
      - 0
    .max_flat_workgroup_size: 256
    .name:           _ZN7rocprim17ROCPRIM_400000_NS6detail17trampoline_kernelINS0_14default_configENS1_27scan_by_key_config_selectorIj11FixedVectorIiLj8EEEEZZNS1_16scan_by_key_implILNS1_25lookback_scan_determinismE0ELb1ES3_N6thrust23THRUST_200600_302600_NS6detail15normal_iteratorINSB_10device_ptrIjEEEENSD_INSE_IS6_EEEESI_S6_NSB_4plusIvEENSB_8equal_toIvEES6_EE10hipError_tPvRmT2_T3_T4_T5_mT6_T7_P12ihipStream_tbENKUlT_T0_E_clISt17integral_constantIbLb1EES12_IbLb0EEEEDaSY_SZ_EUlSY_E_NS1_11comp_targetILNS1_3genE2ELNS1_11target_archE906ELNS1_3gpuE6ELNS1_3repE0EEENS1_30default_config_static_selectorELNS0_4arch9wavefront6targetE0EEEvT1_
    .private_segment_fixed_size: 0
    .sgpr_count:     0
    .sgpr_spill_count: 0
    .symbol:         _ZN7rocprim17ROCPRIM_400000_NS6detail17trampoline_kernelINS0_14default_configENS1_27scan_by_key_config_selectorIj11FixedVectorIiLj8EEEEZZNS1_16scan_by_key_implILNS1_25lookback_scan_determinismE0ELb1ES3_N6thrust23THRUST_200600_302600_NS6detail15normal_iteratorINSB_10device_ptrIjEEEENSD_INSE_IS6_EEEESI_S6_NSB_4plusIvEENSB_8equal_toIvEES6_EE10hipError_tPvRmT2_T3_T4_T5_mT6_T7_P12ihipStream_tbENKUlT_T0_E_clISt17integral_constantIbLb1EES12_IbLb0EEEEDaSY_SZ_EUlSY_E_NS1_11comp_targetILNS1_3genE2ELNS1_11target_archE906ELNS1_3gpuE6ELNS1_3repE0EEENS1_30default_config_static_selectorELNS0_4arch9wavefront6targetE0EEEvT1_.kd
    .uniform_work_group_size: 1
    .uses_dynamic_stack: false
    .vgpr_count:     0
    .vgpr_spill_count: 0
    .wavefront_size: 32
  - .args:
      - .offset:         0
        .size:           160
        .value_kind:     by_value
    .group_segment_fixed_size: 0
    .kernarg_segment_align: 8
    .kernarg_segment_size: 160
    .language:       OpenCL C
    .language_version:
      - 2
      - 0
    .max_flat_workgroup_size: 256
    .name:           _ZN7rocprim17ROCPRIM_400000_NS6detail17trampoline_kernelINS0_14default_configENS1_27scan_by_key_config_selectorIj11FixedVectorIiLj8EEEEZZNS1_16scan_by_key_implILNS1_25lookback_scan_determinismE0ELb1ES3_N6thrust23THRUST_200600_302600_NS6detail15normal_iteratorINSB_10device_ptrIjEEEENSD_INSE_IS6_EEEESI_S6_NSB_4plusIvEENSB_8equal_toIvEES6_EE10hipError_tPvRmT2_T3_T4_T5_mT6_T7_P12ihipStream_tbENKUlT_T0_E_clISt17integral_constantIbLb1EES12_IbLb0EEEEDaSY_SZ_EUlSY_E_NS1_11comp_targetILNS1_3genE10ELNS1_11target_archE1200ELNS1_3gpuE4ELNS1_3repE0EEENS1_30default_config_static_selectorELNS0_4arch9wavefront6targetE0EEEvT1_
    .private_segment_fixed_size: 0
    .sgpr_count:     0
    .sgpr_spill_count: 0
    .symbol:         _ZN7rocprim17ROCPRIM_400000_NS6detail17trampoline_kernelINS0_14default_configENS1_27scan_by_key_config_selectorIj11FixedVectorIiLj8EEEEZZNS1_16scan_by_key_implILNS1_25lookback_scan_determinismE0ELb1ES3_N6thrust23THRUST_200600_302600_NS6detail15normal_iteratorINSB_10device_ptrIjEEEENSD_INSE_IS6_EEEESI_S6_NSB_4plusIvEENSB_8equal_toIvEES6_EE10hipError_tPvRmT2_T3_T4_T5_mT6_T7_P12ihipStream_tbENKUlT_T0_E_clISt17integral_constantIbLb1EES12_IbLb0EEEEDaSY_SZ_EUlSY_E_NS1_11comp_targetILNS1_3genE10ELNS1_11target_archE1200ELNS1_3gpuE4ELNS1_3repE0EEENS1_30default_config_static_selectorELNS0_4arch9wavefront6targetE0EEEvT1_.kd
    .uniform_work_group_size: 1
    .uses_dynamic_stack: false
    .vgpr_count:     0
    .vgpr_spill_count: 0
    .wavefront_size: 32
  - .args:
      - .offset:         0
        .size:           160
        .value_kind:     by_value
    .group_segment_fixed_size: 0
    .kernarg_segment_align: 8
    .kernarg_segment_size: 160
    .language:       OpenCL C
    .language_version:
      - 2
      - 0
    .max_flat_workgroup_size: 256
    .name:           _ZN7rocprim17ROCPRIM_400000_NS6detail17trampoline_kernelINS0_14default_configENS1_27scan_by_key_config_selectorIj11FixedVectorIiLj8EEEEZZNS1_16scan_by_key_implILNS1_25lookback_scan_determinismE0ELb1ES3_N6thrust23THRUST_200600_302600_NS6detail15normal_iteratorINSB_10device_ptrIjEEEENSD_INSE_IS6_EEEESI_S6_NSB_4plusIvEENSB_8equal_toIvEES6_EE10hipError_tPvRmT2_T3_T4_T5_mT6_T7_P12ihipStream_tbENKUlT_T0_E_clISt17integral_constantIbLb1EES12_IbLb0EEEEDaSY_SZ_EUlSY_E_NS1_11comp_targetILNS1_3genE9ELNS1_11target_archE1100ELNS1_3gpuE3ELNS1_3repE0EEENS1_30default_config_static_selectorELNS0_4arch9wavefront6targetE0EEEvT1_
    .private_segment_fixed_size: 0
    .sgpr_count:     0
    .sgpr_spill_count: 0
    .symbol:         _ZN7rocprim17ROCPRIM_400000_NS6detail17trampoline_kernelINS0_14default_configENS1_27scan_by_key_config_selectorIj11FixedVectorIiLj8EEEEZZNS1_16scan_by_key_implILNS1_25lookback_scan_determinismE0ELb1ES3_N6thrust23THRUST_200600_302600_NS6detail15normal_iteratorINSB_10device_ptrIjEEEENSD_INSE_IS6_EEEESI_S6_NSB_4plusIvEENSB_8equal_toIvEES6_EE10hipError_tPvRmT2_T3_T4_T5_mT6_T7_P12ihipStream_tbENKUlT_T0_E_clISt17integral_constantIbLb1EES12_IbLb0EEEEDaSY_SZ_EUlSY_E_NS1_11comp_targetILNS1_3genE9ELNS1_11target_archE1100ELNS1_3gpuE3ELNS1_3repE0EEENS1_30default_config_static_selectorELNS0_4arch9wavefront6targetE0EEEvT1_.kd
    .uniform_work_group_size: 1
    .uses_dynamic_stack: false
    .vgpr_count:     0
    .vgpr_spill_count: 0
    .wavefront_size: 32
  - .args:
      - .offset:         0
        .size:           160
        .value_kind:     by_value
    .group_segment_fixed_size: 0
    .kernarg_segment_align: 8
    .kernarg_segment_size: 160
    .language:       OpenCL C
    .language_version:
      - 2
      - 0
    .max_flat_workgroup_size: 256
    .name:           _ZN7rocprim17ROCPRIM_400000_NS6detail17trampoline_kernelINS0_14default_configENS1_27scan_by_key_config_selectorIj11FixedVectorIiLj8EEEEZZNS1_16scan_by_key_implILNS1_25lookback_scan_determinismE0ELb1ES3_N6thrust23THRUST_200600_302600_NS6detail15normal_iteratorINSB_10device_ptrIjEEEENSD_INSE_IS6_EEEESI_S6_NSB_4plusIvEENSB_8equal_toIvEES6_EE10hipError_tPvRmT2_T3_T4_T5_mT6_T7_P12ihipStream_tbENKUlT_T0_E_clISt17integral_constantIbLb1EES12_IbLb0EEEEDaSY_SZ_EUlSY_E_NS1_11comp_targetILNS1_3genE8ELNS1_11target_archE1030ELNS1_3gpuE2ELNS1_3repE0EEENS1_30default_config_static_selectorELNS0_4arch9wavefront6targetE0EEEvT1_
    .private_segment_fixed_size: 0
    .sgpr_count:     0
    .sgpr_spill_count: 0
    .symbol:         _ZN7rocprim17ROCPRIM_400000_NS6detail17trampoline_kernelINS0_14default_configENS1_27scan_by_key_config_selectorIj11FixedVectorIiLj8EEEEZZNS1_16scan_by_key_implILNS1_25lookback_scan_determinismE0ELb1ES3_N6thrust23THRUST_200600_302600_NS6detail15normal_iteratorINSB_10device_ptrIjEEEENSD_INSE_IS6_EEEESI_S6_NSB_4plusIvEENSB_8equal_toIvEES6_EE10hipError_tPvRmT2_T3_T4_T5_mT6_T7_P12ihipStream_tbENKUlT_T0_E_clISt17integral_constantIbLb1EES12_IbLb0EEEEDaSY_SZ_EUlSY_E_NS1_11comp_targetILNS1_3genE8ELNS1_11target_archE1030ELNS1_3gpuE2ELNS1_3repE0EEENS1_30default_config_static_selectorELNS0_4arch9wavefront6targetE0EEEvT1_.kd
    .uniform_work_group_size: 1
    .uses_dynamic_stack: false
    .vgpr_count:     0
    .vgpr_spill_count: 0
    .wavefront_size: 32
  - .args:
      - .offset:         0
        .size:           160
        .value_kind:     by_value
    .group_segment_fixed_size: 33792
    .kernarg_segment_align: 8
    .kernarg_segment_size: 160
    .language:       OpenCL C
    .language_version:
      - 2
      - 0
    .max_flat_workgroup_size: 256
    .name:           _ZN7rocprim17ROCPRIM_400000_NS6detail17trampoline_kernelINS0_14default_configENS1_27scan_by_key_config_selectorIj11FixedVectorIiLj8EEEEZZNS1_16scan_by_key_implILNS1_25lookback_scan_determinismE0ELb1ES3_N6thrust23THRUST_200600_302600_NS6detail15normal_iteratorINSB_10device_ptrIjEEEENSD_INSE_IS6_EEEESI_S6_NSB_4plusIvEENSB_8equal_toIvEES6_EE10hipError_tPvRmT2_T3_T4_T5_mT6_T7_P12ihipStream_tbENKUlT_T0_E_clISt17integral_constantIbLb0EES12_IbLb1EEEEDaSY_SZ_EUlSY_E_NS1_11comp_targetILNS1_3genE0ELNS1_11target_archE4294967295ELNS1_3gpuE0ELNS1_3repE0EEENS1_30default_config_static_selectorELNS0_4arch9wavefront6targetE0EEEvT1_
    .private_segment_fixed_size: 432
    .sgpr_count:     54
    .sgpr_spill_count: 0
    .symbol:         _ZN7rocprim17ROCPRIM_400000_NS6detail17trampoline_kernelINS0_14default_configENS1_27scan_by_key_config_selectorIj11FixedVectorIiLj8EEEEZZNS1_16scan_by_key_implILNS1_25lookback_scan_determinismE0ELb1ES3_N6thrust23THRUST_200600_302600_NS6detail15normal_iteratorINSB_10device_ptrIjEEEENSD_INSE_IS6_EEEESI_S6_NSB_4plusIvEENSB_8equal_toIvEES6_EE10hipError_tPvRmT2_T3_T4_T5_mT6_T7_P12ihipStream_tbENKUlT_T0_E_clISt17integral_constantIbLb0EES12_IbLb1EEEEDaSY_SZ_EUlSY_E_NS1_11comp_targetILNS1_3genE0ELNS1_11target_archE4294967295ELNS1_3gpuE0ELNS1_3repE0EEENS1_30default_config_static_selectorELNS0_4arch9wavefront6targetE0EEEvT1_.kd
    .uniform_work_group_size: 1
    .uses_dynamic_stack: false
    .vgpr_count:     47
    .vgpr_spill_count: 0
    .wavefront_size: 32
  - .args:
      - .offset:         0
        .size:           160
        .value_kind:     by_value
    .group_segment_fixed_size: 0
    .kernarg_segment_align: 8
    .kernarg_segment_size: 160
    .language:       OpenCL C
    .language_version:
      - 2
      - 0
    .max_flat_workgroup_size: 256
    .name:           _ZN7rocprim17ROCPRIM_400000_NS6detail17trampoline_kernelINS0_14default_configENS1_27scan_by_key_config_selectorIj11FixedVectorIiLj8EEEEZZNS1_16scan_by_key_implILNS1_25lookback_scan_determinismE0ELb1ES3_N6thrust23THRUST_200600_302600_NS6detail15normal_iteratorINSB_10device_ptrIjEEEENSD_INSE_IS6_EEEESI_S6_NSB_4plusIvEENSB_8equal_toIvEES6_EE10hipError_tPvRmT2_T3_T4_T5_mT6_T7_P12ihipStream_tbENKUlT_T0_E_clISt17integral_constantIbLb0EES12_IbLb1EEEEDaSY_SZ_EUlSY_E_NS1_11comp_targetILNS1_3genE10ELNS1_11target_archE1201ELNS1_3gpuE5ELNS1_3repE0EEENS1_30default_config_static_selectorELNS0_4arch9wavefront6targetE0EEEvT1_
    .private_segment_fixed_size: 0
    .sgpr_count:     0
    .sgpr_spill_count: 0
    .symbol:         _ZN7rocprim17ROCPRIM_400000_NS6detail17trampoline_kernelINS0_14default_configENS1_27scan_by_key_config_selectorIj11FixedVectorIiLj8EEEEZZNS1_16scan_by_key_implILNS1_25lookback_scan_determinismE0ELb1ES3_N6thrust23THRUST_200600_302600_NS6detail15normal_iteratorINSB_10device_ptrIjEEEENSD_INSE_IS6_EEEESI_S6_NSB_4plusIvEENSB_8equal_toIvEES6_EE10hipError_tPvRmT2_T3_T4_T5_mT6_T7_P12ihipStream_tbENKUlT_T0_E_clISt17integral_constantIbLb0EES12_IbLb1EEEEDaSY_SZ_EUlSY_E_NS1_11comp_targetILNS1_3genE10ELNS1_11target_archE1201ELNS1_3gpuE5ELNS1_3repE0EEENS1_30default_config_static_selectorELNS0_4arch9wavefront6targetE0EEEvT1_.kd
    .uniform_work_group_size: 1
    .uses_dynamic_stack: false
    .vgpr_count:     0
    .vgpr_spill_count: 0
    .wavefront_size: 32
  - .args:
      - .offset:         0
        .size:           160
        .value_kind:     by_value
    .group_segment_fixed_size: 0
    .kernarg_segment_align: 8
    .kernarg_segment_size: 160
    .language:       OpenCL C
    .language_version:
      - 2
      - 0
    .max_flat_workgroup_size: 256
    .name:           _ZN7rocprim17ROCPRIM_400000_NS6detail17trampoline_kernelINS0_14default_configENS1_27scan_by_key_config_selectorIj11FixedVectorIiLj8EEEEZZNS1_16scan_by_key_implILNS1_25lookback_scan_determinismE0ELb1ES3_N6thrust23THRUST_200600_302600_NS6detail15normal_iteratorINSB_10device_ptrIjEEEENSD_INSE_IS6_EEEESI_S6_NSB_4plusIvEENSB_8equal_toIvEES6_EE10hipError_tPvRmT2_T3_T4_T5_mT6_T7_P12ihipStream_tbENKUlT_T0_E_clISt17integral_constantIbLb0EES12_IbLb1EEEEDaSY_SZ_EUlSY_E_NS1_11comp_targetILNS1_3genE5ELNS1_11target_archE942ELNS1_3gpuE9ELNS1_3repE0EEENS1_30default_config_static_selectorELNS0_4arch9wavefront6targetE0EEEvT1_
    .private_segment_fixed_size: 0
    .sgpr_count:     0
    .sgpr_spill_count: 0
    .symbol:         _ZN7rocprim17ROCPRIM_400000_NS6detail17trampoline_kernelINS0_14default_configENS1_27scan_by_key_config_selectorIj11FixedVectorIiLj8EEEEZZNS1_16scan_by_key_implILNS1_25lookback_scan_determinismE0ELb1ES3_N6thrust23THRUST_200600_302600_NS6detail15normal_iteratorINSB_10device_ptrIjEEEENSD_INSE_IS6_EEEESI_S6_NSB_4plusIvEENSB_8equal_toIvEES6_EE10hipError_tPvRmT2_T3_T4_T5_mT6_T7_P12ihipStream_tbENKUlT_T0_E_clISt17integral_constantIbLb0EES12_IbLb1EEEEDaSY_SZ_EUlSY_E_NS1_11comp_targetILNS1_3genE5ELNS1_11target_archE942ELNS1_3gpuE9ELNS1_3repE0EEENS1_30default_config_static_selectorELNS0_4arch9wavefront6targetE0EEEvT1_.kd
    .uniform_work_group_size: 1
    .uses_dynamic_stack: false
    .vgpr_count:     0
    .vgpr_spill_count: 0
    .wavefront_size: 32
  - .args:
      - .offset:         0
        .size:           160
        .value_kind:     by_value
    .group_segment_fixed_size: 0
    .kernarg_segment_align: 8
    .kernarg_segment_size: 160
    .language:       OpenCL C
    .language_version:
      - 2
      - 0
    .max_flat_workgroup_size: 256
    .name:           _ZN7rocprim17ROCPRIM_400000_NS6detail17trampoline_kernelINS0_14default_configENS1_27scan_by_key_config_selectorIj11FixedVectorIiLj8EEEEZZNS1_16scan_by_key_implILNS1_25lookback_scan_determinismE0ELb1ES3_N6thrust23THRUST_200600_302600_NS6detail15normal_iteratorINSB_10device_ptrIjEEEENSD_INSE_IS6_EEEESI_S6_NSB_4plusIvEENSB_8equal_toIvEES6_EE10hipError_tPvRmT2_T3_T4_T5_mT6_T7_P12ihipStream_tbENKUlT_T0_E_clISt17integral_constantIbLb0EES12_IbLb1EEEEDaSY_SZ_EUlSY_E_NS1_11comp_targetILNS1_3genE4ELNS1_11target_archE910ELNS1_3gpuE8ELNS1_3repE0EEENS1_30default_config_static_selectorELNS0_4arch9wavefront6targetE0EEEvT1_
    .private_segment_fixed_size: 0
    .sgpr_count:     0
    .sgpr_spill_count: 0
    .symbol:         _ZN7rocprim17ROCPRIM_400000_NS6detail17trampoline_kernelINS0_14default_configENS1_27scan_by_key_config_selectorIj11FixedVectorIiLj8EEEEZZNS1_16scan_by_key_implILNS1_25lookback_scan_determinismE0ELb1ES3_N6thrust23THRUST_200600_302600_NS6detail15normal_iteratorINSB_10device_ptrIjEEEENSD_INSE_IS6_EEEESI_S6_NSB_4plusIvEENSB_8equal_toIvEES6_EE10hipError_tPvRmT2_T3_T4_T5_mT6_T7_P12ihipStream_tbENKUlT_T0_E_clISt17integral_constantIbLb0EES12_IbLb1EEEEDaSY_SZ_EUlSY_E_NS1_11comp_targetILNS1_3genE4ELNS1_11target_archE910ELNS1_3gpuE8ELNS1_3repE0EEENS1_30default_config_static_selectorELNS0_4arch9wavefront6targetE0EEEvT1_.kd
    .uniform_work_group_size: 1
    .uses_dynamic_stack: false
    .vgpr_count:     0
    .vgpr_spill_count: 0
    .wavefront_size: 32
  - .args:
      - .offset:         0
        .size:           160
        .value_kind:     by_value
    .group_segment_fixed_size: 0
    .kernarg_segment_align: 8
    .kernarg_segment_size: 160
    .language:       OpenCL C
    .language_version:
      - 2
      - 0
    .max_flat_workgroup_size: 256
    .name:           _ZN7rocprim17ROCPRIM_400000_NS6detail17trampoline_kernelINS0_14default_configENS1_27scan_by_key_config_selectorIj11FixedVectorIiLj8EEEEZZNS1_16scan_by_key_implILNS1_25lookback_scan_determinismE0ELb1ES3_N6thrust23THRUST_200600_302600_NS6detail15normal_iteratorINSB_10device_ptrIjEEEENSD_INSE_IS6_EEEESI_S6_NSB_4plusIvEENSB_8equal_toIvEES6_EE10hipError_tPvRmT2_T3_T4_T5_mT6_T7_P12ihipStream_tbENKUlT_T0_E_clISt17integral_constantIbLb0EES12_IbLb1EEEEDaSY_SZ_EUlSY_E_NS1_11comp_targetILNS1_3genE3ELNS1_11target_archE908ELNS1_3gpuE7ELNS1_3repE0EEENS1_30default_config_static_selectorELNS0_4arch9wavefront6targetE0EEEvT1_
    .private_segment_fixed_size: 0
    .sgpr_count:     0
    .sgpr_spill_count: 0
    .symbol:         _ZN7rocprim17ROCPRIM_400000_NS6detail17trampoline_kernelINS0_14default_configENS1_27scan_by_key_config_selectorIj11FixedVectorIiLj8EEEEZZNS1_16scan_by_key_implILNS1_25lookback_scan_determinismE0ELb1ES3_N6thrust23THRUST_200600_302600_NS6detail15normal_iteratorINSB_10device_ptrIjEEEENSD_INSE_IS6_EEEESI_S6_NSB_4plusIvEENSB_8equal_toIvEES6_EE10hipError_tPvRmT2_T3_T4_T5_mT6_T7_P12ihipStream_tbENKUlT_T0_E_clISt17integral_constantIbLb0EES12_IbLb1EEEEDaSY_SZ_EUlSY_E_NS1_11comp_targetILNS1_3genE3ELNS1_11target_archE908ELNS1_3gpuE7ELNS1_3repE0EEENS1_30default_config_static_selectorELNS0_4arch9wavefront6targetE0EEEvT1_.kd
    .uniform_work_group_size: 1
    .uses_dynamic_stack: false
    .vgpr_count:     0
    .vgpr_spill_count: 0
    .wavefront_size: 32
  - .args:
      - .offset:         0
        .size:           160
        .value_kind:     by_value
    .group_segment_fixed_size: 0
    .kernarg_segment_align: 8
    .kernarg_segment_size: 160
    .language:       OpenCL C
    .language_version:
      - 2
      - 0
    .max_flat_workgroup_size: 256
    .name:           _ZN7rocprim17ROCPRIM_400000_NS6detail17trampoline_kernelINS0_14default_configENS1_27scan_by_key_config_selectorIj11FixedVectorIiLj8EEEEZZNS1_16scan_by_key_implILNS1_25lookback_scan_determinismE0ELb1ES3_N6thrust23THRUST_200600_302600_NS6detail15normal_iteratorINSB_10device_ptrIjEEEENSD_INSE_IS6_EEEESI_S6_NSB_4plusIvEENSB_8equal_toIvEES6_EE10hipError_tPvRmT2_T3_T4_T5_mT6_T7_P12ihipStream_tbENKUlT_T0_E_clISt17integral_constantIbLb0EES12_IbLb1EEEEDaSY_SZ_EUlSY_E_NS1_11comp_targetILNS1_3genE2ELNS1_11target_archE906ELNS1_3gpuE6ELNS1_3repE0EEENS1_30default_config_static_selectorELNS0_4arch9wavefront6targetE0EEEvT1_
    .private_segment_fixed_size: 0
    .sgpr_count:     0
    .sgpr_spill_count: 0
    .symbol:         _ZN7rocprim17ROCPRIM_400000_NS6detail17trampoline_kernelINS0_14default_configENS1_27scan_by_key_config_selectorIj11FixedVectorIiLj8EEEEZZNS1_16scan_by_key_implILNS1_25lookback_scan_determinismE0ELb1ES3_N6thrust23THRUST_200600_302600_NS6detail15normal_iteratorINSB_10device_ptrIjEEEENSD_INSE_IS6_EEEESI_S6_NSB_4plusIvEENSB_8equal_toIvEES6_EE10hipError_tPvRmT2_T3_T4_T5_mT6_T7_P12ihipStream_tbENKUlT_T0_E_clISt17integral_constantIbLb0EES12_IbLb1EEEEDaSY_SZ_EUlSY_E_NS1_11comp_targetILNS1_3genE2ELNS1_11target_archE906ELNS1_3gpuE6ELNS1_3repE0EEENS1_30default_config_static_selectorELNS0_4arch9wavefront6targetE0EEEvT1_.kd
    .uniform_work_group_size: 1
    .uses_dynamic_stack: false
    .vgpr_count:     0
    .vgpr_spill_count: 0
    .wavefront_size: 32
  - .args:
      - .offset:         0
        .size:           160
        .value_kind:     by_value
    .group_segment_fixed_size: 0
    .kernarg_segment_align: 8
    .kernarg_segment_size: 160
    .language:       OpenCL C
    .language_version:
      - 2
      - 0
    .max_flat_workgroup_size: 256
    .name:           _ZN7rocprim17ROCPRIM_400000_NS6detail17trampoline_kernelINS0_14default_configENS1_27scan_by_key_config_selectorIj11FixedVectorIiLj8EEEEZZNS1_16scan_by_key_implILNS1_25lookback_scan_determinismE0ELb1ES3_N6thrust23THRUST_200600_302600_NS6detail15normal_iteratorINSB_10device_ptrIjEEEENSD_INSE_IS6_EEEESI_S6_NSB_4plusIvEENSB_8equal_toIvEES6_EE10hipError_tPvRmT2_T3_T4_T5_mT6_T7_P12ihipStream_tbENKUlT_T0_E_clISt17integral_constantIbLb0EES12_IbLb1EEEEDaSY_SZ_EUlSY_E_NS1_11comp_targetILNS1_3genE10ELNS1_11target_archE1200ELNS1_3gpuE4ELNS1_3repE0EEENS1_30default_config_static_selectorELNS0_4arch9wavefront6targetE0EEEvT1_
    .private_segment_fixed_size: 0
    .sgpr_count:     0
    .sgpr_spill_count: 0
    .symbol:         _ZN7rocprim17ROCPRIM_400000_NS6detail17trampoline_kernelINS0_14default_configENS1_27scan_by_key_config_selectorIj11FixedVectorIiLj8EEEEZZNS1_16scan_by_key_implILNS1_25lookback_scan_determinismE0ELb1ES3_N6thrust23THRUST_200600_302600_NS6detail15normal_iteratorINSB_10device_ptrIjEEEENSD_INSE_IS6_EEEESI_S6_NSB_4plusIvEENSB_8equal_toIvEES6_EE10hipError_tPvRmT2_T3_T4_T5_mT6_T7_P12ihipStream_tbENKUlT_T0_E_clISt17integral_constantIbLb0EES12_IbLb1EEEEDaSY_SZ_EUlSY_E_NS1_11comp_targetILNS1_3genE10ELNS1_11target_archE1200ELNS1_3gpuE4ELNS1_3repE0EEENS1_30default_config_static_selectorELNS0_4arch9wavefront6targetE0EEEvT1_.kd
    .uniform_work_group_size: 1
    .uses_dynamic_stack: false
    .vgpr_count:     0
    .vgpr_spill_count: 0
    .wavefront_size: 32
  - .args:
      - .offset:         0
        .size:           160
        .value_kind:     by_value
    .group_segment_fixed_size: 0
    .kernarg_segment_align: 8
    .kernarg_segment_size: 160
    .language:       OpenCL C
    .language_version:
      - 2
      - 0
    .max_flat_workgroup_size: 256
    .name:           _ZN7rocprim17ROCPRIM_400000_NS6detail17trampoline_kernelINS0_14default_configENS1_27scan_by_key_config_selectorIj11FixedVectorIiLj8EEEEZZNS1_16scan_by_key_implILNS1_25lookback_scan_determinismE0ELb1ES3_N6thrust23THRUST_200600_302600_NS6detail15normal_iteratorINSB_10device_ptrIjEEEENSD_INSE_IS6_EEEESI_S6_NSB_4plusIvEENSB_8equal_toIvEES6_EE10hipError_tPvRmT2_T3_T4_T5_mT6_T7_P12ihipStream_tbENKUlT_T0_E_clISt17integral_constantIbLb0EES12_IbLb1EEEEDaSY_SZ_EUlSY_E_NS1_11comp_targetILNS1_3genE9ELNS1_11target_archE1100ELNS1_3gpuE3ELNS1_3repE0EEENS1_30default_config_static_selectorELNS0_4arch9wavefront6targetE0EEEvT1_
    .private_segment_fixed_size: 0
    .sgpr_count:     0
    .sgpr_spill_count: 0
    .symbol:         _ZN7rocprim17ROCPRIM_400000_NS6detail17trampoline_kernelINS0_14default_configENS1_27scan_by_key_config_selectorIj11FixedVectorIiLj8EEEEZZNS1_16scan_by_key_implILNS1_25lookback_scan_determinismE0ELb1ES3_N6thrust23THRUST_200600_302600_NS6detail15normal_iteratorINSB_10device_ptrIjEEEENSD_INSE_IS6_EEEESI_S6_NSB_4plusIvEENSB_8equal_toIvEES6_EE10hipError_tPvRmT2_T3_T4_T5_mT6_T7_P12ihipStream_tbENKUlT_T0_E_clISt17integral_constantIbLb0EES12_IbLb1EEEEDaSY_SZ_EUlSY_E_NS1_11comp_targetILNS1_3genE9ELNS1_11target_archE1100ELNS1_3gpuE3ELNS1_3repE0EEENS1_30default_config_static_selectorELNS0_4arch9wavefront6targetE0EEEvT1_.kd
    .uniform_work_group_size: 1
    .uses_dynamic_stack: false
    .vgpr_count:     0
    .vgpr_spill_count: 0
    .wavefront_size: 32
  - .args:
      - .offset:         0
        .size:           160
        .value_kind:     by_value
    .group_segment_fixed_size: 0
    .kernarg_segment_align: 8
    .kernarg_segment_size: 160
    .language:       OpenCL C
    .language_version:
      - 2
      - 0
    .max_flat_workgroup_size: 256
    .name:           _ZN7rocprim17ROCPRIM_400000_NS6detail17trampoline_kernelINS0_14default_configENS1_27scan_by_key_config_selectorIj11FixedVectorIiLj8EEEEZZNS1_16scan_by_key_implILNS1_25lookback_scan_determinismE0ELb1ES3_N6thrust23THRUST_200600_302600_NS6detail15normal_iteratorINSB_10device_ptrIjEEEENSD_INSE_IS6_EEEESI_S6_NSB_4plusIvEENSB_8equal_toIvEES6_EE10hipError_tPvRmT2_T3_T4_T5_mT6_T7_P12ihipStream_tbENKUlT_T0_E_clISt17integral_constantIbLb0EES12_IbLb1EEEEDaSY_SZ_EUlSY_E_NS1_11comp_targetILNS1_3genE8ELNS1_11target_archE1030ELNS1_3gpuE2ELNS1_3repE0EEENS1_30default_config_static_selectorELNS0_4arch9wavefront6targetE0EEEvT1_
    .private_segment_fixed_size: 0
    .sgpr_count:     0
    .sgpr_spill_count: 0
    .symbol:         _ZN7rocprim17ROCPRIM_400000_NS6detail17trampoline_kernelINS0_14default_configENS1_27scan_by_key_config_selectorIj11FixedVectorIiLj8EEEEZZNS1_16scan_by_key_implILNS1_25lookback_scan_determinismE0ELb1ES3_N6thrust23THRUST_200600_302600_NS6detail15normal_iteratorINSB_10device_ptrIjEEEENSD_INSE_IS6_EEEESI_S6_NSB_4plusIvEENSB_8equal_toIvEES6_EE10hipError_tPvRmT2_T3_T4_T5_mT6_T7_P12ihipStream_tbENKUlT_T0_E_clISt17integral_constantIbLb0EES12_IbLb1EEEEDaSY_SZ_EUlSY_E_NS1_11comp_targetILNS1_3genE8ELNS1_11target_archE1030ELNS1_3gpuE2ELNS1_3repE0EEENS1_30default_config_static_selectorELNS0_4arch9wavefront6targetE0EEEvT1_.kd
    .uniform_work_group_size: 1
    .uses_dynamic_stack: false
    .vgpr_count:     0
    .vgpr_spill_count: 0
    .wavefront_size: 32
  - .args:
      - .address_space:  global
        .offset:         0
        .size:           8
        .value_kind:     global_buffer
      - .offset:         8
        .size:           4
        .value_kind:     by_value
      - .offset:         12
        .size:           4
        .value_kind:     by_value
      - .address_space:  global
        .offset:         16
        .size:           8
        .value_kind:     global_buffer
      - .address_space:  global
        .offset:         24
        .size:           8
        .value_kind:     global_buffer
      - .actual_access:  write_only
        .address_space:  global
        .offset:         32
        .size:           8
        .value_kind:     global_buffer
      - .offset:         40
        .size:           8
        .value_kind:     by_value
      - .offset:         48
        .size:           4
        .value_kind:     by_value
      - .offset:         52
        .size:           1
        .value_kind:     by_value
      - .offset:         56
        .size:           4
        .value_kind:     hidden_block_count_x
      - .offset:         60
        .size:           4
        .value_kind:     hidden_block_count_y
      - .offset:         64
        .size:           4
        .value_kind:     hidden_block_count_z
      - .offset:         68
        .size:           2
        .value_kind:     hidden_group_size_x
      - .offset:         70
        .size:           2
        .value_kind:     hidden_group_size_y
      - .offset:         72
        .size:           2
        .value_kind:     hidden_group_size_z
      - .offset:         74
        .size:           2
        .value_kind:     hidden_remainder_x
      - .offset:         76
        .size:           2
        .value_kind:     hidden_remainder_y
      - .offset:         78
        .size:           2
        .value_kind:     hidden_remainder_z
      - .offset:         96
        .size:           8
        .value_kind:     hidden_global_offset_x
      - .offset:         104
        .size:           8
        .value_kind:     hidden_global_offset_y
      - .offset:         112
        .size:           8
        .value_kind:     hidden_global_offset_z
      - .offset:         120
        .size:           2
        .value_kind:     hidden_grid_dims
    .group_segment_fixed_size: 0
    .kernarg_segment_align: 8
    .kernarg_segment_size: 312
    .language:       OpenCL C
    .language_version:
      - 2
      - 0
    .max_flat_workgroup_size: 256
    .name:           _ZN7rocprim17ROCPRIM_400000_NS6detail30init_device_scan_by_key_kernelINS1_19lookback_scan_stateINS0_5tupleIJibEEELb0ELb1EEEN6thrust23THRUST_200600_302600_NS10device_ptrIiEEjNS1_16block_id_wrapperIjLb0EEEEEvT_jjPNSD_10value_typeET0_PNSt15iterator_traitsISG_E10value_typeEmT1_T2_
    .private_segment_fixed_size: 0
    .sgpr_count:     19
    .sgpr_spill_count: 0
    .symbol:         _ZN7rocprim17ROCPRIM_400000_NS6detail30init_device_scan_by_key_kernelINS1_19lookback_scan_stateINS0_5tupleIJibEEELb0ELb1EEEN6thrust23THRUST_200600_302600_NS10device_ptrIiEEjNS1_16block_id_wrapperIjLb0EEEEEvT_jjPNSD_10value_typeET0_PNSt15iterator_traitsISG_E10value_typeEmT1_T2_.kd
    .uniform_work_group_size: 1
    .uses_dynamic_stack: false
    .vgpr_count:     10
    .vgpr_spill_count: 0
    .wavefront_size: 32
  - .args:
      - .offset:         0
        .size:           112
        .value_kind:     by_value
    .group_segment_fixed_size: 14336
    .kernarg_segment_align: 8
    .kernarg_segment_size: 112
    .language:       OpenCL C
    .language_version:
      - 2
      - 0
    .max_flat_workgroup_size: 256
    .name:           _ZN7rocprim17ROCPRIM_400000_NS6detail17trampoline_kernelINS0_14default_configENS1_27scan_by_key_config_selectorIiiEEZZNS1_16scan_by_key_implILNS1_25lookback_scan_determinismE0ELb0ES3_N6thrust23THRUST_200600_302600_NS10device_ptrIiEESB_SB_iNS9_4plusIvEENS9_8equal_toIvEEiEE10hipError_tPvRmT2_T3_T4_T5_mT6_T7_P12ihipStream_tbENKUlT_T0_E_clISt17integral_constantIbLb0EESW_EEDaSR_SS_EUlSR_E_NS1_11comp_targetILNS1_3genE0ELNS1_11target_archE4294967295ELNS1_3gpuE0ELNS1_3repE0EEENS1_30default_config_static_selectorELNS0_4arch9wavefront6targetE0EEEvT1_
    .private_segment_fixed_size: 0
    .sgpr_count:     44
    .sgpr_spill_count: 0
    .symbol:         _ZN7rocprim17ROCPRIM_400000_NS6detail17trampoline_kernelINS0_14default_configENS1_27scan_by_key_config_selectorIiiEEZZNS1_16scan_by_key_implILNS1_25lookback_scan_determinismE0ELb0ES3_N6thrust23THRUST_200600_302600_NS10device_ptrIiEESB_SB_iNS9_4plusIvEENS9_8equal_toIvEEiEE10hipError_tPvRmT2_T3_T4_T5_mT6_T7_P12ihipStream_tbENKUlT_T0_E_clISt17integral_constantIbLb0EESW_EEDaSR_SS_EUlSR_E_NS1_11comp_targetILNS1_3genE0ELNS1_11target_archE4294967295ELNS1_3gpuE0ELNS1_3repE0EEENS1_30default_config_static_selectorELNS0_4arch9wavefront6targetE0EEEvT1_.kd
    .uniform_work_group_size: 1
    .uses_dynamic_stack: false
    .vgpr_count:     60
    .vgpr_spill_count: 0
    .wavefront_size: 32
  - .args:
      - .offset:         0
        .size:           112
        .value_kind:     by_value
    .group_segment_fixed_size: 0
    .kernarg_segment_align: 8
    .kernarg_segment_size: 112
    .language:       OpenCL C
    .language_version:
      - 2
      - 0
    .max_flat_workgroup_size: 256
    .name:           _ZN7rocprim17ROCPRIM_400000_NS6detail17trampoline_kernelINS0_14default_configENS1_27scan_by_key_config_selectorIiiEEZZNS1_16scan_by_key_implILNS1_25lookback_scan_determinismE0ELb0ES3_N6thrust23THRUST_200600_302600_NS10device_ptrIiEESB_SB_iNS9_4plusIvEENS9_8equal_toIvEEiEE10hipError_tPvRmT2_T3_T4_T5_mT6_T7_P12ihipStream_tbENKUlT_T0_E_clISt17integral_constantIbLb0EESW_EEDaSR_SS_EUlSR_E_NS1_11comp_targetILNS1_3genE10ELNS1_11target_archE1201ELNS1_3gpuE5ELNS1_3repE0EEENS1_30default_config_static_selectorELNS0_4arch9wavefront6targetE0EEEvT1_
    .private_segment_fixed_size: 0
    .sgpr_count:     0
    .sgpr_spill_count: 0
    .symbol:         _ZN7rocprim17ROCPRIM_400000_NS6detail17trampoline_kernelINS0_14default_configENS1_27scan_by_key_config_selectorIiiEEZZNS1_16scan_by_key_implILNS1_25lookback_scan_determinismE0ELb0ES3_N6thrust23THRUST_200600_302600_NS10device_ptrIiEESB_SB_iNS9_4plusIvEENS9_8equal_toIvEEiEE10hipError_tPvRmT2_T3_T4_T5_mT6_T7_P12ihipStream_tbENKUlT_T0_E_clISt17integral_constantIbLb0EESW_EEDaSR_SS_EUlSR_E_NS1_11comp_targetILNS1_3genE10ELNS1_11target_archE1201ELNS1_3gpuE5ELNS1_3repE0EEENS1_30default_config_static_selectorELNS0_4arch9wavefront6targetE0EEEvT1_.kd
    .uniform_work_group_size: 1
    .uses_dynamic_stack: false
    .vgpr_count:     0
    .vgpr_spill_count: 0
    .wavefront_size: 32
  - .args:
      - .offset:         0
        .size:           112
        .value_kind:     by_value
    .group_segment_fixed_size: 0
    .kernarg_segment_align: 8
    .kernarg_segment_size: 112
    .language:       OpenCL C
    .language_version:
      - 2
      - 0
    .max_flat_workgroup_size: 256
    .name:           _ZN7rocprim17ROCPRIM_400000_NS6detail17trampoline_kernelINS0_14default_configENS1_27scan_by_key_config_selectorIiiEEZZNS1_16scan_by_key_implILNS1_25lookback_scan_determinismE0ELb0ES3_N6thrust23THRUST_200600_302600_NS10device_ptrIiEESB_SB_iNS9_4plusIvEENS9_8equal_toIvEEiEE10hipError_tPvRmT2_T3_T4_T5_mT6_T7_P12ihipStream_tbENKUlT_T0_E_clISt17integral_constantIbLb0EESW_EEDaSR_SS_EUlSR_E_NS1_11comp_targetILNS1_3genE5ELNS1_11target_archE942ELNS1_3gpuE9ELNS1_3repE0EEENS1_30default_config_static_selectorELNS0_4arch9wavefront6targetE0EEEvT1_
    .private_segment_fixed_size: 0
    .sgpr_count:     0
    .sgpr_spill_count: 0
    .symbol:         _ZN7rocprim17ROCPRIM_400000_NS6detail17trampoline_kernelINS0_14default_configENS1_27scan_by_key_config_selectorIiiEEZZNS1_16scan_by_key_implILNS1_25lookback_scan_determinismE0ELb0ES3_N6thrust23THRUST_200600_302600_NS10device_ptrIiEESB_SB_iNS9_4plusIvEENS9_8equal_toIvEEiEE10hipError_tPvRmT2_T3_T4_T5_mT6_T7_P12ihipStream_tbENKUlT_T0_E_clISt17integral_constantIbLb0EESW_EEDaSR_SS_EUlSR_E_NS1_11comp_targetILNS1_3genE5ELNS1_11target_archE942ELNS1_3gpuE9ELNS1_3repE0EEENS1_30default_config_static_selectorELNS0_4arch9wavefront6targetE0EEEvT1_.kd
    .uniform_work_group_size: 1
    .uses_dynamic_stack: false
    .vgpr_count:     0
    .vgpr_spill_count: 0
    .wavefront_size: 32
  - .args:
      - .offset:         0
        .size:           112
        .value_kind:     by_value
    .group_segment_fixed_size: 0
    .kernarg_segment_align: 8
    .kernarg_segment_size: 112
    .language:       OpenCL C
    .language_version:
      - 2
      - 0
    .max_flat_workgroup_size: 256
    .name:           _ZN7rocprim17ROCPRIM_400000_NS6detail17trampoline_kernelINS0_14default_configENS1_27scan_by_key_config_selectorIiiEEZZNS1_16scan_by_key_implILNS1_25lookback_scan_determinismE0ELb0ES3_N6thrust23THRUST_200600_302600_NS10device_ptrIiEESB_SB_iNS9_4plusIvEENS9_8equal_toIvEEiEE10hipError_tPvRmT2_T3_T4_T5_mT6_T7_P12ihipStream_tbENKUlT_T0_E_clISt17integral_constantIbLb0EESW_EEDaSR_SS_EUlSR_E_NS1_11comp_targetILNS1_3genE4ELNS1_11target_archE910ELNS1_3gpuE8ELNS1_3repE0EEENS1_30default_config_static_selectorELNS0_4arch9wavefront6targetE0EEEvT1_
    .private_segment_fixed_size: 0
    .sgpr_count:     0
    .sgpr_spill_count: 0
    .symbol:         _ZN7rocprim17ROCPRIM_400000_NS6detail17trampoline_kernelINS0_14default_configENS1_27scan_by_key_config_selectorIiiEEZZNS1_16scan_by_key_implILNS1_25lookback_scan_determinismE0ELb0ES3_N6thrust23THRUST_200600_302600_NS10device_ptrIiEESB_SB_iNS9_4plusIvEENS9_8equal_toIvEEiEE10hipError_tPvRmT2_T3_T4_T5_mT6_T7_P12ihipStream_tbENKUlT_T0_E_clISt17integral_constantIbLb0EESW_EEDaSR_SS_EUlSR_E_NS1_11comp_targetILNS1_3genE4ELNS1_11target_archE910ELNS1_3gpuE8ELNS1_3repE0EEENS1_30default_config_static_selectorELNS0_4arch9wavefront6targetE0EEEvT1_.kd
    .uniform_work_group_size: 1
    .uses_dynamic_stack: false
    .vgpr_count:     0
    .vgpr_spill_count: 0
    .wavefront_size: 32
  - .args:
      - .offset:         0
        .size:           112
        .value_kind:     by_value
    .group_segment_fixed_size: 0
    .kernarg_segment_align: 8
    .kernarg_segment_size: 112
    .language:       OpenCL C
    .language_version:
      - 2
      - 0
    .max_flat_workgroup_size: 256
    .name:           _ZN7rocprim17ROCPRIM_400000_NS6detail17trampoline_kernelINS0_14default_configENS1_27scan_by_key_config_selectorIiiEEZZNS1_16scan_by_key_implILNS1_25lookback_scan_determinismE0ELb0ES3_N6thrust23THRUST_200600_302600_NS10device_ptrIiEESB_SB_iNS9_4plusIvEENS9_8equal_toIvEEiEE10hipError_tPvRmT2_T3_T4_T5_mT6_T7_P12ihipStream_tbENKUlT_T0_E_clISt17integral_constantIbLb0EESW_EEDaSR_SS_EUlSR_E_NS1_11comp_targetILNS1_3genE3ELNS1_11target_archE908ELNS1_3gpuE7ELNS1_3repE0EEENS1_30default_config_static_selectorELNS0_4arch9wavefront6targetE0EEEvT1_
    .private_segment_fixed_size: 0
    .sgpr_count:     0
    .sgpr_spill_count: 0
    .symbol:         _ZN7rocprim17ROCPRIM_400000_NS6detail17trampoline_kernelINS0_14default_configENS1_27scan_by_key_config_selectorIiiEEZZNS1_16scan_by_key_implILNS1_25lookback_scan_determinismE0ELb0ES3_N6thrust23THRUST_200600_302600_NS10device_ptrIiEESB_SB_iNS9_4plusIvEENS9_8equal_toIvEEiEE10hipError_tPvRmT2_T3_T4_T5_mT6_T7_P12ihipStream_tbENKUlT_T0_E_clISt17integral_constantIbLb0EESW_EEDaSR_SS_EUlSR_E_NS1_11comp_targetILNS1_3genE3ELNS1_11target_archE908ELNS1_3gpuE7ELNS1_3repE0EEENS1_30default_config_static_selectorELNS0_4arch9wavefront6targetE0EEEvT1_.kd
    .uniform_work_group_size: 1
    .uses_dynamic_stack: false
    .vgpr_count:     0
    .vgpr_spill_count: 0
    .wavefront_size: 32
  - .args:
      - .offset:         0
        .size:           112
        .value_kind:     by_value
    .group_segment_fixed_size: 0
    .kernarg_segment_align: 8
    .kernarg_segment_size: 112
    .language:       OpenCL C
    .language_version:
      - 2
      - 0
    .max_flat_workgroup_size: 256
    .name:           _ZN7rocprim17ROCPRIM_400000_NS6detail17trampoline_kernelINS0_14default_configENS1_27scan_by_key_config_selectorIiiEEZZNS1_16scan_by_key_implILNS1_25lookback_scan_determinismE0ELb0ES3_N6thrust23THRUST_200600_302600_NS10device_ptrIiEESB_SB_iNS9_4plusIvEENS9_8equal_toIvEEiEE10hipError_tPvRmT2_T3_T4_T5_mT6_T7_P12ihipStream_tbENKUlT_T0_E_clISt17integral_constantIbLb0EESW_EEDaSR_SS_EUlSR_E_NS1_11comp_targetILNS1_3genE2ELNS1_11target_archE906ELNS1_3gpuE6ELNS1_3repE0EEENS1_30default_config_static_selectorELNS0_4arch9wavefront6targetE0EEEvT1_
    .private_segment_fixed_size: 0
    .sgpr_count:     0
    .sgpr_spill_count: 0
    .symbol:         _ZN7rocprim17ROCPRIM_400000_NS6detail17trampoline_kernelINS0_14default_configENS1_27scan_by_key_config_selectorIiiEEZZNS1_16scan_by_key_implILNS1_25lookback_scan_determinismE0ELb0ES3_N6thrust23THRUST_200600_302600_NS10device_ptrIiEESB_SB_iNS9_4plusIvEENS9_8equal_toIvEEiEE10hipError_tPvRmT2_T3_T4_T5_mT6_T7_P12ihipStream_tbENKUlT_T0_E_clISt17integral_constantIbLb0EESW_EEDaSR_SS_EUlSR_E_NS1_11comp_targetILNS1_3genE2ELNS1_11target_archE906ELNS1_3gpuE6ELNS1_3repE0EEENS1_30default_config_static_selectorELNS0_4arch9wavefront6targetE0EEEvT1_.kd
    .uniform_work_group_size: 1
    .uses_dynamic_stack: false
    .vgpr_count:     0
    .vgpr_spill_count: 0
    .wavefront_size: 32
  - .args:
      - .offset:         0
        .size:           112
        .value_kind:     by_value
    .group_segment_fixed_size: 0
    .kernarg_segment_align: 8
    .kernarg_segment_size: 112
    .language:       OpenCL C
    .language_version:
      - 2
      - 0
    .max_flat_workgroup_size: 256
    .name:           _ZN7rocprim17ROCPRIM_400000_NS6detail17trampoline_kernelINS0_14default_configENS1_27scan_by_key_config_selectorIiiEEZZNS1_16scan_by_key_implILNS1_25lookback_scan_determinismE0ELb0ES3_N6thrust23THRUST_200600_302600_NS10device_ptrIiEESB_SB_iNS9_4plusIvEENS9_8equal_toIvEEiEE10hipError_tPvRmT2_T3_T4_T5_mT6_T7_P12ihipStream_tbENKUlT_T0_E_clISt17integral_constantIbLb0EESW_EEDaSR_SS_EUlSR_E_NS1_11comp_targetILNS1_3genE10ELNS1_11target_archE1200ELNS1_3gpuE4ELNS1_3repE0EEENS1_30default_config_static_selectorELNS0_4arch9wavefront6targetE0EEEvT1_
    .private_segment_fixed_size: 0
    .sgpr_count:     0
    .sgpr_spill_count: 0
    .symbol:         _ZN7rocprim17ROCPRIM_400000_NS6detail17trampoline_kernelINS0_14default_configENS1_27scan_by_key_config_selectorIiiEEZZNS1_16scan_by_key_implILNS1_25lookback_scan_determinismE0ELb0ES3_N6thrust23THRUST_200600_302600_NS10device_ptrIiEESB_SB_iNS9_4plusIvEENS9_8equal_toIvEEiEE10hipError_tPvRmT2_T3_T4_T5_mT6_T7_P12ihipStream_tbENKUlT_T0_E_clISt17integral_constantIbLb0EESW_EEDaSR_SS_EUlSR_E_NS1_11comp_targetILNS1_3genE10ELNS1_11target_archE1200ELNS1_3gpuE4ELNS1_3repE0EEENS1_30default_config_static_selectorELNS0_4arch9wavefront6targetE0EEEvT1_.kd
    .uniform_work_group_size: 1
    .uses_dynamic_stack: false
    .vgpr_count:     0
    .vgpr_spill_count: 0
    .wavefront_size: 32
  - .args:
      - .offset:         0
        .size:           112
        .value_kind:     by_value
    .group_segment_fixed_size: 0
    .kernarg_segment_align: 8
    .kernarg_segment_size: 112
    .language:       OpenCL C
    .language_version:
      - 2
      - 0
    .max_flat_workgroup_size: 256
    .name:           _ZN7rocprim17ROCPRIM_400000_NS6detail17trampoline_kernelINS0_14default_configENS1_27scan_by_key_config_selectorIiiEEZZNS1_16scan_by_key_implILNS1_25lookback_scan_determinismE0ELb0ES3_N6thrust23THRUST_200600_302600_NS10device_ptrIiEESB_SB_iNS9_4plusIvEENS9_8equal_toIvEEiEE10hipError_tPvRmT2_T3_T4_T5_mT6_T7_P12ihipStream_tbENKUlT_T0_E_clISt17integral_constantIbLb0EESW_EEDaSR_SS_EUlSR_E_NS1_11comp_targetILNS1_3genE9ELNS1_11target_archE1100ELNS1_3gpuE3ELNS1_3repE0EEENS1_30default_config_static_selectorELNS0_4arch9wavefront6targetE0EEEvT1_
    .private_segment_fixed_size: 0
    .sgpr_count:     0
    .sgpr_spill_count: 0
    .symbol:         _ZN7rocprim17ROCPRIM_400000_NS6detail17trampoline_kernelINS0_14default_configENS1_27scan_by_key_config_selectorIiiEEZZNS1_16scan_by_key_implILNS1_25lookback_scan_determinismE0ELb0ES3_N6thrust23THRUST_200600_302600_NS10device_ptrIiEESB_SB_iNS9_4plusIvEENS9_8equal_toIvEEiEE10hipError_tPvRmT2_T3_T4_T5_mT6_T7_P12ihipStream_tbENKUlT_T0_E_clISt17integral_constantIbLb0EESW_EEDaSR_SS_EUlSR_E_NS1_11comp_targetILNS1_3genE9ELNS1_11target_archE1100ELNS1_3gpuE3ELNS1_3repE0EEENS1_30default_config_static_selectorELNS0_4arch9wavefront6targetE0EEEvT1_.kd
    .uniform_work_group_size: 1
    .uses_dynamic_stack: false
    .vgpr_count:     0
    .vgpr_spill_count: 0
    .wavefront_size: 32
  - .args:
      - .offset:         0
        .size:           112
        .value_kind:     by_value
    .group_segment_fixed_size: 0
    .kernarg_segment_align: 8
    .kernarg_segment_size: 112
    .language:       OpenCL C
    .language_version:
      - 2
      - 0
    .max_flat_workgroup_size: 256
    .name:           _ZN7rocprim17ROCPRIM_400000_NS6detail17trampoline_kernelINS0_14default_configENS1_27scan_by_key_config_selectorIiiEEZZNS1_16scan_by_key_implILNS1_25lookback_scan_determinismE0ELb0ES3_N6thrust23THRUST_200600_302600_NS10device_ptrIiEESB_SB_iNS9_4plusIvEENS9_8equal_toIvEEiEE10hipError_tPvRmT2_T3_T4_T5_mT6_T7_P12ihipStream_tbENKUlT_T0_E_clISt17integral_constantIbLb0EESW_EEDaSR_SS_EUlSR_E_NS1_11comp_targetILNS1_3genE8ELNS1_11target_archE1030ELNS1_3gpuE2ELNS1_3repE0EEENS1_30default_config_static_selectorELNS0_4arch9wavefront6targetE0EEEvT1_
    .private_segment_fixed_size: 0
    .sgpr_count:     0
    .sgpr_spill_count: 0
    .symbol:         _ZN7rocprim17ROCPRIM_400000_NS6detail17trampoline_kernelINS0_14default_configENS1_27scan_by_key_config_selectorIiiEEZZNS1_16scan_by_key_implILNS1_25lookback_scan_determinismE0ELb0ES3_N6thrust23THRUST_200600_302600_NS10device_ptrIiEESB_SB_iNS9_4plusIvEENS9_8equal_toIvEEiEE10hipError_tPvRmT2_T3_T4_T5_mT6_T7_P12ihipStream_tbENKUlT_T0_E_clISt17integral_constantIbLb0EESW_EEDaSR_SS_EUlSR_E_NS1_11comp_targetILNS1_3genE8ELNS1_11target_archE1030ELNS1_3gpuE2ELNS1_3repE0EEENS1_30default_config_static_selectorELNS0_4arch9wavefront6targetE0EEEvT1_.kd
    .uniform_work_group_size: 1
    .uses_dynamic_stack: false
    .vgpr_count:     0
    .vgpr_spill_count: 0
    .wavefront_size: 32
  - .args:
      - .address_space:  global
        .offset:         0
        .size:           8
        .value_kind:     global_buffer
      - .offset:         8
        .size:           4
        .value_kind:     by_value
      - .offset:         12
        .size:           4
        .value_kind:     by_value
      - .address_space:  global
        .offset:         16
        .size:           8
        .value_kind:     global_buffer
      - .address_space:  global
        .offset:         24
        .size:           8
        .value_kind:     global_buffer
      - .actual_access:  write_only
        .address_space:  global
        .offset:         32
        .size:           8
        .value_kind:     global_buffer
      - .offset:         40
        .size:           8
        .value_kind:     by_value
      - .offset:         48
        .size:           4
        .value_kind:     by_value
      - .address_space:  global
        .offset:         56
        .size:           8
        .value_kind:     global_buffer
      - .offset:         64
        .size:           4
        .value_kind:     hidden_block_count_x
      - .offset:         68
        .size:           4
        .value_kind:     hidden_block_count_y
      - .offset:         72
        .size:           4
        .value_kind:     hidden_block_count_z
      - .offset:         76
        .size:           2
        .value_kind:     hidden_group_size_x
      - .offset:         78
        .size:           2
        .value_kind:     hidden_group_size_y
      - .offset:         80
        .size:           2
        .value_kind:     hidden_group_size_z
      - .offset:         82
        .size:           2
        .value_kind:     hidden_remainder_x
      - .offset:         84
        .size:           2
        .value_kind:     hidden_remainder_y
      - .offset:         86
        .size:           2
        .value_kind:     hidden_remainder_z
      - .offset:         104
        .size:           8
        .value_kind:     hidden_global_offset_x
      - .offset:         112
        .size:           8
        .value_kind:     hidden_global_offset_y
      - .offset:         120
        .size:           8
        .value_kind:     hidden_global_offset_z
      - .offset:         128
        .size:           2
        .value_kind:     hidden_grid_dims
    .group_segment_fixed_size: 0
    .kernarg_segment_align: 8
    .kernarg_segment_size: 320
    .language:       OpenCL C
    .language_version:
      - 2
      - 0
    .max_flat_workgroup_size: 256
    .name:           _ZN7rocprim17ROCPRIM_400000_NS6detail30init_device_scan_by_key_kernelINS1_19lookback_scan_stateINS0_5tupleIJibEEELb1ELb1EEEN6thrust23THRUST_200600_302600_NS10device_ptrIiEEjNS1_16block_id_wrapperIjLb1EEEEEvT_jjPNSD_10value_typeET0_PNSt15iterator_traitsISG_E10value_typeEmT1_T2_
    .private_segment_fixed_size: 0
    .sgpr_count:     19
    .sgpr_spill_count: 0
    .symbol:         _ZN7rocprim17ROCPRIM_400000_NS6detail30init_device_scan_by_key_kernelINS1_19lookback_scan_stateINS0_5tupleIJibEEELb1ELb1EEEN6thrust23THRUST_200600_302600_NS10device_ptrIiEEjNS1_16block_id_wrapperIjLb1EEEEEvT_jjPNSD_10value_typeET0_PNSt15iterator_traitsISG_E10value_typeEmT1_T2_.kd
    .uniform_work_group_size: 1
    .uses_dynamic_stack: false
    .vgpr_count:     10
    .vgpr_spill_count: 0
    .wavefront_size: 32
  - .args:
      - .offset:         0
        .size:           112
        .value_kind:     by_value
    .group_segment_fixed_size: 0
    .kernarg_segment_align: 8
    .kernarg_segment_size: 112
    .language:       OpenCL C
    .language_version:
      - 2
      - 0
    .max_flat_workgroup_size: 256
    .name:           _ZN7rocprim17ROCPRIM_400000_NS6detail17trampoline_kernelINS0_14default_configENS1_27scan_by_key_config_selectorIiiEEZZNS1_16scan_by_key_implILNS1_25lookback_scan_determinismE0ELb0ES3_N6thrust23THRUST_200600_302600_NS10device_ptrIiEESB_SB_iNS9_4plusIvEENS9_8equal_toIvEEiEE10hipError_tPvRmT2_T3_T4_T5_mT6_T7_P12ihipStream_tbENKUlT_T0_E_clISt17integral_constantIbLb1EESW_EEDaSR_SS_EUlSR_E_NS1_11comp_targetILNS1_3genE0ELNS1_11target_archE4294967295ELNS1_3gpuE0ELNS1_3repE0EEENS1_30default_config_static_selectorELNS0_4arch9wavefront6targetE0EEEvT1_
    .private_segment_fixed_size: 0
    .sgpr_count:     0
    .sgpr_spill_count: 0
    .symbol:         _ZN7rocprim17ROCPRIM_400000_NS6detail17trampoline_kernelINS0_14default_configENS1_27scan_by_key_config_selectorIiiEEZZNS1_16scan_by_key_implILNS1_25lookback_scan_determinismE0ELb0ES3_N6thrust23THRUST_200600_302600_NS10device_ptrIiEESB_SB_iNS9_4plusIvEENS9_8equal_toIvEEiEE10hipError_tPvRmT2_T3_T4_T5_mT6_T7_P12ihipStream_tbENKUlT_T0_E_clISt17integral_constantIbLb1EESW_EEDaSR_SS_EUlSR_E_NS1_11comp_targetILNS1_3genE0ELNS1_11target_archE4294967295ELNS1_3gpuE0ELNS1_3repE0EEENS1_30default_config_static_selectorELNS0_4arch9wavefront6targetE0EEEvT1_.kd
    .uniform_work_group_size: 1
    .uses_dynamic_stack: false
    .vgpr_count:     0
    .vgpr_spill_count: 0
    .wavefront_size: 32
  - .args:
      - .offset:         0
        .size:           112
        .value_kind:     by_value
    .group_segment_fixed_size: 0
    .kernarg_segment_align: 8
    .kernarg_segment_size: 112
    .language:       OpenCL C
    .language_version:
      - 2
      - 0
    .max_flat_workgroup_size: 256
    .name:           _ZN7rocprim17ROCPRIM_400000_NS6detail17trampoline_kernelINS0_14default_configENS1_27scan_by_key_config_selectorIiiEEZZNS1_16scan_by_key_implILNS1_25lookback_scan_determinismE0ELb0ES3_N6thrust23THRUST_200600_302600_NS10device_ptrIiEESB_SB_iNS9_4plusIvEENS9_8equal_toIvEEiEE10hipError_tPvRmT2_T3_T4_T5_mT6_T7_P12ihipStream_tbENKUlT_T0_E_clISt17integral_constantIbLb1EESW_EEDaSR_SS_EUlSR_E_NS1_11comp_targetILNS1_3genE10ELNS1_11target_archE1201ELNS1_3gpuE5ELNS1_3repE0EEENS1_30default_config_static_selectorELNS0_4arch9wavefront6targetE0EEEvT1_
    .private_segment_fixed_size: 0
    .sgpr_count:     0
    .sgpr_spill_count: 0
    .symbol:         _ZN7rocprim17ROCPRIM_400000_NS6detail17trampoline_kernelINS0_14default_configENS1_27scan_by_key_config_selectorIiiEEZZNS1_16scan_by_key_implILNS1_25lookback_scan_determinismE0ELb0ES3_N6thrust23THRUST_200600_302600_NS10device_ptrIiEESB_SB_iNS9_4plusIvEENS9_8equal_toIvEEiEE10hipError_tPvRmT2_T3_T4_T5_mT6_T7_P12ihipStream_tbENKUlT_T0_E_clISt17integral_constantIbLb1EESW_EEDaSR_SS_EUlSR_E_NS1_11comp_targetILNS1_3genE10ELNS1_11target_archE1201ELNS1_3gpuE5ELNS1_3repE0EEENS1_30default_config_static_selectorELNS0_4arch9wavefront6targetE0EEEvT1_.kd
    .uniform_work_group_size: 1
    .uses_dynamic_stack: false
    .vgpr_count:     0
    .vgpr_spill_count: 0
    .wavefront_size: 32
  - .args:
      - .offset:         0
        .size:           112
        .value_kind:     by_value
    .group_segment_fixed_size: 0
    .kernarg_segment_align: 8
    .kernarg_segment_size: 112
    .language:       OpenCL C
    .language_version:
      - 2
      - 0
    .max_flat_workgroup_size: 256
    .name:           _ZN7rocprim17ROCPRIM_400000_NS6detail17trampoline_kernelINS0_14default_configENS1_27scan_by_key_config_selectorIiiEEZZNS1_16scan_by_key_implILNS1_25lookback_scan_determinismE0ELb0ES3_N6thrust23THRUST_200600_302600_NS10device_ptrIiEESB_SB_iNS9_4plusIvEENS9_8equal_toIvEEiEE10hipError_tPvRmT2_T3_T4_T5_mT6_T7_P12ihipStream_tbENKUlT_T0_E_clISt17integral_constantIbLb1EESW_EEDaSR_SS_EUlSR_E_NS1_11comp_targetILNS1_3genE5ELNS1_11target_archE942ELNS1_3gpuE9ELNS1_3repE0EEENS1_30default_config_static_selectorELNS0_4arch9wavefront6targetE0EEEvT1_
    .private_segment_fixed_size: 0
    .sgpr_count:     0
    .sgpr_spill_count: 0
    .symbol:         _ZN7rocprim17ROCPRIM_400000_NS6detail17trampoline_kernelINS0_14default_configENS1_27scan_by_key_config_selectorIiiEEZZNS1_16scan_by_key_implILNS1_25lookback_scan_determinismE0ELb0ES3_N6thrust23THRUST_200600_302600_NS10device_ptrIiEESB_SB_iNS9_4plusIvEENS9_8equal_toIvEEiEE10hipError_tPvRmT2_T3_T4_T5_mT6_T7_P12ihipStream_tbENKUlT_T0_E_clISt17integral_constantIbLb1EESW_EEDaSR_SS_EUlSR_E_NS1_11comp_targetILNS1_3genE5ELNS1_11target_archE942ELNS1_3gpuE9ELNS1_3repE0EEENS1_30default_config_static_selectorELNS0_4arch9wavefront6targetE0EEEvT1_.kd
    .uniform_work_group_size: 1
    .uses_dynamic_stack: false
    .vgpr_count:     0
    .vgpr_spill_count: 0
    .wavefront_size: 32
  - .args:
      - .offset:         0
        .size:           112
        .value_kind:     by_value
    .group_segment_fixed_size: 0
    .kernarg_segment_align: 8
    .kernarg_segment_size: 112
    .language:       OpenCL C
    .language_version:
      - 2
      - 0
    .max_flat_workgroup_size: 256
    .name:           _ZN7rocprim17ROCPRIM_400000_NS6detail17trampoline_kernelINS0_14default_configENS1_27scan_by_key_config_selectorIiiEEZZNS1_16scan_by_key_implILNS1_25lookback_scan_determinismE0ELb0ES3_N6thrust23THRUST_200600_302600_NS10device_ptrIiEESB_SB_iNS9_4plusIvEENS9_8equal_toIvEEiEE10hipError_tPvRmT2_T3_T4_T5_mT6_T7_P12ihipStream_tbENKUlT_T0_E_clISt17integral_constantIbLb1EESW_EEDaSR_SS_EUlSR_E_NS1_11comp_targetILNS1_3genE4ELNS1_11target_archE910ELNS1_3gpuE8ELNS1_3repE0EEENS1_30default_config_static_selectorELNS0_4arch9wavefront6targetE0EEEvT1_
    .private_segment_fixed_size: 0
    .sgpr_count:     0
    .sgpr_spill_count: 0
    .symbol:         _ZN7rocprim17ROCPRIM_400000_NS6detail17trampoline_kernelINS0_14default_configENS1_27scan_by_key_config_selectorIiiEEZZNS1_16scan_by_key_implILNS1_25lookback_scan_determinismE0ELb0ES3_N6thrust23THRUST_200600_302600_NS10device_ptrIiEESB_SB_iNS9_4plusIvEENS9_8equal_toIvEEiEE10hipError_tPvRmT2_T3_T4_T5_mT6_T7_P12ihipStream_tbENKUlT_T0_E_clISt17integral_constantIbLb1EESW_EEDaSR_SS_EUlSR_E_NS1_11comp_targetILNS1_3genE4ELNS1_11target_archE910ELNS1_3gpuE8ELNS1_3repE0EEENS1_30default_config_static_selectorELNS0_4arch9wavefront6targetE0EEEvT1_.kd
    .uniform_work_group_size: 1
    .uses_dynamic_stack: false
    .vgpr_count:     0
    .vgpr_spill_count: 0
    .wavefront_size: 32
  - .args:
      - .offset:         0
        .size:           112
        .value_kind:     by_value
    .group_segment_fixed_size: 0
    .kernarg_segment_align: 8
    .kernarg_segment_size: 112
    .language:       OpenCL C
    .language_version:
      - 2
      - 0
    .max_flat_workgroup_size: 256
    .name:           _ZN7rocprim17ROCPRIM_400000_NS6detail17trampoline_kernelINS0_14default_configENS1_27scan_by_key_config_selectorIiiEEZZNS1_16scan_by_key_implILNS1_25lookback_scan_determinismE0ELb0ES3_N6thrust23THRUST_200600_302600_NS10device_ptrIiEESB_SB_iNS9_4plusIvEENS9_8equal_toIvEEiEE10hipError_tPvRmT2_T3_T4_T5_mT6_T7_P12ihipStream_tbENKUlT_T0_E_clISt17integral_constantIbLb1EESW_EEDaSR_SS_EUlSR_E_NS1_11comp_targetILNS1_3genE3ELNS1_11target_archE908ELNS1_3gpuE7ELNS1_3repE0EEENS1_30default_config_static_selectorELNS0_4arch9wavefront6targetE0EEEvT1_
    .private_segment_fixed_size: 0
    .sgpr_count:     0
    .sgpr_spill_count: 0
    .symbol:         _ZN7rocprim17ROCPRIM_400000_NS6detail17trampoline_kernelINS0_14default_configENS1_27scan_by_key_config_selectorIiiEEZZNS1_16scan_by_key_implILNS1_25lookback_scan_determinismE0ELb0ES3_N6thrust23THRUST_200600_302600_NS10device_ptrIiEESB_SB_iNS9_4plusIvEENS9_8equal_toIvEEiEE10hipError_tPvRmT2_T3_T4_T5_mT6_T7_P12ihipStream_tbENKUlT_T0_E_clISt17integral_constantIbLb1EESW_EEDaSR_SS_EUlSR_E_NS1_11comp_targetILNS1_3genE3ELNS1_11target_archE908ELNS1_3gpuE7ELNS1_3repE0EEENS1_30default_config_static_selectorELNS0_4arch9wavefront6targetE0EEEvT1_.kd
    .uniform_work_group_size: 1
    .uses_dynamic_stack: false
    .vgpr_count:     0
    .vgpr_spill_count: 0
    .wavefront_size: 32
  - .args:
      - .offset:         0
        .size:           112
        .value_kind:     by_value
    .group_segment_fixed_size: 0
    .kernarg_segment_align: 8
    .kernarg_segment_size: 112
    .language:       OpenCL C
    .language_version:
      - 2
      - 0
    .max_flat_workgroup_size: 256
    .name:           _ZN7rocprim17ROCPRIM_400000_NS6detail17trampoline_kernelINS0_14default_configENS1_27scan_by_key_config_selectorIiiEEZZNS1_16scan_by_key_implILNS1_25lookback_scan_determinismE0ELb0ES3_N6thrust23THRUST_200600_302600_NS10device_ptrIiEESB_SB_iNS9_4plusIvEENS9_8equal_toIvEEiEE10hipError_tPvRmT2_T3_T4_T5_mT6_T7_P12ihipStream_tbENKUlT_T0_E_clISt17integral_constantIbLb1EESW_EEDaSR_SS_EUlSR_E_NS1_11comp_targetILNS1_3genE2ELNS1_11target_archE906ELNS1_3gpuE6ELNS1_3repE0EEENS1_30default_config_static_selectorELNS0_4arch9wavefront6targetE0EEEvT1_
    .private_segment_fixed_size: 0
    .sgpr_count:     0
    .sgpr_spill_count: 0
    .symbol:         _ZN7rocprim17ROCPRIM_400000_NS6detail17trampoline_kernelINS0_14default_configENS1_27scan_by_key_config_selectorIiiEEZZNS1_16scan_by_key_implILNS1_25lookback_scan_determinismE0ELb0ES3_N6thrust23THRUST_200600_302600_NS10device_ptrIiEESB_SB_iNS9_4plusIvEENS9_8equal_toIvEEiEE10hipError_tPvRmT2_T3_T4_T5_mT6_T7_P12ihipStream_tbENKUlT_T0_E_clISt17integral_constantIbLb1EESW_EEDaSR_SS_EUlSR_E_NS1_11comp_targetILNS1_3genE2ELNS1_11target_archE906ELNS1_3gpuE6ELNS1_3repE0EEENS1_30default_config_static_selectorELNS0_4arch9wavefront6targetE0EEEvT1_.kd
    .uniform_work_group_size: 1
    .uses_dynamic_stack: false
    .vgpr_count:     0
    .vgpr_spill_count: 0
    .wavefront_size: 32
  - .args:
      - .offset:         0
        .size:           112
        .value_kind:     by_value
    .group_segment_fixed_size: 0
    .kernarg_segment_align: 8
    .kernarg_segment_size: 112
    .language:       OpenCL C
    .language_version:
      - 2
      - 0
    .max_flat_workgroup_size: 256
    .name:           _ZN7rocprim17ROCPRIM_400000_NS6detail17trampoline_kernelINS0_14default_configENS1_27scan_by_key_config_selectorIiiEEZZNS1_16scan_by_key_implILNS1_25lookback_scan_determinismE0ELb0ES3_N6thrust23THRUST_200600_302600_NS10device_ptrIiEESB_SB_iNS9_4plusIvEENS9_8equal_toIvEEiEE10hipError_tPvRmT2_T3_T4_T5_mT6_T7_P12ihipStream_tbENKUlT_T0_E_clISt17integral_constantIbLb1EESW_EEDaSR_SS_EUlSR_E_NS1_11comp_targetILNS1_3genE10ELNS1_11target_archE1200ELNS1_3gpuE4ELNS1_3repE0EEENS1_30default_config_static_selectorELNS0_4arch9wavefront6targetE0EEEvT1_
    .private_segment_fixed_size: 0
    .sgpr_count:     0
    .sgpr_spill_count: 0
    .symbol:         _ZN7rocprim17ROCPRIM_400000_NS6detail17trampoline_kernelINS0_14default_configENS1_27scan_by_key_config_selectorIiiEEZZNS1_16scan_by_key_implILNS1_25lookback_scan_determinismE0ELb0ES3_N6thrust23THRUST_200600_302600_NS10device_ptrIiEESB_SB_iNS9_4plusIvEENS9_8equal_toIvEEiEE10hipError_tPvRmT2_T3_T4_T5_mT6_T7_P12ihipStream_tbENKUlT_T0_E_clISt17integral_constantIbLb1EESW_EEDaSR_SS_EUlSR_E_NS1_11comp_targetILNS1_3genE10ELNS1_11target_archE1200ELNS1_3gpuE4ELNS1_3repE0EEENS1_30default_config_static_selectorELNS0_4arch9wavefront6targetE0EEEvT1_.kd
    .uniform_work_group_size: 1
    .uses_dynamic_stack: false
    .vgpr_count:     0
    .vgpr_spill_count: 0
    .wavefront_size: 32
  - .args:
      - .offset:         0
        .size:           112
        .value_kind:     by_value
    .group_segment_fixed_size: 0
    .kernarg_segment_align: 8
    .kernarg_segment_size: 112
    .language:       OpenCL C
    .language_version:
      - 2
      - 0
    .max_flat_workgroup_size: 256
    .name:           _ZN7rocprim17ROCPRIM_400000_NS6detail17trampoline_kernelINS0_14default_configENS1_27scan_by_key_config_selectorIiiEEZZNS1_16scan_by_key_implILNS1_25lookback_scan_determinismE0ELb0ES3_N6thrust23THRUST_200600_302600_NS10device_ptrIiEESB_SB_iNS9_4plusIvEENS9_8equal_toIvEEiEE10hipError_tPvRmT2_T3_T4_T5_mT6_T7_P12ihipStream_tbENKUlT_T0_E_clISt17integral_constantIbLb1EESW_EEDaSR_SS_EUlSR_E_NS1_11comp_targetILNS1_3genE9ELNS1_11target_archE1100ELNS1_3gpuE3ELNS1_3repE0EEENS1_30default_config_static_selectorELNS0_4arch9wavefront6targetE0EEEvT1_
    .private_segment_fixed_size: 0
    .sgpr_count:     0
    .sgpr_spill_count: 0
    .symbol:         _ZN7rocprim17ROCPRIM_400000_NS6detail17trampoline_kernelINS0_14default_configENS1_27scan_by_key_config_selectorIiiEEZZNS1_16scan_by_key_implILNS1_25lookback_scan_determinismE0ELb0ES3_N6thrust23THRUST_200600_302600_NS10device_ptrIiEESB_SB_iNS9_4plusIvEENS9_8equal_toIvEEiEE10hipError_tPvRmT2_T3_T4_T5_mT6_T7_P12ihipStream_tbENKUlT_T0_E_clISt17integral_constantIbLb1EESW_EEDaSR_SS_EUlSR_E_NS1_11comp_targetILNS1_3genE9ELNS1_11target_archE1100ELNS1_3gpuE3ELNS1_3repE0EEENS1_30default_config_static_selectorELNS0_4arch9wavefront6targetE0EEEvT1_.kd
    .uniform_work_group_size: 1
    .uses_dynamic_stack: false
    .vgpr_count:     0
    .vgpr_spill_count: 0
    .wavefront_size: 32
  - .args:
      - .offset:         0
        .size:           112
        .value_kind:     by_value
    .group_segment_fixed_size: 0
    .kernarg_segment_align: 8
    .kernarg_segment_size: 112
    .language:       OpenCL C
    .language_version:
      - 2
      - 0
    .max_flat_workgroup_size: 256
    .name:           _ZN7rocprim17ROCPRIM_400000_NS6detail17trampoline_kernelINS0_14default_configENS1_27scan_by_key_config_selectorIiiEEZZNS1_16scan_by_key_implILNS1_25lookback_scan_determinismE0ELb0ES3_N6thrust23THRUST_200600_302600_NS10device_ptrIiEESB_SB_iNS9_4plusIvEENS9_8equal_toIvEEiEE10hipError_tPvRmT2_T3_T4_T5_mT6_T7_P12ihipStream_tbENKUlT_T0_E_clISt17integral_constantIbLb1EESW_EEDaSR_SS_EUlSR_E_NS1_11comp_targetILNS1_3genE8ELNS1_11target_archE1030ELNS1_3gpuE2ELNS1_3repE0EEENS1_30default_config_static_selectorELNS0_4arch9wavefront6targetE0EEEvT1_
    .private_segment_fixed_size: 0
    .sgpr_count:     0
    .sgpr_spill_count: 0
    .symbol:         _ZN7rocprim17ROCPRIM_400000_NS6detail17trampoline_kernelINS0_14default_configENS1_27scan_by_key_config_selectorIiiEEZZNS1_16scan_by_key_implILNS1_25lookback_scan_determinismE0ELb0ES3_N6thrust23THRUST_200600_302600_NS10device_ptrIiEESB_SB_iNS9_4plusIvEENS9_8equal_toIvEEiEE10hipError_tPvRmT2_T3_T4_T5_mT6_T7_P12ihipStream_tbENKUlT_T0_E_clISt17integral_constantIbLb1EESW_EEDaSR_SS_EUlSR_E_NS1_11comp_targetILNS1_3genE8ELNS1_11target_archE1030ELNS1_3gpuE2ELNS1_3repE0EEENS1_30default_config_static_selectorELNS0_4arch9wavefront6targetE0EEEvT1_.kd
    .uniform_work_group_size: 1
    .uses_dynamic_stack: false
    .vgpr_count:     0
    .vgpr_spill_count: 0
    .wavefront_size: 32
  - .args:
      - .address_space:  global
        .offset:         0
        .size:           8
        .value_kind:     global_buffer
      - .offset:         8
        .size:           4
        .value_kind:     by_value
      - .offset:         12
        .size:           4
        .value_kind:     by_value
      - .address_space:  global
        .offset:         16
        .size:           8
        .value_kind:     global_buffer
      - .address_space:  global
        .offset:         24
        .size:           8
        .value_kind:     global_buffer
      - .actual_access:  write_only
        .address_space:  global
        .offset:         32
        .size:           8
        .value_kind:     global_buffer
      - .offset:         40
        .size:           8
        .value_kind:     by_value
      - .offset:         48
        .size:           4
        .value_kind:     by_value
      - .offset:         52
        .size:           1
        .value_kind:     by_value
      - .offset:         56
        .size:           4
        .value_kind:     hidden_block_count_x
      - .offset:         60
        .size:           4
        .value_kind:     hidden_block_count_y
      - .offset:         64
        .size:           4
        .value_kind:     hidden_block_count_z
      - .offset:         68
        .size:           2
        .value_kind:     hidden_group_size_x
      - .offset:         70
        .size:           2
        .value_kind:     hidden_group_size_y
      - .offset:         72
        .size:           2
        .value_kind:     hidden_group_size_z
      - .offset:         74
        .size:           2
        .value_kind:     hidden_remainder_x
      - .offset:         76
        .size:           2
        .value_kind:     hidden_remainder_y
      - .offset:         78
        .size:           2
        .value_kind:     hidden_remainder_z
      - .offset:         96
        .size:           8
        .value_kind:     hidden_global_offset_x
      - .offset:         104
        .size:           8
        .value_kind:     hidden_global_offset_y
      - .offset:         112
        .size:           8
        .value_kind:     hidden_global_offset_z
      - .offset:         120
        .size:           2
        .value_kind:     hidden_grid_dims
    .group_segment_fixed_size: 0
    .kernarg_segment_align: 8
    .kernarg_segment_size: 312
    .language:       OpenCL C
    .language_version:
      - 2
      - 0
    .max_flat_workgroup_size: 256
    .name:           _ZN7rocprim17ROCPRIM_400000_NS6detail30init_device_scan_by_key_kernelINS1_19lookback_scan_stateINS0_5tupleIJibEEELb1ELb1EEEN6thrust23THRUST_200600_302600_NS10device_ptrIiEEjNS1_16block_id_wrapperIjLb0EEEEEvT_jjPNSD_10value_typeET0_PNSt15iterator_traitsISG_E10value_typeEmT1_T2_
    .private_segment_fixed_size: 0
    .sgpr_count:     19
    .sgpr_spill_count: 0
    .symbol:         _ZN7rocprim17ROCPRIM_400000_NS6detail30init_device_scan_by_key_kernelINS1_19lookback_scan_stateINS0_5tupleIJibEEELb1ELb1EEEN6thrust23THRUST_200600_302600_NS10device_ptrIiEEjNS1_16block_id_wrapperIjLb0EEEEEvT_jjPNSD_10value_typeET0_PNSt15iterator_traitsISG_E10value_typeEmT1_T2_.kd
    .uniform_work_group_size: 1
    .uses_dynamic_stack: false
    .vgpr_count:     10
    .vgpr_spill_count: 0
    .wavefront_size: 32
  - .args:
      - .offset:         0
        .size:           112
        .value_kind:     by_value
    .group_segment_fixed_size: 0
    .kernarg_segment_align: 8
    .kernarg_segment_size: 112
    .language:       OpenCL C
    .language_version:
      - 2
      - 0
    .max_flat_workgroup_size: 256
    .name:           _ZN7rocprim17ROCPRIM_400000_NS6detail17trampoline_kernelINS0_14default_configENS1_27scan_by_key_config_selectorIiiEEZZNS1_16scan_by_key_implILNS1_25lookback_scan_determinismE0ELb0ES3_N6thrust23THRUST_200600_302600_NS10device_ptrIiEESB_SB_iNS9_4plusIvEENS9_8equal_toIvEEiEE10hipError_tPvRmT2_T3_T4_T5_mT6_T7_P12ihipStream_tbENKUlT_T0_E_clISt17integral_constantIbLb1EESV_IbLb0EEEEDaSR_SS_EUlSR_E_NS1_11comp_targetILNS1_3genE0ELNS1_11target_archE4294967295ELNS1_3gpuE0ELNS1_3repE0EEENS1_30default_config_static_selectorELNS0_4arch9wavefront6targetE0EEEvT1_
    .private_segment_fixed_size: 0
    .sgpr_count:     0
    .sgpr_spill_count: 0
    .symbol:         _ZN7rocprim17ROCPRIM_400000_NS6detail17trampoline_kernelINS0_14default_configENS1_27scan_by_key_config_selectorIiiEEZZNS1_16scan_by_key_implILNS1_25lookback_scan_determinismE0ELb0ES3_N6thrust23THRUST_200600_302600_NS10device_ptrIiEESB_SB_iNS9_4plusIvEENS9_8equal_toIvEEiEE10hipError_tPvRmT2_T3_T4_T5_mT6_T7_P12ihipStream_tbENKUlT_T0_E_clISt17integral_constantIbLb1EESV_IbLb0EEEEDaSR_SS_EUlSR_E_NS1_11comp_targetILNS1_3genE0ELNS1_11target_archE4294967295ELNS1_3gpuE0ELNS1_3repE0EEENS1_30default_config_static_selectorELNS0_4arch9wavefront6targetE0EEEvT1_.kd
    .uniform_work_group_size: 1
    .uses_dynamic_stack: false
    .vgpr_count:     0
    .vgpr_spill_count: 0
    .wavefront_size: 32
  - .args:
      - .offset:         0
        .size:           112
        .value_kind:     by_value
    .group_segment_fixed_size: 0
    .kernarg_segment_align: 8
    .kernarg_segment_size: 112
    .language:       OpenCL C
    .language_version:
      - 2
      - 0
    .max_flat_workgroup_size: 256
    .name:           _ZN7rocprim17ROCPRIM_400000_NS6detail17trampoline_kernelINS0_14default_configENS1_27scan_by_key_config_selectorIiiEEZZNS1_16scan_by_key_implILNS1_25lookback_scan_determinismE0ELb0ES3_N6thrust23THRUST_200600_302600_NS10device_ptrIiEESB_SB_iNS9_4plusIvEENS9_8equal_toIvEEiEE10hipError_tPvRmT2_T3_T4_T5_mT6_T7_P12ihipStream_tbENKUlT_T0_E_clISt17integral_constantIbLb1EESV_IbLb0EEEEDaSR_SS_EUlSR_E_NS1_11comp_targetILNS1_3genE10ELNS1_11target_archE1201ELNS1_3gpuE5ELNS1_3repE0EEENS1_30default_config_static_selectorELNS0_4arch9wavefront6targetE0EEEvT1_
    .private_segment_fixed_size: 0
    .sgpr_count:     0
    .sgpr_spill_count: 0
    .symbol:         _ZN7rocprim17ROCPRIM_400000_NS6detail17trampoline_kernelINS0_14default_configENS1_27scan_by_key_config_selectorIiiEEZZNS1_16scan_by_key_implILNS1_25lookback_scan_determinismE0ELb0ES3_N6thrust23THRUST_200600_302600_NS10device_ptrIiEESB_SB_iNS9_4plusIvEENS9_8equal_toIvEEiEE10hipError_tPvRmT2_T3_T4_T5_mT6_T7_P12ihipStream_tbENKUlT_T0_E_clISt17integral_constantIbLb1EESV_IbLb0EEEEDaSR_SS_EUlSR_E_NS1_11comp_targetILNS1_3genE10ELNS1_11target_archE1201ELNS1_3gpuE5ELNS1_3repE0EEENS1_30default_config_static_selectorELNS0_4arch9wavefront6targetE0EEEvT1_.kd
    .uniform_work_group_size: 1
    .uses_dynamic_stack: false
    .vgpr_count:     0
    .vgpr_spill_count: 0
    .wavefront_size: 32
  - .args:
      - .offset:         0
        .size:           112
        .value_kind:     by_value
    .group_segment_fixed_size: 0
    .kernarg_segment_align: 8
    .kernarg_segment_size: 112
    .language:       OpenCL C
    .language_version:
      - 2
      - 0
    .max_flat_workgroup_size: 256
    .name:           _ZN7rocprim17ROCPRIM_400000_NS6detail17trampoline_kernelINS0_14default_configENS1_27scan_by_key_config_selectorIiiEEZZNS1_16scan_by_key_implILNS1_25lookback_scan_determinismE0ELb0ES3_N6thrust23THRUST_200600_302600_NS10device_ptrIiEESB_SB_iNS9_4plusIvEENS9_8equal_toIvEEiEE10hipError_tPvRmT2_T3_T4_T5_mT6_T7_P12ihipStream_tbENKUlT_T0_E_clISt17integral_constantIbLb1EESV_IbLb0EEEEDaSR_SS_EUlSR_E_NS1_11comp_targetILNS1_3genE5ELNS1_11target_archE942ELNS1_3gpuE9ELNS1_3repE0EEENS1_30default_config_static_selectorELNS0_4arch9wavefront6targetE0EEEvT1_
    .private_segment_fixed_size: 0
    .sgpr_count:     0
    .sgpr_spill_count: 0
    .symbol:         _ZN7rocprim17ROCPRIM_400000_NS6detail17trampoline_kernelINS0_14default_configENS1_27scan_by_key_config_selectorIiiEEZZNS1_16scan_by_key_implILNS1_25lookback_scan_determinismE0ELb0ES3_N6thrust23THRUST_200600_302600_NS10device_ptrIiEESB_SB_iNS9_4plusIvEENS9_8equal_toIvEEiEE10hipError_tPvRmT2_T3_T4_T5_mT6_T7_P12ihipStream_tbENKUlT_T0_E_clISt17integral_constantIbLb1EESV_IbLb0EEEEDaSR_SS_EUlSR_E_NS1_11comp_targetILNS1_3genE5ELNS1_11target_archE942ELNS1_3gpuE9ELNS1_3repE0EEENS1_30default_config_static_selectorELNS0_4arch9wavefront6targetE0EEEvT1_.kd
    .uniform_work_group_size: 1
    .uses_dynamic_stack: false
    .vgpr_count:     0
    .vgpr_spill_count: 0
    .wavefront_size: 32
  - .args:
      - .offset:         0
        .size:           112
        .value_kind:     by_value
    .group_segment_fixed_size: 0
    .kernarg_segment_align: 8
    .kernarg_segment_size: 112
    .language:       OpenCL C
    .language_version:
      - 2
      - 0
    .max_flat_workgroup_size: 256
    .name:           _ZN7rocprim17ROCPRIM_400000_NS6detail17trampoline_kernelINS0_14default_configENS1_27scan_by_key_config_selectorIiiEEZZNS1_16scan_by_key_implILNS1_25lookback_scan_determinismE0ELb0ES3_N6thrust23THRUST_200600_302600_NS10device_ptrIiEESB_SB_iNS9_4plusIvEENS9_8equal_toIvEEiEE10hipError_tPvRmT2_T3_T4_T5_mT6_T7_P12ihipStream_tbENKUlT_T0_E_clISt17integral_constantIbLb1EESV_IbLb0EEEEDaSR_SS_EUlSR_E_NS1_11comp_targetILNS1_3genE4ELNS1_11target_archE910ELNS1_3gpuE8ELNS1_3repE0EEENS1_30default_config_static_selectorELNS0_4arch9wavefront6targetE0EEEvT1_
    .private_segment_fixed_size: 0
    .sgpr_count:     0
    .sgpr_spill_count: 0
    .symbol:         _ZN7rocprim17ROCPRIM_400000_NS6detail17trampoline_kernelINS0_14default_configENS1_27scan_by_key_config_selectorIiiEEZZNS1_16scan_by_key_implILNS1_25lookback_scan_determinismE0ELb0ES3_N6thrust23THRUST_200600_302600_NS10device_ptrIiEESB_SB_iNS9_4plusIvEENS9_8equal_toIvEEiEE10hipError_tPvRmT2_T3_T4_T5_mT6_T7_P12ihipStream_tbENKUlT_T0_E_clISt17integral_constantIbLb1EESV_IbLb0EEEEDaSR_SS_EUlSR_E_NS1_11comp_targetILNS1_3genE4ELNS1_11target_archE910ELNS1_3gpuE8ELNS1_3repE0EEENS1_30default_config_static_selectorELNS0_4arch9wavefront6targetE0EEEvT1_.kd
    .uniform_work_group_size: 1
    .uses_dynamic_stack: false
    .vgpr_count:     0
    .vgpr_spill_count: 0
    .wavefront_size: 32
  - .args:
      - .offset:         0
        .size:           112
        .value_kind:     by_value
    .group_segment_fixed_size: 0
    .kernarg_segment_align: 8
    .kernarg_segment_size: 112
    .language:       OpenCL C
    .language_version:
      - 2
      - 0
    .max_flat_workgroup_size: 256
    .name:           _ZN7rocprim17ROCPRIM_400000_NS6detail17trampoline_kernelINS0_14default_configENS1_27scan_by_key_config_selectorIiiEEZZNS1_16scan_by_key_implILNS1_25lookback_scan_determinismE0ELb0ES3_N6thrust23THRUST_200600_302600_NS10device_ptrIiEESB_SB_iNS9_4plusIvEENS9_8equal_toIvEEiEE10hipError_tPvRmT2_T3_T4_T5_mT6_T7_P12ihipStream_tbENKUlT_T0_E_clISt17integral_constantIbLb1EESV_IbLb0EEEEDaSR_SS_EUlSR_E_NS1_11comp_targetILNS1_3genE3ELNS1_11target_archE908ELNS1_3gpuE7ELNS1_3repE0EEENS1_30default_config_static_selectorELNS0_4arch9wavefront6targetE0EEEvT1_
    .private_segment_fixed_size: 0
    .sgpr_count:     0
    .sgpr_spill_count: 0
    .symbol:         _ZN7rocprim17ROCPRIM_400000_NS6detail17trampoline_kernelINS0_14default_configENS1_27scan_by_key_config_selectorIiiEEZZNS1_16scan_by_key_implILNS1_25lookback_scan_determinismE0ELb0ES3_N6thrust23THRUST_200600_302600_NS10device_ptrIiEESB_SB_iNS9_4plusIvEENS9_8equal_toIvEEiEE10hipError_tPvRmT2_T3_T4_T5_mT6_T7_P12ihipStream_tbENKUlT_T0_E_clISt17integral_constantIbLb1EESV_IbLb0EEEEDaSR_SS_EUlSR_E_NS1_11comp_targetILNS1_3genE3ELNS1_11target_archE908ELNS1_3gpuE7ELNS1_3repE0EEENS1_30default_config_static_selectorELNS0_4arch9wavefront6targetE0EEEvT1_.kd
    .uniform_work_group_size: 1
    .uses_dynamic_stack: false
    .vgpr_count:     0
    .vgpr_spill_count: 0
    .wavefront_size: 32
  - .args:
      - .offset:         0
        .size:           112
        .value_kind:     by_value
    .group_segment_fixed_size: 0
    .kernarg_segment_align: 8
    .kernarg_segment_size: 112
    .language:       OpenCL C
    .language_version:
      - 2
      - 0
    .max_flat_workgroup_size: 256
    .name:           _ZN7rocprim17ROCPRIM_400000_NS6detail17trampoline_kernelINS0_14default_configENS1_27scan_by_key_config_selectorIiiEEZZNS1_16scan_by_key_implILNS1_25lookback_scan_determinismE0ELb0ES3_N6thrust23THRUST_200600_302600_NS10device_ptrIiEESB_SB_iNS9_4plusIvEENS9_8equal_toIvEEiEE10hipError_tPvRmT2_T3_T4_T5_mT6_T7_P12ihipStream_tbENKUlT_T0_E_clISt17integral_constantIbLb1EESV_IbLb0EEEEDaSR_SS_EUlSR_E_NS1_11comp_targetILNS1_3genE2ELNS1_11target_archE906ELNS1_3gpuE6ELNS1_3repE0EEENS1_30default_config_static_selectorELNS0_4arch9wavefront6targetE0EEEvT1_
    .private_segment_fixed_size: 0
    .sgpr_count:     0
    .sgpr_spill_count: 0
    .symbol:         _ZN7rocprim17ROCPRIM_400000_NS6detail17trampoline_kernelINS0_14default_configENS1_27scan_by_key_config_selectorIiiEEZZNS1_16scan_by_key_implILNS1_25lookback_scan_determinismE0ELb0ES3_N6thrust23THRUST_200600_302600_NS10device_ptrIiEESB_SB_iNS9_4plusIvEENS9_8equal_toIvEEiEE10hipError_tPvRmT2_T3_T4_T5_mT6_T7_P12ihipStream_tbENKUlT_T0_E_clISt17integral_constantIbLb1EESV_IbLb0EEEEDaSR_SS_EUlSR_E_NS1_11comp_targetILNS1_3genE2ELNS1_11target_archE906ELNS1_3gpuE6ELNS1_3repE0EEENS1_30default_config_static_selectorELNS0_4arch9wavefront6targetE0EEEvT1_.kd
    .uniform_work_group_size: 1
    .uses_dynamic_stack: false
    .vgpr_count:     0
    .vgpr_spill_count: 0
    .wavefront_size: 32
  - .args:
      - .offset:         0
        .size:           112
        .value_kind:     by_value
    .group_segment_fixed_size: 0
    .kernarg_segment_align: 8
    .kernarg_segment_size: 112
    .language:       OpenCL C
    .language_version:
      - 2
      - 0
    .max_flat_workgroup_size: 256
    .name:           _ZN7rocprim17ROCPRIM_400000_NS6detail17trampoline_kernelINS0_14default_configENS1_27scan_by_key_config_selectorIiiEEZZNS1_16scan_by_key_implILNS1_25lookback_scan_determinismE0ELb0ES3_N6thrust23THRUST_200600_302600_NS10device_ptrIiEESB_SB_iNS9_4plusIvEENS9_8equal_toIvEEiEE10hipError_tPvRmT2_T3_T4_T5_mT6_T7_P12ihipStream_tbENKUlT_T0_E_clISt17integral_constantIbLb1EESV_IbLb0EEEEDaSR_SS_EUlSR_E_NS1_11comp_targetILNS1_3genE10ELNS1_11target_archE1200ELNS1_3gpuE4ELNS1_3repE0EEENS1_30default_config_static_selectorELNS0_4arch9wavefront6targetE0EEEvT1_
    .private_segment_fixed_size: 0
    .sgpr_count:     0
    .sgpr_spill_count: 0
    .symbol:         _ZN7rocprim17ROCPRIM_400000_NS6detail17trampoline_kernelINS0_14default_configENS1_27scan_by_key_config_selectorIiiEEZZNS1_16scan_by_key_implILNS1_25lookback_scan_determinismE0ELb0ES3_N6thrust23THRUST_200600_302600_NS10device_ptrIiEESB_SB_iNS9_4plusIvEENS9_8equal_toIvEEiEE10hipError_tPvRmT2_T3_T4_T5_mT6_T7_P12ihipStream_tbENKUlT_T0_E_clISt17integral_constantIbLb1EESV_IbLb0EEEEDaSR_SS_EUlSR_E_NS1_11comp_targetILNS1_3genE10ELNS1_11target_archE1200ELNS1_3gpuE4ELNS1_3repE0EEENS1_30default_config_static_selectorELNS0_4arch9wavefront6targetE0EEEvT1_.kd
    .uniform_work_group_size: 1
    .uses_dynamic_stack: false
    .vgpr_count:     0
    .vgpr_spill_count: 0
    .wavefront_size: 32
  - .args:
      - .offset:         0
        .size:           112
        .value_kind:     by_value
    .group_segment_fixed_size: 0
    .kernarg_segment_align: 8
    .kernarg_segment_size: 112
    .language:       OpenCL C
    .language_version:
      - 2
      - 0
    .max_flat_workgroup_size: 256
    .name:           _ZN7rocprim17ROCPRIM_400000_NS6detail17trampoline_kernelINS0_14default_configENS1_27scan_by_key_config_selectorIiiEEZZNS1_16scan_by_key_implILNS1_25lookback_scan_determinismE0ELb0ES3_N6thrust23THRUST_200600_302600_NS10device_ptrIiEESB_SB_iNS9_4plusIvEENS9_8equal_toIvEEiEE10hipError_tPvRmT2_T3_T4_T5_mT6_T7_P12ihipStream_tbENKUlT_T0_E_clISt17integral_constantIbLb1EESV_IbLb0EEEEDaSR_SS_EUlSR_E_NS1_11comp_targetILNS1_3genE9ELNS1_11target_archE1100ELNS1_3gpuE3ELNS1_3repE0EEENS1_30default_config_static_selectorELNS0_4arch9wavefront6targetE0EEEvT1_
    .private_segment_fixed_size: 0
    .sgpr_count:     0
    .sgpr_spill_count: 0
    .symbol:         _ZN7rocprim17ROCPRIM_400000_NS6detail17trampoline_kernelINS0_14default_configENS1_27scan_by_key_config_selectorIiiEEZZNS1_16scan_by_key_implILNS1_25lookback_scan_determinismE0ELb0ES3_N6thrust23THRUST_200600_302600_NS10device_ptrIiEESB_SB_iNS9_4plusIvEENS9_8equal_toIvEEiEE10hipError_tPvRmT2_T3_T4_T5_mT6_T7_P12ihipStream_tbENKUlT_T0_E_clISt17integral_constantIbLb1EESV_IbLb0EEEEDaSR_SS_EUlSR_E_NS1_11comp_targetILNS1_3genE9ELNS1_11target_archE1100ELNS1_3gpuE3ELNS1_3repE0EEENS1_30default_config_static_selectorELNS0_4arch9wavefront6targetE0EEEvT1_.kd
    .uniform_work_group_size: 1
    .uses_dynamic_stack: false
    .vgpr_count:     0
    .vgpr_spill_count: 0
    .wavefront_size: 32
  - .args:
      - .offset:         0
        .size:           112
        .value_kind:     by_value
    .group_segment_fixed_size: 0
    .kernarg_segment_align: 8
    .kernarg_segment_size: 112
    .language:       OpenCL C
    .language_version:
      - 2
      - 0
    .max_flat_workgroup_size: 256
    .name:           _ZN7rocprim17ROCPRIM_400000_NS6detail17trampoline_kernelINS0_14default_configENS1_27scan_by_key_config_selectorIiiEEZZNS1_16scan_by_key_implILNS1_25lookback_scan_determinismE0ELb0ES3_N6thrust23THRUST_200600_302600_NS10device_ptrIiEESB_SB_iNS9_4plusIvEENS9_8equal_toIvEEiEE10hipError_tPvRmT2_T3_T4_T5_mT6_T7_P12ihipStream_tbENKUlT_T0_E_clISt17integral_constantIbLb1EESV_IbLb0EEEEDaSR_SS_EUlSR_E_NS1_11comp_targetILNS1_3genE8ELNS1_11target_archE1030ELNS1_3gpuE2ELNS1_3repE0EEENS1_30default_config_static_selectorELNS0_4arch9wavefront6targetE0EEEvT1_
    .private_segment_fixed_size: 0
    .sgpr_count:     0
    .sgpr_spill_count: 0
    .symbol:         _ZN7rocprim17ROCPRIM_400000_NS6detail17trampoline_kernelINS0_14default_configENS1_27scan_by_key_config_selectorIiiEEZZNS1_16scan_by_key_implILNS1_25lookback_scan_determinismE0ELb0ES3_N6thrust23THRUST_200600_302600_NS10device_ptrIiEESB_SB_iNS9_4plusIvEENS9_8equal_toIvEEiEE10hipError_tPvRmT2_T3_T4_T5_mT6_T7_P12ihipStream_tbENKUlT_T0_E_clISt17integral_constantIbLb1EESV_IbLb0EEEEDaSR_SS_EUlSR_E_NS1_11comp_targetILNS1_3genE8ELNS1_11target_archE1030ELNS1_3gpuE2ELNS1_3repE0EEENS1_30default_config_static_selectorELNS0_4arch9wavefront6targetE0EEEvT1_.kd
    .uniform_work_group_size: 1
    .uses_dynamic_stack: false
    .vgpr_count:     0
    .vgpr_spill_count: 0
    .wavefront_size: 32
  - .args:
      - .address_space:  global
        .offset:         0
        .size:           8
        .value_kind:     global_buffer
      - .offset:         8
        .size:           4
        .value_kind:     by_value
      - .offset:         12
        .size:           4
        .value_kind:     by_value
      - .address_space:  global
        .offset:         16
        .size:           8
        .value_kind:     global_buffer
      - .address_space:  global
        .offset:         24
        .size:           8
        .value_kind:     global_buffer
      - .actual_access:  write_only
        .address_space:  global
        .offset:         32
        .size:           8
        .value_kind:     global_buffer
      - .offset:         40
        .size:           8
        .value_kind:     by_value
      - .offset:         48
        .size:           4
        .value_kind:     by_value
      - .address_space:  global
        .offset:         56
        .size:           8
        .value_kind:     global_buffer
      - .offset:         64
        .size:           4
        .value_kind:     hidden_block_count_x
      - .offset:         68
        .size:           4
        .value_kind:     hidden_block_count_y
      - .offset:         72
        .size:           4
        .value_kind:     hidden_block_count_z
      - .offset:         76
        .size:           2
        .value_kind:     hidden_group_size_x
      - .offset:         78
        .size:           2
        .value_kind:     hidden_group_size_y
      - .offset:         80
        .size:           2
        .value_kind:     hidden_group_size_z
      - .offset:         82
        .size:           2
        .value_kind:     hidden_remainder_x
      - .offset:         84
        .size:           2
        .value_kind:     hidden_remainder_y
      - .offset:         86
        .size:           2
        .value_kind:     hidden_remainder_z
      - .offset:         104
        .size:           8
        .value_kind:     hidden_global_offset_x
      - .offset:         112
        .size:           8
        .value_kind:     hidden_global_offset_y
      - .offset:         120
        .size:           8
        .value_kind:     hidden_global_offset_z
      - .offset:         128
        .size:           2
        .value_kind:     hidden_grid_dims
    .group_segment_fixed_size: 0
    .kernarg_segment_align: 8
    .kernarg_segment_size: 320
    .language:       OpenCL C
    .language_version:
      - 2
      - 0
    .max_flat_workgroup_size: 256
    .name:           _ZN7rocprim17ROCPRIM_400000_NS6detail30init_device_scan_by_key_kernelINS1_19lookback_scan_stateINS0_5tupleIJibEEELb0ELb1EEEN6thrust23THRUST_200600_302600_NS10device_ptrIiEEjNS1_16block_id_wrapperIjLb1EEEEEvT_jjPNSD_10value_typeET0_PNSt15iterator_traitsISG_E10value_typeEmT1_T2_
    .private_segment_fixed_size: 0
    .sgpr_count:     19
    .sgpr_spill_count: 0
    .symbol:         _ZN7rocprim17ROCPRIM_400000_NS6detail30init_device_scan_by_key_kernelINS1_19lookback_scan_stateINS0_5tupleIJibEEELb0ELb1EEEN6thrust23THRUST_200600_302600_NS10device_ptrIiEEjNS1_16block_id_wrapperIjLb1EEEEEvT_jjPNSD_10value_typeET0_PNSt15iterator_traitsISG_E10value_typeEmT1_T2_.kd
    .uniform_work_group_size: 1
    .uses_dynamic_stack: false
    .vgpr_count:     10
    .vgpr_spill_count: 0
    .wavefront_size: 32
  - .args:
      - .offset:         0
        .size:           112
        .value_kind:     by_value
    .group_segment_fixed_size: 14336
    .kernarg_segment_align: 8
    .kernarg_segment_size: 112
    .language:       OpenCL C
    .language_version:
      - 2
      - 0
    .max_flat_workgroup_size: 256
    .name:           _ZN7rocprim17ROCPRIM_400000_NS6detail17trampoline_kernelINS0_14default_configENS1_27scan_by_key_config_selectorIiiEEZZNS1_16scan_by_key_implILNS1_25lookback_scan_determinismE0ELb0ES3_N6thrust23THRUST_200600_302600_NS10device_ptrIiEESB_SB_iNS9_4plusIvEENS9_8equal_toIvEEiEE10hipError_tPvRmT2_T3_T4_T5_mT6_T7_P12ihipStream_tbENKUlT_T0_E_clISt17integral_constantIbLb0EESV_IbLb1EEEEDaSR_SS_EUlSR_E_NS1_11comp_targetILNS1_3genE0ELNS1_11target_archE4294967295ELNS1_3gpuE0ELNS1_3repE0EEENS1_30default_config_static_selectorELNS0_4arch9wavefront6targetE0EEEvT1_
    .private_segment_fixed_size: 0
    .sgpr_count:     46
    .sgpr_spill_count: 0
    .symbol:         _ZN7rocprim17ROCPRIM_400000_NS6detail17trampoline_kernelINS0_14default_configENS1_27scan_by_key_config_selectorIiiEEZZNS1_16scan_by_key_implILNS1_25lookback_scan_determinismE0ELb0ES3_N6thrust23THRUST_200600_302600_NS10device_ptrIiEESB_SB_iNS9_4plusIvEENS9_8equal_toIvEEiEE10hipError_tPvRmT2_T3_T4_T5_mT6_T7_P12ihipStream_tbENKUlT_T0_E_clISt17integral_constantIbLb0EESV_IbLb1EEEEDaSR_SS_EUlSR_E_NS1_11comp_targetILNS1_3genE0ELNS1_11target_archE4294967295ELNS1_3gpuE0ELNS1_3repE0EEENS1_30default_config_static_selectorELNS0_4arch9wavefront6targetE0EEEvT1_.kd
    .uniform_work_group_size: 1
    .uses_dynamic_stack: false
    .vgpr_count:     60
    .vgpr_spill_count: 0
    .wavefront_size: 32
  - .args:
      - .offset:         0
        .size:           112
        .value_kind:     by_value
    .group_segment_fixed_size: 0
    .kernarg_segment_align: 8
    .kernarg_segment_size: 112
    .language:       OpenCL C
    .language_version:
      - 2
      - 0
    .max_flat_workgroup_size: 256
    .name:           _ZN7rocprim17ROCPRIM_400000_NS6detail17trampoline_kernelINS0_14default_configENS1_27scan_by_key_config_selectorIiiEEZZNS1_16scan_by_key_implILNS1_25lookback_scan_determinismE0ELb0ES3_N6thrust23THRUST_200600_302600_NS10device_ptrIiEESB_SB_iNS9_4plusIvEENS9_8equal_toIvEEiEE10hipError_tPvRmT2_T3_T4_T5_mT6_T7_P12ihipStream_tbENKUlT_T0_E_clISt17integral_constantIbLb0EESV_IbLb1EEEEDaSR_SS_EUlSR_E_NS1_11comp_targetILNS1_3genE10ELNS1_11target_archE1201ELNS1_3gpuE5ELNS1_3repE0EEENS1_30default_config_static_selectorELNS0_4arch9wavefront6targetE0EEEvT1_
    .private_segment_fixed_size: 0
    .sgpr_count:     0
    .sgpr_spill_count: 0
    .symbol:         _ZN7rocprim17ROCPRIM_400000_NS6detail17trampoline_kernelINS0_14default_configENS1_27scan_by_key_config_selectorIiiEEZZNS1_16scan_by_key_implILNS1_25lookback_scan_determinismE0ELb0ES3_N6thrust23THRUST_200600_302600_NS10device_ptrIiEESB_SB_iNS9_4plusIvEENS9_8equal_toIvEEiEE10hipError_tPvRmT2_T3_T4_T5_mT6_T7_P12ihipStream_tbENKUlT_T0_E_clISt17integral_constantIbLb0EESV_IbLb1EEEEDaSR_SS_EUlSR_E_NS1_11comp_targetILNS1_3genE10ELNS1_11target_archE1201ELNS1_3gpuE5ELNS1_3repE0EEENS1_30default_config_static_selectorELNS0_4arch9wavefront6targetE0EEEvT1_.kd
    .uniform_work_group_size: 1
    .uses_dynamic_stack: false
    .vgpr_count:     0
    .vgpr_spill_count: 0
    .wavefront_size: 32
  - .args:
      - .offset:         0
        .size:           112
        .value_kind:     by_value
    .group_segment_fixed_size: 0
    .kernarg_segment_align: 8
    .kernarg_segment_size: 112
    .language:       OpenCL C
    .language_version:
      - 2
      - 0
    .max_flat_workgroup_size: 256
    .name:           _ZN7rocprim17ROCPRIM_400000_NS6detail17trampoline_kernelINS0_14default_configENS1_27scan_by_key_config_selectorIiiEEZZNS1_16scan_by_key_implILNS1_25lookback_scan_determinismE0ELb0ES3_N6thrust23THRUST_200600_302600_NS10device_ptrIiEESB_SB_iNS9_4plusIvEENS9_8equal_toIvEEiEE10hipError_tPvRmT2_T3_T4_T5_mT6_T7_P12ihipStream_tbENKUlT_T0_E_clISt17integral_constantIbLb0EESV_IbLb1EEEEDaSR_SS_EUlSR_E_NS1_11comp_targetILNS1_3genE5ELNS1_11target_archE942ELNS1_3gpuE9ELNS1_3repE0EEENS1_30default_config_static_selectorELNS0_4arch9wavefront6targetE0EEEvT1_
    .private_segment_fixed_size: 0
    .sgpr_count:     0
    .sgpr_spill_count: 0
    .symbol:         _ZN7rocprim17ROCPRIM_400000_NS6detail17trampoline_kernelINS0_14default_configENS1_27scan_by_key_config_selectorIiiEEZZNS1_16scan_by_key_implILNS1_25lookback_scan_determinismE0ELb0ES3_N6thrust23THRUST_200600_302600_NS10device_ptrIiEESB_SB_iNS9_4plusIvEENS9_8equal_toIvEEiEE10hipError_tPvRmT2_T3_T4_T5_mT6_T7_P12ihipStream_tbENKUlT_T0_E_clISt17integral_constantIbLb0EESV_IbLb1EEEEDaSR_SS_EUlSR_E_NS1_11comp_targetILNS1_3genE5ELNS1_11target_archE942ELNS1_3gpuE9ELNS1_3repE0EEENS1_30default_config_static_selectorELNS0_4arch9wavefront6targetE0EEEvT1_.kd
    .uniform_work_group_size: 1
    .uses_dynamic_stack: false
    .vgpr_count:     0
    .vgpr_spill_count: 0
    .wavefront_size: 32
  - .args:
      - .offset:         0
        .size:           112
        .value_kind:     by_value
    .group_segment_fixed_size: 0
    .kernarg_segment_align: 8
    .kernarg_segment_size: 112
    .language:       OpenCL C
    .language_version:
      - 2
      - 0
    .max_flat_workgroup_size: 256
    .name:           _ZN7rocprim17ROCPRIM_400000_NS6detail17trampoline_kernelINS0_14default_configENS1_27scan_by_key_config_selectorIiiEEZZNS1_16scan_by_key_implILNS1_25lookback_scan_determinismE0ELb0ES3_N6thrust23THRUST_200600_302600_NS10device_ptrIiEESB_SB_iNS9_4plusIvEENS9_8equal_toIvEEiEE10hipError_tPvRmT2_T3_T4_T5_mT6_T7_P12ihipStream_tbENKUlT_T0_E_clISt17integral_constantIbLb0EESV_IbLb1EEEEDaSR_SS_EUlSR_E_NS1_11comp_targetILNS1_3genE4ELNS1_11target_archE910ELNS1_3gpuE8ELNS1_3repE0EEENS1_30default_config_static_selectorELNS0_4arch9wavefront6targetE0EEEvT1_
    .private_segment_fixed_size: 0
    .sgpr_count:     0
    .sgpr_spill_count: 0
    .symbol:         _ZN7rocprim17ROCPRIM_400000_NS6detail17trampoline_kernelINS0_14default_configENS1_27scan_by_key_config_selectorIiiEEZZNS1_16scan_by_key_implILNS1_25lookback_scan_determinismE0ELb0ES3_N6thrust23THRUST_200600_302600_NS10device_ptrIiEESB_SB_iNS9_4plusIvEENS9_8equal_toIvEEiEE10hipError_tPvRmT2_T3_T4_T5_mT6_T7_P12ihipStream_tbENKUlT_T0_E_clISt17integral_constantIbLb0EESV_IbLb1EEEEDaSR_SS_EUlSR_E_NS1_11comp_targetILNS1_3genE4ELNS1_11target_archE910ELNS1_3gpuE8ELNS1_3repE0EEENS1_30default_config_static_selectorELNS0_4arch9wavefront6targetE0EEEvT1_.kd
    .uniform_work_group_size: 1
    .uses_dynamic_stack: false
    .vgpr_count:     0
    .vgpr_spill_count: 0
    .wavefront_size: 32
  - .args:
      - .offset:         0
        .size:           112
        .value_kind:     by_value
    .group_segment_fixed_size: 0
    .kernarg_segment_align: 8
    .kernarg_segment_size: 112
    .language:       OpenCL C
    .language_version:
      - 2
      - 0
    .max_flat_workgroup_size: 256
    .name:           _ZN7rocprim17ROCPRIM_400000_NS6detail17trampoline_kernelINS0_14default_configENS1_27scan_by_key_config_selectorIiiEEZZNS1_16scan_by_key_implILNS1_25lookback_scan_determinismE0ELb0ES3_N6thrust23THRUST_200600_302600_NS10device_ptrIiEESB_SB_iNS9_4plusIvEENS9_8equal_toIvEEiEE10hipError_tPvRmT2_T3_T4_T5_mT6_T7_P12ihipStream_tbENKUlT_T0_E_clISt17integral_constantIbLb0EESV_IbLb1EEEEDaSR_SS_EUlSR_E_NS1_11comp_targetILNS1_3genE3ELNS1_11target_archE908ELNS1_3gpuE7ELNS1_3repE0EEENS1_30default_config_static_selectorELNS0_4arch9wavefront6targetE0EEEvT1_
    .private_segment_fixed_size: 0
    .sgpr_count:     0
    .sgpr_spill_count: 0
    .symbol:         _ZN7rocprim17ROCPRIM_400000_NS6detail17trampoline_kernelINS0_14default_configENS1_27scan_by_key_config_selectorIiiEEZZNS1_16scan_by_key_implILNS1_25lookback_scan_determinismE0ELb0ES3_N6thrust23THRUST_200600_302600_NS10device_ptrIiEESB_SB_iNS9_4plusIvEENS9_8equal_toIvEEiEE10hipError_tPvRmT2_T3_T4_T5_mT6_T7_P12ihipStream_tbENKUlT_T0_E_clISt17integral_constantIbLb0EESV_IbLb1EEEEDaSR_SS_EUlSR_E_NS1_11comp_targetILNS1_3genE3ELNS1_11target_archE908ELNS1_3gpuE7ELNS1_3repE0EEENS1_30default_config_static_selectorELNS0_4arch9wavefront6targetE0EEEvT1_.kd
    .uniform_work_group_size: 1
    .uses_dynamic_stack: false
    .vgpr_count:     0
    .vgpr_spill_count: 0
    .wavefront_size: 32
  - .args:
      - .offset:         0
        .size:           112
        .value_kind:     by_value
    .group_segment_fixed_size: 0
    .kernarg_segment_align: 8
    .kernarg_segment_size: 112
    .language:       OpenCL C
    .language_version:
      - 2
      - 0
    .max_flat_workgroup_size: 256
    .name:           _ZN7rocprim17ROCPRIM_400000_NS6detail17trampoline_kernelINS0_14default_configENS1_27scan_by_key_config_selectorIiiEEZZNS1_16scan_by_key_implILNS1_25lookback_scan_determinismE0ELb0ES3_N6thrust23THRUST_200600_302600_NS10device_ptrIiEESB_SB_iNS9_4plusIvEENS9_8equal_toIvEEiEE10hipError_tPvRmT2_T3_T4_T5_mT6_T7_P12ihipStream_tbENKUlT_T0_E_clISt17integral_constantIbLb0EESV_IbLb1EEEEDaSR_SS_EUlSR_E_NS1_11comp_targetILNS1_3genE2ELNS1_11target_archE906ELNS1_3gpuE6ELNS1_3repE0EEENS1_30default_config_static_selectorELNS0_4arch9wavefront6targetE0EEEvT1_
    .private_segment_fixed_size: 0
    .sgpr_count:     0
    .sgpr_spill_count: 0
    .symbol:         _ZN7rocprim17ROCPRIM_400000_NS6detail17trampoline_kernelINS0_14default_configENS1_27scan_by_key_config_selectorIiiEEZZNS1_16scan_by_key_implILNS1_25lookback_scan_determinismE0ELb0ES3_N6thrust23THRUST_200600_302600_NS10device_ptrIiEESB_SB_iNS9_4plusIvEENS9_8equal_toIvEEiEE10hipError_tPvRmT2_T3_T4_T5_mT6_T7_P12ihipStream_tbENKUlT_T0_E_clISt17integral_constantIbLb0EESV_IbLb1EEEEDaSR_SS_EUlSR_E_NS1_11comp_targetILNS1_3genE2ELNS1_11target_archE906ELNS1_3gpuE6ELNS1_3repE0EEENS1_30default_config_static_selectorELNS0_4arch9wavefront6targetE0EEEvT1_.kd
    .uniform_work_group_size: 1
    .uses_dynamic_stack: false
    .vgpr_count:     0
    .vgpr_spill_count: 0
    .wavefront_size: 32
  - .args:
      - .offset:         0
        .size:           112
        .value_kind:     by_value
    .group_segment_fixed_size: 0
    .kernarg_segment_align: 8
    .kernarg_segment_size: 112
    .language:       OpenCL C
    .language_version:
      - 2
      - 0
    .max_flat_workgroup_size: 256
    .name:           _ZN7rocprim17ROCPRIM_400000_NS6detail17trampoline_kernelINS0_14default_configENS1_27scan_by_key_config_selectorIiiEEZZNS1_16scan_by_key_implILNS1_25lookback_scan_determinismE0ELb0ES3_N6thrust23THRUST_200600_302600_NS10device_ptrIiEESB_SB_iNS9_4plusIvEENS9_8equal_toIvEEiEE10hipError_tPvRmT2_T3_T4_T5_mT6_T7_P12ihipStream_tbENKUlT_T0_E_clISt17integral_constantIbLb0EESV_IbLb1EEEEDaSR_SS_EUlSR_E_NS1_11comp_targetILNS1_3genE10ELNS1_11target_archE1200ELNS1_3gpuE4ELNS1_3repE0EEENS1_30default_config_static_selectorELNS0_4arch9wavefront6targetE0EEEvT1_
    .private_segment_fixed_size: 0
    .sgpr_count:     0
    .sgpr_spill_count: 0
    .symbol:         _ZN7rocprim17ROCPRIM_400000_NS6detail17trampoline_kernelINS0_14default_configENS1_27scan_by_key_config_selectorIiiEEZZNS1_16scan_by_key_implILNS1_25lookback_scan_determinismE0ELb0ES3_N6thrust23THRUST_200600_302600_NS10device_ptrIiEESB_SB_iNS9_4plusIvEENS9_8equal_toIvEEiEE10hipError_tPvRmT2_T3_T4_T5_mT6_T7_P12ihipStream_tbENKUlT_T0_E_clISt17integral_constantIbLb0EESV_IbLb1EEEEDaSR_SS_EUlSR_E_NS1_11comp_targetILNS1_3genE10ELNS1_11target_archE1200ELNS1_3gpuE4ELNS1_3repE0EEENS1_30default_config_static_selectorELNS0_4arch9wavefront6targetE0EEEvT1_.kd
    .uniform_work_group_size: 1
    .uses_dynamic_stack: false
    .vgpr_count:     0
    .vgpr_spill_count: 0
    .wavefront_size: 32
  - .args:
      - .offset:         0
        .size:           112
        .value_kind:     by_value
    .group_segment_fixed_size: 0
    .kernarg_segment_align: 8
    .kernarg_segment_size: 112
    .language:       OpenCL C
    .language_version:
      - 2
      - 0
    .max_flat_workgroup_size: 256
    .name:           _ZN7rocprim17ROCPRIM_400000_NS6detail17trampoline_kernelINS0_14default_configENS1_27scan_by_key_config_selectorIiiEEZZNS1_16scan_by_key_implILNS1_25lookback_scan_determinismE0ELb0ES3_N6thrust23THRUST_200600_302600_NS10device_ptrIiEESB_SB_iNS9_4plusIvEENS9_8equal_toIvEEiEE10hipError_tPvRmT2_T3_T4_T5_mT6_T7_P12ihipStream_tbENKUlT_T0_E_clISt17integral_constantIbLb0EESV_IbLb1EEEEDaSR_SS_EUlSR_E_NS1_11comp_targetILNS1_3genE9ELNS1_11target_archE1100ELNS1_3gpuE3ELNS1_3repE0EEENS1_30default_config_static_selectorELNS0_4arch9wavefront6targetE0EEEvT1_
    .private_segment_fixed_size: 0
    .sgpr_count:     0
    .sgpr_spill_count: 0
    .symbol:         _ZN7rocprim17ROCPRIM_400000_NS6detail17trampoline_kernelINS0_14default_configENS1_27scan_by_key_config_selectorIiiEEZZNS1_16scan_by_key_implILNS1_25lookback_scan_determinismE0ELb0ES3_N6thrust23THRUST_200600_302600_NS10device_ptrIiEESB_SB_iNS9_4plusIvEENS9_8equal_toIvEEiEE10hipError_tPvRmT2_T3_T4_T5_mT6_T7_P12ihipStream_tbENKUlT_T0_E_clISt17integral_constantIbLb0EESV_IbLb1EEEEDaSR_SS_EUlSR_E_NS1_11comp_targetILNS1_3genE9ELNS1_11target_archE1100ELNS1_3gpuE3ELNS1_3repE0EEENS1_30default_config_static_selectorELNS0_4arch9wavefront6targetE0EEEvT1_.kd
    .uniform_work_group_size: 1
    .uses_dynamic_stack: false
    .vgpr_count:     0
    .vgpr_spill_count: 0
    .wavefront_size: 32
  - .args:
      - .offset:         0
        .size:           112
        .value_kind:     by_value
    .group_segment_fixed_size: 0
    .kernarg_segment_align: 8
    .kernarg_segment_size: 112
    .language:       OpenCL C
    .language_version:
      - 2
      - 0
    .max_flat_workgroup_size: 256
    .name:           _ZN7rocprim17ROCPRIM_400000_NS6detail17trampoline_kernelINS0_14default_configENS1_27scan_by_key_config_selectorIiiEEZZNS1_16scan_by_key_implILNS1_25lookback_scan_determinismE0ELb0ES3_N6thrust23THRUST_200600_302600_NS10device_ptrIiEESB_SB_iNS9_4plusIvEENS9_8equal_toIvEEiEE10hipError_tPvRmT2_T3_T4_T5_mT6_T7_P12ihipStream_tbENKUlT_T0_E_clISt17integral_constantIbLb0EESV_IbLb1EEEEDaSR_SS_EUlSR_E_NS1_11comp_targetILNS1_3genE8ELNS1_11target_archE1030ELNS1_3gpuE2ELNS1_3repE0EEENS1_30default_config_static_selectorELNS0_4arch9wavefront6targetE0EEEvT1_
    .private_segment_fixed_size: 0
    .sgpr_count:     0
    .sgpr_spill_count: 0
    .symbol:         _ZN7rocprim17ROCPRIM_400000_NS6detail17trampoline_kernelINS0_14default_configENS1_27scan_by_key_config_selectorIiiEEZZNS1_16scan_by_key_implILNS1_25lookback_scan_determinismE0ELb0ES3_N6thrust23THRUST_200600_302600_NS10device_ptrIiEESB_SB_iNS9_4plusIvEENS9_8equal_toIvEEiEE10hipError_tPvRmT2_T3_T4_T5_mT6_T7_P12ihipStream_tbENKUlT_T0_E_clISt17integral_constantIbLb0EESV_IbLb1EEEEDaSR_SS_EUlSR_E_NS1_11comp_targetILNS1_3genE8ELNS1_11target_archE1030ELNS1_3gpuE2ELNS1_3repE0EEENS1_30default_config_static_selectorELNS0_4arch9wavefront6targetE0EEEvT1_.kd
    .uniform_work_group_size: 1
    .uses_dynamic_stack: false
    .vgpr_count:     0
    .vgpr_spill_count: 0
    .wavefront_size: 32
  - .args:
      - .offset:         0
        .size:           112
        .value_kind:     by_value
    .group_segment_fixed_size: 14336
    .kernarg_segment_align: 8
    .kernarg_segment_size: 112
    .language:       OpenCL C
    .language_version:
      - 2
      - 0
    .max_flat_workgroup_size: 256
    .name:           _ZN7rocprim17ROCPRIM_400000_NS6detail17trampoline_kernelINS0_14default_configENS1_27scan_by_key_config_selectorIiiEEZZNS1_16scan_by_key_implILNS1_25lookback_scan_determinismE0ELb1ES3_N6thrust23THRUST_200600_302600_NS10device_ptrIiEESB_SB_iNS9_4plusIvEENS9_8equal_toIvEEiEE10hipError_tPvRmT2_T3_T4_T5_mT6_T7_P12ihipStream_tbENKUlT_T0_E_clISt17integral_constantIbLb0EESW_EEDaSR_SS_EUlSR_E_NS1_11comp_targetILNS1_3genE0ELNS1_11target_archE4294967295ELNS1_3gpuE0ELNS1_3repE0EEENS1_30default_config_static_selectorELNS0_4arch9wavefront6targetE0EEEvT1_
    .private_segment_fixed_size: 0
    .sgpr_count:     39
    .sgpr_spill_count: 0
    .symbol:         _ZN7rocprim17ROCPRIM_400000_NS6detail17trampoline_kernelINS0_14default_configENS1_27scan_by_key_config_selectorIiiEEZZNS1_16scan_by_key_implILNS1_25lookback_scan_determinismE0ELb1ES3_N6thrust23THRUST_200600_302600_NS10device_ptrIiEESB_SB_iNS9_4plusIvEENS9_8equal_toIvEEiEE10hipError_tPvRmT2_T3_T4_T5_mT6_T7_P12ihipStream_tbENKUlT_T0_E_clISt17integral_constantIbLb0EESW_EEDaSR_SS_EUlSR_E_NS1_11comp_targetILNS1_3genE0ELNS1_11target_archE4294967295ELNS1_3gpuE0ELNS1_3repE0EEENS1_30default_config_static_selectorELNS0_4arch9wavefront6targetE0EEEvT1_.kd
    .uniform_work_group_size: 1
    .uses_dynamic_stack: false
    .vgpr_count:     62
    .vgpr_spill_count: 0
    .wavefront_size: 32
  - .args:
      - .offset:         0
        .size:           112
        .value_kind:     by_value
    .group_segment_fixed_size: 0
    .kernarg_segment_align: 8
    .kernarg_segment_size: 112
    .language:       OpenCL C
    .language_version:
      - 2
      - 0
    .max_flat_workgroup_size: 256
    .name:           _ZN7rocprim17ROCPRIM_400000_NS6detail17trampoline_kernelINS0_14default_configENS1_27scan_by_key_config_selectorIiiEEZZNS1_16scan_by_key_implILNS1_25lookback_scan_determinismE0ELb1ES3_N6thrust23THRUST_200600_302600_NS10device_ptrIiEESB_SB_iNS9_4plusIvEENS9_8equal_toIvEEiEE10hipError_tPvRmT2_T3_T4_T5_mT6_T7_P12ihipStream_tbENKUlT_T0_E_clISt17integral_constantIbLb0EESW_EEDaSR_SS_EUlSR_E_NS1_11comp_targetILNS1_3genE10ELNS1_11target_archE1201ELNS1_3gpuE5ELNS1_3repE0EEENS1_30default_config_static_selectorELNS0_4arch9wavefront6targetE0EEEvT1_
    .private_segment_fixed_size: 0
    .sgpr_count:     0
    .sgpr_spill_count: 0
    .symbol:         _ZN7rocprim17ROCPRIM_400000_NS6detail17trampoline_kernelINS0_14default_configENS1_27scan_by_key_config_selectorIiiEEZZNS1_16scan_by_key_implILNS1_25lookback_scan_determinismE0ELb1ES3_N6thrust23THRUST_200600_302600_NS10device_ptrIiEESB_SB_iNS9_4plusIvEENS9_8equal_toIvEEiEE10hipError_tPvRmT2_T3_T4_T5_mT6_T7_P12ihipStream_tbENKUlT_T0_E_clISt17integral_constantIbLb0EESW_EEDaSR_SS_EUlSR_E_NS1_11comp_targetILNS1_3genE10ELNS1_11target_archE1201ELNS1_3gpuE5ELNS1_3repE0EEENS1_30default_config_static_selectorELNS0_4arch9wavefront6targetE0EEEvT1_.kd
    .uniform_work_group_size: 1
    .uses_dynamic_stack: false
    .vgpr_count:     0
    .vgpr_spill_count: 0
    .wavefront_size: 32
  - .args:
      - .offset:         0
        .size:           112
        .value_kind:     by_value
    .group_segment_fixed_size: 0
    .kernarg_segment_align: 8
    .kernarg_segment_size: 112
    .language:       OpenCL C
    .language_version:
      - 2
      - 0
    .max_flat_workgroup_size: 256
    .name:           _ZN7rocprim17ROCPRIM_400000_NS6detail17trampoline_kernelINS0_14default_configENS1_27scan_by_key_config_selectorIiiEEZZNS1_16scan_by_key_implILNS1_25lookback_scan_determinismE0ELb1ES3_N6thrust23THRUST_200600_302600_NS10device_ptrIiEESB_SB_iNS9_4plusIvEENS9_8equal_toIvEEiEE10hipError_tPvRmT2_T3_T4_T5_mT6_T7_P12ihipStream_tbENKUlT_T0_E_clISt17integral_constantIbLb0EESW_EEDaSR_SS_EUlSR_E_NS1_11comp_targetILNS1_3genE5ELNS1_11target_archE942ELNS1_3gpuE9ELNS1_3repE0EEENS1_30default_config_static_selectorELNS0_4arch9wavefront6targetE0EEEvT1_
    .private_segment_fixed_size: 0
    .sgpr_count:     0
    .sgpr_spill_count: 0
    .symbol:         _ZN7rocprim17ROCPRIM_400000_NS6detail17trampoline_kernelINS0_14default_configENS1_27scan_by_key_config_selectorIiiEEZZNS1_16scan_by_key_implILNS1_25lookback_scan_determinismE0ELb1ES3_N6thrust23THRUST_200600_302600_NS10device_ptrIiEESB_SB_iNS9_4plusIvEENS9_8equal_toIvEEiEE10hipError_tPvRmT2_T3_T4_T5_mT6_T7_P12ihipStream_tbENKUlT_T0_E_clISt17integral_constantIbLb0EESW_EEDaSR_SS_EUlSR_E_NS1_11comp_targetILNS1_3genE5ELNS1_11target_archE942ELNS1_3gpuE9ELNS1_3repE0EEENS1_30default_config_static_selectorELNS0_4arch9wavefront6targetE0EEEvT1_.kd
    .uniform_work_group_size: 1
    .uses_dynamic_stack: false
    .vgpr_count:     0
    .vgpr_spill_count: 0
    .wavefront_size: 32
  - .args:
      - .offset:         0
        .size:           112
        .value_kind:     by_value
    .group_segment_fixed_size: 0
    .kernarg_segment_align: 8
    .kernarg_segment_size: 112
    .language:       OpenCL C
    .language_version:
      - 2
      - 0
    .max_flat_workgroup_size: 256
    .name:           _ZN7rocprim17ROCPRIM_400000_NS6detail17trampoline_kernelINS0_14default_configENS1_27scan_by_key_config_selectorIiiEEZZNS1_16scan_by_key_implILNS1_25lookback_scan_determinismE0ELb1ES3_N6thrust23THRUST_200600_302600_NS10device_ptrIiEESB_SB_iNS9_4plusIvEENS9_8equal_toIvEEiEE10hipError_tPvRmT2_T3_T4_T5_mT6_T7_P12ihipStream_tbENKUlT_T0_E_clISt17integral_constantIbLb0EESW_EEDaSR_SS_EUlSR_E_NS1_11comp_targetILNS1_3genE4ELNS1_11target_archE910ELNS1_3gpuE8ELNS1_3repE0EEENS1_30default_config_static_selectorELNS0_4arch9wavefront6targetE0EEEvT1_
    .private_segment_fixed_size: 0
    .sgpr_count:     0
    .sgpr_spill_count: 0
    .symbol:         _ZN7rocprim17ROCPRIM_400000_NS6detail17trampoline_kernelINS0_14default_configENS1_27scan_by_key_config_selectorIiiEEZZNS1_16scan_by_key_implILNS1_25lookback_scan_determinismE0ELb1ES3_N6thrust23THRUST_200600_302600_NS10device_ptrIiEESB_SB_iNS9_4plusIvEENS9_8equal_toIvEEiEE10hipError_tPvRmT2_T3_T4_T5_mT6_T7_P12ihipStream_tbENKUlT_T0_E_clISt17integral_constantIbLb0EESW_EEDaSR_SS_EUlSR_E_NS1_11comp_targetILNS1_3genE4ELNS1_11target_archE910ELNS1_3gpuE8ELNS1_3repE0EEENS1_30default_config_static_selectorELNS0_4arch9wavefront6targetE0EEEvT1_.kd
    .uniform_work_group_size: 1
    .uses_dynamic_stack: false
    .vgpr_count:     0
    .vgpr_spill_count: 0
    .wavefront_size: 32
  - .args:
      - .offset:         0
        .size:           112
        .value_kind:     by_value
    .group_segment_fixed_size: 0
    .kernarg_segment_align: 8
    .kernarg_segment_size: 112
    .language:       OpenCL C
    .language_version:
      - 2
      - 0
    .max_flat_workgroup_size: 256
    .name:           _ZN7rocprim17ROCPRIM_400000_NS6detail17trampoline_kernelINS0_14default_configENS1_27scan_by_key_config_selectorIiiEEZZNS1_16scan_by_key_implILNS1_25lookback_scan_determinismE0ELb1ES3_N6thrust23THRUST_200600_302600_NS10device_ptrIiEESB_SB_iNS9_4plusIvEENS9_8equal_toIvEEiEE10hipError_tPvRmT2_T3_T4_T5_mT6_T7_P12ihipStream_tbENKUlT_T0_E_clISt17integral_constantIbLb0EESW_EEDaSR_SS_EUlSR_E_NS1_11comp_targetILNS1_3genE3ELNS1_11target_archE908ELNS1_3gpuE7ELNS1_3repE0EEENS1_30default_config_static_selectorELNS0_4arch9wavefront6targetE0EEEvT1_
    .private_segment_fixed_size: 0
    .sgpr_count:     0
    .sgpr_spill_count: 0
    .symbol:         _ZN7rocprim17ROCPRIM_400000_NS6detail17trampoline_kernelINS0_14default_configENS1_27scan_by_key_config_selectorIiiEEZZNS1_16scan_by_key_implILNS1_25lookback_scan_determinismE0ELb1ES3_N6thrust23THRUST_200600_302600_NS10device_ptrIiEESB_SB_iNS9_4plusIvEENS9_8equal_toIvEEiEE10hipError_tPvRmT2_T3_T4_T5_mT6_T7_P12ihipStream_tbENKUlT_T0_E_clISt17integral_constantIbLb0EESW_EEDaSR_SS_EUlSR_E_NS1_11comp_targetILNS1_3genE3ELNS1_11target_archE908ELNS1_3gpuE7ELNS1_3repE0EEENS1_30default_config_static_selectorELNS0_4arch9wavefront6targetE0EEEvT1_.kd
    .uniform_work_group_size: 1
    .uses_dynamic_stack: false
    .vgpr_count:     0
    .vgpr_spill_count: 0
    .wavefront_size: 32
  - .args:
      - .offset:         0
        .size:           112
        .value_kind:     by_value
    .group_segment_fixed_size: 0
    .kernarg_segment_align: 8
    .kernarg_segment_size: 112
    .language:       OpenCL C
    .language_version:
      - 2
      - 0
    .max_flat_workgroup_size: 256
    .name:           _ZN7rocprim17ROCPRIM_400000_NS6detail17trampoline_kernelINS0_14default_configENS1_27scan_by_key_config_selectorIiiEEZZNS1_16scan_by_key_implILNS1_25lookback_scan_determinismE0ELb1ES3_N6thrust23THRUST_200600_302600_NS10device_ptrIiEESB_SB_iNS9_4plusIvEENS9_8equal_toIvEEiEE10hipError_tPvRmT2_T3_T4_T5_mT6_T7_P12ihipStream_tbENKUlT_T0_E_clISt17integral_constantIbLb0EESW_EEDaSR_SS_EUlSR_E_NS1_11comp_targetILNS1_3genE2ELNS1_11target_archE906ELNS1_3gpuE6ELNS1_3repE0EEENS1_30default_config_static_selectorELNS0_4arch9wavefront6targetE0EEEvT1_
    .private_segment_fixed_size: 0
    .sgpr_count:     0
    .sgpr_spill_count: 0
    .symbol:         _ZN7rocprim17ROCPRIM_400000_NS6detail17trampoline_kernelINS0_14default_configENS1_27scan_by_key_config_selectorIiiEEZZNS1_16scan_by_key_implILNS1_25lookback_scan_determinismE0ELb1ES3_N6thrust23THRUST_200600_302600_NS10device_ptrIiEESB_SB_iNS9_4plusIvEENS9_8equal_toIvEEiEE10hipError_tPvRmT2_T3_T4_T5_mT6_T7_P12ihipStream_tbENKUlT_T0_E_clISt17integral_constantIbLb0EESW_EEDaSR_SS_EUlSR_E_NS1_11comp_targetILNS1_3genE2ELNS1_11target_archE906ELNS1_3gpuE6ELNS1_3repE0EEENS1_30default_config_static_selectorELNS0_4arch9wavefront6targetE0EEEvT1_.kd
    .uniform_work_group_size: 1
    .uses_dynamic_stack: false
    .vgpr_count:     0
    .vgpr_spill_count: 0
    .wavefront_size: 32
  - .args:
      - .offset:         0
        .size:           112
        .value_kind:     by_value
    .group_segment_fixed_size: 0
    .kernarg_segment_align: 8
    .kernarg_segment_size: 112
    .language:       OpenCL C
    .language_version:
      - 2
      - 0
    .max_flat_workgroup_size: 256
    .name:           _ZN7rocprim17ROCPRIM_400000_NS6detail17trampoline_kernelINS0_14default_configENS1_27scan_by_key_config_selectorIiiEEZZNS1_16scan_by_key_implILNS1_25lookback_scan_determinismE0ELb1ES3_N6thrust23THRUST_200600_302600_NS10device_ptrIiEESB_SB_iNS9_4plusIvEENS9_8equal_toIvEEiEE10hipError_tPvRmT2_T3_T4_T5_mT6_T7_P12ihipStream_tbENKUlT_T0_E_clISt17integral_constantIbLb0EESW_EEDaSR_SS_EUlSR_E_NS1_11comp_targetILNS1_3genE10ELNS1_11target_archE1200ELNS1_3gpuE4ELNS1_3repE0EEENS1_30default_config_static_selectorELNS0_4arch9wavefront6targetE0EEEvT1_
    .private_segment_fixed_size: 0
    .sgpr_count:     0
    .sgpr_spill_count: 0
    .symbol:         _ZN7rocprim17ROCPRIM_400000_NS6detail17trampoline_kernelINS0_14default_configENS1_27scan_by_key_config_selectorIiiEEZZNS1_16scan_by_key_implILNS1_25lookback_scan_determinismE0ELb1ES3_N6thrust23THRUST_200600_302600_NS10device_ptrIiEESB_SB_iNS9_4plusIvEENS9_8equal_toIvEEiEE10hipError_tPvRmT2_T3_T4_T5_mT6_T7_P12ihipStream_tbENKUlT_T0_E_clISt17integral_constantIbLb0EESW_EEDaSR_SS_EUlSR_E_NS1_11comp_targetILNS1_3genE10ELNS1_11target_archE1200ELNS1_3gpuE4ELNS1_3repE0EEENS1_30default_config_static_selectorELNS0_4arch9wavefront6targetE0EEEvT1_.kd
    .uniform_work_group_size: 1
    .uses_dynamic_stack: false
    .vgpr_count:     0
    .vgpr_spill_count: 0
    .wavefront_size: 32
  - .args:
      - .offset:         0
        .size:           112
        .value_kind:     by_value
    .group_segment_fixed_size: 0
    .kernarg_segment_align: 8
    .kernarg_segment_size: 112
    .language:       OpenCL C
    .language_version:
      - 2
      - 0
    .max_flat_workgroup_size: 256
    .name:           _ZN7rocprim17ROCPRIM_400000_NS6detail17trampoline_kernelINS0_14default_configENS1_27scan_by_key_config_selectorIiiEEZZNS1_16scan_by_key_implILNS1_25lookback_scan_determinismE0ELb1ES3_N6thrust23THRUST_200600_302600_NS10device_ptrIiEESB_SB_iNS9_4plusIvEENS9_8equal_toIvEEiEE10hipError_tPvRmT2_T3_T4_T5_mT6_T7_P12ihipStream_tbENKUlT_T0_E_clISt17integral_constantIbLb0EESW_EEDaSR_SS_EUlSR_E_NS1_11comp_targetILNS1_3genE9ELNS1_11target_archE1100ELNS1_3gpuE3ELNS1_3repE0EEENS1_30default_config_static_selectorELNS0_4arch9wavefront6targetE0EEEvT1_
    .private_segment_fixed_size: 0
    .sgpr_count:     0
    .sgpr_spill_count: 0
    .symbol:         _ZN7rocprim17ROCPRIM_400000_NS6detail17trampoline_kernelINS0_14default_configENS1_27scan_by_key_config_selectorIiiEEZZNS1_16scan_by_key_implILNS1_25lookback_scan_determinismE0ELb1ES3_N6thrust23THRUST_200600_302600_NS10device_ptrIiEESB_SB_iNS9_4plusIvEENS9_8equal_toIvEEiEE10hipError_tPvRmT2_T3_T4_T5_mT6_T7_P12ihipStream_tbENKUlT_T0_E_clISt17integral_constantIbLb0EESW_EEDaSR_SS_EUlSR_E_NS1_11comp_targetILNS1_3genE9ELNS1_11target_archE1100ELNS1_3gpuE3ELNS1_3repE0EEENS1_30default_config_static_selectorELNS0_4arch9wavefront6targetE0EEEvT1_.kd
    .uniform_work_group_size: 1
    .uses_dynamic_stack: false
    .vgpr_count:     0
    .vgpr_spill_count: 0
    .wavefront_size: 32
  - .args:
      - .offset:         0
        .size:           112
        .value_kind:     by_value
    .group_segment_fixed_size: 0
    .kernarg_segment_align: 8
    .kernarg_segment_size: 112
    .language:       OpenCL C
    .language_version:
      - 2
      - 0
    .max_flat_workgroup_size: 256
    .name:           _ZN7rocprim17ROCPRIM_400000_NS6detail17trampoline_kernelINS0_14default_configENS1_27scan_by_key_config_selectorIiiEEZZNS1_16scan_by_key_implILNS1_25lookback_scan_determinismE0ELb1ES3_N6thrust23THRUST_200600_302600_NS10device_ptrIiEESB_SB_iNS9_4plusIvEENS9_8equal_toIvEEiEE10hipError_tPvRmT2_T3_T4_T5_mT6_T7_P12ihipStream_tbENKUlT_T0_E_clISt17integral_constantIbLb0EESW_EEDaSR_SS_EUlSR_E_NS1_11comp_targetILNS1_3genE8ELNS1_11target_archE1030ELNS1_3gpuE2ELNS1_3repE0EEENS1_30default_config_static_selectorELNS0_4arch9wavefront6targetE0EEEvT1_
    .private_segment_fixed_size: 0
    .sgpr_count:     0
    .sgpr_spill_count: 0
    .symbol:         _ZN7rocprim17ROCPRIM_400000_NS6detail17trampoline_kernelINS0_14default_configENS1_27scan_by_key_config_selectorIiiEEZZNS1_16scan_by_key_implILNS1_25lookback_scan_determinismE0ELb1ES3_N6thrust23THRUST_200600_302600_NS10device_ptrIiEESB_SB_iNS9_4plusIvEENS9_8equal_toIvEEiEE10hipError_tPvRmT2_T3_T4_T5_mT6_T7_P12ihipStream_tbENKUlT_T0_E_clISt17integral_constantIbLb0EESW_EEDaSR_SS_EUlSR_E_NS1_11comp_targetILNS1_3genE8ELNS1_11target_archE1030ELNS1_3gpuE2ELNS1_3repE0EEENS1_30default_config_static_selectorELNS0_4arch9wavefront6targetE0EEEvT1_.kd
    .uniform_work_group_size: 1
    .uses_dynamic_stack: false
    .vgpr_count:     0
    .vgpr_spill_count: 0
    .wavefront_size: 32
  - .args:
      - .offset:         0
        .size:           112
        .value_kind:     by_value
    .group_segment_fixed_size: 0
    .kernarg_segment_align: 8
    .kernarg_segment_size: 112
    .language:       OpenCL C
    .language_version:
      - 2
      - 0
    .max_flat_workgroup_size: 256
    .name:           _ZN7rocprim17ROCPRIM_400000_NS6detail17trampoline_kernelINS0_14default_configENS1_27scan_by_key_config_selectorIiiEEZZNS1_16scan_by_key_implILNS1_25lookback_scan_determinismE0ELb1ES3_N6thrust23THRUST_200600_302600_NS10device_ptrIiEESB_SB_iNS9_4plusIvEENS9_8equal_toIvEEiEE10hipError_tPvRmT2_T3_T4_T5_mT6_T7_P12ihipStream_tbENKUlT_T0_E_clISt17integral_constantIbLb1EESW_EEDaSR_SS_EUlSR_E_NS1_11comp_targetILNS1_3genE0ELNS1_11target_archE4294967295ELNS1_3gpuE0ELNS1_3repE0EEENS1_30default_config_static_selectorELNS0_4arch9wavefront6targetE0EEEvT1_
    .private_segment_fixed_size: 0
    .sgpr_count:     0
    .sgpr_spill_count: 0
    .symbol:         _ZN7rocprim17ROCPRIM_400000_NS6detail17trampoline_kernelINS0_14default_configENS1_27scan_by_key_config_selectorIiiEEZZNS1_16scan_by_key_implILNS1_25lookback_scan_determinismE0ELb1ES3_N6thrust23THRUST_200600_302600_NS10device_ptrIiEESB_SB_iNS9_4plusIvEENS9_8equal_toIvEEiEE10hipError_tPvRmT2_T3_T4_T5_mT6_T7_P12ihipStream_tbENKUlT_T0_E_clISt17integral_constantIbLb1EESW_EEDaSR_SS_EUlSR_E_NS1_11comp_targetILNS1_3genE0ELNS1_11target_archE4294967295ELNS1_3gpuE0ELNS1_3repE0EEENS1_30default_config_static_selectorELNS0_4arch9wavefront6targetE0EEEvT1_.kd
    .uniform_work_group_size: 1
    .uses_dynamic_stack: false
    .vgpr_count:     0
    .vgpr_spill_count: 0
    .wavefront_size: 32
  - .args:
      - .offset:         0
        .size:           112
        .value_kind:     by_value
    .group_segment_fixed_size: 0
    .kernarg_segment_align: 8
    .kernarg_segment_size: 112
    .language:       OpenCL C
    .language_version:
      - 2
      - 0
    .max_flat_workgroup_size: 256
    .name:           _ZN7rocprim17ROCPRIM_400000_NS6detail17trampoline_kernelINS0_14default_configENS1_27scan_by_key_config_selectorIiiEEZZNS1_16scan_by_key_implILNS1_25lookback_scan_determinismE0ELb1ES3_N6thrust23THRUST_200600_302600_NS10device_ptrIiEESB_SB_iNS9_4plusIvEENS9_8equal_toIvEEiEE10hipError_tPvRmT2_T3_T4_T5_mT6_T7_P12ihipStream_tbENKUlT_T0_E_clISt17integral_constantIbLb1EESW_EEDaSR_SS_EUlSR_E_NS1_11comp_targetILNS1_3genE10ELNS1_11target_archE1201ELNS1_3gpuE5ELNS1_3repE0EEENS1_30default_config_static_selectorELNS0_4arch9wavefront6targetE0EEEvT1_
    .private_segment_fixed_size: 0
    .sgpr_count:     0
    .sgpr_spill_count: 0
    .symbol:         _ZN7rocprim17ROCPRIM_400000_NS6detail17trampoline_kernelINS0_14default_configENS1_27scan_by_key_config_selectorIiiEEZZNS1_16scan_by_key_implILNS1_25lookback_scan_determinismE0ELb1ES3_N6thrust23THRUST_200600_302600_NS10device_ptrIiEESB_SB_iNS9_4plusIvEENS9_8equal_toIvEEiEE10hipError_tPvRmT2_T3_T4_T5_mT6_T7_P12ihipStream_tbENKUlT_T0_E_clISt17integral_constantIbLb1EESW_EEDaSR_SS_EUlSR_E_NS1_11comp_targetILNS1_3genE10ELNS1_11target_archE1201ELNS1_3gpuE5ELNS1_3repE0EEENS1_30default_config_static_selectorELNS0_4arch9wavefront6targetE0EEEvT1_.kd
    .uniform_work_group_size: 1
    .uses_dynamic_stack: false
    .vgpr_count:     0
    .vgpr_spill_count: 0
    .wavefront_size: 32
  - .args:
      - .offset:         0
        .size:           112
        .value_kind:     by_value
    .group_segment_fixed_size: 0
    .kernarg_segment_align: 8
    .kernarg_segment_size: 112
    .language:       OpenCL C
    .language_version:
      - 2
      - 0
    .max_flat_workgroup_size: 256
    .name:           _ZN7rocprim17ROCPRIM_400000_NS6detail17trampoline_kernelINS0_14default_configENS1_27scan_by_key_config_selectorIiiEEZZNS1_16scan_by_key_implILNS1_25lookback_scan_determinismE0ELb1ES3_N6thrust23THRUST_200600_302600_NS10device_ptrIiEESB_SB_iNS9_4plusIvEENS9_8equal_toIvEEiEE10hipError_tPvRmT2_T3_T4_T5_mT6_T7_P12ihipStream_tbENKUlT_T0_E_clISt17integral_constantIbLb1EESW_EEDaSR_SS_EUlSR_E_NS1_11comp_targetILNS1_3genE5ELNS1_11target_archE942ELNS1_3gpuE9ELNS1_3repE0EEENS1_30default_config_static_selectorELNS0_4arch9wavefront6targetE0EEEvT1_
    .private_segment_fixed_size: 0
    .sgpr_count:     0
    .sgpr_spill_count: 0
    .symbol:         _ZN7rocprim17ROCPRIM_400000_NS6detail17trampoline_kernelINS0_14default_configENS1_27scan_by_key_config_selectorIiiEEZZNS1_16scan_by_key_implILNS1_25lookback_scan_determinismE0ELb1ES3_N6thrust23THRUST_200600_302600_NS10device_ptrIiEESB_SB_iNS9_4plusIvEENS9_8equal_toIvEEiEE10hipError_tPvRmT2_T3_T4_T5_mT6_T7_P12ihipStream_tbENKUlT_T0_E_clISt17integral_constantIbLb1EESW_EEDaSR_SS_EUlSR_E_NS1_11comp_targetILNS1_3genE5ELNS1_11target_archE942ELNS1_3gpuE9ELNS1_3repE0EEENS1_30default_config_static_selectorELNS0_4arch9wavefront6targetE0EEEvT1_.kd
    .uniform_work_group_size: 1
    .uses_dynamic_stack: false
    .vgpr_count:     0
    .vgpr_spill_count: 0
    .wavefront_size: 32
  - .args:
      - .offset:         0
        .size:           112
        .value_kind:     by_value
    .group_segment_fixed_size: 0
    .kernarg_segment_align: 8
    .kernarg_segment_size: 112
    .language:       OpenCL C
    .language_version:
      - 2
      - 0
    .max_flat_workgroup_size: 256
    .name:           _ZN7rocprim17ROCPRIM_400000_NS6detail17trampoline_kernelINS0_14default_configENS1_27scan_by_key_config_selectorIiiEEZZNS1_16scan_by_key_implILNS1_25lookback_scan_determinismE0ELb1ES3_N6thrust23THRUST_200600_302600_NS10device_ptrIiEESB_SB_iNS9_4plusIvEENS9_8equal_toIvEEiEE10hipError_tPvRmT2_T3_T4_T5_mT6_T7_P12ihipStream_tbENKUlT_T0_E_clISt17integral_constantIbLb1EESW_EEDaSR_SS_EUlSR_E_NS1_11comp_targetILNS1_3genE4ELNS1_11target_archE910ELNS1_3gpuE8ELNS1_3repE0EEENS1_30default_config_static_selectorELNS0_4arch9wavefront6targetE0EEEvT1_
    .private_segment_fixed_size: 0
    .sgpr_count:     0
    .sgpr_spill_count: 0
    .symbol:         _ZN7rocprim17ROCPRIM_400000_NS6detail17trampoline_kernelINS0_14default_configENS1_27scan_by_key_config_selectorIiiEEZZNS1_16scan_by_key_implILNS1_25lookback_scan_determinismE0ELb1ES3_N6thrust23THRUST_200600_302600_NS10device_ptrIiEESB_SB_iNS9_4plusIvEENS9_8equal_toIvEEiEE10hipError_tPvRmT2_T3_T4_T5_mT6_T7_P12ihipStream_tbENKUlT_T0_E_clISt17integral_constantIbLb1EESW_EEDaSR_SS_EUlSR_E_NS1_11comp_targetILNS1_3genE4ELNS1_11target_archE910ELNS1_3gpuE8ELNS1_3repE0EEENS1_30default_config_static_selectorELNS0_4arch9wavefront6targetE0EEEvT1_.kd
    .uniform_work_group_size: 1
    .uses_dynamic_stack: false
    .vgpr_count:     0
    .vgpr_spill_count: 0
    .wavefront_size: 32
  - .args:
      - .offset:         0
        .size:           112
        .value_kind:     by_value
    .group_segment_fixed_size: 0
    .kernarg_segment_align: 8
    .kernarg_segment_size: 112
    .language:       OpenCL C
    .language_version:
      - 2
      - 0
    .max_flat_workgroup_size: 256
    .name:           _ZN7rocprim17ROCPRIM_400000_NS6detail17trampoline_kernelINS0_14default_configENS1_27scan_by_key_config_selectorIiiEEZZNS1_16scan_by_key_implILNS1_25lookback_scan_determinismE0ELb1ES3_N6thrust23THRUST_200600_302600_NS10device_ptrIiEESB_SB_iNS9_4plusIvEENS9_8equal_toIvEEiEE10hipError_tPvRmT2_T3_T4_T5_mT6_T7_P12ihipStream_tbENKUlT_T0_E_clISt17integral_constantIbLb1EESW_EEDaSR_SS_EUlSR_E_NS1_11comp_targetILNS1_3genE3ELNS1_11target_archE908ELNS1_3gpuE7ELNS1_3repE0EEENS1_30default_config_static_selectorELNS0_4arch9wavefront6targetE0EEEvT1_
    .private_segment_fixed_size: 0
    .sgpr_count:     0
    .sgpr_spill_count: 0
    .symbol:         _ZN7rocprim17ROCPRIM_400000_NS6detail17trampoline_kernelINS0_14default_configENS1_27scan_by_key_config_selectorIiiEEZZNS1_16scan_by_key_implILNS1_25lookback_scan_determinismE0ELb1ES3_N6thrust23THRUST_200600_302600_NS10device_ptrIiEESB_SB_iNS9_4plusIvEENS9_8equal_toIvEEiEE10hipError_tPvRmT2_T3_T4_T5_mT6_T7_P12ihipStream_tbENKUlT_T0_E_clISt17integral_constantIbLb1EESW_EEDaSR_SS_EUlSR_E_NS1_11comp_targetILNS1_3genE3ELNS1_11target_archE908ELNS1_3gpuE7ELNS1_3repE0EEENS1_30default_config_static_selectorELNS0_4arch9wavefront6targetE0EEEvT1_.kd
    .uniform_work_group_size: 1
    .uses_dynamic_stack: false
    .vgpr_count:     0
    .vgpr_spill_count: 0
    .wavefront_size: 32
  - .args:
      - .offset:         0
        .size:           112
        .value_kind:     by_value
    .group_segment_fixed_size: 0
    .kernarg_segment_align: 8
    .kernarg_segment_size: 112
    .language:       OpenCL C
    .language_version:
      - 2
      - 0
    .max_flat_workgroup_size: 256
    .name:           _ZN7rocprim17ROCPRIM_400000_NS6detail17trampoline_kernelINS0_14default_configENS1_27scan_by_key_config_selectorIiiEEZZNS1_16scan_by_key_implILNS1_25lookback_scan_determinismE0ELb1ES3_N6thrust23THRUST_200600_302600_NS10device_ptrIiEESB_SB_iNS9_4plusIvEENS9_8equal_toIvEEiEE10hipError_tPvRmT2_T3_T4_T5_mT6_T7_P12ihipStream_tbENKUlT_T0_E_clISt17integral_constantIbLb1EESW_EEDaSR_SS_EUlSR_E_NS1_11comp_targetILNS1_3genE2ELNS1_11target_archE906ELNS1_3gpuE6ELNS1_3repE0EEENS1_30default_config_static_selectorELNS0_4arch9wavefront6targetE0EEEvT1_
    .private_segment_fixed_size: 0
    .sgpr_count:     0
    .sgpr_spill_count: 0
    .symbol:         _ZN7rocprim17ROCPRIM_400000_NS6detail17trampoline_kernelINS0_14default_configENS1_27scan_by_key_config_selectorIiiEEZZNS1_16scan_by_key_implILNS1_25lookback_scan_determinismE0ELb1ES3_N6thrust23THRUST_200600_302600_NS10device_ptrIiEESB_SB_iNS9_4plusIvEENS9_8equal_toIvEEiEE10hipError_tPvRmT2_T3_T4_T5_mT6_T7_P12ihipStream_tbENKUlT_T0_E_clISt17integral_constantIbLb1EESW_EEDaSR_SS_EUlSR_E_NS1_11comp_targetILNS1_3genE2ELNS1_11target_archE906ELNS1_3gpuE6ELNS1_3repE0EEENS1_30default_config_static_selectorELNS0_4arch9wavefront6targetE0EEEvT1_.kd
    .uniform_work_group_size: 1
    .uses_dynamic_stack: false
    .vgpr_count:     0
    .vgpr_spill_count: 0
    .wavefront_size: 32
  - .args:
      - .offset:         0
        .size:           112
        .value_kind:     by_value
    .group_segment_fixed_size: 0
    .kernarg_segment_align: 8
    .kernarg_segment_size: 112
    .language:       OpenCL C
    .language_version:
      - 2
      - 0
    .max_flat_workgroup_size: 256
    .name:           _ZN7rocprim17ROCPRIM_400000_NS6detail17trampoline_kernelINS0_14default_configENS1_27scan_by_key_config_selectorIiiEEZZNS1_16scan_by_key_implILNS1_25lookback_scan_determinismE0ELb1ES3_N6thrust23THRUST_200600_302600_NS10device_ptrIiEESB_SB_iNS9_4plusIvEENS9_8equal_toIvEEiEE10hipError_tPvRmT2_T3_T4_T5_mT6_T7_P12ihipStream_tbENKUlT_T0_E_clISt17integral_constantIbLb1EESW_EEDaSR_SS_EUlSR_E_NS1_11comp_targetILNS1_3genE10ELNS1_11target_archE1200ELNS1_3gpuE4ELNS1_3repE0EEENS1_30default_config_static_selectorELNS0_4arch9wavefront6targetE0EEEvT1_
    .private_segment_fixed_size: 0
    .sgpr_count:     0
    .sgpr_spill_count: 0
    .symbol:         _ZN7rocprim17ROCPRIM_400000_NS6detail17trampoline_kernelINS0_14default_configENS1_27scan_by_key_config_selectorIiiEEZZNS1_16scan_by_key_implILNS1_25lookback_scan_determinismE0ELb1ES3_N6thrust23THRUST_200600_302600_NS10device_ptrIiEESB_SB_iNS9_4plusIvEENS9_8equal_toIvEEiEE10hipError_tPvRmT2_T3_T4_T5_mT6_T7_P12ihipStream_tbENKUlT_T0_E_clISt17integral_constantIbLb1EESW_EEDaSR_SS_EUlSR_E_NS1_11comp_targetILNS1_3genE10ELNS1_11target_archE1200ELNS1_3gpuE4ELNS1_3repE0EEENS1_30default_config_static_selectorELNS0_4arch9wavefront6targetE0EEEvT1_.kd
    .uniform_work_group_size: 1
    .uses_dynamic_stack: false
    .vgpr_count:     0
    .vgpr_spill_count: 0
    .wavefront_size: 32
  - .args:
      - .offset:         0
        .size:           112
        .value_kind:     by_value
    .group_segment_fixed_size: 0
    .kernarg_segment_align: 8
    .kernarg_segment_size: 112
    .language:       OpenCL C
    .language_version:
      - 2
      - 0
    .max_flat_workgroup_size: 256
    .name:           _ZN7rocprim17ROCPRIM_400000_NS6detail17trampoline_kernelINS0_14default_configENS1_27scan_by_key_config_selectorIiiEEZZNS1_16scan_by_key_implILNS1_25lookback_scan_determinismE0ELb1ES3_N6thrust23THRUST_200600_302600_NS10device_ptrIiEESB_SB_iNS9_4plusIvEENS9_8equal_toIvEEiEE10hipError_tPvRmT2_T3_T4_T5_mT6_T7_P12ihipStream_tbENKUlT_T0_E_clISt17integral_constantIbLb1EESW_EEDaSR_SS_EUlSR_E_NS1_11comp_targetILNS1_3genE9ELNS1_11target_archE1100ELNS1_3gpuE3ELNS1_3repE0EEENS1_30default_config_static_selectorELNS0_4arch9wavefront6targetE0EEEvT1_
    .private_segment_fixed_size: 0
    .sgpr_count:     0
    .sgpr_spill_count: 0
    .symbol:         _ZN7rocprim17ROCPRIM_400000_NS6detail17trampoline_kernelINS0_14default_configENS1_27scan_by_key_config_selectorIiiEEZZNS1_16scan_by_key_implILNS1_25lookback_scan_determinismE0ELb1ES3_N6thrust23THRUST_200600_302600_NS10device_ptrIiEESB_SB_iNS9_4plusIvEENS9_8equal_toIvEEiEE10hipError_tPvRmT2_T3_T4_T5_mT6_T7_P12ihipStream_tbENKUlT_T0_E_clISt17integral_constantIbLb1EESW_EEDaSR_SS_EUlSR_E_NS1_11comp_targetILNS1_3genE9ELNS1_11target_archE1100ELNS1_3gpuE3ELNS1_3repE0EEENS1_30default_config_static_selectorELNS0_4arch9wavefront6targetE0EEEvT1_.kd
    .uniform_work_group_size: 1
    .uses_dynamic_stack: false
    .vgpr_count:     0
    .vgpr_spill_count: 0
    .wavefront_size: 32
  - .args:
      - .offset:         0
        .size:           112
        .value_kind:     by_value
    .group_segment_fixed_size: 0
    .kernarg_segment_align: 8
    .kernarg_segment_size: 112
    .language:       OpenCL C
    .language_version:
      - 2
      - 0
    .max_flat_workgroup_size: 256
    .name:           _ZN7rocprim17ROCPRIM_400000_NS6detail17trampoline_kernelINS0_14default_configENS1_27scan_by_key_config_selectorIiiEEZZNS1_16scan_by_key_implILNS1_25lookback_scan_determinismE0ELb1ES3_N6thrust23THRUST_200600_302600_NS10device_ptrIiEESB_SB_iNS9_4plusIvEENS9_8equal_toIvEEiEE10hipError_tPvRmT2_T3_T4_T5_mT6_T7_P12ihipStream_tbENKUlT_T0_E_clISt17integral_constantIbLb1EESW_EEDaSR_SS_EUlSR_E_NS1_11comp_targetILNS1_3genE8ELNS1_11target_archE1030ELNS1_3gpuE2ELNS1_3repE0EEENS1_30default_config_static_selectorELNS0_4arch9wavefront6targetE0EEEvT1_
    .private_segment_fixed_size: 0
    .sgpr_count:     0
    .sgpr_spill_count: 0
    .symbol:         _ZN7rocprim17ROCPRIM_400000_NS6detail17trampoline_kernelINS0_14default_configENS1_27scan_by_key_config_selectorIiiEEZZNS1_16scan_by_key_implILNS1_25lookback_scan_determinismE0ELb1ES3_N6thrust23THRUST_200600_302600_NS10device_ptrIiEESB_SB_iNS9_4plusIvEENS9_8equal_toIvEEiEE10hipError_tPvRmT2_T3_T4_T5_mT6_T7_P12ihipStream_tbENKUlT_T0_E_clISt17integral_constantIbLb1EESW_EEDaSR_SS_EUlSR_E_NS1_11comp_targetILNS1_3genE8ELNS1_11target_archE1030ELNS1_3gpuE2ELNS1_3repE0EEENS1_30default_config_static_selectorELNS0_4arch9wavefront6targetE0EEEvT1_.kd
    .uniform_work_group_size: 1
    .uses_dynamic_stack: false
    .vgpr_count:     0
    .vgpr_spill_count: 0
    .wavefront_size: 32
  - .args:
      - .offset:         0
        .size:           112
        .value_kind:     by_value
    .group_segment_fixed_size: 0
    .kernarg_segment_align: 8
    .kernarg_segment_size: 112
    .language:       OpenCL C
    .language_version:
      - 2
      - 0
    .max_flat_workgroup_size: 256
    .name:           _ZN7rocprim17ROCPRIM_400000_NS6detail17trampoline_kernelINS0_14default_configENS1_27scan_by_key_config_selectorIiiEEZZNS1_16scan_by_key_implILNS1_25lookback_scan_determinismE0ELb1ES3_N6thrust23THRUST_200600_302600_NS10device_ptrIiEESB_SB_iNS9_4plusIvEENS9_8equal_toIvEEiEE10hipError_tPvRmT2_T3_T4_T5_mT6_T7_P12ihipStream_tbENKUlT_T0_E_clISt17integral_constantIbLb1EESV_IbLb0EEEEDaSR_SS_EUlSR_E_NS1_11comp_targetILNS1_3genE0ELNS1_11target_archE4294967295ELNS1_3gpuE0ELNS1_3repE0EEENS1_30default_config_static_selectorELNS0_4arch9wavefront6targetE0EEEvT1_
    .private_segment_fixed_size: 0
    .sgpr_count:     0
    .sgpr_spill_count: 0
    .symbol:         _ZN7rocprim17ROCPRIM_400000_NS6detail17trampoline_kernelINS0_14default_configENS1_27scan_by_key_config_selectorIiiEEZZNS1_16scan_by_key_implILNS1_25lookback_scan_determinismE0ELb1ES3_N6thrust23THRUST_200600_302600_NS10device_ptrIiEESB_SB_iNS9_4plusIvEENS9_8equal_toIvEEiEE10hipError_tPvRmT2_T3_T4_T5_mT6_T7_P12ihipStream_tbENKUlT_T0_E_clISt17integral_constantIbLb1EESV_IbLb0EEEEDaSR_SS_EUlSR_E_NS1_11comp_targetILNS1_3genE0ELNS1_11target_archE4294967295ELNS1_3gpuE0ELNS1_3repE0EEENS1_30default_config_static_selectorELNS0_4arch9wavefront6targetE0EEEvT1_.kd
    .uniform_work_group_size: 1
    .uses_dynamic_stack: false
    .vgpr_count:     0
    .vgpr_spill_count: 0
    .wavefront_size: 32
  - .args:
      - .offset:         0
        .size:           112
        .value_kind:     by_value
    .group_segment_fixed_size: 0
    .kernarg_segment_align: 8
    .kernarg_segment_size: 112
    .language:       OpenCL C
    .language_version:
      - 2
      - 0
    .max_flat_workgroup_size: 256
    .name:           _ZN7rocprim17ROCPRIM_400000_NS6detail17trampoline_kernelINS0_14default_configENS1_27scan_by_key_config_selectorIiiEEZZNS1_16scan_by_key_implILNS1_25lookback_scan_determinismE0ELb1ES3_N6thrust23THRUST_200600_302600_NS10device_ptrIiEESB_SB_iNS9_4plusIvEENS9_8equal_toIvEEiEE10hipError_tPvRmT2_T3_T4_T5_mT6_T7_P12ihipStream_tbENKUlT_T0_E_clISt17integral_constantIbLb1EESV_IbLb0EEEEDaSR_SS_EUlSR_E_NS1_11comp_targetILNS1_3genE10ELNS1_11target_archE1201ELNS1_3gpuE5ELNS1_3repE0EEENS1_30default_config_static_selectorELNS0_4arch9wavefront6targetE0EEEvT1_
    .private_segment_fixed_size: 0
    .sgpr_count:     0
    .sgpr_spill_count: 0
    .symbol:         _ZN7rocprim17ROCPRIM_400000_NS6detail17trampoline_kernelINS0_14default_configENS1_27scan_by_key_config_selectorIiiEEZZNS1_16scan_by_key_implILNS1_25lookback_scan_determinismE0ELb1ES3_N6thrust23THRUST_200600_302600_NS10device_ptrIiEESB_SB_iNS9_4plusIvEENS9_8equal_toIvEEiEE10hipError_tPvRmT2_T3_T4_T5_mT6_T7_P12ihipStream_tbENKUlT_T0_E_clISt17integral_constantIbLb1EESV_IbLb0EEEEDaSR_SS_EUlSR_E_NS1_11comp_targetILNS1_3genE10ELNS1_11target_archE1201ELNS1_3gpuE5ELNS1_3repE0EEENS1_30default_config_static_selectorELNS0_4arch9wavefront6targetE0EEEvT1_.kd
    .uniform_work_group_size: 1
    .uses_dynamic_stack: false
    .vgpr_count:     0
    .vgpr_spill_count: 0
    .wavefront_size: 32
  - .args:
      - .offset:         0
        .size:           112
        .value_kind:     by_value
    .group_segment_fixed_size: 0
    .kernarg_segment_align: 8
    .kernarg_segment_size: 112
    .language:       OpenCL C
    .language_version:
      - 2
      - 0
    .max_flat_workgroup_size: 256
    .name:           _ZN7rocprim17ROCPRIM_400000_NS6detail17trampoline_kernelINS0_14default_configENS1_27scan_by_key_config_selectorIiiEEZZNS1_16scan_by_key_implILNS1_25lookback_scan_determinismE0ELb1ES3_N6thrust23THRUST_200600_302600_NS10device_ptrIiEESB_SB_iNS9_4plusIvEENS9_8equal_toIvEEiEE10hipError_tPvRmT2_T3_T4_T5_mT6_T7_P12ihipStream_tbENKUlT_T0_E_clISt17integral_constantIbLb1EESV_IbLb0EEEEDaSR_SS_EUlSR_E_NS1_11comp_targetILNS1_3genE5ELNS1_11target_archE942ELNS1_3gpuE9ELNS1_3repE0EEENS1_30default_config_static_selectorELNS0_4arch9wavefront6targetE0EEEvT1_
    .private_segment_fixed_size: 0
    .sgpr_count:     0
    .sgpr_spill_count: 0
    .symbol:         _ZN7rocprim17ROCPRIM_400000_NS6detail17trampoline_kernelINS0_14default_configENS1_27scan_by_key_config_selectorIiiEEZZNS1_16scan_by_key_implILNS1_25lookback_scan_determinismE0ELb1ES3_N6thrust23THRUST_200600_302600_NS10device_ptrIiEESB_SB_iNS9_4plusIvEENS9_8equal_toIvEEiEE10hipError_tPvRmT2_T3_T4_T5_mT6_T7_P12ihipStream_tbENKUlT_T0_E_clISt17integral_constantIbLb1EESV_IbLb0EEEEDaSR_SS_EUlSR_E_NS1_11comp_targetILNS1_3genE5ELNS1_11target_archE942ELNS1_3gpuE9ELNS1_3repE0EEENS1_30default_config_static_selectorELNS0_4arch9wavefront6targetE0EEEvT1_.kd
    .uniform_work_group_size: 1
    .uses_dynamic_stack: false
    .vgpr_count:     0
    .vgpr_spill_count: 0
    .wavefront_size: 32
  - .args:
      - .offset:         0
        .size:           112
        .value_kind:     by_value
    .group_segment_fixed_size: 0
    .kernarg_segment_align: 8
    .kernarg_segment_size: 112
    .language:       OpenCL C
    .language_version:
      - 2
      - 0
    .max_flat_workgroup_size: 256
    .name:           _ZN7rocprim17ROCPRIM_400000_NS6detail17trampoline_kernelINS0_14default_configENS1_27scan_by_key_config_selectorIiiEEZZNS1_16scan_by_key_implILNS1_25lookback_scan_determinismE0ELb1ES3_N6thrust23THRUST_200600_302600_NS10device_ptrIiEESB_SB_iNS9_4plusIvEENS9_8equal_toIvEEiEE10hipError_tPvRmT2_T3_T4_T5_mT6_T7_P12ihipStream_tbENKUlT_T0_E_clISt17integral_constantIbLb1EESV_IbLb0EEEEDaSR_SS_EUlSR_E_NS1_11comp_targetILNS1_3genE4ELNS1_11target_archE910ELNS1_3gpuE8ELNS1_3repE0EEENS1_30default_config_static_selectorELNS0_4arch9wavefront6targetE0EEEvT1_
    .private_segment_fixed_size: 0
    .sgpr_count:     0
    .sgpr_spill_count: 0
    .symbol:         _ZN7rocprim17ROCPRIM_400000_NS6detail17trampoline_kernelINS0_14default_configENS1_27scan_by_key_config_selectorIiiEEZZNS1_16scan_by_key_implILNS1_25lookback_scan_determinismE0ELb1ES3_N6thrust23THRUST_200600_302600_NS10device_ptrIiEESB_SB_iNS9_4plusIvEENS9_8equal_toIvEEiEE10hipError_tPvRmT2_T3_T4_T5_mT6_T7_P12ihipStream_tbENKUlT_T0_E_clISt17integral_constantIbLb1EESV_IbLb0EEEEDaSR_SS_EUlSR_E_NS1_11comp_targetILNS1_3genE4ELNS1_11target_archE910ELNS1_3gpuE8ELNS1_3repE0EEENS1_30default_config_static_selectorELNS0_4arch9wavefront6targetE0EEEvT1_.kd
    .uniform_work_group_size: 1
    .uses_dynamic_stack: false
    .vgpr_count:     0
    .vgpr_spill_count: 0
    .wavefront_size: 32
  - .args:
      - .offset:         0
        .size:           112
        .value_kind:     by_value
    .group_segment_fixed_size: 0
    .kernarg_segment_align: 8
    .kernarg_segment_size: 112
    .language:       OpenCL C
    .language_version:
      - 2
      - 0
    .max_flat_workgroup_size: 256
    .name:           _ZN7rocprim17ROCPRIM_400000_NS6detail17trampoline_kernelINS0_14default_configENS1_27scan_by_key_config_selectorIiiEEZZNS1_16scan_by_key_implILNS1_25lookback_scan_determinismE0ELb1ES3_N6thrust23THRUST_200600_302600_NS10device_ptrIiEESB_SB_iNS9_4plusIvEENS9_8equal_toIvEEiEE10hipError_tPvRmT2_T3_T4_T5_mT6_T7_P12ihipStream_tbENKUlT_T0_E_clISt17integral_constantIbLb1EESV_IbLb0EEEEDaSR_SS_EUlSR_E_NS1_11comp_targetILNS1_3genE3ELNS1_11target_archE908ELNS1_3gpuE7ELNS1_3repE0EEENS1_30default_config_static_selectorELNS0_4arch9wavefront6targetE0EEEvT1_
    .private_segment_fixed_size: 0
    .sgpr_count:     0
    .sgpr_spill_count: 0
    .symbol:         _ZN7rocprim17ROCPRIM_400000_NS6detail17trampoline_kernelINS0_14default_configENS1_27scan_by_key_config_selectorIiiEEZZNS1_16scan_by_key_implILNS1_25lookback_scan_determinismE0ELb1ES3_N6thrust23THRUST_200600_302600_NS10device_ptrIiEESB_SB_iNS9_4plusIvEENS9_8equal_toIvEEiEE10hipError_tPvRmT2_T3_T4_T5_mT6_T7_P12ihipStream_tbENKUlT_T0_E_clISt17integral_constantIbLb1EESV_IbLb0EEEEDaSR_SS_EUlSR_E_NS1_11comp_targetILNS1_3genE3ELNS1_11target_archE908ELNS1_3gpuE7ELNS1_3repE0EEENS1_30default_config_static_selectorELNS0_4arch9wavefront6targetE0EEEvT1_.kd
    .uniform_work_group_size: 1
    .uses_dynamic_stack: false
    .vgpr_count:     0
    .vgpr_spill_count: 0
    .wavefront_size: 32
  - .args:
      - .offset:         0
        .size:           112
        .value_kind:     by_value
    .group_segment_fixed_size: 0
    .kernarg_segment_align: 8
    .kernarg_segment_size: 112
    .language:       OpenCL C
    .language_version:
      - 2
      - 0
    .max_flat_workgroup_size: 256
    .name:           _ZN7rocprim17ROCPRIM_400000_NS6detail17trampoline_kernelINS0_14default_configENS1_27scan_by_key_config_selectorIiiEEZZNS1_16scan_by_key_implILNS1_25lookback_scan_determinismE0ELb1ES3_N6thrust23THRUST_200600_302600_NS10device_ptrIiEESB_SB_iNS9_4plusIvEENS9_8equal_toIvEEiEE10hipError_tPvRmT2_T3_T4_T5_mT6_T7_P12ihipStream_tbENKUlT_T0_E_clISt17integral_constantIbLb1EESV_IbLb0EEEEDaSR_SS_EUlSR_E_NS1_11comp_targetILNS1_3genE2ELNS1_11target_archE906ELNS1_3gpuE6ELNS1_3repE0EEENS1_30default_config_static_selectorELNS0_4arch9wavefront6targetE0EEEvT1_
    .private_segment_fixed_size: 0
    .sgpr_count:     0
    .sgpr_spill_count: 0
    .symbol:         _ZN7rocprim17ROCPRIM_400000_NS6detail17trampoline_kernelINS0_14default_configENS1_27scan_by_key_config_selectorIiiEEZZNS1_16scan_by_key_implILNS1_25lookback_scan_determinismE0ELb1ES3_N6thrust23THRUST_200600_302600_NS10device_ptrIiEESB_SB_iNS9_4plusIvEENS9_8equal_toIvEEiEE10hipError_tPvRmT2_T3_T4_T5_mT6_T7_P12ihipStream_tbENKUlT_T0_E_clISt17integral_constantIbLb1EESV_IbLb0EEEEDaSR_SS_EUlSR_E_NS1_11comp_targetILNS1_3genE2ELNS1_11target_archE906ELNS1_3gpuE6ELNS1_3repE0EEENS1_30default_config_static_selectorELNS0_4arch9wavefront6targetE0EEEvT1_.kd
    .uniform_work_group_size: 1
    .uses_dynamic_stack: false
    .vgpr_count:     0
    .vgpr_spill_count: 0
    .wavefront_size: 32
  - .args:
      - .offset:         0
        .size:           112
        .value_kind:     by_value
    .group_segment_fixed_size: 0
    .kernarg_segment_align: 8
    .kernarg_segment_size: 112
    .language:       OpenCL C
    .language_version:
      - 2
      - 0
    .max_flat_workgroup_size: 256
    .name:           _ZN7rocprim17ROCPRIM_400000_NS6detail17trampoline_kernelINS0_14default_configENS1_27scan_by_key_config_selectorIiiEEZZNS1_16scan_by_key_implILNS1_25lookback_scan_determinismE0ELb1ES3_N6thrust23THRUST_200600_302600_NS10device_ptrIiEESB_SB_iNS9_4plusIvEENS9_8equal_toIvEEiEE10hipError_tPvRmT2_T3_T4_T5_mT6_T7_P12ihipStream_tbENKUlT_T0_E_clISt17integral_constantIbLb1EESV_IbLb0EEEEDaSR_SS_EUlSR_E_NS1_11comp_targetILNS1_3genE10ELNS1_11target_archE1200ELNS1_3gpuE4ELNS1_3repE0EEENS1_30default_config_static_selectorELNS0_4arch9wavefront6targetE0EEEvT1_
    .private_segment_fixed_size: 0
    .sgpr_count:     0
    .sgpr_spill_count: 0
    .symbol:         _ZN7rocprim17ROCPRIM_400000_NS6detail17trampoline_kernelINS0_14default_configENS1_27scan_by_key_config_selectorIiiEEZZNS1_16scan_by_key_implILNS1_25lookback_scan_determinismE0ELb1ES3_N6thrust23THRUST_200600_302600_NS10device_ptrIiEESB_SB_iNS9_4plusIvEENS9_8equal_toIvEEiEE10hipError_tPvRmT2_T3_T4_T5_mT6_T7_P12ihipStream_tbENKUlT_T0_E_clISt17integral_constantIbLb1EESV_IbLb0EEEEDaSR_SS_EUlSR_E_NS1_11comp_targetILNS1_3genE10ELNS1_11target_archE1200ELNS1_3gpuE4ELNS1_3repE0EEENS1_30default_config_static_selectorELNS0_4arch9wavefront6targetE0EEEvT1_.kd
    .uniform_work_group_size: 1
    .uses_dynamic_stack: false
    .vgpr_count:     0
    .vgpr_spill_count: 0
    .wavefront_size: 32
  - .args:
      - .offset:         0
        .size:           112
        .value_kind:     by_value
    .group_segment_fixed_size: 0
    .kernarg_segment_align: 8
    .kernarg_segment_size: 112
    .language:       OpenCL C
    .language_version:
      - 2
      - 0
    .max_flat_workgroup_size: 256
    .name:           _ZN7rocprim17ROCPRIM_400000_NS6detail17trampoline_kernelINS0_14default_configENS1_27scan_by_key_config_selectorIiiEEZZNS1_16scan_by_key_implILNS1_25lookback_scan_determinismE0ELb1ES3_N6thrust23THRUST_200600_302600_NS10device_ptrIiEESB_SB_iNS9_4plusIvEENS9_8equal_toIvEEiEE10hipError_tPvRmT2_T3_T4_T5_mT6_T7_P12ihipStream_tbENKUlT_T0_E_clISt17integral_constantIbLb1EESV_IbLb0EEEEDaSR_SS_EUlSR_E_NS1_11comp_targetILNS1_3genE9ELNS1_11target_archE1100ELNS1_3gpuE3ELNS1_3repE0EEENS1_30default_config_static_selectorELNS0_4arch9wavefront6targetE0EEEvT1_
    .private_segment_fixed_size: 0
    .sgpr_count:     0
    .sgpr_spill_count: 0
    .symbol:         _ZN7rocprim17ROCPRIM_400000_NS6detail17trampoline_kernelINS0_14default_configENS1_27scan_by_key_config_selectorIiiEEZZNS1_16scan_by_key_implILNS1_25lookback_scan_determinismE0ELb1ES3_N6thrust23THRUST_200600_302600_NS10device_ptrIiEESB_SB_iNS9_4plusIvEENS9_8equal_toIvEEiEE10hipError_tPvRmT2_T3_T4_T5_mT6_T7_P12ihipStream_tbENKUlT_T0_E_clISt17integral_constantIbLb1EESV_IbLb0EEEEDaSR_SS_EUlSR_E_NS1_11comp_targetILNS1_3genE9ELNS1_11target_archE1100ELNS1_3gpuE3ELNS1_3repE0EEENS1_30default_config_static_selectorELNS0_4arch9wavefront6targetE0EEEvT1_.kd
    .uniform_work_group_size: 1
    .uses_dynamic_stack: false
    .vgpr_count:     0
    .vgpr_spill_count: 0
    .wavefront_size: 32
  - .args:
      - .offset:         0
        .size:           112
        .value_kind:     by_value
    .group_segment_fixed_size: 0
    .kernarg_segment_align: 8
    .kernarg_segment_size: 112
    .language:       OpenCL C
    .language_version:
      - 2
      - 0
    .max_flat_workgroup_size: 256
    .name:           _ZN7rocprim17ROCPRIM_400000_NS6detail17trampoline_kernelINS0_14default_configENS1_27scan_by_key_config_selectorIiiEEZZNS1_16scan_by_key_implILNS1_25lookback_scan_determinismE0ELb1ES3_N6thrust23THRUST_200600_302600_NS10device_ptrIiEESB_SB_iNS9_4plusIvEENS9_8equal_toIvEEiEE10hipError_tPvRmT2_T3_T4_T5_mT6_T7_P12ihipStream_tbENKUlT_T0_E_clISt17integral_constantIbLb1EESV_IbLb0EEEEDaSR_SS_EUlSR_E_NS1_11comp_targetILNS1_3genE8ELNS1_11target_archE1030ELNS1_3gpuE2ELNS1_3repE0EEENS1_30default_config_static_selectorELNS0_4arch9wavefront6targetE0EEEvT1_
    .private_segment_fixed_size: 0
    .sgpr_count:     0
    .sgpr_spill_count: 0
    .symbol:         _ZN7rocprim17ROCPRIM_400000_NS6detail17trampoline_kernelINS0_14default_configENS1_27scan_by_key_config_selectorIiiEEZZNS1_16scan_by_key_implILNS1_25lookback_scan_determinismE0ELb1ES3_N6thrust23THRUST_200600_302600_NS10device_ptrIiEESB_SB_iNS9_4plusIvEENS9_8equal_toIvEEiEE10hipError_tPvRmT2_T3_T4_T5_mT6_T7_P12ihipStream_tbENKUlT_T0_E_clISt17integral_constantIbLb1EESV_IbLb0EEEEDaSR_SS_EUlSR_E_NS1_11comp_targetILNS1_3genE8ELNS1_11target_archE1030ELNS1_3gpuE2ELNS1_3repE0EEENS1_30default_config_static_selectorELNS0_4arch9wavefront6targetE0EEEvT1_.kd
    .uniform_work_group_size: 1
    .uses_dynamic_stack: false
    .vgpr_count:     0
    .vgpr_spill_count: 0
    .wavefront_size: 32
  - .args:
      - .offset:         0
        .size:           112
        .value_kind:     by_value
    .group_segment_fixed_size: 14336
    .kernarg_segment_align: 8
    .kernarg_segment_size: 112
    .language:       OpenCL C
    .language_version:
      - 2
      - 0
    .max_flat_workgroup_size: 256
    .name:           _ZN7rocprim17ROCPRIM_400000_NS6detail17trampoline_kernelINS0_14default_configENS1_27scan_by_key_config_selectorIiiEEZZNS1_16scan_by_key_implILNS1_25lookback_scan_determinismE0ELb1ES3_N6thrust23THRUST_200600_302600_NS10device_ptrIiEESB_SB_iNS9_4plusIvEENS9_8equal_toIvEEiEE10hipError_tPvRmT2_T3_T4_T5_mT6_T7_P12ihipStream_tbENKUlT_T0_E_clISt17integral_constantIbLb0EESV_IbLb1EEEEDaSR_SS_EUlSR_E_NS1_11comp_targetILNS1_3genE0ELNS1_11target_archE4294967295ELNS1_3gpuE0ELNS1_3repE0EEENS1_30default_config_static_selectorELNS0_4arch9wavefront6targetE0EEEvT1_
    .private_segment_fixed_size: 0
    .sgpr_count:     41
    .sgpr_spill_count: 0
    .symbol:         _ZN7rocprim17ROCPRIM_400000_NS6detail17trampoline_kernelINS0_14default_configENS1_27scan_by_key_config_selectorIiiEEZZNS1_16scan_by_key_implILNS1_25lookback_scan_determinismE0ELb1ES3_N6thrust23THRUST_200600_302600_NS10device_ptrIiEESB_SB_iNS9_4plusIvEENS9_8equal_toIvEEiEE10hipError_tPvRmT2_T3_T4_T5_mT6_T7_P12ihipStream_tbENKUlT_T0_E_clISt17integral_constantIbLb0EESV_IbLb1EEEEDaSR_SS_EUlSR_E_NS1_11comp_targetILNS1_3genE0ELNS1_11target_archE4294967295ELNS1_3gpuE0ELNS1_3repE0EEENS1_30default_config_static_selectorELNS0_4arch9wavefront6targetE0EEEvT1_.kd
    .uniform_work_group_size: 1
    .uses_dynamic_stack: false
    .vgpr_count:     62
    .vgpr_spill_count: 0
    .wavefront_size: 32
  - .args:
      - .offset:         0
        .size:           112
        .value_kind:     by_value
    .group_segment_fixed_size: 0
    .kernarg_segment_align: 8
    .kernarg_segment_size: 112
    .language:       OpenCL C
    .language_version:
      - 2
      - 0
    .max_flat_workgroup_size: 256
    .name:           _ZN7rocprim17ROCPRIM_400000_NS6detail17trampoline_kernelINS0_14default_configENS1_27scan_by_key_config_selectorIiiEEZZNS1_16scan_by_key_implILNS1_25lookback_scan_determinismE0ELb1ES3_N6thrust23THRUST_200600_302600_NS10device_ptrIiEESB_SB_iNS9_4plusIvEENS9_8equal_toIvEEiEE10hipError_tPvRmT2_T3_T4_T5_mT6_T7_P12ihipStream_tbENKUlT_T0_E_clISt17integral_constantIbLb0EESV_IbLb1EEEEDaSR_SS_EUlSR_E_NS1_11comp_targetILNS1_3genE10ELNS1_11target_archE1201ELNS1_3gpuE5ELNS1_3repE0EEENS1_30default_config_static_selectorELNS0_4arch9wavefront6targetE0EEEvT1_
    .private_segment_fixed_size: 0
    .sgpr_count:     0
    .sgpr_spill_count: 0
    .symbol:         _ZN7rocprim17ROCPRIM_400000_NS6detail17trampoline_kernelINS0_14default_configENS1_27scan_by_key_config_selectorIiiEEZZNS1_16scan_by_key_implILNS1_25lookback_scan_determinismE0ELb1ES3_N6thrust23THRUST_200600_302600_NS10device_ptrIiEESB_SB_iNS9_4plusIvEENS9_8equal_toIvEEiEE10hipError_tPvRmT2_T3_T4_T5_mT6_T7_P12ihipStream_tbENKUlT_T0_E_clISt17integral_constantIbLb0EESV_IbLb1EEEEDaSR_SS_EUlSR_E_NS1_11comp_targetILNS1_3genE10ELNS1_11target_archE1201ELNS1_3gpuE5ELNS1_3repE0EEENS1_30default_config_static_selectorELNS0_4arch9wavefront6targetE0EEEvT1_.kd
    .uniform_work_group_size: 1
    .uses_dynamic_stack: false
    .vgpr_count:     0
    .vgpr_spill_count: 0
    .wavefront_size: 32
  - .args:
      - .offset:         0
        .size:           112
        .value_kind:     by_value
    .group_segment_fixed_size: 0
    .kernarg_segment_align: 8
    .kernarg_segment_size: 112
    .language:       OpenCL C
    .language_version:
      - 2
      - 0
    .max_flat_workgroup_size: 256
    .name:           _ZN7rocprim17ROCPRIM_400000_NS6detail17trampoline_kernelINS0_14default_configENS1_27scan_by_key_config_selectorIiiEEZZNS1_16scan_by_key_implILNS1_25lookback_scan_determinismE0ELb1ES3_N6thrust23THRUST_200600_302600_NS10device_ptrIiEESB_SB_iNS9_4plusIvEENS9_8equal_toIvEEiEE10hipError_tPvRmT2_T3_T4_T5_mT6_T7_P12ihipStream_tbENKUlT_T0_E_clISt17integral_constantIbLb0EESV_IbLb1EEEEDaSR_SS_EUlSR_E_NS1_11comp_targetILNS1_3genE5ELNS1_11target_archE942ELNS1_3gpuE9ELNS1_3repE0EEENS1_30default_config_static_selectorELNS0_4arch9wavefront6targetE0EEEvT1_
    .private_segment_fixed_size: 0
    .sgpr_count:     0
    .sgpr_spill_count: 0
    .symbol:         _ZN7rocprim17ROCPRIM_400000_NS6detail17trampoline_kernelINS0_14default_configENS1_27scan_by_key_config_selectorIiiEEZZNS1_16scan_by_key_implILNS1_25lookback_scan_determinismE0ELb1ES3_N6thrust23THRUST_200600_302600_NS10device_ptrIiEESB_SB_iNS9_4plusIvEENS9_8equal_toIvEEiEE10hipError_tPvRmT2_T3_T4_T5_mT6_T7_P12ihipStream_tbENKUlT_T0_E_clISt17integral_constantIbLb0EESV_IbLb1EEEEDaSR_SS_EUlSR_E_NS1_11comp_targetILNS1_3genE5ELNS1_11target_archE942ELNS1_3gpuE9ELNS1_3repE0EEENS1_30default_config_static_selectorELNS0_4arch9wavefront6targetE0EEEvT1_.kd
    .uniform_work_group_size: 1
    .uses_dynamic_stack: false
    .vgpr_count:     0
    .vgpr_spill_count: 0
    .wavefront_size: 32
  - .args:
      - .offset:         0
        .size:           112
        .value_kind:     by_value
    .group_segment_fixed_size: 0
    .kernarg_segment_align: 8
    .kernarg_segment_size: 112
    .language:       OpenCL C
    .language_version:
      - 2
      - 0
    .max_flat_workgroup_size: 256
    .name:           _ZN7rocprim17ROCPRIM_400000_NS6detail17trampoline_kernelINS0_14default_configENS1_27scan_by_key_config_selectorIiiEEZZNS1_16scan_by_key_implILNS1_25lookback_scan_determinismE0ELb1ES3_N6thrust23THRUST_200600_302600_NS10device_ptrIiEESB_SB_iNS9_4plusIvEENS9_8equal_toIvEEiEE10hipError_tPvRmT2_T3_T4_T5_mT6_T7_P12ihipStream_tbENKUlT_T0_E_clISt17integral_constantIbLb0EESV_IbLb1EEEEDaSR_SS_EUlSR_E_NS1_11comp_targetILNS1_3genE4ELNS1_11target_archE910ELNS1_3gpuE8ELNS1_3repE0EEENS1_30default_config_static_selectorELNS0_4arch9wavefront6targetE0EEEvT1_
    .private_segment_fixed_size: 0
    .sgpr_count:     0
    .sgpr_spill_count: 0
    .symbol:         _ZN7rocprim17ROCPRIM_400000_NS6detail17trampoline_kernelINS0_14default_configENS1_27scan_by_key_config_selectorIiiEEZZNS1_16scan_by_key_implILNS1_25lookback_scan_determinismE0ELb1ES3_N6thrust23THRUST_200600_302600_NS10device_ptrIiEESB_SB_iNS9_4plusIvEENS9_8equal_toIvEEiEE10hipError_tPvRmT2_T3_T4_T5_mT6_T7_P12ihipStream_tbENKUlT_T0_E_clISt17integral_constantIbLb0EESV_IbLb1EEEEDaSR_SS_EUlSR_E_NS1_11comp_targetILNS1_3genE4ELNS1_11target_archE910ELNS1_3gpuE8ELNS1_3repE0EEENS1_30default_config_static_selectorELNS0_4arch9wavefront6targetE0EEEvT1_.kd
    .uniform_work_group_size: 1
    .uses_dynamic_stack: false
    .vgpr_count:     0
    .vgpr_spill_count: 0
    .wavefront_size: 32
  - .args:
      - .offset:         0
        .size:           112
        .value_kind:     by_value
    .group_segment_fixed_size: 0
    .kernarg_segment_align: 8
    .kernarg_segment_size: 112
    .language:       OpenCL C
    .language_version:
      - 2
      - 0
    .max_flat_workgroup_size: 256
    .name:           _ZN7rocprim17ROCPRIM_400000_NS6detail17trampoline_kernelINS0_14default_configENS1_27scan_by_key_config_selectorIiiEEZZNS1_16scan_by_key_implILNS1_25lookback_scan_determinismE0ELb1ES3_N6thrust23THRUST_200600_302600_NS10device_ptrIiEESB_SB_iNS9_4plusIvEENS9_8equal_toIvEEiEE10hipError_tPvRmT2_T3_T4_T5_mT6_T7_P12ihipStream_tbENKUlT_T0_E_clISt17integral_constantIbLb0EESV_IbLb1EEEEDaSR_SS_EUlSR_E_NS1_11comp_targetILNS1_3genE3ELNS1_11target_archE908ELNS1_3gpuE7ELNS1_3repE0EEENS1_30default_config_static_selectorELNS0_4arch9wavefront6targetE0EEEvT1_
    .private_segment_fixed_size: 0
    .sgpr_count:     0
    .sgpr_spill_count: 0
    .symbol:         _ZN7rocprim17ROCPRIM_400000_NS6detail17trampoline_kernelINS0_14default_configENS1_27scan_by_key_config_selectorIiiEEZZNS1_16scan_by_key_implILNS1_25lookback_scan_determinismE0ELb1ES3_N6thrust23THRUST_200600_302600_NS10device_ptrIiEESB_SB_iNS9_4plusIvEENS9_8equal_toIvEEiEE10hipError_tPvRmT2_T3_T4_T5_mT6_T7_P12ihipStream_tbENKUlT_T0_E_clISt17integral_constantIbLb0EESV_IbLb1EEEEDaSR_SS_EUlSR_E_NS1_11comp_targetILNS1_3genE3ELNS1_11target_archE908ELNS1_3gpuE7ELNS1_3repE0EEENS1_30default_config_static_selectorELNS0_4arch9wavefront6targetE0EEEvT1_.kd
    .uniform_work_group_size: 1
    .uses_dynamic_stack: false
    .vgpr_count:     0
    .vgpr_spill_count: 0
    .wavefront_size: 32
  - .args:
      - .offset:         0
        .size:           112
        .value_kind:     by_value
    .group_segment_fixed_size: 0
    .kernarg_segment_align: 8
    .kernarg_segment_size: 112
    .language:       OpenCL C
    .language_version:
      - 2
      - 0
    .max_flat_workgroup_size: 256
    .name:           _ZN7rocprim17ROCPRIM_400000_NS6detail17trampoline_kernelINS0_14default_configENS1_27scan_by_key_config_selectorIiiEEZZNS1_16scan_by_key_implILNS1_25lookback_scan_determinismE0ELb1ES3_N6thrust23THRUST_200600_302600_NS10device_ptrIiEESB_SB_iNS9_4plusIvEENS9_8equal_toIvEEiEE10hipError_tPvRmT2_T3_T4_T5_mT6_T7_P12ihipStream_tbENKUlT_T0_E_clISt17integral_constantIbLb0EESV_IbLb1EEEEDaSR_SS_EUlSR_E_NS1_11comp_targetILNS1_3genE2ELNS1_11target_archE906ELNS1_3gpuE6ELNS1_3repE0EEENS1_30default_config_static_selectorELNS0_4arch9wavefront6targetE0EEEvT1_
    .private_segment_fixed_size: 0
    .sgpr_count:     0
    .sgpr_spill_count: 0
    .symbol:         _ZN7rocprim17ROCPRIM_400000_NS6detail17trampoline_kernelINS0_14default_configENS1_27scan_by_key_config_selectorIiiEEZZNS1_16scan_by_key_implILNS1_25lookback_scan_determinismE0ELb1ES3_N6thrust23THRUST_200600_302600_NS10device_ptrIiEESB_SB_iNS9_4plusIvEENS9_8equal_toIvEEiEE10hipError_tPvRmT2_T3_T4_T5_mT6_T7_P12ihipStream_tbENKUlT_T0_E_clISt17integral_constantIbLb0EESV_IbLb1EEEEDaSR_SS_EUlSR_E_NS1_11comp_targetILNS1_3genE2ELNS1_11target_archE906ELNS1_3gpuE6ELNS1_3repE0EEENS1_30default_config_static_selectorELNS0_4arch9wavefront6targetE0EEEvT1_.kd
    .uniform_work_group_size: 1
    .uses_dynamic_stack: false
    .vgpr_count:     0
    .vgpr_spill_count: 0
    .wavefront_size: 32
  - .args:
      - .offset:         0
        .size:           112
        .value_kind:     by_value
    .group_segment_fixed_size: 0
    .kernarg_segment_align: 8
    .kernarg_segment_size: 112
    .language:       OpenCL C
    .language_version:
      - 2
      - 0
    .max_flat_workgroup_size: 256
    .name:           _ZN7rocprim17ROCPRIM_400000_NS6detail17trampoline_kernelINS0_14default_configENS1_27scan_by_key_config_selectorIiiEEZZNS1_16scan_by_key_implILNS1_25lookback_scan_determinismE0ELb1ES3_N6thrust23THRUST_200600_302600_NS10device_ptrIiEESB_SB_iNS9_4plusIvEENS9_8equal_toIvEEiEE10hipError_tPvRmT2_T3_T4_T5_mT6_T7_P12ihipStream_tbENKUlT_T0_E_clISt17integral_constantIbLb0EESV_IbLb1EEEEDaSR_SS_EUlSR_E_NS1_11comp_targetILNS1_3genE10ELNS1_11target_archE1200ELNS1_3gpuE4ELNS1_3repE0EEENS1_30default_config_static_selectorELNS0_4arch9wavefront6targetE0EEEvT1_
    .private_segment_fixed_size: 0
    .sgpr_count:     0
    .sgpr_spill_count: 0
    .symbol:         _ZN7rocprim17ROCPRIM_400000_NS6detail17trampoline_kernelINS0_14default_configENS1_27scan_by_key_config_selectorIiiEEZZNS1_16scan_by_key_implILNS1_25lookback_scan_determinismE0ELb1ES3_N6thrust23THRUST_200600_302600_NS10device_ptrIiEESB_SB_iNS9_4plusIvEENS9_8equal_toIvEEiEE10hipError_tPvRmT2_T3_T4_T5_mT6_T7_P12ihipStream_tbENKUlT_T0_E_clISt17integral_constantIbLb0EESV_IbLb1EEEEDaSR_SS_EUlSR_E_NS1_11comp_targetILNS1_3genE10ELNS1_11target_archE1200ELNS1_3gpuE4ELNS1_3repE0EEENS1_30default_config_static_selectorELNS0_4arch9wavefront6targetE0EEEvT1_.kd
    .uniform_work_group_size: 1
    .uses_dynamic_stack: false
    .vgpr_count:     0
    .vgpr_spill_count: 0
    .wavefront_size: 32
  - .args:
      - .offset:         0
        .size:           112
        .value_kind:     by_value
    .group_segment_fixed_size: 0
    .kernarg_segment_align: 8
    .kernarg_segment_size: 112
    .language:       OpenCL C
    .language_version:
      - 2
      - 0
    .max_flat_workgroup_size: 256
    .name:           _ZN7rocprim17ROCPRIM_400000_NS6detail17trampoline_kernelINS0_14default_configENS1_27scan_by_key_config_selectorIiiEEZZNS1_16scan_by_key_implILNS1_25lookback_scan_determinismE0ELb1ES3_N6thrust23THRUST_200600_302600_NS10device_ptrIiEESB_SB_iNS9_4plusIvEENS9_8equal_toIvEEiEE10hipError_tPvRmT2_T3_T4_T5_mT6_T7_P12ihipStream_tbENKUlT_T0_E_clISt17integral_constantIbLb0EESV_IbLb1EEEEDaSR_SS_EUlSR_E_NS1_11comp_targetILNS1_3genE9ELNS1_11target_archE1100ELNS1_3gpuE3ELNS1_3repE0EEENS1_30default_config_static_selectorELNS0_4arch9wavefront6targetE0EEEvT1_
    .private_segment_fixed_size: 0
    .sgpr_count:     0
    .sgpr_spill_count: 0
    .symbol:         _ZN7rocprim17ROCPRIM_400000_NS6detail17trampoline_kernelINS0_14default_configENS1_27scan_by_key_config_selectorIiiEEZZNS1_16scan_by_key_implILNS1_25lookback_scan_determinismE0ELb1ES3_N6thrust23THRUST_200600_302600_NS10device_ptrIiEESB_SB_iNS9_4plusIvEENS9_8equal_toIvEEiEE10hipError_tPvRmT2_T3_T4_T5_mT6_T7_P12ihipStream_tbENKUlT_T0_E_clISt17integral_constantIbLb0EESV_IbLb1EEEEDaSR_SS_EUlSR_E_NS1_11comp_targetILNS1_3genE9ELNS1_11target_archE1100ELNS1_3gpuE3ELNS1_3repE0EEENS1_30default_config_static_selectorELNS0_4arch9wavefront6targetE0EEEvT1_.kd
    .uniform_work_group_size: 1
    .uses_dynamic_stack: false
    .vgpr_count:     0
    .vgpr_spill_count: 0
    .wavefront_size: 32
  - .args:
      - .offset:         0
        .size:           112
        .value_kind:     by_value
    .group_segment_fixed_size: 0
    .kernarg_segment_align: 8
    .kernarg_segment_size: 112
    .language:       OpenCL C
    .language_version:
      - 2
      - 0
    .max_flat_workgroup_size: 256
    .name:           _ZN7rocprim17ROCPRIM_400000_NS6detail17trampoline_kernelINS0_14default_configENS1_27scan_by_key_config_selectorIiiEEZZNS1_16scan_by_key_implILNS1_25lookback_scan_determinismE0ELb1ES3_N6thrust23THRUST_200600_302600_NS10device_ptrIiEESB_SB_iNS9_4plusIvEENS9_8equal_toIvEEiEE10hipError_tPvRmT2_T3_T4_T5_mT6_T7_P12ihipStream_tbENKUlT_T0_E_clISt17integral_constantIbLb0EESV_IbLb1EEEEDaSR_SS_EUlSR_E_NS1_11comp_targetILNS1_3genE8ELNS1_11target_archE1030ELNS1_3gpuE2ELNS1_3repE0EEENS1_30default_config_static_selectorELNS0_4arch9wavefront6targetE0EEEvT1_
    .private_segment_fixed_size: 0
    .sgpr_count:     0
    .sgpr_spill_count: 0
    .symbol:         _ZN7rocprim17ROCPRIM_400000_NS6detail17trampoline_kernelINS0_14default_configENS1_27scan_by_key_config_selectorIiiEEZZNS1_16scan_by_key_implILNS1_25lookback_scan_determinismE0ELb1ES3_N6thrust23THRUST_200600_302600_NS10device_ptrIiEESB_SB_iNS9_4plusIvEENS9_8equal_toIvEEiEE10hipError_tPvRmT2_T3_T4_T5_mT6_T7_P12ihipStream_tbENKUlT_T0_E_clISt17integral_constantIbLb0EESV_IbLb1EEEEDaSR_SS_EUlSR_E_NS1_11comp_targetILNS1_3genE8ELNS1_11target_archE1030ELNS1_3gpuE2ELNS1_3repE0EEENS1_30default_config_static_selectorELNS0_4arch9wavefront6targetE0EEEvT1_.kd
    .uniform_work_group_size: 1
    .uses_dynamic_stack: false
    .vgpr_count:     0
    .vgpr_spill_count: 0
    .wavefront_size: 32
amdhsa.target:   amdgcn-amd-amdhsa--gfx1250
amdhsa.version:
  - 1
  - 2
...

	.end_amdgpu_metadata
